;; amdgpu-corpus repo=pytorch/pytorch kind=compiled arch=gfx906 opt=O3
	.amdgcn_target "amdgcn-amd-amdhsa--gfx906"
	.amdhsa_code_object_version 6
	.section	.text._ZN7rocprim17ROCPRIM_400000_NS6detail17trampoline_kernelINS0_14default_configENS1_22reduce_config_selectorIlEEZNS1_11reduce_implILb1ES3_PlS7_lN6thrust23THRUST_200600_302600_NS4plusIlEEEE10hipError_tPvRmT1_T2_T3_mT4_P12ihipStream_tbEUlT_E0_NS1_11comp_targetILNS1_3genE0ELNS1_11target_archE4294967295ELNS1_3gpuE0ELNS1_3repE0EEENS1_30default_config_static_selectorELNS0_4arch9wavefront6targetE1EEEvSF_,"axG",@progbits,_ZN7rocprim17ROCPRIM_400000_NS6detail17trampoline_kernelINS0_14default_configENS1_22reduce_config_selectorIlEEZNS1_11reduce_implILb1ES3_PlS7_lN6thrust23THRUST_200600_302600_NS4plusIlEEEE10hipError_tPvRmT1_T2_T3_mT4_P12ihipStream_tbEUlT_E0_NS1_11comp_targetILNS1_3genE0ELNS1_11target_archE4294967295ELNS1_3gpuE0ELNS1_3repE0EEENS1_30default_config_static_selectorELNS0_4arch9wavefront6targetE1EEEvSF_,comdat
	.protected	_ZN7rocprim17ROCPRIM_400000_NS6detail17trampoline_kernelINS0_14default_configENS1_22reduce_config_selectorIlEEZNS1_11reduce_implILb1ES3_PlS7_lN6thrust23THRUST_200600_302600_NS4plusIlEEEE10hipError_tPvRmT1_T2_T3_mT4_P12ihipStream_tbEUlT_E0_NS1_11comp_targetILNS1_3genE0ELNS1_11target_archE4294967295ELNS1_3gpuE0ELNS1_3repE0EEENS1_30default_config_static_selectorELNS0_4arch9wavefront6targetE1EEEvSF_ ; -- Begin function _ZN7rocprim17ROCPRIM_400000_NS6detail17trampoline_kernelINS0_14default_configENS1_22reduce_config_selectorIlEEZNS1_11reduce_implILb1ES3_PlS7_lN6thrust23THRUST_200600_302600_NS4plusIlEEEE10hipError_tPvRmT1_T2_T3_mT4_P12ihipStream_tbEUlT_E0_NS1_11comp_targetILNS1_3genE0ELNS1_11target_archE4294967295ELNS1_3gpuE0ELNS1_3repE0EEENS1_30default_config_static_selectorELNS0_4arch9wavefront6targetE1EEEvSF_
	.globl	_ZN7rocprim17ROCPRIM_400000_NS6detail17trampoline_kernelINS0_14default_configENS1_22reduce_config_selectorIlEEZNS1_11reduce_implILb1ES3_PlS7_lN6thrust23THRUST_200600_302600_NS4plusIlEEEE10hipError_tPvRmT1_T2_T3_mT4_P12ihipStream_tbEUlT_E0_NS1_11comp_targetILNS1_3genE0ELNS1_11target_archE4294967295ELNS1_3gpuE0ELNS1_3repE0EEENS1_30default_config_static_selectorELNS0_4arch9wavefront6targetE1EEEvSF_
	.p2align	8
	.type	_ZN7rocprim17ROCPRIM_400000_NS6detail17trampoline_kernelINS0_14default_configENS1_22reduce_config_selectorIlEEZNS1_11reduce_implILb1ES3_PlS7_lN6thrust23THRUST_200600_302600_NS4plusIlEEEE10hipError_tPvRmT1_T2_T3_mT4_P12ihipStream_tbEUlT_E0_NS1_11comp_targetILNS1_3genE0ELNS1_11target_archE4294967295ELNS1_3gpuE0ELNS1_3repE0EEENS1_30default_config_static_selectorELNS0_4arch9wavefront6targetE1EEEvSF_,@function
_ZN7rocprim17ROCPRIM_400000_NS6detail17trampoline_kernelINS0_14default_configENS1_22reduce_config_selectorIlEEZNS1_11reduce_implILb1ES3_PlS7_lN6thrust23THRUST_200600_302600_NS4plusIlEEEE10hipError_tPvRmT1_T2_T3_mT4_P12ihipStream_tbEUlT_E0_NS1_11comp_targetILNS1_3genE0ELNS1_11target_archE4294967295ELNS1_3gpuE0ELNS1_3repE0EEENS1_30default_config_static_selectorELNS0_4arch9wavefront6targetE1EEEvSF_: ; @_ZN7rocprim17ROCPRIM_400000_NS6detail17trampoline_kernelINS0_14default_configENS1_22reduce_config_selectorIlEEZNS1_11reduce_implILb1ES3_PlS7_lN6thrust23THRUST_200600_302600_NS4plusIlEEEE10hipError_tPvRmT1_T2_T3_mT4_P12ihipStream_tbEUlT_E0_NS1_11comp_targetILNS1_3genE0ELNS1_11target_archE4294967295ELNS1_3gpuE0ELNS1_3repE0EEENS1_30default_config_static_selectorELNS0_4arch9wavefront6targetE1EEEvSF_
; %bb.0:
	.section	.rodata,"a",@progbits
	.p2align	6, 0x0
	.amdhsa_kernel _ZN7rocprim17ROCPRIM_400000_NS6detail17trampoline_kernelINS0_14default_configENS1_22reduce_config_selectorIlEEZNS1_11reduce_implILb1ES3_PlS7_lN6thrust23THRUST_200600_302600_NS4plusIlEEEE10hipError_tPvRmT1_T2_T3_mT4_P12ihipStream_tbEUlT_E0_NS1_11comp_targetILNS1_3genE0ELNS1_11target_archE4294967295ELNS1_3gpuE0ELNS1_3repE0EEENS1_30default_config_static_selectorELNS0_4arch9wavefront6targetE1EEEvSF_
		.amdhsa_group_segment_fixed_size 0
		.amdhsa_private_segment_fixed_size 0
		.amdhsa_kernarg_size 64
		.amdhsa_user_sgpr_count 6
		.amdhsa_user_sgpr_private_segment_buffer 1
		.amdhsa_user_sgpr_dispatch_ptr 0
		.amdhsa_user_sgpr_queue_ptr 0
		.amdhsa_user_sgpr_kernarg_segment_ptr 1
		.amdhsa_user_sgpr_dispatch_id 0
		.amdhsa_user_sgpr_flat_scratch_init 0
		.amdhsa_user_sgpr_private_segment_size 0
		.amdhsa_uses_dynamic_stack 0
		.amdhsa_system_sgpr_private_segment_wavefront_offset 0
		.amdhsa_system_sgpr_workgroup_id_x 1
		.amdhsa_system_sgpr_workgroup_id_y 0
		.amdhsa_system_sgpr_workgroup_id_z 0
		.amdhsa_system_sgpr_workgroup_info 0
		.amdhsa_system_vgpr_workitem_id 0
		.amdhsa_next_free_vgpr 1
		.amdhsa_next_free_sgpr 0
		.amdhsa_reserve_vcc 0
		.amdhsa_reserve_flat_scratch 0
		.amdhsa_float_round_mode_32 0
		.amdhsa_float_round_mode_16_64 0
		.amdhsa_float_denorm_mode_32 3
		.amdhsa_float_denorm_mode_16_64 3
		.amdhsa_dx10_clamp 1
		.amdhsa_ieee_mode 1
		.amdhsa_fp16_overflow 0
		.amdhsa_exception_fp_ieee_invalid_op 0
		.amdhsa_exception_fp_denorm_src 0
		.amdhsa_exception_fp_ieee_div_zero 0
		.amdhsa_exception_fp_ieee_overflow 0
		.amdhsa_exception_fp_ieee_underflow 0
		.amdhsa_exception_fp_ieee_inexact 0
		.amdhsa_exception_int_div_zero 0
	.end_amdhsa_kernel
	.section	.text._ZN7rocprim17ROCPRIM_400000_NS6detail17trampoline_kernelINS0_14default_configENS1_22reduce_config_selectorIlEEZNS1_11reduce_implILb1ES3_PlS7_lN6thrust23THRUST_200600_302600_NS4plusIlEEEE10hipError_tPvRmT1_T2_T3_mT4_P12ihipStream_tbEUlT_E0_NS1_11comp_targetILNS1_3genE0ELNS1_11target_archE4294967295ELNS1_3gpuE0ELNS1_3repE0EEENS1_30default_config_static_selectorELNS0_4arch9wavefront6targetE1EEEvSF_,"axG",@progbits,_ZN7rocprim17ROCPRIM_400000_NS6detail17trampoline_kernelINS0_14default_configENS1_22reduce_config_selectorIlEEZNS1_11reduce_implILb1ES3_PlS7_lN6thrust23THRUST_200600_302600_NS4plusIlEEEE10hipError_tPvRmT1_T2_T3_mT4_P12ihipStream_tbEUlT_E0_NS1_11comp_targetILNS1_3genE0ELNS1_11target_archE4294967295ELNS1_3gpuE0ELNS1_3repE0EEENS1_30default_config_static_selectorELNS0_4arch9wavefront6targetE1EEEvSF_,comdat
.Lfunc_end0:
	.size	_ZN7rocprim17ROCPRIM_400000_NS6detail17trampoline_kernelINS0_14default_configENS1_22reduce_config_selectorIlEEZNS1_11reduce_implILb1ES3_PlS7_lN6thrust23THRUST_200600_302600_NS4plusIlEEEE10hipError_tPvRmT1_T2_T3_mT4_P12ihipStream_tbEUlT_E0_NS1_11comp_targetILNS1_3genE0ELNS1_11target_archE4294967295ELNS1_3gpuE0ELNS1_3repE0EEENS1_30default_config_static_selectorELNS0_4arch9wavefront6targetE1EEEvSF_, .Lfunc_end0-_ZN7rocprim17ROCPRIM_400000_NS6detail17trampoline_kernelINS0_14default_configENS1_22reduce_config_selectorIlEEZNS1_11reduce_implILb1ES3_PlS7_lN6thrust23THRUST_200600_302600_NS4plusIlEEEE10hipError_tPvRmT1_T2_T3_mT4_P12ihipStream_tbEUlT_E0_NS1_11comp_targetILNS1_3genE0ELNS1_11target_archE4294967295ELNS1_3gpuE0ELNS1_3repE0EEENS1_30default_config_static_selectorELNS0_4arch9wavefront6targetE1EEEvSF_
                                        ; -- End function
	.set _ZN7rocprim17ROCPRIM_400000_NS6detail17trampoline_kernelINS0_14default_configENS1_22reduce_config_selectorIlEEZNS1_11reduce_implILb1ES3_PlS7_lN6thrust23THRUST_200600_302600_NS4plusIlEEEE10hipError_tPvRmT1_T2_T3_mT4_P12ihipStream_tbEUlT_E0_NS1_11comp_targetILNS1_3genE0ELNS1_11target_archE4294967295ELNS1_3gpuE0ELNS1_3repE0EEENS1_30default_config_static_selectorELNS0_4arch9wavefront6targetE1EEEvSF_.num_vgpr, 0
	.set _ZN7rocprim17ROCPRIM_400000_NS6detail17trampoline_kernelINS0_14default_configENS1_22reduce_config_selectorIlEEZNS1_11reduce_implILb1ES3_PlS7_lN6thrust23THRUST_200600_302600_NS4plusIlEEEE10hipError_tPvRmT1_T2_T3_mT4_P12ihipStream_tbEUlT_E0_NS1_11comp_targetILNS1_3genE0ELNS1_11target_archE4294967295ELNS1_3gpuE0ELNS1_3repE0EEENS1_30default_config_static_selectorELNS0_4arch9wavefront6targetE1EEEvSF_.num_agpr, 0
	.set _ZN7rocprim17ROCPRIM_400000_NS6detail17trampoline_kernelINS0_14default_configENS1_22reduce_config_selectorIlEEZNS1_11reduce_implILb1ES3_PlS7_lN6thrust23THRUST_200600_302600_NS4plusIlEEEE10hipError_tPvRmT1_T2_T3_mT4_P12ihipStream_tbEUlT_E0_NS1_11comp_targetILNS1_3genE0ELNS1_11target_archE4294967295ELNS1_3gpuE0ELNS1_3repE0EEENS1_30default_config_static_selectorELNS0_4arch9wavefront6targetE1EEEvSF_.numbered_sgpr, 0
	.set _ZN7rocprim17ROCPRIM_400000_NS6detail17trampoline_kernelINS0_14default_configENS1_22reduce_config_selectorIlEEZNS1_11reduce_implILb1ES3_PlS7_lN6thrust23THRUST_200600_302600_NS4plusIlEEEE10hipError_tPvRmT1_T2_T3_mT4_P12ihipStream_tbEUlT_E0_NS1_11comp_targetILNS1_3genE0ELNS1_11target_archE4294967295ELNS1_3gpuE0ELNS1_3repE0EEENS1_30default_config_static_selectorELNS0_4arch9wavefront6targetE1EEEvSF_.num_named_barrier, 0
	.set _ZN7rocprim17ROCPRIM_400000_NS6detail17trampoline_kernelINS0_14default_configENS1_22reduce_config_selectorIlEEZNS1_11reduce_implILb1ES3_PlS7_lN6thrust23THRUST_200600_302600_NS4plusIlEEEE10hipError_tPvRmT1_T2_T3_mT4_P12ihipStream_tbEUlT_E0_NS1_11comp_targetILNS1_3genE0ELNS1_11target_archE4294967295ELNS1_3gpuE0ELNS1_3repE0EEENS1_30default_config_static_selectorELNS0_4arch9wavefront6targetE1EEEvSF_.private_seg_size, 0
	.set _ZN7rocprim17ROCPRIM_400000_NS6detail17trampoline_kernelINS0_14default_configENS1_22reduce_config_selectorIlEEZNS1_11reduce_implILb1ES3_PlS7_lN6thrust23THRUST_200600_302600_NS4plusIlEEEE10hipError_tPvRmT1_T2_T3_mT4_P12ihipStream_tbEUlT_E0_NS1_11comp_targetILNS1_3genE0ELNS1_11target_archE4294967295ELNS1_3gpuE0ELNS1_3repE0EEENS1_30default_config_static_selectorELNS0_4arch9wavefront6targetE1EEEvSF_.uses_vcc, 0
	.set _ZN7rocprim17ROCPRIM_400000_NS6detail17trampoline_kernelINS0_14default_configENS1_22reduce_config_selectorIlEEZNS1_11reduce_implILb1ES3_PlS7_lN6thrust23THRUST_200600_302600_NS4plusIlEEEE10hipError_tPvRmT1_T2_T3_mT4_P12ihipStream_tbEUlT_E0_NS1_11comp_targetILNS1_3genE0ELNS1_11target_archE4294967295ELNS1_3gpuE0ELNS1_3repE0EEENS1_30default_config_static_selectorELNS0_4arch9wavefront6targetE1EEEvSF_.uses_flat_scratch, 0
	.set _ZN7rocprim17ROCPRIM_400000_NS6detail17trampoline_kernelINS0_14default_configENS1_22reduce_config_selectorIlEEZNS1_11reduce_implILb1ES3_PlS7_lN6thrust23THRUST_200600_302600_NS4plusIlEEEE10hipError_tPvRmT1_T2_T3_mT4_P12ihipStream_tbEUlT_E0_NS1_11comp_targetILNS1_3genE0ELNS1_11target_archE4294967295ELNS1_3gpuE0ELNS1_3repE0EEENS1_30default_config_static_selectorELNS0_4arch9wavefront6targetE1EEEvSF_.has_dyn_sized_stack, 0
	.set _ZN7rocprim17ROCPRIM_400000_NS6detail17trampoline_kernelINS0_14default_configENS1_22reduce_config_selectorIlEEZNS1_11reduce_implILb1ES3_PlS7_lN6thrust23THRUST_200600_302600_NS4plusIlEEEE10hipError_tPvRmT1_T2_T3_mT4_P12ihipStream_tbEUlT_E0_NS1_11comp_targetILNS1_3genE0ELNS1_11target_archE4294967295ELNS1_3gpuE0ELNS1_3repE0EEENS1_30default_config_static_selectorELNS0_4arch9wavefront6targetE1EEEvSF_.has_recursion, 0
	.set _ZN7rocprim17ROCPRIM_400000_NS6detail17trampoline_kernelINS0_14default_configENS1_22reduce_config_selectorIlEEZNS1_11reduce_implILb1ES3_PlS7_lN6thrust23THRUST_200600_302600_NS4plusIlEEEE10hipError_tPvRmT1_T2_T3_mT4_P12ihipStream_tbEUlT_E0_NS1_11comp_targetILNS1_3genE0ELNS1_11target_archE4294967295ELNS1_3gpuE0ELNS1_3repE0EEENS1_30default_config_static_selectorELNS0_4arch9wavefront6targetE1EEEvSF_.has_indirect_call, 0
	.section	.AMDGPU.csdata,"",@progbits
; Kernel info:
; codeLenInByte = 0
; TotalNumSgprs: 4
; NumVgprs: 0
; ScratchSize: 0
; MemoryBound: 0
; FloatMode: 240
; IeeeMode: 1
; LDSByteSize: 0 bytes/workgroup (compile time only)
; SGPRBlocks: 0
; VGPRBlocks: 0
; NumSGPRsForWavesPerEU: 4
; NumVGPRsForWavesPerEU: 1
; Occupancy: 10
; WaveLimiterHint : 0
; COMPUTE_PGM_RSRC2:SCRATCH_EN: 0
; COMPUTE_PGM_RSRC2:USER_SGPR: 6
; COMPUTE_PGM_RSRC2:TRAP_HANDLER: 0
; COMPUTE_PGM_RSRC2:TGID_X_EN: 1
; COMPUTE_PGM_RSRC2:TGID_Y_EN: 0
; COMPUTE_PGM_RSRC2:TGID_Z_EN: 0
; COMPUTE_PGM_RSRC2:TIDIG_COMP_CNT: 0
	.section	.text._ZN7rocprim17ROCPRIM_400000_NS6detail17trampoline_kernelINS0_14default_configENS1_22reduce_config_selectorIlEEZNS1_11reduce_implILb1ES3_PlS7_lN6thrust23THRUST_200600_302600_NS4plusIlEEEE10hipError_tPvRmT1_T2_T3_mT4_P12ihipStream_tbEUlT_E0_NS1_11comp_targetILNS1_3genE5ELNS1_11target_archE942ELNS1_3gpuE9ELNS1_3repE0EEENS1_30default_config_static_selectorELNS0_4arch9wavefront6targetE1EEEvSF_,"axG",@progbits,_ZN7rocprim17ROCPRIM_400000_NS6detail17trampoline_kernelINS0_14default_configENS1_22reduce_config_selectorIlEEZNS1_11reduce_implILb1ES3_PlS7_lN6thrust23THRUST_200600_302600_NS4plusIlEEEE10hipError_tPvRmT1_T2_T3_mT4_P12ihipStream_tbEUlT_E0_NS1_11comp_targetILNS1_3genE5ELNS1_11target_archE942ELNS1_3gpuE9ELNS1_3repE0EEENS1_30default_config_static_selectorELNS0_4arch9wavefront6targetE1EEEvSF_,comdat
	.protected	_ZN7rocprim17ROCPRIM_400000_NS6detail17trampoline_kernelINS0_14default_configENS1_22reduce_config_selectorIlEEZNS1_11reduce_implILb1ES3_PlS7_lN6thrust23THRUST_200600_302600_NS4plusIlEEEE10hipError_tPvRmT1_T2_T3_mT4_P12ihipStream_tbEUlT_E0_NS1_11comp_targetILNS1_3genE5ELNS1_11target_archE942ELNS1_3gpuE9ELNS1_3repE0EEENS1_30default_config_static_selectorELNS0_4arch9wavefront6targetE1EEEvSF_ ; -- Begin function _ZN7rocprim17ROCPRIM_400000_NS6detail17trampoline_kernelINS0_14default_configENS1_22reduce_config_selectorIlEEZNS1_11reduce_implILb1ES3_PlS7_lN6thrust23THRUST_200600_302600_NS4plusIlEEEE10hipError_tPvRmT1_T2_T3_mT4_P12ihipStream_tbEUlT_E0_NS1_11comp_targetILNS1_3genE5ELNS1_11target_archE942ELNS1_3gpuE9ELNS1_3repE0EEENS1_30default_config_static_selectorELNS0_4arch9wavefront6targetE1EEEvSF_
	.globl	_ZN7rocprim17ROCPRIM_400000_NS6detail17trampoline_kernelINS0_14default_configENS1_22reduce_config_selectorIlEEZNS1_11reduce_implILb1ES3_PlS7_lN6thrust23THRUST_200600_302600_NS4plusIlEEEE10hipError_tPvRmT1_T2_T3_mT4_P12ihipStream_tbEUlT_E0_NS1_11comp_targetILNS1_3genE5ELNS1_11target_archE942ELNS1_3gpuE9ELNS1_3repE0EEENS1_30default_config_static_selectorELNS0_4arch9wavefront6targetE1EEEvSF_
	.p2align	8
	.type	_ZN7rocprim17ROCPRIM_400000_NS6detail17trampoline_kernelINS0_14default_configENS1_22reduce_config_selectorIlEEZNS1_11reduce_implILb1ES3_PlS7_lN6thrust23THRUST_200600_302600_NS4plusIlEEEE10hipError_tPvRmT1_T2_T3_mT4_P12ihipStream_tbEUlT_E0_NS1_11comp_targetILNS1_3genE5ELNS1_11target_archE942ELNS1_3gpuE9ELNS1_3repE0EEENS1_30default_config_static_selectorELNS0_4arch9wavefront6targetE1EEEvSF_,@function
_ZN7rocprim17ROCPRIM_400000_NS6detail17trampoline_kernelINS0_14default_configENS1_22reduce_config_selectorIlEEZNS1_11reduce_implILb1ES3_PlS7_lN6thrust23THRUST_200600_302600_NS4plusIlEEEE10hipError_tPvRmT1_T2_T3_mT4_P12ihipStream_tbEUlT_E0_NS1_11comp_targetILNS1_3genE5ELNS1_11target_archE942ELNS1_3gpuE9ELNS1_3repE0EEENS1_30default_config_static_selectorELNS0_4arch9wavefront6targetE1EEEvSF_: ; @_ZN7rocprim17ROCPRIM_400000_NS6detail17trampoline_kernelINS0_14default_configENS1_22reduce_config_selectorIlEEZNS1_11reduce_implILb1ES3_PlS7_lN6thrust23THRUST_200600_302600_NS4plusIlEEEE10hipError_tPvRmT1_T2_T3_mT4_P12ihipStream_tbEUlT_E0_NS1_11comp_targetILNS1_3genE5ELNS1_11target_archE942ELNS1_3gpuE9ELNS1_3repE0EEENS1_30default_config_static_selectorELNS0_4arch9wavefront6targetE1EEEvSF_
; %bb.0:
	.section	.rodata,"a",@progbits
	.p2align	6, 0x0
	.amdhsa_kernel _ZN7rocprim17ROCPRIM_400000_NS6detail17trampoline_kernelINS0_14default_configENS1_22reduce_config_selectorIlEEZNS1_11reduce_implILb1ES3_PlS7_lN6thrust23THRUST_200600_302600_NS4plusIlEEEE10hipError_tPvRmT1_T2_T3_mT4_P12ihipStream_tbEUlT_E0_NS1_11comp_targetILNS1_3genE5ELNS1_11target_archE942ELNS1_3gpuE9ELNS1_3repE0EEENS1_30default_config_static_selectorELNS0_4arch9wavefront6targetE1EEEvSF_
		.amdhsa_group_segment_fixed_size 0
		.amdhsa_private_segment_fixed_size 0
		.amdhsa_kernarg_size 64
		.amdhsa_user_sgpr_count 6
		.amdhsa_user_sgpr_private_segment_buffer 1
		.amdhsa_user_sgpr_dispatch_ptr 0
		.amdhsa_user_sgpr_queue_ptr 0
		.amdhsa_user_sgpr_kernarg_segment_ptr 1
		.amdhsa_user_sgpr_dispatch_id 0
		.amdhsa_user_sgpr_flat_scratch_init 0
		.amdhsa_user_sgpr_private_segment_size 0
		.amdhsa_uses_dynamic_stack 0
		.amdhsa_system_sgpr_private_segment_wavefront_offset 0
		.amdhsa_system_sgpr_workgroup_id_x 1
		.amdhsa_system_sgpr_workgroup_id_y 0
		.amdhsa_system_sgpr_workgroup_id_z 0
		.amdhsa_system_sgpr_workgroup_info 0
		.amdhsa_system_vgpr_workitem_id 0
		.amdhsa_next_free_vgpr 1
		.amdhsa_next_free_sgpr 0
		.amdhsa_reserve_vcc 0
		.amdhsa_reserve_flat_scratch 0
		.amdhsa_float_round_mode_32 0
		.amdhsa_float_round_mode_16_64 0
		.amdhsa_float_denorm_mode_32 3
		.amdhsa_float_denorm_mode_16_64 3
		.amdhsa_dx10_clamp 1
		.amdhsa_ieee_mode 1
		.amdhsa_fp16_overflow 0
		.amdhsa_exception_fp_ieee_invalid_op 0
		.amdhsa_exception_fp_denorm_src 0
		.amdhsa_exception_fp_ieee_div_zero 0
		.amdhsa_exception_fp_ieee_overflow 0
		.amdhsa_exception_fp_ieee_underflow 0
		.amdhsa_exception_fp_ieee_inexact 0
		.amdhsa_exception_int_div_zero 0
	.end_amdhsa_kernel
	.section	.text._ZN7rocprim17ROCPRIM_400000_NS6detail17trampoline_kernelINS0_14default_configENS1_22reduce_config_selectorIlEEZNS1_11reduce_implILb1ES3_PlS7_lN6thrust23THRUST_200600_302600_NS4plusIlEEEE10hipError_tPvRmT1_T2_T3_mT4_P12ihipStream_tbEUlT_E0_NS1_11comp_targetILNS1_3genE5ELNS1_11target_archE942ELNS1_3gpuE9ELNS1_3repE0EEENS1_30default_config_static_selectorELNS0_4arch9wavefront6targetE1EEEvSF_,"axG",@progbits,_ZN7rocprim17ROCPRIM_400000_NS6detail17trampoline_kernelINS0_14default_configENS1_22reduce_config_selectorIlEEZNS1_11reduce_implILb1ES3_PlS7_lN6thrust23THRUST_200600_302600_NS4plusIlEEEE10hipError_tPvRmT1_T2_T3_mT4_P12ihipStream_tbEUlT_E0_NS1_11comp_targetILNS1_3genE5ELNS1_11target_archE942ELNS1_3gpuE9ELNS1_3repE0EEENS1_30default_config_static_selectorELNS0_4arch9wavefront6targetE1EEEvSF_,comdat
.Lfunc_end1:
	.size	_ZN7rocprim17ROCPRIM_400000_NS6detail17trampoline_kernelINS0_14default_configENS1_22reduce_config_selectorIlEEZNS1_11reduce_implILb1ES3_PlS7_lN6thrust23THRUST_200600_302600_NS4plusIlEEEE10hipError_tPvRmT1_T2_T3_mT4_P12ihipStream_tbEUlT_E0_NS1_11comp_targetILNS1_3genE5ELNS1_11target_archE942ELNS1_3gpuE9ELNS1_3repE0EEENS1_30default_config_static_selectorELNS0_4arch9wavefront6targetE1EEEvSF_, .Lfunc_end1-_ZN7rocprim17ROCPRIM_400000_NS6detail17trampoline_kernelINS0_14default_configENS1_22reduce_config_selectorIlEEZNS1_11reduce_implILb1ES3_PlS7_lN6thrust23THRUST_200600_302600_NS4plusIlEEEE10hipError_tPvRmT1_T2_T3_mT4_P12ihipStream_tbEUlT_E0_NS1_11comp_targetILNS1_3genE5ELNS1_11target_archE942ELNS1_3gpuE9ELNS1_3repE0EEENS1_30default_config_static_selectorELNS0_4arch9wavefront6targetE1EEEvSF_
                                        ; -- End function
	.set _ZN7rocprim17ROCPRIM_400000_NS6detail17trampoline_kernelINS0_14default_configENS1_22reduce_config_selectorIlEEZNS1_11reduce_implILb1ES3_PlS7_lN6thrust23THRUST_200600_302600_NS4plusIlEEEE10hipError_tPvRmT1_T2_T3_mT4_P12ihipStream_tbEUlT_E0_NS1_11comp_targetILNS1_3genE5ELNS1_11target_archE942ELNS1_3gpuE9ELNS1_3repE0EEENS1_30default_config_static_selectorELNS0_4arch9wavefront6targetE1EEEvSF_.num_vgpr, 0
	.set _ZN7rocprim17ROCPRIM_400000_NS6detail17trampoline_kernelINS0_14default_configENS1_22reduce_config_selectorIlEEZNS1_11reduce_implILb1ES3_PlS7_lN6thrust23THRUST_200600_302600_NS4plusIlEEEE10hipError_tPvRmT1_T2_T3_mT4_P12ihipStream_tbEUlT_E0_NS1_11comp_targetILNS1_3genE5ELNS1_11target_archE942ELNS1_3gpuE9ELNS1_3repE0EEENS1_30default_config_static_selectorELNS0_4arch9wavefront6targetE1EEEvSF_.num_agpr, 0
	.set _ZN7rocprim17ROCPRIM_400000_NS6detail17trampoline_kernelINS0_14default_configENS1_22reduce_config_selectorIlEEZNS1_11reduce_implILb1ES3_PlS7_lN6thrust23THRUST_200600_302600_NS4plusIlEEEE10hipError_tPvRmT1_T2_T3_mT4_P12ihipStream_tbEUlT_E0_NS1_11comp_targetILNS1_3genE5ELNS1_11target_archE942ELNS1_3gpuE9ELNS1_3repE0EEENS1_30default_config_static_selectorELNS0_4arch9wavefront6targetE1EEEvSF_.numbered_sgpr, 0
	.set _ZN7rocprim17ROCPRIM_400000_NS6detail17trampoline_kernelINS0_14default_configENS1_22reduce_config_selectorIlEEZNS1_11reduce_implILb1ES3_PlS7_lN6thrust23THRUST_200600_302600_NS4plusIlEEEE10hipError_tPvRmT1_T2_T3_mT4_P12ihipStream_tbEUlT_E0_NS1_11comp_targetILNS1_3genE5ELNS1_11target_archE942ELNS1_3gpuE9ELNS1_3repE0EEENS1_30default_config_static_selectorELNS0_4arch9wavefront6targetE1EEEvSF_.num_named_barrier, 0
	.set _ZN7rocprim17ROCPRIM_400000_NS6detail17trampoline_kernelINS0_14default_configENS1_22reduce_config_selectorIlEEZNS1_11reduce_implILb1ES3_PlS7_lN6thrust23THRUST_200600_302600_NS4plusIlEEEE10hipError_tPvRmT1_T2_T3_mT4_P12ihipStream_tbEUlT_E0_NS1_11comp_targetILNS1_3genE5ELNS1_11target_archE942ELNS1_3gpuE9ELNS1_3repE0EEENS1_30default_config_static_selectorELNS0_4arch9wavefront6targetE1EEEvSF_.private_seg_size, 0
	.set _ZN7rocprim17ROCPRIM_400000_NS6detail17trampoline_kernelINS0_14default_configENS1_22reduce_config_selectorIlEEZNS1_11reduce_implILb1ES3_PlS7_lN6thrust23THRUST_200600_302600_NS4plusIlEEEE10hipError_tPvRmT1_T2_T3_mT4_P12ihipStream_tbEUlT_E0_NS1_11comp_targetILNS1_3genE5ELNS1_11target_archE942ELNS1_3gpuE9ELNS1_3repE0EEENS1_30default_config_static_selectorELNS0_4arch9wavefront6targetE1EEEvSF_.uses_vcc, 0
	.set _ZN7rocprim17ROCPRIM_400000_NS6detail17trampoline_kernelINS0_14default_configENS1_22reduce_config_selectorIlEEZNS1_11reduce_implILb1ES3_PlS7_lN6thrust23THRUST_200600_302600_NS4plusIlEEEE10hipError_tPvRmT1_T2_T3_mT4_P12ihipStream_tbEUlT_E0_NS1_11comp_targetILNS1_3genE5ELNS1_11target_archE942ELNS1_3gpuE9ELNS1_3repE0EEENS1_30default_config_static_selectorELNS0_4arch9wavefront6targetE1EEEvSF_.uses_flat_scratch, 0
	.set _ZN7rocprim17ROCPRIM_400000_NS6detail17trampoline_kernelINS0_14default_configENS1_22reduce_config_selectorIlEEZNS1_11reduce_implILb1ES3_PlS7_lN6thrust23THRUST_200600_302600_NS4plusIlEEEE10hipError_tPvRmT1_T2_T3_mT4_P12ihipStream_tbEUlT_E0_NS1_11comp_targetILNS1_3genE5ELNS1_11target_archE942ELNS1_3gpuE9ELNS1_3repE0EEENS1_30default_config_static_selectorELNS0_4arch9wavefront6targetE1EEEvSF_.has_dyn_sized_stack, 0
	.set _ZN7rocprim17ROCPRIM_400000_NS6detail17trampoline_kernelINS0_14default_configENS1_22reduce_config_selectorIlEEZNS1_11reduce_implILb1ES3_PlS7_lN6thrust23THRUST_200600_302600_NS4plusIlEEEE10hipError_tPvRmT1_T2_T3_mT4_P12ihipStream_tbEUlT_E0_NS1_11comp_targetILNS1_3genE5ELNS1_11target_archE942ELNS1_3gpuE9ELNS1_3repE0EEENS1_30default_config_static_selectorELNS0_4arch9wavefront6targetE1EEEvSF_.has_recursion, 0
	.set _ZN7rocprim17ROCPRIM_400000_NS6detail17trampoline_kernelINS0_14default_configENS1_22reduce_config_selectorIlEEZNS1_11reduce_implILb1ES3_PlS7_lN6thrust23THRUST_200600_302600_NS4plusIlEEEE10hipError_tPvRmT1_T2_T3_mT4_P12ihipStream_tbEUlT_E0_NS1_11comp_targetILNS1_3genE5ELNS1_11target_archE942ELNS1_3gpuE9ELNS1_3repE0EEENS1_30default_config_static_selectorELNS0_4arch9wavefront6targetE1EEEvSF_.has_indirect_call, 0
	.section	.AMDGPU.csdata,"",@progbits
; Kernel info:
; codeLenInByte = 0
; TotalNumSgprs: 4
; NumVgprs: 0
; ScratchSize: 0
; MemoryBound: 0
; FloatMode: 240
; IeeeMode: 1
; LDSByteSize: 0 bytes/workgroup (compile time only)
; SGPRBlocks: 0
; VGPRBlocks: 0
; NumSGPRsForWavesPerEU: 4
; NumVGPRsForWavesPerEU: 1
; Occupancy: 10
; WaveLimiterHint : 0
; COMPUTE_PGM_RSRC2:SCRATCH_EN: 0
; COMPUTE_PGM_RSRC2:USER_SGPR: 6
; COMPUTE_PGM_RSRC2:TRAP_HANDLER: 0
; COMPUTE_PGM_RSRC2:TGID_X_EN: 1
; COMPUTE_PGM_RSRC2:TGID_Y_EN: 0
; COMPUTE_PGM_RSRC2:TGID_Z_EN: 0
; COMPUTE_PGM_RSRC2:TIDIG_COMP_CNT: 0
	.section	.text._ZN7rocprim17ROCPRIM_400000_NS6detail17trampoline_kernelINS0_14default_configENS1_22reduce_config_selectorIlEEZNS1_11reduce_implILb1ES3_PlS7_lN6thrust23THRUST_200600_302600_NS4plusIlEEEE10hipError_tPvRmT1_T2_T3_mT4_P12ihipStream_tbEUlT_E0_NS1_11comp_targetILNS1_3genE4ELNS1_11target_archE910ELNS1_3gpuE8ELNS1_3repE0EEENS1_30default_config_static_selectorELNS0_4arch9wavefront6targetE1EEEvSF_,"axG",@progbits,_ZN7rocprim17ROCPRIM_400000_NS6detail17trampoline_kernelINS0_14default_configENS1_22reduce_config_selectorIlEEZNS1_11reduce_implILb1ES3_PlS7_lN6thrust23THRUST_200600_302600_NS4plusIlEEEE10hipError_tPvRmT1_T2_T3_mT4_P12ihipStream_tbEUlT_E0_NS1_11comp_targetILNS1_3genE4ELNS1_11target_archE910ELNS1_3gpuE8ELNS1_3repE0EEENS1_30default_config_static_selectorELNS0_4arch9wavefront6targetE1EEEvSF_,comdat
	.protected	_ZN7rocprim17ROCPRIM_400000_NS6detail17trampoline_kernelINS0_14default_configENS1_22reduce_config_selectorIlEEZNS1_11reduce_implILb1ES3_PlS7_lN6thrust23THRUST_200600_302600_NS4plusIlEEEE10hipError_tPvRmT1_T2_T3_mT4_P12ihipStream_tbEUlT_E0_NS1_11comp_targetILNS1_3genE4ELNS1_11target_archE910ELNS1_3gpuE8ELNS1_3repE0EEENS1_30default_config_static_selectorELNS0_4arch9wavefront6targetE1EEEvSF_ ; -- Begin function _ZN7rocprim17ROCPRIM_400000_NS6detail17trampoline_kernelINS0_14default_configENS1_22reduce_config_selectorIlEEZNS1_11reduce_implILb1ES3_PlS7_lN6thrust23THRUST_200600_302600_NS4plusIlEEEE10hipError_tPvRmT1_T2_T3_mT4_P12ihipStream_tbEUlT_E0_NS1_11comp_targetILNS1_3genE4ELNS1_11target_archE910ELNS1_3gpuE8ELNS1_3repE0EEENS1_30default_config_static_selectorELNS0_4arch9wavefront6targetE1EEEvSF_
	.globl	_ZN7rocprim17ROCPRIM_400000_NS6detail17trampoline_kernelINS0_14default_configENS1_22reduce_config_selectorIlEEZNS1_11reduce_implILb1ES3_PlS7_lN6thrust23THRUST_200600_302600_NS4plusIlEEEE10hipError_tPvRmT1_T2_T3_mT4_P12ihipStream_tbEUlT_E0_NS1_11comp_targetILNS1_3genE4ELNS1_11target_archE910ELNS1_3gpuE8ELNS1_3repE0EEENS1_30default_config_static_selectorELNS0_4arch9wavefront6targetE1EEEvSF_
	.p2align	8
	.type	_ZN7rocprim17ROCPRIM_400000_NS6detail17trampoline_kernelINS0_14default_configENS1_22reduce_config_selectorIlEEZNS1_11reduce_implILb1ES3_PlS7_lN6thrust23THRUST_200600_302600_NS4plusIlEEEE10hipError_tPvRmT1_T2_T3_mT4_P12ihipStream_tbEUlT_E0_NS1_11comp_targetILNS1_3genE4ELNS1_11target_archE910ELNS1_3gpuE8ELNS1_3repE0EEENS1_30default_config_static_selectorELNS0_4arch9wavefront6targetE1EEEvSF_,@function
_ZN7rocprim17ROCPRIM_400000_NS6detail17trampoline_kernelINS0_14default_configENS1_22reduce_config_selectorIlEEZNS1_11reduce_implILb1ES3_PlS7_lN6thrust23THRUST_200600_302600_NS4plusIlEEEE10hipError_tPvRmT1_T2_T3_mT4_P12ihipStream_tbEUlT_E0_NS1_11comp_targetILNS1_3genE4ELNS1_11target_archE910ELNS1_3gpuE8ELNS1_3repE0EEENS1_30default_config_static_selectorELNS0_4arch9wavefront6targetE1EEEvSF_: ; @_ZN7rocprim17ROCPRIM_400000_NS6detail17trampoline_kernelINS0_14default_configENS1_22reduce_config_selectorIlEEZNS1_11reduce_implILb1ES3_PlS7_lN6thrust23THRUST_200600_302600_NS4plusIlEEEE10hipError_tPvRmT1_T2_T3_mT4_P12ihipStream_tbEUlT_E0_NS1_11comp_targetILNS1_3genE4ELNS1_11target_archE910ELNS1_3gpuE8ELNS1_3repE0EEENS1_30default_config_static_selectorELNS0_4arch9wavefront6targetE1EEEvSF_
; %bb.0:
	.section	.rodata,"a",@progbits
	.p2align	6, 0x0
	.amdhsa_kernel _ZN7rocprim17ROCPRIM_400000_NS6detail17trampoline_kernelINS0_14default_configENS1_22reduce_config_selectorIlEEZNS1_11reduce_implILb1ES3_PlS7_lN6thrust23THRUST_200600_302600_NS4plusIlEEEE10hipError_tPvRmT1_T2_T3_mT4_P12ihipStream_tbEUlT_E0_NS1_11comp_targetILNS1_3genE4ELNS1_11target_archE910ELNS1_3gpuE8ELNS1_3repE0EEENS1_30default_config_static_selectorELNS0_4arch9wavefront6targetE1EEEvSF_
		.amdhsa_group_segment_fixed_size 0
		.amdhsa_private_segment_fixed_size 0
		.amdhsa_kernarg_size 64
		.amdhsa_user_sgpr_count 6
		.amdhsa_user_sgpr_private_segment_buffer 1
		.amdhsa_user_sgpr_dispatch_ptr 0
		.amdhsa_user_sgpr_queue_ptr 0
		.amdhsa_user_sgpr_kernarg_segment_ptr 1
		.amdhsa_user_sgpr_dispatch_id 0
		.amdhsa_user_sgpr_flat_scratch_init 0
		.amdhsa_user_sgpr_private_segment_size 0
		.amdhsa_uses_dynamic_stack 0
		.amdhsa_system_sgpr_private_segment_wavefront_offset 0
		.amdhsa_system_sgpr_workgroup_id_x 1
		.amdhsa_system_sgpr_workgroup_id_y 0
		.amdhsa_system_sgpr_workgroup_id_z 0
		.amdhsa_system_sgpr_workgroup_info 0
		.amdhsa_system_vgpr_workitem_id 0
		.amdhsa_next_free_vgpr 1
		.amdhsa_next_free_sgpr 0
		.amdhsa_reserve_vcc 0
		.amdhsa_reserve_flat_scratch 0
		.amdhsa_float_round_mode_32 0
		.amdhsa_float_round_mode_16_64 0
		.amdhsa_float_denorm_mode_32 3
		.amdhsa_float_denorm_mode_16_64 3
		.amdhsa_dx10_clamp 1
		.amdhsa_ieee_mode 1
		.amdhsa_fp16_overflow 0
		.amdhsa_exception_fp_ieee_invalid_op 0
		.amdhsa_exception_fp_denorm_src 0
		.amdhsa_exception_fp_ieee_div_zero 0
		.amdhsa_exception_fp_ieee_overflow 0
		.amdhsa_exception_fp_ieee_underflow 0
		.amdhsa_exception_fp_ieee_inexact 0
		.amdhsa_exception_int_div_zero 0
	.end_amdhsa_kernel
	.section	.text._ZN7rocprim17ROCPRIM_400000_NS6detail17trampoline_kernelINS0_14default_configENS1_22reduce_config_selectorIlEEZNS1_11reduce_implILb1ES3_PlS7_lN6thrust23THRUST_200600_302600_NS4plusIlEEEE10hipError_tPvRmT1_T2_T3_mT4_P12ihipStream_tbEUlT_E0_NS1_11comp_targetILNS1_3genE4ELNS1_11target_archE910ELNS1_3gpuE8ELNS1_3repE0EEENS1_30default_config_static_selectorELNS0_4arch9wavefront6targetE1EEEvSF_,"axG",@progbits,_ZN7rocprim17ROCPRIM_400000_NS6detail17trampoline_kernelINS0_14default_configENS1_22reduce_config_selectorIlEEZNS1_11reduce_implILb1ES3_PlS7_lN6thrust23THRUST_200600_302600_NS4plusIlEEEE10hipError_tPvRmT1_T2_T3_mT4_P12ihipStream_tbEUlT_E0_NS1_11comp_targetILNS1_3genE4ELNS1_11target_archE910ELNS1_3gpuE8ELNS1_3repE0EEENS1_30default_config_static_selectorELNS0_4arch9wavefront6targetE1EEEvSF_,comdat
.Lfunc_end2:
	.size	_ZN7rocprim17ROCPRIM_400000_NS6detail17trampoline_kernelINS0_14default_configENS1_22reduce_config_selectorIlEEZNS1_11reduce_implILb1ES3_PlS7_lN6thrust23THRUST_200600_302600_NS4plusIlEEEE10hipError_tPvRmT1_T2_T3_mT4_P12ihipStream_tbEUlT_E0_NS1_11comp_targetILNS1_3genE4ELNS1_11target_archE910ELNS1_3gpuE8ELNS1_3repE0EEENS1_30default_config_static_selectorELNS0_4arch9wavefront6targetE1EEEvSF_, .Lfunc_end2-_ZN7rocprim17ROCPRIM_400000_NS6detail17trampoline_kernelINS0_14default_configENS1_22reduce_config_selectorIlEEZNS1_11reduce_implILb1ES3_PlS7_lN6thrust23THRUST_200600_302600_NS4plusIlEEEE10hipError_tPvRmT1_T2_T3_mT4_P12ihipStream_tbEUlT_E0_NS1_11comp_targetILNS1_3genE4ELNS1_11target_archE910ELNS1_3gpuE8ELNS1_3repE0EEENS1_30default_config_static_selectorELNS0_4arch9wavefront6targetE1EEEvSF_
                                        ; -- End function
	.set _ZN7rocprim17ROCPRIM_400000_NS6detail17trampoline_kernelINS0_14default_configENS1_22reduce_config_selectorIlEEZNS1_11reduce_implILb1ES3_PlS7_lN6thrust23THRUST_200600_302600_NS4plusIlEEEE10hipError_tPvRmT1_T2_T3_mT4_P12ihipStream_tbEUlT_E0_NS1_11comp_targetILNS1_3genE4ELNS1_11target_archE910ELNS1_3gpuE8ELNS1_3repE0EEENS1_30default_config_static_selectorELNS0_4arch9wavefront6targetE1EEEvSF_.num_vgpr, 0
	.set _ZN7rocprim17ROCPRIM_400000_NS6detail17trampoline_kernelINS0_14default_configENS1_22reduce_config_selectorIlEEZNS1_11reduce_implILb1ES3_PlS7_lN6thrust23THRUST_200600_302600_NS4plusIlEEEE10hipError_tPvRmT1_T2_T3_mT4_P12ihipStream_tbEUlT_E0_NS1_11comp_targetILNS1_3genE4ELNS1_11target_archE910ELNS1_3gpuE8ELNS1_3repE0EEENS1_30default_config_static_selectorELNS0_4arch9wavefront6targetE1EEEvSF_.num_agpr, 0
	.set _ZN7rocprim17ROCPRIM_400000_NS6detail17trampoline_kernelINS0_14default_configENS1_22reduce_config_selectorIlEEZNS1_11reduce_implILb1ES3_PlS7_lN6thrust23THRUST_200600_302600_NS4plusIlEEEE10hipError_tPvRmT1_T2_T3_mT4_P12ihipStream_tbEUlT_E0_NS1_11comp_targetILNS1_3genE4ELNS1_11target_archE910ELNS1_3gpuE8ELNS1_3repE0EEENS1_30default_config_static_selectorELNS0_4arch9wavefront6targetE1EEEvSF_.numbered_sgpr, 0
	.set _ZN7rocprim17ROCPRIM_400000_NS6detail17trampoline_kernelINS0_14default_configENS1_22reduce_config_selectorIlEEZNS1_11reduce_implILb1ES3_PlS7_lN6thrust23THRUST_200600_302600_NS4plusIlEEEE10hipError_tPvRmT1_T2_T3_mT4_P12ihipStream_tbEUlT_E0_NS1_11comp_targetILNS1_3genE4ELNS1_11target_archE910ELNS1_3gpuE8ELNS1_3repE0EEENS1_30default_config_static_selectorELNS0_4arch9wavefront6targetE1EEEvSF_.num_named_barrier, 0
	.set _ZN7rocprim17ROCPRIM_400000_NS6detail17trampoline_kernelINS0_14default_configENS1_22reduce_config_selectorIlEEZNS1_11reduce_implILb1ES3_PlS7_lN6thrust23THRUST_200600_302600_NS4plusIlEEEE10hipError_tPvRmT1_T2_T3_mT4_P12ihipStream_tbEUlT_E0_NS1_11comp_targetILNS1_3genE4ELNS1_11target_archE910ELNS1_3gpuE8ELNS1_3repE0EEENS1_30default_config_static_selectorELNS0_4arch9wavefront6targetE1EEEvSF_.private_seg_size, 0
	.set _ZN7rocprim17ROCPRIM_400000_NS6detail17trampoline_kernelINS0_14default_configENS1_22reduce_config_selectorIlEEZNS1_11reduce_implILb1ES3_PlS7_lN6thrust23THRUST_200600_302600_NS4plusIlEEEE10hipError_tPvRmT1_T2_T3_mT4_P12ihipStream_tbEUlT_E0_NS1_11comp_targetILNS1_3genE4ELNS1_11target_archE910ELNS1_3gpuE8ELNS1_3repE0EEENS1_30default_config_static_selectorELNS0_4arch9wavefront6targetE1EEEvSF_.uses_vcc, 0
	.set _ZN7rocprim17ROCPRIM_400000_NS6detail17trampoline_kernelINS0_14default_configENS1_22reduce_config_selectorIlEEZNS1_11reduce_implILb1ES3_PlS7_lN6thrust23THRUST_200600_302600_NS4plusIlEEEE10hipError_tPvRmT1_T2_T3_mT4_P12ihipStream_tbEUlT_E0_NS1_11comp_targetILNS1_3genE4ELNS1_11target_archE910ELNS1_3gpuE8ELNS1_3repE0EEENS1_30default_config_static_selectorELNS0_4arch9wavefront6targetE1EEEvSF_.uses_flat_scratch, 0
	.set _ZN7rocprim17ROCPRIM_400000_NS6detail17trampoline_kernelINS0_14default_configENS1_22reduce_config_selectorIlEEZNS1_11reduce_implILb1ES3_PlS7_lN6thrust23THRUST_200600_302600_NS4plusIlEEEE10hipError_tPvRmT1_T2_T3_mT4_P12ihipStream_tbEUlT_E0_NS1_11comp_targetILNS1_3genE4ELNS1_11target_archE910ELNS1_3gpuE8ELNS1_3repE0EEENS1_30default_config_static_selectorELNS0_4arch9wavefront6targetE1EEEvSF_.has_dyn_sized_stack, 0
	.set _ZN7rocprim17ROCPRIM_400000_NS6detail17trampoline_kernelINS0_14default_configENS1_22reduce_config_selectorIlEEZNS1_11reduce_implILb1ES3_PlS7_lN6thrust23THRUST_200600_302600_NS4plusIlEEEE10hipError_tPvRmT1_T2_T3_mT4_P12ihipStream_tbEUlT_E0_NS1_11comp_targetILNS1_3genE4ELNS1_11target_archE910ELNS1_3gpuE8ELNS1_3repE0EEENS1_30default_config_static_selectorELNS0_4arch9wavefront6targetE1EEEvSF_.has_recursion, 0
	.set _ZN7rocprim17ROCPRIM_400000_NS6detail17trampoline_kernelINS0_14default_configENS1_22reduce_config_selectorIlEEZNS1_11reduce_implILb1ES3_PlS7_lN6thrust23THRUST_200600_302600_NS4plusIlEEEE10hipError_tPvRmT1_T2_T3_mT4_P12ihipStream_tbEUlT_E0_NS1_11comp_targetILNS1_3genE4ELNS1_11target_archE910ELNS1_3gpuE8ELNS1_3repE0EEENS1_30default_config_static_selectorELNS0_4arch9wavefront6targetE1EEEvSF_.has_indirect_call, 0
	.section	.AMDGPU.csdata,"",@progbits
; Kernel info:
; codeLenInByte = 0
; TotalNumSgprs: 4
; NumVgprs: 0
; ScratchSize: 0
; MemoryBound: 0
; FloatMode: 240
; IeeeMode: 1
; LDSByteSize: 0 bytes/workgroup (compile time only)
; SGPRBlocks: 0
; VGPRBlocks: 0
; NumSGPRsForWavesPerEU: 4
; NumVGPRsForWavesPerEU: 1
; Occupancy: 10
; WaveLimiterHint : 0
; COMPUTE_PGM_RSRC2:SCRATCH_EN: 0
; COMPUTE_PGM_RSRC2:USER_SGPR: 6
; COMPUTE_PGM_RSRC2:TRAP_HANDLER: 0
; COMPUTE_PGM_RSRC2:TGID_X_EN: 1
; COMPUTE_PGM_RSRC2:TGID_Y_EN: 0
; COMPUTE_PGM_RSRC2:TGID_Z_EN: 0
; COMPUTE_PGM_RSRC2:TIDIG_COMP_CNT: 0
	.section	.text._ZN7rocprim17ROCPRIM_400000_NS6detail17trampoline_kernelINS0_14default_configENS1_22reduce_config_selectorIlEEZNS1_11reduce_implILb1ES3_PlS7_lN6thrust23THRUST_200600_302600_NS4plusIlEEEE10hipError_tPvRmT1_T2_T3_mT4_P12ihipStream_tbEUlT_E0_NS1_11comp_targetILNS1_3genE3ELNS1_11target_archE908ELNS1_3gpuE7ELNS1_3repE0EEENS1_30default_config_static_selectorELNS0_4arch9wavefront6targetE1EEEvSF_,"axG",@progbits,_ZN7rocprim17ROCPRIM_400000_NS6detail17trampoline_kernelINS0_14default_configENS1_22reduce_config_selectorIlEEZNS1_11reduce_implILb1ES3_PlS7_lN6thrust23THRUST_200600_302600_NS4plusIlEEEE10hipError_tPvRmT1_T2_T3_mT4_P12ihipStream_tbEUlT_E0_NS1_11comp_targetILNS1_3genE3ELNS1_11target_archE908ELNS1_3gpuE7ELNS1_3repE0EEENS1_30default_config_static_selectorELNS0_4arch9wavefront6targetE1EEEvSF_,comdat
	.protected	_ZN7rocprim17ROCPRIM_400000_NS6detail17trampoline_kernelINS0_14default_configENS1_22reduce_config_selectorIlEEZNS1_11reduce_implILb1ES3_PlS7_lN6thrust23THRUST_200600_302600_NS4plusIlEEEE10hipError_tPvRmT1_T2_T3_mT4_P12ihipStream_tbEUlT_E0_NS1_11comp_targetILNS1_3genE3ELNS1_11target_archE908ELNS1_3gpuE7ELNS1_3repE0EEENS1_30default_config_static_selectorELNS0_4arch9wavefront6targetE1EEEvSF_ ; -- Begin function _ZN7rocprim17ROCPRIM_400000_NS6detail17trampoline_kernelINS0_14default_configENS1_22reduce_config_selectorIlEEZNS1_11reduce_implILb1ES3_PlS7_lN6thrust23THRUST_200600_302600_NS4plusIlEEEE10hipError_tPvRmT1_T2_T3_mT4_P12ihipStream_tbEUlT_E0_NS1_11comp_targetILNS1_3genE3ELNS1_11target_archE908ELNS1_3gpuE7ELNS1_3repE0EEENS1_30default_config_static_selectorELNS0_4arch9wavefront6targetE1EEEvSF_
	.globl	_ZN7rocprim17ROCPRIM_400000_NS6detail17trampoline_kernelINS0_14default_configENS1_22reduce_config_selectorIlEEZNS1_11reduce_implILb1ES3_PlS7_lN6thrust23THRUST_200600_302600_NS4plusIlEEEE10hipError_tPvRmT1_T2_T3_mT4_P12ihipStream_tbEUlT_E0_NS1_11comp_targetILNS1_3genE3ELNS1_11target_archE908ELNS1_3gpuE7ELNS1_3repE0EEENS1_30default_config_static_selectorELNS0_4arch9wavefront6targetE1EEEvSF_
	.p2align	8
	.type	_ZN7rocprim17ROCPRIM_400000_NS6detail17trampoline_kernelINS0_14default_configENS1_22reduce_config_selectorIlEEZNS1_11reduce_implILb1ES3_PlS7_lN6thrust23THRUST_200600_302600_NS4plusIlEEEE10hipError_tPvRmT1_T2_T3_mT4_P12ihipStream_tbEUlT_E0_NS1_11comp_targetILNS1_3genE3ELNS1_11target_archE908ELNS1_3gpuE7ELNS1_3repE0EEENS1_30default_config_static_selectorELNS0_4arch9wavefront6targetE1EEEvSF_,@function
_ZN7rocprim17ROCPRIM_400000_NS6detail17trampoline_kernelINS0_14default_configENS1_22reduce_config_selectorIlEEZNS1_11reduce_implILb1ES3_PlS7_lN6thrust23THRUST_200600_302600_NS4plusIlEEEE10hipError_tPvRmT1_T2_T3_mT4_P12ihipStream_tbEUlT_E0_NS1_11comp_targetILNS1_3genE3ELNS1_11target_archE908ELNS1_3gpuE7ELNS1_3repE0EEENS1_30default_config_static_selectorELNS0_4arch9wavefront6targetE1EEEvSF_: ; @_ZN7rocprim17ROCPRIM_400000_NS6detail17trampoline_kernelINS0_14default_configENS1_22reduce_config_selectorIlEEZNS1_11reduce_implILb1ES3_PlS7_lN6thrust23THRUST_200600_302600_NS4plusIlEEEE10hipError_tPvRmT1_T2_T3_mT4_P12ihipStream_tbEUlT_E0_NS1_11comp_targetILNS1_3genE3ELNS1_11target_archE908ELNS1_3gpuE7ELNS1_3repE0EEENS1_30default_config_static_selectorELNS0_4arch9wavefront6targetE1EEEvSF_
; %bb.0:
	.section	.rodata,"a",@progbits
	.p2align	6, 0x0
	.amdhsa_kernel _ZN7rocprim17ROCPRIM_400000_NS6detail17trampoline_kernelINS0_14default_configENS1_22reduce_config_selectorIlEEZNS1_11reduce_implILb1ES3_PlS7_lN6thrust23THRUST_200600_302600_NS4plusIlEEEE10hipError_tPvRmT1_T2_T3_mT4_P12ihipStream_tbEUlT_E0_NS1_11comp_targetILNS1_3genE3ELNS1_11target_archE908ELNS1_3gpuE7ELNS1_3repE0EEENS1_30default_config_static_selectorELNS0_4arch9wavefront6targetE1EEEvSF_
		.amdhsa_group_segment_fixed_size 0
		.amdhsa_private_segment_fixed_size 0
		.amdhsa_kernarg_size 64
		.amdhsa_user_sgpr_count 6
		.amdhsa_user_sgpr_private_segment_buffer 1
		.amdhsa_user_sgpr_dispatch_ptr 0
		.amdhsa_user_sgpr_queue_ptr 0
		.amdhsa_user_sgpr_kernarg_segment_ptr 1
		.amdhsa_user_sgpr_dispatch_id 0
		.amdhsa_user_sgpr_flat_scratch_init 0
		.amdhsa_user_sgpr_private_segment_size 0
		.amdhsa_uses_dynamic_stack 0
		.amdhsa_system_sgpr_private_segment_wavefront_offset 0
		.amdhsa_system_sgpr_workgroup_id_x 1
		.amdhsa_system_sgpr_workgroup_id_y 0
		.amdhsa_system_sgpr_workgroup_id_z 0
		.amdhsa_system_sgpr_workgroup_info 0
		.amdhsa_system_vgpr_workitem_id 0
		.amdhsa_next_free_vgpr 1
		.amdhsa_next_free_sgpr 0
		.amdhsa_reserve_vcc 0
		.amdhsa_reserve_flat_scratch 0
		.amdhsa_float_round_mode_32 0
		.amdhsa_float_round_mode_16_64 0
		.amdhsa_float_denorm_mode_32 3
		.amdhsa_float_denorm_mode_16_64 3
		.amdhsa_dx10_clamp 1
		.amdhsa_ieee_mode 1
		.amdhsa_fp16_overflow 0
		.amdhsa_exception_fp_ieee_invalid_op 0
		.amdhsa_exception_fp_denorm_src 0
		.amdhsa_exception_fp_ieee_div_zero 0
		.amdhsa_exception_fp_ieee_overflow 0
		.amdhsa_exception_fp_ieee_underflow 0
		.amdhsa_exception_fp_ieee_inexact 0
		.amdhsa_exception_int_div_zero 0
	.end_amdhsa_kernel
	.section	.text._ZN7rocprim17ROCPRIM_400000_NS6detail17trampoline_kernelINS0_14default_configENS1_22reduce_config_selectorIlEEZNS1_11reduce_implILb1ES3_PlS7_lN6thrust23THRUST_200600_302600_NS4plusIlEEEE10hipError_tPvRmT1_T2_T3_mT4_P12ihipStream_tbEUlT_E0_NS1_11comp_targetILNS1_3genE3ELNS1_11target_archE908ELNS1_3gpuE7ELNS1_3repE0EEENS1_30default_config_static_selectorELNS0_4arch9wavefront6targetE1EEEvSF_,"axG",@progbits,_ZN7rocprim17ROCPRIM_400000_NS6detail17trampoline_kernelINS0_14default_configENS1_22reduce_config_selectorIlEEZNS1_11reduce_implILb1ES3_PlS7_lN6thrust23THRUST_200600_302600_NS4plusIlEEEE10hipError_tPvRmT1_T2_T3_mT4_P12ihipStream_tbEUlT_E0_NS1_11comp_targetILNS1_3genE3ELNS1_11target_archE908ELNS1_3gpuE7ELNS1_3repE0EEENS1_30default_config_static_selectorELNS0_4arch9wavefront6targetE1EEEvSF_,comdat
.Lfunc_end3:
	.size	_ZN7rocprim17ROCPRIM_400000_NS6detail17trampoline_kernelINS0_14default_configENS1_22reduce_config_selectorIlEEZNS1_11reduce_implILb1ES3_PlS7_lN6thrust23THRUST_200600_302600_NS4plusIlEEEE10hipError_tPvRmT1_T2_T3_mT4_P12ihipStream_tbEUlT_E0_NS1_11comp_targetILNS1_3genE3ELNS1_11target_archE908ELNS1_3gpuE7ELNS1_3repE0EEENS1_30default_config_static_selectorELNS0_4arch9wavefront6targetE1EEEvSF_, .Lfunc_end3-_ZN7rocprim17ROCPRIM_400000_NS6detail17trampoline_kernelINS0_14default_configENS1_22reduce_config_selectorIlEEZNS1_11reduce_implILb1ES3_PlS7_lN6thrust23THRUST_200600_302600_NS4plusIlEEEE10hipError_tPvRmT1_T2_T3_mT4_P12ihipStream_tbEUlT_E0_NS1_11comp_targetILNS1_3genE3ELNS1_11target_archE908ELNS1_3gpuE7ELNS1_3repE0EEENS1_30default_config_static_selectorELNS0_4arch9wavefront6targetE1EEEvSF_
                                        ; -- End function
	.set _ZN7rocprim17ROCPRIM_400000_NS6detail17trampoline_kernelINS0_14default_configENS1_22reduce_config_selectorIlEEZNS1_11reduce_implILb1ES3_PlS7_lN6thrust23THRUST_200600_302600_NS4plusIlEEEE10hipError_tPvRmT1_T2_T3_mT4_P12ihipStream_tbEUlT_E0_NS1_11comp_targetILNS1_3genE3ELNS1_11target_archE908ELNS1_3gpuE7ELNS1_3repE0EEENS1_30default_config_static_selectorELNS0_4arch9wavefront6targetE1EEEvSF_.num_vgpr, 0
	.set _ZN7rocprim17ROCPRIM_400000_NS6detail17trampoline_kernelINS0_14default_configENS1_22reduce_config_selectorIlEEZNS1_11reduce_implILb1ES3_PlS7_lN6thrust23THRUST_200600_302600_NS4plusIlEEEE10hipError_tPvRmT1_T2_T3_mT4_P12ihipStream_tbEUlT_E0_NS1_11comp_targetILNS1_3genE3ELNS1_11target_archE908ELNS1_3gpuE7ELNS1_3repE0EEENS1_30default_config_static_selectorELNS0_4arch9wavefront6targetE1EEEvSF_.num_agpr, 0
	.set _ZN7rocprim17ROCPRIM_400000_NS6detail17trampoline_kernelINS0_14default_configENS1_22reduce_config_selectorIlEEZNS1_11reduce_implILb1ES3_PlS7_lN6thrust23THRUST_200600_302600_NS4plusIlEEEE10hipError_tPvRmT1_T2_T3_mT4_P12ihipStream_tbEUlT_E0_NS1_11comp_targetILNS1_3genE3ELNS1_11target_archE908ELNS1_3gpuE7ELNS1_3repE0EEENS1_30default_config_static_selectorELNS0_4arch9wavefront6targetE1EEEvSF_.numbered_sgpr, 0
	.set _ZN7rocprim17ROCPRIM_400000_NS6detail17trampoline_kernelINS0_14default_configENS1_22reduce_config_selectorIlEEZNS1_11reduce_implILb1ES3_PlS7_lN6thrust23THRUST_200600_302600_NS4plusIlEEEE10hipError_tPvRmT1_T2_T3_mT4_P12ihipStream_tbEUlT_E0_NS1_11comp_targetILNS1_3genE3ELNS1_11target_archE908ELNS1_3gpuE7ELNS1_3repE0EEENS1_30default_config_static_selectorELNS0_4arch9wavefront6targetE1EEEvSF_.num_named_barrier, 0
	.set _ZN7rocprim17ROCPRIM_400000_NS6detail17trampoline_kernelINS0_14default_configENS1_22reduce_config_selectorIlEEZNS1_11reduce_implILb1ES3_PlS7_lN6thrust23THRUST_200600_302600_NS4plusIlEEEE10hipError_tPvRmT1_T2_T3_mT4_P12ihipStream_tbEUlT_E0_NS1_11comp_targetILNS1_3genE3ELNS1_11target_archE908ELNS1_3gpuE7ELNS1_3repE0EEENS1_30default_config_static_selectorELNS0_4arch9wavefront6targetE1EEEvSF_.private_seg_size, 0
	.set _ZN7rocprim17ROCPRIM_400000_NS6detail17trampoline_kernelINS0_14default_configENS1_22reduce_config_selectorIlEEZNS1_11reduce_implILb1ES3_PlS7_lN6thrust23THRUST_200600_302600_NS4plusIlEEEE10hipError_tPvRmT1_T2_T3_mT4_P12ihipStream_tbEUlT_E0_NS1_11comp_targetILNS1_3genE3ELNS1_11target_archE908ELNS1_3gpuE7ELNS1_3repE0EEENS1_30default_config_static_selectorELNS0_4arch9wavefront6targetE1EEEvSF_.uses_vcc, 0
	.set _ZN7rocprim17ROCPRIM_400000_NS6detail17trampoline_kernelINS0_14default_configENS1_22reduce_config_selectorIlEEZNS1_11reduce_implILb1ES3_PlS7_lN6thrust23THRUST_200600_302600_NS4plusIlEEEE10hipError_tPvRmT1_T2_T3_mT4_P12ihipStream_tbEUlT_E0_NS1_11comp_targetILNS1_3genE3ELNS1_11target_archE908ELNS1_3gpuE7ELNS1_3repE0EEENS1_30default_config_static_selectorELNS0_4arch9wavefront6targetE1EEEvSF_.uses_flat_scratch, 0
	.set _ZN7rocprim17ROCPRIM_400000_NS6detail17trampoline_kernelINS0_14default_configENS1_22reduce_config_selectorIlEEZNS1_11reduce_implILb1ES3_PlS7_lN6thrust23THRUST_200600_302600_NS4plusIlEEEE10hipError_tPvRmT1_T2_T3_mT4_P12ihipStream_tbEUlT_E0_NS1_11comp_targetILNS1_3genE3ELNS1_11target_archE908ELNS1_3gpuE7ELNS1_3repE0EEENS1_30default_config_static_selectorELNS0_4arch9wavefront6targetE1EEEvSF_.has_dyn_sized_stack, 0
	.set _ZN7rocprim17ROCPRIM_400000_NS6detail17trampoline_kernelINS0_14default_configENS1_22reduce_config_selectorIlEEZNS1_11reduce_implILb1ES3_PlS7_lN6thrust23THRUST_200600_302600_NS4plusIlEEEE10hipError_tPvRmT1_T2_T3_mT4_P12ihipStream_tbEUlT_E0_NS1_11comp_targetILNS1_3genE3ELNS1_11target_archE908ELNS1_3gpuE7ELNS1_3repE0EEENS1_30default_config_static_selectorELNS0_4arch9wavefront6targetE1EEEvSF_.has_recursion, 0
	.set _ZN7rocprim17ROCPRIM_400000_NS6detail17trampoline_kernelINS0_14default_configENS1_22reduce_config_selectorIlEEZNS1_11reduce_implILb1ES3_PlS7_lN6thrust23THRUST_200600_302600_NS4plusIlEEEE10hipError_tPvRmT1_T2_T3_mT4_P12ihipStream_tbEUlT_E0_NS1_11comp_targetILNS1_3genE3ELNS1_11target_archE908ELNS1_3gpuE7ELNS1_3repE0EEENS1_30default_config_static_selectorELNS0_4arch9wavefront6targetE1EEEvSF_.has_indirect_call, 0
	.section	.AMDGPU.csdata,"",@progbits
; Kernel info:
; codeLenInByte = 0
; TotalNumSgprs: 4
; NumVgprs: 0
; ScratchSize: 0
; MemoryBound: 0
; FloatMode: 240
; IeeeMode: 1
; LDSByteSize: 0 bytes/workgroup (compile time only)
; SGPRBlocks: 0
; VGPRBlocks: 0
; NumSGPRsForWavesPerEU: 4
; NumVGPRsForWavesPerEU: 1
; Occupancy: 10
; WaveLimiterHint : 0
; COMPUTE_PGM_RSRC2:SCRATCH_EN: 0
; COMPUTE_PGM_RSRC2:USER_SGPR: 6
; COMPUTE_PGM_RSRC2:TRAP_HANDLER: 0
; COMPUTE_PGM_RSRC2:TGID_X_EN: 1
; COMPUTE_PGM_RSRC2:TGID_Y_EN: 0
; COMPUTE_PGM_RSRC2:TGID_Z_EN: 0
; COMPUTE_PGM_RSRC2:TIDIG_COMP_CNT: 0
	.section	.text._ZN7rocprim17ROCPRIM_400000_NS6detail17trampoline_kernelINS0_14default_configENS1_22reduce_config_selectorIlEEZNS1_11reduce_implILb1ES3_PlS7_lN6thrust23THRUST_200600_302600_NS4plusIlEEEE10hipError_tPvRmT1_T2_T3_mT4_P12ihipStream_tbEUlT_E0_NS1_11comp_targetILNS1_3genE2ELNS1_11target_archE906ELNS1_3gpuE6ELNS1_3repE0EEENS1_30default_config_static_selectorELNS0_4arch9wavefront6targetE1EEEvSF_,"axG",@progbits,_ZN7rocprim17ROCPRIM_400000_NS6detail17trampoline_kernelINS0_14default_configENS1_22reduce_config_selectorIlEEZNS1_11reduce_implILb1ES3_PlS7_lN6thrust23THRUST_200600_302600_NS4plusIlEEEE10hipError_tPvRmT1_T2_T3_mT4_P12ihipStream_tbEUlT_E0_NS1_11comp_targetILNS1_3genE2ELNS1_11target_archE906ELNS1_3gpuE6ELNS1_3repE0EEENS1_30default_config_static_selectorELNS0_4arch9wavefront6targetE1EEEvSF_,comdat
	.protected	_ZN7rocprim17ROCPRIM_400000_NS6detail17trampoline_kernelINS0_14default_configENS1_22reduce_config_selectorIlEEZNS1_11reduce_implILb1ES3_PlS7_lN6thrust23THRUST_200600_302600_NS4plusIlEEEE10hipError_tPvRmT1_T2_T3_mT4_P12ihipStream_tbEUlT_E0_NS1_11comp_targetILNS1_3genE2ELNS1_11target_archE906ELNS1_3gpuE6ELNS1_3repE0EEENS1_30default_config_static_selectorELNS0_4arch9wavefront6targetE1EEEvSF_ ; -- Begin function _ZN7rocprim17ROCPRIM_400000_NS6detail17trampoline_kernelINS0_14default_configENS1_22reduce_config_selectorIlEEZNS1_11reduce_implILb1ES3_PlS7_lN6thrust23THRUST_200600_302600_NS4plusIlEEEE10hipError_tPvRmT1_T2_T3_mT4_P12ihipStream_tbEUlT_E0_NS1_11comp_targetILNS1_3genE2ELNS1_11target_archE906ELNS1_3gpuE6ELNS1_3repE0EEENS1_30default_config_static_selectorELNS0_4arch9wavefront6targetE1EEEvSF_
	.globl	_ZN7rocprim17ROCPRIM_400000_NS6detail17trampoline_kernelINS0_14default_configENS1_22reduce_config_selectorIlEEZNS1_11reduce_implILb1ES3_PlS7_lN6thrust23THRUST_200600_302600_NS4plusIlEEEE10hipError_tPvRmT1_T2_T3_mT4_P12ihipStream_tbEUlT_E0_NS1_11comp_targetILNS1_3genE2ELNS1_11target_archE906ELNS1_3gpuE6ELNS1_3repE0EEENS1_30default_config_static_selectorELNS0_4arch9wavefront6targetE1EEEvSF_
	.p2align	8
	.type	_ZN7rocprim17ROCPRIM_400000_NS6detail17trampoline_kernelINS0_14default_configENS1_22reduce_config_selectorIlEEZNS1_11reduce_implILb1ES3_PlS7_lN6thrust23THRUST_200600_302600_NS4plusIlEEEE10hipError_tPvRmT1_T2_T3_mT4_P12ihipStream_tbEUlT_E0_NS1_11comp_targetILNS1_3genE2ELNS1_11target_archE906ELNS1_3gpuE6ELNS1_3repE0EEENS1_30default_config_static_selectorELNS0_4arch9wavefront6targetE1EEEvSF_,@function
_ZN7rocprim17ROCPRIM_400000_NS6detail17trampoline_kernelINS0_14default_configENS1_22reduce_config_selectorIlEEZNS1_11reduce_implILb1ES3_PlS7_lN6thrust23THRUST_200600_302600_NS4plusIlEEEE10hipError_tPvRmT1_T2_T3_mT4_P12ihipStream_tbEUlT_E0_NS1_11comp_targetILNS1_3genE2ELNS1_11target_archE906ELNS1_3gpuE6ELNS1_3repE0EEENS1_30default_config_static_selectorELNS0_4arch9wavefront6targetE1EEEvSF_: ; @_ZN7rocprim17ROCPRIM_400000_NS6detail17trampoline_kernelINS0_14default_configENS1_22reduce_config_selectorIlEEZNS1_11reduce_implILb1ES3_PlS7_lN6thrust23THRUST_200600_302600_NS4plusIlEEEE10hipError_tPvRmT1_T2_T3_mT4_P12ihipStream_tbEUlT_E0_NS1_11comp_targetILNS1_3genE2ELNS1_11target_archE906ELNS1_3gpuE6ELNS1_3repE0EEENS1_30default_config_static_selectorELNS0_4arch9wavefront6targetE1EEEvSF_
; %bb.0:
	s_load_dwordx8 s[8:15], s[4:5], 0x0
	s_load_dwordx4 s[0:3], s[4:5], 0x20
	s_load_dwordx2 s[16:17], s[4:5], 0x30
	v_lshlrev_b32_e32 v6, 3, v0
	v_mbcnt_lo_u32_b32 v5, -1, 0
	s_waitcnt lgkmcnt(0)
	s_lshl_b64 s[4:5], s[10:11], 3
	s_add_u32 s18, s8, s4
	s_addc_u32 s19, s9, s5
	s_lshl_b32 s8, s6, 9
	s_mov_b32 s9, 0
	s_lshr_b64 s[10:11], s[12:13], 9
	s_lshl_b64 s[4:5], s[8:9], 3
	s_add_u32 s4, s18, s4
	s_mov_b32 s7, s9
	s_addc_u32 s5, s19, s5
	s_cmp_lg_u64 s[10:11], s[6:7]
	s_cbranch_scc0 .LBB4_6
; %bb.1:
	global_load_dwordx2 v[1:2], v6, s[4:5]
	global_load_dwordx2 v[7:8], v6, s[4:5] offset:2048
	v_mbcnt_hi_u32_b32 v3, -1, v5
	v_lshlrev_b32_e32 v4, 2, v3
	v_or_b32_e32 v9, 0xfc, v4
	s_waitcnt vmcnt(0)
	v_add_co_u32_e32 v1, vcc, v7, v1
	v_addc_co_u32_e32 v2, vcc, v8, v2, vcc
	s_nop 0
	v_mov_b32_dpp v7, v1 quad_perm:[1,0,3,2] row_mask:0xf bank_mask:0xf bound_ctrl:1
	v_add_co_u32_e32 v1, vcc, v1, v7
	v_mov_b32_dpp v8, v2 quad_perm:[1,0,3,2] row_mask:0xf bank_mask:0xf bound_ctrl:1
	v_addc_co_u32_e32 v2, vcc, 0, v2, vcc
	v_add_co_u32_e32 v7, vcc, 0, v1
	v_addc_co_u32_e32 v2, vcc, v8, v2, vcc
	v_mov_b32_dpp v1, v1 quad_perm:[2,3,0,1] row_mask:0xf bank_mask:0xf bound_ctrl:1
	v_add_co_u32_e32 v1, vcc, v7, v1
	v_mov_b32_dpp v8, v2 quad_perm:[2,3,0,1] row_mask:0xf bank_mask:0xf bound_ctrl:1
	v_addc_co_u32_e32 v2, vcc, 0, v2, vcc
	v_add_co_u32_e32 v7, vcc, 0, v1
	v_addc_co_u32_e32 v2, vcc, v2, v8, vcc
	v_mov_b32_dpp v1, v1 row_ror:4 row_mask:0xf bank_mask:0xf bound_ctrl:1
	v_add_co_u32_e32 v1, vcc, v7, v1
	v_mov_b32_dpp v8, v2 row_ror:4 row_mask:0xf bank_mask:0xf bound_ctrl:1
	v_addc_co_u32_e32 v2, vcc, 0, v2, vcc
	v_add_co_u32_e32 v7, vcc, 0, v1
	v_addc_co_u32_e32 v2, vcc, v2, v8, vcc
	v_mov_b32_dpp v1, v1 row_ror:8 row_mask:0xf bank_mask:0xf bound_ctrl:1
	v_add_co_u32_e32 v1, vcc, v7, v1
	v_mov_b32_dpp v8, v2 row_ror:8 row_mask:0xf bank_mask:0xf bound_ctrl:1
	v_addc_co_u32_e32 v2, vcc, 0, v2, vcc
	v_add_co_u32_e32 v7, vcc, 0, v1
	v_addc_co_u32_e32 v2, vcc, v2, v8, vcc
	v_mov_b32_dpp v1, v1 row_bcast:15 row_mask:0xf bank_mask:0xf bound_ctrl:1
	v_add_co_u32_e32 v1, vcc, v7, v1
	v_mov_b32_dpp v8, v2 row_bcast:15 row_mask:0xf bank_mask:0xf bound_ctrl:1
	v_addc_co_u32_e32 v2, vcc, 0, v2, vcc
	v_add_co_u32_e32 v7, vcc, 0, v1
	v_addc_co_u32_e32 v2, vcc, v2, v8, vcc
	v_mov_b32_dpp v1, v1 row_bcast:31 row_mask:0xf bank_mask:0xf bound_ctrl:1
	v_add_co_u32_e32 v1, vcc, v7, v1
	v_addc_co_u32_e32 v7, vcc, 0, v2, vcc
	ds_bpermute_b32 v1, v9, v1
	s_nop 0
	v_add_u32_dpp v2, v2, v7 row_bcast:31 row_mask:0xf bank_mask:0xf bound_ctrl:1
	ds_bpermute_b32 v2, v9, v2
	v_cmp_eq_u32_e32 vcc, 0, v3
	s_and_saveexec_b64 s[10:11], vcc
	s_cbranch_execz .LBB4_3
; %bb.2:
	v_lshrrev_b32_e32 v7, 3, v0
	v_and_b32_e32 v7, 24, v7
	s_waitcnt lgkmcnt(0)
	ds_write_b64 v7, v[1:2]
.LBB4_3:
	s_or_b64 exec, exec, s[10:11]
	v_cmp_gt_u32_e32 vcc, 64, v0
	s_waitcnt lgkmcnt(0)
	s_barrier
	s_and_saveexec_b64 s[10:11], vcc
	s_cbranch_execz .LBB4_5
; %bb.4:
	v_and_b32_e32 v7, 3, v3
	v_lshlrev_b32_e32 v1, 3, v7
	ds_read_b64 v[1:2], v1
	v_cmp_ne_u32_e32 vcc, 3, v7
	v_addc_co_u32_e32 v3, vcc, 0, v3, vcc
	v_lshlrev_b32_e32 v3, 2, v3
	s_waitcnt lgkmcnt(0)
	ds_bpermute_b32 v7, v3, v1
	ds_bpermute_b32 v3, v3, v2
	v_or_b32_e32 v4, 8, v4
	s_waitcnt lgkmcnt(1)
	v_add_co_u32_e32 v1, vcc, v1, v7
	v_addc_co_u32_e32 v2, vcc, 0, v2, vcc
	ds_bpermute_b32 v7, v4, v1
	v_add_co_u32_e32 v1, vcc, 0, v1
	s_waitcnt lgkmcnt(1)
	v_addc_co_u32_e32 v2, vcc, v3, v2, vcc
	ds_bpermute_b32 v3, v4, v2
	s_waitcnt lgkmcnt(1)
	v_add_co_u32_e32 v1, vcc, v1, v7
	v_addc_co_u32_e32 v2, vcc, 0, v2, vcc
	v_add_co_u32_e32 v1, vcc, 0, v1
	s_waitcnt lgkmcnt(0)
	v_addc_co_u32_e32 v2, vcc, v2, v3, vcc
.LBB4_5:
	s_or_b64 exec, exec, s[10:11]
	s_branch .LBB4_28
.LBB4_6:
                                        ; implicit-def: $vgpr1_vgpr2
	s_cbranch_execz .LBB4_28
; %bb.7:
	s_sub_i32 s10, s12, s8
	v_mov_b32_e32 v1, 0
	v_cmp_gt_u32_e32 vcc, s10, v0
	v_mov_b32_e32 v2, v1
	v_mov_b32_e32 v3, v1
	;; [unrolled: 1-line block ×3, first 2 shown]
	s_and_saveexec_b64 s[8:9], vcc
	s_cbranch_execz .LBB4_9
; %bb.8:
	global_load_dwordx2 v[7:8], v6, s[4:5]
	v_mov_b32_e32 v9, v1
	v_mov_b32_e32 v10, v1
	s_waitcnt vmcnt(0)
	v_mov_b32_e32 v1, v7
	v_mov_b32_e32 v2, v8
	;; [unrolled: 1-line block ×4, first 2 shown]
.LBB4_9:
	s_or_b64 exec, exec, s[8:9]
	v_or_b32_e32 v7, 0x100, v0
	v_cmp_gt_u32_e32 vcc, s10, v7
	s_and_saveexec_b64 s[8:9], vcc
	s_cbranch_execz .LBB4_11
; %bb.10:
	global_load_dwordx2 v[3:4], v6, s[4:5] offset:2048
.LBB4_11:
	s_or_b64 exec, exec, s[8:9]
	s_waitcnt vmcnt(0)
	v_cndmask_b32_e32 v3, 0, v3, vcc
	v_cndmask_b32_e32 v4, 0, v4, vcc
	v_add_co_u32_e32 v1, vcc, v3, v1
	v_mbcnt_hi_u32_b32 v3, -1, v5
	v_addc_co_u32_e32 v2, vcc, v4, v2, vcc
	v_and_b32_e32 v4, 63, v3
	v_cmp_ne_u32_e32 vcc, 63, v4
	v_addc_co_u32_e32 v6, vcc, 0, v3, vcc
	v_lshlrev_b32_e32 v6, 2, v6
	ds_bpermute_b32 v8, v6, v1
	ds_bpermute_b32 v7, v6, v2
	s_min_u32 s8, s10, 0x100
	v_and_b32_e32 v5, 0xc0, v0
	v_sub_u32_e64 v5, s8, v5 clamp
	v_add_u32_e32 v6, 1, v4
	v_cmp_lt_u32_e32 vcc, v6, v5
	v_mov_b32_e32 v6, v1
	s_and_saveexec_b64 s[4:5], vcc
	s_cbranch_execz .LBB4_13
; %bb.12:
	s_waitcnt lgkmcnt(1)
	v_add_co_u32_e32 v6, vcc, v1, v8
	v_addc_co_u32_e32 v2, vcc, 0, v2, vcc
	v_add_co_u32_e32 v1, vcc, 0, v6
	s_waitcnt lgkmcnt(0)
	v_addc_co_u32_e32 v2, vcc, v7, v2, vcc
.LBB4_13:
	s_or_b64 exec, exec, s[4:5]
	v_cmp_gt_u32_e32 vcc, 62, v4
	s_waitcnt lgkmcnt(0)
	v_cndmask_b32_e64 v7, 0, 2, vcc
	v_add_lshl_u32 v7, v7, v3, 2
	ds_bpermute_b32 v8, v7, v6
	ds_bpermute_b32 v7, v7, v2
	v_add_u32_e32 v9, 2, v4
	v_cmp_lt_u32_e32 vcc, v9, v5
	s_and_saveexec_b64 s[4:5], vcc
	s_cbranch_execz .LBB4_15
; %bb.14:
	s_waitcnt lgkmcnt(1)
	v_add_co_u32_e32 v6, vcc, v1, v8
	v_addc_co_u32_e32 v2, vcc, 0, v2, vcc
	v_add_co_u32_e32 v1, vcc, 0, v6
	s_waitcnt lgkmcnt(0)
	v_addc_co_u32_e32 v2, vcc, v7, v2, vcc
.LBB4_15:
	s_or_b64 exec, exec, s[4:5]
	v_cmp_gt_u32_e32 vcc, 60, v4
	s_waitcnt lgkmcnt(0)
	v_cndmask_b32_e64 v7, 0, 4, vcc
	v_add_lshl_u32 v7, v7, v3, 2
	ds_bpermute_b32 v8, v7, v6
	ds_bpermute_b32 v7, v7, v2
	v_add_u32_e32 v9, 4, v4
	v_cmp_lt_u32_e32 vcc, v9, v5
	s_and_saveexec_b64 s[4:5], vcc
	s_cbranch_execz .LBB4_17
; %bb.16:
	s_waitcnt lgkmcnt(1)
	v_add_co_u32_e32 v6, vcc, v1, v8
	v_addc_co_u32_e32 v2, vcc, 0, v2, vcc
	v_add_co_u32_e32 v1, vcc, 0, v6
	s_waitcnt lgkmcnt(0)
	v_addc_co_u32_e32 v2, vcc, v7, v2, vcc
.LBB4_17:
	s_or_b64 exec, exec, s[4:5]
	v_cmp_gt_u32_e32 vcc, 56, v4
	s_waitcnt lgkmcnt(0)
	v_cndmask_b32_e64 v7, 0, 8, vcc
	v_add_lshl_u32 v7, v7, v3, 2
	ds_bpermute_b32 v8, v7, v6
	ds_bpermute_b32 v7, v7, v2
	v_add_u32_e32 v9, 8, v4
	v_cmp_lt_u32_e32 vcc, v9, v5
	s_and_saveexec_b64 s[4:5], vcc
	s_cbranch_execz .LBB4_19
; %bb.18:
	s_waitcnt lgkmcnt(1)
	v_add_co_u32_e32 v6, vcc, v1, v8
	v_addc_co_u32_e32 v2, vcc, 0, v2, vcc
	v_add_co_u32_e32 v1, vcc, 0, v6
	s_waitcnt lgkmcnt(0)
	v_addc_co_u32_e32 v2, vcc, v7, v2, vcc
.LBB4_19:
	s_or_b64 exec, exec, s[4:5]
	v_cmp_gt_u32_e32 vcc, 48, v4
	s_waitcnt lgkmcnt(0)
	v_cndmask_b32_e64 v7, 0, 16, vcc
	v_add_lshl_u32 v7, v7, v3, 2
	ds_bpermute_b32 v8, v7, v6
	ds_bpermute_b32 v7, v7, v2
	v_add_u32_e32 v9, 16, v4
	v_cmp_lt_u32_e32 vcc, v9, v5
	s_and_saveexec_b64 s[4:5], vcc
	s_cbranch_execz .LBB4_21
; %bb.20:
	s_waitcnt lgkmcnt(1)
	v_add_co_u32_e32 v6, vcc, v1, v8
	v_addc_co_u32_e32 v2, vcc, 0, v2, vcc
	v_add_co_u32_e32 v1, vcc, 0, v6
	s_waitcnt lgkmcnt(0)
	v_addc_co_u32_e32 v2, vcc, v7, v2, vcc
.LBB4_21:
	s_or_b64 exec, exec, s[4:5]
	s_waitcnt lgkmcnt(0)
	v_lshlrev_b32_e32 v7, 2, v3
	v_or_b32_e32 v8, 0x80, v7
	ds_bpermute_b32 v6, v8, v6
	ds_bpermute_b32 v8, v8, v2
	v_add_u32_e32 v4, 32, v4
	s_waitcnt lgkmcnt(1)
	v_add_co_u32_e32 v6, vcc, v1, v6
	v_addc_co_u32_e32 v9, vcc, 0, v2, vcc
	v_add_co_u32_e32 v6, vcc, 0, v6
	s_waitcnt lgkmcnt(0)
	v_addc_co_u32_e32 v8, vcc, v9, v8, vcc
	v_cmp_lt_u32_e32 vcc, v4, v5
	v_cndmask_b32_e32 v2, v2, v8, vcc
	v_cndmask_b32_e32 v1, v1, v6, vcc
	v_cmp_eq_u32_e32 vcc, 0, v3
	s_and_saveexec_b64 s[4:5], vcc
; %bb.22:
	v_lshrrev_b32_e32 v4, 3, v0
	v_and_b32_e32 v4, 24, v4
	ds_write_b64 v4, v[1:2] offset:32
; %bb.23:
	s_or_b64 exec, exec, s[4:5]
	v_cmp_gt_u32_e32 vcc, 4, v0
	s_waitcnt lgkmcnt(0)
	s_barrier
	s_and_saveexec_b64 s[4:5], vcc
	s_cbranch_execz .LBB4_27
; %bb.24:
	v_lshlrev_b32_e32 v1, 3, v3
	ds_read_b64 v[1:2], v1 offset:32
	v_and_b32_e32 v4, 3, v3
	v_cmp_ne_u32_e32 vcc, 3, v4
	v_addc_co_u32_e32 v3, vcc, 0, v3, vcc
	v_lshlrev_b32_e32 v3, 2, v3
	s_waitcnt lgkmcnt(0)
	ds_bpermute_b32 v6, v3, v1
	ds_bpermute_b32 v5, v3, v2
	s_add_i32 s8, s8, 63
	s_lshr_b32 s10, s8, 6
	v_add_u32_e32 v3, 1, v4
	v_cmp_gt_u32_e32 vcc, s10, v3
	v_mov_b32_e32 v3, v1
	s_and_saveexec_b64 s[8:9], vcc
	s_cbranch_execz .LBB4_26
; %bb.25:
	s_waitcnt lgkmcnt(1)
	v_add_co_u32_e32 v3, vcc, v1, v6
	v_addc_co_u32_e32 v2, vcc, 0, v2, vcc
	v_add_co_u32_e32 v1, vcc, 0, v3
	s_waitcnt lgkmcnt(0)
	v_addc_co_u32_e32 v2, vcc, v5, v2, vcc
.LBB4_26:
	s_or_b64 exec, exec, s[8:9]
	s_waitcnt lgkmcnt(0)
	v_or_b32_e32 v5, 8, v7
	ds_bpermute_b32 v3, v5, v3
	ds_bpermute_b32 v5, v5, v2
	v_add_u32_e32 v4, 2, v4
	s_waitcnt lgkmcnt(1)
	v_add_co_u32_e32 v3, vcc, v1, v3
	v_addc_co_u32_e32 v6, vcc, 0, v2, vcc
	v_add_co_u32_e32 v3, vcc, 0, v3
	s_waitcnt lgkmcnt(0)
	v_addc_co_u32_e32 v5, vcc, v6, v5, vcc
	v_cmp_gt_u32_e32 vcc, s10, v4
	v_cndmask_b32_e32 v2, v2, v5, vcc
	v_cndmask_b32_e32 v1, v1, v3, vcc
.LBB4_27:
	s_or_b64 exec, exec, s[4:5]
.LBB4_28:
	v_cmp_eq_u32_e32 vcc, 0, v0
	s_and_saveexec_b64 s[4:5], vcc
	s_cbranch_execnz .LBB4_30
; %bb.29:
	s_endpgm
.LBB4_30:
	s_mul_i32 s1, s2, s1
	s_mul_hi_u32 s4, s2, s0
	s_add_i32 s1, s4, s1
	s_mul_i32 s3, s3, s0
	s_add_i32 s1, s1, s3
	s_mul_i32 s0, s2, s0
	s_lshl_b64 s[0:1], s[0:1], 3
	s_add_u32 s2, s14, s0
	s_addc_u32 s3, s15, s1
	s_cmp_eq_u64 s[12:13], 0
	v_mov_b32_e32 v0, s17
	s_cselect_b64 vcc, -1, 0
	s_lshl_b64 s[0:1], s[6:7], 3
	v_cndmask_b32_e32 v2, v2, v0, vcc
	v_mov_b32_e32 v0, s16
	s_add_u32 s0, s2, s0
	v_cndmask_b32_e32 v1, v1, v0, vcc
	s_addc_u32 s1, s3, s1
	v_mov_b32_e32 v0, 0
	global_store_dwordx2 v0, v[1:2], s[0:1]
	s_endpgm
	.section	.rodata,"a",@progbits
	.p2align	6, 0x0
	.amdhsa_kernel _ZN7rocprim17ROCPRIM_400000_NS6detail17trampoline_kernelINS0_14default_configENS1_22reduce_config_selectorIlEEZNS1_11reduce_implILb1ES3_PlS7_lN6thrust23THRUST_200600_302600_NS4plusIlEEEE10hipError_tPvRmT1_T2_T3_mT4_P12ihipStream_tbEUlT_E0_NS1_11comp_targetILNS1_3genE2ELNS1_11target_archE906ELNS1_3gpuE6ELNS1_3repE0EEENS1_30default_config_static_selectorELNS0_4arch9wavefront6targetE1EEEvSF_
		.amdhsa_group_segment_fixed_size 64
		.amdhsa_private_segment_fixed_size 0
		.amdhsa_kernarg_size 64
		.amdhsa_user_sgpr_count 6
		.amdhsa_user_sgpr_private_segment_buffer 1
		.amdhsa_user_sgpr_dispatch_ptr 0
		.amdhsa_user_sgpr_queue_ptr 0
		.amdhsa_user_sgpr_kernarg_segment_ptr 1
		.amdhsa_user_sgpr_dispatch_id 0
		.amdhsa_user_sgpr_flat_scratch_init 0
		.amdhsa_user_sgpr_private_segment_size 0
		.amdhsa_uses_dynamic_stack 0
		.amdhsa_system_sgpr_private_segment_wavefront_offset 0
		.amdhsa_system_sgpr_workgroup_id_x 1
		.amdhsa_system_sgpr_workgroup_id_y 0
		.amdhsa_system_sgpr_workgroup_id_z 0
		.amdhsa_system_sgpr_workgroup_info 0
		.amdhsa_system_vgpr_workitem_id 0
		.amdhsa_next_free_vgpr 11
		.amdhsa_next_free_sgpr 20
		.amdhsa_reserve_vcc 1
		.amdhsa_reserve_flat_scratch 0
		.amdhsa_float_round_mode_32 0
		.amdhsa_float_round_mode_16_64 0
		.amdhsa_float_denorm_mode_32 3
		.amdhsa_float_denorm_mode_16_64 3
		.amdhsa_dx10_clamp 1
		.amdhsa_ieee_mode 1
		.amdhsa_fp16_overflow 0
		.amdhsa_exception_fp_ieee_invalid_op 0
		.amdhsa_exception_fp_denorm_src 0
		.amdhsa_exception_fp_ieee_div_zero 0
		.amdhsa_exception_fp_ieee_overflow 0
		.amdhsa_exception_fp_ieee_underflow 0
		.amdhsa_exception_fp_ieee_inexact 0
		.amdhsa_exception_int_div_zero 0
	.end_amdhsa_kernel
	.section	.text._ZN7rocprim17ROCPRIM_400000_NS6detail17trampoline_kernelINS0_14default_configENS1_22reduce_config_selectorIlEEZNS1_11reduce_implILb1ES3_PlS7_lN6thrust23THRUST_200600_302600_NS4plusIlEEEE10hipError_tPvRmT1_T2_T3_mT4_P12ihipStream_tbEUlT_E0_NS1_11comp_targetILNS1_3genE2ELNS1_11target_archE906ELNS1_3gpuE6ELNS1_3repE0EEENS1_30default_config_static_selectorELNS0_4arch9wavefront6targetE1EEEvSF_,"axG",@progbits,_ZN7rocprim17ROCPRIM_400000_NS6detail17trampoline_kernelINS0_14default_configENS1_22reduce_config_selectorIlEEZNS1_11reduce_implILb1ES3_PlS7_lN6thrust23THRUST_200600_302600_NS4plusIlEEEE10hipError_tPvRmT1_T2_T3_mT4_P12ihipStream_tbEUlT_E0_NS1_11comp_targetILNS1_3genE2ELNS1_11target_archE906ELNS1_3gpuE6ELNS1_3repE0EEENS1_30default_config_static_selectorELNS0_4arch9wavefront6targetE1EEEvSF_,comdat
.Lfunc_end4:
	.size	_ZN7rocprim17ROCPRIM_400000_NS6detail17trampoline_kernelINS0_14default_configENS1_22reduce_config_selectorIlEEZNS1_11reduce_implILb1ES3_PlS7_lN6thrust23THRUST_200600_302600_NS4plusIlEEEE10hipError_tPvRmT1_T2_T3_mT4_P12ihipStream_tbEUlT_E0_NS1_11comp_targetILNS1_3genE2ELNS1_11target_archE906ELNS1_3gpuE6ELNS1_3repE0EEENS1_30default_config_static_selectorELNS0_4arch9wavefront6targetE1EEEvSF_, .Lfunc_end4-_ZN7rocprim17ROCPRIM_400000_NS6detail17trampoline_kernelINS0_14default_configENS1_22reduce_config_selectorIlEEZNS1_11reduce_implILb1ES3_PlS7_lN6thrust23THRUST_200600_302600_NS4plusIlEEEE10hipError_tPvRmT1_T2_T3_mT4_P12ihipStream_tbEUlT_E0_NS1_11comp_targetILNS1_3genE2ELNS1_11target_archE906ELNS1_3gpuE6ELNS1_3repE0EEENS1_30default_config_static_selectorELNS0_4arch9wavefront6targetE1EEEvSF_
                                        ; -- End function
	.set _ZN7rocprim17ROCPRIM_400000_NS6detail17trampoline_kernelINS0_14default_configENS1_22reduce_config_selectorIlEEZNS1_11reduce_implILb1ES3_PlS7_lN6thrust23THRUST_200600_302600_NS4plusIlEEEE10hipError_tPvRmT1_T2_T3_mT4_P12ihipStream_tbEUlT_E0_NS1_11comp_targetILNS1_3genE2ELNS1_11target_archE906ELNS1_3gpuE6ELNS1_3repE0EEENS1_30default_config_static_selectorELNS0_4arch9wavefront6targetE1EEEvSF_.num_vgpr, 11
	.set _ZN7rocprim17ROCPRIM_400000_NS6detail17trampoline_kernelINS0_14default_configENS1_22reduce_config_selectorIlEEZNS1_11reduce_implILb1ES3_PlS7_lN6thrust23THRUST_200600_302600_NS4plusIlEEEE10hipError_tPvRmT1_T2_T3_mT4_P12ihipStream_tbEUlT_E0_NS1_11comp_targetILNS1_3genE2ELNS1_11target_archE906ELNS1_3gpuE6ELNS1_3repE0EEENS1_30default_config_static_selectorELNS0_4arch9wavefront6targetE1EEEvSF_.num_agpr, 0
	.set _ZN7rocprim17ROCPRIM_400000_NS6detail17trampoline_kernelINS0_14default_configENS1_22reduce_config_selectorIlEEZNS1_11reduce_implILb1ES3_PlS7_lN6thrust23THRUST_200600_302600_NS4plusIlEEEE10hipError_tPvRmT1_T2_T3_mT4_P12ihipStream_tbEUlT_E0_NS1_11comp_targetILNS1_3genE2ELNS1_11target_archE906ELNS1_3gpuE6ELNS1_3repE0EEENS1_30default_config_static_selectorELNS0_4arch9wavefront6targetE1EEEvSF_.numbered_sgpr, 20
	.set _ZN7rocprim17ROCPRIM_400000_NS6detail17trampoline_kernelINS0_14default_configENS1_22reduce_config_selectorIlEEZNS1_11reduce_implILb1ES3_PlS7_lN6thrust23THRUST_200600_302600_NS4plusIlEEEE10hipError_tPvRmT1_T2_T3_mT4_P12ihipStream_tbEUlT_E0_NS1_11comp_targetILNS1_3genE2ELNS1_11target_archE906ELNS1_3gpuE6ELNS1_3repE0EEENS1_30default_config_static_selectorELNS0_4arch9wavefront6targetE1EEEvSF_.num_named_barrier, 0
	.set _ZN7rocprim17ROCPRIM_400000_NS6detail17trampoline_kernelINS0_14default_configENS1_22reduce_config_selectorIlEEZNS1_11reduce_implILb1ES3_PlS7_lN6thrust23THRUST_200600_302600_NS4plusIlEEEE10hipError_tPvRmT1_T2_T3_mT4_P12ihipStream_tbEUlT_E0_NS1_11comp_targetILNS1_3genE2ELNS1_11target_archE906ELNS1_3gpuE6ELNS1_3repE0EEENS1_30default_config_static_selectorELNS0_4arch9wavefront6targetE1EEEvSF_.private_seg_size, 0
	.set _ZN7rocprim17ROCPRIM_400000_NS6detail17trampoline_kernelINS0_14default_configENS1_22reduce_config_selectorIlEEZNS1_11reduce_implILb1ES3_PlS7_lN6thrust23THRUST_200600_302600_NS4plusIlEEEE10hipError_tPvRmT1_T2_T3_mT4_P12ihipStream_tbEUlT_E0_NS1_11comp_targetILNS1_3genE2ELNS1_11target_archE906ELNS1_3gpuE6ELNS1_3repE0EEENS1_30default_config_static_selectorELNS0_4arch9wavefront6targetE1EEEvSF_.uses_vcc, 1
	.set _ZN7rocprim17ROCPRIM_400000_NS6detail17trampoline_kernelINS0_14default_configENS1_22reduce_config_selectorIlEEZNS1_11reduce_implILb1ES3_PlS7_lN6thrust23THRUST_200600_302600_NS4plusIlEEEE10hipError_tPvRmT1_T2_T3_mT4_P12ihipStream_tbEUlT_E0_NS1_11comp_targetILNS1_3genE2ELNS1_11target_archE906ELNS1_3gpuE6ELNS1_3repE0EEENS1_30default_config_static_selectorELNS0_4arch9wavefront6targetE1EEEvSF_.uses_flat_scratch, 0
	.set _ZN7rocprim17ROCPRIM_400000_NS6detail17trampoline_kernelINS0_14default_configENS1_22reduce_config_selectorIlEEZNS1_11reduce_implILb1ES3_PlS7_lN6thrust23THRUST_200600_302600_NS4plusIlEEEE10hipError_tPvRmT1_T2_T3_mT4_P12ihipStream_tbEUlT_E0_NS1_11comp_targetILNS1_3genE2ELNS1_11target_archE906ELNS1_3gpuE6ELNS1_3repE0EEENS1_30default_config_static_selectorELNS0_4arch9wavefront6targetE1EEEvSF_.has_dyn_sized_stack, 0
	.set _ZN7rocprim17ROCPRIM_400000_NS6detail17trampoline_kernelINS0_14default_configENS1_22reduce_config_selectorIlEEZNS1_11reduce_implILb1ES3_PlS7_lN6thrust23THRUST_200600_302600_NS4plusIlEEEE10hipError_tPvRmT1_T2_T3_mT4_P12ihipStream_tbEUlT_E0_NS1_11comp_targetILNS1_3genE2ELNS1_11target_archE906ELNS1_3gpuE6ELNS1_3repE0EEENS1_30default_config_static_selectorELNS0_4arch9wavefront6targetE1EEEvSF_.has_recursion, 0
	.set _ZN7rocprim17ROCPRIM_400000_NS6detail17trampoline_kernelINS0_14default_configENS1_22reduce_config_selectorIlEEZNS1_11reduce_implILb1ES3_PlS7_lN6thrust23THRUST_200600_302600_NS4plusIlEEEE10hipError_tPvRmT1_T2_T3_mT4_P12ihipStream_tbEUlT_E0_NS1_11comp_targetILNS1_3genE2ELNS1_11target_archE906ELNS1_3gpuE6ELNS1_3repE0EEENS1_30default_config_static_selectorELNS0_4arch9wavefront6targetE1EEEvSF_.has_indirect_call, 0
	.section	.AMDGPU.csdata,"",@progbits
; Kernel info:
; codeLenInByte = 1496
; TotalNumSgprs: 24
; NumVgprs: 11
; ScratchSize: 0
; MemoryBound: 0
; FloatMode: 240
; IeeeMode: 1
; LDSByteSize: 64 bytes/workgroup (compile time only)
; SGPRBlocks: 2
; VGPRBlocks: 2
; NumSGPRsForWavesPerEU: 24
; NumVGPRsForWavesPerEU: 11
; Occupancy: 10
; WaveLimiterHint : 1
; COMPUTE_PGM_RSRC2:SCRATCH_EN: 0
; COMPUTE_PGM_RSRC2:USER_SGPR: 6
; COMPUTE_PGM_RSRC2:TRAP_HANDLER: 0
; COMPUTE_PGM_RSRC2:TGID_X_EN: 1
; COMPUTE_PGM_RSRC2:TGID_Y_EN: 0
; COMPUTE_PGM_RSRC2:TGID_Z_EN: 0
; COMPUTE_PGM_RSRC2:TIDIG_COMP_CNT: 0
	.section	.text._ZN7rocprim17ROCPRIM_400000_NS6detail17trampoline_kernelINS0_14default_configENS1_22reduce_config_selectorIlEEZNS1_11reduce_implILb1ES3_PlS7_lN6thrust23THRUST_200600_302600_NS4plusIlEEEE10hipError_tPvRmT1_T2_T3_mT4_P12ihipStream_tbEUlT_E0_NS1_11comp_targetILNS1_3genE10ELNS1_11target_archE1201ELNS1_3gpuE5ELNS1_3repE0EEENS1_30default_config_static_selectorELNS0_4arch9wavefront6targetE1EEEvSF_,"axG",@progbits,_ZN7rocprim17ROCPRIM_400000_NS6detail17trampoline_kernelINS0_14default_configENS1_22reduce_config_selectorIlEEZNS1_11reduce_implILb1ES3_PlS7_lN6thrust23THRUST_200600_302600_NS4plusIlEEEE10hipError_tPvRmT1_T2_T3_mT4_P12ihipStream_tbEUlT_E0_NS1_11comp_targetILNS1_3genE10ELNS1_11target_archE1201ELNS1_3gpuE5ELNS1_3repE0EEENS1_30default_config_static_selectorELNS0_4arch9wavefront6targetE1EEEvSF_,comdat
	.protected	_ZN7rocprim17ROCPRIM_400000_NS6detail17trampoline_kernelINS0_14default_configENS1_22reduce_config_selectorIlEEZNS1_11reduce_implILb1ES3_PlS7_lN6thrust23THRUST_200600_302600_NS4plusIlEEEE10hipError_tPvRmT1_T2_T3_mT4_P12ihipStream_tbEUlT_E0_NS1_11comp_targetILNS1_3genE10ELNS1_11target_archE1201ELNS1_3gpuE5ELNS1_3repE0EEENS1_30default_config_static_selectorELNS0_4arch9wavefront6targetE1EEEvSF_ ; -- Begin function _ZN7rocprim17ROCPRIM_400000_NS6detail17trampoline_kernelINS0_14default_configENS1_22reduce_config_selectorIlEEZNS1_11reduce_implILb1ES3_PlS7_lN6thrust23THRUST_200600_302600_NS4plusIlEEEE10hipError_tPvRmT1_T2_T3_mT4_P12ihipStream_tbEUlT_E0_NS1_11comp_targetILNS1_3genE10ELNS1_11target_archE1201ELNS1_3gpuE5ELNS1_3repE0EEENS1_30default_config_static_selectorELNS0_4arch9wavefront6targetE1EEEvSF_
	.globl	_ZN7rocprim17ROCPRIM_400000_NS6detail17trampoline_kernelINS0_14default_configENS1_22reduce_config_selectorIlEEZNS1_11reduce_implILb1ES3_PlS7_lN6thrust23THRUST_200600_302600_NS4plusIlEEEE10hipError_tPvRmT1_T2_T3_mT4_P12ihipStream_tbEUlT_E0_NS1_11comp_targetILNS1_3genE10ELNS1_11target_archE1201ELNS1_3gpuE5ELNS1_3repE0EEENS1_30default_config_static_selectorELNS0_4arch9wavefront6targetE1EEEvSF_
	.p2align	8
	.type	_ZN7rocprim17ROCPRIM_400000_NS6detail17trampoline_kernelINS0_14default_configENS1_22reduce_config_selectorIlEEZNS1_11reduce_implILb1ES3_PlS7_lN6thrust23THRUST_200600_302600_NS4plusIlEEEE10hipError_tPvRmT1_T2_T3_mT4_P12ihipStream_tbEUlT_E0_NS1_11comp_targetILNS1_3genE10ELNS1_11target_archE1201ELNS1_3gpuE5ELNS1_3repE0EEENS1_30default_config_static_selectorELNS0_4arch9wavefront6targetE1EEEvSF_,@function
_ZN7rocprim17ROCPRIM_400000_NS6detail17trampoline_kernelINS0_14default_configENS1_22reduce_config_selectorIlEEZNS1_11reduce_implILb1ES3_PlS7_lN6thrust23THRUST_200600_302600_NS4plusIlEEEE10hipError_tPvRmT1_T2_T3_mT4_P12ihipStream_tbEUlT_E0_NS1_11comp_targetILNS1_3genE10ELNS1_11target_archE1201ELNS1_3gpuE5ELNS1_3repE0EEENS1_30default_config_static_selectorELNS0_4arch9wavefront6targetE1EEEvSF_: ; @_ZN7rocprim17ROCPRIM_400000_NS6detail17trampoline_kernelINS0_14default_configENS1_22reduce_config_selectorIlEEZNS1_11reduce_implILb1ES3_PlS7_lN6thrust23THRUST_200600_302600_NS4plusIlEEEE10hipError_tPvRmT1_T2_T3_mT4_P12ihipStream_tbEUlT_E0_NS1_11comp_targetILNS1_3genE10ELNS1_11target_archE1201ELNS1_3gpuE5ELNS1_3repE0EEENS1_30default_config_static_selectorELNS0_4arch9wavefront6targetE1EEEvSF_
; %bb.0:
	.section	.rodata,"a",@progbits
	.p2align	6, 0x0
	.amdhsa_kernel _ZN7rocprim17ROCPRIM_400000_NS6detail17trampoline_kernelINS0_14default_configENS1_22reduce_config_selectorIlEEZNS1_11reduce_implILb1ES3_PlS7_lN6thrust23THRUST_200600_302600_NS4plusIlEEEE10hipError_tPvRmT1_T2_T3_mT4_P12ihipStream_tbEUlT_E0_NS1_11comp_targetILNS1_3genE10ELNS1_11target_archE1201ELNS1_3gpuE5ELNS1_3repE0EEENS1_30default_config_static_selectorELNS0_4arch9wavefront6targetE1EEEvSF_
		.amdhsa_group_segment_fixed_size 0
		.amdhsa_private_segment_fixed_size 0
		.amdhsa_kernarg_size 64
		.amdhsa_user_sgpr_count 6
		.amdhsa_user_sgpr_private_segment_buffer 1
		.amdhsa_user_sgpr_dispatch_ptr 0
		.amdhsa_user_sgpr_queue_ptr 0
		.amdhsa_user_sgpr_kernarg_segment_ptr 1
		.amdhsa_user_sgpr_dispatch_id 0
		.amdhsa_user_sgpr_flat_scratch_init 0
		.amdhsa_user_sgpr_private_segment_size 0
		.amdhsa_uses_dynamic_stack 0
		.amdhsa_system_sgpr_private_segment_wavefront_offset 0
		.amdhsa_system_sgpr_workgroup_id_x 1
		.amdhsa_system_sgpr_workgroup_id_y 0
		.amdhsa_system_sgpr_workgroup_id_z 0
		.amdhsa_system_sgpr_workgroup_info 0
		.amdhsa_system_vgpr_workitem_id 0
		.amdhsa_next_free_vgpr 1
		.amdhsa_next_free_sgpr 0
		.amdhsa_reserve_vcc 0
		.amdhsa_reserve_flat_scratch 0
		.amdhsa_float_round_mode_32 0
		.amdhsa_float_round_mode_16_64 0
		.amdhsa_float_denorm_mode_32 3
		.amdhsa_float_denorm_mode_16_64 3
		.amdhsa_dx10_clamp 1
		.amdhsa_ieee_mode 1
		.amdhsa_fp16_overflow 0
		.amdhsa_exception_fp_ieee_invalid_op 0
		.amdhsa_exception_fp_denorm_src 0
		.amdhsa_exception_fp_ieee_div_zero 0
		.amdhsa_exception_fp_ieee_overflow 0
		.amdhsa_exception_fp_ieee_underflow 0
		.amdhsa_exception_fp_ieee_inexact 0
		.amdhsa_exception_int_div_zero 0
	.end_amdhsa_kernel
	.section	.text._ZN7rocprim17ROCPRIM_400000_NS6detail17trampoline_kernelINS0_14default_configENS1_22reduce_config_selectorIlEEZNS1_11reduce_implILb1ES3_PlS7_lN6thrust23THRUST_200600_302600_NS4plusIlEEEE10hipError_tPvRmT1_T2_T3_mT4_P12ihipStream_tbEUlT_E0_NS1_11comp_targetILNS1_3genE10ELNS1_11target_archE1201ELNS1_3gpuE5ELNS1_3repE0EEENS1_30default_config_static_selectorELNS0_4arch9wavefront6targetE1EEEvSF_,"axG",@progbits,_ZN7rocprim17ROCPRIM_400000_NS6detail17trampoline_kernelINS0_14default_configENS1_22reduce_config_selectorIlEEZNS1_11reduce_implILb1ES3_PlS7_lN6thrust23THRUST_200600_302600_NS4plusIlEEEE10hipError_tPvRmT1_T2_T3_mT4_P12ihipStream_tbEUlT_E0_NS1_11comp_targetILNS1_3genE10ELNS1_11target_archE1201ELNS1_3gpuE5ELNS1_3repE0EEENS1_30default_config_static_selectorELNS0_4arch9wavefront6targetE1EEEvSF_,comdat
.Lfunc_end5:
	.size	_ZN7rocprim17ROCPRIM_400000_NS6detail17trampoline_kernelINS0_14default_configENS1_22reduce_config_selectorIlEEZNS1_11reduce_implILb1ES3_PlS7_lN6thrust23THRUST_200600_302600_NS4plusIlEEEE10hipError_tPvRmT1_T2_T3_mT4_P12ihipStream_tbEUlT_E0_NS1_11comp_targetILNS1_3genE10ELNS1_11target_archE1201ELNS1_3gpuE5ELNS1_3repE0EEENS1_30default_config_static_selectorELNS0_4arch9wavefront6targetE1EEEvSF_, .Lfunc_end5-_ZN7rocprim17ROCPRIM_400000_NS6detail17trampoline_kernelINS0_14default_configENS1_22reduce_config_selectorIlEEZNS1_11reduce_implILb1ES3_PlS7_lN6thrust23THRUST_200600_302600_NS4plusIlEEEE10hipError_tPvRmT1_T2_T3_mT4_P12ihipStream_tbEUlT_E0_NS1_11comp_targetILNS1_3genE10ELNS1_11target_archE1201ELNS1_3gpuE5ELNS1_3repE0EEENS1_30default_config_static_selectorELNS0_4arch9wavefront6targetE1EEEvSF_
                                        ; -- End function
	.set _ZN7rocprim17ROCPRIM_400000_NS6detail17trampoline_kernelINS0_14default_configENS1_22reduce_config_selectorIlEEZNS1_11reduce_implILb1ES3_PlS7_lN6thrust23THRUST_200600_302600_NS4plusIlEEEE10hipError_tPvRmT1_T2_T3_mT4_P12ihipStream_tbEUlT_E0_NS1_11comp_targetILNS1_3genE10ELNS1_11target_archE1201ELNS1_3gpuE5ELNS1_3repE0EEENS1_30default_config_static_selectorELNS0_4arch9wavefront6targetE1EEEvSF_.num_vgpr, 0
	.set _ZN7rocprim17ROCPRIM_400000_NS6detail17trampoline_kernelINS0_14default_configENS1_22reduce_config_selectorIlEEZNS1_11reduce_implILb1ES3_PlS7_lN6thrust23THRUST_200600_302600_NS4plusIlEEEE10hipError_tPvRmT1_T2_T3_mT4_P12ihipStream_tbEUlT_E0_NS1_11comp_targetILNS1_3genE10ELNS1_11target_archE1201ELNS1_3gpuE5ELNS1_3repE0EEENS1_30default_config_static_selectorELNS0_4arch9wavefront6targetE1EEEvSF_.num_agpr, 0
	.set _ZN7rocprim17ROCPRIM_400000_NS6detail17trampoline_kernelINS0_14default_configENS1_22reduce_config_selectorIlEEZNS1_11reduce_implILb1ES3_PlS7_lN6thrust23THRUST_200600_302600_NS4plusIlEEEE10hipError_tPvRmT1_T2_T3_mT4_P12ihipStream_tbEUlT_E0_NS1_11comp_targetILNS1_3genE10ELNS1_11target_archE1201ELNS1_3gpuE5ELNS1_3repE0EEENS1_30default_config_static_selectorELNS0_4arch9wavefront6targetE1EEEvSF_.numbered_sgpr, 0
	.set _ZN7rocprim17ROCPRIM_400000_NS6detail17trampoline_kernelINS0_14default_configENS1_22reduce_config_selectorIlEEZNS1_11reduce_implILb1ES3_PlS7_lN6thrust23THRUST_200600_302600_NS4plusIlEEEE10hipError_tPvRmT1_T2_T3_mT4_P12ihipStream_tbEUlT_E0_NS1_11comp_targetILNS1_3genE10ELNS1_11target_archE1201ELNS1_3gpuE5ELNS1_3repE0EEENS1_30default_config_static_selectorELNS0_4arch9wavefront6targetE1EEEvSF_.num_named_barrier, 0
	.set _ZN7rocprim17ROCPRIM_400000_NS6detail17trampoline_kernelINS0_14default_configENS1_22reduce_config_selectorIlEEZNS1_11reduce_implILb1ES3_PlS7_lN6thrust23THRUST_200600_302600_NS4plusIlEEEE10hipError_tPvRmT1_T2_T3_mT4_P12ihipStream_tbEUlT_E0_NS1_11comp_targetILNS1_3genE10ELNS1_11target_archE1201ELNS1_3gpuE5ELNS1_3repE0EEENS1_30default_config_static_selectorELNS0_4arch9wavefront6targetE1EEEvSF_.private_seg_size, 0
	.set _ZN7rocprim17ROCPRIM_400000_NS6detail17trampoline_kernelINS0_14default_configENS1_22reduce_config_selectorIlEEZNS1_11reduce_implILb1ES3_PlS7_lN6thrust23THRUST_200600_302600_NS4plusIlEEEE10hipError_tPvRmT1_T2_T3_mT4_P12ihipStream_tbEUlT_E0_NS1_11comp_targetILNS1_3genE10ELNS1_11target_archE1201ELNS1_3gpuE5ELNS1_3repE0EEENS1_30default_config_static_selectorELNS0_4arch9wavefront6targetE1EEEvSF_.uses_vcc, 0
	.set _ZN7rocprim17ROCPRIM_400000_NS6detail17trampoline_kernelINS0_14default_configENS1_22reduce_config_selectorIlEEZNS1_11reduce_implILb1ES3_PlS7_lN6thrust23THRUST_200600_302600_NS4plusIlEEEE10hipError_tPvRmT1_T2_T3_mT4_P12ihipStream_tbEUlT_E0_NS1_11comp_targetILNS1_3genE10ELNS1_11target_archE1201ELNS1_3gpuE5ELNS1_3repE0EEENS1_30default_config_static_selectorELNS0_4arch9wavefront6targetE1EEEvSF_.uses_flat_scratch, 0
	.set _ZN7rocprim17ROCPRIM_400000_NS6detail17trampoline_kernelINS0_14default_configENS1_22reduce_config_selectorIlEEZNS1_11reduce_implILb1ES3_PlS7_lN6thrust23THRUST_200600_302600_NS4plusIlEEEE10hipError_tPvRmT1_T2_T3_mT4_P12ihipStream_tbEUlT_E0_NS1_11comp_targetILNS1_3genE10ELNS1_11target_archE1201ELNS1_3gpuE5ELNS1_3repE0EEENS1_30default_config_static_selectorELNS0_4arch9wavefront6targetE1EEEvSF_.has_dyn_sized_stack, 0
	.set _ZN7rocprim17ROCPRIM_400000_NS6detail17trampoline_kernelINS0_14default_configENS1_22reduce_config_selectorIlEEZNS1_11reduce_implILb1ES3_PlS7_lN6thrust23THRUST_200600_302600_NS4plusIlEEEE10hipError_tPvRmT1_T2_T3_mT4_P12ihipStream_tbEUlT_E0_NS1_11comp_targetILNS1_3genE10ELNS1_11target_archE1201ELNS1_3gpuE5ELNS1_3repE0EEENS1_30default_config_static_selectorELNS0_4arch9wavefront6targetE1EEEvSF_.has_recursion, 0
	.set _ZN7rocprim17ROCPRIM_400000_NS6detail17trampoline_kernelINS0_14default_configENS1_22reduce_config_selectorIlEEZNS1_11reduce_implILb1ES3_PlS7_lN6thrust23THRUST_200600_302600_NS4plusIlEEEE10hipError_tPvRmT1_T2_T3_mT4_P12ihipStream_tbEUlT_E0_NS1_11comp_targetILNS1_3genE10ELNS1_11target_archE1201ELNS1_3gpuE5ELNS1_3repE0EEENS1_30default_config_static_selectorELNS0_4arch9wavefront6targetE1EEEvSF_.has_indirect_call, 0
	.section	.AMDGPU.csdata,"",@progbits
; Kernel info:
; codeLenInByte = 0
; TotalNumSgprs: 4
; NumVgprs: 0
; ScratchSize: 0
; MemoryBound: 0
; FloatMode: 240
; IeeeMode: 1
; LDSByteSize: 0 bytes/workgroup (compile time only)
; SGPRBlocks: 0
; VGPRBlocks: 0
; NumSGPRsForWavesPerEU: 4
; NumVGPRsForWavesPerEU: 1
; Occupancy: 10
; WaveLimiterHint : 0
; COMPUTE_PGM_RSRC2:SCRATCH_EN: 0
; COMPUTE_PGM_RSRC2:USER_SGPR: 6
; COMPUTE_PGM_RSRC2:TRAP_HANDLER: 0
; COMPUTE_PGM_RSRC2:TGID_X_EN: 1
; COMPUTE_PGM_RSRC2:TGID_Y_EN: 0
; COMPUTE_PGM_RSRC2:TGID_Z_EN: 0
; COMPUTE_PGM_RSRC2:TIDIG_COMP_CNT: 0
	.section	.text._ZN7rocprim17ROCPRIM_400000_NS6detail17trampoline_kernelINS0_14default_configENS1_22reduce_config_selectorIlEEZNS1_11reduce_implILb1ES3_PlS7_lN6thrust23THRUST_200600_302600_NS4plusIlEEEE10hipError_tPvRmT1_T2_T3_mT4_P12ihipStream_tbEUlT_E0_NS1_11comp_targetILNS1_3genE10ELNS1_11target_archE1200ELNS1_3gpuE4ELNS1_3repE0EEENS1_30default_config_static_selectorELNS0_4arch9wavefront6targetE1EEEvSF_,"axG",@progbits,_ZN7rocprim17ROCPRIM_400000_NS6detail17trampoline_kernelINS0_14default_configENS1_22reduce_config_selectorIlEEZNS1_11reduce_implILb1ES3_PlS7_lN6thrust23THRUST_200600_302600_NS4plusIlEEEE10hipError_tPvRmT1_T2_T3_mT4_P12ihipStream_tbEUlT_E0_NS1_11comp_targetILNS1_3genE10ELNS1_11target_archE1200ELNS1_3gpuE4ELNS1_3repE0EEENS1_30default_config_static_selectorELNS0_4arch9wavefront6targetE1EEEvSF_,comdat
	.protected	_ZN7rocprim17ROCPRIM_400000_NS6detail17trampoline_kernelINS0_14default_configENS1_22reduce_config_selectorIlEEZNS1_11reduce_implILb1ES3_PlS7_lN6thrust23THRUST_200600_302600_NS4plusIlEEEE10hipError_tPvRmT1_T2_T3_mT4_P12ihipStream_tbEUlT_E0_NS1_11comp_targetILNS1_3genE10ELNS1_11target_archE1200ELNS1_3gpuE4ELNS1_3repE0EEENS1_30default_config_static_selectorELNS0_4arch9wavefront6targetE1EEEvSF_ ; -- Begin function _ZN7rocprim17ROCPRIM_400000_NS6detail17trampoline_kernelINS0_14default_configENS1_22reduce_config_selectorIlEEZNS1_11reduce_implILb1ES3_PlS7_lN6thrust23THRUST_200600_302600_NS4plusIlEEEE10hipError_tPvRmT1_T2_T3_mT4_P12ihipStream_tbEUlT_E0_NS1_11comp_targetILNS1_3genE10ELNS1_11target_archE1200ELNS1_3gpuE4ELNS1_3repE0EEENS1_30default_config_static_selectorELNS0_4arch9wavefront6targetE1EEEvSF_
	.globl	_ZN7rocprim17ROCPRIM_400000_NS6detail17trampoline_kernelINS0_14default_configENS1_22reduce_config_selectorIlEEZNS1_11reduce_implILb1ES3_PlS7_lN6thrust23THRUST_200600_302600_NS4plusIlEEEE10hipError_tPvRmT1_T2_T3_mT4_P12ihipStream_tbEUlT_E0_NS1_11comp_targetILNS1_3genE10ELNS1_11target_archE1200ELNS1_3gpuE4ELNS1_3repE0EEENS1_30default_config_static_selectorELNS0_4arch9wavefront6targetE1EEEvSF_
	.p2align	8
	.type	_ZN7rocprim17ROCPRIM_400000_NS6detail17trampoline_kernelINS0_14default_configENS1_22reduce_config_selectorIlEEZNS1_11reduce_implILb1ES3_PlS7_lN6thrust23THRUST_200600_302600_NS4plusIlEEEE10hipError_tPvRmT1_T2_T3_mT4_P12ihipStream_tbEUlT_E0_NS1_11comp_targetILNS1_3genE10ELNS1_11target_archE1200ELNS1_3gpuE4ELNS1_3repE0EEENS1_30default_config_static_selectorELNS0_4arch9wavefront6targetE1EEEvSF_,@function
_ZN7rocprim17ROCPRIM_400000_NS6detail17trampoline_kernelINS0_14default_configENS1_22reduce_config_selectorIlEEZNS1_11reduce_implILb1ES3_PlS7_lN6thrust23THRUST_200600_302600_NS4plusIlEEEE10hipError_tPvRmT1_T2_T3_mT4_P12ihipStream_tbEUlT_E0_NS1_11comp_targetILNS1_3genE10ELNS1_11target_archE1200ELNS1_3gpuE4ELNS1_3repE0EEENS1_30default_config_static_selectorELNS0_4arch9wavefront6targetE1EEEvSF_: ; @_ZN7rocprim17ROCPRIM_400000_NS6detail17trampoline_kernelINS0_14default_configENS1_22reduce_config_selectorIlEEZNS1_11reduce_implILb1ES3_PlS7_lN6thrust23THRUST_200600_302600_NS4plusIlEEEE10hipError_tPvRmT1_T2_T3_mT4_P12ihipStream_tbEUlT_E0_NS1_11comp_targetILNS1_3genE10ELNS1_11target_archE1200ELNS1_3gpuE4ELNS1_3repE0EEENS1_30default_config_static_selectorELNS0_4arch9wavefront6targetE1EEEvSF_
; %bb.0:
	.section	.rodata,"a",@progbits
	.p2align	6, 0x0
	.amdhsa_kernel _ZN7rocprim17ROCPRIM_400000_NS6detail17trampoline_kernelINS0_14default_configENS1_22reduce_config_selectorIlEEZNS1_11reduce_implILb1ES3_PlS7_lN6thrust23THRUST_200600_302600_NS4plusIlEEEE10hipError_tPvRmT1_T2_T3_mT4_P12ihipStream_tbEUlT_E0_NS1_11comp_targetILNS1_3genE10ELNS1_11target_archE1200ELNS1_3gpuE4ELNS1_3repE0EEENS1_30default_config_static_selectorELNS0_4arch9wavefront6targetE1EEEvSF_
		.amdhsa_group_segment_fixed_size 0
		.amdhsa_private_segment_fixed_size 0
		.amdhsa_kernarg_size 64
		.amdhsa_user_sgpr_count 6
		.amdhsa_user_sgpr_private_segment_buffer 1
		.amdhsa_user_sgpr_dispatch_ptr 0
		.amdhsa_user_sgpr_queue_ptr 0
		.amdhsa_user_sgpr_kernarg_segment_ptr 1
		.amdhsa_user_sgpr_dispatch_id 0
		.amdhsa_user_sgpr_flat_scratch_init 0
		.amdhsa_user_sgpr_private_segment_size 0
		.amdhsa_uses_dynamic_stack 0
		.amdhsa_system_sgpr_private_segment_wavefront_offset 0
		.amdhsa_system_sgpr_workgroup_id_x 1
		.amdhsa_system_sgpr_workgroup_id_y 0
		.amdhsa_system_sgpr_workgroup_id_z 0
		.amdhsa_system_sgpr_workgroup_info 0
		.amdhsa_system_vgpr_workitem_id 0
		.amdhsa_next_free_vgpr 1
		.amdhsa_next_free_sgpr 0
		.amdhsa_reserve_vcc 0
		.amdhsa_reserve_flat_scratch 0
		.amdhsa_float_round_mode_32 0
		.amdhsa_float_round_mode_16_64 0
		.amdhsa_float_denorm_mode_32 3
		.amdhsa_float_denorm_mode_16_64 3
		.amdhsa_dx10_clamp 1
		.amdhsa_ieee_mode 1
		.amdhsa_fp16_overflow 0
		.amdhsa_exception_fp_ieee_invalid_op 0
		.amdhsa_exception_fp_denorm_src 0
		.amdhsa_exception_fp_ieee_div_zero 0
		.amdhsa_exception_fp_ieee_overflow 0
		.amdhsa_exception_fp_ieee_underflow 0
		.amdhsa_exception_fp_ieee_inexact 0
		.amdhsa_exception_int_div_zero 0
	.end_amdhsa_kernel
	.section	.text._ZN7rocprim17ROCPRIM_400000_NS6detail17trampoline_kernelINS0_14default_configENS1_22reduce_config_selectorIlEEZNS1_11reduce_implILb1ES3_PlS7_lN6thrust23THRUST_200600_302600_NS4plusIlEEEE10hipError_tPvRmT1_T2_T3_mT4_P12ihipStream_tbEUlT_E0_NS1_11comp_targetILNS1_3genE10ELNS1_11target_archE1200ELNS1_3gpuE4ELNS1_3repE0EEENS1_30default_config_static_selectorELNS0_4arch9wavefront6targetE1EEEvSF_,"axG",@progbits,_ZN7rocprim17ROCPRIM_400000_NS6detail17trampoline_kernelINS0_14default_configENS1_22reduce_config_selectorIlEEZNS1_11reduce_implILb1ES3_PlS7_lN6thrust23THRUST_200600_302600_NS4plusIlEEEE10hipError_tPvRmT1_T2_T3_mT4_P12ihipStream_tbEUlT_E0_NS1_11comp_targetILNS1_3genE10ELNS1_11target_archE1200ELNS1_3gpuE4ELNS1_3repE0EEENS1_30default_config_static_selectorELNS0_4arch9wavefront6targetE1EEEvSF_,comdat
.Lfunc_end6:
	.size	_ZN7rocprim17ROCPRIM_400000_NS6detail17trampoline_kernelINS0_14default_configENS1_22reduce_config_selectorIlEEZNS1_11reduce_implILb1ES3_PlS7_lN6thrust23THRUST_200600_302600_NS4plusIlEEEE10hipError_tPvRmT1_T2_T3_mT4_P12ihipStream_tbEUlT_E0_NS1_11comp_targetILNS1_3genE10ELNS1_11target_archE1200ELNS1_3gpuE4ELNS1_3repE0EEENS1_30default_config_static_selectorELNS0_4arch9wavefront6targetE1EEEvSF_, .Lfunc_end6-_ZN7rocprim17ROCPRIM_400000_NS6detail17trampoline_kernelINS0_14default_configENS1_22reduce_config_selectorIlEEZNS1_11reduce_implILb1ES3_PlS7_lN6thrust23THRUST_200600_302600_NS4plusIlEEEE10hipError_tPvRmT1_T2_T3_mT4_P12ihipStream_tbEUlT_E0_NS1_11comp_targetILNS1_3genE10ELNS1_11target_archE1200ELNS1_3gpuE4ELNS1_3repE0EEENS1_30default_config_static_selectorELNS0_4arch9wavefront6targetE1EEEvSF_
                                        ; -- End function
	.set _ZN7rocprim17ROCPRIM_400000_NS6detail17trampoline_kernelINS0_14default_configENS1_22reduce_config_selectorIlEEZNS1_11reduce_implILb1ES3_PlS7_lN6thrust23THRUST_200600_302600_NS4plusIlEEEE10hipError_tPvRmT1_T2_T3_mT4_P12ihipStream_tbEUlT_E0_NS1_11comp_targetILNS1_3genE10ELNS1_11target_archE1200ELNS1_3gpuE4ELNS1_3repE0EEENS1_30default_config_static_selectorELNS0_4arch9wavefront6targetE1EEEvSF_.num_vgpr, 0
	.set _ZN7rocprim17ROCPRIM_400000_NS6detail17trampoline_kernelINS0_14default_configENS1_22reduce_config_selectorIlEEZNS1_11reduce_implILb1ES3_PlS7_lN6thrust23THRUST_200600_302600_NS4plusIlEEEE10hipError_tPvRmT1_T2_T3_mT4_P12ihipStream_tbEUlT_E0_NS1_11comp_targetILNS1_3genE10ELNS1_11target_archE1200ELNS1_3gpuE4ELNS1_3repE0EEENS1_30default_config_static_selectorELNS0_4arch9wavefront6targetE1EEEvSF_.num_agpr, 0
	.set _ZN7rocprim17ROCPRIM_400000_NS6detail17trampoline_kernelINS0_14default_configENS1_22reduce_config_selectorIlEEZNS1_11reduce_implILb1ES3_PlS7_lN6thrust23THRUST_200600_302600_NS4plusIlEEEE10hipError_tPvRmT1_T2_T3_mT4_P12ihipStream_tbEUlT_E0_NS1_11comp_targetILNS1_3genE10ELNS1_11target_archE1200ELNS1_3gpuE4ELNS1_3repE0EEENS1_30default_config_static_selectorELNS0_4arch9wavefront6targetE1EEEvSF_.numbered_sgpr, 0
	.set _ZN7rocprim17ROCPRIM_400000_NS6detail17trampoline_kernelINS0_14default_configENS1_22reduce_config_selectorIlEEZNS1_11reduce_implILb1ES3_PlS7_lN6thrust23THRUST_200600_302600_NS4plusIlEEEE10hipError_tPvRmT1_T2_T3_mT4_P12ihipStream_tbEUlT_E0_NS1_11comp_targetILNS1_3genE10ELNS1_11target_archE1200ELNS1_3gpuE4ELNS1_3repE0EEENS1_30default_config_static_selectorELNS0_4arch9wavefront6targetE1EEEvSF_.num_named_barrier, 0
	.set _ZN7rocprim17ROCPRIM_400000_NS6detail17trampoline_kernelINS0_14default_configENS1_22reduce_config_selectorIlEEZNS1_11reduce_implILb1ES3_PlS7_lN6thrust23THRUST_200600_302600_NS4plusIlEEEE10hipError_tPvRmT1_T2_T3_mT4_P12ihipStream_tbEUlT_E0_NS1_11comp_targetILNS1_3genE10ELNS1_11target_archE1200ELNS1_3gpuE4ELNS1_3repE0EEENS1_30default_config_static_selectorELNS0_4arch9wavefront6targetE1EEEvSF_.private_seg_size, 0
	.set _ZN7rocprim17ROCPRIM_400000_NS6detail17trampoline_kernelINS0_14default_configENS1_22reduce_config_selectorIlEEZNS1_11reduce_implILb1ES3_PlS7_lN6thrust23THRUST_200600_302600_NS4plusIlEEEE10hipError_tPvRmT1_T2_T3_mT4_P12ihipStream_tbEUlT_E0_NS1_11comp_targetILNS1_3genE10ELNS1_11target_archE1200ELNS1_3gpuE4ELNS1_3repE0EEENS1_30default_config_static_selectorELNS0_4arch9wavefront6targetE1EEEvSF_.uses_vcc, 0
	.set _ZN7rocprim17ROCPRIM_400000_NS6detail17trampoline_kernelINS0_14default_configENS1_22reduce_config_selectorIlEEZNS1_11reduce_implILb1ES3_PlS7_lN6thrust23THRUST_200600_302600_NS4plusIlEEEE10hipError_tPvRmT1_T2_T3_mT4_P12ihipStream_tbEUlT_E0_NS1_11comp_targetILNS1_3genE10ELNS1_11target_archE1200ELNS1_3gpuE4ELNS1_3repE0EEENS1_30default_config_static_selectorELNS0_4arch9wavefront6targetE1EEEvSF_.uses_flat_scratch, 0
	.set _ZN7rocprim17ROCPRIM_400000_NS6detail17trampoline_kernelINS0_14default_configENS1_22reduce_config_selectorIlEEZNS1_11reduce_implILb1ES3_PlS7_lN6thrust23THRUST_200600_302600_NS4plusIlEEEE10hipError_tPvRmT1_T2_T3_mT4_P12ihipStream_tbEUlT_E0_NS1_11comp_targetILNS1_3genE10ELNS1_11target_archE1200ELNS1_3gpuE4ELNS1_3repE0EEENS1_30default_config_static_selectorELNS0_4arch9wavefront6targetE1EEEvSF_.has_dyn_sized_stack, 0
	.set _ZN7rocprim17ROCPRIM_400000_NS6detail17trampoline_kernelINS0_14default_configENS1_22reduce_config_selectorIlEEZNS1_11reduce_implILb1ES3_PlS7_lN6thrust23THRUST_200600_302600_NS4plusIlEEEE10hipError_tPvRmT1_T2_T3_mT4_P12ihipStream_tbEUlT_E0_NS1_11comp_targetILNS1_3genE10ELNS1_11target_archE1200ELNS1_3gpuE4ELNS1_3repE0EEENS1_30default_config_static_selectorELNS0_4arch9wavefront6targetE1EEEvSF_.has_recursion, 0
	.set _ZN7rocprim17ROCPRIM_400000_NS6detail17trampoline_kernelINS0_14default_configENS1_22reduce_config_selectorIlEEZNS1_11reduce_implILb1ES3_PlS7_lN6thrust23THRUST_200600_302600_NS4plusIlEEEE10hipError_tPvRmT1_T2_T3_mT4_P12ihipStream_tbEUlT_E0_NS1_11comp_targetILNS1_3genE10ELNS1_11target_archE1200ELNS1_3gpuE4ELNS1_3repE0EEENS1_30default_config_static_selectorELNS0_4arch9wavefront6targetE1EEEvSF_.has_indirect_call, 0
	.section	.AMDGPU.csdata,"",@progbits
; Kernel info:
; codeLenInByte = 0
; TotalNumSgprs: 4
; NumVgprs: 0
; ScratchSize: 0
; MemoryBound: 0
; FloatMode: 240
; IeeeMode: 1
; LDSByteSize: 0 bytes/workgroup (compile time only)
; SGPRBlocks: 0
; VGPRBlocks: 0
; NumSGPRsForWavesPerEU: 4
; NumVGPRsForWavesPerEU: 1
; Occupancy: 10
; WaveLimiterHint : 0
; COMPUTE_PGM_RSRC2:SCRATCH_EN: 0
; COMPUTE_PGM_RSRC2:USER_SGPR: 6
; COMPUTE_PGM_RSRC2:TRAP_HANDLER: 0
; COMPUTE_PGM_RSRC2:TGID_X_EN: 1
; COMPUTE_PGM_RSRC2:TGID_Y_EN: 0
; COMPUTE_PGM_RSRC2:TGID_Z_EN: 0
; COMPUTE_PGM_RSRC2:TIDIG_COMP_CNT: 0
	.section	.text._ZN7rocprim17ROCPRIM_400000_NS6detail17trampoline_kernelINS0_14default_configENS1_22reduce_config_selectorIlEEZNS1_11reduce_implILb1ES3_PlS7_lN6thrust23THRUST_200600_302600_NS4plusIlEEEE10hipError_tPvRmT1_T2_T3_mT4_P12ihipStream_tbEUlT_E0_NS1_11comp_targetILNS1_3genE9ELNS1_11target_archE1100ELNS1_3gpuE3ELNS1_3repE0EEENS1_30default_config_static_selectorELNS0_4arch9wavefront6targetE1EEEvSF_,"axG",@progbits,_ZN7rocprim17ROCPRIM_400000_NS6detail17trampoline_kernelINS0_14default_configENS1_22reduce_config_selectorIlEEZNS1_11reduce_implILb1ES3_PlS7_lN6thrust23THRUST_200600_302600_NS4plusIlEEEE10hipError_tPvRmT1_T2_T3_mT4_P12ihipStream_tbEUlT_E0_NS1_11comp_targetILNS1_3genE9ELNS1_11target_archE1100ELNS1_3gpuE3ELNS1_3repE0EEENS1_30default_config_static_selectorELNS0_4arch9wavefront6targetE1EEEvSF_,comdat
	.protected	_ZN7rocprim17ROCPRIM_400000_NS6detail17trampoline_kernelINS0_14default_configENS1_22reduce_config_selectorIlEEZNS1_11reduce_implILb1ES3_PlS7_lN6thrust23THRUST_200600_302600_NS4plusIlEEEE10hipError_tPvRmT1_T2_T3_mT4_P12ihipStream_tbEUlT_E0_NS1_11comp_targetILNS1_3genE9ELNS1_11target_archE1100ELNS1_3gpuE3ELNS1_3repE0EEENS1_30default_config_static_selectorELNS0_4arch9wavefront6targetE1EEEvSF_ ; -- Begin function _ZN7rocprim17ROCPRIM_400000_NS6detail17trampoline_kernelINS0_14default_configENS1_22reduce_config_selectorIlEEZNS1_11reduce_implILb1ES3_PlS7_lN6thrust23THRUST_200600_302600_NS4plusIlEEEE10hipError_tPvRmT1_T2_T3_mT4_P12ihipStream_tbEUlT_E0_NS1_11comp_targetILNS1_3genE9ELNS1_11target_archE1100ELNS1_3gpuE3ELNS1_3repE0EEENS1_30default_config_static_selectorELNS0_4arch9wavefront6targetE1EEEvSF_
	.globl	_ZN7rocprim17ROCPRIM_400000_NS6detail17trampoline_kernelINS0_14default_configENS1_22reduce_config_selectorIlEEZNS1_11reduce_implILb1ES3_PlS7_lN6thrust23THRUST_200600_302600_NS4plusIlEEEE10hipError_tPvRmT1_T2_T3_mT4_P12ihipStream_tbEUlT_E0_NS1_11comp_targetILNS1_3genE9ELNS1_11target_archE1100ELNS1_3gpuE3ELNS1_3repE0EEENS1_30default_config_static_selectorELNS0_4arch9wavefront6targetE1EEEvSF_
	.p2align	8
	.type	_ZN7rocprim17ROCPRIM_400000_NS6detail17trampoline_kernelINS0_14default_configENS1_22reduce_config_selectorIlEEZNS1_11reduce_implILb1ES3_PlS7_lN6thrust23THRUST_200600_302600_NS4plusIlEEEE10hipError_tPvRmT1_T2_T3_mT4_P12ihipStream_tbEUlT_E0_NS1_11comp_targetILNS1_3genE9ELNS1_11target_archE1100ELNS1_3gpuE3ELNS1_3repE0EEENS1_30default_config_static_selectorELNS0_4arch9wavefront6targetE1EEEvSF_,@function
_ZN7rocprim17ROCPRIM_400000_NS6detail17trampoline_kernelINS0_14default_configENS1_22reduce_config_selectorIlEEZNS1_11reduce_implILb1ES3_PlS7_lN6thrust23THRUST_200600_302600_NS4plusIlEEEE10hipError_tPvRmT1_T2_T3_mT4_P12ihipStream_tbEUlT_E0_NS1_11comp_targetILNS1_3genE9ELNS1_11target_archE1100ELNS1_3gpuE3ELNS1_3repE0EEENS1_30default_config_static_selectorELNS0_4arch9wavefront6targetE1EEEvSF_: ; @_ZN7rocprim17ROCPRIM_400000_NS6detail17trampoline_kernelINS0_14default_configENS1_22reduce_config_selectorIlEEZNS1_11reduce_implILb1ES3_PlS7_lN6thrust23THRUST_200600_302600_NS4plusIlEEEE10hipError_tPvRmT1_T2_T3_mT4_P12ihipStream_tbEUlT_E0_NS1_11comp_targetILNS1_3genE9ELNS1_11target_archE1100ELNS1_3gpuE3ELNS1_3repE0EEENS1_30default_config_static_selectorELNS0_4arch9wavefront6targetE1EEEvSF_
; %bb.0:
	.section	.rodata,"a",@progbits
	.p2align	6, 0x0
	.amdhsa_kernel _ZN7rocprim17ROCPRIM_400000_NS6detail17trampoline_kernelINS0_14default_configENS1_22reduce_config_selectorIlEEZNS1_11reduce_implILb1ES3_PlS7_lN6thrust23THRUST_200600_302600_NS4plusIlEEEE10hipError_tPvRmT1_T2_T3_mT4_P12ihipStream_tbEUlT_E0_NS1_11comp_targetILNS1_3genE9ELNS1_11target_archE1100ELNS1_3gpuE3ELNS1_3repE0EEENS1_30default_config_static_selectorELNS0_4arch9wavefront6targetE1EEEvSF_
		.amdhsa_group_segment_fixed_size 0
		.amdhsa_private_segment_fixed_size 0
		.amdhsa_kernarg_size 64
		.amdhsa_user_sgpr_count 6
		.amdhsa_user_sgpr_private_segment_buffer 1
		.amdhsa_user_sgpr_dispatch_ptr 0
		.amdhsa_user_sgpr_queue_ptr 0
		.amdhsa_user_sgpr_kernarg_segment_ptr 1
		.amdhsa_user_sgpr_dispatch_id 0
		.amdhsa_user_sgpr_flat_scratch_init 0
		.amdhsa_user_sgpr_private_segment_size 0
		.amdhsa_uses_dynamic_stack 0
		.amdhsa_system_sgpr_private_segment_wavefront_offset 0
		.amdhsa_system_sgpr_workgroup_id_x 1
		.amdhsa_system_sgpr_workgroup_id_y 0
		.amdhsa_system_sgpr_workgroup_id_z 0
		.amdhsa_system_sgpr_workgroup_info 0
		.amdhsa_system_vgpr_workitem_id 0
		.amdhsa_next_free_vgpr 1
		.amdhsa_next_free_sgpr 0
		.amdhsa_reserve_vcc 0
		.amdhsa_reserve_flat_scratch 0
		.amdhsa_float_round_mode_32 0
		.amdhsa_float_round_mode_16_64 0
		.amdhsa_float_denorm_mode_32 3
		.amdhsa_float_denorm_mode_16_64 3
		.amdhsa_dx10_clamp 1
		.amdhsa_ieee_mode 1
		.amdhsa_fp16_overflow 0
		.amdhsa_exception_fp_ieee_invalid_op 0
		.amdhsa_exception_fp_denorm_src 0
		.amdhsa_exception_fp_ieee_div_zero 0
		.amdhsa_exception_fp_ieee_overflow 0
		.amdhsa_exception_fp_ieee_underflow 0
		.amdhsa_exception_fp_ieee_inexact 0
		.amdhsa_exception_int_div_zero 0
	.end_amdhsa_kernel
	.section	.text._ZN7rocprim17ROCPRIM_400000_NS6detail17trampoline_kernelINS0_14default_configENS1_22reduce_config_selectorIlEEZNS1_11reduce_implILb1ES3_PlS7_lN6thrust23THRUST_200600_302600_NS4plusIlEEEE10hipError_tPvRmT1_T2_T3_mT4_P12ihipStream_tbEUlT_E0_NS1_11comp_targetILNS1_3genE9ELNS1_11target_archE1100ELNS1_3gpuE3ELNS1_3repE0EEENS1_30default_config_static_selectorELNS0_4arch9wavefront6targetE1EEEvSF_,"axG",@progbits,_ZN7rocprim17ROCPRIM_400000_NS6detail17trampoline_kernelINS0_14default_configENS1_22reduce_config_selectorIlEEZNS1_11reduce_implILb1ES3_PlS7_lN6thrust23THRUST_200600_302600_NS4plusIlEEEE10hipError_tPvRmT1_T2_T3_mT4_P12ihipStream_tbEUlT_E0_NS1_11comp_targetILNS1_3genE9ELNS1_11target_archE1100ELNS1_3gpuE3ELNS1_3repE0EEENS1_30default_config_static_selectorELNS0_4arch9wavefront6targetE1EEEvSF_,comdat
.Lfunc_end7:
	.size	_ZN7rocprim17ROCPRIM_400000_NS6detail17trampoline_kernelINS0_14default_configENS1_22reduce_config_selectorIlEEZNS1_11reduce_implILb1ES3_PlS7_lN6thrust23THRUST_200600_302600_NS4plusIlEEEE10hipError_tPvRmT1_T2_T3_mT4_P12ihipStream_tbEUlT_E0_NS1_11comp_targetILNS1_3genE9ELNS1_11target_archE1100ELNS1_3gpuE3ELNS1_3repE0EEENS1_30default_config_static_selectorELNS0_4arch9wavefront6targetE1EEEvSF_, .Lfunc_end7-_ZN7rocprim17ROCPRIM_400000_NS6detail17trampoline_kernelINS0_14default_configENS1_22reduce_config_selectorIlEEZNS1_11reduce_implILb1ES3_PlS7_lN6thrust23THRUST_200600_302600_NS4plusIlEEEE10hipError_tPvRmT1_T2_T3_mT4_P12ihipStream_tbEUlT_E0_NS1_11comp_targetILNS1_3genE9ELNS1_11target_archE1100ELNS1_3gpuE3ELNS1_3repE0EEENS1_30default_config_static_selectorELNS0_4arch9wavefront6targetE1EEEvSF_
                                        ; -- End function
	.set _ZN7rocprim17ROCPRIM_400000_NS6detail17trampoline_kernelINS0_14default_configENS1_22reduce_config_selectorIlEEZNS1_11reduce_implILb1ES3_PlS7_lN6thrust23THRUST_200600_302600_NS4plusIlEEEE10hipError_tPvRmT1_T2_T3_mT4_P12ihipStream_tbEUlT_E0_NS1_11comp_targetILNS1_3genE9ELNS1_11target_archE1100ELNS1_3gpuE3ELNS1_3repE0EEENS1_30default_config_static_selectorELNS0_4arch9wavefront6targetE1EEEvSF_.num_vgpr, 0
	.set _ZN7rocprim17ROCPRIM_400000_NS6detail17trampoline_kernelINS0_14default_configENS1_22reduce_config_selectorIlEEZNS1_11reduce_implILb1ES3_PlS7_lN6thrust23THRUST_200600_302600_NS4plusIlEEEE10hipError_tPvRmT1_T2_T3_mT4_P12ihipStream_tbEUlT_E0_NS1_11comp_targetILNS1_3genE9ELNS1_11target_archE1100ELNS1_3gpuE3ELNS1_3repE0EEENS1_30default_config_static_selectorELNS0_4arch9wavefront6targetE1EEEvSF_.num_agpr, 0
	.set _ZN7rocprim17ROCPRIM_400000_NS6detail17trampoline_kernelINS0_14default_configENS1_22reduce_config_selectorIlEEZNS1_11reduce_implILb1ES3_PlS7_lN6thrust23THRUST_200600_302600_NS4plusIlEEEE10hipError_tPvRmT1_T2_T3_mT4_P12ihipStream_tbEUlT_E0_NS1_11comp_targetILNS1_3genE9ELNS1_11target_archE1100ELNS1_3gpuE3ELNS1_3repE0EEENS1_30default_config_static_selectorELNS0_4arch9wavefront6targetE1EEEvSF_.numbered_sgpr, 0
	.set _ZN7rocprim17ROCPRIM_400000_NS6detail17trampoline_kernelINS0_14default_configENS1_22reduce_config_selectorIlEEZNS1_11reduce_implILb1ES3_PlS7_lN6thrust23THRUST_200600_302600_NS4plusIlEEEE10hipError_tPvRmT1_T2_T3_mT4_P12ihipStream_tbEUlT_E0_NS1_11comp_targetILNS1_3genE9ELNS1_11target_archE1100ELNS1_3gpuE3ELNS1_3repE0EEENS1_30default_config_static_selectorELNS0_4arch9wavefront6targetE1EEEvSF_.num_named_barrier, 0
	.set _ZN7rocprim17ROCPRIM_400000_NS6detail17trampoline_kernelINS0_14default_configENS1_22reduce_config_selectorIlEEZNS1_11reduce_implILb1ES3_PlS7_lN6thrust23THRUST_200600_302600_NS4plusIlEEEE10hipError_tPvRmT1_T2_T3_mT4_P12ihipStream_tbEUlT_E0_NS1_11comp_targetILNS1_3genE9ELNS1_11target_archE1100ELNS1_3gpuE3ELNS1_3repE0EEENS1_30default_config_static_selectorELNS0_4arch9wavefront6targetE1EEEvSF_.private_seg_size, 0
	.set _ZN7rocprim17ROCPRIM_400000_NS6detail17trampoline_kernelINS0_14default_configENS1_22reduce_config_selectorIlEEZNS1_11reduce_implILb1ES3_PlS7_lN6thrust23THRUST_200600_302600_NS4plusIlEEEE10hipError_tPvRmT1_T2_T3_mT4_P12ihipStream_tbEUlT_E0_NS1_11comp_targetILNS1_3genE9ELNS1_11target_archE1100ELNS1_3gpuE3ELNS1_3repE0EEENS1_30default_config_static_selectorELNS0_4arch9wavefront6targetE1EEEvSF_.uses_vcc, 0
	.set _ZN7rocprim17ROCPRIM_400000_NS6detail17trampoline_kernelINS0_14default_configENS1_22reduce_config_selectorIlEEZNS1_11reduce_implILb1ES3_PlS7_lN6thrust23THRUST_200600_302600_NS4plusIlEEEE10hipError_tPvRmT1_T2_T3_mT4_P12ihipStream_tbEUlT_E0_NS1_11comp_targetILNS1_3genE9ELNS1_11target_archE1100ELNS1_3gpuE3ELNS1_3repE0EEENS1_30default_config_static_selectorELNS0_4arch9wavefront6targetE1EEEvSF_.uses_flat_scratch, 0
	.set _ZN7rocprim17ROCPRIM_400000_NS6detail17trampoline_kernelINS0_14default_configENS1_22reduce_config_selectorIlEEZNS1_11reduce_implILb1ES3_PlS7_lN6thrust23THRUST_200600_302600_NS4plusIlEEEE10hipError_tPvRmT1_T2_T3_mT4_P12ihipStream_tbEUlT_E0_NS1_11comp_targetILNS1_3genE9ELNS1_11target_archE1100ELNS1_3gpuE3ELNS1_3repE0EEENS1_30default_config_static_selectorELNS0_4arch9wavefront6targetE1EEEvSF_.has_dyn_sized_stack, 0
	.set _ZN7rocprim17ROCPRIM_400000_NS6detail17trampoline_kernelINS0_14default_configENS1_22reduce_config_selectorIlEEZNS1_11reduce_implILb1ES3_PlS7_lN6thrust23THRUST_200600_302600_NS4plusIlEEEE10hipError_tPvRmT1_T2_T3_mT4_P12ihipStream_tbEUlT_E0_NS1_11comp_targetILNS1_3genE9ELNS1_11target_archE1100ELNS1_3gpuE3ELNS1_3repE0EEENS1_30default_config_static_selectorELNS0_4arch9wavefront6targetE1EEEvSF_.has_recursion, 0
	.set _ZN7rocprim17ROCPRIM_400000_NS6detail17trampoline_kernelINS0_14default_configENS1_22reduce_config_selectorIlEEZNS1_11reduce_implILb1ES3_PlS7_lN6thrust23THRUST_200600_302600_NS4plusIlEEEE10hipError_tPvRmT1_T2_T3_mT4_P12ihipStream_tbEUlT_E0_NS1_11comp_targetILNS1_3genE9ELNS1_11target_archE1100ELNS1_3gpuE3ELNS1_3repE0EEENS1_30default_config_static_selectorELNS0_4arch9wavefront6targetE1EEEvSF_.has_indirect_call, 0
	.section	.AMDGPU.csdata,"",@progbits
; Kernel info:
; codeLenInByte = 0
; TotalNumSgprs: 4
; NumVgprs: 0
; ScratchSize: 0
; MemoryBound: 0
; FloatMode: 240
; IeeeMode: 1
; LDSByteSize: 0 bytes/workgroup (compile time only)
; SGPRBlocks: 0
; VGPRBlocks: 0
; NumSGPRsForWavesPerEU: 4
; NumVGPRsForWavesPerEU: 1
; Occupancy: 10
; WaveLimiterHint : 0
; COMPUTE_PGM_RSRC2:SCRATCH_EN: 0
; COMPUTE_PGM_RSRC2:USER_SGPR: 6
; COMPUTE_PGM_RSRC2:TRAP_HANDLER: 0
; COMPUTE_PGM_RSRC2:TGID_X_EN: 1
; COMPUTE_PGM_RSRC2:TGID_Y_EN: 0
; COMPUTE_PGM_RSRC2:TGID_Z_EN: 0
; COMPUTE_PGM_RSRC2:TIDIG_COMP_CNT: 0
	.section	.text._ZN7rocprim17ROCPRIM_400000_NS6detail17trampoline_kernelINS0_14default_configENS1_22reduce_config_selectorIlEEZNS1_11reduce_implILb1ES3_PlS7_lN6thrust23THRUST_200600_302600_NS4plusIlEEEE10hipError_tPvRmT1_T2_T3_mT4_P12ihipStream_tbEUlT_E0_NS1_11comp_targetILNS1_3genE8ELNS1_11target_archE1030ELNS1_3gpuE2ELNS1_3repE0EEENS1_30default_config_static_selectorELNS0_4arch9wavefront6targetE1EEEvSF_,"axG",@progbits,_ZN7rocprim17ROCPRIM_400000_NS6detail17trampoline_kernelINS0_14default_configENS1_22reduce_config_selectorIlEEZNS1_11reduce_implILb1ES3_PlS7_lN6thrust23THRUST_200600_302600_NS4plusIlEEEE10hipError_tPvRmT1_T2_T3_mT4_P12ihipStream_tbEUlT_E0_NS1_11comp_targetILNS1_3genE8ELNS1_11target_archE1030ELNS1_3gpuE2ELNS1_3repE0EEENS1_30default_config_static_selectorELNS0_4arch9wavefront6targetE1EEEvSF_,comdat
	.protected	_ZN7rocprim17ROCPRIM_400000_NS6detail17trampoline_kernelINS0_14default_configENS1_22reduce_config_selectorIlEEZNS1_11reduce_implILb1ES3_PlS7_lN6thrust23THRUST_200600_302600_NS4plusIlEEEE10hipError_tPvRmT1_T2_T3_mT4_P12ihipStream_tbEUlT_E0_NS1_11comp_targetILNS1_3genE8ELNS1_11target_archE1030ELNS1_3gpuE2ELNS1_3repE0EEENS1_30default_config_static_selectorELNS0_4arch9wavefront6targetE1EEEvSF_ ; -- Begin function _ZN7rocprim17ROCPRIM_400000_NS6detail17trampoline_kernelINS0_14default_configENS1_22reduce_config_selectorIlEEZNS1_11reduce_implILb1ES3_PlS7_lN6thrust23THRUST_200600_302600_NS4plusIlEEEE10hipError_tPvRmT1_T2_T3_mT4_P12ihipStream_tbEUlT_E0_NS1_11comp_targetILNS1_3genE8ELNS1_11target_archE1030ELNS1_3gpuE2ELNS1_3repE0EEENS1_30default_config_static_selectorELNS0_4arch9wavefront6targetE1EEEvSF_
	.globl	_ZN7rocprim17ROCPRIM_400000_NS6detail17trampoline_kernelINS0_14default_configENS1_22reduce_config_selectorIlEEZNS1_11reduce_implILb1ES3_PlS7_lN6thrust23THRUST_200600_302600_NS4plusIlEEEE10hipError_tPvRmT1_T2_T3_mT4_P12ihipStream_tbEUlT_E0_NS1_11comp_targetILNS1_3genE8ELNS1_11target_archE1030ELNS1_3gpuE2ELNS1_3repE0EEENS1_30default_config_static_selectorELNS0_4arch9wavefront6targetE1EEEvSF_
	.p2align	8
	.type	_ZN7rocprim17ROCPRIM_400000_NS6detail17trampoline_kernelINS0_14default_configENS1_22reduce_config_selectorIlEEZNS1_11reduce_implILb1ES3_PlS7_lN6thrust23THRUST_200600_302600_NS4plusIlEEEE10hipError_tPvRmT1_T2_T3_mT4_P12ihipStream_tbEUlT_E0_NS1_11comp_targetILNS1_3genE8ELNS1_11target_archE1030ELNS1_3gpuE2ELNS1_3repE0EEENS1_30default_config_static_selectorELNS0_4arch9wavefront6targetE1EEEvSF_,@function
_ZN7rocprim17ROCPRIM_400000_NS6detail17trampoline_kernelINS0_14default_configENS1_22reduce_config_selectorIlEEZNS1_11reduce_implILb1ES3_PlS7_lN6thrust23THRUST_200600_302600_NS4plusIlEEEE10hipError_tPvRmT1_T2_T3_mT4_P12ihipStream_tbEUlT_E0_NS1_11comp_targetILNS1_3genE8ELNS1_11target_archE1030ELNS1_3gpuE2ELNS1_3repE0EEENS1_30default_config_static_selectorELNS0_4arch9wavefront6targetE1EEEvSF_: ; @_ZN7rocprim17ROCPRIM_400000_NS6detail17trampoline_kernelINS0_14default_configENS1_22reduce_config_selectorIlEEZNS1_11reduce_implILb1ES3_PlS7_lN6thrust23THRUST_200600_302600_NS4plusIlEEEE10hipError_tPvRmT1_T2_T3_mT4_P12ihipStream_tbEUlT_E0_NS1_11comp_targetILNS1_3genE8ELNS1_11target_archE1030ELNS1_3gpuE2ELNS1_3repE0EEENS1_30default_config_static_selectorELNS0_4arch9wavefront6targetE1EEEvSF_
; %bb.0:
	.section	.rodata,"a",@progbits
	.p2align	6, 0x0
	.amdhsa_kernel _ZN7rocprim17ROCPRIM_400000_NS6detail17trampoline_kernelINS0_14default_configENS1_22reduce_config_selectorIlEEZNS1_11reduce_implILb1ES3_PlS7_lN6thrust23THRUST_200600_302600_NS4plusIlEEEE10hipError_tPvRmT1_T2_T3_mT4_P12ihipStream_tbEUlT_E0_NS1_11comp_targetILNS1_3genE8ELNS1_11target_archE1030ELNS1_3gpuE2ELNS1_3repE0EEENS1_30default_config_static_selectorELNS0_4arch9wavefront6targetE1EEEvSF_
		.amdhsa_group_segment_fixed_size 0
		.amdhsa_private_segment_fixed_size 0
		.amdhsa_kernarg_size 64
		.amdhsa_user_sgpr_count 6
		.amdhsa_user_sgpr_private_segment_buffer 1
		.amdhsa_user_sgpr_dispatch_ptr 0
		.amdhsa_user_sgpr_queue_ptr 0
		.amdhsa_user_sgpr_kernarg_segment_ptr 1
		.amdhsa_user_sgpr_dispatch_id 0
		.amdhsa_user_sgpr_flat_scratch_init 0
		.amdhsa_user_sgpr_private_segment_size 0
		.amdhsa_uses_dynamic_stack 0
		.amdhsa_system_sgpr_private_segment_wavefront_offset 0
		.amdhsa_system_sgpr_workgroup_id_x 1
		.amdhsa_system_sgpr_workgroup_id_y 0
		.amdhsa_system_sgpr_workgroup_id_z 0
		.amdhsa_system_sgpr_workgroup_info 0
		.amdhsa_system_vgpr_workitem_id 0
		.amdhsa_next_free_vgpr 1
		.amdhsa_next_free_sgpr 0
		.amdhsa_reserve_vcc 0
		.amdhsa_reserve_flat_scratch 0
		.amdhsa_float_round_mode_32 0
		.amdhsa_float_round_mode_16_64 0
		.amdhsa_float_denorm_mode_32 3
		.amdhsa_float_denorm_mode_16_64 3
		.amdhsa_dx10_clamp 1
		.amdhsa_ieee_mode 1
		.amdhsa_fp16_overflow 0
		.amdhsa_exception_fp_ieee_invalid_op 0
		.amdhsa_exception_fp_denorm_src 0
		.amdhsa_exception_fp_ieee_div_zero 0
		.amdhsa_exception_fp_ieee_overflow 0
		.amdhsa_exception_fp_ieee_underflow 0
		.amdhsa_exception_fp_ieee_inexact 0
		.amdhsa_exception_int_div_zero 0
	.end_amdhsa_kernel
	.section	.text._ZN7rocprim17ROCPRIM_400000_NS6detail17trampoline_kernelINS0_14default_configENS1_22reduce_config_selectorIlEEZNS1_11reduce_implILb1ES3_PlS7_lN6thrust23THRUST_200600_302600_NS4plusIlEEEE10hipError_tPvRmT1_T2_T3_mT4_P12ihipStream_tbEUlT_E0_NS1_11comp_targetILNS1_3genE8ELNS1_11target_archE1030ELNS1_3gpuE2ELNS1_3repE0EEENS1_30default_config_static_selectorELNS0_4arch9wavefront6targetE1EEEvSF_,"axG",@progbits,_ZN7rocprim17ROCPRIM_400000_NS6detail17trampoline_kernelINS0_14default_configENS1_22reduce_config_selectorIlEEZNS1_11reduce_implILb1ES3_PlS7_lN6thrust23THRUST_200600_302600_NS4plusIlEEEE10hipError_tPvRmT1_T2_T3_mT4_P12ihipStream_tbEUlT_E0_NS1_11comp_targetILNS1_3genE8ELNS1_11target_archE1030ELNS1_3gpuE2ELNS1_3repE0EEENS1_30default_config_static_selectorELNS0_4arch9wavefront6targetE1EEEvSF_,comdat
.Lfunc_end8:
	.size	_ZN7rocprim17ROCPRIM_400000_NS6detail17trampoline_kernelINS0_14default_configENS1_22reduce_config_selectorIlEEZNS1_11reduce_implILb1ES3_PlS7_lN6thrust23THRUST_200600_302600_NS4plusIlEEEE10hipError_tPvRmT1_T2_T3_mT4_P12ihipStream_tbEUlT_E0_NS1_11comp_targetILNS1_3genE8ELNS1_11target_archE1030ELNS1_3gpuE2ELNS1_3repE0EEENS1_30default_config_static_selectorELNS0_4arch9wavefront6targetE1EEEvSF_, .Lfunc_end8-_ZN7rocprim17ROCPRIM_400000_NS6detail17trampoline_kernelINS0_14default_configENS1_22reduce_config_selectorIlEEZNS1_11reduce_implILb1ES3_PlS7_lN6thrust23THRUST_200600_302600_NS4plusIlEEEE10hipError_tPvRmT1_T2_T3_mT4_P12ihipStream_tbEUlT_E0_NS1_11comp_targetILNS1_3genE8ELNS1_11target_archE1030ELNS1_3gpuE2ELNS1_3repE0EEENS1_30default_config_static_selectorELNS0_4arch9wavefront6targetE1EEEvSF_
                                        ; -- End function
	.set _ZN7rocprim17ROCPRIM_400000_NS6detail17trampoline_kernelINS0_14default_configENS1_22reduce_config_selectorIlEEZNS1_11reduce_implILb1ES3_PlS7_lN6thrust23THRUST_200600_302600_NS4plusIlEEEE10hipError_tPvRmT1_T2_T3_mT4_P12ihipStream_tbEUlT_E0_NS1_11comp_targetILNS1_3genE8ELNS1_11target_archE1030ELNS1_3gpuE2ELNS1_3repE0EEENS1_30default_config_static_selectorELNS0_4arch9wavefront6targetE1EEEvSF_.num_vgpr, 0
	.set _ZN7rocprim17ROCPRIM_400000_NS6detail17trampoline_kernelINS0_14default_configENS1_22reduce_config_selectorIlEEZNS1_11reduce_implILb1ES3_PlS7_lN6thrust23THRUST_200600_302600_NS4plusIlEEEE10hipError_tPvRmT1_T2_T3_mT4_P12ihipStream_tbEUlT_E0_NS1_11comp_targetILNS1_3genE8ELNS1_11target_archE1030ELNS1_3gpuE2ELNS1_3repE0EEENS1_30default_config_static_selectorELNS0_4arch9wavefront6targetE1EEEvSF_.num_agpr, 0
	.set _ZN7rocprim17ROCPRIM_400000_NS6detail17trampoline_kernelINS0_14default_configENS1_22reduce_config_selectorIlEEZNS1_11reduce_implILb1ES3_PlS7_lN6thrust23THRUST_200600_302600_NS4plusIlEEEE10hipError_tPvRmT1_T2_T3_mT4_P12ihipStream_tbEUlT_E0_NS1_11comp_targetILNS1_3genE8ELNS1_11target_archE1030ELNS1_3gpuE2ELNS1_3repE0EEENS1_30default_config_static_selectorELNS0_4arch9wavefront6targetE1EEEvSF_.numbered_sgpr, 0
	.set _ZN7rocprim17ROCPRIM_400000_NS6detail17trampoline_kernelINS0_14default_configENS1_22reduce_config_selectorIlEEZNS1_11reduce_implILb1ES3_PlS7_lN6thrust23THRUST_200600_302600_NS4plusIlEEEE10hipError_tPvRmT1_T2_T3_mT4_P12ihipStream_tbEUlT_E0_NS1_11comp_targetILNS1_3genE8ELNS1_11target_archE1030ELNS1_3gpuE2ELNS1_3repE0EEENS1_30default_config_static_selectorELNS0_4arch9wavefront6targetE1EEEvSF_.num_named_barrier, 0
	.set _ZN7rocprim17ROCPRIM_400000_NS6detail17trampoline_kernelINS0_14default_configENS1_22reduce_config_selectorIlEEZNS1_11reduce_implILb1ES3_PlS7_lN6thrust23THRUST_200600_302600_NS4plusIlEEEE10hipError_tPvRmT1_T2_T3_mT4_P12ihipStream_tbEUlT_E0_NS1_11comp_targetILNS1_3genE8ELNS1_11target_archE1030ELNS1_3gpuE2ELNS1_3repE0EEENS1_30default_config_static_selectorELNS0_4arch9wavefront6targetE1EEEvSF_.private_seg_size, 0
	.set _ZN7rocprim17ROCPRIM_400000_NS6detail17trampoline_kernelINS0_14default_configENS1_22reduce_config_selectorIlEEZNS1_11reduce_implILb1ES3_PlS7_lN6thrust23THRUST_200600_302600_NS4plusIlEEEE10hipError_tPvRmT1_T2_T3_mT4_P12ihipStream_tbEUlT_E0_NS1_11comp_targetILNS1_3genE8ELNS1_11target_archE1030ELNS1_3gpuE2ELNS1_3repE0EEENS1_30default_config_static_selectorELNS0_4arch9wavefront6targetE1EEEvSF_.uses_vcc, 0
	.set _ZN7rocprim17ROCPRIM_400000_NS6detail17trampoline_kernelINS0_14default_configENS1_22reduce_config_selectorIlEEZNS1_11reduce_implILb1ES3_PlS7_lN6thrust23THRUST_200600_302600_NS4plusIlEEEE10hipError_tPvRmT1_T2_T3_mT4_P12ihipStream_tbEUlT_E0_NS1_11comp_targetILNS1_3genE8ELNS1_11target_archE1030ELNS1_3gpuE2ELNS1_3repE0EEENS1_30default_config_static_selectorELNS0_4arch9wavefront6targetE1EEEvSF_.uses_flat_scratch, 0
	.set _ZN7rocprim17ROCPRIM_400000_NS6detail17trampoline_kernelINS0_14default_configENS1_22reduce_config_selectorIlEEZNS1_11reduce_implILb1ES3_PlS7_lN6thrust23THRUST_200600_302600_NS4plusIlEEEE10hipError_tPvRmT1_T2_T3_mT4_P12ihipStream_tbEUlT_E0_NS1_11comp_targetILNS1_3genE8ELNS1_11target_archE1030ELNS1_3gpuE2ELNS1_3repE0EEENS1_30default_config_static_selectorELNS0_4arch9wavefront6targetE1EEEvSF_.has_dyn_sized_stack, 0
	.set _ZN7rocprim17ROCPRIM_400000_NS6detail17trampoline_kernelINS0_14default_configENS1_22reduce_config_selectorIlEEZNS1_11reduce_implILb1ES3_PlS7_lN6thrust23THRUST_200600_302600_NS4plusIlEEEE10hipError_tPvRmT1_T2_T3_mT4_P12ihipStream_tbEUlT_E0_NS1_11comp_targetILNS1_3genE8ELNS1_11target_archE1030ELNS1_3gpuE2ELNS1_3repE0EEENS1_30default_config_static_selectorELNS0_4arch9wavefront6targetE1EEEvSF_.has_recursion, 0
	.set _ZN7rocprim17ROCPRIM_400000_NS6detail17trampoline_kernelINS0_14default_configENS1_22reduce_config_selectorIlEEZNS1_11reduce_implILb1ES3_PlS7_lN6thrust23THRUST_200600_302600_NS4plusIlEEEE10hipError_tPvRmT1_T2_T3_mT4_P12ihipStream_tbEUlT_E0_NS1_11comp_targetILNS1_3genE8ELNS1_11target_archE1030ELNS1_3gpuE2ELNS1_3repE0EEENS1_30default_config_static_selectorELNS0_4arch9wavefront6targetE1EEEvSF_.has_indirect_call, 0
	.section	.AMDGPU.csdata,"",@progbits
; Kernel info:
; codeLenInByte = 0
; TotalNumSgprs: 4
; NumVgprs: 0
; ScratchSize: 0
; MemoryBound: 0
; FloatMode: 240
; IeeeMode: 1
; LDSByteSize: 0 bytes/workgroup (compile time only)
; SGPRBlocks: 0
; VGPRBlocks: 0
; NumSGPRsForWavesPerEU: 4
; NumVGPRsForWavesPerEU: 1
; Occupancy: 10
; WaveLimiterHint : 0
; COMPUTE_PGM_RSRC2:SCRATCH_EN: 0
; COMPUTE_PGM_RSRC2:USER_SGPR: 6
; COMPUTE_PGM_RSRC2:TRAP_HANDLER: 0
; COMPUTE_PGM_RSRC2:TGID_X_EN: 1
; COMPUTE_PGM_RSRC2:TGID_Y_EN: 0
; COMPUTE_PGM_RSRC2:TGID_Z_EN: 0
; COMPUTE_PGM_RSRC2:TIDIG_COMP_CNT: 0
	.section	.text._ZN7rocprim17ROCPRIM_400000_NS6detail17trampoline_kernelINS0_14default_configENS1_22reduce_config_selectorIlEEZNS1_11reduce_implILb1ES3_PlS7_lN6thrust23THRUST_200600_302600_NS4plusIlEEEE10hipError_tPvRmT1_T2_T3_mT4_P12ihipStream_tbEUlT_E1_NS1_11comp_targetILNS1_3genE0ELNS1_11target_archE4294967295ELNS1_3gpuE0ELNS1_3repE0EEENS1_30default_config_static_selectorELNS0_4arch9wavefront6targetE1EEEvSF_,"axG",@progbits,_ZN7rocprim17ROCPRIM_400000_NS6detail17trampoline_kernelINS0_14default_configENS1_22reduce_config_selectorIlEEZNS1_11reduce_implILb1ES3_PlS7_lN6thrust23THRUST_200600_302600_NS4plusIlEEEE10hipError_tPvRmT1_T2_T3_mT4_P12ihipStream_tbEUlT_E1_NS1_11comp_targetILNS1_3genE0ELNS1_11target_archE4294967295ELNS1_3gpuE0ELNS1_3repE0EEENS1_30default_config_static_selectorELNS0_4arch9wavefront6targetE1EEEvSF_,comdat
	.protected	_ZN7rocprim17ROCPRIM_400000_NS6detail17trampoline_kernelINS0_14default_configENS1_22reduce_config_selectorIlEEZNS1_11reduce_implILb1ES3_PlS7_lN6thrust23THRUST_200600_302600_NS4plusIlEEEE10hipError_tPvRmT1_T2_T3_mT4_P12ihipStream_tbEUlT_E1_NS1_11comp_targetILNS1_3genE0ELNS1_11target_archE4294967295ELNS1_3gpuE0ELNS1_3repE0EEENS1_30default_config_static_selectorELNS0_4arch9wavefront6targetE1EEEvSF_ ; -- Begin function _ZN7rocprim17ROCPRIM_400000_NS6detail17trampoline_kernelINS0_14default_configENS1_22reduce_config_selectorIlEEZNS1_11reduce_implILb1ES3_PlS7_lN6thrust23THRUST_200600_302600_NS4plusIlEEEE10hipError_tPvRmT1_T2_T3_mT4_P12ihipStream_tbEUlT_E1_NS1_11comp_targetILNS1_3genE0ELNS1_11target_archE4294967295ELNS1_3gpuE0ELNS1_3repE0EEENS1_30default_config_static_selectorELNS0_4arch9wavefront6targetE1EEEvSF_
	.globl	_ZN7rocprim17ROCPRIM_400000_NS6detail17trampoline_kernelINS0_14default_configENS1_22reduce_config_selectorIlEEZNS1_11reduce_implILb1ES3_PlS7_lN6thrust23THRUST_200600_302600_NS4plusIlEEEE10hipError_tPvRmT1_T2_T3_mT4_P12ihipStream_tbEUlT_E1_NS1_11comp_targetILNS1_3genE0ELNS1_11target_archE4294967295ELNS1_3gpuE0ELNS1_3repE0EEENS1_30default_config_static_selectorELNS0_4arch9wavefront6targetE1EEEvSF_
	.p2align	8
	.type	_ZN7rocprim17ROCPRIM_400000_NS6detail17trampoline_kernelINS0_14default_configENS1_22reduce_config_selectorIlEEZNS1_11reduce_implILb1ES3_PlS7_lN6thrust23THRUST_200600_302600_NS4plusIlEEEE10hipError_tPvRmT1_T2_T3_mT4_P12ihipStream_tbEUlT_E1_NS1_11comp_targetILNS1_3genE0ELNS1_11target_archE4294967295ELNS1_3gpuE0ELNS1_3repE0EEENS1_30default_config_static_selectorELNS0_4arch9wavefront6targetE1EEEvSF_,@function
_ZN7rocprim17ROCPRIM_400000_NS6detail17trampoline_kernelINS0_14default_configENS1_22reduce_config_selectorIlEEZNS1_11reduce_implILb1ES3_PlS7_lN6thrust23THRUST_200600_302600_NS4plusIlEEEE10hipError_tPvRmT1_T2_T3_mT4_P12ihipStream_tbEUlT_E1_NS1_11comp_targetILNS1_3genE0ELNS1_11target_archE4294967295ELNS1_3gpuE0ELNS1_3repE0EEENS1_30default_config_static_selectorELNS0_4arch9wavefront6targetE1EEEvSF_: ; @_ZN7rocprim17ROCPRIM_400000_NS6detail17trampoline_kernelINS0_14default_configENS1_22reduce_config_selectorIlEEZNS1_11reduce_implILb1ES3_PlS7_lN6thrust23THRUST_200600_302600_NS4plusIlEEEE10hipError_tPvRmT1_T2_T3_mT4_P12ihipStream_tbEUlT_E1_NS1_11comp_targetILNS1_3genE0ELNS1_11target_archE4294967295ELNS1_3gpuE0ELNS1_3repE0EEENS1_30default_config_static_selectorELNS0_4arch9wavefront6targetE1EEEvSF_
; %bb.0:
	.section	.rodata,"a",@progbits
	.p2align	6, 0x0
	.amdhsa_kernel _ZN7rocprim17ROCPRIM_400000_NS6detail17trampoline_kernelINS0_14default_configENS1_22reduce_config_selectorIlEEZNS1_11reduce_implILb1ES3_PlS7_lN6thrust23THRUST_200600_302600_NS4plusIlEEEE10hipError_tPvRmT1_T2_T3_mT4_P12ihipStream_tbEUlT_E1_NS1_11comp_targetILNS1_3genE0ELNS1_11target_archE4294967295ELNS1_3gpuE0ELNS1_3repE0EEENS1_30default_config_static_selectorELNS0_4arch9wavefront6targetE1EEEvSF_
		.amdhsa_group_segment_fixed_size 0
		.amdhsa_private_segment_fixed_size 0
		.amdhsa_kernarg_size 48
		.amdhsa_user_sgpr_count 6
		.amdhsa_user_sgpr_private_segment_buffer 1
		.amdhsa_user_sgpr_dispatch_ptr 0
		.amdhsa_user_sgpr_queue_ptr 0
		.amdhsa_user_sgpr_kernarg_segment_ptr 1
		.amdhsa_user_sgpr_dispatch_id 0
		.amdhsa_user_sgpr_flat_scratch_init 0
		.amdhsa_user_sgpr_private_segment_size 0
		.amdhsa_uses_dynamic_stack 0
		.amdhsa_system_sgpr_private_segment_wavefront_offset 0
		.amdhsa_system_sgpr_workgroup_id_x 1
		.amdhsa_system_sgpr_workgroup_id_y 0
		.amdhsa_system_sgpr_workgroup_id_z 0
		.amdhsa_system_sgpr_workgroup_info 0
		.amdhsa_system_vgpr_workitem_id 0
		.amdhsa_next_free_vgpr 1
		.amdhsa_next_free_sgpr 0
		.amdhsa_reserve_vcc 0
		.amdhsa_reserve_flat_scratch 0
		.amdhsa_float_round_mode_32 0
		.amdhsa_float_round_mode_16_64 0
		.amdhsa_float_denorm_mode_32 3
		.amdhsa_float_denorm_mode_16_64 3
		.amdhsa_dx10_clamp 1
		.amdhsa_ieee_mode 1
		.amdhsa_fp16_overflow 0
		.amdhsa_exception_fp_ieee_invalid_op 0
		.amdhsa_exception_fp_denorm_src 0
		.amdhsa_exception_fp_ieee_div_zero 0
		.amdhsa_exception_fp_ieee_overflow 0
		.amdhsa_exception_fp_ieee_underflow 0
		.amdhsa_exception_fp_ieee_inexact 0
		.amdhsa_exception_int_div_zero 0
	.end_amdhsa_kernel
	.section	.text._ZN7rocprim17ROCPRIM_400000_NS6detail17trampoline_kernelINS0_14default_configENS1_22reduce_config_selectorIlEEZNS1_11reduce_implILb1ES3_PlS7_lN6thrust23THRUST_200600_302600_NS4plusIlEEEE10hipError_tPvRmT1_T2_T3_mT4_P12ihipStream_tbEUlT_E1_NS1_11comp_targetILNS1_3genE0ELNS1_11target_archE4294967295ELNS1_3gpuE0ELNS1_3repE0EEENS1_30default_config_static_selectorELNS0_4arch9wavefront6targetE1EEEvSF_,"axG",@progbits,_ZN7rocprim17ROCPRIM_400000_NS6detail17trampoline_kernelINS0_14default_configENS1_22reduce_config_selectorIlEEZNS1_11reduce_implILb1ES3_PlS7_lN6thrust23THRUST_200600_302600_NS4plusIlEEEE10hipError_tPvRmT1_T2_T3_mT4_P12ihipStream_tbEUlT_E1_NS1_11comp_targetILNS1_3genE0ELNS1_11target_archE4294967295ELNS1_3gpuE0ELNS1_3repE0EEENS1_30default_config_static_selectorELNS0_4arch9wavefront6targetE1EEEvSF_,comdat
.Lfunc_end9:
	.size	_ZN7rocprim17ROCPRIM_400000_NS6detail17trampoline_kernelINS0_14default_configENS1_22reduce_config_selectorIlEEZNS1_11reduce_implILb1ES3_PlS7_lN6thrust23THRUST_200600_302600_NS4plusIlEEEE10hipError_tPvRmT1_T2_T3_mT4_P12ihipStream_tbEUlT_E1_NS1_11comp_targetILNS1_3genE0ELNS1_11target_archE4294967295ELNS1_3gpuE0ELNS1_3repE0EEENS1_30default_config_static_selectorELNS0_4arch9wavefront6targetE1EEEvSF_, .Lfunc_end9-_ZN7rocprim17ROCPRIM_400000_NS6detail17trampoline_kernelINS0_14default_configENS1_22reduce_config_selectorIlEEZNS1_11reduce_implILb1ES3_PlS7_lN6thrust23THRUST_200600_302600_NS4plusIlEEEE10hipError_tPvRmT1_T2_T3_mT4_P12ihipStream_tbEUlT_E1_NS1_11comp_targetILNS1_3genE0ELNS1_11target_archE4294967295ELNS1_3gpuE0ELNS1_3repE0EEENS1_30default_config_static_selectorELNS0_4arch9wavefront6targetE1EEEvSF_
                                        ; -- End function
	.set _ZN7rocprim17ROCPRIM_400000_NS6detail17trampoline_kernelINS0_14default_configENS1_22reduce_config_selectorIlEEZNS1_11reduce_implILb1ES3_PlS7_lN6thrust23THRUST_200600_302600_NS4plusIlEEEE10hipError_tPvRmT1_T2_T3_mT4_P12ihipStream_tbEUlT_E1_NS1_11comp_targetILNS1_3genE0ELNS1_11target_archE4294967295ELNS1_3gpuE0ELNS1_3repE0EEENS1_30default_config_static_selectorELNS0_4arch9wavefront6targetE1EEEvSF_.num_vgpr, 0
	.set _ZN7rocprim17ROCPRIM_400000_NS6detail17trampoline_kernelINS0_14default_configENS1_22reduce_config_selectorIlEEZNS1_11reduce_implILb1ES3_PlS7_lN6thrust23THRUST_200600_302600_NS4plusIlEEEE10hipError_tPvRmT1_T2_T3_mT4_P12ihipStream_tbEUlT_E1_NS1_11comp_targetILNS1_3genE0ELNS1_11target_archE4294967295ELNS1_3gpuE0ELNS1_3repE0EEENS1_30default_config_static_selectorELNS0_4arch9wavefront6targetE1EEEvSF_.num_agpr, 0
	.set _ZN7rocprim17ROCPRIM_400000_NS6detail17trampoline_kernelINS0_14default_configENS1_22reduce_config_selectorIlEEZNS1_11reduce_implILb1ES3_PlS7_lN6thrust23THRUST_200600_302600_NS4plusIlEEEE10hipError_tPvRmT1_T2_T3_mT4_P12ihipStream_tbEUlT_E1_NS1_11comp_targetILNS1_3genE0ELNS1_11target_archE4294967295ELNS1_3gpuE0ELNS1_3repE0EEENS1_30default_config_static_selectorELNS0_4arch9wavefront6targetE1EEEvSF_.numbered_sgpr, 0
	.set _ZN7rocprim17ROCPRIM_400000_NS6detail17trampoline_kernelINS0_14default_configENS1_22reduce_config_selectorIlEEZNS1_11reduce_implILb1ES3_PlS7_lN6thrust23THRUST_200600_302600_NS4plusIlEEEE10hipError_tPvRmT1_T2_T3_mT4_P12ihipStream_tbEUlT_E1_NS1_11comp_targetILNS1_3genE0ELNS1_11target_archE4294967295ELNS1_3gpuE0ELNS1_3repE0EEENS1_30default_config_static_selectorELNS0_4arch9wavefront6targetE1EEEvSF_.num_named_barrier, 0
	.set _ZN7rocprim17ROCPRIM_400000_NS6detail17trampoline_kernelINS0_14default_configENS1_22reduce_config_selectorIlEEZNS1_11reduce_implILb1ES3_PlS7_lN6thrust23THRUST_200600_302600_NS4plusIlEEEE10hipError_tPvRmT1_T2_T3_mT4_P12ihipStream_tbEUlT_E1_NS1_11comp_targetILNS1_3genE0ELNS1_11target_archE4294967295ELNS1_3gpuE0ELNS1_3repE0EEENS1_30default_config_static_selectorELNS0_4arch9wavefront6targetE1EEEvSF_.private_seg_size, 0
	.set _ZN7rocprim17ROCPRIM_400000_NS6detail17trampoline_kernelINS0_14default_configENS1_22reduce_config_selectorIlEEZNS1_11reduce_implILb1ES3_PlS7_lN6thrust23THRUST_200600_302600_NS4plusIlEEEE10hipError_tPvRmT1_T2_T3_mT4_P12ihipStream_tbEUlT_E1_NS1_11comp_targetILNS1_3genE0ELNS1_11target_archE4294967295ELNS1_3gpuE0ELNS1_3repE0EEENS1_30default_config_static_selectorELNS0_4arch9wavefront6targetE1EEEvSF_.uses_vcc, 0
	.set _ZN7rocprim17ROCPRIM_400000_NS6detail17trampoline_kernelINS0_14default_configENS1_22reduce_config_selectorIlEEZNS1_11reduce_implILb1ES3_PlS7_lN6thrust23THRUST_200600_302600_NS4plusIlEEEE10hipError_tPvRmT1_T2_T3_mT4_P12ihipStream_tbEUlT_E1_NS1_11comp_targetILNS1_3genE0ELNS1_11target_archE4294967295ELNS1_3gpuE0ELNS1_3repE0EEENS1_30default_config_static_selectorELNS0_4arch9wavefront6targetE1EEEvSF_.uses_flat_scratch, 0
	.set _ZN7rocprim17ROCPRIM_400000_NS6detail17trampoline_kernelINS0_14default_configENS1_22reduce_config_selectorIlEEZNS1_11reduce_implILb1ES3_PlS7_lN6thrust23THRUST_200600_302600_NS4plusIlEEEE10hipError_tPvRmT1_T2_T3_mT4_P12ihipStream_tbEUlT_E1_NS1_11comp_targetILNS1_3genE0ELNS1_11target_archE4294967295ELNS1_3gpuE0ELNS1_3repE0EEENS1_30default_config_static_selectorELNS0_4arch9wavefront6targetE1EEEvSF_.has_dyn_sized_stack, 0
	.set _ZN7rocprim17ROCPRIM_400000_NS6detail17trampoline_kernelINS0_14default_configENS1_22reduce_config_selectorIlEEZNS1_11reduce_implILb1ES3_PlS7_lN6thrust23THRUST_200600_302600_NS4plusIlEEEE10hipError_tPvRmT1_T2_T3_mT4_P12ihipStream_tbEUlT_E1_NS1_11comp_targetILNS1_3genE0ELNS1_11target_archE4294967295ELNS1_3gpuE0ELNS1_3repE0EEENS1_30default_config_static_selectorELNS0_4arch9wavefront6targetE1EEEvSF_.has_recursion, 0
	.set _ZN7rocprim17ROCPRIM_400000_NS6detail17trampoline_kernelINS0_14default_configENS1_22reduce_config_selectorIlEEZNS1_11reduce_implILb1ES3_PlS7_lN6thrust23THRUST_200600_302600_NS4plusIlEEEE10hipError_tPvRmT1_T2_T3_mT4_P12ihipStream_tbEUlT_E1_NS1_11comp_targetILNS1_3genE0ELNS1_11target_archE4294967295ELNS1_3gpuE0ELNS1_3repE0EEENS1_30default_config_static_selectorELNS0_4arch9wavefront6targetE1EEEvSF_.has_indirect_call, 0
	.section	.AMDGPU.csdata,"",@progbits
; Kernel info:
; codeLenInByte = 0
; TotalNumSgprs: 4
; NumVgprs: 0
; ScratchSize: 0
; MemoryBound: 0
; FloatMode: 240
; IeeeMode: 1
; LDSByteSize: 0 bytes/workgroup (compile time only)
; SGPRBlocks: 0
; VGPRBlocks: 0
; NumSGPRsForWavesPerEU: 4
; NumVGPRsForWavesPerEU: 1
; Occupancy: 10
; WaveLimiterHint : 0
; COMPUTE_PGM_RSRC2:SCRATCH_EN: 0
; COMPUTE_PGM_RSRC2:USER_SGPR: 6
; COMPUTE_PGM_RSRC2:TRAP_HANDLER: 0
; COMPUTE_PGM_RSRC2:TGID_X_EN: 1
; COMPUTE_PGM_RSRC2:TGID_Y_EN: 0
; COMPUTE_PGM_RSRC2:TGID_Z_EN: 0
; COMPUTE_PGM_RSRC2:TIDIG_COMP_CNT: 0
	.section	.text._ZN7rocprim17ROCPRIM_400000_NS6detail17trampoline_kernelINS0_14default_configENS1_22reduce_config_selectorIlEEZNS1_11reduce_implILb1ES3_PlS7_lN6thrust23THRUST_200600_302600_NS4plusIlEEEE10hipError_tPvRmT1_T2_T3_mT4_P12ihipStream_tbEUlT_E1_NS1_11comp_targetILNS1_3genE5ELNS1_11target_archE942ELNS1_3gpuE9ELNS1_3repE0EEENS1_30default_config_static_selectorELNS0_4arch9wavefront6targetE1EEEvSF_,"axG",@progbits,_ZN7rocprim17ROCPRIM_400000_NS6detail17trampoline_kernelINS0_14default_configENS1_22reduce_config_selectorIlEEZNS1_11reduce_implILb1ES3_PlS7_lN6thrust23THRUST_200600_302600_NS4plusIlEEEE10hipError_tPvRmT1_T2_T3_mT4_P12ihipStream_tbEUlT_E1_NS1_11comp_targetILNS1_3genE5ELNS1_11target_archE942ELNS1_3gpuE9ELNS1_3repE0EEENS1_30default_config_static_selectorELNS0_4arch9wavefront6targetE1EEEvSF_,comdat
	.protected	_ZN7rocprim17ROCPRIM_400000_NS6detail17trampoline_kernelINS0_14default_configENS1_22reduce_config_selectorIlEEZNS1_11reduce_implILb1ES3_PlS7_lN6thrust23THRUST_200600_302600_NS4plusIlEEEE10hipError_tPvRmT1_T2_T3_mT4_P12ihipStream_tbEUlT_E1_NS1_11comp_targetILNS1_3genE5ELNS1_11target_archE942ELNS1_3gpuE9ELNS1_3repE0EEENS1_30default_config_static_selectorELNS0_4arch9wavefront6targetE1EEEvSF_ ; -- Begin function _ZN7rocprim17ROCPRIM_400000_NS6detail17trampoline_kernelINS0_14default_configENS1_22reduce_config_selectorIlEEZNS1_11reduce_implILb1ES3_PlS7_lN6thrust23THRUST_200600_302600_NS4plusIlEEEE10hipError_tPvRmT1_T2_T3_mT4_P12ihipStream_tbEUlT_E1_NS1_11comp_targetILNS1_3genE5ELNS1_11target_archE942ELNS1_3gpuE9ELNS1_3repE0EEENS1_30default_config_static_selectorELNS0_4arch9wavefront6targetE1EEEvSF_
	.globl	_ZN7rocprim17ROCPRIM_400000_NS6detail17trampoline_kernelINS0_14default_configENS1_22reduce_config_selectorIlEEZNS1_11reduce_implILb1ES3_PlS7_lN6thrust23THRUST_200600_302600_NS4plusIlEEEE10hipError_tPvRmT1_T2_T3_mT4_P12ihipStream_tbEUlT_E1_NS1_11comp_targetILNS1_3genE5ELNS1_11target_archE942ELNS1_3gpuE9ELNS1_3repE0EEENS1_30default_config_static_selectorELNS0_4arch9wavefront6targetE1EEEvSF_
	.p2align	8
	.type	_ZN7rocprim17ROCPRIM_400000_NS6detail17trampoline_kernelINS0_14default_configENS1_22reduce_config_selectorIlEEZNS1_11reduce_implILb1ES3_PlS7_lN6thrust23THRUST_200600_302600_NS4plusIlEEEE10hipError_tPvRmT1_T2_T3_mT4_P12ihipStream_tbEUlT_E1_NS1_11comp_targetILNS1_3genE5ELNS1_11target_archE942ELNS1_3gpuE9ELNS1_3repE0EEENS1_30default_config_static_selectorELNS0_4arch9wavefront6targetE1EEEvSF_,@function
_ZN7rocprim17ROCPRIM_400000_NS6detail17trampoline_kernelINS0_14default_configENS1_22reduce_config_selectorIlEEZNS1_11reduce_implILb1ES3_PlS7_lN6thrust23THRUST_200600_302600_NS4plusIlEEEE10hipError_tPvRmT1_T2_T3_mT4_P12ihipStream_tbEUlT_E1_NS1_11comp_targetILNS1_3genE5ELNS1_11target_archE942ELNS1_3gpuE9ELNS1_3repE0EEENS1_30default_config_static_selectorELNS0_4arch9wavefront6targetE1EEEvSF_: ; @_ZN7rocprim17ROCPRIM_400000_NS6detail17trampoline_kernelINS0_14default_configENS1_22reduce_config_selectorIlEEZNS1_11reduce_implILb1ES3_PlS7_lN6thrust23THRUST_200600_302600_NS4plusIlEEEE10hipError_tPvRmT1_T2_T3_mT4_P12ihipStream_tbEUlT_E1_NS1_11comp_targetILNS1_3genE5ELNS1_11target_archE942ELNS1_3gpuE9ELNS1_3repE0EEENS1_30default_config_static_selectorELNS0_4arch9wavefront6targetE1EEEvSF_
; %bb.0:
	.section	.rodata,"a",@progbits
	.p2align	6, 0x0
	.amdhsa_kernel _ZN7rocprim17ROCPRIM_400000_NS6detail17trampoline_kernelINS0_14default_configENS1_22reduce_config_selectorIlEEZNS1_11reduce_implILb1ES3_PlS7_lN6thrust23THRUST_200600_302600_NS4plusIlEEEE10hipError_tPvRmT1_T2_T3_mT4_P12ihipStream_tbEUlT_E1_NS1_11comp_targetILNS1_3genE5ELNS1_11target_archE942ELNS1_3gpuE9ELNS1_3repE0EEENS1_30default_config_static_selectorELNS0_4arch9wavefront6targetE1EEEvSF_
		.amdhsa_group_segment_fixed_size 0
		.amdhsa_private_segment_fixed_size 0
		.amdhsa_kernarg_size 48
		.amdhsa_user_sgpr_count 6
		.amdhsa_user_sgpr_private_segment_buffer 1
		.amdhsa_user_sgpr_dispatch_ptr 0
		.amdhsa_user_sgpr_queue_ptr 0
		.amdhsa_user_sgpr_kernarg_segment_ptr 1
		.amdhsa_user_sgpr_dispatch_id 0
		.amdhsa_user_sgpr_flat_scratch_init 0
		.amdhsa_user_sgpr_private_segment_size 0
		.amdhsa_uses_dynamic_stack 0
		.amdhsa_system_sgpr_private_segment_wavefront_offset 0
		.amdhsa_system_sgpr_workgroup_id_x 1
		.amdhsa_system_sgpr_workgroup_id_y 0
		.amdhsa_system_sgpr_workgroup_id_z 0
		.amdhsa_system_sgpr_workgroup_info 0
		.amdhsa_system_vgpr_workitem_id 0
		.amdhsa_next_free_vgpr 1
		.amdhsa_next_free_sgpr 0
		.amdhsa_reserve_vcc 0
		.amdhsa_reserve_flat_scratch 0
		.amdhsa_float_round_mode_32 0
		.amdhsa_float_round_mode_16_64 0
		.amdhsa_float_denorm_mode_32 3
		.amdhsa_float_denorm_mode_16_64 3
		.amdhsa_dx10_clamp 1
		.amdhsa_ieee_mode 1
		.amdhsa_fp16_overflow 0
		.amdhsa_exception_fp_ieee_invalid_op 0
		.amdhsa_exception_fp_denorm_src 0
		.amdhsa_exception_fp_ieee_div_zero 0
		.amdhsa_exception_fp_ieee_overflow 0
		.amdhsa_exception_fp_ieee_underflow 0
		.amdhsa_exception_fp_ieee_inexact 0
		.amdhsa_exception_int_div_zero 0
	.end_amdhsa_kernel
	.section	.text._ZN7rocprim17ROCPRIM_400000_NS6detail17trampoline_kernelINS0_14default_configENS1_22reduce_config_selectorIlEEZNS1_11reduce_implILb1ES3_PlS7_lN6thrust23THRUST_200600_302600_NS4plusIlEEEE10hipError_tPvRmT1_T2_T3_mT4_P12ihipStream_tbEUlT_E1_NS1_11comp_targetILNS1_3genE5ELNS1_11target_archE942ELNS1_3gpuE9ELNS1_3repE0EEENS1_30default_config_static_selectorELNS0_4arch9wavefront6targetE1EEEvSF_,"axG",@progbits,_ZN7rocprim17ROCPRIM_400000_NS6detail17trampoline_kernelINS0_14default_configENS1_22reduce_config_selectorIlEEZNS1_11reduce_implILb1ES3_PlS7_lN6thrust23THRUST_200600_302600_NS4plusIlEEEE10hipError_tPvRmT1_T2_T3_mT4_P12ihipStream_tbEUlT_E1_NS1_11comp_targetILNS1_3genE5ELNS1_11target_archE942ELNS1_3gpuE9ELNS1_3repE0EEENS1_30default_config_static_selectorELNS0_4arch9wavefront6targetE1EEEvSF_,comdat
.Lfunc_end10:
	.size	_ZN7rocprim17ROCPRIM_400000_NS6detail17trampoline_kernelINS0_14default_configENS1_22reduce_config_selectorIlEEZNS1_11reduce_implILb1ES3_PlS7_lN6thrust23THRUST_200600_302600_NS4plusIlEEEE10hipError_tPvRmT1_T2_T3_mT4_P12ihipStream_tbEUlT_E1_NS1_11comp_targetILNS1_3genE5ELNS1_11target_archE942ELNS1_3gpuE9ELNS1_3repE0EEENS1_30default_config_static_selectorELNS0_4arch9wavefront6targetE1EEEvSF_, .Lfunc_end10-_ZN7rocprim17ROCPRIM_400000_NS6detail17trampoline_kernelINS0_14default_configENS1_22reduce_config_selectorIlEEZNS1_11reduce_implILb1ES3_PlS7_lN6thrust23THRUST_200600_302600_NS4plusIlEEEE10hipError_tPvRmT1_T2_T3_mT4_P12ihipStream_tbEUlT_E1_NS1_11comp_targetILNS1_3genE5ELNS1_11target_archE942ELNS1_3gpuE9ELNS1_3repE0EEENS1_30default_config_static_selectorELNS0_4arch9wavefront6targetE1EEEvSF_
                                        ; -- End function
	.set _ZN7rocprim17ROCPRIM_400000_NS6detail17trampoline_kernelINS0_14default_configENS1_22reduce_config_selectorIlEEZNS1_11reduce_implILb1ES3_PlS7_lN6thrust23THRUST_200600_302600_NS4plusIlEEEE10hipError_tPvRmT1_T2_T3_mT4_P12ihipStream_tbEUlT_E1_NS1_11comp_targetILNS1_3genE5ELNS1_11target_archE942ELNS1_3gpuE9ELNS1_3repE0EEENS1_30default_config_static_selectorELNS0_4arch9wavefront6targetE1EEEvSF_.num_vgpr, 0
	.set _ZN7rocprim17ROCPRIM_400000_NS6detail17trampoline_kernelINS0_14default_configENS1_22reduce_config_selectorIlEEZNS1_11reduce_implILb1ES3_PlS7_lN6thrust23THRUST_200600_302600_NS4plusIlEEEE10hipError_tPvRmT1_T2_T3_mT4_P12ihipStream_tbEUlT_E1_NS1_11comp_targetILNS1_3genE5ELNS1_11target_archE942ELNS1_3gpuE9ELNS1_3repE0EEENS1_30default_config_static_selectorELNS0_4arch9wavefront6targetE1EEEvSF_.num_agpr, 0
	.set _ZN7rocprim17ROCPRIM_400000_NS6detail17trampoline_kernelINS0_14default_configENS1_22reduce_config_selectorIlEEZNS1_11reduce_implILb1ES3_PlS7_lN6thrust23THRUST_200600_302600_NS4plusIlEEEE10hipError_tPvRmT1_T2_T3_mT4_P12ihipStream_tbEUlT_E1_NS1_11comp_targetILNS1_3genE5ELNS1_11target_archE942ELNS1_3gpuE9ELNS1_3repE0EEENS1_30default_config_static_selectorELNS0_4arch9wavefront6targetE1EEEvSF_.numbered_sgpr, 0
	.set _ZN7rocprim17ROCPRIM_400000_NS6detail17trampoline_kernelINS0_14default_configENS1_22reduce_config_selectorIlEEZNS1_11reduce_implILb1ES3_PlS7_lN6thrust23THRUST_200600_302600_NS4plusIlEEEE10hipError_tPvRmT1_T2_T3_mT4_P12ihipStream_tbEUlT_E1_NS1_11comp_targetILNS1_3genE5ELNS1_11target_archE942ELNS1_3gpuE9ELNS1_3repE0EEENS1_30default_config_static_selectorELNS0_4arch9wavefront6targetE1EEEvSF_.num_named_barrier, 0
	.set _ZN7rocprim17ROCPRIM_400000_NS6detail17trampoline_kernelINS0_14default_configENS1_22reduce_config_selectorIlEEZNS1_11reduce_implILb1ES3_PlS7_lN6thrust23THRUST_200600_302600_NS4plusIlEEEE10hipError_tPvRmT1_T2_T3_mT4_P12ihipStream_tbEUlT_E1_NS1_11comp_targetILNS1_3genE5ELNS1_11target_archE942ELNS1_3gpuE9ELNS1_3repE0EEENS1_30default_config_static_selectorELNS0_4arch9wavefront6targetE1EEEvSF_.private_seg_size, 0
	.set _ZN7rocprim17ROCPRIM_400000_NS6detail17trampoline_kernelINS0_14default_configENS1_22reduce_config_selectorIlEEZNS1_11reduce_implILb1ES3_PlS7_lN6thrust23THRUST_200600_302600_NS4plusIlEEEE10hipError_tPvRmT1_T2_T3_mT4_P12ihipStream_tbEUlT_E1_NS1_11comp_targetILNS1_3genE5ELNS1_11target_archE942ELNS1_3gpuE9ELNS1_3repE0EEENS1_30default_config_static_selectorELNS0_4arch9wavefront6targetE1EEEvSF_.uses_vcc, 0
	.set _ZN7rocprim17ROCPRIM_400000_NS6detail17trampoline_kernelINS0_14default_configENS1_22reduce_config_selectorIlEEZNS1_11reduce_implILb1ES3_PlS7_lN6thrust23THRUST_200600_302600_NS4plusIlEEEE10hipError_tPvRmT1_T2_T3_mT4_P12ihipStream_tbEUlT_E1_NS1_11comp_targetILNS1_3genE5ELNS1_11target_archE942ELNS1_3gpuE9ELNS1_3repE0EEENS1_30default_config_static_selectorELNS0_4arch9wavefront6targetE1EEEvSF_.uses_flat_scratch, 0
	.set _ZN7rocprim17ROCPRIM_400000_NS6detail17trampoline_kernelINS0_14default_configENS1_22reduce_config_selectorIlEEZNS1_11reduce_implILb1ES3_PlS7_lN6thrust23THRUST_200600_302600_NS4plusIlEEEE10hipError_tPvRmT1_T2_T3_mT4_P12ihipStream_tbEUlT_E1_NS1_11comp_targetILNS1_3genE5ELNS1_11target_archE942ELNS1_3gpuE9ELNS1_3repE0EEENS1_30default_config_static_selectorELNS0_4arch9wavefront6targetE1EEEvSF_.has_dyn_sized_stack, 0
	.set _ZN7rocprim17ROCPRIM_400000_NS6detail17trampoline_kernelINS0_14default_configENS1_22reduce_config_selectorIlEEZNS1_11reduce_implILb1ES3_PlS7_lN6thrust23THRUST_200600_302600_NS4plusIlEEEE10hipError_tPvRmT1_T2_T3_mT4_P12ihipStream_tbEUlT_E1_NS1_11comp_targetILNS1_3genE5ELNS1_11target_archE942ELNS1_3gpuE9ELNS1_3repE0EEENS1_30default_config_static_selectorELNS0_4arch9wavefront6targetE1EEEvSF_.has_recursion, 0
	.set _ZN7rocprim17ROCPRIM_400000_NS6detail17trampoline_kernelINS0_14default_configENS1_22reduce_config_selectorIlEEZNS1_11reduce_implILb1ES3_PlS7_lN6thrust23THRUST_200600_302600_NS4plusIlEEEE10hipError_tPvRmT1_T2_T3_mT4_P12ihipStream_tbEUlT_E1_NS1_11comp_targetILNS1_3genE5ELNS1_11target_archE942ELNS1_3gpuE9ELNS1_3repE0EEENS1_30default_config_static_selectorELNS0_4arch9wavefront6targetE1EEEvSF_.has_indirect_call, 0
	.section	.AMDGPU.csdata,"",@progbits
; Kernel info:
; codeLenInByte = 0
; TotalNumSgprs: 4
; NumVgprs: 0
; ScratchSize: 0
; MemoryBound: 0
; FloatMode: 240
; IeeeMode: 1
; LDSByteSize: 0 bytes/workgroup (compile time only)
; SGPRBlocks: 0
; VGPRBlocks: 0
; NumSGPRsForWavesPerEU: 4
; NumVGPRsForWavesPerEU: 1
; Occupancy: 10
; WaveLimiterHint : 0
; COMPUTE_PGM_RSRC2:SCRATCH_EN: 0
; COMPUTE_PGM_RSRC2:USER_SGPR: 6
; COMPUTE_PGM_RSRC2:TRAP_HANDLER: 0
; COMPUTE_PGM_RSRC2:TGID_X_EN: 1
; COMPUTE_PGM_RSRC2:TGID_Y_EN: 0
; COMPUTE_PGM_RSRC2:TGID_Z_EN: 0
; COMPUTE_PGM_RSRC2:TIDIG_COMP_CNT: 0
	.section	.text._ZN7rocprim17ROCPRIM_400000_NS6detail17trampoline_kernelINS0_14default_configENS1_22reduce_config_selectorIlEEZNS1_11reduce_implILb1ES3_PlS7_lN6thrust23THRUST_200600_302600_NS4plusIlEEEE10hipError_tPvRmT1_T2_T3_mT4_P12ihipStream_tbEUlT_E1_NS1_11comp_targetILNS1_3genE4ELNS1_11target_archE910ELNS1_3gpuE8ELNS1_3repE0EEENS1_30default_config_static_selectorELNS0_4arch9wavefront6targetE1EEEvSF_,"axG",@progbits,_ZN7rocprim17ROCPRIM_400000_NS6detail17trampoline_kernelINS0_14default_configENS1_22reduce_config_selectorIlEEZNS1_11reduce_implILb1ES3_PlS7_lN6thrust23THRUST_200600_302600_NS4plusIlEEEE10hipError_tPvRmT1_T2_T3_mT4_P12ihipStream_tbEUlT_E1_NS1_11comp_targetILNS1_3genE4ELNS1_11target_archE910ELNS1_3gpuE8ELNS1_3repE0EEENS1_30default_config_static_selectorELNS0_4arch9wavefront6targetE1EEEvSF_,comdat
	.protected	_ZN7rocprim17ROCPRIM_400000_NS6detail17trampoline_kernelINS0_14default_configENS1_22reduce_config_selectorIlEEZNS1_11reduce_implILb1ES3_PlS7_lN6thrust23THRUST_200600_302600_NS4plusIlEEEE10hipError_tPvRmT1_T2_T3_mT4_P12ihipStream_tbEUlT_E1_NS1_11comp_targetILNS1_3genE4ELNS1_11target_archE910ELNS1_3gpuE8ELNS1_3repE0EEENS1_30default_config_static_selectorELNS0_4arch9wavefront6targetE1EEEvSF_ ; -- Begin function _ZN7rocprim17ROCPRIM_400000_NS6detail17trampoline_kernelINS0_14default_configENS1_22reduce_config_selectorIlEEZNS1_11reduce_implILb1ES3_PlS7_lN6thrust23THRUST_200600_302600_NS4plusIlEEEE10hipError_tPvRmT1_T2_T3_mT4_P12ihipStream_tbEUlT_E1_NS1_11comp_targetILNS1_3genE4ELNS1_11target_archE910ELNS1_3gpuE8ELNS1_3repE0EEENS1_30default_config_static_selectorELNS0_4arch9wavefront6targetE1EEEvSF_
	.globl	_ZN7rocprim17ROCPRIM_400000_NS6detail17trampoline_kernelINS0_14default_configENS1_22reduce_config_selectorIlEEZNS1_11reduce_implILb1ES3_PlS7_lN6thrust23THRUST_200600_302600_NS4plusIlEEEE10hipError_tPvRmT1_T2_T3_mT4_P12ihipStream_tbEUlT_E1_NS1_11comp_targetILNS1_3genE4ELNS1_11target_archE910ELNS1_3gpuE8ELNS1_3repE0EEENS1_30default_config_static_selectorELNS0_4arch9wavefront6targetE1EEEvSF_
	.p2align	8
	.type	_ZN7rocprim17ROCPRIM_400000_NS6detail17trampoline_kernelINS0_14default_configENS1_22reduce_config_selectorIlEEZNS1_11reduce_implILb1ES3_PlS7_lN6thrust23THRUST_200600_302600_NS4plusIlEEEE10hipError_tPvRmT1_T2_T3_mT4_P12ihipStream_tbEUlT_E1_NS1_11comp_targetILNS1_3genE4ELNS1_11target_archE910ELNS1_3gpuE8ELNS1_3repE0EEENS1_30default_config_static_selectorELNS0_4arch9wavefront6targetE1EEEvSF_,@function
_ZN7rocprim17ROCPRIM_400000_NS6detail17trampoline_kernelINS0_14default_configENS1_22reduce_config_selectorIlEEZNS1_11reduce_implILb1ES3_PlS7_lN6thrust23THRUST_200600_302600_NS4plusIlEEEE10hipError_tPvRmT1_T2_T3_mT4_P12ihipStream_tbEUlT_E1_NS1_11comp_targetILNS1_3genE4ELNS1_11target_archE910ELNS1_3gpuE8ELNS1_3repE0EEENS1_30default_config_static_selectorELNS0_4arch9wavefront6targetE1EEEvSF_: ; @_ZN7rocprim17ROCPRIM_400000_NS6detail17trampoline_kernelINS0_14default_configENS1_22reduce_config_selectorIlEEZNS1_11reduce_implILb1ES3_PlS7_lN6thrust23THRUST_200600_302600_NS4plusIlEEEE10hipError_tPvRmT1_T2_T3_mT4_P12ihipStream_tbEUlT_E1_NS1_11comp_targetILNS1_3genE4ELNS1_11target_archE910ELNS1_3gpuE8ELNS1_3repE0EEENS1_30default_config_static_selectorELNS0_4arch9wavefront6targetE1EEEvSF_
; %bb.0:
	.section	.rodata,"a",@progbits
	.p2align	6, 0x0
	.amdhsa_kernel _ZN7rocprim17ROCPRIM_400000_NS6detail17trampoline_kernelINS0_14default_configENS1_22reduce_config_selectorIlEEZNS1_11reduce_implILb1ES3_PlS7_lN6thrust23THRUST_200600_302600_NS4plusIlEEEE10hipError_tPvRmT1_T2_T3_mT4_P12ihipStream_tbEUlT_E1_NS1_11comp_targetILNS1_3genE4ELNS1_11target_archE910ELNS1_3gpuE8ELNS1_3repE0EEENS1_30default_config_static_selectorELNS0_4arch9wavefront6targetE1EEEvSF_
		.amdhsa_group_segment_fixed_size 0
		.amdhsa_private_segment_fixed_size 0
		.amdhsa_kernarg_size 48
		.amdhsa_user_sgpr_count 6
		.amdhsa_user_sgpr_private_segment_buffer 1
		.amdhsa_user_sgpr_dispatch_ptr 0
		.amdhsa_user_sgpr_queue_ptr 0
		.amdhsa_user_sgpr_kernarg_segment_ptr 1
		.amdhsa_user_sgpr_dispatch_id 0
		.amdhsa_user_sgpr_flat_scratch_init 0
		.amdhsa_user_sgpr_private_segment_size 0
		.amdhsa_uses_dynamic_stack 0
		.amdhsa_system_sgpr_private_segment_wavefront_offset 0
		.amdhsa_system_sgpr_workgroup_id_x 1
		.amdhsa_system_sgpr_workgroup_id_y 0
		.amdhsa_system_sgpr_workgroup_id_z 0
		.amdhsa_system_sgpr_workgroup_info 0
		.amdhsa_system_vgpr_workitem_id 0
		.amdhsa_next_free_vgpr 1
		.amdhsa_next_free_sgpr 0
		.amdhsa_reserve_vcc 0
		.amdhsa_reserve_flat_scratch 0
		.amdhsa_float_round_mode_32 0
		.amdhsa_float_round_mode_16_64 0
		.amdhsa_float_denorm_mode_32 3
		.amdhsa_float_denorm_mode_16_64 3
		.amdhsa_dx10_clamp 1
		.amdhsa_ieee_mode 1
		.amdhsa_fp16_overflow 0
		.amdhsa_exception_fp_ieee_invalid_op 0
		.amdhsa_exception_fp_denorm_src 0
		.amdhsa_exception_fp_ieee_div_zero 0
		.amdhsa_exception_fp_ieee_overflow 0
		.amdhsa_exception_fp_ieee_underflow 0
		.amdhsa_exception_fp_ieee_inexact 0
		.amdhsa_exception_int_div_zero 0
	.end_amdhsa_kernel
	.section	.text._ZN7rocprim17ROCPRIM_400000_NS6detail17trampoline_kernelINS0_14default_configENS1_22reduce_config_selectorIlEEZNS1_11reduce_implILb1ES3_PlS7_lN6thrust23THRUST_200600_302600_NS4plusIlEEEE10hipError_tPvRmT1_T2_T3_mT4_P12ihipStream_tbEUlT_E1_NS1_11comp_targetILNS1_3genE4ELNS1_11target_archE910ELNS1_3gpuE8ELNS1_3repE0EEENS1_30default_config_static_selectorELNS0_4arch9wavefront6targetE1EEEvSF_,"axG",@progbits,_ZN7rocprim17ROCPRIM_400000_NS6detail17trampoline_kernelINS0_14default_configENS1_22reduce_config_selectorIlEEZNS1_11reduce_implILb1ES3_PlS7_lN6thrust23THRUST_200600_302600_NS4plusIlEEEE10hipError_tPvRmT1_T2_T3_mT4_P12ihipStream_tbEUlT_E1_NS1_11comp_targetILNS1_3genE4ELNS1_11target_archE910ELNS1_3gpuE8ELNS1_3repE0EEENS1_30default_config_static_selectorELNS0_4arch9wavefront6targetE1EEEvSF_,comdat
.Lfunc_end11:
	.size	_ZN7rocprim17ROCPRIM_400000_NS6detail17trampoline_kernelINS0_14default_configENS1_22reduce_config_selectorIlEEZNS1_11reduce_implILb1ES3_PlS7_lN6thrust23THRUST_200600_302600_NS4plusIlEEEE10hipError_tPvRmT1_T2_T3_mT4_P12ihipStream_tbEUlT_E1_NS1_11comp_targetILNS1_3genE4ELNS1_11target_archE910ELNS1_3gpuE8ELNS1_3repE0EEENS1_30default_config_static_selectorELNS0_4arch9wavefront6targetE1EEEvSF_, .Lfunc_end11-_ZN7rocprim17ROCPRIM_400000_NS6detail17trampoline_kernelINS0_14default_configENS1_22reduce_config_selectorIlEEZNS1_11reduce_implILb1ES3_PlS7_lN6thrust23THRUST_200600_302600_NS4plusIlEEEE10hipError_tPvRmT1_T2_T3_mT4_P12ihipStream_tbEUlT_E1_NS1_11comp_targetILNS1_3genE4ELNS1_11target_archE910ELNS1_3gpuE8ELNS1_3repE0EEENS1_30default_config_static_selectorELNS0_4arch9wavefront6targetE1EEEvSF_
                                        ; -- End function
	.set _ZN7rocprim17ROCPRIM_400000_NS6detail17trampoline_kernelINS0_14default_configENS1_22reduce_config_selectorIlEEZNS1_11reduce_implILb1ES3_PlS7_lN6thrust23THRUST_200600_302600_NS4plusIlEEEE10hipError_tPvRmT1_T2_T3_mT4_P12ihipStream_tbEUlT_E1_NS1_11comp_targetILNS1_3genE4ELNS1_11target_archE910ELNS1_3gpuE8ELNS1_3repE0EEENS1_30default_config_static_selectorELNS0_4arch9wavefront6targetE1EEEvSF_.num_vgpr, 0
	.set _ZN7rocprim17ROCPRIM_400000_NS6detail17trampoline_kernelINS0_14default_configENS1_22reduce_config_selectorIlEEZNS1_11reduce_implILb1ES3_PlS7_lN6thrust23THRUST_200600_302600_NS4plusIlEEEE10hipError_tPvRmT1_T2_T3_mT4_P12ihipStream_tbEUlT_E1_NS1_11comp_targetILNS1_3genE4ELNS1_11target_archE910ELNS1_3gpuE8ELNS1_3repE0EEENS1_30default_config_static_selectorELNS0_4arch9wavefront6targetE1EEEvSF_.num_agpr, 0
	.set _ZN7rocprim17ROCPRIM_400000_NS6detail17trampoline_kernelINS0_14default_configENS1_22reduce_config_selectorIlEEZNS1_11reduce_implILb1ES3_PlS7_lN6thrust23THRUST_200600_302600_NS4plusIlEEEE10hipError_tPvRmT1_T2_T3_mT4_P12ihipStream_tbEUlT_E1_NS1_11comp_targetILNS1_3genE4ELNS1_11target_archE910ELNS1_3gpuE8ELNS1_3repE0EEENS1_30default_config_static_selectorELNS0_4arch9wavefront6targetE1EEEvSF_.numbered_sgpr, 0
	.set _ZN7rocprim17ROCPRIM_400000_NS6detail17trampoline_kernelINS0_14default_configENS1_22reduce_config_selectorIlEEZNS1_11reduce_implILb1ES3_PlS7_lN6thrust23THRUST_200600_302600_NS4plusIlEEEE10hipError_tPvRmT1_T2_T3_mT4_P12ihipStream_tbEUlT_E1_NS1_11comp_targetILNS1_3genE4ELNS1_11target_archE910ELNS1_3gpuE8ELNS1_3repE0EEENS1_30default_config_static_selectorELNS0_4arch9wavefront6targetE1EEEvSF_.num_named_barrier, 0
	.set _ZN7rocprim17ROCPRIM_400000_NS6detail17trampoline_kernelINS0_14default_configENS1_22reduce_config_selectorIlEEZNS1_11reduce_implILb1ES3_PlS7_lN6thrust23THRUST_200600_302600_NS4plusIlEEEE10hipError_tPvRmT1_T2_T3_mT4_P12ihipStream_tbEUlT_E1_NS1_11comp_targetILNS1_3genE4ELNS1_11target_archE910ELNS1_3gpuE8ELNS1_3repE0EEENS1_30default_config_static_selectorELNS0_4arch9wavefront6targetE1EEEvSF_.private_seg_size, 0
	.set _ZN7rocprim17ROCPRIM_400000_NS6detail17trampoline_kernelINS0_14default_configENS1_22reduce_config_selectorIlEEZNS1_11reduce_implILb1ES3_PlS7_lN6thrust23THRUST_200600_302600_NS4plusIlEEEE10hipError_tPvRmT1_T2_T3_mT4_P12ihipStream_tbEUlT_E1_NS1_11comp_targetILNS1_3genE4ELNS1_11target_archE910ELNS1_3gpuE8ELNS1_3repE0EEENS1_30default_config_static_selectorELNS0_4arch9wavefront6targetE1EEEvSF_.uses_vcc, 0
	.set _ZN7rocprim17ROCPRIM_400000_NS6detail17trampoline_kernelINS0_14default_configENS1_22reduce_config_selectorIlEEZNS1_11reduce_implILb1ES3_PlS7_lN6thrust23THRUST_200600_302600_NS4plusIlEEEE10hipError_tPvRmT1_T2_T3_mT4_P12ihipStream_tbEUlT_E1_NS1_11comp_targetILNS1_3genE4ELNS1_11target_archE910ELNS1_3gpuE8ELNS1_3repE0EEENS1_30default_config_static_selectorELNS0_4arch9wavefront6targetE1EEEvSF_.uses_flat_scratch, 0
	.set _ZN7rocprim17ROCPRIM_400000_NS6detail17trampoline_kernelINS0_14default_configENS1_22reduce_config_selectorIlEEZNS1_11reduce_implILb1ES3_PlS7_lN6thrust23THRUST_200600_302600_NS4plusIlEEEE10hipError_tPvRmT1_T2_T3_mT4_P12ihipStream_tbEUlT_E1_NS1_11comp_targetILNS1_3genE4ELNS1_11target_archE910ELNS1_3gpuE8ELNS1_3repE0EEENS1_30default_config_static_selectorELNS0_4arch9wavefront6targetE1EEEvSF_.has_dyn_sized_stack, 0
	.set _ZN7rocprim17ROCPRIM_400000_NS6detail17trampoline_kernelINS0_14default_configENS1_22reduce_config_selectorIlEEZNS1_11reduce_implILb1ES3_PlS7_lN6thrust23THRUST_200600_302600_NS4plusIlEEEE10hipError_tPvRmT1_T2_T3_mT4_P12ihipStream_tbEUlT_E1_NS1_11comp_targetILNS1_3genE4ELNS1_11target_archE910ELNS1_3gpuE8ELNS1_3repE0EEENS1_30default_config_static_selectorELNS0_4arch9wavefront6targetE1EEEvSF_.has_recursion, 0
	.set _ZN7rocprim17ROCPRIM_400000_NS6detail17trampoline_kernelINS0_14default_configENS1_22reduce_config_selectorIlEEZNS1_11reduce_implILb1ES3_PlS7_lN6thrust23THRUST_200600_302600_NS4plusIlEEEE10hipError_tPvRmT1_T2_T3_mT4_P12ihipStream_tbEUlT_E1_NS1_11comp_targetILNS1_3genE4ELNS1_11target_archE910ELNS1_3gpuE8ELNS1_3repE0EEENS1_30default_config_static_selectorELNS0_4arch9wavefront6targetE1EEEvSF_.has_indirect_call, 0
	.section	.AMDGPU.csdata,"",@progbits
; Kernel info:
; codeLenInByte = 0
; TotalNumSgprs: 4
; NumVgprs: 0
; ScratchSize: 0
; MemoryBound: 0
; FloatMode: 240
; IeeeMode: 1
; LDSByteSize: 0 bytes/workgroup (compile time only)
; SGPRBlocks: 0
; VGPRBlocks: 0
; NumSGPRsForWavesPerEU: 4
; NumVGPRsForWavesPerEU: 1
; Occupancy: 10
; WaveLimiterHint : 0
; COMPUTE_PGM_RSRC2:SCRATCH_EN: 0
; COMPUTE_PGM_RSRC2:USER_SGPR: 6
; COMPUTE_PGM_RSRC2:TRAP_HANDLER: 0
; COMPUTE_PGM_RSRC2:TGID_X_EN: 1
; COMPUTE_PGM_RSRC2:TGID_Y_EN: 0
; COMPUTE_PGM_RSRC2:TGID_Z_EN: 0
; COMPUTE_PGM_RSRC2:TIDIG_COMP_CNT: 0
	.section	.text._ZN7rocprim17ROCPRIM_400000_NS6detail17trampoline_kernelINS0_14default_configENS1_22reduce_config_selectorIlEEZNS1_11reduce_implILb1ES3_PlS7_lN6thrust23THRUST_200600_302600_NS4plusIlEEEE10hipError_tPvRmT1_T2_T3_mT4_P12ihipStream_tbEUlT_E1_NS1_11comp_targetILNS1_3genE3ELNS1_11target_archE908ELNS1_3gpuE7ELNS1_3repE0EEENS1_30default_config_static_selectorELNS0_4arch9wavefront6targetE1EEEvSF_,"axG",@progbits,_ZN7rocprim17ROCPRIM_400000_NS6detail17trampoline_kernelINS0_14default_configENS1_22reduce_config_selectorIlEEZNS1_11reduce_implILb1ES3_PlS7_lN6thrust23THRUST_200600_302600_NS4plusIlEEEE10hipError_tPvRmT1_T2_T3_mT4_P12ihipStream_tbEUlT_E1_NS1_11comp_targetILNS1_3genE3ELNS1_11target_archE908ELNS1_3gpuE7ELNS1_3repE0EEENS1_30default_config_static_selectorELNS0_4arch9wavefront6targetE1EEEvSF_,comdat
	.protected	_ZN7rocprim17ROCPRIM_400000_NS6detail17trampoline_kernelINS0_14default_configENS1_22reduce_config_selectorIlEEZNS1_11reduce_implILb1ES3_PlS7_lN6thrust23THRUST_200600_302600_NS4plusIlEEEE10hipError_tPvRmT1_T2_T3_mT4_P12ihipStream_tbEUlT_E1_NS1_11comp_targetILNS1_3genE3ELNS1_11target_archE908ELNS1_3gpuE7ELNS1_3repE0EEENS1_30default_config_static_selectorELNS0_4arch9wavefront6targetE1EEEvSF_ ; -- Begin function _ZN7rocprim17ROCPRIM_400000_NS6detail17trampoline_kernelINS0_14default_configENS1_22reduce_config_selectorIlEEZNS1_11reduce_implILb1ES3_PlS7_lN6thrust23THRUST_200600_302600_NS4plusIlEEEE10hipError_tPvRmT1_T2_T3_mT4_P12ihipStream_tbEUlT_E1_NS1_11comp_targetILNS1_3genE3ELNS1_11target_archE908ELNS1_3gpuE7ELNS1_3repE0EEENS1_30default_config_static_selectorELNS0_4arch9wavefront6targetE1EEEvSF_
	.globl	_ZN7rocprim17ROCPRIM_400000_NS6detail17trampoline_kernelINS0_14default_configENS1_22reduce_config_selectorIlEEZNS1_11reduce_implILb1ES3_PlS7_lN6thrust23THRUST_200600_302600_NS4plusIlEEEE10hipError_tPvRmT1_T2_T3_mT4_P12ihipStream_tbEUlT_E1_NS1_11comp_targetILNS1_3genE3ELNS1_11target_archE908ELNS1_3gpuE7ELNS1_3repE0EEENS1_30default_config_static_selectorELNS0_4arch9wavefront6targetE1EEEvSF_
	.p2align	8
	.type	_ZN7rocprim17ROCPRIM_400000_NS6detail17trampoline_kernelINS0_14default_configENS1_22reduce_config_selectorIlEEZNS1_11reduce_implILb1ES3_PlS7_lN6thrust23THRUST_200600_302600_NS4plusIlEEEE10hipError_tPvRmT1_T2_T3_mT4_P12ihipStream_tbEUlT_E1_NS1_11comp_targetILNS1_3genE3ELNS1_11target_archE908ELNS1_3gpuE7ELNS1_3repE0EEENS1_30default_config_static_selectorELNS0_4arch9wavefront6targetE1EEEvSF_,@function
_ZN7rocprim17ROCPRIM_400000_NS6detail17trampoline_kernelINS0_14default_configENS1_22reduce_config_selectorIlEEZNS1_11reduce_implILb1ES3_PlS7_lN6thrust23THRUST_200600_302600_NS4plusIlEEEE10hipError_tPvRmT1_T2_T3_mT4_P12ihipStream_tbEUlT_E1_NS1_11comp_targetILNS1_3genE3ELNS1_11target_archE908ELNS1_3gpuE7ELNS1_3repE0EEENS1_30default_config_static_selectorELNS0_4arch9wavefront6targetE1EEEvSF_: ; @_ZN7rocprim17ROCPRIM_400000_NS6detail17trampoline_kernelINS0_14default_configENS1_22reduce_config_selectorIlEEZNS1_11reduce_implILb1ES3_PlS7_lN6thrust23THRUST_200600_302600_NS4plusIlEEEE10hipError_tPvRmT1_T2_T3_mT4_P12ihipStream_tbEUlT_E1_NS1_11comp_targetILNS1_3genE3ELNS1_11target_archE908ELNS1_3gpuE7ELNS1_3repE0EEENS1_30default_config_static_selectorELNS0_4arch9wavefront6targetE1EEEvSF_
; %bb.0:
	.section	.rodata,"a",@progbits
	.p2align	6, 0x0
	.amdhsa_kernel _ZN7rocprim17ROCPRIM_400000_NS6detail17trampoline_kernelINS0_14default_configENS1_22reduce_config_selectorIlEEZNS1_11reduce_implILb1ES3_PlS7_lN6thrust23THRUST_200600_302600_NS4plusIlEEEE10hipError_tPvRmT1_T2_T3_mT4_P12ihipStream_tbEUlT_E1_NS1_11comp_targetILNS1_3genE3ELNS1_11target_archE908ELNS1_3gpuE7ELNS1_3repE0EEENS1_30default_config_static_selectorELNS0_4arch9wavefront6targetE1EEEvSF_
		.amdhsa_group_segment_fixed_size 0
		.amdhsa_private_segment_fixed_size 0
		.amdhsa_kernarg_size 48
		.amdhsa_user_sgpr_count 6
		.amdhsa_user_sgpr_private_segment_buffer 1
		.amdhsa_user_sgpr_dispatch_ptr 0
		.amdhsa_user_sgpr_queue_ptr 0
		.amdhsa_user_sgpr_kernarg_segment_ptr 1
		.amdhsa_user_sgpr_dispatch_id 0
		.amdhsa_user_sgpr_flat_scratch_init 0
		.amdhsa_user_sgpr_private_segment_size 0
		.amdhsa_uses_dynamic_stack 0
		.amdhsa_system_sgpr_private_segment_wavefront_offset 0
		.amdhsa_system_sgpr_workgroup_id_x 1
		.amdhsa_system_sgpr_workgroup_id_y 0
		.amdhsa_system_sgpr_workgroup_id_z 0
		.amdhsa_system_sgpr_workgroup_info 0
		.amdhsa_system_vgpr_workitem_id 0
		.amdhsa_next_free_vgpr 1
		.amdhsa_next_free_sgpr 0
		.amdhsa_reserve_vcc 0
		.amdhsa_reserve_flat_scratch 0
		.amdhsa_float_round_mode_32 0
		.amdhsa_float_round_mode_16_64 0
		.amdhsa_float_denorm_mode_32 3
		.amdhsa_float_denorm_mode_16_64 3
		.amdhsa_dx10_clamp 1
		.amdhsa_ieee_mode 1
		.amdhsa_fp16_overflow 0
		.amdhsa_exception_fp_ieee_invalid_op 0
		.amdhsa_exception_fp_denorm_src 0
		.amdhsa_exception_fp_ieee_div_zero 0
		.amdhsa_exception_fp_ieee_overflow 0
		.amdhsa_exception_fp_ieee_underflow 0
		.amdhsa_exception_fp_ieee_inexact 0
		.amdhsa_exception_int_div_zero 0
	.end_amdhsa_kernel
	.section	.text._ZN7rocprim17ROCPRIM_400000_NS6detail17trampoline_kernelINS0_14default_configENS1_22reduce_config_selectorIlEEZNS1_11reduce_implILb1ES3_PlS7_lN6thrust23THRUST_200600_302600_NS4plusIlEEEE10hipError_tPvRmT1_T2_T3_mT4_P12ihipStream_tbEUlT_E1_NS1_11comp_targetILNS1_3genE3ELNS1_11target_archE908ELNS1_3gpuE7ELNS1_3repE0EEENS1_30default_config_static_selectorELNS0_4arch9wavefront6targetE1EEEvSF_,"axG",@progbits,_ZN7rocprim17ROCPRIM_400000_NS6detail17trampoline_kernelINS0_14default_configENS1_22reduce_config_selectorIlEEZNS1_11reduce_implILb1ES3_PlS7_lN6thrust23THRUST_200600_302600_NS4plusIlEEEE10hipError_tPvRmT1_T2_T3_mT4_P12ihipStream_tbEUlT_E1_NS1_11comp_targetILNS1_3genE3ELNS1_11target_archE908ELNS1_3gpuE7ELNS1_3repE0EEENS1_30default_config_static_selectorELNS0_4arch9wavefront6targetE1EEEvSF_,comdat
.Lfunc_end12:
	.size	_ZN7rocprim17ROCPRIM_400000_NS6detail17trampoline_kernelINS0_14default_configENS1_22reduce_config_selectorIlEEZNS1_11reduce_implILb1ES3_PlS7_lN6thrust23THRUST_200600_302600_NS4plusIlEEEE10hipError_tPvRmT1_T2_T3_mT4_P12ihipStream_tbEUlT_E1_NS1_11comp_targetILNS1_3genE3ELNS1_11target_archE908ELNS1_3gpuE7ELNS1_3repE0EEENS1_30default_config_static_selectorELNS0_4arch9wavefront6targetE1EEEvSF_, .Lfunc_end12-_ZN7rocprim17ROCPRIM_400000_NS6detail17trampoline_kernelINS0_14default_configENS1_22reduce_config_selectorIlEEZNS1_11reduce_implILb1ES3_PlS7_lN6thrust23THRUST_200600_302600_NS4plusIlEEEE10hipError_tPvRmT1_T2_T3_mT4_P12ihipStream_tbEUlT_E1_NS1_11comp_targetILNS1_3genE3ELNS1_11target_archE908ELNS1_3gpuE7ELNS1_3repE0EEENS1_30default_config_static_selectorELNS0_4arch9wavefront6targetE1EEEvSF_
                                        ; -- End function
	.set _ZN7rocprim17ROCPRIM_400000_NS6detail17trampoline_kernelINS0_14default_configENS1_22reduce_config_selectorIlEEZNS1_11reduce_implILb1ES3_PlS7_lN6thrust23THRUST_200600_302600_NS4plusIlEEEE10hipError_tPvRmT1_T2_T3_mT4_P12ihipStream_tbEUlT_E1_NS1_11comp_targetILNS1_3genE3ELNS1_11target_archE908ELNS1_3gpuE7ELNS1_3repE0EEENS1_30default_config_static_selectorELNS0_4arch9wavefront6targetE1EEEvSF_.num_vgpr, 0
	.set _ZN7rocprim17ROCPRIM_400000_NS6detail17trampoline_kernelINS0_14default_configENS1_22reduce_config_selectorIlEEZNS1_11reduce_implILb1ES3_PlS7_lN6thrust23THRUST_200600_302600_NS4plusIlEEEE10hipError_tPvRmT1_T2_T3_mT4_P12ihipStream_tbEUlT_E1_NS1_11comp_targetILNS1_3genE3ELNS1_11target_archE908ELNS1_3gpuE7ELNS1_3repE0EEENS1_30default_config_static_selectorELNS0_4arch9wavefront6targetE1EEEvSF_.num_agpr, 0
	.set _ZN7rocprim17ROCPRIM_400000_NS6detail17trampoline_kernelINS0_14default_configENS1_22reduce_config_selectorIlEEZNS1_11reduce_implILb1ES3_PlS7_lN6thrust23THRUST_200600_302600_NS4plusIlEEEE10hipError_tPvRmT1_T2_T3_mT4_P12ihipStream_tbEUlT_E1_NS1_11comp_targetILNS1_3genE3ELNS1_11target_archE908ELNS1_3gpuE7ELNS1_3repE0EEENS1_30default_config_static_selectorELNS0_4arch9wavefront6targetE1EEEvSF_.numbered_sgpr, 0
	.set _ZN7rocprim17ROCPRIM_400000_NS6detail17trampoline_kernelINS0_14default_configENS1_22reduce_config_selectorIlEEZNS1_11reduce_implILb1ES3_PlS7_lN6thrust23THRUST_200600_302600_NS4plusIlEEEE10hipError_tPvRmT1_T2_T3_mT4_P12ihipStream_tbEUlT_E1_NS1_11comp_targetILNS1_3genE3ELNS1_11target_archE908ELNS1_3gpuE7ELNS1_3repE0EEENS1_30default_config_static_selectorELNS0_4arch9wavefront6targetE1EEEvSF_.num_named_barrier, 0
	.set _ZN7rocprim17ROCPRIM_400000_NS6detail17trampoline_kernelINS0_14default_configENS1_22reduce_config_selectorIlEEZNS1_11reduce_implILb1ES3_PlS7_lN6thrust23THRUST_200600_302600_NS4plusIlEEEE10hipError_tPvRmT1_T2_T3_mT4_P12ihipStream_tbEUlT_E1_NS1_11comp_targetILNS1_3genE3ELNS1_11target_archE908ELNS1_3gpuE7ELNS1_3repE0EEENS1_30default_config_static_selectorELNS0_4arch9wavefront6targetE1EEEvSF_.private_seg_size, 0
	.set _ZN7rocprim17ROCPRIM_400000_NS6detail17trampoline_kernelINS0_14default_configENS1_22reduce_config_selectorIlEEZNS1_11reduce_implILb1ES3_PlS7_lN6thrust23THRUST_200600_302600_NS4plusIlEEEE10hipError_tPvRmT1_T2_T3_mT4_P12ihipStream_tbEUlT_E1_NS1_11comp_targetILNS1_3genE3ELNS1_11target_archE908ELNS1_3gpuE7ELNS1_3repE0EEENS1_30default_config_static_selectorELNS0_4arch9wavefront6targetE1EEEvSF_.uses_vcc, 0
	.set _ZN7rocprim17ROCPRIM_400000_NS6detail17trampoline_kernelINS0_14default_configENS1_22reduce_config_selectorIlEEZNS1_11reduce_implILb1ES3_PlS7_lN6thrust23THRUST_200600_302600_NS4plusIlEEEE10hipError_tPvRmT1_T2_T3_mT4_P12ihipStream_tbEUlT_E1_NS1_11comp_targetILNS1_3genE3ELNS1_11target_archE908ELNS1_3gpuE7ELNS1_3repE0EEENS1_30default_config_static_selectorELNS0_4arch9wavefront6targetE1EEEvSF_.uses_flat_scratch, 0
	.set _ZN7rocprim17ROCPRIM_400000_NS6detail17trampoline_kernelINS0_14default_configENS1_22reduce_config_selectorIlEEZNS1_11reduce_implILb1ES3_PlS7_lN6thrust23THRUST_200600_302600_NS4plusIlEEEE10hipError_tPvRmT1_T2_T3_mT4_P12ihipStream_tbEUlT_E1_NS1_11comp_targetILNS1_3genE3ELNS1_11target_archE908ELNS1_3gpuE7ELNS1_3repE0EEENS1_30default_config_static_selectorELNS0_4arch9wavefront6targetE1EEEvSF_.has_dyn_sized_stack, 0
	.set _ZN7rocprim17ROCPRIM_400000_NS6detail17trampoline_kernelINS0_14default_configENS1_22reduce_config_selectorIlEEZNS1_11reduce_implILb1ES3_PlS7_lN6thrust23THRUST_200600_302600_NS4plusIlEEEE10hipError_tPvRmT1_T2_T3_mT4_P12ihipStream_tbEUlT_E1_NS1_11comp_targetILNS1_3genE3ELNS1_11target_archE908ELNS1_3gpuE7ELNS1_3repE0EEENS1_30default_config_static_selectorELNS0_4arch9wavefront6targetE1EEEvSF_.has_recursion, 0
	.set _ZN7rocprim17ROCPRIM_400000_NS6detail17trampoline_kernelINS0_14default_configENS1_22reduce_config_selectorIlEEZNS1_11reduce_implILb1ES3_PlS7_lN6thrust23THRUST_200600_302600_NS4plusIlEEEE10hipError_tPvRmT1_T2_T3_mT4_P12ihipStream_tbEUlT_E1_NS1_11comp_targetILNS1_3genE3ELNS1_11target_archE908ELNS1_3gpuE7ELNS1_3repE0EEENS1_30default_config_static_selectorELNS0_4arch9wavefront6targetE1EEEvSF_.has_indirect_call, 0
	.section	.AMDGPU.csdata,"",@progbits
; Kernel info:
; codeLenInByte = 0
; TotalNumSgprs: 4
; NumVgprs: 0
; ScratchSize: 0
; MemoryBound: 0
; FloatMode: 240
; IeeeMode: 1
; LDSByteSize: 0 bytes/workgroup (compile time only)
; SGPRBlocks: 0
; VGPRBlocks: 0
; NumSGPRsForWavesPerEU: 4
; NumVGPRsForWavesPerEU: 1
; Occupancy: 10
; WaveLimiterHint : 0
; COMPUTE_PGM_RSRC2:SCRATCH_EN: 0
; COMPUTE_PGM_RSRC2:USER_SGPR: 6
; COMPUTE_PGM_RSRC2:TRAP_HANDLER: 0
; COMPUTE_PGM_RSRC2:TGID_X_EN: 1
; COMPUTE_PGM_RSRC2:TGID_Y_EN: 0
; COMPUTE_PGM_RSRC2:TGID_Z_EN: 0
; COMPUTE_PGM_RSRC2:TIDIG_COMP_CNT: 0
	.section	.text._ZN7rocprim17ROCPRIM_400000_NS6detail17trampoline_kernelINS0_14default_configENS1_22reduce_config_selectorIlEEZNS1_11reduce_implILb1ES3_PlS7_lN6thrust23THRUST_200600_302600_NS4plusIlEEEE10hipError_tPvRmT1_T2_T3_mT4_P12ihipStream_tbEUlT_E1_NS1_11comp_targetILNS1_3genE2ELNS1_11target_archE906ELNS1_3gpuE6ELNS1_3repE0EEENS1_30default_config_static_selectorELNS0_4arch9wavefront6targetE1EEEvSF_,"axG",@progbits,_ZN7rocprim17ROCPRIM_400000_NS6detail17trampoline_kernelINS0_14default_configENS1_22reduce_config_selectorIlEEZNS1_11reduce_implILb1ES3_PlS7_lN6thrust23THRUST_200600_302600_NS4plusIlEEEE10hipError_tPvRmT1_T2_T3_mT4_P12ihipStream_tbEUlT_E1_NS1_11comp_targetILNS1_3genE2ELNS1_11target_archE906ELNS1_3gpuE6ELNS1_3repE0EEENS1_30default_config_static_selectorELNS0_4arch9wavefront6targetE1EEEvSF_,comdat
	.protected	_ZN7rocprim17ROCPRIM_400000_NS6detail17trampoline_kernelINS0_14default_configENS1_22reduce_config_selectorIlEEZNS1_11reduce_implILb1ES3_PlS7_lN6thrust23THRUST_200600_302600_NS4plusIlEEEE10hipError_tPvRmT1_T2_T3_mT4_P12ihipStream_tbEUlT_E1_NS1_11comp_targetILNS1_3genE2ELNS1_11target_archE906ELNS1_3gpuE6ELNS1_3repE0EEENS1_30default_config_static_selectorELNS0_4arch9wavefront6targetE1EEEvSF_ ; -- Begin function _ZN7rocprim17ROCPRIM_400000_NS6detail17trampoline_kernelINS0_14default_configENS1_22reduce_config_selectorIlEEZNS1_11reduce_implILb1ES3_PlS7_lN6thrust23THRUST_200600_302600_NS4plusIlEEEE10hipError_tPvRmT1_T2_T3_mT4_P12ihipStream_tbEUlT_E1_NS1_11comp_targetILNS1_3genE2ELNS1_11target_archE906ELNS1_3gpuE6ELNS1_3repE0EEENS1_30default_config_static_selectorELNS0_4arch9wavefront6targetE1EEEvSF_
	.globl	_ZN7rocprim17ROCPRIM_400000_NS6detail17trampoline_kernelINS0_14default_configENS1_22reduce_config_selectorIlEEZNS1_11reduce_implILb1ES3_PlS7_lN6thrust23THRUST_200600_302600_NS4plusIlEEEE10hipError_tPvRmT1_T2_T3_mT4_P12ihipStream_tbEUlT_E1_NS1_11comp_targetILNS1_3genE2ELNS1_11target_archE906ELNS1_3gpuE6ELNS1_3repE0EEENS1_30default_config_static_selectorELNS0_4arch9wavefront6targetE1EEEvSF_
	.p2align	8
	.type	_ZN7rocprim17ROCPRIM_400000_NS6detail17trampoline_kernelINS0_14default_configENS1_22reduce_config_selectorIlEEZNS1_11reduce_implILb1ES3_PlS7_lN6thrust23THRUST_200600_302600_NS4plusIlEEEE10hipError_tPvRmT1_T2_T3_mT4_P12ihipStream_tbEUlT_E1_NS1_11comp_targetILNS1_3genE2ELNS1_11target_archE906ELNS1_3gpuE6ELNS1_3repE0EEENS1_30default_config_static_selectorELNS0_4arch9wavefront6targetE1EEEvSF_,@function
_ZN7rocprim17ROCPRIM_400000_NS6detail17trampoline_kernelINS0_14default_configENS1_22reduce_config_selectorIlEEZNS1_11reduce_implILb1ES3_PlS7_lN6thrust23THRUST_200600_302600_NS4plusIlEEEE10hipError_tPvRmT1_T2_T3_mT4_P12ihipStream_tbEUlT_E1_NS1_11comp_targetILNS1_3genE2ELNS1_11target_archE906ELNS1_3gpuE6ELNS1_3repE0EEENS1_30default_config_static_selectorELNS0_4arch9wavefront6targetE1EEEvSF_: ; @_ZN7rocprim17ROCPRIM_400000_NS6detail17trampoline_kernelINS0_14default_configENS1_22reduce_config_selectorIlEEZNS1_11reduce_implILb1ES3_PlS7_lN6thrust23THRUST_200600_302600_NS4plusIlEEEE10hipError_tPvRmT1_T2_T3_mT4_P12ihipStream_tbEUlT_E1_NS1_11comp_targetILNS1_3genE2ELNS1_11target_archE906ELNS1_3gpuE6ELNS1_3repE0EEENS1_30default_config_static_selectorELNS0_4arch9wavefront6targetE1EEEvSF_
; %bb.0:
	s_load_dword s26, s[4:5], 0x4
	s_load_dwordx8 s[16:23], s[4:5], 0x8
	s_waitcnt lgkmcnt(0)
	s_cmp_lt_i32 s26, 4
	s_cbranch_scc1 .LBB13_10
; %bb.1:
	s_cmp_gt_i32 s26, 7
	s_cbranch_scc0 .LBB13_11
; %bb.2:
	s_cmp_gt_i32 s26, 15
	s_cbranch_scc0 .LBB13_12
; %bb.3:
	s_mov_b64 s[0:1], 0
	s_cmp_eq_u32 s26, 16
	s_mov_b64 s[2:3], 0
                                        ; implicit-def: $vgpr1_vgpr2
                                        ; implicit-def: $vgpr3_vgpr4
	s_cbranch_scc0 .LBB13_13
; %bb.4:
	s_mov_b32 s7, 0
	s_lshl_b32 s4, s6, 12
	s_mov_b32 s5, s7
	s_lshr_b64 s[8:9], s[18:19], 12
	s_lshl_b64 s[2:3], s[4:5], 3
	s_add_u32 s2, s16, s2
	s_addc_u32 s3, s17, s3
	s_cmp_lg_u64 s[8:9], s[6:7]
	s_cbranch_scc0 .LBB13_21
; %bb.5:
	v_lshlrev_b32_e32 v5, 3, v0
	global_load_dwordx2 v[1:2], v5, s[2:3]
	global_load_dwordx2 v[3:4], v5, s[2:3] offset:2048
	v_mov_b32_e32 v6, s3
	v_add_co_u32_e32 v29, vcc, s2, v5
	v_addc_co_u32_e32 v33, vcc, 0, v6, vcc
	v_add_co_u32_e32 v5, vcc, 0x1000, v29
	v_addc_co_u32_e32 v6, vcc, 0, v33, vcc
	v_add_co_u32_e32 v9, vcc, 0x2000, v29
	v_addc_co_u32_e32 v10, vcc, 0, v33, vcc
	v_add_co_u32_e32 v13, vcc, 0x3000, v29
	v_addc_co_u32_e32 v14, vcc, 0, v33, vcc
	global_load_dwordx2 v[7:8], v[5:6], off
	global_load_dwordx2 v[11:12], v[9:10], off
	;; [unrolled: 1-line block ×3, first 2 shown]
	v_add_co_u32_e32 v17, vcc, 0x4000, v29
	v_addc_co_u32_e32 v18, vcc, 0, v33, vcc
	global_load_dwordx2 v[19:20], v[17:18], off
	v_add_co_u32_e32 v21, vcc, 0x5000, v29
	global_load_dwordx2 v[5:6], v[5:6], off offset:2048
	v_addc_co_u32_e32 v22, vcc, 0, v33, vcc
	global_load_dwordx2 v[9:10], v[9:10], off offset:2048
	v_add_co_u32_e32 v23, vcc, 0x6000, v29
	global_load_dwordx2 v[13:14], v[13:14], off offset:2048
	v_addc_co_u32_e32 v24, vcc, 0, v33, vcc
	global_load_dwordx2 v[17:18], v[17:18], off offset:2048
	s_nop 0
	global_load_dwordx2 v[25:26], v[21:22], off
	global_load_dwordx2 v[27:28], v[21:22], off offset:2048
	v_add_co_u32_e32 v21, vcc, 0x7000, v29
	global_load_dwordx2 v[29:30], v[23:24], off
	global_load_dwordx2 v[31:32], v[23:24], off offset:2048
	v_addc_co_u32_e32 v22, vcc, 0, v33, vcc
	s_waitcnt vmcnt(12)
	v_add_co_u32_e32 v23, vcc, v3, v1
	v_addc_co_u32_e32 v24, vcc, v4, v2, vcc
	global_load_dwordx2 v[1:2], v[21:22], off
	global_load_dwordx2 v[3:4], v[21:22], off offset:2048
	s_waitcnt vmcnt(13)
	v_add_co_u32_e32 v7, vcc, v23, v7
	v_addc_co_u32_e32 v8, vcc, v24, v8, vcc
	s_waitcnt vmcnt(9)
	v_add_co_u32_e32 v5, vcc, v7, v5
	v_addc_co_u32_e32 v6, vcc, v8, v6, vcc
	v_add_co_u32_e32 v5, vcc, v5, v11
	v_addc_co_u32_e32 v6, vcc, v6, v12, vcc
	s_waitcnt vmcnt(8)
	v_add_co_u32_e32 v5, vcc, v5, v9
	v_addc_co_u32_e32 v6, vcc, v6, v10, vcc
	;; [unrolled: 5-line block ×4, first 2 shown]
	s_waitcnt vmcnt(5)
	v_add_co_u32_e32 v5, vcc, v5, v25
	v_addc_co_u32_e32 v6, vcc, v6, v26, vcc
	s_waitcnt vmcnt(4)
	v_add_co_u32_e32 v5, vcc, v5, v27
	v_addc_co_u32_e32 v6, vcc, v6, v28, vcc
	;; [unrolled: 3-line block ×6, first 2 shown]
	s_nop 0
	v_mov_b32_dpp v4, v1 quad_perm:[1,0,3,2] row_mask:0xf bank_mask:0xf bound_ctrl:1
	v_add_co_u32_e32 v1, vcc, v1, v4
	v_mov_b32_dpp v5, v2 quad_perm:[1,0,3,2] row_mask:0xf bank_mask:0xf bound_ctrl:1
	v_addc_co_u32_e32 v2, vcc, 0, v2, vcc
	v_add_co_u32_e32 v4, vcc, 0, v1
	v_addc_co_u32_e32 v2, vcc, v5, v2, vcc
	v_mov_b32_dpp v1, v1 quad_perm:[2,3,0,1] row_mask:0xf bank_mask:0xf bound_ctrl:1
	v_add_co_u32_e32 v1, vcc, v4, v1
	v_mov_b32_dpp v5, v2 quad_perm:[2,3,0,1] row_mask:0xf bank_mask:0xf bound_ctrl:1
	v_addc_co_u32_e32 v2, vcc, 0, v2, vcc
	v_add_co_u32_e32 v4, vcc, 0, v1
	v_addc_co_u32_e32 v2, vcc, v2, v5, vcc
	v_mov_b32_dpp v1, v1 row_ror:4 row_mask:0xf bank_mask:0xf bound_ctrl:1
	v_add_co_u32_e32 v1, vcc, v4, v1
	v_mov_b32_dpp v5, v2 row_ror:4 row_mask:0xf bank_mask:0xf bound_ctrl:1
	v_addc_co_u32_e32 v2, vcc, 0, v2, vcc
	v_add_co_u32_e32 v4, vcc, 0, v1
	v_addc_co_u32_e32 v2, vcc, v2, v5, vcc
	v_mov_b32_dpp v1, v1 row_ror:8 row_mask:0xf bank_mask:0xf bound_ctrl:1
	v_add_co_u32_e32 v1, vcc, v4, v1
	v_mov_b32_dpp v5, v2 row_ror:8 row_mask:0xf bank_mask:0xf bound_ctrl:1
	v_addc_co_u32_e32 v2, vcc, 0, v2, vcc
	v_add_co_u32_e32 v4, vcc, 0, v1
	v_addc_co_u32_e32 v2, vcc, v2, v5, vcc
	v_mov_b32_dpp v1, v1 row_bcast:15 row_mask:0xf bank_mask:0xf bound_ctrl:1
	v_add_co_u32_e32 v1, vcc, v4, v1
	v_mov_b32_dpp v5, v2 row_bcast:15 row_mask:0xf bank_mask:0xf bound_ctrl:1
	v_addc_co_u32_e32 v2, vcc, 0, v2, vcc
	v_add_co_u32_e32 v4, vcc, 0, v1
	v_addc_co_u32_e32 v2, vcc, v2, v5, vcc
	v_mov_b32_dpp v1, v1 row_bcast:31 row_mask:0xf bank_mask:0xf bound_ctrl:1
	v_mbcnt_lo_u32_b32 v3, -1, 0
	v_add_co_u32_e32 v1, vcc, v4, v1
	v_mbcnt_hi_u32_b32 v3, -1, v3
	v_addc_co_u32_e32 v4, vcc, 0, v2, vcc
	v_cmp_eq_u32_e32 vcc, 0, v3
	s_nop 0
	v_add_u32_dpp v2, v2, v4 row_bcast:31 row_mask:0xf bank_mask:0xf bound_ctrl:1
	v_lshlrev_b32_e32 v4, 2, v3
	v_or_b32_e32 v5, 0xfc, v4
	ds_bpermute_b32 v1, v5, v1
	ds_bpermute_b32 v2, v5, v2
	s_and_saveexec_b64 s[8:9], vcc
	s_cbranch_execz .LBB13_7
; %bb.6:
	v_lshrrev_b32_e32 v5, 3, v0
	v_and_b32_e32 v5, 24, v5
	s_waitcnt lgkmcnt(0)
	ds_write_b64 v5, v[1:2]
.LBB13_7:
	s_or_b64 exec, exec, s[8:9]
	v_cmp_gt_u32_e32 vcc, 64, v0
	s_waitcnt lgkmcnt(0)
	s_barrier
	s_and_saveexec_b64 s[8:9], vcc
	s_cbranch_execz .LBB13_9
; %bb.8:
	v_and_b32_e32 v5, 3, v3
	v_lshlrev_b32_e32 v1, 3, v5
	ds_read_b64 v[1:2], v1
	v_cmp_ne_u32_e32 vcc, 3, v5
	v_addc_co_u32_e32 v3, vcc, 0, v3, vcc
	v_lshlrev_b32_e32 v3, 2, v3
	s_waitcnt lgkmcnt(0)
	ds_bpermute_b32 v5, v3, v1
	ds_bpermute_b32 v3, v3, v2
	v_or_b32_e32 v4, 8, v4
	s_waitcnt lgkmcnt(1)
	v_add_co_u32_e32 v1, vcc, v1, v5
	v_addc_co_u32_e32 v2, vcc, 0, v2, vcc
	ds_bpermute_b32 v5, v4, v1
	v_add_co_u32_e32 v1, vcc, 0, v1
	s_waitcnt lgkmcnt(1)
	v_addc_co_u32_e32 v2, vcc, v3, v2, vcc
	ds_bpermute_b32 v3, v4, v2
	s_waitcnt lgkmcnt(1)
	v_add_co_u32_e32 v1, vcc, v1, v5
	v_addc_co_u32_e32 v2, vcc, 0, v2, vcc
	v_add_co_u32_e32 v1, vcc, 0, v1
	s_waitcnt lgkmcnt(0)
	v_addc_co_u32_e32 v2, vcc, v2, v3, vcc
.LBB13_9:
	s_or_b64 exec, exec, s[8:9]
	s_mov_b64 s[8:9], 0
	s_branch .LBB13_22
.LBB13_10:
	s_mov_b64 s[2:3], 0
                                        ; implicit-def: $vgpr1_vgpr2
                                        ; implicit-def: $vgpr3_vgpr4
	s_cbranch_execnz .LBB13_145
	s_branch .LBB13_206
.LBB13_11:
	s_mov_b64 s[2:3], 0
                                        ; implicit-def: $vgpr1_vgpr2
                                        ; implicit-def: $vgpr3_vgpr4
	s_cbranch_execnz .LBB13_110
	s_branch .LBB13_144
.LBB13_12:
	s_mov_b64 s[0:1], -1
	s_mov_b64 s[2:3], 0
                                        ; implicit-def: $vgpr1_vgpr2
                                        ; implicit-def: $vgpr3_vgpr4
.LBB13_13:
	s_and_b64 vcc, exec, s[0:1]
	s_cbranch_vccz .LBB13_109
.LBB13_14:
	s_cmp_eq_u32 s26, 8
                                        ; implicit-def: $vgpr1_vgpr2
                                        ; implicit-def: $vgpr3_vgpr4
	s_cbranch_scc0 .LBB13_109
; %bb.15:
	s_mov_b32 s7, 0
	s_lshl_b32 s0, s6, 11
	s_mov_b32 s1, s7
	s_lshr_b64 s[2:3], s[18:19], 11
	s_lshl_b64 s[4:5], s[0:1], 3
	s_add_u32 s14, s16, s4
	s_addc_u32 s15, s17, s5
	s_cmp_lg_u64 s[2:3], s[6:7]
	s_cbranch_scc0 .LBB13_73
; %bb.16:
	v_lshlrev_b32_e32 v3, 3, v0
	v_mov_b32_e32 v1, s15
	v_add_co_u32_e32 v16, vcc, s14, v3
	v_addc_co_u32_e32 v17, vcc, 0, v1, vcc
	global_load_dwordx2 v[1:2], v3, s[14:15]
	global_load_dwordx2 v[4:5], v3, s[14:15] offset:2048
	v_add_co_u32_e32 v6, vcc, 0x1000, v16
	v_addc_co_u32_e32 v7, vcc, 0, v17, vcc
	global_load_dwordx2 v[8:9], v[6:7], off
	global_load_dwordx2 v[10:11], v[6:7], off offset:2048
	v_add_co_u32_e32 v6, vcc, 0x2000, v16
	v_addc_co_u32_e32 v7, vcc, 0, v17, vcc
	global_load_dwordx2 v[12:13], v[6:7], off
	global_load_dwordx2 v[14:15], v[6:7], off offset:2048
	;; [unrolled: 4-line block ×3, first 2 shown]
	v_mbcnt_lo_u32_b32 v3, -1, 0
	v_mbcnt_hi_u32_b32 v3, -1, v3
	s_waitcnt vmcnt(6)
	v_add_co_u32_e32 v1, vcc, v4, v1
	v_addc_co_u32_e32 v2, vcc, v5, v2, vcc
	s_waitcnt vmcnt(5)
	v_add_co_u32_e32 v1, vcc, v1, v8
	v_addc_co_u32_e32 v2, vcc, v2, v9, vcc
	;; [unrolled: 3-line block ×7, first 2 shown]
	s_nop 0
	v_mov_b32_dpp v4, v1 quad_perm:[1,0,3,2] row_mask:0xf bank_mask:0xf bound_ctrl:1
	v_add_co_u32_e32 v1, vcc, v1, v4
	v_mov_b32_dpp v5, v2 quad_perm:[1,0,3,2] row_mask:0xf bank_mask:0xf bound_ctrl:1
	v_addc_co_u32_e32 v2, vcc, 0, v2, vcc
	v_add_co_u32_e32 v4, vcc, 0, v1
	v_addc_co_u32_e32 v2, vcc, v5, v2, vcc
	v_mov_b32_dpp v1, v1 quad_perm:[2,3,0,1] row_mask:0xf bank_mask:0xf bound_ctrl:1
	v_add_co_u32_e32 v1, vcc, v4, v1
	v_mov_b32_dpp v5, v2 quad_perm:[2,3,0,1] row_mask:0xf bank_mask:0xf bound_ctrl:1
	v_addc_co_u32_e32 v2, vcc, 0, v2, vcc
	v_add_co_u32_e32 v4, vcc, 0, v1
	v_addc_co_u32_e32 v2, vcc, v2, v5, vcc
	v_mov_b32_dpp v1, v1 row_ror:4 row_mask:0xf bank_mask:0xf bound_ctrl:1
	v_add_co_u32_e32 v1, vcc, v4, v1
	v_mov_b32_dpp v5, v2 row_ror:4 row_mask:0xf bank_mask:0xf bound_ctrl:1
	v_addc_co_u32_e32 v2, vcc, 0, v2, vcc
	v_add_co_u32_e32 v4, vcc, 0, v1
	v_addc_co_u32_e32 v2, vcc, v2, v5, vcc
	v_mov_b32_dpp v1, v1 row_ror:8 row_mask:0xf bank_mask:0xf bound_ctrl:1
	v_add_co_u32_e32 v1, vcc, v4, v1
	v_mov_b32_dpp v5, v2 row_ror:8 row_mask:0xf bank_mask:0xf bound_ctrl:1
	v_addc_co_u32_e32 v2, vcc, 0, v2, vcc
	v_add_co_u32_e32 v4, vcc, 0, v1
	v_addc_co_u32_e32 v2, vcc, v2, v5, vcc
	v_mov_b32_dpp v1, v1 row_bcast:15 row_mask:0xf bank_mask:0xf bound_ctrl:1
	v_add_co_u32_e32 v1, vcc, v4, v1
	v_mov_b32_dpp v5, v2 row_bcast:15 row_mask:0xf bank_mask:0xf bound_ctrl:1
	v_addc_co_u32_e32 v2, vcc, 0, v2, vcc
	v_add_co_u32_e32 v4, vcc, 0, v1
	v_addc_co_u32_e32 v2, vcc, v2, v5, vcc
	v_mov_b32_dpp v1, v1 row_bcast:31 row_mask:0xf bank_mask:0xf bound_ctrl:1
	v_add_co_u32_e32 v1, vcc, v4, v1
	v_addc_co_u32_e32 v4, vcc, 0, v2, vcc
	v_cmp_eq_u32_e32 vcc, 0, v3
	s_nop 0
	v_add_u32_dpp v2, v2, v4 row_bcast:31 row_mask:0xf bank_mask:0xf bound_ctrl:1
	v_lshlrev_b32_e32 v4, 2, v3
	v_or_b32_e32 v5, 0xfc, v4
	ds_bpermute_b32 v1, v5, v1
	ds_bpermute_b32 v2, v5, v2
	s_and_saveexec_b64 s[2:3], vcc
	s_cbranch_execz .LBB13_18
; %bb.17:
	v_lshrrev_b32_e32 v5, 3, v0
	v_and_b32_e32 v5, 24, v5
	s_waitcnt lgkmcnt(0)
	ds_write_b64 v5, v[1:2] offset:128
.LBB13_18:
	s_or_b64 exec, exec, s[2:3]
	v_cmp_gt_u32_e32 vcc, 64, v0
	s_waitcnt lgkmcnt(0)
	s_barrier
	s_and_saveexec_b64 s[2:3], vcc
	s_cbranch_execz .LBB13_20
; %bb.19:
	v_and_b32_e32 v5, 3, v3
	v_lshlrev_b32_e32 v1, 3, v5
	ds_read_b64 v[1:2], v1 offset:128
	v_cmp_ne_u32_e32 vcc, 3, v5
	v_addc_co_u32_e32 v3, vcc, 0, v3, vcc
	v_lshlrev_b32_e32 v3, 2, v3
	s_waitcnt lgkmcnt(0)
	ds_bpermute_b32 v5, v3, v1
	ds_bpermute_b32 v3, v3, v2
	v_or_b32_e32 v4, 8, v4
	s_waitcnt lgkmcnt(1)
	v_add_co_u32_e32 v1, vcc, v1, v5
	v_addc_co_u32_e32 v2, vcc, 0, v2, vcc
	ds_bpermute_b32 v5, v4, v1
	v_add_co_u32_e32 v1, vcc, 0, v1
	s_waitcnt lgkmcnt(1)
	v_addc_co_u32_e32 v2, vcc, v3, v2, vcc
	ds_bpermute_b32 v3, v4, v2
	s_waitcnt lgkmcnt(1)
	v_add_co_u32_e32 v1, vcc, v1, v5
	v_addc_co_u32_e32 v2, vcc, 0, v2, vcc
	v_add_co_u32_e32 v1, vcc, 0, v1
	s_waitcnt lgkmcnt(0)
	v_addc_co_u32_e32 v2, vcc, v2, v3, vcc
.LBB13_20:
	s_or_b64 exec, exec, s[2:3]
	s_mov_b64 s[2:3], 0
	s_branch .LBB13_74
.LBB13_21:
	s_mov_b64 s[8:9], -1
                                        ; implicit-def: $vgpr1_vgpr2
.LBB13_22:
	s_and_b64 vcc, exec, s[8:9]
	s_cbranch_vccz .LBB13_72
; %bb.23:
	s_sub_i32 s8, s18, s4
	v_cmp_gt_u32_e32 vcc, s8, v0
                                        ; implicit-def: $vgpr1_vgpr2
	s_and_saveexec_b64 s[4:5], vcc
	s_cbranch_execz .LBB13_25
; %bb.24:
	v_lshlrev_b32_e32 v1, 3, v0
	global_load_dwordx2 v[1:2], v1, s[2:3]
.LBB13_25:
	s_or_b64 exec, exec, s[4:5]
	v_or_b32_e32 v7, 0x100, v0
	v_mov_b32_e32 v3, 0
	v_mov_b32_e32 v5, 0
	;; [unrolled: 1-line block ×4, first 2 shown]
	v_cmp_gt_u32_e32 vcc, s8, v7
	s_and_saveexec_b64 s[4:5], vcc
	s_cbranch_execz .LBB13_27
; %bb.26:
	v_lshlrev_b32_e32 v5, 3, v0
	global_load_dwordx2 v[5:6], v5, s[2:3] offset:2048
.LBB13_27:
	s_or_b64 exec, exec, s[4:5]
	v_or_b32_e32 v7, 0x200, v0
	v_cmp_gt_u32_e32 vcc, s8, v7
	s_and_saveexec_b64 s[4:5], vcc
	s_cbranch_execz .LBB13_29
; %bb.28:
	v_lshlrev_b32_e32 v3, 3, v7
	global_load_dwordx2 v[3:4], v3, s[2:3]
.LBB13_29:
	s_or_b64 exec, exec, s[4:5]
	v_or_b32_e32 v11, 0x300, v0
	v_mov_b32_e32 v7, 0
	v_mov_b32_e32 v9, 0
	v_mov_b32_e32 v8, 0
	v_mov_b32_e32 v10, 0
	v_cmp_gt_u32_e32 vcc, s8, v11
	s_and_saveexec_b64 s[4:5], vcc
	s_cbranch_execz .LBB13_31
; %bb.30:
	v_lshlrev_b32_e32 v9, 3, v11
	global_load_dwordx2 v[9:10], v9, s[2:3]
.LBB13_31:
	s_or_b64 exec, exec, s[4:5]
	v_or_b32_e32 v11, 0x400, v0
	v_cmp_gt_u32_e32 vcc, s8, v11
	s_and_saveexec_b64 s[4:5], vcc
	s_cbranch_execz .LBB13_33
; %bb.32:
	v_lshlrev_b32_e32 v7, 3, v11
	global_load_dwordx2 v[7:8], v7, s[2:3]
.LBB13_33:
	s_or_b64 exec, exec, s[4:5]
	v_or_b32_e32 v15, 0x500, v0
	v_mov_b32_e32 v11, 0
	v_mov_b32_e32 v13, 0
	v_mov_b32_e32 v12, 0
	v_mov_b32_e32 v14, 0
	v_cmp_gt_u32_e32 vcc, s8, v15
	s_and_saveexec_b64 s[4:5], vcc
	s_cbranch_execz .LBB13_35
; %bb.34:
	v_lshlrev_b32_e32 v13, 3, v15
	global_load_dwordx2 v[13:14], v13, s[2:3]
.LBB13_35:
	;; [unrolled: 22-line block ×6, first 2 shown]
	s_or_b64 exec, exec, s[4:5]
	v_or_b32_e32 v31, 0xe00, v0
	v_cmp_gt_u32_e32 vcc, s8, v31
	s_and_saveexec_b64 s[4:5], vcc
	s_cbranch_execz .LBB13_53
; %bb.52:
	v_lshlrev_b32_e32 v27, 3, v31
	global_load_dwordx2 v[27:28], v27, s[2:3]
.LBB13_53:
	s_or_b64 exec, exec, s[4:5]
	v_or_b32_e32 v33, 0xf00, v0
	v_mov_b32_e32 v31, 0
	v_mov_b32_e32 v32, 0
	v_cmp_gt_u32_e32 vcc, s8, v33
	s_and_saveexec_b64 s[4:5], vcc
	s_cbranch_execz .LBB13_55
; %bb.54:
	v_lshlrev_b32_e32 v31, 3, v33
	global_load_dwordx2 v[31:32], v31, s[2:3]
.LBB13_55:
	s_or_b64 exec, exec, s[4:5]
	s_waitcnt vmcnt(0)
	v_add_co_u32_e32 v1, vcc, v5, v1
	v_addc_co_u32_e32 v2, vcc, v6, v2, vcc
	v_add_co_u32_e32 v1, vcc, v1, v3
	v_addc_co_u32_e32 v2, vcc, v2, v4, vcc
	;; [unrolled: 2-line block ×14, first 2 shown]
	v_mbcnt_lo_u32_b32 v3, -1, 0
	v_add_co_u32_e32 v1, vcc, v1, v31
	v_mbcnt_hi_u32_b32 v3, -1, v3
	v_addc_co_u32_e32 v2, vcc, v2, v32, vcc
	v_and_b32_e32 v4, 63, v3
	v_cmp_ne_u32_e32 vcc, 63, v4
	v_addc_co_u32_e32 v6, vcc, 0, v3, vcc
	v_lshlrev_b32_e32 v6, 2, v6
	ds_bpermute_b32 v8, v6, v1
	ds_bpermute_b32 v7, v6, v2
	s_min_u32 s4, s8, 0x100
	v_and_b32_e32 v5, 0xc0, v0
	v_sub_u32_e64 v5, s4, v5 clamp
	v_add_u32_e32 v6, 1, v4
	v_cmp_lt_u32_e32 vcc, v6, v5
	v_mov_b32_e32 v6, v1
	s_and_saveexec_b64 s[2:3], vcc
	s_cbranch_execz .LBB13_57
; %bb.56:
	s_waitcnt lgkmcnt(1)
	v_add_co_u32_e32 v6, vcc, v1, v8
	v_addc_co_u32_e32 v2, vcc, 0, v2, vcc
	v_add_co_u32_e32 v1, vcc, 0, v6
	s_waitcnt lgkmcnt(0)
	v_addc_co_u32_e32 v2, vcc, v7, v2, vcc
.LBB13_57:
	s_or_b64 exec, exec, s[2:3]
	v_cmp_gt_u32_e32 vcc, 62, v4
	s_waitcnt lgkmcnt(0)
	v_cndmask_b32_e64 v7, 0, 2, vcc
	v_add_lshl_u32 v7, v7, v3, 2
	ds_bpermute_b32 v8, v7, v6
	ds_bpermute_b32 v7, v7, v2
	v_add_u32_e32 v9, 2, v4
	v_cmp_lt_u32_e32 vcc, v9, v5
	s_and_saveexec_b64 s[2:3], vcc
	s_cbranch_execz .LBB13_59
; %bb.58:
	s_waitcnt lgkmcnt(1)
	v_add_co_u32_e32 v6, vcc, v1, v8
	v_addc_co_u32_e32 v2, vcc, 0, v2, vcc
	v_add_co_u32_e32 v1, vcc, 0, v6
	s_waitcnt lgkmcnt(0)
	v_addc_co_u32_e32 v2, vcc, v7, v2, vcc
.LBB13_59:
	s_or_b64 exec, exec, s[2:3]
	v_cmp_gt_u32_e32 vcc, 60, v4
	s_waitcnt lgkmcnt(0)
	v_cndmask_b32_e64 v7, 0, 4, vcc
	v_add_lshl_u32 v7, v7, v3, 2
	ds_bpermute_b32 v8, v7, v6
	ds_bpermute_b32 v7, v7, v2
	v_add_u32_e32 v9, 4, v4
	v_cmp_lt_u32_e32 vcc, v9, v5
	;; [unrolled: 19-line block ×4, first 2 shown]
	s_and_saveexec_b64 s[2:3], vcc
	s_cbranch_execz .LBB13_65
; %bb.64:
	s_waitcnt lgkmcnt(1)
	v_add_co_u32_e32 v6, vcc, v1, v8
	v_addc_co_u32_e32 v2, vcc, 0, v2, vcc
	v_add_co_u32_e32 v1, vcc, 0, v6
	s_waitcnt lgkmcnt(0)
	v_addc_co_u32_e32 v2, vcc, v7, v2, vcc
.LBB13_65:
	s_or_b64 exec, exec, s[2:3]
	s_waitcnt lgkmcnt(0)
	v_lshlrev_b32_e32 v7, 2, v3
	v_or_b32_e32 v8, 0x80, v7
	ds_bpermute_b32 v6, v8, v6
	ds_bpermute_b32 v8, v8, v2
	v_add_u32_e32 v4, 32, v4
	s_waitcnt lgkmcnt(1)
	v_add_co_u32_e32 v6, vcc, v1, v6
	v_addc_co_u32_e32 v9, vcc, 0, v2, vcc
	v_add_co_u32_e32 v6, vcc, 0, v6
	s_waitcnt lgkmcnt(0)
	v_addc_co_u32_e32 v8, vcc, v9, v8, vcc
	v_cmp_lt_u32_e32 vcc, v4, v5
	v_cndmask_b32_e32 v2, v2, v8, vcc
	v_cndmask_b32_e32 v1, v1, v6, vcc
	v_cmp_eq_u32_e32 vcc, 0, v3
	s_and_saveexec_b64 s[2:3], vcc
; %bb.66:
	v_lshrrev_b32_e32 v4, 3, v0
	v_and_b32_e32 v4, 24, v4
	ds_write_b64 v4, v[1:2] offset:160
; %bb.67:
	s_or_b64 exec, exec, s[2:3]
	v_cmp_gt_u32_e32 vcc, 4, v0
	s_waitcnt lgkmcnt(0)
	s_barrier
	s_and_saveexec_b64 s[2:3], vcc
	s_cbranch_execz .LBB13_71
; %bb.68:
	v_lshlrev_b32_e32 v1, 3, v3
	ds_read_b64 v[1:2], v1 offset:160
	v_and_b32_e32 v4, 3, v3
	v_cmp_ne_u32_e32 vcc, 3, v4
	v_addc_co_u32_e32 v3, vcc, 0, v3, vcc
	v_lshlrev_b32_e32 v3, 2, v3
	s_waitcnt lgkmcnt(0)
	ds_bpermute_b32 v6, v3, v1
	ds_bpermute_b32 v5, v3, v2
	s_add_i32 s4, s4, 63
	s_lshr_b32 s8, s4, 6
	v_add_u32_e32 v3, 1, v4
	v_cmp_gt_u32_e32 vcc, s8, v3
	v_mov_b32_e32 v3, v1
	s_and_saveexec_b64 s[4:5], vcc
	s_cbranch_execz .LBB13_70
; %bb.69:
	s_waitcnt lgkmcnt(1)
	v_add_co_u32_e32 v3, vcc, v1, v6
	v_addc_co_u32_e32 v2, vcc, 0, v2, vcc
	v_add_co_u32_e32 v1, vcc, 0, v3
	s_waitcnt lgkmcnt(0)
	v_addc_co_u32_e32 v2, vcc, v5, v2, vcc
.LBB13_70:
	s_or_b64 exec, exec, s[4:5]
	s_waitcnt lgkmcnt(0)
	v_or_b32_e32 v5, 8, v7
	ds_bpermute_b32 v3, v5, v3
	ds_bpermute_b32 v5, v5, v2
	v_add_u32_e32 v4, 2, v4
	s_waitcnt lgkmcnt(1)
	v_add_co_u32_e32 v3, vcc, v1, v3
	v_addc_co_u32_e32 v6, vcc, 0, v2, vcc
	v_add_co_u32_e32 v3, vcc, 0, v3
	s_waitcnt lgkmcnt(0)
	v_addc_co_u32_e32 v5, vcc, v6, v5, vcc
	v_cmp_gt_u32_e32 vcc, s8, v4
	v_cndmask_b32_e32 v2, v2, v5, vcc
	v_cndmask_b32_e32 v1, v1, v3, vcc
.LBB13_71:
	s_or_b64 exec, exec, s[2:3]
.LBB13_72:
	v_mov_b32_e32 v3, s6
	v_cmp_eq_u32_e64 s[2:3], 0, v0
	v_mov_b32_e32 v4, s7
	s_and_b64 vcc, exec, s[0:1]
	s_cbranch_vccnz .LBB13_14
	s_branch .LBB13_109
.LBB13_73:
	s_mov_b64 s[2:3], -1
                                        ; implicit-def: $vgpr1_vgpr2
.LBB13_74:
	s_and_b64 vcc, exec, s[2:3]
	s_cbranch_vccz .LBB13_108
; %bb.75:
	s_sub_i32 s27, s18, s0
	v_mov_b32_e32 v1, 0
	v_cmp_gt_u32_e32 vcc, s27, v0
	v_mov_b32_e32 v2, v1
	v_mov_b32_e32 v3, v1
	;; [unrolled: 1-line block ×15, first 2 shown]
	s_and_saveexec_b64 s[0:1], vcc
	s_cbranch_execz .LBB13_77
; %bb.76:
	v_mov_b32_e32 v3, v1
	v_mov_b32_e32 v4, v1
	;; [unrolled: 1-line block ×14, first 2 shown]
	v_lshlrev_b32_e32 v1, 3, v0
	global_load_dwordx2 v[1:2], v1, s[14:15]
.LBB13_77:
	s_or_b64 exec, exec, s[0:1]
	v_or_b32_e32 v17, 0x100, v0
	v_cmp_gt_u32_e32 vcc, s27, v17
	s_and_saveexec_b64 s[0:1], vcc
	s_cbranch_execz .LBB13_79
; %bb.78:
	v_lshlrev_b32_e32 v3, 3, v0
	global_load_dwordx2 v[3:4], v3, s[14:15] offset:2048
.LBB13_79:
	s_or_b64 exec, exec, s[0:1]
	v_or_b32_e32 v17, 0x200, v0
	v_cmp_gt_u32_e64 s[0:1], s27, v17
	s_and_saveexec_b64 s[2:3], s[0:1]
	s_cbranch_execz .LBB13_81
; %bb.80:
	v_lshlrev_b32_e32 v5, 3, v17
	global_load_dwordx2 v[5:6], v5, s[14:15]
.LBB13_81:
	s_or_b64 exec, exec, s[2:3]
	v_or_b32_e32 v17, 0x300, v0
	v_cmp_gt_u32_e64 s[2:3], s27, v17
	s_and_saveexec_b64 s[4:5], s[2:3]
	s_cbranch_execz .LBB13_83
; %bb.82:
	v_lshlrev_b32_e32 v7, 3, v17
	global_load_dwordx2 v[7:8], v7, s[14:15]
.LBB13_83:
	;; [unrolled: 9-line block ×6, first 2 shown]
	s_or_b64 exec, exec, s[24:25]
	s_waitcnt vmcnt(0)
	v_cndmask_b32_e32 v3, 0, v3, vcc
	v_cndmask_b32_e32 v4, 0, v4, vcc
	v_add_co_u32_e32 v1, vcc, v3, v1
	v_addc_co_u32_e32 v2, vcc, v4, v2, vcc
	v_cndmask_b32_e64 v4, 0, v5, s[0:1]
	v_cndmask_b32_e64 v3, 0, v6, s[0:1]
	v_add_co_u32_e32 v1, vcc, v1, v4
	v_addc_co_u32_e32 v2, vcc, v2, v3, vcc
	v_cndmask_b32_e64 v4, 0, v7, s[2:3]
	v_cndmask_b32_e64 v3, 0, v8, s[2:3]
	;; [unrolled: 4-line block ×6, first 2 shown]
	v_add_co_u32_e32 v1, vcc, v1, v4
	v_addc_co_u32_e32 v2, vcc, v2, v3, vcc
	v_mbcnt_lo_u32_b32 v3, -1, 0
	v_mbcnt_hi_u32_b32 v3, -1, v3
	v_and_b32_e32 v4, 63, v3
	v_cmp_ne_u32_e32 vcc, 63, v4
	v_addc_co_u32_e32 v6, vcc, 0, v3, vcc
	v_lshlrev_b32_e32 v6, 2, v6
	ds_bpermute_b32 v8, v6, v1
	ds_bpermute_b32 v7, v6, v2
	s_min_u32 s2, s27, 0x100
	v_and_b32_e32 v5, 0xc0, v0
	v_sub_u32_e64 v5, s2, v5 clamp
	v_add_u32_e32 v6, 1, v4
	v_cmp_lt_u32_e32 vcc, v6, v5
	v_mov_b32_e32 v6, v1
	s_and_saveexec_b64 s[0:1], vcc
	s_cbranch_execz .LBB13_93
; %bb.92:
	s_waitcnt lgkmcnt(1)
	v_add_co_u32_e32 v6, vcc, v1, v8
	v_addc_co_u32_e32 v2, vcc, 0, v2, vcc
	v_add_co_u32_e32 v1, vcc, 0, v6
	s_waitcnt lgkmcnt(0)
	v_addc_co_u32_e32 v2, vcc, v2, v7, vcc
.LBB13_93:
	s_or_b64 exec, exec, s[0:1]
	v_cmp_gt_u32_e32 vcc, 62, v4
	s_waitcnt lgkmcnt(0)
	v_cndmask_b32_e64 v7, 0, 2, vcc
	v_add_lshl_u32 v7, v7, v3, 2
	ds_bpermute_b32 v8, v7, v6
	ds_bpermute_b32 v7, v7, v2
	v_add_u32_e32 v9, 2, v4
	v_cmp_lt_u32_e32 vcc, v9, v5
	s_and_saveexec_b64 s[0:1], vcc
	s_cbranch_execz .LBB13_95
; %bb.94:
	s_waitcnt lgkmcnt(1)
	v_add_co_u32_e32 v6, vcc, v1, v8
	v_addc_co_u32_e32 v2, vcc, 0, v2, vcc
	v_add_co_u32_e32 v1, vcc, 0, v6
	s_waitcnt lgkmcnt(0)
	v_addc_co_u32_e32 v2, vcc, v7, v2, vcc
.LBB13_95:
	s_or_b64 exec, exec, s[0:1]
	v_cmp_gt_u32_e32 vcc, 60, v4
	s_waitcnt lgkmcnt(0)
	v_cndmask_b32_e64 v7, 0, 4, vcc
	v_add_lshl_u32 v7, v7, v3, 2
	ds_bpermute_b32 v8, v7, v6
	ds_bpermute_b32 v7, v7, v2
	v_add_u32_e32 v9, 4, v4
	v_cmp_lt_u32_e32 vcc, v9, v5
	;; [unrolled: 19-line block ×4, first 2 shown]
	s_and_saveexec_b64 s[0:1], vcc
	s_cbranch_execz .LBB13_101
; %bb.100:
	s_waitcnt lgkmcnt(1)
	v_add_co_u32_e32 v6, vcc, v1, v8
	v_addc_co_u32_e32 v2, vcc, 0, v2, vcc
	v_add_co_u32_e32 v1, vcc, 0, v6
	s_waitcnt lgkmcnt(0)
	v_addc_co_u32_e32 v2, vcc, v7, v2, vcc
.LBB13_101:
	s_or_b64 exec, exec, s[0:1]
	s_waitcnt lgkmcnt(0)
	v_lshlrev_b32_e32 v7, 2, v3
	v_or_b32_e32 v8, 0x80, v7
	ds_bpermute_b32 v6, v8, v6
	ds_bpermute_b32 v8, v8, v2
	v_add_u32_e32 v4, 32, v4
	s_waitcnt lgkmcnt(1)
	v_add_co_u32_e32 v6, vcc, v1, v6
	v_addc_co_u32_e32 v9, vcc, 0, v2, vcc
	v_add_co_u32_e32 v6, vcc, 0, v6
	s_waitcnt lgkmcnt(0)
	v_addc_co_u32_e32 v8, vcc, v9, v8, vcc
	v_cmp_lt_u32_e32 vcc, v4, v5
	v_cndmask_b32_e32 v2, v2, v8, vcc
	v_cndmask_b32_e32 v1, v1, v6, vcc
	v_cmp_eq_u32_e32 vcc, 0, v3
	s_and_saveexec_b64 s[0:1], vcc
; %bb.102:
	v_lshrrev_b32_e32 v4, 3, v0
	v_and_b32_e32 v4, 24, v4
	ds_write_b64 v4, v[1:2] offset:160
; %bb.103:
	s_or_b64 exec, exec, s[0:1]
	v_cmp_gt_u32_e32 vcc, 4, v0
	s_waitcnt lgkmcnt(0)
	s_barrier
	s_and_saveexec_b64 s[0:1], vcc
	s_cbranch_execz .LBB13_107
; %bb.104:
	v_lshlrev_b32_e32 v1, 3, v3
	ds_read_b64 v[1:2], v1 offset:160
	v_and_b32_e32 v4, 3, v3
	v_cmp_ne_u32_e32 vcc, 3, v4
	v_addc_co_u32_e32 v3, vcc, 0, v3, vcc
	v_lshlrev_b32_e32 v3, 2, v3
	s_waitcnt lgkmcnt(0)
	ds_bpermute_b32 v6, v3, v1
	ds_bpermute_b32 v5, v3, v2
	s_add_i32 s2, s2, 63
	s_lshr_b32 s4, s2, 6
	v_add_u32_e32 v3, 1, v4
	v_cmp_gt_u32_e32 vcc, s4, v3
	v_mov_b32_e32 v3, v1
	s_and_saveexec_b64 s[2:3], vcc
	s_cbranch_execz .LBB13_106
; %bb.105:
	s_waitcnt lgkmcnt(1)
	v_add_co_u32_e32 v3, vcc, v1, v6
	v_addc_co_u32_e32 v2, vcc, 0, v2, vcc
	v_add_co_u32_e32 v1, vcc, 0, v3
	s_waitcnt lgkmcnt(0)
	v_addc_co_u32_e32 v2, vcc, v5, v2, vcc
.LBB13_106:
	s_or_b64 exec, exec, s[2:3]
	s_waitcnt lgkmcnt(0)
	v_or_b32_e32 v5, 8, v7
	ds_bpermute_b32 v3, v5, v3
	ds_bpermute_b32 v5, v5, v2
	v_add_u32_e32 v4, 2, v4
	s_waitcnt lgkmcnt(1)
	v_add_co_u32_e32 v3, vcc, v1, v3
	v_addc_co_u32_e32 v6, vcc, 0, v2, vcc
	v_add_co_u32_e32 v3, vcc, 0, v3
	s_waitcnt lgkmcnt(0)
	v_addc_co_u32_e32 v5, vcc, v6, v5, vcc
	v_cmp_gt_u32_e32 vcc, s4, v4
	v_cndmask_b32_e32 v2, v2, v5, vcc
	v_cndmask_b32_e32 v1, v1, v3, vcc
.LBB13_107:
	s_or_b64 exec, exec, s[0:1]
.LBB13_108:
	v_mov_b32_e32 v3, s6
	v_cmp_eq_u32_e64 s[2:3], 0, v0
	v_mov_b32_e32 v4, s7
.LBB13_109:
	s_branch .LBB13_144
.LBB13_110:
	s_cmp_eq_u32 s26, 4
                                        ; implicit-def: $vgpr1_vgpr2
                                        ; implicit-def: $vgpr3_vgpr4
	s_cbranch_scc0 .LBB13_144
; %bb.111:
	s_mov_b32 s7, 0
	s_lshl_b32 s0, s6, 10
	s_mov_b32 s1, s7
	s_lshr_b64 s[2:3], s[18:19], 10
	s_lshl_b64 s[4:5], s[0:1], 3
	s_add_u32 s4, s16, s4
	s_addc_u32 s5, s17, s5
	s_cmp_lg_u64 s[2:3], s[6:7]
	s_cbranch_scc0 .LBB13_117
; %bb.112:
	v_lshlrev_b32_e32 v3, 3, v0
	v_mov_b32_e32 v1, s5
	v_add_co_u32_e32 v4, vcc, s4, v3
	v_addc_co_u32_e32 v7, vcc, 0, v1, vcc
	global_load_dwordx2 v[1:2], v3, s[4:5]
	global_load_dwordx2 v[5:6], v3, s[4:5] offset:2048
	v_add_co_u32_e32 v3, vcc, 0x1000, v4
	v_addc_co_u32_e32 v4, vcc, 0, v7, vcc
	global_load_dwordx2 v[7:8], v[3:4], off
	global_load_dwordx2 v[9:10], v[3:4], off offset:2048
	v_mbcnt_lo_u32_b32 v3, -1, 0
	v_mbcnt_hi_u32_b32 v3, -1, v3
	v_lshlrev_b32_e32 v4, 2, v3
	v_or_b32_e32 v11, 0xfc, v4
	s_waitcnt vmcnt(2)
	v_add_co_u32_e32 v1, vcc, v5, v1
	v_addc_co_u32_e32 v2, vcc, v6, v2, vcc
	s_waitcnt vmcnt(1)
	v_add_co_u32_e32 v1, vcc, v1, v7
	v_addc_co_u32_e32 v2, vcc, v2, v8, vcc
	;; [unrolled: 3-line block ×3, first 2 shown]
	s_nop 0
	v_mov_b32_dpp v5, v1 quad_perm:[1,0,3,2] row_mask:0xf bank_mask:0xf bound_ctrl:1
	v_add_co_u32_e32 v1, vcc, v1, v5
	v_mov_b32_dpp v6, v2 quad_perm:[1,0,3,2] row_mask:0xf bank_mask:0xf bound_ctrl:1
	v_addc_co_u32_e32 v2, vcc, 0, v2, vcc
	v_add_co_u32_e32 v5, vcc, 0, v1
	v_addc_co_u32_e32 v2, vcc, v6, v2, vcc
	v_mov_b32_dpp v1, v1 quad_perm:[2,3,0,1] row_mask:0xf bank_mask:0xf bound_ctrl:1
	v_add_co_u32_e32 v1, vcc, v5, v1
	v_mov_b32_dpp v6, v2 quad_perm:[2,3,0,1] row_mask:0xf bank_mask:0xf bound_ctrl:1
	v_addc_co_u32_e32 v2, vcc, 0, v2, vcc
	v_add_co_u32_e32 v5, vcc, 0, v1
	v_addc_co_u32_e32 v2, vcc, v2, v6, vcc
	v_mov_b32_dpp v1, v1 row_ror:4 row_mask:0xf bank_mask:0xf bound_ctrl:1
	v_add_co_u32_e32 v1, vcc, v5, v1
	v_mov_b32_dpp v6, v2 row_ror:4 row_mask:0xf bank_mask:0xf bound_ctrl:1
	v_addc_co_u32_e32 v2, vcc, 0, v2, vcc
	v_add_co_u32_e32 v5, vcc, 0, v1
	v_addc_co_u32_e32 v2, vcc, v2, v6, vcc
	v_mov_b32_dpp v1, v1 row_ror:8 row_mask:0xf bank_mask:0xf bound_ctrl:1
	v_add_co_u32_e32 v1, vcc, v5, v1
	v_mov_b32_dpp v6, v2 row_ror:8 row_mask:0xf bank_mask:0xf bound_ctrl:1
	v_addc_co_u32_e32 v2, vcc, 0, v2, vcc
	v_add_co_u32_e32 v5, vcc, 0, v1
	v_addc_co_u32_e32 v2, vcc, v2, v6, vcc
	v_mov_b32_dpp v1, v1 row_bcast:15 row_mask:0xf bank_mask:0xf bound_ctrl:1
	v_add_co_u32_e32 v1, vcc, v5, v1
	v_mov_b32_dpp v6, v2 row_bcast:15 row_mask:0xf bank_mask:0xf bound_ctrl:1
	v_addc_co_u32_e32 v2, vcc, 0, v2, vcc
	v_add_co_u32_e32 v5, vcc, 0, v1
	v_addc_co_u32_e32 v2, vcc, v2, v6, vcc
	v_mov_b32_dpp v1, v1 row_bcast:31 row_mask:0xf bank_mask:0xf bound_ctrl:1
	v_add_co_u32_e32 v1, vcc, v5, v1
	v_addc_co_u32_e32 v5, vcc, 0, v2, vcc
	ds_bpermute_b32 v1, v11, v1
	s_nop 0
	v_add_u32_dpp v2, v2, v5 row_bcast:31 row_mask:0xf bank_mask:0xf bound_ctrl:1
	ds_bpermute_b32 v2, v11, v2
	v_cmp_eq_u32_e32 vcc, 0, v3
	s_and_saveexec_b64 s[2:3], vcc
	s_cbranch_execz .LBB13_114
; %bb.113:
	v_lshrrev_b32_e32 v5, 3, v0
	v_and_b32_e32 v5, 24, v5
	s_waitcnt lgkmcnt(0)
	ds_write_b64 v5, v[1:2] offset:96
.LBB13_114:
	s_or_b64 exec, exec, s[2:3]
	v_cmp_gt_u32_e32 vcc, 64, v0
	s_waitcnt lgkmcnt(0)
	s_barrier
	s_and_saveexec_b64 s[2:3], vcc
	s_cbranch_execz .LBB13_116
; %bb.115:
	v_and_b32_e32 v5, 3, v3
	v_lshlrev_b32_e32 v1, 3, v5
	ds_read_b64 v[1:2], v1 offset:96
	v_cmp_ne_u32_e32 vcc, 3, v5
	v_addc_co_u32_e32 v3, vcc, 0, v3, vcc
	v_lshlrev_b32_e32 v3, 2, v3
	s_waitcnt lgkmcnt(0)
	ds_bpermute_b32 v5, v3, v1
	ds_bpermute_b32 v3, v3, v2
	v_or_b32_e32 v4, 8, v4
	s_waitcnt lgkmcnt(1)
	v_add_co_u32_e32 v1, vcc, v1, v5
	v_addc_co_u32_e32 v2, vcc, 0, v2, vcc
	ds_bpermute_b32 v5, v4, v1
	v_add_co_u32_e32 v1, vcc, 0, v1
	s_waitcnt lgkmcnt(1)
	v_addc_co_u32_e32 v2, vcc, v3, v2, vcc
	ds_bpermute_b32 v3, v4, v2
	s_waitcnt lgkmcnt(1)
	v_add_co_u32_e32 v1, vcc, v1, v5
	v_addc_co_u32_e32 v2, vcc, 0, v2, vcc
	v_add_co_u32_e32 v1, vcc, 0, v1
	s_waitcnt lgkmcnt(0)
	v_addc_co_u32_e32 v2, vcc, v2, v3, vcc
.LBB13_116:
	s_or_b64 exec, exec, s[2:3]
	s_branch .LBB13_143
.LBB13_117:
                                        ; implicit-def: $vgpr1_vgpr2
	s_cbranch_execz .LBB13_143
; %bb.118:
	s_sub_i32 s10, s18, s0
	v_mov_b32_e32 v1, 0
	v_cmp_gt_u32_e32 vcc, s10, v0
	v_mov_b32_e32 v2, v1
	v_mov_b32_e32 v3, v1
	;; [unrolled: 1-line block ×7, first 2 shown]
	s_and_saveexec_b64 s[0:1], vcc
	s_cbranch_execz .LBB13_120
; %bb.119:
	v_lshlrev_b32_e32 v2, 3, v0
	global_load_dwordx2 v[2:3], v2, s[4:5]
	v_mov_b32_e32 v4, v1
	v_mov_b32_e32 v5, v1
	;; [unrolled: 1-line block ×6, first 2 shown]
	s_waitcnt vmcnt(0)
	v_mov_b32_e32 v1, v2
	v_mov_b32_e32 v2, v3
	;; [unrolled: 1-line block ×8, first 2 shown]
.LBB13_120:
	s_or_b64 exec, exec, s[0:1]
	v_or_b32_e32 v9, 0x100, v0
	v_cmp_gt_u32_e32 vcc, s10, v9
	s_and_saveexec_b64 s[0:1], vcc
	s_cbranch_execz .LBB13_122
; %bb.121:
	v_lshlrev_b32_e32 v3, 3, v0
	global_load_dwordx2 v[3:4], v3, s[4:5] offset:2048
.LBB13_122:
	s_or_b64 exec, exec, s[0:1]
	v_or_b32_e32 v9, 0x200, v0
	v_cmp_gt_u32_e64 s[0:1], s10, v9
	s_and_saveexec_b64 s[2:3], s[0:1]
	s_cbranch_execz .LBB13_124
; %bb.123:
	v_lshlrev_b32_e32 v5, 3, v9
	global_load_dwordx2 v[5:6], v5, s[4:5]
.LBB13_124:
	s_or_b64 exec, exec, s[2:3]
	v_or_b32_e32 v9, 0x300, v0
	v_cmp_gt_u32_e64 s[2:3], s10, v9
	s_and_saveexec_b64 s[8:9], s[2:3]
	s_cbranch_execz .LBB13_126
; %bb.125:
	v_lshlrev_b32_e32 v7, 3, v9
	global_load_dwordx2 v[7:8], v7, s[4:5]
.LBB13_126:
	s_or_b64 exec, exec, s[8:9]
	s_waitcnt vmcnt(0)
	v_cndmask_b32_e32 v3, 0, v3, vcc
	v_cndmask_b32_e32 v4, 0, v4, vcc
	v_add_co_u32_e32 v1, vcc, v3, v1
	v_addc_co_u32_e32 v2, vcc, v4, v2, vcc
	v_cndmask_b32_e64 v4, 0, v5, s[0:1]
	v_cndmask_b32_e64 v3, 0, v6, s[0:1]
	v_add_co_u32_e32 v1, vcc, v1, v4
	v_addc_co_u32_e32 v2, vcc, v2, v3, vcc
	v_cndmask_b32_e64 v4, 0, v7, s[2:3]
	v_cndmask_b32_e64 v3, 0, v8, s[2:3]
	v_add_co_u32_e32 v1, vcc, v1, v4
	v_addc_co_u32_e32 v2, vcc, v2, v3, vcc
	v_mbcnt_lo_u32_b32 v3, -1, 0
	v_mbcnt_hi_u32_b32 v3, -1, v3
	v_and_b32_e32 v4, 63, v3
	v_cmp_ne_u32_e32 vcc, 63, v4
	v_addc_co_u32_e32 v6, vcc, 0, v3, vcc
	v_lshlrev_b32_e32 v6, 2, v6
	ds_bpermute_b32 v8, v6, v1
	ds_bpermute_b32 v7, v6, v2
	s_min_u32 s2, s10, 0x100
	v_and_b32_e32 v5, 0xc0, v0
	v_sub_u32_e64 v5, s2, v5 clamp
	v_add_u32_e32 v6, 1, v4
	v_cmp_lt_u32_e32 vcc, v6, v5
	v_mov_b32_e32 v6, v1
	s_and_saveexec_b64 s[0:1], vcc
	s_cbranch_execz .LBB13_128
; %bb.127:
	s_waitcnt lgkmcnt(1)
	v_add_co_u32_e32 v6, vcc, v1, v8
	v_addc_co_u32_e32 v2, vcc, 0, v2, vcc
	v_add_co_u32_e32 v1, vcc, 0, v6
	s_waitcnt lgkmcnt(0)
	v_addc_co_u32_e32 v2, vcc, v7, v2, vcc
.LBB13_128:
	s_or_b64 exec, exec, s[0:1]
	v_cmp_gt_u32_e32 vcc, 62, v4
	s_waitcnt lgkmcnt(0)
	v_cndmask_b32_e64 v7, 0, 2, vcc
	v_add_lshl_u32 v7, v7, v3, 2
	ds_bpermute_b32 v8, v7, v6
	ds_bpermute_b32 v7, v7, v2
	v_add_u32_e32 v9, 2, v4
	v_cmp_lt_u32_e32 vcc, v9, v5
	s_and_saveexec_b64 s[0:1], vcc
	s_cbranch_execz .LBB13_130
; %bb.129:
	s_waitcnt lgkmcnt(1)
	v_add_co_u32_e32 v6, vcc, v1, v8
	v_addc_co_u32_e32 v2, vcc, 0, v2, vcc
	v_add_co_u32_e32 v1, vcc, 0, v6
	s_waitcnt lgkmcnt(0)
	v_addc_co_u32_e32 v2, vcc, v7, v2, vcc
.LBB13_130:
	s_or_b64 exec, exec, s[0:1]
	v_cmp_gt_u32_e32 vcc, 60, v4
	s_waitcnt lgkmcnt(0)
	v_cndmask_b32_e64 v7, 0, 4, vcc
	v_add_lshl_u32 v7, v7, v3, 2
	ds_bpermute_b32 v8, v7, v6
	ds_bpermute_b32 v7, v7, v2
	v_add_u32_e32 v9, 4, v4
	v_cmp_lt_u32_e32 vcc, v9, v5
	;; [unrolled: 19-line block ×4, first 2 shown]
	s_and_saveexec_b64 s[0:1], vcc
	s_cbranch_execz .LBB13_136
; %bb.135:
	s_waitcnt lgkmcnt(1)
	v_add_co_u32_e32 v6, vcc, v1, v8
	v_addc_co_u32_e32 v2, vcc, 0, v2, vcc
	v_add_co_u32_e32 v1, vcc, 0, v6
	s_waitcnt lgkmcnt(0)
	v_addc_co_u32_e32 v2, vcc, v7, v2, vcc
.LBB13_136:
	s_or_b64 exec, exec, s[0:1]
	s_waitcnt lgkmcnt(0)
	v_lshlrev_b32_e32 v7, 2, v3
	v_or_b32_e32 v8, 0x80, v7
	ds_bpermute_b32 v6, v8, v6
	ds_bpermute_b32 v8, v8, v2
	v_add_u32_e32 v4, 32, v4
	s_waitcnt lgkmcnt(1)
	v_add_co_u32_e32 v6, vcc, v1, v6
	v_addc_co_u32_e32 v9, vcc, 0, v2, vcc
	v_add_co_u32_e32 v6, vcc, 0, v6
	s_waitcnt lgkmcnt(0)
	v_addc_co_u32_e32 v8, vcc, v9, v8, vcc
	v_cmp_lt_u32_e32 vcc, v4, v5
	v_cndmask_b32_e32 v2, v2, v8, vcc
	v_cndmask_b32_e32 v1, v1, v6, vcc
	v_cmp_eq_u32_e32 vcc, 0, v3
	s_and_saveexec_b64 s[0:1], vcc
; %bb.137:
	v_lshrrev_b32_e32 v4, 3, v0
	v_and_b32_e32 v4, 24, v4
	ds_write_b64 v4, v[1:2] offset:160
; %bb.138:
	s_or_b64 exec, exec, s[0:1]
	v_cmp_gt_u32_e32 vcc, 4, v0
	s_waitcnt lgkmcnt(0)
	s_barrier
	s_and_saveexec_b64 s[0:1], vcc
	s_cbranch_execz .LBB13_142
; %bb.139:
	v_lshlrev_b32_e32 v1, 3, v3
	ds_read_b64 v[1:2], v1 offset:160
	v_and_b32_e32 v4, 3, v3
	v_cmp_ne_u32_e32 vcc, 3, v4
	v_addc_co_u32_e32 v3, vcc, 0, v3, vcc
	v_lshlrev_b32_e32 v3, 2, v3
	s_waitcnt lgkmcnt(0)
	ds_bpermute_b32 v6, v3, v1
	ds_bpermute_b32 v5, v3, v2
	s_add_i32 s2, s2, 63
	s_lshr_b32 s4, s2, 6
	v_add_u32_e32 v3, 1, v4
	v_cmp_gt_u32_e32 vcc, s4, v3
	v_mov_b32_e32 v3, v1
	s_and_saveexec_b64 s[2:3], vcc
	s_cbranch_execz .LBB13_141
; %bb.140:
	s_waitcnt lgkmcnt(1)
	v_add_co_u32_e32 v3, vcc, v1, v6
	v_addc_co_u32_e32 v2, vcc, 0, v2, vcc
	v_add_co_u32_e32 v1, vcc, 0, v3
	s_waitcnt lgkmcnt(0)
	v_addc_co_u32_e32 v2, vcc, v5, v2, vcc
.LBB13_141:
	s_or_b64 exec, exec, s[2:3]
	s_waitcnt lgkmcnt(0)
	v_or_b32_e32 v5, 8, v7
	ds_bpermute_b32 v3, v5, v3
	ds_bpermute_b32 v5, v5, v2
	v_add_u32_e32 v4, 2, v4
	s_waitcnt lgkmcnt(1)
	v_add_co_u32_e32 v3, vcc, v1, v3
	v_addc_co_u32_e32 v6, vcc, 0, v2, vcc
	v_add_co_u32_e32 v3, vcc, 0, v3
	s_waitcnt lgkmcnt(0)
	v_addc_co_u32_e32 v5, vcc, v6, v5, vcc
	v_cmp_gt_u32_e32 vcc, s4, v4
	v_cndmask_b32_e32 v2, v2, v5, vcc
	v_cndmask_b32_e32 v1, v1, v3, vcc
.LBB13_142:
	s_or_b64 exec, exec, s[0:1]
.LBB13_143:
	v_mov_b32_e32 v3, s6
	v_cmp_eq_u32_e64 s[2:3], 0, v0
	v_mov_b32_e32 v4, s7
.LBB13_144:
	s_branch .LBB13_206
.LBB13_145:
	s_cmp_gt_i32 s26, 1
	s_cbranch_scc0 .LBB13_153
; %bb.146:
	s_cmp_eq_u32 s26, 2
                                        ; implicit-def: $vgpr1_vgpr2
                                        ; implicit-def: $vgpr3_vgpr4
	s_cbranch_scc0 .LBB13_154
; %bb.147:
	s_mov_b32 s7, 0
	s_lshl_b32 s2, s6, 9
	s_mov_b32 s3, s7
	s_lshr_b64 s[4:5], s[18:19], 9
	s_lshl_b64 s[0:1], s[2:3], 3
	s_add_u32 s0, s16, s0
	s_addc_u32 s1, s17, s1
	s_cmp_lg_u64 s[4:5], s[6:7]
	s_cbranch_scc0 .LBB13_155
; %bb.148:
	v_lshlrev_b32_e32 v3, 3, v0
	global_load_dwordx2 v[1:2], v3, s[0:1]
	global_load_dwordx2 v[5:6], v3, s[0:1] offset:2048
	v_mbcnt_lo_u32_b32 v3, -1, 0
	v_mbcnt_hi_u32_b32 v3, -1, v3
	v_lshlrev_b32_e32 v4, 2, v3
	v_or_b32_e32 v7, 0xfc, v4
	s_waitcnt vmcnt(0)
	v_add_co_u32_e32 v1, vcc, v5, v1
	v_addc_co_u32_e32 v2, vcc, v6, v2, vcc
	s_nop 0
	v_mov_b32_dpp v5, v1 quad_perm:[1,0,3,2] row_mask:0xf bank_mask:0xf bound_ctrl:1
	v_add_co_u32_e32 v1, vcc, v1, v5
	v_mov_b32_dpp v6, v2 quad_perm:[1,0,3,2] row_mask:0xf bank_mask:0xf bound_ctrl:1
	v_addc_co_u32_e32 v2, vcc, 0, v2, vcc
	v_add_co_u32_e32 v5, vcc, 0, v1
	v_addc_co_u32_e32 v2, vcc, v6, v2, vcc
	v_mov_b32_dpp v1, v1 quad_perm:[2,3,0,1] row_mask:0xf bank_mask:0xf bound_ctrl:1
	v_add_co_u32_e32 v1, vcc, v5, v1
	v_mov_b32_dpp v6, v2 quad_perm:[2,3,0,1] row_mask:0xf bank_mask:0xf bound_ctrl:1
	v_addc_co_u32_e32 v2, vcc, 0, v2, vcc
	v_add_co_u32_e32 v5, vcc, 0, v1
	v_addc_co_u32_e32 v2, vcc, v2, v6, vcc
	v_mov_b32_dpp v1, v1 row_ror:4 row_mask:0xf bank_mask:0xf bound_ctrl:1
	v_add_co_u32_e32 v1, vcc, v5, v1
	v_mov_b32_dpp v6, v2 row_ror:4 row_mask:0xf bank_mask:0xf bound_ctrl:1
	v_addc_co_u32_e32 v2, vcc, 0, v2, vcc
	v_add_co_u32_e32 v5, vcc, 0, v1
	v_addc_co_u32_e32 v2, vcc, v2, v6, vcc
	v_mov_b32_dpp v1, v1 row_ror:8 row_mask:0xf bank_mask:0xf bound_ctrl:1
	v_add_co_u32_e32 v1, vcc, v5, v1
	v_mov_b32_dpp v6, v2 row_ror:8 row_mask:0xf bank_mask:0xf bound_ctrl:1
	v_addc_co_u32_e32 v2, vcc, 0, v2, vcc
	v_add_co_u32_e32 v5, vcc, 0, v1
	v_addc_co_u32_e32 v2, vcc, v2, v6, vcc
	v_mov_b32_dpp v1, v1 row_bcast:15 row_mask:0xf bank_mask:0xf bound_ctrl:1
	v_add_co_u32_e32 v1, vcc, v5, v1
	v_mov_b32_dpp v6, v2 row_bcast:15 row_mask:0xf bank_mask:0xf bound_ctrl:1
	v_addc_co_u32_e32 v2, vcc, 0, v2, vcc
	v_add_co_u32_e32 v5, vcc, 0, v1
	v_addc_co_u32_e32 v2, vcc, v2, v6, vcc
	v_mov_b32_dpp v1, v1 row_bcast:31 row_mask:0xf bank_mask:0xf bound_ctrl:1
	v_add_co_u32_e32 v1, vcc, v5, v1
	v_addc_co_u32_e32 v5, vcc, 0, v2, vcc
	ds_bpermute_b32 v1, v7, v1
	s_nop 0
	v_add_u32_dpp v2, v2, v5 row_bcast:31 row_mask:0xf bank_mask:0xf bound_ctrl:1
	ds_bpermute_b32 v2, v7, v2
	v_cmp_eq_u32_e32 vcc, 0, v3
	s_and_saveexec_b64 s[4:5], vcc
	s_cbranch_execz .LBB13_150
; %bb.149:
	v_lshrrev_b32_e32 v5, 3, v0
	v_and_b32_e32 v5, 24, v5
	s_waitcnt lgkmcnt(0)
	ds_write_b64 v5, v[1:2] offset:64
.LBB13_150:
	s_or_b64 exec, exec, s[4:5]
	v_cmp_gt_u32_e32 vcc, 64, v0
	s_waitcnt lgkmcnt(0)
	s_barrier
	s_and_saveexec_b64 s[4:5], vcc
	s_cbranch_execz .LBB13_152
; %bb.151:
	v_and_b32_e32 v5, 3, v3
	v_lshlrev_b32_e32 v1, 3, v5
	ds_read_b64 v[1:2], v1 offset:64
	v_cmp_ne_u32_e32 vcc, 3, v5
	v_addc_co_u32_e32 v3, vcc, 0, v3, vcc
	v_lshlrev_b32_e32 v3, 2, v3
	s_waitcnt lgkmcnt(0)
	ds_bpermute_b32 v5, v3, v1
	ds_bpermute_b32 v3, v3, v2
	v_or_b32_e32 v4, 8, v4
	s_waitcnt lgkmcnt(1)
	v_add_co_u32_e32 v1, vcc, v1, v5
	v_addc_co_u32_e32 v2, vcc, 0, v2, vcc
	ds_bpermute_b32 v5, v4, v1
	v_add_co_u32_e32 v1, vcc, 0, v1
	s_waitcnt lgkmcnt(1)
	v_addc_co_u32_e32 v2, vcc, v3, v2, vcc
	ds_bpermute_b32 v3, v4, v2
	s_waitcnt lgkmcnt(1)
	v_add_co_u32_e32 v1, vcc, v1, v5
	v_addc_co_u32_e32 v2, vcc, 0, v2, vcc
	v_add_co_u32_e32 v1, vcc, 0, v1
	s_waitcnt lgkmcnt(0)
	v_addc_co_u32_e32 v2, vcc, v2, v3, vcc
.LBB13_152:
	s_or_b64 exec, exec, s[4:5]
	s_branch .LBB13_177
.LBB13_153:
                                        ; implicit-def: $vgpr1_vgpr2
                                        ; implicit-def: $vgpr3_vgpr4
	s_cbranch_execnz .LBB13_178
	s_branch .LBB13_206
.LBB13_154:
	s_branch .LBB13_206
.LBB13_155:
                                        ; implicit-def: $vgpr1_vgpr2
	s_cbranch_execz .LBB13_177
; %bb.156:
	s_sub_i32 s4, s18, s2
	v_mov_b32_e32 v1, 0
	v_cmp_gt_u32_e32 vcc, s4, v0
	v_mov_b32_e32 v2, v1
	v_mov_b32_e32 v3, v1
	;; [unrolled: 1-line block ×3, first 2 shown]
	s_and_saveexec_b64 s[2:3], vcc
	s_cbranch_execz .LBB13_158
; %bb.157:
	v_lshlrev_b32_e32 v2, 3, v0
	global_load_dwordx2 v[2:3], v2, s[0:1]
	v_mov_b32_e32 v4, v1
	v_mov_b32_e32 v5, v1
	s_waitcnt vmcnt(0)
	v_mov_b32_e32 v1, v2
	v_mov_b32_e32 v2, v3
	;; [unrolled: 1-line block ×4, first 2 shown]
.LBB13_158:
	s_or_b64 exec, exec, s[2:3]
	v_or_b32_e32 v5, 0x100, v0
	v_cmp_gt_u32_e32 vcc, s4, v5
	s_and_saveexec_b64 s[2:3], vcc
	s_cbranch_execz .LBB13_160
; %bb.159:
	v_lshlrev_b32_e32 v3, 3, v0
	global_load_dwordx2 v[3:4], v3, s[0:1] offset:2048
.LBB13_160:
	s_or_b64 exec, exec, s[2:3]
	s_waitcnt vmcnt(0)
	v_cndmask_b32_e32 v3, 0, v3, vcc
	v_cndmask_b32_e32 v4, 0, v4, vcc
	v_add_co_u32_e32 v1, vcc, v3, v1
	v_mbcnt_lo_u32_b32 v3, -1, 0
	v_mbcnt_hi_u32_b32 v3, -1, v3
	v_addc_co_u32_e32 v2, vcc, v4, v2, vcc
	v_and_b32_e32 v4, 63, v3
	v_cmp_ne_u32_e32 vcc, 63, v4
	v_addc_co_u32_e32 v6, vcc, 0, v3, vcc
	v_lshlrev_b32_e32 v6, 2, v6
	ds_bpermute_b32 v8, v6, v1
	ds_bpermute_b32 v7, v6, v2
	s_min_u32 s2, s4, 0x100
	v_and_b32_e32 v5, 0xc0, v0
	v_sub_u32_e64 v5, s2, v5 clamp
	v_add_u32_e32 v6, 1, v4
	v_cmp_lt_u32_e32 vcc, v6, v5
	v_mov_b32_e32 v6, v1
	s_and_saveexec_b64 s[0:1], vcc
	s_cbranch_execz .LBB13_162
; %bb.161:
	s_waitcnt lgkmcnt(1)
	v_add_co_u32_e32 v6, vcc, v1, v8
	v_addc_co_u32_e32 v2, vcc, 0, v2, vcc
	v_add_co_u32_e32 v1, vcc, 0, v6
	s_waitcnt lgkmcnt(0)
	v_addc_co_u32_e32 v2, vcc, v7, v2, vcc
.LBB13_162:
	s_or_b64 exec, exec, s[0:1]
	v_cmp_gt_u32_e32 vcc, 62, v4
	s_waitcnt lgkmcnt(0)
	v_cndmask_b32_e64 v7, 0, 2, vcc
	v_add_lshl_u32 v7, v7, v3, 2
	ds_bpermute_b32 v8, v7, v6
	ds_bpermute_b32 v7, v7, v2
	v_add_u32_e32 v9, 2, v4
	v_cmp_lt_u32_e32 vcc, v9, v5
	s_and_saveexec_b64 s[0:1], vcc
	s_cbranch_execz .LBB13_164
; %bb.163:
	s_waitcnt lgkmcnt(1)
	v_add_co_u32_e32 v6, vcc, v1, v8
	v_addc_co_u32_e32 v2, vcc, 0, v2, vcc
	v_add_co_u32_e32 v1, vcc, 0, v6
	s_waitcnt lgkmcnt(0)
	v_addc_co_u32_e32 v2, vcc, v7, v2, vcc
.LBB13_164:
	s_or_b64 exec, exec, s[0:1]
	v_cmp_gt_u32_e32 vcc, 60, v4
	s_waitcnt lgkmcnt(0)
	v_cndmask_b32_e64 v7, 0, 4, vcc
	v_add_lshl_u32 v7, v7, v3, 2
	ds_bpermute_b32 v8, v7, v6
	ds_bpermute_b32 v7, v7, v2
	v_add_u32_e32 v9, 4, v4
	v_cmp_lt_u32_e32 vcc, v9, v5
	;; [unrolled: 19-line block ×4, first 2 shown]
	s_and_saveexec_b64 s[0:1], vcc
	s_cbranch_execz .LBB13_170
; %bb.169:
	s_waitcnt lgkmcnt(1)
	v_add_co_u32_e32 v6, vcc, v1, v8
	v_addc_co_u32_e32 v2, vcc, 0, v2, vcc
	v_add_co_u32_e32 v1, vcc, 0, v6
	s_waitcnt lgkmcnt(0)
	v_addc_co_u32_e32 v2, vcc, v7, v2, vcc
.LBB13_170:
	s_or_b64 exec, exec, s[0:1]
	s_waitcnt lgkmcnt(0)
	v_lshlrev_b32_e32 v7, 2, v3
	v_or_b32_e32 v8, 0x80, v7
	ds_bpermute_b32 v6, v8, v6
	ds_bpermute_b32 v8, v8, v2
	v_add_u32_e32 v4, 32, v4
	s_waitcnt lgkmcnt(1)
	v_add_co_u32_e32 v6, vcc, v1, v6
	v_addc_co_u32_e32 v9, vcc, 0, v2, vcc
	v_add_co_u32_e32 v6, vcc, 0, v6
	s_waitcnt lgkmcnt(0)
	v_addc_co_u32_e32 v8, vcc, v9, v8, vcc
	v_cmp_lt_u32_e32 vcc, v4, v5
	v_cndmask_b32_e32 v2, v2, v8, vcc
	v_cndmask_b32_e32 v1, v1, v6, vcc
	v_cmp_eq_u32_e32 vcc, 0, v3
	s_and_saveexec_b64 s[0:1], vcc
; %bb.171:
	v_lshrrev_b32_e32 v4, 3, v0
	v_and_b32_e32 v4, 24, v4
	ds_write_b64 v4, v[1:2] offset:160
; %bb.172:
	s_or_b64 exec, exec, s[0:1]
	v_cmp_gt_u32_e32 vcc, 4, v0
	s_waitcnt lgkmcnt(0)
	s_barrier
	s_and_saveexec_b64 s[0:1], vcc
	s_cbranch_execz .LBB13_176
; %bb.173:
	v_lshlrev_b32_e32 v1, 3, v3
	ds_read_b64 v[1:2], v1 offset:160
	v_and_b32_e32 v4, 3, v3
	v_cmp_ne_u32_e32 vcc, 3, v4
	v_addc_co_u32_e32 v3, vcc, 0, v3, vcc
	v_lshlrev_b32_e32 v3, 2, v3
	s_waitcnt lgkmcnt(0)
	ds_bpermute_b32 v6, v3, v1
	ds_bpermute_b32 v5, v3, v2
	s_add_i32 s2, s2, 63
	s_lshr_b32 s4, s2, 6
	v_add_u32_e32 v3, 1, v4
	v_cmp_gt_u32_e32 vcc, s4, v3
	v_mov_b32_e32 v3, v1
	s_and_saveexec_b64 s[2:3], vcc
	s_cbranch_execz .LBB13_175
; %bb.174:
	s_waitcnt lgkmcnt(1)
	v_add_co_u32_e32 v3, vcc, v1, v6
	v_addc_co_u32_e32 v2, vcc, 0, v2, vcc
	v_add_co_u32_e32 v1, vcc, 0, v3
	s_waitcnt lgkmcnt(0)
	v_addc_co_u32_e32 v2, vcc, v5, v2, vcc
.LBB13_175:
	s_or_b64 exec, exec, s[2:3]
	s_waitcnt lgkmcnt(0)
	v_or_b32_e32 v5, 8, v7
	ds_bpermute_b32 v3, v5, v3
	ds_bpermute_b32 v5, v5, v2
	v_add_u32_e32 v4, 2, v4
	s_waitcnt lgkmcnt(1)
	v_add_co_u32_e32 v3, vcc, v1, v3
	v_addc_co_u32_e32 v6, vcc, 0, v2, vcc
	v_add_co_u32_e32 v3, vcc, 0, v3
	s_waitcnt lgkmcnt(0)
	v_addc_co_u32_e32 v5, vcc, v6, v5, vcc
	v_cmp_gt_u32_e32 vcc, s4, v4
	v_cndmask_b32_e32 v2, v2, v5, vcc
	v_cndmask_b32_e32 v1, v1, v3, vcc
.LBB13_176:
	s_or_b64 exec, exec, s[0:1]
.LBB13_177:
	v_mov_b32_e32 v3, s6
	v_cmp_eq_u32_e64 s[2:3], 0, v0
	v_mov_b32_e32 v4, s7
	s_branch .LBB13_206
.LBB13_178:
	s_cmp_eq_u32 s26, 1
                                        ; implicit-def: $vgpr1_vgpr2
                                        ; implicit-def: $vgpr3_vgpr4
	s_cbranch_scc0 .LBB13_206
; %bb.179:
	s_mov_b32 s1, 0
	s_lshl_b32 s0, s6, 8
	s_mov_b32 s7, s1
	s_lshr_b64 s[2:3], s[18:19], 8
	s_cmp_lg_u64 s[2:3], s[6:7]
	v_mbcnt_lo_u32_b32 v3, -1, 0
	s_cbranch_scc0 .LBB13_185
; %bb.180:
	s_lshl_b64 s[2:3], s[0:1], 3
	s_add_u32 s2, s16, s2
	s_addc_u32 s3, s17, s3
	v_lshlrev_b32_e32 v1, 3, v0
	global_load_dwordx2 v[1:2], v1, s[2:3]
	v_mbcnt_hi_u32_b32 v4, -1, v3
	v_lshlrev_b32_e32 v5, 2, v4
	v_or_b32_e32 v6, 0xfc, v5
	s_waitcnt vmcnt(0)
	v_mov_b32_dpp v7, v1 quad_perm:[1,0,3,2] row_mask:0xf bank_mask:0xf bound_ctrl:1
	v_add_co_u32_e32 v1, vcc, v1, v7
	v_mov_b32_dpp v8, v2 quad_perm:[1,0,3,2] row_mask:0xf bank_mask:0xf bound_ctrl:1
	v_addc_co_u32_e32 v2, vcc, 0, v2, vcc
	v_add_co_u32_e32 v7, vcc, 0, v1
	v_addc_co_u32_e32 v2, vcc, v8, v2, vcc
	v_mov_b32_dpp v1, v1 quad_perm:[2,3,0,1] row_mask:0xf bank_mask:0xf bound_ctrl:1
	v_add_co_u32_e32 v1, vcc, v7, v1
	v_mov_b32_dpp v8, v2 quad_perm:[2,3,0,1] row_mask:0xf bank_mask:0xf bound_ctrl:1
	v_addc_co_u32_e32 v2, vcc, 0, v2, vcc
	v_add_co_u32_e32 v7, vcc, 0, v1
	v_addc_co_u32_e32 v2, vcc, v2, v8, vcc
	v_mov_b32_dpp v1, v1 row_ror:4 row_mask:0xf bank_mask:0xf bound_ctrl:1
	v_add_co_u32_e32 v1, vcc, v7, v1
	v_mov_b32_dpp v8, v2 row_ror:4 row_mask:0xf bank_mask:0xf bound_ctrl:1
	v_addc_co_u32_e32 v2, vcc, 0, v2, vcc
	v_add_co_u32_e32 v7, vcc, 0, v1
	v_addc_co_u32_e32 v2, vcc, v2, v8, vcc
	v_mov_b32_dpp v1, v1 row_ror:8 row_mask:0xf bank_mask:0xf bound_ctrl:1
	v_add_co_u32_e32 v1, vcc, v7, v1
	v_mov_b32_dpp v8, v2 row_ror:8 row_mask:0xf bank_mask:0xf bound_ctrl:1
	v_addc_co_u32_e32 v2, vcc, 0, v2, vcc
	v_add_co_u32_e32 v7, vcc, 0, v1
	v_addc_co_u32_e32 v2, vcc, v2, v8, vcc
	v_mov_b32_dpp v1, v1 row_bcast:15 row_mask:0xf bank_mask:0xf bound_ctrl:1
	v_add_co_u32_e32 v1, vcc, v7, v1
	v_mov_b32_dpp v8, v2 row_bcast:15 row_mask:0xf bank_mask:0xf bound_ctrl:1
	v_addc_co_u32_e32 v2, vcc, 0, v2, vcc
	v_add_co_u32_e32 v7, vcc, 0, v1
	v_addc_co_u32_e32 v2, vcc, v2, v8, vcc
	v_mov_b32_dpp v1, v1 row_bcast:31 row_mask:0xf bank_mask:0xf bound_ctrl:1
	v_add_co_u32_e32 v1, vcc, v7, v1
	v_addc_co_u32_e32 v7, vcc, 0, v2, vcc
	ds_bpermute_b32 v1, v6, v1
	s_nop 0
	v_add_u32_dpp v2, v2, v7 row_bcast:31 row_mask:0xf bank_mask:0xf bound_ctrl:1
	ds_bpermute_b32 v2, v6, v2
	v_cmp_eq_u32_e32 vcc, 0, v4
	s_and_saveexec_b64 s[2:3], vcc
	s_cbranch_execz .LBB13_182
; %bb.181:
	v_lshrrev_b32_e32 v6, 3, v0
	v_and_b32_e32 v6, 24, v6
	s_waitcnt lgkmcnt(0)
	ds_write_b64 v6, v[1:2] offset:32
.LBB13_182:
	s_or_b64 exec, exec, s[2:3]
	v_cmp_gt_u32_e32 vcc, 64, v0
	s_waitcnt lgkmcnt(0)
	s_barrier
	s_and_saveexec_b64 s[2:3], vcc
	s_cbranch_execz .LBB13_184
; %bb.183:
	v_and_b32_e32 v6, 3, v4
	v_lshlrev_b32_e32 v1, 3, v6
	ds_read_b64 v[1:2], v1 offset:32
	v_cmp_ne_u32_e32 vcc, 3, v6
	v_addc_co_u32_e32 v4, vcc, 0, v4, vcc
	v_lshlrev_b32_e32 v4, 2, v4
	s_waitcnt lgkmcnt(0)
	ds_bpermute_b32 v6, v4, v1
	ds_bpermute_b32 v4, v4, v2
	v_or_b32_e32 v5, 8, v5
	s_waitcnt lgkmcnt(1)
	v_add_co_u32_e32 v1, vcc, v1, v6
	v_addc_co_u32_e32 v2, vcc, 0, v2, vcc
	ds_bpermute_b32 v6, v5, v1
	v_add_co_u32_e32 v1, vcc, 0, v1
	s_waitcnt lgkmcnt(1)
	v_addc_co_u32_e32 v2, vcc, v4, v2, vcc
	ds_bpermute_b32 v4, v5, v2
	s_waitcnt lgkmcnt(1)
	v_add_co_u32_e32 v1, vcc, v1, v6
	v_addc_co_u32_e32 v2, vcc, 0, v2, vcc
	v_add_co_u32_e32 v1, vcc, 0, v1
	s_waitcnt lgkmcnt(0)
	v_addc_co_u32_e32 v2, vcc, v2, v4, vcc
.LBB13_184:
	s_or_b64 exec, exec, s[2:3]
	s_branch .LBB13_205
.LBB13_185:
                                        ; implicit-def: $vgpr1_vgpr2
	s_cbranch_execz .LBB13_205
; %bb.186:
	s_sub_i32 s4, s18, s0
	v_cmp_gt_u32_e32 vcc, s4, v0
                                        ; implicit-def: $vgpr1_vgpr2
	s_and_saveexec_b64 s[2:3], vcc
	s_cbranch_execz .LBB13_188
; %bb.187:
	s_lshl_b64 s[0:1], s[0:1], 3
	s_add_u32 s0, s16, s0
	s_addc_u32 s1, s17, s1
	v_lshlrev_b32_e32 v1, 3, v0
	global_load_dwordx2 v[1:2], v1, s[0:1]
.LBB13_188:
	s_or_b64 exec, exec, s[2:3]
	v_mbcnt_hi_u32_b32 v3, -1, v3
	v_and_b32_e32 v4, 63, v3
	v_cmp_ne_u32_e32 vcc, 63, v4
	v_addc_co_u32_e32 v6, vcc, 0, v3, vcc
	v_lshlrev_b32_e32 v6, 2, v6
	s_waitcnt vmcnt(0)
	ds_bpermute_b32 v8, v6, v1
	ds_bpermute_b32 v7, v6, v2
	s_min_u32 s2, s4, 0x100
	v_and_b32_e32 v5, 0xc0, v0
	v_sub_u32_e64 v5, s2, v5 clamp
	v_add_u32_e32 v6, 1, v4
	v_cmp_lt_u32_e32 vcc, v6, v5
	v_mov_b32_e32 v6, v1
	s_and_saveexec_b64 s[0:1], vcc
	s_cbranch_execz .LBB13_190
; %bb.189:
	s_waitcnt lgkmcnt(1)
	v_add_co_u32_e32 v6, vcc, v1, v8
	v_addc_co_u32_e32 v2, vcc, 0, v2, vcc
	v_add_co_u32_e32 v1, vcc, 0, v6
	s_waitcnt lgkmcnt(0)
	v_addc_co_u32_e32 v2, vcc, v7, v2, vcc
.LBB13_190:
	s_or_b64 exec, exec, s[0:1]
	v_cmp_gt_u32_e32 vcc, 62, v4
	s_waitcnt lgkmcnt(0)
	v_cndmask_b32_e64 v7, 0, 2, vcc
	v_add_lshl_u32 v7, v7, v3, 2
	ds_bpermute_b32 v8, v7, v6
	ds_bpermute_b32 v7, v7, v2
	v_add_u32_e32 v9, 2, v4
	v_cmp_lt_u32_e32 vcc, v9, v5
	s_and_saveexec_b64 s[0:1], vcc
	s_cbranch_execz .LBB13_192
; %bb.191:
	s_waitcnt lgkmcnt(1)
	v_add_co_u32_e32 v6, vcc, v1, v8
	v_addc_co_u32_e32 v2, vcc, 0, v2, vcc
	v_add_co_u32_e32 v1, vcc, 0, v6
	s_waitcnt lgkmcnt(0)
	v_addc_co_u32_e32 v2, vcc, v7, v2, vcc
.LBB13_192:
	s_or_b64 exec, exec, s[0:1]
	v_cmp_gt_u32_e32 vcc, 60, v4
	s_waitcnt lgkmcnt(0)
	v_cndmask_b32_e64 v7, 0, 4, vcc
	v_add_lshl_u32 v7, v7, v3, 2
	ds_bpermute_b32 v8, v7, v6
	ds_bpermute_b32 v7, v7, v2
	v_add_u32_e32 v9, 4, v4
	v_cmp_lt_u32_e32 vcc, v9, v5
	;; [unrolled: 19-line block ×4, first 2 shown]
	s_and_saveexec_b64 s[0:1], vcc
	s_cbranch_execz .LBB13_198
; %bb.197:
	s_waitcnt lgkmcnt(1)
	v_add_co_u32_e32 v6, vcc, v1, v8
	v_addc_co_u32_e32 v2, vcc, 0, v2, vcc
	v_add_co_u32_e32 v1, vcc, 0, v6
	s_waitcnt lgkmcnt(0)
	v_addc_co_u32_e32 v2, vcc, v7, v2, vcc
.LBB13_198:
	s_or_b64 exec, exec, s[0:1]
	s_waitcnt lgkmcnt(0)
	v_lshlrev_b32_e32 v7, 2, v3
	v_or_b32_e32 v8, 0x80, v7
	ds_bpermute_b32 v6, v8, v6
	ds_bpermute_b32 v8, v8, v2
	v_add_u32_e32 v4, 32, v4
	s_waitcnt lgkmcnt(1)
	v_add_co_u32_e32 v6, vcc, v1, v6
	v_addc_co_u32_e32 v9, vcc, 0, v2, vcc
	v_add_co_u32_e32 v6, vcc, 0, v6
	s_waitcnt lgkmcnt(0)
	v_addc_co_u32_e32 v8, vcc, v9, v8, vcc
	v_cmp_lt_u32_e32 vcc, v4, v5
	v_cndmask_b32_e32 v2, v2, v8, vcc
	v_cndmask_b32_e32 v1, v1, v6, vcc
	v_cmp_eq_u32_e32 vcc, 0, v3
	s_and_saveexec_b64 s[0:1], vcc
; %bb.199:
	v_lshrrev_b32_e32 v4, 3, v0
	v_and_b32_e32 v4, 24, v4
	ds_write_b64 v4, v[1:2] offset:160
; %bb.200:
	s_or_b64 exec, exec, s[0:1]
	v_cmp_gt_u32_e32 vcc, 4, v0
	s_waitcnt lgkmcnt(0)
	s_barrier
	s_and_saveexec_b64 s[0:1], vcc
	s_cbranch_execz .LBB13_204
; %bb.201:
	v_lshlrev_b32_e32 v1, 3, v3
	ds_read_b64 v[1:2], v1 offset:160
	v_and_b32_e32 v4, 3, v3
	v_cmp_ne_u32_e32 vcc, 3, v4
	v_addc_co_u32_e32 v3, vcc, 0, v3, vcc
	v_lshlrev_b32_e32 v3, 2, v3
	s_waitcnt lgkmcnt(0)
	ds_bpermute_b32 v6, v3, v1
	ds_bpermute_b32 v5, v3, v2
	s_add_i32 s2, s2, 63
	s_lshr_b32 s4, s2, 6
	v_add_u32_e32 v3, 1, v4
	v_cmp_gt_u32_e32 vcc, s4, v3
	v_mov_b32_e32 v3, v1
	s_and_saveexec_b64 s[2:3], vcc
	s_cbranch_execz .LBB13_203
; %bb.202:
	s_waitcnt lgkmcnt(1)
	v_add_co_u32_e32 v3, vcc, v1, v6
	v_addc_co_u32_e32 v2, vcc, 0, v2, vcc
	v_add_co_u32_e32 v1, vcc, 0, v3
	s_waitcnt lgkmcnt(0)
	v_addc_co_u32_e32 v2, vcc, v5, v2, vcc
.LBB13_203:
	s_or_b64 exec, exec, s[2:3]
	s_waitcnt lgkmcnt(0)
	v_or_b32_e32 v5, 8, v7
	ds_bpermute_b32 v3, v5, v3
	ds_bpermute_b32 v5, v5, v2
	v_add_u32_e32 v4, 2, v4
	s_waitcnt lgkmcnt(1)
	v_add_co_u32_e32 v3, vcc, v1, v3
	v_addc_co_u32_e32 v6, vcc, 0, v2, vcc
	v_add_co_u32_e32 v3, vcc, 0, v3
	s_waitcnt lgkmcnt(0)
	v_addc_co_u32_e32 v5, vcc, v6, v5, vcc
	v_cmp_gt_u32_e32 vcc, s4, v4
	v_cndmask_b32_e32 v2, v2, v5, vcc
	v_cndmask_b32_e32 v1, v1, v3, vcc
.LBB13_204:
	s_or_b64 exec, exec, s[0:1]
.LBB13_205:
	v_mov_b32_e32 v3, s6
	v_cmp_eq_u32_e64 s[2:3], 0, v0
	v_mov_b32_e32 v4, s7
.LBB13_206:
	s_and_saveexec_b64 s[0:1], s[2:3]
	s_cbranch_execz .LBB13_208
; %bb.207:
	v_lshlrev_b64 v[3:4], 3, v[3:4]
	v_mov_b32_e32 v0, s21
	v_add_co_u32_e32 v3, vcc, s20, v3
	v_addc_co_u32_e32 v4, vcc, v0, v4, vcc
	s_cmp_lg_u64 s[18:19], 0
	s_cselect_b64 vcc, -1, 0
	v_cndmask_b32_e32 v0, 0, v1, vcc
	v_cndmask_b32_e32 v2, 0, v2, vcc
	v_mov_b32_e32 v1, s23
	v_add_co_u32_e32 v0, vcc, s22, v0
	v_addc_co_u32_e32 v1, vcc, v2, v1, vcc
	global_store_dwordx2 v[3:4], v[0:1], off
.LBB13_208:
	s_endpgm
	.section	.rodata,"a",@progbits
	.p2align	6, 0x0
	.amdhsa_kernel _ZN7rocprim17ROCPRIM_400000_NS6detail17trampoline_kernelINS0_14default_configENS1_22reduce_config_selectorIlEEZNS1_11reduce_implILb1ES3_PlS7_lN6thrust23THRUST_200600_302600_NS4plusIlEEEE10hipError_tPvRmT1_T2_T3_mT4_P12ihipStream_tbEUlT_E1_NS1_11comp_targetILNS1_3genE2ELNS1_11target_archE906ELNS1_3gpuE6ELNS1_3repE0EEENS1_30default_config_static_selectorELNS0_4arch9wavefront6targetE1EEEvSF_
		.amdhsa_group_segment_fixed_size 192
		.amdhsa_private_segment_fixed_size 0
		.amdhsa_kernarg_size 48
		.amdhsa_user_sgpr_count 6
		.amdhsa_user_sgpr_private_segment_buffer 1
		.amdhsa_user_sgpr_dispatch_ptr 0
		.amdhsa_user_sgpr_queue_ptr 0
		.amdhsa_user_sgpr_kernarg_segment_ptr 1
		.amdhsa_user_sgpr_dispatch_id 0
		.amdhsa_user_sgpr_flat_scratch_init 0
		.amdhsa_user_sgpr_private_segment_size 0
		.amdhsa_uses_dynamic_stack 0
		.amdhsa_system_sgpr_private_segment_wavefront_offset 0
		.amdhsa_system_sgpr_workgroup_id_x 1
		.amdhsa_system_sgpr_workgroup_id_y 0
		.amdhsa_system_sgpr_workgroup_id_z 0
		.amdhsa_system_sgpr_workgroup_info 0
		.amdhsa_system_vgpr_workitem_id 0
		.amdhsa_next_free_vgpr 34
		.amdhsa_next_free_sgpr 28
		.amdhsa_reserve_vcc 1
		.amdhsa_reserve_flat_scratch 0
		.amdhsa_float_round_mode_32 0
		.amdhsa_float_round_mode_16_64 0
		.amdhsa_float_denorm_mode_32 3
		.amdhsa_float_denorm_mode_16_64 3
		.amdhsa_dx10_clamp 1
		.amdhsa_ieee_mode 1
		.amdhsa_fp16_overflow 0
		.amdhsa_exception_fp_ieee_invalid_op 0
		.amdhsa_exception_fp_denorm_src 0
		.amdhsa_exception_fp_ieee_div_zero 0
		.amdhsa_exception_fp_ieee_overflow 0
		.amdhsa_exception_fp_ieee_underflow 0
		.amdhsa_exception_fp_ieee_inexact 0
		.amdhsa_exception_int_div_zero 0
	.end_amdhsa_kernel
	.section	.text._ZN7rocprim17ROCPRIM_400000_NS6detail17trampoline_kernelINS0_14default_configENS1_22reduce_config_selectorIlEEZNS1_11reduce_implILb1ES3_PlS7_lN6thrust23THRUST_200600_302600_NS4plusIlEEEE10hipError_tPvRmT1_T2_T3_mT4_P12ihipStream_tbEUlT_E1_NS1_11comp_targetILNS1_3genE2ELNS1_11target_archE906ELNS1_3gpuE6ELNS1_3repE0EEENS1_30default_config_static_selectorELNS0_4arch9wavefront6targetE1EEEvSF_,"axG",@progbits,_ZN7rocprim17ROCPRIM_400000_NS6detail17trampoline_kernelINS0_14default_configENS1_22reduce_config_selectorIlEEZNS1_11reduce_implILb1ES3_PlS7_lN6thrust23THRUST_200600_302600_NS4plusIlEEEE10hipError_tPvRmT1_T2_T3_mT4_P12ihipStream_tbEUlT_E1_NS1_11comp_targetILNS1_3genE2ELNS1_11target_archE906ELNS1_3gpuE6ELNS1_3repE0EEENS1_30default_config_static_selectorELNS0_4arch9wavefront6targetE1EEEvSF_,comdat
.Lfunc_end13:
	.size	_ZN7rocprim17ROCPRIM_400000_NS6detail17trampoline_kernelINS0_14default_configENS1_22reduce_config_selectorIlEEZNS1_11reduce_implILb1ES3_PlS7_lN6thrust23THRUST_200600_302600_NS4plusIlEEEE10hipError_tPvRmT1_T2_T3_mT4_P12ihipStream_tbEUlT_E1_NS1_11comp_targetILNS1_3genE2ELNS1_11target_archE906ELNS1_3gpuE6ELNS1_3repE0EEENS1_30default_config_static_selectorELNS0_4arch9wavefront6targetE1EEEvSF_, .Lfunc_end13-_ZN7rocprim17ROCPRIM_400000_NS6detail17trampoline_kernelINS0_14default_configENS1_22reduce_config_selectorIlEEZNS1_11reduce_implILb1ES3_PlS7_lN6thrust23THRUST_200600_302600_NS4plusIlEEEE10hipError_tPvRmT1_T2_T3_mT4_P12ihipStream_tbEUlT_E1_NS1_11comp_targetILNS1_3genE2ELNS1_11target_archE906ELNS1_3gpuE6ELNS1_3repE0EEENS1_30default_config_static_selectorELNS0_4arch9wavefront6targetE1EEEvSF_
                                        ; -- End function
	.set _ZN7rocprim17ROCPRIM_400000_NS6detail17trampoline_kernelINS0_14default_configENS1_22reduce_config_selectorIlEEZNS1_11reduce_implILb1ES3_PlS7_lN6thrust23THRUST_200600_302600_NS4plusIlEEEE10hipError_tPvRmT1_T2_T3_mT4_P12ihipStream_tbEUlT_E1_NS1_11comp_targetILNS1_3genE2ELNS1_11target_archE906ELNS1_3gpuE6ELNS1_3repE0EEENS1_30default_config_static_selectorELNS0_4arch9wavefront6targetE1EEEvSF_.num_vgpr, 34
	.set _ZN7rocprim17ROCPRIM_400000_NS6detail17trampoline_kernelINS0_14default_configENS1_22reduce_config_selectorIlEEZNS1_11reduce_implILb1ES3_PlS7_lN6thrust23THRUST_200600_302600_NS4plusIlEEEE10hipError_tPvRmT1_T2_T3_mT4_P12ihipStream_tbEUlT_E1_NS1_11comp_targetILNS1_3genE2ELNS1_11target_archE906ELNS1_3gpuE6ELNS1_3repE0EEENS1_30default_config_static_selectorELNS0_4arch9wavefront6targetE1EEEvSF_.num_agpr, 0
	.set _ZN7rocprim17ROCPRIM_400000_NS6detail17trampoline_kernelINS0_14default_configENS1_22reduce_config_selectorIlEEZNS1_11reduce_implILb1ES3_PlS7_lN6thrust23THRUST_200600_302600_NS4plusIlEEEE10hipError_tPvRmT1_T2_T3_mT4_P12ihipStream_tbEUlT_E1_NS1_11comp_targetILNS1_3genE2ELNS1_11target_archE906ELNS1_3gpuE6ELNS1_3repE0EEENS1_30default_config_static_selectorELNS0_4arch9wavefront6targetE1EEEvSF_.numbered_sgpr, 28
	.set _ZN7rocprim17ROCPRIM_400000_NS6detail17trampoline_kernelINS0_14default_configENS1_22reduce_config_selectorIlEEZNS1_11reduce_implILb1ES3_PlS7_lN6thrust23THRUST_200600_302600_NS4plusIlEEEE10hipError_tPvRmT1_T2_T3_mT4_P12ihipStream_tbEUlT_E1_NS1_11comp_targetILNS1_3genE2ELNS1_11target_archE906ELNS1_3gpuE6ELNS1_3repE0EEENS1_30default_config_static_selectorELNS0_4arch9wavefront6targetE1EEEvSF_.num_named_barrier, 0
	.set _ZN7rocprim17ROCPRIM_400000_NS6detail17trampoline_kernelINS0_14default_configENS1_22reduce_config_selectorIlEEZNS1_11reduce_implILb1ES3_PlS7_lN6thrust23THRUST_200600_302600_NS4plusIlEEEE10hipError_tPvRmT1_T2_T3_mT4_P12ihipStream_tbEUlT_E1_NS1_11comp_targetILNS1_3genE2ELNS1_11target_archE906ELNS1_3gpuE6ELNS1_3repE0EEENS1_30default_config_static_selectorELNS0_4arch9wavefront6targetE1EEEvSF_.private_seg_size, 0
	.set _ZN7rocprim17ROCPRIM_400000_NS6detail17trampoline_kernelINS0_14default_configENS1_22reduce_config_selectorIlEEZNS1_11reduce_implILb1ES3_PlS7_lN6thrust23THRUST_200600_302600_NS4plusIlEEEE10hipError_tPvRmT1_T2_T3_mT4_P12ihipStream_tbEUlT_E1_NS1_11comp_targetILNS1_3genE2ELNS1_11target_archE906ELNS1_3gpuE6ELNS1_3repE0EEENS1_30default_config_static_selectorELNS0_4arch9wavefront6targetE1EEEvSF_.uses_vcc, 1
	.set _ZN7rocprim17ROCPRIM_400000_NS6detail17trampoline_kernelINS0_14default_configENS1_22reduce_config_selectorIlEEZNS1_11reduce_implILb1ES3_PlS7_lN6thrust23THRUST_200600_302600_NS4plusIlEEEE10hipError_tPvRmT1_T2_T3_mT4_P12ihipStream_tbEUlT_E1_NS1_11comp_targetILNS1_3genE2ELNS1_11target_archE906ELNS1_3gpuE6ELNS1_3repE0EEENS1_30default_config_static_selectorELNS0_4arch9wavefront6targetE1EEEvSF_.uses_flat_scratch, 0
	.set _ZN7rocprim17ROCPRIM_400000_NS6detail17trampoline_kernelINS0_14default_configENS1_22reduce_config_selectorIlEEZNS1_11reduce_implILb1ES3_PlS7_lN6thrust23THRUST_200600_302600_NS4plusIlEEEE10hipError_tPvRmT1_T2_T3_mT4_P12ihipStream_tbEUlT_E1_NS1_11comp_targetILNS1_3genE2ELNS1_11target_archE906ELNS1_3gpuE6ELNS1_3repE0EEENS1_30default_config_static_selectorELNS0_4arch9wavefront6targetE1EEEvSF_.has_dyn_sized_stack, 0
	.set _ZN7rocprim17ROCPRIM_400000_NS6detail17trampoline_kernelINS0_14default_configENS1_22reduce_config_selectorIlEEZNS1_11reduce_implILb1ES3_PlS7_lN6thrust23THRUST_200600_302600_NS4plusIlEEEE10hipError_tPvRmT1_T2_T3_mT4_P12ihipStream_tbEUlT_E1_NS1_11comp_targetILNS1_3genE2ELNS1_11target_archE906ELNS1_3gpuE6ELNS1_3repE0EEENS1_30default_config_static_selectorELNS0_4arch9wavefront6targetE1EEEvSF_.has_recursion, 0
	.set _ZN7rocprim17ROCPRIM_400000_NS6detail17trampoline_kernelINS0_14default_configENS1_22reduce_config_selectorIlEEZNS1_11reduce_implILb1ES3_PlS7_lN6thrust23THRUST_200600_302600_NS4plusIlEEEE10hipError_tPvRmT1_T2_T3_mT4_P12ihipStream_tbEUlT_E1_NS1_11comp_targetILNS1_3genE2ELNS1_11target_archE906ELNS1_3gpuE6ELNS1_3repE0EEENS1_30default_config_static_selectorELNS0_4arch9wavefront6targetE1EEEvSF_.has_indirect_call, 0
	.section	.AMDGPU.csdata,"",@progbits
; Kernel info:
; codeLenInByte = 8996
; TotalNumSgprs: 32
; NumVgprs: 34
; ScratchSize: 0
; MemoryBound: 0
; FloatMode: 240
; IeeeMode: 1
; LDSByteSize: 192 bytes/workgroup (compile time only)
; SGPRBlocks: 3
; VGPRBlocks: 8
; NumSGPRsForWavesPerEU: 32
; NumVGPRsForWavesPerEU: 34
; Occupancy: 7
; WaveLimiterHint : 1
; COMPUTE_PGM_RSRC2:SCRATCH_EN: 0
; COMPUTE_PGM_RSRC2:USER_SGPR: 6
; COMPUTE_PGM_RSRC2:TRAP_HANDLER: 0
; COMPUTE_PGM_RSRC2:TGID_X_EN: 1
; COMPUTE_PGM_RSRC2:TGID_Y_EN: 0
; COMPUTE_PGM_RSRC2:TGID_Z_EN: 0
; COMPUTE_PGM_RSRC2:TIDIG_COMP_CNT: 0
	.section	.text._ZN7rocprim17ROCPRIM_400000_NS6detail17trampoline_kernelINS0_14default_configENS1_22reduce_config_selectorIlEEZNS1_11reduce_implILb1ES3_PlS7_lN6thrust23THRUST_200600_302600_NS4plusIlEEEE10hipError_tPvRmT1_T2_T3_mT4_P12ihipStream_tbEUlT_E1_NS1_11comp_targetILNS1_3genE10ELNS1_11target_archE1201ELNS1_3gpuE5ELNS1_3repE0EEENS1_30default_config_static_selectorELNS0_4arch9wavefront6targetE1EEEvSF_,"axG",@progbits,_ZN7rocprim17ROCPRIM_400000_NS6detail17trampoline_kernelINS0_14default_configENS1_22reduce_config_selectorIlEEZNS1_11reduce_implILb1ES3_PlS7_lN6thrust23THRUST_200600_302600_NS4plusIlEEEE10hipError_tPvRmT1_T2_T3_mT4_P12ihipStream_tbEUlT_E1_NS1_11comp_targetILNS1_3genE10ELNS1_11target_archE1201ELNS1_3gpuE5ELNS1_3repE0EEENS1_30default_config_static_selectorELNS0_4arch9wavefront6targetE1EEEvSF_,comdat
	.protected	_ZN7rocprim17ROCPRIM_400000_NS6detail17trampoline_kernelINS0_14default_configENS1_22reduce_config_selectorIlEEZNS1_11reduce_implILb1ES3_PlS7_lN6thrust23THRUST_200600_302600_NS4plusIlEEEE10hipError_tPvRmT1_T2_T3_mT4_P12ihipStream_tbEUlT_E1_NS1_11comp_targetILNS1_3genE10ELNS1_11target_archE1201ELNS1_3gpuE5ELNS1_3repE0EEENS1_30default_config_static_selectorELNS0_4arch9wavefront6targetE1EEEvSF_ ; -- Begin function _ZN7rocprim17ROCPRIM_400000_NS6detail17trampoline_kernelINS0_14default_configENS1_22reduce_config_selectorIlEEZNS1_11reduce_implILb1ES3_PlS7_lN6thrust23THRUST_200600_302600_NS4plusIlEEEE10hipError_tPvRmT1_T2_T3_mT4_P12ihipStream_tbEUlT_E1_NS1_11comp_targetILNS1_3genE10ELNS1_11target_archE1201ELNS1_3gpuE5ELNS1_3repE0EEENS1_30default_config_static_selectorELNS0_4arch9wavefront6targetE1EEEvSF_
	.globl	_ZN7rocprim17ROCPRIM_400000_NS6detail17trampoline_kernelINS0_14default_configENS1_22reduce_config_selectorIlEEZNS1_11reduce_implILb1ES3_PlS7_lN6thrust23THRUST_200600_302600_NS4plusIlEEEE10hipError_tPvRmT1_T2_T3_mT4_P12ihipStream_tbEUlT_E1_NS1_11comp_targetILNS1_3genE10ELNS1_11target_archE1201ELNS1_3gpuE5ELNS1_3repE0EEENS1_30default_config_static_selectorELNS0_4arch9wavefront6targetE1EEEvSF_
	.p2align	8
	.type	_ZN7rocprim17ROCPRIM_400000_NS6detail17trampoline_kernelINS0_14default_configENS1_22reduce_config_selectorIlEEZNS1_11reduce_implILb1ES3_PlS7_lN6thrust23THRUST_200600_302600_NS4plusIlEEEE10hipError_tPvRmT1_T2_T3_mT4_P12ihipStream_tbEUlT_E1_NS1_11comp_targetILNS1_3genE10ELNS1_11target_archE1201ELNS1_3gpuE5ELNS1_3repE0EEENS1_30default_config_static_selectorELNS0_4arch9wavefront6targetE1EEEvSF_,@function
_ZN7rocprim17ROCPRIM_400000_NS6detail17trampoline_kernelINS0_14default_configENS1_22reduce_config_selectorIlEEZNS1_11reduce_implILb1ES3_PlS7_lN6thrust23THRUST_200600_302600_NS4plusIlEEEE10hipError_tPvRmT1_T2_T3_mT4_P12ihipStream_tbEUlT_E1_NS1_11comp_targetILNS1_3genE10ELNS1_11target_archE1201ELNS1_3gpuE5ELNS1_3repE0EEENS1_30default_config_static_selectorELNS0_4arch9wavefront6targetE1EEEvSF_: ; @_ZN7rocprim17ROCPRIM_400000_NS6detail17trampoline_kernelINS0_14default_configENS1_22reduce_config_selectorIlEEZNS1_11reduce_implILb1ES3_PlS7_lN6thrust23THRUST_200600_302600_NS4plusIlEEEE10hipError_tPvRmT1_T2_T3_mT4_P12ihipStream_tbEUlT_E1_NS1_11comp_targetILNS1_3genE10ELNS1_11target_archE1201ELNS1_3gpuE5ELNS1_3repE0EEENS1_30default_config_static_selectorELNS0_4arch9wavefront6targetE1EEEvSF_
; %bb.0:
	.section	.rodata,"a",@progbits
	.p2align	6, 0x0
	.amdhsa_kernel _ZN7rocprim17ROCPRIM_400000_NS6detail17trampoline_kernelINS0_14default_configENS1_22reduce_config_selectorIlEEZNS1_11reduce_implILb1ES3_PlS7_lN6thrust23THRUST_200600_302600_NS4plusIlEEEE10hipError_tPvRmT1_T2_T3_mT4_P12ihipStream_tbEUlT_E1_NS1_11comp_targetILNS1_3genE10ELNS1_11target_archE1201ELNS1_3gpuE5ELNS1_3repE0EEENS1_30default_config_static_selectorELNS0_4arch9wavefront6targetE1EEEvSF_
		.amdhsa_group_segment_fixed_size 0
		.amdhsa_private_segment_fixed_size 0
		.amdhsa_kernarg_size 48
		.amdhsa_user_sgpr_count 6
		.amdhsa_user_sgpr_private_segment_buffer 1
		.amdhsa_user_sgpr_dispatch_ptr 0
		.amdhsa_user_sgpr_queue_ptr 0
		.amdhsa_user_sgpr_kernarg_segment_ptr 1
		.amdhsa_user_sgpr_dispatch_id 0
		.amdhsa_user_sgpr_flat_scratch_init 0
		.amdhsa_user_sgpr_private_segment_size 0
		.amdhsa_uses_dynamic_stack 0
		.amdhsa_system_sgpr_private_segment_wavefront_offset 0
		.amdhsa_system_sgpr_workgroup_id_x 1
		.amdhsa_system_sgpr_workgroup_id_y 0
		.amdhsa_system_sgpr_workgroup_id_z 0
		.amdhsa_system_sgpr_workgroup_info 0
		.amdhsa_system_vgpr_workitem_id 0
		.amdhsa_next_free_vgpr 1
		.amdhsa_next_free_sgpr 0
		.amdhsa_reserve_vcc 0
		.amdhsa_reserve_flat_scratch 0
		.amdhsa_float_round_mode_32 0
		.amdhsa_float_round_mode_16_64 0
		.amdhsa_float_denorm_mode_32 3
		.amdhsa_float_denorm_mode_16_64 3
		.amdhsa_dx10_clamp 1
		.amdhsa_ieee_mode 1
		.amdhsa_fp16_overflow 0
		.amdhsa_exception_fp_ieee_invalid_op 0
		.amdhsa_exception_fp_denorm_src 0
		.amdhsa_exception_fp_ieee_div_zero 0
		.amdhsa_exception_fp_ieee_overflow 0
		.amdhsa_exception_fp_ieee_underflow 0
		.amdhsa_exception_fp_ieee_inexact 0
		.amdhsa_exception_int_div_zero 0
	.end_amdhsa_kernel
	.section	.text._ZN7rocprim17ROCPRIM_400000_NS6detail17trampoline_kernelINS0_14default_configENS1_22reduce_config_selectorIlEEZNS1_11reduce_implILb1ES3_PlS7_lN6thrust23THRUST_200600_302600_NS4plusIlEEEE10hipError_tPvRmT1_T2_T3_mT4_P12ihipStream_tbEUlT_E1_NS1_11comp_targetILNS1_3genE10ELNS1_11target_archE1201ELNS1_3gpuE5ELNS1_3repE0EEENS1_30default_config_static_selectorELNS0_4arch9wavefront6targetE1EEEvSF_,"axG",@progbits,_ZN7rocprim17ROCPRIM_400000_NS6detail17trampoline_kernelINS0_14default_configENS1_22reduce_config_selectorIlEEZNS1_11reduce_implILb1ES3_PlS7_lN6thrust23THRUST_200600_302600_NS4plusIlEEEE10hipError_tPvRmT1_T2_T3_mT4_P12ihipStream_tbEUlT_E1_NS1_11comp_targetILNS1_3genE10ELNS1_11target_archE1201ELNS1_3gpuE5ELNS1_3repE0EEENS1_30default_config_static_selectorELNS0_4arch9wavefront6targetE1EEEvSF_,comdat
.Lfunc_end14:
	.size	_ZN7rocprim17ROCPRIM_400000_NS6detail17trampoline_kernelINS0_14default_configENS1_22reduce_config_selectorIlEEZNS1_11reduce_implILb1ES3_PlS7_lN6thrust23THRUST_200600_302600_NS4plusIlEEEE10hipError_tPvRmT1_T2_T3_mT4_P12ihipStream_tbEUlT_E1_NS1_11comp_targetILNS1_3genE10ELNS1_11target_archE1201ELNS1_3gpuE5ELNS1_3repE0EEENS1_30default_config_static_selectorELNS0_4arch9wavefront6targetE1EEEvSF_, .Lfunc_end14-_ZN7rocprim17ROCPRIM_400000_NS6detail17trampoline_kernelINS0_14default_configENS1_22reduce_config_selectorIlEEZNS1_11reduce_implILb1ES3_PlS7_lN6thrust23THRUST_200600_302600_NS4plusIlEEEE10hipError_tPvRmT1_T2_T3_mT4_P12ihipStream_tbEUlT_E1_NS1_11comp_targetILNS1_3genE10ELNS1_11target_archE1201ELNS1_3gpuE5ELNS1_3repE0EEENS1_30default_config_static_selectorELNS0_4arch9wavefront6targetE1EEEvSF_
                                        ; -- End function
	.set _ZN7rocprim17ROCPRIM_400000_NS6detail17trampoline_kernelINS0_14default_configENS1_22reduce_config_selectorIlEEZNS1_11reduce_implILb1ES3_PlS7_lN6thrust23THRUST_200600_302600_NS4plusIlEEEE10hipError_tPvRmT1_T2_T3_mT4_P12ihipStream_tbEUlT_E1_NS1_11comp_targetILNS1_3genE10ELNS1_11target_archE1201ELNS1_3gpuE5ELNS1_3repE0EEENS1_30default_config_static_selectorELNS0_4arch9wavefront6targetE1EEEvSF_.num_vgpr, 0
	.set _ZN7rocprim17ROCPRIM_400000_NS6detail17trampoline_kernelINS0_14default_configENS1_22reduce_config_selectorIlEEZNS1_11reduce_implILb1ES3_PlS7_lN6thrust23THRUST_200600_302600_NS4plusIlEEEE10hipError_tPvRmT1_T2_T3_mT4_P12ihipStream_tbEUlT_E1_NS1_11comp_targetILNS1_3genE10ELNS1_11target_archE1201ELNS1_3gpuE5ELNS1_3repE0EEENS1_30default_config_static_selectorELNS0_4arch9wavefront6targetE1EEEvSF_.num_agpr, 0
	.set _ZN7rocprim17ROCPRIM_400000_NS6detail17trampoline_kernelINS0_14default_configENS1_22reduce_config_selectorIlEEZNS1_11reduce_implILb1ES3_PlS7_lN6thrust23THRUST_200600_302600_NS4plusIlEEEE10hipError_tPvRmT1_T2_T3_mT4_P12ihipStream_tbEUlT_E1_NS1_11comp_targetILNS1_3genE10ELNS1_11target_archE1201ELNS1_3gpuE5ELNS1_3repE0EEENS1_30default_config_static_selectorELNS0_4arch9wavefront6targetE1EEEvSF_.numbered_sgpr, 0
	.set _ZN7rocprim17ROCPRIM_400000_NS6detail17trampoline_kernelINS0_14default_configENS1_22reduce_config_selectorIlEEZNS1_11reduce_implILb1ES3_PlS7_lN6thrust23THRUST_200600_302600_NS4plusIlEEEE10hipError_tPvRmT1_T2_T3_mT4_P12ihipStream_tbEUlT_E1_NS1_11comp_targetILNS1_3genE10ELNS1_11target_archE1201ELNS1_3gpuE5ELNS1_3repE0EEENS1_30default_config_static_selectorELNS0_4arch9wavefront6targetE1EEEvSF_.num_named_barrier, 0
	.set _ZN7rocprim17ROCPRIM_400000_NS6detail17trampoline_kernelINS0_14default_configENS1_22reduce_config_selectorIlEEZNS1_11reduce_implILb1ES3_PlS7_lN6thrust23THRUST_200600_302600_NS4plusIlEEEE10hipError_tPvRmT1_T2_T3_mT4_P12ihipStream_tbEUlT_E1_NS1_11comp_targetILNS1_3genE10ELNS1_11target_archE1201ELNS1_3gpuE5ELNS1_3repE0EEENS1_30default_config_static_selectorELNS0_4arch9wavefront6targetE1EEEvSF_.private_seg_size, 0
	.set _ZN7rocprim17ROCPRIM_400000_NS6detail17trampoline_kernelINS0_14default_configENS1_22reduce_config_selectorIlEEZNS1_11reduce_implILb1ES3_PlS7_lN6thrust23THRUST_200600_302600_NS4plusIlEEEE10hipError_tPvRmT1_T2_T3_mT4_P12ihipStream_tbEUlT_E1_NS1_11comp_targetILNS1_3genE10ELNS1_11target_archE1201ELNS1_3gpuE5ELNS1_3repE0EEENS1_30default_config_static_selectorELNS0_4arch9wavefront6targetE1EEEvSF_.uses_vcc, 0
	.set _ZN7rocprim17ROCPRIM_400000_NS6detail17trampoline_kernelINS0_14default_configENS1_22reduce_config_selectorIlEEZNS1_11reduce_implILb1ES3_PlS7_lN6thrust23THRUST_200600_302600_NS4plusIlEEEE10hipError_tPvRmT1_T2_T3_mT4_P12ihipStream_tbEUlT_E1_NS1_11comp_targetILNS1_3genE10ELNS1_11target_archE1201ELNS1_3gpuE5ELNS1_3repE0EEENS1_30default_config_static_selectorELNS0_4arch9wavefront6targetE1EEEvSF_.uses_flat_scratch, 0
	.set _ZN7rocprim17ROCPRIM_400000_NS6detail17trampoline_kernelINS0_14default_configENS1_22reduce_config_selectorIlEEZNS1_11reduce_implILb1ES3_PlS7_lN6thrust23THRUST_200600_302600_NS4plusIlEEEE10hipError_tPvRmT1_T2_T3_mT4_P12ihipStream_tbEUlT_E1_NS1_11comp_targetILNS1_3genE10ELNS1_11target_archE1201ELNS1_3gpuE5ELNS1_3repE0EEENS1_30default_config_static_selectorELNS0_4arch9wavefront6targetE1EEEvSF_.has_dyn_sized_stack, 0
	.set _ZN7rocprim17ROCPRIM_400000_NS6detail17trampoline_kernelINS0_14default_configENS1_22reduce_config_selectorIlEEZNS1_11reduce_implILb1ES3_PlS7_lN6thrust23THRUST_200600_302600_NS4plusIlEEEE10hipError_tPvRmT1_T2_T3_mT4_P12ihipStream_tbEUlT_E1_NS1_11comp_targetILNS1_3genE10ELNS1_11target_archE1201ELNS1_3gpuE5ELNS1_3repE0EEENS1_30default_config_static_selectorELNS0_4arch9wavefront6targetE1EEEvSF_.has_recursion, 0
	.set _ZN7rocprim17ROCPRIM_400000_NS6detail17trampoline_kernelINS0_14default_configENS1_22reduce_config_selectorIlEEZNS1_11reduce_implILb1ES3_PlS7_lN6thrust23THRUST_200600_302600_NS4plusIlEEEE10hipError_tPvRmT1_T2_T3_mT4_P12ihipStream_tbEUlT_E1_NS1_11comp_targetILNS1_3genE10ELNS1_11target_archE1201ELNS1_3gpuE5ELNS1_3repE0EEENS1_30default_config_static_selectorELNS0_4arch9wavefront6targetE1EEEvSF_.has_indirect_call, 0
	.section	.AMDGPU.csdata,"",@progbits
; Kernel info:
; codeLenInByte = 0
; TotalNumSgprs: 4
; NumVgprs: 0
; ScratchSize: 0
; MemoryBound: 0
; FloatMode: 240
; IeeeMode: 1
; LDSByteSize: 0 bytes/workgroup (compile time only)
; SGPRBlocks: 0
; VGPRBlocks: 0
; NumSGPRsForWavesPerEU: 4
; NumVGPRsForWavesPerEU: 1
; Occupancy: 10
; WaveLimiterHint : 0
; COMPUTE_PGM_RSRC2:SCRATCH_EN: 0
; COMPUTE_PGM_RSRC2:USER_SGPR: 6
; COMPUTE_PGM_RSRC2:TRAP_HANDLER: 0
; COMPUTE_PGM_RSRC2:TGID_X_EN: 1
; COMPUTE_PGM_RSRC2:TGID_Y_EN: 0
; COMPUTE_PGM_RSRC2:TGID_Z_EN: 0
; COMPUTE_PGM_RSRC2:TIDIG_COMP_CNT: 0
	.section	.text._ZN7rocprim17ROCPRIM_400000_NS6detail17trampoline_kernelINS0_14default_configENS1_22reduce_config_selectorIlEEZNS1_11reduce_implILb1ES3_PlS7_lN6thrust23THRUST_200600_302600_NS4plusIlEEEE10hipError_tPvRmT1_T2_T3_mT4_P12ihipStream_tbEUlT_E1_NS1_11comp_targetILNS1_3genE10ELNS1_11target_archE1200ELNS1_3gpuE4ELNS1_3repE0EEENS1_30default_config_static_selectorELNS0_4arch9wavefront6targetE1EEEvSF_,"axG",@progbits,_ZN7rocprim17ROCPRIM_400000_NS6detail17trampoline_kernelINS0_14default_configENS1_22reduce_config_selectorIlEEZNS1_11reduce_implILb1ES3_PlS7_lN6thrust23THRUST_200600_302600_NS4plusIlEEEE10hipError_tPvRmT1_T2_T3_mT4_P12ihipStream_tbEUlT_E1_NS1_11comp_targetILNS1_3genE10ELNS1_11target_archE1200ELNS1_3gpuE4ELNS1_3repE0EEENS1_30default_config_static_selectorELNS0_4arch9wavefront6targetE1EEEvSF_,comdat
	.protected	_ZN7rocprim17ROCPRIM_400000_NS6detail17trampoline_kernelINS0_14default_configENS1_22reduce_config_selectorIlEEZNS1_11reduce_implILb1ES3_PlS7_lN6thrust23THRUST_200600_302600_NS4plusIlEEEE10hipError_tPvRmT1_T2_T3_mT4_P12ihipStream_tbEUlT_E1_NS1_11comp_targetILNS1_3genE10ELNS1_11target_archE1200ELNS1_3gpuE4ELNS1_3repE0EEENS1_30default_config_static_selectorELNS0_4arch9wavefront6targetE1EEEvSF_ ; -- Begin function _ZN7rocprim17ROCPRIM_400000_NS6detail17trampoline_kernelINS0_14default_configENS1_22reduce_config_selectorIlEEZNS1_11reduce_implILb1ES3_PlS7_lN6thrust23THRUST_200600_302600_NS4plusIlEEEE10hipError_tPvRmT1_T2_T3_mT4_P12ihipStream_tbEUlT_E1_NS1_11comp_targetILNS1_3genE10ELNS1_11target_archE1200ELNS1_3gpuE4ELNS1_3repE0EEENS1_30default_config_static_selectorELNS0_4arch9wavefront6targetE1EEEvSF_
	.globl	_ZN7rocprim17ROCPRIM_400000_NS6detail17trampoline_kernelINS0_14default_configENS1_22reduce_config_selectorIlEEZNS1_11reduce_implILb1ES3_PlS7_lN6thrust23THRUST_200600_302600_NS4plusIlEEEE10hipError_tPvRmT1_T2_T3_mT4_P12ihipStream_tbEUlT_E1_NS1_11comp_targetILNS1_3genE10ELNS1_11target_archE1200ELNS1_3gpuE4ELNS1_3repE0EEENS1_30default_config_static_selectorELNS0_4arch9wavefront6targetE1EEEvSF_
	.p2align	8
	.type	_ZN7rocprim17ROCPRIM_400000_NS6detail17trampoline_kernelINS0_14default_configENS1_22reduce_config_selectorIlEEZNS1_11reduce_implILb1ES3_PlS7_lN6thrust23THRUST_200600_302600_NS4plusIlEEEE10hipError_tPvRmT1_T2_T3_mT4_P12ihipStream_tbEUlT_E1_NS1_11comp_targetILNS1_3genE10ELNS1_11target_archE1200ELNS1_3gpuE4ELNS1_3repE0EEENS1_30default_config_static_selectorELNS0_4arch9wavefront6targetE1EEEvSF_,@function
_ZN7rocprim17ROCPRIM_400000_NS6detail17trampoline_kernelINS0_14default_configENS1_22reduce_config_selectorIlEEZNS1_11reduce_implILb1ES3_PlS7_lN6thrust23THRUST_200600_302600_NS4plusIlEEEE10hipError_tPvRmT1_T2_T3_mT4_P12ihipStream_tbEUlT_E1_NS1_11comp_targetILNS1_3genE10ELNS1_11target_archE1200ELNS1_3gpuE4ELNS1_3repE0EEENS1_30default_config_static_selectorELNS0_4arch9wavefront6targetE1EEEvSF_: ; @_ZN7rocprim17ROCPRIM_400000_NS6detail17trampoline_kernelINS0_14default_configENS1_22reduce_config_selectorIlEEZNS1_11reduce_implILb1ES3_PlS7_lN6thrust23THRUST_200600_302600_NS4plusIlEEEE10hipError_tPvRmT1_T2_T3_mT4_P12ihipStream_tbEUlT_E1_NS1_11comp_targetILNS1_3genE10ELNS1_11target_archE1200ELNS1_3gpuE4ELNS1_3repE0EEENS1_30default_config_static_selectorELNS0_4arch9wavefront6targetE1EEEvSF_
; %bb.0:
	.section	.rodata,"a",@progbits
	.p2align	6, 0x0
	.amdhsa_kernel _ZN7rocprim17ROCPRIM_400000_NS6detail17trampoline_kernelINS0_14default_configENS1_22reduce_config_selectorIlEEZNS1_11reduce_implILb1ES3_PlS7_lN6thrust23THRUST_200600_302600_NS4plusIlEEEE10hipError_tPvRmT1_T2_T3_mT4_P12ihipStream_tbEUlT_E1_NS1_11comp_targetILNS1_3genE10ELNS1_11target_archE1200ELNS1_3gpuE4ELNS1_3repE0EEENS1_30default_config_static_selectorELNS0_4arch9wavefront6targetE1EEEvSF_
		.amdhsa_group_segment_fixed_size 0
		.amdhsa_private_segment_fixed_size 0
		.amdhsa_kernarg_size 48
		.amdhsa_user_sgpr_count 6
		.amdhsa_user_sgpr_private_segment_buffer 1
		.amdhsa_user_sgpr_dispatch_ptr 0
		.amdhsa_user_sgpr_queue_ptr 0
		.amdhsa_user_sgpr_kernarg_segment_ptr 1
		.amdhsa_user_sgpr_dispatch_id 0
		.amdhsa_user_sgpr_flat_scratch_init 0
		.amdhsa_user_sgpr_private_segment_size 0
		.amdhsa_uses_dynamic_stack 0
		.amdhsa_system_sgpr_private_segment_wavefront_offset 0
		.amdhsa_system_sgpr_workgroup_id_x 1
		.amdhsa_system_sgpr_workgroup_id_y 0
		.amdhsa_system_sgpr_workgroup_id_z 0
		.amdhsa_system_sgpr_workgroup_info 0
		.amdhsa_system_vgpr_workitem_id 0
		.amdhsa_next_free_vgpr 1
		.amdhsa_next_free_sgpr 0
		.amdhsa_reserve_vcc 0
		.amdhsa_reserve_flat_scratch 0
		.amdhsa_float_round_mode_32 0
		.amdhsa_float_round_mode_16_64 0
		.amdhsa_float_denorm_mode_32 3
		.amdhsa_float_denorm_mode_16_64 3
		.amdhsa_dx10_clamp 1
		.amdhsa_ieee_mode 1
		.amdhsa_fp16_overflow 0
		.amdhsa_exception_fp_ieee_invalid_op 0
		.amdhsa_exception_fp_denorm_src 0
		.amdhsa_exception_fp_ieee_div_zero 0
		.amdhsa_exception_fp_ieee_overflow 0
		.amdhsa_exception_fp_ieee_underflow 0
		.amdhsa_exception_fp_ieee_inexact 0
		.amdhsa_exception_int_div_zero 0
	.end_amdhsa_kernel
	.section	.text._ZN7rocprim17ROCPRIM_400000_NS6detail17trampoline_kernelINS0_14default_configENS1_22reduce_config_selectorIlEEZNS1_11reduce_implILb1ES3_PlS7_lN6thrust23THRUST_200600_302600_NS4plusIlEEEE10hipError_tPvRmT1_T2_T3_mT4_P12ihipStream_tbEUlT_E1_NS1_11comp_targetILNS1_3genE10ELNS1_11target_archE1200ELNS1_3gpuE4ELNS1_3repE0EEENS1_30default_config_static_selectorELNS0_4arch9wavefront6targetE1EEEvSF_,"axG",@progbits,_ZN7rocprim17ROCPRIM_400000_NS6detail17trampoline_kernelINS0_14default_configENS1_22reduce_config_selectorIlEEZNS1_11reduce_implILb1ES3_PlS7_lN6thrust23THRUST_200600_302600_NS4plusIlEEEE10hipError_tPvRmT1_T2_T3_mT4_P12ihipStream_tbEUlT_E1_NS1_11comp_targetILNS1_3genE10ELNS1_11target_archE1200ELNS1_3gpuE4ELNS1_3repE0EEENS1_30default_config_static_selectorELNS0_4arch9wavefront6targetE1EEEvSF_,comdat
.Lfunc_end15:
	.size	_ZN7rocprim17ROCPRIM_400000_NS6detail17trampoline_kernelINS0_14default_configENS1_22reduce_config_selectorIlEEZNS1_11reduce_implILb1ES3_PlS7_lN6thrust23THRUST_200600_302600_NS4plusIlEEEE10hipError_tPvRmT1_T2_T3_mT4_P12ihipStream_tbEUlT_E1_NS1_11comp_targetILNS1_3genE10ELNS1_11target_archE1200ELNS1_3gpuE4ELNS1_3repE0EEENS1_30default_config_static_selectorELNS0_4arch9wavefront6targetE1EEEvSF_, .Lfunc_end15-_ZN7rocprim17ROCPRIM_400000_NS6detail17trampoline_kernelINS0_14default_configENS1_22reduce_config_selectorIlEEZNS1_11reduce_implILb1ES3_PlS7_lN6thrust23THRUST_200600_302600_NS4plusIlEEEE10hipError_tPvRmT1_T2_T3_mT4_P12ihipStream_tbEUlT_E1_NS1_11comp_targetILNS1_3genE10ELNS1_11target_archE1200ELNS1_3gpuE4ELNS1_3repE0EEENS1_30default_config_static_selectorELNS0_4arch9wavefront6targetE1EEEvSF_
                                        ; -- End function
	.set _ZN7rocprim17ROCPRIM_400000_NS6detail17trampoline_kernelINS0_14default_configENS1_22reduce_config_selectorIlEEZNS1_11reduce_implILb1ES3_PlS7_lN6thrust23THRUST_200600_302600_NS4plusIlEEEE10hipError_tPvRmT1_T2_T3_mT4_P12ihipStream_tbEUlT_E1_NS1_11comp_targetILNS1_3genE10ELNS1_11target_archE1200ELNS1_3gpuE4ELNS1_3repE0EEENS1_30default_config_static_selectorELNS0_4arch9wavefront6targetE1EEEvSF_.num_vgpr, 0
	.set _ZN7rocprim17ROCPRIM_400000_NS6detail17trampoline_kernelINS0_14default_configENS1_22reduce_config_selectorIlEEZNS1_11reduce_implILb1ES3_PlS7_lN6thrust23THRUST_200600_302600_NS4plusIlEEEE10hipError_tPvRmT1_T2_T3_mT4_P12ihipStream_tbEUlT_E1_NS1_11comp_targetILNS1_3genE10ELNS1_11target_archE1200ELNS1_3gpuE4ELNS1_3repE0EEENS1_30default_config_static_selectorELNS0_4arch9wavefront6targetE1EEEvSF_.num_agpr, 0
	.set _ZN7rocprim17ROCPRIM_400000_NS6detail17trampoline_kernelINS0_14default_configENS1_22reduce_config_selectorIlEEZNS1_11reduce_implILb1ES3_PlS7_lN6thrust23THRUST_200600_302600_NS4plusIlEEEE10hipError_tPvRmT1_T2_T3_mT4_P12ihipStream_tbEUlT_E1_NS1_11comp_targetILNS1_3genE10ELNS1_11target_archE1200ELNS1_3gpuE4ELNS1_3repE0EEENS1_30default_config_static_selectorELNS0_4arch9wavefront6targetE1EEEvSF_.numbered_sgpr, 0
	.set _ZN7rocprim17ROCPRIM_400000_NS6detail17trampoline_kernelINS0_14default_configENS1_22reduce_config_selectorIlEEZNS1_11reduce_implILb1ES3_PlS7_lN6thrust23THRUST_200600_302600_NS4plusIlEEEE10hipError_tPvRmT1_T2_T3_mT4_P12ihipStream_tbEUlT_E1_NS1_11comp_targetILNS1_3genE10ELNS1_11target_archE1200ELNS1_3gpuE4ELNS1_3repE0EEENS1_30default_config_static_selectorELNS0_4arch9wavefront6targetE1EEEvSF_.num_named_barrier, 0
	.set _ZN7rocprim17ROCPRIM_400000_NS6detail17trampoline_kernelINS0_14default_configENS1_22reduce_config_selectorIlEEZNS1_11reduce_implILb1ES3_PlS7_lN6thrust23THRUST_200600_302600_NS4plusIlEEEE10hipError_tPvRmT1_T2_T3_mT4_P12ihipStream_tbEUlT_E1_NS1_11comp_targetILNS1_3genE10ELNS1_11target_archE1200ELNS1_3gpuE4ELNS1_3repE0EEENS1_30default_config_static_selectorELNS0_4arch9wavefront6targetE1EEEvSF_.private_seg_size, 0
	.set _ZN7rocprim17ROCPRIM_400000_NS6detail17trampoline_kernelINS0_14default_configENS1_22reduce_config_selectorIlEEZNS1_11reduce_implILb1ES3_PlS7_lN6thrust23THRUST_200600_302600_NS4plusIlEEEE10hipError_tPvRmT1_T2_T3_mT4_P12ihipStream_tbEUlT_E1_NS1_11comp_targetILNS1_3genE10ELNS1_11target_archE1200ELNS1_3gpuE4ELNS1_3repE0EEENS1_30default_config_static_selectorELNS0_4arch9wavefront6targetE1EEEvSF_.uses_vcc, 0
	.set _ZN7rocprim17ROCPRIM_400000_NS6detail17trampoline_kernelINS0_14default_configENS1_22reduce_config_selectorIlEEZNS1_11reduce_implILb1ES3_PlS7_lN6thrust23THRUST_200600_302600_NS4plusIlEEEE10hipError_tPvRmT1_T2_T3_mT4_P12ihipStream_tbEUlT_E1_NS1_11comp_targetILNS1_3genE10ELNS1_11target_archE1200ELNS1_3gpuE4ELNS1_3repE0EEENS1_30default_config_static_selectorELNS0_4arch9wavefront6targetE1EEEvSF_.uses_flat_scratch, 0
	.set _ZN7rocprim17ROCPRIM_400000_NS6detail17trampoline_kernelINS0_14default_configENS1_22reduce_config_selectorIlEEZNS1_11reduce_implILb1ES3_PlS7_lN6thrust23THRUST_200600_302600_NS4plusIlEEEE10hipError_tPvRmT1_T2_T3_mT4_P12ihipStream_tbEUlT_E1_NS1_11comp_targetILNS1_3genE10ELNS1_11target_archE1200ELNS1_3gpuE4ELNS1_3repE0EEENS1_30default_config_static_selectorELNS0_4arch9wavefront6targetE1EEEvSF_.has_dyn_sized_stack, 0
	.set _ZN7rocprim17ROCPRIM_400000_NS6detail17trampoline_kernelINS0_14default_configENS1_22reduce_config_selectorIlEEZNS1_11reduce_implILb1ES3_PlS7_lN6thrust23THRUST_200600_302600_NS4plusIlEEEE10hipError_tPvRmT1_T2_T3_mT4_P12ihipStream_tbEUlT_E1_NS1_11comp_targetILNS1_3genE10ELNS1_11target_archE1200ELNS1_3gpuE4ELNS1_3repE0EEENS1_30default_config_static_selectorELNS0_4arch9wavefront6targetE1EEEvSF_.has_recursion, 0
	.set _ZN7rocprim17ROCPRIM_400000_NS6detail17trampoline_kernelINS0_14default_configENS1_22reduce_config_selectorIlEEZNS1_11reduce_implILb1ES3_PlS7_lN6thrust23THRUST_200600_302600_NS4plusIlEEEE10hipError_tPvRmT1_T2_T3_mT4_P12ihipStream_tbEUlT_E1_NS1_11comp_targetILNS1_3genE10ELNS1_11target_archE1200ELNS1_3gpuE4ELNS1_3repE0EEENS1_30default_config_static_selectorELNS0_4arch9wavefront6targetE1EEEvSF_.has_indirect_call, 0
	.section	.AMDGPU.csdata,"",@progbits
; Kernel info:
; codeLenInByte = 0
; TotalNumSgprs: 4
; NumVgprs: 0
; ScratchSize: 0
; MemoryBound: 0
; FloatMode: 240
; IeeeMode: 1
; LDSByteSize: 0 bytes/workgroup (compile time only)
; SGPRBlocks: 0
; VGPRBlocks: 0
; NumSGPRsForWavesPerEU: 4
; NumVGPRsForWavesPerEU: 1
; Occupancy: 10
; WaveLimiterHint : 0
; COMPUTE_PGM_RSRC2:SCRATCH_EN: 0
; COMPUTE_PGM_RSRC2:USER_SGPR: 6
; COMPUTE_PGM_RSRC2:TRAP_HANDLER: 0
; COMPUTE_PGM_RSRC2:TGID_X_EN: 1
; COMPUTE_PGM_RSRC2:TGID_Y_EN: 0
; COMPUTE_PGM_RSRC2:TGID_Z_EN: 0
; COMPUTE_PGM_RSRC2:TIDIG_COMP_CNT: 0
	.section	.text._ZN7rocprim17ROCPRIM_400000_NS6detail17trampoline_kernelINS0_14default_configENS1_22reduce_config_selectorIlEEZNS1_11reduce_implILb1ES3_PlS7_lN6thrust23THRUST_200600_302600_NS4plusIlEEEE10hipError_tPvRmT1_T2_T3_mT4_P12ihipStream_tbEUlT_E1_NS1_11comp_targetILNS1_3genE9ELNS1_11target_archE1100ELNS1_3gpuE3ELNS1_3repE0EEENS1_30default_config_static_selectorELNS0_4arch9wavefront6targetE1EEEvSF_,"axG",@progbits,_ZN7rocprim17ROCPRIM_400000_NS6detail17trampoline_kernelINS0_14default_configENS1_22reduce_config_selectorIlEEZNS1_11reduce_implILb1ES3_PlS7_lN6thrust23THRUST_200600_302600_NS4plusIlEEEE10hipError_tPvRmT1_T2_T3_mT4_P12ihipStream_tbEUlT_E1_NS1_11comp_targetILNS1_3genE9ELNS1_11target_archE1100ELNS1_3gpuE3ELNS1_3repE0EEENS1_30default_config_static_selectorELNS0_4arch9wavefront6targetE1EEEvSF_,comdat
	.protected	_ZN7rocprim17ROCPRIM_400000_NS6detail17trampoline_kernelINS0_14default_configENS1_22reduce_config_selectorIlEEZNS1_11reduce_implILb1ES3_PlS7_lN6thrust23THRUST_200600_302600_NS4plusIlEEEE10hipError_tPvRmT1_T2_T3_mT4_P12ihipStream_tbEUlT_E1_NS1_11comp_targetILNS1_3genE9ELNS1_11target_archE1100ELNS1_3gpuE3ELNS1_3repE0EEENS1_30default_config_static_selectorELNS0_4arch9wavefront6targetE1EEEvSF_ ; -- Begin function _ZN7rocprim17ROCPRIM_400000_NS6detail17trampoline_kernelINS0_14default_configENS1_22reduce_config_selectorIlEEZNS1_11reduce_implILb1ES3_PlS7_lN6thrust23THRUST_200600_302600_NS4plusIlEEEE10hipError_tPvRmT1_T2_T3_mT4_P12ihipStream_tbEUlT_E1_NS1_11comp_targetILNS1_3genE9ELNS1_11target_archE1100ELNS1_3gpuE3ELNS1_3repE0EEENS1_30default_config_static_selectorELNS0_4arch9wavefront6targetE1EEEvSF_
	.globl	_ZN7rocprim17ROCPRIM_400000_NS6detail17trampoline_kernelINS0_14default_configENS1_22reduce_config_selectorIlEEZNS1_11reduce_implILb1ES3_PlS7_lN6thrust23THRUST_200600_302600_NS4plusIlEEEE10hipError_tPvRmT1_T2_T3_mT4_P12ihipStream_tbEUlT_E1_NS1_11comp_targetILNS1_3genE9ELNS1_11target_archE1100ELNS1_3gpuE3ELNS1_3repE0EEENS1_30default_config_static_selectorELNS0_4arch9wavefront6targetE1EEEvSF_
	.p2align	8
	.type	_ZN7rocprim17ROCPRIM_400000_NS6detail17trampoline_kernelINS0_14default_configENS1_22reduce_config_selectorIlEEZNS1_11reduce_implILb1ES3_PlS7_lN6thrust23THRUST_200600_302600_NS4plusIlEEEE10hipError_tPvRmT1_T2_T3_mT4_P12ihipStream_tbEUlT_E1_NS1_11comp_targetILNS1_3genE9ELNS1_11target_archE1100ELNS1_3gpuE3ELNS1_3repE0EEENS1_30default_config_static_selectorELNS0_4arch9wavefront6targetE1EEEvSF_,@function
_ZN7rocprim17ROCPRIM_400000_NS6detail17trampoline_kernelINS0_14default_configENS1_22reduce_config_selectorIlEEZNS1_11reduce_implILb1ES3_PlS7_lN6thrust23THRUST_200600_302600_NS4plusIlEEEE10hipError_tPvRmT1_T2_T3_mT4_P12ihipStream_tbEUlT_E1_NS1_11comp_targetILNS1_3genE9ELNS1_11target_archE1100ELNS1_3gpuE3ELNS1_3repE0EEENS1_30default_config_static_selectorELNS0_4arch9wavefront6targetE1EEEvSF_: ; @_ZN7rocprim17ROCPRIM_400000_NS6detail17trampoline_kernelINS0_14default_configENS1_22reduce_config_selectorIlEEZNS1_11reduce_implILb1ES3_PlS7_lN6thrust23THRUST_200600_302600_NS4plusIlEEEE10hipError_tPvRmT1_T2_T3_mT4_P12ihipStream_tbEUlT_E1_NS1_11comp_targetILNS1_3genE9ELNS1_11target_archE1100ELNS1_3gpuE3ELNS1_3repE0EEENS1_30default_config_static_selectorELNS0_4arch9wavefront6targetE1EEEvSF_
; %bb.0:
	.section	.rodata,"a",@progbits
	.p2align	6, 0x0
	.amdhsa_kernel _ZN7rocprim17ROCPRIM_400000_NS6detail17trampoline_kernelINS0_14default_configENS1_22reduce_config_selectorIlEEZNS1_11reduce_implILb1ES3_PlS7_lN6thrust23THRUST_200600_302600_NS4plusIlEEEE10hipError_tPvRmT1_T2_T3_mT4_P12ihipStream_tbEUlT_E1_NS1_11comp_targetILNS1_3genE9ELNS1_11target_archE1100ELNS1_3gpuE3ELNS1_3repE0EEENS1_30default_config_static_selectorELNS0_4arch9wavefront6targetE1EEEvSF_
		.amdhsa_group_segment_fixed_size 0
		.amdhsa_private_segment_fixed_size 0
		.amdhsa_kernarg_size 48
		.amdhsa_user_sgpr_count 6
		.amdhsa_user_sgpr_private_segment_buffer 1
		.amdhsa_user_sgpr_dispatch_ptr 0
		.amdhsa_user_sgpr_queue_ptr 0
		.amdhsa_user_sgpr_kernarg_segment_ptr 1
		.amdhsa_user_sgpr_dispatch_id 0
		.amdhsa_user_sgpr_flat_scratch_init 0
		.amdhsa_user_sgpr_private_segment_size 0
		.amdhsa_uses_dynamic_stack 0
		.amdhsa_system_sgpr_private_segment_wavefront_offset 0
		.amdhsa_system_sgpr_workgroup_id_x 1
		.amdhsa_system_sgpr_workgroup_id_y 0
		.amdhsa_system_sgpr_workgroup_id_z 0
		.amdhsa_system_sgpr_workgroup_info 0
		.amdhsa_system_vgpr_workitem_id 0
		.amdhsa_next_free_vgpr 1
		.amdhsa_next_free_sgpr 0
		.amdhsa_reserve_vcc 0
		.amdhsa_reserve_flat_scratch 0
		.amdhsa_float_round_mode_32 0
		.amdhsa_float_round_mode_16_64 0
		.amdhsa_float_denorm_mode_32 3
		.amdhsa_float_denorm_mode_16_64 3
		.amdhsa_dx10_clamp 1
		.amdhsa_ieee_mode 1
		.amdhsa_fp16_overflow 0
		.amdhsa_exception_fp_ieee_invalid_op 0
		.amdhsa_exception_fp_denorm_src 0
		.amdhsa_exception_fp_ieee_div_zero 0
		.amdhsa_exception_fp_ieee_overflow 0
		.amdhsa_exception_fp_ieee_underflow 0
		.amdhsa_exception_fp_ieee_inexact 0
		.amdhsa_exception_int_div_zero 0
	.end_amdhsa_kernel
	.section	.text._ZN7rocprim17ROCPRIM_400000_NS6detail17trampoline_kernelINS0_14default_configENS1_22reduce_config_selectorIlEEZNS1_11reduce_implILb1ES3_PlS7_lN6thrust23THRUST_200600_302600_NS4plusIlEEEE10hipError_tPvRmT1_T2_T3_mT4_P12ihipStream_tbEUlT_E1_NS1_11comp_targetILNS1_3genE9ELNS1_11target_archE1100ELNS1_3gpuE3ELNS1_3repE0EEENS1_30default_config_static_selectorELNS0_4arch9wavefront6targetE1EEEvSF_,"axG",@progbits,_ZN7rocprim17ROCPRIM_400000_NS6detail17trampoline_kernelINS0_14default_configENS1_22reduce_config_selectorIlEEZNS1_11reduce_implILb1ES3_PlS7_lN6thrust23THRUST_200600_302600_NS4plusIlEEEE10hipError_tPvRmT1_T2_T3_mT4_P12ihipStream_tbEUlT_E1_NS1_11comp_targetILNS1_3genE9ELNS1_11target_archE1100ELNS1_3gpuE3ELNS1_3repE0EEENS1_30default_config_static_selectorELNS0_4arch9wavefront6targetE1EEEvSF_,comdat
.Lfunc_end16:
	.size	_ZN7rocprim17ROCPRIM_400000_NS6detail17trampoline_kernelINS0_14default_configENS1_22reduce_config_selectorIlEEZNS1_11reduce_implILb1ES3_PlS7_lN6thrust23THRUST_200600_302600_NS4plusIlEEEE10hipError_tPvRmT1_T2_T3_mT4_P12ihipStream_tbEUlT_E1_NS1_11comp_targetILNS1_3genE9ELNS1_11target_archE1100ELNS1_3gpuE3ELNS1_3repE0EEENS1_30default_config_static_selectorELNS0_4arch9wavefront6targetE1EEEvSF_, .Lfunc_end16-_ZN7rocprim17ROCPRIM_400000_NS6detail17trampoline_kernelINS0_14default_configENS1_22reduce_config_selectorIlEEZNS1_11reduce_implILb1ES3_PlS7_lN6thrust23THRUST_200600_302600_NS4plusIlEEEE10hipError_tPvRmT1_T2_T3_mT4_P12ihipStream_tbEUlT_E1_NS1_11comp_targetILNS1_3genE9ELNS1_11target_archE1100ELNS1_3gpuE3ELNS1_3repE0EEENS1_30default_config_static_selectorELNS0_4arch9wavefront6targetE1EEEvSF_
                                        ; -- End function
	.set _ZN7rocprim17ROCPRIM_400000_NS6detail17trampoline_kernelINS0_14default_configENS1_22reduce_config_selectorIlEEZNS1_11reduce_implILb1ES3_PlS7_lN6thrust23THRUST_200600_302600_NS4plusIlEEEE10hipError_tPvRmT1_T2_T3_mT4_P12ihipStream_tbEUlT_E1_NS1_11comp_targetILNS1_3genE9ELNS1_11target_archE1100ELNS1_3gpuE3ELNS1_3repE0EEENS1_30default_config_static_selectorELNS0_4arch9wavefront6targetE1EEEvSF_.num_vgpr, 0
	.set _ZN7rocprim17ROCPRIM_400000_NS6detail17trampoline_kernelINS0_14default_configENS1_22reduce_config_selectorIlEEZNS1_11reduce_implILb1ES3_PlS7_lN6thrust23THRUST_200600_302600_NS4plusIlEEEE10hipError_tPvRmT1_T2_T3_mT4_P12ihipStream_tbEUlT_E1_NS1_11comp_targetILNS1_3genE9ELNS1_11target_archE1100ELNS1_3gpuE3ELNS1_3repE0EEENS1_30default_config_static_selectorELNS0_4arch9wavefront6targetE1EEEvSF_.num_agpr, 0
	.set _ZN7rocprim17ROCPRIM_400000_NS6detail17trampoline_kernelINS0_14default_configENS1_22reduce_config_selectorIlEEZNS1_11reduce_implILb1ES3_PlS7_lN6thrust23THRUST_200600_302600_NS4plusIlEEEE10hipError_tPvRmT1_T2_T3_mT4_P12ihipStream_tbEUlT_E1_NS1_11comp_targetILNS1_3genE9ELNS1_11target_archE1100ELNS1_3gpuE3ELNS1_3repE0EEENS1_30default_config_static_selectorELNS0_4arch9wavefront6targetE1EEEvSF_.numbered_sgpr, 0
	.set _ZN7rocprim17ROCPRIM_400000_NS6detail17trampoline_kernelINS0_14default_configENS1_22reduce_config_selectorIlEEZNS1_11reduce_implILb1ES3_PlS7_lN6thrust23THRUST_200600_302600_NS4plusIlEEEE10hipError_tPvRmT1_T2_T3_mT4_P12ihipStream_tbEUlT_E1_NS1_11comp_targetILNS1_3genE9ELNS1_11target_archE1100ELNS1_3gpuE3ELNS1_3repE0EEENS1_30default_config_static_selectorELNS0_4arch9wavefront6targetE1EEEvSF_.num_named_barrier, 0
	.set _ZN7rocprim17ROCPRIM_400000_NS6detail17trampoline_kernelINS0_14default_configENS1_22reduce_config_selectorIlEEZNS1_11reduce_implILb1ES3_PlS7_lN6thrust23THRUST_200600_302600_NS4plusIlEEEE10hipError_tPvRmT1_T2_T3_mT4_P12ihipStream_tbEUlT_E1_NS1_11comp_targetILNS1_3genE9ELNS1_11target_archE1100ELNS1_3gpuE3ELNS1_3repE0EEENS1_30default_config_static_selectorELNS0_4arch9wavefront6targetE1EEEvSF_.private_seg_size, 0
	.set _ZN7rocprim17ROCPRIM_400000_NS6detail17trampoline_kernelINS0_14default_configENS1_22reduce_config_selectorIlEEZNS1_11reduce_implILb1ES3_PlS7_lN6thrust23THRUST_200600_302600_NS4plusIlEEEE10hipError_tPvRmT1_T2_T3_mT4_P12ihipStream_tbEUlT_E1_NS1_11comp_targetILNS1_3genE9ELNS1_11target_archE1100ELNS1_3gpuE3ELNS1_3repE0EEENS1_30default_config_static_selectorELNS0_4arch9wavefront6targetE1EEEvSF_.uses_vcc, 0
	.set _ZN7rocprim17ROCPRIM_400000_NS6detail17trampoline_kernelINS0_14default_configENS1_22reduce_config_selectorIlEEZNS1_11reduce_implILb1ES3_PlS7_lN6thrust23THRUST_200600_302600_NS4plusIlEEEE10hipError_tPvRmT1_T2_T3_mT4_P12ihipStream_tbEUlT_E1_NS1_11comp_targetILNS1_3genE9ELNS1_11target_archE1100ELNS1_3gpuE3ELNS1_3repE0EEENS1_30default_config_static_selectorELNS0_4arch9wavefront6targetE1EEEvSF_.uses_flat_scratch, 0
	.set _ZN7rocprim17ROCPRIM_400000_NS6detail17trampoline_kernelINS0_14default_configENS1_22reduce_config_selectorIlEEZNS1_11reduce_implILb1ES3_PlS7_lN6thrust23THRUST_200600_302600_NS4plusIlEEEE10hipError_tPvRmT1_T2_T3_mT4_P12ihipStream_tbEUlT_E1_NS1_11comp_targetILNS1_3genE9ELNS1_11target_archE1100ELNS1_3gpuE3ELNS1_3repE0EEENS1_30default_config_static_selectorELNS0_4arch9wavefront6targetE1EEEvSF_.has_dyn_sized_stack, 0
	.set _ZN7rocprim17ROCPRIM_400000_NS6detail17trampoline_kernelINS0_14default_configENS1_22reduce_config_selectorIlEEZNS1_11reduce_implILb1ES3_PlS7_lN6thrust23THRUST_200600_302600_NS4plusIlEEEE10hipError_tPvRmT1_T2_T3_mT4_P12ihipStream_tbEUlT_E1_NS1_11comp_targetILNS1_3genE9ELNS1_11target_archE1100ELNS1_3gpuE3ELNS1_3repE0EEENS1_30default_config_static_selectorELNS0_4arch9wavefront6targetE1EEEvSF_.has_recursion, 0
	.set _ZN7rocprim17ROCPRIM_400000_NS6detail17trampoline_kernelINS0_14default_configENS1_22reduce_config_selectorIlEEZNS1_11reduce_implILb1ES3_PlS7_lN6thrust23THRUST_200600_302600_NS4plusIlEEEE10hipError_tPvRmT1_T2_T3_mT4_P12ihipStream_tbEUlT_E1_NS1_11comp_targetILNS1_3genE9ELNS1_11target_archE1100ELNS1_3gpuE3ELNS1_3repE0EEENS1_30default_config_static_selectorELNS0_4arch9wavefront6targetE1EEEvSF_.has_indirect_call, 0
	.section	.AMDGPU.csdata,"",@progbits
; Kernel info:
; codeLenInByte = 0
; TotalNumSgprs: 4
; NumVgprs: 0
; ScratchSize: 0
; MemoryBound: 0
; FloatMode: 240
; IeeeMode: 1
; LDSByteSize: 0 bytes/workgroup (compile time only)
; SGPRBlocks: 0
; VGPRBlocks: 0
; NumSGPRsForWavesPerEU: 4
; NumVGPRsForWavesPerEU: 1
; Occupancy: 10
; WaveLimiterHint : 0
; COMPUTE_PGM_RSRC2:SCRATCH_EN: 0
; COMPUTE_PGM_RSRC2:USER_SGPR: 6
; COMPUTE_PGM_RSRC2:TRAP_HANDLER: 0
; COMPUTE_PGM_RSRC2:TGID_X_EN: 1
; COMPUTE_PGM_RSRC2:TGID_Y_EN: 0
; COMPUTE_PGM_RSRC2:TGID_Z_EN: 0
; COMPUTE_PGM_RSRC2:TIDIG_COMP_CNT: 0
	.section	.text._ZN7rocprim17ROCPRIM_400000_NS6detail17trampoline_kernelINS0_14default_configENS1_22reduce_config_selectorIlEEZNS1_11reduce_implILb1ES3_PlS7_lN6thrust23THRUST_200600_302600_NS4plusIlEEEE10hipError_tPvRmT1_T2_T3_mT4_P12ihipStream_tbEUlT_E1_NS1_11comp_targetILNS1_3genE8ELNS1_11target_archE1030ELNS1_3gpuE2ELNS1_3repE0EEENS1_30default_config_static_selectorELNS0_4arch9wavefront6targetE1EEEvSF_,"axG",@progbits,_ZN7rocprim17ROCPRIM_400000_NS6detail17trampoline_kernelINS0_14default_configENS1_22reduce_config_selectorIlEEZNS1_11reduce_implILb1ES3_PlS7_lN6thrust23THRUST_200600_302600_NS4plusIlEEEE10hipError_tPvRmT1_T2_T3_mT4_P12ihipStream_tbEUlT_E1_NS1_11comp_targetILNS1_3genE8ELNS1_11target_archE1030ELNS1_3gpuE2ELNS1_3repE0EEENS1_30default_config_static_selectorELNS0_4arch9wavefront6targetE1EEEvSF_,comdat
	.protected	_ZN7rocprim17ROCPRIM_400000_NS6detail17trampoline_kernelINS0_14default_configENS1_22reduce_config_selectorIlEEZNS1_11reduce_implILb1ES3_PlS7_lN6thrust23THRUST_200600_302600_NS4plusIlEEEE10hipError_tPvRmT1_T2_T3_mT4_P12ihipStream_tbEUlT_E1_NS1_11comp_targetILNS1_3genE8ELNS1_11target_archE1030ELNS1_3gpuE2ELNS1_3repE0EEENS1_30default_config_static_selectorELNS0_4arch9wavefront6targetE1EEEvSF_ ; -- Begin function _ZN7rocprim17ROCPRIM_400000_NS6detail17trampoline_kernelINS0_14default_configENS1_22reduce_config_selectorIlEEZNS1_11reduce_implILb1ES3_PlS7_lN6thrust23THRUST_200600_302600_NS4plusIlEEEE10hipError_tPvRmT1_T2_T3_mT4_P12ihipStream_tbEUlT_E1_NS1_11comp_targetILNS1_3genE8ELNS1_11target_archE1030ELNS1_3gpuE2ELNS1_3repE0EEENS1_30default_config_static_selectorELNS0_4arch9wavefront6targetE1EEEvSF_
	.globl	_ZN7rocprim17ROCPRIM_400000_NS6detail17trampoline_kernelINS0_14default_configENS1_22reduce_config_selectorIlEEZNS1_11reduce_implILb1ES3_PlS7_lN6thrust23THRUST_200600_302600_NS4plusIlEEEE10hipError_tPvRmT1_T2_T3_mT4_P12ihipStream_tbEUlT_E1_NS1_11comp_targetILNS1_3genE8ELNS1_11target_archE1030ELNS1_3gpuE2ELNS1_3repE0EEENS1_30default_config_static_selectorELNS0_4arch9wavefront6targetE1EEEvSF_
	.p2align	8
	.type	_ZN7rocprim17ROCPRIM_400000_NS6detail17trampoline_kernelINS0_14default_configENS1_22reduce_config_selectorIlEEZNS1_11reduce_implILb1ES3_PlS7_lN6thrust23THRUST_200600_302600_NS4plusIlEEEE10hipError_tPvRmT1_T2_T3_mT4_P12ihipStream_tbEUlT_E1_NS1_11comp_targetILNS1_3genE8ELNS1_11target_archE1030ELNS1_3gpuE2ELNS1_3repE0EEENS1_30default_config_static_selectorELNS0_4arch9wavefront6targetE1EEEvSF_,@function
_ZN7rocprim17ROCPRIM_400000_NS6detail17trampoline_kernelINS0_14default_configENS1_22reduce_config_selectorIlEEZNS1_11reduce_implILb1ES3_PlS7_lN6thrust23THRUST_200600_302600_NS4plusIlEEEE10hipError_tPvRmT1_T2_T3_mT4_P12ihipStream_tbEUlT_E1_NS1_11comp_targetILNS1_3genE8ELNS1_11target_archE1030ELNS1_3gpuE2ELNS1_3repE0EEENS1_30default_config_static_selectorELNS0_4arch9wavefront6targetE1EEEvSF_: ; @_ZN7rocprim17ROCPRIM_400000_NS6detail17trampoline_kernelINS0_14default_configENS1_22reduce_config_selectorIlEEZNS1_11reduce_implILb1ES3_PlS7_lN6thrust23THRUST_200600_302600_NS4plusIlEEEE10hipError_tPvRmT1_T2_T3_mT4_P12ihipStream_tbEUlT_E1_NS1_11comp_targetILNS1_3genE8ELNS1_11target_archE1030ELNS1_3gpuE2ELNS1_3repE0EEENS1_30default_config_static_selectorELNS0_4arch9wavefront6targetE1EEEvSF_
; %bb.0:
	.section	.rodata,"a",@progbits
	.p2align	6, 0x0
	.amdhsa_kernel _ZN7rocprim17ROCPRIM_400000_NS6detail17trampoline_kernelINS0_14default_configENS1_22reduce_config_selectorIlEEZNS1_11reduce_implILb1ES3_PlS7_lN6thrust23THRUST_200600_302600_NS4plusIlEEEE10hipError_tPvRmT1_T2_T3_mT4_P12ihipStream_tbEUlT_E1_NS1_11comp_targetILNS1_3genE8ELNS1_11target_archE1030ELNS1_3gpuE2ELNS1_3repE0EEENS1_30default_config_static_selectorELNS0_4arch9wavefront6targetE1EEEvSF_
		.amdhsa_group_segment_fixed_size 0
		.amdhsa_private_segment_fixed_size 0
		.amdhsa_kernarg_size 48
		.amdhsa_user_sgpr_count 6
		.amdhsa_user_sgpr_private_segment_buffer 1
		.amdhsa_user_sgpr_dispatch_ptr 0
		.amdhsa_user_sgpr_queue_ptr 0
		.amdhsa_user_sgpr_kernarg_segment_ptr 1
		.amdhsa_user_sgpr_dispatch_id 0
		.amdhsa_user_sgpr_flat_scratch_init 0
		.amdhsa_user_sgpr_private_segment_size 0
		.amdhsa_uses_dynamic_stack 0
		.amdhsa_system_sgpr_private_segment_wavefront_offset 0
		.amdhsa_system_sgpr_workgroup_id_x 1
		.amdhsa_system_sgpr_workgroup_id_y 0
		.amdhsa_system_sgpr_workgroup_id_z 0
		.amdhsa_system_sgpr_workgroup_info 0
		.amdhsa_system_vgpr_workitem_id 0
		.amdhsa_next_free_vgpr 1
		.amdhsa_next_free_sgpr 0
		.amdhsa_reserve_vcc 0
		.amdhsa_reserve_flat_scratch 0
		.amdhsa_float_round_mode_32 0
		.amdhsa_float_round_mode_16_64 0
		.amdhsa_float_denorm_mode_32 3
		.amdhsa_float_denorm_mode_16_64 3
		.amdhsa_dx10_clamp 1
		.amdhsa_ieee_mode 1
		.amdhsa_fp16_overflow 0
		.amdhsa_exception_fp_ieee_invalid_op 0
		.amdhsa_exception_fp_denorm_src 0
		.amdhsa_exception_fp_ieee_div_zero 0
		.amdhsa_exception_fp_ieee_overflow 0
		.amdhsa_exception_fp_ieee_underflow 0
		.amdhsa_exception_fp_ieee_inexact 0
		.amdhsa_exception_int_div_zero 0
	.end_amdhsa_kernel
	.section	.text._ZN7rocprim17ROCPRIM_400000_NS6detail17trampoline_kernelINS0_14default_configENS1_22reduce_config_selectorIlEEZNS1_11reduce_implILb1ES3_PlS7_lN6thrust23THRUST_200600_302600_NS4plusIlEEEE10hipError_tPvRmT1_T2_T3_mT4_P12ihipStream_tbEUlT_E1_NS1_11comp_targetILNS1_3genE8ELNS1_11target_archE1030ELNS1_3gpuE2ELNS1_3repE0EEENS1_30default_config_static_selectorELNS0_4arch9wavefront6targetE1EEEvSF_,"axG",@progbits,_ZN7rocprim17ROCPRIM_400000_NS6detail17trampoline_kernelINS0_14default_configENS1_22reduce_config_selectorIlEEZNS1_11reduce_implILb1ES3_PlS7_lN6thrust23THRUST_200600_302600_NS4plusIlEEEE10hipError_tPvRmT1_T2_T3_mT4_P12ihipStream_tbEUlT_E1_NS1_11comp_targetILNS1_3genE8ELNS1_11target_archE1030ELNS1_3gpuE2ELNS1_3repE0EEENS1_30default_config_static_selectorELNS0_4arch9wavefront6targetE1EEEvSF_,comdat
.Lfunc_end17:
	.size	_ZN7rocprim17ROCPRIM_400000_NS6detail17trampoline_kernelINS0_14default_configENS1_22reduce_config_selectorIlEEZNS1_11reduce_implILb1ES3_PlS7_lN6thrust23THRUST_200600_302600_NS4plusIlEEEE10hipError_tPvRmT1_T2_T3_mT4_P12ihipStream_tbEUlT_E1_NS1_11comp_targetILNS1_3genE8ELNS1_11target_archE1030ELNS1_3gpuE2ELNS1_3repE0EEENS1_30default_config_static_selectorELNS0_4arch9wavefront6targetE1EEEvSF_, .Lfunc_end17-_ZN7rocprim17ROCPRIM_400000_NS6detail17trampoline_kernelINS0_14default_configENS1_22reduce_config_selectorIlEEZNS1_11reduce_implILb1ES3_PlS7_lN6thrust23THRUST_200600_302600_NS4plusIlEEEE10hipError_tPvRmT1_T2_T3_mT4_P12ihipStream_tbEUlT_E1_NS1_11comp_targetILNS1_3genE8ELNS1_11target_archE1030ELNS1_3gpuE2ELNS1_3repE0EEENS1_30default_config_static_selectorELNS0_4arch9wavefront6targetE1EEEvSF_
                                        ; -- End function
	.set _ZN7rocprim17ROCPRIM_400000_NS6detail17trampoline_kernelINS0_14default_configENS1_22reduce_config_selectorIlEEZNS1_11reduce_implILb1ES3_PlS7_lN6thrust23THRUST_200600_302600_NS4plusIlEEEE10hipError_tPvRmT1_T2_T3_mT4_P12ihipStream_tbEUlT_E1_NS1_11comp_targetILNS1_3genE8ELNS1_11target_archE1030ELNS1_3gpuE2ELNS1_3repE0EEENS1_30default_config_static_selectorELNS0_4arch9wavefront6targetE1EEEvSF_.num_vgpr, 0
	.set _ZN7rocprim17ROCPRIM_400000_NS6detail17trampoline_kernelINS0_14default_configENS1_22reduce_config_selectorIlEEZNS1_11reduce_implILb1ES3_PlS7_lN6thrust23THRUST_200600_302600_NS4plusIlEEEE10hipError_tPvRmT1_T2_T3_mT4_P12ihipStream_tbEUlT_E1_NS1_11comp_targetILNS1_3genE8ELNS1_11target_archE1030ELNS1_3gpuE2ELNS1_3repE0EEENS1_30default_config_static_selectorELNS0_4arch9wavefront6targetE1EEEvSF_.num_agpr, 0
	.set _ZN7rocprim17ROCPRIM_400000_NS6detail17trampoline_kernelINS0_14default_configENS1_22reduce_config_selectorIlEEZNS1_11reduce_implILb1ES3_PlS7_lN6thrust23THRUST_200600_302600_NS4plusIlEEEE10hipError_tPvRmT1_T2_T3_mT4_P12ihipStream_tbEUlT_E1_NS1_11comp_targetILNS1_3genE8ELNS1_11target_archE1030ELNS1_3gpuE2ELNS1_3repE0EEENS1_30default_config_static_selectorELNS0_4arch9wavefront6targetE1EEEvSF_.numbered_sgpr, 0
	.set _ZN7rocprim17ROCPRIM_400000_NS6detail17trampoline_kernelINS0_14default_configENS1_22reduce_config_selectorIlEEZNS1_11reduce_implILb1ES3_PlS7_lN6thrust23THRUST_200600_302600_NS4plusIlEEEE10hipError_tPvRmT1_T2_T3_mT4_P12ihipStream_tbEUlT_E1_NS1_11comp_targetILNS1_3genE8ELNS1_11target_archE1030ELNS1_3gpuE2ELNS1_3repE0EEENS1_30default_config_static_selectorELNS0_4arch9wavefront6targetE1EEEvSF_.num_named_barrier, 0
	.set _ZN7rocprim17ROCPRIM_400000_NS6detail17trampoline_kernelINS0_14default_configENS1_22reduce_config_selectorIlEEZNS1_11reduce_implILb1ES3_PlS7_lN6thrust23THRUST_200600_302600_NS4plusIlEEEE10hipError_tPvRmT1_T2_T3_mT4_P12ihipStream_tbEUlT_E1_NS1_11comp_targetILNS1_3genE8ELNS1_11target_archE1030ELNS1_3gpuE2ELNS1_3repE0EEENS1_30default_config_static_selectorELNS0_4arch9wavefront6targetE1EEEvSF_.private_seg_size, 0
	.set _ZN7rocprim17ROCPRIM_400000_NS6detail17trampoline_kernelINS0_14default_configENS1_22reduce_config_selectorIlEEZNS1_11reduce_implILb1ES3_PlS7_lN6thrust23THRUST_200600_302600_NS4plusIlEEEE10hipError_tPvRmT1_T2_T3_mT4_P12ihipStream_tbEUlT_E1_NS1_11comp_targetILNS1_3genE8ELNS1_11target_archE1030ELNS1_3gpuE2ELNS1_3repE0EEENS1_30default_config_static_selectorELNS0_4arch9wavefront6targetE1EEEvSF_.uses_vcc, 0
	.set _ZN7rocprim17ROCPRIM_400000_NS6detail17trampoline_kernelINS0_14default_configENS1_22reduce_config_selectorIlEEZNS1_11reduce_implILb1ES3_PlS7_lN6thrust23THRUST_200600_302600_NS4plusIlEEEE10hipError_tPvRmT1_T2_T3_mT4_P12ihipStream_tbEUlT_E1_NS1_11comp_targetILNS1_3genE8ELNS1_11target_archE1030ELNS1_3gpuE2ELNS1_3repE0EEENS1_30default_config_static_selectorELNS0_4arch9wavefront6targetE1EEEvSF_.uses_flat_scratch, 0
	.set _ZN7rocprim17ROCPRIM_400000_NS6detail17trampoline_kernelINS0_14default_configENS1_22reduce_config_selectorIlEEZNS1_11reduce_implILb1ES3_PlS7_lN6thrust23THRUST_200600_302600_NS4plusIlEEEE10hipError_tPvRmT1_T2_T3_mT4_P12ihipStream_tbEUlT_E1_NS1_11comp_targetILNS1_3genE8ELNS1_11target_archE1030ELNS1_3gpuE2ELNS1_3repE0EEENS1_30default_config_static_selectorELNS0_4arch9wavefront6targetE1EEEvSF_.has_dyn_sized_stack, 0
	.set _ZN7rocprim17ROCPRIM_400000_NS6detail17trampoline_kernelINS0_14default_configENS1_22reduce_config_selectorIlEEZNS1_11reduce_implILb1ES3_PlS7_lN6thrust23THRUST_200600_302600_NS4plusIlEEEE10hipError_tPvRmT1_T2_T3_mT4_P12ihipStream_tbEUlT_E1_NS1_11comp_targetILNS1_3genE8ELNS1_11target_archE1030ELNS1_3gpuE2ELNS1_3repE0EEENS1_30default_config_static_selectorELNS0_4arch9wavefront6targetE1EEEvSF_.has_recursion, 0
	.set _ZN7rocprim17ROCPRIM_400000_NS6detail17trampoline_kernelINS0_14default_configENS1_22reduce_config_selectorIlEEZNS1_11reduce_implILb1ES3_PlS7_lN6thrust23THRUST_200600_302600_NS4plusIlEEEE10hipError_tPvRmT1_T2_T3_mT4_P12ihipStream_tbEUlT_E1_NS1_11comp_targetILNS1_3genE8ELNS1_11target_archE1030ELNS1_3gpuE2ELNS1_3repE0EEENS1_30default_config_static_selectorELNS0_4arch9wavefront6targetE1EEEvSF_.has_indirect_call, 0
	.section	.AMDGPU.csdata,"",@progbits
; Kernel info:
; codeLenInByte = 0
; TotalNumSgprs: 4
; NumVgprs: 0
; ScratchSize: 0
; MemoryBound: 0
; FloatMode: 240
; IeeeMode: 1
; LDSByteSize: 0 bytes/workgroup (compile time only)
; SGPRBlocks: 0
; VGPRBlocks: 0
; NumSGPRsForWavesPerEU: 4
; NumVGPRsForWavesPerEU: 1
; Occupancy: 10
; WaveLimiterHint : 0
; COMPUTE_PGM_RSRC2:SCRATCH_EN: 0
; COMPUTE_PGM_RSRC2:USER_SGPR: 6
; COMPUTE_PGM_RSRC2:TRAP_HANDLER: 0
; COMPUTE_PGM_RSRC2:TGID_X_EN: 1
; COMPUTE_PGM_RSRC2:TGID_Y_EN: 0
; COMPUTE_PGM_RSRC2:TGID_Z_EN: 0
; COMPUTE_PGM_RSRC2:TIDIG_COMP_CNT: 0
	.section	.text._ZN7rocprim17ROCPRIM_400000_NS6detail17trampoline_kernelINS0_14default_configENS1_22reduce_config_selectorIlEEZNS1_11reduce_implILb1ES3_N6thrust23THRUST_200600_302600_NS11hip_rocprim26transform_input_iterator_tIlPKhZN2at6native8ModeImplIbEclEPKbSI_EUlhE_EEPllNS8_4plusIlEEEE10hipError_tPvRmT1_T2_T3_mT4_P12ihipStream_tbEUlT_E0_NS1_11comp_targetILNS1_3genE0ELNS1_11target_archE4294967295ELNS1_3gpuE0ELNS1_3repE0EEENS1_30default_config_static_selectorELNS0_4arch9wavefront6targetE1EEEvSR_,"axG",@progbits,_ZN7rocprim17ROCPRIM_400000_NS6detail17trampoline_kernelINS0_14default_configENS1_22reduce_config_selectorIlEEZNS1_11reduce_implILb1ES3_N6thrust23THRUST_200600_302600_NS11hip_rocprim26transform_input_iterator_tIlPKhZN2at6native8ModeImplIbEclEPKbSI_EUlhE_EEPllNS8_4plusIlEEEE10hipError_tPvRmT1_T2_T3_mT4_P12ihipStream_tbEUlT_E0_NS1_11comp_targetILNS1_3genE0ELNS1_11target_archE4294967295ELNS1_3gpuE0ELNS1_3repE0EEENS1_30default_config_static_selectorELNS0_4arch9wavefront6targetE1EEEvSR_,comdat
	.protected	_ZN7rocprim17ROCPRIM_400000_NS6detail17trampoline_kernelINS0_14default_configENS1_22reduce_config_selectorIlEEZNS1_11reduce_implILb1ES3_N6thrust23THRUST_200600_302600_NS11hip_rocprim26transform_input_iterator_tIlPKhZN2at6native8ModeImplIbEclEPKbSI_EUlhE_EEPllNS8_4plusIlEEEE10hipError_tPvRmT1_T2_T3_mT4_P12ihipStream_tbEUlT_E0_NS1_11comp_targetILNS1_3genE0ELNS1_11target_archE4294967295ELNS1_3gpuE0ELNS1_3repE0EEENS1_30default_config_static_selectorELNS0_4arch9wavefront6targetE1EEEvSR_ ; -- Begin function _ZN7rocprim17ROCPRIM_400000_NS6detail17trampoline_kernelINS0_14default_configENS1_22reduce_config_selectorIlEEZNS1_11reduce_implILb1ES3_N6thrust23THRUST_200600_302600_NS11hip_rocprim26transform_input_iterator_tIlPKhZN2at6native8ModeImplIbEclEPKbSI_EUlhE_EEPllNS8_4plusIlEEEE10hipError_tPvRmT1_T2_T3_mT4_P12ihipStream_tbEUlT_E0_NS1_11comp_targetILNS1_3genE0ELNS1_11target_archE4294967295ELNS1_3gpuE0ELNS1_3repE0EEENS1_30default_config_static_selectorELNS0_4arch9wavefront6targetE1EEEvSR_
	.globl	_ZN7rocprim17ROCPRIM_400000_NS6detail17trampoline_kernelINS0_14default_configENS1_22reduce_config_selectorIlEEZNS1_11reduce_implILb1ES3_N6thrust23THRUST_200600_302600_NS11hip_rocprim26transform_input_iterator_tIlPKhZN2at6native8ModeImplIbEclEPKbSI_EUlhE_EEPllNS8_4plusIlEEEE10hipError_tPvRmT1_T2_T3_mT4_P12ihipStream_tbEUlT_E0_NS1_11comp_targetILNS1_3genE0ELNS1_11target_archE4294967295ELNS1_3gpuE0ELNS1_3repE0EEENS1_30default_config_static_selectorELNS0_4arch9wavefront6targetE1EEEvSR_
	.p2align	8
	.type	_ZN7rocprim17ROCPRIM_400000_NS6detail17trampoline_kernelINS0_14default_configENS1_22reduce_config_selectorIlEEZNS1_11reduce_implILb1ES3_N6thrust23THRUST_200600_302600_NS11hip_rocprim26transform_input_iterator_tIlPKhZN2at6native8ModeImplIbEclEPKbSI_EUlhE_EEPllNS8_4plusIlEEEE10hipError_tPvRmT1_T2_T3_mT4_P12ihipStream_tbEUlT_E0_NS1_11comp_targetILNS1_3genE0ELNS1_11target_archE4294967295ELNS1_3gpuE0ELNS1_3repE0EEENS1_30default_config_static_selectorELNS0_4arch9wavefront6targetE1EEEvSR_,@function
_ZN7rocprim17ROCPRIM_400000_NS6detail17trampoline_kernelINS0_14default_configENS1_22reduce_config_selectorIlEEZNS1_11reduce_implILb1ES3_N6thrust23THRUST_200600_302600_NS11hip_rocprim26transform_input_iterator_tIlPKhZN2at6native8ModeImplIbEclEPKbSI_EUlhE_EEPllNS8_4plusIlEEEE10hipError_tPvRmT1_T2_T3_mT4_P12ihipStream_tbEUlT_E0_NS1_11comp_targetILNS1_3genE0ELNS1_11target_archE4294967295ELNS1_3gpuE0ELNS1_3repE0EEENS1_30default_config_static_selectorELNS0_4arch9wavefront6targetE1EEEvSR_: ; @_ZN7rocprim17ROCPRIM_400000_NS6detail17trampoline_kernelINS0_14default_configENS1_22reduce_config_selectorIlEEZNS1_11reduce_implILb1ES3_N6thrust23THRUST_200600_302600_NS11hip_rocprim26transform_input_iterator_tIlPKhZN2at6native8ModeImplIbEclEPKbSI_EUlhE_EEPllNS8_4plusIlEEEE10hipError_tPvRmT1_T2_T3_mT4_P12ihipStream_tbEUlT_E0_NS1_11comp_targetILNS1_3genE0ELNS1_11target_archE4294967295ELNS1_3gpuE0ELNS1_3repE0EEENS1_30default_config_static_selectorELNS0_4arch9wavefront6targetE1EEEvSR_
; %bb.0:
	.section	.rodata,"a",@progbits
	.p2align	6, 0x0
	.amdhsa_kernel _ZN7rocprim17ROCPRIM_400000_NS6detail17trampoline_kernelINS0_14default_configENS1_22reduce_config_selectorIlEEZNS1_11reduce_implILb1ES3_N6thrust23THRUST_200600_302600_NS11hip_rocprim26transform_input_iterator_tIlPKhZN2at6native8ModeImplIbEclEPKbSI_EUlhE_EEPllNS8_4plusIlEEEE10hipError_tPvRmT1_T2_T3_mT4_P12ihipStream_tbEUlT_E0_NS1_11comp_targetILNS1_3genE0ELNS1_11target_archE4294967295ELNS1_3gpuE0ELNS1_3repE0EEENS1_30default_config_static_selectorELNS0_4arch9wavefront6targetE1EEEvSR_
		.amdhsa_group_segment_fixed_size 0
		.amdhsa_private_segment_fixed_size 0
		.amdhsa_kernarg_size 72
		.amdhsa_user_sgpr_count 6
		.amdhsa_user_sgpr_private_segment_buffer 1
		.amdhsa_user_sgpr_dispatch_ptr 0
		.amdhsa_user_sgpr_queue_ptr 0
		.amdhsa_user_sgpr_kernarg_segment_ptr 1
		.amdhsa_user_sgpr_dispatch_id 0
		.amdhsa_user_sgpr_flat_scratch_init 0
		.amdhsa_user_sgpr_private_segment_size 0
		.amdhsa_uses_dynamic_stack 0
		.amdhsa_system_sgpr_private_segment_wavefront_offset 0
		.amdhsa_system_sgpr_workgroup_id_x 1
		.amdhsa_system_sgpr_workgroup_id_y 0
		.amdhsa_system_sgpr_workgroup_id_z 0
		.amdhsa_system_sgpr_workgroup_info 0
		.amdhsa_system_vgpr_workitem_id 0
		.amdhsa_next_free_vgpr 1
		.amdhsa_next_free_sgpr 0
		.amdhsa_reserve_vcc 0
		.amdhsa_reserve_flat_scratch 0
		.amdhsa_float_round_mode_32 0
		.amdhsa_float_round_mode_16_64 0
		.amdhsa_float_denorm_mode_32 3
		.amdhsa_float_denorm_mode_16_64 3
		.amdhsa_dx10_clamp 1
		.amdhsa_ieee_mode 1
		.amdhsa_fp16_overflow 0
		.amdhsa_exception_fp_ieee_invalid_op 0
		.amdhsa_exception_fp_denorm_src 0
		.amdhsa_exception_fp_ieee_div_zero 0
		.amdhsa_exception_fp_ieee_overflow 0
		.amdhsa_exception_fp_ieee_underflow 0
		.amdhsa_exception_fp_ieee_inexact 0
		.amdhsa_exception_int_div_zero 0
	.end_amdhsa_kernel
	.section	.text._ZN7rocprim17ROCPRIM_400000_NS6detail17trampoline_kernelINS0_14default_configENS1_22reduce_config_selectorIlEEZNS1_11reduce_implILb1ES3_N6thrust23THRUST_200600_302600_NS11hip_rocprim26transform_input_iterator_tIlPKhZN2at6native8ModeImplIbEclEPKbSI_EUlhE_EEPllNS8_4plusIlEEEE10hipError_tPvRmT1_T2_T3_mT4_P12ihipStream_tbEUlT_E0_NS1_11comp_targetILNS1_3genE0ELNS1_11target_archE4294967295ELNS1_3gpuE0ELNS1_3repE0EEENS1_30default_config_static_selectorELNS0_4arch9wavefront6targetE1EEEvSR_,"axG",@progbits,_ZN7rocprim17ROCPRIM_400000_NS6detail17trampoline_kernelINS0_14default_configENS1_22reduce_config_selectorIlEEZNS1_11reduce_implILb1ES3_N6thrust23THRUST_200600_302600_NS11hip_rocprim26transform_input_iterator_tIlPKhZN2at6native8ModeImplIbEclEPKbSI_EUlhE_EEPllNS8_4plusIlEEEE10hipError_tPvRmT1_T2_T3_mT4_P12ihipStream_tbEUlT_E0_NS1_11comp_targetILNS1_3genE0ELNS1_11target_archE4294967295ELNS1_3gpuE0ELNS1_3repE0EEENS1_30default_config_static_selectorELNS0_4arch9wavefront6targetE1EEEvSR_,comdat
.Lfunc_end18:
	.size	_ZN7rocprim17ROCPRIM_400000_NS6detail17trampoline_kernelINS0_14default_configENS1_22reduce_config_selectorIlEEZNS1_11reduce_implILb1ES3_N6thrust23THRUST_200600_302600_NS11hip_rocprim26transform_input_iterator_tIlPKhZN2at6native8ModeImplIbEclEPKbSI_EUlhE_EEPllNS8_4plusIlEEEE10hipError_tPvRmT1_T2_T3_mT4_P12ihipStream_tbEUlT_E0_NS1_11comp_targetILNS1_3genE0ELNS1_11target_archE4294967295ELNS1_3gpuE0ELNS1_3repE0EEENS1_30default_config_static_selectorELNS0_4arch9wavefront6targetE1EEEvSR_, .Lfunc_end18-_ZN7rocprim17ROCPRIM_400000_NS6detail17trampoline_kernelINS0_14default_configENS1_22reduce_config_selectorIlEEZNS1_11reduce_implILb1ES3_N6thrust23THRUST_200600_302600_NS11hip_rocprim26transform_input_iterator_tIlPKhZN2at6native8ModeImplIbEclEPKbSI_EUlhE_EEPllNS8_4plusIlEEEE10hipError_tPvRmT1_T2_T3_mT4_P12ihipStream_tbEUlT_E0_NS1_11comp_targetILNS1_3genE0ELNS1_11target_archE4294967295ELNS1_3gpuE0ELNS1_3repE0EEENS1_30default_config_static_selectorELNS0_4arch9wavefront6targetE1EEEvSR_
                                        ; -- End function
	.set _ZN7rocprim17ROCPRIM_400000_NS6detail17trampoline_kernelINS0_14default_configENS1_22reduce_config_selectorIlEEZNS1_11reduce_implILb1ES3_N6thrust23THRUST_200600_302600_NS11hip_rocprim26transform_input_iterator_tIlPKhZN2at6native8ModeImplIbEclEPKbSI_EUlhE_EEPllNS8_4plusIlEEEE10hipError_tPvRmT1_T2_T3_mT4_P12ihipStream_tbEUlT_E0_NS1_11comp_targetILNS1_3genE0ELNS1_11target_archE4294967295ELNS1_3gpuE0ELNS1_3repE0EEENS1_30default_config_static_selectorELNS0_4arch9wavefront6targetE1EEEvSR_.num_vgpr, 0
	.set _ZN7rocprim17ROCPRIM_400000_NS6detail17trampoline_kernelINS0_14default_configENS1_22reduce_config_selectorIlEEZNS1_11reduce_implILb1ES3_N6thrust23THRUST_200600_302600_NS11hip_rocprim26transform_input_iterator_tIlPKhZN2at6native8ModeImplIbEclEPKbSI_EUlhE_EEPllNS8_4plusIlEEEE10hipError_tPvRmT1_T2_T3_mT4_P12ihipStream_tbEUlT_E0_NS1_11comp_targetILNS1_3genE0ELNS1_11target_archE4294967295ELNS1_3gpuE0ELNS1_3repE0EEENS1_30default_config_static_selectorELNS0_4arch9wavefront6targetE1EEEvSR_.num_agpr, 0
	.set _ZN7rocprim17ROCPRIM_400000_NS6detail17trampoline_kernelINS0_14default_configENS1_22reduce_config_selectorIlEEZNS1_11reduce_implILb1ES3_N6thrust23THRUST_200600_302600_NS11hip_rocprim26transform_input_iterator_tIlPKhZN2at6native8ModeImplIbEclEPKbSI_EUlhE_EEPllNS8_4plusIlEEEE10hipError_tPvRmT1_T2_T3_mT4_P12ihipStream_tbEUlT_E0_NS1_11comp_targetILNS1_3genE0ELNS1_11target_archE4294967295ELNS1_3gpuE0ELNS1_3repE0EEENS1_30default_config_static_selectorELNS0_4arch9wavefront6targetE1EEEvSR_.numbered_sgpr, 0
	.set _ZN7rocprim17ROCPRIM_400000_NS6detail17trampoline_kernelINS0_14default_configENS1_22reduce_config_selectorIlEEZNS1_11reduce_implILb1ES3_N6thrust23THRUST_200600_302600_NS11hip_rocprim26transform_input_iterator_tIlPKhZN2at6native8ModeImplIbEclEPKbSI_EUlhE_EEPllNS8_4plusIlEEEE10hipError_tPvRmT1_T2_T3_mT4_P12ihipStream_tbEUlT_E0_NS1_11comp_targetILNS1_3genE0ELNS1_11target_archE4294967295ELNS1_3gpuE0ELNS1_3repE0EEENS1_30default_config_static_selectorELNS0_4arch9wavefront6targetE1EEEvSR_.num_named_barrier, 0
	.set _ZN7rocprim17ROCPRIM_400000_NS6detail17trampoline_kernelINS0_14default_configENS1_22reduce_config_selectorIlEEZNS1_11reduce_implILb1ES3_N6thrust23THRUST_200600_302600_NS11hip_rocprim26transform_input_iterator_tIlPKhZN2at6native8ModeImplIbEclEPKbSI_EUlhE_EEPllNS8_4plusIlEEEE10hipError_tPvRmT1_T2_T3_mT4_P12ihipStream_tbEUlT_E0_NS1_11comp_targetILNS1_3genE0ELNS1_11target_archE4294967295ELNS1_3gpuE0ELNS1_3repE0EEENS1_30default_config_static_selectorELNS0_4arch9wavefront6targetE1EEEvSR_.private_seg_size, 0
	.set _ZN7rocprim17ROCPRIM_400000_NS6detail17trampoline_kernelINS0_14default_configENS1_22reduce_config_selectorIlEEZNS1_11reduce_implILb1ES3_N6thrust23THRUST_200600_302600_NS11hip_rocprim26transform_input_iterator_tIlPKhZN2at6native8ModeImplIbEclEPKbSI_EUlhE_EEPllNS8_4plusIlEEEE10hipError_tPvRmT1_T2_T3_mT4_P12ihipStream_tbEUlT_E0_NS1_11comp_targetILNS1_3genE0ELNS1_11target_archE4294967295ELNS1_3gpuE0ELNS1_3repE0EEENS1_30default_config_static_selectorELNS0_4arch9wavefront6targetE1EEEvSR_.uses_vcc, 0
	.set _ZN7rocprim17ROCPRIM_400000_NS6detail17trampoline_kernelINS0_14default_configENS1_22reduce_config_selectorIlEEZNS1_11reduce_implILb1ES3_N6thrust23THRUST_200600_302600_NS11hip_rocprim26transform_input_iterator_tIlPKhZN2at6native8ModeImplIbEclEPKbSI_EUlhE_EEPllNS8_4plusIlEEEE10hipError_tPvRmT1_T2_T3_mT4_P12ihipStream_tbEUlT_E0_NS1_11comp_targetILNS1_3genE0ELNS1_11target_archE4294967295ELNS1_3gpuE0ELNS1_3repE0EEENS1_30default_config_static_selectorELNS0_4arch9wavefront6targetE1EEEvSR_.uses_flat_scratch, 0
	.set _ZN7rocprim17ROCPRIM_400000_NS6detail17trampoline_kernelINS0_14default_configENS1_22reduce_config_selectorIlEEZNS1_11reduce_implILb1ES3_N6thrust23THRUST_200600_302600_NS11hip_rocprim26transform_input_iterator_tIlPKhZN2at6native8ModeImplIbEclEPKbSI_EUlhE_EEPllNS8_4plusIlEEEE10hipError_tPvRmT1_T2_T3_mT4_P12ihipStream_tbEUlT_E0_NS1_11comp_targetILNS1_3genE0ELNS1_11target_archE4294967295ELNS1_3gpuE0ELNS1_3repE0EEENS1_30default_config_static_selectorELNS0_4arch9wavefront6targetE1EEEvSR_.has_dyn_sized_stack, 0
	.set _ZN7rocprim17ROCPRIM_400000_NS6detail17trampoline_kernelINS0_14default_configENS1_22reduce_config_selectorIlEEZNS1_11reduce_implILb1ES3_N6thrust23THRUST_200600_302600_NS11hip_rocprim26transform_input_iterator_tIlPKhZN2at6native8ModeImplIbEclEPKbSI_EUlhE_EEPllNS8_4plusIlEEEE10hipError_tPvRmT1_T2_T3_mT4_P12ihipStream_tbEUlT_E0_NS1_11comp_targetILNS1_3genE0ELNS1_11target_archE4294967295ELNS1_3gpuE0ELNS1_3repE0EEENS1_30default_config_static_selectorELNS0_4arch9wavefront6targetE1EEEvSR_.has_recursion, 0
	.set _ZN7rocprim17ROCPRIM_400000_NS6detail17trampoline_kernelINS0_14default_configENS1_22reduce_config_selectorIlEEZNS1_11reduce_implILb1ES3_N6thrust23THRUST_200600_302600_NS11hip_rocprim26transform_input_iterator_tIlPKhZN2at6native8ModeImplIbEclEPKbSI_EUlhE_EEPllNS8_4plusIlEEEE10hipError_tPvRmT1_T2_T3_mT4_P12ihipStream_tbEUlT_E0_NS1_11comp_targetILNS1_3genE0ELNS1_11target_archE4294967295ELNS1_3gpuE0ELNS1_3repE0EEENS1_30default_config_static_selectorELNS0_4arch9wavefront6targetE1EEEvSR_.has_indirect_call, 0
	.section	.AMDGPU.csdata,"",@progbits
; Kernel info:
; codeLenInByte = 0
; TotalNumSgprs: 4
; NumVgprs: 0
; ScratchSize: 0
; MemoryBound: 0
; FloatMode: 240
; IeeeMode: 1
; LDSByteSize: 0 bytes/workgroup (compile time only)
; SGPRBlocks: 0
; VGPRBlocks: 0
; NumSGPRsForWavesPerEU: 4
; NumVGPRsForWavesPerEU: 1
; Occupancy: 10
; WaveLimiterHint : 0
; COMPUTE_PGM_RSRC2:SCRATCH_EN: 0
; COMPUTE_PGM_RSRC2:USER_SGPR: 6
; COMPUTE_PGM_RSRC2:TRAP_HANDLER: 0
; COMPUTE_PGM_RSRC2:TGID_X_EN: 1
; COMPUTE_PGM_RSRC2:TGID_Y_EN: 0
; COMPUTE_PGM_RSRC2:TGID_Z_EN: 0
; COMPUTE_PGM_RSRC2:TIDIG_COMP_CNT: 0
	.section	.text._ZN7rocprim17ROCPRIM_400000_NS6detail17trampoline_kernelINS0_14default_configENS1_22reduce_config_selectorIlEEZNS1_11reduce_implILb1ES3_N6thrust23THRUST_200600_302600_NS11hip_rocprim26transform_input_iterator_tIlPKhZN2at6native8ModeImplIbEclEPKbSI_EUlhE_EEPllNS8_4plusIlEEEE10hipError_tPvRmT1_T2_T3_mT4_P12ihipStream_tbEUlT_E0_NS1_11comp_targetILNS1_3genE5ELNS1_11target_archE942ELNS1_3gpuE9ELNS1_3repE0EEENS1_30default_config_static_selectorELNS0_4arch9wavefront6targetE1EEEvSR_,"axG",@progbits,_ZN7rocprim17ROCPRIM_400000_NS6detail17trampoline_kernelINS0_14default_configENS1_22reduce_config_selectorIlEEZNS1_11reduce_implILb1ES3_N6thrust23THRUST_200600_302600_NS11hip_rocprim26transform_input_iterator_tIlPKhZN2at6native8ModeImplIbEclEPKbSI_EUlhE_EEPllNS8_4plusIlEEEE10hipError_tPvRmT1_T2_T3_mT4_P12ihipStream_tbEUlT_E0_NS1_11comp_targetILNS1_3genE5ELNS1_11target_archE942ELNS1_3gpuE9ELNS1_3repE0EEENS1_30default_config_static_selectorELNS0_4arch9wavefront6targetE1EEEvSR_,comdat
	.protected	_ZN7rocprim17ROCPRIM_400000_NS6detail17trampoline_kernelINS0_14default_configENS1_22reduce_config_selectorIlEEZNS1_11reduce_implILb1ES3_N6thrust23THRUST_200600_302600_NS11hip_rocprim26transform_input_iterator_tIlPKhZN2at6native8ModeImplIbEclEPKbSI_EUlhE_EEPllNS8_4plusIlEEEE10hipError_tPvRmT1_T2_T3_mT4_P12ihipStream_tbEUlT_E0_NS1_11comp_targetILNS1_3genE5ELNS1_11target_archE942ELNS1_3gpuE9ELNS1_3repE0EEENS1_30default_config_static_selectorELNS0_4arch9wavefront6targetE1EEEvSR_ ; -- Begin function _ZN7rocprim17ROCPRIM_400000_NS6detail17trampoline_kernelINS0_14default_configENS1_22reduce_config_selectorIlEEZNS1_11reduce_implILb1ES3_N6thrust23THRUST_200600_302600_NS11hip_rocprim26transform_input_iterator_tIlPKhZN2at6native8ModeImplIbEclEPKbSI_EUlhE_EEPllNS8_4plusIlEEEE10hipError_tPvRmT1_T2_T3_mT4_P12ihipStream_tbEUlT_E0_NS1_11comp_targetILNS1_3genE5ELNS1_11target_archE942ELNS1_3gpuE9ELNS1_3repE0EEENS1_30default_config_static_selectorELNS0_4arch9wavefront6targetE1EEEvSR_
	.globl	_ZN7rocprim17ROCPRIM_400000_NS6detail17trampoline_kernelINS0_14default_configENS1_22reduce_config_selectorIlEEZNS1_11reduce_implILb1ES3_N6thrust23THRUST_200600_302600_NS11hip_rocprim26transform_input_iterator_tIlPKhZN2at6native8ModeImplIbEclEPKbSI_EUlhE_EEPllNS8_4plusIlEEEE10hipError_tPvRmT1_T2_T3_mT4_P12ihipStream_tbEUlT_E0_NS1_11comp_targetILNS1_3genE5ELNS1_11target_archE942ELNS1_3gpuE9ELNS1_3repE0EEENS1_30default_config_static_selectorELNS0_4arch9wavefront6targetE1EEEvSR_
	.p2align	8
	.type	_ZN7rocprim17ROCPRIM_400000_NS6detail17trampoline_kernelINS0_14default_configENS1_22reduce_config_selectorIlEEZNS1_11reduce_implILb1ES3_N6thrust23THRUST_200600_302600_NS11hip_rocprim26transform_input_iterator_tIlPKhZN2at6native8ModeImplIbEclEPKbSI_EUlhE_EEPllNS8_4plusIlEEEE10hipError_tPvRmT1_T2_T3_mT4_P12ihipStream_tbEUlT_E0_NS1_11comp_targetILNS1_3genE5ELNS1_11target_archE942ELNS1_3gpuE9ELNS1_3repE0EEENS1_30default_config_static_selectorELNS0_4arch9wavefront6targetE1EEEvSR_,@function
_ZN7rocprim17ROCPRIM_400000_NS6detail17trampoline_kernelINS0_14default_configENS1_22reduce_config_selectorIlEEZNS1_11reduce_implILb1ES3_N6thrust23THRUST_200600_302600_NS11hip_rocprim26transform_input_iterator_tIlPKhZN2at6native8ModeImplIbEclEPKbSI_EUlhE_EEPllNS8_4plusIlEEEE10hipError_tPvRmT1_T2_T3_mT4_P12ihipStream_tbEUlT_E0_NS1_11comp_targetILNS1_3genE5ELNS1_11target_archE942ELNS1_3gpuE9ELNS1_3repE0EEENS1_30default_config_static_selectorELNS0_4arch9wavefront6targetE1EEEvSR_: ; @_ZN7rocprim17ROCPRIM_400000_NS6detail17trampoline_kernelINS0_14default_configENS1_22reduce_config_selectorIlEEZNS1_11reduce_implILb1ES3_N6thrust23THRUST_200600_302600_NS11hip_rocprim26transform_input_iterator_tIlPKhZN2at6native8ModeImplIbEclEPKbSI_EUlhE_EEPllNS8_4plusIlEEEE10hipError_tPvRmT1_T2_T3_mT4_P12ihipStream_tbEUlT_E0_NS1_11comp_targetILNS1_3genE5ELNS1_11target_archE942ELNS1_3gpuE9ELNS1_3repE0EEENS1_30default_config_static_selectorELNS0_4arch9wavefront6targetE1EEEvSR_
; %bb.0:
	.section	.rodata,"a",@progbits
	.p2align	6, 0x0
	.amdhsa_kernel _ZN7rocprim17ROCPRIM_400000_NS6detail17trampoline_kernelINS0_14default_configENS1_22reduce_config_selectorIlEEZNS1_11reduce_implILb1ES3_N6thrust23THRUST_200600_302600_NS11hip_rocprim26transform_input_iterator_tIlPKhZN2at6native8ModeImplIbEclEPKbSI_EUlhE_EEPllNS8_4plusIlEEEE10hipError_tPvRmT1_T2_T3_mT4_P12ihipStream_tbEUlT_E0_NS1_11comp_targetILNS1_3genE5ELNS1_11target_archE942ELNS1_3gpuE9ELNS1_3repE0EEENS1_30default_config_static_selectorELNS0_4arch9wavefront6targetE1EEEvSR_
		.amdhsa_group_segment_fixed_size 0
		.amdhsa_private_segment_fixed_size 0
		.amdhsa_kernarg_size 72
		.amdhsa_user_sgpr_count 6
		.amdhsa_user_sgpr_private_segment_buffer 1
		.amdhsa_user_sgpr_dispatch_ptr 0
		.amdhsa_user_sgpr_queue_ptr 0
		.amdhsa_user_sgpr_kernarg_segment_ptr 1
		.amdhsa_user_sgpr_dispatch_id 0
		.amdhsa_user_sgpr_flat_scratch_init 0
		.amdhsa_user_sgpr_private_segment_size 0
		.amdhsa_uses_dynamic_stack 0
		.amdhsa_system_sgpr_private_segment_wavefront_offset 0
		.amdhsa_system_sgpr_workgroup_id_x 1
		.amdhsa_system_sgpr_workgroup_id_y 0
		.amdhsa_system_sgpr_workgroup_id_z 0
		.amdhsa_system_sgpr_workgroup_info 0
		.amdhsa_system_vgpr_workitem_id 0
		.amdhsa_next_free_vgpr 1
		.amdhsa_next_free_sgpr 0
		.amdhsa_reserve_vcc 0
		.amdhsa_reserve_flat_scratch 0
		.amdhsa_float_round_mode_32 0
		.amdhsa_float_round_mode_16_64 0
		.amdhsa_float_denorm_mode_32 3
		.amdhsa_float_denorm_mode_16_64 3
		.amdhsa_dx10_clamp 1
		.amdhsa_ieee_mode 1
		.amdhsa_fp16_overflow 0
		.amdhsa_exception_fp_ieee_invalid_op 0
		.amdhsa_exception_fp_denorm_src 0
		.amdhsa_exception_fp_ieee_div_zero 0
		.amdhsa_exception_fp_ieee_overflow 0
		.amdhsa_exception_fp_ieee_underflow 0
		.amdhsa_exception_fp_ieee_inexact 0
		.amdhsa_exception_int_div_zero 0
	.end_amdhsa_kernel
	.section	.text._ZN7rocprim17ROCPRIM_400000_NS6detail17trampoline_kernelINS0_14default_configENS1_22reduce_config_selectorIlEEZNS1_11reduce_implILb1ES3_N6thrust23THRUST_200600_302600_NS11hip_rocprim26transform_input_iterator_tIlPKhZN2at6native8ModeImplIbEclEPKbSI_EUlhE_EEPllNS8_4plusIlEEEE10hipError_tPvRmT1_T2_T3_mT4_P12ihipStream_tbEUlT_E0_NS1_11comp_targetILNS1_3genE5ELNS1_11target_archE942ELNS1_3gpuE9ELNS1_3repE0EEENS1_30default_config_static_selectorELNS0_4arch9wavefront6targetE1EEEvSR_,"axG",@progbits,_ZN7rocprim17ROCPRIM_400000_NS6detail17trampoline_kernelINS0_14default_configENS1_22reduce_config_selectorIlEEZNS1_11reduce_implILb1ES3_N6thrust23THRUST_200600_302600_NS11hip_rocprim26transform_input_iterator_tIlPKhZN2at6native8ModeImplIbEclEPKbSI_EUlhE_EEPllNS8_4plusIlEEEE10hipError_tPvRmT1_T2_T3_mT4_P12ihipStream_tbEUlT_E0_NS1_11comp_targetILNS1_3genE5ELNS1_11target_archE942ELNS1_3gpuE9ELNS1_3repE0EEENS1_30default_config_static_selectorELNS0_4arch9wavefront6targetE1EEEvSR_,comdat
.Lfunc_end19:
	.size	_ZN7rocprim17ROCPRIM_400000_NS6detail17trampoline_kernelINS0_14default_configENS1_22reduce_config_selectorIlEEZNS1_11reduce_implILb1ES3_N6thrust23THRUST_200600_302600_NS11hip_rocprim26transform_input_iterator_tIlPKhZN2at6native8ModeImplIbEclEPKbSI_EUlhE_EEPllNS8_4plusIlEEEE10hipError_tPvRmT1_T2_T3_mT4_P12ihipStream_tbEUlT_E0_NS1_11comp_targetILNS1_3genE5ELNS1_11target_archE942ELNS1_3gpuE9ELNS1_3repE0EEENS1_30default_config_static_selectorELNS0_4arch9wavefront6targetE1EEEvSR_, .Lfunc_end19-_ZN7rocprim17ROCPRIM_400000_NS6detail17trampoline_kernelINS0_14default_configENS1_22reduce_config_selectorIlEEZNS1_11reduce_implILb1ES3_N6thrust23THRUST_200600_302600_NS11hip_rocprim26transform_input_iterator_tIlPKhZN2at6native8ModeImplIbEclEPKbSI_EUlhE_EEPllNS8_4plusIlEEEE10hipError_tPvRmT1_T2_T3_mT4_P12ihipStream_tbEUlT_E0_NS1_11comp_targetILNS1_3genE5ELNS1_11target_archE942ELNS1_3gpuE9ELNS1_3repE0EEENS1_30default_config_static_selectorELNS0_4arch9wavefront6targetE1EEEvSR_
                                        ; -- End function
	.set _ZN7rocprim17ROCPRIM_400000_NS6detail17trampoline_kernelINS0_14default_configENS1_22reduce_config_selectorIlEEZNS1_11reduce_implILb1ES3_N6thrust23THRUST_200600_302600_NS11hip_rocprim26transform_input_iterator_tIlPKhZN2at6native8ModeImplIbEclEPKbSI_EUlhE_EEPllNS8_4plusIlEEEE10hipError_tPvRmT1_T2_T3_mT4_P12ihipStream_tbEUlT_E0_NS1_11comp_targetILNS1_3genE5ELNS1_11target_archE942ELNS1_3gpuE9ELNS1_3repE0EEENS1_30default_config_static_selectorELNS0_4arch9wavefront6targetE1EEEvSR_.num_vgpr, 0
	.set _ZN7rocprim17ROCPRIM_400000_NS6detail17trampoline_kernelINS0_14default_configENS1_22reduce_config_selectorIlEEZNS1_11reduce_implILb1ES3_N6thrust23THRUST_200600_302600_NS11hip_rocprim26transform_input_iterator_tIlPKhZN2at6native8ModeImplIbEclEPKbSI_EUlhE_EEPllNS8_4plusIlEEEE10hipError_tPvRmT1_T2_T3_mT4_P12ihipStream_tbEUlT_E0_NS1_11comp_targetILNS1_3genE5ELNS1_11target_archE942ELNS1_3gpuE9ELNS1_3repE0EEENS1_30default_config_static_selectorELNS0_4arch9wavefront6targetE1EEEvSR_.num_agpr, 0
	.set _ZN7rocprim17ROCPRIM_400000_NS6detail17trampoline_kernelINS0_14default_configENS1_22reduce_config_selectorIlEEZNS1_11reduce_implILb1ES3_N6thrust23THRUST_200600_302600_NS11hip_rocprim26transform_input_iterator_tIlPKhZN2at6native8ModeImplIbEclEPKbSI_EUlhE_EEPllNS8_4plusIlEEEE10hipError_tPvRmT1_T2_T3_mT4_P12ihipStream_tbEUlT_E0_NS1_11comp_targetILNS1_3genE5ELNS1_11target_archE942ELNS1_3gpuE9ELNS1_3repE0EEENS1_30default_config_static_selectorELNS0_4arch9wavefront6targetE1EEEvSR_.numbered_sgpr, 0
	.set _ZN7rocprim17ROCPRIM_400000_NS6detail17trampoline_kernelINS0_14default_configENS1_22reduce_config_selectorIlEEZNS1_11reduce_implILb1ES3_N6thrust23THRUST_200600_302600_NS11hip_rocprim26transform_input_iterator_tIlPKhZN2at6native8ModeImplIbEclEPKbSI_EUlhE_EEPllNS8_4plusIlEEEE10hipError_tPvRmT1_T2_T3_mT4_P12ihipStream_tbEUlT_E0_NS1_11comp_targetILNS1_3genE5ELNS1_11target_archE942ELNS1_3gpuE9ELNS1_3repE0EEENS1_30default_config_static_selectorELNS0_4arch9wavefront6targetE1EEEvSR_.num_named_barrier, 0
	.set _ZN7rocprim17ROCPRIM_400000_NS6detail17trampoline_kernelINS0_14default_configENS1_22reduce_config_selectorIlEEZNS1_11reduce_implILb1ES3_N6thrust23THRUST_200600_302600_NS11hip_rocprim26transform_input_iterator_tIlPKhZN2at6native8ModeImplIbEclEPKbSI_EUlhE_EEPllNS8_4plusIlEEEE10hipError_tPvRmT1_T2_T3_mT4_P12ihipStream_tbEUlT_E0_NS1_11comp_targetILNS1_3genE5ELNS1_11target_archE942ELNS1_3gpuE9ELNS1_3repE0EEENS1_30default_config_static_selectorELNS0_4arch9wavefront6targetE1EEEvSR_.private_seg_size, 0
	.set _ZN7rocprim17ROCPRIM_400000_NS6detail17trampoline_kernelINS0_14default_configENS1_22reduce_config_selectorIlEEZNS1_11reduce_implILb1ES3_N6thrust23THRUST_200600_302600_NS11hip_rocprim26transform_input_iterator_tIlPKhZN2at6native8ModeImplIbEclEPKbSI_EUlhE_EEPllNS8_4plusIlEEEE10hipError_tPvRmT1_T2_T3_mT4_P12ihipStream_tbEUlT_E0_NS1_11comp_targetILNS1_3genE5ELNS1_11target_archE942ELNS1_3gpuE9ELNS1_3repE0EEENS1_30default_config_static_selectorELNS0_4arch9wavefront6targetE1EEEvSR_.uses_vcc, 0
	.set _ZN7rocprim17ROCPRIM_400000_NS6detail17trampoline_kernelINS0_14default_configENS1_22reduce_config_selectorIlEEZNS1_11reduce_implILb1ES3_N6thrust23THRUST_200600_302600_NS11hip_rocprim26transform_input_iterator_tIlPKhZN2at6native8ModeImplIbEclEPKbSI_EUlhE_EEPllNS8_4plusIlEEEE10hipError_tPvRmT1_T2_T3_mT4_P12ihipStream_tbEUlT_E0_NS1_11comp_targetILNS1_3genE5ELNS1_11target_archE942ELNS1_3gpuE9ELNS1_3repE0EEENS1_30default_config_static_selectorELNS0_4arch9wavefront6targetE1EEEvSR_.uses_flat_scratch, 0
	.set _ZN7rocprim17ROCPRIM_400000_NS6detail17trampoline_kernelINS0_14default_configENS1_22reduce_config_selectorIlEEZNS1_11reduce_implILb1ES3_N6thrust23THRUST_200600_302600_NS11hip_rocprim26transform_input_iterator_tIlPKhZN2at6native8ModeImplIbEclEPKbSI_EUlhE_EEPllNS8_4plusIlEEEE10hipError_tPvRmT1_T2_T3_mT4_P12ihipStream_tbEUlT_E0_NS1_11comp_targetILNS1_3genE5ELNS1_11target_archE942ELNS1_3gpuE9ELNS1_3repE0EEENS1_30default_config_static_selectorELNS0_4arch9wavefront6targetE1EEEvSR_.has_dyn_sized_stack, 0
	.set _ZN7rocprim17ROCPRIM_400000_NS6detail17trampoline_kernelINS0_14default_configENS1_22reduce_config_selectorIlEEZNS1_11reduce_implILb1ES3_N6thrust23THRUST_200600_302600_NS11hip_rocprim26transform_input_iterator_tIlPKhZN2at6native8ModeImplIbEclEPKbSI_EUlhE_EEPllNS8_4plusIlEEEE10hipError_tPvRmT1_T2_T3_mT4_P12ihipStream_tbEUlT_E0_NS1_11comp_targetILNS1_3genE5ELNS1_11target_archE942ELNS1_3gpuE9ELNS1_3repE0EEENS1_30default_config_static_selectorELNS0_4arch9wavefront6targetE1EEEvSR_.has_recursion, 0
	.set _ZN7rocprim17ROCPRIM_400000_NS6detail17trampoline_kernelINS0_14default_configENS1_22reduce_config_selectorIlEEZNS1_11reduce_implILb1ES3_N6thrust23THRUST_200600_302600_NS11hip_rocprim26transform_input_iterator_tIlPKhZN2at6native8ModeImplIbEclEPKbSI_EUlhE_EEPllNS8_4plusIlEEEE10hipError_tPvRmT1_T2_T3_mT4_P12ihipStream_tbEUlT_E0_NS1_11comp_targetILNS1_3genE5ELNS1_11target_archE942ELNS1_3gpuE9ELNS1_3repE0EEENS1_30default_config_static_selectorELNS0_4arch9wavefront6targetE1EEEvSR_.has_indirect_call, 0
	.section	.AMDGPU.csdata,"",@progbits
; Kernel info:
; codeLenInByte = 0
; TotalNumSgprs: 4
; NumVgprs: 0
; ScratchSize: 0
; MemoryBound: 0
; FloatMode: 240
; IeeeMode: 1
; LDSByteSize: 0 bytes/workgroup (compile time only)
; SGPRBlocks: 0
; VGPRBlocks: 0
; NumSGPRsForWavesPerEU: 4
; NumVGPRsForWavesPerEU: 1
; Occupancy: 10
; WaveLimiterHint : 0
; COMPUTE_PGM_RSRC2:SCRATCH_EN: 0
; COMPUTE_PGM_RSRC2:USER_SGPR: 6
; COMPUTE_PGM_RSRC2:TRAP_HANDLER: 0
; COMPUTE_PGM_RSRC2:TGID_X_EN: 1
; COMPUTE_PGM_RSRC2:TGID_Y_EN: 0
; COMPUTE_PGM_RSRC2:TGID_Z_EN: 0
; COMPUTE_PGM_RSRC2:TIDIG_COMP_CNT: 0
	.section	.text._ZN7rocprim17ROCPRIM_400000_NS6detail17trampoline_kernelINS0_14default_configENS1_22reduce_config_selectorIlEEZNS1_11reduce_implILb1ES3_N6thrust23THRUST_200600_302600_NS11hip_rocprim26transform_input_iterator_tIlPKhZN2at6native8ModeImplIbEclEPKbSI_EUlhE_EEPllNS8_4plusIlEEEE10hipError_tPvRmT1_T2_T3_mT4_P12ihipStream_tbEUlT_E0_NS1_11comp_targetILNS1_3genE4ELNS1_11target_archE910ELNS1_3gpuE8ELNS1_3repE0EEENS1_30default_config_static_selectorELNS0_4arch9wavefront6targetE1EEEvSR_,"axG",@progbits,_ZN7rocprim17ROCPRIM_400000_NS6detail17trampoline_kernelINS0_14default_configENS1_22reduce_config_selectorIlEEZNS1_11reduce_implILb1ES3_N6thrust23THRUST_200600_302600_NS11hip_rocprim26transform_input_iterator_tIlPKhZN2at6native8ModeImplIbEclEPKbSI_EUlhE_EEPllNS8_4plusIlEEEE10hipError_tPvRmT1_T2_T3_mT4_P12ihipStream_tbEUlT_E0_NS1_11comp_targetILNS1_3genE4ELNS1_11target_archE910ELNS1_3gpuE8ELNS1_3repE0EEENS1_30default_config_static_selectorELNS0_4arch9wavefront6targetE1EEEvSR_,comdat
	.protected	_ZN7rocprim17ROCPRIM_400000_NS6detail17trampoline_kernelINS0_14default_configENS1_22reduce_config_selectorIlEEZNS1_11reduce_implILb1ES3_N6thrust23THRUST_200600_302600_NS11hip_rocprim26transform_input_iterator_tIlPKhZN2at6native8ModeImplIbEclEPKbSI_EUlhE_EEPllNS8_4plusIlEEEE10hipError_tPvRmT1_T2_T3_mT4_P12ihipStream_tbEUlT_E0_NS1_11comp_targetILNS1_3genE4ELNS1_11target_archE910ELNS1_3gpuE8ELNS1_3repE0EEENS1_30default_config_static_selectorELNS0_4arch9wavefront6targetE1EEEvSR_ ; -- Begin function _ZN7rocprim17ROCPRIM_400000_NS6detail17trampoline_kernelINS0_14default_configENS1_22reduce_config_selectorIlEEZNS1_11reduce_implILb1ES3_N6thrust23THRUST_200600_302600_NS11hip_rocprim26transform_input_iterator_tIlPKhZN2at6native8ModeImplIbEclEPKbSI_EUlhE_EEPllNS8_4plusIlEEEE10hipError_tPvRmT1_T2_T3_mT4_P12ihipStream_tbEUlT_E0_NS1_11comp_targetILNS1_3genE4ELNS1_11target_archE910ELNS1_3gpuE8ELNS1_3repE0EEENS1_30default_config_static_selectorELNS0_4arch9wavefront6targetE1EEEvSR_
	.globl	_ZN7rocprim17ROCPRIM_400000_NS6detail17trampoline_kernelINS0_14default_configENS1_22reduce_config_selectorIlEEZNS1_11reduce_implILb1ES3_N6thrust23THRUST_200600_302600_NS11hip_rocprim26transform_input_iterator_tIlPKhZN2at6native8ModeImplIbEclEPKbSI_EUlhE_EEPllNS8_4plusIlEEEE10hipError_tPvRmT1_T2_T3_mT4_P12ihipStream_tbEUlT_E0_NS1_11comp_targetILNS1_3genE4ELNS1_11target_archE910ELNS1_3gpuE8ELNS1_3repE0EEENS1_30default_config_static_selectorELNS0_4arch9wavefront6targetE1EEEvSR_
	.p2align	8
	.type	_ZN7rocprim17ROCPRIM_400000_NS6detail17trampoline_kernelINS0_14default_configENS1_22reduce_config_selectorIlEEZNS1_11reduce_implILb1ES3_N6thrust23THRUST_200600_302600_NS11hip_rocprim26transform_input_iterator_tIlPKhZN2at6native8ModeImplIbEclEPKbSI_EUlhE_EEPllNS8_4plusIlEEEE10hipError_tPvRmT1_T2_T3_mT4_P12ihipStream_tbEUlT_E0_NS1_11comp_targetILNS1_3genE4ELNS1_11target_archE910ELNS1_3gpuE8ELNS1_3repE0EEENS1_30default_config_static_selectorELNS0_4arch9wavefront6targetE1EEEvSR_,@function
_ZN7rocprim17ROCPRIM_400000_NS6detail17trampoline_kernelINS0_14default_configENS1_22reduce_config_selectorIlEEZNS1_11reduce_implILb1ES3_N6thrust23THRUST_200600_302600_NS11hip_rocprim26transform_input_iterator_tIlPKhZN2at6native8ModeImplIbEclEPKbSI_EUlhE_EEPllNS8_4plusIlEEEE10hipError_tPvRmT1_T2_T3_mT4_P12ihipStream_tbEUlT_E0_NS1_11comp_targetILNS1_3genE4ELNS1_11target_archE910ELNS1_3gpuE8ELNS1_3repE0EEENS1_30default_config_static_selectorELNS0_4arch9wavefront6targetE1EEEvSR_: ; @_ZN7rocprim17ROCPRIM_400000_NS6detail17trampoline_kernelINS0_14default_configENS1_22reduce_config_selectorIlEEZNS1_11reduce_implILb1ES3_N6thrust23THRUST_200600_302600_NS11hip_rocprim26transform_input_iterator_tIlPKhZN2at6native8ModeImplIbEclEPKbSI_EUlhE_EEPllNS8_4plusIlEEEE10hipError_tPvRmT1_T2_T3_mT4_P12ihipStream_tbEUlT_E0_NS1_11comp_targetILNS1_3genE4ELNS1_11target_archE910ELNS1_3gpuE8ELNS1_3repE0EEENS1_30default_config_static_selectorELNS0_4arch9wavefront6targetE1EEEvSR_
; %bb.0:
	.section	.rodata,"a",@progbits
	.p2align	6, 0x0
	.amdhsa_kernel _ZN7rocprim17ROCPRIM_400000_NS6detail17trampoline_kernelINS0_14default_configENS1_22reduce_config_selectorIlEEZNS1_11reduce_implILb1ES3_N6thrust23THRUST_200600_302600_NS11hip_rocprim26transform_input_iterator_tIlPKhZN2at6native8ModeImplIbEclEPKbSI_EUlhE_EEPllNS8_4plusIlEEEE10hipError_tPvRmT1_T2_T3_mT4_P12ihipStream_tbEUlT_E0_NS1_11comp_targetILNS1_3genE4ELNS1_11target_archE910ELNS1_3gpuE8ELNS1_3repE0EEENS1_30default_config_static_selectorELNS0_4arch9wavefront6targetE1EEEvSR_
		.amdhsa_group_segment_fixed_size 0
		.amdhsa_private_segment_fixed_size 0
		.amdhsa_kernarg_size 72
		.amdhsa_user_sgpr_count 6
		.amdhsa_user_sgpr_private_segment_buffer 1
		.amdhsa_user_sgpr_dispatch_ptr 0
		.amdhsa_user_sgpr_queue_ptr 0
		.amdhsa_user_sgpr_kernarg_segment_ptr 1
		.amdhsa_user_sgpr_dispatch_id 0
		.amdhsa_user_sgpr_flat_scratch_init 0
		.amdhsa_user_sgpr_private_segment_size 0
		.amdhsa_uses_dynamic_stack 0
		.amdhsa_system_sgpr_private_segment_wavefront_offset 0
		.amdhsa_system_sgpr_workgroup_id_x 1
		.amdhsa_system_sgpr_workgroup_id_y 0
		.amdhsa_system_sgpr_workgroup_id_z 0
		.amdhsa_system_sgpr_workgroup_info 0
		.amdhsa_system_vgpr_workitem_id 0
		.amdhsa_next_free_vgpr 1
		.amdhsa_next_free_sgpr 0
		.amdhsa_reserve_vcc 0
		.amdhsa_reserve_flat_scratch 0
		.amdhsa_float_round_mode_32 0
		.amdhsa_float_round_mode_16_64 0
		.amdhsa_float_denorm_mode_32 3
		.amdhsa_float_denorm_mode_16_64 3
		.amdhsa_dx10_clamp 1
		.amdhsa_ieee_mode 1
		.amdhsa_fp16_overflow 0
		.amdhsa_exception_fp_ieee_invalid_op 0
		.amdhsa_exception_fp_denorm_src 0
		.amdhsa_exception_fp_ieee_div_zero 0
		.amdhsa_exception_fp_ieee_overflow 0
		.amdhsa_exception_fp_ieee_underflow 0
		.amdhsa_exception_fp_ieee_inexact 0
		.amdhsa_exception_int_div_zero 0
	.end_amdhsa_kernel
	.section	.text._ZN7rocprim17ROCPRIM_400000_NS6detail17trampoline_kernelINS0_14default_configENS1_22reduce_config_selectorIlEEZNS1_11reduce_implILb1ES3_N6thrust23THRUST_200600_302600_NS11hip_rocprim26transform_input_iterator_tIlPKhZN2at6native8ModeImplIbEclEPKbSI_EUlhE_EEPllNS8_4plusIlEEEE10hipError_tPvRmT1_T2_T3_mT4_P12ihipStream_tbEUlT_E0_NS1_11comp_targetILNS1_3genE4ELNS1_11target_archE910ELNS1_3gpuE8ELNS1_3repE0EEENS1_30default_config_static_selectorELNS0_4arch9wavefront6targetE1EEEvSR_,"axG",@progbits,_ZN7rocprim17ROCPRIM_400000_NS6detail17trampoline_kernelINS0_14default_configENS1_22reduce_config_selectorIlEEZNS1_11reduce_implILb1ES3_N6thrust23THRUST_200600_302600_NS11hip_rocprim26transform_input_iterator_tIlPKhZN2at6native8ModeImplIbEclEPKbSI_EUlhE_EEPllNS8_4plusIlEEEE10hipError_tPvRmT1_T2_T3_mT4_P12ihipStream_tbEUlT_E0_NS1_11comp_targetILNS1_3genE4ELNS1_11target_archE910ELNS1_3gpuE8ELNS1_3repE0EEENS1_30default_config_static_selectorELNS0_4arch9wavefront6targetE1EEEvSR_,comdat
.Lfunc_end20:
	.size	_ZN7rocprim17ROCPRIM_400000_NS6detail17trampoline_kernelINS0_14default_configENS1_22reduce_config_selectorIlEEZNS1_11reduce_implILb1ES3_N6thrust23THRUST_200600_302600_NS11hip_rocprim26transform_input_iterator_tIlPKhZN2at6native8ModeImplIbEclEPKbSI_EUlhE_EEPllNS8_4plusIlEEEE10hipError_tPvRmT1_T2_T3_mT4_P12ihipStream_tbEUlT_E0_NS1_11comp_targetILNS1_3genE4ELNS1_11target_archE910ELNS1_3gpuE8ELNS1_3repE0EEENS1_30default_config_static_selectorELNS0_4arch9wavefront6targetE1EEEvSR_, .Lfunc_end20-_ZN7rocprim17ROCPRIM_400000_NS6detail17trampoline_kernelINS0_14default_configENS1_22reduce_config_selectorIlEEZNS1_11reduce_implILb1ES3_N6thrust23THRUST_200600_302600_NS11hip_rocprim26transform_input_iterator_tIlPKhZN2at6native8ModeImplIbEclEPKbSI_EUlhE_EEPllNS8_4plusIlEEEE10hipError_tPvRmT1_T2_T3_mT4_P12ihipStream_tbEUlT_E0_NS1_11comp_targetILNS1_3genE4ELNS1_11target_archE910ELNS1_3gpuE8ELNS1_3repE0EEENS1_30default_config_static_selectorELNS0_4arch9wavefront6targetE1EEEvSR_
                                        ; -- End function
	.set _ZN7rocprim17ROCPRIM_400000_NS6detail17trampoline_kernelINS0_14default_configENS1_22reduce_config_selectorIlEEZNS1_11reduce_implILb1ES3_N6thrust23THRUST_200600_302600_NS11hip_rocprim26transform_input_iterator_tIlPKhZN2at6native8ModeImplIbEclEPKbSI_EUlhE_EEPllNS8_4plusIlEEEE10hipError_tPvRmT1_T2_T3_mT4_P12ihipStream_tbEUlT_E0_NS1_11comp_targetILNS1_3genE4ELNS1_11target_archE910ELNS1_3gpuE8ELNS1_3repE0EEENS1_30default_config_static_selectorELNS0_4arch9wavefront6targetE1EEEvSR_.num_vgpr, 0
	.set _ZN7rocprim17ROCPRIM_400000_NS6detail17trampoline_kernelINS0_14default_configENS1_22reduce_config_selectorIlEEZNS1_11reduce_implILb1ES3_N6thrust23THRUST_200600_302600_NS11hip_rocprim26transform_input_iterator_tIlPKhZN2at6native8ModeImplIbEclEPKbSI_EUlhE_EEPllNS8_4plusIlEEEE10hipError_tPvRmT1_T2_T3_mT4_P12ihipStream_tbEUlT_E0_NS1_11comp_targetILNS1_3genE4ELNS1_11target_archE910ELNS1_3gpuE8ELNS1_3repE0EEENS1_30default_config_static_selectorELNS0_4arch9wavefront6targetE1EEEvSR_.num_agpr, 0
	.set _ZN7rocprim17ROCPRIM_400000_NS6detail17trampoline_kernelINS0_14default_configENS1_22reduce_config_selectorIlEEZNS1_11reduce_implILb1ES3_N6thrust23THRUST_200600_302600_NS11hip_rocprim26transform_input_iterator_tIlPKhZN2at6native8ModeImplIbEclEPKbSI_EUlhE_EEPllNS8_4plusIlEEEE10hipError_tPvRmT1_T2_T3_mT4_P12ihipStream_tbEUlT_E0_NS1_11comp_targetILNS1_3genE4ELNS1_11target_archE910ELNS1_3gpuE8ELNS1_3repE0EEENS1_30default_config_static_selectorELNS0_4arch9wavefront6targetE1EEEvSR_.numbered_sgpr, 0
	.set _ZN7rocprim17ROCPRIM_400000_NS6detail17trampoline_kernelINS0_14default_configENS1_22reduce_config_selectorIlEEZNS1_11reduce_implILb1ES3_N6thrust23THRUST_200600_302600_NS11hip_rocprim26transform_input_iterator_tIlPKhZN2at6native8ModeImplIbEclEPKbSI_EUlhE_EEPllNS8_4plusIlEEEE10hipError_tPvRmT1_T2_T3_mT4_P12ihipStream_tbEUlT_E0_NS1_11comp_targetILNS1_3genE4ELNS1_11target_archE910ELNS1_3gpuE8ELNS1_3repE0EEENS1_30default_config_static_selectorELNS0_4arch9wavefront6targetE1EEEvSR_.num_named_barrier, 0
	.set _ZN7rocprim17ROCPRIM_400000_NS6detail17trampoline_kernelINS0_14default_configENS1_22reduce_config_selectorIlEEZNS1_11reduce_implILb1ES3_N6thrust23THRUST_200600_302600_NS11hip_rocprim26transform_input_iterator_tIlPKhZN2at6native8ModeImplIbEclEPKbSI_EUlhE_EEPllNS8_4plusIlEEEE10hipError_tPvRmT1_T2_T3_mT4_P12ihipStream_tbEUlT_E0_NS1_11comp_targetILNS1_3genE4ELNS1_11target_archE910ELNS1_3gpuE8ELNS1_3repE0EEENS1_30default_config_static_selectorELNS0_4arch9wavefront6targetE1EEEvSR_.private_seg_size, 0
	.set _ZN7rocprim17ROCPRIM_400000_NS6detail17trampoline_kernelINS0_14default_configENS1_22reduce_config_selectorIlEEZNS1_11reduce_implILb1ES3_N6thrust23THRUST_200600_302600_NS11hip_rocprim26transform_input_iterator_tIlPKhZN2at6native8ModeImplIbEclEPKbSI_EUlhE_EEPllNS8_4plusIlEEEE10hipError_tPvRmT1_T2_T3_mT4_P12ihipStream_tbEUlT_E0_NS1_11comp_targetILNS1_3genE4ELNS1_11target_archE910ELNS1_3gpuE8ELNS1_3repE0EEENS1_30default_config_static_selectorELNS0_4arch9wavefront6targetE1EEEvSR_.uses_vcc, 0
	.set _ZN7rocprim17ROCPRIM_400000_NS6detail17trampoline_kernelINS0_14default_configENS1_22reduce_config_selectorIlEEZNS1_11reduce_implILb1ES3_N6thrust23THRUST_200600_302600_NS11hip_rocprim26transform_input_iterator_tIlPKhZN2at6native8ModeImplIbEclEPKbSI_EUlhE_EEPllNS8_4plusIlEEEE10hipError_tPvRmT1_T2_T3_mT4_P12ihipStream_tbEUlT_E0_NS1_11comp_targetILNS1_3genE4ELNS1_11target_archE910ELNS1_3gpuE8ELNS1_3repE0EEENS1_30default_config_static_selectorELNS0_4arch9wavefront6targetE1EEEvSR_.uses_flat_scratch, 0
	.set _ZN7rocprim17ROCPRIM_400000_NS6detail17trampoline_kernelINS0_14default_configENS1_22reduce_config_selectorIlEEZNS1_11reduce_implILb1ES3_N6thrust23THRUST_200600_302600_NS11hip_rocprim26transform_input_iterator_tIlPKhZN2at6native8ModeImplIbEclEPKbSI_EUlhE_EEPllNS8_4plusIlEEEE10hipError_tPvRmT1_T2_T3_mT4_P12ihipStream_tbEUlT_E0_NS1_11comp_targetILNS1_3genE4ELNS1_11target_archE910ELNS1_3gpuE8ELNS1_3repE0EEENS1_30default_config_static_selectorELNS0_4arch9wavefront6targetE1EEEvSR_.has_dyn_sized_stack, 0
	.set _ZN7rocprim17ROCPRIM_400000_NS6detail17trampoline_kernelINS0_14default_configENS1_22reduce_config_selectorIlEEZNS1_11reduce_implILb1ES3_N6thrust23THRUST_200600_302600_NS11hip_rocprim26transform_input_iterator_tIlPKhZN2at6native8ModeImplIbEclEPKbSI_EUlhE_EEPllNS8_4plusIlEEEE10hipError_tPvRmT1_T2_T3_mT4_P12ihipStream_tbEUlT_E0_NS1_11comp_targetILNS1_3genE4ELNS1_11target_archE910ELNS1_3gpuE8ELNS1_3repE0EEENS1_30default_config_static_selectorELNS0_4arch9wavefront6targetE1EEEvSR_.has_recursion, 0
	.set _ZN7rocprim17ROCPRIM_400000_NS6detail17trampoline_kernelINS0_14default_configENS1_22reduce_config_selectorIlEEZNS1_11reduce_implILb1ES3_N6thrust23THRUST_200600_302600_NS11hip_rocprim26transform_input_iterator_tIlPKhZN2at6native8ModeImplIbEclEPKbSI_EUlhE_EEPllNS8_4plusIlEEEE10hipError_tPvRmT1_T2_T3_mT4_P12ihipStream_tbEUlT_E0_NS1_11comp_targetILNS1_3genE4ELNS1_11target_archE910ELNS1_3gpuE8ELNS1_3repE0EEENS1_30default_config_static_selectorELNS0_4arch9wavefront6targetE1EEEvSR_.has_indirect_call, 0
	.section	.AMDGPU.csdata,"",@progbits
; Kernel info:
; codeLenInByte = 0
; TotalNumSgprs: 4
; NumVgprs: 0
; ScratchSize: 0
; MemoryBound: 0
; FloatMode: 240
; IeeeMode: 1
; LDSByteSize: 0 bytes/workgroup (compile time only)
; SGPRBlocks: 0
; VGPRBlocks: 0
; NumSGPRsForWavesPerEU: 4
; NumVGPRsForWavesPerEU: 1
; Occupancy: 10
; WaveLimiterHint : 0
; COMPUTE_PGM_RSRC2:SCRATCH_EN: 0
; COMPUTE_PGM_RSRC2:USER_SGPR: 6
; COMPUTE_PGM_RSRC2:TRAP_HANDLER: 0
; COMPUTE_PGM_RSRC2:TGID_X_EN: 1
; COMPUTE_PGM_RSRC2:TGID_Y_EN: 0
; COMPUTE_PGM_RSRC2:TGID_Z_EN: 0
; COMPUTE_PGM_RSRC2:TIDIG_COMP_CNT: 0
	.section	.text._ZN7rocprim17ROCPRIM_400000_NS6detail17trampoline_kernelINS0_14default_configENS1_22reduce_config_selectorIlEEZNS1_11reduce_implILb1ES3_N6thrust23THRUST_200600_302600_NS11hip_rocprim26transform_input_iterator_tIlPKhZN2at6native8ModeImplIbEclEPKbSI_EUlhE_EEPllNS8_4plusIlEEEE10hipError_tPvRmT1_T2_T3_mT4_P12ihipStream_tbEUlT_E0_NS1_11comp_targetILNS1_3genE3ELNS1_11target_archE908ELNS1_3gpuE7ELNS1_3repE0EEENS1_30default_config_static_selectorELNS0_4arch9wavefront6targetE1EEEvSR_,"axG",@progbits,_ZN7rocprim17ROCPRIM_400000_NS6detail17trampoline_kernelINS0_14default_configENS1_22reduce_config_selectorIlEEZNS1_11reduce_implILb1ES3_N6thrust23THRUST_200600_302600_NS11hip_rocprim26transform_input_iterator_tIlPKhZN2at6native8ModeImplIbEclEPKbSI_EUlhE_EEPllNS8_4plusIlEEEE10hipError_tPvRmT1_T2_T3_mT4_P12ihipStream_tbEUlT_E0_NS1_11comp_targetILNS1_3genE3ELNS1_11target_archE908ELNS1_3gpuE7ELNS1_3repE0EEENS1_30default_config_static_selectorELNS0_4arch9wavefront6targetE1EEEvSR_,comdat
	.protected	_ZN7rocprim17ROCPRIM_400000_NS6detail17trampoline_kernelINS0_14default_configENS1_22reduce_config_selectorIlEEZNS1_11reduce_implILb1ES3_N6thrust23THRUST_200600_302600_NS11hip_rocprim26transform_input_iterator_tIlPKhZN2at6native8ModeImplIbEclEPKbSI_EUlhE_EEPllNS8_4plusIlEEEE10hipError_tPvRmT1_T2_T3_mT4_P12ihipStream_tbEUlT_E0_NS1_11comp_targetILNS1_3genE3ELNS1_11target_archE908ELNS1_3gpuE7ELNS1_3repE0EEENS1_30default_config_static_selectorELNS0_4arch9wavefront6targetE1EEEvSR_ ; -- Begin function _ZN7rocprim17ROCPRIM_400000_NS6detail17trampoline_kernelINS0_14default_configENS1_22reduce_config_selectorIlEEZNS1_11reduce_implILb1ES3_N6thrust23THRUST_200600_302600_NS11hip_rocprim26transform_input_iterator_tIlPKhZN2at6native8ModeImplIbEclEPKbSI_EUlhE_EEPllNS8_4plusIlEEEE10hipError_tPvRmT1_T2_T3_mT4_P12ihipStream_tbEUlT_E0_NS1_11comp_targetILNS1_3genE3ELNS1_11target_archE908ELNS1_3gpuE7ELNS1_3repE0EEENS1_30default_config_static_selectorELNS0_4arch9wavefront6targetE1EEEvSR_
	.globl	_ZN7rocprim17ROCPRIM_400000_NS6detail17trampoline_kernelINS0_14default_configENS1_22reduce_config_selectorIlEEZNS1_11reduce_implILb1ES3_N6thrust23THRUST_200600_302600_NS11hip_rocprim26transform_input_iterator_tIlPKhZN2at6native8ModeImplIbEclEPKbSI_EUlhE_EEPllNS8_4plusIlEEEE10hipError_tPvRmT1_T2_T3_mT4_P12ihipStream_tbEUlT_E0_NS1_11comp_targetILNS1_3genE3ELNS1_11target_archE908ELNS1_3gpuE7ELNS1_3repE0EEENS1_30default_config_static_selectorELNS0_4arch9wavefront6targetE1EEEvSR_
	.p2align	8
	.type	_ZN7rocprim17ROCPRIM_400000_NS6detail17trampoline_kernelINS0_14default_configENS1_22reduce_config_selectorIlEEZNS1_11reduce_implILb1ES3_N6thrust23THRUST_200600_302600_NS11hip_rocprim26transform_input_iterator_tIlPKhZN2at6native8ModeImplIbEclEPKbSI_EUlhE_EEPllNS8_4plusIlEEEE10hipError_tPvRmT1_T2_T3_mT4_P12ihipStream_tbEUlT_E0_NS1_11comp_targetILNS1_3genE3ELNS1_11target_archE908ELNS1_3gpuE7ELNS1_3repE0EEENS1_30default_config_static_selectorELNS0_4arch9wavefront6targetE1EEEvSR_,@function
_ZN7rocprim17ROCPRIM_400000_NS6detail17trampoline_kernelINS0_14default_configENS1_22reduce_config_selectorIlEEZNS1_11reduce_implILb1ES3_N6thrust23THRUST_200600_302600_NS11hip_rocprim26transform_input_iterator_tIlPKhZN2at6native8ModeImplIbEclEPKbSI_EUlhE_EEPllNS8_4plusIlEEEE10hipError_tPvRmT1_T2_T3_mT4_P12ihipStream_tbEUlT_E0_NS1_11comp_targetILNS1_3genE3ELNS1_11target_archE908ELNS1_3gpuE7ELNS1_3repE0EEENS1_30default_config_static_selectorELNS0_4arch9wavefront6targetE1EEEvSR_: ; @_ZN7rocprim17ROCPRIM_400000_NS6detail17trampoline_kernelINS0_14default_configENS1_22reduce_config_selectorIlEEZNS1_11reduce_implILb1ES3_N6thrust23THRUST_200600_302600_NS11hip_rocprim26transform_input_iterator_tIlPKhZN2at6native8ModeImplIbEclEPKbSI_EUlhE_EEPllNS8_4plusIlEEEE10hipError_tPvRmT1_T2_T3_mT4_P12ihipStream_tbEUlT_E0_NS1_11comp_targetILNS1_3genE3ELNS1_11target_archE908ELNS1_3gpuE7ELNS1_3repE0EEENS1_30default_config_static_selectorELNS0_4arch9wavefront6targetE1EEEvSR_
; %bb.0:
	.section	.rodata,"a",@progbits
	.p2align	6, 0x0
	.amdhsa_kernel _ZN7rocprim17ROCPRIM_400000_NS6detail17trampoline_kernelINS0_14default_configENS1_22reduce_config_selectorIlEEZNS1_11reduce_implILb1ES3_N6thrust23THRUST_200600_302600_NS11hip_rocprim26transform_input_iterator_tIlPKhZN2at6native8ModeImplIbEclEPKbSI_EUlhE_EEPllNS8_4plusIlEEEE10hipError_tPvRmT1_T2_T3_mT4_P12ihipStream_tbEUlT_E0_NS1_11comp_targetILNS1_3genE3ELNS1_11target_archE908ELNS1_3gpuE7ELNS1_3repE0EEENS1_30default_config_static_selectorELNS0_4arch9wavefront6targetE1EEEvSR_
		.amdhsa_group_segment_fixed_size 0
		.amdhsa_private_segment_fixed_size 0
		.amdhsa_kernarg_size 72
		.amdhsa_user_sgpr_count 6
		.amdhsa_user_sgpr_private_segment_buffer 1
		.amdhsa_user_sgpr_dispatch_ptr 0
		.amdhsa_user_sgpr_queue_ptr 0
		.amdhsa_user_sgpr_kernarg_segment_ptr 1
		.amdhsa_user_sgpr_dispatch_id 0
		.amdhsa_user_sgpr_flat_scratch_init 0
		.amdhsa_user_sgpr_private_segment_size 0
		.amdhsa_uses_dynamic_stack 0
		.amdhsa_system_sgpr_private_segment_wavefront_offset 0
		.amdhsa_system_sgpr_workgroup_id_x 1
		.amdhsa_system_sgpr_workgroup_id_y 0
		.amdhsa_system_sgpr_workgroup_id_z 0
		.amdhsa_system_sgpr_workgroup_info 0
		.amdhsa_system_vgpr_workitem_id 0
		.amdhsa_next_free_vgpr 1
		.amdhsa_next_free_sgpr 0
		.amdhsa_reserve_vcc 0
		.amdhsa_reserve_flat_scratch 0
		.amdhsa_float_round_mode_32 0
		.amdhsa_float_round_mode_16_64 0
		.amdhsa_float_denorm_mode_32 3
		.amdhsa_float_denorm_mode_16_64 3
		.amdhsa_dx10_clamp 1
		.amdhsa_ieee_mode 1
		.amdhsa_fp16_overflow 0
		.amdhsa_exception_fp_ieee_invalid_op 0
		.amdhsa_exception_fp_denorm_src 0
		.amdhsa_exception_fp_ieee_div_zero 0
		.amdhsa_exception_fp_ieee_overflow 0
		.amdhsa_exception_fp_ieee_underflow 0
		.amdhsa_exception_fp_ieee_inexact 0
		.amdhsa_exception_int_div_zero 0
	.end_amdhsa_kernel
	.section	.text._ZN7rocprim17ROCPRIM_400000_NS6detail17trampoline_kernelINS0_14default_configENS1_22reduce_config_selectorIlEEZNS1_11reduce_implILb1ES3_N6thrust23THRUST_200600_302600_NS11hip_rocprim26transform_input_iterator_tIlPKhZN2at6native8ModeImplIbEclEPKbSI_EUlhE_EEPllNS8_4plusIlEEEE10hipError_tPvRmT1_T2_T3_mT4_P12ihipStream_tbEUlT_E0_NS1_11comp_targetILNS1_3genE3ELNS1_11target_archE908ELNS1_3gpuE7ELNS1_3repE0EEENS1_30default_config_static_selectorELNS0_4arch9wavefront6targetE1EEEvSR_,"axG",@progbits,_ZN7rocprim17ROCPRIM_400000_NS6detail17trampoline_kernelINS0_14default_configENS1_22reduce_config_selectorIlEEZNS1_11reduce_implILb1ES3_N6thrust23THRUST_200600_302600_NS11hip_rocprim26transform_input_iterator_tIlPKhZN2at6native8ModeImplIbEclEPKbSI_EUlhE_EEPllNS8_4plusIlEEEE10hipError_tPvRmT1_T2_T3_mT4_P12ihipStream_tbEUlT_E0_NS1_11comp_targetILNS1_3genE3ELNS1_11target_archE908ELNS1_3gpuE7ELNS1_3repE0EEENS1_30default_config_static_selectorELNS0_4arch9wavefront6targetE1EEEvSR_,comdat
.Lfunc_end21:
	.size	_ZN7rocprim17ROCPRIM_400000_NS6detail17trampoline_kernelINS0_14default_configENS1_22reduce_config_selectorIlEEZNS1_11reduce_implILb1ES3_N6thrust23THRUST_200600_302600_NS11hip_rocprim26transform_input_iterator_tIlPKhZN2at6native8ModeImplIbEclEPKbSI_EUlhE_EEPllNS8_4plusIlEEEE10hipError_tPvRmT1_T2_T3_mT4_P12ihipStream_tbEUlT_E0_NS1_11comp_targetILNS1_3genE3ELNS1_11target_archE908ELNS1_3gpuE7ELNS1_3repE0EEENS1_30default_config_static_selectorELNS0_4arch9wavefront6targetE1EEEvSR_, .Lfunc_end21-_ZN7rocprim17ROCPRIM_400000_NS6detail17trampoline_kernelINS0_14default_configENS1_22reduce_config_selectorIlEEZNS1_11reduce_implILb1ES3_N6thrust23THRUST_200600_302600_NS11hip_rocprim26transform_input_iterator_tIlPKhZN2at6native8ModeImplIbEclEPKbSI_EUlhE_EEPllNS8_4plusIlEEEE10hipError_tPvRmT1_T2_T3_mT4_P12ihipStream_tbEUlT_E0_NS1_11comp_targetILNS1_3genE3ELNS1_11target_archE908ELNS1_3gpuE7ELNS1_3repE0EEENS1_30default_config_static_selectorELNS0_4arch9wavefront6targetE1EEEvSR_
                                        ; -- End function
	.set _ZN7rocprim17ROCPRIM_400000_NS6detail17trampoline_kernelINS0_14default_configENS1_22reduce_config_selectorIlEEZNS1_11reduce_implILb1ES3_N6thrust23THRUST_200600_302600_NS11hip_rocprim26transform_input_iterator_tIlPKhZN2at6native8ModeImplIbEclEPKbSI_EUlhE_EEPllNS8_4plusIlEEEE10hipError_tPvRmT1_T2_T3_mT4_P12ihipStream_tbEUlT_E0_NS1_11comp_targetILNS1_3genE3ELNS1_11target_archE908ELNS1_3gpuE7ELNS1_3repE0EEENS1_30default_config_static_selectorELNS0_4arch9wavefront6targetE1EEEvSR_.num_vgpr, 0
	.set _ZN7rocprim17ROCPRIM_400000_NS6detail17trampoline_kernelINS0_14default_configENS1_22reduce_config_selectorIlEEZNS1_11reduce_implILb1ES3_N6thrust23THRUST_200600_302600_NS11hip_rocprim26transform_input_iterator_tIlPKhZN2at6native8ModeImplIbEclEPKbSI_EUlhE_EEPllNS8_4plusIlEEEE10hipError_tPvRmT1_T2_T3_mT4_P12ihipStream_tbEUlT_E0_NS1_11comp_targetILNS1_3genE3ELNS1_11target_archE908ELNS1_3gpuE7ELNS1_3repE0EEENS1_30default_config_static_selectorELNS0_4arch9wavefront6targetE1EEEvSR_.num_agpr, 0
	.set _ZN7rocprim17ROCPRIM_400000_NS6detail17trampoline_kernelINS0_14default_configENS1_22reduce_config_selectorIlEEZNS1_11reduce_implILb1ES3_N6thrust23THRUST_200600_302600_NS11hip_rocprim26transform_input_iterator_tIlPKhZN2at6native8ModeImplIbEclEPKbSI_EUlhE_EEPllNS8_4plusIlEEEE10hipError_tPvRmT1_T2_T3_mT4_P12ihipStream_tbEUlT_E0_NS1_11comp_targetILNS1_3genE3ELNS1_11target_archE908ELNS1_3gpuE7ELNS1_3repE0EEENS1_30default_config_static_selectorELNS0_4arch9wavefront6targetE1EEEvSR_.numbered_sgpr, 0
	.set _ZN7rocprim17ROCPRIM_400000_NS6detail17trampoline_kernelINS0_14default_configENS1_22reduce_config_selectorIlEEZNS1_11reduce_implILb1ES3_N6thrust23THRUST_200600_302600_NS11hip_rocprim26transform_input_iterator_tIlPKhZN2at6native8ModeImplIbEclEPKbSI_EUlhE_EEPllNS8_4plusIlEEEE10hipError_tPvRmT1_T2_T3_mT4_P12ihipStream_tbEUlT_E0_NS1_11comp_targetILNS1_3genE3ELNS1_11target_archE908ELNS1_3gpuE7ELNS1_3repE0EEENS1_30default_config_static_selectorELNS0_4arch9wavefront6targetE1EEEvSR_.num_named_barrier, 0
	.set _ZN7rocprim17ROCPRIM_400000_NS6detail17trampoline_kernelINS0_14default_configENS1_22reduce_config_selectorIlEEZNS1_11reduce_implILb1ES3_N6thrust23THRUST_200600_302600_NS11hip_rocprim26transform_input_iterator_tIlPKhZN2at6native8ModeImplIbEclEPKbSI_EUlhE_EEPllNS8_4plusIlEEEE10hipError_tPvRmT1_T2_T3_mT4_P12ihipStream_tbEUlT_E0_NS1_11comp_targetILNS1_3genE3ELNS1_11target_archE908ELNS1_3gpuE7ELNS1_3repE0EEENS1_30default_config_static_selectorELNS0_4arch9wavefront6targetE1EEEvSR_.private_seg_size, 0
	.set _ZN7rocprim17ROCPRIM_400000_NS6detail17trampoline_kernelINS0_14default_configENS1_22reduce_config_selectorIlEEZNS1_11reduce_implILb1ES3_N6thrust23THRUST_200600_302600_NS11hip_rocprim26transform_input_iterator_tIlPKhZN2at6native8ModeImplIbEclEPKbSI_EUlhE_EEPllNS8_4plusIlEEEE10hipError_tPvRmT1_T2_T3_mT4_P12ihipStream_tbEUlT_E0_NS1_11comp_targetILNS1_3genE3ELNS1_11target_archE908ELNS1_3gpuE7ELNS1_3repE0EEENS1_30default_config_static_selectorELNS0_4arch9wavefront6targetE1EEEvSR_.uses_vcc, 0
	.set _ZN7rocprim17ROCPRIM_400000_NS6detail17trampoline_kernelINS0_14default_configENS1_22reduce_config_selectorIlEEZNS1_11reduce_implILb1ES3_N6thrust23THRUST_200600_302600_NS11hip_rocprim26transform_input_iterator_tIlPKhZN2at6native8ModeImplIbEclEPKbSI_EUlhE_EEPllNS8_4plusIlEEEE10hipError_tPvRmT1_T2_T3_mT4_P12ihipStream_tbEUlT_E0_NS1_11comp_targetILNS1_3genE3ELNS1_11target_archE908ELNS1_3gpuE7ELNS1_3repE0EEENS1_30default_config_static_selectorELNS0_4arch9wavefront6targetE1EEEvSR_.uses_flat_scratch, 0
	.set _ZN7rocprim17ROCPRIM_400000_NS6detail17trampoline_kernelINS0_14default_configENS1_22reduce_config_selectorIlEEZNS1_11reduce_implILb1ES3_N6thrust23THRUST_200600_302600_NS11hip_rocprim26transform_input_iterator_tIlPKhZN2at6native8ModeImplIbEclEPKbSI_EUlhE_EEPllNS8_4plusIlEEEE10hipError_tPvRmT1_T2_T3_mT4_P12ihipStream_tbEUlT_E0_NS1_11comp_targetILNS1_3genE3ELNS1_11target_archE908ELNS1_3gpuE7ELNS1_3repE0EEENS1_30default_config_static_selectorELNS0_4arch9wavefront6targetE1EEEvSR_.has_dyn_sized_stack, 0
	.set _ZN7rocprim17ROCPRIM_400000_NS6detail17trampoline_kernelINS0_14default_configENS1_22reduce_config_selectorIlEEZNS1_11reduce_implILb1ES3_N6thrust23THRUST_200600_302600_NS11hip_rocprim26transform_input_iterator_tIlPKhZN2at6native8ModeImplIbEclEPKbSI_EUlhE_EEPllNS8_4plusIlEEEE10hipError_tPvRmT1_T2_T3_mT4_P12ihipStream_tbEUlT_E0_NS1_11comp_targetILNS1_3genE3ELNS1_11target_archE908ELNS1_3gpuE7ELNS1_3repE0EEENS1_30default_config_static_selectorELNS0_4arch9wavefront6targetE1EEEvSR_.has_recursion, 0
	.set _ZN7rocprim17ROCPRIM_400000_NS6detail17trampoline_kernelINS0_14default_configENS1_22reduce_config_selectorIlEEZNS1_11reduce_implILb1ES3_N6thrust23THRUST_200600_302600_NS11hip_rocprim26transform_input_iterator_tIlPKhZN2at6native8ModeImplIbEclEPKbSI_EUlhE_EEPllNS8_4plusIlEEEE10hipError_tPvRmT1_T2_T3_mT4_P12ihipStream_tbEUlT_E0_NS1_11comp_targetILNS1_3genE3ELNS1_11target_archE908ELNS1_3gpuE7ELNS1_3repE0EEENS1_30default_config_static_selectorELNS0_4arch9wavefront6targetE1EEEvSR_.has_indirect_call, 0
	.section	.AMDGPU.csdata,"",@progbits
; Kernel info:
; codeLenInByte = 0
; TotalNumSgprs: 4
; NumVgprs: 0
; ScratchSize: 0
; MemoryBound: 0
; FloatMode: 240
; IeeeMode: 1
; LDSByteSize: 0 bytes/workgroup (compile time only)
; SGPRBlocks: 0
; VGPRBlocks: 0
; NumSGPRsForWavesPerEU: 4
; NumVGPRsForWavesPerEU: 1
; Occupancy: 10
; WaveLimiterHint : 0
; COMPUTE_PGM_RSRC2:SCRATCH_EN: 0
; COMPUTE_PGM_RSRC2:USER_SGPR: 6
; COMPUTE_PGM_RSRC2:TRAP_HANDLER: 0
; COMPUTE_PGM_RSRC2:TGID_X_EN: 1
; COMPUTE_PGM_RSRC2:TGID_Y_EN: 0
; COMPUTE_PGM_RSRC2:TGID_Z_EN: 0
; COMPUTE_PGM_RSRC2:TIDIG_COMP_CNT: 0
	.section	.text._ZN7rocprim17ROCPRIM_400000_NS6detail17trampoline_kernelINS0_14default_configENS1_22reduce_config_selectorIlEEZNS1_11reduce_implILb1ES3_N6thrust23THRUST_200600_302600_NS11hip_rocprim26transform_input_iterator_tIlPKhZN2at6native8ModeImplIbEclEPKbSI_EUlhE_EEPllNS8_4plusIlEEEE10hipError_tPvRmT1_T2_T3_mT4_P12ihipStream_tbEUlT_E0_NS1_11comp_targetILNS1_3genE2ELNS1_11target_archE906ELNS1_3gpuE6ELNS1_3repE0EEENS1_30default_config_static_selectorELNS0_4arch9wavefront6targetE1EEEvSR_,"axG",@progbits,_ZN7rocprim17ROCPRIM_400000_NS6detail17trampoline_kernelINS0_14default_configENS1_22reduce_config_selectorIlEEZNS1_11reduce_implILb1ES3_N6thrust23THRUST_200600_302600_NS11hip_rocprim26transform_input_iterator_tIlPKhZN2at6native8ModeImplIbEclEPKbSI_EUlhE_EEPllNS8_4plusIlEEEE10hipError_tPvRmT1_T2_T3_mT4_P12ihipStream_tbEUlT_E0_NS1_11comp_targetILNS1_3genE2ELNS1_11target_archE906ELNS1_3gpuE6ELNS1_3repE0EEENS1_30default_config_static_selectorELNS0_4arch9wavefront6targetE1EEEvSR_,comdat
	.protected	_ZN7rocprim17ROCPRIM_400000_NS6detail17trampoline_kernelINS0_14default_configENS1_22reduce_config_selectorIlEEZNS1_11reduce_implILb1ES3_N6thrust23THRUST_200600_302600_NS11hip_rocprim26transform_input_iterator_tIlPKhZN2at6native8ModeImplIbEclEPKbSI_EUlhE_EEPllNS8_4plusIlEEEE10hipError_tPvRmT1_T2_T3_mT4_P12ihipStream_tbEUlT_E0_NS1_11comp_targetILNS1_3genE2ELNS1_11target_archE906ELNS1_3gpuE6ELNS1_3repE0EEENS1_30default_config_static_selectorELNS0_4arch9wavefront6targetE1EEEvSR_ ; -- Begin function _ZN7rocprim17ROCPRIM_400000_NS6detail17trampoline_kernelINS0_14default_configENS1_22reduce_config_selectorIlEEZNS1_11reduce_implILb1ES3_N6thrust23THRUST_200600_302600_NS11hip_rocprim26transform_input_iterator_tIlPKhZN2at6native8ModeImplIbEclEPKbSI_EUlhE_EEPllNS8_4plusIlEEEE10hipError_tPvRmT1_T2_T3_mT4_P12ihipStream_tbEUlT_E0_NS1_11comp_targetILNS1_3genE2ELNS1_11target_archE906ELNS1_3gpuE6ELNS1_3repE0EEENS1_30default_config_static_selectorELNS0_4arch9wavefront6targetE1EEEvSR_
	.globl	_ZN7rocprim17ROCPRIM_400000_NS6detail17trampoline_kernelINS0_14default_configENS1_22reduce_config_selectorIlEEZNS1_11reduce_implILb1ES3_N6thrust23THRUST_200600_302600_NS11hip_rocprim26transform_input_iterator_tIlPKhZN2at6native8ModeImplIbEclEPKbSI_EUlhE_EEPllNS8_4plusIlEEEE10hipError_tPvRmT1_T2_T3_mT4_P12ihipStream_tbEUlT_E0_NS1_11comp_targetILNS1_3genE2ELNS1_11target_archE906ELNS1_3gpuE6ELNS1_3repE0EEENS1_30default_config_static_selectorELNS0_4arch9wavefront6targetE1EEEvSR_
	.p2align	8
	.type	_ZN7rocprim17ROCPRIM_400000_NS6detail17trampoline_kernelINS0_14default_configENS1_22reduce_config_selectorIlEEZNS1_11reduce_implILb1ES3_N6thrust23THRUST_200600_302600_NS11hip_rocprim26transform_input_iterator_tIlPKhZN2at6native8ModeImplIbEclEPKbSI_EUlhE_EEPllNS8_4plusIlEEEE10hipError_tPvRmT1_T2_T3_mT4_P12ihipStream_tbEUlT_E0_NS1_11comp_targetILNS1_3genE2ELNS1_11target_archE906ELNS1_3gpuE6ELNS1_3repE0EEENS1_30default_config_static_selectorELNS0_4arch9wavefront6targetE1EEEvSR_,@function
_ZN7rocprim17ROCPRIM_400000_NS6detail17trampoline_kernelINS0_14default_configENS1_22reduce_config_selectorIlEEZNS1_11reduce_implILb1ES3_N6thrust23THRUST_200600_302600_NS11hip_rocprim26transform_input_iterator_tIlPKhZN2at6native8ModeImplIbEclEPKbSI_EUlhE_EEPllNS8_4plusIlEEEE10hipError_tPvRmT1_T2_T3_mT4_P12ihipStream_tbEUlT_E0_NS1_11comp_targetILNS1_3genE2ELNS1_11target_archE906ELNS1_3gpuE6ELNS1_3repE0EEENS1_30default_config_static_selectorELNS0_4arch9wavefront6targetE1EEEvSR_: ; @_ZN7rocprim17ROCPRIM_400000_NS6detail17trampoline_kernelINS0_14default_configENS1_22reduce_config_selectorIlEEZNS1_11reduce_implILb1ES3_N6thrust23THRUST_200600_302600_NS11hip_rocprim26transform_input_iterator_tIlPKhZN2at6native8ModeImplIbEclEPKbSI_EUlhE_EEPllNS8_4plusIlEEEE10hipError_tPvRmT1_T2_T3_mT4_P12ihipStream_tbEUlT_E0_NS1_11comp_targetILNS1_3genE2ELNS1_11target_archE906ELNS1_3gpuE6ELNS1_3repE0EEENS1_30default_config_static_selectorELNS0_4arch9wavefront6targetE1EEEvSR_
; %bb.0:
	s_load_dwordx2 s[0:1], s[4:5], 0x0
	s_load_dwordx8 s[8:15], s[4:5], 0x10
	s_load_dwordx4 s[16:19], s[4:5], 0x30
	s_mov_b32 s7, 0
	v_mbcnt_lo_u32_b32 v5, -1, 0
	s_waitcnt lgkmcnt(0)
	s_add_u32 s0, s0, s8
	s_addc_u32 s1, s1, s9
	s_lshl_b32 s4, s6, 9
	s_lshr_b64 s[2:3], s[10:11], 9
	s_add_u32 s0, s0, s4
	s_addc_u32 s1, s1, 0
	s_cmp_lg_u64 s[2:3], s[6:7]
	s_cbranch_scc0 .LBB22_6
; %bb.1:
	global_load_ubyte v1, v0, s[0:1]
	global_load_ubyte v2, v0, s[0:1] offset:256
	v_mov_b32_e32 v4, 0
	v_mbcnt_hi_u32_b32 v3, -1, v5
	s_waitcnt vmcnt(1)
	v_cmp_ne_u16_e32 vcc, 0, v1
	v_cndmask_b32_e64 v1, 0, 1, vcc
	s_waitcnt vmcnt(0)
	v_cmp_ne_u16_e32 vcc, 0, v2
	v_addc_co_u32_e32 v1, vcc, 0, v1, vcc
	v_mov_b32_dpp v6, v4 quad_perm:[1,0,3,2] row_mask:0xf bank_mask:0xf bound_ctrl:1
	s_nop 0
	v_mov_b32_dpp v2, v1 quad_perm:[1,0,3,2] row_mask:0xf bank_mask:0xf bound_ctrl:1
	v_add_co_u32_e32 v1, vcc, v1, v2
	v_addc_co_u32_e64 v2, s[2:3], 0, 0, vcc
	v_add_co_u32_e32 v8, vcc, 0, v1
	v_addc_co_u32_e32 v2, vcc, v6, v2, vcc
	v_mov_b32_dpp v1, v1 quad_perm:[2,3,0,1] row_mask:0xf bank_mask:0xf bound_ctrl:1
	v_add_co_u32_e32 v1, vcc, v8, v1
	v_mov_b32_dpp v6, v2 quad_perm:[2,3,0,1] row_mask:0xf bank_mask:0xf bound_ctrl:1
	v_addc_co_u32_e32 v2, vcc, 0, v2, vcc
	v_add_co_u32_e32 v8, vcc, 0, v1
	v_addc_co_u32_e32 v2, vcc, v2, v6, vcc
	v_mov_b32_dpp v1, v1 row_ror:4 row_mask:0xf bank_mask:0xf bound_ctrl:1
	v_add_co_u32_e32 v1, vcc, v8, v1
	v_mov_b32_dpp v6, v2 row_ror:4 row_mask:0xf bank_mask:0xf bound_ctrl:1
	v_addc_co_u32_e32 v2, vcc, 0, v2, vcc
	v_add_co_u32_e32 v8, vcc, 0, v1
	v_addc_co_u32_e32 v2, vcc, v2, v6, vcc
	v_mov_b32_dpp v1, v1 row_ror:8 row_mask:0xf bank_mask:0xf bound_ctrl:1
	v_add_co_u32_e32 v1, vcc, v8, v1
	v_mov_b32_dpp v6, v2 row_ror:8 row_mask:0xf bank_mask:0xf bound_ctrl:1
	v_addc_co_u32_e32 v2, vcc, 0, v2, vcc
	v_add_co_u32_e32 v8, vcc, 0, v1
	v_addc_co_u32_e32 v2, vcc, v2, v6, vcc
	v_mov_b32_dpp v1, v1 row_bcast:15 row_mask:0xf bank_mask:0xf bound_ctrl:1
	v_add_co_u32_e32 v1, vcc, v8, v1
	v_mov_b32_dpp v6, v2 row_bcast:15 row_mask:0xf bank_mask:0xf bound_ctrl:1
	v_addc_co_u32_e32 v2, vcc, 0, v2, vcc
	v_add_co_u32_e32 v8, vcc, 0, v1
	v_addc_co_u32_e32 v2, vcc, v2, v6, vcc
	v_mov_b32_dpp v1, v1 row_bcast:31 row_mask:0xf bank_mask:0xf bound_ctrl:1
	v_add_co_u32_e32 v1, vcc, v8, v1
	v_lshlrev_b32_e32 v4, 2, v3
	v_addc_co_u32_e32 v6, vcc, 0, v2, vcc
	v_or_b32_e32 v7, 0xfc, v4
	s_nop 0
	v_add_u32_dpp v2, v2, v6 row_bcast:31 row_mask:0xf bank_mask:0xf bound_ctrl:1
	ds_bpermute_b32 v1, v7, v1
	ds_bpermute_b32 v2, v7, v2
	v_cmp_eq_u32_e32 vcc, 0, v3
	s_and_saveexec_b64 s[2:3], vcc
	s_cbranch_execz .LBB22_3
; %bb.2:
	v_lshrrev_b32_e32 v6, 3, v0
	v_and_b32_e32 v6, 24, v6
	s_waitcnt lgkmcnt(0)
	ds_write_b64 v6, v[1:2]
.LBB22_3:
	s_or_b64 exec, exec, s[2:3]
	v_cmp_gt_u32_e32 vcc, 64, v0
	s_waitcnt lgkmcnt(0)
	s_barrier
	s_and_saveexec_b64 s[2:3], vcc
	s_cbranch_execz .LBB22_5
; %bb.4:
	v_and_b32_e32 v6, 3, v3
	v_lshlrev_b32_e32 v1, 3, v6
	ds_read_b64 v[1:2], v1
	v_cmp_ne_u32_e32 vcc, 3, v6
	v_addc_co_u32_e32 v3, vcc, 0, v3, vcc
	v_lshlrev_b32_e32 v3, 2, v3
	s_waitcnt lgkmcnt(0)
	ds_bpermute_b32 v6, v3, v1
	ds_bpermute_b32 v3, v3, v2
	v_or_b32_e32 v4, 8, v4
	s_waitcnt lgkmcnt(1)
	v_add_co_u32_e32 v1, vcc, v1, v6
	v_addc_co_u32_e32 v2, vcc, 0, v2, vcc
	ds_bpermute_b32 v6, v4, v1
	v_add_co_u32_e32 v1, vcc, 0, v1
	s_waitcnt lgkmcnt(1)
	v_addc_co_u32_e32 v2, vcc, v3, v2, vcc
	ds_bpermute_b32 v3, v4, v2
	s_waitcnt lgkmcnt(1)
	v_add_co_u32_e32 v1, vcc, v1, v6
	v_addc_co_u32_e32 v2, vcc, 0, v2, vcc
	v_add_co_u32_e32 v1, vcc, 0, v1
	s_waitcnt lgkmcnt(0)
	v_addc_co_u32_e32 v2, vcc, v2, v3, vcc
.LBB22_5:
	s_or_b64 exec, exec, s[2:3]
	s_branch .LBB22_28
.LBB22_6:
                                        ; implicit-def: $vgpr1_vgpr2
	s_cbranch_execz .LBB22_28
; %bb.7:
	s_sub_i32 s4, s10, s4
	v_mov_b32_e32 v1, 0
	v_cmp_gt_u32_e32 vcc, s4, v0
	v_mov_b32_e32 v2, v1
	v_mov_b32_e32 v3, v1
	v_mov_b32_e32 v4, v1
	s_and_saveexec_b64 s[2:3], vcc
	s_cbranch_execz .LBB22_9
; %bb.8:
	global_load_ubyte v2, v0, s[0:1]
	v_mov_b32_e32 v7, v1
	v_mov_b32_e32 v8, v1
	;; [unrolled: 1-line block ×3, first 2 shown]
	s_waitcnt vmcnt(0)
	v_cmp_ne_u16_e32 vcc, 0, v2
	v_cndmask_b32_e64 v2, 0, 1, vcc
	v_and_b32_e32 v6, 0xffff, v2
	v_mov_b32_e32 v1, v6
	v_mov_b32_e32 v2, v7
	;; [unrolled: 1-line block ×4, first 2 shown]
.LBB22_9:
	s_or_b64 exec, exec, s[2:3]
	v_or_b32_e32 v6, 0x100, v0
	v_cmp_gt_u32_e32 vcc, s4, v6
	s_and_saveexec_b64 s[2:3], vcc
	s_cbranch_execz .LBB22_11
; %bb.10:
	global_load_ubyte v3, v0, s[0:1] offset:256
	s_mov_b32 s5, 0
	v_mov_b32_e32 v4, s5
	s_waitcnt vmcnt(0)
	v_cmp_ne_u16_e64 s[0:1], 0, v3
	v_cndmask_b32_e64 v3, 0, 1, s[0:1]
.LBB22_11:
	s_or_b64 exec, exec, s[2:3]
	v_cndmask_b32_e32 v3, 0, v3, vcc
	v_cndmask_b32_e32 v4, 0, v4, vcc
	v_add_co_u32_e32 v1, vcc, v3, v1
	v_mbcnt_hi_u32_b32 v3, -1, v5
	v_addc_co_u32_e32 v2, vcc, v4, v2, vcc
	v_and_b32_e32 v4, 63, v3
	v_cmp_ne_u32_e32 vcc, 63, v4
	v_addc_co_u32_e32 v6, vcc, 0, v3, vcc
	v_lshlrev_b32_e32 v6, 2, v6
	ds_bpermute_b32 v8, v6, v1
	ds_bpermute_b32 v7, v6, v2
	s_min_u32 s2, s4, 0x100
	v_and_b32_e32 v5, 0xc0, v0
	v_sub_u32_e64 v5, s2, v5 clamp
	v_add_u32_e32 v6, 1, v4
	v_cmp_lt_u32_e32 vcc, v6, v5
	v_mov_b32_e32 v6, v1
	s_and_saveexec_b64 s[0:1], vcc
	s_cbranch_execz .LBB22_13
; %bb.12:
	s_waitcnt lgkmcnt(1)
	v_add_co_u32_e32 v6, vcc, v1, v8
	v_addc_co_u32_e32 v2, vcc, 0, v2, vcc
	v_add_co_u32_e32 v1, vcc, 0, v6
	s_waitcnt lgkmcnt(0)
	v_addc_co_u32_e32 v2, vcc, v7, v2, vcc
.LBB22_13:
	s_or_b64 exec, exec, s[0:1]
	v_cmp_gt_u32_e32 vcc, 62, v4
	s_waitcnt lgkmcnt(0)
	v_cndmask_b32_e64 v7, 0, 2, vcc
	v_add_lshl_u32 v7, v7, v3, 2
	ds_bpermute_b32 v8, v7, v6
	ds_bpermute_b32 v7, v7, v2
	v_add_u32_e32 v9, 2, v4
	v_cmp_lt_u32_e32 vcc, v9, v5
	s_and_saveexec_b64 s[0:1], vcc
	s_cbranch_execz .LBB22_15
; %bb.14:
	s_waitcnt lgkmcnt(1)
	v_add_co_u32_e32 v6, vcc, v1, v8
	v_addc_co_u32_e32 v2, vcc, 0, v2, vcc
	v_add_co_u32_e32 v1, vcc, 0, v6
	s_waitcnt lgkmcnt(0)
	v_addc_co_u32_e32 v2, vcc, v7, v2, vcc
.LBB22_15:
	s_or_b64 exec, exec, s[0:1]
	v_cmp_gt_u32_e32 vcc, 60, v4
	s_waitcnt lgkmcnt(0)
	v_cndmask_b32_e64 v7, 0, 4, vcc
	v_add_lshl_u32 v7, v7, v3, 2
	ds_bpermute_b32 v8, v7, v6
	ds_bpermute_b32 v7, v7, v2
	v_add_u32_e32 v9, 4, v4
	v_cmp_lt_u32_e32 vcc, v9, v5
	;; [unrolled: 19-line block ×4, first 2 shown]
	s_and_saveexec_b64 s[0:1], vcc
	s_cbranch_execz .LBB22_21
; %bb.20:
	s_waitcnt lgkmcnt(1)
	v_add_co_u32_e32 v6, vcc, v1, v8
	v_addc_co_u32_e32 v2, vcc, 0, v2, vcc
	v_add_co_u32_e32 v1, vcc, 0, v6
	s_waitcnt lgkmcnt(0)
	v_addc_co_u32_e32 v2, vcc, v7, v2, vcc
.LBB22_21:
	s_or_b64 exec, exec, s[0:1]
	s_waitcnt lgkmcnt(0)
	v_lshlrev_b32_e32 v7, 2, v3
	v_or_b32_e32 v8, 0x80, v7
	ds_bpermute_b32 v6, v8, v6
	ds_bpermute_b32 v8, v8, v2
	v_add_u32_e32 v4, 32, v4
	s_waitcnt lgkmcnt(1)
	v_add_co_u32_e32 v6, vcc, v1, v6
	v_addc_co_u32_e32 v9, vcc, 0, v2, vcc
	v_add_co_u32_e32 v6, vcc, 0, v6
	s_waitcnt lgkmcnt(0)
	v_addc_co_u32_e32 v8, vcc, v9, v8, vcc
	v_cmp_lt_u32_e32 vcc, v4, v5
	v_cndmask_b32_e32 v2, v2, v8, vcc
	v_cndmask_b32_e32 v1, v1, v6, vcc
	v_cmp_eq_u32_e32 vcc, 0, v3
	s_and_saveexec_b64 s[0:1], vcc
; %bb.22:
	v_lshrrev_b32_e32 v4, 3, v0
	v_and_b32_e32 v4, 24, v4
	ds_write_b64 v4, v[1:2] offset:32
; %bb.23:
	s_or_b64 exec, exec, s[0:1]
	v_cmp_gt_u32_e32 vcc, 4, v0
	s_waitcnt lgkmcnt(0)
	s_barrier
	s_and_saveexec_b64 s[0:1], vcc
	s_cbranch_execz .LBB22_27
; %bb.24:
	v_lshlrev_b32_e32 v1, 3, v3
	ds_read_b64 v[1:2], v1 offset:32
	v_and_b32_e32 v4, 3, v3
	v_cmp_ne_u32_e32 vcc, 3, v4
	v_addc_co_u32_e32 v3, vcc, 0, v3, vcc
	v_lshlrev_b32_e32 v3, 2, v3
	s_waitcnt lgkmcnt(0)
	ds_bpermute_b32 v6, v3, v1
	ds_bpermute_b32 v5, v3, v2
	s_add_i32 s2, s2, 63
	s_lshr_b32 s4, s2, 6
	v_add_u32_e32 v3, 1, v4
	v_cmp_gt_u32_e32 vcc, s4, v3
	v_mov_b32_e32 v3, v1
	s_and_saveexec_b64 s[2:3], vcc
	s_cbranch_execz .LBB22_26
; %bb.25:
	s_waitcnt lgkmcnt(1)
	v_add_co_u32_e32 v3, vcc, v1, v6
	v_addc_co_u32_e32 v2, vcc, 0, v2, vcc
	v_add_co_u32_e32 v1, vcc, 0, v3
	s_waitcnt lgkmcnt(0)
	v_addc_co_u32_e32 v2, vcc, v5, v2, vcc
.LBB22_26:
	s_or_b64 exec, exec, s[2:3]
	s_waitcnt lgkmcnt(0)
	v_or_b32_e32 v5, 8, v7
	ds_bpermute_b32 v3, v5, v3
	ds_bpermute_b32 v5, v5, v2
	v_add_u32_e32 v4, 2, v4
	s_waitcnt lgkmcnt(1)
	v_add_co_u32_e32 v3, vcc, v1, v3
	v_addc_co_u32_e32 v6, vcc, 0, v2, vcc
	v_add_co_u32_e32 v3, vcc, 0, v3
	s_waitcnt lgkmcnt(0)
	v_addc_co_u32_e32 v5, vcc, v6, v5, vcc
	v_cmp_gt_u32_e32 vcc, s4, v4
	v_cndmask_b32_e32 v2, v2, v5, vcc
	v_cndmask_b32_e32 v1, v1, v3, vcc
.LBB22_27:
	s_or_b64 exec, exec, s[0:1]
.LBB22_28:
	v_cmp_eq_u32_e32 vcc, 0, v0
	s_and_saveexec_b64 s[0:1], vcc
	s_cbranch_execnz .LBB22_30
; %bb.29:
	s_endpgm
.LBB22_30:
	s_mul_i32 s0, s16, s15
	s_mul_hi_u32 s1, s16, s14
	s_add_i32 s0, s1, s0
	s_mul_i32 s1, s17, s14
	s_add_i32 s1, s0, s1
	s_mul_i32 s0, s16, s14
	s_lshl_b64 s[0:1], s[0:1], 3
	s_add_u32 s2, s12, s0
	s_addc_u32 s3, s13, s1
	s_cmp_eq_u64 s[10:11], 0
	v_mov_b32_e32 v0, s19
	s_cselect_b64 vcc, -1, 0
	s_lshl_b64 s[0:1], s[6:7], 3
	v_cndmask_b32_e32 v2, v2, v0, vcc
	v_mov_b32_e32 v0, s18
	s_add_u32 s0, s2, s0
	v_cndmask_b32_e32 v1, v1, v0, vcc
	s_addc_u32 s1, s3, s1
	v_mov_b32_e32 v0, 0
	global_store_dwordx2 v0, v[1:2], s[0:1]
	s_endpgm
	.section	.rodata,"a",@progbits
	.p2align	6, 0x0
	.amdhsa_kernel _ZN7rocprim17ROCPRIM_400000_NS6detail17trampoline_kernelINS0_14default_configENS1_22reduce_config_selectorIlEEZNS1_11reduce_implILb1ES3_N6thrust23THRUST_200600_302600_NS11hip_rocprim26transform_input_iterator_tIlPKhZN2at6native8ModeImplIbEclEPKbSI_EUlhE_EEPllNS8_4plusIlEEEE10hipError_tPvRmT1_T2_T3_mT4_P12ihipStream_tbEUlT_E0_NS1_11comp_targetILNS1_3genE2ELNS1_11target_archE906ELNS1_3gpuE6ELNS1_3repE0EEENS1_30default_config_static_selectorELNS0_4arch9wavefront6targetE1EEEvSR_
		.amdhsa_group_segment_fixed_size 64
		.amdhsa_private_segment_fixed_size 0
		.amdhsa_kernarg_size 72
		.amdhsa_user_sgpr_count 6
		.amdhsa_user_sgpr_private_segment_buffer 1
		.amdhsa_user_sgpr_dispatch_ptr 0
		.amdhsa_user_sgpr_queue_ptr 0
		.amdhsa_user_sgpr_kernarg_segment_ptr 1
		.amdhsa_user_sgpr_dispatch_id 0
		.amdhsa_user_sgpr_flat_scratch_init 0
		.amdhsa_user_sgpr_private_segment_size 0
		.amdhsa_uses_dynamic_stack 0
		.amdhsa_system_sgpr_private_segment_wavefront_offset 0
		.amdhsa_system_sgpr_workgroup_id_x 1
		.amdhsa_system_sgpr_workgroup_id_y 0
		.amdhsa_system_sgpr_workgroup_id_z 0
		.amdhsa_system_sgpr_workgroup_info 0
		.amdhsa_system_vgpr_workitem_id 0
		.amdhsa_next_free_vgpr 10
		.amdhsa_next_free_sgpr 20
		.amdhsa_reserve_vcc 1
		.amdhsa_reserve_flat_scratch 0
		.amdhsa_float_round_mode_32 0
		.amdhsa_float_round_mode_16_64 0
		.amdhsa_float_denorm_mode_32 3
		.amdhsa_float_denorm_mode_16_64 3
		.amdhsa_dx10_clamp 1
		.amdhsa_ieee_mode 1
		.amdhsa_fp16_overflow 0
		.amdhsa_exception_fp_ieee_invalid_op 0
		.amdhsa_exception_fp_denorm_src 0
		.amdhsa_exception_fp_ieee_div_zero 0
		.amdhsa_exception_fp_ieee_overflow 0
		.amdhsa_exception_fp_ieee_underflow 0
		.amdhsa_exception_fp_ieee_inexact 0
		.amdhsa_exception_int_div_zero 0
	.end_amdhsa_kernel
	.section	.text._ZN7rocprim17ROCPRIM_400000_NS6detail17trampoline_kernelINS0_14default_configENS1_22reduce_config_selectorIlEEZNS1_11reduce_implILb1ES3_N6thrust23THRUST_200600_302600_NS11hip_rocprim26transform_input_iterator_tIlPKhZN2at6native8ModeImplIbEclEPKbSI_EUlhE_EEPllNS8_4plusIlEEEE10hipError_tPvRmT1_T2_T3_mT4_P12ihipStream_tbEUlT_E0_NS1_11comp_targetILNS1_3genE2ELNS1_11target_archE906ELNS1_3gpuE6ELNS1_3repE0EEENS1_30default_config_static_selectorELNS0_4arch9wavefront6targetE1EEEvSR_,"axG",@progbits,_ZN7rocprim17ROCPRIM_400000_NS6detail17trampoline_kernelINS0_14default_configENS1_22reduce_config_selectorIlEEZNS1_11reduce_implILb1ES3_N6thrust23THRUST_200600_302600_NS11hip_rocprim26transform_input_iterator_tIlPKhZN2at6native8ModeImplIbEclEPKbSI_EUlhE_EEPllNS8_4plusIlEEEE10hipError_tPvRmT1_T2_T3_mT4_P12ihipStream_tbEUlT_E0_NS1_11comp_targetILNS1_3genE2ELNS1_11target_archE906ELNS1_3gpuE6ELNS1_3repE0EEENS1_30default_config_static_selectorELNS0_4arch9wavefront6targetE1EEEvSR_,comdat
.Lfunc_end22:
	.size	_ZN7rocprim17ROCPRIM_400000_NS6detail17trampoline_kernelINS0_14default_configENS1_22reduce_config_selectorIlEEZNS1_11reduce_implILb1ES3_N6thrust23THRUST_200600_302600_NS11hip_rocprim26transform_input_iterator_tIlPKhZN2at6native8ModeImplIbEclEPKbSI_EUlhE_EEPllNS8_4plusIlEEEE10hipError_tPvRmT1_T2_T3_mT4_P12ihipStream_tbEUlT_E0_NS1_11comp_targetILNS1_3genE2ELNS1_11target_archE906ELNS1_3gpuE6ELNS1_3repE0EEENS1_30default_config_static_selectorELNS0_4arch9wavefront6targetE1EEEvSR_, .Lfunc_end22-_ZN7rocprim17ROCPRIM_400000_NS6detail17trampoline_kernelINS0_14default_configENS1_22reduce_config_selectorIlEEZNS1_11reduce_implILb1ES3_N6thrust23THRUST_200600_302600_NS11hip_rocprim26transform_input_iterator_tIlPKhZN2at6native8ModeImplIbEclEPKbSI_EUlhE_EEPllNS8_4plusIlEEEE10hipError_tPvRmT1_T2_T3_mT4_P12ihipStream_tbEUlT_E0_NS1_11comp_targetILNS1_3genE2ELNS1_11target_archE906ELNS1_3gpuE6ELNS1_3repE0EEENS1_30default_config_static_selectorELNS0_4arch9wavefront6targetE1EEEvSR_
                                        ; -- End function
	.set _ZN7rocprim17ROCPRIM_400000_NS6detail17trampoline_kernelINS0_14default_configENS1_22reduce_config_selectorIlEEZNS1_11reduce_implILb1ES3_N6thrust23THRUST_200600_302600_NS11hip_rocprim26transform_input_iterator_tIlPKhZN2at6native8ModeImplIbEclEPKbSI_EUlhE_EEPllNS8_4plusIlEEEE10hipError_tPvRmT1_T2_T3_mT4_P12ihipStream_tbEUlT_E0_NS1_11comp_targetILNS1_3genE2ELNS1_11target_archE906ELNS1_3gpuE6ELNS1_3repE0EEENS1_30default_config_static_selectorELNS0_4arch9wavefront6targetE1EEEvSR_.num_vgpr, 10
	.set _ZN7rocprim17ROCPRIM_400000_NS6detail17trampoline_kernelINS0_14default_configENS1_22reduce_config_selectorIlEEZNS1_11reduce_implILb1ES3_N6thrust23THRUST_200600_302600_NS11hip_rocprim26transform_input_iterator_tIlPKhZN2at6native8ModeImplIbEclEPKbSI_EUlhE_EEPllNS8_4plusIlEEEE10hipError_tPvRmT1_T2_T3_mT4_P12ihipStream_tbEUlT_E0_NS1_11comp_targetILNS1_3genE2ELNS1_11target_archE906ELNS1_3gpuE6ELNS1_3repE0EEENS1_30default_config_static_selectorELNS0_4arch9wavefront6targetE1EEEvSR_.num_agpr, 0
	.set _ZN7rocprim17ROCPRIM_400000_NS6detail17trampoline_kernelINS0_14default_configENS1_22reduce_config_selectorIlEEZNS1_11reduce_implILb1ES3_N6thrust23THRUST_200600_302600_NS11hip_rocprim26transform_input_iterator_tIlPKhZN2at6native8ModeImplIbEclEPKbSI_EUlhE_EEPllNS8_4plusIlEEEE10hipError_tPvRmT1_T2_T3_mT4_P12ihipStream_tbEUlT_E0_NS1_11comp_targetILNS1_3genE2ELNS1_11target_archE906ELNS1_3gpuE6ELNS1_3repE0EEENS1_30default_config_static_selectorELNS0_4arch9wavefront6targetE1EEEvSR_.numbered_sgpr, 20
	.set _ZN7rocprim17ROCPRIM_400000_NS6detail17trampoline_kernelINS0_14default_configENS1_22reduce_config_selectorIlEEZNS1_11reduce_implILb1ES3_N6thrust23THRUST_200600_302600_NS11hip_rocprim26transform_input_iterator_tIlPKhZN2at6native8ModeImplIbEclEPKbSI_EUlhE_EEPllNS8_4plusIlEEEE10hipError_tPvRmT1_T2_T3_mT4_P12ihipStream_tbEUlT_E0_NS1_11comp_targetILNS1_3genE2ELNS1_11target_archE906ELNS1_3gpuE6ELNS1_3repE0EEENS1_30default_config_static_selectorELNS0_4arch9wavefront6targetE1EEEvSR_.num_named_barrier, 0
	.set _ZN7rocprim17ROCPRIM_400000_NS6detail17trampoline_kernelINS0_14default_configENS1_22reduce_config_selectorIlEEZNS1_11reduce_implILb1ES3_N6thrust23THRUST_200600_302600_NS11hip_rocprim26transform_input_iterator_tIlPKhZN2at6native8ModeImplIbEclEPKbSI_EUlhE_EEPllNS8_4plusIlEEEE10hipError_tPvRmT1_T2_T3_mT4_P12ihipStream_tbEUlT_E0_NS1_11comp_targetILNS1_3genE2ELNS1_11target_archE906ELNS1_3gpuE6ELNS1_3repE0EEENS1_30default_config_static_selectorELNS0_4arch9wavefront6targetE1EEEvSR_.private_seg_size, 0
	.set _ZN7rocprim17ROCPRIM_400000_NS6detail17trampoline_kernelINS0_14default_configENS1_22reduce_config_selectorIlEEZNS1_11reduce_implILb1ES3_N6thrust23THRUST_200600_302600_NS11hip_rocprim26transform_input_iterator_tIlPKhZN2at6native8ModeImplIbEclEPKbSI_EUlhE_EEPllNS8_4plusIlEEEE10hipError_tPvRmT1_T2_T3_mT4_P12ihipStream_tbEUlT_E0_NS1_11comp_targetILNS1_3genE2ELNS1_11target_archE906ELNS1_3gpuE6ELNS1_3repE0EEENS1_30default_config_static_selectorELNS0_4arch9wavefront6targetE1EEEvSR_.uses_vcc, 1
	.set _ZN7rocprim17ROCPRIM_400000_NS6detail17trampoline_kernelINS0_14default_configENS1_22reduce_config_selectorIlEEZNS1_11reduce_implILb1ES3_N6thrust23THRUST_200600_302600_NS11hip_rocprim26transform_input_iterator_tIlPKhZN2at6native8ModeImplIbEclEPKbSI_EUlhE_EEPllNS8_4plusIlEEEE10hipError_tPvRmT1_T2_T3_mT4_P12ihipStream_tbEUlT_E0_NS1_11comp_targetILNS1_3genE2ELNS1_11target_archE906ELNS1_3gpuE6ELNS1_3repE0EEENS1_30default_config_static_selectorELNS0_4arch9wavefront6targetE1EEEvSR_.uses_flat_scratch, 0
	.set _ZN7rocprim17ROCPRIM_400000_NS6detail17trampoline_kernelINS0_14default_configENS1_22reduce_config_selectorIlEEZNS1_11reduce_implILb1ES3_N6thrust23THRUST_200600_302600_NS11hip_rocprim26transform_input_iterator_tIlPKhZN2at6native8ModeImplIbEclEPKbSI_EUlhE_EEPllNS8_4plusIlEEEE10hipError_tPvRmT1_T2_T3_mT4_P12ihipStream_tbEUlT_E0_NS1_11comp_targetILNS1_3genE2ELNS1_11target_archE906ELNS1_3gpuE6ELNS1_3repE0EEENS1_30default_config_static_selectorELNS0_4arch9wavefront6targetE1EEEvSR_.has_dyn_sized_stack, 0
	.set _ZN7rocprim17ROCPRIM_400000_NS6detail17trampoline_kernelINS0_14default_configENS1_22reduce_config_selectorIlEEZNS1_11reduce_implILb1ES3_N6thrust23THRUST_200600_302600_NS11hip_rocprim26transform_input_iterator_tIlPKhZN2at6native8ModeImplIbEclEPKbSI_EUlhE_EEPllNS8_4plusIlEEEE10hipError_tPvRmT1_T2_T3_mT4_P12ihipStream_tbEUlT_E0_NS1_11comp_targetILNS1_3genE2ELNS1_11target_archE906ELNS1_3gpuE6ELNS1_3repE0EEENS1_30default_config_static_selectorELNS0_4arch9wavefront6targetE1EEEvSR_.has_recursion, 0
	.set _ZN7rocprim17ROCPRIM_400000_NS6detail17trampoline_kernelINS0_14default_configENS1_22reduce_config_selectorIlEEZNS1_11reduce_implILb1ES3_N6thrust23THRUST_200600_302600_NS11hip_rocprim26transform_input_iterator_tIlPKhZN2at6native8ModeImplIbEclEPKbSI_EUlhE_EEPllNS8_4plusIlEEEE10hipError_tPvRmT1_T2_T3_mT4_P12ihipStream_tbEUlT_E0_NS1_11comp_targetILNS1_3genE2ELNS1_11target_archE906ELNS1_3gpuE6ELNS1_3repE0EEENS1_30default_config_static_selectorELNS0_4arch9wavefront6targetE1EEEvSR_.has_indirect_call, 0
	.section	.AMDGPU.csdata,"",@progbits
; Kernel info:
; codeLenInByte = 1552
; TotalNumSgprs: 24
; NumVgprs: 10
; ScratchSize: 0
; MemoryBound: 0
; FloatMode: 240
; IeeeMode: 1
; LDSByteSize: 64 bytes/workgroup (compile time only)
; SGPRBlocks: 2
; VGPRBlocks: 2
; NumSGPRsForWavesPerEU: 24
; NumVGPRsForWavesPerEU: 10
; Occupancy: 10
; WaveLimiterHint : 1
; COMPUTE_PGM_RSRC2:SCRATCH_EN: 0
; COMPUTE_PGM_RSRC2:USER_SGPR: 6
; COMPUTE_PGM_RSRC2:TRAP_HANDLER: 0
; COMPUTE_PGM_RSRC2:TGID_X_EN: 1
; COMPUTE_PGM_RSRC2:TGID_Y_EN: 0
; COMPUTE_PGM_RSRC2:TGID_Z_EN: 0
; COMPUTE_PGM_RSRC2:TIDIG_COMP_CNT: 0
	.section	.text._ZN7rocprim17ROCPRIM_400000_NS6detail17trampoline_kernelINS0_14default_configENS1_22reduce_config_selectorIlEEZNS1_11reduce_implILb1ES3_N6thrust23THRUST_200600_302600_NS11hip_rocprim26transform_input_iterator_tIlPKhZN2at6native8ModeImplIbEclEPKbSI_EUlhE_EEPllNS8_4plusIlEEEE10hipError_tPvRmT1_T2_T3_mT4_P12ihipStream_tbEUlT_E0_NS1_11comp_targetILNS1_3genE10ELNS1_11target_archE1201ELNS1_3gpuE5ELNS1_3repE0EEENS1_30default_config_static_selectorELNS0_4arch9wavefront6targetE1EEEvSR_,"axG",@progbits,_ZN7rocprim17ROCPRIM_400000_NS6detail17trampoline_kernelINS0_14default_configENS1_22reduce_config_selectorIlEEZNS1_11reduce_implILb1ES3_N6thrust23THRUST_200600_302600_NS11hip_rocprim26transform_input_iterator_tIlPKhZN2at6native8ModeImplIbEclEPKbSI_EUlhE_EEPllNS8_4plusIlEEEE10hipError_tPvRmT1_T2_T3_mT4_P12ihipStream_tbEUlT_E0_NS1_11comp_targetILNS1_3genE10ELNS1_11target_archE1201ELNS1_3gpuE5ELNS1_3repE0EEENS1_30default_config_static_selectorELNS0_4arch9wavefront6targetE1EEEvSR_,comdat
	.protected	_ZN7rocprim17ROCPRIM_400000_NS6detail17trampoline_kernelINS0_14default_configENS1_22reduce_config_selectorIlEEZNS1_11reduce_implILb1ES3_N6thrust23THRUST_200600_302600_NS11hip_rocprim26transform_input_iterator_tIlPKhZN2at6native8ModeImplIbEclEPKbSI_EUlhE_EEPllNS8_4plusIlEEEE10hipError_tPvRmT1_T2_T3_mT4_P12ihipStream_tbEUlT_E0_NS1_11comp_targetILNS1_3genE10ELNS1_11target_archE1201ELNS1_3gpuE5ELNS1_3repE0EEENS1_30default_config_static_selectorELNS0_4arch9wavefront6targetE1EEEvSR_ ; -- Begin function _ZN7rocprim17ROCPRIM_400000_NS6detail17trampoline_kernelINS0_14default_configENS1_22reduce_config_selectorIlEEZNS1_11reduce_implILb1ES3_N6thrust23THRUST_200600_302600_NS11hip_rocprim26transform_input_iterator_tIlPKhZN2at6native8ModeImplIbEclEPKbSI_EUlhE_EEPllNS8_4plusIlEEEE10hipError_tPvRmT1_T2_T3_mT4_P12ihipStream_tbEUlT_E0_NS1_11comp_targetILNS1_3genE10ELNS1_11target_archE1201ELNS1_3gpuE5ELNS1_3repE0EEENS1_30default_config_static_selectorELNS0_4arch9wavefront6targetE1EEEvSR_
	.globl	_ZN7rocprim17ROCPRIM_400000_NS6detail17trampoline_kernelINS0_14default_configENS1_22reduce_config_selectorIlEEZNS1_11reduce_implILb1ES3_N6thrust23THRUST_200600_302600_NS11hip_rocprim26transform_input_iterator_tIlPKhZN2at6native8ModeImplIbEclEPKbSI_EUlhE_EEPllNS8_4plusIlEEEE10hipError_tPvRmT1_T2_T3_mT4_P12ihipStream_tbEUlT_E0_NS1_11comp_targetILNS1_3genE10ELNS1_11target_archE1201ELNS1_3gpuE5ELNS1_3repE0EEENS1_30default_config_static_selectorELNS0_4arch9wavefront6targetE1EEEvSR_
	.p2align	8
	.type	_ZN7rocprim17ROCPRIM_400000_NS6detail17trampoline_kernelINS0_14default_configENS1_22reduce_config_selectorIlEEZNS1_11reduce_implILb1ES3_N6thrust23THRUST_200600_302600_NS11hip_rocprim26transform_input_iterator_tIlPKhZN2at6native8ModeImplIbEclEPKbSI_EUlhE_EEPllNS8_4plusIlEEEE10hipError_tPvRmT1_T2_T3_mT4_P12ihipStream_tbEUlT_E0_NS1_11comp_targetILNS1_3genE10ELNS1_11target_archE1201ELNS1_3gpuE5ELNS1_3repE0EEENS1_30default_config_static_selectorELNS0_4arch9wavefront6targetE1EEEvSR_,@function
_ZN7rocprim17ROCPRIM_400000_NS6detail17trampoline_kernelINS0_14default_configENS1_22reduce_config_selectorIlEEZNS1_11reduce_implILb1ES3_N6thrust23THRUST_200600_302600_NS11hip_rocprim26transform_input_iterator_tIlPKhZN2at6native8ModeImplIbEclEPKbSI_EUlhE_EEPllNS8_4plusIlEEEE10hipError_tPvRmT1_T2_T3_mT4_P12ihipStream_tbEUlT_E0_NS1_11comp_targetILNS1_3genE10ELNS1_11target_archE1201ELNS1_3gpuE5ELNS1_3repE0EEENS1_30default_config_static_selectorELNS0_4arch9wavefront6targetE1EEEvSR_: ; @_ZN7rocprim17ROCPRIM_400000_NS6detail17trampoline_kernelINS0_14default_configENS1_22reduce_config_selectorIlEEZNS1_11reduce_implILb1ES3_N6thrust23THRUST_200600_302600_NS11hip_rocprim26transform_input_iterator_tIlPKhZN2at6native8ModeImplIbEclEPKbSI_EUlhE_EEPllNS8_4plusIlEEEE10hipError_tPvRmT1_T2_T3_mT4_P12ihipStream_tbEUlT_E0_NS1_11comp_targetILNS1_3genE10ELNS1_11target_archE1201ELNS1_3gpuE5ELNS1_3repE0EEENS1_30default_config_static_selectorELNS0_4arch9wavefront6targetE1EEEvSR_
; %bb.0:
	.section	.rodata,"a",@progbits
	.p2align	6, 0x0
	.amdhsa_kernel _ZN7rocprim17ROCPRIM_400000_NS6detail17trampoline_kernelINS0_14default_configENS1_22reduce_config_selectorIlEEZNS1_11reduce_implILb1ES3_N6thrust23THRUST_200600_302600_NS11hip_rocprim26transform_input_iterator_tIlPKhZN2at6native8ModeImplIbEclEPKbSI_EUlhE_EEPllNS8_4plusIlEEEE10hipError_tPvRmT1_T2_T3_mT4_P12ihipStream_tbEUlT_E0_NS1_11comp_targetILNS1_3genE10ELNS1_11target_archE1201ELNS1_3gpuE5ELNS1_3repE0EEENS1_30default_config_static_selectorELNS0_4arch9wavefront6targetE1EEEvSR_
		.amdhsa_group_segment_fixed_size 0
		.amdhsa_private_segment_fixed_size 0
		.amdhsa_kernarg_size 72
		.amdhsa_user_sgpr_count 6
		.amdhsa_user_sgpr_private_segment_buffer 1
		.amdhsa_user_sgpr_dispatch_ptr 0
		.amdhsa_user_sgpr_queue_ptr 0
		.amdhsa_user_sgpr_kernarg_segment_ptr 1
		.amdhsa_user_sgpr_dispatch_id 0
		.amdhsa_user_sgpr_flat_scratch_init 0
		.amdhsa_user_sgpr_private_segment_size 0
		.amdhsa_uses_dynamic_stack 0
		.amdhsa_system_sgpr_private_segment_wavefront_offset 0
		.amdhsa_system_sgpr_workgroup_id_x 1
		.amdhsa_system_sgpr_workgroup_id_y 0
		.amdhsa_system_sgpr_workgroup_id_z 0
		.amdhsa_system_sgpr_workgroup_info 0
		.amdhsa_system_vgpr_workitem_id 0
		.amdhsa_next_free_vgpr 1
		.amdhsa_next_free_sgpr 0
		.amdhsa_reserve_vcc 0
		.amdhsa_reserve_flat_scratch 0
		.amdhsa_float_round_mode_32 0
		.amdhsa_float_round_mode_16_64 0
		.amdhsa_float_denorm_mode_32 3
		.amdhsa_float_denorm_mode_16_64 3
		.amdhsa_dx10_clamp 1
		.amdhsa_ieee_mode 1
		.amdhsa_fp16_overflow 0
		.amdhsa_exception_fp_ieee_invalid_op 0
		.amdhsa_exception_fp_denorm_src 0
		.amdhsa_exception_fp_ieee_div_zero 0
		.amdhsa_exception_fp_ieee_overflow 0
		.amdhsa_exception_fp_ieee_underflow 0
		.amdhsa_exception_fp_ieee_inexact 0
		.amdhsa_exception_int_div_zero 0
	.end_amdhsa_kernel
	.section	.text._ZN7rocprim17ROCPRIM_400000_NS6detail17trampoline_kernelINS0_14default_configENS1_22reduce_config_selectorIlEEZNS1_11reduce_implILb1ES3_N6thrust23THRUST_200600_302600_NS11hip_rocprim26transform_input_iterator_tIlPKhZN2at6native8ModeImplIbEclEPKbSI_EUlhE_EEPllNS8_4plusIlEEEE10hipError_tPvRmT1_T2_T3_mT4_P12ihipStream_tbEUlT_E0_NS1_11comp_targetILNS1_3genE10ELNS1_11target_archE1201ELNS1_3gpuE5ELNS1_3repE0EEENS1_30default_config_static_selectorELNS0_4arch9wavefront6targetE1EEEvSR_,"axG",@progbits,_ZN7rocprim17ROCPRIM_400000_NS6detail17trampoline_kernelINS0_14default_configENS1_22reduce_config_selectorIlEEZNS1_11reduce_implILb1ES3_N6thrust23THRUST_200600_302600_NS11hip_rocprim26transform_input_iterator_tIlPKhZN2at6native8ModeImplIbEclEPKbSI_EUlhE_EEPllNS8_4plusIlEEEE10hipError_tPvRmT1_T2_T3_mT4_P12ihipStream_tbEUlT_E0_NS1_11comp_targetILNS1_3genE10ELNS1_11target_archE1201ELNS1_3gpuE5ELNS1_3repE0EEENS1_30default_config_static_selectorELNS0_4arch9wavefront6targetE1EEEvSR_,comdat
.Lfunc_end23:
	.size	_ZN7rocprim17ROCPRIM_400000_NS6detail17trampoline_kernelINS0_14default_configENS1_22reduce_config_selectorIlEEZNS1_11reduce_implILb1ES3_N6thrust23THRUST_200600_302600_NS11hip_rocprim26transform_input_iterator_tIlPKhZN2at6native8ModeImplIbEclEPKbSI_EUlhE_EEPllNS8_4plusIlEEEE10hipError_tPvRmT1_T2_T3_mT4_P12ihipStream_tbEUlT_E0_NS1_11comp_targetILNS1_3genE10ELNS1_11target_archE1201ELNS1_3gpuE5ELNS1_3repE0EEENS1_30default_config_static_selectorELNS0_4arch9wavefront6targetE1EEEvSR_, .Lfunc_end23-_ZN7rocprim17ROCPRIM_400000_NS6detail17trampoline_kernelINS0_14default_configENS1_22reduce_config_selectorIlEEZNS1_11reduce_implILb1ES3_N6thrust23THRUST_200600_302600_NS11hip_rocprim26transform_input_iterator_tIlPKhZN2at6native8ModeImplIbEclEPKbSI_EUlhE_EEPllNS8_4plusIlEEEE10hipError_tPvRmT1_T2_T3_mT4_P12ihipStream_tbEUlT_E0_NS1_11comp_targetILNS1_3genE10ELNS1_11target_archE1201ELNS1_3gpuE5ELNS1_3repE0EEENS1_30default_config_static_selectorELNS0_4arch9wavefront6targetE1EEEvSR_
                                        ; -- End function
	.set _ZN7rocprim17ROCPRIM_400000_NS6detail17trampoline_kernelINS0_14default_configENS1_22reduce_config_selectorIlEEZNS1_11reduce_implILb1ES3_N6thrust23THRUST_200600_302600_NS11hip_rocprim26transform_input_iterator_tIlPKhZN2at6native8ModeImplIbEclEPKbSI_EUlhE_EEPllNS8_4plusIlEEEE10hipError_tPvRmT1_T2_T3_mT4_P12ihipStream_tbEUlT_E0_NS1_11comp_targetILNS1_3genE10ELNS1_11target_archE1201ELNS1_3gpuE5ELNS1_3repE0EEENS1_30default_config_static_selectorELNS0_4arch9wavefront6targetE1EEEvSR_.num_vgpr, 0
	.set _ZN7rocprim17ROCPRIM_400000_NS6detail17trampoline_kernelINS0_14default_configENS1_22reduce_config_selectorIlEEZNS1_11reduce_implILb1ES3_N6thrust23THRUST_200600_302600_NS11hip_rocprim26transform_input_iterator_tIlPKhZN2at6native8ModeImplIbEclEPKbSI_EUlhE_EEPllNS8_4plusIlEEEE10hipError_tPvRmT1_T2_T3_mT4_P12ihipStream_tbEUlT_E0_NS1_11comp_targetILNS1_3genE10ELNS1_11target_archE1201ELNS1_3gpuE5ELNS1_3repE0EEENS1_30default_config_static_selectorELNS0_4arch9wavefront6targetE1EEEvSR_.num_agpr, 0
	.set _ZN7rocprim17ROCPRIM_400000_NS6detail17trampoline_kernelINS0_14default_configENS1_22reduce_config_selectorIlEEZNS1_11reduce_implILb1ES3_N6thrust23THRUST_200600_302600_NS11hip_rocprim26transform_input_iterator_tIlPKhZN2at6native8ModeImplIbEclEPKbSI_EUlhE_EEPllNS8_4plusIlEEEE10hipError_tPvRmT1_T2_T3_mT4_P12ihipStream_tbEUlT_E0_NS1_11comp_targetILNS1_3genE10ELNS1_11target_archE1201ELNS1_3gpuE5ELNS1_3repE0EEENS1_30default_config_static_selectorELNS0_4arch9wavefront6targetE1EEEvSR_.numbered_sgpr, 0
	.set _ZN7rocprim17ROCPRIM_400000_NS6detail17trampoline_kernelINS0_14default_configENS1_22reduce_config_selectorIlEEZNS1_11reduce_implILb1ES3_N6thrust23THRUST_200600_302600_NS11hip_rocprim26transform_input_iterator_tIlPKhZN2at6native8ModeImplIbEclEPKbSI_EUlhE_EEPllNS8_4plusIlEEEE10hipError_tPvRmT1_T2_T3_mT4_P12ihipStream_tbEUlT_E0_NS1_11comp_targetILNS1_3genE10ELNS1_11target_archE1201ELNS1_3gpuE5ELNS1_3repE0EEENS1_30default_config_static_selectorELNS0_4arch9wavefront6targetE1EEEvSR_.num_named_barrier, 0
	.set _ZN7rocprim17ROCPRIM_400000_NS6detail17trampoline_kernelINS0_14default_configENS1_22reduce_config_selectorIlEEZNS1_11reduce_implILb1ES3_N6thrust23THRUST_200600_302600_NS11hip_rocprim26transform_input_iterator_tIlPKhZN2at6native8ModeImplIbEclEPKbSI_EUlhE_EEPllNS8_4plusIlEEEE10hipError_tPvRmT1_T2_T3_mT4_P12ihipStream_tbEUlT_E0_NS1_11comp_targetILNS1_3genE10ELNS1_11target_archE1201ELNS1_3gpuE5ELNS1_3repE0EEENS1_30default_config_static_selectorELNS0_4arch9wavefront6targetE1EEEvSR_.private_seg_size, 0
	.set _ZN7rocprim17ROCPRIM_400000_NS6detail17trampoline_kernelINS0_14default_configENS1_22reduce_config_selectorIlEEZNS1_11reduce_implILb1ES3_N6thrust23THRUST_200600_302600_NS11hip_rocprim26transform_input_iterator_tIlPKhZN2at6native8ModeImplIbEclEPKbSI_EUlhE_EEPllNS8_4plusIlEEEE10hipError_tPvRmT1_T2_T3_mT4_P12ihipStream_tbEUlT_E0_NS1_11comp_targetILNS1_3genE10ELNS1_11target_archE1201ELNS1_3gpuE5ELNS1_3repE0EEENS1_30default_config_static_selectorELNS0_4arch9wavefront6targetE1EEEvSR_.uses_vcc, 0
	.set _ZN7rocprim17ROCPRIM_400000_NS6detail17trampoline_kernelINS0_14default_configENS1_22reduce_config_selectorIlEEZNS1_11reduce_implILb1ES3_N6thrust23THRUST_200600_302600_NS11hip_rocprim26transform_input_iterator_tIlPKhZN2at6native8ModeImplIbEclEPKbSI_EUlhE_EEPllNS8_4plusIlEEEE10hipError_tPvRmT1_T2_T3_mT4_P12ihipStream_tbEUlT_E0_NS1_11comp_targetILNS1_3genE10ELNS1_11target_archE1201ELNS1_3gpuE5ELNS1_3repE0EEENS1_30default_config_static_selectorELNS0_4arch9wavefront6targetE1EEEvSR_.uses_flat_scratch, 0
	.set _ZN7rocprim17ROCPRIM_400000_NS6detail17trampoline_kernelINS0_14default_configENS1_22reduce_config_selectorIlEEZNS1_11reduce_implILb1ES3_N6thrust23THRUST_200600_302600_NS11hip_rocprim26transform_input_iterator_tIlPKhZN2at6native8ModeImplIbEclEPKbSI_EUlhE_EEPllNS8_4plusIlEEEE10hipError_tPvRmT1_T2_T3_mT4_P12ihipStream_tbEUlT_E0_NS1_11comp_targetILNS1_3genE10ELNS1_11target_archE1201ELNS1_3gpuE5ELNS1_3repE0EEENS1_30default_config_static_selectorELNS0_4arch9wavefront6targetE1EEEvSR_.has_dyn_sized_stack, 0
	.set _ZN7rocprim17ROCPRIM_400000_NS6detail17trampoline_kernelINS0_14default_configENS1_22reduce_config_selectorIlEEZNS1_11reduce_implILb1ES3_N6thrust23THRUST_200600_302600_NS11hip_rocprim26transform_input_iterator_tIlPKhZN2at6native8ModeImplIbEclEPKbSI_EUlhE_EEPllNS8_4plusIlEEEE10hipError_tPvRmT1_T2_T3_mT4_P12ihipStream_tbEUlT_E0_NS1_11comp_targetILNS1_3genE10ELNS1_11target_archE1201ELNS1_3gpuE5ELNS1_3repE0EEENS1_30default_config_static_selectorELNS0_4arch9wavefront6targetE1EEEvSR_.has_recursion, 0
	.set _ZN7rocprim17ROCPRIM_400000_NS6detail17trampoline_kernelINS0_14default_configENS1_22reduce_config_selectorIlEEZNS1_11reduce_implILb1ES3_N6thrust23THRUST_200600_302600_NS11hip_rocprim26transform_input_iterator_tIlPKhZN2at6native8ModeImplIbEclEPKbSI_EUlhE_EEPllNS8_4plusIlEEEE10hipError_tPvRmT1_T2_T3_mT4_P12ihipStream_tbEUlT_E0_NS1_11comp_targetILNS1_3genE10ELNS1_11target_archE1201ELNS1_3gpuE5ELNS1_3repE0EEENS1_30default_config_static_selectorELNS0_4arch9wavefront6targetE1EEEvSR_.has_indirect_call, 0
	.section	.AMDGPU.csdata,"",@progbits
; Kernel info:
; codeLenInByte = 0
; TotalNumSgprs: 4
; NumVgprs: 0
; ScratchSize: 0
; MemoryBound: 0
; FloatMode: 240
; IeeeMode: 1
; LDSByteSize: 0 bytes/workgroup (compile time only)
; SGPRBlocks: 0
; VGPRBlocks: 0
; NumSGPRsForWavesPerEU: 4
; NumVGPRsForWavesPerEU: 1
; Occupancy: 10
; WaveLimiterHint : 0
; COMPUTE_PGM_RSRC2:SCRATCH_EN: 0
; COMPUTE_PGM_RSRC2:USER_SGPR: 6
; COMPUTE_PGM_RSRC2:TRAP_HANDLER: 0
; COMPUTE_PGM_RSRC2:TGID_X_EN: 1
; COMPUTE_PGM_RSRC2:TGID_Y_EN: 0
; COMPUTE_PGM_RSRC2:TGID_Z_EN: 0
; COMPUTE_PGM_RSRC2:TIDIG_COMP_CNT: 0
	.section	.text._ZN7rocprim17ROCPRIM_400000_NS6detail17trampoline_kernelINS0_14default_configENS1_22reduce_config_selectorIlEEZNS1_11reduce_implILb1ES3_N6thrust23THRUST_200600_302600_NS11hip_rocprim26transform_input_iterator_tIlPKhZN2at6native8ModeImplIbEclEPKbSI_EUlhE_EEPllNS8_4plusIlEEEE10hipError_tPvRmT1_T2_T3_mT4_P12ihipStream_tbEUlT_E0_NS1_11comp_targetILNS1_3genE10ELNS1_11target_archE1200ELNS1_3gpuE4ELNS1_3repE0EEENS1_30default_config_static_selectorELNS0_4arch9wavefront6targetE1EEEvSR_,"axG",@progbits,_ZN7rocprim17ROCPRIM_400000_NS6detail17trampoline_kernelINS0_14default_configENS1_22reduce_config_selectorIlEEZNS1_11reduce_implILb1ES3_N6thrust23THRUST_200600_302600_NS11hip_rocprim26transform_input_iterator_tIlPKhZN2at6native8ModeImplIbEclEPKbSI_EUlhE_EEPllNS8_4plusIlEEEE10hipError_tPvRmT1_T2_T3_mT4_P12ihipStream_tbEUlT_E0_NS1_11comp_targetILNS1_3genE10ELNS1_11target_archE1200ELNS1_3gpuE4ELNS1_3repE0EEENS1_30default_config_static_selectorELNS0_4arch9wavefront6targetE1EEEvSR_,comdat
	.protected	_ZN7rocprim17ROCPRIM_400000_NS6detail17trampoline_kernelINS0_14default_configENS1_22reduce_config_selectorIlEEZNS1_11reduce_implILb1ES3_N6thrust23THRUST_200600_302600_NS11hip_rocprim26transform_input_iterator_tIlPKhZN2at6native8ModeImplIbEclEPKbSI_EUlhE_EEPllNS8_4plusIlEEEE10hipError_tPvRmT1_T2_T3_mT4_P12ihipStream_tbEUlT_E0_NS1_11comp_targetILNS1_3genE10ELNS1_11target_archE1200ELNS1_3gpuE4ELNS1_3repE0EEENS1_30default_config_static_selectorELNS0_4arch9wavefront6targetE1EEEvSR_ ; -- Begin function _ZN7rocprim17ROCPRIM_400000_NS6detail17trampoline_kernelINS0_14default_configENS1_22reduce_config_selectorIlEEZNS1_11reduce_implILb1ES3_N6thrust23THRUST_200600_302600_NS11hip_rocprim26transform_input_iterator_tIlPKhZN2at6native8ModeImplIbEclEPKbSI_EUlhE_EEPllNS8_4plusIlEEEE10hipError_tPvRmT1_T2_T3_mT4_P12ihipStream_tbEUlT_E0_NS1_11comp_targetILNS1_3genE10ELNS1_11target_archE1200ELNS1_3gpuE4ELNS1_3repE0EEENS1_30default_config_static_selectorELNS0_4arch9wavefront6targetE1EEEvSR_
	.globl	_ZN7rocprim17ROCPRIM_400000_NS6detail17trampoline_kernelINS0_14default_configENS1_22reduce_config_selectorIlEEZNS1_11reduce_implILb1ES3_N6thrust23THRUST_200600_302600_NS11hip_rocprim26transform_input_iterator_tIlPKhZN2at6native8ModeImplIbEclEPKbSI_EUlhE_EEPllNS8_4plusIlEEEE10hipError_tPvRmT1_T2_T3_mT4_P12ihipStream_tbEUlT_E0_NS1_11comp_targetILNS1_3genE10ELNS1_11target_archE1200ELNS1_3gpuE4ELNS1_3repE0EEENS1_30default_config_static_selectorELNS0_4arch9wavefront6targetE1EEEvSR_
	.p2align	8
	.type	_ZN7rocprim17ROCPRIM_400000_NS6detail17trampoline_kernelINS0_14default_configENS1_22reduce_config_selectorIlEEZNS1_11reduce_implILb1ES3_N6thrust23THRUST_200600_302600_NS11hip_rocprim26transform_input_iterator_tIlPKhZN2at6native8ModeImplIbEclEPKbSI_EUlhE_EEPllNS8_4plusIlEEEE10hipError_tPvRmT1_T2_T3_mT4_P12ihipStream_tbEUlT_E0_NS1_11comp_targetILNS1_3genE10ELNS1_11target_archE1200ELNS1_3gpuE4ELNS1_3repE0EEENS1_30default_config_static_selectorELNS0_4arch9wavefront6targetE1EEEvSR_,@function
_ZN7rocprim17ROCPRIM_400000_NS6detail17trampoline_kernelINS0_14default_configENS1_22reduce_config_selectorIlEEZNS1_11reduce_implILb1ES3_N6thrust23THRUST_200600_302600_NS11hip_rocprim26transform_input_iterator_tIlPKhZN2at6native8ModeImplIbEclEPKbSI_EUlhE_EEPllNS8_4plusIlEEEE10hipError_tPvRmT1_T2_T3_mT4_P12ihipStream_tbEUlT_E0_NS1_11comp_targetILNS1_3genE10ELNS1_11target_archE1200ELNS1_3gpuE4ELNS1_3repE0EEENS1_30default_config_static_selectorELNS0_4arch9wavefront6targetE1EEEvSR_: ; @_ZN7rocprim17ROCPRIM_400000_NS6detail17trampoline_kernelINS0_14default_configENS1_22reduce_config_selectorIlEEZNS1_11reduce_implILb1ES3_N6thrust23THRUST_200600_302600_NS11hip_rocprim26transform_input_iterator_tIlPKhZN2at6native8ModeImplIbEclEPKbSI_EUlhE_EEPllNS8_4plusIlEEEE10hipError_tPvRmT1_T2_T3_mT4_P12ihipStream_tbEUlT_E0_NS1_11comp_targetILNS1_3genE10ELNS1_11target_archE1200ELNS1_3gpuE4ELNS1_3repE0EEENS1_30default_config_static_selectorELNS0_4arch9wavefront6targetE1EEEvSR_
; %bb.0:
	.section	.rodata,"a",@progbits
	.p2align	6, 0x0
	.amdhsa_kernel _ZN7rocprim17ROCPRIM_400000_NS6detail17trampoline_kernelINS0_14default_configENS1_22reduce_config_selectorIlEEZNS1_11reduce_implILb1ES3_N6thrust23THRUST_200600_302600_NS11hip_rocprim26transform_input_iterator_tIlPKhZN2at6native8ModeImplIbEclEPKbSI_EUlhE_EEPllNS8_4plusIlEEEE10hipError_tPvRmT1_T2_T3_mT4_P12ihipStream_tbEUlT_E0_NS1_11comp_targetILNS1_3genE10ELNS1_11target_archE1200ELNS1_3gpuE4ELNS1_3repE0EEENS1_30default_config_static_selectorELNS0_4arch9wavefront6targetE1EEEvSR_
		.amdhsa_group_segment_fixed_size 0
		.amdhsa_private_segment_fixed_size 0
		.amdhsa_kernarg_size 72
		.amdhsa_user_sgpr_count 6
		.amdhsa_user_sgpr_private_segment_buffer 1
		.amdhsa_user_sgpr_dispatch_ptr 0
		.amdhsa_user_sgpr_queue_ptr 0
		.amdhsa_user_sgpr_kernarg_segment_ptr 1
		.amdhsa_user_sgpr_dispatch_id 0
		.amdhsa_user_sgpr_flat_scratch_init 0
		.amdhsa_user_sgpr_private_segment_size 0
		.amdhsa_uses_dynamic_stack 0
		.amdhsa_system_sgpr_private_segment_wavefront_offset 0
		.amdhsa_system_sgpr_workgroup_id_x 1
		.amdhsa_system_sgpr_workgroup_id_y 0
		.amdhsa_system_sgpr_workgroup_id_z 0
		.amdhsa_system_sgpr_workgroup_info 0
		.amdhsa_system_vgpr_workitem_id 0
		.amdhsa_next_free_vgpr 1
		.amdhsa_next_free_sgpr 0
		.amdhsa_reserve_vcc 0
		.amdhsa_reserve_flat_scratch 0
		.amdhsa_float_round_mode_32 0
		.amdhsa_float_round_mode_16_64 0
		.amdhsa_float_denorm_mode_32 3
		.amdhsa_float_denorm_mode_16_64 3
		.amdhsa_dx10_clamp 1
		.amdhsa_ieee_mode 1
		.amdhsa_fp16_overflow 0
		.amdhsa_exception_fp_ieee_invalid_op 0
		.amdhsa_exception_fp_denorm_src 0
		.amdhsa_exception_fp_ieee_div_zero 0
		.amdhsa_exception_fp_ieee_overflow 0
		.amdhsa_exception_fp_ieee_underflow 0
		.amdhsa_exception_fp_ieee_inexact 0
		.amdhsa_exception_int_div_zero 0
	.end_amdhsa_kernel
	.section	.text._ZN7rocprim17ROCPRIM_400000_NS6detail17trampoline_kernelINS0_14default_configENS1_22reduce_config_selectorIlEEZNS1_11reduce_implILb1ES3_N6thrust23THRUST_200600_302600_NS11hip_rocprim26transform_input_iterator_tIlPKhZN2at6native8ModeImplIbEclEPKbSI_EUlhE_EEPllNS8_4plusIlEEEE10hipError_tPvRmT1_T2_T3_mT4_P12ihipStream_tbEUlT_E0_NS1_11comp_targetILNS1_3genE10ELNS1_11target_archE1200ELNS1_3gpuE4ELNS1_3repE0EEENS1_30default_config_static_selectorELNS0_4arch9wavefront6targetE1EEEvSR_,"axG",@progbits,_ZN7rocprim17ROCPRIM_400000_NS6detail17trampoline_kernelINS0_14default_configENS1_22reduce_config_selectorIlEEZNS1_11reduce_implILb1ES3_N6thrust23THRUST_200600_302600_NS11hip_rocprim26transform_input_iterator_tIlPKhZN2at6native8ModeImplIbEclEPKbSI_EUlhE_EEPllNS8_4plusIlEEEE10hipError_tPvRmT1_T2_T3_mT4_P12ihipStream_tbEUlT_E0_NS1_11comp_targetILNS1_3genE10ELNS1_11target_archE1200ELNS1_3gpuE4ELNS1_3repE0EEENS1_30default_config_static_selectorELNS0_4arch9wavefront6targetE1EEEvSR_,comdat
.Lfunc_end24:
	.size	_ZN7rocprim17ROCPRIM_400000_NS6detail17trampoline_kernelINS0_14default_configENS1_22reduce_config_selectorIlEEZNS1_11reduce_implILb1ES3_N6thrust23THRUST_200600_302600_NS11hip_rocprim26transform_input_iterator_tIlPKhZN2at6native8ModeImplIbEclEPKbSI_EUlhE_EEPllNS8_4plusIlEEEE10hipError_tPvRmT1_T2_T3_mT4_P12ihipStream_tbEUlT_E0_NS1_11comp_targetILNS1_3genE10ELNS1_11target_archE1200ELNS1_3gpuE4ELNS1_3repE0EEENS1_30default_config_static_selectorELNS0_4arch9wavefront6targetE1EEEvSR_, .Lfunc_end24-_ZN7rocprim17ROCPRIM_400000_NS6detail17trampoline_kernelINS0_14default_configENS1_22reduce_config_selectorIlEEZNS1_11reduce_implILb1ES3_N6thrust23THRUST_200600_302600_NS11hip_rocprim26transform_input_iterator_tIlPKhZN2at6native8ModeImplIbEclEPKbSI_EUlhE_EEPllNS8_4plusIlEEEE10hipError_tPvRmT1_T2_T3_mT4_P12ihipStream_tbEUlT_E0_NS1_11comp_targetILNS1_3genE10ELNS1_11target_archE1200ELNS1_3gpuE4ELNS1_3repE0EEENS1_30default_config_static_selectorELNS0_4arch9wavefront6targetE1EEEvSR_
                                        ; -- End function
	.set _ZN7rocprim17ROCPRIM_400000_NS6detail17trampoline_kernelINS0_14default_configENS1_22reduce_config_selectorIlEEZNS1_11reduce_implILb1ES3_N6thrust23THRUST_200600_302600_NS11hip_rocprim26transform_input_iterator_tIlPKhZN2at6native8ModeImplIbEclEPKbSI_EUlhE_EEPllNS8_4plusIlEEEE10hipError_tPvRmT1_T2_T3_mT4_P12ihipStream_tbEUlT_E0_NS1_11comp_targetILNS1_3genE10ELNS1_11target_archE1200ELNS1_3gpuE4ELNS1_3repE0EEENS1_30default_config_static_selectorELNS0_4arch9wavefront6targetE1EEEvSR_.num_vgpr, 0
	.set _ZN7rocprim17ROCPRIM_400000_NS6detail17trampoline_kernelINS0_14default_configENS1_22reduce_config_selectorIlEEZNS1_11reduce_implILb1ES3_N6thrust23THRUST_200600_302600_NS11hip_rocprim26transform_input_iterator_tIlPKhZN2at6native8ModeImplIbEclEPKbSI_EUlhE_EEPllNS8_4plusIlEEEE10hipError_tPvRmT1_T2_T3_mT4_P12ihipStream_tbEUlT_E0_NS1_11comp_targetILNS1_3genE10ELNS1_11target_archE1200ELNS1_3gpuE4ELNS1_3repE0EEENS1_30default_config_static_selectorELNS0_4arch9wavefront6targetE1EEEvSR_.num_agpr, 0
	.set _ZN7rocprim17ROCPRIM_400000_NS6detail17trampoline_kernelINS0_14default_configENS1_22reduce_config_selectorIlEEZNS1_11reduce_implILb1ES3_N6thrust23THRUST_200600_302600_NS11hip_rocprim26transform_input_iterator_tIlPKhZN2at6native8ModeImplIbEclEPKbSI_EUlhE_EEPllNS8_4plusIlEEEE10hipError_tPvRmT1_T2_T3_mT4_P12ihipStream_tbEUlT_E0_NS1_11comp_targetILNS1_3genE10ELNS1_11target_archE1200ELNS1_3gpuE4ELNS1_3repE0EEENS1_30default_config_static_selectorELNS0_4arch9wavefront6targetE1EEEvSR_.numbered_sgpr, 0
	.set _ZN7rocprim17ROCPRIM_400000_NS6detail17trampoline_kernelINS0_14default_configENS1_22reduce_config_selectorIlEEZNS1_11reduce_implILb1ES3_N6thrust23THRUST_200600_302600_NS11hip_rocprim26transform_input_iterator_tIlPKhZN2at6native8ModeImplIbEclEPKbSI_EUlhE_EEPllNS8_4plusIlEEEE10hipError_tPvRmT1_T2_T3_mT4_P12ihipStream_tbEUlT_E0_NS1_11comp_targetILNS1_3genE10ELNS1_11target_archE1200ELNS1_3gpuE4ELNS1_3repE0EEENS1_30default_config_static_selectorELNS0_4arch9wavefront6targetE1EEEvSR_.num_named_barrier, 0
	.set _ZN7rocprim17ROCPRIM_400000_NS6detail17trampoline_kernelINS0_14default_configENS1_22reduce_config_selectorIlEEZNS1_11reduce_implILb1ES3_N6thrust23THRUST_200600_302600_NS11hip_rocprim26transform_input_iterator_tIlPKhZN2at6native8ModeImplIbEclEPKbSI_EUlhE_EEPllNS8_4plusIlEEEE10hipError_tPvRmT1_T2_T3_mT4_P12ihipStream_tbEUlT_E0_NS1_11comp_targetILNS1_3genE10ELNS1_11target_archE1200ELNS1_3gpuE4ELNS1_3repE0EEENS1_30default_config_static_selectorELNS0_4arch9wavefront6targetE1EEEvSR_.private_seg_size, 0
	.set _ZN7rocprim17ROCPRIM_400000_NS6detail17trampoline_kernelINS0_14default_configENS1_22reduce_config_selectorIlEEZNS1_11reduce_implILb1ES3_N6thrust23THRUST_200600_302600_NS11hip_rocprim26transform_input_iterator_tIlPKhZN2at6native8ModeImplIbEclEPKbSI_EUlhE_EEPllNS8_4plusIlEEEE10hipError_tPvRmT1_T2_T3_mT4_P12ihipStream_tbEUlT_E0_NS1_11comp_targetILNS1_3genE10ELNS1_11target_archE1200ELNS1_3gpuE4ELNS1_3repE0EEENS1_30default_config_static_selectorELNS0_4arch9wavefront6targetE1EEEvSR_.uses_vcc, 0
	.set _ZN7rocprim17ROCPRIM_400000_NS6detail17trampoline_kernelINS0_14default_configENS1_22reduce_config_selectorIlEEZNS1_11reduce_implILb1ES3_N6thrust23THRUST_200600_302600_NS11hip_rocprim26transform_input_iterator_tIlPKhZN2at6native8ModeImplIbEclEPKbSI_EUlhE_EEPllNS8_4plusIlEEEE10hipError_tPvRmT1_T2_T3_mT4_P12ihipStream_tbEUlT_E0_NS1_11comp_targetILNS1_3genE10ELNS1_11target_archE1200ELNS1_3gpuE4ELNS1_3repE0EEENS1_30default_config_static_selectorELNS0_4arch9wavefront6targetE1EEEvSR_.uses_flat_scratch, 0
	.set _ZN7rocprim17ROCPRIM_400000_NS6detail17trampoline_kernelINS0_14default_configENS1_22reduce_config_selectorIlEEZNS1_11reduce_implILb1ES3_N6thrust23THRUST_200600_302600_NS11hip_rocprim26transform_input_iterator_tIlPKhZN2at6native8ModeImplIbEclEPKbSI_EUlhE_EEPllNS8_4plusIlEEEE10hipError_tPvRmT1_T2_T3_mT4_P12ihipStream_tbEUlT_E0_NS1_11comp_targetILNS1_3genE10ELNS1_11target_archE1200ELNS1_3gpuE4ELNS1_3repE0EEENS1_30default_config_static_selectorELNS0_4arch9wavefront6targetE1EEEvSR_.has_dyn_sized_stack, 0
	.set _ZN7rocprim17ROCPRIM_400000_NS6detail17trampoline_kernelINS0_14default_configENS1_22reduce_config_selectorIlEEZNS1_11reduce_implILb1ES3_N6thrust23THRUST_200600_302600_NS11hip_rocprim26transform_input_iterator_tIlPKhZN2at6native8ModeImplIbEclEPKbSI_EUlhE_EEPllNS8_4plusIlEEEE10hipError_tPvRmT1_T2_T3_mT4_P12ihipStream_tbEUlT_E0_NS1_11comp_targetILNS1_3genE10ELNS1_11target_archE1200ELNS1_3gpuE4ELNS1_3repE0EEENS1_30default_config_static_selectorELNS0_4arch9wavefront6targetE1EEEvSR_.has_recursion, 0
	.set _ZN7rocprim17ROCPRIM_400000_NS6detail17trampoline_kernelINS0_14default_configENS1_22reduce_config_selectorIlEEZNS1_11reduce_implILb1ES3_N6thrust23THRUST_200600_302600_NS11hip_rocprim26transform_input_iterator_tIlPKhZN2at6native8ModeImplIbEclEPKbSI_EUlhE_EEPllNS8_4plusIlEEEE10hipError_tPvRmT1_T2_T3_mT4_P12ihipStream_tbEUlT_E0_NS1_11comp_targetILNS1_3genE10ELNS1_11target_archE1200ELNS1_3gpuE4ELNS1_3repE0EEENS1_30default_config_static_selectorELNS0_4arch9wavefront6targetE1EEEvSR_.has_indirect_call, 0
	.section	.AMDGPU.csdata,"",@progbits
; Kernel info:
; codeLenInByte = 0
; TotalNumSgprs: 4
; NumVgprs: 0
; ScratchSize: 0
; MemoryBound: 0
; FloatMode: 240
; IeeeMode: 1
; LDSByteSize: 0 bytes/workgroup (compile time only)
; SGPRBlocks: 0
; VGPRBlocks: 0
; NumSGPRsForWavesPerEU: 4
; NumVGPRsForWavesPerEU: 1
; Occupancy: 10
; WaveLimiterHint : 0
; COMPUTE_PGM_RSRC2:SCRATCH_EN: 0
; COMPUTE_PGM_RSRC2:USER_SGPR: 6
; COMPUTE_PGM_RSRC2:TRAP_HANDLER: 0
; COMPUTE_PGM_RSRC2:TGID_X_EN: 1
; COMPUTE_PGM_RSRC2:TGID_Y_EN: 0
; COMPUTE_PGM_RSRC2:TGID_Z_EN: 0
; COMPUTE_PGM_RSRC2:TIDIG_COMP_CNT: 0
	.section	.text._ZN7rocprim17ROCPRIM_400000_NS6detail17trampoline_kernelINS0_14default_configENS1_22reduce_config_selectorIlEEZNS1_11reduce_implILb1ES3_N6thrust23THRUST_200600_302600_NS11hip_rocprim26transform_input_iterator_tIlPKhZN2at6native8ModeImplIbEclEPKbSI_EUlhE_EEPllNS8_4plusIlEEEE10hipError_tPvRmT1_T2_T3_mT4_P12ihipStream_tbEUlT_E0_NS1_11comp_targetILNS1_3genE9ELNS1_11target_archE1100ELNS1_3gpuE3ELNS1_3repE0EEENS1_30default_config_static_selectorELNS0_4arch9wavefront6targetE1EEEvSR_,"axG",@progbits,_ZN7rocprim17ROCPRIM_400000_NS6detail17trampoline_kernelINS0_14default_configENS1_22reduce_config_selectorIlEEZNS1_11reduce_implILb1ES3_N6thrust23THRUST_200600_302600_NS11hip_rocprim26transform_input_iterator_tIlPKhZN2at6native8ModeImplIbEclEPKbSI_EUlhE_EEPllNS8_4plusIlEEEE10hipError_tPvRmT1_T2_T3_mT4_P12ihipStream_tbEUlT_E0_NS1_11comp_targetILNS1_3genE9ELNS1_11target_archE1100ELNS1_3gpuE3ELNS1_3repE0EEENS1_30default_config_static_selectorELNS0_4arch9wavefront6targetE1EEEvSR_,comdat
	.protected	_ZN7rocprim17ROCPRIM_400000_NS6detail17trampoline_kernelINS0_14default_configENS1_22reduce_config_selectorIlEEZNS1_11reduce_implILb1ES3_N6thrust23THRUST_200600_302600_NS11hip_rocprim26transform_input_iterator_tIlPKhZN2at6native8ModeImplIbEclEPKbSI_EUlhE_EEPllNS8_4plusIlEEEE10hipError_tPvRmT1_T2_T3_mT4_P12ihipStream_tbEUlT_E0_NS1_11comp_targetILNS1_3genE9ELNS1_11target_archE1100ELNS1_3gpuE3ELNS1_3repE0EEENS1_30default_config_static_selectorELNS0_4arch9wavefront6targetE1EEEvSR_ ; -- Begin function _ZN7rocprim17ROCPRIM_400000_NS6detail17trampoline_kernelINS0_14default_configENS1_22reduce_config_selectorIlEEZNS1_11reduce_implILb1ES3_N6thrust23THRUST_200600_302600_NS11hip_rocprim26transform_input_iterator_tIlPKhZN2at6native8ModeImplIbEclEPKbSI_EUlhE_EEPllNS8_4plusIlEEEE10hipError_tPvRmT1_T2_T3_mT4_P12ihipStream_tbEUlT_E0_NS1_11comp_targetILNS1_3genE9ELNS1_11target_archE1100ELNS1_3gpuE3ELNS1_3repE0EEENS1_30default_config_static_selectorELNS0_4arch9wavefront6targetE1EEEvSR_
	.globl	_ZN7rocprim17ROCPRIM_400000_NS6detail17trampoline_kernelINS0_14default_configENS1_22reduce_config_selectorIlEEZNS1_11reduce_implILb1ES3_N6thrust23THRUST_200600_302600_NS11hip_rocprim26transform_input_iterator_tIlPKhZN2at6native8ModeImplIbEclEPKbSI_EUlhE_EEPllNS8_4plusIlEEEE10hipError_tPvRmT1_T2_T3_mT4_P12ihipStream_tbEUlT_E0_NS1_11comp_targetILNS1_3genE9ELNS1_11target_archE1100ELNS1_3gpuE3ELNS1_3repE0EEENS1_30default_config_static_selectorELNS0_4arch9wavefront6targetE1EEEvSR_
	.p2align	8
	.type	_ZN7rocprim17ROCPRIM_400000_NS6detail17trampoline_kernelINS0_14default_configENS1_22reduce_config_selectorIlEEZNS1_11reduce_implILb1ES3_N6thrust23THRUST_200600_302600_NS11hip_rocprim26transform_input_iterator_tIlPKhZN2at6native8ModeImplIbEclEPKbSI_EUlhE_EEPllNS8_4plusIlEEEE10hipError_tPvRmT1_T2_T3_mT4_P12ihipStream_tbEUlT_E0_NS1_11comp_targetILNS1_3genE9ELNS1_11target_archE1100ELNS1_3gpuE3ELNS1_3repE0EEENS1_30default_config_static_selectorELNS0_4arch9wavefront6targetE1EEEvSR_,@function
_ZN7rocprim17ROCPRIM_400000_NS6detail17trampoline_kernelINS0_14default_configENS1_22reduce_config_selectorIlEEZNS1_11reduce_implILb1ES3_N6thrust23THRUST_200600_302600_NS11hip_rocprim26transform_input_iterator_tIlPKhZN2at6native8ModeImplIbEclEPKbSI_EUlhE_EEPllNS8_4plusIlEEEE10hipError_tPvRmT1_T2_T3_mT4_P12ihipStream_tbEUlT_E0_NS1_11comp_targetILNS1_3genE9ELNS1_11target_archE1100ELNS1_3gpuE3ELNS1_3repE0EEENS1_30default_config_static_selectorELNS0_4arch9wavefront6targetE1EEEvSR_: ; @_ZN7rocprim17ROCPRIM_400000_NS6detail17trampoline_kernelINS0_14default_configENS1_22reduce_config_selectorIlEEZNS1_11reduce_implILb1ES3_N6thrust23THRUST_200600_302600_NS11hip_rocprim26transform_input_iterator_tIlPKhZN2at6native8ModeImplIbEclEPKbSI_EUlhE_EEPllNS8_4plusIlEEEE10hipError_tPvRmT1_T2_T3_mT4_P12ihipStream_tbEUlT_E0_NS1_11comp_targetILNS1_3genE9ELNS1_11target_archE1100ELNS1_3gpuE3ELNS1_3repE0EEENS1_30default_config_static_selectorELNS0_4arch9wavefront6targetE1EEEvSR_
; %bb.0:
	.section	.rodata,"a",@progbits
	.p2align	6, 0x0
	.amdhsa_kernel _ZN7rocprim17ROCPRIM_400000_NS6detail17trampoline_kernelINS0_14default_configENS1_22reduce_config_selectorIlEEZNS1_11reduce_implILb1ES3_N6thrust23THRUST_200600_302600_NS11hip_rocprim26transform_input_iterator_tIlPKhZN2at6native8ModeImplIbEclEPKbSI_EUlhE_EEPllNS8_4plusIlEEEE10hipError_tPvRmT1_T2_T3_mT4_P12ihipStream_tbEUlT_E0_NS1_11comp_targetILNS1_3genE9ELNS1_11target_archE1100ELNS1_3gpuE3ELNS1_3repE0EEENS1_30default_config_static_selectorELNS0_4arch9wavefront6targetE1EEEvSR_
		.amdhsa_group_segment_fixed_size 0
		.amdhsa_private_segment_fixed_size 0
		.amdhsa_kernarg_size 72
		.amdhsa_user_sgpr_count 6
		.amdhsa_user_sgpr_private_segment_buffer 1
		.amdhsa_user_sgpr_dispatch_ptr 0
		.amdhsa_user_sgpr_queue_ptr 0
		.amdhsa_user_sgpr_kernarg_segment_ptr 1
		.amdhsa_user_sgpr_dispatch_id 0
		.amdhsa_user_sgpr_flat_scratch_init 0
		.amdhsa_user_sgpr_private_segment_size 0
		.amdhsa_uses_dynamic_stack 0
		.amdhsa_system_sgpr_private_segment_wavefront_offset 0
		.amdhsa_system_sgpr_workgroup_id_x 1
		.amdhsa_system_sgpr_workgroup_id_y 0
		.amdhsa_system_sgpr_workgroup_id_z 0
		.amdhsa_system_sgpr_workgroup_info 0
		.amdhsa_system_vgpr_workitem_id 0
		.amdhsa_next_free_vgpr 1
		.amdhsa_next_free_sgpr 0
		.amdhsa_reserve_vcc 0
		.amdhsa_reserve_flat_scratch 0
		.amdhsa_float_round_mode_32 0
		.amdhsa_float_round_mode_16_64 0
		.amdhsa_float_denorm_mode_32 3
		.amdhsa_float_denorm_mode_16_64 3
		.amdhsa_dx10_clamp 1
		.amdhsa_ieee_mode 1
		.amdhsa_fp16_overflow 0
		.amdhsa_exception_fp_ieee_invalid_op 0
		.amdhsa_exception_fp_denorm_src 0
		.amdhsa_exception_fp_ieee_div_zero 0
		.amdhsa_exception_fp_ieee_overflow 0
		.amdhsa_exception_fp_ieee_underflow 0
		.amdhsa_exception_fp_ieee_inexact 0
		.amdhsa_exception_int_div_zero 0
	.end_amdhsa_kernel
	.section	.text._ZN7rocprim17ROCPRIM_400000_NS6detail17trampoline_kernelINS0_14default_configENS1_22reduce_config_selectorIlEEZNS1_11reduce_implILb1ES3_N6thrust23THRUST_200600_302600_NS11hip_rocprim26transform_input_iterator_tIlPKhZN2at6native8ModeImplIbEclEPKbSI_EUlhE_EEPllNS8_4plusIlEEEE10hipError_tPvRmT1_T2_T3_mT4_P12ihipStream_tbEUlT_E0_NS1_11comp_targetILNS1_3genE9ELNS1_11target_archE1100ELNS1_3gpuE3ELNS1_3repE0EEENS1_30default_config_static_selectorELNS0_4arch9wavefront6targetE1EEEvSR_,"axG",@progbits,_ZN7rocprim17ROCPRIM_400000_NS6detail17trampoline_kernelINS0_14default_configENS1_22reduce_config_selectorIlEEZNS1_11reduce_implILb1ES3_N6thrust23THRUST_200600_302600_NS11hip_rocprim26transform_input_iterator_tIlPKhZN2at6native8ModeImplIbEclEPKbSI_EUlhE_EEPllNS8_4plusIlEEEE10hipError_tPvRmT1_T2_T3_mT4_P12ihipStream_tbEUlT_E0_NS1_11comp_targetILNS1_3genE9ELNS1_11target_archE1100ELNS1_3gpuE3ELNS1_3repE0EEENS1_30default_config_static_selectorELNS0_4arch9wavefront6targetE1EEEvSR_,comdat
.Lfunc_end25:
	.size	_ZN7rocprim17ROCPRIM_400000_NS6detail17trampoline_kernelINS0_14default_configENS1_22reduce_config_selectorIlEEZNS1_11reduce_implILb1ES3_N6thrust23THRUST_200600_302600_NS11hip_rocprim26transform_input_iterator_tIlPKhZN2at6native8ModeImplIbEclEPKbSI_EUlhE_EEPllNS8_4plusIlEEEE10hipError_tPvRmT1_T2_T3_mT4_P12ihipStream_tbEUlT_E0_NS1_11comp_targetILNS1_3genE9ELNS1_11target_archE1100ELNS1_3gpuE3ELNS1_3repE0EEENS1_30default_config_static_selectorELNS0_4arch9wavefront6targetE1EEEvSR_, .Lfunc_end25-_ZN7rocprim17ROCPRIM_400000_NS6detail17trampoline_kernelINS0_14default_configENS1_22reduce_config_selectorIlEEZNS1_11reduce_implILb1ES3_N6thrust23THRUST_200600_302600_NS11hip_rocprim26transform_input_iterator_tIlPKhZN2at6native8ModeImplIbEclEPKbSI_EUlhE_EEPllNS8_4plusIlEEEE10hipError_tPvRmT1_T2_T3_mT4_P12ihipStream_tbEUlT_E0_NS1_11comp_targetILNS1_3genE9ELNS1_11target_archE1100ELNS1_3gpuE3ELNS1_3repE0EEENS1_30default_config_static_selectorELNS0_4arch9wavefront6targetE1EEEvSR_
                                        ; -- End function
	.set _ZN7rocprim17ROCPRIM_400000_NS6detail17trampoline_kernelINS0_14default_configENS1_22reduce_config_selectorIlEEZNS1_11reduce_implILb1ES3_N6thrust23THRUST_200600_302600_NS11hip_rocprim26transform_input_iterator_tIlPKhZN2at6native8ModeImplIbEclEPKbSI_EUlhE_EEPllNS8_4plusIlEEEE10hipError_tPvRmT1_T2_T3_mT4_P12ihipStream_tbEUlT_E0_NS1_11comp_targetILNS1_3genE9ELNS1_11target_archE1100ELNS1_3gpuE3ELNS1_3repE0EEENS1_30default_config_static_selectorELNS0_4arch9wavefront6targetE1EEEvSR_.num_vgpr, 0
	.set _ZN7rocprim17ROCPRIM_400000_NS6detail17trampoline_kernelINS0_14default_configENS1_22reduce_config_selectorIlEEZNS1_11reduce_implILb1ES3_N6thrust23THRUST_200600_302600_NS11hip_rocprim26transform_input_iterator_tIlPKhZN2at6native8ModeImplIbEclEPKbSI_EUlhE_EEPllNS8_4plusIlEEEE10hipError_tPvRmT1_T2_T3_mT4_P12ihipStream_tbEUlT_E0_NS1_11comp_targetILNS1_3genE9ELNS1_11target_archE1100ELNS1_3gpuE3ELNS1_3repE0EEENS1_30default_config_static_selectorELNS0_4arch9wavefront6targetE1EEEvSR_.num_agpr, 0
	.set _ZN7rocprim17ROCPRIM_400000_NS6detail17trampoline_kernelINS0_14default_configENS1_22reduce_config_selectorIlEEZNS1_11reduce_implILb1ES3_N6thrust23THRUST_200600_302600_NS11hip_rocprim26transform_input_iterator_tIlPKhZN2at6native8ModeImplIbEclEPKbSI_EUlhE_EEPllNS8_4plusIlEEEE10hipError_tPvRmT1_T2_T3_mT4_P12ihipStream_tbEUlT_E0_NS1_11comp_targetILNS1_3genE9ELNS1_11target_archE1100ELNS1_3gpuE3ELNS1_3repE0EEENS1_30default_config_static_selectorELNS0_4arch9wavefront6targetE1EEEvSR_.numbered_sgpr, 0
	.set _ZN7rocprim17ROCPRIM_400000_NS6detail17trampoline_kernelINS0_14default_configENS1_22reduce_config_selectorIlEEZNS1_11reduce_implILb1ES3_N6thrust23THRUST_200600_302600_NS11hip_rocprim26transform_input_iterator_tIlPKhZN2at6native8ModeImplIbEclEPKbSI_EUlhE_EEPllNS8_4plusIlEEEE10hipError_tPvRmT1_T2_T3_mT4_P12ihipStream_tbEUlT_E0_NS1_11comp_targetILNS1_3genE9ELNS1_11target_archE1100ELNS1_3gpuE3ELNS1_3repE0EEENS1_30default_config_static_selectorELNS0_4arch9wavefront6targetE1EEEvSR_.num_named_barrier, 0
	.set _ZN7rocprim17ROCPRIM_400000_NS6detail17trampoline_kernelINS0_14default_configENS1_22reduce_config_selectorIlEEZNS1_11reduce_implILb1ES3_N6thrust23THRUST_200600_302600_NS11hip_rocprim26transform_input_iterator_tIlPKhZN2at6native8ModeImplIbEclEPKbSI_EUlhE_EEPllNS8_4plusIlEEEE10hipError_tPvRmT1_T2_T3_mT4_P12ihipStream_tbEUlT_E0_NS1_11comp_targetILNS1_3genE9ELNS1_11target_archE1100ELNS1_3gpuE3ELNS1_3repE0EEENS1_30default_config_static_selectorELNS0_4arch9wavefront6targetE1EEEvSR_.private_seg_size, 0
	.set _ZN7rocprim17ROCPRIM_400000_NS6detail17trampoline_kernelINS0_14default_configENS1_22reduce_config_selectorIlEEZNS1_11reduce_implILb1ES3_N6thrust23THRUST_200600_302600_NS11hip_rocprim26transform_input_iterator_tIlPKhZN2at6native8ModeImplIbEclEPKbSI_EUlhE_EEPllNS8_4plusIlEEEE10hipError_tPvRmT1_T2_T3_mT4_P12ihipStream_tbEUlT_E0_NS1_11comp_targetILNS1_3genE9ELNS1_11target_archE1100ELNS1_3gpuE3ELNS1_3repE0EEENS1_30default_config_static_selectorELNS0_4arch9wavefront6targetE1EEEvSR_.uses_vcc, 0
	.set _ZN7rocprim17ROCPRIM_400000_NS6detail17trampoline_kernelINS0_14default_configENS1_22reduce_config_selectorIlEEZNS1_11reduce_implILb1ES3_N6thrust23THRUST_200600_302600_NS11hip_rocprim26transform_input_iterator_tIlPKhZN2at6native8ModeImplIbEclEPKbSI_EUlhE_EEPllNS8_4plusIlEEEE10hipError_tPvRmT1_T2_T3_mT4_P12ihipStream_tbEUlT_E0_NS1_11comp_targetILNS1_3genE9ELNS1_11target_archE1100ELNS1_3gpuE3ELNS1_3repE0EEENS1_30default_config_static_selectorELNS0_4arch9wavefront6targetE1EEEvSR_.uses_flat_scratch, 0
	.set _ZN7rocprim17ROCPRIM_400000_NS6detail17trampoline_kernelINS0_14default_configENS1_22reduce_config_selectorIlEEZNS1_11reduce_implILb1ES3_N6thrust23THRUST_200600_302600_NS11hip_rocprim26transform_input_iterator_tIlPKhZN2at6native8ModeImplIbEclEPKbSI_EUlhE_EEPllNS8_4plusIlEEEE10hipError_tPvRmT1_T2_T3_mT4_P12ihipStream_tbEUlT_E0_NS1_11comp_targetILNS1_3genE9ELNS1_11target_archE1100ELNS1_3gpuE3ELNS1_3repE0EEENS1_30default_config_static_selectorELNS0_4arch9wavefront6targetE1EEEvSR_.has_dyn_sized_stack, 0
	.set _ZN7rocprim17ROCPRIM_400000_NS6detail17trampoline_kernelINS0_14default_configENS1_22reduce_config_selectorIlEEZNS1_11reduce_implILb1ES3_N6thrust23THRUST_200600_302600_NS11hip_rocprim26transform_input_iterator_tIlPKhZN2at6native8ModeImplIbEclEPKbSI_EUlhE_EEPllNS8_4plusIlEEEE10hipError_tPvRmT1_T2_T3_mT4_P12ihipStream_tbEUlT_E0_NS1_11comp_targetILNS1_3genE9ELNS1_11target_archE1100ELNS1_3gpuE3ELNS1_3repE0EEENS1_30default_config_static_selectorELNS0_4arch9wavefront6targetE1EEEvSR_.has_recursion, 0
	.set _ZN7rocprim17ROCPRIM_400000_NS6detail17trampoline_kernelINS0_14default_configENS1_22reduce_config_selectorIlEEZNS1_11reduce_implILb1ES3_N6thrust23THRUST_200600_302600_NS11hip_rocprim26transform_input_iterator_tIlPKhZN2at6native8ModeImplIbEclEPKbSI_EUlhE_EEPllNS8_4plusIlEEEE10hipError_tPvRmT1_T2_T3_mT4_P12ihipStream_tbEUlT_E0_NS1_11comp_targetILNS1_3genE9ELNS1_11target_archE1100ELNS1_3gpuE3ELNS1_3repE0EEENS1_30default_config_static_selectorELNS0_4arch9wavefront6targetE1EEEvSR_.has_indirect_call, 0
	.section	.AMDGPU.csdata,"",@progbits
; Kernel info:
; codeLenInByte = 0
; TotalNumSgprs: 4
; NumVgprs: 0
; ScratchSize: 0
; MemoryBound: 0
; FloatMode: 240
; IeeeMode: 1
; LDSByteSize: 0 bytes/workgroup (compile time only)
; SGPRBlocks: 0
; VGPRBlocks: 0
; NumSGPRsForWavesPerEU: 4
; NumVGPRsForWavesPerEU: 1
; Occupancy: 10
; WaveLimiterHint : 0
; COMPUTE_PGM_RSRC2:SCRATCH_EN: 0
; COMPUTE_PGM_RSRC2:USER_SGPR: 6
; COMPUTE_PGM_RSRC2:TRAP_HANDLER: 0
; COMPUTE_PGM_RSRC2:TGID_X_EN: 1
; COMPUTE_PGM_RSRC2:TGID_Y_EN: 0
; COMPUTE_PGM_RSRC2:TGID_Z_EN: 0
; COMPUTE_PGM_RSRC2:TIDIG_COMP_CNT: 0
	.section	.text._ZN7rocprim17ROCPRIM_400000_NS6detail17trampoline_kernelINS0_14default_configENS1_22reduce_config_selectorIlEEZNS1_11reduce_implILb1ES3_N6thrust23THRUST_200600_302600_NS11hip_rocprim26transform_input_iterator_tIlPKhZN2at6native8ModeImplIbEclEPKbSI_EUlhE_EEPllNS8_4plusIlEEEE10hipError_tPvRmT1_T2_T3_mT4_P12ihipStream_tbEUlT_E0_NS1_11comp_targetILNS1_3genE8ELNS1_11target_archE1030ELNS1_3gpuE2ELNS1_3repE0EEENS1_30default_config_static_selectorELNS0_4arch9wavefront6targetE1EEEvSR_,"axG",@progbits,_ZN7rocprim17ROCPRIM_400000_NS6detail17trampoline_kernelINS0_14default_configENS1_22reduce_config_selectorIlEEZNS1_11reduce_implILb1ES3_N6thrust23THRUST_200600_302600_NS11hip_rocprim26transform_input_iterator_tIlPKhZN2at6native8ModeImplIbEclEPKbSI_EUlhE_EEPllNS8_4plusIlEEEE10hipError_tPvRmT1_T2_T3_mT4_P12ihipStream_tbEUlT_E0_NS1_11comp_targetILNS1_3genE8ELNS1_11target_archE1030ELNS1_3gpuE2ELNS1_3repE0EEENS1_30default_config_static_selectorELNS0_4arch9wavefront6targetE1EEEvSR_,comdat
	.protected	_ZN7rocprim17ROCPRIM_400000_NS6detail17trampoline_kernelINS0_14default_configENS1_22reduce_config_selectorIlEEZNS1_11reduce_implILb1ES3_N6thrust23THRUST_200600_302600_NS11hip_rocprim26transform_input_iterator_tIlPKhZN2at6native8ModeImplIbEclEPKbSI_EUlhE_EEPllNS8_4plusIlEEEE10hipError_tPvRmT1_T2_T3_mT4_P12ihipStream_tbEUlT_E0_NS1_11comp_targetILNS1_3genE8ELNS1_11target_archE1030ELNS1_3gpuE2ELNS1_3repE0EEENS1_30default_config_static_selectorELNS0_4arch9wavefront6targetE1EEEvSR_ ; -- Begin function _ZN7rocprim17ROCPRIM_400000_NS6detail17trampoline_kernelINS0_14default_configENS1_22reduce_config_selectorIlEEZNS1_11reduce_implILb1ES3_N6thrust23THRUST_200600_302600_NS11hip_rocprim26transform_input_iterator_tIlPKhZN2at6native8ModeImplIbEclEPKbSI_EUlhE_EEPllNS8_4plusIlEEEE10hipError_tPvRmT1_T2_T3_mT4_P12ihipStream_tbEUlT_E0_NS1_11comp_targetILNS1_3genE8ELNS1_11target_archE1030ELNS1_3gpuE2ELNS1_3repE0EEENS1_30default_config_static_selectorELNS0_4arch9wavefront6targetE1EEEvSR_
	.globl	_ZN7rocprim17ROCPRIM_400000_NS6detail17trampoline_kernelINS0_14default_configENS1_22reduce_config_selectorIlEEZNS1_11reduce_implILb1ES3_N6thrust23THRUST_200600_302600_NS11hip_rocprim26transform_input_iterator_tIlPKhZN2at6native8ModeImplIbEclEPKbSI_EUlhE_EEPllNS8_4plusIlEEEE10hipError_tPvRmT1_T2_T3_mT4_P12ihipStream_tbEUlT_E0_NS1_11comp_targetILNS1_3genE8ELNS1_11target_archE1030ELNS1_3gpuE2ELNS1_3repE0EEENS1_30default_config_static_selectorELNS0_4arch9wavefront6targetE1EEEvSR_
	.p2align	8
	.type	_ZN7rocprim17ROCPRIM_400000_NS6detail17trampoline_kernelINS0_14default_configENS1_22reduce_config_selectorIlEEZNS1_11reduce_implILb1ES3_N6thrust23THRUST_200600_302600_NS11hip_rocprim26transform_input_iterator_tIlPKhZN2at6native8ModeImplIbEclEPKbSI_EUlhE_EEPllNS8_4plusIlEEEE10hipError_tPvRmT1_T2_T3_mT4_P12ihipStream_tbEUlT_E0_NS1_11comp_targetILNS1_3genE8ELNS1_11target_archE1030ELNS1_3gpuE2ELNS1_3repE0EEENS1_30default_config_static_selectorELNS0_4arch9wavefront6targetE1EEEvSR_,@function
_ZN7rocprim17ROCPRIM_400000_NS6detail17trampoline_kernelINS0_14default_configENS1_22reduce_config_selectorIlEEZNS1_11reduce_implILb1ES3_N6thrust23THRUST_200600_302600_NS11hip_rocprim26transform_input_iterator_tIlPKhZN2at6native8ModeImplIbEclEPKbSI_EUlhE_EEPllNS8_4plusIlEEEE10hipError_tPvRmT1_T2_T3_mT4_P12ihipStream_tbEUlT_E0_NS1_11comp_targetILNS1_3genE8ELNS1_11target_archE1030ELNS1_3gpuE2ELNS1_3repE0EEENS1_30default_config_static_selectorELNS0_4arch9wavefront6targetE1EEEvSR_: ; @_ZN7rocprim17ROCPRIM_400000_NS6detail17trampoline_kernelINS0_14default_configENS1_22reduce_config_selectorIlEEZNS1_11reduce_implILb1ES3_N6thrust23THRUST_200600_302600_NS11hip_rocprim26transform_input_iterator_tIlPKhZN2at6native8ModeImplIbEclEPKbSI_EUlhE_EEPllNS8_4plusIlEEEE10hipError_tPvRmT1_T2_T3_mT4_P12ihipStream_tbEUlT_E0_NS1_11comp_targetILNS1_3genE8ELNS1_11target_archE1030ELNS1_3gpuE2ELNS1_3repE0EEENS1_30default_config_static_selectorELNS0_4arch9wavefront6targetE1EEEvSR_
; %bb.0:
	.section	.rodata,"a",@progbits
	.p2align	6, 0x0
	.amdhsa_kernel _ZN7rocprim17ROCPRIM_400000_NS6detail17trampoline_kernelINS0_14default_configENS1_22reduce_config_selectorIlEEZNS1_11reduce_implILb1ES3_N6thrust23THRUST_200600_302600_NS11hip_rocprim26transform_input_iterator_tIlPKhZN2at6native8ModeImplIbEclEPKbSI_EUlhE_EEPllNS8_4plusIlEEEE10hipError_tPvRmT1_T2_T3_mT4_P12ihipStream_tbEUlT_E0_NS1_11comp_targetILNS1_3genE8ELNS1_11target_archE1030ELNS1_3gpuE2ELNS1_3repE0EEENS1_30default_config_static_selectorELNS0_4arch9wavefront6targetE1EEEvSR_
		.amdhsa_group_segment_fixed_size 0
		.amdhsa_private_segment_fixed_size 0
		.amdhsa_kernarg_size 72
		.amdhsa_user_sgpr_count 6
		.amdhsa_user_sgpr_private_segment_buffer 1
		.amdhsa_user_sgpr_dispatch_ptr 0
		.amdhsa_user_sgpr_queue_ptr 0
		.amdhsa_user_sgpr_kernarg_segment_ptr 1
		.amdhsa_user_sgpr_dispatch_id 0
		.amdhsa_user_sgpr_flat_scratch_init 0
		.amdhsa_user_sgpr_private_segment_size 0
		.amdhsa_uses_dynamic_stack 0
		.amdhsa_system_sgpr_private_segment_wavefront_offset 0
		.amdhsa_system_sgpr_workgroup_id_x 1
		.amdhsa_system_sgpr_workgroup_id_y 0
		.amdhsa_system_sgpr_workgroup_id_z 0
		.amdhsa_system_sgpr_workgroup_info 0
		.amdhsa_system_vgpr_workitem_id 0
		.amdhsa_next_free_vgpr 1
		.amdhsa_next_free_sgpr 0
		.amdhsa_reserve_vcc 0
		.amdhsa_reserve_flat_scratch 0
		.amdhsa_float_round_mode_32 0
		.amdhsa_float_round_mode_16_64 0
		.amdhsa_float_denorm_mode_32 3
		.amdhsa_float_denorm_mode_16_64 3
		.amdhsa_dx10_clamp 1
		.amdhsa_ieee_mode 1
		.amdhsa_fp16_overflow 0
		.amdhsa_exception_fp_ieee_invalid_op 0
		.amdhsa_exception_fp_denorm_src 0
		.amdhsa_exception_fp_ieee_div_zero 0
		.amdhsa_exception_fp_ieee_overflow 0
		.amdhsa_exception_fp_ieee_underflow 0
		.amdhsa_exception_fp_ieee_inexact 0
		.amdhsa_exception_int_div_zero 0
	.end_amdhsa_kernel
	.section	.text._ZN7rocprim17ROCPRIM_400000_NS6detail17trampoline_kernelINS0_14default_configENS1_22reduce_config_selectorIlEEZNS1_11reduce_implILb1ES3_N6thrust23THRUST_200600_302600_NS11hip_rocprim26transform_input_iterator_tIlPKhZN2at6native8ModeImplIbEclEPKbSI_EUlhE_EEPllNS8_4plusIlEEEE10hipError_tPvRmT1_T2_T3_mT4_P12ihipStream_tbEUlT_E0_NS1_11comp_targetILNS1_3genE8ELNS1_11target_archE1030ELNS1_3gpuE2ELNS1_3repE0EEENS1_30default_config_static_selectorELNS0_4arch9wavefront6targetE1EEEvSR_,"axG",@progbits,_ZN7rocprim17ROCPRIM_400000_NS6detail17trampoline_kernelINS0_14default_configENS1_22reduce_config_selectorIlEEZNS1_11reduce_implILb1ES3_N6thrust23THRUST_200600_302600_NS11hip_rocprim26transform_input_iterator_tIlPKhZN2at6native8ModeImplIbEclEPKbSI_EUlhE_EEPllNS8_4plusIlEEEE10hipError_tPvRmT1_T2_T3_mT4_P12ihipStream_tbEUlT_E0_NS1_11comp_targetILNS1_3genE8ELNS1_11target_archE1030ELNS1_3gpuE2ELNS1_3repE0EEENS1_30default_config_static_selectorELNS0_4arch9wavefront6targetE1EEEvSR_,comdat
.Lfunc_end26:
	.size	_ZN7rocprim17ROCPRIM_400000_NS6detail17trampoline_kernelINS0_14default_configENS1_22reduce_config_selectorIlEEZNS1_11reduce_implILb1ES3_N6thrust23THRUST_200600_302600_NS11hip_rocprim26transform_input_iterator_tIlPKhZN2at6native8ModeImplIbEclEPKbSI_EUlhE_EEPllNS8_4plusIlEEEE10hipError_tPvRmT1_T2_T3_mT4_P12ihipStream_tbEUlT_E0_NS1_11comp_targetILNS1_3genE8ELNS1_11target_archE1030ELNS1_3gpuE2ELNS1_3repE0EEENS1_30default_config_static_selectorELNS0_4arch9wavefront6targetE1EEEvSR_, .Lfunc_end26-_ZN7rocprim17ROCPRIM_400000_NS6detail17trampoline_kernelINS0_14default_configENS1_22reduce_config_selectorIlEEZNS1_11reduce_implILb1ES3_N6thrust23THRUST_200600_302600_NS11hip_rocprim26transform_input_iterator_tIlPKhZN2at6native8ModeImplIbEclEPKbSI_EUlhE_EEPllNS8_4plusIlEEEE10hipError_tPvRmT1_T2_T3_mT4_P12ihipStream_tbEUlT_E0_NS1_11comp_targetILNS1_3genE8ELNS1_11target_archE1030ELNS1_3gpuE2ELNS1_3repE0EEENS1_30default_config_static_selectorELNS0_4arch9wavefront6targetE1EEEvSR_
                                        ; -- End function
	.set _ZN7rocprim17ROCPRIM_400000_NS6detail17trampoline_kernelINS0_14default_configENS1_22reduce_config_selectorIlEEZNS1_11reduce_implILb1ES3_N6thrust23THRUST_200600_302600_NS11hip_rocprim26transform_input_iterator_tIlPKhZN2at6native8ModeImplIbEclEPKbSI_EUlhE_EEPllNS8_4plusIlEEEE10hipError_tPvRmT1_T2_T3_mT4_P12ihipStream_tbEUlT_E0_NS1_11comp_targetILNS1_3genE8ELNS1_11target_archE1030ELNS1_3gpuE2ELNS1_3repE0EEENS1_30default_config_static_selectorELNS0_4arch9wavefront6targetE1EEEvSR_.num_vgpr, 0
	.set _ZN7rocprim17ROCPRIM_400000_NS6detail17trampoline_kernelINS0_14default_configENS1_22reduce_config_selectorIlEEZNS1_11reduce_implILb1ES3_N6thrust23THRUST_200600_302600_NS11hip_rocprim26transform_input_iterator_tIlPKhZN2at6native8ModeImplIbEclEPKbSI_EUlhE_EEPllNS8_4plusIlEEEE10hipError_tPvRmT1_T2_T3_mT4_P12ihipStream_tbEUlT_E0_NS1_11comp_targetILNS1_3genE8ELNS1_11target_archE1030ELNS1_3gpuE2ELNS1_3repE0EEENS1_30default_config_static_selectorELNS0_4arch9wavefront6targetE1EEEvSR_.num_agpr, 0
	.set _ZN7rocprim17ROCPRIM_400000_NS6detail17trampoline_kernelINS0_14default_configENS1_22reduce_config_selectorIlEEZNS1_11reduce_implILb1ES3_N6thrust23THRUST_200600_302600_NS11hip_rocprim26transform_input_iterator_tIlPKhZN2at6native8ModeImplIbEclEPKbSI_EUlhE_EEPllNS8_4plusIlEEEE10hipError_tPvRmT1_T2_T3_mT4_P12ihipStream_tbEUlT_E0_NS1_11comp_targetILNS1_3genE8ELNS1_11target_archE1030ELNS1_3gpuE2ELNS1_3repE0EEENS1_30default_config_static_selectorELNS0_4arch9wavefront6targetE1EEEvSR_.numbered_sgpr, 0
	.set _ZN7rocprim17ROCPRIM_400000_NS6detail17trampoline_kernelINS0_14default_configENS1_22reduce_config_selectorIlEEZNS1_11reduce_implILb1ES3_N6thrust23THRUST_200600_302600_NS11hip_rocprim26transform_input_iterator_tIlPKhZN2at6native8ModeImplIbEclEPKbSI_EUlhE_EEPllNS8_4plusIlEEEE10hipError_tPvRmT1_T2_T3_mT4_P12ihipStream_tbEUlT_E0_NS1_11comp_targetILNS1_3genE8ELNS1_11target_archE1030ELNS1_3gpuE2ELNS1_3repE0EEENS1_30default_config_static_selectorELNS0_4arch9wavefront6targetE1EEEvSR_.num_named_barrier, 0
	.set _ZN7rocprim17ROCPRIM_400000_NS6detail17trampoline_kernelINS0_14default_configENS1_22reduce_config_selectorIlEEZNS1_11reduce_implILb1ES3_N6thrust23THRUST_200600_302600_NS11hip_rocprim26transform_input_iterator_tIlPKhZN2at6native8ModeImplIbEclEPKbSI_EUlhE_EEPllNS8_4plusIlEEEE10hipError_tPvRmT1_T2_T3_mT4_P12ihipStream_tbEUlT_E0_NS1_11comp_targetILNS1_3genE8ELNS1_11target_archE1030ELNS1_3gpuE2ELNS1_3repE0EEENS1_30default_config_static_selectorELNS0_4arch9wavefront6targetE1EEEvSR_.private_seg_size, 0
	.set _ZN7rocprim17ROCPRIM_400000_NS6detail17trampoline_kernelINS0_14default_configENS1_22reduce_config_selectorIlEEZNS1_11reduce_implILb1ES3_N6thrust23THRUST_200600_302600_NS11hip_rocprim26transform_input_iterator_tIlPKhZN2at6native8ModeImplIbEclEPKbSI_EUlhE_EEPllNS8_4plusIlEEEE10hipError_tPvRmT1_T2_T3_mT4_P12ihipStream_tbEUlT_E0_NS1_11comp_targetILNS1_3genE8ELNS1_11target_archE1030ELNS1_3gpuE2ELNS1_3repE0EEENS1_30default_config_static_selectorELNS0_4arch9wavefront6targetE1EEEvSR_.uses_vcc, 0
	.set _ZN7rocprim17ROCPRIM_400000_NS6detail17trampoline_kernelINS0_14default_configENS1_22reduce_config_selectorIlEEZNS1_11reduce_implILb1ES3_N6thrust23THRUST_200600_302600_NS11hip_rocprim26transform_input_iterator_tIlPKhZN2at6native8ModeImplIbEclEPKbSI_EUlhE_EEPllNS8_4plusIlEEEE10hipError_tPvRmT1_T2_T3_mT4_P12ihipStream_tbEUlT_E0_NS1_11comp_targetILNS1_3genE8ELNS1_11target_archE1030ELNS1_3gpuE2ELNS1_3repE0EEENS1_30default_config_static_selectorELNS0_4arch9wavefront6targetE1EEEvSR_.uses_flat_scratch, 0
	.set _ZN7rocprim17ROCPRIM_400000_NS6detail17trampoline_kernelINS0_14default_configENS1_22reduce_config_selectorIlEEZNS1_11reduce_implILb1ES3_N6thrust23THRUST_200600_302600_NS11hip_rocprim26transform_input_iterator_tIlPKhZN2at6native8ModeImplIbEclEPKbSI_EUlhE_EEPllNS8_4plusIlEEEE10hipError_tPvRmT1_T2_T3_mT4_P12ihipStream_tbEUlT_E0_NS1_11comp_targetILNS1_3genE8ELNS1_11target_archE1030ELNS1_3gpuE2ELNS1_3repE0EEENS1_30default_config_static_selectorELNS0_4arch9wavefront6targetE1EEEvSR_.has_dyn_sized_stack, 0
	.set _ZN7rocprim17ROCPRIM_400000_NS6detail17trampoline_kernelINS0_14default_configENS1_22reduce_config_selectorIlEEZNS1_11reduce_implILb1ES3_N6thrust23THRUST_200600_302600_NS11hip_rocprim26transform_input_iterator_tIlPKhZN2at6native8ModeImplIbEclEPKbSI_EUlhE_EEPllNS8_4plusIlEEEE10hipError_tPvRmT1_T2_T3_mT4_P12ihipStream_tbEUlT_E0_NS1_11comp_targetILNS1_3genE8ELNS1_11target_archE1030ELNS1_3gpuE2ELNS1_3repE0EEENS1_30default_config_static_selectorELNS0_4arch9wavefront6targetE1EEEvSR_.has_recursion, 0
	.set _ZN7rocprim17ROCPRIM_400000_NS6detail17trampoline_kernelINS0_14default_configENS1_22reduce_config_selectorIlEEZNS1_11reduce_implILb1ES3_N6thrust23THRUST_200600_302600_NS11hip_rocprim26transform_input_iterator_tIlPKhZN2at6native8ModeImplIbEclEPKbSI_EUlhE_EEPllNS8_4plusIlEEEE10hipError_tPvRmT1_T2_T3_mT4_P12ihipStream_tbEUlT_E0_NS1_11comp_targetILNS1_3genE8ELNS1_11target_archE1030ELNS1_3gpuE2ELNS1_3repE0EEENS1_30default_config_static_selectorELNS0_4arch9wavefront6targetE1EEEvSR_.has_indirect_call, 0
	.section	.AMDGPU.csdata,"",@progbits
; Kernel info:
; codeLenInByte = 0
; TotalNumSgprs: 4
; NumVgprs: 0
; ScratchSize: 0
; MemoryBound: 0
; FloatMode: 240
; IeeeMode: 1
; LDSByteSize: 0 bytes/workgroup (compile time only)
; SGPRBlocks: 0
; VGPRBlocks: 0
; NumSGPRsForWavesPerEU: 4
; NumVGPRsForWavesPerEU: 1
; Occupancy: 10
; WaveLimiterHint : 0
; COMPUTE_PGM_RSRC2:SCRATCH_EN: 0
; COMPUTE_PGM_RSRC2:USER_SGPR: 6
; COMPUTE_PGM_RSRC2:TRAP_HANDLER: 0
; COMPUTE_PGM_RSRC2:TGID_X_EN: 1
; COMPUTE_PGM_RSRC2:TGID_Y_EN: 0
; COMPUTE_PGM_RSRC2:TGID_Z_EN: 0
; COMPUTE_PGM_RSRC2:TIDIG_COMP_CNT: 0
	.section	.text._ZN7rocprim17ROCPRIM_400000_NS6detail17trampoline_kernelINS0_14default_configENS1_22reduce_config_selectorIlEEZNS1_11reduce_implILb1ES3_N6thrust23THRUST_200600_302600_NS11hip_rocprim26transform_input_iterator_tIlPKhZN2at6native8ModeImplIbEclEPKbSI_EUlhE_EEPllNS8_4plusIlEEEE10hipError_tPvRmT1_T2_T3_mT4_P12ihipStream_tbEUlT_E1_NS1_11comp_targetILNS1_3genE0ELNS1_11target_archE4294967295ELNS1_3gpuE0ELNS1_3repE0EEENS1_30default_config_static_selectorELNS0_4arch9wavefront6targetE1EEEvSR_,"axG",@progbits,_ZN7rocprim17ROCPRIM_400000_NS6detail17trampoline_kernelINS0_14default_configENS1_22reduce_config_selectorIlEEZNS1_11reduce_implILb1ES3_N6thrust23THRUST_200600_302600_NS11hip_rocprim26transform_input_iterator_tIlPKhZN2at6native8ModeImplIbEclEPKbSI_EUlhE_EEPllNS8_4plusIlEEEE10hipError_tPvRmT1_T2_T3_mT4_P12ihipStream_tbEUlT_E1_NS1_11comp_targetILNS1_3genE0ELNS1_11target_archE4294967295ELNS1_3gpuE0ELNS1_3repE0EEENS1_30default_config_static_selectorELNS0_4arch9wavefront6targetE1EEEvSR_,comdat
	.protected	_ZN7rocprim17ROCPRIM_400000_NS6detail17trampoline_kernelINS0_14default_configENS1_22reduce_config_selectorIlEEZNS1_11reduce_implILb1ES3_N6thrust23THRUST_200600_302600_NS11hip_rocprim26transform_input_iterator_tIlPKhZN2at6native8ModeImplIbEclEPKbSI_EUlhE_EEPllNS8_4plusIlEEEE10hipError_tPvRmT1_T2_T3_mT4_P12ihipStream_tbEUlT_E1_NS1_11comp_targetILNS1_3genE0ELNS1_11target_archE4294967295ELNS1_3gpuE0ELNS1_3repE0EEENS1_30default_config_static_selectorELNS0_4arch9wavefront6targetE1EEEvSR_ ; -- Begin function _ZN7rocprim17ROCPRIM_400000_NS6detail17trampoline_kernelINS0_14default_configENS1_22reduce_config_selectorIlEEZNS1_11reduce_implILb1ES3_N6thrust23THRUST_200600_302600_NS11hip_rocprim26transform_input_iterator_tIlPKhZN2at6native8ModeImplIbEclEPKbSI_EUlhE_EEPllNS8_4plusIlEEEE10hipError_tPvRmT1_T2_T3_mT4_P12ihipStream_tbEUlT_E1_NS1_11comp_targetILNS1_3genE0ELNS1_11target_archE4294967295ELNS1_3gpuE0ELNS1_3repE0EEENS1_30default_config_static_selectorELNS0_4arch9wavefront6targetE1EEEvSR_
	.globl	_ZN7rocprim17ROCPRIM_400000_NS6detail17trampoline_kernelINS0_14default_configENS1_22reduce_config_selectorIlEEZNS1_11reduce_implILb1ES3_N6thrust23THRUST_200600_302600_NS11hip_rocprim26transform_input_iterator_tIlPKhZN2at6native8ModeImplIbEclEPKbSI_EUlhE_EEPllNS8_4plusIlEEEE10hipError_tPvRmT1_T2_T3_mT4_P12ihipStream_tbEUlT_E1_NS1_11comp_targetILNS1_3genE0ELNS1_11target_archE4294967295ELNS1_3gpuE0ELNS1_3repE0EEENS1_30default_config_static_selectorELNS0_4arch9wavefront6targetE1EEEvSR_
	.p2align	8
	.type	_ZN7rocprim17ROCPRIM_400000_NS6detail17trampoline_kernelINS0_14default_configENS1_22reduce_config_selectorIlEEZNS1_11reduce_implILb1ES3_N6thrust23THRUST_200600_302600_NS11hip_rocprim26transform_input_iterator_tIlPKhZN2at6native8ModeImplIbEclEPKbSI_EUlhE_EEPllNS8_4plusIlEEEE10hipError_tPvRmT1_T2_T3_mT4_P12ihipStream_tbEUlT_E1_NS1_11comp_targetILNS1_3genE0ELNS1_11target_archE4294967295ELNS1_3gpuE0ELNS1_3repE0EEENS1_30default_config_static_selectorELNS0_4arch9wavefront6targetE1EEEvSR_,@function
_ZN7rocprim17ROCPRIM_400000_NS6detail17trampoline_kernelINS0_14default_configENS1_22reduce_config_selectorIlEEZNS1_11reduce_implILb1ES3_N6thrust23THRUST_200600_302600_NS11hip_rocprim26transform_input_iterator_tIlPKhZN2at6native8ModeImplIbEclEPKbSI_EUlhE_EEPllNS8_4plusIlEEEE10hipError_tPvRmT1_T2_T3_mT4_P12ihipStream_tbEUlT_E1_NS1_11comp_targetILNS1_3genE0ELNS1_11target_archE4294967295ELNS1_3gpuE0ELNS1_3repE0EEENS1_30default_config_static_selectorELNS0_4arch9wavefront6targetE1EEEvSR_: ; @_ZN7rocprim17ROCPRIM_400000_NS6detail17trampoline_kernelINS0_14default_configENS1_22reduce_config_selectorIlEEZNS1_11reduce_implILb1ES3_N6thrust23THRUST_200600_302600_NS11hip_rocprim26transform_input_iterator_tIlPKhZN2at6native8ModeImplIbEclEPKbSI_EUlhE_EEPllNS8_4plusIlEEEE10hipError_tPvRmT1_T2_T3_mT4_P12ihipStream_tbEUlT_E1_NS1_11comp_targetILNS1_3genE0ELNS1_11target_archE4294967295ELNS1_3gpuE0ELNS1_3repE0EEENS1_30default_config_static_selectorELNS0_4arch9wavefront6targetE1EEEvSR_
; %bb.0:
	.section	.rodata,"a",@progbits
	.p2align	6, 0x0
	.amdhsa_kernel _ZN7rocprim17ROCPRIM_400000_NS6detail17trampoline_kernelINS0_14default_configENS1_22reduce_config_selectorIlEEZNS1_11reduce_implILb1ES3_N6thrust23THRUST_200600_302600_NS11hip_rocprim26transform_input_iterator_tIlPKhZN2at6native8ModeImplIbEclEPKbSI_EUlhE_EEPllNS8_4plusIlEEEE10hipError_tPvRmT1_T2_T3_mT4_P12ihipStream_tbEUlT_E1_NS1_11comp_targetILNS1_3genE0ELNS1_11target_archE4294967295ELNS1_3gpuE0ELNS1_3repE0EEENS1_30default_config_static_selectorELNS0_4arch9wavefront6targetE1EEEvSR_
		.amdhsa_group_segment_fixed_size 0
		.amdhsa_private_segment_fixed_size 0
		.amdhsa_kernarg_size 56
		.amdhsa_user_sgpr_count 6
		.amdhsa_user_sgpr_private_segment_buffer 1
		.amdhsa_user_sgpr_dispatch_ptr 0
		.amdhsa_user_sgpr_queue_ptr 0
		.amdhsa_user_sgpr_kernarg_segment_ptr 1
		.amdhsa_user_sgpr_dispatch_id 0
		.amdhsa_user_sgpr_flat_scratch_init 0
		.amdhsa_user_sgpr_private_segment_size 0
		.amdhsa_uses_dynamic_stack 0
		.amdhsa_system_sgpr_private_segment_wavefront_offset 0
		.amdhsa_system_sgpr_workgroup_id_x 1
		.amdhsa_system_sgpr_workgroup_id_y 0
		.amdhsa_system_sgpr_workgroup_id_z 0
		.amdhsa_system_sgpr_workgroup_info 0
		.amdhsa_system_vgpr_workitem_id 0
		.amdhsa_next_free_vgpr 1
		.amdhsa_next_free_sgpr 0
		.amdhsa_reserve_vcc 0
		.amdhsa_reserve_flat_scratch 0
		.amdhsa_float_round_mode_32 0
		.amdhsa_float_round_mode_16_64 0
		.amdhsa_float_denorm_mode_32 3
		.amdhsa_float_denorm_mode_16_64 3
		.amdhsa_dx10_clamp 1
		.amdhsa_ieee_mode 1
		.amdhsa_fp16_overflow 0
		.amdhsa_exception_fp_ieee_invalid_op 0
		.amdhsa_exception_fp_denorm_src 0
		.amdhsa_exception_fp_ieee_div_zero 0
		.amdhsa_exception_fp_ieee_overflow 0
		.amdhsa_exception_fp_ieee_underflow 0
		.amdhsa_exception_fp_ieee_inexact 0
		.amdhsa_exception_int_div_zero 0
	.end_amdhsa_kernel
	.section	.text._ZN7rocprim17ROCPRIM_400000_NS6detail17trampoline_kernelINS0_14default_configENS1_22reduce_config_selectorIlEEZNS1_11reduce_implILb1ES3_N6thrust23THRUST_200600_302600_NS11hip_rocprim26transform_input_iterator_tIlPKhZN2at6native8ModeImplIbEclEPKbSI_EUlhE_EEPllNS8_4plusIlEEEE10hipError_tPvRmT1_T2_T3_mT4_P12ihipStream_tbEUlT_E1_NS1_11comp_targetILNS1_3genE0ELNS1_11target_archE4294967295ELNS1_3gpuE0ELNS1_3repE0EEENS1_30default_config_static_selectorELNS0_4arch9wavefront6targetE1EEEvSR_,"axG",@progbits,_ZN7rocprim17ROCPRIM_400000_NS6detail17trampoline_kernelINS0_14default_configENS1_22reduce_config_selectorIlEEZNS1_11reduce_implILb1ES3_N6thrust23THRUST_200600_302600_NS11hip_rocprim26transform_input_iterator_tIlPKhZN2at6native8ModeImplIbEclEPKbSI_EUlhE_EEPllNS8_4plusIlEEEE10hipError_tPvRmT1_T2_T3_mT4_P12ihipStream_tbEUlT_E1_NS1_11comp_targetILNS1_3genE0ELNS1_11target_archE4294967295ELNS1_3gpuE0ELNS1_3repE0EEENS1_30default_config_static_selectorELNS0_4arch9wavefront6targetE1EEEvSR_,comdat
.Lfunc_end27:
	.size	_ZN7rocprim17ROCPRIM_400000_NS6detail17trampoline_kernelINS0_14default_configENS1_22reduce_config_selectorIlEEZNS1_11reduce_implILb1ES3_N6thrust23THRUST_200600_302600_NS11hip_rocprim26transform_input_iterator_tIlPKhZN2at6native8ModeImplIbEclEPKbSI_EUlhE_EEPllNS8_4plusIlEEEE10hipError_tPvRmT1_T2_T3_mT4_P12ihipStream_tbEUlT_E1_NS1_11comp_targetILNS1_3genE0ELNS1_11target_archE4294967295ELNS1_3gpuE0ELNS1_3repE0EEENS1_30default_config_static_selectorELNS0_4arch9wavefront6targetE1EEEvSR_, .Lfunc_end27-_ZN7rocprim17ROCPRIM_400000_NS6detail17trampoline_kernelINS0_14default_configENS1_22reduce_config_selectorIlEEZNS1_11reduce_implILb1ES3_N6thrust23THRUST_200600_302600_NS11hip_rocprim26transform_input_iterator_tIlPKhZN2at6native8ModeImplIbEclEPKbSI_EUlhE_EEPllNS8_4plusIlEEEE10hipError_tPvRmT1_T2_T3_mT4_P12ihipStream_tbEUlT_E1_NS1_11comp_targetILNS1_3genE0ELNS1_11target_archE4294967295ELNS1_3gpuE0ELNS1_3repE0EEENS1_30default_config_static_selectorELNS0_4arch9wavefront6targetE1EEEvSR_
                                        ; -- End function
	.set _ZN7rocprim17ROCPRIM_400000_NS6detail17trampoline_kernelINS0_14default_configENS1_22reduce_config_selectorIlEEZNS1_11reduce_implILb1ES3_N6thrust23THRUST_200600_302600_NS11hip_rocprim26transform_input_iterator_tIlPKhZN2at6native8ModeImplIbEclEPKbSI_EUlhE_EEPllNS8_4plusIlEEEE10hipError_tPvRmT1_T2_T3_mT4_P12ihipStream_tbEUlT_E1_NS1_11comp_targetILNS1_3genE0ELNS1_11target_archE4294967295ELNS1_3gpuE0ELNS1_3repE0EEENS1_30default_config_static_selectorELNS0_4arch9wavefront6targetE1EEEvSR_.num_vgpr, 0
	.set _ZN7rocprim17ROCPRIM_400000_NS6detail17trampoline_kernelINS0_14default_configENS1_22reduce_config_selectorIlEEZNS1_11reduce_implILb1ES3_N6thrust23THRUST_200600_302600_NS11hip_rocprim26transform_input_iterator_tIlPKhZN2at6native8ModeImplIbEclEPKbSI_EUlhE_EEPllNS8_4plusIlEEEE10hipError_tPvRmT1_T2_T3_mT4_P12ihipStream_tbEUlT_E1_NS1_11comp_targetILNS1_3genE0ELNS1_11target_archE4294967295ELNS1_3gpuE0ELNS1_3repE0EEENS1_30default_config_static_selectorELNS0_4arch9wavefront6targetE1EEEvSR_.num_agpr, 0
	.set _ZN7rocprim17ROCPRIM_400000_NS6detail17trampoline_kernelINS0_14default_configENS1_22reduce_config_selectorIlEEZNS1_11reduce_implILb1ES3_N6thrust23THRUST_200600_302600_NS11hip_rocprim26transform_input_iterator_tIlPKhZN2at6native8ModeImplIbEclEPKbSI_EUlhE_EEPllNS8_4plusIlEEEE10hipError_tPvRmT1_T2_T3_mT4_P12ihipStream_tbEUlT_E1_NS1_11comp_targetILNS1_3genE0ELNS1_11target_archE4294967295ELNS1_3gpuE0ELNS1_3repE0EEENS1_30default_config_static_selectorELNS0_4arch9wavefront6targetE1EEEvSR_.numbered_sgpr, 0
	.set _ZN7rocprim17ROCPRIM_400000_NS6detail17trampoline_kernelINS0_14default_configENS1_22reduce_config_selectorIlEEZNS1_11reduce_implILb1ES3_N6thrust23THRUST_200600_302600_NS11hip_rocprim26transform_input_iterator_tIlPKhZN2at6native8ModeImplIbEclEPKbSI_EUlhE_EEPllNS8_4plusIlEEEE10hipError_tPvRmT1_T2_T3_mT4_P12ihipStream_tbEUlT_E1_NS1_11comp_targetILNS1_3genE0ELNS1_11target_archE4294967295ELNS1_3gpuE0ELNS1_3repE0EEENS1_30default_config_static_selectorELNS0_4arch9wavefront6targetE1EEEvSR_.num_named_barrier, 0
	.set _ZN7rocprim17ROCPRIM_400000_NS6detail17trampoline_kernelINS0_14default_configENS1_22reduce_config_selectorIlEEZNS1_11reduce_implILb1ES3_N6thrust23THRUST_200600_302600_NS11hip_rocprim26transform_input_iterator_tIlPKhZN2at6native8ModeImplIbEclEPKbSI_EUlhE_EEPllNS8_4plusIlEEEE10hipError_tPvRmT1_T2_T3_mT4_P12ihipStream_tbEUlT_E1_NS1_11comp_targetILNS1_3genE0ELNS1_11target_archE4294967295ELNS1_3gpuE0ELNS1_3repE0EEENS1_30default_config_static_selectorELNS0_4arch9wavefront6targetE1EEEvSR_.private_seg_size, 0
	.set _ZN7rocprim17ROCPRIM_400000_NS6detail17trampoline_kernelINS0_14default_configENS1_22reduce_config_selectorIlEEZNS1_11reduce_implILb1ES3_N6thrust23THRUST_200600_302600_NS11hip_rocprim26transform_input_iterator_tIlPKhZN2at6native8ModeImplIbEclEPKbSI_EUlhE_EEPllNS8_4plusIlEEEE10hipError_tPvRmT1_T2_T3_mT4_P12ihipStream_tbEUlT_E1_NS1_11comp_targetILNS1_3genE0ELNS1_11target_archE4294967295ELNS1_3gpuE0ELNS1_3repE0EEENS1_30default_config_static_selectorELNS0_4arch9wavefront6targetE1EEEvSR_.uses_vcc, 0
	.set _ZN7rocprim17ROCPRIM_400000_NS6detail17trampoline_kernelINS0_14default_configENS1_22reduce_config_selectorIlEEZNS1_11reduce_implILb1ES3_N6thrust23THRUST_200600_302600_NS11hip_rocprim26transform_input_iterator_tIlPKhZN2at6native8ModeImplIbEclEPKbSI_EUlhE_EEPllNS8_4plusIlEEEE10hipError_tPvRmT1_T2_T3_mT4_P12ihipStream_tbEUlT_E1_NS1_11comp_targetILNS1_3genE0ELNS1_11target_archE4294967295ELNS1_3gpuE0ELNS1_3repE0EEENS1_30default_config_static_selectorELNS0_4arch9wavefront6targetE1EEEvSR_.uses_flat_scratch, 0
	.set _ZN7rocprim17ROCPRIM_400000_NS6detail17trampoline_kernelINS0_14default_configENS1_22reduce_config_selectorIlEEZNS1_11reduce_implILb1ES3_N6thrust23THRUST_200600_302600_NS11hip_rocprim26transform_input_iterator_tIlPKhZN2at6native8ModeImplIbEclEPKbSI_EUlhE_EEPllNS8_4plusIlEEEE10hipError_tPvRmT1_T2_T3_mT4_P12ihipStream_tbEUlT_E1_NS1_11comp_targetILNS1_3genE0ELNS1_11target_archE4294967295ELNS1_3gpuE0ELNS1_3repE0EEENS1_30default_config_static_selectorELNS0_4arch9wavefront6targetE1EEEvSR_.has_dyn_sized_stack, 0
	.set _ZN7rocprim17ROCPRIM_400000_NS6detail17trampoline_kernelINS0_14default_configENS1_22reduce_config_selectorIlEEZNS1_11reduce_implILb1ES3_N6thrust23THRUST_200600_302600_NS11hip_rocprim26transform_input_iterator_tIlPKhZN2at6native8ModeImplIbEclEPKbSI_EUlhE_EEPllNS8_4plusIlEEEE10hipError_tPvRmT1_T2_T3_mT4_P12ihipStream_tbEUlT_E1_NS1_11comp_targetILNS1_3genE0ELNS1_11target_archE4294967295ELNS1_3gpuE0ELNS1_3repE0EEENS1_30default_config_static_selectorELNS0_4arch9wavefront6targetE1EEEvSR_.has_recursion, 0
	.set _ZN7rocprim17ROCPRIM_400000_NS6detail17trampoline_kernelINS0_14default_configENS1_22reduce_config_selectorIlEEZNS1_11reduce_implILb1ES3_N6thrust23THRUST_200600_302600_NS11hip_rocprim26transform_input_iterator_tIlPKhZN2at6native8ModeImplIbEclEPKbSI_EUlhE_EEPllNS8_4plusIlEEEE10hipError_tPvRmT1_T2_T3_mT4_P12ihipStream_tbEUlT_E1_NS1_11comp_targetILNS1_3genE0ELNS1_11target_archE4294967295ELNS1_3gpuE0ELNS1_3repE0EEENS1_30default_config_static_selectorELNS0_4arch9wavefront6targetE1EEEvSR_.has_indirect_call, 0
	.section	.AMDGPU.csdata,"",@progbits
; Kernel info:
; codeLenInByte = 0
; TotalNumSgprs: 4
; NumVgprs: 0
; ScratchSize: 0
; MemoryBound: 0
; FloatMode: 240
; IeeeMode: 1
; LDSByteSize: 0 bytes/workgroup (compile time only)
; SGPRBlocks: 0
; VGPRBlocks: 0
; NumSGPRsForWavesPerEU: 4
; NumVGPRsForWavesPerEU: 1
; Occupancy: 10
; WaveLimiterHint : 0
; COMPUTE_PGM_RSRC2:SCRATCH_EN: 0
; COMPUTE_PGM_RSRC2:USER_SGPR: 6
; COMPUTE_PGM_RSRC2:TRAP_HANDLER: 0
; COMPUTE_PGM_RSRC2:TGID_X_EN: 1
; COMPUTE_PGM_RSRC2:TGID_Y_EN: 0
; COMPUTE_PGM_RSRC2:TGID_Z_EN: 0
; COMPUTE_PGM_RSRC2:TIDIG_COMP_CNT: 0
	.section	.text._ZN7rocprim17ROCPRIM_400000_NS6detail17trampoline_kernelINS0_14default_configENS1_22reduce_config_selectorIlEEZNS1_11reduce_implILb1ES3_N6thrust23THRUST_200600_302600_NS11hip_rocprim26transform_input_iterator_tIlPKhZN2at6native8ModeImplIbEclEPKbSI_EUlhE_EEPllNS8_4plusIlEEEE10hipError_tPvRmT1_T2_T3_mT4_P12ihipStream_tbEUlT_E1_NS1_11comp_targetILNS1_3genE5ELNS1_11target_archE942ELNS1_3gpuE9ELNS1_3repE0EEENS1_30default_config_static_selectorELNS0_4arch9wavefront6targetE1EEEvSR_,"axG",@progbits,_ZN7rocprim17ROCPRIM_400000_NS6detail17trampoline_kernelINS0_14default_configENS1_22reduce_config_selectorIlEEZNS1_11reduce_implILb1ES3_N6thrust23THRUST_200600_302600_NS11hip_rocprim26transform_input_iterator_tIlPKhZN2at6native8ModeImplIbEclEPKbSI_EUlhE_EEPllNS8_4plusIlEEEE10hipError_tPvRmT1_T2_T3_mT4_P12ihipStream_tbEUlT_E1_NS1_11comp_targetILNS1_3genE5ELNS1_11target_archE942ELNS1_3gpuE9ELNS1_3repE0EEENS1_30default_config_static_selectorELNS0_4arch9wavefront6targetE1EEEvSR_,comdat
	.protected	_ZN7rocprim17ROCPRIM_400000_NS6detail17trampoline_kernelINS0_14default_configENS1_22reduce_config_selectorIlEEZNS1_11reduce_implILb1ES3_N6thrust23THRUST_200600_302600_NS11hip_rocprim26transform_input_iterator_tIlPKhZN2at6native8ModeImplIbEclEPKbSI_EUlhE_EEPllNS8_4plusIlEEEE10hipError_tPvRmT1_T2_T3_mT4_P12ihipStream_tbEUlT_E1_NS1_11comp_targetILNS1_3genE5ELNS1_11target_archE942ELNS1_3gpuE9ELNS1_3repE0EEENS1_30default_config_static_selectorELNS0_4arch9wavefront6targetE1EEEvSR_ ; -- Begin function _ZN7rocprim17ROCPRIM_400000_NS6detail17trampoline_kernelINS0_14default_configENS1_22reduce_config_selectorIlEEZNS1_11reduce_implILb1ES3_N6thrust23THRUST_200600_302600_NS11hip_rocprim26transform_input_iterator_tIlPKhZN2at6native8ModeImplIbEclEPKbSI_EUlhE_EEPllNS8_4plusIlEEEE10hipError_tPvRmT1_T2_T3_mT4_P12ihipStream_tbEUlT_E1_NS1_11comp_targetILNS1_3genE5ELNS1_11target_archE942ELNS1_3gpuE9ELNS1_3repE0EEENS1_30default_config_static_selectorELNS0_4arch9wavefront6targetE1EEEvSR_
	.globl	_ZN7rocprim17ROCPRIM_400000_NS6detail17trampoline_kernelINS0_14default_configENS1_22reduce_config_selectorIlEEZNS1_11reduce_implILb1ES3_N6thrust23THRUST_200600_302600_NS11hip_rocprim26transform_input_iterator_tIlPKhZN2at6native8ModeImplIbEclEPKbSI_EUlhE_EEPllNS8_4plusIlEEEE10hipError_tPvRmT1_T2_T3_mT4_P12ihipStream_tbEUlT_E1_NS1_11comp_targetILNS1_3genE5ELNS1_11target_archE942ELNS1_3gpuE9ELNS1_3repE0EEENS1_30default_config_static_selectorELNS0_4arch9wavefront6targetE1EEEvSR_
	.p2align	8
	.type	_ZN7rocprim17ROCPRIM_400000_NS6detail17trampoline_kernelINS0_14default_configENS1_22reduce_config_selectorIlEEZNS1_11reduce_implILb1ES3_N6thrust23THRUST_200600_302600_NS11hip_rocprim26transform_input_iterator_tIlPKhZN2at6native8ModeImplIbEclEPKbSI_EUlhE_EEPllNS8_4plusIlEEEE10hipError_tPvRmT1_T2_T3_mT4_P12ihipStream_tbEUlT_E1_NS1_11comp_targetILNS1_3genE5ELNS1_11target_archE942ELNS1_3gpuE9ELNS1_3repE0EEENS1_30default_config_static_selectorELNS0_4arch9wavefront6targetE1EEEvSR_,@function
_ZN7rocprim17ROCPRIM_400000_NS6detail17trampoline_kernelINS0_14default_configENS1_22reduce_config_selectorIlEEZNS1_11reduce_implILb1ES3_N6thrust23THRUST_200600_302600_NS11hip_rocprim26transform_input_iterator_tIlPKhZN2at6native8ModeImplIbEclEPKbSI_EUlhE_EEPllNS8_4plusIlEEEE10hipError_tPvRmT1_T2_T3_mT4_P12ihipStream_tbEUlT_E1_NS1_11comp_targetILNS1_3genE5ELNS1_11target_archE942ELNS1_3gpuE9ELNS1_3repE0EEENS1_30default_config_static_selectorELNS0_4arch9wavefront6targetE1EEEvSR_: ; @_ZN7rocprim17ROCPRIM_400000_NS6detail17trampoline_kernelINS0_14default_configENS1_22reduce_config_selectorIlEEZNS1_11reduce_implILb1ES3_N6thrust23THRUST_200600_302600_NS11hip_rocprim26transform_input_iterator_tIlPKhZN2at6native8ModeImplIbEclEPKbSI_EUlhE_EEPllNS8_4plusIlEEEE10hipError_tPvRmT1_T2_T3_mT4_P12ihipStream_tbEUlT_E1_NS1_11comp_targetILNS1_3genE5ELNS1_11target_archE942ELNS1_3gpuE9ELNS1_3repE0EEENS1_30default_config_static_selectorELNS0_4arch9wavefront6targetE1EEEvSR_
; %bb.0:
	.section	.rodata,"a",@progbits
	.p2align	6, 0x0
	.amdhsa_kernel _ZN7rocprim17ROCPRIM_400000_NS6detail17trampoline_kernelINS0_14default_configENS1_22reduce_config_selectorIlEEZNS1_11reduce_implILb1ES3_N6thrust23THRUST_200600_302600_NS11hip_rocprim26transform_input_iterator_tIlPKhZN2at6native8ModeImplIbEclEPKbSI_EUlhE_EEPllNS8_4plusIlEEEE10hipError_tPvRmT1_T2_T3_mT4_P12ihipStream_tbEUlT_E1_NS1_11comp_targetILNS1_3genE5ELNS1_11target_archE942ELNS1_3gpuE9ELNS1_3repE0EEENS1_30default_config_static_selectorELNS0_4arch9wavefront6targetE1EEEvSR_
		.amdhsa_group_segment_fixed_size 0
		.amdhsa_private_segment_fixed_size 0
		.amdhsa_kernarg_size 56
		.amdhsa_user_sgpr_count 6
		.amdhsa_user_sgpr_private_segment_buffer 1
		.amdhsa_user_sgpr_dispatch_ptr 0
		.amdhsa_user_sgpr_queue_ptr 0
		.amdhsa_user_sgpr_kernarg_segment_ptr 1
		.amdhsa_user_sgpr_dispatch_id 0
		.amdhsa_user_sgpr_flat_scratch_init 0
		.amdhsa_user_sgpr_private_segment_size 0
		.amdhsa_uses_dynamic_stack 0
		.amdhsa_system_sgpr_private_segment_wavefront_offset 0
		.amdhsa_system_sgpr_workgroup_id_x 1
		.amdhsa_system_sgpr_workgroup_id_y 0
		.amdhsa_system_sgpr_workgroup_id_z 0
		.amdhsa_system_sgpr_workgroup_info 0
		.amdhsa_system_vgpr_workitem_id 0
		.amdhsa_next_free_vgpr 1
		.amdhsa_next_free_sgpr 0
		.amdhsa_reserve_vcc 0
		.amdhsa_reserve_flat_scratch 0
		.amdhsa_float_round_mode_32 0
		.amdhsa_float_round_mode_16_64 0
		.amdhsa_float_denorm_mode_32 3
		.amdhsa_float_denorm_mode_16_64 3
		.amdhsa_dx10_clamp 1
		.amdhsa_ieee_mode 1
		.amdhsa_fp16_overflow 0
		.amdhsa_exception_fp_ieee_invalid_op 0
		.amdhsa_exception_fp_denorm_src 0
		.amdhsa_exception_fp_ieee_div_zero 0
		.amdhsa_exception_fp_ieee_overflow 0
		.amdhsa_exception_fp_ieee_underflow 0
		.amdhsa_exception_fp_ieee_inexact 0
		.amdhsa_exception_int_div_zero 0
	.end_amdhsa_kernel
	.section	.text._ZN7rocprim17ROCPRIM_400000_NS6detail17trampoline_kernelINS0_14default_configENS1_22reduce_config_selectorIlEEZNS1_11reduce_implILb1ES3_N6thrust23THRUST_200600_302600_NS11hip_rocprim26transform_input_iterator_tIlPKhZN2at6native8ModeImplIbEclEPKbSI_EUlhE_EEPllNS8_4plusIlEEEE10hipError_tPvRmT1_T2_T3_mT4_P12ihipStream_tbEUlT_E1_NS1_11comp_targetILNS1_3genE5ELNS1_11target_archE942ELNS1_3gpuE9ELNS1_3repE0EEENS1_30default_config_static_selectorELNS0_4arch9wavefront6targetE1EEEvSR_,"axG",@progbits,_ZN7rocprim17ROCPRIM_400000_NS6detail17trampoline_kernelINS0_14default_configENS1_22reduce_config_selectorIlEEZNS1_11reduce_implILb1ES3_N6thrust23THRUST_200600_302600_NS11hip_rocprim26transform_input_iterator_tIlPKhZN2at6native8ModeImplIbEclEPKbSI_EUlhE_EEPllNS8_4plusIlEEEE10hipError_tPvRmT1_T2_T3_mT4_P12ihipStream_tbEUlT_E1_NS1_11comp_targetILNS1_3genE5ELNS1_11target_archE942ELNS1_3gpuE9ELNS1_3repE0EEENS1_30default_config_static_selectorELNS0_4arch9wavefront6targetE1EEEvSR_,comdat
.Lfunc_end28:
	.size	_ZN7rocprim17ROCPRIM_400000_NS6detail17trampoline_kernelINS0_14default_configENS1_22reduce_config_selectorIlEEZNS1_11reduce_implILb1ES3_N6thrust23THRUST_200600_302600_NS11hip_rocprim26transform_input_iterator_tIlPKhZN2at6native8ModeImplIbEclEPKbSI_EUlhE_EEPllNS8_4plusIlEEEE10hipError_tPvRmT1_T2_T3_mT4_P12ihipStream_tbEUlT_E1_NS1_11comp_targetILNS1_3genE5ELNS1_11target_archE942ELNS1_3gpuE9ELNS1_3repE0EEENS1_30default_config_static_selectorELNS0_4arch9wavefront6targetE1EEEvSR_, .Lfunc_end28-_ZN7rocprim17ROCPRIM_400000_NS6detail17trampoline_kernelINS0_14default_configENS1_22reduce_config_selectorIlEEZNS1_11reduce_implILb1ES3_N6thrust23THRUST_200600_302600_NS11hip_rocprim26transform_input_iterator_tIlPKhZN2at6native8ModeImplIbEclEPKbSI_EUlhE_EEPllNS8_4plusIlEEEE10hipError_tPvRmT1_T2_T3_mT4_P12ihipStream_tbEUlT_E1_NS1_11comp_targetILNS1_3genE5ELNS1_11target_archE942ELNS1_3gpuE9ELNS1_3repE0EEENS1_30default_config_static_selectorELNS0_4arch9wavefront6targetE1EEEvSR_
                                        ; -- End function
	.set _ZN7rocprim17ROCPRIM_400000_NS6detail17trampoline_kernelINS0_14default_configENS1_22reduce_config_selectorIlEEZNS1_11reduce_implILb1ES3_N6thrust23THRUST_200600_302600_NS11hip_rocprim26transform_input_iterator_tIlPKhZN2at6native8ModeImplIbEclEPKbSI_EUlhE_EEPllNS8_4plusIlEEEE10hipError_tPvRmT1_T2_T3_mT4_P12ihipStream_tbEUlT_E1_NS1_11comp_targetILNS1_3genE5ELNS1_11target_archE942ELNS1_3gpuE9ELNS1_3repE0EEENS1_30default_config_static_selectorELNS0_4arch9wavefront6targetE1EEEvSR_.num_vgpr, 0
	.set _ZN7rocprim17ROCPRIM_400000_NS6detail17trampoline_kernelINS0_14default_configENS1_22reduce_config_selectorIlEEZNS1_11reduce_implILb1ES3_N6thrust23THRUST_200600_302600_NS11hip_rocprim26transform_input_iterator_tIlPKhZN2at6native8ModeImplIbEclEPKbSI_EUlhE_EEPllNS8_4plusIlEEEE10hipError_tPvRmT1_T2_T3_mT4_P12ihipStream_tbEUlT_E1_NS1_11comp_targetILNS1_3genE5ELNS1_11target_archE942ELNS1_3gpuE9ELNS1_3repE0EEENS1_30default_config_static_selectorELNS0_4arch9wavefront6targetE1EEEvSR_.num_agpr, 0
	.set _ZN7rocprim17ROCPRIM_400000_NS6detail17trampoline_kernelINS0_14default_configENS1_22reduce_config_selectorIlEEZNS1_11reduce_implILb1ES3_N6thrust23THRUST_200600_302600_NS11hip_rocprim26transform_input_iterator_tIlPKhZN2at6native8ModeImplIbEclEPKbSI_EUlhE_EEPllNS8_4plusIlEEEE10hipError_tPvRmT1_T2_T3_mT4_P12ihipStream_tbEUlT_E1_NS1_11comp_targetILNS1_3genE5ELNS1_11target_archE942ELNS1_3gpuE9ELNS1_3repE0EEENS1_30default_config_static_selectorELNS0_4arch9wavefront6targetE1EEEvSR_.numbered_sgpr, 0
	.set _ZN7rocprim17ROCPRIM_400000_NS6detail17trampoline_kernelINS0_14default_configENS1_22reduce_config_selectorIlEEZNS1_11reduce_implILb1ES3_N6thrust23THRUST_200600_302600_NS11hip_rocprim26transform_input_iterator_tIlPKhZN2at6native8ModeImplIbEclEPKbSI_EUlhE_EEPllNS8_4plusIlEEEE10hipError_tPvRmT1_T2_T3_mT4_P12ihipStream_tbEUlT_E1_NS1_11comp_targetILNS1_3genE5ELNS1_11target_archE942ELNS1_3gpuE9ELNS1_3repE0EEENS1_30default_config_static_selectorELNS0_4arch9wavefront6targetE1EEEvSR_.num_named_barrier, 0
	.set _ZN7rocprim17ROCPRIM_400000_NS6detail17trampoline_kernelINS0_14default_configENS1_22reduce_config_selectorIlEEZNS1_11reduce_implILb1ES3_N6thrust23THRUST_200600_302600_NS11hip_rocprim26transform_input_iterator_tIlPKhZN2at6native8ModeImplIbEclEPKbSI_EUlhE_EEPllNS8_4plusIlEEEE10hipError_tPvRmT1_T2_T3_mT4_P12ihipStream_tbEUlT_E1_NS1_11comp_targetILNS1_3genE5ELNS1_11target_archE942ELNS1_3gpuE9ELNS1_3repE0EEENS1_30default_config_static_selectorELNS0_4arch9wavefront6targetE1EEEvSR_.private_seg_size, 0
	.set _ZN7rocprim17ROCPRIM_400000_NS6detail17trampoline_kernelINS0_14default_configENS1_22reduce_config_selectorIlEEZNS1_11reduce_implILb1ES3_N6thrust23THRUST_200600_302600_NS11hip_rocprim26transform_input_iterator_tIlPKhZN2at6native8ModeImplIbEclEPKbSI_EUlhE_EEPllNS8_4plusIlEEEE10hipError_tPvRmT1_T2_T3_mT4_P12ihipStream_tbEUlT_E1_NS1_11comp_targetILNS1_3genE5ELNS1_11target_archE942ELNS1_3gpuE9ELNS1_3repE0EEENS1_30default_config_static_selectorELNS0_4arch9wavefront6targetE1EEEvSR_.uses_vcc, 0
	.set _ZN7rocprim17ROCPRIM_400000_NS6detail17trampoline_kernelINS0_14default_configENS1_22reduce_config_selectorIlEEZNS1_11reduce_implILb1ES3_N6thrust23THRUST_200600_302600_NS11hip_rocprim26transform_input_iterator_tIlPKhZN2at6native8ModeImplIbEclEPKbSI_EUlhE_EEPllNS8_4plusIlEEEE10hipError_tPvRmT1_T2_T3_mT4_P12ihipStream_tbEUlT_E1_NS1_11comp_targetILNS1_3genE5ELNS1_11target_archE942ELNS1_3gpuE9ELNS1_3repE0EEENS1_30default_config_static_selectorELNS0_4arch9wavefront6targetE1EEEvSR_.uses_flat_scratch, 0
	.set _ZN7rocprim17ROCPRIM_400000_NS6detail17trampoline_kernelINS0_14default_configENS1_22reduce_config_selectorIlEEZNS1_11reduce_implILb1ES3_N6thrust23THRUST_200600_302600_NS11hip_rocprim26transform_input_iterator_tIlPKhZN2at6native8ModeImplIbEclEPKbSI_EUlhE_EEPllNS8_4plusIlEEEE10hipError_tPvRmT1_T2_T3_mT4_P12ihipStream_tbEUlT_E1_NS1_11comp_targetILNS1_3genE5ELNS1_11target_archE942ELNS1_3gpuE9ELNS1_3repE0EEENS1_30default_config_static_selectorELNS0_4arch9wavefront6targetE1EEEvSR_.has_dyn_sized_stack, 0
	.set _ZN7rocprim17ROCPRIM_400000_NS6detail17trampoline_kernelINS0_14default_configENS1_22reduce_config_selectorIlEEZNS1_11reduce_implILb1ES3_N6thrust23THRUST_200600_302600_NS11hip_rocprim26transform_input_iterator_tIlPKhZN2at6native8ModeImplIbEclEPKbSI_EUlhE_EEPllNS8_4plusIlEEEE10hipError_tPvRmT1_T2_T3_mT4_P12ihipStream_tbEUlT_E1_NS1_11comp_targetILNS1_3genE5ELNS1_11target_archE942ELNS1_3gpuE9ELNS1_3repE0EEENS1_30default_config_static_selectorELNS0_4arch9wavefront6targetE1EEEvSR_.has_recursion, 0
	.set _ZN7rocprim17ROCPRIM_400000_NS6detail17trampoline_kernelINS0_14default_configENS1_22reduce_config_selectorIlEEZNS1_11reduce_implILb1ES3_N6thrust23THRUST_200600_302600_NS11hip_rocprim26transform_input_iterator_tIlPKhZN2at6native8ModeImplIbEclEPKbSI_EUlhE_EEPllNS8_4plusIlEEEE10hipError_tPvRmT1_T2_T3_mT4_P12ihipStream_tbEUlT_E1_NS1_11comp_targetILNS1_3genE5ELNS1_11target_archE942ELNS1_3gpuE9ELNS1_3repE0EEENS1_30default_config_static_selectorELNS0_4arch9wavefront6targetE1EEEvSR_.has_indirect_call, 0
	.section	.AMDGPU.csdata,"",@progbits
; Kernel info:
; codeLenInByte = 0
; TotalNumSgprs: 4
; NumVgprs: 0
; ScratchSize: 0
; MemoryBound: 0
; FloatMode: 240
; IeeeMode: 1
; LDSByteSize: 0 bytes/workgroup (compile time only)
; SGPRBlocks: 0
; VGPRBlocks: 0
; NumSGPRsForWavesPerEU: 4
; NumVGPRsForWavesPerEU: 1
; Occupancy: 10
; WaveLimiterHint : 0
; COMPUTE_PGM_RSRC2:SCRATCH_EN: 0
; COMPUTE_PGM_RSRC2:USER_SGPR: 6
; COMPUTE_PGM_RSRC2:TRAP_HANDLER: 0
; COMPUTE_PGM_RSRC2:TGID_X_EN: 1
; COMPUTE_PGM_RSRC2:TGID_Y_EN: 0
; COMPUTE_PGM_RSRC2:TGID_Z_EN: 0
; COMPUTE_PGM_RSRC2:TIDIG_COMP_CNT: 0
	.section	.text._ZN7rocprim17ROCPRIM_400000_NS6detail17trampoline_kernelINS0_14default_configENS1_22reduce_config_selectorIlEEZNS1_11reduce_implILb1ES3_N6thrust23THRUST_200600_302600_NS11hip_rocprim26transform_input_iterator_tIlPKhZN2at6native8ModeImplIbEclEPKbSI_EUlhE_EEPllNS8_4plusIlEEEE10hipError_tPvRmT1_T2_T3_mT4_P12ihipStream_tbEUlT_E1_NS1_11comp_targetILNS1_3genE4ELNS1_11target_archE910ELNS1_3gpuE8ELNS1_3repE0EEENS1_30default_config_static_selectorELNS0_4arch9wavefront6targetE1EEEvSR_,"axG",@progbits,_ZN7rocprim17ROCPRIM_400000_NS6detail17trampoline_kernelINS0_14default_configENS1_22reduce_config_selectorIlEEZNS1_11reduce_implILb1ES3_N6thrust23THRUST_200600_302600_NS11hip_rocprim26transform_input_iterator_tIlPKhZN2at6native8ModeImplIbEclEPKbSI_EUlhE_EEPllNS8_4plusIlEEEE10hipError_tPvRmT1_T2_T3_mT4_P12ihipStream_tbEUlT_E1_NS1_11comp_targetILNS1_3genE4ELNS1_11target_archE910ELNS1_3gpuE8ELNS1_3repE0EEENS1_30default_config_static_selectorELNS0_4arch9wavefront6targetE1EEEvSR_,comdat
	.protected	_ZN7rocprim17ROCPRIM_400000_NS6detail17trampoline_kernelINS0_14default_configENS1_22reduce_config_selectorIlEEZNS1_11reduce_implILb1ES3_N6thrust23THRUST_200600_302600_NS11hip_rocprim26transform_input_iterator_tIlPKhZN2at6native8ModeImplIbEclEPKbSI_EUlhE_EEPllNS8_4plusIlEEEE10hipError_tPvRmT1_T2_T3_mT4_P12ihipStream_tbEUlT_E1_NS1_11comp_targetILNS1_3genE4ELNS1_11target_archE910ELNS1_3gpuE8ELNS1_3repE0EEENS1_30default_config_static_selectorELNS0_4arch9wavefront6targetE1EEEvSR_ ; -- Begin function _ZN7rocprim17ROCPRIM_400000_NS6detail17trampoline_kernelINS0_14default_configENS1_22reduce_config_selectorIlEEZNS1_11reduce_implILb1ES3_N6thrust23THRUST_200600_302600_NS11hip_rocprim26transform_input_iterator_tIlPKhZN2at6native8ModeImplIbEclEPKbSI_EUlhE_EEPllNS8_4plusIlEEEE10hipError_tPvRmT1_T2_T3_mT4_P12ihipStream_tbEUlT_E1_NS1_11comp_targetILNS1_3genE4ELNS1_11target_archE910ELNS1_3gpuE8ELNS1_3repE0EEENS1_30default_config_static_selectorELNS0_4arch9wavefront6targetE1EEEvSR_
	.globl	_ZN7rocprim17ROCPRIM_400000_NS6detail17trampoline_kernelINS0_14default_configENS1_22reduce_config_selectorIlEEZNS1_11reduce_implILb1ES3_N6thrust23THRUST_200600_302600_NS11hip_rocprim26transform_input_iterator_tIlPKhZN2at6native8ModeImplIbEclEPKbSI_EUlhE_EEPllNS8_4plusIlEEEE10hipError_tPvRmT1_T2_T3_mT4_P12ihipStream_tbEUlT_E1_NS1_11comp_targetILNS1_3genE4ELNS1_11target_archE910ELNS1_3gpuE8ELNS1_3repE0EEENS1_30default_config_static_selectorELNS0_4arch9wavefront6targetE1EEEvSR_
	.p2align	8
	.type	_ZN7rocprim17ROCPRIM_400000_NS6detail17trampoline_kernelINS0_14default_configENS1_22reduce_config_selectorIlEEZNS1_11reduce_implILb1ES3_N6thrust23THRUST_200600_302600_NS11hip_rocprim26transform_input_iterator_tIlPKhZN2at6native8ModeImplIbEclEPKbSI_EUlhE_EEPllNS8_4plusIlEEEE10hipError_tPvRmT1_T2_T3_mT4_P12ihipStream_tbEUlT_E1_NS1_11comp_targetILNS1_3genE4ELNS1_11target_archE910ELNS1_3gpuE8ELNS1_3repE0EEENS1_30default_config_static_selectorELNS0_4arch9wavefront6targetE1EEEvSR_,@function
_ZN7rocprim17ROCPRIM_400000_NS6detail17trampoline_kernelINS0_14default_configENS1_22reduce_config_selectorIlEEZNS1_11reduce_implILb1ES3_N6thrust23THRUST_200600_302600_NS11hip_rocprim26transform_input_iterator_tIlPKhZN2at6native8ModeImplIbEclEPKbSI_EUlhE_EEPllNS8_4plusIlEEEE10hipError_tPvRmT1_T2_T3_mT4_P12ihipStream_tbEUlT_E1_NS1_11comp_targetILNS1_3genE4ELNS1_11target_archE910ELNS1_3gpuE8ELNS1_3repE0EEENS1_30default_config_static_selectorELNS0_4arch9wavefront6targetE1EEEvSR_: ; @_ZN7rocprim17ROCPRIM_400000_NS6detail17trampoline_kernelINS0_14default_configENS1_22reduce_config_selectorIlEEZNS1_11reduce_implILb1ES3_N6thrust23THRUST_200600_302600_NS11hip_rocprim26transform_input_iterator_tIlPKhZN2at6native8ModeImplIbEclEPKbSI_EUlhE_EEPllNS8_4plusIlEEEE10hipError_tPvRmT1_T2_T3_mT4_P12ihipStream_tbEUlT_E1_NS1_11comp_targetILNS1_3genE4ELNS1_11target_archE910ELNS1_3gpuE8ELNS1_3repE0EEENS1_30default_config_static_selectorELNS0_4arch9wavefront6targetE1EEEvSR_
; %bb.0:
	.section	.rodata,"a",@progbits
	.p2align	6, 0x0
	.amdhsa_kernel _ZN7rocprim17ROCPRIM_400000_NS6detail17trampoline_kernelINS0_14default_configENS1_22reduce_config_selectorIlEEZNS1_11reduce_implILb1ES3_N6thrust23THRUST_200600_302600_NS11hip_rocprim26transform_input_iterator_tIlPKhZN2at6native8ModeImplIbEclEPKbSI_EUlhE_EEPllNS8_4plusIlEEEE10hipError_tPvRmT1_T2_T3_mT4_P12ihipStream_tbEUlT_E1_NS1_11comp_targetILNS1_3genE4ELNS1_11target_archE910ELNS1_3gpuE8ELNS1_3repE0EEENS1_30default_config_static_selectorELNS0_4arch9wavefront6targetE1EEEvSR_
		.amdhsa_group_segment_fixed_size 0
		.amdhsa_private_segment_fixed_size 0
		.amdhsa_kernarg_size 56
		.amdhsa_user_sgpr_count 6
		.amdhsa_user_sgpr_private_segment_buffer 1
		.amdhsa_user_sgpr_dispatch_ptr 0
		.amdhsa_user_sgpr_queue_ptr 0
		.amdhsa_user_sgpr_kernarg_segment_ptr 1
		.amdhsa_user_sgpr_dispatch_id 0
		.amdhsa_user_sgpr_flat_scratch_init 0
		.amdhsa_user_sgpr_private_segment_size 0
		.amdhsa_uses_dynamic_stack 0
		.amdhsa_system_sgpr_private_segment_wavefront_offset 0
		.amdhsa_system_sgpr_workgroup_id_x 1
		.amdhsa_system_sgpr_workgroup_id_y 0
		.amdhsa_system_sgpr_workgroup_id_z 0
		.amdhsa_system_sgpr_workgroup_info 0
		.amdhsa_system_vgpr_workitem_id 0
		.amdhsa_next_free_vgpr 1
		.amdhsa_next_free_sgpr 0
		.amdhsa_reserve_vcc 0
		.amdhsa_reserve_flat_scratch 0
		.amdhsa_float_round_mode_32 0
		.amdhsa_float_round_mode_16_64 0
		.amdhsa_float_denorm_mode_32 3
		.amdhsa_float_denorm_mode_16_64 3
		.amdhsa_dx10_clamp 1
		.amdhsa_ieee_mode 1
		.amdhsa_fp16_overflow 0
		.amdhsa_exception_fp_ieee_invalid_op 0
		.amdhsa_exception_fp_denorm_src 0
		.amdhsa_exception_fp_ieee_div_zero 0
		.amdhsa_exception_fp_ieee_overflow 0
		.amdhsa_exception_fp_ieee_underflow 0
		.amdhsa_exception_fp_ieee_inexact 0
		.amdhsa_exception_int_div_zero 0
	.end_amdhsa_kernel
	.section	.text._ZN7rocprim17ROCPRIM_400000_NS6detail17trampoline_kernelINS0_14default_configENS1_22reduce_config_selectorIlEEZNS1_11reduce_implILb1ES3_N6thrust23THRUST_200600_302600_NS11hip_rocprim26transform_input_iterator_tIlPKhZN2at6native8ModeImplIbEclEPKbSI_EUlhE_EEPllNS8_4plusIlEEEE10hipError_tPvRmT1_T2_T3_mT4_P12ihipStream_tbEUlT_E1_NS1_11comp_targetILNS1_3genE4ELNS1_11target_archE910ELNS1_3gpuE8ELNS1_3repE0EEENS1_30default_config_static_selectorELNS0_4arch9wavefront6targetE1EEEvSR_,"axG",@progbits,_ZN7rocprim17ROCPRIM_400000_NS6detail17trampoline_kernelINS0_14default_configENS1_22reduce_config_selectorIlEEZNS1_11reduce_implILb1ES3_N6thrust23THRUST_200600_302600_NS11hip_rocprim26transform_input_iterator_tIlPKhZN2at6native8ModeImplIbEclEPKbSI_EUlhE_EEPllNS8_4plusIlEEEE10hipError_tPvRmT1_T2_T3_mT4_P12ihipStream_tbEUlT_E1_NS1_11comp_targetILNS1_3genE4ELNS1_11target_archE910ELNS1_3gpuE8ELNS1_3repE0EEENS1_30default_config_static_selectorELNS0_4arch9wavefront6targetE1EEEvSR_,comdat
.Lfunc_end29:
	.size	_ZN7rocprim17ROCPRIM_400000_NS6detail17trampoline_kernelINS0_14default_configENS1_22reduce_config_selectorIlEEZNS1_11reduce_implILb1ES3_N6thrust23THRUST_200600_302600_NS11hip_rocprim26transform_input_iterator_tIlPKhZN2at6native8ModeImplIbEclEPKbSI_EUlhE_EEPllNS8_4plusIlEEEE10hipError_tPvRmT1_T2_T3_mT4_P12ihipStream_tbEUlT_E1_NS1_11comp_targetILNS1_3genE4ELNS1_11target_archE910ELNS1_3gpuE8ELNS1_3repE0EEENS1_30default_config_static_selectorELNS0_4arch9wavefront6targetE1EEEvSR_, .Lfunc_end29-_ZN7rocprim17ROCPRIM_400000_NS6detail17trampoline_kernelINS0_14default_configENS1_22reduce_config_selectorIlEEZNS1_11reduce_implILb1ES3_N6thrust23THRUST_200600_302600_NS11hip_rocprim26transform_input_iterator_tIlPKhZN2at6native8ModeImplIbEclEPKbSI_EUlhE_EEPllNS8_4plusIlEEEE10hipError_tPvRmT1_T2_T3_mT4_P12ihipStream_tbEUlT_E1_NS1_11comp_targetILNS1_3genE4ELNS1_11target_archE910ELNS1_3gpuE8ELNS1_3repE0EEENS1_30default_config_static_selectorELNS0_4arch9wavefront6targetE1EEEvSR_
                                        ; -- End function
	.set _ZN7rocprim17ROCPRIM_400000_NS6detail17trampoline_kernelINS0_14default_configENS1_22reduce_config_selectorIlEEZNS1_11reduce_implILb1ES3_N6thrust23THRUST_200600_302600_NS11hip_rocprim26transform_input_iterator_tIlPKhZN2at6native8ModeImplIbEclEPKbSI_EUlhE_EEPllNS8_4plusIlEEEE10hipError_tPvRmT1_T2_T3_mT4_P12ihipStream_tbEUlT_E1_NS1_11comp_targetILNS1_3genE4ELNS1_11target_archE910ELNS1_3gpuE8ELNS1_3repE0EEENS1_30default_config_static_selectorELNS0_4arch9wavefront6targetE1EEEvSR_.num_vgpr, 0
	.set _ZN7rocprim17ROCPRIM_400000_NS6detail17trampoline_kernelINS0_14default_configENS1_22reduce_config_selectorIlEEZNS1_11reduce_implILb1ES3_N6thrust23THRUST_200600_302600_NS11hip_rocprim26transform_input_iterator_tIlPKhZN2at6native8ModeImplIbEclEPKbSI_EUlhE_EEPllNS8_4plusIlEEEE10hipError_tPvRmT1_T2_T3_mT4_P12ihipStream_tbEUlT_E1_NS1_11comp_targetILNS1_3genE4ELNS1_11target_archE910ELNS1_3gpuE8ELNS1_3repE0EEENS1_30default_config_static_selectorELNS0_4arch9wavefront6targetE1EEEvSR_.num_agpr, 0
	.set _ZN7rocprim17ROCPRIM_400000_NS6detail17trampoline_kernelINS0_14default_configENS1_22reduce_config_selectorIlEEZNS1_11reduce_implILb1ES3_N6thrust23THRUST_200600_302600_NS11hip_rocprim26transform_input_iterator_tIlPKhZN2at6native8ModeImplIbEclEPKbSI_EUlhE_EEPllNS8_4plusIlEEEE10hipError_tPvRmT1_T2_T3_mT4_P12ihipStream_tbEUlT_E1_NS1_11comp_targetILNS1_3genE4ELNS1_11target_archE910ELNS1_3gpuE8ELNS1_3repE0EEENS1_30default_config_static_selectorELNS0_4arch9wavefront6targetE1EEEvSR_.numbered_sgpr, 0
	.set _ZN7rocprim17ROCPRIM_400000_NS6detail17trampoline_kernelINS0_14default_configENS1_22reduce_config_selectorIlEEZNS1_11reduce_implILb1ES3_N6thrust23THRUST_200600_302600_NS11hip_rocprim26transform_input_iterator_tIlPKhZN2at6native8ModeImplIbEclEPKbSI_EUlhE_EEPllNS8_4plusIlEEEE10hipError_tPvRmT1_T2_T3_mT4_P12ihipStream_tbEUlT_E1_NS1_11comp_targetILNS1_3genE4ELNS1_11target_archE910ELNS1_3gpuE8ELNS1_3repE0EEENS1_30default_config_static_selectorELNS0_4arch9wavefront6targetE1EEEvSR_.num_named_barrier, 0
	.set _ZN7rocprim17ROCPRIM_400000_NS6detail17trampoline_kernelINS0_14default_configENS1_22reduce_config_selectorIlEEZNS1_11reduce_implILb1ES3_N6thrust23THRUST_200600_302600_NS11hip_rocprim26transform_input_iterator_tIlPKhZN2at6native8ModeImplIbEclEPKbSI_EUlhE_EEPllNS8_4plusIlEEEE10hipError_tPvRmT1_T2_T3_mT4_P12ihipStream_tbEUlT_E1_NS1_11comp_targetILNS1_3genE4ELNS1_11target_archE910ELNS1_3gpuE8ELNS1_3repE0EEENS1_30default_config_static_selectorELNS0_4arch9wavefront6targetE1EEEvSR_.private_seg_size, 0
	.set _ZN7rocprim17ROCPRIM_400000_NS6detail17trampoline_kernelINS0_14default_configENS1_22reduce_config_selectorIlEEZNS1_11reduce_implILb1ES3_N6thrust23THRUST_200600_302600_NS11hip_rocprim26transform_input_iterator_tIlPKhZN2at6native8ModeImplIbEclEPKbSI_EUlhE_EEPllNS8_4plusIlEEEE10hipError_tPvRmT1_T2_T3_mT4_P12ihipStream_tbEUlT_E1_NS1_11comp_targetILNS1_3genE4ELNS1_11target_archE910ELNS1_3gpuE8ELNS1_3repE0EEENS1_30default_config_static_selectorELNS0_4arch9wavefront6targetE1EEEvSR_.uses_vcc, 0
	.set _ZN7rocprim17ROCPRIM_400000_NS6detail17trampoline_kernelINS0_14default_configENS1_22reduce_config_selectorIlEEZNS1_11reduce_implILb1ES3_N6thrust23THRUST_200600_302600_NS11hip_rocprim26transform_input_iterator_tIlPKhZN2at6native8ModeImplIbEclEPKbSI_EUlhE_EEPllNS8_4plusIlEEEE10hipError_tPvRmT1_T2_T3_mT4_P12ihipStream_tbEUlT_E1_NS1_11comp_targetILNS1_3genE4ELNS1_11target_archE910ELNS1_3gpuE8ELNS1_3repE0EEENS1_30default_config_static_selectorELNS0_4arch9wavefront6targetE1EEEvSR_.uses_flat_scratch, 0
	.set _ZN7rocprim17ROCPRIM_400000_NS6detail17trampoline_kernelINS0_14default_configENS1_22reduce_config_selectorIlEEZNS1_11reduce_implILb1ES3_N6thrust23THRUST_200600_302600_NS11hip_rocprim26transform_input_iterator_tIlPKhZN2at6native8ModeImplIbEclEPKbSI_EUlhE_EEPllNS8_4plusIlEEEE10hipError_tPvRmT1_T2_T3_mT4_P12ihipStream_tbEUlT_E1_NS1_11comp_targetILNS1_3genE4ELNS1_11target_archE910ELNS1_3gpuE8ELNS1_3repE0EEENS1_30default_config_static_selectorELNS0_4arch9wavefront6targetE1EEEvSR_.has_dyn_sized_stack, 0
	.set _ZN7rocprim17ROCPRIM_400000_NS6detail17trampoline_kernelINS0_14default_configENS1_22reduce_config_selectorIlEEZNS1_11reduce_implILb1ES3_N6thrust23THRUST_200600_302600_NS11hip_rocprim26transform_input_iterator_tIlPKhZN2at6native8ModeImplIbEclEPKbSI_EUlhE_EEPllNS8_4plusIlEEEE10hipError_tPvRmT1_T2_T3_mT4_P12ihipStream_tbEUlT_E1_NS1_11comp_targetILNS1_3genE4ELNS1_11target_archE910ELNS1_3gpuE8ELNS1_3repE0EEENS1_30default_config_static_selectorELNS0_4arch9wavefront6targetE1EEEvSR_.has_recursion, 0
	.set _ZN7rocprim17ROCPRIM_400000_NS6detail17trampoline_kernelINS0_14default_configENS1_22reduce_config_selectorIlEEZNS1_11reduce_implILb1ES3_N6thrust23THRUST_200600_302600_NS11hip_rocprim26transform_input_iterator_tIlPKhZN2at6native8ModeImplIbEclEPKbSI_EUlhE_EEPllNS8_4plusIlEEEE10hipError_tPvRmT1_T2_T3_mT4_P12ihipStream_tbEUlT_E1_NS1_11comp_targetILNS1_3genE4ELNS1_11target_archE910ELNS1_3gpuE8ELNS1_3repE0EEENS1_30default_config_static_selectorELNS0_4arch9wavefront6targetE1EEEvSR_.has_indirect_call, 0
	.section	.AMDGPU.csdata,"",@progbits
; Kernel info:
; codeLenInByte = 0
; TotalNumSgprs: 4
; NumVgprs: 0
; ScratchSize: 0
; MemoryBound: 0
; FloatMode: 240
; IeeeMode: 1
; LDSByteSize: 0 bytes/workgroup (compile time only)
; SGPRBlocks: 0
; VGPRBlocks: 0
; NumSGPRsForWavesPerEU: 4
; NumVGPRsForWavesPerEU: 1
; Occupancy: 10
; WaveLimiterHint : 0
; COMPUTE_PGM_RSRC2:SCRATCH_EN: 0
; COMPUTE_PGM_RSRC2:USER_SGPR: 6
; COMPUTE_PGM_RSRC2:TRAP_HANDLER: 0
; COMPUTE_PGM_RSRC2:TGID_X_EN: 1
; COMPUTE_PGM_RSRC2:TGID_Y_EN: 0
; COMPUTE_PGM_RSRC2:TGID_Z_EN: 0
; COMPUTE_PGM_RSRC2:TIDIG_COMP_CNT: 0
	.section	.text._ZN7rocprim17ROCPRIM_400000_NS6detail17trampoline_kernelINS0_14default_configENS1_22reduce_config_selectorIlEEZNS1_11reduce_implILb1ES3_N6thrust23THRUST_200600_302600_NS11hip_rocprim26transform_input_iterator_tIlPKhZN2at6native8ModeImplIbEclEPKbSI_EUlhE_EEPllNS8_4plusIlEEEE10hipError_tPvRmT1_T2_T3_mT4_P12ihipStream_tbEUlT_E1_NS1_11comp_targetILNS1_3genE3ELNS1_11target_archE908ELNS1_3gpuE7ELNS1_3repE0EEENS1_30default_config_static_selectorELNS0_4arch9wavefront6targetE1EEEvSR_,"axG",@progbits,_ZN7rocprim17ROCPRIM_400000_NS6detail17trampoline_kernelINS0_14default_configENS1_22reduce_config_selectorIlEEZNS1_11reduce_implILb1ES3_N6thrust23THRUST_200600_302600_NS11hip_rocprim26transform_input_iterator_tIlPKhZN2at6native8ModeImplIbEclEPKbSI_EUlhE_EEPllNS8_4plusIlEEEE10hipError_tPvRmT1_T2_T3_mT4_P12ihipStream_tbEUlT_E1_NS1_11comp_targetILNS1_3genE3ELNS1_11target_archE908ELNS1_3gpuE7ELNS1_3repE0EEENS1_30default_config_static_selectorELNS0_4arch9wavefront6targetE1EEEvSR_,comdat
	.protected	_ZN7rocprim17ROCPRIM_400000_NS6detail17trampoline_kernelINS0_14default_configENS1_22reduce_config_selectorIlEEZNS1_11reduce_implILb1ES3_N6thrust23THRUST_200600_302600_NS11hip_rocprim26transform_input_iterator_tIlPKhZN2at6native8ModeImplIbEclEPKbSI_EUlhE_EEPllNS8_4plusIlEEEE10hipError_tPvRmT1_T2_T3_mT4_P12ihipStream_tbEUlT_E1_NS1_11comp_targetILNS1_3genE3ELNS1_11target_archE908ELNS1_3gpuE7ELNS1_3repE0EEENS1_30default_config_static_selectorELNS0_4arch9wavefront6targetE1EEEvSR_ ; -- Begin function _ZN7rocprim17ROCPRIM_400000_NS6detail17trampoline_kernelINS0_14default_configENS1_22reduce_config_selectorIlEEZNS1_11reduce_implILb1ES3_N6thrust23THRUST_200600_302600_NS11hip_rocprim26transform_input_iterator_tIlPKhZN2at6native8ModeImplIbEclEPKbSI_EUlhE_EEPllNS8_4plusIlEEEE10hipError_tPvRmT1_T2_T3_mT4_P12ihipStream_tbEUlT_E1_NS1_11comp_targetILNS1_3genE3ELNS1_11target_archE908ELNS1_3gpuE7ELNS1_3repE0EEENS1_30default_config_static_selectorELNS0_4arch9wavefront6targetE1EEEvSR_
	.globl	_ZN7rocprim17ROCPRIM_400000_NS6detail17trampoline_kernelINS0_14default_configENS1_22reduce_config_selectorIlEEZNS1_11reduce_implILb1ES3_N6thrust23THRUST_200600_302600_NS11hip_rocprim26transform_input_iterator_tIlPKhZN2at6native8ModeImplIbEclEPKbSI_EUlhE_EEPllNS8_4plusIlEEEE10hipError_tPvRmT1_T2_T3_mT4_P12ihipStream_tbEUlT_E1_NS1_11comp_targetILNS1_3genE3ELNS1_11target_archE908ELNS1_3gpuE7ELNS1_3repE0EEENS1_30default_config_static_selectorELNS0_4arch9wavefront6targetE1EEEvSR_
	.p2align	8
	.type	_ZN7rocprim17ROCPRIM_400000_NS6detail17trampoline_kernelINS0_14default_configENS1_22reduce_config_selectorIlEEZNS1_11reduce_implILb1ES3_N6thrust23THRUST_200600_302600_NS11hip_rocprim26transform_input_iterator_tIlPKhZN2at6native8ModeImplIbEclEPKbSI_EUlhE_EEPllNS8_4plusIlEEEE10hipError_tPvRmT1_T2_T3_mT4_P12ihipStream_tbEUlT_E1_NS1_11comp_targetILNS1_3genE3ELNS1_11target_archE908ELNS1_3gpuE7ELNS1_3repE0EEENS1_30default_config_static_selectorELNS0_4arch9wavefront6targetE1EEEvSR_,@function
_ZN7rocprim17ROCPRIM_400000_NS6detail17trampoline_kernelINS0_14default_configENS1_22reduce_config_selectorIlEEZNS1_11reduce_implILb1ES3_N6thrust23THRUST_200600_302600_NS11hip_rocprim26transform_input_iterator_tIlPKhZN2at6native8ModeImplIbEclEPKbSI_EUlhE_EEPllNS8_4plusIlEEEE10hipError_tPvRmT1_T2_T3_mT4_P12ihipStream_tbEUlT_E1_NS1_11comp_targetILNS1_3genE3ELNS1_11target_archE908ELNS1_3gpuE7ELNS1_3repE0EEENS1_30default_config_static_selectorELNS0_4arch9wavefront6targetE1EEEvSR_: ; @_ZN7rocprim17ROCPRIM_400000_NS6detail17trampoline_kernelINS0_14default_configENS1_22reduce_config_selectorIlEEZNS1_11reduce_implILb1ES3_N6thrust23THRUST_200600_302600_NS11hip_rocprim26transform_input_iterator_tIlPKhZN2at6native8ModeImplIbEclEPKbSI_EUlhE_EEPllNS8_4plusIlEEEE10hipError_tPvRmT1_T2_T3_mT4_P12ihipStream_tbEUlT_E1_NS1_11comp_targetILNS1_3genE3ELNS1_11target_archE908ELNS1_3gpuE7ELNS1_3repE0EEENS1_30default_config_static_selectorELNS0_4arch9wavefront6targetE1EEEvSR_
; %bb.0:
	.section	.rodata,"a",@progbits
	.p2align	6, 0x0
	.amdhsa_kernel _ZN7rocprim17ROCPRIM_400000_NS6detail17trampoline_kernelINS0_14default_configENS1_22reduce_config_selectorIlEEZNS1_11reduce_implILb1ES3_N6thrust23THRUST_200600_302600_NS11hip_rocprim26transform_input_iterator_tIlPKhZN2at6native8ModeImplIbEclEPKbSI_EUlhE_EEPllNS8_4plusIlEEEE10hipError_tPvRmT1_T2_T3_mT4_P12ihipStream_tbEUlT_E1_NS1_11comp_targetILNS1_3genE3ELNS1_11target_archE908ELNS1_3gpuE7ELNS1_3repE0EEENS1_30default_config_static_selectorELNS0_4arch9wavefront6targetE1EEEvSR_
		.amdhsa_group_segment_fixed_size 0
		.amdhsa_private_segment_fixed_size 0
		.amdhsa_kernarg_size 56
		.amdhsa_user_sgpr_count 6
		.amdhsa_user_sgpr_private_segment_buffer 1
		.amdhsa_user_sgpr_dispatch_ptr 0
		.amdhsa_user_sgpr_queue_ptr 0
		.amdhsa_user_sgpr_kernarg_segment_ptr 1
		.amdhsa_user_sgpr_dispatch_id 0
		.amdhsa_user_sgpr_flat_scratch_init 0
		.amdhsa_user_sgpr_private_segment_size 0
		.amdhsa_uses_dynamic_stack 0
		.amdhsa_system_sgpr_private_segment_wavefront_offset 0
		.amdhsa_system_sgpr_workgroup_id_x 1
		.amdhsa_system_sgpr_workgroup_id_y 0
		.amdhsa_system_sgpr_workgroup_id_z 0
		.amdhsa_system_sgpr_workgroup_info 0
		.amdhsa_system_vgpr_workitem_id 0
		.amdhsa_next_free_vgpr 1
		.amdhsa_next_free_sgpr 0
		.amdhsa_reserve_vcc 0
		.amdhsa_reserve_flat_scratch 0
		.amdhsa_float_round_mode_32 0
		.amdhsa_float_round_mode_16_64 0
		.amdhsa_float_denorm_mode_32 3
		.amdhsa_float_denorm_mode_16_64 3
		.amdhsa_dx10_clamp 1
		.amdhsa_ieee_mode 1
		.amdhsa_fp16_overflow 0
		.amdhsa_exception_fp_ieee_invalid_op 0
		.amdhsa_exception_fp_denorm_src 0
		.amdhsa_exception_fp_ieee_div_zero 0
		.amdhsa_exception_fp_ieee_overflow 0
		.amdhsa_exception_fp_ieee_underflow 0
		.amdhsa_exception_fp_ieee_inexact 0
		.amdhsa_exception_int_div_zero 0
	.end_amdhsa_kernel
	.section	.text._ZN7rocprim17ROCPRIM_400000_NS6detail17trampoline_kernelINS0_14default_configENS1_22reduce_config_selectorIlEEZNS1_11reduce_implILb1ES3_N6thrust23THRUST_200600_302600_NS11hip_rocprim26transform_input_iterator_tIlPKhZN2at6native8ModeImplIbEclEPKbSI_EUlhE_EEPllNS8_4plusIlEEEE10hipError_tPvRmT1_T2_T3_mT4_P12ihipStream_tbEUlT_E1_NS1_11comp_targetILNS1_3genE3ELNS1_11target_archE908ELNS1_3gpuE7ELNS1_3repE0EEENS1_30default_config_static_selectorELNS0_4arch9wavefront6targetE1EEEvSR_,"axG",@progbits,_ZN7rocprim17ROCPRIM_400000_NS6detail17trampoline_kernelINS0_14default_configENS1_22reduce_config_selectorIlEEZNS1_11reduce_implILb1ES3_N6thrust23THRUST_200600_302600_NS11hip_rocprim26transform_input_iterator_tIlPKhZN2at6native8ModeImplIbEclEPKbSI_EUlhE_EEPllNS8_4plusIlEEEE10hipError_tPvRmT1_T2_T3_mT4_P12ihipStream_tbEUlT_E1_NS1_11comp_targetILNS1_3genE3ELNS1_11target_archE908ELNS1_3gpuE7ELNS1_3repE0EEENS1_30default_config_static_selectorELNS0_4arch9wavefront6targetE1EEEvSR_,comdat
.Lfunc_end30:
	.size	_ZN7rocprim17ROCPRIM_400000_NS6detail17trampoline_kernelINS0_14default_configENS1_22reduce_config_selectorIlEEZNS1_11reduce_implILb1ES3_N6thrust23THRUST_200600_302600_NS11hip_rocprim26transform_input_iterator_tIlPKhZN2at6native8ModeImplIbEclEPKbSI_EUlhE_EEPllNS8_4plusIlEEEE10hipError_tPvRmT1_T2_T3_mT4_P12ihipStream_tbEUlT_E1_NS1_11comp_targetILNS1_3genE3ELNS1_11target_archE908ELNS1_3gpuE7ELNS1_3repE0EEENS1_30default_config_static_selectorELNS0_4arch9wavefront6targetE1EEEvSR_, .Lfunc_end30-_ZN7rocprim17ROCPRIM_400000_NS6detail17trampoline_kernelINS0_14default_configENS1_22reduce_config_selectorIlEEZNS1_11reduce_implILb1ES3_N6thrust23THRUST_200600_302600_NS11hip_rocprim26transform_input_iterator_tIlPKhZN2at6native8ModeImplIbEclEPKbSI_EUlhE_EEPllNS8_4plusIlEEEE10hipError_tPvRmT1_T2_T3_mT4_P12ihipStream_tbEUlT_E1_NS1_11comp_targetILNS1_3genE3ELNS1_11target_archE908ELNS1_3gpuE7ELNS1_3repE0EEENS1_30default_config_static_selectorELNS0_4arch9wavefront6targetE1EEEvSR_
                                        ; -- End function
	.set _ZN7rocprim17ROCPRIM_400000_NS6detail17trampoline_kernelINS0_14default_configENS1_22reduce_config_selectorIlEEZNS1_11reduce_implILb1ES3_N6thrust23THRUST_200600_302600_NS11hip_rocprim26transform_input_iterator_tIlPKhZN2at6native8ModeImplIbEclEPKbSI_EUlhE_EEPllNS8_4plusIlEEEE10hipError_tPvRmT1_T2_T3_mT4_P12ihipStream_tbEUlT_E1_NS1_11comp_targetILNS1_3genE3ELNS1_11target_archE908ELNS1_3gpuE7ELNS1_3repE0EEENS1_30default_config_static_selectorELNS0_4arch9wavefront6targetE1EEEvSR_.num_vgpr, 0
	.set _ZN7rocprim17ROCPRIM_400000_NS6detail17trampoline_kernelINS0_14default_configENS1_22reduce_config_selectorIlEEZNS1_11reduce_implILb1ES3_N6thrust23THRUST_200600_302600_NS11hip_rocprim26transform_input_iterator_tIlPKhZN2at6native8ModeImplIbEclEPKbSI_EUlhE_EEPllNS8_4plusIlEEEE10hipError_tPvRmT1_T2_T3_mT4_P12ihipStream_tbEUlT_E1_NS1_11comp_targetILNS1_3genE3ELNS1_11target_archE908ELNS1_3gpuE7ELNS1_3repE0EEENS1_30default_config_static_selectorELNS0_4arch9wavefront6targetE1EEEvSR_.num_agpr, 0
	.set _ZN7rocprim17ROCPRIM_400000_NS6detail17trampoline_kernelINS0_14default_configENS1_22reduce_config_selectorIlEEZNS1_11reduce_implILb1ES3_N6thrust23THRUST_200600_302600_NS11hip_rocprim26transform_input_iterator_tIlPKhZN2at6native8ModeImplIbEclEPKbSI_EUlhE_EEPllNS8_4plusIlEEEE10hipError_tPvRmT1_T2_T3_mT4_P12ihipStream_tbEUlT_E1_NS1_11comp_targetILNS1_3genE3ELNS1_11target_archE908ELNS1_3gpuE7ELNS1_3repE0EEENS1_30default_config_static_selectorELNS0_4arch9wavefront6targetE1EEEvSR_.numbered_sgpr, 0
	.set _ZN7rocprim17ROCPRIM_400000_NS6detail17trampoline_kernelINS0_14default_configENS1_22reduce_config_selectorIlEEZNS1_11reduce_implILb1ES3_N6thrust23THRUST_200600_302600_NS11hip_rocprim26transform_input_iterator_tIlPKhZN2at6native8ModeImplIbEclEPKbSI_EUlhE_EEPllNS8_4plusIlEEEE10hipError_tPvRmT1_T2_T3_mT4_P12ihipStream_tbEUlT_E1_NS1_11comp_targetILNS1_3genE3ELNS1_11target_archE908ELNS1_3gpuE7ELNS1_3repE0EEENS1_30default_config_static_selectorELNS0_4arch9wavefront6targetE1EEEvSR_.num_named_barrier, 0
	.set _ZN7rocprim17ROCPRIM_400000_NS6detail17trampoline_kernelINS0_14default_configENS1_22reduce_config_selectorIlEEZNS1_11reduce_implILb1ES3_N6thrust23THRUST_200600_302600_NS11hip_rocprim26transform_input_iterator_tIlPKhZN2at6native8ModeImplIbEclEPKbSI_EUlhE_EEPllNS8_4plusIlEEEE10hipError_tPvRmT1_T2_T3_mT4_P12ihipStream_tbEUlT_E1_NS1_11comp_targetILNS1_3genE3ELNS1_11target_archE908ELNS1_3gpuE7ELNS1_3repE0EEENS1_30default_config_static_selectorELNS0_4arch9wavefront6targetE1EEEvSR_.private_seg_size, 0
	.set _ZN7rocprim17ROCPRIM_400000_NS6detail17trampoline_kernelINS0_14default_configENS1_22reduce_config_selectorIlEEZNS1_11reduce_implILb1ES3_N6thrust23THRUST_200600_302600_NS11hip_rocprim26transform_input_iterator_tIlPKhZN2at6native8ModeImplIbEclEPKbSI_EUlhE_EEPllNS8_4plusIlEEEE10hipError_tPvRmT1_T2_T3_mT4_P12ihipStream_tbEUlT_E1_NS1_11comp_targetILNS1_3genE3ELNS1_11target_archE908ELNS1_3gpuE7ELNS1_3repE0EEENS1_30default_config_static_selectorELNS0_4arch9wavefront6targetE1EEEvSR_.uses_vcc, 0
	.set _ZN7rocprim17ROCPRIM_400000_NS6detail17trampoline_kernelINS0_14default_configENS1_22reduce_config_selectorIlEEZNS1_11reduce_implILb1ES3_N6thrust23THRUST_200600_302600_NS11hip_rocprim26transform_input_iterator_tIlPKhZN2at6native8ModeImplIbEclEPKbSI_EUlhE_EEPllNS8_4plusIlEEEE10hipError_tPvRmT1_T2_T3_mT4_P12ihipStream_tbEUlT_E1_NS1_11comp_targetILNS1_3genE3ELNS1_11target_archE908ELNS1_3gpuE7ELNS1_3repE0EEENS1_30default_config_static_selectorELNS0_4arch9wavefront6targetE1EEEvSR_.uses_flat_scratch, 0
	.set _ZN7rocprim17ROCPRIM_400000_NS6detail17trampoline_kernelINS0_14default_configENS1_22reduce_config_selectorIlEEZNS1_11reduce_implILb1ES3_N6thrust23THRUST_200600_302600_NS11hip_rocprim26transform_input_iterator_tIlPKhZN2at6native8ModeImplIbEclEPKbSI_EUlhE_EEPllNS8_4plusIlEEEE10hipError_tPvRmT1_T2_T3_mT4_P12ihipStream_tbEUlT_E1_NS1_11comp_targetILNS1_3genE3ELNS1_11target_archE908ELNS1_3gpuE7ELNS1_3repE0EEENS1_30default_config_static_selectorELNS0_4arch9wavefront6targetE1EEEvSR_.has_dyn_sized_stack, 0
	.set _ZN7rocprim17ROCPRIM_400000_NS6detail17trampoline_kernelINS0_14default_configENS1_22reduce_config_selectorIlEEZNS1_11reduce_implILb1ES3_N6thrust23THRUST_200600_302600_NS11hip_rocprim26transform_input_iterator_tIlPKhZN2at6native8ModeImplIbEclEPKbSI_EUlhE_EEPllNS8_4plusIlEEEE10hipError_tPvRmT1_T2_T3_mT4_P12ihipStream_tbEUlT_E1_NS1_11comp_targetILNS1_3genE3ELNS1_11target_archE908ELNS1_3gpuE7ELNS1_3repE0EEENS1_30default_config_static_selectorELNS0_4arch9wavefront6targetE1EEEvSR_.has_recursion, 0
	.set _ZN7rocprim17ROCPRIM_400000_NS6detail17trampoline_kernelINS0_14default_configENS1_22reduce_config_selectorIlEEZNS1_11reduce_implILb1ES3_N6thrust23THRUST_200600_302600_NS11hip_rocprim26transform_input_iterator_tIlPKhZN2at6native8ModeImplIbEclEPKbSI_EUlhE_EEPllNS8_4plusIlEEEE10hipError_tPvRmT1_T2_T3_mT4_P12ihipStream_tbEUlT_E1_NS1_11comp_targetILNS1_3genE3ELNS1_11target_archE908ELNS1_3gpuE7ELNS1_3repE0EEENS1_30default_config_static_selectorELNS0_4arch9wavefront6targetE1EEEvSR_.has_indirect_call, 0
	.section	.AMDGPU.csdata,"",@progbits
; Kernel info:
; codeLenInByte = 0
; TotalNumSgprs: 4
; NumVgprs: 0
; ScratchSize: 0
; MemoryBound: 0
; FloatMode: 240
; IeeeMode: 1
; LDSByteSize: 0 bytes/workgroup (compile time only)
; SGPRBlocks: 0
; VGPRBlocks: 0
; NumSGPRsForWavesPerEU: 4
; NumVGPRsForWavesPerEU: 1
; Occupancy: 10
; WaveLimiterHint : 0
; COMPUTE_PGM_RSRC2:SCRATCH_EN: 0
; COMPUTE_PGM_RSRC2:USER_SGPR: 6
; COMPUTE_PGM_RSRC2:TRAP_HANDLER: 0
; COMPUTE_PGM_RSRC2:TGID_X_EN: 1
; COMPUTE_PGM_RSRC2:TGID_Y_EN: 0
; COMPUTE_PGM_RSRC2:TGID_Z_EN: 0
; COMPUTE_PGM_RSRC2:TIDIG_COMP_CNT: 0
	.section	.text._ZN7rocprim17ROCPRIM_400000_NS6detail17trampoline_kernelINS0_14default_configENS1_22reduce_config_selectorIlEEZNS1_11reduce_implILb1ES3_N6thrust23THRUST_200600_302600_NS11hip_rocprim26transform_input_iterator_tIlPKhZN2at6native8ModeImplIbEclEPKbSI_EUlhE_EEPllNS8_4plusIlEEEE10hipError_tPvRmT1_T2_T3_mT4_P12ihipStream_tbEUlT_E1_NS1_11comp_targetILNS1_3genE2ELNS1_11target_archE906ELNS1_3gpuE6ELNS1_3repE0EEENS1_30default_config_static_selectorELNS0_4arch9wavefront6targetE1EEEvSR_,"axG",@progbits,_ZN7rocprim17ROCPRIM_400000_NS6detail17trampoline_kernelINS0_14default_configENS1_22reduce_config_selectorIlEEZNS1_11reduce_implILb1ES3_N6thrust23THRUST_200600_302600_NS11hip_rocprim26transform_input_iterator_tIlPKhZN2at6native8ModeImplIbEclEPKbSI_EUlhE_EEPllNS8_4plusIlEEEE10hipError_tPvRmT1_T2_T3_mT4_P12ihipStream_tbEUlT_E1_NS1_11comp_targetILNS1_3genE2ELNS1_11target_archE906ELNS1_3gpuE6ELNS1_3repE0EEENS1_30default_config_static_selectorELNS0_4arch9wavefront6targetE1EEEvSR_,comdat
	.protected	_ZN7rocprim17ROCPRIM_400000_NS6detail17trampoline_kernelINS0_14default_configENS1_22reduce_config_selectorIlEEZNS1_11reduce_implILb1ES3_N6thrust23THRUST_200600_302600_NS11hip_rocprim26transform_input_iterator_tIlPKhZN2at6native8ModeImplIbEclEPKbSI_EUlhE_EEPllNS8_4plusIlEEEE10hipError_tPvRmT1_T2_T3_mT4_P12ihipStream_tbEUlT_E1_NS1_11comp_targetILNS1_3genE2ELNS1_11target_archE906ELNS1_3gpuE6ELNS1_3repE0EEENS1_30default_config_static_selectorELNS0_4arch9wavefront6targetE1EEEvSR_ ; -- Begin function _ZN7rocprim17ROCPRIM_400000_NS6detail17trampoline_kernelINS0_14default_configENS1_22reduce_config_selectorIlEEZNS1_11reduce_implILb1ES3_N6thrust23THRUST_200600_302600_NS11hip_rocprim26transform_input_iterator_tIlPKhZN2at6native8ModeImplIbEclEPKbSI_EUlhE_EEPllNS8_4plusIlEEEE10hipError_tPvRmT1_T2_T3_mT4_P12ihipStream_tbEUlT_E1_NS1_11comp_targetILNS1_3genE2ELNS1_11target_archE906ELNS1_3gpuE6ELNS1_3repE0EEENS1_30default_config_static_selectorELNS0_4arch9wavefront6targetE1EEEvSR_
	.globl	_ZN7rocprim17ROCPRIM_400000_NS6detail17trampoline_kernelINS0_14default_configENS1_22reduce_config_selectorIlEEZNS1_11reduce_implILb1ES3_N6thrust23THRUST_200600_302600_NS11hip_rocprim26transform_input_iterator_tIlPKhZN2at6native8ModeImplIbEclEPKbSI_EUlhE_EEPllNS8_4plusIlEEEE10hipError_tPvRmT1_T2_T3_mT4_P12ihipStream_tbEUlT_E1_NS1_11comp_targetILNS1_3genE2ELNS1_11target_archE906ELNS1_3gpuE6ELNS1_3repE0EEENS1_30default_config_static_selectorELNS0_4arch9wavefront6targetE1EEEvSR_
	.p2align	8
	.type	_ZN7rocprim17ROCPRIM_400000_NS6detail17trampoline_kernelINS0_14default_configENS1_22reduce_config_selectorIlEEZNS1_11reduce_implILb1ES3_N6thrust23THRUST_200600_302600_NS11hip_rocprim26transform_input_iterator_tIlPKhZN2at6native8ModeImplIbEclEPKbSI_EUlhE_EEPllNS8_4plusIlEEEE10hipError_tPvRmT1_T2_T3_mT4_P12ihipStream_tbEUlT_E1_NS1_11comp_targetILNS1_3genE2ELNS1_11target_archE906ELNS1_3gpuE6ELNS1_3repE0EEENS1_30default_config_static_selectorELNS0_4arch9wavefront6targetE1EEEvSR_,@function
_ZN7rocprim17ROCPRIM_400000_NS6detail17trampoline_kernelINS0_14default_configENS1_22reduce_config_selectorIlEEZNS1_11reduce_implILb1ES3_N6thrust23THRUST_200600_302600_NS11hip_rocprim26transform_input_iterator_tIlPKhZN2at6native8ModeImplIbEclEPKbSI_EUlhE_EEPllNS8_4plusIlEEEE10hipError_tPvRmT1_T2_T3_mT4_P12ihipStream_tbEUlT_E1_NS1_11comp_targetILNS1_3genE2ELNS1_11target_archE906ELNS1_3gpuE6ELNS1_3repE0EEENS1_30default_config_static_selectorELNS0_4arch9wavefront6targetE1EEEvSR_: ; @_ZN7rocprim17ROCPRIM_400000_NS6detail17trampoline_kernelINS0_14default_configENS1_22reduce_config_selectorIlEEZNS1_11reduce_implILb1ES3_N6thrust23THRUST_200600_302600_NS11hip_rocprim26transform_input_iterator_tIlPKhZN2at6native8ModeImplIbEclEPKbSI_EUlhE_EEPllNS8_4plusIlEEEE10hipError_tPvRmT1_T2_T3_mT4_P12ihipStream_tbEUlT_E1_NS1_11comp_targetILNS1_3genE2ELNS1_11target_archE906ELNS1_3gpuE6ELNS1_3repE0EEENS1_30default_config_static_selectorELNS0_4arch9wavefront6targetE1EEEvSR_
; %bb.0:
	s_load_dword s26, s[4:5], 0x4
	s_load_dwordx2 s[18:19], s[4:5], 0x8
	s_load_dwordx4 s[20:23], s[4:5], 0x18
	s_waitcnt lgkmcnt(0)
	s_cmp_lt_i32 s26, 4
	s_cbranch_scc1 .LBB31_10
; %bb.1:
	s_cmp_gt_i32 s26, 7
	s_cbranch_scc0 .LBB31_11
; %bb.2:
	s_cmp_gt_i32 s26, 15
	s_cbranch_scc0 .LBB31_12
; %bb.3:
	s_mov_b64 s[0:1], 0
	s_cmp_eq_u32 s26, 16
	s_mov_b64 s[2:3], 0
                                        ; implicit-def: $vgpr1_vgpr2
                                        ; implicit-def: $vgpr3_vgpr4
	s_cbranch_scc0 .LBB31_13
; %bb.4:
	s_lshl_b32 s10, s6, 12
	s_lshr_b64 s[8:9], s[20:21], 12
	s_add_u32 s2, s18, s10
	s_mov_b32 s7, 0
	s_addc_u32 s3, s19, 0
	s_cmp_lg_u64 s[8:9], s[6:7]
	s_cbranch_scc0 .LBB31_21
; %bb.5:
	global_load_ubyte v1, v0, s[2:3] offset:768
	global_load_ubyte v2, v0, s[2:3] offset:1024
	;; [unrolled: 1-line block ×14, first 2 shown]
	global_load_ubyte v15, v0, s[2:3]
	global_load_ubyte v16, v0, s[2:3] offset:512
	v_mov_b32_e32 v17, 0
	s_waitcnt vmcnt(15)
	v_cmp_ne_u16_e32 vcc, 0, v1
	v_cndmask_b32_e64 v1, 0, 1, vcc
	s_waitcnt vmcnt(14)
	v_cmp_ne_u16_e32 vcc, 0, v2
	v_cndmask_b32_e64 v2, 0, 1, vcc
	;; [unrolled: 3-line block ×15, first 2 shown]
	s_waitcnt vmcnt(0)
	v_cmp_ne_u16_e32 vcc, 0, v16
	v_addc_co_u32_e32 v14, vcc, v14, v15, vcc
	v_add_co_u32_e32 v1, vcc, v14, v1
	v_addc_co_u32_e64 v14, s[8:9], 0, 0, vcc
	v_add_co_u32_e32 v1, vcc, v1, v2
	v_addc_co_u32_e32 v2, vcc, 0, v14, vcc
	v_add_co_u32_e32 v1, vcc, v1, v3
	v_addc_co_u32_e32 v2, vcc, 0, v2, vcc
	v_add_co_u32_e32 v1, vcc, v1, v4
	v_addc_co_u32_e32 v2, vcc, 0, v2, vcc
	v_add_co_u32_e32 v1, vcc, v1, v5
	v_addc_co_u32_e32 v2, vcc, 0, v2, vcc
	v_add_co_u32_e32 v1, vcc, v1, v6
	v_addc_co_u32_e32 v2, vcc, 0, v2, vcc
	v_add_co_u32_e32 v1, vcc, v1, v7
	v_addc_co_u32_e32 v2, vcc, 0, v2, vcc
	v_add_co_u32_e32 v1, vcc, v1, v8
	v_addc_co_u32_e32 v2, vcc, 0, v2, vcc
	v_add_co_u32_e32 v1, vcc, v1, v9
	v_addc_co_u32_e32 v2, vcc, 0, v2, vcc
	v_add_co_u32_e32 v1, vcc, v1, v10
	v_addc_co_u32_e32 v2, vcc, 0, v2, vcc
	v_add_co_u32_e32 v1, vcc, v1, v11
	v_addc_co_u32_e32 v2, vcc, 0, v2, vcc
	v_add_co_u32_e32 v1, vcc, v1, v12
	v_addc_co_u32_e32 v2, vcc, 0, v2, vcc
	v_add_co_u32_e32 v1, vcc, v1, v13
	v_addc_co_u32_e32 v2, vcc, 0, v2, vcc
	s_nop 0
	v_mov_b32_dpp v4, v1 quad_perm:[1,0,3,2] row_mask:0xf bank_mask:0xf bound_ctrl:1
	v_add_co_u32_e32 v1, vcc, v1, v4
	v_addc_co_u32_e32 v2, vcc, 0, v2, vcc
	v_mov_b32_dpp v5, v17 quad_perm:[1,0,3,2] row_mask:0xf bank_mask:0xf bound_ctrl:1
	v_add_co_u32_e32 v4, vcc, 0, v1
	v_addc_co_u32_e32 v2, vcc, v5, v2, vcc
	v_mov_b32_dpp v1, v1 quad_perm:[2,3,0,1] row_mask:0xf bank_mask:0xf bound_ctrl:1
	v_add_co_u32_e32 v1, vcc, v4, v1
	v_mov_b32_dpp v5, v2 quad_perm:[2,3,0,1] row_mask:0xf bank_mask:0xf bound_ctrl:1
	v_addc_co_u32_e32 v2, vcc, 0, v2, vcc
	v_add_co_u32_e32 v4, vcc, 0, v1
	v_addc_co_u32_e32 v2, vcc, v2, v5, vcc
	v_mov_b32_dpp v1, v1 row_ror:4 row_mask:0xf bank_mask:0xf bound_ctrl:1
	v_add_co_u32_e32 v1, vcc, v4, v1
	v_mov_b32_dpp v5, v2 row_ror:4 row_mask:0xf bank_mask:0xf bound_ctrl:1
	v_addc_co_u32_e32 v2, vcc, 0, v2, vcc
	v_add_co_u32_e32 v4, vcc, 0, v1
	v_addc_co_u32_e32 v2, vcc, v2, v5, vcc
	v_mov_b32_dpp v1, v1 row_ror:8 row_mask:0xf bank_mask:0xf bound_ctrl:1
	v_add_co_u32_e32 v1, vcc, v4, v1
	v_mov_b32_dpp v5, v2 row_ror:8 row_mask:0xf bank_mask:0xf bound_ctrl:1
	v_addc_co_u32_e32 v2, vcc, 0, v2, vcc
	v_add_co_u32_e32 v4, vcc, 0, v1
	v_addc_co_u32_e32 v2, vcc, v2, v5, vcc
	v_mov_b32_dpp v1, v1 row_bcast:15 row_mask:0xf bank_mask:0xf bound_ctrl:1
	v_add_co_u32_e32 v1, vcc, v4, v1
	v_mov_b32_dpp v5, v2 row_bcast:15 row_mask:0xf bank_mask:0xf bound_ctrl:1
	v_addc_co_u32_e32 v2, vcc, 0, v2, vcc
	v_add_co_u32_e32 v4, vcc, 0, v1
	v_addc_co_u32_e32 v2, vcc, v2, v5, vcc
	v_mov_b32_dpp v1, v1 row_bcast:31 row_mask:0xf bank_mask:0xf bound_ctrl:1
	v_mbcnt_lo_u32_b32 v3, -1, 0
	v_add_co_u32_e32 v1, vcc, v4, v1
	v_mbcnt_hi_u32_b32 v3, -1, v3
	v_addc_co_u32_e32 v4, vcc, 0, v2, vcc
	v_cmp_eq_u32_e32 vcc, 0, v3
	s_nop 0
	v_add_u32_dpp v2, v2, v4 row_bcast:31 row_mask:0xf bank_mask:0xf bound_ctrl:1
	v_lshlrev_b32_e32 v4, 2, v3
	v_or_b32_e32 v5, 0xfc, v4
	ds_bpermute_b32 v1, v5, v1
	ds_bpermute_b32 v2, v5, v2
	s_and_saveexec_b64 s[8:9], vcc
	s_cbranch_execz .LBB31_7
; %bb.6:
	v_lshrrev_b32_e32 v5, 3, v0
	v_and_b32_e32 v5, 24, v5
	s_waitcnt lgkmcnt(0)
	ds_write_b64 v5, v[1:2]
.LBB31_7:
	s_or_b64 exec, exec, s[8:9]
	v_cmp_gt_u32_e32 vcc, 64, v0
	s_waitcnt lgkmcnt(0)
	s_barrier
	s_and_saveexec_b64 s[8:9], vcc
	s_cbranch_execz .LBB31_9
; %bb.8:
	v_and_b32_e32 v5, 3, v3
	v_lshlrev_b32_e32 v1, 3, v5
	ds_read_b64 v[1:2], v1
	v_cmp_ne_u32_e32 vcc, 3, v5
	v_addc_co_u32_e32 v3, vcc, 0, v3, vcc
	v_lshlrev_b32_e32 v3, 2, v3
	s_waitcnt lgkmcnt(0)
	ds_bpermute_b32 v5, v3, v1
	ds_bpermute_b32 v3, v3, v2
	v_or_b32_e32 v4, 8, v4
	s_waitcnt lgkmcnt(1)
	v_add_co_u32_e32 v1, vcc, v1, v5
	v_addc_co_u32_e32 v2, vcc, 0, v2, vcc
	ds_bpermute_b32 v5, v4, v1
	v_add_co_u32_e32 v1, vcc, 0, v1
	s_waitcnt lgkmcnt(1)
	v_addc_co_u32_e32 v2, vcc, v3, v2, vcc
	ds_bpermute_b32 v3, v4, v2
	s_waitcnt lgkmcnt(1)
	v_add_co_u32_e32 v1, vcc, v1, v5
	v_addc_co_u32_e32 v2, vcc, 0, v2, vcc
	v_add_co_u32_e32 v1, vcc, 0, v1
	s_waitcnt lgkmcnt(0)
	v_addc_co_u32_e32 v2, vcc, v2, v3, vcc
.LBB31_9:
	s_or_b64 exec, exec, s[8:9]
	s_mov_b64 s[8:9], 0
	s_branch .LBB31_22
.LBB31_10:
	s_mov_b64 s[2:3], 0
                                        ; implicit-def: $vgpr1_vgpr2
                                        ; implicit-def: $vgpr3_vgpr4
	s_cbranch_execnz .LBB31_145
	s_branch .LBB31_206
.LBB31_11:
	s_mov_b64 s[2:3], 0
                                        ; implicit-def: $vgpr1_vgpr2
                                        ; implicit-def: $vgpr3_vgpr4
	s_cbranch_execnz .LBB31_110
	s_branch .LBB31_144
.LBB31_12:
	s_mov_b64 s[0:1], -1
	s_mov_b64 s[2:3], 0
                                        ; implicit-def: $vgpr1_vgpr2
                                        ; implicit-def: $vgpr3_vgpr4
.LBB31_13:
	s_and_b64 vcc, exec, s[0:1]
	s_cbranch_vccz .LBB31_109
.LBB31_14:
	s_cmp_eq_u32 s26, 8
                                        ; implicit-def: $vgpr1_vgpr2
                                        ; implicit-def: $vgpr3_vgpr4
	s_cbranch_scc0 .LBB31_109
; %bb.15:
	s_lshl_b32 s2, s6, 11
	s_lshr_b64 s[0:1], s[20:21], 11
	s_add_u32 s16, s18, s2
	s_mov_b32 s7, 0
	s_addc_u32 s17, s19, 0
	s_cmp_lg_u64 s[0:1], s[6:7]
	s_cbranch_scc0 .LBB31_73
; %bb.16:
	global_load_ubyte v1, v0, s[16:17] offset:768
	global_load_ubyte v2, v0, s[16:17] offset:1024
	;; [unrolled: 1-line block ×6, first 2 shown]
	global_load_ubyte v8, v0, s[16:17]
	global_load_ubyte v9, v0, s[16:17] offset:512
	v_mov_b32_e32 v10, 0
	v_mbcnt_lo_u32_b32 v3, -1, 0
	v_mbcnt_hi_u32_b32 v3, -1, v3
	v_mov_b32_dpp v10, v10 quad_perm:[1,0,3,2] row_mask:0xf bank_mask:0xf bound_ctrl:1
	s_waitcnt vmcnt(7)
	v_cmp_ne_u16_e32 vcc, 0, v1
	v_cndmask_b32_e64 v1, 0, 1, vcc
	s_waitcnt vmcnt(6)
	v_cmp_ne_u16_e32 vcc, 0, v2
	v_cndmask_b32_e64 v2, 0, 1, vcc
	;; [unrolled: 3-line block ×7, first 2 shown]
	s_waitcnt vmcnt(0)
	v_cmp_ne_u16_e32 vcc, 0, v9
	v_addc_co_u32_e32 v7, vcc, v7, v8, vcc
	v_add_co_u32_e32 v1, vcc, v7, v1
	v_addc_co_u32_e64 v7, s[0:1], 0, 0, vcc
	v_add_co_u32_e32 v1, vcc, v1, v2
	v_addc_co_u32_e32 v2, vcc, 0, v7, vcc
	v_add_co_u32_e32 v1, vcc, v1, v4
	v_addc_co_u32_e32 v2, vcc, 0, v2, vcc
	;; [unrolled: 2-line block ×4, first 2 shown]
	s_nop 0
	v_mov_b32_dpp v4, v1 quad_perm:[1,0,3,2] row_mask:0xf bank_mask:0xf bound_ctrl:1
	v_add_co_u32_e32 v1, vcc, v1, v4
	v_addc_co_u32_e32 v2, vcc, 0, v2, vcc
	v_add_co_u32_e32 v4, vcc, 0, v1
	v_addc_co_u32_e32 v2, vcc, v10, v2, vcc
	v_mov_b32_dpp v1, v1 quad_perm:[2,3,0,1] row_mask:0xf bank_mask:0xf bound_ctrl:1
	v_add_co_u32_e32 v1, vcc, v4, v1
	v_mov_b32_dpp v5, v2 quad_perm:[2,3,0,1] row_mask:0xf bank_mask:0xf bound_ctrl:1
	v_addc_co_u32_e32 v2, vcc, 0, v2, vcc
	v_add_co_u32_e32 v4, vcc, 0, v1
	v_addc_co_u32_e32 v2, vcc, v2, v5, vcc
	v_mov_b32_dpp v1, v1 row_ror:4 row_mask:0xf bank_mask:0xf bound_ctrl:1
	v_add_co_u32_e32 v1, vcc, v4, v1
	v_mov_b32_dpp v5, v2 row_ror:4 row_mask:0xf bank_mask:0xf bound_ctrl:1
	v_addc_co_u32_e32 v2, vcc, 0, v2, vcc
	v_add_co_u32_e32 v4, vcc, 0, v1
	v_addc_co_u32_e32 v2, vcc, v2, v5, vcc
	v_mov_b32_dpp v1, v1 row_ror:8 row_mask:0xf bank_mask:0xf bound_ctrl:1
	v_add_co_u32_e32 v1, vcc, v4, v1
	v_mov_b32_dpp v5, v2 row_ror:8 row_mask:0xf bank_mask:0xf bound_ctrl:1
	v_addc_co_u32_e32 v2, vcc, 0, v2, vcc
	v_add_co_u32_e32 v4, vcc, 0, v1
	v_addc_co_u32_e32 v2, vcc, v2, v5, vcc
	v_mov_b32_dpp v1, v1 row_bcast:15 row_mask:0xf bank_mask:0xf bound_ctrl:1
	v_add_co_u32_e32 v1, vcc, v4, v1
	v_mov_b32_dpp v5, v2 row_bcast:15 row_mask:0xf bank_mask:0xf bound_ctrl:1
	v_addc_co_u32_e32 v2, vcc, 0, v2, vcc
	v_add_co_u32_e32 v4, vcc, 0, v1
	v_addc_co_u32_e32 v2, vcc, v2, v5, vcc
	v_mov_b32_dpp v1, v1 row_bcast:31 row_mask:0xf bank_mask:0xf bound_ctrl:1
	v_add_co_u32_e32 v1, vcc, v4, v1
	v_addc_co_u32_e32 v4, vcc, 0, v2, vcc
	v_cmp_eq_u32_e32 vcc, 0, v3
	s_nop 0
	v_add_u32_dpp v2, v2, v4 row_bcast:31 row_mask:0xf bank_mask:0xf bound_ctrl:1
	v_lshlrev_b32_e32 v4, 2, v3
	v_or_b32_e32 v5, 0xfc, v4
	ds_bpermute_b32 v1, v5, v1
	ds_bpermute_b32 v2, v5, v2
	s_and_saveexec_b64 s[0:1], vcc
	s_cbranch_execz .LBB31_18
; %bb.17:
	v_lshrrev_b32_e32 v5, 3, v0
	v_and_b32_e32 v5, 24, v5
	s_waitcnt lgkmcnt(0)
	ds_write_b64 v5, v[1:2] offset:128
.LBB31_18:
	s_or_b64 exec, exec, s[0:1]
	v_cmp_gt_u32_e32 vcc, 64, v0
	s_waitcnt lgkmcnt(0)
	s_barrier
	s_and_saveexec_b64 s[0:1], vcc
	s_cbranch_execz .LBB31_20
; %bb.19:
	v_and_b32_e32 v5, 3, v3
	v_lshlrev_b32_e32 v1, 3, v5
	ds_read_b64 v[1:2], v1 offset:128
	v_cmp_ne_u32_e32 vcc, 3, v5
	v_addc_co_u32_e32 v3, vcc, 0, v3, vcc
	v_lshlrev_b32_e32 v3, 2, v3
	s_waitcnt lgkmcnt(0)
	ds_bpermute_b32 v5, v3, v1
	ds_bpermute_b32 v3, v3, v2
	v_or_b32_e32 v4, 8, v4
	s_waitcnt lgkmcnt(1)
	v_add_co_u32_e32 v1, vcc, v1, v5
	v_addc_co_u32_e32 v2, vcc, 0, v2, vcc
	ds_bpermute_b32 v5, v4, v1
	v_add_co_u32_e32 v1, vcc, 0, v1
	s_waitcnt lgkmcnt(1)
	v_addc_co_u32_e32 v2, vcc, v3, v2, vcc
	ds_bpermute_b32 v3, v4, v2
	s_waitcnt lgkmcnt(1)
	v_add_co_u32_e32 v1, vcc, v1, v5
	v_addc_co_u32_e32 v2, vcc, 0, v2, vcc
	v_add_co_u32_e32 v1, vcc, 0, v1
	s_waitcnt lgkmcnt(0)
	v_addc_co_u32_e32 v2, vcc, v2, v3, vcc
.LBB31_20:
	s_or_b64 exec, exec, s[0:1]
	s_mov_b64 s[0:1], 0
	s_branch .LBB31_74
.LBB31_21:
	s_mov_b64 s[8:9], -1
                                        ; implicit-def: $vgpr1_vgpr2
.LBB31_22:
	s_and_b64 vcc, exec, s[8:9]
	s_cbranch_vccz .LBB31_72
; %bb.23:
	s_sub_i32 s10, s20, s10
	v_cmp_gt_u32_e32 vcc, s10, v0
                                        ; implicit-def: $vgpr1_vgpr2
	s_and_saveexec_b64 s[8:9], vcc
	s_cbranch_execz .LBB31_25
; %bb.24:
	global_load_ubyte v1, v0, s[2:3]
	s_mov_b32 s11, 0
	v_mov_b32_e32 v2, s11
	s_waitcnt vmcnt(0)
	v_cmp_ne_u16_e32 vcc, 0, v1
	v_cndmask_b32_e64 v1, 0, 1, vcc
.LBB31_25:
	s_or_b64 exec, exec, s[8:9]
	v_or_b32_e32 v7, 0x100, v0
	v_mov_b32_e32 v3, 0
	v_mov_b32_e32 v5, 0
	v_mov_b32_e32 v4, 0
	v_mov_b32_e32 v6, 0
	v_cmp_gt_u32_e32 vcc, s10, v7
	s_and_saveexec_b64 s[8:9], vcc
	s_cbranch_execz .LBB31_27
; %bb.26:
	global_load_ubyte v5, v0, s[2:3] offset:256
	s_mov_b32 s11, 0
	v_mov_b32_e32 v6, s11
	s_waitcnt vmcnt(0)
	v_cmp_ne_u16_e32 vcc, 0, v5
	v_cndmask_b32_e64 v5, 0, 1, vcc
.LBB31_27:
	s_or_b64 exec, exec, s[8:9]
	v_or_b32_e32 v7, 0x200, v0
	v_cmp_gt_u32_e32 vcc, s10, v7
	s_and_saveexec_b64 s[8:9], vcc
	s_cbranch_execz .LBB31_29
; %bb.28:
	global_load_ubyte v3, v0, s[2:3] offset:512
	s_mov_b32 s11, 0
	v_mov_b32_e32 v4, s11
	s_waitcnt vmcnt(0)
	v_cmp_ne_u16_e32 vcc, 0, v3
	v_cndmask_b32_e64 v3, 0, 1, vcc
.LBB31_29:
	s_or_b64 exec, exec, s[8:9]
	v_or_b32_e32 v11, 0x300, v0
	v_mov_b32_e32 v7, 0
	v_mov_b32_e32 v9, 0
	v_mov_b32_e32 v8, 0
	v_mov_b32_e32 v10, 0
	v_cmp_gt_u32_e32 vcc, s10, v11
	s_and_saveexec_b64 s[8:9], vcc
	s_cbranch_execz .LBB31_31
; %bb.30:
	global_load_ubyte v9, v0, s[2:3] offset:768
	s_mov_b32 s11, 0
	v_mov_b32_e32 v10, s11
	s_waitcnt vmcnt(0)
	v_cmp_ne_u16_e32 vcc, 0, v9
	v_cndmask_b32_e64 v9, 0, 1, vcc
.LBB31_31:
	s_or_b64 exec, exec, s[8:9]
	v_or_b32_e32 v11, 0x400, v0
	v_cmp_gt_u32_e32 vcc, s10, v11
	s_and_saveexec_b64 s[8:9], vcc
	s_cbranch_execz .LBB31_33
; %bb.32:
	global_load_ubyte v7, v0, s[2:3] offset:1024
	s_mov_b32 s11, 0
	v_mov_b32_e32 v8, s11
	s_waitcnt vmcnt(0)
	v_cmp_ne_u16_e32 vcc, 0, v7
	v_cndmask_b32_e64 v7, 0, 1, vcc
.LBB31_33:
	;; [unrolled: 30-line block ×7, first 2 shown]
	s_or_b64 exec, exec, s[8:9]
	v_or_b32_e32 v33, 0xf00, v0
	v_mov_b32_e32 v31, 0
	v_mov_b32_e32 v32, 0
	v_cmp_gt_u32_e32 vcc, s10, v33
	s_and_saveexec_b64 s[8:9], vcc
	s_cbranch_execz .LBB31_55
; %bb.54:
	global_load_ubyte v31, v0, s[2:3] offset:3840
	s_mov_b32 s2, 0
	v_mov_b32_e32 v32, s2
	s_waitcnt vmcnt(0)
	v_cmp_ne_u16_e32 vcc, 0, v31
	v_cndmask_b32_e64 v31, 0, 1, vcc
.LBB31_55:
	s_or_b64 exec, exec, s[8:9]
	v_add_co_u32_e32 v1, vcc, v5, v1
	v_addc_co_u32_e32 v2, vcc, v6, v2, vcc
	v_add_co_u32_e32 v1, vcc, v1, v3
	v_addc_co_u32_e32 v2, vcc, v2, v4, vcc
	;; [unrolled: 2-line block ×14, first 2 shown]
	v_mbcnt_lo_u32_b32 v3, -1, 0
	v_add_co_u32_e32 v1, vcc, v1, v31
	v_mbcnt_hi_u32_b32 v3, -1, v3
	v_addc_co_u32_e32 v2, vcc, v2, v32, vcc
	v_and_b32_e32 v4, 63, v3
	v_cmp_ne_u32_e32 vcc, 63, v4
	v_addc_co_u32_e32 v6, vcc, 0, v3, vcc
	v_lshlrev_b32_e32 v6, 2, v6
	ds_bpermute_b32 v8, v6, v1
	ds_bpermute_b32 v7, v6, v2
	s_min_u32 s8, s10, 0x100
	v_and_b32_e32 v5, 0xc0, v0
	v_sub_u32_e64 v5, s8, v5 clamp
	v_add_u32_e32 v6, 1, v4
	v_cmp_lt_u32_e32 vcc, v6, v5
	v_mov_b32_e32 v6, v1
	s_and_saveexec_b64 s[2:3], vcc
	s_cbranch_execz .LBB31_57
; %bb.56:
	s_waitcnt lgkmcnt(1)
	v_add_co_u32_e32 v6, vcc, v1, v8
	v_addc_co_u32_e32 v2, vcc, 0, v2, vcc
	v_add_co_u32_e32 v1, vcc, 0, v6
	s_waitcnt lgkmcnt(0)
	v_addc_co_u32_e32 v2, vcc, v7, v2, vcc
.LBB31_57:
	s_or_b64 exec, exec, s[2:3]
	v_cmp_gt_u32_e32 vcc, 62, v4
	s_waitcnt lgkmcnt(0)
	v_cndmask_b32_e64 v7, 0, 2, vcc
	v_add_lshl_u32 v7, v7, v3, 2
	ds_bpermute_b32 v8, v7, v6
	ds_bpermute_b32 v7, v7, v2
	v_add_u32_e32 v9, 2, v4
	v_cmp_lt_u32_e32 vcc, v9, v5
	s_and_saveexec_b64 s[2:3], vcc
	s_cbranch_execz .LBB31_59
; %bb.58:
	s_waitcnt lgkmcnt(1)
	v_add_co_u32_e32 v6, vcc, v1, v8
	v_addc_co_u32_e32 v2, vcc, 0, v2, vcc
	v_add_co_u32_e32 v1, vcc, 0, v6
	s_waitcnt lgkmcnt(0)
	v_addc_co_u32_e32 v2, vcc, v7, v2, vcc
.LBB31_59:
	s_or_b64 exec, exec, s[2:3]
	v_cmp_gt_u32_e32 vcc, 60, v4
	s_waitcnt lgkmcnt(0)
	v_cndmask_b32_e64 v7, 0, 4, vcc
	v_add_lshl_u32 v7, v7, v3, 2
	ds_bpermute_b32 v8, v7, v6
	ds_bpermute_b32 v7, v7, v2
	v_add_u32_e32 v9, 4, v4
	v_cmp_lt_u32_e32 vcc, v9, v5
	;; [unrolled: 19-line block ×4, first 2 shown]
	s_and_saveexec_b64 s[2:3], vcc
	s_cbranch_execz .LBB31_65
; %bb.64:
	s_waitcnt lgkmcnt(1)
	v_add_co_u32_e32 v6, vcc, v1, v8
	v_addc_co_u32_e32 v2, vcc, 0, v2, vcc
	v_add_co_u32_e32 v1, vcc, 0, v6
	s_waitcnt lgkmcnt(0)
	v_addc_co_u32_e32 v2, vcc, v7, v2, vcc
.LBB31_65:
	s_or_b64 exec, exec, s[2:3]
	s_waitcnt lgkmcnt(0)
	v_lshlrev_b32_e32 v7, 2, v3
	v_or_b32_e32 v8, 0x80, v7
	ds_bpermute_b32 v6, v8, v6
	ds_bpermute_b32 v8, v8, v2
	v_add_u32_e32 v4, 32, v4
	s_waitcnt lgkmcnt(1)
	v_add_co_u32_e32 v6, vcc, v1, v6
	v_addc_co_u32_e32 v9, vcc, 0, v2, vcc
	v_add_co_u32_e32 v6, vcc, 0, v6
	s_waitcnt lgkmcnt(0)
	v_addc_co_u32_e32 v8, vcc, v9, v8, vcc
	v_cmp_lt_u32_e32 vcc, v4, v5
	v_cndmask_b32_e32 v2, v2, v8, vcc
	v_cndmask_b32_e32 v1, v1, v6, vcc
	v_cmp_eq_u32_e32 vcc, 0, v3
	s_and_saveexec_b64 s[2:3], vcc
; %bb.66:
	v_lshrrev_b32_e32 v4, 3, v0
	v_and_b32_e32 v4, 24, v4
	ds_write_b64 v4, v[1:2] offset:160
; %bb.67:
	s_or_b64 exec, exec, s[2:3]
	v_cmp_gt_u32_e32 vcc, 4, v0
	s_waitcnt lgkmcnt(0)
	s_barrier
	s_and_saveexec_b64 s[2:3], vcc
	s_cbranch_execz .LBB31_71
; %bb.68:
	v_lshlrev_b32_e32 v1, 3, v3
	ds_read_b64 v[1:2], v1 offset:160
	v_and_b32_e32 v4, 3, v3
	v_cmp_ne_u32_e32 vcc, 3, v4
	v_addc_co_u32_e32 v3, vcc, 0, v3, vcc
	v_lshlrev_b32_e32 v3, 2, v3
	s_waitcnt lgkmcnt(0)
	ds_bpermute_b32 v6, v3, v1
	ds_bpermute_b32 v5, v3, v2
	s_add_i32 s8, s8, 63
	s_lshr_b32 s10, s8, 6
	v_add_u32_e32 v3, 1, v4
	v_cmp_gt_u32_e32 vcc, s10, v3
	v_mov_b32_e32 v3, v1
	s_and_saveexec_b64 s[8:9], vcc
	s_cbranch_execz .LBB31_70
; %bb.69:
	s_waitcnt lgkmcnt(1)
	v_add_co_u32_e32 v3, vcc, v1, v6
	v_addc_co_u32_e32 v2, vcc, 0, v2, vcc
	v_add_co_u32_e32 v1, vcc, 0, v3
	s_waitcnt lgkmcnt(0)
	v_addc_co_u32_e32 v2, vcc, v5, v2, vcc
.LBB31_70:
	s_or_b64 exec, exec, s[8:9]
	s_waitcnt lgkmcnt(0)
	v_or_b32_e32 v5, 8, v7
	ds_bpermute_b32 v3, v5, v3
	ds_bpermute_b32 v5, v5, v2
	v_add_u32_e32 v4, 2, v4
	s_waitcnt lgkmcnt(1)
	v_add_co_u32_e32 v3, vcc, v1, v3
	v_addc_co_u32_e32 v6, vcc, 0, v2, vcc
	v_add_co_u32_e32 v3, vcc, 0, v3
	s_waitcnt lgkmcnt(0)
	v_addc_co_u32_e32 v5, vcc, v6, v5, vcc
	v_cmp_gt_u32_e32 vcc, s10, v4
	v_cndmask_b32_e32 v2, v2, v5, vcc
	v_cndmask_b32_e32 v1, v1, v3, vcc
.LBB31_71:
	s_or_b64 exec, exec, s[2:3]
.LBB31_72:
	v_mov_b32_e32 v3, s6
	v_cmp_eq_u32_e64 s[2:3], 0, v0
	v_mov_b32_e32 v4, s7
	s_and_b64 vcc, exec, s[0:1]
	s_cbranch_vccnz .LBB31_14
	s_branch .LBB31_109
.LBB31_73:
	s_mov_b64 s[0:1], -1
                                        ; implicit-def: $vgpr1_vgpr2
.LBB31_74:
	s_and_b64 vcc, exec, s[0:1]
	s_cbranch_vccz .LBB31_108
; %bb.75:
	s_sub_i32 s27, s20, s2
	v_mov_b32_e32 v1, 0
	v_cmp_gt_u32_e32 vcc, s27, v0
	v_mov_b32_e32 v2, v1
	v_mov_b32_e32 v3, v1
	;; [unrolled: 1-line block ×15, first 2 shown]
	s_and_saveexec_b64 s[0:1], vcc
	s_cbranch_execz .LBB31_77
; %bb.76:
	v_mov_b32_e32 v2, v1
	v_mov_b32_e32 v3, v1
	;; [unrolled: 1-line block ×15, first 2 shown]
	global_load_ubyte v1, v0, s[16:17]
	s_waitcnt vmcnt(0)
	v_cmp_ne_u16_e32 vcc, 0, v1
	v_cndmask_b32_e64 v1, 0, 1, vcc
	v_and_b32_e32 v1, 0xffff, v1
.LBB31_77:
	s_or_b64 exec, exec, s[0:1]
	v_or_b32_e32 v17, 0x100, v0
	v_cmp_gt_u32_e32 vcc, s27, v17
	s_and_saveexec_b64 s[2:3], vcc
	s_cbranch_execz .LBB31_79
; %bb.78:
	global_load_ubyte v3, v0, s[16:17] offset:256
	s_mov_b32 s8, 0
	v_mov_b32_e32 v4, s8
	s_waitcnt vmcnt(0)
	v_cmp_ne_u16_e64 s[0:1], 0, v3
	v_cndmask_b32_e64 v3, 0, 1, s[0:1]
.LBB31_79:
	s_or_b64 exec, exec, s[2:3]
	v_or_b32_e32 v17, 0x200, v0
	v_cmp_gt_u32_e64 s[0:1], s27, v17
	s_and_saveexec_b64 s[8:9], s[0:1]
	s_cbranch_execz .LBB31_81
; %bb.80:
	global_load_ubyte v5, v0, s[16:17] offset:512
	s_mov_b32 s10, 0
	v_mov_b32_e32 v6, s10
	s_waitcnt vmcnt(0)
	v_cmp_ne_u16_e64 s[2:3], 0, v5
	v_cndmask_b32_e64 v5, 0, 1, s[2:3]
.LBB31_81:
	s_or_b64 exec, exec, s[8:9]
	v_or_b32_e32 v17, 0x300, v0
	v_cmp_gt_u32_e64 s[2:3], s27, v17
	s_and_saveexec_b64 s[10:11], s[2:3]
	;; [unrolled: 13-line block ×6, first 2 shown]
	s_cbranch_execz .LBB31_91
; %bb.90:
	global_load_ubyte v15, v0, s[16:17] offset:1792
	s_mov_b32 s28, 0
	v_mov_b32_e32 v16, s28
	s_waitcnt vmcnt(0)
	v_cmp_ne_u16_e64 s[16:17], 0, v15
	v_cndmask_b32_e64 v15, 0, 1, s[16:17]
.LBB31_91:
	s_or_b64 exec, exec, s[24:25]
	v_cndmask_b32_e32 v3, 0, v3, vcc
	v_cndmask_b32_e32 v4, 0, v4, vcc
	v_add_co_u32_e32 v1, vcc, v3, v1
	v_addc_co_u32_e32 v2, vcc, v4, v2, vcc
	v_cndmask_b32_e64 v4, 0, v5, s[0:1]
	v_cndmask_b32_e64 v3, 0, v6, s[0:1]
	v_add_co_u32_e32 v1, vcc, v1, v4
	v_addc_co_u32_e32 v2, vcc, v2, v3, vcc
	v_cndmask_b32_e64 v4, 0, v7, s[2:3]
	v_cndmask_b32_e64 v3, 0, v8, s[2:3]
	;; [unrolled: 4-line block ×6, first 2 shown]
	v_add_co_u32_e32 v1, vcc, v1, v4
	v_addc_co_u32_e32 v2, vcc, v2, v3, vcc
	v_mbcnt_lo_u32_b32 v3, -1, 0
	v_mbcnt_hi_u32_b32 v3, -1, v3
	v_and_b32_e32 v4, 63, v3
	v_cmp_ne_u32_e32 vcc, 63, v4
	v_addc_co_u32_e32 v6, vcc, 0, v3, vcc
	v_lshlrev_b32_e32 v6, 2, v6
	ds_bpermute_b32 v8, v6, v1
	ds_bpermute_b32 v7, v6, v2
	s_min_u32 s2, s27, 0x100
	v_and_b32_e32 v5, 0xc0, v0
	v_sub_u32_e64 v5, s2, v5 clamp
	v_add_u32_e32 v6, 1, v4
	v_cmp_lt_u32_e32 vcc, v6, v5
	v_mov_b32_e32 v6, v1
	s_and_saveexec_b64 s[0:1], vcc
	s_cbranch_execz .LBB31_93
; %bb.92:
	s_waitcnt lgkmcnt(1)
	v_add_co_u32_e32 v6, vcc, v1, v8
	v_addc_co_u32_e32 v2, vcc, 0, v2, vcc
	v_add_co_u32_e32 v1, vcc, 0, v6
	s_waitcnt lgkmcnt(0)
	v_addc_co_u32_e32 v2, vcc, v2, v7, vcc
.LBB31_93:
	s_or_b64 exec, exec, s[0:1]
	v_cmp_gt_u32_e32 vcc, 62, v4
	s_waitcnt lgkmcnt(0)
	v_cndmask_b32_e64 v7, 0, 2, vcc
	v_add_lshl_u32 v7, v7, v3, 2
	ds_bpermute_b32 v8, v7, v6
	ds_bpermute_b32 v7, v7, v2
	v_add_u32_e32 v9, 2, v4
	v_cmp_lt_u32_e32 vcc, v9, v5
	s_and_saveexec_b64 s[0:1], vcc
	s_cbranch_execz .LBB31_95
; %bb.94:
	s_waitcnt lgkmcnt(1)
	v_add_co_u32_e32 v6, vcc, v1, v8
	v_addc_co_u32_e32 v2, vcc, 0, v2, vcc
	v_add_co_u32_e32 v1, vcc, 0, v6
	s_waitcnt lgkmcnt(0)
	v_addc_co_u32_e32 v2, vcc, v7, v2, vcc
.LBB31_95:
	s_or_b64 exec, exec, s[0:1]
	v_cmp_gt_u32_e32 vcc, 60, v4
	s_waitcnt lgkmcnt(0)
	v_cndmask_b32_e64 v7, 0, 4, vcc
	v_add_lshl_u32 v7, v7, v3, 2
	ds_bpermute_b32 v8, v7, v6
	ds_bpermute_b32 v7, v7, v2
	v_add_u32_e32 v9, 4, v4
	v_cmp_lt_u32_e32 vcc, v9, v5
	s_and_saveexec_b64 s[0:1], vcc
	s_cbranch_execz .LBB31_97
; %bb.96:
	s_waitcnt lgkmcnt(1)
	v_add_co_u32_e32 v6, vcc, v1, v8
	v_addc_co_u32_e32 v2, vcc, 0, v2, vcc
	v_add_co_u32_e32 v1, vcc, 0, v6
	s_waitcnt lgkmcnt(0)
	v_addc_co_u32_e32 v2, vcc, v7, v2, vcc
.LBB31_97:
	s_or_b64 exec, exec, s[0:1]
	v_cmp_gt_u32_e32 vcc, 56, v4
	s_waitcnt lgkmcnt(0)
	v_cndmask_b32_e64 v7, 0, 8, vcc
	v_add_lshl_u32 v7, v7, v3, 2
	ds_bpermute_b32 v8, v7, v6
	ds_bpermute_b32 v7, v7, v2
	v_add_u32_e32 v9, 8, v4
	v_cmp_lt_u32_e32 vcc, v9, v5
	s_and_saveexec_b64 s[0:1], vcc
	s_cbranch_execz .LBB31_99
; %bb.98:
	s_waitcnt lgkmcnt(1)
	v_add_co_u32_e32 v6, vcc, v1, v8
	v_addc_co_u32_e32 v2, vcc, 0, v2, vcc
	v_add_co_u32_e32 v1, vcc, 0, v6
	s_waitcnt lgkmcnt(0)
	v_addc_co_u32_e32 v2, vcc, v7, v2, vcc
.LBB31_99:
	s_or_b64 exec, exec, s[0:1]
	v_cmp_gt_u32_e32 vcc, 48, v4
	s_waitcnt lgkmcnt(0)
	v_cndmask_b32_e64 v7, 0, 16, vcc
	v_add_lshl_u32 v7, v7, v3, 2
	ds_bpermute_b32 v8, v7, v6
	ds_bpermute_b32 v7, v7, v2
	v_add_u32_e32 v9, 16, v4
	v_cmp_lt_u32_e32 vcc, v9, v5
	s_and_saveexec_b64 s[0:1], vcc
	s_cbranch_execz .LBB31_101
; %bb.100:
	s_waitcnt lgkmcnt(1)
	v_add_co_u32_e32 v6, vcc, v1, v8
	v_addc_co_u32_e32 v2, vcc, 0, v2, vcc
	v_add_co_u32_e32 v1, vcc, 0, v6
	s_waitcnt lgkmcnt(0)
	v_addc_co_u32_e32 v2, vcc, v7, v2, vcc
.LBB31_101:
	s_or_b64 exec, exec, s[0:1]
	s_waitcnt lgkmcnt(0)
	v_lshlrev_b32_e32 v7, 2, v3
	v_or_b32_e32 v8, 0x80, v7
	ds_bpermute_b32 v6, v8, v6
	ds_bpermute_b32 v8, v8, v2
	v_add_u32_e32 v4, 32, v4
	s_waitcnt lgkmcnt(1)
	v_add_co_u32_e32 v6, vcc, v1, v6
	v_addc_co_u32_e32 v9, vcc, 0, v2, vcc
	v_add_co_u32_e32 v6, vcc, 0, v6
	s_waitcnt lgkmcnt(0)
	v_addc_co_u32_e32 v8, vcc, v9, v8, vcc
	v_cmp_lt_u32_e32 vcc, v4, v5
	v_cndmask_b32_e32 v2, v2, v8, vcc
	v_cndmask_b32_e32 v1, v1, v6, vcc
	v_cmp_eq_u32_e32 vcc, 0, v3
	s_and_saveexec_b64 s[0:1], vcc
; %bb.102:
	v_lshrrev_b32_e32 v4, 3, v0
	v_and_b32_e32 v4, 24, v4
	ds_write_b64 v4, v[1:2] offset:160
; %bb.103:
	s_or_b64 exec, exec, s[0:1]
	v_cmp_gt_u32_e32 vcc, 4, v0
	s_waitcnt lgkmcnt(0)
	s_barrier
	s_and_saveexec_b64 s[0:1], vcc
	s_cbranch_execz .LBB31_107
; %bb.104:
	v_lshlrev_b32_e32 v1, 3, v3
	ds_read_b64 v[1:2], v1 offset:160
	v_and_b32_e32 v4, 3, v3
	v_cmp_ne_u32_e32 vcc, 3, v4
	v_addc_co_u32_e32 v3, vcc, 0, v3, vcc
	v_lshlrev_b32_e32 v3, 2, v3
	s_waitcnt lgkmcnt(0)
	ds_bpermute_b32 v6, v3, v1
	ds_bpermute_b32 v5, v3, v2
	s_add_i32 s2, s2, 63
	s_lshr_b32 s8, s2, 6
	v_add_u32_e32 v3, 1, v4
	v_cmp_gt_u32_e32 vcc, s8, v3
	v_mov_b32_e32 v3, v1
	s_and_saveexec_b64 s[2:3], vcc
	s_cbranch_execz .LBB31_106
; %bb.105:
	s_waitcnt lgkmcnt(1)
	v_add_co_u32_e32 v3, vcc, v1, v6
	v_addc_co_u32_e32 v2, vcc, 0, v2, vcc
	v_add_co_u32_e32 v1, vcc, 0, v3
	s_waitcnt lgkmcnt(0)
	v_addc_co_u32_e32 v2, vcc, v5, v2, vcc
.LBB31_106:
	s_or_b64 exec, exec, s[2:3]
	s_waitcnt lgkmcnt(0)
	v_or_b32_e32 v5, 8, v7
	ds_bpermute_b32 v3, v5, v3
	ds_bpermute_b32 v5, v5, v2
	v_add_u32_e32 v4, 2, v4
	s_waitcnt lgkmcnt(1)
	v_add_co_u32_e32 v3, vcc, v1, v3
	v_addc_co_u32_e32 v6, vcc, 0, v2, vcc
	v_add_co_u32_e32 v3, vcc, 0, v3
	s_waitcnt lgkmcnt(0)
	v_addc_co_u32_e32 v5, vcc, v6, v5, vcc
	v_cmp_gt_u32_e32 vcc, s8, v4
	v_cndmask_b32_e32 v2, v2, v5, vcc
	v_cndmask_b32_e32 v1, v1, v3, vcc
.LBB31_107:
	s_or_b64 exec, exec, s[0:1]
.LBB31_108:
	v_mov_b32_e32 v3, s6
	v_cmp_eq_u32_e64 s[2:3], 0, v0
	v_mov_b32_e32 v4, s7
.LBB31_109:
	s_branch .LBB31_144
.LBB31_110:
	s_cmp_eq_u32 s26, 4
                                        ; implicit-def: $vgpr1_vgpr2
                                        ; implicit-def: $vgpr3_vgpr4
	s_cbranch_scc0 .LBB31_144
; %bb.111:
	s_lshl_b32 s2, s6, 10
	s_lshr_b64 s[0:1], s[20:21], 10
	s_add_u32 s8, s18, s2
	s_mov_b32 s7, 0
	s_addc_u32 s9, s19, 0
	s_cmp_lg_u64 s[0:1], s[6:7]
	s_cbranch_scc0 .LBB31_117
; %bb.112:
	global_load_ubyte v1, v0, s[8:9] offset:768
	global_load_ubyte v2, v0, s[8:9] offset:256
	global_load_ubyte v5, v0, s[8:9]
	global_load_ubyte v6, v0, s[8:9] offset:512
	v_mov_b32_e32 v4, 0
	v_mbcnt_lo_u32_b32 v3, -1, 0
	v_mbcnt_hi_u32_b32 v3, -1, v3
	v_mov_b32_dpp v7, v4 quad_perm:[1,0,3,2] row_mask:0xf bank_mask:0xf bound_ctrl:1
	v_lshlrev_b32_e32 v4, 2, v3
	v_or_b32_e32 v8, 0xfc, v4
	s_waitcnt vmcnt(3)
	v_cmp_ne_u16_e32 vcc, 0, v1
	v_cndmask_b32_e64 v1, 0, 1, vcc
	s_waitcnt vmcnt(2)
	v_cmp_ne_u16_e32 vcc, 0, v2
	v_cndmask_b32_e64 v2, 0, 1, vcc
	;; [unrolled: 3-line block ×3, first 2 shown]
	s_waitcnt vmcnt(0)
	v_cmp_ne_u16_e32 vcc, 0, v6
	v_addc_co_u32_e32 v2, vcc, v2, v5, vcc
	v_add_co_u32_e32 v1, vcc, v2, v1
	v_addc_co_u32_e64 v2, s[0:1], 0, 0, vcc
	s_nop 0
	v_mov_b32_dpp v5, v1 quad_perm:[1,0,3,2] row_mask:0xf bank_mask:0xf bound_ctrl:1
	v_add_co_u32_e32 v1, vcc, v1, v5
	v_addc_co_u32_e32 v2, vcc, 0, v2, vcc
	v_add_co_u32_e32 v5, vcc, 0, v1
	v_addc_co_u32_e32 v2, vcc, v7, v2, vcc
	v_mov_b32_dpp v1, v1 quad_perm:[2,3,0,1] row_mask:0xf bank_mask:0xf bound_ctrl:1
	v_add_co_u32_e32 v1, vcc, v5, v1
	v_mov_b32_dpp v6, v2 quad_perm:[2,3,0,1] row_mask:0xf bank_mask:0xf bound_ctrl:1
	v_addc_co_u32_e32 v2, vcc, 0, v2, vcc
	v_add_co_u32_e32 v5, vcc, 0, v1
	v_addc_co_u32_e32 v2, vcc, v2, v6, vcc
	v_mov_b32_dpp v1, v1 row_ror:4 row_mask:0xf bank_mask:0xf bound_ctrl:1
	v_add_co_u32_e32 v1, vcc, v5, v1
	v_mov_b32_dpp v6, v2 row_ror:4 row_mask:0xf bank_mask:0xf bound_ctrl:1
	v_addc_co_u32_e32 v2, vcc, 0, v2, vcc
	v_add_co_u32_e32 v5, vcc, 0, v1
	v_addc_co_u32_e32 v2, vcc, v2, v6, vcc
	v_mov_b32_dpp v1, v1 row_ror:8 row_mask:0xf bank_mask:0xf bound_ctrl:1
	v_add_co_u32_e32 v1, vcc, v5, v1
	v_mov_b32_dpp v6, v2 row_ror:8 row_mask:0xf bank_mask:0xf bound_ctrl:1
	v_addc_co_u32_e32 v2, vcc, 0, v2, vcc
	v_add_co_u32_e32 v5, vcc, 0, v1
	v_addc_co_u32_e32 v2, vcc, v2, v6, vcc
	v_mov_b32_dpp v1, v1 row_bcast:15 row_mask:0xf bank_mask:0xf bound_ctrl:1
	v_add_co_u32_e32 v1, vcc, v5, v1
	v_mov_b32_dpp v6, v2 row_bcast:15 row_mask:0xf bank_mask:0xf bound_ctrl:1
	v_addc_co_u32_e32 v2, vcc, 0, v2, vcc
	v_add_co_u32_e32 v5, vcc, 0, v1
	v_addc_co_u32_e32 v2, vcc, v2, v6, vcc
	v_mov_b32_dpp v1, v1 row_bcast:31 row_mask:0xf bank_mask:0xf bound_ctrl:1
	v_add_co_u32_e32 v1, vcc, v5, v1
	v_addc_co_u32_e32 v5, vcc, 0, v2, vcc
	ds_bpermute_b32 v1, v8, v1
	s_nop 0
	v_add_u32_dpp v2, v2, v5 row_bcast:31 row_mask:0xf bank_mask:0xf bound_ctrl:1
	ds_bpermute_b32 v2, v8, v2
	v_cmp_eq_u32_e32 vcc, 0, v3
	s_and_saveexec_b64 s[0:1], vcc
	s_cbranch_execz .LBB31_114
; %bb.113:
	v_lshrrev_b32_e32 v5, 3, v0
	v_and_b32_e32 v5, 24, v5
	s_waitcnt lgkmcnt(0)
	ds_write_b64 v5, v[1:2] offset:96
.LBB31_114:
	s_or_b64 exec, exec, s[0:1]
	v_cmp_gt_u32_e32 vcc, 64, v0
	s_waitcnt lgkmcnt(0)
	s_barrier
	s_and_saveexec_b64 s[0:1], vcc
	s_cbranch_execz .LBB31_116
; %bb.115:
	v_and_b32_e32 v5, 3, v3
	v_lshlrev_b32_e32 v1, 3, v5
	ds_read_b64 v[1:2], v1 offset:96
	v_cmp_ne_u32_e32 vcc, 3, v5
	v_addc_co_u32_e32 v3, vcc, 0, v3, vcc
	v_lshlrev_b32_e32 v3, 2, v3
	s_waitcnt lgkmcnt(0)
	ds_bpermute_b32 v5, v3, v1
	ds_bpermute_b32 v3, v3, v2
	v_or_b32_e32 v4, 8, v4
	s_waitcnt lgkmcnt(1)
	v_add_co_u32_e32 v1, vcc, v1, v5
	v_addc_co_u32_e32 v2, vcc, 0, v2, vcc
	ds_bpermute_b32 v5, v4, v1
	v_add_co_u32_e32 v1, vcc, 0, v1
	s_waitcnt lgkmcnt(1)
	v_addc_co_u32_e32 v2, vcc, v3, v2, vcc
	ds_bpermute_b32 v3, v4, v2
	s_waitcnt lgkmcnt(1)
	v_add_co_u32_e32 v1, vcc, v1, v5
	v_addc_co_u32_e32 v2, vcc, 0, v2, vcc
	v_add_co_u32_e32 v1, vcc, 0, v1
	s_waitcnt lgkmcnt(0)
	v_addc_co_u32_e32 v2, vcc, v2, v3, vcc
.LBB31_116:
	s_or_b64 exec, exec, s[0:1]
	s_branch .LBB31_143
.LBB31_117:
                                        ; implicit-def: $vgpr1_vgpr2
	s_cbranch_execz .LBB31_143
; %bb.118:
	s_sub_i32 s12, s20, s2
	v_mov_b32_e32 v1, 0
	v_cmp_gt_u32_e32 vcc, s12, v0
	v_mov_b32_e32 v2, v1
	v_mov_b32_e32 v3, v1
	v_mov_b32_e32 v4, v1
	v_mov_b32_e32 v5, v1
	v_mov_b32_e32 v6, v1
	v_mov_b32_e32 v7, v1
	v_mov_b32_e32 v8, v1
	s_and_saveexec_b64 s[0:1], vcc
	s_cbranch_execz .LBB31_120
; %bb.119:
	global_load_ubyte v2, v0, s[8:9]
	v_mov_b32_e32 v3, v1
	v_mov_b32_e32 v4, v1
	;; [unrolled: 1-line block ×7, first 2 shown]
	s_waitcnt vmcnt(0)
	v_cmp_ne_u16_e32 vcc, 0, v2
	v_cndmask_b32_e64 v2, 0, 1, vcc
	v_and_b32_e32 v2, 0xffff, v2
	v_mov_b32_e32 v1, v2
	v_mov_b32_e32 v2, v3
	;; [unrolled: 1-line block ×8, first 2 shown]
.LBB31_120:
	s_or_b64 exec, exec, s[0:1]
	v_or_b32_e32 v9, 0x100, v0
	v_cmp_gt_u32_e32 vcc, s12, v9
	s_and_saveexec_b64 s[2:3], vcc
	s_cbranch_execz .LBB31_122
; %bb.121:
	global_load_ubyte v3, v0, s[8:9] offset:256
	s_mov_b32 s10, 0
	v_mov_b32_e32 v4, s10
	s_waitcnt vmcnt(0)
	v_cmp_ne_u16_e64 s[0:1], 0, v3
	v_cndmask_b32_e64 v3, 0, 1, s[0:1]
.LBB31_122:
	s_or_b64 exec, exec, s[2:3]
	v_or_b32_e32 v9, 0x200, v0
	v_cmp_gt_u32_e64 s[0:1], s12, v9
	s_and_saveexec_b64 s[10:11], s[0:1]
	s_cbranch_execz .LBB31_124
; %bb.123:
	global_load_ubyte v5, v0, s[8:9] offset:512
	s_mov_b32 s13, 0
	v_mov_b32_e32 v6, s13
	s_waitcnt vmcnt(0)
	v_cmp_ne_u16_e64 s[2:3], 0, v5
	v_cndmask_b32_e64 v5, 0, 1, s[2:3]
.LBB31_124:
	s_or_b64 exec, exec, s[10:11]
	v_or_b32_e32 v9, 0x300, v0
	v_cmp_gt_u32_e64 s[2:3], s12, v9
	s_and_saveexec_b64 s[10:11], s[2:3]
	s_cbranch_execz .LBB31_126
; %bb.125:
	global_load_ubyte v7, v0, s[8:9] offset:768
	s_mov_b32 s13, 0
	v_mov_b32_e32 v8, s13
	s_waitcnt vmcnt(0)
	v_cmp_ne_u16_e64 s[8:9], 0, v7
	v_cndmask_b32_e64 v7, 0, 1, s[8:9]
.LBB31_126:
	s_or_b64 exec, exec, s[10:11]
	v_cndmask_b32_e32 v3, 0, v3, vcc
	v_cndmask_b32_e32 v4, 0, v4, vcc
	v_add_co_u32_e32 v1, vcc, v3, v1
	v_addc_co_u32_e32 v2, vcc, v4, v2, vcc
	v_cndmask_b32_e64 v4, 0, v5, s[0:1]
	v_cndmask_b32_e64 v3, 0, v6, s[0:1]
	v_add_co_u32_e32 v1, vcc, v1, v4
	v_addc_co_u32_e32 v2, vcc, v2, v3, vcc
	v_cndmask_b32_e64 v4, 0, v7, s[2:3]
	v_cndmask_b32_e64 v3, 0, v8, s[2:3]
	v_add_co_u32_e32 v1, vcc, v1, v4
	v_addc_co_u32_e32 v2, vcc, v2, v3, vcc
	v_mbcnt_lo_u32_b32 v3, -1, 0
	v_mbcnt_hi_u32_b32 v3, -1, v3
	v_and_b32_e32 v4, 63, v3
	v_cmp_ne_u32_e32 vcc, 63, v4
	v_addc_co_u32_e32 v6, vcc, 0, v3, vcc
	v_lshlrev_b32_e32 v6, 2, v6
	ds_bpermute_b32 v8, v6, v1
	ds_bpermute_b32 v7, v6, v2
	s_min_u32 s2, s12, 0x100
	v_and_b32_e32 v5, 0xc0, v0
	v_sub_u32_e64 v5, s2, v5 clamp
	v_add_u32_e32 v6, 1, v4
	v_cmp_lt_u32_e32 vcc, v6, v5
	v_mov_b32_e32 v6, v1
	s_and_saveexec_b64 s[0:1], vcc
	s_cbranch_execz .LBB31_128
; %bb.127:
	s_waitcnt lgkmcnt(1)
	v_add_co_u32_e32 v6, vcc, v1, v8
	v_addc_co_u32_e32 v2, vcc, 0, v2, vcc
	v_add_co_u32_e32 v1, vcc, 0, v6
	s_waitcnt lgkmcnt(0)
	v_addc_co_u32_e32 v2, vcc, v7, v2, vcc
.LBB31_128:
	s_or_b64 exec, exec, s[0:1]
	v_cmp_gt_u32_e32 vcc, 62, v4
	s_waitcnt lgkmcnt(0)
	v_cndmask_b32_e64 v7, 0, 2, vcc
	v_add_lshl_u32 v7, v7, v3, 2
	ds_bpermute_b32 v8, v7, v6
	ds_bpermute_b32 v7, v7, v2
	v_add_u32_e32 v9, 2, v4
	v_cmp_lt_u32_e32 vcc, v9, v5
	s_and_saveexec_b64 s[0:1], vcc
	s_cbranch_execz .LBB31_130
; %bb.129:
	s_waitcnt lgkmcnt(1)
	v_add_co_u32_e32 v6, vcc, v1, v8
	v_addc_co_u32_e32 v2, vcc, 0, v2, vcc
	v_add_co_u32_e32 v1, vcc, 0, v6
	s_waitcnt lgkmcnt(0)
	v_addc_co_u32_e32 v2, vcc, v7, v2, vcc
.LBB31_130:
	s_or_b64 exec, exec, s[0:1]
	v_cmp_gt_u32_e32 vcc, 60, v4
	s_waitcnt lgkmcnt(0)
	v_cndmask_b32_e64 v7, 0, 4, vcc
	v_add_lshl_u32 v7, v7, v3, 2
	ds_bpermute_b32 v8, v7, v6
	ds_bpermute_b32 v7, v7, v2
	v_add_u32_e32 v9, 4, v4
	v_cmp_lt_u32_e32 vcc, v9, v5
	;; [unrolled: 19-line block ×4, first 2 shown]
	s_and_saveexec_b64 s[0:1], vcc
	s_cbranch_execz .LBB31_136
; %bb.135:
	s_waitcnt lgkmcnt(1)
	v_add_co_u32_e32 v6, vcc, v1, v8
	v_addc_co_u32_e32 v2, vcc, 0, v2, vcc
	v_add_co_u32_e32 v1, vcc, 0, v6
	s_waitcnt lgkmcnt(0)
	v_addc_co_u32_e32 v2, vcc, v7, v2, vcc
.LBB31_136:
	s_or_b64 exec, exec, s[0:1]
	s_waitcnt lgkmcnt(0)
	v_lshlrev_b32_e32 v7, 2, v3
	v_or_b32_e32 v8, 0x80, v7
	ds_bpermute_b32 v6, v8, v6
	ds_bpermute_b32 v8, v8, v2
	v_add_u32_e32 v4, 32, v4
	s_waitcnt lgkmcnt(1)
	v_add_co_u32_e32 v6, vcc, v1, v6
	v_addc_co_u32_e32 v9, vcc, 0, v2, vcc
	v_add_co_u32_e32 v6, vcc, 0, v6
	s_waitcnt lgkmcnt(0)
	v_addc_co_u32_e32 v8, vcc, v9, v8, vcc
	v_cmp_lt_u32_e32 vcc, v4, v5
	v_cndmask_b32_e32 v2, v2, v8, vcc
	v_cndmask_b32_e32 v1, v1, v6, vcc
	v_cmp_eq_u32_e32 vcc, 0, v3
	s_and_saveexec_b64 s[0:1], vcc
; %bb.137:
	v_lshrrev_b32_e32 v4, 3, v0
	v_and_b32_e32 v4, 24, v4
	ds_write_b64 v4, v[1:2] offset:160
; %bb.138:
	s_or_b64 exec, exec, s[0:1]
	v_cmp_gt_u32_e32 vcc, 4, v0
	s_waitcnt lgkmcnt(0)
	s_barrier
	s_and_saveexec_b64 s[0:1], vcc
	s_cbranch_execz .LBB31_142
; %bb.139:
	v_lshlrev_b32_e32 v1, 3, v3
	ds_read_b64 v[1:2], v1 offset:160
	v_and_b32_e32 v4, 3, v3
	v_cmp_ne_u32_e32 vcc, 3, v4
	v_addc_co_u32_e32 v3, vcc, 0, v3, vcc
	v_lshlrev_b32_e32 v3, 2, v3
	s_waitcnt lgkmcnt(0)
	ds_bpermute_b32 v6, v3, v1
	ds_bpermute_b32 v5, v3, v2
	s_add_i32 s2, s2, 63
	s_lshr_b32 s8, s2, 6
	v_add_u32_e32 v3, 1, v4
	v_cmp_gt_u32_e32 vcc, s8, v3
	v_mov_b32_e32 v3, v1
	s_and_saveexec_b64 s[2:3], vcc
	s_cbranch_execz .LBB31_141
; %bb.140:
	s_waitcnt lgkmcnt(1)
	v_add_co_u32_e32 v3, vcc, v1, v6
	v_addc_co_u32_e32 v2, vcc, 0, v2, vcc
	v_add_co_u32_e32 v1, vcc, 0, v3
	s_waitcnt lgkmcnt(0)
	v_addc_co_u32_e32 v2, vcc, v5, v2, vcc
.LBB31_141:
	s_or_b64 exec, exec, s[2:3]
	s_waitcnt lgkmcnt(0)
	v_or_b32_e32 v5, 8, v7
	ds_bpermute_b32 v3, v5, v3
	ds_bpermute_b32 v5, v5, v2
	v_add_u32_e32 v4, 2, v4
	s_waitcnt lgkmcnt(1)
	v_add_co_u32_e32 v3, vcc, v1, v3
	v_addc_co_u32_e32 v6, vcc, 0, v2, vcc
	v_add_co_u32_e32 v3, vcc, 0, v3
	s_waitcnt lgkmcnt(0)
	v_addc_co_u32_e32 v5, vcc, v6, v5, vcc
	v_cmp_gt_u32_e32 vcc, s8, v4
	v_cndmask_b32_e32 v2, v2, v5, vcc
	v_cndmask_b32_e32 v1, v1, v3, vcc
.LBB31_142:
	s_or_b64 exec, exec, s[0:1]
.LBB31_143:
	v_mov_b32_e32 v3, s6
	v_cmp_eq_u32_e64 s[2:3], 0, v0
	v_mov_b32_e32 v4, s7
.LBB31_144:
	s_branch .LBB31_206
.LBB31_145:
	s_cmp_gt_i32 s26, 1
	s_cbranch_scc0 .LBB31_153
; %bb.146:
	s_cmp_eq_u32 s26, 2
                                        ; implicit-def: $vgpr1_vgpr2
                                        ; implicit-def: $vgpr3_vgpr4
	s_cbranch_scc0 .LBB31_154
; %bb.147:
	s_lshl_b32 s8, s6, 9
	s_lshr_b64 s[2:3], s[20:21], 9
	s_add_u32 s0, s18, s8
	s_mov_b32 s7, 0
	s_addc_u32 s1, s19, 0
	s_cmp_lg_u64 s[2:3], s[6:7]
	s_cbranch_scc0 .LBB31_155
; %bb.148:
	global_load_ubyte v1, v0, s[0:1]
	global_load_ubyte v2, v0, s[0:1] offset:256
	v_mov_b32_e32 v4, 0
	v_mbcnt_lo_u32_b32 v3, -1, 0
	v_mbcnt_hi_u32_b32 v3, -1, v3
	v_mov_b32_dpp v5, v4 quad_perm:[1,0,3,2] row_mask:0xf bank_mask:0xf bound_ctrl:1
	v_lshlrev_b32_e32 v4, 2, v3
	v_or_b32_e32 v6, 0xfc, v4
	s_waitcnt vmcnt(1)
	v_cmp_ne_u16_e32 vcc, 0, v1
	v_cndmask_b32_e64 v1, 0, 1, vcc
	s_waitcnt vmcnt(0)
	v_cmp_ne_u16_e32 vcc, 0, v2
	v_addc_co_u32_e32 v1, vcc, 0, v1, vcc
	s_nop 1
	v_mov_b32_dpp v2, v1 quad_perm:[1,0,3,2] row_mask:0xf bank_mask:0xf bound_ctrl:1
	v_add_co_u32_e32 v1, vcc, v1, v2
	v_addc_co_u32_e64 v2, s[2:3], 0, 0, vcc
	v_add_co_u32_e32 v7, vcc, 0, v1
	v_addc_co_u32_e32 v2, vcc, v5, v2, vcc
	v_mov_b32_dpp v1, v1 quad_perm:[2,3,0,1] row_mask:0xf bank_mask:0xf bound_ctrl:1
	v_add_co_u32_e32 v1, vcc, v7, v1
	v_mov_b32_dpp v5, v2 quad_perm:[2,3,0,1] row_mask:0xf bank_mask:0xf bound_ctrl:1
	v_addc_co_u32_e32 v2, vcc, 0, v2, vcc
	v_add_co_u32_e32 v7, vcc, 0, v1
	v_addc_co_u32_e32 v2, vcc, v2, v5, vcc
	v_mov_b32_dpp v1, v1 row_ror:4 row_mask:0xf bank_mask:0xf bound_ctrl:1
	v_add_co_u32_e32 v1, vcc, v7, v1
	v_mov_b32_dpp v5, v2 row_ror:4 row_mask:0xf bank_mask:0xf bound_ctrl:1
	v_addc_co_u32_e32 v2, vcc, 0, v2, vcc
	v_add_co_u32_e32 v7, vcc, 0, v1
	v_addc_co_u32_e32 v2, vcc, v2, v5, vcc
	v_mov_b32_dpp v1, v1 row_ror:8 row_mask:0xf bank_mask:0xf bound_ctrl:1
	v_add_co_u32_e32 v1, vcc, v7, v1
	v_mov_b32_dpp v5, v2 row_ror:8 row_mask:0xf bank_mask:0xf bound_ctrl:1
	v_addc_co_u32_e32 v2, vcc, 0, v2, vcc
	v_add_co_u32_e32 v7, vcc, 0, v1
	v_addc_co_u32_e32 v2, vcc, v2, v5, vcc
	v_mov_b32_dpp v1, v1 row_bcast:15 row_mask:0xf bank_mask:0xf bound_ctrl:1
	v_add_co_u32_e32 v1, vcc, v7, v1
	v_mov_b32_dpp v5, v2 row_bcast:15 row_mask:0xf bank_mask:0xf bound_ctrl:1
	v_addc_co_u32_e32 v2, vcc, 0, v2, vcc
	v_add_co_u32_e32 v7, vcc, 0, v1
	v_addc_co_u32_e32 v2, vcc, v2, v5, vcc
	v_mov_b32_dpp v1, v1 row_bcast:31 row_mask:0xf bank_mask:0xf bound_ctrl:1
	v_add_co_u32_e32 v1, vcc, v7, v1
	v_addc_co_u32_e32 v5, vcc, 0, v2, vcc
	ds_bpermute_b32 v1, v6, v1
	s_nop 0
	v_add_u32_dpp v2, v2, v5 row_bcast:31 row_mask:0xf bank_mask:0xf bound_ctrl:1
	ds_bpermute_b32 v2, v6, v2
	v_cmp_eq_u32_e32 vcc, 0, v3
	s_and_saveexec_b64 s[2:3], vcc
	s_cbranch_execz .LBB31_150
; %bb.149:
	v_lshrrev_b32_e32 v5, 3, v0
	v_and_b32_e32 v5, 24, v5
	s_waitcnt lgkmcnt(0)
	ds_write_b64 v5, v[1:2] offset:64
.LBB31_150:
	s_or_b64 exec, exec, s[2:3]
	v_cmp_gt_u32_e32 vcc, 64, v0
	s_waitcnt lgkmcnt(0)
	s_barrier
	s_and_saveexec_b64 s[2:3], vcc
	s_cbranch_execz .LBB31_152
; %bb.151:
	v_and_b32_e32 v5, 3, v3
	v_lshlrev_b32_e32 v1, 3, v5
	ds_read_b64 v[1:2], v1 offset:64
	v_cmp_ne_u32_e32 vcc, 3, v5
	v_addc_co_u32_e32 v3, vcc, 0, v3, vcc
	v_lshlrev_b32_e32 v3, 2, v3
	s_waitcnt lgkmcnt(0)
	ds_bpermute_b32 v5, v3, v1
	ds_bpermute_b32 v3, v3, v2
	v_or_b32_e32 v4, 8, v4
	s_waitcnt lgkmcnt(1)
	v_add_co_u32_e32 v1, vcc, v1, v5
	v_addc_co_u32_e32 v2, vcc, 0, v2, vcc
	ds_bpermute_b32 v5, v4, v1
	v_add_co_u32_e32 v1, vcc, 0, v1
	s_waitcnt lgkmcnt(1)
	v_addc_co_u32_e32 v2, vcc, v3, v2, vcc
	ds_bpermute_b32 v3, v4, v2
	s_waitcnt lgkmcnt(1)
	v_add_co_u32_e32 v1, vcc, v1, v5
	v_addc_co_u32_e32 v2, vcc, 0, v2, vcc
	v_add_co_u32_e32 v1, vcc, 0, v1
	s_waitcnt lgkmcnt(0)
	v_addc_co_u32_e32 v2, vcc, v2, v3, vcc
.LBB31_152:
	s_or_b64 exec, exec, s[2:3]
	s_branch .LBB31_177
.LBB31_153:
                                        ; implicit-def: $vgpr1_vgpr2
                                        ; implicit-def: $vgpr3_vgpr4
	s_cbranch_execnz .LBB31_178
	s_branch .LBB31_206
.LBB31_154:
	s_branch .LBB31_206
.LBB31_155:
                                        ; implicit-def: $vgpr1_vgpr2
	s_cbranch_execz .LBB31_177
; %bb.156:
	s_sub_i32 s8, s20, s8
	v_mov_b32_e32 v1, 0
	v_cmp_gt_u32_e32 vcc, s8, v0
	v_mov_b32_e32 v2, v1
	v_mov_b32_e32 v3, v1
	;; [unrolled: 1-line block ×3, first 2 shown]
	s_and_saveexec_b64 s[2:3], vcc
	s_cbranch_execz .LBB31_158
; %bb.157:
	global_load_ubyte v2, v0, s[0:1]
	v_mov_b32_e32 v3, v1
	v_mov_b32_e32 v4, v1
	;; [unrolled: 1-line block ×3, first 2 shown]
	s_waitcnt vmcnt(0)
	v_cmp_ne_u16_e32 vcc, 0, v2
	v_cndmask_b32_e64 v2, 0, 1, vcc
	v_and_b32_e32 v2, 0xffff, v2
	v_mov_b32_e32 v1, v2
	v_mov_b32_e32 v2, v3
	;; [unrolled: 1-line block ×4, first 2 shown]
.LBB31_158:
	s_or_b64 exec, exec, s[2:3]
	v_or_b32_e32 v5, 0x100, v0
	v_cmp_gt_u32_e32 vcc, s8, v5
	s_and_saveexec_b64 s[2:3], vcc
	s_cbranch_execz .LBB31_160
; %bb.159:
	global_load_ubyte v3, v0, s[0:1] offset:256
	s_mov_b32 s9, 0
	v_mov_b32_e32 v4, s9
	s_waitcnt vmcnt(0)
	v_cmp_ne_u16_e64 s[0:1], 0, v3
	v_cndmask_b32_e64 v3, 0, 1, s[0:1]
.LBB31_160:
	s_or_b64 exec, exec, s[2:3]
	v_cndmask_b32_e32 v3, 0, v3, vcc
	v_cndmask_b32_e32 v4, 0, v4, vcc
	v_add_co_u32_e32 v1, vcc, v3, v1
	v_mbcnt_lo_u32_b32 v3, -1, 0
	v_mbcnt_hi_u32_b32 v3, -1, v3
	v_addc_co_u32_e32 v2, vcc, v4, v2, vcc
	v_and_b32_e32 v4, 63, v3
	v_cmp_ne_u32_e32 vcc, 63, v4
	v_addc_co_u32_e32 v6, vcc, 0, v3, vcc
	v_lshlrev_b32_e32 v6, 2, v6
	ds_bpermute_b32 v8, v6, v1
	ds_bpermute_b32 v7, v6, v2
	s_min_u32 s2, s8, 0x100
	v_and_b32_e32 v5, 0xc0, v0
	v_sub_u32_e64 v5, s2, v5 clamp
	v_add_u32_e32 v6, 1, v4
	v_cmp_lt_u32_e32 vcc, v6, v5
	v_mov_b32_e32 v6, v1
	s_and_saveexec_b64 s[0:1], vcc
	s_cbranch_execz .LBB31_162
; %bb.161:
	s_waitcnt lgkmcnt(1)
	v_add_co_u32_e32 v6, vcc, v1, v8
	v_addc_co_u32_e32 v2, vcc, 0, v2, vcc
	v_add_co_u32_e32 v1, vcc, 0, v6
	s_waitcnt lgkmcnt(0)
	v_addc_co_u32_e32 v2, vcc, v7, v2, vcc
.LBB31_162:
	s_or_b64 exec, exec, s[0:1]
	v_cmp_gt_u32_e32 vcc, 62, v4
	s_waitcnt lgkmcnt(0)
	v_cndmask_b32_e64 v7, 0, 2, vcc
	v_add_lshl_u32 v7, v7, v3, 2
	ds_bpermute_b32 v8, v7, v6
	ds_bpermute_b32 v7, v7, v2
	v_add_u32_e32 v9, 2, v4
	v_cmp_lt_u32_e32 vcc, v9, v5
	s_and_saveexec_b64 s[0:1], vcc
	s_cbranch_execz .LBB31_164
; %bb.163:
	s_waitcnt lgkmcnt(1)
	v_add_co_u32_e32 v6, vcc, v1, v8
	v_addc_co_u32_e32 v2, vcc, 0, v2, vcc
	v_add_co_u32_e32 v1, vcc, 0, v6
	s_waitcnt lgkmcnt(0)
	v_addc_co_u32_e32 v2, vcc, v7, v2, vcc
.LBB31_164:
	s_or_b64 exec, exec, s[0:1]
	v_cmp_gt_u32_e32 vcc, 60, v4
	s_waitcnt lgkmcnt(0)
	v_cndmask_b32_e64 v7, 0, 4, vcc
	v_add_lshl_u32 v7, v7, v3, 2
	ds_bpermute_b32 v8, v7, v6
	ds_bpermute_b32 v7, v7, v2
	v_add_u32_e32 v9, 4, v4
	v_cmp_lt_u32_e32 vcc, v9, v5
	;; [unrolled: 19-line block ×4, first 2 shown]
	s_and_saveexec_b64 s[0:1], vcc
	s_cbranch_execz .LBB31_170
; %bb.169:
	s_waitcnt lgkmcnt(1)
	v_add_co_u32_e32 v6, vcc, v1, v8
	v_addc_co_u32_e32 v2, vcc, 0, v2, vcc
	v_add_co_u32_e32 v1, vcc, 0, v6
	s_waitcnt lgkmcnt(0)
	v_addc_co_u32_e32 v2, vcc, v7, v2, vcc
.LBB31_170:
	s_or_b64 exec, exec, s[0:1]
	s_waitcnt lgkmcnt(0)
	v_lshlrev_b32_e32 v7, 2, v3
	v_or_b32_e32 v8, 0x80, v7
	ds_bpermute_b32 v6, v8, v6
	ds_bpermute_b32 v8, v8, v2
	v_add_u32_e32 v4, 32, v4
	s_waitcnt lgkmcnt(1)
	v_add_co_u32_e32 v6, vcc, v1, v6
	v_addc_co_u32_e32 v9, vcc, 0, v2, vcc
	v_add_co_u32_e32 v6, vcc, 0, v6
	s_waitcnt lgkmcnt(0)
	v_addc_co_u32_e32 v8, vcc, v9, v8, vcc
	v_cmp_lt_u32_e32 vcc, v4, v5
	v_cndmask_b32_e32 v2, v2, v8, vcc
	v_cndmask_b32_e32 v1, v1, v6, vcc
	v_cmp_eq_u32_e32 vcc, 0, v3
	s_and_saveexec_b64 s[0:1], vcc
; %bb.171:
	v_lshrrev_b32_e32 v4, 3, v0
	v_and_b32_e32 v4, 24, v4
	ds_write_b64 v4, v[1:2] offset:160
; %bb.172:
	s_or_b64 exec, exec, s[0:1]
	v_cmp_gt_u32_e32 vcc, 4, v0
	s_waitcnt lgkmcnt(0)
	s_barrier
	s_and_saveexec_b64 s[0:1], vcc
	s_cbranch_execz .LBB31_176
; %bb.173:
	v_lshlrev_b32_e32 v1, 3, v3
	ds_read_b64 v[1:2], v1 offset:160
	v_and_b32_e32 v4, 3, v3
	v_cmp_ne_u32_e32 vcc, 3, v4
	v_addc_co_u32_e32 v3, vcc, 0, v3, vcc
	v_lshlrev_b32_e32 v3, 2, v3
	s_waitcnt lgkmcnt(0)
	ds_bpermute_b32 v6, v3, v1
	ds_bpermute_b32 v5, v3, v2
	s_add_i32 s2, s2, 63
	s_lshr_b32 s8, s2, 6
	v_add_u32_e32 v3, 1, v4
	v_cmp_gt_u32_e32 vcc, s8, v3
	v_mov_b32_e32 v3, v1
	s_and_saveexec_b64 s[2:3], vcc
	s_cbranch_execz .LBB31_175
; %bb.174:
	s_waitcnt lgkmcnt(1)
	v_add_co_u32_e32 v3, vcc, v1, v6
	v_addc_co_u32_e32 v2, vcc, 0, v2, vcc
	v_add_co_u32_e32 v1, vcc, 0, v3
	s_waitcnt lgkmcnt(0)
	v_addc_co_u32_e32 v2, vcc, v5, v2, vcc
.LBB31_175:
	s_or_b64 exec, exec, s[2:3]
	s_waitcnt lgkmcnt(0)
	v_or_b32_e32 v5, 8, v7
	ds_bpermute_b32 v3, v5, v3
	ds_bpermute_b32 v5, v5, v2
	v_add_u32_e32 v4, 2, v4
	s_waitcnt lgkmcnt(1)
	v_add_co_u32_e32 v3, vcc, v1, v3
	v_addc_co_u32_e32 v6, vcc, 0, v2, vcc
	v_add_co_u32_e32 v3, vcc, 0, v3
	s_waitcnt lgkmcnt(0)
	v_addc_co_u32_e32 v5, vcc, v6, v5, vcc
	v_cmp_gt_u32_e32 vcc, s8, v4
	v_cndmask_b32_e32 v2, v2, v5, vcc
	v_cndmask_b32_e32 v1, v1, v3, vcc
.LBB31_176:
	s_or_b64 exec, exec, s[0:1]
.LBB31_177:
	v_mov_b32_e32 v3, s6
	v_cmp_eq_u32_e64 s[2:3], 0, v0
	v_mov_b32_e32 v4, s7
	s_branch .LBB31_206
.LBB31_178:
	s_cmp_eq_u32 s26, 1
                                        ; implicit-def: $vgpr1_vgpr2
                                        ; implicit-def: $vgpr3_vgpr4
	s_cbranch_scc0 .LBB31_206
; %bb.179:
	s_lshl_b32 s2, s6, 8
	s_mov_b32 s7, 0
	s_lshr_b64 s[0:1], s[20:21], 8
	s_cmp_lg_u64 s[0:1], s[6:7]
	v_mbcnt_lo_u32_b32 v3, -1, 0
	s_cbranch_scc0 .LBB31_185
; %bb.180:
	s_add_u32 s0, s18, s2
	s_addc_u32 s1, s19, 0
	global_load_ubyte v1, v0, s[0:1]
	v_mov_b32_e32 v2, 0
	v_mbcnt_hi_u32_b32 v4, -1, v3
	v_lshlrev_b32_e32 v5, 2, v4
	v_mov_b32_dpp v2, v2 quad_perm:[1,0,3,2] row_mask:0xf bank_mask:0xf bound_ctrl:1
	v_or_b32_e32 v6, 0xfc, v5
	s_waitcnt vmcnt(0)
	v_cmp_ne_u16_e32 vcc, 0, v1
	v_cndmask_b32_e64 v1, 0, 1, vcc
	s_nop 1
	v_mov_b32_dpp v7, v1 quad_perm:[1,0,3,2] row_mask:0xf bank_mask:0xf bound_ctrl:1
	v_add_co_u32_e32 v1, vcc, v7, v1
	v_addc_co_u32_e64 v7, s[0:1], 0, 0, vcc
	v_add_co_u32_e32 v8, vcc, 0, v1
	v_addc_co_u32_e32 v2, vcc, v2, v7, vcc
	v_mov_b32_dpp v1, v1 quad_perm:[2,3,0,1] row_mask:0xf bank_mask:0xf bound_ctrl:1
	v_add_co_u32_e32 v1, vcc, v8, v1
	v_mov_b32_dpp v7, v2 quad_perm:[2,3,0,1] row_mask:0xf bank_mask:0xf bound_ctrl:1
	v_addc_co_u32_e32 v2, vcc, 0, v2, vcc
	v_add_co_u32_e32 v8, vcc, 0, v1
	v_addc_co_u32_e32 v2, vcc, v2, v7, vcc
	v_mov_b32_dpp v1, v1 row_ror:4 row_mask:0xf bank_mask:0xf bound_ctrl:1
	v_add_co_u32_e32 v1, vcc, v8, v1
	v_mov_b32_dpp v7, v2 row_ror:4 row_mask:0xf bank_mask:0xf bound_ctrl:1
	v_addc_co_u32_e32 v2, vcc, 0, v2, vcc
	v_add_co_u32_e32 v8, vcc, 0, v1
	v_addc_co_u32_e32 v2, vcc, v2, v7, vcc
	v_mov_b32_dpp v1, v1 row_ror:8 row_mask:0xf bank_mask:0xf bound_ctrl:1
	v_add_co_u32_e32 v1, vcc, v8, v1
	v_mov_b32_dpp v7, v2 row_ror:8 row_mask:0xf bank_mask:0xf bound_ctrl:1
	v_addc_co_u32_e32 v2, vcc, 0, v2, vcc
	v_add_co_u32_e32 v8, vcc, 0, v1
	v_addc_co_u32_e32 v2, vcc, v2, v7, vcc
	v_mov_b32_dpp v1, v1 row_bcast:15 row_mask:0xf bank_mask:0xf bound_ctrl:1
	v_add_co_u32_e32 v1, vcc, v8, v1
	v_mov_b32_dpp v7, v2 row_bcast:15 row_mask:0xf bank_mask:0xf bound_ctrl:1
	v_addc_co_u32_e32 v2, vcc, 0, v2, vcc
	v_add_co_u32_e32 v8, vcc, 0, v1
	v_addc_co_u32_e32 v2, vcc, v2, v7, vcc
	v_mov_b32_dpp v1, v1 row_bcast:31 row_mask:0xf bank_mask:0xf bound_ctrl:1
	v_add_co_u32_e32 v1, vcc, v8, v1
	v_addc_co_u32_e32 v7, vcc, 0, v2, vcc
	ds_bpermute_b32 v1, v6, v1
	s_nop 0
	v_add_u32_dpp v2, v2, v7 row_bcast:31 row_mask:0xf bank_mask:0xf bound_ctrl:1
	ds_bpermute_b32 v2, v6, v2
	v_cmp_eq_u32_e32 vcc, 0, v4
	s_and_saveexec_b64 s[0:1], vcc
	s_cbranch_execz .LBB31_182
; %bb.181:
	v_lshrrev_b32_e32 v6, 3, v0
	v_and_b32_e32 v6, 24, v6
	s_waitcnt lgkmcnt(0)
	ds_write_b64 v6, v[1:2] offset:32
.LBB31_182:
	s_or_b64 exec, exec, s[0:1]
	v_cmp_gt_u32_e32 vcc, 64, v0
	s_waitcnt lgkmcnt(0)
	s_barrier
	s_and_saveexec_b64 s[0:1], vcc
	s_cbranch_execz .LBB31_184
; %bb.183:
	v_and_b32_e32 v6, 3, v4
	v_lshlrev_b32_e32 v1, 3, v6
	ds_read_b64 v[1:2], v1 offset:32
	v_cmp_ne_u32_e32 vcc, 3, v6
	v_addc_co_u32_e32 v4, vcc, 0, v4, vcc
	v_lshlrev_b32_e32 v4, 2, v4
	s_waitcnt lgkmcnt(0)
	ds_bpermute_b32 v6, v4, v1
	ds_bpermute_b32 v4, v4, v2
	v_or_b32_e32 v5, 8, v5
	s_waitcnt lgkmcnt(1)
	v_add_co_u32_e32 v1, vcc, v1, v6
	v_addc_co_u32_e32 v2, vcc, 0, v2, vcc
	ds_bpermute_b32 v6, v5, v1
	v_add_co_u32_e32 v1, vcc, 0, v1
	s_waitcnt lgkmcnt(1)
	v_addc_co_u32_e32 v2, vcc, v4, v2, vcc
	ds_bpermute_b32 v4, v5, v2
	s_waitcnt lgkmcnt(1)
	v_add_co_u32_e32 v1, vcc, v1, v6
	v_addc_co_u32_e32 v2, vcc, 0, v2, vcc
	v_add_co_u32_e32 v1, vcc, 0, v1
	s_waitcnt lgkmcnt(0)
	v_addc_co_u32_e32 v2, vcc, v2, v4, vcc
.LBB31_184:
	s_or_b64 exec, exec, s[0:1]
	s_branch .LBB31_205
.LBB31_185:
                                        ; implicit-def: $vgpr1_vgpr2
	s_cbranch_execz .LBB31_205
; %bb.186:
	s_sub_i32 s3, s20, s2
	v_cmp_gt_u32_e32 vcc, s3, v0
                                        ; implicit-def: $vgpr1_vgpr2
	s_and_saveexec_b64 s[0:1], vcc
	s_cbranch_execz .LBB31_188
; %bb.187:
	s_add_u32 s8, s18, s2
	s_addc_u32 s9, s19, 0
	global_load_ubyte v1, v0, s[8:9]
	s_mov_b32 s2, 0
	v_mov_b32_e32 v2, s2
	s_waitcnt vmcnt(0)
	v_cmp_ne_u16_e32 vcc, 0, v1
	v_cndmask_b32_e64 v1, 0, 1, vcc
.LBB31_188:
	s_or_b64 exec, exec, s[0:1]
	v_mbcnt_hi_u32_b32 v3, -1, v3
	v_and_b32_e32 v4, 63, v3
	v_cmp_ne_u32_e32 vcc, 63, v4
	v_addc_co_u32_e32 v6, vcc, 0, v3, vcc
	v_lshlrev_b32_e32 v6, 2, v6
	ds_bpermute_b32 v8, v6, v1
	ds_bpermute_b32 v7, v6, v2
	s_min_u32 s2, s3, 0x100
	v_and_b32_e32 v5, 0xc0, v0
	v_sub_u32_e64 v5, s2, v5 clamp
	v_add_u32_e32 v6, 1, v4
	v_cmp_lt_u32_e32 vcc, v6, v5
	v_mov_b32_e32 v6, v1
	s_and_saveexec_b64 s[0:1], vcc
	s_cbranch_execz .LBB31_190
; %bb.189:
	s_waitcnt lgkmcnt(1)
	v_add_co_u32_e32 v6, vcc, v1, v8
	v_addc_co_u32_e32 v2, vcc, 0, v2, vcc
	v_add_co_u32_e32 v1, vcc, 0, v6
	s_waitcnt lgkmcnt(0)
	v_addc_co_u32_e32 v2, vcc, v7, v2, vcc
.LBB31_190:
	s_or_b64 exec, exec, s[0:1]
	v_cmp_gt_u32_e32 vcc, 62, v4
	s_waitcnt lgkmcnt(0)
	v_cndmask_b32_e64 v7, 0, 2, vcc
	v_add_lshl_u32 v7, v7, v3, 2
	ds_bpermute_b32 v8, v7, v6
	ds_bpermute_b32 v7, v7, v2
	v_add_u32_e32 v9, 2, v4
	v_cmp_lt_u32_e32 vcc, v9, v5
	s_and_saveexec_b64 s[0:1], vcc
	s_cbranch_execz .LBB31_192
; %bb.191:
	s_waitcnt lgkmcnt(1)
	v_add_co_u32_e32 v6, vcc, v1, v8
	v_addc_co_u32_e32 v2, vcc, 0, v2, vcc
	v_add_co_u32_e32 v1, vcc, 0, v6
	s_waitcnt lgkmcnt(0)
	v_addc_co_u32_e32 v2, vcc, v7, v2, vcc
.LBB31_192:
	s_or_b64 exec, exec, s[0:1]
	v_cmp_gt_u32_e32 vcc, 60, v4
	s_waitcnt lgkmcnt(0)
	v_cndmask_b32_e64 v7, 0, 4, vcc
	v_add_lshl_u32 v7, v7, v3, 2
	ds_bpermute_b32 v8, v7, v6
	ds_bpermute_b32 v7, v7, v2
	v_add_u32_e32 v9, 4, v4
	v_cmp_lt_u32_e32 vcc, v9, v5
	s_and_saveexec_b64 s[0:1], vcc
	s_cbranch_execz .LBB31_194
; %bb.193:
	s_waitcnt lgkmcnt(1)
	v_add_co_u32_e32 v6, vcc, v1, v8
	v_addc_co_u32_e32 v2, vcc, 0, v2, vcc
	v_add_co_u32_e32 v1, vcc, 0, v6
	s_waitcnt lgkmcnt(0)
	v_addc_co_u32_e32 v2, vcc, v7, v2, vcc
.LBB31_194:
	s_or_b64 exec, exec, s[0:1]
	v_cmp_gt_u32_e32 vcc, 56, v4
	s_waitcnt lgkmcnt(0)
	v_cndmask_b32_e64 v7, 0, 8, vcc
	v_add_lshl_u32 v7, v7, v3, 2
	ds_bpermute_b32 v8, v7, v6
	ds_bpermute_b32 v7, v7, v2
	v_add_u32_e32 v9, 8, v4
	v_cmp_lt_u32_e32 vcc, v9, v5
	s_and_saveexec_b64 s[0:1], vcc
	s_cbranch_execz .LBB31_196
; %bb.195:
	s_waitcnt lgkmcnt(1)
	v_add_co_u32_e32 v6, vcc, v1, v8
	v_addc_co_u32_e32 v2, vcc, 0, v2, vcc
	v_add_co_u32_e32 v1, vcc, 0, v6
	s_waitcnt lgkmcnt(0)
	v_addc_co_u32_e32 v2, vcc, v7, v2, vcc
.LBB31_196:
	s_or_b64 exec, exec, s[0:1]
	v_cmp_gt_u32_e32 vcc, 48, v4
	s_waitcnt lgkmcnt(0)
	v_cndmask_b32_e64 v7, 0, 16, vcc
	v_add_lshl_u32 v7, v7, v3, 2
	ds_bpermute_b32 v8, v7, v6
	ds_bpermute_b32 v7, v7, v2
	v_add_u32_e32 v9, 16, v4
	v_cmp_lt_u32_e32 vcc, v9, v5
	s_and_saveexec_b64 s[0:1], vcc
	s_cbranch_execz .LBB31_198
; %bb.197:
	s_waitcnt lgkmcnt(1)
	v_add_co_u32_e32 v6, vcc, v1, v8
	v_addc_co_u32_e32 v2, vcc, 0, v2, vcc
	v_add_co_u32_e32 v1, vcc, 0, v6
	s_waitcnt lgkmcnt(0)
	v_addc_co_u32_e32 v2, vcc, v7, v2, vcc
.LBB31_198:
	s_or_b64 exec, exec, s[0:1]
	s_waitcnt lgkmcnt(0)
	v_lshlrev_b32_e32 v7, 2, v3
	v_or_b32_e32 v8, 0x80, v7
	ds_bpermute_b32 v6, v8, v6
	ds_bpermute_b32 v8, v8, v2
	v_add_u32_e32 v4, 32, v4
	s_waitcnt lgkmcnt(1)
	v_add_co_u32_e32 v6, vcc, v1, v6
	v_addc_co_u32_e32 v9, vcc, 0, v2, vcc
	v_add_co_u32_e32 v6, vcc, 0, v6
	s_waitcnt lgkmcnt(0)
	v_addc_co_u32_e32 v8, vcc, v9, v8, vcc
	v_cmp_lt_u32_e32 vcc, v4, v5
	v_cndmask_b32_e32 v2, v2, v8, vcc
	v_cndmask_b32_e32 v1, v1, v6, vcc
	v_cmp_eq_u32_e32 vcc, 0, v3
	s_and_saveexec_b64 s[0:1], vcc
; %bb.199:
	v_lshrrev_b32_e32 v4, 3, v0
	v_and_b32_e32 v4, 24, v4
	ds_write_b64 v4, v[1:2] offset:160
; %bb.200:
	s_or_b64 exec, exec, s[0:1]
	v_cmp_gt_u32_e32 vcc, 4, v0
	s_waitcnt lgkmcnt(0)
	s_barrier
	s_and_saveexec_b64 s[0:1], vcc
	s_cbranch_execz .LBB31_204
; %bb.201:
	v_lshlrev_b32_e32 v1, 3, v3
	ds_read_b64 v[1:2], v1 offset:160
	v_and_b32_e32 v4, 3, v3
	v_cmp_ne_u32_e32 vcc, 3, v4
	v_addc_co_u32_e32 v3, vcc, 0, v3, vcc
	v_lshlrev_b32_e32 v3, 2, v3
	s_waitcnt lgkmcnt(0)
	ds_bpermute_b32 v6, v3, v1
	ds_bpermute_b32 v5, v3, v2
	s_add_i32 s2, s2, 63
	s_lshr_b32 s8, s2, 6
	v_add_u32_e32 v3, 1, v4
	v_cmp_gt_u32_e32 vcc, s8, v3
	v_mov_b32_e32 v3, v1
	s_and_saveexec_b64 s[2:3], vcc
	s_cbranch_execz .LBB31_203
; %bb.202:
	s_waitcnt lgkmcnt(1)
	v_add_co_u32_e32 v3, vcc, v1, v6
	v_addc_co_u32_e32 v2, vcc, 0, v2, vcc
	v_add_co_u32_e32 v1, vcc, 0, v3
	s_waitcnt lgkmcnt(0)
	v_addc_co_u32_e32 v2, vcc, v5, v2, vcc
.LBB31_203:
	s_or_b64 exec, exec, s[2:3]
	s_waitcnt lgkmcnt(0)
	v_or_b32_e32 v5, 8, v7
	ds_bpermute_b32 v3, v5, v3
	ds_bpermute_b32 v5, v5, v2
	v_add_u32_e32 v4, 2, v4
	s_waitcnt lgkmcnt(1)
	v_add_co_u32_e32 v3, vcc, v1, v3
	v_addc_co_u32_e32 v6, vcc, 0, v2, vcc
	v_add_co_u32_e32 v3, vcc, 0, v3
	s_waitcnt lgkmcnt(0)
	v_addc_co_u32_e32 v5, vcc, v6, v5, vcc
	v_cmp_gt_u32_e32 vcc, s8, v4
	v_cndmask_b32_e32 v2, v2, v5, vcc
	v_cndmask_b32_e32 v1, v1, v3, vcc
.LBB31_204:
	s_or_b64 exec, exec, s[0:1]
.LBB31_205:
	v_mov_b32_e32 v3, s6
	v_cmp_eq_u32_e64 s[2:3], 0, v0
	v_mov_b32_e32 v4, s7
.LBB31_206:
	s_and_saveexec_b64 s[0:1], s[2:3]
	s_cbranch_execz .LBB31_208
; %bb.207:
	v_lshlrev_b64 v[3:4], 3, v[3:4]
	s_load_dwordx2 s[0:1], s[4:5], 0x28
	v_mov_b32_e32 v0, s23
	v_add_co_u32_e32 v3, vcc, s22, v3
	v_addc_co_u32_e32 v4, vcc, v0, v4, vcc
	s_cmp_lg_u64 s[20:21], 0
	s_cselect_b64 vcc, -1, 0
	v_cndmask_b32_e32 v0, 0, v1, vcc
	v_cndmask_b32_e32 v2, 0, v2, vcc
	s_waitcnt lgkmcnt(0)
	v_mov_b32_e32 v1, s1
	v_add_co_u32_e32 v0, vcc, s0, v0
	v_addc_co_u32_e32 v1, vcc, v2, v1, vcc
	global_store_dwordx2 v[3:4], v[0:1], off
.LBB31_208:
	s_endpgm
	.section	.rodata,"a",@progbits
	.p2align	6, 0x0
	.amdhsa_kernel _ZN7rocprim17ROCPRIM_400000_NS6detail17trampoline_kernelINS0_14default_configENS1_22reduce_config_selectorIlEEZNS1_11reduce_implILb1ES3_N6thrust23THRUST_200600_302600_NS11hip_rocprim26transform_input_iterator_tIlPKhZN2at6native8ModeImplIbEclEPKbSI_EUlhE_EEPllNS8_4plusIlEEEE10hipError_tPvRmT1_T2_T3_mT4_P12ihipStream_tbEUlT_E1_NS1_11comp_targetILNS1_3genE2ELNS1_11target_archE906ELNS1_3gpuE6ELNS1_3repE0EEENS1_30default_config_static_selectorELNS0_4arch9wavefront6targetE1EEEvSR_
		.amdhsa_group_segment_fixed_size 192
		.amdhsa_private_segment_fixed_size 0
		.amdhsa_kernarg_size 56
		.amdhsa_user_sgpr_count 6
		.amdhsa_user_sgpr_private_segment_buffer 1
		.amdhsa_user_sgpr_dispatch_ptr 0
		.amdhsa_user_sgpr_queue_ptr 0
		.amdhsa_user_sgpr_kernarg_segment_ptr 1
		.amdhsa_user_sgpr_dispatch_id 0
		.amdhsa_user_sgpr_flat_scratch_init 0
		.amdhsa_user_sgpr_private_segment_size 0
		.amdhsa_uses_dynamic_stack 0
		.amdhsa_system_sgpr_private_segment_wavefront_offset 0
		.amdhsa_system_sgpr_workgroup_id_x 1
		.amdhsa_system_sgpr_workgroup_id_y 0
		.amdhsa_system_sgpr_workgroup_id_z 0
		.amdhsa_system_sgpr_workgroup_info 0
		.amdhsa_system_vgpr_workitem_id 0
		.amdhsa_next_free_vgpr 34
		.amdhsa_next_free_sgpr 29
		.amdhsa_reserve_vcc 1
		.amdhsa_reserve_flat_scratch 0
		.amdhsa_float_round_mode_32 0
		.amdhsa_float_round_mode_16_64 0
		.amdhsa_float_denorm_mode_32 3
		.amdhsa_float_denorm_mode_16_64 3
		.amdhsa_dx10_clamp 1
		.amdhsa_ieee_mode 1
		.amdhsa_fp16_overflow 0
		.amdhsa_exception_fp_ieee_invalid_op 0
		.amdhsa_exception_fp_denorm_src 0
		.amdhsa_exception_fp_ieee_div_zero 0
		.amdhsa_exception_fp_ieee_overflow 0
		.amdhsa_exception_fp_ieee_underflow 0
		.amdhsa_exception_fp_ieee_inexact 0
		.amdhsa_exception_int_div_zero 0
	.end_amdhsa_kernel
	.section	.text._ZN7rocprim17ROCPRIM_400000_NS6detail17trampoline_kernelINS0_14default_configENS1_22reduce_config_selectorIlEEZNS1_11reduce_implILb1ES3_N6thrust23THRUST_200600_302600_NS11hip_rocprim26transform_input_iterator_tIlPKhZN2at6native8ModeImplIbEclEPKbSI_EUlhE_EEPllNS8_4plusIlEEEE10hipError_tPvRmT1_T2_T3_mT4_P12ihipStream_tbEUlT_E1_NS1_11comp_targetILNS1_3genE2ELNS1_11target_archE906ELNS1_3gpuE6ELNS1_3repE0EEENS1_30default_config_static_selectorELNS0_4arch9wavefront6targetE1EEEvSR_,"axG",@progbits,_ZN7rocprim17ROCPRIM_400000_NS6detail17trampoline_kernelINS0_14default_configENS1_22reduce_config_selectorIlEEZNS1_11reduce_implILb1ES3_N6thrust23THRUST_200600_302600_NS11hip_rocprim26transform_input_iterator_tIlPKhZN2at6native8ModeImplIbEclEPKbSI_EUlhE_EEPllNS8_4plusIlEEEE10hipError_tPvRmT1_T2_T3_mT4_P12ihipStream_tbEUlT_E1_NS1_11comp_targetILNS1_3genE2ELNS1_11target_archE906ELNS1_3gpuE6ELNS1_3repE0EEENS1_30default_config_static_selectorELNS0_4arch9wavefront6targetE1EEEvSR_,comdat
.Lfunc_end31:
	.size	_ZN7rocprim17ROCPRIM_400000_NS6detail17trampoline_kernelINS0_14default_configENS1_22reduce_config_selectorIlEEZNS1_11reduce_implILb1ES3_N6thrust23THRUST_200600_302600_NS11hip_rocprim26transform_input_iterator_tIlPKhZN2at6native8ModeImplIbEclEPKbSI_EUlhE_EEPllNS8_4plusIlEEEE10hipError_tPvRmT1_T2_T3_mT4_P12ihipStream_tbEUlT_E1_NS1_11comp_targetILNS1_3genE2ELNS1_11target_archE906ELNS1_3gpuE6ELNS1_3repE0EEENS1_30default_config_static_selectorELNS0_4arch9wavefront6targetE1EEEvSR_, .Lfunc_end31-_ZN7rocprim17ROCPRIM_400000_NS6detail17trampoline_kernelINS0_14default_configENS1_22reduce_config_selectorIlEEZNS1_11reduce_implILb1ES3_N6thrust23THRUST_200600_302600_NS11hip_rocprim26transform_input_iterator_tIlPKhZN2at6native8ModeImplIbEclEPKbSI_EUlhE_EEPllNS8_4plusIlEEEE10hipError_tPvRmT1_T2_T3_mT4_P12ihipStream_tbEUlT_E1_NS1_11comp_targetILNS1_3genE2ELNS1_11target_archE906ELNS1_3gpuE6ELNS1_3repE0EEENS1_30default_config_static_selectorELNS0_4arch9wavefront6targetE1EEEvSR_
                                        ; -- End function
	.set _ZN7rocprim17ROCPRIM_400000_NS6detail17trampoline_kernelINS0_14default_configENS1_22reduce_config_selectorIlEEZNS1_11reduce_implILb1ES3_N6thrust23THRUST_200600_302600_NS11hip_rocprim26transform_input_iterator_tIlPKhZN2at6native8ModeImplIbEclEPKbSI_EUlhE_EEPllNS8_4plusIlEEEE10hipError_tPvRmT1_T2_T3_mT4_P12ihipStream_tbEUlT_E1_NS1_11comp_targetILNS1_3genE2ELNS1_11target_archE906ELNS1_3gpuE6ELNS1_3repE0EEENS1_30default_config_static_selectorELNS0_4arch9wavefront6targetE1EEEvSR_.num_vgpr, 34
	.set _ZN7rocprim17ROCPRIM_400000_NS6detail17trampoline_kernelINS0_14default_configENS1_22reduce_config_selectorIlEEZNS1_11reduce_implILb1ES3_N6thrust23THRUST_200600_302600_NS11hip_rocprim26transform_input_iterator_tIlPKhZN2at6native8ModeImplIbEclEPKbSI_EUlhE_EEPllNS8_4plusIlEEEE10hipError_tPvRmT1_T2_T3_mT4_P12ihipStream_tbEUlT_E1_NS1_11comp_targetILNS1_3genE2ELNS1_11target_archE906ELNS1_3gpuE6ELNS1_3repE0EEENS1_30default_config_static_selectorELNS0_4arch9wavefront6targetE1EEEvSR_.num_agpr, 0
	.set _ZN7rocprim17ROCPRIM_400000_NS6detail17trampoline_kernelINS0_14default_configENS1_22reduce_config_selectorIlEEZNS1_11reduce_implILb1ES3_N6thrust23THRUST_200600_302600_NS11hip_rocprim26transform_input_iterator_tIlPKhZN2at6native8ModeImplIbEclEPKbSI_EUlhE_EEPllNS8_4plusIlEEEE10hipError_tPvRmT1_T2_T3_mT4_P12ihipStream_tbEUlT_E1_NS1_11comp_targetILNS1_3genE2ELNS1_11target_archE906ELNS1_3gpuE6ELNS1_3repE0EEENS1_30default_config_static_selectorELNS0_4arch9wavefront6targetE1EEEvSR_.numbered_sgpr, 29
	.set _ZN7rocprim17ROCPRIM_400000_NS6detail17trampoline_kernelINS0_14default_configENS1_22reduce_config_selectorIlEEZNS1_11reduce_implILb1ES3_N6thrust23THRUST_200600_302600_NS11hip_rocprim26transform_input_iterator_tIlPKhZN2at6native8ModeImplIbEclEPKbSI_EUlhE_EEPllNS8_4plusIlEEEE10hipError_tPvRmT1_T2_T3_mT4_P12ihipStream_tbEUlT_E1_NS1_11comp_targetILNS1_3genE2ELNS1_11target_archE906ELNS1_3gpuE6ELNS1_3repE0EEENS1_30default_config_static_selectorELNS0_4arch9wavefront6targetE1EEEvSR_.num_named_barrier, 0
	.set _ZN7rocprim17ROCPRIM_400000_NS6detail17trampoline_kernelINS0_14default_configENS1_22reduce_config_selectorIlEEZNS1_11reduce_implILb1ES3_N6thrust23THRUST_200600_302600_NS11hip_rocprim26transform_input_iterator_tIlPKhZN2at6native8ModeImplIbEclEPKbSI_EUlhE_EEPllNS8_4plusIlEEEE10hipError_tPvRmT1_T2_T3_mT4_P12ihipStream_tbEUlT_E1_NS1_11comp_targetILNS1_3genE2ELNS1_11target_archE906ELNS1_3gpuE6ELNS1_3repE0EEENS1_30default_config_static_selectorELNS0_4arch9wavefront6targetE1EEEvSR_.private_seg_size, 0
	.set _ZN7rocprim17ROCPRIM_400000_NS6detail17trampoline_kernelINS0_14default_configENS1_22reduce_config_selectorIlEEZNS1_11reduce_implILb1ES3_N6thrust23THRUST_200600_302600_NS11hip_rocprim26transform_input_iterator_tIlPKhZN2at6native8ModeImplIbEclEPKbSI_EUlhE_EEPllNS8_4plusIlEEEE10hipError_tPvRmT1_T2_T3_mT4_P12ihipStream_tbEUlT_E1_NS1_11comp_targetILNS1_3genE2ELNS1_11target_archE906ELNS1_3gpuE6ELNS1_3repE0EEENS1_30default_config_static_selectorELNS0_4arch9wavefront6targetE1EEEvSR_.uses_vcc, 1
	.set _ZN7rocprim17ROCPRIM_400000_NS6detail17trampoline_kernelINS0_14default_configENS1_22reduce_config_selectorIlEEZNS1_11reduce_implILb1ES3_N6thrust23THRUST_200600_302600_NS11hip_rocprim26transform_input_iterator_tIlPKhZN2at6native8ModeImplIbEclEPKbSI_EUlhE_EEPllNS8_4plusIlEEEE10hipError_tPvRmT1_T2_T3_mT4_P12ihipStream_tbEUlT_E1_NS1_11comp_targetILNS1_3genE2ELNS1_11target_archE906ELNS1_3gpuE6ELNS1_3repE0EEENS1_30default_config_static_selectorELNS0_4arch9wavefront6targetE1EEEvSR_.uses_flat_scratch, 0
	.set _ZN7rocprim17ROCPRIM_400000_NS6detail17trampoline_kernelINS0_14default_configENS1_22reduce_config_selectorIlEEZNS1_11reduce_implILb1ES3_N6thrust23THRUST_200600_302600_NS11hip_rocprim26transform_input_iterator_tIlPKhZN2at6native8ModeImplIbEclEPKbSI_EUlhE_EEPllNS8_4plusIlEEEE10hipError_tPvRmT1_T2_T3_mT4_P12ihipStream_tbEUlT_E1_NS1_11comp_targetILNS1_3genE2ELNS1_11target_archE906ELNS1_3gpuE6ELNS1_3repE0EEENS1_30default_config_static_selectorELNS0_4arch9wavefront6targetE1EEEvSR_.has_dyn_sized_stack, 0
	.set _ZN7rocprim17ROCPRIM_400000_NS6detail17trampoline_kernelINS0_14default_configENS1_22reduce_config_selectorIlEEZNS1_11reduce_implILb1ES3_N6thrust23THRUST_200600_302600_NS11hip_rocprim26transform_input_iterator_tIlPKhZN2at6native8ModeImplIbEclEPKbSI_EUlhE_EEPllNS8_4plusIlEEEE10hipError_tPvRmT1_T2_T3_mT4_P12ihipStream_tbEUlT_E1_NS1_11comp_targetILNS1_3genE2ELNS1_11target_archE906ELNS1_3gpuE6ELNS1_3repE0EEENS1_30default_config_static_selectorELNS0_4arch9wavefront6targetE1EEEvSR_.has_recursion, 0
	.set _ZN7rocprim17ROCPRIM_400000_NS6detail17trampoline_kernelINS0_14default_configENS1_22reduce_config_selectorIlEEZNS1_11reduce_implILb1ES3_N6thrust23THRUST_200600_302600_NS11hip_rocprim26transform_input_iterator_tIlPKhZN2at6native8ModeImplIbEclEPKbSI_EUlhE_EEPllNS8_4plusIlEEEE10hipError_tPvRmT1_T2_T3_mT4_P12ihipStream_tbEUlT_E1_NS1_11comp_targetILNS1_3genE2ELNS1_11target_archE906ELNS1_3gpuE6ELNS1_3repE0EEENS1_30default_config_static_selectorELNS0_4arch9wavefront6targetE1EEEvSR_.has_indirect_call, 0
	.section	.AMDGPU.csdata,"",@progbits
; Kernel info:
; codeLenInByte = 9800
; TotalNumSgprs: 33
; NumVgprs: 34
; ScratchSize: 0
; MemoryBound: 0
; FloatMode: 240
; IeeeMode: 1
; LDSByteSize: 192 bytes/workgroup (compile time only)
; SGPRBlocks: 4
; VGPRBlocks: 8
; NumSGPRsForWavesPerEU: 33
; NumVGPRsForWavesPerEU: 34
; Occupancy: 7
; WaveLimiterHint : 1
; COMPUTE_PGM_RSRC2:SCRATCH_EN: 0
; COMPUTE_PGM_RSRC2:USER_SGPR: 6
; COMPUTE_PGM_RSRC2:TRAP_HANDLER: 0
; COMPUTE_PGM_RSRC2:TGID_X_EN: 1
; COMPUTE_PGM_RSRC2:TGID_Y_EN: 0
; COMPUTE_PGM_RSRC2:TGID_Z_EN: 0
; COMPUTE_PGM_RSRC2:TIDIG_COMP_CNT: 0
	.section	.text._ZN7rocprim17ROCPRIM_400000_NS6detail17trampoline_kernelINS0_14default_configENS1_22reduce_config_selectorIlEEZNS1_11reduce_implILb1ES3_N6thrust23THRUST_200600_302600_NS11hip_rocprim26transform_input_iterator_tIlPKhZN2at6native8ModeImplIbEclEPKbSI_EUlhE_EEPllNS8_4plusIlEEEE10hipError_tPvRmT1_T2_T3_mT4_P12ihipStream_tbEUlT_E1_NS1_11comp_targetILNS1_3genE10ELNS1_11target_archE1201ELNS1_3gpuE5ELNS1_3repE0EEENS1_30default_config_static_selectorELNS0_4arch9wavefront6targetE1EEEvSR_,"axG",@progbits,_ZN7rocprim17ROCPRIM_400000_NS6detail17trampoline_kernelINS0_14default_configENS1_22reduce_config_selectorIlEEZNS1_11reduce_implILb1ES3_N6thrust23THRUST_200600_302600_NS11hip_rocprim26transform_input_iterator_tIlPKhZN2at6native8ModeImplIbEclEPKbSI_EUlhE_EEPllNS8_4plusIlEEEE10hipError_tPvRmT1_T2_T3_mT4_P12ihipStream_tbEUlT_E1_NS1_11comp_targetILNS1_3genE10ELNS1_11target_archE1201ELNS1_3gpuE5ELNS1_3repE0EEENS1_30default_config_static_selectorELNS0_4arch9wavefront6targetE1EEEvSR_,comdat
	.protected	_ZN7rocprim17ROCPRIM_400000_NS6detail17trampoline_kernelINS0_14default_configENS1_22reduce_config_selectorIlEEZNS1_11reduce_implILb1ES3_N6thrust23THRUST_200600_302600_NS11hip_rocprim26transform_input_iterator_tIlPKhZN2at6native8ModeImplIbEclEPKbSI_EUlhE_EEPllNS8_4plusIlEEEE10hipError_tPvRmT1_T2_T3_mT4_P12ihipStream_tbEUlT_E1_NS1_11comp_targetILNS1_3genE10ELNS1_11target_archE1201ELNS1_3gpuE5ELNS1_3repE0EEENS1_30default_config_static_selectorELNS0_4arch9wavefront6targetE1EEEvSR_ ; -- Begin function _ZN7rocprim17ROCPRIM_400000_NS6detail17trampoline_kernelINS0_14default_configENS1_22reduce_config_selectorIlEEZNS1_11reduce_implILb1ES3_N6thrust23THRUST_200600_302600_NS11hip_rocprim26transform_input_iterator_tIlPKhZN2at6native8ModeImplIbEclEPKbSI_EUlhE_EEPllNS8_4plusIlEEEE10hipError_tPvRmT1_T2_T3_mT4_P12ihipStream_tbEUlT_E1_NS1_11comp_targetILNS1_3genE10ELNS1_11target_archE1201ELNS1_3gpuE5ELNS1_3repE0EEENS1_30default_config_static_selectorELNS0_4arch9wavefront6targetE1EEEvSR_
	.globl	_ZN7rocprim17ROCPRIM_400000_NS6detail17trampoline_kernelINS0_14default_configENS1_22reduce_config_selectorIlEEZNS1_11reduce_implILb1ES3_N6thrust23THRUST_200600_302600_NS11hip_rocprim26transform_input_iterator_tIlPKhZN2at6native8ModeImplIbEclEPKbSI_EUlhE_EEPllNS8_4plusIlEEEE10hipError_tPvRmT1_T2_T3_mT4_P12ihipStream_tbEUlT_E1_NS1_11comp_targetILNS1_3genE10ELNS1_11target_archE1201ELNS1_3gpuE5ELNS1_3repE0EEENS1_30default_config_static_selectorELNS0_4arch9wavefront6targetE1EEEvSR_
	.p2align	8
	.type	_ZN7rocprim17ROCPRIM_400000_NS6detail17trampoline_kernelINS0_14default_configENS1_22reduce_config_selectorIlEEZNS1_11reduce_implILb1ES3_N6thrust23THRUST_200600_302600_NS11hip_rocprim26transform_input_iterator_tIlPKhZN2at6native8ModeImplIbEclEPKbSI_EUlhE_EEPllNS8_4plusIlEEEE10hipError_tPvRmT1_T2_T3_mT4_P12ihipStream_tbEUlT_E1_NS1_11comp_targetILNS1_3genE10ELNS1_11target_archE1201ELNS1_3gpuE5ELNS1_3repE0EEENS1_30default_config_static_selectorELNS0_4arch9wavefront6targetE1EEEvSR_,@function
_ZN7rocprim17ROCPRIM_400000_NS6detail17trampoline_kernelINS0_14default_configENS1_22reduce_config_selectorIlEEZNS1_11reduce_implILb1ES3_N6thrust23THRUST_200600_302600_NS11hip_rocprim26transform_input_iterator_tIlPKhZN2at6native8ModeImplIbEclEPKbSI_EUlhE_EEPllNS8_4plusIlEEEE10hipError_tPvRmT1_T2_T3_mT4_P12ihipStream_tbEUlT_E1_NS1_11comp_targetILNS1_3genE10ELNS1_11target_archE1201ELNS1_3gpuE5ELNS1_3repE0EEENS1_30default_config_static_selectorELNS0_4arch9wavefront6targetE1EEEvSR_: ; @_ZN7rocprim17ROCPRIM_400000_NS6detail17trampoline_kernelINS0_14default_configENS1_22reduce_config_selectorIlEEZNS1_11reduce_implILb1ES3_N6thrust23THRUST_200600_302600_NS11hip_rocprim26transform_input_iterator_tIlPKhZN2at6native8ModeImplIbEclEPKbSI_EUlhE_EEPllNS8_4plusIlEEEE10hipError_tPvRmT1_T2_T3_mT4_P12ihipStream_tbEUlT_E1_NS1_11comp_targetILNS1_3genE10ELNS1_11target_archE1201ELNS1_3gpuE5ELNS1_3repE0EEENS1_30default_config_static_selectorELNS0_4arch9wavefront6targetE1EEEvSR_
; %bb.0:
	.section	.rodata,"a",@progbits
	.p2align	6, 0x0
	.amdhsa_kernel _ZN7rocprim17ROCPRIM_400000_NS6detail17trampoline_kernelINS0_14default_configENS1_22reduce_config_selectorIlEEZNS1_11reduce_implILb1ES3_N6thrust23THRUST_200600_302600_NS11hip_rocprim26transform_input_iterator_tIlPKhZN2at6native8ModeImplIbEclEPKbSI_EUlhE_EEPllNS8_4plusIlEEEE10hipError_tPvRmT1_T2_T3_mT4_P12ihipStream_tbEUlT_E1_NS1_11comp_targetILNS1_3genE10ELNS1_11target_archE1201ELNS1_3gpuE5ELNS1_3repE0EEENS1_30default_config_static_selectorELNS0_4arch9wavefront6targetE1EEEvSR_
		.amdhsa_group_segment_fixed_size 0
		.amdhsa_private_segment_fixed_size 0
		.amdhsa_kernarg_size 56
		.amdhsa_user_sgpr_count 6
		.amdhsa_user_sgpr_private_segment_buffer 1
		.amdhsa_user_sgpr_dispatch_ptr 0
		.amdhsa_user_sgpr_queue_ptr 0
		.amdhsa_user_sgpr_kernarg_segment_ptr 1
		.amdhsa_user_sgpr_dispatch_id 0
		.amdhsa_user_sgpr_flat_scratch_init 0
		.amdhsa_user_sgpr_private_segment_size 0
		.amdhsa_uses_dynamic_stack 0
		.amdhsa_system_sgpr_private_segment_wavefront_offset 0
		.amdhsa_system_sgpr_workgroup_id_x 1
		.amdhsa_system_sgpr_workgroup_id_y 0
		.amdhsa_system_sgpr_workgroup_id_z 0
		.amdhsa_system_sgpr_workgroup_info 0
		.amdhsa_system_vgpr_workitem_id 0
		.amdhsa_next_free_vgpr 1
		.amdhsa_next_free_sgpr 0
		.amdhsa_reserve_vcc 0
		.amdhsa_reserve_flat_scratch 0
		.amdhsa_float_round_mode_32 0
		.amdhsa_float_round_mode_16_64 0
		.amdhsa_float_denorm_mode_32 3
		.amdhsa_float_denorm_mode_16_64 3
		.amdhsa_dx10_clamp 1
		.amdhsa_ieee_mode 1
		.amdhsa_fp16_overflow 0
		.amdhsa_exception_fp_ieee_invalid_op 0
		.amdhsa_exception_fp_denorm_src 0
		.amdhsa_exception_fp_ieee_div_zero 0
		.amdhsa_exception_fp_ieee_overflow 0
		.amdhsa_exception_fp_ieee_underflow 0
		.amdhsa_exception_fp_ieee_inexact 0
		.amdhsa_exception_int_div_zero 0
	.end_amdhsa_kernel
	.section	.text._ZN7rocprim17ROCPRIM_400000_NS6detail17trampoline_kernelINS0_14default_configENS1_22reduce_config_selectorIlEEZNS1_11reduce_implILb1ES3_N6thrust23THRUST_200600_302600_NS11hip_rocprim26transform_input_iterator_tIlPKhZN2at6native8ModeImplIbEclEPKbSI_EUlhE_EEPllNS8_4plusIlEEEE10hipError_tPvRmT1_T2_T3_mT4_P12ihipStream_tbEUlT_E1_NS1_11comp_targetILNS1_3genE10ELNS1_11target_archE1201ELNS1_3gpuE5ELNS1_3repE0EEENS1_30default_config_static_selectorELNS0_4arch9wavefront6targetE1EEEvSR_,"axG",@progbits,_ZN7rocprim17ROCPRIM_400000_NS6detail17trampoline_kernelINS0_14default_configENS1_22reduce_config_selectorIlEEZNS1_11reduce_implILb1ES3_N6thrust23THRUST_200600_302600_NS11hip_rocprim26transform_input_iterator_tIlPKhZN2at6native8ModeImplIbEclEPKbSI_EUlhE_EEPllNS8_4plusIlEEEE10hipError_tPvRmT1_T2_T3_mT4_P12ihipStream_tbEUlT_E1_NS1_11comp_targetILNS1_3genE10ELNS1_11target_archE1201ELNS1_3gpuE5ELNS1_3repE0EEENS1_30default_config_static_selectorELNS0_4arch9wavefront6targetE1EEEvSR_,comdat
.Lfunc_end32:
	.size	_ZN7rocprim17ROCPRIM_400000_NS6detail17trampoline_kernelINS0_14default_configENS1_22reduce_config_selectorIlEEZNS1_11reduce_implILb1ES3_N6thrust23THRUST_200600_302600_NS11hip_rocprim26transform_input_iterator_tIlPKhZN2at6native8ModeImplIbEclEPKbSI_EUlhE_EEPllNS8_4plusIlEEEE10hipError_tPvRmT1_T2_T3_mT4_P12ihipStream_tbEUlT_E1_NS1_11comp_targetILNS1_3genE10ELNS1_11target_archE1201ELNS1_3gpuE5ELNS1_3repE0EEENS1_30default_config_static_selectorELNS0_4arch9wavefront6targetE1EEEvSR_, .Lfunc_end32-_ZN7rocprim17ROCPRIM_400000_NS6detail17trampoline_kernelINS0_14default_configENS1_22reduce_config_selectorIlEEZNS1_11reduce_implILb1ES3_N6thrust23THRUST_200600_302600_NS11hip_rocprim26transform_input_iterator_tIlPKhZN2at6native8ModeImplIbEclEPKbSI_EUlhE_EEPllNS8_4plusIlEEEE10hipError_tPvRmT1_T2_T3_mT4_P12ihipStream_tbEUlT_E1_NS1_11comp_targetILNS1_3genE10ELNS1_11target_archE1201ELNS1_3gpuE5ELNS1_3repE0EEENS1_30default_config_static_selectorELNS0_4arch9wavefront6targetE1EEEvSR_
                                        ; -- End function
	.set _ZN7rocprim17ROCPRIM_400000_NS6detail17trampoline_kernelINS0_14default_configENS1_22reduce_config_selectorIlEEZNS1_11reduce_implILb1ES3_N6thrust23THRUST_200600_302600_NS11hip_rocprim26transform_input_iterator_tIlPKhZN2at6native8ModeImplIbEclEPKbSI_EUlhE_EEPllNS8_4plusIlEEEE10hipError_tPvRmT1_T2_T3_mT4_P12ihipStream_tbEUlT_E1_NS1_11comp_targetILNS1_3genE10ELNS1_11target_archE1201ELNS1_3gpuE5ELNS1_3repE0EEENS1_30default_config_static_selectorELNS0_4arch9wavefront6targetE1EEEvSR_.num_vgpr, 0
	.set _ZN7rocprim17ROCPRIM_400000_NS6detail17trampoline_kernelINS0_14default_configENS1_22reduce_config_selectorIlEEZNS1_11reduce_implILb1ES3_N6thrust23THRUST_200600_302600_NS11hip_rocprim26transform_input_iterator_tIlPKhZN2at6native8ModeImplIbEclEPKbSI_EUlhE_EEPllNS8_4plusIlEEEE10hipError_tPvRmT1_T2_T3_mT4_P12ihipStream_tbEUlT_E1_NS1_11comp_targetILNS1_3genE10ELNS1_11target_archE1201ELNS1_3gpuE5ELNS1_3repE0EEENS1_30default_config_static_selectorELNS0_4arch9wavefront6targetE1EEEvSR_.num_agpr, 0
	.set _ZN7rocprim17ROCPRIM_400000_NS6detail17trampoline_kernelINS0_14default_configENS1_22reduce_config_selectorIlEEZNS1_11reduce_implILb1ES3_N6thrust23THRUST_200600_302600_NS11hip_rocprim26transform_input_iterator_tIlPKhZN2at6native8ModeImplIbEclEPKbSI_EUlhE_EEPllNS8_4plusIlEEEE10hipError_tPvRmT1_T2_T3_mT4_P12ihipStream_tbEUlT_E1_NS1_11comp_targetILNS1_3genE10ELNS1_11target_archE1201ELNS1_3gpuE5ELNS1_3repE0EEENS1_30default_config_static_selectorELNS0_4arch9wavefront6targetE1EEEvSR_.numbered_sgpr, 0
	.set _ZN7rocprim17ROCPRIM_400000_NS6detail17trampoline_kernelINS0_14default_configENS1_22reduce_config_selectorIlEEZNS1_11reduce_implILb1ES3_N6thrust23THRUST_200600_302600_NS11hip_rocprim26transform_input_iterator_tIlPKhZN2at6native8ModeImplIbEclEPKbSI_EUlhE_EEPllNS8_4plusIlEEEE10hipError_tPvRmT1_T2_T3_mT4_P12ihipStream_tbEUlT_E1_NS1_11comp_targetILNS1_3genE10ELNS1_11target_archE1201ELNS1_3gpuE5ELNS1_3repE0EEENS1_30default_config_static_selectorELNS0_4arch9wavefront6targetE1EEEvSR_.num_named_barrier, 0
	.set _ZN7rocprim17ROCPRIM_400000_NS6detail17trampoline_kernelINS0_14default_configENS1_22reduce_config_selectorIlEEZNS1_11reduce_implILb1ES3_N6thrust23THRUST_200600_302600_NS11hip_rocprim26transform_input_iterator_tIlPKhZN2at6native8ModeImplIbEclEPKbSI_EUlhE_EEPllNS8_4plusIlEEEE10hipError_tPvRmT1_T2_T3_mT4_P12ihipStream_tbEUlT_E1_NS1_11comp_targetILNS1_3genE10ELNS1_11target_archE1201ELNS1_3gpuE5ELNS1_3repE0EEENS1_30default_config_static_selectorELNS0_4arch9wavefront6targetE1EEEvSR_.private_seg_size, 0
	.set _ZN7rocprim17ROCPRIM_400000_NS6detail17trampoline_kernelINS0_14default_configENS1_22reduce_config_selectorIlEEZNS1_11reduce_implILb1ES3_N6thrust23THRUST_200600_302600_NS11hip_rocprim26transform_input_iterator_tIlPKhZN2at6native8ModeImplIbEclEPKbSI_EUlhE_EEPllNS8_4plusIlEEEE10hipError_tPvRmT1_T2_T3_mT4_P12ihipStream_tbEUlT_E1_NS1_11comp_targetILNS1_3genE10ELNS1_11target_archE1201ELNS1_3gpuE5ELNS1_3repE0EEENS1_30default_config_static_selectorELNS0_4arch9wavefront6targetE1EEEvSR_.uses_vcc, 0
	.set _ZN7rocprim17ROCPRIM_400000_NS6detail17trampoline_kernelINS0_14default_configENS1_22reduce_config_selectorIlEEZNS1_11reduce_implILb1ES3_N6thrust23THRUST_200600_302600_NS11hip_rocprim26transform_input_iterator_tIlPKhZN2at6native8ModeImplIbEclEPKbSI_EUlhE_EEPllNS8_4plusIlEEEE10hipError_tPvRmT1_T2_T3_mT4_P12ihipStream_tbEUlT_E1_NS1_11comp_targetILNS1_3genE10ELNS1_11target_archE1201ELNS1_3gpuE5ELNS1_3repE0EEENS1_30default_config_static_selectorELNS0_4arch9wavefront6targetE1EEEvSR_.uses_flat_scratch, 0
	.set _ZN7rocprim17ROCPRIM_400000_NS6detail17trampoline_kernelINS0_14default_configENS1_22reduce_config_selectorIlEEZNS1_11reduce_implILb1ES3_N6thrust23THRUST_200600_302600_NS11hip_rocprim26transform_input_iterator_tIlPKhZN2at6native8ModeImplIbEclEPKbSI_EUlhE_EEPllNS8_4plusIlEEEE10hipError_tPvRmT1_T2_T3_mT4_P12ihipStream_tbEUlT_E1_NS1_11comp_targetILNS1_3genE10ELNS1_11target_archE1201ELNS1_3gpuE5ELNS1_3repE0EEENS1_30default_config_static_selectorELNS0_4arch9wavefront6targetE1EEEvSR_.has_dyn_sized_stack, 0
	.set _ZN7rocprim17ROCPRIM_400000_NS6detail17trampoline_kernelINS0_14default_configENS1_22reduce_config_selectorIlEEZNS1_11reduce_implILb1ES3_N6thrust23THRUST_200600_302600_NS11hip_rocprim26transform_input_iterator_tIlPKhZN2at6native8ModeImplIbEclEPKbSI_EUlhE_EEPllNS8_4plusIlEEEE10hipError_tPvRmT1_T2_T3_mT4_P12ihipStream_tbEUlT_E1_NS1_11comp_targetILNS1_3genE10ELNS1_11target_archE1201ELNS1_3gpuE5ELNS1_3repE0EEENS1_30default_config_static_selectorELNS0_4arch9wavefront6targetE1EEEvSR_.has_recursion, 0
	.set _ZN7rocprim17ROCPRIM_400000_NS6detail17trampoline_kernelINS0_14default_configENS1_22reduce_config_selectorIlEEZNS1_11reduce_implILb1ES3_N6thrust23THRUST_200600_302600_NS11hip_rocprim26transform_input_iterator_tIlPKhZN2at6native8ModeImplIbEclEPKbSI_EUlhE_EEPllNS8_4plusIlEEEE10hipError_tPvRmT1_T2_T3_mT4_P12ihipStream_tbEUlT_E1_NS1_11comp_targetILNS1_3genE10ELNS1_11target_archE1201ELNS1_3gpuE5ELNS1_3repE0EEENS1_30default_config_static_selectorELNS0_4arch9wavefront6targetE1EEEvSR_.has_indirect_call, 0
	.section	.AMDGPU.csdata,"",@progbits
; Kernel info:
; codeLenInByte = 0
; TotalNumSgprs: 4
; NumVgprs: 0
; ScratchSize: 0
; MemoryBound: 0
; FloatMode: 240
; IeeeMode: 1
; LDSByteSize: 0 bytes/workgroup (compile time only)
; SGPRBlocks: 0
; VGPRBlocks: 0
; NumSGPRsForWavesPerEU: 4
; NumVGPRsForWavesPerEU: 1
; Occupancy: 10
; WaveLimiterHint : 0
; COMPUTE_PGM_RSRC2:SCRATCH_EN: 0
; COMPUTE_PGM_RSRC2:USER_SGPR: 6
; COMPUTE_PGM_RSRC2:TRAP_HANDLER: 0
; COMPUTE_PGM_RSRC2:TGID_X_EN: 1
; COMPUTE_PGM_RSRC2:TGID_Y_EN: 0
; COMPUTE_PGM_RSRC2:TGID_Z_EN: 0
; COMPUTE_PGM_RSRC2:TIDIG_COMP_CNT: 0
	.section	.text._ZN7rocprim17ROCPRIM_400000_NS6detail17trampoline_kernelINS0_14default_configENS1_22reduce_config_selectorIlEEZNS1_11reduce_implILb1ES3_N6thrust23THRUST_200600_302600_NS11hip_rocprim26transform_input_iterator_tIlPKhZN2at6native8ModeImplIbEclEPKbSI_EUlhE_EEPllNS8_4plusIlEEEE10hipError_tPvRmT1_T2_T3_mT4_P12ihipStream_tbEUlT_E1_NS1_11comp_targetILNS1_3genE10ELNS1_11target_archE1200ELNS1_3gpuE4ELNS1_3repE0EEENS1_30default_config_static_selectorELNS0_4arch9wavefront6targetE1EEEvSR_,"axG",@progbits,_ZN7rocprim17ROCPRIM_400000_NS6detail17trampoline_kernelINS0_14default_configENS1_22reduce_config_selectorIlEEZNS1_11reduce_implILb1ES3_N6thrust23THRUST_200600_302600_NS11hip_rocprim26transform_input_iterator_tIlPKhZN2at6native8ModeImplIbEclEPKbSI_EUlhE_EEPllNS8_4plusIlEEEE10hipError_tPvRmT1_T2_T3_mT4_P12ihipStream_tbEUlT_E1_NS1_11comp_targetILNS1_3genE10ELNS1_11target_archE1200ELNS1_3gpuE4ELNS1_3repE0EEENS1_30default_config_static_selectorELNS0_4arch9wavefront6targetE1EEEvSR_,comdat
	.protected	_ZN7rocprim17ROCPRIM_400000_NS6detail17trampoline_kernelINS0_14default_configENS1_22reduce_config_selectorIlEEZNS1_11reduce_implILb1ES3_N6thrust23THRUST_200600_302600_NS11hip_rocprim26transform_input_iterator_tIlPKhZN2at6native8ModeImplIbEclEPKbSI_EUlhE_EEPllNS8_4plusIlEEEE10hipError_tPvRmT1_T2_T3_mT4_P12ihipStream_tbEUlT_E1_NS1_11comp_targetILNS1_3genE10ELNS1_11target_archE1200ELNS1_3gpuE4ELNS1_3repE0EEENS1_30default_config_static_selectorELNS0_4arch9wavefront6targetE1EEEvSR_ ; -- Begin function _ZN7rocprim17ROCPRIM_400000_NS6detail17trampoline_kernelINS0_14default_configENS1_22reduce_config_selectorIlEEZNS1_11reduce_implILb1ES3_N6thrust23THRUST_200600_302600_NS11hip_rocprim26transform_input_iterator_tIlPKhZN2at6native8ModeImplIbEclEPKbSI_EUlhE_EEPllNS8_4plusIlEEEE10hipError_tPvRmT1_T2_T3_mT4_P12ihipStream_tbEUlT_E1_NS1_11comp_targetILNS1_3genE10ELNS1_11target_archE1200ELNS1_3gpuE4ELNS1_3repE0EEENS1_30default_config_static_selectorELNS0_4arch9wavefront6targetE1EEEvSR_
	.globl	_ZN7rocprim17ROCPRIM_400000_NS6detail17trampoline_kernelINS0_14default_configENS1_22reduce_config_selectorIlEEZNS1_11reduce_implILb1ES3_N6thrust23THRUST_200600_302600_NS11hip_rocprim26transform_input_iterator_tIlPKhZN2at6native8ModeImplIbEclEPKbSI_EUlhE_EEPllNS8_4plusIlEEEE10hipError_tPvRmT1_T2_T3_mT4_P12ihipStream_tbEUlT_E1_NS1_11comp_targetILNS1_3genE10ELNS1_11target_archE1200ELNS1_3gpuE4ELNS1_3repE0EEENS1_30default_config_static_selectorELNS0_4arch9wavefront6targetE1EEEvSR_
	.p2align	8
	.type	_ZN7rocprim17ROCPRIM_400000_NS6detail17trampoline_kernelINS0_14default_configENS1_22reduce_config_selectorIlEEZNS1_11reduce_implILb1ES3_N6thrust23THRUST_200600_302600_NS11hip_rocprim26transform_input_iterator_tIlPKhZN2at6native8ModeImplIbEclEPKbSI_EUlhE_EEPllNS8_4plusIlEEEE10hipError_tPvRmT1_T2_T3_mT4_P12ihipStream_tbEUlT_E1_NS1_11comp_targetILNS1_3genE10ELNS1_11target_archE1200ELNS1_3gpuE4ELNS1_3repE0EEENS1_30default_config_static_selectorELNS0_4arch9wavefront6targetE1EEEvSR_,@function
_ZN7rocprim17ROCPRIM_400000_NS6detail17trampoline_kernelINS0_14default_configENS1_22reduce_config_selectorIlEEZNS1_11reduce_implILb1ES3_N6thrust23THRUST_200600_302600_NS11hip_rocprim26transform_input_iterator_tIlPKhZN2at6native8ModeImplIbEclEPKbSI_EUlhE_EEPllNS8_4plusIlEEEE10hipError_tPvRmT1_T2_T3_mT4_P12ihipStream_tbEUlT_E1_NS1_11comp_targetILNS1_3genE10ELNS1_11target_archE1200ELNS1_3gpuE4ELNS1_3repE0EEENS1_30default_config_static_selectorELNS0_4arch9wavefront6targetE1EEEvSR_: ; @_ZN7rocprim17ROCPRIM_400000_NS6detail17trampoline_kernelINS0_14default_configENS1_22reduce_config_selectorIlEEZNS1_11reduce_implILb1ES3_N6thrust23THRUST_200600_302600_NS11hip_rocprim26transform_input_iterator_tIlPKhZN2at6native8ModeImplIbEclEPKbSI_EUlhE_EEPllNS8_4plusIlEEEE10hipError_tPvRmT1_T2_T3_mT4_P12ihipStream_tbEUlT_E1_NS1_11comp_targetILNS1_3genE10ELNS1_11target_archE1200ELNS1_3gpuE4ELNS1_3repE0EEENS1_30default_config_static_selectorELNS0_4arch9wavefront6targetE1EEEvSR_
; %bb.0:
	.section	.rodata,"a",@progbits
	.p2align	6, 0x0
	.amdhsa_kernel _ZN7rocprim17ROCPRIM_400000_NS6detail17trampoline_kernelINS0_14default_configENS1_22reduce_config_selectorIlEEZNS1_11reduce_implILb1ES3_N6thrust23THRUST_200600_302600_NS11hip_rocprim26transform_input_iterator_tIlPKhZN2at6native8ModeImplIbEclEPKbSI_EUlhE_EEPllNS8_4plusIlEEEE10hipError_tPvRmT1_T2_T3_mT4_P12ihipStream_tbEUlT_E1_NS1_11comp_targetILNS1_3genE10ELNS1_11target_archE1200ELNS1_3gpuE4ELNS1_3repE0EEENS1_30default_config_static_selectorELNS0_4arch9wavefront6targetE1EEEvSR_
		.amdhsa_group_segment_fixed_size 0
		.amdhsa_private_segment_fixed_size 0
		.amdhsa_kernarg_size 56
		.amdhsa_user_sgpr_count 6
		.amdhsa_user_sgpr_private_segment_buffer 1
		.amdhsa_user_sgpr_dispatch_ptr 0
		.amdhsa_user_sgpr_queue_ptr 0
		.amdhsa_user_sgpr_kernarg_segment_ptr 1
		.amdhsa_user_sgpr_dispatch_id 0
		.amdhsa_user_sgpr_flat_scratch_init 0
		.amdhsa_user_sgpr_private_segment_size 0
		.amdhsa_uses_dynamic_stack 0
		.amdhsa_system_sgpr_private_segment_wavefront_offset 0
		.amdhsa_system_sgpr_workgroup_id_x 1
		.amdhsa_system_sgpr_workgroup_id_y 0
		.amdhsa_system_sgpr_workgroup_id_z 0
		.amdhsa_system_sgpr_workgroup_info 0
		.amdhsa_system_vgpr_workitem_id 0
		.amdhsa_next_free_vgpr 1
		.amdhsa_next_free_sgpr 0
		.amdhsa_reserve_vcc 0
		.amdhsa_reserve_flat_scratch 0
		.amdhsa_float_round_mode_32 0
		.amdhsa_float_round_mode_16_64 0
		.amdhsa_float_denorm_mode_32 3
		.amdhsa_float_denorm_mode_16_64 3
		.amdhsa_dx10_clamp 1
		.amdhsa_ieee_mode 1
		.amdhsa_fp16_overflow 0
		.amdhsa_exception_fp_ieee_invalid_op 0
		.amdhsa_exception_fp_denorm_src 0
		.amdhsa_exception_fp_ieee_div_zero 0
		.amdhsa_exception_fp_ieee_overflow 0
		.amdhsa_exception_fp_ieee_underflow 0
		.amdhsa_exception_fp_ieee_inexact 0
		.amdhsa_exception_int_div_zero 0
	.end_amdhsa_kernel
	.section	.text._ZN7rocprim17ROCPRIM_400000_NS6detail17trampoline_kernelINS0_14default_configENS1_22reduce_config_selectorIlEEZNS1_11reduce_implILb1ES3_N6thrust23THRUST_200600_302600_NS11hip_rocprim26transform_input_iterator_tIlPKhZN2at6native8ModeImplIbEclEPKbSI_EUlhE_EEPllNS8_4plusIlEEEE10hipError_tPvRmT1_T2_T3_mT4_P12ihipStream_tbEUlT_E1_NS1_11comp_targetILNS1_3genE10ELNS1_11target_archE1200ELNS1_3gpuE4ELNS1_3repE0EEENS1_30default_config_static_selectorELNS0_4arch9wavefront6targetE1EEEvSR_,"axG",@progbits,_ZN7rocprim17ROCPRIM_400000_NS6detail17trampoline_kernelINS0_14default_configENS1_22reduce_config_selectorIlEEZNS1_11reduce_implILb1ES3_N6thrust23THRUST_200600_302600_NS11hip_rocprim26transform_input_iterator_tIlPKhZN2at6native8ModeImplIbEclEPKbSI_EUlhE_EEPllNS8_4plusIlEEEE10hipError_tPvRmT1_T2_T3_mT4_P12ihipStream_tbEUlT_E1_NS1_11comp_targetILNS1_3genE10ELNS1_11target_archE1200ELNS1_3gpuE4ELNS1_3repE0EEENS1_30default_config_static_selectorELNS0_4arch9wavefront6targetE1EEEvSR_,comdat
.Lfunc_end33:
	.size	_ZN7rocprim17ROCPRIM_400000_NS6detail17trampoline_kernelINS0_14default_configENS1_22reduce_config_selectorIlEEZNS1_11reduce_implILb1ES3_N6thrust23THRUST_200600_302600_NS11hip_rocprim26transform_input_iterator_tIlPKhZN2at6native8ModeImplIbEclEPKbSI_EUlhE_EEPllNS8_4plusIlEEEE10hipError_tPvRmT1_T2_T3_mT4_P12ihipStream_tbEUlT_E1_NS1_11comp_targetILNS1_3genE10ELNS1_11target_archE1200ELNS1_3gpuE4ELNS1_3repE0EEENS1_30default_config_static_selectorELNS0_4arch9wavefront6targetE1EEEvSR_, .Lfunc_end33-_ZN7rocprim17ROCPRIM_400000_NS6detail17trampoline_kernelINS0_14default_configENS1_22reduce_config_selectorIlEEZNS1_11reduce_implILb1ES3_N6thrust23THRUST_200600_302600_NS11hip_rocprim26transform_input_iterator_tIlPKhZN2at6native8ModeImplIbEclEPKbSI_EUlhE_EEPllNS8_4plusIlEEEE10hipError_tPvRmT1_T2_T3_mT4_P12ihipStream_tbEUlT_E1_NS1_11comp_targetILNS1_3genE10ELNS1_11target_archE1200ELNS1_3gpuE4ELNS1_3repE0EEENS1_30default_config_static_selectorELNS0_4arch9wavefront6targetE1EEEvSR_
                                        ; -- End function
	.set _ZN7rocprim17ROCPRIM_400000_NS6detail17trampoline_kernelINS0_14default_configENS1_22reduce_config_selectorIlEEZNS1_11reduce_implILb1ES3_N6thrust23THRUST_200600_302600_NS11hip_rocprim26transform_input_iterator_tIlPKhZN2at6native8ModeImplIbEclEPKbSI_EUlhE_EEPllNS8_4plusIlEEEE10hipError_tPvRmT1_T2_T3_mT4_P12ihipStream_tbEUlT_E1_NS1_11comp_targetILNS1_3genE10ELNS1_11target_archE1200ELNS1_3gpuE4ELNS1_3repE0EEENS1_30default_config_static_selectorELNS0_4arch9wavefront6targetE1EEEvSR_.num_vgpr, 0
	.set _ZN7rocprim17ROCPRIM_400000_NS6detail17trampoline_kernelINS0_14default_configENS1_22reduce_config_selectorIlEEZNS1_11reduce_implILb1ES3_N6thrust23THRUST_200600_302600_NS11hip_rocprim26transform_input_iterator_tIlPKhZN2at6native8ModeImplIbEclEPKbSI_EUlhE_EEPllNS8_4plusIlEEEE10hipError_tPvRmT1_T2_T3_mT4_P12ihipStream_tbEUlT_E1_NS1_11comp_targetILNS1_3genE10ELNS1_11target_archE1200ELNS1_3gpuE4ELNS1_3repE0EEENS1_30default_config_static_selectorELNS0_4arch9wavefront6targetE1EEEvSR_.num_agpr, 0
	.set _ZN7rocprim17ROCPRIM_400000_NS6detail17trampoline_kernelINS0_14default_configENS1_22reduce_config_selectorIlEEZNS1_11reduce_implILb1ES3_N6thrust23THRUST_200600_302600_NS11hip_rocprim26transform_input_iterator_tIlPKhZN2at6native8ModeImplIbEclEPKbSI_EUlhE_EEPllNS8_4plusIlEEEE10hipError_tPvRmT1_T2_T3_mT4_P12ihipStream_tbEUlT_E1_NS1_11comp_targetILNS1_3genE10ELNS1_11target_archE1200ELNS1_3gpuE4ELNS1_3repE0EEENS1_30default_config_static_selectorELNS0_4arch9wavefront6targetE1EEEvSR_.numbered_sgpr, 0
	.set _ZN7rocprim17ROCPRIM_400000_NS6detail17trampoline_kernelINS0_14default_configENS1_22reduce_config_selectorIlEEZNS1_11reduce_implILb1ES3_N6thrust23THRUST_200600_302600_NS11hip_rocprim26transform_input_iterator_tIlPKhZN2at6native8ModeImplIbEclEPKbSI_EUlhE_EEPllNS8_4plusIlEEEE10hipError_tPvRmT1_T2_T3_mT4_P12ihipStream_tbEUlT_E1_NS1_11comp_targetILNS1_3genE10ELNS1_11target_archE1200ELNS1_3gpuE4ELNS1_3repE0EEENS1_30default_config_static_selectorELNS0_4arch9wavefront6targetE1EEEvSR_.num_named_barrier, 0
	.set _ZN7rocprim17ROCPRIM_400000_NS6detail17trampoline_kernelINS0_14default_configENS1_22reduce_config_selectorIlEEZNS1_11reduce_implILb1ES3_N6thrust23THRUST_200600_302600_NS11hip_rocprim26transform_input_iterator_tIlPKhZN2at6native8ModeImplIbEclEPKbSI_EUlhE_EEPllNS8_4plusIlEEEE10hipError_tPvRmT1_T2_T3_mT4_P12ihipStream_tbEUlT_E1_NS1_11comp_targetILNS1_3genE10ELNS1_11target_archE1200ELNS1_3gpuE4ELNS1_3repE0EEENS1_30default_config_static_selectorELNS0_4arch9wavefront6targetE1EEEvSR_.private_seg_size, 0
	.set _ZN7rocprim17ROCPRIM_400000_NS6detail17trampoline_kernelINS0_14default_configENS1_22reduce_config_selectorIlEEZNS1_11reduce_implILb1ES3_N6thrust23THRUST_200600_302600_NS11hip_rocprim26transform_input_iterator_tIlPKhZN2at6native8ModeImplIbEclEPKbSI_EUlhE_EEPllNS8_4plusIlEEEE10hipError_tPvRmT1_T2_T3_mT4_P12ihipStream_tbEUlT_E1_NS1_11comp_targetILNS1_3genE10ELNS1_11target_archE1200ELNS1_3gpuE4ELNS1_3repE0EEENS1_30default_config_static_selectorELNS0_4arch9wavefront6targetE1EEEvSR_.uses_vcc, 0
	.set _ZN7rocprim17ROCPRIM_400000_NS6detail17trampoline_kernelINS0_14default_configENS1_22reduce_config_selectorIlEEZNS1_11reduce_implILb1ES3_N6thrust23THRUST_200600_302600_NS11hip_rocprim26transform_input_iterator_tIlPKhZN2at6native8ModeImplIbEclEPKbSI_EUlhE_EEPllNS8_4plusIlEEEE10hipError_tPvRmT1_T2_T3_mT4_P12ihipStream_tbEUlT_E1_NS1_11comp_targetILNS1_3genE10ELNS1_11target_archE1200ELNS1_3gpuE4ELNS1_3repE0EEENS1_30default_config_static_selectorELNS0_4arch9wavefront6targetE1EEEvSR_.uses_flat_scratch, 0
	.set _ZN7rocprim17ROCPRIM_400000_NS6detail17trampoline_kernelINS0_14default_configENS1_22reduce_config_selectorIlEEZNS1_11reduce_implILb1ES3_N6thrust23THRUST_200600_302600_NS11hip_rocprim26transform_input_iterator_tIlPKhZN2at6native8ModeImplIbEclEPKbSI_EUlhE_EEPllNS8_4plusIlEEEE10hipError_tPvRmT1_T2_T3_mT4_P12ihipStream_tbEUlT_E1_NS1_11comp_targetILNS1_3genE10ELNS1_11target_archE1200ELNS1_3gpuE4ELNS1_3repE0EEENS1_30default_config_static_selectorELNS0_4arch9wavefront6targetE1EEEvSR_.has_dyn_sized_stack, 0
	.set _ZN7rocprim17ROCPRIM_400000_NS6detail17trampoline_kernelINS0_14default_configENS1_22reduce_config_selectorIlEEZNS1_11reduce_implILb1ES3_N6thrust23THRUST_200600_302600_NS11hip_rocprim26transform_input_iterator_tIlPKhZN2at6native8ModeImplIbEclEPKbSI_EUlhE_EEPllNS8_4plusIlEEEE10hipError_tPvRmT1_T2_T3_mT4_P12ihipStream_tbEUlT_E1_NS1_11comp_targetILNS1_3genE10ELNS1_11target_archE1200ELNS1_3gpuE4ELNS1_3repE0EEENS1_30default_config_static_selectorELNS0_4arch9wavefront6targetE1EEEvSR_.has_recursion, 0
	.set _ZN7rocprim17ROCPRIM_400000_NS6detail17trampoline_kernelINS0_14default_configENS1_22reduce_config_selectorIlEEZNS1_11reduce_implILb1ES3_N6thrust23THRUST_200600_302600_NS11hip_rocprim26transform_input_iterator_tIlPKhZN2at6native8ModeImplIbEclEPKbSI_EUlhE_EEPllNS8_4plusIlEEEE10hipError_tPvRmT1_T2_T3_mT4_P12ihipStream_tbEUlT_E1_NS1_11comp_targetILNS1_3genE10ELNS1_11target_archE1200ELNS1_3gpuE4ELNS1_3repE0EEENS1_30default_config_static_selectorELNS0_4arch9wavefront6targetE1EEEvSR_.has_indirect_call, 0
	.section	.AMDGPU.csdata,"",@progbits
; Kernel info:
; codeLenInByte = 0
; TotalNumSgprs: 4
; NumVgprs: 0
; ScratchSize: 0
; MemoryBound: 0
; FloatMode: 240
; IeeeMode: 1
; LDSByteSize: 0 bytes/workgroup (compile time only)
; SGPRBlocks: 0
; VGPRBlocks: 0
; NumSGPRsForWavesPerEU: 4
; NumVGPRsForWavesPerEU: 1
; Occupancy: 10
; WaveLimiterHint : 0
; COMPUTE_PGM_RSRC2:SCRATCH_EN: 0
; COMPUTE_PGM_RSRC2:USER_SGPR: 6
; COMPUTE_PGM_RSRC2:TRAP_HANDLER: 0
; COMPUTE_PGM_RSRC2:TGID_X_EN: 1
; COMPUTE_PGM_RSRC2:TGID_Y_EN: 0
; COMPUTE_PGM_RSRC2:TGID_Z_EN: 0
; COMPUTE_PGM_RSRC2:TIDIG_COMP_CNT: 0
	.section	.text._ZN7rocprim17ROCPRIM_400000_NS6detail17trampoline_kernelINS0_14default_configENS1_22reduce_config_selectorIlEEZNS1_11reduce_implILb1ES3_N6thrust23THRUST_200600_302600_NS11hip_rocprim26transform_input_iterator_tIlPKhZN2at6native8ModeImplIbEclEPKbSI_EUlhE_EEPllNS8_4plusIlEEEE10hipError_tPvRmT1_T2_T3_mT4_P12ihipStream_tbEUlT_E1_NS1_11comp_targetILNS1_3genE9ELNS1_11target_archE1100ELNS1_3gpuE3ELNS1_3repE0EEENS1_30default_config_static_selectorELNS0_4arch9wavefront6targetE1EEEvSR_,"axG",@progbits,_ZN7rocprim17ROCPRIM_400000_NS6detail17trampoline_kernelINS0_14default_configENS1_22reduce_config_selectorIlEEZNS1_11reduce_implILb1ES3_N6thrust23THRUST_200600_302600_NS11hip_rocprim26transform_input_iterator_tIlPKhZN2at6native8ModeImplIbEclEPKbSI_EUlhE_EEPllNS8_4plusIlEEEE10hipError_tPvRmT1_T2_T3_mT4_P12ihipStream_tbEUlT_E1_NS1_11comp_targetILNS1_3genE9ELNS1_11target_archE1100ELNS1_3gpuE3ELNS1_3repE0EEENS1_30default_config_static_selectorELNS0_4arch9wavefront6targetE1EEEvSR_,comdat
	.protected	_ZN7rocprim17ROCPRIM_400000_NS6detail17trampoline_kernelINS0_14default_configENS1_22reduce_config_selectorIlEEZNS1_11reduce_implILb1ES3_N6thrust23THRUST_200600_302600_NS11hip_rocprim26transform_input_iterator_tIlPKhZN2at6native8ModeImplIbEclEPKbSI_EUlhE_EEPllNS8_4plusIlEEEE10hipError_tPvRmT1_T2_T3_mT4_P12ihipStream_tbEUlT_E1_NS1_11comp_targetILNS1_3genE9ELNS1_11target_archE1100ELNS1_3gpuE3ELNS1_3repE0EEENS1_30default_config_static_selectorELNS0_4arch9wavefront6targetE1EEEvSR_ ; -- Begin function _ZN7rocprim17ROCPRIM_400000_NS6detail17trampoline_kernelINS0_14default_configENS1_22reduce_config_selectorIlEEZNS1_11reduce_implILb1ES3_N6thrust23THRUST_200600_302600_NS11hip_rocprim26transform_input_iterator_tIlPKhZN2at6native8ModeImplIbEclEPKbSI_EUlhE_EEPllNS8_4plusIlEEEE10hipError_tPvRmT1_T2_T3_mT4_P12ihipStream_tbEUlT_E1_NS1_11comp_targetILNS1_3genE9ELNS1_11target_archE1100ELNS1_3gpuE3ELNS1_3repE0EEENS1_30default_config_static_selectorELNS0_4arch9wavefront6targetE1EEEvSR_
	.globl	_ZN7rocprim17ROCPRIM_400000_NS6detail17trampoline_kernelINS0_14default_configENS1_22reduce_config_selectorIlEEZNS1_11reduce_implILb1ES3_N6thrust23THRUST_200600_302600_NS11hip_rocprim26transform_input_iterator_tIlPKhZN2at6native8ModeImplIbEclEPKbSI_EUlhE_EEPllNS8_4plusIlEEEE10hipError_tPvRmT1_T2_T3_mT4_P12ihipStream_tbEUlT_E1_NS1_11comp_targetILNS1_3genE9ELNS1_11target_archE1100ELNS1_3gpuE3ELNS1_3repE0EEENS1_30default_config_static_selectorELNS0_4arch9wavefront6targetE1EEEvSR_
	.p2align	8
	.type	_ZN7rocprim17ROCPRIM_400000_NS6detail17trampoline_kernelINS0_14default_configENS1_22reduce_config_selectorIlEEZNS1_11reduce_implILb1ES3_N6thrust23THRUST_200600_302600_NS11hip_rocprim26transform_input_iterator_tIlPKhZN2at6native8ModeImplIbEclEPKbSI_EUlhE_EEPllNS8_4plusIlEEEE10hipError_tPvRmT1_T2_T3_mT4_P12ihipStream_tbEUlT_E1_NS1_11comp_targetILNS1_3genE9ELNS1_11target_archE1100ELNS1_3gpuE3ELNS1_3repE0EEENS1_30default_config_static_selectorELNS0_4arch9wavefront6targetE1EEEvSR_,@function
_ZN7rocprim17ROCPRIM_400000_NS6detail17trampoline_kernelINS0_14default_configENS1_22reduce_config_selectorIlEEZNS1_11reduce_implILb1ES3_N6thrust23THRUST_200600_302600_NS11hip_rocprim26transform_input_iterator_tIlPKhZN2at6native8ModeImplIbEclEPKbSI_EUlhE_EEPllNS8_4plusIlEEEE10hipError_tPvRmT1_T2_T3_mT4_P12ihipStream_tbEUlT_E1_NS1_11comp_targetILNS1_3genE9ELNS1_11target_archE1100ELNS1_3gpuE3ELNS1_3repE0EEENS1_30default_config_static_selectorELNS0_4arch9wavefront6targetE1EEEvSR_: ; @_ZN7rocprim17ROCPRIM_400000_NS6detail17trampoline_kernelINS0_14default_configENS1_22reduce_config_selectorIlEEZNS1_11reduce_implILb1ES3_N6thrust23THRUST_200600_302600_NS11hip_rocprim26transform_input_iterator_tIlPKhZN2at6native8ModeImplIbEclEPKbSI_EUlhE_EEPllNS8_4plusIlEEEE10hipError_tPvRmT1_T2_T3_mT4_P12ihipStream_tbEUlT_E1_NS1_11comp_targetILNS1_3genE9ELNS1_11target_archE1100ELNS1_3gpuE3ELNS1_3repE0EEENS1_30default_config_static_selectorELNS0_4arch9wavefront6targetE1EEEvSR_
; %bb.0:
	.section	.rodata,"a",@progbits
	.p2align	6, 0x0
	.amdhsa_kernel _ZN7rocprim17ROCPRIM_400000_NS6detail17trampoline_kernelINS0_14default_configENS1_22reduce_config_selectorIlEEZNS1_11reduce_implILb1ES3_N6thrust23THRUST_200600_302600_NS11hip_rocprim26transform_input_iterator_tIlPKhZN2at6native8ModeImplIbEclEPKbSI_EUlhE_EEPllNS8_4plusIlEEEE10hipError_tPvRmT1_T2_T3_mT4_P12ihipStream_tbEUlT_E1_NS1_11comp_targetILNS1_3genE9ELNS1_11target_archE1100ELNS1_3gpuE3ELNS1_3repE0EEENS1_30default_config_static_selectorELNS0_4arch9wavefront6targetE1EEEvSR_
		.amdhsa_group_segment_fixed_size 0
		.amdhsa_private_segment_fixed_size 0
		.amdhsa_kernarg_size 56
		.amdhsa_user_sgpr_count 6
		.amdhsa_user_sgpr_private_segment_buffer 1
		.amdhsa_user_sgpr_dispatch_ptr 0
		.amdhsa_user_sgpr_queue_ptr 0
		.amdhsa_user_sgpr_kernarg_segment_ptr 1
		.amdhsa_user_sgpr_dispatch_id 0
		.amdhsa_user_sgpr_flat_scratch_init 0
		.amdhsa_user_sgpr_private_segment_size 0
		.amdhsa_uses_dynamic_stack 0
		.amdhsa_system_sgpr_private_segment_wavefront_offset 0
		.amdhsa_system_sgpr_workgroup_id_x 1
		.amdhsa_system_sgpr_workgroup_id_y 0
		.amdhsa_system_sgpr_workgroup_id_z 0
		.amdhsa_system_sgpr_workgroup_info 0
		.amdhsa_system_vgpr_workitem_id 0
		.amdhsa_next_free_vgpr 1
		.amdhsa_next_free_sgpr 0
		.amdhsa_reserve_vcc 0
		.amdhsa_reserve_flat_scratch 0
		.amdhsa_float_round_mode_32 0
		.amdhsa_float_round_mode_16_64 0
		.amdhsa_float_denorm_mode_32 3
		.amdhsa_float_denorm_mode_16_64 3
		.amdhsa_dx10_clamp 1
		.amdhsa_ieee_mode 1
		.amdhsa_fp16_overflow 0
		.amdhsa_exception_fp_ieee_invalid_op 0
		.amdhsa_exception_fp_denorm_src 0
		.amdhsa_exception_fp_ieee_div_zero 0
		.amdhsa_exception_fp_ieee_overflow 0
		.amdhsa_exception_fp_ieee_underflow 0
		.amdhsa_exception_fp_ieee_inexact 0
		.amdhsa_exception_int_div_zero 0
	.end_amdhsa_kernel
	.section	.text._ZN7rocprim17ROCPRIM_400000_NS6detail17trampoline_kernelINS0_14default_configENS1_22reduce_config_selectorIlEEZNS1_11reduce_implILb1ES3_N6thrust23THRUST_200600_302600_NS11hip_rocprim26transform_input_iterator_tIlPKhZN2at6native8ModeImplIbEclEPKbSI_EUlhE_EEPllNS8_4plusIlEEEE10hipError_tPvRmT1_T2_T3_mT4_P12ihipStream_tbEUlT_E1_NS1_11comp_targetILNS1_3genE9ELNS1_11target_archE1100ELNS1_3gpuE3ELNS1_3repE0EEENS1_30default_config_static_selectorELNS0_4arch9wavefront6targetE1EEEvSR_,"axG",@progbits,_ZN7rocprim17ROCPRIM_400000_NS6detail17trampoline_kernelINS0_14default_configENS1_22reduce_config_selectorIlEEZNS1_11reduce_implILb1ES3_N6thrust23THRUST_200600_302600_NS11hip_rocprim26transform_input_iterator_tIlPKhZN2at6native8ModeImplIbEclEPKbSI_EUlhE_EEPllNS8_4plusIlEEEE10hipError_tPvRmT1_T2_T3_mT4_P12ihipStream_tbEUlT_E1_NS1_11comp_targetILNS1_3genE9ELNS1_11target_archE1100ELNS1_3gpuE3ELNS1_3repE0EEENS1_30default_config_static_selectorELNS0_4arch9wavefront6targetE1EEEvSR_,comdat
.Lfunc_end34:
	.size	_ZN7rocprim17ROCPRIM_400000_NS6detail17trampoline_kernelINS0_14default_configENS1_22reduce_config_selectorIlEEZNS1_11reduce_implILb1ES3_N6thrust23THRUST_200600_302600_NS11hip_rocprim26transform_input_iterator_tIlPKhZN2at6native8ModeImplIbEclEPKbSI_EUlhE_EEPllNS8_4plusIlEEEE10hipError_tPvRmT1_T2_T3_mT4_P12ihipStream_tbEUlT_E1_NS1_11comp_targetILNS1_3genE9ELNS1_11target_archE1100ELNS1_3gpuE3ELNS1_3repE0EEENS1_30default_config_static_selectorELNS0_4arch9wavefront6targetE1EEEvSR_, .Lfunc_end34-_ZN7rocprim17ROCPRIM_400000_NS6detail17trampoline_kernelINS0_14default_configENS1_22reduce_config_selectorIlEEZNS1_11reduce_implILb1ES3_N6thrust23THRUST_200600_302600_NS11hip_rocprim26transform_input_iterator_tIlPKhZN2at6native8ModeImplIbEclEPKbSI_EUlhE_EEPllNS8_4plusIlEEEE10hipError_tPvRmT1_T2_T3_mT4_P12ihipStream_tbEUlT_E1_NS1_11comp_targetILNS1_3genE9ELNS1_11target_archE1100ELNS1_3gpuE3ELNS1_3repE0EEENS1_30default_config_static_selectorELNS0_4arch9wavefront6targetE1EEEvSR_
                                        ; -- End function
	.set _ZN7rocprim17ROCPRIM_400000_NS6detail17trampoline_kernelINS0_14default_configENS1_22reduce_config_selectorIlEEZNS1_11reduce_implILb1ES3_N6thrust23THRUST_200600_302600_NS11hip_rocprim26transform_input_iterator_tIlPKhZN2at6native8ModeImplIbEclEPKbSI_EUlhE_EEPllNS8_4plusIlEEEE10hipError_tPvRmT1_T2_T3_mT4_P12ihipStream_tbEUlT_E1_NS1_11comp_targetILNS1_3genE9ELNS1_11target_archE1100ELNS1_3gpuE3ELNS1_3repE0EEENS1_30default_config_static_selectorELNS0_4arch9wavefront6targetE1EEEvSR_.num_vgpr, 0
	.set _ZN7rocprim17ROCPRIM_400000_NS6detail17trampoline_kernelINS0_14default_configENS1_22reduce_config_selectorIlEEZNS1_11reduce_implILb1ES3_N6thrust23THRUST_200600_302600_NS11hip_rocprim26transform_input_iterator_tIlPKhZN2at6native8ModeImplIbEclEPKbSI_EUlhE_EEPllNS8_4plusIlEEEE10hipError_tPvRmT1_T2_T3_mT4_P12ihipStream_tbEUlT_E1_NS1_11comp_targetILNS1_3genE9ELNS1_11target_archE1100ELNS1_3gpuE3ELNS1_3repE0EEENS1_30default_config_static_selectorELNS0_4arch9wavefront6targetE1EEEvSR_.num_agpr, 0
	.set _ZN7rocprim17ROCPRIM_400000_NS6detail17trampoline_kernelINS0_14default_configENS1_22reduce_config_selectorIlEEZNS1_11reduce_implILb1ES3_N6thrust23THRUST_200600_302600_NS11hip_rocprim26transform_input_iterator_tIlPKhZN2at6native8ModeImplIbEclEPKbSI_EUlhE_EEPllNS8_4plusIlEEEE10hipError_tPvRmT1_T2_T3_mT4_P12ihipStream_tbEUlT_E1_NS1_11comp_targetILNS1_3genE9ELNS1_11target_archE1100ELNS1_3gpuE3ELNS1_3repE0EEENS1_30default_config_static_selectorELNS0_4arch9wavefront6targetE1EEEvSR_.numbered_sgpr, 0
	.set _ZN7rocprim17ROCPRIM_400000_NS6detail17trampoline_kernelINS0_14default_configENS1_22reduce_config_selectorIlEEZNS1_11reduce_implILb1ES3_N6thrust23THRUST_200600_302600_NS11hip_rocprim26transform_input_iterator_tIlPKhZN2at6native8ModeImplIbEclEPKbSI_EUlhE_EEPllNS8_4plusIlEEEE10hipError_tPvRmT1_T2_T3_mT4_P12ihipStream_tbEUlT_E1_NS1_11comp_targetILNS1_3genE9ELNS1_11target_archE1100ELNS1_3gpuE3ELNS1_3repE0EEENS1_30default_config_static_selectorELNS0_4arch9wavefront6targetE1EEEvSR_.num_named_barrier, 0
	.set _ZN7rocprim17ROCPRIM_400000_NS6detail17trampoline_kernelINS0_14default_configENS1_22reduce_config_selectorIlEEZNS1_11reduce_implILb1ES3_N6thrust23THRUST_200600_302600_NS11hip_rocprim26transform_input_iterator_tIlPKhZN2at6native8ModeImplIbEclEPKbSI_EUlhE_EEPllNS8_4plusIlEEEE10hipError_tPvRmT1_T2_T3_mT4_P12ihipStream_tbEUlT_E1_NS1_11comp_targetILNS1_3genE9ELNS1_11target_archE1100ELNS1_3gpuE3ELNS1_3repE0EEENS1_30default_config_static_selectorELNS0_4arch9wavefront6targetE1EEEvSR_.private_seg_size, 0
	.set _ZN7rocprim17ROCPRIM_400000_NS6detail17trampoline_kernelINS0_14default_configENS1_22reduce_config_selectorIlEEZNS1_11reduce_implILb1ES3_N6thrust23THRUST_200600_302600_NS11hip_rocprim26transform_input_iterator_tIlPKhZN2at6native8ModeImplIbEclEPKbSI_EUlhE_EEPllNS8_4plusIlEEEE10hipError_tPvRmT1_T2_T3_mT4_P12ihipStream_tbEUlT_E1_NS1_11comp_targetILNS1_3genE9ELNS1_11target_archE1100ELNS1_3gpuE3ELNS1_3repE0EEENS1_30default_config_static_selectorELNS0_4arch9wavefront6targetE1EEEvSR_.uses_vcc, 0
	.set _ZN7rocprim17ROCPRIM_400000_NS6detail17trampoline_kernelINS0_14default_configENS1_22reduce_config_selectorIlEEZNS1_11reduce_implILb1ES3_N6thrust23THRUST_200600_302600_NS11hip_rocprim26transform_input_iterator_tIlPKhZN2at6native8ModeImplIbEclEPKbSI_EUlhE_EEPllNS8_4plusIlEEEE10hipError_tPvRmT1_T2_T3_mT4_P12ihipStream_tbEUlT_E1_NS1_11comp_targetILNS1_3genE9ELNS1_11target_archE1100ELNS1_3gpuE3ELNS1_3repE0EEENS1_30default_config_static_selectorELNS0_4arch9wavefront6targetE1EEEvSR_.uses_flat_scratch, 0
	.set _ZN7rocprim17ROCPRIM_400000_NS6detail17trampoline_kernelINS0_14default_configENS1_22reduce_config_selectorIlEEZNS1_11reduce_implILb1ES3_N6thrust23THRUST_200600_302600_NS11hip_rocprim26transform_input_iterator_tIlPKhZN2at6native8ModeImplIbEclEPKbSI_EUlhE_EEPllNS8_4plusIlEEEE10hipError_tPvRmT1_T2_T3_mT4_P12ihipStream_tbEUlT_E1_NS1_11comp_targetILNS1_3genE9ELNS1_11target_archE1100ELNS1_3gpuE3ELNS1_3repE0EEENS1_30default_config_static_selectorELNS0_4arch9wavefront6targetE1EEEvSR_.has_dyn_sized_stack, 0
	.set _ZN7rocprim17ROCPRIM_400000_NS6detail17trampoline_kernelINS0_14default_configENS1_22reduce_config_selectorIlEEZNS1_11reduce_implILb1ES3_N6thrust23THRUST_200600_302600_NS11hip_rocprim26transform_input_iterator_tIlPKhZN2at6native8ModeImplIbEclEPKbSI_EUlhE_EEPllNS8_4plusIlEEEE10hipError_tPvRmT1_T2_T3_mT4_P12ihipStream_tbEUlT_E1_NS1_11comp_targetILNS1_3genE9ELNS1_11target_archE1100ELNS1_3gpuE3ELNS1_3repE0EEENS1_30default_config_static_selectorELNS0_4arch9wavefront6targetE1EEEvSR_.has_recursion, 0
	.set _ZN7rocprim17ROCPRIM_400000_NS6detail17trampoline_kernelINS0_14default_configENS1_22reduce_config_selectorIlEEZNS1_11reduce_implILb1ES3_N6thrust23THRUST_200600_302600_NS11hip_rocprim26transform_input_iterator_tIlPKhZN2at6native8ModeImplIbEclEPKbSI_EUlhE_EEPllNS8_4plusIlEEEE10hipError_tPvRmT1_T2_T3_mT4_P12ihipStream_tbEUlT_E1_NS1_11comp_targetILNS1_3genE9ELNS1_11target_archE1100ELNS1_3gpuE3ELNS1_3repE0EEENS1_30default_config_static_selectorELNS0_4arch9wavefront6targetE1EEEvSR_.has_indirect_call, 0
	.section	.AMDGPU.csdata,"",@progbits
; Kernel info:
; codeLenInByte = 0
; TotalNumSgprs: 4
; NumVgprs: 0
; ScratchSize: 0
; MemoryBound: 0
; FloatMode: 240
; IeeeMode: 1
; LDSByteSize: 0 bytes/workgroup (compile time only)
; SGPRBlocks: 0
; VGPRBlocks: 0
; NumSGPRsForWavesPerEU: 4
; NumVGPRsForWavesPerEU: 1
; Occupancy: 10
; WaveLimiterHint : 0
; COMPUTE_PGM_RSRC2:SCRATCH_EN: 0
; COMPUTE_PGM_RSRC2:USER_SGPR: 6
; COMPUTE_PGM_RSRC2:TRAP_HANDLER: 0
; COMPUTE_PGM_RSRC2:TGID_X_EN: 1
; COMPUTE_PGM_RSRC2:TGID_Y_EN: 0
; COMPUTE_PGM_RSRC2:TGID_Z_EN: 0
; COMPUTE_PGM_RSRC2:TIDIG_COMP_CNT: 0
	.section	.text._ZN7rocprim17ROCPRIM_400000_NS6detail17trampoline_kernelINS0_14default_configENS1_22reduce_config_selectorIlEEZNS1_11reduce_implILb1ES3_N6thrust23THRUST_200600_302600_NS11hip_rocprim26transform_input_iterator_tIlPKhZN2at6native8ModeImplIbEclEPKbSI_EUlhE_EEPllNS8_4plusIlEEEE10hipError_tPvRmT1_T2_T3_mT4_P12ihipStream_tbEUlT_E1_NS1_11comp_targetILNS1_3genE8ELNS1_11target_archE1030ELNS1_3gpuE2ELNS1_3repE0EEENS1_30default_config_static_selectorELNS0_4arch9wavefront6targetE1EEEvSR_,"axG",@progbits,_ZN7rocprim17ROCPRIM_400000_NS6detail17trampoline_kernelINS0_14default_configENS1_22reduce_config_selectorIlEEZNS1_11reduce_implILb1ES3_N6thrust23THRUST_200600_302600_NS11hip_rocprim26transform_input_iterator_tIlPKhZN2at6native8ModeImplIbEclEPKbSI_EUlhE_EEPllNS8_4plusIlEEEE10hipError_tPvRmT1_T2_T3_mT4_P12ihipStream_tbEUlT_E1_NS1_11comp_targetILNS1_3genE8ELNS1_11target_archE1030ELNS1_3gpuE2ELNS1_3repE0EEENS1_30default_config_static_selectorELNS0_4arch9wavefront6targetE1EEEvSR_,comdat
	.protected	_ZN7rocprim17ROCPRIM_400000_NS6detail17trampoline_kernelINS0_14default_configENS1_22reduce_config_selectorIlEEZNS1_11reduce_implILb1ES3_N6thrust23THRUST_200600_302600_NS11hip_rocprim26transform_input_iterator_tIlPKhZN2at6native8ModeImplIbEclEPKbSI_EUlhE_EEPllNS8_4plusIlEEEE10hipError_tPvRmT1_T2_T3_mT4_P12ihipStream_tbEUlT_E1_NS1_11comp_targetILNS1_3genE8ELNS1_11target_archE1030ELNS1_3gpuE2ELNS1_3repE0EEENS1_30default_config_static_selectorELNS0_4arch9wavefront6targetE1EEEvSR_ ; -- Begin function _ZN7rocprim17ROCPRIM_400000_NS6detail17trampoline_kernelINS0_14default_configENS1_22reduce_config_selectorIlEEZNS1_11reduce_implILb1ES3_N6thrust23THRUST_200600_302600_NS11hip_rocprim26transform_input_iterator_tIlPKhZN2at6native8ModeImplIbEclEPKbSI_EUlhE_EEPllNS8_4plusIlEEEE10hipError_tPvRmT1_T2_T3_mT4_P12ihipStream_tbEUlT_E1_NS1_11comp_targetILNS1_3genE8ELNS1_11target_archE1030ELNS1_3gpuE2ELNS1_3repE0EEENS1_30default_config_static_selectorELNS0_4arch9wavefront6targetE1EEEvSR_
	.globl	_ZN7rocprim17ROCPRIM_400000_NS6detail17trampoline_kernelINS0_14default_configENS1_22reduce_config_selectorIlEEZNS1_11reduce_implILb1ES3_N6thrust23THRUST_200600_302600_NS11hip_rocprim26transform_input_iterator_tIlPKhZN2at6native8ModeImplIbEclEPKbSI_EUlhE_EEPllNS8_4plusIlEEEE10hipError_tPvRmT1_T2_T3_mT4_P12ihipStream_tbEUlT_E1_NS1_11comp_targetILNS1_3genE8ELNS1_11target_archE1030ELNS1_3gpuE2ELNS1_3repE0EEENS1_30default_config_static_selectorELNS0_4arch9wavefront6targetE1EEEvSR_
	.p2align	8
	.type	_ZN7rocprim17ROCPRIM_400000_NS6detail17trampoline_kernelINS0_14default_configENS1_22reduce_config_selectorIlEEZNS1_11reduce_implILb1ES3_N6thrust23THRUST_200600_302600_NS11hip_rocprim26transform_input_iterator_tIlPKhZN2at6native8ModeImplIbEclEPKbSI_EUlhE_EEPllNS8_4plusIlEEEE10hipError_tPvRmT1_T2_T3_mT4_P12ihipStream_tbEUlT_E1_NS1_11comp_targetILNS1_3genE8ELNS1_11target_archE1030ELNS1_3gpuE2ELNS1_3repE0EEENS1_30default_config_static_selectorELNS0_4arch9wavefront6targetE1EEEvSR_,@function
_ZN7rocprim17ROCPRIM_400000_NS6detail17trampoline_kernelINS0_14default_configENS1_22reduce_config_selectorIlEEZNS1_11reduce_implILb1ES3_N6thrust23THRUST_200600_302600_NS11hip_rocprim26transform_input_iterator_tIlPKhZN2at6native8ModeImplIbEclEPKbSI_EUlhE_EEPllNS8_4plusIlEEEE10hipError_tPvRmT1_T2_T3_mT4_P12ihipStream_tbEUlT_E1_NS1_11comp_targetILNS1_3genE8ELNS1_11target_archE1030ELNS1_3gpuE2ELNS1_3repE0EEENS1_30default_config_static_selectorELNS0_4arch9wavefront6targetE1EEEvSR_: ; @_ZN7rocprim17ROCPRIM_400000_NS6detail17trampoline_kernelINS0_14default_configENS1_22reduce_config_selectorIlEEZNS1_11reduce_implILb1ES3_N6thrust23THRUST_200600_302600_NS11hip_rocprim26transform_input_iterator_tIlPKhZN2at6native8ModeImplIbEclEPKbSI_EUlhE_EEPllNS8_4plusIlEEEE10hipError_tPvRmT1_T2_T3_mT4_P12ihipStream_tbEUlT_E1_NS1_11comp_targetILNS1_3genE8ELNS1_11target_archE1030ELNS1_3gpuE2ELNS1_3repE0EEENS1_30default_config_static_selectorELNS0_4arch9wavefront6targetE1EEEvSR_
; %bb.0:
	.section	.rodata,"a",@progbits
	.p2align	6, 0x0
	.amdhsa_kernel _ZN7rocprim17ROCPRIM_400000_NS6detail17trampoline_kernelINS0_14default_configENS1_22reduce_config_selectorIlEEZNS1_11reduce_implILb1ES3_N6thrust23THRUST_200600_302600_NS11hip_rocprim26transform_input_iterator_tIlPKhZN2at6native8ModeImplIbEclEPKbSI_EUlhE_EEPllNS8_4plusIlEEEE10hipError_tPvRmT1_T2_T3_mT4_P12ihipStream_tbEUlT_E1_NS1_11comp_targetILNS1_3genE8ELNS1_11target_archE1030ELNS1_3gpuE2ELNS1_3repE0EEENS1_30default_config_static_selectorELNS0_4arch9wavefront6targetE1EEEvSR_
		.amdhsa_group_segment_fixed_size 0
		.amdhsa_private_segment_fixed_size 0
		.amdhsa_kernarg_size 56
		.amdhsa_user_sgpr_count 6
		.amdhsa_user_sgpr_private_segment_buffer 1
		.amdhsa_user_sgpr_dispatch_ptr 0
		.amdhsa_user_sgpr_queue_ptr 0
		.amdhsa_user_sgpr_kernarg_segment_ptr 1
		.amdhsa_user_sgpr_dispatch_id 0
		.amdhsa_user_sgpr_flat_scratch_init 0
		.amdhsa_user_sgpr_private_segment_size 0
		.amdhsa_uses_dynamic_stack 0
		.amdhsa_system_sgpr_private_segment_wavefront_offset 0
		.amdhsa_system_sgpr_workgroup_id_x 1
		.amdhsa_system_sgpr_workgroup_id_y 0
		.amdhsa_system_sgpr_workgroup_id_z 0
		.amdhsa_system_sgpr_workgroup_info 0
		.amdhsa_system_vgpr_workitem_id 0
		.amdhsa_next_free_vgpr 1
		.amdhsa_next_free_sgpr 0
		.amdhsa_reserve_vcc 0
		.amdhsa_reserve_flat_scratch 0
		.amdhsa_float_round_mode_32 0
		.amdhsa_float_round_mode_16_64 0
		.amdhsa_float_denorm_mode_32 3
		.amdhsa_float_denorm_mode_16_64 3
		.amdhsa_dx10_clamp 1
		.amdhsa_ieee_mode 1
		.amdhsa_fp16_overflow 0
		.amdhsa_exception_fp_ieee_invalid_op 0
		.amdhsa_exception_fp_denorm_src 0
		.amdhsa_exception_fp_ieee_div_zero 0
		.amdhsa_exception_fp_ieee_overflow 0
		.amdhsa_exception_fp_ieee_underflow 0
		.amdhsa_exception_fp_ieee_inexact 0
		.amdhsa_exception_int_div_zero 0
	.end_amdhsa_kernel
	.section	.text._ZN7rocprim17ROCPRIM_400000_NS6detail17trampoline_kernelINS0_14default_configENS1_22reduce_config_selectorIlEEZNS1_11reduce_implILb1ES3_N6thrust23THRUST_200600_302600_NS11hip_rocprim26transform_input_iterator_tIlPKhZN2at6native8ModeImplIbEclEPKbSI_EUlhE_EEPllNS8_4plusIlEEEE10hipError_tPvRmT1_T2_T3_mT4_P12ihipStream_tbEUlT_E1_NS1_11comp_targetILNS1_3genE8ELNS1_11target_archE1030ELNS1_3gpuE2ELNS1_3repE0EEENS1_30default_config_static_selectorELNS0_4arch9wavefront6targetE1EEEvSR_,"axG",@progbits,_ZN7rocprim17ROCPRIM_400000_NS6detail17trampoline_kernelINS0_14default_configENS1_22reduce_config_selectorIlEEZNS1_11reduce_implILb1ES3_N6thrust23THRUST_200600_302600_NS11hip_rocprim26transform_input_iterator_tIlPKhZN2at6native8ModeImplIbEclEPKbSI_EUlhE_EEPllNS8_4plusIlEEEE10hipError_tPvRmT1_T2_T3_mT4_P12ihipStream_tbEUlT_E1_NS1_11comp_targetILNS1_3genE8ELNS1_11target_archE1030ELNS1_3gpuE2ELNS1_3repE0EEENS1_30default_config_static_selectorELNS0_4arch9wavefront6targetE1EEEvSR_,comdat
.Lfunc_end35:
	.size	_ZN7rocprim17ROCPRIM_400000_NS6detail17trampoline_kernelINS0_14default_configENS1_22reduce_config_selectorIlEEZNS1_11reduce_implILb1ES3_N6thrust23THRUST_200600_302600_NS11hip_rocprim26transform_input_iterator_tIlPKhZN2at6native8ModeImplIbEclEPKbSI_EUlhE_EEPllNS8_4plusIlEEEE10hipError_tPvRmT1_T2_T3_mT4_P12ihipStream_tbEUlT_E1_NS1_11comp_targetILNS1_3genE8ELNS1_11target_archE1030ELNS1_3gpuE2ELNS1_3repE0EEENS1_30default_config_static_selectorELNS0_4arch9wavefront6targetE1EEEvSR_, .Lfunc_end35-_ZN7rocprim17ROCPRIM_400000_NS6detail17trampoline_kernelINS0_14default_configENS1_22reduce_config_selectorIlEEZNS1_11reduce_implILb1ES3_N6thrust23THRUST_200600_302600_NS11hip_rocprim26transform_input_iterator_tIlPKhZN2at6native8ModeImplIbEclEPKbSI_EUlhE_EEPllNS8_4plusIlEEEE10hipError_tPvRmT1_T2_T3_mT4_P12ihipStream_tbEUlT_E1_NS1_11comp_targetILNS1_3genE8ELNS1_11target_archE1030ELNS1_3gpuE2ELNS1_3repE0EEENS1_30default_config_static_selectorELNS0_4arch9wavefront6targetE1EEEvSR_
                                        ; -- End function
	.set _ZN7rocprim17ROCPRIM_400000_NS6detail17trampoline_kernelINS0_14default_configENS1_22reduce_config_selectorIlEEZNS1_11reduce_implILb1ES3_N6thrust23THRUST_200600_302600_NS11hip_rocprim26transform_input_iterator_tIlPKhZN2at6native8ModeImplIbEclEPKbSI_EUlhE_EEPllNS8_4plusIlEEEE10hipError_tPvRmT1_T2_T3_mT4_P12ihipStream_tbEUlT_E1_NS1_11comp_targetILNS1_3genE8ELNS1_11target_archE1030ELNS1_3gpuE2ELNS1_3repE0EEENS1_30default_config_static_selectorELNS0_4arch9wavefront6targetE1EEEvSR_.num_vgpr, 0
	.set _ZN7rocprim17ROCPRIM_400000_NS6detail17trampoline_kernelINS0_14default_configENS1_22reduce_config_selectorIlEEZNS1_11reduce_implILb1ES3_N6thrust23THRUST_200600_302600_NS11hip_rocprim26transform_input_iterator_tIlPKhZN2at6native8ModeImplIbEclEPKbSI_EUlhE_EEPllNS8_4plusIlEEEE10hipError_tPvRmT1_T2_T3_mT4_P12ihipStream_tbEUlT_E1_NS1_11comp_targetILNS1_3genE8ELNS1_11target_archE1030ELNS1_3gpuE2ELNS1_3repE0EEENS1_30default_config_static_selectorELNS0_4arch9wavefront6targetE1EEEvSR_.num_agpr, 0
	.set _ZN7rocprim17ROCPRIM_400000_NS6detail17trampoline_kernelINS0_14default_configENS1_22reduce_config_selectorIlEEZNS1_11reduce_implILb1ES3_N6thrust23THRUST_200600_302600_NS11hip_rocprim26transform_input_iterator_tIlPKhZN2at6native8ModeImplIbEclEPKbSI_EUlhE_EEPllNS8_4plusIlEEEE10hipError_tPvRmT1_T2_T3_mT4_P12ihipStream_tbEUlT_E1_NS1_11comp_targetILNS1_3genE8ELNS1_11target_archE1030ELNS1_3gpuE2ELNS1_3repE0EEENS1_30default_config_static_selectorELNS0_4arch9wavefront6targetE1EEEvSR_.numbered_sgpr, 0
	.set _ZN7rocprim17ROCPRIM_400000_NS6detail17trampoline_kernelINS0_14default_configENS1_22reduce_config_selectorIlEEZNS1_11reduce_implILb1ES3_N6thrust23THRUST_200600_302600_NS11hip_rocprim26transform_input_iterator_tIlPKhZN2at6native8ModeImplIbEclEPKbSI_EUlhE_EEPllNS8_4plusIlEEEE10hipError_tPvRmT1_T2_T3_mT4_P12ihipStream_tbEUlT_E1_NS1_11comp_targetILNS1_3genE8ELNS1_11target_archE1030ELNS1_3gpuE2ELNS1_3repE0EEENS1_30default_config_static_selectorELNS0_4arch9wavefront6targetE1EEEvSR_.num_named_barrier, 0
	.set _ZN7rocprim17ROCPRIM_400000_NS6detail17trampoline_kernelINS0_14default_configENS1_22reduce_config_selectorIlEEZNS1_11reduce_implILb1ES3_N6thrust23THRUST_200600_302600_NS11hip_rocprim26transform_input_iterator_tIlPKhZN2at6native8ModeImplIbEclEPKbSI_EUlhE_EEPllNS8_4plusIlEEEE10hipError_tPvRmT1_T2_T3_mT4_P12ihipStream_tbEUlT_E1_NS1_11comp_targetILNS1_3genE8ELNS1_11target_archE1030ELNS1_3gpuE2ELNS1_3repE0EEENS1_30default_config_static_selectorELNS0_4arch9wavefront6targetE1EEEvSR_.private_seg_size, 0
	.set _ZN7rocprim17ROCPRIM_400000_NS6detail17trampoline_kernelINS0_14default_configENS1_22reduce_config_selectorIlEEZNS1_11reduce_implILb1ES3_N6thrust23THRUST_200600_302600_NS11hip_rocprim26transform_input_iterator_tIlPKhZN2at6native8ModeImplIbEclEPKbSI_EUlhE_EEPllNS8_4plusIlEEEE10hipError_tPvRmT1_T2_T3_mT4_P12ihipStream_tbEUlT_E1_NS1_11comp_targetILNS1_3genE8ELNS1_11target_archE1030ELNS1_3gpuE2ELNS1_3repE0EEENS1_30default_config_static_selectorELNS0_4arch9wavefront6targetE1EEEvSR_.uses_vcc, 0
	.set _ZN7rocprim17ROCPRIM_400000_NS6detail17trampoline_kernelINS0_14default_configENS1_22reduce_config_selectorIlEEZNS1_11reduce_implILb1ES3_N6thrust23THRUST_200600_302600_NS11hip_rocprim26transform_input_iterator_tIlPKhZN2at6native8ModeImplIbEclEPKbSI_EUlhE_EEPllNS8_4plusIlEEEE10hipError_tPvRmT1_T2_T3_mT4_P12ihipStream_tbEUlT_E1_NS1_11comp_targetILNS1_3genE8ELNS1_11target_archE1030ELNS1_3gpuE2ELNS1_3repE0EEENS1_30default_config_static_selectorELNS0_4arch9wavefront6targetE1EEEvSR_.uses_flat_scratch, 0
	.set _ZN7rocprim17ROCPRIM_400000_NS6detail17trampoline_kernelINS0_14default_configENS1_22reduce_config_selectorIlEEZNS1_11reduce_implILb1ES3_N6thrust23THRUST_200600_302600_NS11hip_rocprim26transform_input_iterator_tIlPKhZN2at6native8ModeImplIbEclEPKbSI_EUlhE_EEPllNS8_4plusIlEEEE10hipError_tPvRmT1_T2_T3_mT4_P12ihipStream_tbEUlT_E1_NS1_11comp_targetILNS1_3genE8ELNS1_11target_archE1030ELNS1_3gpuE2ELNS1_3repE0EEENS1_30default_config_static_selectorELNS0_4arch9wavefront6targetE1EEEvSR_.has_dyn_sized_stack, 0
	.set _ZN7rocprim17ROCPRIM_400000_NS6detail17trampoline_kernelINS0_14default_configENS1_22reduce_config_selectorIlEEZNS1_11reduce_implILb1ES3_N6thrust23THRUST_200600_302600_NS11hip_rocprim26transform_input_iterator_tIlPKhZN2at6native8ModeImplIbEclEPKbSI_EUlhE_EEPllNS8_4plusIlEEEE10hipError_tPvRmT1_T2_T3_mT4_P12ihipStream_tbEUlT_E1_NS1_11comp_targetILNS1_3genE8ELNS1_11target_archE1030ELNS1_3gpuE2ELNS1_3repE0EEENS1_30default_config_static_selectorELNS0_4arch9wavefront6targetE1EEEvSR_.has_recursion, 0
	.set _ZN7rocprim17ROCPRIM_400000_NS6detail17trampoline_kernelINS0_14default_configENS1_22reduce_config_selectorIlEEZNS1_11reduce_implILb1ES3_N6thrust23THRUST_200600_302600_NS11hip_rocprim26transform_input_iterator_tIlPKhZN2at6native8ModeImplIbEclEPKbSI_EUlhE_EEPllNS8_4plusIlEEEE10hipError_tPvRmT1_T2_T3_mT4_P12ihipStream_tbEUlT_E1_NS1_11comp_targetILNS1_3genE8ELNS1_11target_archE1030ELNS1_3gpuE2ELNS1_3repE0EEENS1_30default_config_static_selectorELNS0_4arch9wavefront6targetE1EEEvSR_.has_indirect_call, 0
	.section	.AMDGPU.csdata,"",@progbits
; Kernel info:
; codeLenInByte = 0
; TotalNumSgprs: 4
; NumVgprs: 0
; ScratchSize: 0
; MemoryBound: 0
; FloatMode: 240
; IeeeMode: 1
; LDSByteSize: 0 bytes/workgroup (compile time only)
; SGPRBlocks: 0
; VGPRBlocks: 0
; NumSGPRsForWavesPerEU: 4
; NumVGPRsForWavesPerEU: 1
; Occupancy: 10
; WaveLimiterHint : 0
; COMPUTE_PGM_RSRC2:SCRATCH_EN: 0
; COMPUTE_PGM_RSRC2:USER_SGPR: 6
; COMPUTE_PGM_RSRC2:TRAP_HANDLER: 0
; COMPUTE_PGM_RSRC2:TGID_X_EN: 1
; COMPUTE_PGM_RSRC2:TGID_Y_EN: 0
; COMPUTE_PGM_RSRC2:TGID_Z_EN: 0
; COMPUTE_PGM_RSRC2:TIDIG_COMP_CNT: 0
	.section	.text._ZN7rocprim17ROCPRIM_400000_NS6detail17trampoline_kernelINS0_14default_configENS1_22reduce_config_selectorIN6thrust23THRUST_200600_302600_NS5tupleIblNS6_9null_typeES8_S8_S8_S8_S8_S8_S8_EEEEZNS1_11reduce_implILb1ES3_PS9_SC_S9_NS6_11hip_rocprim9__find_if7functorIS9_EEEE10hipError_tPvRmT1_T2_T3_mT4_P12ihipStream_tbEUlT_E0_NS1_11comp_targetILNS1_3genE0ELNS1_11target_archE4294967295ELNS1_3gpuE0ELNS1_3repE0EEENS1_30default_config_static_selectorELNS0_4arch9wavefront6targetE1EEEvSK_,"axG",@progbits,_ZN7rocprim17ROCPRIM_400000_NS6detail17trampoline_kernelINS0_14default_configENS1_22reduce_config_selectorIN6thrust23THRUST_200600_302600_NS5tupleIblNS6_9null_typeES8_S8_S8_S8_S8_S8_S8_EEEEZNS1_11reduce_implILb1ES3_PS9_SC_S9_NS6_11hip_rocprim9__find_if7functorIS9_EEEE10hipError_tPvRmT1_T2_T3_mT4_P12ihipStream_tbEUlT_E0_NS1_11comp_targetILNS1_3genE0ELNS1_11target_archE4294967295ELNS1_3gpuE0ELNS1_3repE0EEENS1_30default_config_static_selectorELNS0_4arch9wavefront6targetE1EEEvSK_,comdat
	.protected	_ZN7rocprim17ROCPRIM_400000_NS6detail17trampoline_kernelINS0_14default_configENS1_22reduce_config_selectorIN6thrust23THRUST_200600_302600_NS5tupleIblNS6_9null_typeES8_S8_S8_S8_S8_S8_S8_EEEEZNS1_11reduce_implILb1ES3_PS9_SC_S9_NS6_11hip_rocprim9__find_if7functorIS9_EEEE10hipError_tPvRmT1_T2_T3_mT4_P12ihipStream_tbEUlT_E0_NS1_11comp_targetILNS1_3genE0ELNS1_11target_archE4294967295ELNS1_3gpuE0ELNS1_3repE0EEENS1_30default_config_static_selectorELNS0_4arch9wavefront6targetE1EEEvSK_ ; -- Begin function _ZN7rocprim17ROCPRIM_400000_NS6detail17trampoline_kernelINS0_14default_configENS1_22reduce_config_selectorIN6thrust23THRUST_200600_302600_NS5tupleIblNS6_9null_typeES8_S8_S8_S8_S8_S8_S8_EEEEZNS1_11reduce_implILb1ES3_PS9_SC_S9_NS6_11hip_rocprim9__find_if7functorIS9_EEEE10hipError_tPvRmT1_T2_T3_mT4_P12ihipStream_tbEUlT_E0_NS1_11comp_targetILNS1_3genE0ELNS1_11target_archE4294967295ELNS1_3gpuE0ELNS1_3repE0EEENS1_30default_config_static_selectorELNS0_4arch9wavefront6targetE1EEEvSK_
	.globl	_ZN7rocprim17ROCPRIM_400000_NS6detail17trampoline_kernelINS0_14default_configENS1_22reduce_config_selectorIN6thrust23THRUST_200600_302600_NS5tupleIblNS6_9null_typeES8_S8_S8_S8_S8_S8_S8_EEEEZNS1_11reduce_implILb1ES3_PS9_SC_S9_NS6_11hip_rocprim9__find_if7functorIS9_EEEE10hipError_tPvRmT1_T2_T3_mT4_P12ihipStream_tbEUlT_E0_NS1_11comp_targetILNS1_3genE0ELNS1_11target_archE4294967295ELNS1_3gpuE0ELNS1_3repE0EEENS1_30default_config_static_selectorELNS0_4arch9wavefront6targetE1EEEvSK_
	.p2align	8
	.type	_ZN7rocprim17ROCPRIM_400000_NS6detail17trampoline_kernelINS0_14default_configENS1_22reduce_config_selectorIN6thrust23THRUST_200600_302600_NS5tupleIblNS6_9null_typeES8_S8_S8_S8_S8_S8_S8_EEEEZNS1_11reduce_implILb1ES3_PS9_SC_S9_NS6_11hip_rocprim9__find_if7functorIS9_EEEE10hipError_tPvRmT1_T2_T3_mT4_P12ihipStream_tbEUlT_E0_NS1_11comp_targetILNS1_3genE0ELNS1_11target_archE4294967295ELNS1_3gpuE0ELNS1_3repE0EEENS1_30default_config_static_selectorELNS0_4arch9wavefront6targetE1EEEvSK_,@function
_ZN7rocprim17ROCPRIM_400000_NS6detail17trampoline_kernelINS0_14default_configENS1_22reduce_config_selectorIN6thrust23THRUST_200600_302600_NS5tupleIblNS6_9null_typeES8_S8_S8_S8_S8_S8_S8_EEEEZNS1_11reduce_implILb1ES3_PS9_SC_S9_NS6_11hip_rocprim9__find_if7functorIS9_EEEE10hipError_tPvRmT1_T2_T3_mT4_P12ihipStream_tbEUlT_E0_NS1_11comp_targetILNS1_3genE0ELNS1_11target_archE4294967295ELNS1_3gpuE0ELNS1_3repE0EEENS1_30default_config_static_selectorELNS0_4arch9wavefront6targetE1EEEvSK_: ; @_ZN7rocprim17ROCPRIM_400000_NS6detail17trampoline_kernelINS0_14default_configENS1_22reduce_config_selectorIN6thrust23THRUST_200600_302600_NS5tupleIblNS6_9null_typeES8_S8_S8_S8_S8_S8_S8_EEEEZNS1_11reduce_implILb1ES3_PS9_SC_S9_NS6_11hip_rocprim9__find_if7functorIS9_EEEE10hipError_tPvRmT1_T2_T3_mT4_P12ihipStream_tbEUlT_E0_NS1_11comp_targetILNS1_3genE0ELNS1_11target_archE4294967295ELNS1_3gpuE0ELNS1_3repE0EEENS1_30default_config_static_selectorELNS0_4arch9wavefront6targetE1EEEvSK_
; %bb.0:
	.section	.rodata,"a",@progbits
	.p2align	6, 0x0
	.amdhsa_kernel _ZN7rocprim17ROCPRIM_400000_NS6detail17trampoline_kernelINS0_14default_configENS1_22reduce_config_selectorIN6thrust23THRUST_200600_302600_NS5tupleIblNS6_9null_typeES8_S8_S8_S8_S8_S8_S8_EEEEZNS1_11reduce_implILb1ES3_PS9_SC_S9_NS6_11hip_rocprim9__find_if7functorIS9_EEEE10hipError_tPvRmT1_T2_T3_mT4_P12ihipStream_tbEUlT_E0_NS1_11comp_targetILNS1_3genE0ELNS1_11target_archE4294967295ELNS1_3gpuE0ELNS1_3repE0EEENS1_30default_config_static_selectorELNS0_4arch9wavefront6targetE1EEEvSK_
		.amdhsa_group_segment_fixed_size 0
		.amdhsa_private_segment_fixed_size 0
		.amdhsa_kernarg_size 72
		.amdhsa_user_sgpr_count 6
		.amdhsa_user_sgpr_private_segment_buffer 1
		.amdhsa_user_sgpr_dispatch_ptr 0
		.amdhsa_user_sgpr_queue_ptr 0
		.amdhsa_user_sgpr_kernarg_segment_ptr 1
		.amdhsa_user_sgpr_dispatch_id 0
		.amdhsa_user_sgpr_flat_scratch_init 0
		.amdhsa_user_sgpr_private_segment_size 0
		.amdhsa_uses_dynamic_stack 0
		.amdhsa_system_sgpr_private_segment_wavefront_offset 0
		.amdhsa_system_sgpr_workgroup_id_x 1
		.amdhsa_system_sgpr_workgroup_id_y 0
		.amdhsa_system_sgpr_workgroup_id_z 0
		.amdhsa_system_sgpr_workgroup_info 0
		.amdhsa_system_vgpr_workitem_id 0
		.amdhsa_next_free_vgpr 1
		.amdhsa_next_free_sgpr 0
		.amdhsa_reserve_vcc 0
		.amdhsa_reserve_flat_scratch 0
		.amdhsa_float_round_mode_32 0
		.amdhsa_float_round_mode_16_64 0
		.amdhsa_float_denorm_mode_32 3
		.amdhsa_float_denorm_mode_16_64 3
		.amdhsa_dx10_clamp 1
		.amdhsa_ieee_mode 1
		.amdhsa_fp16_overflow 0
		.amdhsa_exception_fp_ieee_invalid_op 0
		.amdhsa_exception_fp_denorm_src 0
		.amdhsa_exception_fp_ieee_div_zero 0
		.amdhsa_exception_fp_ieee_overflow 0
		.amdhsa_exception_fp_ieee_underflow 0
		.amdhsa_exception_fp_ieee_inexact 0
		.amdhsa_exception_int_div_zero 0
	.end_amdhsa_kernel
	.section	.text._ZN7rocprim17ROCPRIM_400000_NS6detail17trampoline_kernelINS0_14default_configENS1_22reduce_config_selectorIN6thrust23THRUST_200600_302600_NS5tupleIblNS6_9null_typeES8_S8_S8_S8_S8_S8_S8_EEEEZNS1_11reduce_implILb1ES3_PS9_SC_S9_NS6_11hip_rocprim9__find_if7functorIS9_EEEE10hipError_tPvRmT1_T2_T3_mT4_P12ihipStream_tbEUlT_E0_NS1_11comp_targetILNS1_3genE0ELNS1_11target_archE4294967295ELNS1_3gpuE0ELNS1_3repE0EEENS1_30default_config_static_selectorELNS0_4arch9wavefront6targetE1EEEvSK_,"axG",@progbits,_ZN7rocprim17ROCPRIM_400000_NS6detail17trampoline_kernelINS0_14default_configENS1_22reduce_config_selectorIN6thrust23THRUST_200600_302600_NS5tupleIblNS6_9null_typeES8_S8_S8_S8_S8_S8_S8_EEEEZNS1_11reduce_implILb1ES3_PS9_SC_S9_NS6_11hip_rocprim9__find_if7functorIS9_EEEE10hipError_tPvRmT1_T2_T3_mT4_P12ihipStream_tbEUlT_E0_NS1_11comp_targetILNS1_3genE0ELNS1_11target_archE4294967295ELNS1_3gpuE0ELNS1_3repE0EEENS1_30default_config_static_selectorELNS0_4arch9wavefront6targetE1EEEvSK_,comdat
.Lfunc_end36:
	.size	_ZN7rocprim17ROCPRIM_400000_NS6detail17trampoline_kernelINS0_14default_configENS1_22reduce_config_selectorIN6thrust23THRUST_200600_302600_NS5tupleIblNS6_9null_typeES8_S8_S8_S8_S8_S8_S8_EEEEZNS1_11reduce_implILb1ES3_PS9_SC_S9_NS6_11hip_rocprim9__find_if7functorIS9_EEEE10hipError_tPvRmT1_T2_T3_mT4_P12ihipStream_tbEUlT_E0_NS1_11comp_targetILNS1_3genE0ELNS1_11target_archE4294967295ELNS1_3gpuE0ELNS1_3repE0EEENS1_30default_config_static_selectorELNS0_4arch9wavefront6targetE1EEEvSK_, .Lfunc_end36-_ZN7rocprim17ROCPRIM_400000_NS6detail17trampoline_kernelINS0_14default_configENS1_22reduce_config_selectorIN6thrust23THRUST_200600_302600_NS5tupleIblNS6_9null_typeES8_S8_S8_S8_S8_S8_S8_EEEEZNS1_11reduce_implILb1ES3_PS9_SC_S9_NS6_11hip_rocprim9__find_if7functorIS9_EEEE10hipError_tPvRmT1_T2_T3_mT4_P12ihipStream_tbEUlT_E0_NS1_11comp_targetILNS1_3genE0ELNS1_11target_archE4294967295ELNS1_3gpuE0ELNS1_3repE0EEENS1_30default_config_static_selectorELNS0_4arch9wavefront6targetE1EEEvSK_
                                        ; -- End function
	.set _ZN7rocprim17ROCPRIM_400000_NS6detail17trampoline_kernelINS0_14default_configENS1_22reduce_config_selectorIN6thrust23THRUST_200600_302600_NS5tupleIblNS6_9null_typeES8_S8_S8_S8_S8_S8_S8_EEEEZNS1_11reduce_implILb1ES3_PS9_SC_S9_NS6_11hip_rocprim9__find_if7functorIS9_EEEE10hipError_tPvRmT1_T2_T3_mT4_P12ihipStream_tbEUlT_E0_NS1_11comp_targetILNS1_3genE0ELNS1_11target_archE4294967295ELNS1_3gpuE0ELNS1_3repE0EEENS1_30default_config_static_selectorELNS0_4arch9wavefront6targetE1EEEvSK_.num_vgpr, 0
	.set _ZN7rocprim17ROCPRIM_400000_NS6detail17trampoline_kernelINS0_14default_configENS1_22reduce_config_selectorIN6thrust23THRUST_200600_302600_NS5tupleIblNS6_9null_typeES8_S8_S8_S8_S8_S8_S8_EEEEZNS1_11reduce_implILb1ES3_PS9_SC_S9_NS6_11hip_rocprim9__find_if7functorIS9_EEEE10hipError_tPvRmT1_T2_T3_mT4_P12ihipStream_tbEUlT_E0_NS1_11comp_targetILNS1_3genE0ELNS1_11target_archE4294967295ELNS1_3gpuE0ELNS1_3repE0EEENS1_30default_config_static_selectorELNS0_4arch9wavefront6targetE1EEEvSK_.num_agpr, 0
	.set _ZN7rocprim17ROCPRIM_400000_NS6detail17trampoline_kernelINS0_14default_configENS1_22reduce_config_selectorIN6thrust23THRUST_200600_302600_NS5tupleIblNS6_9null_typeES8_S8_S8_S8_S8_S8_S8_EEEEZNS1_11reduce_implILb1ES3_PS9_SC_S9_NS6_11hip_rocprim9__find_if7functorIS9_EEEE10hipError_tPvRmT1_T2_T3_mT4_P12ihipStream_tbEUlT_E0_NS1_11comp_targetILNS1_3genE0ELNS1_11target_archE4294967295ELNS1_3gpuE0ELNS1_3repE0EEENS1_30default_config_static_selectorELNS0_4arch9wavefront6targetE1EEEvSK_.numbered_sgpr, 0
	.set _ZN7rocprim17ROCPRIM_400000_NS6detail17trampoline_kernelINS0_14default_configENS1_22reduce_config_selectorIN6thrust23THRUST_200600_302600_NS5tupleIblNS6_9null_typeES8_S8_S8_S8_S8_S8_S8_EEEEZNS1_11reduce_implILb1ES3_PS9_SC_S9_NS6_11hip_rocprim9__find_if7functorIS9_EEEE10hipError_tPvRmT1_T2_T3_mT4_P12ihipStream_tbEUlT_E0_NS1_11comp_targetILNS1_3genE0ELNS1_11target_archE4294967295ELNS1_3gpuE0ELNS1_3repE0EEENS1_30default_config_static_selectorELNS0_4arch9wavefront6targetE1EEEvSK_.num_named_barrier, 0
	.set _ZN7rocprim17ROCPRIM_400000_NS6detail17trampoline_kernelINS0_14default_configENS1_22reduce_config_selectorIN6thrust23THRUST_200600_302600_NS5tupleIblNS6_9null_typeES8_S8_S8_S8_S8_S8_S8_EEEEZNS1_11reduce_implILb1ES3_PS9_SC_S9_NS6_11hip_rocprim9__find_if7functorIS9_EEEE10hipError_tPvRmT1_T2_T3_mT4_P12ihipStream_tbEUlT_E0_NS1_11comp_targetILNS1_3genE0ELNS1_11target_archE4294967295ELNS1_3gpuE0ELNS1_3repE0EEENS1_30default_config_static_selectorELNS0_4arch9wavefront6targetE1EEEvSK_.private_seg_size, 0
	.set _ZN7rocprim17ROCPRIM_400000_NS6detail17trampoline_kernelINS0_14default_configENS1_22reduce_config_selectorIN6thrust23THRUST_200600_302600_NS5tupleIblNS6_9null_typeES8_S8_S8_S8_S8_S8_S8_EEEEZNS1_11reduce_implILb1ES3_PS9_SC_S9_NS6_11hip_rocprim9__find_if7functorIS9_EEEE10hipError_tPvRmT1_T2_T3_mT4_P12ihipStream_tbEUlT_E0_NS1_11comp_targetILNS1_3genE0ELNS1_11target_archE4294967295ELNS1_3gpuE0ELNS1_3repE0EEENS1_30default_config_static_selectorELNS0_4arch9wavefront6targetE1EEEvSK_.uses_vcc, 0
	.set _ZN7rocprim17ROCPRIM_400000_NS6detail17trampoline_kernelINS0_14default_configENS1_22reduce_config_selectorIN6thrust23THRUST_200600_302600_NS5tupleIblNS6_9null_typeES8_S8_S8_S8_S8_S8_S8_EEEEZNS1_11reduce_implILb1ES3_PS9_SC_S9_NS6_11hip_rocprim9__find_if7functorIS9_EEEE10hipError_tPvRmT1_T2_T3_mT4_P12ihipStream_tbEUlT_E0_NS1_11comp_targetILNS1_3genE0ELNS1_11target_archE4294967295ELNS1_3gpuE0ELNS1_3repE0EEENS1_30default_config_static_selectorELNS0_4arch9wavefront6targetE1EEEvSK_.uses_flat_scratch, 0
	.set _ZN7rocprim17ROCPRIM_400000_NS6detail17trampoline_kernelINS0_14default_configENS1_22reduce_config_selectorIN6thrust23THRUST_200600_302600_NS5tupleIblNS6_9null_typeES8_S8_S8_S8_S8_S8_S8_EEEEZNS1_11reduce_implILb1ES3_PS9_SC_S9_NS6_11hip_rocprim9__find_if7functorIS9_EEEE10hipError_tPvRmT1_T2_T3_mT4_P12ihipStream_tbEUlT_E0_NS1_11comp_targetILNS1_3genE0ELNS1_11target_archE4294967295ELNS1_3gpuE0ELNS1_3repE0EEENS1_30default_config_static_selectorELNS0_4arch9wavefront6targetE1EEEvSK_.has_dyn_sized_stack, 0
	.set _ZN7rocprim17ROCPRIM_400000_NS6detail17trampoline_kernelINS0_14default_configENS1_22reduce_config_selectorIN6thrust23THRUST_200600_302600_NS5tupleIblNS6_9null_typeES8_S8_S8_S8_S8_S8_S8_EEEEZNS1_11reduce_implILb1ES3_PS9_SC_S9_NS6_11hip_rocprim9__find_if7functorIS9_EEEE10hipError_tPvRmT1_T2_T3_mT4_P12ihipStream_tbEUlT_E0_NS1_11comp_targetILNS1_3genE0ELNS1_11target_archE4294967295ELNS1_3gpuE0ELNS1_3repE0EEENS1_30default_config_static_selectorELNS0_4arch9wavefront6targetE1EEEvSK_.has_recursion, 0
	.set _ZN7rocprim17ROCPRIM_400000_NS6detail17trampoline_kernelINS0_14default_configENS1_22reduce_config_selectorIN6thrust23THRUST_200600_302600_NS5tupleIblNS6_9null_typeES8_S8_S8_S8_S8_S8_S8_EEEEZNS1_11reduce_implILb1ES3_PS9_SC_S9_NS6_11hip_rocprim9__find_if7functorIS9_EEEE10hipError_tPvRmT1_T2_T3_mT4_P12ihipStream_tbEUlT_E0_NS1_11comp_targetILNS1_3genE0ELNS1_11target_archE4294967295ELNS1_3gpuE0ELNS1_3repE0EEENS1_30default_config_static_selectorELNS0_4arch9wavefront6targetE1EEEvSK_.has_indirect_call, 0
	.section	.AMDGPU.csdata,"",@progbits
; Kernel info:
; codeLenInByte = 0
; TotalNumSgprs: 4
; NumVgprs: 0
; ScratchSize: 0
; MemoryBound: 0
; FloatMode: 240
; IeeeMode: 1
; LDSByteSize: 0 bytes/workgroup (compile time only)
; SGPRBlocks: 0
; VGPRBlocks: 0
; NumSGPRsForWavesPerEU: 4
; NumVGPRsForWavesPerEU: 1
; Occupancy: 10
; WaveLimiterHint : 0
; COMPUTE_PGM_RSRC2:SCRATCH_EN: 0
; COMPUTE_PGM_RSRC2:USER_SGPR: 6
; COMPUTE_PGM_RSRC2:TRAP_HANDLER: 0
; COMPUTE_PGM_RSRC2:TGID_X_EN: 1
; COMPUTE_PGM_RSRC2:TGID_Y_EN: 0
; COMPUTE_PGM_RSRC2:TGID_Z_EN: 0
; COMPUTE_PGM_RSRC2:TIDIG_COMP_CNT: 0
	.section	.text._ZN7rocprim17ROCPRIM_400000_NS6detail17trampoline_kernelINS0_14default_configENS1_22reduce_config_selectorIN6thrust23THRUST_200600_302600_NS5tupleIblNS6_9null_typeES8_S8_S8_S8_S8_S8_S8_EEEEZNS1_11reduce_implILb1ES3_PS9_SC_S9_NS6_11hip_rocprim9__find_if7functorIS9_EEEE10hipError_tPvRmT1_T2_T3_mT4_P12ihipStream_tbEUlT_E0_NS1_11comp_targetILNS1_3genE5ELNS1_11target_archE942ELNS1_3gpuE9ELNS1_3repE0EEENS1_30default_config_static_selectorELNS0_4arch9wavefront6targetE1EEEvSK_,"axG",@progbits,_ZN7rocprim17ROCPRIM_400000_NS6detail17trampoline_kernelINS0_14default_configENS1_22reduce_config_selectorIN6thrust23THRUST_200600_302600_NS5tupleIblNS6_9null_typeES8_S8_S8_S8_S8_S8_S8_EEEEZNS1_11reduce_implILb1ES3_PS9_SC_S9_NS6_11hip_rocprim9__find_if7functorIS9_EEEE10hipError_tPvRmT1_T2_T3_mT4_P12ihipStream_tbEUlT_E0_NS1_11comp_targetILNS1_3genE5ELNS1_11target_archE942ELNS1_3gpuE9ELNS1_3repE0EEENS1_30default_config_static_selectorELNS0_4arch9wavefront6targetE1EEEvSK_,comdat
	.protected	_ZN7rocprim17ROCPRIM_400000_NS6detail17trampoline_kernelINS0_14default_configENS1_22reduce_config_selectorIN6thrust23THRUST_200600_302600_NS5tupleIblNS6_9null_typeES8_S8_S8_S8_S8_S8_S8_EEEEZNS1_11reduce_implILb1ES3_PS9_SC_S9_NS6_11hip_rocprim9__find_if7functorIS9_EEEE10hipError_tPvRmT1_T2_T3_mT4_P12ihipStream_tbEUlT_E0_NS1_11comp_targetILNS1_3genE5ELNS1_11target_archE942ELNS1_3gpuE9ELNS1_3repE0EEENS1_30default_config_static_selectorELNS0_4arch9wavefront6targetE1EEEvSK_ ; -- Begin function _ZN7rocprim17ROCPRIM_400000_NS6detail17trampoline_kernelINS0_14default_configENS1_22reduce_config_selectorIN6thrust23THRUST_200600_302600_NS5tupleIblNS6_9null_typeES8_S8_S8_S8_S8_S8_S8_EEEEZNS1_11reduce_implILb1ES3_PS9_SC_S9_NS6_11hip_rocprim9__find_if7functorIS9_EEEE10hipError_tPvRmT1_T2_T3_mT4_P12ihipStream_tbEUlT_E0_NS1_11comp_targetILNS1_3genE5ELNS1_11target_archE942ELNS1_3gpuE9ELNS1_3repE0EEENS1_30default_config_static_selectorELNS0_4arch9wavefront6targetE1EEEvSK_
	.globl	_ZN7rocprim17ROCPRIM_400000_NS6detail17trampoline_kernelINS0_14default_configENS1_22reduce_config_selectorIN6thrust23THRUST_200600_302600_NS5tupleIblNS6_9null_typeES8_S8_S8_S8_S8_S8_S8_EEEEZNS1_11reduce_implILb1ES3_PS9_SC_S9_NS6_11hip_rocprim9__find_if7functorIS9_EEEE10hipError_tPvRmT1_T2_T3_mT4_P12ihipStream_tbEUlT_E0_NS1_11comp_targetILNS1_3genE5ELNS1_11target_archE942ELNS1_3gpuE9ELNS1_3repE0EEENS1_30default_config_static_selectorELNS0_4arch9wavefront6targetE1EEEvSK_
	.p2align	8
	.type	_ZN7rocprim17ROCPRIM_400000_NS6detail17trampoline_kernelINS0_14default_configENS1_22reduce_config_selectorIN6thrust23THRUST_200600_302600_NS5tupleIblNS6_9null_typeES8_S8_S8_S8_S8_S8_S8_EEEEZNS1_11reduce_implILb1ES3_PS9_SC_S9_NS6_11hip_rocprim9__find_if7functorIS9_EEEE10hipError_tPvRmT1_T2_T3_mT4_P12ihipStream_tbEUlT_E0_NS1_11comp_targetILNS1_3genE5ELNS1_11target_archE942ELNS1_3gpuE9ELNS1_3repE0EEENS1_30default_config_static_selectorELNS0_4arch9wavefront6targetE1EEEvSK_,@function
_ZN7rocprim17ROCPRIM_400000_NS6detail17trampoline_kernelINS0_14default_configENS1_22reduce_config_selectorIN6thrust23THRUST_200600_302600_NS5tupleIblNS6_9null_typeES8_S8_S8_S8_S8_S8_S8_EEEEZNS1_11reduce_implILb1ES3_PS9_SC_S9_NS6_11hip_rocprim9__find_if7functorIS9_EEEE10hipError_tPvRmT1_T2_T3_mT4_P12ihipStream_tbEUlT_E0_NS1_11comp_targetILNS1_3genE5ELNS1_11target_archE942ELNS1_3gpuE9ELNS1_3repE0EEENS1_30default_config_static_selectorELNS0_4arch9wavefront6targetE1EEEvSK_: ; @_ZN7rocprim17ROCPRIM_400000_NS6detail17trampoline_kernelINS0_14default_configENS1_22reduce_config_selectorIN6thrust23THRUST_200600_302600_NS5tupleIblNS6_9null_typeES8_S8_S8_S8_S8_S8_S8_EEEEZNS1_11reduce_implILb1ES3_PS9_SC_S9_NS6_11hip_rocprim9__find_if7functorIS9_EEEE10hipError_tPvRmT1_T2_T3_mT4_P12ihipStream_tbEUlT_E0_NS1_11comp_targetILNS1_3genE5ELNS1_11target_archE942ELNS1_3gpuE9ELNS1_3repE0EEENS1_30default_config_static_selectorELNS0_4arch9wavefront6targetE1EEEvSK_
; %bb.0:
	.section	.rodata,"a",@progbits
	.p2align	6, 0x0
	.amdhsa_kernel _ZN7rocprim17ROCPRIM_400000_NS6detail17trampoline_kernelINS0_14default_configENS1_22reduce_config_selectorIN6thrust23THRUST_200600_302600_NS5tupleIblNS6_9null_typeES8_S8_S8_S8_S8_S8_S8_EEEEZNS1_11reduce_implILb1ES3_PS9_SC_S9_NS6_11hip_rocprim9__find_if7functorIS9_EEEE10hipError_tPvRmT1_T2_T3_mT4_P12ihipStream_tbEUlT_E0_NS1_11comp_targetILNS1_3genE5ELNS1_11target_archE942ELNS1_3gpuE9ELNS1_3repE0EEENS1_30default_config_static_selectorELNS0_4arch9wavefront6targetE1EEEvSK_
		.amdhsa_group_segment_fixed_size 0
		.amdhsa_private_segment_fixed_size 0
		.amdhsa_kernarg_size 72
		.amdhsa_user_sgpr_count 6
		.amdhsa_user_sgpr_private_segment_buffer 1
		.amdhsa_user_sgpr_dispatch_ptr 0
		.amdhsa_user_sgpr_queue_ptr 0
		.amdhsa_user_sgpr_kernarg_segment_ptr 1
		.amdhsa_user_sgpr_dispatch_id 0
		.amdhsa_user_sgpr_flat_scratch_init 0
		.amdhsa_user_sgpr_private_segment_size 0
		.amdhsa_uses_dynamic_stack 0
		.amdhsa_system_sgpr_private_segment_wavefront_offset 0
		.amdhsa_system_sgpr_workgroup_id_x 1
		.amdhsa_system_sgpr_workgroup_id_y 0
		.amdhsa_system_sgpr_workgroup_id_z 0
		.amdhsa_system_sgpr_workgroup_info 0
		.amdhsa_system_vgpr_workitem_id 0
		.amdhsa_next_free_vgpr 1
		.amdhsa_next_free_sgpr 0
		.amdhsa_reserve_vcc 0
		.amdhsa_reserve_flat_scratch 0
		.amdhsa_float_round_mode_32 0
		.amdhsa_float_round_mode_16_64 0
		.amdhsa_float_denorm_mode_32 3
		.amdhsa_float_denorm_mode_16_64 3
		.amdhsa_dx10_clamp 1
		.amdhsa_ieee_mode 1
		.amdhsa_fp16_overflow 0
		.amdhsa_exception_fp_ieee_invalid_op 0
		.amdhsa_exception_fp_denorm_src 0
		.amdhsa_exception_fp_ieee_div_zero 0
		.amdhsa_exception_fp_ieee_overflow 0
		.amdhsa_exception_fp_ieee_underflow 0
		.amdhsa_exception_fp_ieee_inexact 0
		.amdhsa_exception_int_div_zero 0
	.end_amdhsa_kernel
	.section	.text._ZN7rocprim17ROCPRIM_400000_NS6detail17trampoline_kernelINS0_14default_configENS1_22reduce_config_selectorIN6thrust23THRUST_200600_302600_NS5tupleIblNS6_9null_typeES8_S8_S8_S8_S8_S8_S8_EEEEZNS1_11reduce_implILb1ES3_PS9_SC_S9_NS6_11hip_rocprim9__find_if7functorIS9_EEEE10hipError_tPvRmT1_T2_T3_mT4_P12ihipStream_tbEUlT_E0_NS1_11comp_targetILNS1_3genE5ELNS1_11target_archE942ELNS1_3gpuE9ELNS1_3repE0EEENS1_30default_config_static_selectorELNS0_4arch9wavefront6targetE1EEEvSK_,"axG",@progbits,_ZN7rocprim17ROCPRIM_400000_NS6detail17trampoline_kernelINS0_14default_configENS1_22reduce_config_selectorIN6thrust23THRUST_200600_302600_NS5tupleIblNS6_9null_typeES8_S8_S8_S8_S8_S8_S8_EEEEZNS1_11reduce_implILb1ES3_PS9_SC_S9_NS6_11hip_rocprim9__find_if7functorIS9_EEEE10hipError_tPvRmT1_T2_T3_mT4_P12ihipStream_tbEUlT_E0_NS1_11comp_targetILNS1_3genE5ELNS1_11target_archE942ELNS1_3gpuE9ELNS1_3repE0EEENS1_30default_config_static_selectorELNS0_4arch9wavefront6targetE1EEEvSK_,comdat
.Lfunc_end37:
	.size	_ZN7rocprim17ROCPRIM_400000_NS6detail17trampoline_kernelINS0_14default_configENS1_22reduce_config_selectorIN6thrust23THRUST_200600_302600_NS5tupleIblNS6_9null_typeES8_S8_S8_S8_S8_S8_S8_EEEEZNS1_11reduce_implILb1ES3_PS9_SC_S9_NS6_11hip_rocprim9__find_if7functorIS9_EEEE10hipError_tPvRmT1_T2_T3_mT4_P12ihipStream_tbEUlT_E0_NS1_11comp_targetILNS1_3genE5ELNS1_11target_archE942ELNS1_3gpuE9ELNS1_3repE0EEENS1_30default_config_static_selectorELNS0_4arch9wavefront6targetE1EEEvSK_, .Lfunc_end37-_ZN7rocprim17ROCPRIM_400000_NS6detail17trampoline_kernelINS0_14default_configENS1_22reduce_config_selectorIN6thrust23THRUST_200600_302600_NS5tupleIblNS6_9null_typeES8_S8_S8_S8_S8_S8_S8_EEEEZNS1_11reduce_implILb1ES3_PS9_SC_S9_NS6_11hip_rocprim9__find_if7functorIS9_EEEE10hipError_tPvRmT1_T2_T3_mT4_P12ihipStream_tbEUlT_E0_NS1_11comp_targetILNS1_3genE5ELNS1_11target_archE942ELNS1_3gpuE9ELNS1_3repE0EEENS1_30default_config_static_selectorELNS0_4arch9wavefront6targetE1EEEvSK_
                                        ; -- End function
	.set _ZN7rocprim17ROCPRIM_400000_NS6detail17trampoline_kernelINS0_14default_configENS1_22reduce_config_selectorIN6thrust23THRUST_200600_302600_NS5tupleIblNS6_9null_typeES8_S8_S8_S8_S8_S8_S8_EEEEZNS1_11reduce_implILb1ES3_PS9_SC_S9_NS6_11hip_rocprim9__find_if7functorIS9_EEEE10hipError_tPvRmT1_T2_T3_mT4_P12ihipStream_tbEUlT_E0_NS1_11comp_targetILNS1_3genE5ELNS1_11target_archE942ELNS1_3gpuE9ELNS1_3repE0EEENS1_30default_config_static_selectorELNS0_4arch9wavefront6targetE1EEEvSK_.num_vgpr, 0
	.set _ZN7rocprim17ROCPRIM_400000_NS6detail17trampoline_kernelINS0_14default_configENS1_22reduce_config_selectorIN6thrust23THRUST_200600_302600_NS5tupleIblNS6_9null_typeES8_S8_S8_S8_S8_S8_S8_EEEEZNS1_11reduce_implILb1ES3_PS9_SC_S9_NS6_11hip_rocprim9__find_if7functorIS9_EEEE10hipError_tPvRmT1_T2_T3_mT4_P12ihipStream_tbEUlT_E0_NS1_11comp_targetILNS1_3genE5ELNS1_11target_archE942ELNS1_3gpuE9ELNS1_3repE0EEENS1_30default_config_static_selectorELNS0_4arch9wavefront6targetE1EEEvSK_.num_agpr, 0
	.set _ZN7rocprim17ROCPRIM_400000_NS6detail17trampoline_kernelINS0_14default_configENS1_22reduce_config_selectorIN6thrust23THRUST_200600_302600_NS5tupleIblNS6_9null_typeES8_S8_S8_S8_S8_S8_S8_EEEEZNS1_11reduce_implILb1ES3_PS9_SC_S9_NS6_11hip_rocprim9__find_if7functorIS9_EEEE10hipError_tPvRmT1_T2_T3_mT4_P12ihipStream_tbEUlT_E0_NS1_11comp_targetILNS1_3genE5ELNS1_11target_archE942ELNS1_3gpuE9ELNS1_3repE0EEENS1_30default_config_static_selectorELNS0_4arch9wavefront6targetE1EEEvSK_.numbered_sgpr, 0
	.set _ZN7rocprim17ROCPRIM_400000_NS6detail17trampoline_kernelINS0_14default_configENS1_22reduce_config_selectorIN6thrust23THRUST_200600_302600_NS5tupleIblNS6_9null_typeES8_S8_S8_S8_S8_S8_S8_EEEEZNS1_11reduce_implILb1ES3_PS9_SC_S9_NS6_11hip_rocprim9__find_if7functorIS9_EEEE10hipError_tPvRmT1_T2_T3_mT4_P12ihipStream_tbEUlT_E0_NS1_11comp_targetILNS1_3genE5ELNS1_11target_archE942ELNS1_3gpuE9ELNS1_3repE0EEENS1_30default_config_static_selectorELNS0_4arch9wavefront6targetE1EEEvSK_.num_named_barrier, 0
	.set _ZN7rocprim17ROCPRIM_400000_NS6detail17trampoline_kernelINS0_14default_configENS1_22reduce_config_selectorIN6thrust23THRUST_200600_302600_NS5tupleIblNS6_9null_typeES8_S8_S8_S8_S8_S8_S8_EEEEZNS1_11reduce_implILb1ES3_PS9_SC_S9_NS6_11hip_rocprim9__find_if7functorIS9_EEEE10hipError_tPvRmT1_T2_T3_mT4_P12ihipStream_tbEUlT_E0_NS1_11comp_targetILNS1_3genE5ELNS1_11target_archE942ELNS1_3gpuE9ELNS1_3repE0EEENS1_30default_config_static_selectorELNS0_4arch9wavefront6targetE1EEEvSK_.private_seg_size, 0
	.set _ZN7rocprim17ROCPRIM_400000_NS6detail17trampoline_kernelINS0_14default_configENS1_22reduce_config_selectorIN6thrust23THRUST_200600_302600_NS5tupleIblNS6_9null_typeES8_S8_S8_S8_S8_S8_S8_EEEEZNS1_11reduce_implILb1ES3_PS9_SC_S9_NS6_11hip_rocprim9__find_if7functorIS9_EEEE10hipError_tPvRmT1_T2_T3_mT4_P12ihipStream_tbEUlT_E0_NS1_11comp_targetILNS1_3genE5ELNS1_11target_archE942ELNS1_3gpuE9ELNS1_3repE0EEENS1_30default_config_static_selectorELNS0_4arch9wavefront6targetE1EEEvSK_.uses_vcc, 0
	.set _ZN7rocprim17ROCPRIM_400000_NS6detail17trampoline_kernelINS0_14default_configENS1_22reduce_config_selectorIN6thrust23THRUST_200600_302600_NS5tupleIblNS6_9null_typeES8_S8_S8_S8_S8_S8_S8_EEEEZNS1_11reduce_implILb1ES3_PS9_SC_S9_NS6_11hip_rocprim9__find_if7functorIS9_EEEE10hipError_tPvRmT1_T2_T3_mT4_P12ihipStream_tbEUlT_E0_NS1_11comp_targetILNS1_3genE5ELNS1_11target_archE942ELNS1_3gpuE9ELNS1_3repE0EEENS1_30default_config_static_selectorELNS0_4arch9wavefront6targetE1EEEvSK_.uses_flat_scratch, 0
	.set _ZN7rocprim17ROCPRIM_400000_NS6detail17trampoline_kernelINS0_14default_configENS1_22reduce_config_selectorIN6thrust23THRUST_200600_302600_NS5tupleIblNS6_9null_typeES8_S8_S8_S8_S8_S8_S8_EEEEZNS1_11reduce_implILb1ES3_PS9_SC_S9_NS6_11hip_rocprim9__find_if7functorIS9_EEEE10hipError_tPvRmT1_T2_T3_mT4_P12ihipStream_tbEUlT_E0_NS1_11comp_targetILNS1_3genE5ELNS1_11target_archE942ELNS1_3gpuE9ELNS1_3repE0EEENS1_30default_config_static_selectorELNS0_4arch9wavefront6targetE1EEEvSK_.has_dyn_sized_stack, 0
	.set _ZN7rocprim17ROCPRIM_400000_NS6detail17trampoline_kernelINS0_14default_configENS1_22reduce_config_selectorIN6thrust23THRUST_200600_302600_NS5tupleIblNS6_9null_typeES8_S8_S8_S8_S8_S8_S8_EEEEZNS1_11reduce_implILb1ES3_PS9_SC_S9_NS6_11hip_rocprim9__find_if7functorIS9_EEEE10hipError_tPvRmT1_T2_T3_mT4_P12ihipStream_tbEUlT_E0_NS1_11comp_targetILNS1_3genE5ELNS1_11target_archE942ELNS1_3gpuE9ELNS1_3repE0EEENS1_30default_config_static_selectorELNS0_4arch9wavefront6targetE1EEEvSK_.has_recursion, 0
	.set _ZN7rocprim17ROCPRIM_400000_NS6detail17trampoline_kernelINS0_14default_configENS1_22reduce_config_selectorIN6thrust23THRUST_200600_302600_NS5tupleIblNS6_9null_typeES8_S8_S8_S8_S8_S8_S8_EEEEZNS1_11reduce_implILb1ES3_PS9_SC_S9_NS6_11hip_rocprim9__find_if7functorIS9_EEEE10hipError_tPvRmT1_T2_T3_mT4_P12ihipStream_tbEUlT_E0_NS1_11comp_targetILNS1_3genE5ELNS1_11target_archE942ELNS1_3gpuE9ELNS1_3repE0EEENS1_30default_config_static_selectorELNS0_4arch9wavefront6targetE1EEEvSK_.has_indirect_call, 0
	.section	.AMDGPU.csdata,"",@progbits
; Kernel info:
; codeLenInByte = 0
; TotalNumSgprs: 4
; NumVgprs: 0
; ScratchSize: 0
; MemoryBound: 0
; FloatMode: 240
; IeeeMode: 1
; LDSByteSize: 0 bytes/workgroup (compile time only)
; SGPRBlocks: 0
; VGPRBlocks: 0
; NumSGPRsForWavesPerEU: 4
; NumVGPRsForWavesPerEU: 1
; Occupancy: 10
; WaveLimiterHint : 0
; COMPUTE_PGM_RSRC2:SCRATCH_EN: 0
; COMPUTE_PGM_RSRC2:USER_SGPR: 6
; COMPUTE_PGM_RSRC2:TRAP_HANDLER: 0
; COMPUTE_PGM_RSRC2:TGID_X_EN: 1
; COMPUTE_PGM_RSRC2:TGID_Y_EN: 0
; COMPUTE_PGM_RSRC2:TGID_Z_EN: 0
; COMPUTE_PGM_RSRC2:TIDIG_COMP_CNT: 0
	.section	.text._ZN7rocprim17ROCPRIM_400000_NS6detail17trampoline_kernelINS0_14default_configENS1_22reduce_config_selectorIN6thrust23THRUST_200600_302600_NS5tupleIblNS6_9null_typeES8_S8_S8_S8_S8_S8_S8_EEEEZNS1_11reduce_implILb1ES3_PS9_SC_S9_NS6_11hip_rocprim9__find_if7functorIS9_EEEE10hipError_tPvRmT1_T2_T3_mT4_P12ihipStream_tbEUlT_E0_NS1_11comp_targetILNS1_3genE4ELNS1_11target_archE910ELNS1_3gpuE8ELNS1_3repE0EEENS1_30default_config_static_selectorELNS0_4arch9wavefront6targetE1EEEvSK_,"axG",@progbits,_ZN7rocprim17ROCPRIM_400000_NS6detail17trampoline_kernelINS0_14default_configENS1_22reduce_config_selectorIN6thrust23THRUST_200600_302600_NS5tupleIblNS6_9null_typeES8_S8_S8_S8_S8_S8_S8_EEEEZNS1_11reduce_implILb1ES3_PS9_SC_S9_NS6_11hip_rocprim9__find_if7functorIS9_EEEE10hipError_tPvRmT1_T2_T3_mT4_P12ihipStream_tbEUlT_E0_NS1_11comp_targetILNS1_3genE4ELNS1_11target_archE910ELNS1_3gpuE8ELNS1_3repE0EEENS1_30default_config_static_selectorELNS0_4arch9wavefront6targetE1EEEvSK_,comdat
	.protected	_ZN7rocprim17ROCPRIM_400000_NS6detail17trampoline_kernelINS0_14default_configENS1_22reduce_config_selectorIN6thrust23THRUST_200600_302600_NS5tupleIblNS6_9null_typeES8_S8_S8_S8_S8_S8_S8_EEEEZNS1_11reduce_implILb1ES3_PS9_SC_S9_NS6_11hip_rocprim9__find_if7functorIS9_EEEE10hipError_tPvRmT1_T2_T3_mT4_P12ihipStream_tbEUlT_E0_NS1_11comp_targetILNS1_3genE4ELNS1_11target_archE910ELNS1_3gpuE8ELNS1_3repE0EEENS1_30default_config_static_selectorELNS0_4arch9wavefront6targetE1EEEvSK_ ; -- Begin function _ZN7rocprim17ROCPRIM_400000_NS6detail17trampoline_kernelINS0_14default_configENS1_22reduce_config_selectorIN6thrust23THRUST_200600_302600_NS5tupleIblNS6_9null_typeES8_S8_S8_S8_S8_S8_S8_EEEEZNS1_11reduce_implILb1ES3_PS9_SC_S9_NS6_11hip_rocprim9__find_if7functorIS9_EEEE10hipError_tPvRmT1_T2_T3_mT4_P12ihipStream_tbEUlT_E0_NS1_11comp_targetILNS1_3genE4ELNS1_11target_archE910ELNS1_3gpuE8ELNS1_3repE0EEENS1_30default_config_static_selectorELNS0_4arch9wavefront6targetE1EEEvSK_
	.globl	_ZN7rocprim17ROCPRIM_400000_NS6detail17trampoline_kernelINS0_14default_configENS1_22reduce_config_selectorIN6thrust23THRUST_200600_302600_NS5tupleIblNS6_9null_typeES8_S8_S8_S8_S8_S8_S8_EEEEZNS1_11reduce_implILb1ES3_PS9_SC_S9_NS6_11hip_rocprim9__find_if7functorIS9_EEEE10hipError_tPvRmT1_T2_T3_mT4_P12ihipStream_tbEUlT_E0_NS1_11comp_targetILNS1_3genE4ELNS1_11target_archE910ELNS1_3gpuE8ELNS1_3repE0EEENS1_30default_config_static_selectorELNS0_4arch9wavefront6targetE1EEEvSK_
	.p2align	8
	.type	_ZN7rocprim17ROCPRIM_400000_NS6detail17trampoline_kernelINS0_14default_configENS1_22reduce_config_selectorIN6thrust23THRUST_200600_302600_NS5tupleIblNS6_9null_typeES8_S8_S8_S8_S8_S8_S8_EEEEZNS1_11reduce_implILb1ES3_PS9_SC_S9_NS6_11hip_rocprim9__find_if7functorIS9_EEEE10hipError_tPvRmT1_T2_T3_mT4_P12ihipStream_tbEUlT_E0_NS1_11comp_targetILNS1_3genE4ELNS1_11target_archE910ELNS1_3gpuE8ELNS1_3repE0EEENS1_30default_config_static_selectorELNS0_4arch9wavefront6targetE1EEEvSK_,@function
_ZN7rocprim17ROCPRIM_400000_NS6detail17trampoline_kernelINS0_14default_configENS1_22reduce_config_selectorIN6thrust23THRUST_200600_302600_NS5tupleIblNS6_9null_typeES8_S8_S8_S8_S8_S8_S8_EEEEZNS1_11reduce_implILb1ES3_PS9_SC_S9_NS6_11hip_rocprim9__find_if7functorIS9_EEEE10hipError_tPvRmT1_T2_T3_mT4_P12ihipStream_tbEUlT_E0_NS1_11comp_targetILNS1_3genE4ELNS1_11target_archE910ELNS1_3gpuE8ELNS1_3repE0EEENS1_30default_config_static_selectorELNS0_4arch9wavefront6targetE1EEEvSK_: ; @_ZN7rocprim17ROCPRIM_400000_NS6detail17trampoline_kernelINS0_14default_configENS1_22reduce_config_selectorIN6thrust23THRUST_200600_302600_NS5tupleIblNS6_9null_typeES8_S8_S8_S8_S8_S8_S8_EEEEZNS1_11reduce_implILb1ES3_PS9_SC_S9_NS6_11hip_rocprim9__find_if7functorIS9_EEEE10hipError_tPvRmT1_T2_T3_mT4_P12ihipStream_tbEUlT_E0_NS1_11comp_targetILNS1_3genE4ELNS1_11target_archE910ELNS1_3gpuE8ELNS1_3repE0EEENS1_30default_config_static_selectorELNS0_4arch9wavefront6targetE1EEEvSK_
; %bb.0:
	.section	.rodata,"a",@progbits
	.p2align	6, 0x0
	.amdhsa_kernel _ZN7rocprim17ROCPRIM_400000_NS6detail17trampoline_kernelINS0_14default_configENS1_22reduce_config_selectorIN6thrust23THRUST_200600_302600_NS5tupleIblNS6_9null_typeES8_S8_S8_S8_S8_S8_S8_EEEEZNS1_11reduce_implILb1ES3_PS9_SC_S9_NS6_11hip_rocprim9__find_if7functorIS9_EEEE10hipError_tPvRmT1_T2_T3_mT4_P12ihipStream_tbEUlT_E0_NS1_11comp_targetILNS1_3genE4ELNS1_11target_archE910ELNS1_3gpuE8ELNS1_3repE0EEENS1_30default_config_static_selectorELNS0_4arch9wavefront6targetE1EEEvSK_
		.amdhsa_group_segment_fixed_size 0
		.amdhsa_private_segment_fixed_size 0
		.amdhsa_kernarg_size 72
		.amdhsa_user_sgpr_count 6
		.amdhsa_user_sgpr_private_segment_buffer 1
		.amdhsa_user_sgpr_dispatch_ptr 0
		.amdhsa_user_sgpr_queue_ptr 0
		.amdhsa_user_sgpr_kernarg_segment_ptr 1
		.amdhsa_user_sgpr_dispatch_id 0
		.amdhsa_user_sgpr_flat_scratch_init 0
		.amdhsa_user_sgpr_private_segment_size 0
		.amdhsa_uses_dynamic_stack 0
		.amdhsa_system_sgpr_private_segment_wavefront_offset 0
		.amdhsa_system_sgpr_workgroup_id_x 1
		.amdhsa_system_sgpr_workgroup_id_y 0
		.amdhsa_system_sgpr_workgroup_id_z 0
		.amdhsa_system_sgpr_workgroup_info 0
		.amdhsa_system_vgpr_workitem_id 0
		.amdhsa_next_free_vgpr 1
		.amdhsa_next_free_sgpr 0
		.amdhsa_reserve_vcc 0
		.amdhsa_reserve_flat_scratch 0
		.amdhsa_float_round_mode_32 0
		.amdhsa_float_round_mode_16_64 0
		.amdhsa_float_denorm_mode_32 3
		.amdhsa_float_denorm_mode_16_64 3
		.amdhsa_dx10_clamp 1
		.amdhsa_ieee_mode 1
		.amdhsa_fp16_overflow 0
		.amdhsa_exception_fp_ieee_invalid_op 0
		.amdhsa_exception_fp_denorm_src 0
		.amdhsa_exception_fp_ieee_div_zero 0
		.amdhsa_exception_fp_ieee_overflow 0
		.amdhsa_exception_fp_ieee_underflow 0
		.amdhsa_exception_fp_ieee_inexact 0
		.amdhsa_exception_int_div_zero 0
	.end_amdhsa_kernel
	.section	.text._ZN7rocprim17ROCPRIM_400000_NS6detail17trampoline_kernelINS0_14default_configENS1_22reduce_config_selectorIN6thrust23THRUST_200600_302600_NS5tupleIblNS6_9null_typeES8_S8_S8_S8_S8_S8_S8_EEEEZNS1_11reduce_implILb1ES3_PS9_SC_S9_NS6_11hip_rocprim9__find_if7functorIS9_EEEE10hipError_tPvRmT1_T2_T3_mT4_P12ihipStream_tbEUlT_E0_NS1_11comp_targetILNS1_3genE4ELNS1_11target_archE910ELNS1_3gpuE8ELNS1_3repE0EEENS1_30default_config_static_selectorELNS0_4arch9wavefront6targetE1EEEvSK_,"axG",@progbits,_ZN7rocprim17ROCPRIM_400000_NS6detail17trampoline_kernelINS0_14default_configENS1_22reduce_config_selectorIN6thrust23THRUST_200600_302600_NS5tupleIblNS6_9null_typeES8_S8_S8_S8_S8_S8_S8_EEEEZNS1_11reduce_implILb1ES3_PS9_SC_S9_NS6_11hip_rocprim9__find_if7functorIS9_EEEE10hipError_tPvRmT1_T2_T3_mT4_P12ihipStream_tbEUlT_E0_NS1_11comp_targetILNS1_3genE4ELNS1_11target_archE910ELNS1_3gpuE8ELNS1_3repE0EEENS1_30default_config_static_selectorELNS0_4arch9wavefront6targetE1EEEvSK_,comdat
.Lfunc_end38:
	.size	_ZN7rocprim17ROCPRIM_400000_NS6detail17trampoline_kernelINS0_14default_configENS1_22reduce_config_selectorIN6thrust23THRUST_200600_302600_NS5tupleIblNS6_9null_typeES8_S8_S8_S8_S8_S8_S8_EEEEZNS1_11reduce_implILb1ES3_PS9_SC_S9_NS6_11hip_rocprim9__find_if7functorIS9_EEEE10hipError_tPvRmT1_T2_T3_mT4_P12ihipStream_tbEUlT_E0_NS1_11comp_targetILNS1_3genE4ELNS1_11target_archE910ELNS1_3gpuE8ELNS1_3repE0EEENS1_30default_config_static_selectorELNS0_4arch9wavefront6targetE1EEEvSK_, .Lfunc_end38-_ZN7rocprim17ROCPRIM_400000_NS6detail17trampoline_kernelINS0_14default_configENS1_22reduce_config_selectorIN6thrust23THRUST_200600_302600_NS5tupleIblNS6_9null_typeES8_S8_S8_S8_S8_S8_S8_EEEEZNS1_11reduce_implILb1ES3_PS9_SC_S9_NS6_11hip_rocprim9__find_if7functorIS9_EEEE10hipError_tPvRmT1_T2_T3_mT4_P12ihipStream_tbEUlT_E0_NS1_11comp_targetILNS1_3genE4ELNS1_11target_archE910ELNS1_3gpuE8ELNS1_3repE0EEENS1_30default_config_static_selectorELNS0_4arch9wavefront6targetE1EEEvSK_
                                        ; -- End function
	.set _ZN7rocprim17ROCPRIM_400000_NS6detail17trampoline_kernelINS0_14default_configENS1_22reduce_config_selectorIN6thrust23THRUST_200600_302600_NS5tupleIblNS6_9null_typeES8_S8_S8_S8_S8_S8_S8_EEEEZNS1_11reduce_implILb1ES3_PS9_SC_S9_NS6_11hip_rocprim9__find_if7functorIS9_EEEE10hipError_tPvRmT1_T2_T3_mT4_P12ihipStream_tbEUlT_E0_NS1_11comp_targetILNS1_3genE4ELNS1_11target_archE910ELNS1_3gpuE8ELNS1_3repE0EEENS1_30default_config_static_selectorELNS0_4arch9wavefront6targetE1EEEvSK_.num_vgpr, 0
	.set _ZN7rocprim17ROCPRIM_400000_NS6detail17trampoline_kernelINS0_14default_configENS1_22reduce_config_selectorIN6thrust23THRUST_200600_302600_NS5tupleIblNS6_9null_typeES8_S8_S8_S8_S8_S8_S8_EEEEZNS1_11reduce_implILb1ES3_PS9_SC_S9_NS6_11hip_rocprim9__find_if7functorIS9_EEEE10hipError_tPvRmT1_T2_T3_mT4_P12ihipStream_tbEUlT_E0_NS1_11comp_targetILNS1_3genE4ELNS1_11target_archE910ELNS1_3gpuE8ELNS1_3repE0EEENS1_30default_config_static_selectorELNS0_4arch9wavefront6targetE1EEEvSK_.num_agpr, 0
	.set _ZN7rocprim17ROCPRIM_400000_NS6detail17trampoline_kernelINS0_14default_configENS1_22reduce_config_selectorIN6thrust23THRUST_200600_302600_NS5tupleIblNS6_9null_typeES8_S8_S8_S8_S8_S8_S8_EEEEZNS1_11reduce_implILb1ES3_PS9_SC_S9_NS6_11hip_rocprim9__find_if7functorIS9_EEEE10hipError_tPvRmT1_T2_T3_mT4_P12ihipStream_tbEUlT_E0_NS1_11comp_targetILNS1_3genE4ELNS1_11target_archE910ELNS1_3gpuE8ELNS1_3repE0EEENS1_30default_config_static_selectorELNS0_4arch9wavefront6targetE1EEEvSK_.numbered_sgpr, 0
	.set _ZN7rocprim17ROCPRIM_400000_NS6detail17trampoline_kernelINS0_14default_configENS1_22reduce_config_selectorIN6thrust23THRUST_200600_302600_NS5tupleIblNS6_9null_typeES8_S8_S8_S8_S8_S8_S8_EEEEZNS1_11reduce_implILb1ES3_PS9_SC_S9_NS6_11hip_rocprim9__find_if7functorIS9_EEEE10hipError_tPvRmT1_T2_T3_mT4_P12ihipStream_tbEUlT_E0_NS1_11comp_targetILNS1_3genE4ELNS1_11target_archE910ELNS1_3gpuE8ELNS1_3repE0EEENS1_30default_config_static_selectorELNS0_4arch9wavefront6targetE1EEEvSK_.num_named_barrier, 0
	.set _ZN7rocprim17ROCPRIM_400000_NS6detail17trampoline_kernelINS0_14default_configENS1_22reduce_config_selectorIN6thrust23THRUST_200600_302600_NS5tupleIblNS6_9null_typeES8_S8_S8_S8_S8_S8_S8_EEEEZNS1_11reduce_implILb1ES3_PS9_SC_S9_NS6_11hip_rocprim9__find_if7functorIS9_EEEE10hipError_tPvRmT1_T2_T3_mT4_P12ihipStream_tbEUlT_E0_NS1_11comp_targetILNS1_3genE4ELNS1_11target_archE910ELNS1_3gpuE8ELNS1_3repE0EEENS1_30default_config_static_selectorELNS0_4arch9wavefront6targetE1EEEvSK_.private_seg_size, 0
	.set _ZN7rocprim17ROCPRIM_400000_NS6detail17trampoline_kernelINS0_14default_configENS1_22reduce_config_selectorIN6thrust23THRUST_200600_302600_NS5tupleIblNS6_9null_typeES8_S8_S8_S8_S8_S8_S8_EEEEZNS1_11reduce_implILb1ES3_PS9_SC_S9_NS6_11hip_rocprim9__find_if7functorIS9_EEEE10hipError_tPvRmT1_T2_T3_mT4_P12ihipStream_tbEUlT_E0_NS1_11comp_targetILNS1_3genE4ELNS1_11target_archE910ELNS1_3gpuE8ELNS1_3repE0EEENS1_30default_config_static_selectorELNS0_4arch9wavefront6targetE1EEEvSK_.uses_vcc, 0
	.set _ZN7rocprim17ROCPRIM_400000_NS6detail17trampoline_kernelINS0_14default_configENS1_22reduce_config_selectorIN6thrust23THRUST_200600_302600_NS5tupleIblNS6_9null_typeES8_S8_S8_S8_S8_S8_S8_EEEEZNS1_11reduce_implILb1ES3_PS9_SC_S9_NS6_11hip_rocprim9__find_if7functorIS9_EEEE10hipError_tPvRmT1_T2_T3_mT4_P12ihipStream_tbEUlT_E0_NS1_11comp_targetILNS1_3genE4ELNS1_11target_archE910ELNS1_3gpuE8ELNS1_3repE0EEENS1_30default_config_static_selectorELNS0_4arch9wavefront6targetE1EEEvSK_.uses_flat_scratch, 0
	.set _ZN7rocprim17ROCPRIM_400000_NS6detail17trampoline_kernelINS0_14default_configENS1_22reduce_config_selectorIN6thrust23THRUST_200600_302600_NS5tupleIblNS6_9null_typeES8_S8_S8_S8_S8_S8_S8_EEEEZNS1_11reduce_implILb1ES3_PS9_SC_S9_NS6_11hip_rocprim9__find_if7functorIS9_EEEE10hipError_tPvRmT1_T2_T3_mT4_P12ihipStream_tbEUlT_E0_NS1_11comp_targetILNS1_3genE4ELNS1_11target_archE910ELNS1_3gpuE8ELNS1_3repE0EEENS1_30default_config_static_selectorELNS0_4arch9wavefront6targetE1EEEvSK_.has_dyn_sized_stack, 0
	.set _ZN7rocprim17ROCPRIM_400000_NS6detail17trampoline_kernelINS0_14default_configENS1_22reduce_config_selectorIN6thrust23THRUST_200600_302600_NS5tupleIblNS6_9null_typeES8_S8_S8_S8_S8_S8_S8_EEEEZNS1_11reduce_implILb1ES3_PS9_SC_S9_NS6_11hip_rocprim9__find_if7functorIS9_EEEE10hipError_tPvRmT1_T2_T3_mT4_P12ihipStream_tbEUlT_E0_NS1_11comp_targetILNS1_3genE4ELNS1_11target_archE910ELNS1_3gpuE8ELNS1_3repE0EEENS1_30default_config_static_selectorELNS0_4arch9wavefront6targetE1EEEvSK_.has_recursion, 0
	.set _ZN7rocprim17ROCPRIM_400000_NS6detail17trampoline_kernelINS0_14default_configENS1_22reduce_config_selectorIN6thrust23THRUST_200600_302600_NS5tupleIblNS6_9null_typeES8_S8_S8_S8_S8_S8_S8_EEEEZNS1_11reduce_implILb1ES3_PS9_SC_S9_NS6_11hip_rocprim9__find_if7functorIS9_EEEE10hipError_tPvRmT1_T2_T3_mT4_P12ihipStream_tbEUlT_E0_NS1_11comp_targetILNS1_3genE4ELNS1_11target_archE910ELNS1_3gpuE8ELNS1_3repE0EEENS1_30default_config_static_selectorELNS0_4arch9wavefront6targetE1EEEvSK_.has_indirect_call, 0
	.section	.AMDGPU.csdata,"",@progbits
; Kernel info:
; codeLenInByte = 0
; TotalNumSgprs: 4
; NumVgprs: 0
; ScratchSize: 0
; MemoryBound: 0
; FloatMode: 240
; IeeeMode: 1
; LDSByteSize: 0 bytes/workgroup (compile time only)
; SGPRBlocks: 0
; VGPRBlocks: 0
; NumSGPRsForWavesPerEU: 4
; NumVGPRsForWavesPerEU: 1
; Occupancy: 10
; WaveLimiterHint : 0
; COMPUTE_PGM_RSRC2:SCRATCH_EN: 0
; COMPUTE_PGM_RSRC2:USER_SGPR: 6
; COMPUTE_PGM_RSRC2:TRAP_HANDLER: 0
; COMPUTE_PGM_RSRC2:TGID_X_EN: 1
; COMPUTE_PGM_RSRC2:TGID_Y_EN: 0
; COMPUTE_PGM_RSRC2:TGID_Z_EN: 0
; COMPUTE_PGM_RSRC2:TIDIG_COMP_CNT: 0
	.section	.text._ZN7rocprim17ROCPRIM_400000_NS6detail17trampoline_kernelINS0_14default_configENS1_22reduce_config_selectorIN6thrust23THRUST_200600_302600_NS5tupleIblNS6_9null_typeES8_S8_S8_S8_S8_S8_S8_EEEEZNS1_11reduce_implILb1ES3_PS9_SC_S9_NS6_11hip_rocprim9__find_if7functorIS9_EEEE10hipError_tPvRmT1_T2_T3_mT4_P12ihipStream_tbEUlT_E0_NS1_11comp_targetILNS1_3genE3ELNS1_11target_archE908ELNS1_3gpuE7ELNS1_3repE0EEENS1_30default_config_static_selectorELNS0_4arch9wavefront6targetE1EEEvSK_,"axG",@progbits,_ZN7rocprim17ROCPRIM_400000_NS6detail17trampoline_kernelINS0_14default_configENS1_22reduce_config_selectorIN6thrust23THRUST_200600_302600_NS5tupleIblNS6_9null_typeES8_S8_S8_S8_S8_S8_S8_EEEEZNS1_11reduce_implILb1ES3_PS9_SC_S9_NS6_11hip_rocprim9__find_if7functorIS9_EEEE10hipError_tPvRmT1_T2_T3_mT4_P12ihipStream_tbEUlT_E0_NS1_11comp_targetILNS1_3genE3ELNS1_11target_archE908ELNS1_3gpuE7ELNS1_3repE0EEENS1_30default_config_static_selectorELNS0_4arch9wavefront6targetE1EEEvSK_,comdat
	.protected	_ZN7rocprim17ROCPRIM_400000_NS6detail17trampoline_kernelINS0_14default_configENS1_22reduce_config_selectorIN6thrust23THRUST_200600_302600_NS5tupleIblNS6_9null_typeES8_S8_S8_S8_S8_S8_S8_EEEEZNS1_11reduce_implILb1ES3_PS9_SC_S9_NS6_11hip_rocprim9__find_if7functorIS9_EEEE10hipError_tPvRmT1_T2_T3_mT4_P12ihipStream_tbEUlT_E0_NS1_11comp_targetILNS1_3genE3ELNS1_11target_archE908ELNS1_3gpuE7ELNS1_3repE0EEENS1_30default_config_static_selectorELNS0_4arch9wavefront6targetE1EEEvSK_ ; -- Begin function _ZN7rocprim17ROCPRIM_400000_NS6detail17trampoline_kernelINS0_14default_configENS1_22reduce_config_selectorIN6thrust23THRUST_200600_302600_NS5tupleIblNS6_9null_typeES8_S8_S8_S8_S8_S8_S8_EEEEZNS1_11reduce_implILb1ES3_PS9_SC_S9_NS6_11hip_rocprim9__find_if7functorIS9_EEEE10hipError_tPvRmT1_T2_T3_mT4_P12ihipStream_tbEUlT_E0_NS1_11comp_targetILNS1_3genE3ELNS1_11target_archE908ELNS1_3gpuE7ELNS1_3repE0EEENS1_30default_config_static_selectorELNS0_4arch9wavefront6targetE1EEEvSK_
	.globl	_ZN7rocprim17ROCPRIM_400000_NS6detail17trampoline_kernelINS0_14default_configENS1_22reduce_config_selectorIN6thrust23THRUST_200600_302600_NS5tupleIblNS6_9null_typeES8_S8_S8_S8_S8_S8_S8_EEEEZNS1_11reduce_implILb1ES3_PS9_SC_S9_NS6_11hip_rocprim9__find_if7functorIS9_EEEE10hipError_tPvRmT1_T2_T3_mT4_P12ihipStream_tbEUlT_E0_NS1_11comp_targetILNS1_3genE3ELNS1_11target_archE908ELNS1_3gpuE7ELNS1_3repE0EEENS1_30default_config_static_selectorELNS0_4arch9wavefront6targetE1EEEvSK_
	.p2align	8
	.type	_ZN7rocprim17ROCPRIM_400000_NS6detail17trampoline_kernelINS0_14default_configENS1_22reduce_config_selectorIN6thrust23THRUST_200600_302600_NS5tupleIblNS6_9null_typeES8_S8_S8_S8_S8_S8_S8_EEEEZNS1_11reduce_implILb1ES3_PS9_SC_S9_NS6_11hip_rocprim9__find_if7functorIS9_EEEE10hipError_tPvRmT1_T2_T3_mT4_P12ihipStream_tbEUlT_E0_NS1_11comp_targetILNS1_3genE3ELNS1_11target_archE908ELNS1_3gpuE7ELNS1_3repE0EEENS1_30default_config_static_selectorELNS0_4arch9wavefront6targetE1EEEvSK_,@function
_ZN7rocprim17ROCPRIM_400000_NS6detail17trampoline_kernelINS0_14default_configENS1_22reduce_config_selectorIN6thrust23THRUST_200600_302600_NS5tupleIblNS6_9null_typeES8_S8_S8_S8_S8_S8_S8_EEEEZNS1_11reduce_implILb1ES3_PS9_SC_S9_NS6_11hip_rocprim9__find_if7functorIS9_EEEE10hipError_tPvRmT1_T2_T3_mT4_P12ihipStream_tbEUlT_E0_NS1_11comp_targetILNS1_3genE3ELNS1_11target_archE908ELNS1_3gpuE7ELNS1_3repE0EEENS1_30default_config_static_selectorELNS0_4arch9wavefront6targetE1EEEvSK_: ; @_ZN7rocprim17ROCPRIM_400000_NS6detail17trampoline_kernelINS0_14default_configENS1_22reduce_config_selectorIN6thrust23THRUST_200600_302600_NS5tupleIblNS6_9null_typeES8_S8_S8_S8_S8_S8_S8_EEEEZNS1_11reduce_implILb1ES3_PS9_SC_S9_NS6_11hip_rocprim9__find_if7functorIS9_EEEE10hipError_tPvRmT1_T2_T3_mT4_P12ihipStream_tbEUlT_E0_NS1_11comp_targetILNS1_3genE3ELNS1_11target_archE908ELNS1_3gpuE7ELNS1_3repE0EEENS1_30default_config_static_selectorELNS0_4arch9wavefront6targetE1EEEvSK_
; %bb.0:
	.section	.rodata,"a",@progbits
	.p2align	6, 0x0
	.amdhsa_kernel _ZN7rocprim17ROCPRIM_400000_NS6detail17trampoline_kernelINS0_14default_configENS1_22reduce_config_selectorIN6thrust23THRUST_200600_302600_NS5tupleIblNS6_9null_typeES8_S8_S8_S8_S8_S8_S8_EEEEZNS1_11reduce_implILb1ES3_PS9_SC_S9_NS6_11hip_rocprim9__find_if7functorIS9_EEEE10hipError_tPvRmT1_T2_T3_mT4_P12ihipStream_tbEUlT_E0_NS1_11comp_targetILNS1_3genE3ELNS1_11target_archE908ELNS1_3gpuE7ELNS1_3repE0EEENS1_30default_config_static_selectorELNS0_4arch9wavefront6targetE1EEEvSK_
		.amdhsa_group_segment_fixed_size 0
		.amdhsa_private_segment_fixed_size 0
		.amdhsa_kernarg_size 72
		.amdhsa_user_sgpr_count 6
		.amdhsa_user_sgpr_private_segment_buffer 1
		.amdhsa_user_sgpr_dispatch_ptr 0
		.amdhsa_user_sgpr_queue_ptr 0
		.amdhsa_user_sgpr_kernarg_segment_ptr 1
		.amdhsa_user_sgpr_dispatch_id 0
		.amdhsa_user_sgpr_flat_scratch_init 0
		.amdhsa_user_sgpr_private_segment_size 0
		.amdhsa_uses_dynamic_stack 0
		.amdhsa_system_sgpr_private_segment_wavefront_offset 0
		.amdhsa_system_sgpr_workgroup_id_x 1
		.amdhsa_system_sgpr_workgroup_id_y 0
		.amdhsa_system_sgpr_workgroup_id_z 0
		.amdhsa_system_sgpr_workgroup_info 0
		.amdhsa_system_vgpr_workitem_id 0
		.amdhsa_next_free_vgpr 1
		.amdhsa_next_free_sgpr 0
		.amdhsa_reserve_vcc 0
		.amdhsa_reserve_flat_scratch 0
		.amdhsa_float_round_mode_32 0
		.amdhsa_float_round_mode_16_64 0
		.amdhsa_float_denorm_mode_32 3
		.amdhsa_float_denorm_mode_16_64 3
		.amdhsa_dx10_clamp 1
		.amdhsa_ieee_mode 1
		.amdhsa_fp16_overflow 0
		.amdhsa_exception_fp_ieee_invalid_op 0
		.amdhsa_exception_fp_denorm_src 0
		.amdhsa_exception_fp_ieee_div_zero 0
		.amdhsa_exception_fp_ieee_overflow 0
		.amdhsa_exception_fp_ieee_underflow 0
		.amdhsa_exception_fp_ieee_inexact 0
		.amdhsa_exception_int_div_zero 0
	.end_amdhsa_kernel
	.section	.text._ZN7rocprim17ROCPRIM_400000_NS6detail17trampoline_kernelINS0_14default_configENS1_22reduce_config_selectorIN6thrust23THRUST_200600_302600_NS5tupleIblNS6_9null_typeES8_S8_S8_S8_S8_S8_S8_EEEEZNS1_11reduce_implILb1ES3_PS9_SC_S9_NS6_11hip_rocprim9__find_if7functorIS9_EEEE10hipError_tPvRmT1_T2_T3_mT4_P12ihipStream_tbEUlT_E0_NS1_11comp_targetILNS1_3genE3ELNS1_11target_archE908ELNS1_3gpuE7ELNS1_3repE0EEENS1_30default_config_static_selectorELNS0_4arch9wavefront6targetE1EEEvSK_,"axG",@progbits,_ZN7rocprim17ROCPRIM_400000_NS6detail17trampoline_kernelINS0_14default_configENS1_22reduce_config_selectorIN6thrust23THRUST_200600_302600_NS5tupleIblNS6_9null_typeES8_S8_S8_S8_S8_S8_S8_EEEEZNS1_11reduce_implILb1ES3_PS9_SC_S9_NS6_11hip_rocprim9__find_if7functorIS9_EEEE10hipError_tPvRmT1_T2_T3_mT4_P12ihipStream_tbEUlT_E0_NS1_11comp_targetILNS1_3genE3ELNS1_11target_archE908ELNS1_3gpuE7ELNS1_3repE0EEENS1_30default_config_static_selectorELNS0_4arch9wavefront6targetE1EEEvSK_,comdat
.Lfunc_end39:
	.size	_ZN7rocprim17ROCPRIM_400000_NS6detail17trampoline_kernelINS0_14default_configENS1_22reduce_config_selectorIN6thrust23THRUST_200600_302600_NS5tupleIblNS6_9null_typeES8_S8_S8_S8_S8_S8_S8_EEEEZNS1_11reduce_implILb1ES3_PS9_SC_S9_NS6_11hip_rocprim9__find_if7functorIS9_EEEE10hipError_tPvRmT1_T2_T3_mT4_P12ihipStream_tbEUlT_E0_NS1_11comp_targetILNS1_3genE3ELNS1_11target_archE908ELNS1_3gpuE7ELNS1_3repE0EEENS1_30default_config_static_selectorELNS0_4arch9wavefront6targetE1EEEvSK_, .Lfunc_end39-_ZN7rocprim17ROCPRIM_400000_NS6detail17trampoline_kernelINS0_14default_configENS1_22reduce_config_selectorIN6thrust23THRUST_200600_302600_NS5tupleIblNS6_9null_typeES8_S8_S8_S8_S8_S8_S8_EEEEZNS1_11reduce_implILb1ES3_PS9_SC_S9_NS6_11hip_rocprim9__find_if7functorIS9_EEEE10hipError_tPvRmT1_T2_T3_mT4_P12ihipStream_tbEUlT_E0_NS1_11comp_targetILNS1_3genE3ELNS1_11target_archE908ELNS1_3gpuE7ELNS1_3repE0EEENS1_30default_config_static_selectorELNS0_4arch9wavefront6targetE1EEEvSK_
                                        ; -- End function
	.set _ZN7rocprim17ROCPRIM_400000_NS6detail17trampoline_kernelINS0_14default_configENS1_22reduce_config_selectorIN6thrust23THRUST_200600_302600_NS5tupleIblNS6_9null_typeES8_S8_S8_S8_S8_S8_S8_EEEEZNS1_11reduce_implILb1ES3_PS9_SC_S9_NS6_11hip_rocprim9__find_if7functorIS9_EEEE10hipError_tPvRmT1_T2_T3_mT4_P12ihipStream_tbEUlT_E0_NS1_11comp_targetILNS1_3genE3ELNS1_11target_archE908ELNS1_3gpuE7ELNS1_3repE0EEENS1_30default_config_static_selectorELNS0_4arch9wavefront6targetE1EEEvSK_.num_vgpr, 0
	.set _ZN7rocprim17ROCPRIM_400000_NS6detail17trampoline_kernelINS0_14default_configENS1_22reduce_config_selectorIN6thrust23THRUST_200600_302600_NS5tupleIblNS6_9null_typeES8_S8_S8_S8_S8_S8_S8_EEEEZNS1_11reduce_implILb1ES3_PS9_SC_S9_NS6_11hip_rocprim9__find_if7functorIS9_EEEE10hipError_tPvRmT1_T2_T3_mT4_P12ihipStream_tbEUlT_E0_NS1_11comp_targetILNS1_3genE3ELNS1_11target_archE908ELNS1_3gpuE7ELNS1_3repE0EEENS1_30default_config_static_selectorELNS0_4arch9wavefront6targetE1EEEvSK_.num_agpr, 0
	.set _ZN7rocprim17ROCPRIM_400000_NS6detail17trampoline_kernelINS0_14default_configENS1_22reduce_config_selectorIN6thrust23THRUST_200600_302600_NS5tupleIblNS6_9null_typeES8_S8_S8_S8_S8_S8_S8_EEEEZNS1_11reduce_implILb1ES3_PS9_SC_S9_NS6_11hip_rocprim9__find_if7functorIS9_EEEE10hipError_tPvRmT1_T2_T3_mT4_P12ihipStream_tbEUlT_E0_NS1_11comp_targetILNS1_3genE3ELNS1_11target_archE908ELNS1_3gpuE7ELNS1_3repE0EEENS1_30default_config_static_selectorELNS0_4arch9wavefront6targetE1EEEvSK_.numbered_sgpr, 0
	.set _ZN7rocprim17ROCPRIM_400000_NS6detail17trampoline_kernelINS0_14default_configENS1_22reduce_config_selectorIN6thrust23THRUST_200600_302600_NS5tupleIblNS6_9null_typeES8_S8_S8_S8_S8_S8_S8_EEEEZNS1_11reduce_implILb1ES3_PS9_SC_S9_NS6_11hip_rocprim9__find_if7functorIS9_EEEE10hipError_tPvRmT1_T2_T3_mT4_P12ihipStream_tbEUlT_E0_NS1_11comp_targetILNS1_3genE3ELNS1_11target_archE908ELNS1_3gpuE7ELNS1_3repE0EEENS1_30default_config_static_selectorELNS0_4arch9wavefront6targetE1EEEvSK_.num_named_barrier, 0
	.set _ZN7rocprim17ROCPRIM_400000_NS6detail17trampoline_kernelINS0_14default_configENS1_22reduce_config_selectorIN6thrust23THRUST_200600_302600_NS5tupleIblNS6_9null_typeES8_S8_S8_S8_S8_S8_S8_EEEEZNS1_11reduce_implILb1ES3_PS9_SC_S9_NS6_11hip_rocprim9__find_if7functorIS9_EEEE10hipError_tPvRmT1_T2_T3_mT4_P12ihipStream_tbEUlT_E0_NS1_11comp_targetILNS1_3genE3ELNS1_11target_archE908ELNS1_3gpuE7ELNS1_3repE0EEENS1_30default_config_static_selectorELNS0_4arch9wavefront6targetE1EEEvSK_.private_seg_size, 0
	.set _ZN7rocprim17ROCPRIM_400000_NS6detail17trampoline_kernelINS0_14default_configENS1_22reduce_config_selectorIN6thrust23THRUST_200600_302600_NS5tupleIblNS6_9null_typeES8_S8_S8_S8_S8_S8_S8_EEEEZNS1_11reduce_implILb1ES3_PS9_SC_S9_NS6_11hip_rocprim9__find_if7functorIS9_EEEE10hipError_tPvRmT1_T2_T3_mT4_P12ihipStream_tbEUlT_E0_NS1_11comp_targetILNS1_3genE3ELNS1_11target_archE908ELNS1_3gpuE7ELNS1_3repE0EEENS1_30default_config_static_selectorELNS0_4arch9wavefront6targetE1EEEvSK_.uses_vcc, 0
	.set _ZN7rocprim17ROCPRIM_400000_NS6detail17trampoline_kernelINS0_14default_configENS1_22reduce_config_selectorIN6thrust23THRUST_200600_302600_NS5tupleIblNS6_9null_typeES8_S8_S8_S8_S8_S8_S8_EEEEZNS1_11reduce_implILb1ES3_PS9_SC_S9_NS6_11hip_rocprim9__find_if7functorIS9_EEEE10hipError_tPvRmT1_T2_T3_mT4_P12ihipStream_tbEUlT_E0_NS1_11comp_targetILNS1_3genE3ELNS1_11target_archE908ELNS1_3gpuE7ELNS1_3repE0EEENS1_30default_config_static_selectorELNS0_4arch9wavefront6targetE1EEEvSK_.uses_flat_scratch, 0
	.set _ZN7rocprim17ROCPRIM_400000_NS6detail17trampoline_kernelINS0_14default_configENS1_22reduce_config_selectorIN6thrust23THRUST_200600_302600_NS5tupleIblNS6_9null_typeES8_S8_S8_S8_S8_S8_S8_EEEEZNS1_11reduce_implILb1ES3_PS9_SC_S9_NS6_11hip_rocprim9__find_if7functorIS9_EEEE10hipError_tPvRmT1_T2_T3_mT4_P12ihipStream_tbEUlT_E0_NS1_11comp_targetILNS1_3genE3ELNS1_11target_archE908ELNS1_3gpuE7ELNS1_3repE0EEENS1_30default_config_static_selectorELNS0_4arch9wavefront6targetE1EEEvSK_.has_dyn_sized_stack, 0
	.set _ZN7rocprim17ROCPRIM_400000_NS6detail17trampoline_kernelINS0_14default_configENS1_22reduce_config_selectorIN6thrust23THRUST_200600_302600_NS5tupleIblNS6_9null_typeES8_S8_S8_S8_S8_S8_S8_EEEEZNS1_11reduce_implILb1ES3_PS9_SC_S9_NS6_11hip_rocprim9__find_if7functorIS9_EEEE10hipError_tPvRmT1_T2_T3_mT4_P12ihipStream_tbEUlT_E0_NS1_11comp_targetILNS1_3genE3ELNS1_11target_archE908ELNS1_3gpuE7ELNS1_3repE0EEENS1_30default_config_static_selectorELNS0_4arch9wavefront6targetE1EEEvSK_.has_recursion, 0
	.set _ZN7rocprim17ROCPRIM_400000_NS6detail17trampoline_kernelINS0_14default_configENS1_22reduce_config_selectorIN6thrust23THRUST_200600_302600_NS5tupleIblNS6_9null_typeES8_S8_S8_S8_S8_S8_S8_EEEEZNS1_11reduce_implILb1ES3_PS9_SC_S9_NS6_11hip_rocprim9__find_if7functorIS9_EEEE10hipError_tPvRmT1_T2_T3_mT4_P12ihipStream_tbEUlT_E0_NS1_11comp_targetILNS1_3genE3ELNS1_11target_archE908ELNS1_3gpuE7ELNS1_3repE0EEENS1_30default_config_static_selectorELNS0_4arch9wavefront6targetE1EEEvSK_.has_indirect_call, 0
	.section	.AMDGPU.csdata,"",@progbits
; Kernel info:
; codeLenInByte = 0
; TotalNumSgprs: 4
; NumVgprs: 0
; ScratchSize: 0
; MemoryBound: 0
; FloatMode: 240
; IeeeMode: 1
; LDSByteSize: 0 bytes/workgroup (compile time only)
; SGPRBlocks: 0
; VGPRBlocks: 0
; NumSGPRsForWavesPerEU: 4
; NumVGPRsForWavesPerEU: 1
; Occupancy: 10
; WaveLimiterHint : 0
; COMPUTE_PGM_RSRC2:SCRATCH_EN: 0
; COMPUTE_PGM_RSRC2:USER_SGPR: 6
; COMPUTE_PGM_RSRC2:TRAP_HANDLER: 0
; COMPUTE_PGM_RSRC2:TGID_X_EN: 1
; COMPUTE_PGM_RSRC2:TGID_Y_EN: 0
; COMPUTE_PGM_RSRC2:TGID_Z_EN: 0
; COMPUTE_PGM_RSRC2:TIDIG_COMP_CNT: 0
	.section	.text._ZN7rocprim17ROCPRIM_400000_NS6detail17trampoline_kernelINS0_14default_configENS1_22reduce_config_selectorIN6thrust23THRUST_200600_302600_NS5tupleIblNS6_9null_typeES8_S8_S8_S8_S8_S8_S8_EEEEZNS1_11reduce_implILb1ES3_PS9_SC_S9_NS6_11hip_rocprim9__find_if7functorIS9_EEEE10hipError_tPvRmT1_T2_T3_mT4_P12ihipStream_tbEUlT_E0_NS1_11comp_targetILNS1_3genE2ELNS1_11target_archE906ELNS1_3gpuE6ELNS1_3repE0EEENS1_30default_config_static_selectorELNS0_4arch9wavefront6targetE1EEEvSK_,"axG",@progbits,_ZN7rocprim17ROCPRIM_400000_NS6detail17trampoline_kernelINS0_14default_configENS1_22reduce_config_selectorIN6thrust23THRUST_200600_302600_NS5tupleIblNS6_9null_typeES8_S8_S8_S8_S8_S8_S8_EEEEZNS1_11reduce_implILb1ES3_PS9_SC_S9_NS6_11hip_rocprim9__find_if7functorIS9_EEEE10hipError_tPvRmT1_T2_T3_mT4_P12ihipStream_tbEUlT_E0_NS1_11comp_targetILNS1_3genE2ELNS1_11target_archE906ELNS1_3gpuE6ELNS1_3repE0EEENS1_30default_config_static_selectorELNS0_4arch9wavefront6targetE1EEEvSK_,comdat
	.protected	_ZN7rocprim17ROCPRIM_400000_NS6detail17trampoline_kernelINS0_14default_configENS1_22reduce_config_selectorIN6thrust23THRUST_200600_302600_NS5tupleIblNS6_9null_typeES8_S8_S8_S8_S8_S8_S8_EEEEZNS1_11reduce_implILb1ES3_PS9_SC_S9_NS6_11hip_rocprim9__find_if7functorIS9_EEEE10hipError_tPvRmT1_T2_T3_mT4_P12ihipStream_tbEUlT_E0_NS1_11comp_targetILNS1_3genE2ELNS1_11target_archE906ELNS1_3gpuE6ELNS1_3repE0EEENS1_30default_config_static_selectorELNS0_4arch9wavefront6targetE1EEEvSK_ ; -- Begin function _ZN7rocprim17ROCPRIM_400000_NS6detail17trampoline_kernelINS0_14default_configENS1_22reduce_config_selectorIN6thrust23THRUST_200600_302600_NS5tupleIblNS6_9null_typeES8_S8_S8_S8_S8_S8_S8_EEEEZNS1_11reduce_implILb1ES3_PS9_SC_S9_NS6_11hip_rocprim9__find_if7functorIS9_EEEE10hipError_tPvRmT1_T2_T3_mT4_P12ihipStream_tbEUlT_E0_NS1_11comp_targetILNS1_3genE2ELNS1_11target_archE906ELNS1_3gpuE6ELNS1_3repE0EEENS1_30default_config_static_selectorELNS0_4arch9wavefront6targetE1EEEvSK_
	.globl	_ZN7rocprim17ROCPRIM_400000_NS6detail17trampoline_kernelINS0_14default_configENS1_22reduce_config_selectorIN6thrust23THRUST_200600_302600_NS5tupleIblNS6_9null_typeES8_S8_S8_S8_S8_S8_S8_EEEEZNS1_11reduce_implILb1ES3_PS9_SC_S9_NS6_11hip_rocprim9__find_if7functorIS9_EEEE10hipError_tPvRmT1_T2_T3_mT4_P12ihipStream_tbEUlT_E0_NS1_11comp_targetILNS1_3genE2ELNS1_11target_archE906ELNS1_3gpuE6ELNS1_3repE0EEENS1_30default_config_static_selectorELNS0_4arch9wavefront6targetE1EEEvSK_
	.p2align	8
	.type	_ZN7rocprim17ROCPRIM_400000_NS6detail17trampoline_kernelINS0_14default_configENS1_22reduce_config_selectorIN6thrust23THRUST_200600_302600_NS5tupleIblNS6_9null_typeES8_S8_S8_S8_S8_S8_S8_EEEEZNS1_11reduce_implILb1ES3_PS9_SC_S9_NS6_11hip_rocprim9__find_if7functorIS9_EEEE10hipError_tPvRmT1_T2_T3_mT4_P12ihipStream_tbEUlT_E0_NS1_11comp_targetILNS1_3genE2ELNS1_11target_archE906ELNS1_3gpuE6ELNS1_3repE0EEENS1_30default_config_static_selectorELNS0_4arch9wavefront6targetE1EEEvSK_,@function
_ZN7rocprim17ROCPRIM_400000_NS6detail17trampoline_kernelINS0_14default_configENS1_22reduce_config_selectorIN6thrust23THRUST_200600_302600_NS5tupleIblNS6_9null_typeES8_S8_S8_S8_S8_S8_S8_EEEEZNS1_11reduce_implILb1ES3_PS9_SC_S9_NS6_11hip_rocprim9__find_if7functorIS9_EEEE10hipError_tPvRmT1_T2_T3_mT4_P12ihipStream_tbEUlT_E0_NS1_11comp_targetILNS1_3genE2ELNS1_11target_archE906ELNS1_3gpuE6ELNS1_3repE0EEENS1_30default_config_static_selectorELNS0_4arch9wavefront6targetE1EEEvSK_: ; @_ZN7rocprim17ROCPRIM_400000_NS6detail17trampoline_kernelINS0_14default_configENS1_22reduce_config_selectorIN6thrust23THRUST_200600_302600_NS5tupleIblNS6_9null_typeES8_S8_S8_S8_S8_S8_S8_EEEEZNS1_11reduce_implILb1ES3_PS9_SC_S9_NS6_11hip_rocprim9__find_if7functorIS9_EEEE10hipError_tPvRmT1_T2_T3_mT4_P12ihipStream_tbEUlT_E0_NS1_11comp_targetILNS1_3genE2ELNS1_11target_archE906ELNS1_3gpuE6ELNS1_3repE0EEENS1_30default_config_static_selectorELNS0_4arch9wavefront6targetE1EEEvSK_
; %bb.0:
	s_load_dwordx8 s[12:19], s[4:5], 0x0
	s_load_dwordx4 s[20:23], s[4:5], 0x20
	s_mov_b32 s25, 0
	s_mov_b32 s7, s25
	v_lshlrev_b32_e32 v9, 4, v0
	s_waitcnt lgkmcnt(0)
	s_lshl_b64 s[0:1], s[14:15], 4
	s_add_u32 s8, s12, s0
	s_addc_u32 s9, s13, s1
	s_lshl_b32 s24, s6, 8
	s_lshr_b64 s[0:1], s[16:17], 8
	s_lshl_b64 s[2:3], s[24:25], 4
	s_add_u32 s14, s8, s2
	s_addc_u32 s15, s9, s3
	s_cmp_lg_u64 s[0:1], s[6:7]
	v_mbcnt_lo_u32_b32 v8, -1, 0
	s_cbranch_scc0 .LBB40_10
; %bb.1:
	global_load_ubyte v4, v9, s[14:15]
	global_load_ubyte v10, v9, s[14:15] offset:2048
	global_load_dwordx2 v[1:2], v9, s[14:15] offset:8
	global_load_dwordx2 v[6:7], v9, s[14:15] offset:2056
	v_mbcnt_hi_u32_b32 v3, -1, v8
	v_lshlrev_b32_e32 v5, 2, v3
	v_or_b32_e32 v12, 0xfc, v5
	s_waitcnt vmcnt(3)
	v_and_b32_e32 v4, 1, v4
	s_waitcnt vmcnt(2)
	v_and_b32_e32 v11, 1, v10
	v_cmp_eq_u32_e64 s[0:1], 1, v11
	s_waitcnt vmcnt(0)
	v_cmp_lt_i64_e32 vcc, v[6:7], v[1:2]
	v_cmp_eq_u32_e64 s[2:3], 1, v4
	s_and_b64 vcc, s[0:1], vcc
	v_cndmask_b32_e32 v1, v1, v6, vcc
	v_cndmask_b32_e32 v2, v2, v7, vcc
	v_cndmask_b32_e64 v1, v6, v1, s[2:3]
	v_cndmask_b32_e64 v2, v7, v2, s[2:3]
	;; [unrolled: 1-line block ×3, first 2 shown]
	v_mov_b32_dpp v6, v1 quad_perm:[1,0,3,2] row_mask:0xf bank_mask:0xf bound_ctrl:1
	v_mov_b32_dpp v7, v2 quad_perm:[1,0,3,2] row_mask:0xf bank_mask:0xf bound_ctrl:1
	v_and_b32_e32 v4, 1, v4
	v_cmp_lt_i64_e64 s[0:1], v[1:2], v[6:7]
	v_cmp_eq_u32_e32 vcc, 1, v4
	v_mov_b32_dpp v10, v4 quad_perm:[1,0,3,2] row_mask:0xf bank_mask:0xf bound_ctrl:1
	v_and_b32_e32 v10, 1, v10
	s_and_b64 vcc, vcc, s[0:1]
	v_cndmask_b32_e32 v6, v6, v1, vcc
	v_cndmask_b32_e32 v7, v7, v2, vcc
	v_cmp_eq_u32_e32 vcc, 1, v10
	v_cndmask_b32_e32 v2, v2, v7, vcc
	v_cndmask_b32_e32 v1, v1, v6, vcc
	v_cndmask_b32_e64 v4, v4, 1, vcc
	v_mov_b32_dpp v7, v2 quad_perm:[2,3,0,1] row_mask:0xf bank_mask:0xf bound_ctrl:1
	v_mov_b32_dpp v6, v1 quad_perm:[2,3,0,1] row_mask:0xf bank_mask:0xf bound_ctrl:1
	v_and_b32_e32 v11, 1, v4
	v_cmp_lt_i64_e64 s[0:1], v[1:2], v[6:7]
	v_mov_b32_dpp v10, v4 quad_perm:[2,3,0,1] row_mask:0xf bank_mask:0xf bound_ctrl:1
	v_cmp_eq_u32_e32 vcc, 1, v11
	v_and_b32_e32 v10, 1, v10
	s_and_b64 vcc, vcc, s[0:1]
	v_cmp_eq_u32_e64 s[2:3], 1, v10
	v_cndmask_b32_e32 v6, v6, v1, vcc
	v_cndmask_b32_e32 v7, v7, v2, vcc
	v_cndmask_b32_e64 v1, v1, v6, s[2:3]
	v_cndmask_b32_e64 v2, v2, v7, s[2:3]
	;; [unrolled: 1-line block ×3, first 2 shown]
	v_mov_b32_dpp v6, v1 row_ror:4 row_mask:0xf bank_mask:0xf bound_ctrl:1
	v_mov_b32_dpp v7, v2 row_ror:4 row_mask:0xf bank_mask:0xf bound_ctrl:1
	v_and_b32_e32 v11, 1, v4
	v_cmp_lt_i64_e64 s[2:3], v[1:2], v[6:7]
	v_mov_b32_dpp v10, v4 row_ror:4 row_mask:0xf bank_mask:0xf bound_ctrl:1
	v_cmp_eq_u32_e32 vcc, 1, v11
	v_and_b32_e32 v10, 1, v10
	s_and_b64 vcc, vcc, s[2:3]
	v_cmp_eq_u32_e64 s[0:1], 1, v10
	v_cndmask_b32_e32 v6, v6, v1, vcc
	v_cndmask_b32_e32 v7, v7, v2, vcc
	v_cndmask_b32_e64 v1, v1, v6, s[0:1]
	v_cndmask_b32_e64 v2, v2, v7, s[0:1]
	;; [unrolled: 1-line block ×3, first 2 shown]
	v_mov_b32_dpp v6, v1 row_ror:8 row_mask:0xf bank_mask:0xf bound_ctrl:1
	v_mov_b32_dpp v7, v2 row_ror:8 row_mask:0xf bank_mask:0xf bound_ctrl:1
	v_and_b32_e32 v11, 1, v4
	v_cmp_lt_i64_e64 s[2:3], v[1:2], v[6:7]
	v_mov_b32_dpp v10, v4 row_ror:8 row_mask:0xf bank_mask:0xf bound_ctrl:1
	v_cmp_eq_u32_e64 s[8:9], 1, v11
	v_and_b32_e32 v10, 1, v10
	s_and_b64 s[2:3], s[8:9], s[2:3]
	v_cmp_eq_u32_e64 s[10:11], 1, v10
	v_cndmask_b32_e64 v6, v6, v1, s[2:3]
	v_cndmask_b32_e64 v7, v7, v2, s[2:3]
	;; [unrolled: 1-line block ×5, first 2 shown]
	v_mov_b32_dpp v10, v4 row_bcast:15 row_mask:0xf bank_mask:0xf bound_ctrl:1
	v_mov_b32_dpp v6, v1 row_bcast:15 row_mask:0xf bank_mask:0xf bound_ctrl:1
	;; [unrolled: 1-line block ×3, first 2 shown]
	v_and_b32_e32 v11, 1, v4
	v_and_b32_e32 v10, 1, v10
	v_cmp_lt_i64_e64 s[2:3], v[1:2], v[6:7]
	v_cmp_eq_u32_e32 vcc, 1, v11
	v_cmp_eq_u32_e64 s[0:1], 1, v10
	v_cndmask_b32_e64 v4, v4, 1, s[0:1]
	s_and_b64 vcc, vcc, s[2:3]
	v_cndmask_b32_e32 v6, v6, v1, vcc
	v_mov_b32_dpp v10, v4 row_bcast:31 row_mask:0xf bank_mask:0xf bound_ctrl:1
	v_cndmask_b32_e32 v7, v7, v2, vcc
	v_and_b32_e32 v11, 1, v4
	v_and_b32_e32 v10, 1, v10
	v_cndmask_b32_e64 v1, v1, v6, s[0:1]
	v_cndmask_b32_e64 v2, v2, v7, s[0:1]
	v_cmp_eq_u32_e64 s[12:13], 1, v11
	v_cmp_eq_u32_e64 s[8:9], 1, v10
	v_mov_b32_dpp v10, v1 row_bcast:31 row_mask:0xf bank_mask:0xf bound_ctrl:1
	v_mov_b32_dpp v11, v2 row_bcast:31 row_mask:0xf bank_mask:0xf bound_ctrl:1
	v_cmp_lt_i64_e32 vcc, v[1:2], v[10:11]
	v_cndmask_b32_e64 v4, v4, 1, s[8:9]
	s_and_b64 vcc, s[12:13], vcc
	ds_bpermute_b32 v7, v12, v4
	v_cndmask_b32_e32 v4, v10, v1, vcc
	v_cndmask_b32_e32 v6, v11, v2, vcc
	v_cndmask_b32_e64 v1, v1, v4, s[8:9]
	v_cndmask_b32_e64 v2, v2, v6, s[8:9]
	ds_bpermute_b32 v1, v12, v1
	ds_bpermute_b32 v2, v12, v2
	v_cmp_eq_u32_e32 vcc, 0, v3
	s_and_saveexec_b64 s[0:1], vcc
	s_cbranch_execz .LBB40_3
; %bb.2:
	v_lshrrev_b32_e32 v4, 2, v0
	v_and_b32_e32 v4, 16, v4
	s_waitcnt lgkmcnt(2)
	ds_write_b8 v4, v7
	s_waitcnt lgkmcnt(1)
	ds_write_b64 v4, v[1:2] offset:8
.LBB40_3:
	s_or_b64 exec, exec, s[0:1]
	v_cmp_gt_u32_e32 vcc, 64, v0
	s_waitcnt lgkmcnt(0)
	s_barrier
	s_and_saveexec_b64 s[0:1], vcc
	s_cbranch_execz .LBB40_9
; %bb.4:
	v_and_b32_e32 v1, 1, v3
	v_lshlrev_b32_e32 v1, 4, v1
	ds_read_u8 v10, v1
	ds_read_b64 v[3:4], v1 offset:8
	v_or_b32_e32 v2, 4, v5
	s_waitcnt lgkmcnt(1)
	v_and_b32_e32 v1, 0xff, v10
	ds_bpermute_b32 v11, v2, v1
	s_waitcnt lgkmcnt(1)
	ds_bpermute_b32 v5, v2, v3
	ds_bpermute_b32 v6, v2, v4
	s_waitcnt lgkmcnt(2)
	v_and_b32_e32 v1, v10, v11
	v_and_b32_e32 v1, 1, v1
	v_cmp_eq_u32_e32 vcc, 1, v1
                                        ; implicit-def: $vgpr1_vgpr2
	s_and_saveexec_b64 s[2:3], vcc
	s_xor_b64 s[2:3], exec, s[2:3]
	s_cbranch_execz .LBB40_6
; %bb.5:
	s_waitcnt lgkmcnt(0)
	v_cmp_lt_i64_e32 vcc, v[5:6], v[3:4]
                                        ; implicit-def: $vgpr10
                                        ; implicit-def: $vgpr11
	v_cndmask_b32_e32 v2, v4, v6, vcc
	v_cndmask_b32_e32 v1, v3, v5, vcc
                                        ; implicit-def: $vgpr5_vgpr6
                                        ; implicit-def: $vgpr3_vgpr4
.LBB40_6:
	s_or_saveexec_b64 s[2:3], s[2:3]
	v_mov_b32_e32 v7, 1
	s_xor_b64 exec, exec, s[2:3]
	s_cbranch_execz .LBB40_8
; %bb.7:
	v_and_b32_e32 v1, 1, v10
	v_cmp_eq_u32_e32 vcc, 1, v1
	s_waitcnt lgkmcnt(0)
	v_cndmask_b32_e32 v2, v6, v4, vcc
	v_cndmask_b32_e32 v1, v5, v3, vcc
	v_cndmask_b32_e64 v7, v11, 1, vcc
.LBB40_8:
	s_or_b64 exec, exec, s[2:3]
.LBB40_9:
	s_or_b64 exec, exec, s[0:1]
	s_load_dword s10, s[4:5], 0x30
	s_load_dwordx2 s[8:9], s[4:5], 0x38
	s_branch .LBB40_62
.LBB40_10:
                                        ; implicit-def: $vgpr1_vgpr2
                                        ; implicit-def: $vgpr7
	s_load_dword s10, s[4:5], 0x30
	s_load_dwordx2 s[8:9], s[4:5], 0x38
	s_cbranch_execz .LBB40_62
; %bb.11:
	s_sub_i32 s11, s16, s24
	v_mov_b32_e32 v3, 0
	v_mov_b32_e32 v1, 0
	v_cmp_gt_u32_e32 vcc, s11, v0
	s_waitcnt lgkmcnt(0)
	v_mov_b32_e32 v5, 0
	v_mov_b32_e32 v4, 0
	;; [unrolled: 1-line block ×4, first 2 shown]
	s_and_saveexec_b64 s[0:1], vcc
	s_cbranch_execz .LBB40_13
; %bb.12:
	global_load_ubyte v6, v9, s[14:15]
	global_load_dwordx2 v[1:2], v9, s[14:15] offset:8
.LBB40_13:
	s_or_b64 exec, exec, s[0:1]
	v_or_b32_e32 v7, 0x80, v0
	v_cmp_gt_u32_e32 vcc, s11, v7
	s_and_saveexec_b64 s[0:1], vcc
	s_cbranch_execz .LBB40_15
; %bb.14:
	global_load_ubyte v5, v9, s[14:15] offset:2048
	global_load_dwordx2 v[3:4], v9, s[14:15] offset:2056
.LBB40_15:
	s_or_b64 exec, exec, s[0:1]
	s_waitcnt vmcnt(1)
	v_and_b32_e32 v9, 0xff, v5
	v_and_b32_e32 v5, 1, v5
	v_cmp_eq_u32_e64 s[0:1], 1, v5
	v_and_b32_e32 v5, 1, v6
	s_waitcnt vmcnt(0)
	v_cmp_lt_i64_e64 s[2:3], v[3:4], v[1:2]
	v_cmp_eq_u32_e64 s[4:5], 1, v5
	v_and_b32_e32 v7, 0xff, v6
	v_cndmask_b32_e64 v5, v9, 1, s[4:5]
	s_and_b64 s[0:1], s[0:1], s[2:3]
	v_cndmask_b32_e64 v6, v2, v4, s[0:1]
	v_cndmask_b32_e64 v9, v1, v3, s[0:1]
	v_cndmask_b32_e32 v7, v7, v5, vcc
	v_mbcnt_hi_u32_b32 v5, -1, v8
	v_cndmask_b32_e64 v3, v3, v9, s[4:5]
	v_cndmask_b32_e64 v4, v4, v6, s[4:5]
	v_and_b32_e32 v6, 63, v5
	v_cndmask_b32_e32 v2, v2, v4, vcc
	v_cndmask_b32_e32 v1, v1, v3, vcc
	v_cmp_ne_u32_e32 vcc, 63, v6
	v_addc_co_u32_e32 v3, vcc, 0, v5, vcc
	v_lshlrev_b32_e32 v4, 2, v3
	ds_bpermute_b32 v9, v4, v7
	ds_bpermute_b32 v3, v4, v1
	;; [unrolled: 1-line block ×3, first 2 shown]
	s_min_u32 s4, s11, 0x80
	v_and_b32_e32 v8, 64, v0
	v_sub_u32_e64 v8, s4, v8 clamp
	v_add_u32_e32 v10, 1, v6
	v_cmp_lt_u32_e32 vcc, v10, v8
	s_and_saveexec_b64 s[0:1], vcc
	s_cbranch_execz .LBB40_21
; %bb.16:
	s_waitcnt lgkmcnt(2)
	v_and_b32_e32 v10, v9, v7
	v_cmp_ne_u32_e32 vcc, 0, v10
	s_and_saveexec_b64 s[2:3], vcc
	s_xor_b64 s[2:3], exec, s[2:3]
	s_cbranch_execz .LBB40_18
; %bb.17:
	s_waitcnt lgkmcnt(0)
	v_cmp_lt_i64_e32 vcc, v[3:4], v[1:2]
                                        ; implicit-def: $vgpr7
                                        ; implicit-def: $vgpr9
	v_cndmask_b32_e32 v2, v2, v4, vcc
	v_cndmask_b32_e32 v1, v1, v3, vcc
                                        ; implicit-def: $vgpr3_vgpr4
.LBB40_18:
	s_or_saveexec_b64 s[2:3], s[2:3]
	v_mov_b32_e32 v10, 1
	s_xor_b64 exec, exec, s[2:3]
	s_cbranch_execz .LBB40_20
; %bb.19:
	v_and_b32_e32 v7, 1, v7
	v_cmp_eq_u32_e32 vcc, 1, v7
	s_waitcnt lgkmcnt(1)
	v_cndmask_b32_e32 v1, v3, v1, vcc
	v_and_b32_e32 v3, 0xff, v9
	s_waitcnt lgkmcnt(0)
	v_cndmask_b32_e32 v2, v4, v2, vcc
	v_cndmask_b32_e64 v10, v3, 1, vcc
.LBB40_20:
	s_or_b64 exec, exec, s[2:3]
	v_mov_b32_e32 v7, v10
.LBB40_21:
	s_or_b64 exec, exec, s[0:1]
	v_cmp_gt_u32_e32 vcc, 62, v6
	s_waitcnt lgkmcnt(1)
	v_cndmask_b32_e64 v3, 0, 2, vcc
	s_waitcnt lgkmcnt(0)
	v_add_lshl_u32 v4, v3, v5, 2
	ds_bpermute_b32 v9, v4, v7
	ds_bpermute_b32 v3, v4, v1
	ds_bpermute_b32 v4, v4, v2
	v_add_u32_e32 v10, 2, v6
	v_cmp_lt_u32_e32 vcc, v10, v8
	s_and_saveexec_b64 s[0:1], vcc
	s_cbranch_execz .LBB40_27
; %bb.22:
	s_waitcnt lgkmcnt(2)
	v_and_b32_e32 v10, v7, v9
	v_and_b32_e32 v10, 1, v10
	v_cmp_eq_u32_e32 vcc, 1, v10
	s_and_saveexec_b64 s[2:3], vcc
	s_xor_b64 s[2:3], exec, s[2:3]
	s_cbranch_execz .LBB40_24
; %bb.23:
	s_waitcnt lgkmcnt(0)
	v_cmp_lt_i64_e32 vcc, v[3:4], v[1:2]
                                        ; implicit-def: $vgpr7
                                        ; implicit-def: $vgpr9
	v_cndmask_b32_e32 v2, v2, v4, vcc
	v_cndmask_b32_e32 v1, v1, v3, vcc
                                        ; implicit-def: $vgpr3_vgpr4
.LBB40_24:
	s_or_saveexec_b64 s[2:3], s[2:3]
	v_mov_b32_e32 v10, 1
	s_xor_b64 exec, exec, s[2:3]
	s_cbranch_execz .LBB40_26
; %bb.25:
	v_and_b32_e32 v7, 1, v7
	v_cmp_eq_u32_e32 vcc, 1, v7
	s_waitcnt lgkmcnt(1)
	v_cndmask_b32_e32 v1, v3, v1, vcc
	v_and_b32_e32 v3, 0xff, v9
	s_waitcnt lgkmcnt(0)
	v_cndmask_b32_e32 v2, v4, v2, vcc
	v_cndmask_b32_e64 v10, v3, 1, vcc
.LBB40_26:
	s_or_b64 exec, exec, s[2:3]
	v_mov_b32_e32 v7, v10
.LBB40_27:
	s_or_b64 exec, exec, s[0:1]
	v_cmp_gt_u32_e32 vcc, 60, v6
	s_waitcnt lgkmcnt(1)
	v_cndmask_b32_e64 v3, 0, 4, vcc
	s_waitcnt lgkmcnt(0)
	v_add_lshl_u32 v4, v3, v5, 2
	ds_bpermute_b32 v9, v4, v7
	ds_bpermute_b32 v3, v4, v1
	ds_bpermute_b32 v4, v4, v2
	v_add_u32_e32 v10, 4, v6
	v_cmp_lt_u32_e32 vcc, v10, v8
	s_and_saveexec_b64 s[0:1], vcc
	s_cbranch_execz .LBB40_33
; %bb.28:
	s_waitcnt lgkmcnt(2)
	v_and_b32_e32 v10, v7, v9
	v_and_b32_e32 v10, 1, v10
	v_cmp_eq_u32_e32 vcc, 1, v10
	s_and_saveexec_b64 s[2:3], vcc
	s_xor_b64 s[2:3], exec, s[2:3]
	s_cbranch_execz .LBB40_30
; %bb.29:
	s_waitcnt lgkmcnt(0)
	v_cmp_lt_i64_e32 vcc, v[3:4], v[1:2]
                                        ; implicit-def: $vgpr7
                                        ; implicit-def: $vgpr9
	v_cndmask_b32_e32 v2, v2, v4, vcc
	v_cndmask_b32_e32 v1, v1, v3, vcc
                                        ; implicit-def: $vgpr3_vgpr4
.LBB40_30:
	s_or_saveexec_b64 s[2:3], s[2:3]
	v_mov_b32_e32 v10, 1
	s_xor_b64 exec, exec, s[2:3]
	s_cbranch_execz .LBB40_32
; %bb.31:
	v_and_b32_e32 v7, 1, v7
	v_cmp_eq_u32_e32 vcc, 1, v7
	s_waitcnt lgkmcnt(1)
	v_cndmask_b32_e32 v1, v3, v1, vcc
	v_and_b32_e32 v3, 0xff, v9
	s_waitcnt lgkmcnt(0)
	v_cndmask_b32_e32 v2, v4, v2, vcc
	v_cndmask_b32_e64 v10, v3, 1, vcc
.LBB40_32:
	s_or_b64 exec, exec, s[2:3]
	v_mov_b32_e32 v7, v10
.LBB40_33:
	;; [unrolled: 47-line block ×4, first 2 shown]
	s_or_b64 exec, exec, s[0:1]
	s_waitcnt lgkmcnt(2)
	v_lshlrev_b32_e32 v9, 2, v5
	s_waitcnt lgkmcnt(0)
	v_or_b32_e32 v4, 0x80, v9
	ds_bpermute_b32 v10, v4, v7
	ds_bpermute_b32 v3, v4, v1
	;; [unrolled: 1-line block ×3, first 2 shown]
	v_add_u32_e32 v6, 32, v6
	v_cmp_lt_u32_e32 vcc, v6, v8
	v_mov_b32_e32 v6, v7
	s_and_saveexec_b64 s[0:1], vcc
	s_cbranch_execz .LBB40_51
; %bb.46:
	s_waitcnt lgkmcnt(2)
	v_and_b32_e32 v6, v7, v10
	v_and_b32_e32 v6, 1, v6
	v_cmp_eq_u32_e32 vcc, 1, v6
	s_and_saveexec_b64 s[2:3], vcc
	s_xor_b64 s[2:3], exec, s[2:3]
	s_cbranch_execz .LBB40_48
; %bb.47:
	s_waitcnt lgkmcnt(0)
	v_cmp_lt_i64_e32 vcc, v[3:4], v[1:2]
                                        ; implicit-def: $vgpr7
                                        ; implicit-def: $vgpr10
	v_cndmask_b32_e32 v2, v2, v4, vcc
	v_cndmask_b32_e32 v1, v1, v3, vcc
                                        ; implicit-def: $vgpr3_vgpr4
.LBB40_48:
	s_or_saveexec_b64 s[2:3], s[2:3]
	v_mov_b32_e32 v6, 1
	s_xor_b64 exec, exec, s[2:3]
	s_cbranch_execz .LBB40_50
; %bb.49:
	v_and_b32_e32 v6, 1, v7
	v_cmp_eq_u32_e32 vcc, 1, v6
	v_cndmask_b32_e64 v6, v10, 1, vcc
	s_waitcnt lgkmcnt(0)
	v_cndmask_b32_e32 v2, v4, v2, vcc
	v_cndmask_b32_e32 v1, v3, v1, vcc
.LBB40_50:
	s_or_b64 exec, exec, s[2:3]
	v_and_b32_e32 v7, 0xff, v6
.LBB40_51:
	s_or_b64 exec, exec, s[0:1]
	v_cmp_eq_u32_e32 vcc, 0, v5
	s_and_saveexec_b64 s[0:1], vcc
	s_cbranch_execz .LBB40_53
; %bb.52:
	s_waitcnt lgkmcnt(1)
	v_lshrrev_b32_e32 v3, 2, v0
	v_and_b32_e32 v3, 16, v3
	ds_write_b8 v3, v6 offset:32
	ds_write_b64 v3, v[1:2] offset:40
.LBB40_53:
	s_or_b64 exec, exec, s[0:1]
	v_cmp_gt_u32_e32 vcc, 2, v0
	s_waitcnt lgkmcnt(0)
	s_barrier
	s_and_saveexec_b64 s[0:1], vcc
	s_cbranch_execz .LBB40_61
; %bb.54:
	v_lshlrev_b32_e32 v1, 4, v5
	ds_read_u8 v6, v1 offset:32
	ds_read_b64 v[1:2], v1 offset:40
	v_or_b32_e32 v4, 4, v9
	s_add_i32 s4, s4, 63
	v_and_b32_e32 v5, 1, v5
	s_waitcnt lgkmcnt(1)
	v_and_b32_e32 v7, 0xff, v6
	s_waitcnt lgkmcnt(0)
	ds_bpermute_b32 v3, v4, v1
	ds_bpermute_b32 v8, v4, v7
	;; [unrolled: 1-line block ×3, first 2 shown]
	s_lshr_b32 s2, s4, 6
	v_add_u32_e32 v5, 1, v5
	v_cmp_gt_u32_e32 vcc, s2, v5
	s_and_saveexec_b64 s[2:3], vcc
	s_cbranch_execz .LBB40_60
; %bb.55:
	s_waitcnt lgkmcnt(1)
	v_and_b32_e32 v5, v7, v8
	v_and_b32_e32 v5, 1, v5
	v_cmp_eq_u32_e32 vcc, 1, v5
	s_and_saveexec_b64 s[4:5], vcc
	s_xor_b64 s[4:5], exec, s[4:5]
	s_cbranch_execz .LBB40_57
; %bb.56:
	s_waitcnt lgkmcnt(0)
	v_cmp_lt_i64_e32 vcc, v[3:4], v[1:2]
                                        ; implicit-def: $vgpr6
                                        ; implicit-def: $vgpr8
	v_cndmask_b32_e32 v2, v2, v4, vcc
	v_cndmask_b32_e32 v1, v1, v3, vcc
                                        ; implicit-def: $vgpr3_vgpr4
.LBB40_57:
	s_or_saveexec_b64 s[4:5], s[4:5]
	v_mov_b32_e32 v7, 1
	s_xor_b64 exec, exec, s[4:5]
	s_cbranch_execz .LBB40_59
; %bb.58:
	v_and_b32_e32 v5, 1, v6
	v_cmp_eq_u32_e32 vcc, 1, v5
	s_waitcnt lgkmcnt(0)
	v_cndmask_b32_e32 v2, v4, v2, vcc
	v_cndmask_b32_e32 v1, v3, v1, vcc
	v_cndmask_b32_e64 v7, v8, 1, vcc
.LBB40_59:
	s_or_b64 exec, exec, s[4:5]
.LBB40_60:
	s_or_b64 exec, exec, s[2:3]
.LBB40_61:
	s_or_b64 exec, exec, s[0:1]
.LBB40_62:
	v_cmp_eq_u32_e32 vcc, 0, v0
	s_and_saveexec_b64 s[0:1], vcc
	s_cbranch_execnz .LBB40_64
; %bb.63:
	s_endpgm
.LBB40_64:
	s_mul_i32 s0, s22, s21
	s_mul_hi_u32 s1, s22, s20
	s_add_i32 s0, s1, s0
	s_mul_i32 s1, s23, s20
	s_add_i32 s1, s0, s1
	s_mul_i32 s0, s22, s20
	s_lshl_b64 s[0:1], s[0:1], 4
	s_add_u32 s2, s18, s0
	s_addc_u32 s3, s19, s1
	s_cmp_eq_u64 s[16:17], 0
	s_waitcnt lgkmcnt(0)
	v_mov_b32_e32 v0, s9
	s_cselect_b64 vcc, -1, 0
	v_cndmask_b32_e32 v2, v2, v0, vcc
	v_mov_b32_e32 v0, s8
	s_lshl_b64 s[0:1], s[6:7], 4
	v_cndmask_b32_e32 v1, v1, v0, vcc
	v_mov_b32_e32 v0, s10
	s_add_u32 s0, s2, s0
	v_cndmask_b32_e32 v0, v7, v0, vcc
	s_addc_u32 s1, s3, s1
	v_mov_b32_e32 v3, 0
	global_store_byte v3, v0, s[0:1]
	global_store_dwordx2 v3, v[1:2], s[0:1] offset:8
	s_endpgm
	.section	.rodata,"a",@progbits
	.p2align	6, 0x0
	.amdhsa_kernel _ZN7rocprim17ROCPRIM_400000_NS6detail17trampoline_kernelINS0_14default_configENS1_22reduce_config_selectorIN6thrust23THRUST_200600_302600_NS5tupleIblNS6_9null_typeES8_S8_S8_S8_S8_S8_S8_EEEEZNS1_11reduce_implILb1ES3_PS9_SC_S9_NS6_11hip_rocprim9__find_if7functorIS9_EEEE10hipError_tPvRmT1_T2_T3_mT4_P12ihipStream_tbEUlT_E0_NS1_11comp_targetILNS1_3genE2ELNS1_11target_archE906ELNS1_3gpuE6ELNS1_3repE0EEENS1_30default_config_static_selectorELNS0_4arch9wavefront6targetE1EEEvSK_
		.amdhsa_group_segment_fixed_size 64
		.amdhsa_private_segment_fixed_size 0
		.amdhsa_kernarg_size 72
		.amdhsa_user_sgpr_count 6
		.amdhsa_user_sgpr_private_segment_buffer 1
		.amdhsa_user_sgpr_dispatch_ptr 0
		.amdhsa_user_sgpr_queue_ptr 0
		.amdhsa_user_sgpr_kernarg_segment_ptr 1
		.amdhsa_user_sgpr_dispatch_id 0
		.amdhsa_user_sgpr_flat_scratch_init 0
		.amdhsa_user_sgpr_private_segment_size 0
		.amdhsa_uses_dynamic_stack 0
		.amdhsa_system_sgpr_private_segment_wavefront_offset 0
		.amdhsa_system_sgpr_workgroup_id_x 1
		.amdhsa_system_sgpr_workgroup_id_y 0
		.amdhsa_system_sgpr_workgroup_id_z 0
		.amdhsa_system_sgpr_workgroup_info 0
		.amdhsa_system_vgpr_workitem_id 0
		.amdhsa_next_free_vgpr 13
		.amdhsa_next_free_sgpr 26
		.amdhsa_reserve_vcc 1
		.amdhsa_reserve_flat_scratch 0
		.amdhsa_float_round_mode_32 0
		.amdhsa_float_round_mode_16_64 0
		.amdhsa_float_denorm_mode_32 3
		.amdhsa_float_denorm_mode_16_64 3
		.amdhsa_dx10_clamp 1
		.amdhsa_ieee_mode 1
		.amdhsa_fp16_overflow 0
		.amdhsa_exception_fp_ieee_invalid_op 0
		.amdhsa_exception_fp_denorm_src 0
		.amdhsa_exception_fp_ieee_div_zero 0
		.amdhsa_exception_fp_ieee_overflow 0
		.amdhsa_exception_fp_ieee_underflow 0
		.amdhsa_exception_fp_ieee_inexact 0
		.amdhsa_exception_int_div_zero 0
	.end_amdhsa_kernel
	.section	.text._ZN7rocprim17ROCPRIM_400000_NS6detail17trampoline_kernelINS0_14default_configENS1_22reduce_config_selectorIN6thrust23THRUST_200600_302600_NS5tupleIblNS6_9null_typeES8_S8_S8_S8_S8_S8_S8_EEEEZNS1_11reduce_implILb1ES3_PS9_SC_S9_NS6_11hip_rocprim9__find_if7functorIS9_EEEE10hipError_tPvRmT1_T2_T3_mT4_P12ihipStream_tbEUlT_E0_NS1_11comp_targetILNS1_3genE2ELNS1_11target_archE906ELNS1_3gpuE6ELNS1_3repE0EEENS1_30default_config_static_selectorELNS0_4arch9wavefront6targetE1EEEvSK_,"axG",@progbits,_ZN7rocprim17ROCPRIM_400000_NS6detail17trampoline_kernelINS0_14default_configENS1_22reduce_config_selectorIN6thrust23THRUST_200600_302600_NS5tupleIblNS6_9null_typeES8_S8_S8_S8_S8_S8_S8_EEEEZNS1_11reduce_implILb1ES3_PS9_SC_S9_NS6_11hip_rocprim9__find_if7functorIS9_EEEE10hipError_tPvRmT1_T2_T3_mT4_P12ihipStream_tbEUlT_E0_NS1_11comp_targetILNS1_3genE2ELNS1_11target_archE906ELNS1_3gpuE6ELNS1_3repE0EEENS1_30default_config_static_selectorELNS0_4arch9wavefront6targetE1EEEvSK_,comdat
.Lfunc_end40:
	.size	_ZN7rocprim17ROCPRIM_400000_NS6detail17trampoline_kernelINS0_14default_configENS1_22reduce_config_selectorIN6thrust23THRUST_200600_302600_NS5tupleIblNS6_9null_typeES8_S8_S8_S8_S8_S8_S8_EEEEZNS1_11reduce_implILb1ES3_PS9_SC_S9_NS6_11hip_rocprim9__find_if7functorIS9_EEEE10hipError_tPvRmT1_T2_T3_mT4_P12ihipStream_tbEUlT_E0_NS1_11comp_targetILNS1_3genE2ELNS1_11target_archE906ELNS1_3gpuE6ELNS1_3repE0EEENS1_30default_config_static_selectorELNS0_4arch9wavefront6targetE1EEEvSK_, .Lfunc_end40-_ZN7rocprim17ROCPRIM_400000_NS6detail17trampoline_kernelINS0_14default_configENS1_22reduce_config_selectorIN6thrust23THRUST_200600_302600_NS5tupleIblNS6_9null_typeES8_S8_S8_S8_S8_S8_S8_EEEEZNS1_11reduce_implILb1ES3_PS9_SC_S9_NS6_11hip_rocprim9__find_if7functorIS9_EEEE10hipError_tPvRmT1_T2_T3_mT4_P12ihipStream_tbEUlT_E0_NS1_11comp_targetILNS1_3genE2ELNS1_11target_archE906ELNS1_3gpuE6ELNS1_3repE0EEENS1_30default_config_static_selectorELNS0_4arch9wavefront6targetE1EEEvSK_
                                        ; -- End function
	.set _ZN7rocprim17ROCPRIM_400000_NS6detail17trampoline_kernelINS0_14default_configENS1_22reduce_config_selectorIN6thrust23THRUST_200600_302600_NS5tupleIblNS6_9null_typeES8_S8_S8_S8_S8_S8_S8_EEEEZNS1_11reduce_implILb1ES3_PS9_SC_S9_NS6_11hip_rocprim9__find_if7functorIS9_EEEE10hipError_tPvRmT1_T2_T3_mT4_P12ihipStream_tbEUlT_E0_NS1_11comp_targetILNS1_3genE2ELNS1_11target_archE906ELNS1_3gpuE6ELNS1_3repE0EEENS1_30default_config_static_selectorELNS0_4arch9wavefront6targetE1EEEvSK_.num_vgpr, 13
	.set _ZN7rocprim17ROCPRIM_400000_NS6detail17trampoline_kernelINS0_14default_configENS1_22reduce_config_selectorIN6thrust23THRUST_200600_302600_NS5tupleIblNS6_9null_typeES8_S8_S8_S8_S8_S8_S8_EEEEZNS1_11reduce_implILb1ES3_PS9_SC_S9_NS6_11hip_rocprim9__find_if7functorIS9_EEEE10hipError_tPvRmT1_T2_T3_mT4_P12ihipStream_tbEUlT_E0_NS1_11comp_targetILNS1_3genE2ELNS1_11target_archE906ELNS1_3gpuE6ELNS1_3repE0EEENS1_30default_config_static_selectorELNS0_4arch9wavefront6targetE1EEEvSK_.num_agpr, 0
	.set _ZN7rocprim17ROCPRIM_400000_NS6detail17trampoline_kernelINS0_14default_configENS1_22reduce_config_selectorIN6thrust23THRUST_200600_302600_NS5tupleIblNS6_9null_typeES8_S8_S8_S8_S8_S8_S8_EEEEZNS1_11reduce_implILb1ES3_PS9_SC_S9_NS6_11hip_rocprim9__find_if7functorIS9_EEEE10hipError_tPvRmT1_T2_T3_mT4_P12ihipStream_tbEUlT_E0_NS1_11comp_targetILNS1_3genE2ELNS1_11target_archE906ELNS1_3gpuE6ELNS1_3repE0EEENS1_30default_config_static_selectorELNS0_4arch9wavefront6targetE1EEEvSK_.numbered_sgpr, 26
	.set _ZN7rocprim17ROCPRIM_400000_NS6detail17trampoline_kernelINS0_14default_configENS1_22reduce_config_selectorIN6thrust23THRUST_200600_302600_NS5tupleIblNS6_9null_typeES8_S8_S8_S8_S8_S8_S8_EEEEZNS1_11reduce_implILb1ES3_PS9_SC_S9_NS6_11hip_rocprim9__find_if7functorIS9_EEEE10hipError_tPvRmT1_T2_T3_mT4_P12ihipStream_tbEUlT_E0_NS1_11comp_targetILNS1_3genE2ELNS1_11target_archE906ELNS1_3gpuE6ELNS1_3repE0EEENS1_30default_config_static_selectorELNS0_4arch9wavefront6targetE1EEEvSK_.num_named_barrier, 0
	.set _ZN7rocprim17ROCPRIM_400000_NS6detail17trampoline_kernelINS0_14default_configENS1_22reduce_config_selectorIN6thrust23THRUST_200600_302600_NS5tupleIblNS6_9null_typeES8_S8_S8_S8_S8_S8_S8_EEEEZNS1_11reduce_implILb1ES3_PS9_SC_S9_NS6_11hip_rocprim9__find_if7functorIS9_EEEE10hipError_tPvRmT1_T2_T3_mT4_P12ihipStream_tbEUlT_E0_NS1_11comp_targetILNS1_3genE2ELNS1_11target_archE906ELNS1_3gpuE6ELNS1_3repE0EEENS1_30default_config_static_selectorELNS0_4arch9wavefront6targetE1EEEvSK_.private_seg_size, 0
	.set _ZN7rocprim17ROCPRIM_400000_NS6detail17trampoline_kernelINS0_14default_configENS1_22reduce_config_selectorIN6thrust23THRUST_200600_302600_NS5tupleIblNS6_9null_typeES8_S8_S8_S8_S8_S8_S8_EEEEZNS1_11reduce_implILb1ES3_PS9_SC_S9_NS6_11hip_rocprim9__find_if7functorIS9_EEEE10hipError_tPvRmT1_T2_T3_mT4_P12ihipStream_tbEUlT_E0_NS1_11comp_targetILNS1_3genE2ELNS1_11target_archE906ELNS1_3gpuE6ELNS1_3repE0EEENS1_30default_config_static_selectorELNS0_4arch9wavefront6targetE1EEEvSK_.uses_vcc, 1
	.set _ZN7rocprim17ROCPRIM_400000_NS6detail17trampoline_kernelINS0_14default_configENS1_22reduce_config_selectorIN6thrust23THRUST_200600_302600_NS5tupleIblNS6_9null_typeES8_S8_S8_S8_S8_S8_S8_EEEEZNS1_11reduce_implILb1ES3_PS9_SC_S9_NS6_11hip_rocprim9__find_if7functorIS9_EEEE10hipError_tPvRmT1_T2_T3_mT4_P12ihipStream_tbEUlT_E0_NS1_11comp_targetILNS1_3genE2ELNS1_11target_archE906ELNS1_3gpuE6ELNS1_3repE0EEENS1_30default_config_static_selectorELNS0_4arch9wavefront6targetE1EEEvSK_.uses_flat_scratch, 0
	.set _ZN7rocprim17ROCPRIM_400000_NS6detail17trampoline_kernelINS0_14default_configENS1_22reduce_config_selectorIN6thrust23THRUST_200600_302600_NS5tupleIblNS6_9null_typeES8_S8_S8_S8_S8_S8_S8_EEEEZNS1_11reduce_implILb1ES3_PS9_SC_S9_NS6_11hip_rocprim9__find_if7functorIS9_EEEE10hipError_tPvRmT1_T2_T3_mT4_P12ihipStream_tbEUlT_E0_NS1_11comp_targetILNS1_3genE2ELNS1_11target_archE906ELNS1_3gpuE6ELNS1_3repE0EEENS1_30default_config_static_selectorELNS0_4arch9wavefront6targetE1EEEvSK_.has_dyn_sized_stack, 0
	.set _ZN7rocprim17ROCPRIM_400000_NS6detail17trampoline_kernelINS0_14default_configENS1_22reduce_config_selectorIN6thrust23THRUST_200600_302600_NS5tupleIblNS6_9null_typeES8_S8_S8_S8_S8_S8_S8_EEEEZNS1_11reduce_implILb1ES3_PS9_SC_S9_NS6_11hip_rocprim9__find_if7functorIS9_EEEE10hipError_tPvRmT1_T2_T3_mT4_P12ihipStream_tbEUlT_E0_NS1_11comp_targetILNS1_3genE2ELNS1_11target_archE906ELNS1_3gpuE6ELNS1_3repE0EEENS1_30default_config_static_selectorELNS0_4arch9wavefront6targetE1EEEvSK_.has_recursion, 0
	.set _ZN7rocprim17ROCPRIM_400000_NS6detail17trampoline_kernelINS0_14default_configENS1_22reduce_config_selectorIN6thrust23THRUST_200600_302600_NS5tupleIblNS6_9null_typeES8_S8_S8_S8_S8_S8_S8_EEEEZNS1_11reduce_implILb1ES3_PS9_SC_S9_NS6_11hip_rocprim9__find_if7functorIS9_EEEE10hipError_tPvRmT1_T2_T3_mT4_P12ihipStream_tbEUlT_E0_NS1_11comp_targetILNS1_3genE2ELNS1_11target_archE906ELNS1_3gpuE6ELNS1_3repE0EEENS1_30default_config_static_selectorELNS0_4arch9wavefront6targetE1EEEvSK_.has_indirect_call, 0
	.section	.AMDGPU.csdata,"",@progbits
; Kernel info:
; codeLenInByte = 2708
; TotalNumSgprs: 30
; NumVgprs: 13
; ScratchSize: 0
; MemoryBound: 0
; FloatMode: 240
; IeeeMode: 1
; LDSByteSize: 64 bytes/workgroup (compile time only)
; SGPRBlocks: 3
; VGPRBlocks: 3
; NumSGPRsForWavesPerEU: 30
; NumVGPRsForWavesPerEU: 13
; Occupancy: 10
; WaveLimiterHint : 1
; COMPUTE_PGM_RSRC2:SCRATCH_EN: 0
; COMPUTE_PGM_RSRC2:USER_SGPR: 6
; COMPUTE_PGM_RSRC2:TRAP_HANDLER: 0
; COMPUTE_PGM_RSRC2:TGID_X_EN: 1
; COMPUTE_PGM_RSRC2:TGID_Y_EN: 0
; COMPUTE_PGM_RSRC2:TGID_Z_EN: 0
; COMPUTE_PGM_RSRC2:TIDIG_COMP_CNT: 0
	.section	.text._ZN7rocprim17ROCPRIM_400000_NS6detail17trampoline_kernelINS0_14default_configENS1_22reduce_config_selectorIN6thrust23THRUST_200600_302600_NS5tupleIblNS6_9null_typeES8_S8_S8_S8_S8_S8_S8_EEEEZNS1_11reduce_implILb1ES3_PS9_SC_S9_NS6_11hip_rocprim9__find_if7functorIS9_EEEE10hipError_tPvRmT1_T2_T3_mT4_P12ihipStream_tbEUlT_E0_NS1_11comp_targetILNS1_3genE10ELNS1_11target_archE1201ELNS1_3gpuE5ELNS1_3repE0EEENS1_30default_config_static_selectorELNS0_4arch9wavefront6targetE1EEEvSK_,"axG",@progbits,_ZN7rocprim17ROCPRIM_400000_NS6detail17trampoline_kernelINS0_14default_configENS1_22reduce_config_selectorIN6thrust23THRUST_200600_302600_NS5tupleIblNS6_9null_typeES8_S8_S8_S8_S8_S8_S8_EEEEZNS1_11reduce_implILb1ES3_PS9_SC_S9_NS6_11hip_rocprim9__find_if7functorIS9_EEEE10hipError_tPvRmT1_T2_T3_mT4_P12ihipStream_tbEUlT_E0_NS1_11comp_targetILNS1_3genE10ELNS1_11target_archE1201ELNS1_3gpuE5ELNS1_3repE0EEENS1_30default_config_static_selectorELNS0_4arch9wavefront6targetE1EEEvSK_,comdat
	.protected	_ZN7rocprim17ROCPRIM_400000_NS6detail17trampoline_kernelINS0_14default_configENS1_22reduce_config_selectorIN6thrust23THRUST_200600_302600_NS5tupleIblNS6_9null_typeES8_S8_S8_S8_S8_S8_S8_EEEEZNS1_11reduce_implILb1ES3_PS9_SC_S9_NS6_11hip_rocprim9__find_if7functorIS9_EEEE10hipError_tPvRmT1_T2_T3_mT4_P12ihipStream_tbEUlT_E0_NS1_11comp_targetILNS1_3genE10ELNS1_11target_archE1201ELNS1_3gpuE5ELNS1_3repE0EEENS1_30default_config_static_selectorELNS0_4arch9wavefront6targetE1EEEvSK_ ; -- Begin function _ZN7rocprim17ROCPRIM_400000_NS6detail17trampoline_kernelINS0_14default_configENS1_22reduce_config_selectorIN6thrust23THRUST_200600_302600_NS5tupleIblNS6_9null_typeES8_S8_S8_S8_S8_S8_S8_EEEEZNS1_11reduce_implILb1ES3_PS9_SC_S9_NS6_11hip_rocprim9__find_if7functorIS9_EEEE10hipError_tPvRmT1_T2_T3_mT4_P12ihipStream_tbEUlT_E0_NS1_11comp_targetILNS1_3genE10ELNS1_11target_archE1201ELNS1_3gpuE5ELNS1_3repE0EEENS1_30default_config_static_selectorELNS0_4arch9wavefront6targetE1EEEvSK_
	.globl	_ZN7rocprim17ROCPRIM_400000_NS6detail17trampoline_kernelINS0_14default_configENS1_22reduce_config_selectorIN6thrust23THRUST_200600_302600_NS5tupleIblNS6_9null_typeES8_S8_S8_S8_S8_S8_S8_EEEEZNS1_11reduce_implILb1ES3_PS9_SC_S9_NS6_11hip_rocprim9__find_if7functorIS9_EEEE10hipError_tPvRmT1_T2_T3_mT4_P12ihipStream_tbEUlT_E0_NS1_11comp_targetILNS1_3genE10ELNS1_11target_archE1201ELNS1_3gpuE5ELNS1_3repE0EEENS1_30default_config_static_selectorELNS0_4arch9wavefront6targetE1EEEvSK_
	.p2align	8
	.type	_ZN7rocprim17ROCPRIM_400000_NS6detail17trampoline_kernelINS0_14default_configENS1_22reduce_config_selectorIN6thrust23THRUST_200600_302600_NS5tupleIblNS6_9null_typeES8_S8_S8_S8_S8_S8_S8_EEEEZNS1_11reduce_implILb1ES3_PS9_SC_S9_NS6_11hip_rocprim9__find_if7functorIS9_EEEE10hipError_tPvRmT1_T2_T3_mT4_P12ihipStream_tbEUlT_E0_NS1_11comp_targetILNS1_3genE10ELNS1_11target_archE1201ELNS1_3gpuE5ELNS1_3repE0EEENS1_30default_config_static_selectorELNS0_4arch9wavefront6targetE1EEEvSK_,@function
_ZN7rocprim17ROCPRIM_400000_NS6detail17trampoline_kernelINS0_14default_configENS1_22reduce_config_selectorIN6thrust23THRUST_200600_302600_NS5tupleIblNS6_9null_typeES8_S8_S8_S8_S8_S8_S8_EEEEZNS1_11reduce_implILb1ES3_PS9_SC_S9_NS6_11hip_rocprim9__find_if7functorIS9_EEEE10hipError_tPvRmT1_T2_T3_mT4_P12ihipStream_tbEUlT_E0_NS1_11comp_targetILNS1_3genE10ELNS1_11target_archE1201ELNS1_3gpuE5ELNS1_3repE0EEENS1_30default_config_static_selectorELNS0_4arch9wavefront6targetE1EEEvSK_: ; @_ZN7rocprim17ROCPRIM_400000_NS6detail17trampoline_kernelINS0_14default_configENS1_22reduce_config_selectorIN6thrust23THRUST_200600_302600_NS5tupleIblNS6_9null_typeES8_S8_S8_S8_S8_S8_S8_EEEEZNS1_11reduce_implILb1ES3_PS9_SC_S9_NS6_11hip_rocprim9__find_if7functorIS9_EEEE10hipError_tPvRmT1_T2_T3_mT4_P12ihipStream_tbEUlT_E0_NS1_11comp_targetILNS1_3genE10ELNS1_11target_archE1201ELNS1_3gpuE5ELNS1_3repE0EEENS1_30default_config_static_selectorELNS0_4arch9wavefront6targetE1EEEvSK_
; %bb.0:
	.section	.rodata,"a",@progbits
	.p2align	6, 0x0
	.amdhsa_kernel _ZN7rocprim17ROCPRIM_400000_NS6detail17trampoline_kernelINS0_14default_configENS1_22reduce_config_selectorIN6thrust23THRUST_200600_302600_NS5tupleIblNS6_9null_typeES8_S8_S8_S8_S8_S8_S8_EEEEZNS1_11reduce_implILb1ES3_PS9_SC_S9_NS6_11hip_rocprim9__find_if7functorIS9_EEEE10hipError_tPvRmT1_T2_T3_mT4_P12ihipStream_tbEUlT_E0_NS1_11comp_targetILNS1_3genE10ELNS1_11target_archE1201ELNS1_3gpuE5ELNS1_3repE0EEENS1_30default_config_static_selectorELNS0_4arch9wavefront6targetE1EEEvSK_
		.amdhsa_group_segment_fixed_size 0
		.amdhsa_private_segment_fixed_size 0
		.amdhsa_kernarg_size 72
		.amdhsa_user_sgpr_count 6
		.amdhsa_user_sgpr_private_segment_buffer 1
		.amdhsa_user_sgpr_dispatch_ptr 0
		.amdhsa_user_sgpr_queue_ptr 0
		.amdhsa_user_sgpr_kernarg_segment_ptr 1
		.amdhsa_user_sgpr_dispatch_id 0
		.amdhsa_user_sgpr_flat_scratch_init 0
		.amdhsa_user_sgpr_private_segment_size 0
		.amdhsa_uses_dynamic_stack 0
		.amdhsa_system_sgpr_private_segment_wavefront_offset 0
		.amdhsa_system_sgpr_workgroup_id_x 1
		.amdhsa_system_sgpr_workgroup_id_y 0
		.amdhsa_system_sgpr_workgroup_id_z 0
		.amdhsa_system_sgpr_workgroup_info 0
		.amdhsa_system_vgpr_workitem_id 0
		.amdhsa_next_free_vgpr 1
		.amdhsa_next_free_sgpr 0
		.amdhsa_reserve_vcc 0
		.amdhsa_reserve_flat_scratch 0
		.amdhsa_float_round_mode_32 0
		.amdhsa_float_round_mode_16_64 0
		.amdhsa_float_denorm_mode_32 3
		.amdhsa_float_denorm_mode_16_64 3
		.amdhsa_dx10_clamp 1
		.amdhsa_ieee_mode 1
		.amdhsa_fp16_overflow 0
		.amdhsa_exception_fp_ieee_invalid_op 0
		.amdhsa_exception_fp_denorm_src 0
		.amdhsa_exception_fp_ieee_div_zero 0
		.amdhsa_exception_fp_ieee_overflow 0
		.amdhsa_exception_fp_ieee_underflow 0
		.amdhsa_exception_fp_ieee_inexact 0
		.amdhsa_exception_int_div_zero 0
	.end_amdhsa_kernel
	.section	.text._ZN7rocprim17ROCPRIM_400000_NS6detail17trampoline_kernelINS0_14default_configENS1_22reduce_config_selectorIN6thrust23THRUST_200600_302600_NS5tupleIblNS6_9null_typeES8_S8_S8_S8_S8_S8_S8_EEEEZNS1_11reduce_implILb1ES3_PS9_SC_S9_NS6_11hip_rocprim9__find_if7functorIS9_EEEE10hipError_tPvRmT1_T2_T3_mT4_P12ihipStream_tbEUlT_E0_NS1_11comp_targetILNS1_3genE10ELNS1_11target_archE1201ELNS1_3gpuE5ELNS1_3repE0EEENS1_30default_config_static_selectorELNS0_4arch9wavefront6targetE1EEEvSK_,"axG",@progbits,_ZN7rocprim17ROCPRIM_400000_NS6detail17trampoline_kernelINS0_14default_configENS1_22reduce_config_selectorIN6thrust23THRUST_200600_302600_NS5tupleIblNS6_9null_typeES8_S8_S8_S8_S8_S8_S8_EEEEZNS1_11reduce_implILb1ES3_PS9_SC_S9_NS6_11hip_rocprim9__find_if7functorIS9_EEEE10hipError_tPvRmT1_T2_T3_mT4_P12ihipStream_tbEUlT_E0_NS1_11comp_targetILNS1_3genE10ELNS1_11target_archE1201ELNS1_3gpuE5ELNS1_3repE0EEENS1_30default_config_static_selectorELNS0_4arch9wavefront6targetE1EEEvSK_,comdat
.Lfunc_end41:
	.size	_ZN7rocprim17ROCPRIM_400000_NS6detail17trampoline_kernelINS0_14default_configENS1_22reduce_config_selectorIN6thrust23THRUST_200600_302600_NS5tupleIblNS6_9null_typeES8_S8_S8_S8_S8_S8_S8_EEEEZNS1_11reduce_implILb1ES3_PS9_SC_S9_NS6_11hip_rocprim9__find_if7functorIS9_EEEE10hipError_tPvRmT1_T2_T3_mT4_P12ihipStream_tbEUlT_E0_NS1_11comp_targetILNS1_3genE10ELNS1_11target_archE1201ELNS1_3gpuE5ELNS1_3repE0EEENS1_30default_config_static_selectorELNS0_4arch9wavefront6targetE1EEEvSK_, .Lfunc_end41-_ZN7rocprim17ROCPRIM_400000_NS6detail17trampoline_kernelINS0_14default_configENS1_22reduce_config_selectorIN6thrust23THRUST_200600_302600_NS5tupleIblNS6_9null_typeES8_S8_S8_S8_S8_S8_S8_EEEEZNS1_11reduce_implILb1ES3_PS9_SC_S9_NS6_11hip_rocprim9__find_if7functorIS9_EEEE10hipError_tPvRmT1_T2_T3_mT4_P12ihipStream_tbEUlT_E0_NS1_11comp_targetILNS1_3genE10ELNS1_11target_archE1201ELNS1_3gpuE5ELNS1_3repE0EEENS1_30default_config_static_selectorELNS0_4arch9wavefront6targetE1EEEvSK_
                                        ; -- End function
	.set _ZN7rocprim17ROCPRIM_400000_NS6detail17trampoline_kernelINS0_14default_configENS1_22reduce_config_selectorIN6thrust23THRUST_200600_302600_NS5tupleIblNS6_9null_typeES8_S8_S8_S8_S8_S8_S8_EEEEZNS1_11reduce_implILb1ES3_PS9_SC_S9_NS6_11hip_rocprim9__find_if7functorIS9_EEEE10hipError_tPvRmT1_T2_T3_mT4_P12ihipStream_tbEUlT_E0_NS1_11comp_targetILNS1_3genE10ELNS1_11target_archE1201ELNS1_3gpuE5ELNS1_3repE0EEENS1_30default_config_static_selectorELNS0_4arch9wavefront6targetE1EEEvSK_.num_vgpr, 0
	.set _ZN7rocprim17ROCPRIM_400000_NS6detail17trampoline_kernelINS0_14default_configENS1_22reduce_config_selectorIN6thrust23THRUST_200600_302600_NS5tupleIblNS6_9null_typeES8_S8_S8_S8_S8_S8_S8_EEEEZNS1_11reduce_implILb1ES3_PS9_SC_S9_NS6_11hip_rocprim9__find_if7functorIS9_EEEE10hipError_tPvRmT1_T2_T3_mT4_P12ihipStream_tbEUlT_E0_NS1_11comp_targetILNS1_3genE10ELNS1_11target_archE1201ELNS1_3gpuE5ELNS1_3repE0EEENS1_30default_config_static_selectorELNS0_4arch9wavefront6targetE1EEEvSK_.num_agpr, 0
	.set _ZN7rocprim17ROCPRIM_400000_NS6detail17trampoline_kernelINS0_14default_configENS1_22reduce_config_selectorIN6thrust23THRUST_200600_302600_NS5tupleIblNS6_9null_typeES8_S8_S8_S8_S8_S8_S8_EEEEZNS1_11reduce_implILb1ES3_PS9_SC_S9_NS6_11hip_rocprim9__find_if7functorIS9_EEEE10hipError_tPvRmT1_T2_T3_mT4_P12ihipStream_tbEUlT_E0_NS1_11comp_targetILNS1_3genE10ELNS1_11target_archE1201ELNS1_3gpuE5ELNS1_3repE0EEENS1_30default_config_static_selectorELNS0_4arch9wavefront6targetE1EEEvSK_.numbered_sgpr, 0
	.set _ZN7rocprim17ROCPRIM_400000_NS6detail17trampoline_kernelINS0_14default_configENS1_22reduce_config_selectorIN6thrust23THRUST_200600_302600_NS5tupleIblNS6_9null_typeES8_S8_S8_S8_S8_S8_S8_EEEEZNS1_11reduce_implILb1ES3_PS9_SC_S9_NS6_11hip_rocprim9__find_if7functorIS9_EEEE10hipError_tPvRmT1_T2_T3_mT4_P12ihipStream_tbEUlT_E0_NS1_11comp_targetILNS1_3genE10ELNS1_11target_archE1201ELNS1_3gpuE5ELNS1_3repE0EEENS1_30default_config_static_selectorELNS0_4arch9wavefront6targetE1EEEvSK_.num_named_barrier, 0
	.set _ZN7rocprim17ROCPRIM_400000_NS6detail17trampoline_kernelINS0_14default_configENS1_22reduce_config_selectorIN6thrust23THRUST_200600_302600_NS5tupleIblNS6_9null_typeES8_S8_S8_S8_S8_S8_S8_EEEEZNS1_11reduce_implILb1ES3_PS9_SC_S9_NS6_11hip_rocprim9__find_if7functorIS9_EEEE10hipError_tPvRmT1_T2_T3_mT4_P12ihipStream_tbEUlT_E0_NS1_11comp_targetILNS1_3genE10ELNS1_11target_archE1201ELNS1_3gpuE5ELNS1_3repE0EEENS1_30default_config_static_selectorELNS0_4arch9wavefront6targetE1EEEvSK_.private_seg_size, 0
	.set _ZN7rocprim17ROCPRIM_400000_NS6detail17trampoline_kernelINS0_14default_configENS1_22reduce_config_selectorIN6thrust23THRUST_200600_302600_NS5tupleIblNS6_9null_typeES8_S8_S8_S8_S8_S8_S8_EEEEZNS1_11reduce_implILb1ES3_PS9_SC_S9_NS6_11hip_rocprim9__find_if7functorIS9_EEEE10hipError_tPvRmT1_T2_T3_mT4_P12ihipStream_tbEUlT_E0_NS1_11comp_targetILNS1_3genE10ELNS1_11target_archE1201ELNS1_3gpuE5ELNS1_3repE0EEENS1_30default_config_static_selectorELNS0_4arch9wavefront6targetE1EEEvSK_.uses_vcc, 0
	.set _ZN7rocprim17ROCPRIM_400000_NS6detail17trampoline_kernelINS0_14default_configENS1_22reduce_config_selectorIN6thrust23THRUST_200600_302600_NS5tupleIblNS6_9null_typeES8_S8_S8_S8_S8_S8_S8_EEEEZNS1_11reduce_implILb1ES3_PS9_SC_S9_NS6_11hip_rocprim9__find_if7functorIS9_EEEE10hipError_tPvRmT1_T2_T3_mT4_P12ihipStream_tbEUlT_E0_NS1_11comp_targetILNS1_3genE10ELNS1_11target_archE1201ELNS1_3gpuE5ELNS1_3repE0EEENS1_30default_config_static_selectorELNS0_4arch9wavefront6targetE1EEEvSK_.uses_flat_scratch, 0
	.set _ZN7rocprim17ROCPRIM_400000_NS6detail17trampoline_kernelINS0_14default_configENS1_22reduce_config_selectorIN6thrust23THRUST_200600_302600_NS5tupleIblNS6_9null_typeES8_S8_S8_S8_S8_S8_S8_EEEEZNS1_11reduce_implILb1ES3_PS9_SC_S9_NS6_11hip_rocprim9__find_if7functorIS9_EEEE10hipError_tPvRmT1_T2_T3_mT4_P12ihipStream_tbEUlT_E0_NS1_11comp_targetILNS1_3genE10ELNS1_11target_archE1201ELNS1_3gpuE5ELNS1_3repE0EEENS1_30default_config_static_selectorELNS0_4arch9wavefront6targetE1EEEvSK_.has_dyn_sized_stack, 0
	.set _ZN7rocprim17ROCPRIM_400000_NS6detail17trampoline_kernelINS0_14default_configENS1_22reduce_config_selectorIN6thrust23THRUST_200600_302600_NS5tupleIblNS6_9null_typeES8_S8_S8_S8_S8_S8_S8_EEEEZNS1_11reduce_implILb1ES3_PS9_SC_S9_NS6_11hip_rocprim9__find_if7functorIS9_EEEE10hipError_tPvRmT1_T2_T3_mT4_P12ihipStream_tbEUlT_E0_NS1_11comp_targetILNS1_3genE10ELNS1_11target_archE1201ELNS1_3gpuE5ELNS1_3repE0EEENS1_30default_config_static_selectorELNS0_4arch9wavefront6targetE1EEEvSK_.has_recursion, 0
	.set _ZN7rocprim17ROCPRIM_400000_NS6detail17trampoline_kernelINS0_14default_configENS1_22reduce_config_selectorIN6thrust23THRUST_200600_302600_NS5tupleIblNS6_9null_typeES8_S8_S8_S8_S8_S8_S8_EEEEZNS1_11reduce_implILb1ES3_PS9_SC_S9_NS6_11hip_rocprim9__find_if7functorIS9_EEEE10hipError_tPvRmT1_T2_T3_mT4_P12ihipStream_tbEUlT_E0_NS1_11comp_targetILNS1_3genE10ELNS1_11target_archE1201ELNS1_3gpuE5ELNS1_3repE0EEENS1_30default_config_static_selectorELNS0_4arch9wavefront6targetE1EEEvSK_.has_indirect_call, 0
	.section	.AMDGPU.csdata,"",@progbits
; Kernel info:
; codeLenInByte = 0
; TotalNumSgprs: 4
; NumVgprs: 0
; ScratchSize: 0
; MemoryBound: 0
; FloatMode: 240
; IeeeMode: 1
; LDSByteSize: 0 bytes/workgroup (compile time only)
; SGPRBlocks: 0
; VGPRBlocks: 0
; NumSGPRsForWavesPerEU: 4
; NumVGPRsForWavesPerEU: 1
; Occupancy: 10
; WaveLimiterHint : 0
; COMPUTE_PGM_RSRC2:SCRATCH_EN: 0
; COMPUTE_PGM_RSRC2:USER_SGPR: 6
; COMPUTE_PGM_RSRC2:TRAP_HANDLER: 0
; COMPUTE_PGM_RSRC2:TGID_X_EN: 1
; COMPUTE_PGM_RSRC2:TGID_Y_EN: 0
; COMPUTE_PGM_RSRC2:TGID_Z_EN: 0
; COMPUTE_PGM_RSRC2:TIDIG_COMP_CNT: 0
	.section	.text._ZN7rocprim17ROCPRIM_400000_NS6detail17trampoline_kernelINS0_14default_configENS1_22reduce_config_selectorIN6thrust23THRUST_200600_302600_NS5tupleIblNS6_9null_typeES8_S8_S8_S8_S8_S8_S8_EEEEZNS1_11reduce_implILb1ES3_PS9_SC_S9_NS6_11hip_rocprim9__find_if7functorIS9_EEEE10hipError_tPvRmT1_T2_T3_mT4_P12ihipStream_tbEUlT_E0_NS1_11comp_targetILNS1_3genE10ELNS1_11target_archE1200ELNS1_3gpuE4ELNS1_3repE0EEENS1_30default_config_static_selectorELNS0_4arch9wavefront6targetE1EEEvSK_,"axG",@progbits,_ZN7rocprim17ROCPRIM_400000_NS6detail17trampoline_kernelINS0_14default_configENS1_22reduce_config_selectorIN6thrust23THRUST_200600_302600_NS5tupleIblNS6_9null_typeES8_S8_S8_S8_S8_S8_S8_EEEEZNS1_11reduce_implILb1ES3_PS9_SC_S9_NS6_11hip_rocprim9__find_if7functorIS9_EEEE10hipError_tPvRmT1_T2_T3_mT4_P12ihipStream_tbEUlT_E0_NS1_11comp_targetILNS1_3genE10ELNS1_11target_archE1200ELNS1_3gpuE4ELNS1_3repE0EEENS1_30default_config_static_selectorELNS0_4arch9wavefront6targetE1EEEvSK_,comdat
	.protected	_ZN7rocprim17ROCPRIM_400000_NS6detail17trampoline_kernelINS0_14default_configENS1_22reduce_config_selectorIN6thrust23THRUST_200600_302600_NS5tupleIblNS6_9null_typeES8_S8_S8_S8_S8_S8_S8_EEEEZNS1_11reduce_implILb1ES3_PS9_SC_S9_NS6_11hip_rocprim9__find_if7functorIS9_EEEE10hipError_tPvRmT1_T2_T3_mT4_P12ihipStream_tbEUlT_E0_NS1_11comp_targetILNS1_3genE10ELNS1_11target_archE1200ELNS1_3gpuE4ELNS1_3repE0EEENS1_30default_config_static_selectorELNS0_4arch9wavefront6targetE1EEEvSK_ ; -- Begin function _ZN7rocprim17ROCPRIM_400000_NS6detail17trampoline_kernelINS0_14default_configENS1_22reduce_config_selectorIN6thrust23THRUST_200600_302600_NS5tupleIblNS6_9null_typeES8_S8_S8_S8_S8_S8_S8_EEEEZNS1_11reduce_implILb1ES3_PS9_SC_S9_NS6_11hip_rocprim9__find_if7functorIS9_EEEE10hipError_tPvRmT1_T2_T3_mT4_P12ihipStream_tbEUlT_E0_NS1_11comp_targetILNS1_3genE10ELNS1_11target_archE1200ELNS1_3gpuE4ELNS1_3repE0EEENS1_30default_config_static_selectorELNS0_4arch9wavefront6targetE1EEEvSK_
	.globl	_ZN7rocprim17ROCPRIM_400000_NS6detail17trampoline_kernelINS0_14default_configENS1_22reduce_config_selectorIN6thrust23THRUST_200600_302600_NS5tupleIblNS6_9null_typeES8_S8_S8_S8_S8_S8_S8_EEEEZNS1_11reduce_implILb1ES3_PS9_SC_S9_NS6_11hip_rocprim9__find_if7functorIS9_EEEE10hipError_tPvRmT1_T2_T3_mT4_P12ihipStream_tbEUlT_E0_NS1_11comp_targetILNS1_3genE10ELNS1_11target_archE1200ELNS1_3gpuE4ELNS1_3repE0EEENS1_30default_config_static_selectorELNS0_4arch9wavefront6targetE1EEEvSK_
	.p2align	8
	.type	_ZN7rocprim17ROCPRIM_400000_NS6detail17trampoline_kernelINS0_14default_configENS1_22reduce_config_selectorIN6thrust23THRUST_200600_302600_NS5tupleIblNS6_9null_typeES8_S8_S8_S8_S8_S8_S8_EEEEZNS1_11reduce_implILb1ES3_PS9_SC_S9_NS6_11hip_rocprim9__find_if7functorIS9_EEEE10hipError_tPvRmT1_T2_T3_mT4_P12ihipStream_tbEUlT_E0_NS1_11comp_targetILNS1_3genE10ELNS1_11target_archE1200ELNS1_3gpuE4ELNS1_3repE0EEENS1_30default_config_static_selectorELNS0_4arch9wavefront6targetE1EEEvSK_,@function
_ZN7rocprim17ROCPRIM_400000_NS6detail17trampoline_kernelINS0_14default_configENS1_22reduce_config_selectorIN6thrust23THRUST_200600_302600_NS5tupleIblNS6_9null_typeES8_S8_S8_S8_S8_S8_S8_EEEEZNS1_11reduce_implILb1ES3_PS9_SC_S9_NS6_11hip_rocprim9__find_if7functorIS9_EEEE10hipError_tPvRmT1_T2_T3_mT4_P12ihipStream_tbEUlT_E0_NS1_11comp_targetILNS1_3genE10ELNS1_11target_archE1200ELNS1_3gpuE4ELNS1_3repE0EEENS1_30default_config_static_selectorELNS0_4arch9wavefront6targetE1EEEvSK_: ; @_ZN7rocprim17ROCPRIM_400000_NS6detail17trampoline_kernelINS0_14default_configENS1_22reduce_config_selectorIN6thrust23THRUST_200600_302600_NS5tupleIblNS6_9null_typeES8_S8_S8_S8_S8_S8_S8_EEEEZNS1_11reduce_implILb1ES3_PS9_SC_S9_NS6_11hip_rocprim9__find_if7functorIS9_EEEE10hipError_tPvRmT1_T2_T3_mT4_P12ihipStream_tbEUlT_E0_NS1_11comp_targetILNS1_3genE10ELNS1_11target_archE1200ELNS1_3gpuE4ELNS1_3repE0EEENS1_30default_config_static_selectorELNS0_4arch9wavefront6targetE1EEEvSK_
; %bb.0:
	.section	.rodata,"a",@progbits
	.p2align	6, 0x0
	.amdhsa_kernel _ZN7rocprim17ROCPRIM_400000_NS6detail17trampoline_kernelINS0_14default_configENS1_22reduce_config_selectorIN6thrust23THRUST_200600_302600_NS5tupleIblNS6_9null_typeES8_S8_S8_S8_S8_S8_S8_EEEEZNS1_11reduce_implILb1ES3_PS9_SC_S9_NS6_11hip_rocprim9__find_if7functorIS9_EEEE10hipError_tPvRmT1_T2_T3_mT4_P12ihipStream_tbEUlT_E0_NS1_11comp_targetILNS1_3genE10ELNS1_11target_archE1200ELNS1_3gpuE4ELNS1_3repE0EEENS1_30default_config_static_selectorELNS0_4arch9wavefront6targetE1EEEvSK_
		.amdhsa_group_segment_fixed_size 0
		.amdhsa_private_segment_fixed_size 0
		.amdhsa_kernarg_size 72
		.amdhsa_user_sgpr_count 6
		.amdhsa_user_sgpr_private_segment_buffer 1
		.amdhsa_user_sgpr_dispatch_ptr 0
		.amdhsa_user_sgpr_queue_ptr 0
		.amdhsa_user_sgpr_kernarg_segment_ptr 1
		.amdhsa_user_sgpr_dispatch_id 0
		.amdhsa_user_sgpr_flat_scratch_init 0
		.amdhsa_user_sgpr_private_segment_size 0
		.amdhsa_uses_dynamic_stack 0
		.amdhsa_system_sgpr_private_segment_wavefront_offset 0
		.amdhsa_system_sgpr_workgroup_id_x 1
		.amdhsa_system_sgpr_workgroup_id_y 0
		.amdhsa_system_sgpr_workgroup_id_z 0
		.amdhsa_system_sgpr_workgroup_info 0
		.amdhsa_system_vgpr_workitem_id 0
		.amdhsa_next_free_vgpr 1
		.amdhsa_next_free_sgpr 0
		.amdhsa_reserve_vcc 0
		.amdhsa_reserve_flat_scratch 0
		.amdhsa_float_round_mode_32 0
		.amdhsa_float_round_mode_16_64 0
		.amdhsa_float_denorm_mode_32 3
		.amdhsa_float_denorm_mode_16_64 3
		.amdhsa_dx10_clamp 1
		.amdhsa_ieee_mode 1
		.amdhsa_fp16_overflow 0
		.amdhsa_exception_fp_ieee_invalid_op 0
		.amdhsa_exception_fp_denorm_src 0
		.amdhsa_exception_fp_ieee_div_zero 0
		.amdhsa_exception_fp_ieee_overflow 0
		.amdhsa_exception_fp_ieee_underflow 0
		.amdhsa_exception_fp_ieee_inexact 0
		.amdhsa_exception_int_div_zero 0
	.end_amdhsa_kernel
	.section	.text._ZN7rocprim17ROCPRIM_400000_NS6detail17trampoline_kernelINS0_14default_configENS1_22reduce_config_selectorIN6thrust23THRUST_200600_302600_NS5tupleIblNS6_9null_typeES8_S8_S8_S8_S8_S8_S8_EEEEZNS1_11reduce_implILb1ES3_PS9_SC_S9_NS6_11hip_rocprim9__find_if7functorIS9_EEEE10hipError_tPvRmT1_T2_T3_mT4_P12ihipStream_tbEUlT_E0_NS1_11comp_targetILNS1_3genE10ELNS1_11target_archE1200ELNS1_3gpuE4ELNS1_3repE0EEENS1_30default_config_static_selectorELNS0_4arch9wavefront6targetE1EEEvSK_,"axG",@progbits,_ZN7rocprim17ROCPRIM_400000_NS6detail17trampoline_kernelINS0_14default_configENS1_22reduce_config_selectorIN6thrust23THRUST_200600_302600_NS5tupleIblNS6_9null_typeES8_S8_S8_S8_S8_S8_S8_EEEEZNS1_11reduce_implILb1ES3_PS9_SC_S9_NS6_11hip_rocprim9__find_if7functorIS9_EEEE10hipError_tPvRmT1_T2_T3_mT4_P12ihipStream_tbEUlT_E0_NS1_11comp_targetILNS1_3genE10ELNS1_11target_archE1200ELNS1_3gpuE4ELNS1_3repE0EEENS1_30default_config_static_selectorELNS0_4arch9wavefront6targetE1EEEvSK_,comdat
.Lfunc_end42:
	.size	_ZN7rocprim17ROCPRIM_400000_NS6detail17trampoline_kernelINS0_14default_configENS1_22reduce_config_selectorIN6thrust23THRUST_200600_302600_NS5tupleIblNS6_9null_typeES8_S8_S8_S8_S8_S8_S8_EEEEZNS1_11reduce_implILb1ES3_PS9_SC_S9_NS6_11hip_rocprim9__find_if7functorIS9_EEEE10hipError_tPvRmT1_T2_T3_mT4_P12ihipStream_tbEUlT_E0_NS1_11comp_targetILNS1_3genE10ELNS1_11target_archE1200ELNS1_3gpuE4ELNS1_3repE0EEENS1_30default_config_static_selectorELNS0_4arch9wavefront6targetE1EEEvSK_, .Lfunc_end42-_ZN7rocprim17ROCPRIM_400000_NS6detail17trampoline_kernelINS0_14default_configENS1_22reduce_config_selectorIN6thrust23THRUST_200600_302600_NS5tupleIblNS6_9null_typeES8_S8_S8_S8_S8_S8_S8_EEEEZNS1_11reduce_implILb1ES3_PS9_SC_S9_NS6_11hip_rocprim9__find_if7functorIS9_EEEE10hipError_tPvRmT1_T2_T3_mT4_P12ihipStream_tbEUlT_E0_NS1_11comp_targetILNS1_3genE10ELNS1_11target_archE1200ELNS1_3gpuE4ELNS1_3repE0EEENS1_30default_config_static_selectorELNS0_4arch9wavefront6targetE1EEEvSK_
                                        ; -- End function
	.set _ZN7rocprim17ROCPRIM_400000_NS6detail17trampoline_kernelINS0_14default_configENS1_22reduce_config_selectorIN6thrust23THRUST_200600_302600_NS5tupleIblNS6_9null_typeES8_S8_S8_S8_S8_S8_S8_EEEEZNS1_11reduce_implILb1ES3_PS9_SC_S9_NS6_11hip_rocprim9__find_if7functorIS9_EEEE10hipError_tPvRmT1_T2_T3_mT4_P12ihipStream_tbEUlT_E0_NS1_11comp_targetILNS1_3genE10ELNS1_11target_archE1200ELNS1_3gpuE4ELNS1_3repE0EEENS1_30default_config_static_selectorELNS0_4arch9wavefront6targetE1EEEvSK_.num_vgpr, 0
	.set _ZN7rocprim17ROCPRIM_400000_NS6detail17trampoline_kernelINS0_14default_configENS1_22reduce_config_selectorIN6thrust23THRUST_200600_302600_NS5tupleIblNS6_9null_typeES8_S8_S8_S8_S8_S8_S8_EEEEZNS1_11reduce_implILb1ES3_PS9_SC_S9_NS6_11hip_rocprim9__find_if7functorIS9_EEEE10hipError_tPvRmT1_T2_T3_mT4_P12ihipStream_tbEUlT_E0_NS1_11comp_targetILNS1_3genE10ELNS1_11target_archE1200ELNS1_3gpuE4ELNS1_3repE0EEENS1_30default_config_static_selectorELNS0_4arch9wavefront6targetE1EEEvSK_.num_agpr, 0
	.set _ZN7rocprim17ROCPRIM_400000_NS6detail17trampoline_kernelINS0_14default_configENS1_22reduce_config_selectorIN6thrust23THRUST_200600_302600_NS5tupleIblNS6_9null_typeES8_S8_S8_S8_S8_S8_S8_EEEEZNS1_11reduce_implILb1ES3_PS9_SC_S9_NS6_11hip_rocprim9__find_if7functorIS9_EEEE10hipError_tPvRmT1_T2_T3_mT4_P12ihipStream_tbEUlT_E0_NS1_11comp_targetILNS1_3genE10ELNS1_11target_archE1200ELNS1_3gpuE4ELNS1_3repE0EEENS1_30default_config_static_selectorELNS0_4arch9wavefront6targetE1EEEvSK_.numbered_sgpr, 0
	.set _ZN7rocprim17ROCPRIM_400000_NS6detail17trampoline_kernelINS0_14default_configENS1_22reduce_config_selectorIN6thrust23THRUST_200600_302600_NS5tupleIblNS6_9null_typeES8_S8_S8_S8_S8_S8_S8_EEEEZNS1_11reduce_implILb1ES3_PS9_SC_S9_NS6_11hip_rocprim9__find_if7functorIS9_EEEE10hipError_tPvRmT1_T2_T3_mT4_P12ihipStream_tbEUlT_E0_NS1_11comp_targetILNS1_3genE10ELNS1_11target_archE1200ELNS1_3gpuE4ELNS1_3repE0EEENS1_30default_config_static_selectorELNS0_4arch9wavefront6targetE1EEEvSK_.num_named_barrier, 0
	.set _ZN7rocprim17ROCPRIM_400000_NS6detail17trampoline_kernelINS0_14default_configENS1_22reduce_config_selectorIN6thrust23THRUST_200600_302600_NS5tupleIblNS6_9null_typeES8_S8_S8_S8_S8_S8_S8_EEEEZNS1_11reduce_implILb1ES3_PS9_SC_S9_NS6_11hip_rocprim9__find_if7functorIS9_EEEE10hipError_tPvRmT1_T2_T3_mT4_P12ihipStream_tbEUlT_E0_NS1_11comp_targetILNS1_3genE10ELNS1_11target_archE1200ELNS1_3gpuE4ELNS1_3repE0EEENS1_30default_config_static_selectorELNS0_4arch9wavefront6targetE1EEEvSK_.private_seg_size, 0
	.set _ZN7rocprim17ROCPRIM_400000_NS6detail17trampoline_kernelINS0_14default_configENS1_22reduce_config_selectorIN6thrust23THRUST_200600_302600_NS5tupleIblNS6_9null_typeES8_S8_S8_S8_S8_S8_S8_EEEEZNS1_11reduce_implILb1ES3_PS9_SC_S9_NS6_11hip_rocprim9__find_if7functorIS9_EEEE10hipError_tPvRmT1_T2_T3_mT4_P12ihipStream_tbEUlT_E0_NS1_11comp_targetILNS1_3genE10ELNS1_11target_archE1200ELNS1_3gpuE4ELNS1_3repE0EEENS1_30default_config_static_selectorELNS0_4arch9wavefront6targetE1EEEvSK_.uses_vcc, 0
	.set _ZN7rocprim17ROCPRIM_400000_NS6detail17trampoline_kernelINS0_14default_configENS1_22reduce_config_selectorIN6thrust23THRUST_200600_302600_NS5tupleIblNS6_9null_typeES8_S8_S8_S8_S8_S8_S8_EEEEZNS1_11reduce_implILb1ES3_PS9_SC_S9_NS6_11hip_rocprim9__find_if7functorIS9_EEEE10hipError_tPvRmT1_T2_T3_mT4_P12ihipStream_tbEUlT_E0_NS1_11comp_targetILNS1_3genE10ELNS1_11target_archE1200ELNS1_3gpuE4ELNS1_3repE0EEENS1_30default_config_static_selectorELNS0_4arch9wavefront6targetE1EEEvSK_.uses_flat_scratch, 0
	.set _ZN7rocprim17ROCPRIM_400000_NS6detail17trampoline_kernelINS0_14default_configENS1_22reduce_config_selectorIN6thrust23THRUST_200600_302600_NS5tupleIblNS6_9null_typeES8_S8_S8_S8_S8_S8_S8_EEEEZNS1_11reduce_implILb1ES3_PS9_SC_S9_NS6_11hip_rocprim9__find_if7functorIS9_EEEE10hipError_tPvRmT1_T2_T3_mT4_P12ihipStream_tbEUlT_E0_NS1_11comp_targetILNS1_3genE10ELNS1_11target_archE1200ELNS1_3gpuE4ELNS1_3repE0EEENS1_30default_config_static_selectorELNS0_4arch9wavefront6targetE1EEEvSK_.has_dyn_sized_stack, 0
	.set _ZN7rocprim17ROCPRIM_400000_NS6detail17trampoline_kernelINS0_14default_configENS1_22reduce_config_selectorIN6thrust23THRUST_200600_302600_NS5tupleIblNS6_9null_typeES8_S8_S8_S8_S8_S8_S8_EEEEZNS1_11reduce_implILb1ES3_PS9_SC_S9_NS6_11hip_rocprim9__find_if7functorIS9_EEEE10hipError_tPvRmT1_T2_T3_mT4_P12ihipStream_tbEUlT_E0_NS1_11comp_targetILNS1_3genE10ELNS1_11target_archE1200ELNS1_3gpuE4ELNS1_3repE0EEENS1_30default_config_static_selectorELNS0_4arch9wavefront6targetE1EEEvSK_.has_recursion, 0
	.set _ZN7rocprim17ROCPRIM_400000_NS6detail17trampoline_kernelINS0_14default_configENS1_22reduce_config_selectorIN6thrust23THRUST_200600_302600_NS5tupleIblNS6_9null_typeES8_S8_S8_S8_S8_S8_S8_EEEEZNS1_11reduce_implILb1ES3_PS9_SC_S9_NS6_11hip_rocprim9__find_if7functorIS9_EEEE10hipError_tPvRmT1_T2_T3_mT4_P12ihipStream_tbEUlT_E0_NS1_11comp_targetILNS1_3genE10ELNS1_11target_archE1200ELNS1_3gpuE4ELNS1_3repE0EEENS1_30default_config_static_selectorELNS0_4arch9wavefront6targetE1EEEvSK_.has_indirect_call, 0
	.section	.AMDGPU.csdata,"",@progbits
; Kernel info:
; codeLenInByte = 0
; TotalNumSgprs: 4
; NumVgprs: 0
; ScratchSize: 0
; MemoryBound: 0
; FloatMode: 240
; IeeeMode: 1
; LDSByteSize: 0 bytes/workgroup (compile time only)
; SGPRBlocks: 0
; VGPRBlocks: 0
; NumSGPRsForWavesPerEU: 4
; NumVGPRsForWavesPerEU: 1
; Occupancy: 10
; WaveLimiterHint : 0
; COMPUTE_PGM_RSRC2:SCRATCH_EN: 0
; COMPUTE_PGM_RSRC2:USER_SGPR: 6
; COMPUTE_PGM_RSRC2:TRAP_HANDLER: 0
; COMPUTE_PGM_RSRC2:TGID_X_EN: 1
; COMPUTE_PGM_RSRC2:TGID_Y_EN: 0
; COMPUTE_PGM_RSRC2:TGID_Z_EN: 0
; COMPUTE_PGM_RSRC2:TIDIG_COMP_CNT: 0
	.section	.text._ZN7rocprim17ROCPRIM_400000_NS6detail17trampoline_kernelINS0_14default_configENS1_22reduce_config_selectorIN6thrust23THRUST_200600_302600_NS5tupleIblNS6_9null_typeES8_S8_S8_S8_S8_S8_S8_EEEEZNS1_11reduce_implILb1ES3_PS9_SC_S9_NS6_11hip_rocprim9__find_if7functorIS9_EEEE10hipError_tPvRmT1_T2_T3_mT4_P12ihipStream_tbEUlT_E0_NS1_11comp_targetILNS1_3genE9ELNS1_11target_archE1100ELNS1_3gpuE3ELNS1_3repE0EEENS1_30default_config_static_selectorELNS0_4arch9wavefront6targetE1EEEvSK_,"axG",@progbits,_ZN7rocprim17ROCPRIM_400000_NS6detail17trampoline_kernelINS0_14default_configENS1_22reduce_config_selectorIN6thrust23THRUST_200600_302600_NS5tupleIblNS6_9null_typeES8_S8_S8_S8_S8_S8_S8_EEEEZNS1_11reduce_implILb1ES3_PS9_SC_S9_NS6_11hip_rocprim9__find_if7functorIS9_EEEE10hipError_tPvRmT1_T2_T3_mT4_P12ihipStream_tbEUlT_E0_NS1_11comp_targetILNS1_3genE9ELNS1_11target_archE1100ELNS1_3gpuE3ELNS1_3repE0EEENS1_30default_config_static_selectorELNS0_4arch9wavefront6targetE1EEEvSK_,comdat
	.protected	_ZN7rocprim17ROCPRIM_400000_NS6detail17trampoline_kernelINS0_14default_configENS1_22reduce_config_selectorIN6thrust23THRUST_200600_302600_NS5tupleIblNS6_9null_typeES8_S8_S8_S8_S8_S8_S8_EEEEZNS1_11reduce_implILb1ES3_PS9_SC_S9_NS6_11hip_rocprim9__find_if7functorIS9_EEEE10hipError_tPvRmT1_T2_T3_mT4_P12ihipStream_tbEUlT_E0_NS1_11comp_targetILNS1_3genE9ELNS1_11target_archE1100ELNS1_3gpuE3ELNS1_3repE0EEENS1_30default_config_static_selectorELNS0_4arch9wavefront6targetE1EEEvSK_ ; -- Begin function _ZN7rocprim17ROCPRIM_400000_NS6detail17trampoline_kernelINS0_14default_configENS1_22reduce_config_selectorIN6thrust23THRUST_200600_302600_NS5tupleIblNS6_9null_typeES8_S8_S8_S8_S8_S8_S8_EEEEZNS1_11reduce_implILb1ES3_PS9_SC_S9_NS6_11hip_rocprim9__find_if7functorIS9_EEEE10hipError_tPvRmT1_T2_T3_mT4_P12ihipStream_tbEUlT_E0_NS1_11comp_targetILNS1_3genE9ELNS1_11target_archE1100ELNS1_3gpuE3ELNS1_3repE0EEENS1_30default_config_static_selectorELNS0_4arch9wavefront6targetE1EEEvSK_
	.globl	_ZN7rocprim17ROCPRIM_400000_NS6detail17trampoline_kernelINS0_14default_configENS1_22reduce_config_selectorIN6thrust23THRUST_200600_302600_NS5tupleIblNS6_9null_typeES8_S8_S8_S8_S8_S8_S8_EEEEZNS1_11reduce_implILb1ES3_PS9_SC_S9_NS6_11hip_rocprim9__find_if7functorIS9_EEEE10hipError_tPvRmT1_T2_T3_mT4_P12ihipStream_tbEUlT_E0_NS1_11comp_targetILNS1_3genE9ELNS1_11target_archE1100ELNS1_3gpuE3ELNS1_3repE0EEENS1_30default_config_static_selectorELNS0_4arch9wavefront6targetE1EEEvSK_
	.p2align	8
	.type	_ZN7rocprim17ROCPRIM_400000_NS6detail17trampoline_kernelINS0_14default_configENS1_22reduce_config_selectorIN6thrust23THRUST_200600_302600_NS5tupleIblNS6_9null_typeES8_S8_S8_S8_S8_S8_S8_EEEEZNS1_11reduce_implILb1ES3_PS9_SC_S9_NS6_11hip_rocprim9__find_if7functorIS9_EEEE10hipError_tPvRmT1_T2_T3_mT4_P12ihipStream_tbEUlT_E0_NS1_11comp_targetILNS1_3genE9ELNS1_11target_archE1100ELNS1_3gpuE3ELNS1_3repE0EEENS1_30default_config_static_selectorELNS0_4arch9wavefront6targetE1EEEvSK_,@function
_ZN7rocprim17ROCPRIM_400000_NS6detail17trampoline_kernelINS0_14default_configENS1_22reduce_config_selectorIN6thrust23THRUST_200600_302600_NS5tupleIblNS6_9null_typeES8_S8_S8_S8_S8_S8_S8_EEEEZNS1_11reduce_implILb1ES3_PS9_SC_S9_NS6_11hip_rocprim9__find_if7functorIS9_EEEE10hipError_tPvRmT1_T2_T3_mT4_P12ihipStream_tbEUlT_E0_NS1_11comp_targetILNS1_3genE9ELNS1_11target_archE1100ELNS1_3gpuE3ELNS1_3repE0EEENS1_30default_config_static_selectorELNS0_4arch9wavefront6targetE1EEEvSK_: ; @_ZN7rocprim17ROCPRIM_400000_NS6detail17trampoline_kernelINS0_14default_configENS1_22reduce_config_selectorIN6thrust23THRUST_200600_302600_NS5tupleIblNS6_9null_typeES8_S8_S8_S8_S8_S8_S8_EEEEZNS1_11reduce_implILb1ES3_PS9_SC_S9_NS6_11hip_rocprim9__find_if7functorIS9_EEEE10hipError_tPvRmT1_T2_T3_mT4_P12ihipStream_tbEUlT_E0_NS1_11comp_targetILNS1_3genE9ELNS1_11target_archE1100ELNS1_3gpuE3ELNS1_3repE0EEENS1_30default_config_static_selectorELNS0_4arch9wavefront6targetE1EEEvSK_
; %bb.0:
	.section	.rodata,"a",@progbits
	.p2align	6, 0x0
	.amdhsa_kernel _ZN7rocprim17ROCPRIM_400000_NS6detail17trampoline_kernelINS0_14default_configENS1_22reduce_config_selectorIN6thrust23THRUST_200600_302600_NS5tupleIblNS6_9null_typeES8_S8_S8_S8_S8_S8_S8_EEEEZNS1_11reduce_implILb1ES3_PS9_SC_S9_NS6_11hip_rocprim9__find_if7functorIS9_EEEE10hipError_tPvRmT1_T2_T3_mT4_P12ihipStream_tbEUlT_E0_NS1_11comp_targetILNS1_3genE9ELNS1_11target_archE1100ELNS1_3gpuE3ELNS1_3repE0EEENS1_30default_config_static_selectorELNS0_4arch9wavefront6targetE1EEEvSK_
		.amdhsa_group_segment_fixed_size 0
		.amdhsa_private_segment_fixed_size 0
		.amdhsa_kernarg_size 72
		.amdhsa_user_sgpr_count 6
		.amdhsa_user_sgpr_private_segment_buffer 1
		.amdhsa_user_sgpr_dispatch_ptr 0
		.amdhsa_user_sgpr_queue_ptr 0
		.amdhsa_user_sgpr_kernarg_segment_ptr 1
		.amdhsa_user_sgpr_dispatch_id 0
		.amdhsa_user_sgpr_flat_scratch_init 0
		.amdhsa_user_sgpr_private_segment_size 0
		.amdhsa_uses_dynamic_stack 0
		.amdhsa_system_sgpr_private_segment_wavefront_offset 0
		.amdhsa_system_sgpr_workgroup_id_x 1
		.amdhsa_system_sgpr_workgroup_id_y 0
		.amdhsa_system_sgpr_workgroup_id_z 0
		.amdhsa_system_sgpr_workgroup_info 0
		.amdhsa_system_vgpr_workitem_id 0
		.amdhsa_next_free_vgpr 1
		.amdhsa_next_free_sgpr 0
		.amdhsa_reserve_vcc 0
		.amdhsa_reserve_flat_scratch 0
		.amdhsa_float_round_mode_32 0
		.amdhsa_float_round_mode_16_64 0
		.amdhsa_float_denorm_mode_32 3
		.amdhsa_float_denorm_mode_16_64 3
		.amdhsa_dx10_clamp 1
		.amdhsa_ieee_mode 1
		.amdhsa_fp16_overflow 0
		.amdhsa_exception_fp_ieee_invalid_op 0
		.amdhsa_exception_fp_denorm_src 0
		.amdhsa_exception_fp_ieee_div_zero 0
		.amdhsa_exception_fp_ieee_overflow 0
		.amdhsa_exception_fp_ieee_underflow 0
		.amdhsa_exception_fp_ieee_inexact 0
		.amdhsa_exception_int_div_zero 0
	.end_amdhsa_kernel
	.section	.text._ZN7rocprim17ROCPRIM_400000_NS6detail17trampoline_kernelINS0_14default_configENS1_22reduce_config_selectorIN6thrust23THRUST_200600_302600_NS5tupleIblNS6_9null_typeES8_S8_S8_S8_S8_S8_S8_EEEEZNS1_11reduce_implILb1ES3_PS9_SC_S9_NS6_11hip_rocprim9__find_if7functorIS9_EEEE10hipError_tPvRmT1_T2_T3_mT4_P12ihipStream_tbEUlT_E0_NS1_11comp_targetILNS1_3genE9ELNS1_11target_archE1100ELNS1_3gpuE3ELNS1_3repE0EEENS1_30default_config_static_selectorELNS0_4arch9wavefront6targetE1EEEvSK_,"axG",@progbits,_ZN7rocprim17ROCPRIM_400000_NS6detail17trampoline_kernelINS0_14default_configENS1_22reduce_config_selectorIN6thrust23THRUST_200600_302600_NS5tupleIblNS6_9null_typeES8_S8_S8_S8_S8_S8_S8_EEEEZNS1_11reduce_implILb1ES3_PS9_SC_S9_NS6_11hip_rocprim9__find_if7functorIS9_EEEE10hipError_tPvRmT1_T2_T3_mT4_P12ihipStream_tbEUlT_E0_NS1_11comp_targetILNS1_3genE9ELNS1_11target_archE1100ELNS1_3gpuE3ELNS1_3repE0EEENS1_30default_config_static_selectorELNS0_4arch9wavefront6targetE1EEEvSK_,comdat
.Lfunc_end43:
	.size	_ZN7rocprim17ROCPRIM_400000_NS6detail17trampoline_kernelINS0_14default_configENS1_22reduce_config_selectorIN6thrust23THRUST_200600_302600_NS5tupleIblNS6_9null_typeES8_S8_S8_S8_S8_S8_S8_EEEEZNS1_11reduce_implILb1ES3_PS9_SC_S9_NS6_11hip_rocprim9__find_if7functorIS9_EEEE10hipError_tPvRmT1_T2_T3_mT4_P12ihipStream_tbEUlT_E0_NS1_11comp_targetILNS1_3genE9ELNS1_11target_archE1100ELNS1_3gpuE3ELNS1_3repE0EEENS1_30default_config_static_selectorELNS0_4arch9wavefront6targetE1EEEvSK_, .Lfunc_end43-_ZN7rocprim17ROCPRIM_400000_NS6detail17trampoline_kernelINS0_14default_configENS1_22reduce_config_selectorIN6thrust23THRUST_200600_302600_NS5tupleIblNS6_9null_typeES8_S8_S8_S8_S8_S8_S8_EEEEZNS1_11reduce_implILb1ES3_PS9_SC_S9_NS6_11hip_rocprim9__find_if7functorIS9_EEEE10hipError_tPvRmT1_T2_T3_mT4_P12ihipStream_tbEUlT_E0_NS1_11comp_targetILNS1_3genE9ELNS1_11target_archE1100ELNS1_3gpuE3ELNS1_3repE0EEENS1_30default_config_static_selectorELNS0_4arch9wavefront6targetE1EEEvSK_
                                        ; -- End function
	.set _ZN7rocprim17ROCPRIM_400000_NS6detail17trampoline_kernelINS0_14default_configENS1_22reduce_config_selectorIN6thrust23THRUST_200600_302600_NS5tupleIblNS6_9null_typeES8_S8_S8_S8_S8_S8_S8_EEEEZNS1_11reduce_implILb1ES3_PS9_SC_S9_NS6_11hip_rocprim9__find_if7functorIS9_EEEE10hipError_tPvRmT1_T2_T3_mT4_P12ihipStream_tbEUlT_E0_NS1_11comp_targetILNS1_3genE9ELNS1_11target_archE1100ELNS1_3gpuE3ELNS1_3repE0EEENS1_30default_config_static_selectorELNS0_4arch9wavefront6targetE1EEEvSK_.num_vgpr, 0
	.set _ZN7rocprim17ROCPRIM_400000_NS6detail17trampoline_kernelINS0_14default_configENS1_22reduce_config_selectorIN6thrust23THRUST_200600_302600_NS5tupleIblNS6_9null_typeES8_S8_S8_S8_S8_S8_S8_EEEEZNS1_11reduce_implILb1ES3_PS9_SC_S9_NS6_11hip_rocprim9__find_if7functorIS9_EEEE10hipError_tPvRmT1_T2_T3_mT4_P12ihipStream_tbEUlT_E0_NS1_11comp_targetILNS1_3genE9ELNS1_11target_archE1100ELNS1_3gpuE3ELNS1_3repE0EEENS1_30default_config_static_selectorELNS0_4arch9wavefront6targetE1EEEvSK_.num_agpr, 0
	.set _ZN7rocprim17ROCPRIM_400000_NS6detail17trampoline_kernelINS0_14default_configENS1_22reduce_config_selectorIN6thrust23THRUST_200600_302600_NS5tupleIblNS6_9null_typeES8_S8_S8_S8_S8_S8_S8_EEEEZNS1_11reduce_implILb1ES3_PS9_SC_S9_NS6_11hip_rocprim9__find_if7functorIS9_EEEE10hipError_tPvRmT1_T2_T3_mT4_P12ihipStream_tbEUlT_E0_NS1_11comp_targetILNS1_3genE9ELNS1_11target_archE1100ELNS1_3gpuE3ELNS1_3repE0EEENS1_30default_config_static_selectorELNS0_4arch9wavefront6targetE1EEEvSK_.numbered_sgpr, 0
	.set _ZN7rocprim17ROCPRIM_400000_NS6detail17trampoline_kernelINS0_14default_configENS1_22reduce_config_selectorIN6thrust23THRUST_200600_302600_NS5tupleIblNS6_9null_typeES8_S8_S8_S8_S8_S8_S8_EEEEZNS1_11reduce_implILb1ES3_PS9_SC_S9_NS6_11hip_rocprim9__find_if7functorIS9_EEEE10hipError_tPvRmT1_T2_T3_mT4_P12ihipStream_tbEUlT_E0_NS1_11comp_targetILNS1_3genE9ELNS1_11target_archE1100ELNS1_3gpuE3ELNS1_3repE0EEENS1_30default_config_static_selectorELNS0_4arch9wavefront6targetE1EEEvSK_.num_named_barrier, 0
	.set _ZN7rocprim17ROCPRIM_400000_NS6detail17trampoline_kernelINS0_14default_configENS1_22reduce_config_selectorIN6thrust23THRUST_200600_302600_NS5tupleIblNS6_9null_typeES8_S8_S8_S8_S8_S8_S8_EEEEZNS1_11reduce_implILb1ES3_PS9_SC_S9_NS6_11hip_rocprim9__find_if7functorIS9_EEEE10hipError_tPvRmT1_T2_T3_mT4_P12ihipStream_tbEUlT_E0_NS1_11comp_targetILNS1_3genE9ELNS1_11target_archE1100ELNS1_3gpuE3ELNS1_3repE0EEENS1_30default_config_static_selectorELNS0_4arch9wavefront6targetE1EEEvSK_.private_seg_size, 0
	.set _ZN7rocprim17ROCPRIM_400000_NS6detail17trampoline_kernelINS0_14default_configENS1_22reduce_config_selectorIN6thrust23THRUST_200600_302600_NS5tupleIblNS6_9null_typeES8_S8_S8_S8_S8_S8_S8_EEEEZNS1_11reduce_implILb1ES3_PS9_SC_S9_NS6_11hip_rocprim9__find_if7functorIS9_EEEE10hipError_tPvRmT1_T2_T3_mT4_P12ihipStream_tbEUlT_E0_NS1_11comp_targetILNS1_3genE9ELNS1_11target_archE1100ELNS1_3gpuE3ELNS1_3repE0EEENS1_30default_config_static_selectorELNS0_4arch9wavefront6targetE1EEEvSK_.uses_vcc, 0
	.set _ZN7rocprim17ROCPRIM_400000_NS6detail17trampoline_kernelINS0_14default_configENS1_22reduce_config_selectorIN6thrust23THRUST_200600_302600_NS5tupleIblNS6_9null_typeES8_S8_S8_S8_S8_S8_S8_EEEEZNS1_11reduce_implILb1ES3_PS9_SC_S9_NS6_11hip_rocprim9__find_if7functorIS9_EEEE10hipError_tPvRmT1_T2_T3_mT4_P12ihipStream_tbEUlT_E0_NS1_11comp_targetILNS1_3genE9ELNS1_11target_archE1100ELNS1_3gpuE3ELNS1_3repE0EEENS1_30default_config_static_selectorELNS0_4arch9wavefront6targetE1EEEvSK_.uses_flat_scratch, 0
	.set _ZN7rocprim17ROCPRIM_400000_NS6detail17trampoline_kernelINS0_14default_configENS1_22reduce_config_selectorIN6thrust23THRUST_200600_302600_NS5tupleIblNS6_9null_typeES8_S8_S8_S8_S8_S8_S8_EEEEZNS1_11reduce_implILb1ES3_PS9_SC_S9_NS6_11hip_rocprim9__find_if7functorIS9_EEEE10hipError_tPvRmT1_T2_T3_mT4_P12ihipStream_tbEUlT_E0_NS1_11comp_targetILNS1_3genE9ELNS1_11target_archE1100ELNS1_3gpuE3ELNS1_3repE0EEENS1_30default_config_static_selectorELNS0_4arch9wavefront6targetE1EEEvSK_.has_dyn_sized_stack, 0
	.set _ZN7rocprim17ROCPRIM_400000_NS6detail17trampoline_kernelINS0_14default_configENS1_22reduce_config_selectorIN6thrust23THRUST_200600_302600_NS5tupleIblNS6_9null_typeES8_S8_S8_S8_S8_S8_S8_EEEEZNS1_11reduce_implILb1ES3_PS9_SC_S9_NS6_11hip_rocprim9__find_if7functorIS9_EEEE10hipError_tPvRmT1_T2_T3_mT4_P12ihipStream_tbEUlT_E0_NS1_11comp_targetILNS1_3genE9ELNS1_11target_archE1100ELNS1_3gpuE3ELNS1_3repE0EEENS1_30default_config_static_selectorELNS0_4arch9wavefront6targetE1EEEvSK_.has_recursion, 0
	.set _ZN7rocprim17ROCPRIM_400000_NS6detail17trampoline_kernelINS0_14default_configENS1_22reduce_config_selectorIN6thrust23THRUST_200600_302600_NS5tupleIblNS6_9null_typeES8_S8_S8_S8_S8_S8_S8_EEEEZNS1_11reduce_implILb1ES3_PS9_SC_S9_NS6_11hip_rocprim9__find_if7functorIS9_EEEE10hipError_tPvRmT1_T2_T3_mT4_P12ihipStream_tbEUlT_E0_NS1_11comp_targetILNS1_3genE9ELNS1_11target_archE1100ELNS1_3gpuE3ELNS1_3repE0EEENS1_30default_config_static_selectorELNS0_4arch9wavefront6targetE1EEEvSK_.has_indirect_call, 0
	.section	.AMDGPU.csdata,"",@progbits
; Kernel info:
; codeLenInByte = 0
; TotalNumSgprs: 4
; NumVgprs: 0
; ScratchSize: 0
; MemoryBound: 0
; FloatMode: 240
; IeeeMode: 1
; LDSByteSize: 0 bytes/workgroup (compile time only)
; SGPRBlocks: 0
; VGPRBlocks: 0
; NumSGPRsForWavesPerEU: 4
; NumVGPRsForWavesPerEU: 1
; Occupancy: 10
; WaveLimiterHint : 0
; COMPUTE_PGM_RSRC2:SCRATCH_EN: 0
; COMPUTE_PGM_RSRC2:USER_SGPR: 6
; COMPUTE_PGM_RSRC2:TRAP_HANDLER: 0
; COMPUTE_PGM_RSRC2:TGID_X_EN: 1
; COMPUTE_PGM_RSRC2:TGID_Y_EN: 0
; COMPUTE_PGM_RSRC2:TGID_Z_EN: 0
; COMPUTE_PGM_RSRC2:TIDIG_COMP_CNT: 0
	.section	.text._ZN7rocprim17ROCPRIM_400000_NS6detail17trampoline_kernelINS0_14default_configENS1_22reduce_config_selectorIN6thrust23THRUST_200600_302600_NS5tupleIblNS6_9null_typeES8_S8_S8_S8_S8_S8_S8_EEEEZNS1_11reduce_implILb1ES3_PS9_SC_S9_NS6_11hip_rocprim9__find_if7functorIS9_EEEE10hipError_tPvRmT1_T2_T3_mT4_P12ihipStream_tbEUlT_E0_NS1_11comp_targetILNS1_3genE8ELNS1_11target_archE1030ELNS1_3gpuE2ELNS1_3repE0EEENS1_30default_config_static_selectorELNS0_4arch9wavefront6targetE1EEEvSK_,"axG",@progbits,_ZN7rocprim17ROCPRIM_400000_NS6detail17trampoline_kernelINS0_14default_configENS1_22reduce_config_selectorIN6thrust23THRUST_200600_302600_NS5tupleIblNS6_9null_typeES8_S8_S8_S8_S8_S8_S8_EEEEZNS1_11reduce_implILb1ES3_PS9_SC_S9_NS6_11hip_rocprim9__find_if7functorIS9_EEEE10hipError_tPvRmT1_T2_T3_mT4_P12ihipStream_tbEUlT_E0_NS1_11comp_targetILNS1_3genE8ELNS1_11target_archE1030ELNS1_3gpuE2ELNS1_3repE0EEENS1_30default_config_static_selectorELNS0_4arch9wavefront6targetE1EEEvSK_,comdat
	.protected	_ZN7rocprim17ROCPRIM_400000_NS6detail17trampoline_kernelINS0_14default_configENS1_22reduce_config_selectorIN6thrust23THRUST_200600_302600_NS5tupleIblNS6_9null_typeES8_S8_S8_S8_S8_S8_S8_EEEEZNS1_11reduce_implILb1ES3_PS9_SC_S9_NS6_11hip_rocprim9__find_if7functorIS9_EEEE10hipError_tPvRmT1_T2_T3_mT4_P12ihipStream_tbEUlT_E0_NS1_11comp_targetILNS1_3genE8ELNS1_11target_archE1030ELNS1_3gpuE2ELNS1_3repE0EEENS1_30default_config_static_selectorELNS0_4arch9wavefront6targetE1EEEvSK_ ; -- Begin function _ZN7rocprim17ROCPRIM_400000_NS6detail17trampoline_kernelINS0_14default_configENS1_22reduce_config_selectorIN6thrust23THRUST_200600_302600_NS5tupleIblNS6_9null_typeES8_S8_S8_S8_S8_S8_S8_EEEEZNS1_11reduce_implILb1ES3_PS9_SC_S9_NS6_11hip_rocprim9__find_if7functorIS9_EEEE10hipError_tPvRmT1_T2_T3_mT4_P12ihipStream_tbEUlT_E0_NS1_11comp_targetILNS1_3genE8ELNS1_11target_archE1030ELNS1_3gpuE2ELNS1_3repE0EEENS1_30default_config_static_selectorELNS0_4arch9wavefront6targetE1EEEvSK_
	.globl	_ZN7rocprim17ROCPRIM_400000_NS6detail17trampoline_kernelINS0_14default_configENS1_22reduce_config_selectorIN6thrust23THRUST_200600_302600_NS5tupleIblNS6_9null_typeES8_S8_S8_S8_S8_S8_S8_EEEEZNS1_11reduce_implILb1ES3_PS9_SC_S9_NS6_11hip_rocprim9__find_if7functorIS9_EEEE10hipError_tPvRmT1_T2_T3_mT4_P12ihipStream_tbEUlT_E0_NS1_11comp_targetILNS1_3genE8ELNS1_11target_archE1030ELNS1_3gpuE2ELNS1_3repE0EEENS1_30default_config_static_selectorELNS0_4arch9wavefront6targetE1EEEvSK_
	.p2align	8
	.type	_ZN7rocprim17ROCPRIM_400000_NS6detail17trampoline_kernelINS0_14default_configENS1_22reduce_config_selectorIN6thrust23THRUST_200600_302600_NS5tupleIblNS6_9null_typeES8_S8_S8_S8_S8_S8_S8_EEEEZNS1_11reduce_implILb1ES3_PS9_SC_S9_NS6_11hip_rocprim9__find_if7functorIS9_EEEE10hipError_tPvRmT1_T2_T3_mT4_P12ihipStream_tbEUlT_E0_NS1_11comp_targetILNS1_3genE8ELNS1_11target_archE1030ELNS1_3gpuE2ELNS1_3repE0EEENS1_30default_config_static_selectorELNS0_4arch9wavefront6targetE1EEEvSK_,@function
_ZN7rocprim17ROCPRIM_400000_NS6detail17trampoline_kernelINS0_14default_configENS1_22reduce_config_selectorIN6thrust23THRUST_200600_302600_NS5tupleIblNS6_9null_typeES8_S8_S8_S8_S8_S8_S8_EEEEZNS1_11reduce_implILb1ES3_PS9_SC_S9_NS6_11hip_rocprim9__find_if7functorIS9_EEEE10hipError_tPvRmT1_T2_T3_mT4_P12ihipStream_tbEUlT_E0_NS1_11comp_targetILNS1_3genE8ELNS1_11target_archE1030ELNS1_3gpuE2ELNS1_3repE0EEENS1_30default_config_static_selectorELNS0_4arch9wavefront6targetE1EEEvSK_: ; @_ZN7rocprim17ROCPRIM_400000_NS6detail17trampoline_kernelINS0_14default_configENS1_22reduce_config_selectorIN6thrust23THRUST_200600_302600_NS5tupleIblNS6_9null_typeES8_S8_S8_S8_S8_S8_S8_EEEEZNS1_11reduce_implILb1ES3_PS9_SC_S9_NS6_11hip_rocprim9__find_if7functorIS9_EEEE10hipError_tPvRmT1_T2_T3_mT4_P12ihipStream_tbEUlT_E0_NS1_11comp_targetILNS1_3genE8ELNS1_11target_archE1030ELNS1_3gpuE2ELNS1_3repE0EEENS1_30default_config_static_selectorELNS0_4arch9wavefront6targetE1EEEvSK_
; %bb.0:
	.section	.rodata,"a",@progbits
	.p2align	6, 0x0
	.amdhsa_kernel _ZN7rocprim17ROCPRIM_400000_NS6detail17trampoline_kernelINS0_14default_configENS1_22reduce_config_selectorIN6thrust23THRUST_200600_302600_NS5tupleIblNS6_9null_typeES8_S8_S8_S8_S8_S8_S8_EEEEZNS1_11reduce_implILb1ES3_PS9_SC_S9_NS6_11hip_rocprim9__find_if7functorIS9_EEEE10hipError_tPvRmT1_T2_T3_mT4_P12ihipStream_tbEUlT_E0_NS1_11comp_targetILNS1_3genE8ELNS1_11target_archE1030ELNS1_3gpuE2ELNS1_3repE0EEENS1_30default_config_static_selectorELNS0_4arch9wavefront6targetE1EEEvSK_
		.amdhsa_group_segment_fixed_size 0
		.amdhsa_private_segment_fixed_size 0
		.amdhsa_kernarg_size 72
		.amdhsa_user_sgpr_count 6
		.amdhsa_user_sgpr_private_segment_buffer 1
		.amdhsa_user_sgpr_dispatch_ptr 0
		.amdhsa_user_sgpr_queue_ptr 0
		.amdhsa_user_sgpr_kernarg_segment_ptr 1
		.amdhsa_user_sgpr_dispatch_id 0
		.amdhsa_user_sgpr_flat_scratch_init 0
		.amdhsa_user_sgpr_private_segment_size 0
		.amdhsa_uses_dynamic_stack 0
		.amdhsa_system_sgpr_private_segment_wavefront_offset 0
		.amdhsa_system_sgpr_workgroup_id_x 1
		.amdhsa_system_sgpr_workgroup_id_y 0
		.amdhsa_system_sgpr_workgroup_id_z 0
		.amdhsa_system_sgpr_workgroup_info 0
		.amdhsa_system_vgpr_workitem_id 0
		.amdhsa_next_free_vgpr 1
		.amdhsa_next_free_sgpr 0
		.amdhsa_reserve_vcc 0
		.amdhsa_reserve_flat_scratch 0
		.amdhsa_float_round_mode_32 0
		.amdhsa_float_round_mode_16_64 0
		.amdhsa_float_denorm_mode_32 3
		.amdhsa_float_denorm_mode_16_64 3
		.amdhsa_dx10_clamp 1
		.amdhsa_ieee_mode 1
		.amdhsa_fp16_overflow 0
		.amdhsa_exception_fp_ieee_invalid_op 0
		.amdhsa_exception_fp_denorm_src 0
		.amdhsa_exception_fp_ieee_div_zero 0
		.amdhsa_exception_fp_ieee_overflow 0
		.amdhsa_exception_fp_ieee_underflow 0
		.amdhsa_exception_fp_ieee_inexact 0
		.amdhsa_exception_int_div_zero 0
	.end_amdhsa_kernel
	.section	.text._ZN7rocprim17ROCPRIM_400000_NS6detail17trampoline_kernelINS0_14default_configENS1_22reduce_config_selectorIN6thrust23THRUST_200600_302600_NS5tupleIblNS6_9null_typeES8_S8_S8_S8_S8_S8_S8_EEEEZNS1_11reduce_implILb1ES3_PS9_SC_S9_NS6_11hip_rocprim9__find_if7functorIS9_EEEE10hipError_tPvRmT1_T2_T3_mT4_P12ihipStream_tbEUlT_E0_NS1_11comp_targetILNS1_3genE8ELNS1_11target_archE1030ELNS1_3gpuE2ELNS1_3repE0EEENS1_30default_config_static_selectorELNS0_4arch9wavefront6targetE1EEEvSK_,"axG",@progbits,_ZN7rocprim17ROCPRIM_400000_NS6detail17trampoline_kernelINS0_14default_configENS1_22reduce_config_selectorIN6thrust23THRUST_200600_302600_NS5tupleIblNS6_9null_typeES8_S8_S8_S8_S8_S8_S8_EEEEZNS1_11reduce_implILb1ES3_PS9_SC_S9_NS6_11hip_rocprim9__find_if7functorIS9_EEEE10hipError_tPvRmT1_T2_T3_mT4_P12ihipStream_tbEUlT_E0_NS1_11comp_targetILNS1_3genE8ELNS1_11target_archE1030ELNS1_3gpuE2ELNS1_3repE0EEENS1_30default_config_static_selectorELNS0_4arch9wavefront6targetE1EEEvSK_,comdat
.Lfunc_end44:
	.size	_ZN7rocprim17ROCPRIM_400000_NS6detail17trampoline_kernelINS0_14default_configENS1_22reduce_config_selectorIN6thrust23THRUST_200600_302600_NS5tupleIblNS6_9null_typeES8_S8_S8_S8_S8_S8_S8_EEEEZNS1_11reduce_implILb1ES3_PS9_SC_S9_NS6_11hip_rocprim9__find_if7functorIS9_EEEE10hipError_tPvRmT1_T2_T3_mT4_P12ihipStream_tbEUlT_E0_NS1_11comp_targetILNS1_3genE8ELNS1_11target_archE1030ELNS1_3gpuE2ELNS1_3repE0EEENS1_30default_config_static_selectorELNS0_4arch9wavefront6targetE1EEEvSK_, .Lfunc_end44-_ZN7rocprim17ROCPRIM_400000_NS6detail17trampoline_kernelINS0_14default_configENS1_22reduce_config_selectorIN6thrust23THRUST_200600_302600_NS5tupleIblNS6_9null_typeES8_S8_S8_S8_S8_S8_S8_EEEEZNS1_11reduce_implILb1ES3_PS9_SC_S9_NS6_11hip_rocprim9__find_if7functorIS9_EEEE10hipError_tPvRmT1_T2_T3_mT4_P12ihipStream_tbEUlT_E0_NS1_11comp_targetILNS1_3genE8ELNS1_11target_archE1030ELNS1_3gpuE2ELNS1_3repE0EEENS1_30default_config_static_selectorELNS0_4arch9wavefront6targetE1EEEvSK_
                                        ; -- End function
	.set _ZN7rocprim17ROCPRIM_400000_NS6detail17trampoline_kernelINS0_14default_configENS1_22reduce_config_selectorIN6thrust23THRUST_200600_302600_NS5tupleIblNS6_9null_typeES8_S8_S8_S8_S8_S8_S8_EEEEZNS1_11reduce_implILb1ES3_PS9_SC_S9_NS6_11hip_rocprim9__find_if7functorIS9_EEEE10hipError_tPvRmT1_T2_T3_mT4_P12ihipStream_tbEUlT_E0_NS1_11comp_targetILNS1_3genE8ELNS1_11target_archE1030ELNS1_3gpuE2ELNS1_3repE0EEENS1_30default_config_static_selectorELNS0_4arch9wavefront6targetE1EEEvSK_.num_vgpr, 0
	.set _ZN7rocprim17ROCPRIM_400000_NS6detail17trampoline_kernelINS0_14default_configENS1_22reduce_config_selectorIN6thrust23THRUST_200600_302600_NS5tupleIblNS6_9null_typeES8_S8_S8_S8_S8_S8_S8_EEEEZNS1_11reduce_implILb1ES3_PS9_SC_S9_NS6_11hip_rocprim9__find_if7functorIS9_EEEE10hipError_tPvRmT1_T2_T3_mT4_P12ihipStream_tbEUlT_E0_NS1_11comp_targetILNS1_3genE8ELNS1_11target_archE1030ELNS1_3gpuE2ELNS1_3repE0EEENS1_30default_config_static_selectorELNS0_4arch9wavefront6targetE1EEEvSK_.num_agpr, 0
	.set _ZN7rocprim17ROCPRIM_400000_NS6detail17trampoline_kernelINS0_14default_configENS1_22reduce_config_selectorIN6thrust23THRUST_200600_302600_NS5tupleIblNS6_9null_typeES8_S8_S8_S8_S8_S8_S8_EEEEZNS1_11reduce_implILb1ES3_PS9_SC_S9_NS6_11hip_rocprim9__find_if7functorIS9_EEEE10hipError_tPvRmT1_T2_T3_mT4_P12ihipStream_tbEUlT_E0_NS1_11comp_targetILNS1_3genE8ELNS1_11target_archE1030ELNS1_3gpuE2ELNS1_3repE0EEENS1_30default_config_static_selectorELNS0_4arch9wavefront6targetE1EEEvSK_.numbered_sgpr, 0
	.set _ZN7rocprim17ROCPRIM_400000_NS6detail17trampoline_kernelINS0_14default_configENS1_22reduce_config_selectorIN6thrust23THRUST_200600_302600_NS5tupleIblNS6_9null_typeES8_S8_S8_S8_S8_S8_S8_EEEEZNS1_11reduce_implILb1ES3_PS9_SC_S9_NS6_11hip_rocprim9__find_if7functorIS9_EEEE10hipError_tPvRmT1_T2_T3_mT4_P12ihipStream_tbEUlT_E0_NS1_11comp_targetILNS1_3genE8ELNS1_11target_archE1030ELNS1_3gpuE2ELNS1_3repE0EEENS1_30default_config_static_selectorELNS0_4arch9wavefront6targetE1EEEvSK_.num_named_barrier, 0
	.set _ZN7rocprim17ROCPRIM_400000_NS6detail17trampoline_kernelINS0_14default_configENS1_22reduce_config_selectorIN6thrust23THRUST_200600_302600_NS5tupleIblNS6_9null_typeES8_S8_S8_S8_S8_S8_S8_EEEEZNS1_11reduce_implILb1ES3_PS9_SC_S9_NS6_11hip_rocprim9__find_if7functorIS9_EEEE10hipError_tPvRmT1_T2_T3_mT4_P12ihipStream_tbEUlT_E0_NS1_11comp_targetILNS1_3genE8ELNS1_11target_archE1030ELNS1_3gpuE2ELNS1_3repE0EEENS1_30default_config_static_selectorELNS0_4arch9wavefront6targetE1EEEvSK_.private_seg_size, 0
	.set _ZN7rocprim17ROCPRIM_400000_NS6detail17trampoline_kernelINS0_14default_configENS1_22reduce_config_selectorIN6thrust23THRUST_200600_302600_NS5tupleIblNS6_9null_typeES8_S8_S8_S8_S8_S8_S8_EEEEZNS1_11reduce_implILb1ES3_PS9_SC_S9_NS6_11hip_rocprim9__find_if7functorIS9_EEEE10hipError_tPvRmT1_T2_T3_mT4_P12ihipStream_tbEUlT_E0_NS1_11comp_targetILNS1_3genE8ELNS1_11target_archE1030ELNS1_3gpuE2ELNS1_3repE0EEENS1_30default_config_static_selectorELNS0_4arch9wavefront6targetE1EEEvSK_.uses_vcc, 0
	.set _ZN7rocprim17ROCPRIM_400000_NS6detail17trampoline_kernelINS0_14default_configENS1_22reduce_config_selectorIN6thrust23THRUST_200600_302600_NS5tupleIblNS6_9null_typeES8_S8_S8_S8_S8_S8_S8_EEEEZNS1_11reduce_implILb1ES3_PS9_SC_S9_NS6_11hip_rocprim9__find_if7functorIS9_EEEE10hipError_tPvRmT1_T2_T3_mT4_P12ihipStream_tbEUlT_E0_NS1_11comp_targetILNS1_3genE8ELNS1_11target_archE1030ELNS1_3gpuE2ELNS1_3repE0EEENS1_30default_config_static_selectorELNS0_4arch9wavefront6targetE1EEEvSK_.uses_flat_scratch, 0
	.set _ZN7rocprim17ROCPRIM_400000_NS6detail17trampoline_kernelINS0_14default_configENS1_22reduce_config_selectorIN6thrust23THRUST_200600_302600_NS5tupleIblNS6_9null_typeES8_S8_S8_S8_S8_S8_S8_EEEEZNS1_11reduce_implILb1ES3_PS9_SC_S9_NS6_11hip_rocprim9__find_if7functorIS9_EEEE10hipError_tPvRmT1_T2_T3_mT4_P12ihipStream_tbEUlT_E0_NS1_11comp_targetILNS1_3genE8ELNS1_11target_archE1030ELNS1_3gpuE2ELNS1_3repE0EEENS1_30default_config_static_selectorELNS0_4arch9wavefront6targetE1EEEvSK_.has_dyn_sized_stack, 0
	.set _ZN7rocprim17ROCPRIM_400000_NS6detail17trampoline_kernelINS0_14default_configENS1_22reduce_config_selectorIN6thrust23THRUST_200600_302600_NS5tupleIblNS6_9null_typeES8_S8_S8_S8_S8_S8_S8_EEEEZNS1_11reduce_implILb1ES3_PS9_SC_S9_NS6_11hip_rocprim9__find_if7functorIS9_EEEE10hipError_tPvRmT1_T2_T3_mT4_P12ihipStream_tbEUlT_E0_NS1_11comp_targetILNS1_3genE8ELNS1_11target_archE1030ELNS1_3gpuE2ELNS1_3repE0EEENS1_30default_config_static_selectorELNS0_4arch9wavefront6targetE1EEEvSK_.has_recursion, 0
	.set _ZN7rocprim17ROCPRIM_400000_NS6detail17trampoline_kernelINS0_14default_configENS1_22reduce_config_selectorIN6thrust23THRUST_200600_302600_NS5tupleIblNS6_9null_typeES8_S8_S8_S8_S8_S8_S8_EEEEZNS1_11reduce_implILb1ES3_PS9_SC_S9_NS6_11hip_rocprim9__find_if7functorIS9_EEEE10hipError_tPvRmT1_T2_T3_mT4_P12ihipStream_tbEUlT_E0_NS1_11comp_targetILNS1_3genE8ELNS1_11target_archE1030ELNS1_3gpuE2ELNS1_3repE0EEENS1_30default_config_static_selectorELNS0_4arch9wavefront6targetE1EEEvSK_.has_indirect_call, 0
	.section	.AMDGPU.csdata,"",@progbits
; Kernel info:
; codeLenInByte = 0
; TotalNumSgprs: 4
; NumVgprs: 0
; ScratchSize: 0
; MemoryBound: 0
; FloatMode: 240
; IeeeMode: 1
; LDSByteSize: 0 bytes/workgroup (compile time only)
; SGPRBlocks: 0
; VGPRBlocks: 0
; NumSGPRsForWavesPerEU: 4
; NumVGPRsForWavesPerEU: 1
; Occupancy: 10
; WaveLimiterHint : 0
; COMPUTE_PGM_RSRC2:SCRATCH_EN: 0
; COMPUTE_PGM_RSRC2:USER_SGPR: 6
; COMPUTE_PGM_RSRC2:TRAP_HANDLER: 0
; COMPUTE_PGM_RSRC2:TGID_X_EN: 1
; COMPUTE_PGM_RSRC2:TGID_Y_EN: 0
; COMPUTE_PGM_RSRC2:TGID_Z_EN: 0
; COMPUTE_PGM_RSRC2:TIDIG_COMP_CNT: 0
	.section	.text._ZN7rocprim17ROCPRIM_400000_NS6detail17trampoline_kernelINS0_14default_configENS1_22reduce_config_selectorIN6thrust23THRUST_200600_302600_NS5tupleIblNS6_9null_typeES8_S8_S8_S8_S8_S8_S8_EEEEZNS1_11reduce_implILb1ES3_PS9_SC_S9_NS6_11hip_rocprim9__find_if7functorIS9_EEEE10hipError_tPvRmT1_T2_T3_mT4_P12ihipStream_tbEUlT_E1_NS1_11comp_targetILNS1_3genE0ELNS1_11target_archE4294967295ELNS1_3gpuE0ELNS1_3repE0EEENS1_30default_config_static_selectorELNS0_4arch9wavefront6targetE1EEEvSK_,"axG",@progbits,_ZN7rocprim17ROCPRIM_400000_NS6detail17trampoline_kernelINS0_14default_configENS1_22reduce_config_selectorIN6thrust23THRUST_200600_302600_NS5tupleIblNS6_9null_typeES8_S8_S8_S8_S8_S8_S8_EEEEZNS1_11reduce_implILb1ES3_PS9_SC_S9_NS6_11hip_rocprim9__find_if7functorIS9_EEEE10hipError_tPvRmT1_T2_T3_mT4_P12ihipStream_tbEUlT_E1_NS1_11comp_targetILNS1_3genE0ELNS1_11target_archE4294967295ELNS1_3gpuE0ELNS1_3repE0EEENS1_30default_config_static_selectorELNS0_4arch9wavefront6targetE1EEEvSK_,comdat
	.protected	_ZN7rocprim17ROCPRIM_400000_NS6detail17trampoline_kernelINS0_14default_configENS1_22reduce_config_selectorIN6thrust23THRUST_200600_302600_NS5tupleIblNS6_9null_typeES8_S8_S8_S8_S8_S8_S8_EEEEZNS1_11reduce_implILb1ES3_PS9_SC_S9_NS6_11hip_rocprim9__find_if7functorIS9_EEEE10hipError_tPvRmT1_T2_T3_mT4_P12ihipStream_tbEUlT_E1_NS1_11comp_targetILNS1_3genE0ELNS1_11target_archE4294967295ELNS1_3gpuE0ELNS1_3repE0EEENS1_30default_config_static_selectorELNS0_4arch9wavefront6targetE1EEEvSK_ ; -- Begin function _ZN7rocprim17ROCPRIM_400000_NS6detail17trampoline_kernelINS0_14default_configENS1_22reduce_config_selectorIN6thrust23THRUST_200600_302600_NS5tupleIblNS6_9null_typeES8_S8_S8_S8_S8_S8_S8_EEEEZNS1_11reduce_implILb1ES3_PS9_SC_S9_NS6_11hip_rocprim9__find_if7functorIS9_EEEE10hipError_tPvRmT1_T2_T3_mT4_P12ihipStream_tbEUlT_E1_NS1_11comp_targetILNS1_3genE0ELNS1_11target_archE4294967295ELNS1_3gpuE0ELNS1_3repE0EEENS1_30default_config_static_selectorELNS0_4arch9wavefront6targetE1EEEvSK_
	.globl	_ZN7rocprim17ROCPRIM_400000_NS6detail17trampoline_kernelINS0_14default_configENS1_22reduce_config_selectorIN6thrust23THRUST_200600_302600_NS5tupleIblNS6_9null_typeES8_S8_S8_S8_S8_S8_S8_EEEEZNS1_11reduce_implILb1ES3_PS9_SC_S9_NS6_11hip_rocprim9__find_if7functorIS9_EEEE10hipError_tPvRmT1_T2_T3_mT4_P12ihipStream_tbEUlT_E1_NS1_11comp_targetILNS1_3genE0ELNS1_11target_archE4294967295ELNS1_3gpuE0ELNS1_3repE0EEENS1_30default_config_static_selectorELNS0_4arch9wavefront6targetE1EEEvSK_
	.p2align	8
	.type	_ZN7rocprim17ROCPRIM_400000_NS6detail17trampoline_kernelINS0_14default_configENS1_22reduce_config_selectorIN6thrust23THRUST_200600_302600_NS5tupleIblNS6_9null_typeES8_S8_S8_S8_S8_S8_S8_EEEEZNS1_11reduce_implILb1ES3_PS9_SC_S9_NS6_11hip_rocprim9__find_if7functorIS9_EEEE10hipError_tPvRmT1_T2_T3_mT4_P12ihipStream_tbEUlT_E1_NS1_11comp_targetILNS1_3genE0ELNS1_11target_archE4294967295ELNS1_3gpuE0ELNS1_3repE0EEENS1_30default_config_static_selectorELNS0_4arch9wavefront6targetE1EEEvSK_,@function
_ZN7rocprim17ROCPRIM_400000_NS6detail17trampoline_kernelINS0_14default_configENS1_22reduce_config_selectorIN6thrust23THRUST_200600_302600_NS5tupleIblNS6_9null_typeES8_S8_S8_S8_S8_S8_S8_EEEEZNS1_11reduce_implILb1ES3_PS9_SC_S9_NS6_11hip_rocprim9__find_if7functorIS9_EEEE10hipError_tPvRmT1_T2_T3_mT4_P12ihipStream_tbEUlT_E1_NS1_11comp_targetILNS1_3genE0ELNS1_11target_archE4294967295ELNS1_3gpuE0ELNS1_3repE0EEENS1_30default_config_static_selectorELNS0_4arch9wavefront6targetE1EEEvSK_: ; @_ZN7rocprim17ROCPRIM_400000_NS6detail17trampoline_kernelINS0_14default_configENS1_22reduce_config_selectorIN6thrust23THRUST_200600_302600_NS5tupleIblNS6_9null_typeES8_S8_S8_S8_S8_S8_S8_EEEEZNS1_11reduce_implILb1ES3_PS9_SC_S9_NS6_11hip_rocprim9__find_if7functorIS9_EEEE10hipError_tPvRmT1_T2_T3_mT4_P12ihipStream_tbEUlT_E1_NS1_11comp_targetILNS1_3genE0ELNS1_11target_archE4294967295ELNS1_3gpuE0ELNS1_3repE0EEENS1_30default_config_static_selectorELNS0_4arch9wavefront6targetE1EEEvSK_
; %bb.0:
	.section	.rodata,"a",@progbits
	.p2align	6, 0x0
	.amdhsa_kernel _ZN7rocprim17ROCPRIM_400000_NS6detail17trampoline_kernelINS0_14default_configENS1_22reduce_config_selectorIN6thrust23THRUST_200600_302600_NS5tupleIblNS6_9null_typeES8_S8_S8_S8_S8_S8_S8_EEEEZNS1_11reduce_implILb1ES3_PS9_SC_S9_NS6_11hip_rocprim9__find_if7functorIS9_EEEE10hipError_tPvRmT1_T2_T3_mT4_P12ihipStream_tbEUlT_E1_NS1_11comp_targetILNS1_3genE0ELNS1_11target_archE4294967295ELNS1_3gpuE0ELNS1_3repE0EEENS1_30default_config_static_selectorELNS0_4arch9wavefront6targetE1EEEvSK_
		.amdhsa_group_segment_fixed_size 0
		.amdhsa_private_segment_fixed_size 0
		.amdhsa_kernarg_size 56
		.amdhsa_user_sgpr_count 6
		.amdhsa_user_sgpr_private_segment_buffer 1
		.amdhsa_user_sgpr_dispatch_ptr 0
		.amdhsa_user_sgpr_queue_ptr 0
		.amdhsa_user_sgpr_kernarg_segment_ptr 1
		.amdhsa_user_sgpr_dispatch_id 0
		.amdhsa_user_sgpr_flat_scratch_init 0
		.amdhsa_user_sgpr_private_segment_size 0
		.amdhsa_uses_dynamic_stack 0
		.amdhsa_system_sgpr_private_segment_wavefront_offset 0
		.amdhsa_system_sgpr_workgroup_id_x 1
		.amdhsa_system_sgpr_workgroup_id_y 0
		.amdhsa_system_sgpr_workgroup_id_z 0
		.amdhsa_system_sgpr_workgroup_info 0
		.amdhsa_system_vgpr_workitem_id 0
		.amdhsa_next_free_vgpr 1
		.amdhsa_next_free_sgpr 0
		.amdhsa_reserve_vcc 0
		.amdhsa_reserve_flat_scratch 0
		.amdhsa_float_round_mode_32 0
		.amdhsa_float_round_mode_16_64 0
		.amdhsa_float_denorm_mode_32 3
		.amdhsa_float_denorm_mode_16_64 3
		.amdhsa_dx10_clamp 1
		.amdhsa_ieee_mode 1
		.amdhsa_fp16_overflow 0
		.amdhsa_exception_fp_ieee_invalid_op 0
		.amdhsa_exception_fp_denorm_src 0
		.amdhsa_exception_fp_ieee_div_zero 0
		.amdhsa_exception_fp_ieee_overflow 0
		.amdhsa_exception_fp_ieee_underflow 0
		.amdhsa_exception_fp_ieee_inexact 0
		.amdhsa_exception_int_div_zero 0
	.end_amdhsa_kernel
	.section	.text._ZN7rocprim17ROCPRIM_400000_NS6detail17trampoline_kernelINS0_14default_configENS1_22reduce_config_selectorIN6thrust23THRUST_200600_302600_NS5tupleIblNS6_9null_typeES8_S8_S8_S8_S8_S8_S8_EEEEZNS1_11reduce_implILb1ES3_PS9_SC_S9_NS6_11hip_rocprim9__find_if7functorIS9_EEEE10hipError_tPvRmT1_T2_T3_mT4_P12ihipStream_tbEUlT_E1_NS1_11comp_targetILNS1_3genE0ELNS1_11target_archE4294967295ELNS1_3gpuE0ELNS1_3repE0EEENS1_30default_config_static_selectorELNS0_4arch9wavefront6targetE1EEEvSK_,"axG",@progbits,_ZN7rocprim17ROCPRIM_400000_NS6detail17trampoline_kernelINS0_14default_configENS1_22reduce_config_selectorIN6thrust23THRUST_200600_302600_NS5tupleIblNS6_9null_typeES8_S8_S8_S8_S8_S8_S8_EEEEZNS1_11reduce_implILb1ES3_PS9_SC_S9_NS6_11hip_rocprim9__find_if7functorIS9_EEEE10hipError_tPvRmT1_T2_T3_mT4_P12ihipStream_tbEUlT_E1_NS1_11comp_targetILNS1_3genE0ELNS1_11target_archE4294967295ELNS1_3gpuE0ELNS1_3repE0EEENS1_30default_config_static_selectorELNS0_4arch9wavefront6targetE1EEEvSK_,comdat
.Lfunc_end45:
	.size	_ZN7rocprim17ROCPRIM_400000_NS6detail17trampoline_kernelINS0_14default_configENS1_22reduce_config_selectorIN6thrust23THRUST_200600_302600_NS5tupleIblNS6_9null_typeES8_S8_S8_S8_S8_S8_S8_EEEEZNS1_11reduce_implILb1ES3_PS9_SC_S9_NS6_11hip_rocprim9__find_if7functorIS9_EEEE10hipError_tPvRmT1_T2_T3_mT4_P12ihipStream_tbEUlT_E1_NS1_11comp_targetILNS1_3genE0ELNS1_11target_archE4294967295ELNS1_3gpuE0ELNS1_3repE0EEENS1_30default_config_static_selectorELNS0_4arch9wavefront6targetE1EEEvSK_, .Lfunc_end45-_ZN7rocprim17ROCPRIM_400000_NS6detail17trampoline_kernelINS0_14default_configENS1_22reduce_config_selectorIN6thrust23THRUST_200600_302600_NS5tupleIblNS6_9null_typeES8_S8_S8_S8_S8_S8_S8_EEEEZNS1_11reduce_implILb1ES3_PS9_SC_S9_NS6_11hip_rocprim9__find_if7functorIS9_EEEE10hipError_tPvRmT1_T2_T3_mT4_P12ihipStream_tbEUlT_E1_NS1_11comp_targetILNS1_3genE0ELNS1_11target_archE4294967295ELNS1_3gpuE0ELNS1_3repE0EEENS1_30default_config_static_selectorELNS0_4arch9wavefront6targetE1EEEvSK_
                                        ; -- End function
	.set _ZN7rocprim17ROCPRIM_400000_NS6detail17trampoline_kernelINS0_14default_configENS1_22reduce_config_selectorIN6thrust23THRUST_200600_302600_NS5tupleIblNS6_9null_typeES8_S8_S8_S8_S8_S8_S8_EEEEZNS1_11reduce_implILb1ES3_PS9_SC_S9_NS6_11hip_rocprim9__find_if7functorIS9_EEEE10hipError_tPvRmT1_T2_T3_mT4_P12ihipStream_tbEUlT_E1_NS1_11comp_targetILNS1_3genE0ELNS1_11target_archE4294967295ELNS1_3gpuE0ELNS1_3repE0EEENS1_30default_config_static_selectorELNS0_4arch9wavefront6targetE1EEEvSK_.num_vgpr, 0
	.set _ZN7rocprim17ROCPRIM_400000_NS6detail17trampoline_kernelINS0_14default_configENS1_22reduce_config_selectorIN6thrust23THRUST_200600_302600_NS5tupleIblNS6_9null_typeES8_S8_S8_S8_S8_S8_S8_EEEEZNS1_11reduce_implILb1ES3_PS9_SC_S9_NS6_11hip_rocprim9__find_if7functorIS9_EEEE10hipError_tPvRmT1_T2_T3_mT4_P12ihipStream_tbEUlT_E1_NS1_11comp_targetILNS1_3genE0ELNS1_11target_archE4294967295ELNS1_3gpuE0ELNS1_3repE0EEENS1_30default_config_static_selectorELNS0_4arch9wavefront6targetE1EEEvSK_.num_agpr, 0
	.set _ZN7rocprim17ROCPRIM_400000_NS6detail17trampoline_kernelINS0_14default_configENS1_22reduce_config_selectorIN6thrust23THRUST_200600_302600_NS5tupleIblNS6_9null_typeES8_S8_S8_S8_S8_S8_S8_EEEEZNS1_11reduce_implILb1ES3_PS9_SC_S9_NS6_11hip_rocprim9__find_if7functorIS9_EEEE10hipError_tPvRmT1_T2_T3_mT4_P12ihipStream_tbEUlT_E1_NS1_11comp_targetILNS1_3genE0ELNS1_11target_archE4294967295ELNS1_3gpuE0ELNS1_3repE0EEENS1_30default_config_static_selectorELNS0_4arch9wavefront6targetE1EEEvSK_.numbered_sgpr, 0
	.set _ZN7rocprim17ROCPRIM_400000_NS6detail17trampoline_kernelINS0_14default_configENS1_22reduce_config_selectorIN6thrust23THRUST_200600_302600_NS5tupleIblNS6_9null_typeES8_S8_S8_S8_S8_S8_S8_EEEEZNS1_11reduce_implILb1ES3_PS9_SC_S9_NS6_11hip_rocprim9__find_if7functorIS9_EEEE10hipError_tPvRmT1_T2_T3_mT4_P12ihipStream_tbEUlT_E1_NS1_11comp_targetILNS1_3genE0ELNS1_11target_archE4294967295ELNS1_3gpuE0ELNS1_3repE0EEENS1_30default_config_static_selectorELNS0_4arch9wavefront6targetE1EEEvSK_.num_named_barrier, 0
	.set _ZN7rocprim17ROCPRIM_400000_NS6detail17trampoline_kernelINS0_14default_configENS1_22reduce_config_selectorIN6thrust23THRUST_200600_302600_NS5tupleIblNS6_9null_typeES8_S8_S8_S8_S8_S8_S8_EEEEZNS1_11reduce_implILb1ES3_PS9_SC_S9_NS6_11hip_rocprim9__find_if7functorIS9_EEEE10hipError_tPvRmT1_T2_T3_mT4_P12ihipStream_tbEUlT_E1_NS1_11comp_targetILNS1_3genE0ELNS1_11target_archE4294967295ELNS1_3gpuE0ELNS1_3repE0EEENS1_30default_config_static_selectorELNS0_4arch9wavefront6targetE1EEEvSK_.private_seg_size, 0
	.set _ZN7rocprim17ROCPRIM_400000_NS6detail17trampoline_kernelINS0_14default_configENS1_22reduce_config_selectorIN6thrust23THRUST_200600_302600_NS5tupleIblNS6_9null_typeES8_S8_S8_S8_S8_S8_S8_EEEEZNS1_11reduce_implILb1ES3_PS9_SC_S9_NS6_11hip_rocprim9__find_if7functorIS9_EEEE10hipError_tPvRmT1_T2_T3_mT4_P12ihipStream_tbEUlT_E1_NS1_11comp_targetILNS1_3genE0ELNS1_11target_archE4294967295ELNS1_3gpuE0ELNS1_3repE0EEENS1_30default_config_static_selectorELNS0_4arch9wavefront6targetE1EEEvSK_.uses_vcc, 0
	.set _ZN7rocprim17ROCPRIM_400000_NS6detail17trampoline_kernelINS0_14default_configENS1_22reduce_config_selectorIN6thrust23THRUST_200600_302600_NS5tupleIblNS6_9null_typeES8_S8_S8_S8_S8_S8_S8_EEEEZNS1_11reduce_implILb1ES3_PS9_SC_S9_NS6_11hip_rocprim9__find_if7functorIS9_EEEE10hipError_tPvRmT1_T2_T3_mT4_P12ihipStream_tbEUlT_E1_NS1_11comp_targetILNS1_3genE0ELNS1_11target_archE4294967295ELNS1_3gpuE0ELNS1_3repE0EEENS1_30default_config_static_selectorELNS0_4arch9wavefront6targetE1EEEvSK_.uses_flat_scratch, 0
	.set _ZN7rocprim17ROCPRIM_400000_NS6detail17trampoline_kernelINS0_14default_configENS1_22reduce_config_selectorIN6thrust23THRUST_200600_302600_NS5tupleIblNS6_9null_typeES8_S8_S8_S8_S8_S8_S8_EEEEZNS1_11reduce_implILb1ES3_PS9_SC_S9_NS6_11hip_rocprim9__find_if7functorIS9_EEEE10hipError_tPvRmT1_T2_T3_mT4_P12ihipStream_tbEUlT_E1_NS1_11comp_targetILNS1_3genE0ELNS1_11target_archE4294967295ELNS1_3gpuE0ELNS1_3repE0EEENS1_30default_config_static_selectorELNS0_4arch9wavefront6targetE1EEEvSK_.has_dyn_sized_stack, 0
	.set _ZN7rocprim17ROCPRIM_400000_NS6detail17trampoline_kernelINS0_14default_configENS1_22reduce_config_selectorIN6thrust23THRUST_200600_302600_NS5tupleIblNS6_9null_typeES8_S8_S8_S8_S8_S8_S8_EEEEZNS1_11reduce_implILb1ES3_PS9_SC_S9_NS6_11hip_rocprim9__find_if7functorIS9_EEEE10hipError_tPvRmT1_T2_T3_mT4_P12ihipStream_tbEUlT_E1_NS1_11comp_targetILNS1_3genE0ELNS1_11target_archE4294967295ELNS1_3gpuE0ELNS1_3repE0EEENS1_30default_config_static_selectorELNS0_4arch9wavefront6targetE1EEEvSK_.has_recursion, 0
	.set _ZN7rocprim17ROCPRIM_400000_NS6detail17trampoline_kernelINS0_14default_configENS1_22reduce_config_selectorIN6thrust23THRUST_200600_302600_NS5tupleIblNS6_9null_typeES8_S8_S8_S8_S8_S8_S8_EEEEZNS1_11reduce_implILb1ES3_PS9_SC_S9_NS6_11hip_rocprim9__find_if7functorIS9_EEEE10hipError_tPvRmT1_T2_T3_mT4_P12ihipStream_tbEUlT_E1_NS1_11comp_targetILNS1_3genE0ELNS1_11target_archE4294967295ELNS1_3gpuE0ELNS1_3repE0EEENS1_30default_config_static_selectorELNS0_4arch9wavefront6targetE1EEEvSK_.has_indirect_call, 0
	.section	.AMDGPU.csdata,"",@progbits
; Kernel info:
; codeLenInByte = 0
; TotalNumSgprs: 4
; NumVgprs: 0
; ScratchSize: 0
; MemoryBound: 0
; FloatMode: 240
; IeeeMode: 1
; LDSByteSize: 0 bytes/workgroup (compile time only)
; SGPRBlocks: 0
; VGPRBlocks: 0
; NumSGPRsForWavesPerEU: 4
; NumVGPRsForWavesPerEU: 1
; Occupancy: 10
; WaveLimiterHint : 0
; COMPUTE_PGM_RSRC2:SCRATCH_EN: 0
; COMPUTE_PGM_RSRC2:USER_SGPR: 6
; COMPUTE_PGM_RSRC2:TRAP_HANDLER: 0
; COMPUTE_PGM_RSRC2:TGID_X_EN: 1
; COMPUTE_PGM_RSRC2:TGID_Y_EN: 0
; COMPUTE_PGM_RSRC2:TGID_Z_EN: 0
; COMPUTE_PGM_RSRC2:TIDIG_COMP_CNT: 0
	.section	.text._ZN7rocprim17ROCPRIM_400000_NS6detail17trampoline_kernelINS0_14default_configENS1_22reduce_config_selectorIN6thrust23THRUST_200600_302600_NS5tupleIblNS6_9null_typeES8_S8_S8_S8_S8_S8_S8_EEEEZNS1_11reduce_implILb1ES3_PS9_SC_S9_NS6_11hip_rocprim9__find_if7functorIS9_EEEE10hipError_tPvRmT1_T2_T3_mT4_P12ihipStream_tbEUlT_E1_NS1_11comp_targetILNS1_3genE5ELNS1_11target_archE942ELNS1_3gpuE9ELNS1_3repE0EEENS1_30default_config_static_selectorELNS0_4arch9wavefront6targetE1EEEvSK_,"axG",@progbits,_ZN7rocprim17ROCPRIM_400000_NS6detail17trampoline_kernelINS0_14default_configENS1_22reduce_config_selectorIN6thrust23THRUST_200600_302600_NS5tupleIblNS6_9null_typeES8_S8_S8_S8_S8_S8_S8_EEEEZNS1_11reduce_implILb1ES3_PS9_SC_S9_NS6_11hip_rocprim9__find_if7functorIS9_EEEE10hipError_tPvRmT1_T2_T3_mT4_P12ihipStream_tbEUlT_E1_NS1_11comp_targetILNS1_3genE5ELNS1_11target_archE942ELNS1_3gpuE9ELNS1_3repE0EEENS1_30default_config_static_selectorELNS0_4arch9wavefront6targetE1EEEvSK_,comdat
	.protected	_ZN7rocprim17ROCPRIM_400000_NS6detail17trampoline_kernelINS0_14default_configENS1_22reduce_config_selectorIN6thrust23THRUST_200600_302600_NS5tupleIblNS6_9null_typeES8_S8_S8_S8_S8_S8_S8_EEEEZNS1_11reduce_implILb1ES3_PS9_SC_S9_NS6_11hip_rocprim9__find_if7functorIS9_EEEE10hipError_tPvRmT1_T2_T3_mT4_P12ihipStream_tbEUlT_E1_NS1_11comp_targetILNS1_3genE5ELNS1_11target_archE942ELNS1_3gpuE9ELNS1_3repE0EEENS1_30default_config_static_selectorELNS0_4arch9wavefront6targetE1EEEvSK_ ; -- Begin function _ZN7rocprim17ROCPRIM_400000_NS6detail17trampoline_kernelINS0_14default_configENS1_22reduce_config_selectorIN6thrust23THRUST_200600_302600_NS5tupleIblNS6_9null_typeES8_S8_S8_S8_S8_S8_S8_EEEEZNS1_11reduce_implILb1ES3_PS9_SC_S9_NS6_11hip_rocprim9__find_if7functorIS9_EEEE10hipError_tPvRmT1_T2_T3_mT4_P12ihipStream_tbEUlT_E1_NS1_11comp_targetILNS1_3genE5ELNS1_11target_archE942ELNS1_3gpuE9ELNS1_3repE0EEENS1_30default_config_static_selectorELNS0_4arch9wavefront6targetE1EEEvSK_
	.globl	_ZN7rocprim17ROCPRIM_400000_NS6detail17trampoline_kernelINS0_14default_configENS1_22reduce_config_selectorIN6thrust23THRUST_200600_302600_NS5tupleIblNS6_9null_typeES8_S8_S8_S8_S8_S8_S8_EEEEZNS1_11reduce_implILb1ES3_PS9_SC_S9_NS6_11hip_rocprim9__find_if7functorIS9_EEEE10hipError_tPvRmT1_T2_T3_mT4_P12ihipStream_tbEUlT_E1_NS1_11comp_targetILNS1_3genE5ELNS1_11target_archE942ELNS1_3gpuE9ELNS1_3repE0EEENS1_30default_config_static_selectorELNS0_4arch9wavefront6targetE1EEEvSK_
	.p2align	8
	.type	_ZN7rocprim17ROCPRIM_400000_NS6detail17trampoline_kernelINS0_14default_configENS1_22reduce_config_selectorIN6thrust23THRUST_200600_302600_NS5tupleIblNS6_9null_typeES8_S8_S8_S8_S8_S8_S8_EEEEZNS1_11reduce_implILb1ES3_PS9_SC_S9_NS6_11hip_rocprim9__find_if7functorIS9_EEEE10hipError_tPvRmT1_T2_T3_mT4_P12ihipStream_tbEUlT_E1_NS1_11comp_targetILNS1_3genE5ELNS1_11target_archE942ELNS1_3gpuE9ELNS1_3repE0EEENS1_30default_config_static_selectorELNS0_4arch9wavefront6targetE1EEEvSK_,@function
_ZN7rocprim17ROCPRIM_400000_NS6detail17trampoline_kernelINS0_14default_configENS1_22reduce_config_selectorIN6thrust23THRUST_200600_302600_NS5tupleIblNS6_9null_typeES8_S8_S8_S8_S8_S8_S8_EEEEZNS1_11reduce_implILb1ES3_PS9_SC_S9_NS6_11hip_rocprim9__find_if7functorIS9_EEEE10hipError_tPvRmT1_T2_T3_mT4_P12ihipStream_tbEUlT_E1_NS1_11comp_targetILNS1_3genE5ELNS1_11target_archE942ELNS1_3gpuE9ELNS1_3repE0EEENS1_30default_config_static_selectorELNS0_4arch9wavefront6targetE1EEEvSK_: ; @_ZN7rocprim17ROCPRIM_400000_NS6detail17trampoline_kernelINS0_14default_configENS1_22reduce_config_selectorIN6thrust23THRUST_200600_302600_NS5tupleIblNS6_9null_typeES8_S8_S8_S8_S8_S8_S8_EEEEZNS1_11reduce_implILb1ES3_PS9_SC_S9_NS6_11hip_rocprim9__find_if7functorIS9_EEEE10hipError_tPvRmT1_T2_T3_mT4_P12ihipStream_tbEUlT_E1_NS1_11comp_targetILNS1_3genE5ELNS1_11target_archE942ELNS1_3gpuE9ELNS1_3repE0EEENS1_30default_config_static_selectorELNS0_4arch9wavefront6targetE1EEEvSK_
; %bb.0:
	.section	.rodata,"a",@progbits
	.p2align	6, 0x0
	.amdhsa_kernel _ZN7rocprim17ROCPRIM_400000_NS6detail17trampoline_kernelINS0_14default_configENS1_22reduce_config_selectorIN6thrust23THRUST_200600_302600_NS5tupleIblNS6_9null_typeES8_S8_S8_S8_S8_S8_S8_EEEEZNS1_11reduce_implILb1ES3_PS9_SC_S9_NS6_11hip_rocprim9__find_if7functorIS9_EEEE10hipError_tPvRmT1_T2_T3_mT4_P12ihipStream_tbEUlT_E1_NS1_11comp_targetILNS1_3genE5ELNS1_11target_archE942ELNS1_3gpuE9ELNS1_3repE0EEENS1_30default_config_static_selectorELNS0_4arch9wavefront6targetE1EEEvSK_
		.amdhsa_group_segment_fixed_size 0
		.amdhsa_private_segment_fixed_size 0
		.amdhsa_kernarg_size 56
		.amdhsa_user_sgpr_count 6
		.amdhsa_user_sgpr_private_segment_buffer 1
		.amdhsa_user_sgpr_dispatch_ptr 0
		.amdhsa_user_sgpr_queue_ptr 0
		.amdhsa_user_sgpr_kernarg_segment_ptr 1
		.amdhsa_user_sgpr_dispatch_id 0
		.amdhsa_user_sgpr_flat_scratch_init 0
		.amdhsa_user_sgpr_private_segment_size 0
		.amdhsa_uses_dynamic_stack 0
		.amdhsa_system_sgpr_private_segment_wavefront_offset 0
		.amdhsa_system_sgpr_workgroup_id_x 1
		.amdhsa_system_sgpr_workgroup_id_y 0
		.amdhsa_system_sgpr_workgroup_id_z 0
		.amdhsa_system_sgpr_workgroup_info 0
		.amdhsa_system_vgpr_workitem_id 0
		.amdhsa_next_free_vgpr 1
		.amdhsa_next_free_sgpr 0
		.amdhsa_reserve_vcc 0
		.amdhsa_reserve_flat_scratch 0
		.amdhsa_float_round_mode_32 0
		.amdhsa_float_round_mode_16_64 0
		.amdhsa_float_denorm_mode_32 3
		.amdhsa_float_denorm_mode_16_64 3
		.amdhsa_dx10_clamp 1
		.amdhsa_ieee_mode 1
		.amdhsa_fp16_overflow 0
		.amdhsa_exception_fp_ieee_invalid_op 0
		.amdhsa_exception_fp_denorm_src 0
		.amdhsa_exception_fp_ieee_div_zero 0
		.amdhsa_exception_fp_ieee_overflow 0
		.amdhsa_exception_fp_ieee_underflow 0
		.amdhsa_exception_fp_ieee_inexact 0
		.amdhsa_exception_int_div_zero 0
	.end_amdhsa_kernel
	.section	.text._ZN7rocprim17ROCPRIM_400000_NS6detail17trampoline_kernelINS0_14default_configENS1_22reduce_config_selectorIN6thrust23THRUST_200600_302600_NS5tupleIblNS6_9null_typeES8_S8_S8_S8_S8_S8_S8_EEEEZNS1_11reduce_implILb1ES3_PS9_SC_S9_NS6_11hip_rocprim9__find_if7functorIS9_EEEE10hipError_tPvRmT1_T2_T3_mT4_P12ihipStream_tbEUlT_E1_NS1_11comp_targetILNS1_3genE5ELNS1_11target_archE942ELNS1_3gpuE9ELNS1_3repE0EEENS1_30default_config_static_selectorELNS0_4arch9wavefront6targetE1EEEvSK_,"axG",@progbits,_ZN7rocprim17ROCPRIM_400000_NS6detail17trampoline_kernelINS0_14default_configENS1_22reduce_config_selectorIN6thrust23THRUST_200600_302600_NS5tupleIblNS6_9null_typeES8_S8_S8_S8_S8_S8_S8_EEEEZNS1_11reduce_implILb1ES3_PS9_SC_S9_NS6_11hip_rocprim9__find_if7functorIS9_EEEE10hipError_tPvRmT1_T2_T3_mT4_P12ihipStream_tbEUlT_E1_NS1_11comp_targetILNS1_3genE5ELNS1_11target_archE942ELNS1_3gpuE9ELNS1_3repE0EEENS1_30default_config_static_selectorELNS0_4arch9wavefront6targetE1EEEvSK_,comdat
.Lfunc_end46:
	.size	_ZN7rocprim17ROCPRIM_400000_NS6detail17trampoline_kernelINS0_14default_configENS1_22reduce_config_selectorIN6thrust23THRUST_200600_302600_NS5tupleIblNS6_9null_typeES8_S8_S8_S8_S8_S8_S8_EEEEZNS1_11reduce_implILb1ES3_PS9_SC_S9_NS6_11hip_rocprim9__find_if7functorIS9_EEEE10hipError_tPvRmT1_T2_T3_mT4_P12ihipStream_tbEUlT_E1_NS1_11comp_targetILNS1_3genE5ELNS1_11target_archE942ELNS1_3gpuE9ELNS1_3repE0EEENS1_30default_config_static_selectorELNS0_4arch9wavefront6targetE1EEEvSK_, .Lfunc_end46-_ZN7rocprim17ROCPRIM_400000_NS6detail17trampoline_kernelINS0_14default_configENS1_22reduce_config_selectorIN6thrust23THRUST_200600_302600_NS5tupleIblNS6_9null_typeES8_S8_S8_S8_S8_S8_S8_EEEEZNS1_11reduce_implILb1ES3_PS9_SC_S9_NS6_11hip_rocprim9__find_if7functorIS9_EEEE10hipError_tPvRmT1_T2_T3_mT4_P12ihipStream_tbEUlT_E1_NS1_11comp_targetILNS1_3genE5ELNS1_11target_archE942ELNS1_3gpuE9ELNS1_3repE0EEENS1_30default_config_static_selectorELNS0_4arch9wavefront6targetE1EEEvSK_
                                        ; -- End function
	.set _ZN7rocprim17ROCPRIM_400000_NS6detail17trampoline_kernelINS0_14default_configENS1_22reduce_config_selectorIN6thrust23THRUST_200600_302600_NS5tupleIblNS6_9null_typeES8_S8_S8_S8_S8_S8_S8_EEEEZNS1_11reduce_implILb1ES3_PS9_SC_S9_NS6_11hip_rocprim9__find_if7functorIS9_EEEE10hipError_tPvRmT1_T2_T3_mT4_P12ihipStream_tbEUlT_E1_NS1_11comp_targetILNS1_3genE5ELNS1_11target_archE942ELNS1_3gpuE9ELNS1_3repE0EEENS1_30default_config_static_selectorELNS0_4arch9wavefront6targetE1EEEvSK_.num_vgpr, 0
	.set _ZN7rocprim17ROCPRIM_400000_NS6detail17trampoline_kernelINS0_14default_configENS1_22reduce_config_selectorIN6thrust23THRUST_200600_302600_NS5tupleIblNS6_9null_typeES8_S8_S8_S8_S8_S8_S8_EEEEZNS1_11reduce_implILb1ES3_PS9_SC_S9_NS6_11hip_rocprim9__find_if7functorIS9_EEEE10hipError_tPvRmT1_T2_T3_mT4_P12ihipStream_tbEUlT_E1_NS1_11comp_targetILNS1_3genE5ELNS1_11target_archE942ELNS1_3gpuE9ELNS1_3repE0EEENS1_30default_config_static_selectorELNS0_4arch9wavefront6targetE1EEEvSK_.num_agpr, 0
	.set _ZN7rocprim17ROCPRIM_400000_NS6detail17trampoline_kernelINS0_14default_configENS1_22reduce_config_selectorIN6thrust23THRUST_200600_302600_NS5tupleIblNS6_9null_typeES8_S8_S8_S8_S8_S8_S8_EEEEZNS1_11reduce_implILb1ES3_PS9_SC_S9_NS6_11hip_rocprim9__find_if7functorIS9_EEEE10hipError_tPvRmT1_T2_T3_mT4_P12ihipStream_tbEUlT_E1_NS1_11comp_targetILNS1_3genE5ELNS1_11target_archE942ELNS1_3gpuE9ELNS1_3repE0EEENS1_30default_config_static_selectorELNS0_4arch9wavefront6targetE1EEEvSK_.numbered_sgpr, 0
	.set _ZN7rocprim17ROCPRIM_400000_NS6detail17trampoline_kernelINS0_14default_configENS1_22reduce_config_selectorIN6thrust23THRUST_200600_302600_NS5tupleIblNS6_9null_typeES8_S8_S8_S8_S8_S8_S8_EEEEZNS1_11reduce_implILb1ES3_PS9_SC_S9_NS6_11hip_rocprim9__find_if7functorIS9_EEEE10hipError_tPvRmT1_T2_T3_mT4_P12ihipStream_tbEUlT_E1_NS1_11comp_targetILNS1_3genE5ELNS1_11target_archE942ELNS1_3gpuE9ELNS1_3repE0EEENS1_30default_config_static_selectorELNS0_4arch9wavefront6targetE1EEEvSK_.num_named_barrier, 0
	.set _ZN7rocprim17ROCPRIM_400000_NS6detail17trampoline_kernelINS0_14default_configENS1_22reduce_config_selectorIN6thrust23THRUST_200600_302600_NS5tupleIblNS6_9null_typeES8_S8_S8_S8_S8_S8_S8_EEEEZNS1_11reduce_implILb1ES3_PS9_SC_S9_NS6_11hip_rocprim9__find_if7functorIS9_EEEE10hipError_tPvRmT1_T2_T3_mT4_P12ihipStream_tbEUlT_E1_NS1_11comp_targetILNS1_3genE5ELNS1_11target_archE942ELNS1_3gpuE9ELNS1_3repE0EEENS1_30default_config_static_selectorELNS0_4arch9wavefront6targetE1EEEvSK_.private_seg_size, 0
	.set _ZN7rocprim17ROCPRIM_400000_NS6detail17trampoline_kernelINS0_14default_configENS1_22reduce_config_selectorIN6thrust23THRUST_200600_302600_NS5tupleIblNS6_9null_typeES8_S8_S8_S8_S8_S8_S8_EEEEZNS1_11reduce_implILb1ES3_PS9_SC_S9_NS6_11hip_rocprim9__find_if7functorIS9_EEEE10hipError_tPvRmT1_T2_T3_mT4_P12ihipStream_tbEUlT_E1_NS1_11comp_targetILNS1_3genE5ELNS1_11target_archE942ELNS1_3gpuE9ELNS1_3repE0EEENS1_30default_config_static_selectorELNS0_4arch9wavefront6targetE1EEEvSK_.uses_vcc, 0
	.set _ZN7rocprim17ROCPRIM_400000_NS6detail17trampoline_kernelINS0_14default_configENS1_22reduce_config_selectorIN6thrust23THRUST_200600_302600_NS5tupleIblNS6_9null_typeES8_S8_S8_S8_S8_S8_S8_EEEEZNS1_11reduce_implILb1ES3_PS9_SC_S9_NS6_11hip_rocprim9__find_if7functorIS9_EEEE10hipError_tPvRmT1_T2_T3_mT4_P12ihipStream_tbEUlT_E1_NS1_11comp_targetILNS1_3genE5ELNS1_11target_archE942ELNS1_3gpuE9ELNS1_3repE0EEENS1_30default_config_static_selectorELNS0_4arch9wavefront6targetE1EEEvSK_.uses_flat_scratch, 0
	.set _ZN7rocprim17ROCPRIM_400000_NS6detail17trampoline_kernelINS0_14default_configENS1_22reduce_config_selectorIN6thrust23THRUST_200600_302600_NS5tupleIblNS6_9null_typeES8_S8_S8_S8_S8_S8_S8_EEEEZNS1_11reduce_implILb1ES3_PS9_SC_S9_NS6_11hip_rocprim9__find_if7functorIS9_EEEE10hipError_tPvRmT1_T2_T3_mT4_P12ihipStream_tbEUlT_E1_NS1_11comp_targetILNS1_3genE5ELNS1_11target_archE942ELNS1_3gpuE9ELNS1_3repE0EEENS1_30default_config_static_selectorELNS0_4arch9wavefront6targetE1EEEvSK_.has_dyn_sized_stack, 0
	.set _ZN7rocprim17ROCPRIM_400000_NS6detail17trampoline_kernelINS0_14default_configENS1_22reduce_config_selectorIN6thrust23THRUST_200600_302600_NS5tupleIblNS6_9null_typeES8_S8_S8_S8_S8_S8_S8_EEEEZNS1_11reduce_implILb1ES3_PS9_SC_S9_NS6_11hip_rocprim9__find_if7functorIS9_EEEE10hipError_tPvRmT1_T2_T3_mT4_P12ihipStream_tbEUlT_E1_NS1_11comp_targetILNS1_3genE5ELNS1_11target_archE942ELNS1_3gpuE9ELNS1_3repE0EEENS1_30default_config_static_selectorELNS0_4arch9wavefront6targetE1EEEvSK_.has_recursion, 0
	.set _ZN7rocprim17ROCPRIM_400000_NS6detail17trampoline_kernelINS0_14default_configENS1_22reduce_config_selectorIN6thrust23THRUST_200600_302600_NS5tupleIblNS6_9null_typeES8_S8_S8_S8_S8_S8_S8_EEEEZNS1_11reduce_implILb1ES3_PS9_SC_S9_NS6_11hip_rocprim9__find_if7functorIS9_EEEE10hipError_tPvRmT1_T2_T3_mT4_P12ihipStream_tbEUlT_E1_NS1_11comp_targetILNS1_3genE5ELNS1_11target_archE942ELNS1_3gpuE9ELNS1_3repE0EEENS1_30default_config_static_selectorELNS0_4arch9wavefront6targetE1EEEvSK_.has_indirect_call, 0
	.section	.AMDGPU.csdata,"",@progbits
; Kernel info:
; codeLenInByte = 0
; TotalNumSgprs: 4
; NumVgprs: 0
; ScratchSize: 0
; MemoryBound: 0
; FloatMode: 240
; IeeeMode: 1
; LDSByteSize: 0 bytes/workgroup (compile time only)
; SGPRBlocks: 0
; VGPRBlocks: 0
; NumSGPRsForWavesPerEU: 4
; NumVGPRsForWavesPerEU: 1
; Occupancy: 10
; WaveLimiterHint : 0
; COMPUTE_PGM_RSRC2:SCRATCH_EN: 0
; COMPUTE_PGM_RSRC2:USER_SGPR: 6
; COMPUTE_PGM_RSRC2:TRAP_HANDLER: 0
; COMPUTE_PGM_RSRC2:TGID_X_EN: 1
; COMPUTE_PGM_RSRC2:TGID_Y_EN: 0
; COMPUTE_PGM_RSRC2:TGID_Z_EN: 0
; COMPUTE_PGM_RSRC2:TIDIG_COMP_CNT: 0
	.section	.text._ZN7rocprim17ROCPRIM_400000_NS6detail17trampoline_kernelINS0_14default_configENS1_22reduce_config_selectorIN6thrust23THRUST_200600_302600_NS5tupleIblNS6_9null_typeES8_S8_S8_S8_S8_S8_S8_EEEEZNS1_11reduce_implILb1ES3_PS9_SC_S9_NS6_11hip_rocprim9__find_if7functorIS9_EEEE10hipError_tPvRmT1_T2_T3_mT4_P12ihipStream_tbEUlT_E1_NS1_11comp_targetILNS1_3genE4ELNS1_11target_archE910ELNS1_3gpuE8ELNS1_3repE0EEENS1_30default_config_static_selectorELNS0_4arch9wavefront6targetE1EEEvSK_,"axG",@progbits,_ZN7rocprim17ROCPRIM_400000_NS6detail17trampoline_kernelINS0_14default_configENS1_22reduce_config_selectorIN6thrust23THRUST_200600_302600_NS5tupleIblNS6_9null_typeES8_S8_S8_S8_S8_S8_S8_EEEEZNS1_11reduce_implILb1ES3_PS9_SC_S9_NS6_11hip_rocprim9__find_if7functorIS9_EEEE10hipError_tPvRmT1_T2_T3_mT4_P12ihipStream_tbEUlT_E1_NS1_11comp_targetILNS1_3genE4ELNS1_11target_archE910ELNS1_3gpuE8ELNS1_3repE0EEENS1_30default_config_static_selectorELNS0_4arch9wavefront6targetE1EEEvSK_,comdat
	.protected	_ZN7rocprim17ROCPRIM_400000_NS6detail17trampoline_kernelINS0_14default_configENS1_22reduce_config_selectorIN6thrust23THRUST_200600_302600_NS5tupleIblNS6_9null_typeES8_S8_S8_S8_S8_S8_S8_EEEEZNS1_11reduce_implILb1ES3_PS9_SC_S9_NS6_11hip_rocprim9__find_if7functorIS9_EEEE10hipError_tPvRmT1_T2_T3_mT4_P12ihipStream_tbEUlT_E1_NS1_11comp_targetILNS1_3genE4ELNS1_11target_archE910ELNS1_3gpuE8ELNS1_3repE0EEENS1_30default_config_static_selectorELNS0_4arch9wavefront6targetE1EEEvSK_ ; -- Begin function _ZN7rocprim17ROCPRIM_400000_NS6detail17trampoline_kernelINS0_14default_configENS1_22reduce_config_selectorIN6thrust23THRUST_200600_302600_NS5tupleIblNS6_9null_typeES8_S8_S8_S8_S8_S8_S8_EEEEZNS1_11reduce_implILb1ES3_PS9_SC_S9_NS6_11hip_rocprim9__find_if7functorIS9_EEEE10hipError_tPvRmT1_T2_T3_mT4_P12ihipStream_tbEUlT_E1_NS1_11comp_targetILNS1_3genE4ELNS1_11target_archE910ELNS1_3gpuE8ELNS1_3repE0EEENS1_30default_config_static_selectorELNS0_4arch9wavefront6targetE1EEEvSK_
	.globl	_ZN7rocprim17ROCPRIM_400000_NS6detail17trampoline_kernelINS0_14default_configENS1_22reduce_config_selectorIN6thrust23THRUST_200600_302600_NS5tupleIblNS6_9null_typeES8_S8_S8_S8_S8_S8_S8_EEEEZNS1_11reduce_implILb1ES3_PS9_SC_S9_NS6_11hip_rocprim9__find_if7functorIS9_EEEE10hipError_tPvRmT1_T2_T3_mT4_P12ihipStream_tbEUlT_E1_NS1_11comp_targetILNS1_3genE4ELNS1_11target_archE910ELNS1_3gpuE8ELNS1_3repE0EEENS1_30default_config_static_selectorELNS0_4arch9wavefront6targetE1EEEvSK_
	.p2align	8
	.type	_ZN7rocprim17ROCPRIM_400000_NS6detail17trampoline_kernelINS0_14default_configENS1_22reduce_config_selectorIN6thrust23THRUST_200600_302600_NS5tupleIblNS6_9null_typeES8_S8_S8_S8_S8_S8_S8_EEEEZNS1_11reduce_implILb1ES3_PS9_SC_S9_NS6_11hip_rocprim9__find_if7functorIS9_EEEE10hipError_tPvRmT1_T2_T3_mT4_P12ihipStream_tbEUlT_E1_NS1_11comp_targetILNS1_3genE4ELNS1_11target_archE910ELNS1_3gpuE8ELNS1_3repE0EEENS1_30default_config_static_selectorELNS0_4arch9wavefront6targetE1EEEvSK_,@function
_ZN7rocprim17ROCPRIM_400000_NS6detail17trampoline_kernelINS0_14default_configENS1_22reduce_config_selectorIN6thrust23THRUST_200600_302600_NS5tupleIblNS6_9null_typeES8_S8_S8_S8_S8_S8_S8_EEEEZNS1_11reduce_implILb1ES3_PS9_SC_S9_NS6_11hip_rocprim9__find_if7functorIS9_EEEE10hipError_tPvRmT1_T2_T3_mT4_P12ihipStream_tbEUlT_E1_NS1_11comp_targetILNS1_3genE4ELNS1_11target_archE910ELNS1_3gpuE8ELNS1_3repE0EEENS1_30default_config_static_selectorELNS0_4arch9wavefront6targetE1EEEvSK_: ; @_ZN7rocprim17ROCPRIM_400000_NS6detail17trampoline_kernelINS0_14default_configENS1_22reduce_config_selectorIN6thrust23THRUST_200600_302600_NS5tupleIblNS6_9null_typeES8_S8_S8_S8_S8_S8_S8_EEEEZNS1_11reduce_implILb1ES3_PS9_SC_S9_NS6_11hip_rocprim9__find_if7functorIS9_EEEE10hipError_tPvRmT1_T2_T3_mT4_P12ihipStream_tbEUlT_E1_NS1_11comp_targetILNS1_3genE4ELNS1_11target_archE910ELNS1_3gpuE8ELNS1_3repE0EEENS1_30default_config_static_selectorELNS0_4arch9wavefront6targetE1EEEvSK_
; %bb.0:
	.section	.rodata,"a",@progbits
	.p2align	6, 0x0
	.amdhsa_kernel _ZN7rocprim17ROCPRIM_400000_NS6detail17trampoline_kernelINS0_14default_configENS1_22reduce_config_selectorIN6thrust23THRUST_200600_302600_NS5tupleIblNS6_9null_typeES8_S8_S8_S8_S8_S8_S8_EEEEZNS1_11reduce_implILb1ES3_PS9_SC_S9_NS6_11hip_rocprim9__find_if7functorIS9_EEEE10hipError_tPvRmT1_T2_T3_mT4_P12ihipStream_tbEUlT_E1_NS1_11comp_targetILNS1_3genE4ELNS1_11target_archE910ELNS1_3gpuE8ELNS1_3repE0EEENS1_30default_config_static_selectorELNS0_4arch9wavefront6targetE1EEEvSK_
		.amdhsa_group_segment_fixed_size 0
		.amdhsa_private_segment_fixed_size 0
		.amdhsa_kernarg_size 56
		.amdhsa_user_sgpr_count 6
		.amdhsa_user_sgpr_private_segment_buffer 1
		.amdhsa_user_sgpr_dispatch_ptr 0
		.amdhsa_user_sgpr_queue_ptr 0
		.amdhsa_user_sgpr_kernarg_segment_ptr 1
		.amdhsa_user_sgpr_dispatch_id 0
		.amdhsa_user_sgpr_flat_scratch_init 0
		.amdhsa_user_sgpr_private_segment_size 0
		.amdhsa_uses_dynamic_stack 0
		.amdhsa_system_sgpr_private_segment_wavefront_offset 0
		.amdhsa_system_sgpr_workgroup_id_x 1
		.amdhsa_system_sgpr_workgroup_id_y 0
		.amdhsa_system_sgpr_workgroup_id_z 0
		.amdhsa_system_sgpr_workgroup_info 0
		.amdhsa_system_vgpr_workitem_id 0
		.amdhsa_next_free_vgpr 1
		.amdhsa_next_free_sgpr 0
		.amdhsa_reserve_vcc 0
		.amdhsa_reserve_flat_scratch 0
		.amdhsa_float_round_mode_32 0
		.amdhsa_float_round_mode_16_64 0
		.amdhsa_float_denorm_mode_32 3
		.amdhsa_float_denorm_mode_16_64 3
		.amdhsa_dx10_clamp 1
		.amdhsa_ieee_mode 1
		.amdhsa_fp16_overflow 0
		.amdhsa_exception_fp_ieee_invalid_op 0
		.amdhsa_exception_fp_denorm_src 0
		.amdhsa_exception_fp_ieee_div_zero 0
		.amdhsa_exception_fp_ieee_overflow 0
		.amdhsa_exception_fp_ieee_underflow 0
		.amdhsa_exception_fp_ieee_inexact 0
		.amdhsa_exception_int_div_zero 0
	.end_amdhsa_kernel
	.section	.text._ZN7rocprim17ROCPRIM_400000_NS6detail17trampoline_kernelINS0_14default_configENS1_22reduce_config_selectorIN6thrust23THRUST_200600_302600_NS5tupleIblNS6_9null_typeES8_S8_S8_S8_S8_S8_S8_EEEEZNS1_11reduce_implILb1ES3_PS9_SC_S9_NS6_11hip_rocprim9__find_if7functorIS9_EEEE10hipError_tPvRmT1_T2_T3_mT4_P12ihipStream_tbEUlT_E1_NS1_11comp_targetILNS1_3genE4ELNS1_11target_archE910ELNS1_3gpuE8ELNS1_3repE0EEENS1_30default_config_static_selectorELNS0_4arch9wavefront6targetE1EEEvSK_,"axG",@progbits,_ZN7rocprim17ROCPRIM_400000_NS6detail17trampoline_kernelINS0_14default_configENS1_22reduce_config_selectorIN6thrust23THRUST_200600_302600_NS5tupleIblNS6_9null_typeES8_S8_S8_S8_S8_S8_S8_EEEEZNS1_11reduce_implILb1ES3_PS9_SC_S9_NS6_11hip_rocprim9__find_if7functorIS9_EEEE10hipError_tPvRmT1_T2_T3_mT4_P12ihipStream_tbEUlT_E1_NS1_11comp_targetILNS1_3genE4ELNS1_11target_archE910ELNS1_3gpuE8ELNS1_3repE0EEENS1_30default_config_static_selectorELNS0_4arch9wavefront6targetE1EEEvSK_,comdat
.Lfunc_end47:
	.size	_ZN7rocprim17ROCPRIM_400000_NS6detail17trampoline_kernelINS0_14default_configENS1_22reduce_config_selectorIN6thrust23THRUST_200600_302600_NS5tupleIblNS6_9null_typeES8_S8_S8_S8_S8_S8_S8_EEEEZNS1_11reduce_implILb1ES3_PS9_SC_S9_NS6_11hip_rocprim9__find_if7functorIS9_EEEE10hipError_tPvRmT1_T2_T3_mT4_P12ihipStream_tbEUlT_E1_NS1_11comp_targetILNS1_3genE4ELNS1_11target_archE910ELNS1_3gpuE8ELNS1_3repE0EEENS1_30default_config_static_selectorELNS0_4arch9wavefront6targetE1EEEvSK_, .Lfunc_end47-_ZN7rocprim17ROCPRIM_400000_NS6detail17trampoline_kernelINS0_14default_configENS1_22reduce_config_selectorIN6thrust23THRUST_200600_302600_NS5tupleIblNS6_9null_typeES8_S8_S8_S8_S8_S8_S8_EEEEZNS1_11reduce_implILb1ES3_PS9_SC_S9_NS6_11hip_rocprim9__find_if7functorIS9_EEEE10hipError_tPvRmT1_T2_T3_mT4_P12ihipStream_tbEUlT_E1_NS1_11comp_targetILNS1_3genE4ELNS1_11target_archE910ELNS1_3gpuE8ELNS1_3repE0EEENS1_30default_config_static_selectorELNS0_4arch9wavefront6targetE1EEEvSK_
                                        ; -- End function
	.set _ZN7rocprim17ROCPRIM_400000_NS6detail17trampoline_kernelINS0_14default_configENS1_22reduce_config_selectorIN6thrust23THRUST_200600_302600_NS5tupleIblNS6_9null_typeES8_S8_S8_S8_S8_S8_S8_EEEEZNS1_11reduce_implILb1ES3_PS9_SC_S9_NS6_11hip_rocprim9__find_if7functorIS9_EEEE10hipError_tPvRmT1_T2_T3_mT4_P12ihipStream_tbEUlT_E1_NS1_11comp_targetILNS1_3genE4ELNS1_11target_archE910ELNS1_3gpuE8ELNS1_3repE0EEENS1_30default_config_static_selectorELNS0_4arch9wavefront6targetE1EEEvSK_.num_vgpr, 0
	.set _ZN7rocprim17ROCPRIM_400000_NS6detail17trampoline_kernelINS0_14default_configENS1_22reduce_config_selectorIN6thrust23THRUST_200600_302600_NS5tupleIblNS6_9null_typeES8_S8_S8_S8_S8_S8_S8_EEEEZNS1_11reduce_implILb1ES3_PS9_SC_S9_NS6_11hip_rocprim9__find_if7functorIS9_EEEE10hipError_tPvRmT1_T2_T3_mT4_P12ihipStream_tbEUlT_E1_NS1_11comp_targetILNS1_3genE4ELNS1_11target_archE910ELNS1_3gpuE8ELNS1_3repE0EEENS1_30default_config_static_selectorELNS0_4arch9wavefront6targetE1EEEvSK_.num_agpr, 0
	.set _ZN7rocprim17ROCPRIM_400000_NS6detail17trampoline_kernelINS0_14default_configENS1_22reduce_config_selectorIN6thrust23THRUST_200600_302600_NS5tupleIblNS6_9null_typeES8_S8_S8_S8_S8_S8_S8_EEEEZNS1_11reduce_implILb1ES3_PS9_SC_S9_NS6_11hip_rocprim9__find_if7functorIS9_EEEE10hipError_tPvRmT1_T2_T3_mT4_P12ihipStream_tbEUlT_E1_NS1_11comp_targetILNS1_3genE4ELNS1_11target_archE910ELNS1_3gpuE8ELNS1_3repE0EEENS1_30default_config_static_selectorELNS0_4arch9wavefront6targetE1EEEvSK_.numbered_sgpr, 0
	.set _ZN7rocprim17ROCPRIM_400000_NS6detail17trampoline_kernelINS0_14default_configENS1_22reduce_config_selectorIN6thrust23THRUST_200600_302600_NS5tupleIblNS6_9null_typeES8_S8_S8_S8_S8_S8_S8_EEEEZNS1_11reduce_implILb1ES3_PS9_SC_S9_NS6_11hip_rocprim9__find_if7functorIS9_EEEE10hipError_tPvRmT1_T2_T3_mT4_P12ihipStream_tbEUlT_E1_NS1_11comp_targetILNS1_3genE4ELNS1_11target_archE910ELNS1_3gpuE8ELNS1_3repE0EEENS1_30default_config_static_selectorELNS0_4arch9wavefront6targetE1EEEvSK_.num_named_barrier, 0
	.set _ZN7rocprim17ROCPRIM_400000_NS6detail17trampoline_kernelINS0_14default_configENS1_22reduce_config_selectorIN6thrust23THRUST_200600_302600_NS5tupleIblNS6_9null_typeES8_S8_S8_S8_S8_S8_S8_EEEEZNS1_11reduce_implILb1ES3_PS9_SC_S9_NS6_11hip_rocprim9__find_if7functorIS9_EEEE10hipError_tPvRmT1_T2_T3_mT4_P12ihipStream_tbEUlT_E1_NS1_11comp_targetILNS1_3genE4ELNS1_11target_archE910ELNS1_3gpuE8ELNS1_3repE0EEENS1_30default_config_static_selectorELNS0_4arch9wavefront6targetE1EEEvSK_.private_seg_size, 0
	.set _ZN7rocprim17ROCPRIM_400000_NS6detail17trampoline_kernelINS0_14default_configENS1_22reduce_config_selectorIN6thrust23THRUST_200600_302600_NS5tupleIblNS6_9null_typeES8_S8_S8_S8_S8_S8_S8_EEEEZNS1_11reduce_implILb1ES3_PS9_SC_S9_NS6_11hip_rocprim9__find_if7functorIS9_EEEE10hipError_tPvRmT1_T2_T3_mT4_P12ihipStream_tbEUlT_E1_NS1_11comp_targetILNS1_3genE4ELNS1_11target_archE910ELNS1_3gpuE8ELNS1_3repE0EEENS1_30default_config_static_selectorELNS0_4arch9wavefront6targetE1EEEvSK_.uses_vcc, 0
	.set _ZN7rocprim17ROCPRIM_400000_NS6detail17trampoline_kernelINS0_14default_configENS1_22reduce_config_selectorIN6thrust23THRUST_200600_302600_NS5tupleIblNS6_9null_typeES8_S8_S8_S8_S8_S8_S8_EEEEZNS1_11reduce_implILb1ES3_PS9_SC_S9_NS6_11hip_rocprim9__find_if7functorIS9_EEEE10hipError_tPvRmT1_T2_T3_mT4_P12ihipStream_tbEUlT_E1_NS1_11comp_targetILNS1_3genE4ELNS1_11target_archE910ELNS1_3gpuE8ELNS1_3repE0EEENS1_30default_config_static_selectorELNS0_4arch9wavefront6targetE1EEEvSK_.uses_flat_scratch, 0
	.set _ZN7rocprim17ROCPRIM_400000_NS6detail17trampoline_kernelINS0_14default_configENS1_22reduce_config_selectorIN6thrust23THRUST_200600_302600_NS5tupleIblNS6_9null_typeES8_S8_S8_S8_S8_S8_S8_EEEEZNS1_11reduce_implILb1ES3_PS9_SC_S9_NS6_11hip_rocprim9__find_if7functorIS9_EEEE10hipError_tPvRmT1_T2_T3_mT4_P12ihipStream_tbEUlT_E1_NS1_11comp_targetILNS1_3genE4ELNS1_11target_archE910ELNS1_3gpuE8ELNS1_3repE0EEENS1_30default_config_static_selectorELNS0_4arch9wavefront6targetE1EEEvSK_.has_dyn_sized_stack, 0
	.set _ZN7rocprim17ROCPRIM_400000_NS6detail17trampoline_kernelINS0_14default_configENS1_22reduce_config_selectorIN6thrust23THRUST_200600_302600_NS5tupleIblNS6_9null_typeES8_S8_S8_S8_S8_S8_S8_EEEEZNS1_11reduce_implILb1ES3_PS9_SC_S9_NS6_11hip_rocprim9__find_if7functorIS9_EEEE10hipError_tPvRmT1_T2_T3_mT4_P12ihipStream_tbEUlT_E1_NS1_11comp_targetILNS1_3genE4ELNS1_11target_archE910ELNS1_3gpuE8ELNS1_3repE0EEENS1_30default_config_static_selectorELNS0_4arch9wavefront6targetE1EEEvSK_.has_recursion, 0
	.set _ZN7rocprim17ROCPRIM_400000_NS6detail17trampoline_kernelINS0_14default_configENS1_22reduce_config_selectorIN6thrust23THRUST_200600_302600_NS5tupleIblNS6_9null_typeES8_S8_S8_S8_S8_S8_S8_EEEEZNS1_11reduce_implILb1ES3_PS9_SC_S9_NS6_11hip_rocprim9__find_if7functorIS9_EEEE10hipError_tPvRmT1_T2_T3_mT4_P12ihipStream_tbEUlT_E1_NS1_11comp_targetILNS1_3genE4ELNS1_11target_archE910ELNS1_3gpuE8ELNS1_3repE0EEENS1_30default_config_static_selectorELNS0_4arch9wavefront6targetE1EEEvSK_.has_indirect_call, 0
	.section	.AMDGPU.csdata,"",@progbits
; Kernel info:
; codeLenInByte = 0
; TotalNumSgprs: 4
; NumVgprs: 0
; ScratchSize: 0
; MemoryBound: 0
; FloatMode: 240
; IeeeMode: 1
; LDSByteSize: 0 bytes/workgroup (compile time only)
; SGPRBlocks: 0
; VGPRBlocks: 0
; NumSGPRsForWavesPerEU: 4
; NumVGPRsForWavesPerEU: 1
; Occupancy: 10
; WaveLimiterHint : 0
; COMPUTE_PGM_RSRC2:SCRATCH_EN: 0
; COMPUTE_PGM_RSRC2:USER_SGPR: 6
; COMPUTE_PGM_RSRC2:TRAP_HANDLER: 0
; COMPUTE_PGM_RSRC2:TGID_X_EN: 1
; COMPUTE_PGM_RSRC2:TGID_Y_EN: 0
; COMPUTE_PGM_RSRC2:TGID_Z_EN: 0
; COMPUTE_PGM_RSRC2:TIDIG_COMP_CNT: 0
	.section	.text._ZN7rocprim17ROCPRIM_400000_NS6detail17trampoline_kernelINS0_14default_configENS1_22reduce_config_selectorIN6thrust23THRUST_200600_302600_NS5tupleIblNS6_9null_typeES8_S8_S8_S8_S8_S8_S8_EEEEZNS1_11reduce_implILb1ES3_PS9_SC_S9_NS6_11hip_rocprim9__find_if7functorIS9_EEEE10hipError_tPvRmT1_T2_T3_mT4_P12ihipStream_tbEUlT_E1_NS1_11comp_targetILNS1_3genE3ELNS1_11target_archE908ELNS1_3gpuE7ELNS1_3repE0EEENS1_30default_config_static_selectorELNS0_4arch9wavefront6targetE1EEEvSK_,"axG",@progbits,_ZN7rocprim17ROCPRIM_400000_NS6detail17trampoline_kernelINS0_14default_configENS1_22reduce_config_selectorIN6thrust23THRUST_200600_302600_NS5tupleIblNS6_9null_typeES8_S8_S8_S8_S8_S8_S8_EEEEZNS1_11reduce_implILb1ES3_PS9_SC_S9_NS6_11hip_rocprim9__find_if7functorIS9_EEEE10hipError_tPvRmT1_T2_T3_mT4_P12ihipStream_tbEUlT_E1_NS1_11comp_targetILNS1_3genE3ELNS1_11target_archE908ELNS1_3gpuE7ELNS1_3repE0EEENS1_30default_config_static_selectorELNS0_4arch9wavefront6targetE1EEEvSK_,comdat
	.protected	_ZN7rocprim17ROCPRIM_400000_NS6detail17trampoline_kernelINS0_14default_configENS1_22reduce_config_selectorIN6thrust23THRUST_200600_302600_NS5tupleIblNS6_9null_typeES8_S8_S8_S8_S8_S8_S8_EEEEZNS1_11reduce_implILb1ES3_PS9_SC_S9_NS6_11hip_rocprim9__find_if7functorIS9_EEEE10hipError_tPvRmT1_T2_T3_mT4_P12ihipStream_tbEUlT_E1_NS1_11comp_targetILNS1_3genE3ELNS1_11target_archE908ELNS1_3gpuE7ELNS1_3repE0EEENS1_30default_config_static_selectorELNS0_4arch9wavefront6targetE1EEEvSK_ ; -- Begin function _ZN7rocprim17ROCPRIM_400000_NS6detail17trampoline_kernelINS0_14default_configENS1_22reduce_config_selectorIN6thrust23THRUST_200600_302600_NS5tupleIblNS6_9null_typeES8_S8_S8_S8_S8_S8_S8_EEEEZNS1_11reduce_implILb1ES3_PS9_SC_S9_NS6_11hip_rocprim9__find_if7functorIS9_EEEE10hipError_tPvRmT1_T2_T3_mT4_P12ihipStream_tbEUlT_E1_NS1_11comp_targetILNS1_3genE3ELNS1_11target_archE908ELNS1_3gpuE7ELNS1_3repE0EEENS1_30default_config_static_selectorELNS0_4arch9wavefront6targetE1EEEvSK_
	.globl	_ZN7rocprim17ROCPRIM_400000_NS6detail17trampoline_kernelINS0_14default_configENS1_22reduce_config_selectorIN6thrust23THRUST_200600_302600_NS5tupleIblNS6_9null_typeES8_S8_S8_S8_S8_S8_S8_EEEEZNS1_11reduce_implILb1ES3_PS9_SC_S9_NS6_11hip_rocprim9__find_if7functorIS9_EEEE10hipError_tPvRmT1_T2_T3_mT4_P12ihipStream_tbEUlT_E1_NS1_11comp_targetILNS1_3genE3ELNS1_11target_archE908ELNS1_3gpuE7ELNS1_3repE0EEENS1_30default_config_static_selectorELNS0_4arch9wavefront6targetE1EEEvSK_
	.p2align	8
	.type	_ZN7rocprim17ROCPRIM_400000_NS6detail17trampoline_kernelINS0_14default_configENS1_22reduce_config_selectorIN6thrust23THRUST_200600_302600_NS5tupleIblNS6_9null_typeES8_S8_S8_S8_S8_S8_S8_EEEEZNS1_11reduce_implILb1ES3_PS9_SC_S9_NS6_11hip_rocprim9__find_if7functorIS9_EEEE10hipError_tPvRmT1_T2_T3_mT4_P12ihipStream_tbEUlT_E1_NS1_11comp_targetILNS1_3genE3ELNS1_11target_archE908ELNS1_3gpuE7ELNS1_3repE0EEENS1_30default_config_static_selectorELNS0_4arch9wavefront6targetE1EEEvSK_,@function
_ZN7rocprim17ROCPRIM_400000_NS6detail17trampoline_kernelINS0_14default_configENS1_22reduce_config_selectorIN6thrust23THRUST_200600_302600_NS5tupleIblNS6_9null_typeES8_S8_S8_S8_S8_S8_S8_EEEEZNS1_11reduce_implILb1ES3_PS9_SC_S9_NS6_11hip_rocprim9__find_if7functorIS9_EEEE10hipError_tPvRmT1_T2_T3_mT4_P12ihipStream_tbEUlT_E1_NS1_11comp_targetILNS1_3genE3ELNS1_11target_archE908ELNS1_3gpuE7ELNS1_3repE0EEENS1_30default_config_static_selectorELNS0_4arch9wavefront6targetE1EEEvSK_: ; @_ZN7rocprim17ROCPRIM_400000_NS6detail17trampoline_kernelINS0_14default_configENS1_22reduce_config_selectorIN6thrust23THRUST_200600_302600_NS5tupleIblNS6_9null_typeES8_S8_S8_S8_S8_S8_S8_EEEEZNS1_11reduce_implILb1ES3_PS9_SC_S9_NS6_11hip_rocprim9__find_if7functorIS9_EEEE10hipError_tPvRmT1_T2_T3_mT4_P12ihipStream_tbEUlT_E1_NS1_11comp_targetILNS1_3genE3ELNS1_11target_archE908ELNS1_3gpuE7ELNS1_3repE0EEENS1_30default_config_static_selectorELNS0_4arch9wavefront6targetE1EEEvSK_
; %bb.0:
	.section	.rodata,"a",@progbits
	.p2align	6, 0x0
	.amdhsa_kernel _ZN7rocprim17ROCPRIM_400000_NS6detail17trampoline_kernelINS0_14default_configENS1_22reduce_config_selectorIN6thrust23THRUST_200600_302600_NS5tupleIblNS6_9null_typeES8_S8_S8_S8_S8_S8_S8_EEEEZNS1_11reduce_implILb1ES3_PS9_SC_S9_NS6_11hip_rocprim9__find_if7functorIS9_EEEE10hipError_tPvRmT1_T2_T3_mT4_P12ihipStream_tbEUlT_E1_NS1_11comp_targetILNS1_3genE3ELNS1_11target_archE908ELNS1_3gpuE7ELNS1_3repE0EEENS1_30default_config_static_selectorELNS0_4arch9wavefront6targetE1EEEvSK_
		.amdhsa_group_segment_fixed_size 0
		.amdhsa_private_segment_fixed_size 0
		.amdhsa_kernarg_size 56
		.amdhsa_user_sgpr_count 6
		.amdhsa_user_sgpr_private_segment_buffer 1
		.amdhsa_user_sgpr_dispatch_ptr 0
		.amdhsa_user_sgpr_queue_ptr 0
		.amdhsa_user_sgpr_kernarg_segment_ptr 1
		.amdhsa_user_sgpr_dispatch_id 0
		.amdhsa_user_sgpr_flat_scratch_init 0
		.amdhsa_user_sgpr_private_segment_size 0
		.amdhsa_uses_dynamic_stack 0
		.amdhsa_system_sgpr_private_segment_wavefront_offset 0
		.amdhsa_system_sgpr_workgroup_id_x 1
		.amdhsa_system_sgpr_workgroup_id_y 0
		.amdhsa_system_sgpr_workgroup_id_z 0
		.amdhsa_system_sgpr_workgroup_info 0
		.amdhsa_system_vgpr_workitem_id 0
		.amdhsa_next_free_vgpr 1
		.amdhsa_next_free_sgpr 0
		.amdhsa_reserve_vcc 0
		.amdhsa_reserve_flat_scratch 0
		.amdhsa_float_round_mode_32 0
		.amdhsa_float_round_mode_16_64 0
		.amdhsa_float_denorm_mode_32 3
		.amdhsa_float_denorm_mode_16_64 3
		.amdhsa_dx10_clamp 1
		.amdhsa_ieee_mode 1
		.amdhsa_fp16_overflow 0
		.amdhsa_exception_fp_ieee_invalid_op 0
		.amdhsa_exception_fp_denorm_src 0
		.amdhsa_exception_fp_ieee_div_zero 0
		.amdhsa_exception_fp_ieee_overflow 0
		.amdhsa_exception_fp_ieee_underflow 0
		.amdhsa_exception_fp_ieee_inexact 0
		.amdhsa_exception_int_div_zero 0
	.end_amdhsa_kernel
	.section	.text._ZN7rocprim17ROCPRIM_400000_NS6detail17trampoline_kernelINS0_14default_configENS1_22reduce_config_selectorIN6thrust23THRUST_200600_302600_NS5tupleIblNS6_9null_typeES8_S8_S8_S8_S8_S8_S8_EEEEZNS1_11reduce_implILb1ES3_PS9_SC_S9_NS6_11hip_rocprim9__find_if7functorIS9_EEEE10hipError_tPvRmT1_T2_T3_mT4_P12ihipStream_tbEUlT_E1_NS1_11comp_targetILNS1_3genE3ELNS1_11target_archE908ELNS1_3gpuE7ELNS1_3repE0EEENS1_30default_config_static_selectorELNS0_4arch9wavefront6targetE1EEEvSK_,"axG",@progbits,_ZN7rocprim17ROCPRIM_400000_NS6detail17trampoline_kernelINS0_14default_configENS1_22reduce_config_selectorIN6thrust23THRUST_200600_302600_NS5tupleIblNS6_9null_typeES8_S8_S8_S8_S8_S8_S8_EEEEZNS1_11reduce_implILb1ES3_PS9_SC_S9_NS6_11hip_rocprim9__find_if7functorIS9_EEEE10hipError_tPvRmT1_T2_T3_mT4_P12ihipStream_tbEUlT_E1_NS1_11comp_targetILNS1_3genE3ELNS1_11target_archE908ELNS1_3gpuE7ELNS1_3repE0EEENS1_30default_config_static_selectorELNS0_4arch9wavefront6targetE1EEEvSK_,comdat
.Lfunc_end48:
	.size	_ZN7rocprim17ROCPRIM_400000_NS6detail17trampoline_kernelINS0_14default_configENS1_22reduce_config_selectorIN6thrust23THRUST_200600_302600_NS5tupleIblNS6_9null_typeES8_S8_S8_S8_S8_S8_S8_EEEEZNS1_11reduce_implILb1ES3_PS9_SC_S9_NS6_11hip_rocprim9__find_if7functorIS9_EEEE10hipError_tPvRmT1_T2_T3_mT4_P12ihipStream_tbEUlT_E1_NS1_11comp_targetILNS1_3genE3ELNS1_11target_archE908ELNS1_3gpuE7ELNS1_3repE0EEENS1_30default_config_static_selectorELNS0_4arch9wavefront6targetE1EEEvSK_, .Lfunc_end48-_ZN7rocprim17ROCPRIM_400000_NS6detail17trampoline_kernelINS0_14default_configENS1_22reduce_config_selectorIN6thrust23THRUST_200600_302600_NS5tupleIblNS6_9null_typeES8_S8_S8_S8_S8_S8_S8_EEEEZNS1_11reduce_implILb1ES3_PS9_SC_S9_NS6_11hip_rocprim9__find_if7functorIS9_EEEE10hipError_tPvRmT1_T2_T3_mT4_P12ihipStream_tbEUlT_E1_NS1_11comp_targetILNS1_3genE3ELNS1_11target_archE908ELNS1_3gpuE7ELNS1_3repE0EEENS1_30default_config_static_selectorELNS0_4arch9wavefront6targetE1EEEvSK_
                                        ; -- End function
	.set _ZN7rocprim17ROCPRIM_400000_NS6detail17trampoline_kernelINS0_14default_configENS1_22reduce_config_selectorIN6thrust23THRUST_200600_302600_NS5tupleIblNS6_9null_typeES8_S8_S8_S8_S8_S8_S8_EEEEZNS1_11reduce_implILb1ES3_PS9_SC_S9_NS6_11hip_rocprim9__find_if7functorIS9_EEEE10hipError_tPvRmT1_T2_T3_mT4_P12ihipStream_tbEUlT_E1_NS1_11comp_targetILNS1_3genE3ELNS1_11target_archE908ELNS1_3gpuE7ELNS1_3repE0EEENS1_30default_config_static_selectorELNS0_4arch9wavefront6targetE1EEEvSK_.num_vgpr, 0
	.set _ZN7rocprim17ROCPRIM_400000_NS6detail17trampoline_kernelINS0_14default_configENS1_22reduce_config_selectorIN6thrust23THRUST_200600_302600_NS5tupleIblNS6_9null_typeES8_S8_S8_S8_S8_S8_S8_EEEEZNS1_11reduce_implILb1ES3_PS9_SC_S9_NS6_11hip_rocprim9__find_if7functorIS9_EEEE10hipError_tPvRmT1_T2_T3_mT4_P12ihipStream_tbEUlT_E1_NS1_11comp_targetILNS1_3genE3ELNS1_11target_archE908ELNS1_3gpuE7ELNS1_3repE0EEENS1_30default_config_static_selectorELNS0_4arch9wavefront6targetE1EEEvSK_.num_agpr, 0
	.set _ZN7rocprim17ROCPRIM_400000_NS6detail17trampoline_kernelINS0_14default_configENS1_22reduce_config_selectorIN6thrust23THRUST_200600_302600_NS5tupleIblNS6_9null_typeES8_S8_S8_S8_S8_S8_S8_EEEEZNS1_11reduce_implILb1ES3_PS9_SC_S9_NS6_11hip_rocprim9__find_if7functorIS9_EEEE10hipError_tPvRmT1_T2_T3_mT4_P12ihipStream_tbEUlT_E1_NS1_11comp_targetILNS1_3genE3ELNS1_11target_archE908ELNS1_3gpuE7ELNS1_3repE0EEENS1_30default_config_static_selectorELNS0_4arch9wavefront6targetE1EEEvSK_.numbered_sgpr, 0
	.set _ZN7rocprim17ROCPRIM_400000_NS6detail17trampoline_kernelINS0_14default_configENS1_22reduce_config_selectorIN6thrust23THRUST_200600_302600_NS5tupleIblNS6_9null_typeES8_S8_S8_S8_S8_S8_S8_EEEEZNS1_11reduce_implILb1ES3_PS9_SC_S9_NS6_11hip_rocprim9__find_if7functorIS9_EEEE10hipError_tPvRmT1_T2_T3_mT4_P12ihipStream_tbEUlT_E1_NS1_11comp_targetILNS1_3genE3ELNS1_11target_archE908ELNS1_3gpuE7ELNS1_3repE0EEENS1_30default_config_static_selectorELNS0_4arch9wavefront6targetE1EEEvSK_.num_named_barrier, 0
	.set _ZN7rocprim17ROCPRIM_400000_NS6detail17trampoline_kernelINS0_14default_configENS1_22reduce_config_selectorIN6thrust23THRUST_200600_302600_NS5tupleIblNS6_9null_typeES8_S8_S8_S8_S8_S8_S8_EEEEZNS1_11reduce_implILb1ES3_PS9_SC_S9_NS6_11hip_rocprim9__find_if7functorIS9_EEEE10hipError_tPvRmT1_T2_T3_mT4_P12ihipStream_tbEUlT_E1_NS1_11comp_targetILNS1_3genE3ELNS1_11target_archE908ELNS1_3gpuE7ELNS1_3repE0EEENS1_30default_config_static_selectorELNS0_4arch9wavefront6targetE1EEEvSK_.private_seg_size, 0
	.set _ZN7rocprim17ROCPRIM_400000_NS6detail17trampoline_kernelINS0_14default_configENS1_22reduce_config_selectorIN6thrust23THRUST_200600_302600_NS5tupleIblNS6_9null_typeES8_S8_S8_S8_S8_S8_S8_EEEEZNS1_11reduce_implILb1ES3_PS9_SC_S9_NS6_11hip_rocprim9__find_if7functorIS9_EEEE10hipError_tPvRmT1_T2_T3_mT4_P12ihipStream_tbEUlT_E1_NS1_11comp_targetILNS1_3genE3ELNS1_11target_archE908ELNS1_3gpuE7ELNS1_3repE0EEENS1_30default_config_static_selectorELNS0_4arch9wavefront6targetE1EEEvSK_.uses_vcc, 0
	.set _ZN7rocprim17ROCPRIM_400000_NS6detail17trampoline_kernelINS0_14default_configENS1_22reduce_config_selectorIN6thrust23THRUST_200600_302600_NS5tupleIblNS6_9null_typeES8_S8_S8_S8_S8_S8_S8_EEEEZNS1_11reduce_implILb1ES3_PS9_SC_S9_NS6_11hip_rocprim9__find_if7functorIS9_EEEE10hipError_tPvRmT1_T2_T3_mT4_P12ihipStream_tbEUlT_E1_NS1_11comp_targetILNS1_3genE3ELNS1_11target_archE908ELNS1_3gpuE7ELNS1_3repE0EEENS1_30default_config_static_selectorELNS0_4arch9wavefront6targetE1EEEvSK_.uses_flat_scratch, 0
	.set _ZN7rocprim17ROCPRIM_400000_NS6detail17trampoline_kernelINS0_14default_configENS1_22reduce_config_selectorIN6thrust23THRUST_200600_302600_NS5tupleIblNS6_9null_typeES8_S8_S8_S8_S8_S8_S8_EEEEZNS1_11reduce_implILb1ES3_PS9_SC_S9_NS6_11hip_rocprim9__find_if7functorIS9_EEEE10hipError_tPvRmT1_T2_T3_mT4_P12ihipStream_tbEUlT_E1_NS1_11comp_targetILNS1_3genE3ELNS1_11target_archE908ELNS1_3gpuE7ELNS1_3repE0EEENS1_30default_config_static_selectorELNS0_4arch9wavefront6targetE1EEEvSK_.has_dyn_sized_stack, 0
	.set _ZN7rocprim17ROCPRIM_400000_NS6detail17trampoline_kernelINS0_14default_configENS1_22reduce_config_selectorIN6thrust23THRUST_200600_302600_NS5tupleIblNS6_9null_typeES8_S8_S8_S8_S8_S8_S8_EEEEZNS1_11reduce_implILb1ES3_PS9_SC_S9_NS6_11hip_rocprim9__find_if7functorIS9_EEEE10hipError_tPvRmT1_T2_T3_mT4_P12ihipStream_tbEUlT_E1_NS1_11comp_targetILNS1_3genE3ELNS1_11target_archE908ELNS1_3gpuE7ELNS1_3repE0EEENS1_30default_config_static_selectorELNS0_4arch9wavefront6targetE1EEEvSK_.has_recursion, 0
	.set _ZN7rocprim17ROCPRIM_400000_NS6detail17trampoline_kernelINS0_14default_configENS1_22reduce_config_selectorIN6thrust23THRUST_200600_302600_NS5tupleIblNS6_9null_typeES8_S8_S8_S8_S8_S8_S8_EEEEZNS1_11reduce_implILb1ES3_PS9_SC_S9_NS6_11hip_rocprim9__find_if7functorIS9_EEEE10hipError_tPvRmT1_T2_T3_mT4_P12ihipStream_tbEUlT_E1_NS1_11comp_targetILNS1_3genE3ELNS1_11target_archE908ELNS1_3gpuE7ELNS1_3repE0EEENS1_30default_config_static_selectorELNS0_4arch9wavefront6targetE1EEEvSK_.has_indirect_call, 0
	.section	.AMDGPU.csdata,"",@progbits
; Kernel info:
; codeLenInByte = 0
; TotalNumSgprs: 4
; NumVgprs: 0
; ScratchSize: 0
; MemoryBound: 0
; FloatMode: 240
; IeeeMode: 1
; LDSByteSize: 0 bytes/workgroup (compile time only)
; SGPRBlocks: 0
; VGPRBlocks: 0
; NumSGPRsForWavesPerEU: 4
; NumVGPRsForWavesPerEU: 1
; Occupancy: 10
; WaveLimiterHint : 0
; COMPUTE_PGM_RSRC2:SCRATCH_EN: 0
; COMPUTE_PGM_RSRC2:USER_SGPR: 6
; COMPUTE_PGM_RSRC2:TRAP_HANDLER: 0
; COMPUTE_PGM_RSRC2:TGID_X_EN: 1
; COMPUTE_PGM_RSRC2:TGID_Y_EN: 0
; COMPUTE_PGM_RSRC2:TGID_Z_EN: 0
; COMPUTE_PGM_RSRC2:TIDIG_COMP_CNT: 0
	.section	.text._ZN7rocprim17ROCPRIM_400000_NS6detail17trampoline_kernelINS0_14default_configENS1_22reduce_config_selectorIN6thrust23THRUST_200600_302600_NS5tupleIblNS6_9null_typeES8_S8_S8_S8_S8_S8_S8_EEEEZNS1_11reduce_implILb1ES3_PS9_SC_S9_NS6_11hip_rocprim9__find_if7functorIS9_EEEE10hipError_tPvRmT1_T2_T3_mT4_P12ihipStream_tbEUlT_E1_NS1_11comp_targetILNS1_3genE2ELNS1_11target_archE906ELNS1_3gpuE6ELNS1_3repE0EEENS1_30default_config_static_selectorELNS0_4arch9wavefront6targetE1EEEvSK_,"axG",@progbits,_ZN7rocprim17ROCPRIM_400000_NS6detail17trampoline_kernelINS0_14default_configENS1_22reduce_config_selectorIN6thrust23THRUST_200600_302600_NS5tupleIblNS6_9null_typeES8_S8_S8_S8_S8_S8_S8_EEEEZNS1_11reduce_implILb1ES3_PS9_SC_S9_NS6_11hip_rocprim9__find_if7functorIS9_EEEE10hipError_tPvRmT1_T2_T3_mT4_P12ihipStream_tbEUlT_E1_NS1_11comp_targetILNS1_3genE2ELNS1_11target_archE906ELNS1_3gpuE6ELNS1_3repE0EEENS1_30default_config_static_selectorELNS0_4arch9wavefront6targetE1EEEvSK_,comdat
	.protected	_ZN7rocprim17ROCPRIM_400000_NS6detail17trampoline_kernelINS0_14default_configENS1_22reduce_config_selectorIN6thrust23THRUST_200600_302600_NS5tupleIblNS6_9null_typeES8_S8_S8_S8_S8_S8_S8_EEEEZNS1_11reduce_implILb1ES3_PS9_SC_S9_NS6_11hip_rocprim9__find_if7functorIS9_EEEE10hipError_tPvRmT1_T2_T3_mT4_P12ihipStream_tbEUlT_E1_NS1_11comp_targetILNS1_3genE2ELNS1_11target_archE906ELNS1_3gpuE6ELNS1_3repE0EEENS1_30default_config_static_selectorELNS0_4arch9wavefront6targetE1EEEvSK_ ; -- Begin function _ZN7rocprim17ROCPRIM_400000_NS6detail17trampoline_kernelINS0_14default_configENS1_22reduce_config_selectorIN6thrust23THRUST_200600_302600_NS5tupleIblNS6_9null_typeES8_S8_S8_S8_S8_S8_S8_EEEEZNS1_11reduce_implILb1ES3_PS9_SC_S9_NS6_11hip_rocprim9__find_if7functorIS9_EEEE10hipError_tPvRmT1_T2_T3_mT4_P12ihipStream_tbEUlT_E1_NS1_11comp_targetILNS1_3genE2ELNS1_11target_archE906ELNS1_3gpuE6ELNS1_3repE0EEENS1_30default_config_static_selectorELNS0_4arch9wavefront6targetE1EEEvSK_
	.globl	_ZN7rocprim17ROCPRIM_400000_NS6detail17trampoline_kernelINS0_14default_configENS1_22reduce_config_selectorIN6thrust23THRUST_200600_302600_NS5tupleIblNS6_9null_typeES8_S8_S8_S8_S8_S8_S8_EEEEZNS1_11reduce_implILb1ES3_PS9_SC_S9_NS6_11hip_rocprim9__find_if7functorIS9_EEEE10hipError_tPvRmT1_T2_T3_mT4_P12ihipStream_tbEUlT_E1_NS1_11comp_targetILNS1_3genE2ELNS1_11target_archE906ELNS1_3gpuE6ELNS1_3repE0EEENS1_30default_config_static_selectorELNS0_4arch9wavefront6targetE1EEEvSK_
	.p2align	8
	.type	_ZN7rocprim17ROCPRIM_400000_NS6detail17trampoline_kernelINS0_14default_configENS1_22reduce_config_selectorIN6thrust23THRUST_200600_302600_NS5tupleIblNS6_9null_typeES8_S8_S8_S8_S8_S8_S8_EEEEZNS1_11reduce_implILb1ES3_PS9_SC_S9_NS6_11hip_rocprim9__find_if7functorIS9_EEEE10hipError_tPvRmT1_T2_T3_mT4_P12ihipStream_tbEUlT_E1_NS1_11comp_targetILNS1_3genE2ELNS1_11target_archE906ELNS1_3gpuE6ELNS1_3repE0EEENS1_30default_config_static_selectorELNS0_4arch9wavefront6targetE1EEEvSK_,@function
_ZN7rocprim17ROCPRIM_400000_NS6detail17trampoline_kernelINS0_14default_configENS1_22reduce_config_selectorIN6thrust23THRUST_200600_302600_NS5tupleIblNS6_9null_typeES8_S8_S8_S8_S8_S8_S8_EEEEZNS1_11reduce_implILb1ES3_PS9_SC_S9_NS6_11hip_rocprim9__find_if7functorIS9_EEEE10hipError_tPvRmT1_T2_T3_mT4_P12ihipStream_tbEUlT_E1_NS1_11comp_targetILNS1_3genE2ELNS1_11target_archE906ELNS1_3gpuE6ELNS1_3repE0EEENS1_30default_config_static_selectorELNS0_4arch9wavefront6targetE1EEEvSK_: ; @_ZN7rocprim17ROCPRIM_400000_NS6detail17trampoline_kernelINS0_14default_configENS1_22reduce_config_selectorIN6thrust23THRUST_200600_302600_NS5tupleIblNS6_9null_typeES8_S8_S8_S8_S8_S8_S8_EEEEZNS1_11reduce_implILb1ES3_PS9_SC_S9_NS6_11hip_rocprim9__find_if7functorIS9_EEEE10hipError_tPvRmT1_T2_T3_mT4_P12ihipStream_tbEUlT_E1_NS1_11comp_targetILNS1_3genE2ELNS1_11target_archE906ELNS1_3gpuE6ELNS1_3repE0EEENS1_30default_config_static_selectorELNS0_4arch9wavefront6targetE1EEEvSK_
; %bb.0:
	s_load_dword s29, s[4:5], 0x4
	s_load_dwordx4 s[20:23], s[4:5], 0x8
	s_load_dword s28, s[4:5], 0x20
	s_load_dwordx2 s[18:19], s[4:5], 0x28
	s_waitcnt lgkmcnt(0)
	s_cmp_lt_i32 s29, 4
	s_cbranch_scc1 .LBB49_37
; %bb.1:
	s_cmp_gt_i32 s29, 7
	s_cbranch_scc0 .LBB49_38
; %bb.2:
	s_cmp_eq_u32 s29, 8
	s_mov_b64 s[24:25], 0
	s_cbranch_scc0 .LBB49_39
; %bb.3:
	s_mov_b32 s7, 0
	s_lshl_b32 s8, s6, 10
	s_mov_b32 s9, s7
	s_lshr_b64 s[0:1], s[22:23], 10
	s_lshl_b64 s[2:3], s[8:9], 4
	s_add_u32 s16, s20, s2
	s_addc_u32 s17, s21, s3
	s_cmp_lg_u64 s[0:1], s[6:7]
	s_cbranch_scc0 .LBB49_60
; %bb.4:
	v_lshlrev_b32_e32 v1, 4, v0
	global_load_ubyte v25, v1, s[16:17]
	global_load_ubyte v26, v1, s[16:17] offset:2048
	v_mov_b32_e32 v2, s17
	v_add_co_u32_e32 v5, vcc, s16, v1
	v_addc_co_u32_e32 v18, vcc, 0, v2, vcc
	global_load_dwordx2 v[13:14], v1, s[16:17] offset:2056
	global_load_dwordx2 v[15:16], v1, s[16:17] offset:8
	v_add_co_u32_e32 v1, vcc, 0x1000, v5
	v_addc_co_u32_e32 v2, vcc, 0, v18, vcc
	v_add_co_u32_e32 v3, vcc, 0x2000, v5
	v_addc_co_u32_e32 v4, vcc, 0, v18, vcc
	global_load_ubyte v24, v[1:2], off
	global_load_dwordx2 v[11:12], v[1:2], off offset:8
	global_load_ubyte v23, v[1:2], off offset:2048
	global_load_dwordx2 v[9:10], v[1:2], off offset:2056
	v_add_co_u32_e32 v17, vcc, 0x3000, v5
	v_addc_co_u32_e32 v18, vcc, 0, v18, vcc
	global_load_ubyte v22, v[3:4], off
	global_load_dwordx2 v[7:8], v[3:4], off offset:8
	global_load_ubyte v21, v[3:4], off offset:2048
	global_load_dwordx2 v[5:6], v[3:4], off offset:2056
	s_waitcnt vmcnt(10)
	v_and_b32_e32 v1, v26, v25
	v_and_b32_e32 v1, 1, v1
	v_cmp_eq_u32_e32 vcc, 1, v1
	global_load_ubyte v20, v[17:18], off
	global_load_dwordx2 v[3:4], v[17:18], off offset:8
	global_load_ubyte v19, v[17:18], off offset:2048
	global_load_dwordx2 v[1:2], v[17:18], off offset:2056
                                        ; implicit-def: $vgpr17_vgpr18
	s_and_saveexec_b64 s[0:1], vcc
	s_xor_b64 s[0:1], exec, s[0:1]
	s_cbranch_execz .LBB49_6
; %bb.5:
	s_waitcnt vmcnt(12)
	v_cmp_lt_i64_e32 vcc, v[13:14], v[15:16]
                                        ; implicit-def: $vgpr25
                                        ; implicit-def: $vgpr26
	v_cndmask_b32_e32 v18, v16, v14, vcc
	v_cndmask_b32_e32 v17, v15, v13, vcc
                                        ; implicit-def: $vgpr13_vgpr14
                                        ; implicit-def: $vgpr15_vgpr16
.LBB49_6:
	s_or_saveexec_b64 s[0:1], s[0:1]
	s_mov_b64 s[2:3], -1
	s_xor_b64 exec, exec, s[0:1]
	s_cbranch_execz .LBB49_8
; %bb.7:
	v_and_b32_e32 v17, 1, v25
	v_or_b32_e32 v18, v26, v25
	v_mov_b32_e32 v25, 0
	v_cmp_ne_u16_sdwa s[2:3], v18, v25 src0_sel:BYTE_0 src1_sel:DWORD
	v_cmp_eq_u32_e32 vcc, 1, v17
	s_waitcnt vmcnt(12)
	v_cndmask_b32_e32 v18, v14, v16, vcc
	v_cndmask_b32_e32 v17, v13, v15, vcc
	s_orn2_b64 s[2:3], s[2:3], exec
.LBB49_8:
	s_or_b64 exec, exec, s[0:1]
	s_waitcnt vmcnt(11)
	v_and_b32_e32 v13, 1, v24
	v_cmp_eq_u32_e32 vcc, 1, v13
	s_and_b64 s[0:1], s[2:3], vcc
	s_xor_b64 s[10:11], s[0:1], -1
                                        ; implicit-def: $sgpr0_sgpr1
                                        ; implicit-def: $vgpr13_vgpr14
	s_and_saveexec_b64 s[12:13], s[10:11]
	s_xor_b64 s[10:11], exec, s[12:13]
	s_cbranch_execz .LBB49_10
; %bb.9:
	s_or_b64 s[0:1], s[2:3], vcc
	s_waitcnt vmcnt(10)
	v_cndmask_b32_e64 v14, v12, v18, s[2:3]
	v_cndmask_b32_e64 v13, v11, v17, s[2:3]
                                        ; implicit-def: $vgpr11_vgpr12
                                        ; implicit-def: $vgpr17_vgpr18
.LBB49_10:
	s_andn2_saveexec_b64 s[2:3], s[10:11]
	s_cbranch_execz .LBB49_12
; %bb.11:
	s_waitcnt vmcnt(10)
	v_cmp_lt_i64_e32 vcc, v[11:12], v[17:18]
	s_or_b64 s[0:1], s[0:1], exec
	v_cndmask_b32_e32 v14, v18, v12, vcc
	v_cndmask_b32_e32 v13, v17, v11, vcc
.LBB49_12:
	s_or_b64 exec, exec, s[2:3]
	s_waitcnt vmcnt(9)
	v_and_b32_e32 v11, 1, v23
	v_cmp_eq_u32_e32 vcc, 1, v11
	s_and_b64 s[2:3], s[0:1], vcc
	s_xor_b64 s[10:11], s[2:3], -1
                                        ; implicit-def: $sgpr2_sgpr3
                                        ; implicit-def: $vgpr11_vgpr12
	s_and_saveexec_b64 s[12:13], s[10:11]
	s_xor_b64 s[10:11], exec, s[12:13]
	s_cbranch_execz .LBB49_14
; %bb.13:
	s_or_b64 s[2:3], s[0:1], vcc
	s_waitcnt vmcnt(8)
	v_cndmask_b32_e64 v12, v10, v14, s[0:1]
	v_cndmask_b32_e64 v11, v9, v13, s[0:1]
                                        ; implicit-def: $vgpr9_vgpr10
                                        ; implicit-def: $vgpr13_vgpr14
.LBB49_14:
	s_andn2_saveexec_b64 s[0:1], s[10:11]
	s_cbranch_execz .LBB49_16
; %bb.15:
	s_waitcnt vmcnt(8)
	v_cmp_lt_i64_e32 vcc, v[9:10], v[13:14]
	s_or_b64 s[2:3], s[2:3], exec
	v_cndmask_b32_e32 v12, v14, v10, vcc
	v_cndmask_b32_e32 v11, v13, v9, vcc
.LBB49_16:
	s_or_b64 exec, exec, s[0:1]
	s_waitcnt vmcnt(7)
	v_and_b32_e32 v9, 1, v22
	v_cmp_eq_u32_e32 vcc, 1, v9
	s_and_b64 s[0:1], s[2:3], vcc
	s_xor_b64 s[10:11], s[0:1], -1
                                        ; implicit-def: $sgpr0_sgpr1
                                        ; implicit-def: $vgpr9_vgpr10
	s_and_saveexec_b64 s[12:13], s[10:11]
	s_xor_b64 s[10:11], exec, s[12:13]
	s_cbranch_execz .LBB49_18
; %bb.17:
	s_or_b64 s[0:1], s[2:3], vcc
	s_waitcnt vmcnt(6)
	v_cndmask_b32_e64 v10, v8, v12, s[2:3]
	v_cndmask_b32_e64 v9, v7, v11, s[2:3]
                                        ; implicit-def: $vgpr7_vgpr8
                                        ; implicit-def: $vgpr11_vgpr12
.LBB49_18:
	s_andn2_saveexec_b64 s[2:3], s[10:11]
	s_cbranch_execz .LBB49_20
; %bb.19:
	s_waitcnt vmcnt(6)
	v_cmp_lt_i64_e32 vcc, v[7:8], v[11:12]
	s_or_b64 s[0:1], s[0:1], exec
	v_cndmask_b32_e32 v10, v12, v8, vcc
	v_cndmask_b32_e32 v9, v11, v7, vcc
.LBB49_20:
	s_or_b64 exec, exec, s[2:3]
	s_waitcnt vmcnt(5)
	v_and_b32_e32 v7, 1, v21
	v_cmp_eq_u32_e32 vcc, 1, v7
	s_and_b64 s[2:3], s[0:1], vcc
	s_xor_b64 s[10:11], s[2:3], -1
                                        ; implicit-def: $sgpr2_sgpr3
                                        ; implicit-def: $vgpr7_vgpr8
	s_and_saveexec_b64 s[12:13], s[10:11]
	s_xor_b64 s[10:11], exec, s[12:13]
	s_cbranch_execz .LBB49_22
; %bb.21:
	s_or_b64 s[2:3], s[0:1], vcc
	s_waitcnt vmcnt(4)
	v_cndmask_b32_e64 v8, v6, v10, s[0:1]
	v_cndmask_b32_e64 v7, v5, v9, s[0:1]
                                        ; implicit-def: $vgpr5_vgpr6
                                        ; implicit-def: $vgpr9_vgpr10
.LBB49_22:
	s_andn2_saveexec_b64 s[0:1], s[10:11]
	s_cbranch_execz .LBB49_24
; %bb.23:
	s_waitcnt vmcnt(4)
	v_cmp_lt_i64_e32 vcc, v[5:6], v[9:10]
	s_or_b64 s[2:3], s[2:3], exec
	v_cndmask_b32_e32 v8, v10, v6, vcc
	v_cndmask_b32_e32 v7, v9, v5, vcc
.LBB49_24:
	s_or_b64 exec, exec, s[0:1]
	s_waitcnt vmcnt(3)
	v_and_b32_e32 v5, 1, v20
	v_cmp_eq_u32_e32 vcc, 1, v5
	s_and_b64 s[0:1], s[2:3], vcc
	s_xor_b64 s[0:1], s[0:1], -1
                                        ; implicit-def: $sgpr10_sgpr11
                                        ; implicit-def: $vgpr5_vgpr6
	s_and_saveexec_b64 s[12:13], s[0:1]
	s_xor_b64 s[0:1], exec, s[12:13]
	s_cbranch_execz .LBB49_26
; %bb.25:
	s_or_b64 s[10:11], s[2:3], vcc
	s_waitcnt vmcnt(2)
	v_cndmask_b32_e64 v6, v4, v8, s[2:3]
	v_cndmask_b32_e64 v5, v3, v7, s[2:3]
                                        ; implicit-def: $vgpr3_vgpr4
                                        ; implicit-def: $vgpr7_vgpr8
.LBB49_26:
	s_andn2_saveexec_b64 s[0:1], s[0:1]
	s_cbranch_execz .LBB49_28
; %bb.27:
	s_waitcnt vmcnt(2)
	v_cmp_lt_i64_e32 vcc, v[3:4], v[7:8]
	s_or_b64 s[10:11], s[10:11], exec
	v_cndmask_b32_e32 v6, v8, v4, vcc
	v_cndmask_b32_e32 v5, v7, v3, vcc
.LBB49_28:
	s_or_b64 exec, exec, s[0:1]
	s_waitcnt vmcnt(1)
	v_and_b32_e32 v3, 1, v19
	s_waitcnt vmcnt(0)
	v_cmp_lt_i64_e64 s[0:1], v[1:2], v[5:6]
	v_cmp_eq_u32_e32 vcc, 1, v3
	s_and_b64 vcc, vcc, s[0:1]
	v_cndmask_b32_e32 v3, v5, v1, vcc
	v_cndmask_b32_e32 v4, v6, v2, vcc
	v_cndmask_b32_e64 v2, v2, v4, s[10:11]
	v_cndmask_b32_e64 v1, v1, v3, s[10:11]
	;; [unrolled: 1-line block ×3, first 2 shown]
	v_mov_b32_dpp v5, v2 quad_perm:[1,0,3,2] row_mask:0xf bank_mask:0xf bound_ctrl:1
	v_mov_b32_dpp v4, v1 quad_perm:[1,0,3,2] row_mask:0xf bank_mask:0xf bound_ctrl:1
	v_and_b32_e32 v6, 0xff, v7
	v_and_b32_e32 v7, 1, v7
	v_cmp_lt_i64_e32 vcc, v[1:2], v[4:5]
	v_mov_b32_dpp v8, v6 quad_perm:[1,0,3,2] row_mask:0xf bank_mask:0xf bound_ctrl:1
	v_cmp_eq_u32_e64 s[0:1], 1, v7
	v_and_b32_e32 v8, 1, v8
	s_and_b64 vcc, s[0:1], vcc
	v_cndmask_b32_e32 v4, v4, v1, vcc
	v_cndmask_b32_e32 v5, v5, v2, vcc
	v_cmp_eq_u32_e32 vcc, 1, v8
	v_cndmask_b32_e32 v2, v2, v5, vcc
	v_cndmask_b32_e32 v1, v1, v4, vcc
	v_cndmask_b32_e64 v6, v6, 1, vcc
	v_mov_b32_dpp v5, v2 quad_perm:[2,3,0,1] row_mask:0xf bank_mask:0xf bound_ctrl:1
	v_mov_b32_dpp v4, v1 quad_perm:[2,3,0,1] row_mask:0xf bank_mask:0xf bound_ctrl:1
	v_and_b32_e32 v8, 1, v6
	v_cmp_lt_i64_e64 s[0:1], v[1:2], v[4:5]
	v_mov_b32_dpp v7, v6 quad_perm:[2,3,0,1] row_mask:0xf bank_mask:0xf bound_ctrl:1
	v_cmp_eq_u32_e32 vcc, 1, v8
	v_and_b32_e32 v7, 1, v7
	s_and_b64 vcc, vcc, s[0:1]
	v_cmp_eq_u32_e64 s[2:3], 1, v7
	v_cndmask_b32_e32 v4, v4, v1, vcc
	v_cndmask_b32_e32 v5, v5, v2, vcc
	v_cndmask_b32_e64 v2, v2, v5, s[2:3]
	v_cndmask_b32_e64 v1, v1, v4, s[2:3]
	;; [unrolled: 1-line block ×3, first 2 shown]
	v_mov_b32_dpp v5, v2 row_ror:4 row_mask:0xf bank_mask:0xf bound_ctrl:1
	v_mov_b32_dpp v4, v1 row_ror:4 row_mask:0xf bank_mask:0xf bound_ctrl:1
	v_and_b32_e32 v8, 1, v6
	v_cmp_lt_i64_e64 s[0:1], v[1:2], v[4:5]
	v_mov_b32_dpp v7, v6 row_ror:4 row_mask:0xf bank_mask:0xf bound_ctrl:1
	v_cmp_eq_u32_e32 vcc, 1, v8
	v_and_b32_e32 v7, 1, v7
	s_and_b64 vcc, vcc, s[0:1]
	v_cmp_eq_u32_e64 s[2:3], 1, v7
	v_cndmask_b32_e32 v4, v4, v1, vcc
	v_cndmask_b32_e32 v5, v5, v2, vcc
	v_cndmask_b32_e64 v2, v2, v5, s[2:3]
	v_cndmask_b32_e64 v1, v1, v4, s[2:3]
	;; [unrolled: 1-line block ×3, first 2 shown]
	v_mov_b32_dpp v5, v2 row_ror:8 row_mask:0xf bank_mask:0xf bound_ctrl:1
	v_mov_b32_dpp v4, v1 row_ror:8 row_mask:0xf bank_mask:0xf bound_ctrl:1
	v_and_b32_e32 v8, 1, v6
	v_cmp_lt_i64_e64 s[0:1], v[1:2], v[4:5]
	v_mov_b32_dpp v7, v6 row_ror:8 row_mask:0xf bank_mask:0xf bound_ctrl:1
	v_cmp_eq_u32_e32 vcc, 1, v8
	v_and_b32_e32 v7, 1, v7
	s_and_b64 vcc, vcc, s[0:1]
	v_cmp_eq_u32_e64 s[2:3], 1, v7
	v_cndmask_b32_e32 v4, v4, v1, vcc
	v_cndmask_b32_e32 v5, v5, v2, vcc
	v_cndmask_b32_e64 v2, v2, v5, s[2:3]
	v_cndmask_b32_e64 v1, v1, v4, s[2:3]
	;; [unrolled: 1-line block ×3, first 2 shown]
	v_mov_b32_dpp v5, v2 row_bcast:15 row_mask:0xf bank_mask:0xf bound_ctrl:1
	v_mov_b32_dpp v4, v1 row_bcast:15 row_mask:0xf bank_mask:0xf bound_ctrl:1
	v_and_b32_e32 v8, 1, v6
	v_cmp_lt_i64_e64 s[0:1], v[1:2], v[4:5]
	v_mov_b32_dpp v7, v6 row_bcast:15 row_mask:0xf bank_mask:0xf bound_ctrl:1
	v_cmp_eq_u32_e32 vcc, 1, v8
	v_and_b32_e32 v7, 1, v7
	s_and_b64 vcc, vcc, s[0:1]
	v_cmp_eq_u32_e64 s[2:3], 1, v7
	v_cndmask_b32_e32 v4, v4, v1, vcc
	v_cndmask_b32_e32 v5, v5, v2, vcc
	v_cndmask_b32_e64 v2, v2, v5, s[2:3]
	v_cndmask_b32_e64 v1, v1, v4, s[2:3]
	;; [unrolled: 1-line block ×3, first 2 shown]
	v_mov_b32_dpp v5, v2 row_bcast:31 row_mask:0xf bank_mask:0xf bound_ctrl:1
	v_mov_b32_dpp v4, v1 row_bcast:31 row_mask:0xf bank_mask:0xf bound_ctrl:1
	v_and_b32_e32 v8, 1, v6
	v_cmp_lt_i64_e64 s[0:1], v[1:2], v[4:5]
	v_mov_b32_dpp v7, v6 row_bcast:31 row_mask:0xf bank_mask:0xf bound_ctrl:1
	v_cmp_eq_u32_e32 vcc, 1, v8
	v_mbcnt_lo_u32_b32 v3, -1, 0
	v_and_b32_e32 v7, 1, v7
	s_and_b64 vcc, vcc, s[0:1]
	v_mbcnt_hi_u32_b32 v3, -1, v3
	v_cmp_eq_u32_e64 s[2:3], 1, v7
	v_cndmask_b32_e32 v5, v5, v2, vcc
	v_cndmask_b32_e32 v4, v4, v1, vcc
	v_cndmask_b32_e64 v2, v2, v5, s[2:3]
	v_lshlrev_b32_e32 v5, 2, v3
	v_cndmask_b32_e64 v6, v6, 1, s[2:3]
	v_cndmask_b32_e64 v1, v1, v4, s[2:3]
	v_or_b32_e32 v4, 0xfc, v5
	ds_bpermute_b32 v17, v4, v6
	ds_bpermute_b32 v1, v4, v1
	;; [unrolled: 1-line block ×3, first 2 shown]
	v_cmp_eq_u32_e32 vcc, 0, v3
	s_and_saveexec_b64 s[0:1], vcc
	s_xor_b64 s[0:1], exec, s[0:1]
	s_cbranch_execz .LBB49_30
; %bb.29:
	v_lshrrev_b32_e32 v4, 2, v0
	v_and_b32_e32 v4, 16, v4
	s_waitcnt lgkmcnt(2)
	ds_write_b8 v4, v17 offset:96
	s_waitcnt lgkmcnt(1)
	ds_write_b64 v4, v[1:2] offset:104
.LBB49_30:
	s_or_b64 exec, exec, s[0:1]
	v_cmp_gt_u32_e32 vcc, 64, v0
	s_waitcnt lgkmcnt(0)
	s_barrier
	s_and_saveexec_b64 s[0:1], vcc
	s_cbranch_execz .LBB49_36
; %bb.31:
	v_and_b32_e32 v1, 1, v3
	v_lshlrev_b32_e32 v1, 4, v1
	ds_read_u8 v7, v1 offset:96
	ds_read_b64 v[3:4], v1 offset:104
	v_or_b32_e32 v2, 4, v5
	s_waitcnt lgkmcnt(1)
	v_and_b32_e32 v1, 0xff, v7
	ds_bpermute_b32 v8, v2, v1
	s_waitcnt lgkmcnt(1)
	ds_bpermute_b32 v5, v2, v3
	ds_bpermute_b32 v6, v2, v4
	s_waitcnt lgkmcnt(2)
	v_and_b32_e32 v1, v7, v8
	v_and_b32_e32 v1, 1, v1
	v_cmp_eq_u32_e32 vcc, 1, v1
                                        ; implicit-def: $vgpr1_vgpr2
	s_and_saveexec_b64 s[2:3], vcc
	s_xor_b64 s[2:3], exec, s[2:3]
	s_cbranch_execz .LBB49_33
; %bb.32:
	s_waitcnt lgkmcnt(0)
	v_cmp_lt_i64_e32 vcc, v[5:6], v[3:4]
                                        ; implicit-def: $vgpr7
                                        ; implicit-def: $vgpr8
	v_cndmask_b32_e32 v2, v4, v6, vcc
	v_cndmask_b32_e32 v1, v3, v5, vcc
                                        ; implicit-def: $vgpr5_vgpr6
                                        ; implicit-def: $vgpr3_vgpr4
.LBB49_33:
	s_or_saveexec_b64 s[2:3], s[2:3]
	v_mov_b32_e32 v17, 1
	s_xor_b64 exec, exec, s[2:3]
	s_cbranch_execz .LBB49_35
; %bb.34:
	v_and_b32_e32 v1, 1, v7
	v_cmp_eq_u32_e32 vcc, 1, v1
	s_waitcnt lgkmcnt(0)
	v_cndmask_b32_e32 v2, v6, v4, vcc
	v_cndmask_b32_e32 v1, v5, v3, vcc
	v_cndmask_b32_e64 v17, v8, 1, vcc
.LBB49_35:
	s_or_b64 exec, exec, s[2:3]
.LBB49_36:
	s_or_b64 exec, exec, s[0:1]
	s_branch .LBB49_177
.LBB49_37:
	s_mov_b64 s[14:15], 0
                                        ; implicit-def: $vgpr3_vgpr4
                                        ; implicit-def: $vgpr5
                                        ; implicit-def: $vgpr1_vgpr2
	s_cbranch_execnz .LBB49_251
	s_branch .LBB49_334
.LBB49_38:
	s_mov_b64 s[24:25], -1
.LBB49_39:
	s_mov_b64 s[14:15], 0
                                        ; implicit-def: $vgpr3_vgpr4
                                        ; implicit-def: $vgpr5
                                        ; implicit-def: $vgpr1_vgpr2
	s_and_b64 vcc, exec, s[24:25]
	s_cbranch_vccz .LBB49_182
.LBB49_40:
	s_cmp_eq_u32 s29, 4
	s_cbranch_scc0 .LBB49_59
; %bb.41:
	s_mov_b32 s7, 0
	s_lshl_b32 s10, s6, 9
	s_mov_b32 s11, s7
	s_lshr_b64 s[0:1], s[22:23], 9
	s_lshl_b64 s[2:3], s[10:11], 4
	s_add_u32 s8, s20, s2
	s_addc_u32 s9, s21, s3
	s_cmp_lg_u64 s[0:1], s[6:7]
	s_cbranch_scc0 .LBB49_83
; %bb.42:
	v_lshlrev_b32_e32 v1, 4, v0
	v_mov_b32_e32 v2, s9
	s_waitcnt lgkmcnt(2)
	v_add_co_u32_e32 v3, vcc, s8, v1
	v_addc_co_u32_e32 v2, vcc, 0, v2, vcc
	s_waitcnt lgkmcnt(1)
	v_add_co_u32_e32 v5, vcc, 0x1000, v3
	s_waitcnt lgkmcnt(0)
	v_addc_co_u32_e32 v6, vcc, 0, v2, vcc
	global_load_ubyte v13, v1, s[8:9]
	global_load_dwordx2 v[7:8], v1, s[8:9] offset:8
	global_load_ubyte v14, v1, s[8:9] offset:2048
	global_load_dwordx2 v[9:10], v1, s[8:9] offset:2056
	global_load_ubyte v12, v[5:6], off
	global_load_dwordx2 v[3:4], v[5:6], off offset:8
	global_load_ubyte v11, v[5:6], off offset:2048
	s_nop 0
	global_load_dwordx2 v[1:2], v[5:6], off offset:2056
	s_waitcnt vmcnt(5)
	v_and_b32_e32 v5, v14, v13
	v_and_b32_e32 v5, 1, v5
	v_cmp_eq_u32_e32 vcc, 1, v5
                                        ; implicit-def: $vgpr5_vgpr6
	s_and_saveexec_b64 s[0:1], vcc
	s_xor_b64 s[0:1], exec, s[0:1]
	s_cbranch_execz .LBB49_44
; %bb.43:
	s_waitcnt vmcnt(4)
	v_cmp_lt_i64_e32 vcc, v[9:10], v[7:8]
                                        ; implicit-def: $vgpr13
                                        ; implicit-def: $vgpr14
	v_cndmask_b32_e32 v6, v8, v10, vcc
	v_cndmask_b32_e32 v5, v7, v9, vcc
                                        ; implicit-def: $vgpr9_vgpr10
                                        ; implicit-def: $vgpr7_vgpr8
.LBB49_44:
	s_or_saveexec_b64 s[0:1], s[0:1]
	s_mov_b64 s[12:13], -1
	s_xor_b64 exec, exec, s[0:1]
	s_cbranch_execz .LBB49_46
; %bb.45:
	v_and_b32_e32 v5, 1, v13
	v_or_b32_e32 v6, v14, v13
	v_mov_b32_e32 v13, 0
	v_cmp_ne_u16_sdwa s[2:3], v6, v13 src0_sel:BYTE_0 src1_sel:DWORD
	v_cmp_eq_u32_e32 vcc, 1, v5
	s_waitcnt vmcnt(4)
	v_cndmask_b32_e32 v6, v10, v8, vcc
	v_cndmask_b32_e32 v5, v9, v7, vcc
	s_orn2_b64 s[12:13], s[2:3], exec
.LBB49_46:
	s_or_b64 exec, exec, s[0:1]
	s_waitcnt vmcnt(3)
	v_and_b32_e32 v7, 1, v12
	v_cmp_eq_u32_e32 vcc, 1, v7
	s_and_b64 s[0:1], s[12:13], vcc
	s_xor_b64 s[0:1], s[0:1], -1
                                        ; implicit-def: $sgpr2_sgpr3
                                        ; implicit-def: $vgpr7_vgpr8
	s_and_saveexec_b64 s[16:17], s[0:1]
	s_xor_b64 s[0:1], exec, s[16:17]
	s_cbranch_execz .LBB49_48
; %bb.47:
	s_or_b64 s[2:3], s[12:13], vcc
	s_waitcnt vmcnt(2)
	v_cndmask_b32_e64 v8, v4, v6, s[12:13]
	v_cndmask_b32_e64 v7, v3, v5, s[12:13]
                                        ; implicit-def: $vgpr3_vgpr4
                                        ; implicit-def: $vgpr5_vgpr6
.LBB49_48:
	s_andn2_saveexec_b64 s[0:1], s[0:1]
	s_cbranch_execz .LBB49_50
; %bb.49:
	s_waitcnt vmcnt(2)
	v_cmp_lt_i64_e32 vcc, v[3:4], v[5:6]
	s_or_b64 s[2:3], s[2:3], exec
	v_cndmask_b32_e32 v8, v6, v4, vcc
	v_cndmask_b32_e32 v7, v5, v3, vcc
.LBB49_50:
	s_or_b64 exec, exec, s[0:1]
	s_waitcnt vmcnt(1)
	v_and_b32_e32 v3, 1, v11
	s_waitcnt vmcnt(0)
	v_cmp_lt_i64_e64 s[0:1], v[1:2], v[7:8]
	v_cmp_eq_u32_e32 vcc, 1, v3
	s_and_b64 vcc, vcc, s[0:1]
	v_cndmask_b32_e32 v3, v7, v1, vcc
	v_cndmask_b32_e32 v4, v8, v2, vcc
	v_cndmask_b32_e64 v2, v2, v4, s[2:3]
	v_cndmask_b32_e64 v1, v1, v3, s[2:3]
	;; [unrolled: 1-line block ×3, first 2 shown]
	v_mov_b32_dpp v5, v2 quad_perm:[1,0,3,2] row_mask:0xf bank_mask:0xf bound_ctrl:1
	v_mov_b32_dpp v4, v1 quad_perm:[1,0,3,2] row_mask:0xf bank_mask:0xf bound_ctrl:1
	v_and_b32_e32 v7, 0xff, v6
	v_and_b32_e32 v6, 1, v6
	v_cmp_lt_i64_e32 vcc, v[1:2], v[4:5]
	v_mov_b32_dpp v8, v7 quad_perm:[1,0,3,2] row_mask:0xf bank_mask:0xf bound_ctrl:1
	v_cmp_eq_u32_e64 s[0:1], 1, v6
	v_and_b32_e32 v8, 1, v8
	s_and_b64 vcc, s[0:1], vcc
	v_cndmask_b32_e32 v4, v4, v1, vcc
	v_cndmask_b32_e32 v5, v5, v2, vcc
	v_cmp_eq_u32_e32 vcc, 1, v8
	v_cndmask_b32_e32 v2, v2, v5, vcc
	v_cndmask_b32_e32 v1, v1, v4, vcc
	v_cndmask_b32_e64 v6, v7, 1, vcc
	v_mov_b32_dpp v5, v2 quad_perm:[2,3,0,1] row_mask:0xf bank_mask:0xf bound_ctrl:1
	v_mov_b32_dpp v4, v1 quad_perm:[2,3,0,1] row_mask:0xf bank_mask:0xf bound_ctrl:1
	v_and_b32_e32 v8, 1, v6
	v_cmp_lt_i64_e64 s[0:1], v[1:2], v[4:5]
	v_mov_b32_dpp v7, v6 quad_perm:[2,3,0,1] row_mask:0xf bank_mask:0xf bound_ctrl:1
	v_cmp_eq_u32_e32 vcc, 1, v8
	v_and_b32_e32 v7, 1, v7
	s_and_b64 vcc, vcc, s[0:1]
	v_cmp_eq_u32_e64 s[2:3], 1, v7
	v_cndmask_b32_e32 v4, v4, v1, vcc
	v_cndmask_b32_e32 v5, v5, v2, vcc
	v_cndmask_b32_e64 v2, v2, v5, s[2:3]
	v_cndmask_b32_e64 v1, v1, v4, s[2:3]
	;; [unrolled: 1-line block ×3, first 2 shown]
	v_mov_b32_dpp v5, v2 row_ror:4 row_mask:0xf bank_mask:0xf bound_ctrl:1
	v_mov_b32_dpp v4, v1 row_ror:4 row_mask:0xf bank_mask:0xf bound_ctrl:1
	v_and_b32_e32 v8, 1, v6
	v_cmp_lt_i64_e64 s[0:1], v[1:2], v[4:5]
	v_mov_b32_dpp v7, v6 row_ror:4 row_mask:0xf bank_mask:0xf bound_ctrl:1
	v_cmp_eq_u32_e32 vcc, 1, v8
	v_and_b32_e32 v7, 1, v7
	s_and_b64 vcc, vcc, s[0:1]
	v_cmp_eq_u32_e64 s[2:3], 1, v7
	v_cndmask_b32_e32 v4, v4, v1, vcc
	v_cndmask_b32_e32 v5, v5, v2, vcc
	v_cndmask_b32_e64 v2, v2, v5, s[2:3]
	v_cndmask_b32_e64 v1, v1, v4, s[2:3]
	;; [unrolled: 1-line block ×3, first 2 shown]
	v_mov_b32_dpp v5, v2 row_ror:8 row_mask:0xf bank_mask:0xf bound_ctrl:1
	v_mov_b32_dpp v4, v1 row_ror:8 row_mask:0xf bank_mask:0xf bound_ctrl:1
	v_and_b32_e32 v8, 1, v6
	v_cmp_lt_i64_e64 s[0:1], v[1:2], v[4:5]
	v_mov_b32_dpp v7, v6 row_ror:8 row_mask:0xf bank_mask:0xf bound_ctrl:1
	v_cmp_eq_u32_e32 vcc, 1, v8
	v_and_b32_e32 v7, 1, v7
	s_and_b64 vcc, vcc, s[0:1]
	v_cmp_eq_u32_e64 s[2:3], 1, v7
	v_cndmask_b32_e32 v4, v4, v1, vcc
	v_cndmask_b32_e32 v5, v5, v2, vcc
	v_cndmask_b32_e64 v2, v2, v5, s[2:3]
	v_cndmask_b32_e64 v1, v1, v4, s[2:3]
	;; [unrolled: 1-line block ×3, first 2 shown]
	v_mov_b32_dpp v5, v2 row_bcast:15 row_mask:0xf bank_mask:0xf bound_ctrl:1
	v_mov_b32_dpp v4, v1 row_bcast:15 row_mask:0xf bank_mask:0xf bound_ctrl:1
	v_and_b32_e32 v8, 1, v6
	v_cmp_lt_i64_e64 s[0:1], v[1:2], v[4:5]
	v_mov_b32_dpp v7, v6 row_bcast:15 row_mask:0xf bank_mask:0xf bound_ctrl:1
	v_cmp_eq_u32_e32 vcc, 1, v8
	v_and_b32_e32 v7, 1, v7
	s_and_b64 vcc, vcc, s[0:1]
	v_cmp_eq_u32_e64 s[2:3], 1, v7
	v_cndmask_b32_e32 v4, v4, v1, vcc
	v_cndmask_b32_e32 v5, v5, v2, vcc
	v_cndmask_b32_e64 v2, v2, v5, s[2:3]
	v_cndmask_b32_e64 v1, v1, v4, s[2:3]
	;; [unrolled: 1-line block ×3, first 2 shown]
	v_mov_b32_dpp v5, v2 row_bcast:31 row_mask:0xf bank_mask:0xf bound_ctrl:1
	v_mov_b32_dpp v4, v1 row_bcast:31 row_mask:0xf bank_mask:0xf bound_ctrl:1
	v_and_b32_e32 v8, 1, v6
	v_cmp_lt_i64_e64 s[0:1], v[1:2], v[4:5]
	v_mov_b32_dpp v7, v6 row_bcast:31 row_mask:0xf bank_mask:0xf bound_ctrl:1
	v_cmp_eq_u32_e32 vcc, 1, v8
	v_mbcnt_lo_u32_b32 v3, -1, 0
	v_and_b32_e32 v7, 1, v7
	s_and_b64 vcc, vcc, s[0:1]
	v_mbcnt_hi_u32_b32 v3, -1, v3
	v_cmp_eq_u32_e64 s[2:3], 1, v7
	v_cndmask_b32_e32 v5, v5, v2, vcc
	v_cndmask_b32_e32 v4, v4, v1, vcc
	v_cndmask_b32_e64 v2, v2, v5, s[2:3]
	v_lshlrev_b32_e32 v5, 2, v3
	v_cndmask_b32_e64 v6, v6, 1, s[2:3]
	v_cndmask_b32_e64 v1, v1, v4, s[2:3]
	v_or_b32_e32 v4, 0xfc, v5
	ds_bpermute_b32 v9, v4, v6
	ds_bpermute_b32 v1, v4, v1
	;; [unrolled: 1-line block ×3, first 2 shown]
	v_cmp_eq_u32_e32 vcc, 0, v3
	s_and_saveexec_b64 s[0:1], vcc
	s_xor_b64 s[0:1], exec, s[0:1]
	s_cbranch_execz .LBB49_52
; %bb.51:
	v_lshrrev_b32_e32 v4, 2, v0
	v_and_b32_e32 v4, 16, v4
	s_waitcnt lgkmcnt(2)
	ds_write_b8 v4, v9 offset:64
	s_waitcnt lgkmcnt(1)
	ds_write_b64 v4, v[1:2] offset:72
.LBB49_52:
	s_or_b64 exec, exec, s[0:1]
	v_cmp_gt_u32_e32 vcc, 64, v0
	s_waitcnt lgkmcnt(0)
	s_barrier
	s_and_saveexec_b64 s[0:1], vcc
	s_cbranch_execz .LBB49_58
; %bb.53:
	v_and_b32_e32 v1, 1, v3
	v_lshlrev_b32_e32 v1, 4, v1
	ds_read_u8 v7, v1 offset:64
	ds_read_b64 v[3:4], v1 offset:72
	v_or_b32_e32 v2, 4, v5
	s_waitcnt lgkmcnt(1)
	v_and_b32_e32 v1, 0xff, v7
	ds_bpermute_b32 v8, v2, v1
	s_waitcnt lgkmcnt(1)
	ds_bpermute_b32 v5, v2, v3
	ds_bpermute_b32 v6, v2, v4
	s_waitcnt lgkmcnt(2)
	v_and_b32_e32 v1, v7, v8
	v_and_b32_e32 v1, 1, v1
	v_cmp_eq_u32_e32 vcc, 1, v1
                                        ; implicit-def: $vgpr1_vgpr2
	s_and_saveexec_b64 s[2:3], vcc
	s_xor_b64 s[2:3], exec, s[2:3]
	s_cbranch_execz .LBB49_55
; %bb.54:
	s_waitcnt lgkmcnt(0)
	v_cmp_lt_i64_e32 vcc, v[5:6], v[3:4]
                                        ; implicit-def: $vgpr7
                                        ; implicit-def: $vgpr8
	v_cndmask_b32_e32 v2, v4, v6, vcc
	v_cndmask_b32_e32 v1, v3, v5, vcc
                                        ; implicit-def: $vgpr5_vgpr6
                                        ; implicit-def: $vgpr3_vgpr4
.LBB49_55:
	s_or_saveexec_b64 s[2:3], s[2:3]
	v_mov_b32_e32 v9, 1
	s_xor_b64 exec, exec, s[2:3]
	s_cbranch_execz .LBB49_57
; %bb.56:
	v_and_b32_e32 v1, 1, v7
	v_cmp_eq_u32_e32 vcc, 1, v1
	s_waitcnt lgkmcnt(0)
	v_cndmask_b32_e32 v2, v6, v4, vcc
	v_cndmask_b32_e32 v1, v5, v3, vcc
	v_cndmask_b32_e64 v9, v8, 1, vcc
.LBB49_57:
	s_or_b64 exec, exec, s[2:3]
.LBB49_58:
	s_or_b64 exec, exec, s[0:1]
	s_branch .LBB49_246
.LBB49_59:
                                        ; implicit-def: $vgpr3_vgpr4
                                        ; implicit-def: $vgpr5
                                        ; implicit-def: $vgpr1_vgpr2
	s_branch .LBB49_334
.LBB49_60:
                                        ; implicit-def: $vgpr1_vgpr2
                                        ; implicit-def: $vgpr17
	s_cbranch_execz .LBB49_177
; %bb.61:
	s_sub_i32 s30, s22, s8
	v_mov_b32_e32 v15, 0
	v_mov_b32_e32 v1, 0
	v_cmp_gt_u32_e32 vcc, s30, v0
	v_mov_b32_e32 v24, 0
	v_mov_b32_e32 v16, 0
	;; [unrolled: 1-line block ×4, first 2 shown]
	s_and_saveexec_b64 s[0:1], vcc
	s_cbranch_execz .LBB49_63
; %bb.62:
	v_lshlrev_b32_e32 v3, 4, v0
	global_load_ubyte v17, v3, s[16:17]
	global_load_dwordx2 v[1:2], v3, s[16:17] offset:8
.LBB49_63:
	s_or_b64 exec, exec, s[0:1]
	v_or_b32_e32 v3, 0x80, v0
	v_cmp_gt_u32_e64 s[14:15], s30, v3
	s_and_saveexec_b64 s[0:1], s[14:15]
	s_cbranch_execz .LBB49_65
; %bb.64:
	v_lshlrev_b32_e32 v3, 4, v0
	global_load_ubyte v24, v3, s[16:17] offset:2048
	global_load_dwordx2 v[15:16], v3, s[16:17] offset:2056
.LBB49_65:
	s_or_b64 exec, exec, s[0:1]
	v_or_b32_e32 v3, 0x100, v0
	v_mov_b32_e32 v11, 0
	v_mov_b32_e32 v13, 0
	v_cmp_gt_u32_e64 s[12:13], s30, v3
	v_mov_b32_e32 v22, 0
	v_mov_b32_e32 v12, 0
	;; [unrolled: 1-line block ×4, first 2 shown]
	s_and_saveexec_b64 s[0:1], s[12:13]
	s_cbranch_execz .LBB49_67
; %bb.66:
	v_lshlrev_b32_e32 v3, 4, v3
	global_load_ubyte v23, v3, s[16:17]
	global_load_dwordx2 v[13:14], v3, s[16:17] offset:8
.LBB49_67:
	s_or_b64 exec, exec, s[0:1]
	v_or_b32_e32 v3, 0x180, v0
	v_cmp_gt_u32_e64 s[10:11], s30, v3
	s_and_saveexec_b64 s[0:1], s[10:11]
	s_cbranch_execz .LBB49_69
; %bb.68:
	v_lshlrev_b32_e32 v3, 4, v3
	global_load_ubyte v22, v3, s[16:17]
	global_load_dwordx2 v[11:12], v3, s[16:17] offset:8
.LBB49_69:
	s_or_b64 exec, exec, s[0:1]
	v_or_b32_e32 v3, 0x200, v0
	v_mov_b32_e32 v7, 0
	v_mov_b32_e32 v9, 0
	v_cmp_gt_u32_e64 s[8:9], s30, v3
	v_mov_b32_e32 v20, 0
	v_mov_b32_e32 v8, 0
	;; [unrolled: 1-line block ×4, first 2 shown]
	s_and_saveexec_b64 s[0:1], s[8:9]
	s_cbranch_execz .LBB49_71
; %bb.70:
	v_lshlrev_b32_e32 v3, 4, v3
	global_load_ubyte v21, v3, s[16:17]
	global_load_dwordx2 v[9:10], v3, s[16:17] offset:8
.LBB49_71:
	s_or_b64 exec, exec, s[0:1]
	v_or_b32_e32 v3, 0x280, v0
	v_cmp_gt_u32_e64 s[2:3], s30, v3
	s_and_saveexec_b64 s[0:1], s[2:3]
	s_cbranch_execz .LBB49_73
; %bb.72:
	v_lshlrev_b32_e32 v3, 4, v3
	global_load_ubyte v20, v3, s[16:17]
	global_load_dwordx2 v[7:8], v3, s[16:17] offset:8
.LBB49_73:
	s_or_b64 exec, exec, s[0:1]
	v_or_b32_e32 v25, 0x300, v0
	v_mov_b32_e32 v3, 0
	s_waitcnt lgkmcnt(0)
	v_mov_b32_e32 v5, 0
	v_cmp_gt_u32_e64 s[0:1], s30, v25
	v_mov_b32_e32 v4, 0
	v_mov_b32_e32 v18, 0
	;; [unrolled: 1-line block ×4, first 2 shown]
	s_and_saveexec_b64 s[26:27], s[0:1]
	s_cbranch_execz .LBB49_75
; %bb.74:
	v_lshlrev_b32_e32 v25, 4, v25
	global_load_ubyte v19, v25, s[16:17]
	global_load_dwordx2 v[5:6], v25, s[16:17] offset:8
.LBB49_75:
	s_or_b64 exec, exec, s[26:27]
	v_or_b32_e32 v25, 0x380, v0
	v_cmp_gt_u32_e32 vcc, s30, v25
	s_and_saveexec_b64 s[26:27], vcc
	s_cbranch_execnz .LBB49_94
; %bb.76:
	s_or_b64 exec, exec, s[26:27]
	s_and_saveexec_b64 s[26:27], s[14:15]
	s_cbranch_execnz .LBB49_95
.LBB49_77:
	s_or_b64 exec, exec, s[26:27]
	s_and_saveexec_b64 s[16:17], s[12:13]
	s_cbranch_execnz .LBB49_100
.LBB49_78:
	s_or_b64 exec, exec, s[16:17]
	s_and_saveexec_b64 s[14:15], s[10:11]
	s_cbranch_execnz .LBB49_105
.LBB49_79:
	s_or_b64 exec, exec, s[14:15]
	s_and_saveexec_b64 s[12:13], s[8:9]
	s_cbranch_execnz .LBB49_110
.LBB49_80:
	s_or_b64 exec, exec, s[12:13]
	s_and_saveexec_b64 s[10:11], s[2:3]
	s_cbranch_execnz .LBB49_115
.LBB49_81:
	s_or_b64 exec, exec, s[10:11]
	s_and_saveexec_b64 s[8:9], s[0:1]
	s_cbranch_execnz .LBB49_120
.LBB49_82:
	s_or_b64 exec, exec, s[8:9]
	s_and_saveexec_b64 s[2:3], vcc
	s_cbranch_execnz .LBB49_125
	s_branch .LBB49_130
.LBB49_83:
                                        ; implicit-def: $vgpr1_vgpr2
                                        ; implicit-def: $vgpr9
	s_cbranch_execz .LBB49_246
; %bb.84:
	s_sub_i32 s12, s22, s10
	s_waitcnt lgkmcnt(1)
	v_mov_b32_e32 v7, 0
	v_mov_b32_e32 v1, 0
	v_cmp_gt_u32_e32 vcc, s12, v0
	v_mov_b32_e32 v12, 0
	v_mov_b32_e32 v8, 0
	;; [unrolled: 1-line block ×4, first 2 shown]
	s_and_saveexec_b64 s[0:1], vcc
	s_cbranch_execz .LBB49_86
; %bb.85:
	v_lshlrev_b32_e32 v3, 4, v0
	global_load_ubyte v9, v3, s[8:9]
	global_load_dwordx2 v[1:2], v3, s[8:9] offset:8
.LBB49_86:
	s_or_b64 exec, exec, s[0:1]
	v_or_b32_e32 v3, 0x80, v0
	v_cmp_gt_u32_e64 s[2:3], s12, v3
	s_and_saveexec_b64 s[0:1], s[2:3]
	s_cbranch_execz .LBB49_88
; %bb.87:
	v_lshlrev_b32_e32 v3, 4, v0
	global_load_ubyte v12, v3, s[8:9] offset:2048
	global_load_dwordx2 v[7:8], v3, s[8:9] offset:2056
.LBB49_88:
	s_or_b64 exec, exec, s[0:1]
	v_or_b32_e32 v13, 0x100, v0
	s_waitcnt lgkmcnt(0)
	v_mov_b32_e32 v3, 0
	v_mov_b32_e32 v5, 0
	v_cmp_gt_u32_e64 s[0:1], s12, v13
	v_mov_b32_e32 v10, 0
	v_mov_b32_e32 v4, 0
	;; [unrolled: 1-line block ×4, first 2 shown]
	s_and_saveexec_b64 s[10:11], s[0:1]
	s_cbranch_execz .LBB49_90
; %bb.89:
	v_lshlrev_b32_e32 v13, 4, v13
	global_load_ubyte v11, v13, s[8:9]
	global_load_dwordx2 v[5:6], v13, s[8:9] offset:8
.LBB49_90:
	s_or_b64 exec, exec, s[10:11]
	v_or_b32_e32 v13, 0x180, v0
	v_cmp_gt_u32_e32 vcc, s12, v13
	s_and_saveexec_b64 s[10:11], vcc
	s_cbranch_execnz .LBB49_183
; %bb.91:
	s_or_b64 exec, exec, s[10:11]
	s_and_saveexec_b64 s[10:11], s[2:3]
	s_cbranch_execnz .LBB49_184
.LBB49_92:
	s_or_b64 exec, exec, s[10:11]
	s_and_saveexec_b64 s[8:9], s[0:1]
	s_cbranch_execnz .LBB49_189
.LBB49_93:
	s_or_b64 exec, exec, s[8:9]
	s_and_saveexec_b64 s[2:3], vcc
	s_cbranch_execnz .LBB49_194
	s_branch .LBB49_199
.LBB49_94:
	v_lshlrev_b32_e32 v25, 4, v25
	global_load_ubyte v18, v25, s[16:17]
	global_load_dwordx2 v[3:4], v25, s[16:17] offset:8
	s_or_b64 exec, exec, s[26:27]
	s_and_saveexec_b64 s[26:27], s[14:15]
	s_cbranch_execz .LBB49_77
.LBB49_95:
	s_waitcnt vmcnt(1)
	v_and_b32_e32 v17, 1, v17
	v_cmp_eq_u32_e64 s[14:15], 1, v17
	v_and_b32_e32 v17, 1, v24
	v_cmp_eq_u32_e64 s[16:17], 1, v17
	s_and_b64 s[16:17], s[14:15], s[16:17]
	s_xor_b64 s[16:17], s[16:17], -1
                                        ; implicit-def: $vgpr17
	s_and_saveexec_b64 s[34:35], s[16:17]
	s_xor_b64 s[16:17], exec, s[34:35]
	s_cbranch_execz .LBB49_97
; %bb.96:
	v_and_b32_e32 v17, 0xff, v24
	v_cndmask_b32_e64 v17, v17, 1, s[14:15]
	s_waitcnt vmcnt(0)
	v_cndmask_b32_e64 v2, v16, v2, s[14:15]
	v_cndmask_b32_e64 v1, v15, v1, s[14:15]
                                        ; implicit-def: $vgpr15_vgpr16
.LBB49_97:
	s_andn2_saveexec_b64 s[16:17], s[16:17]
	s_cbranch_execz .LBB49_99
; %bb.98:
	s_waitcnt vmcnt(0)
	v_cmp_lt_i64_e64 s[14:15], v[15:16], v[1:2]
	v_mov_b32_e32 v17, 1
	v_cndmask_b32_e64 v2, v2, v16, s[14:15]
	v_cndmask_b32_e64 v1, v1, v15, s[14:15]
.LBB49_99:
	s_or_b64 exec, exec, s[16:17]
	s_or_b64 exec, exec, s[26:27]
	s_and_saveexec_b64 s[16:17], s[12:13]
	s_cbranch_execz .LBB49_78
.LBB49_100:
	s_waitcnt vmcnt(0)
	v_and_b32_e32 v15, 1, v17
	v_cmp_eq_u32_e64 s[12:13], 1, v15
	v_and_b32_e32 v15, 1, v23
	v_cmp_eq_u32_e64 s[14:15], 1, v15
	s_and_b64 s[14:15], s[12:13], s[14:15]
	s_xor_b64 s[14:15], s[14:15], -1
                                        ; implicit-def: $vgpr17
	s_and_saveexec_b64 s[26:27], s[14:15]
	s_xor_b64 s[14:15], exec, s[26:27]
; %bb.101:
	v_and_b32_e32 v15, 0xff, v23
	v_cndmask_b32_e64 v17, v15, 1, s[12:13]
	v_cndmask_b32_e64 v2, v14, v2, s[12:13]
	;; [unrolled: 1-line block ×3, first 2 shown]
                                        ; implicit-def: $vgpr13_vgpr14
; %bb.102:
	s_andn2_saveexec_b64 s[14:15], s[14:15]
; %bb.103:
	v_cmp_lt_i64_e64 s[12:13], v[13:14], v[1:2]
	v_mov_b32_e32 v17, 1
	v_cndmask_b32_e64 v2, v2, v14, s[12:13]
	v_cndmask_b32_e64 v1, v1, v13, s[12:13]
; %bb.104:
	s_or_b64 exec, exec, s[14:15]
	s_or_b64 exec, exec, s[16:17]
	s_and_saveexec_b64 s[14:15], s[10:11]
	s_cbranch_execz .LBB49_79
.LBB49_105:
	s_waitcnt vmcnt(0)
	v_and_b32_e32 v13, 1, v17
	v_cmp_eq_u32_e64 s[10:11], 1, v13
	v_and_b32_e32 v13, 1, v22
	v_cmp_eq_u32_e64 s[12:13], 1, v13
	s_and_b64 s[12:13], s[10:11], s[12:13]
	s_xor_b64 s[12:13], s[12:13], -1
                                        ; implicit-def: $vgpr17
	s_and_saveexec_b64 s[16:17], s[12:13]
	s_xor_b64 s[12:13], exec, s[16:17]
; %bb.106:
	v_and_b32_e32 v13, 0xff, v22
	v_cndmask_b32_e64 v17, v13, 1, s[10:11]
	v_cndmask_b32_e64 v2, v12, v2, s[10:11]
	;; [unrolled: 1-line block ×3, first 2 shown]
                                        ; implicit-def: $vgpr11_vgpr12
; %bb.107:
	s_andn2_saveexec_b64 s[12:13], s[12:13]
; %bb.108:
	v_cmp_lt_i64_e64 s[10:11], v[11:12], v[1:2]
	v_mov_b32_e32 v17, 1
	v_cndmask_b32_e64 v2, v2, v12, s[10:11]
	v_cndmask_b32_e64 v1, v1, v11, s[10:11]
; %bb.109:
	s_or_b64 exec, exec, s[12:13]
	s_or_b64 exec, exec, s[14:15]
	s_and_saveexec_b64 s[12:13], s[8:9]
	s_cbranch_execz .LBB49_80
.LBB49_110:
	s_waitcnt vmcnt(0)
	v_and_b32_e32 v11, 1, v17
	v_cmp_eq_u32_e64 s[8:9], 1, v11
	v_and_b32_e32 v11, 1, v21
	v_cmp_eq_u32_e64 s[10:11], 1, v11
	s_and_b64 s[10:11], s[8:9], s[10:11]
	s_xor_b64 s[10:11], s[10:11], -1
                                        ; implicit-def: $vgpr17
	s_and_saveexec_b64 s[14:15], s[10:11]
	s_xor_b64 s[10:11], exec, s[14:15]
; %bb.111:
	v_and_b32_e32 v11, 0xff, v21
	v_cndmask_b32_e64 v17, v11, 1, s[8:9]
	v_cndmask_b32_e64 v2, v10, v2, s[8:9]
	;; [unrolled: 1-line block ×3, first 2 shown]
                                        ; implicit-def: $vgpr9_vgpr10
; %bb.112:
	s_andn2_saveexec_b64 s[10:11], s[10:11]
; %bb.113:
	v_cmp_lt_i64_e64 s[8:9], v[9:10], v[1:2]
	v_mov_b32_e32 v17, 1
	v_cndmask_b32_e64 v2, v2, v10, s[8:9]
	v_cndmask_b32_e64 v1, v1, v9, s[8:9]
; %bb.114:
	s_or_b64 exec, exec, s[10:11]
	s_or_b64 exec, exec, s[12:13]
	s_and_saveexec_b64 s[10:11], s[2:3]
	s_cbranch_execz .LBB49_81
.LBB49_115:
	s_waitcnt vmcnt(0)
	v_and_b32_e32 v9, 1, v17
	v_cmp_eq_u32_e64 s[2:3], 1, v9
	v_and_b32_e32 v9, 1, v20
	v_cmp_eq_u32_e64 s[8:9], 1, v9
	s_and_b64 s[8:9], s[2:3], s[8:9]
	s_xor_b64 s[8:9], s[8:9], -1
                                        ; implicit-def: $vgpr17
	s_and_saveexec_b64 s[12:13], s[8:9]
	s_xor_b64 s[8:9], exec, s[12:13]
; %bb.116:
	v_and_b32_e32 v9, 0xff, v20
	v_cndmask_b32_e64 v17, v9, 1, s[2:3]
	v_cndmask_b32_e64 v2, v8, v2, s[2:3]
	;; [unrolled: 1-line block ×3, first 2 shown]
                                        ; implicit-def: $vgpr7_vgpr8
; %bb.117:
	s_andn2_saveexec_b64 s[8:9], s[8:9]
; %bb.118:
	v_cmp_lt_i64_e64 s[2:3], v[7:8], v[1:2]
	v_mov_b32_e32 v17, 1
	v_cndmask_b32_e64 v2, v2, v8, s[2:3]
	v_cndmask_b32_e64 v1, v1, v7, s[2:3]
; %bb.119:
	s_or_b64 exec, exec, s[8:9]
	s_or_b64 exec, exec, s[10:11]
	s_and_saveexec_b64 s[8:9], s[0:1]
	s_cbranch_execz .LBB49_82
.LBB49_120:
	s_waitcnt vmcnt(0)
	v_and_b32_e32 v7, 1, v17
	v_cmp_eq_u32_e64 s[0:1], 1, v7
	v_and_b32_e32 v7, 1, v19
	v_cmp_eq_u32_e64 s[2:3], 1, v7
	s_and_b64 s[2:3], s[0:1], s[2:3]
	s_xor_b64 s[2:3], s[2:3], -1
                                        ; implicit-def: $vgpr17
	s_and_saveexec_b64 s[10:11], s[2:3]
	s_xor_b64 s[2:3], exec, s[10:11]
; %bb.121:
	v_and_b32_e32 v7, 0xff, v19
	v_cndmask_b32_e64 v17, v7, 1, s[0:1]
	v_cndmask_b32_e64 v2, v6, v2, s[0:1]
	;; [unrolled: 1-line block ×3, first 2 shown]
                                        ; implicit-def: $vgpr5_vgpr6
; %bb.122:
	s_andn2_saveexec_b64 s[2:3], s[2:3]
; %bb.123:
	v_cmp_lt_i64_e64 s[0:1], v[5:6], v[1:2]
	v_mov_b32_e32 v17, 1
	v_cndmask_b32_e64 v2, v2, v6, s[0:1]
	v_cndmask_b32_e64 v1, v1, v5, s[0:1]
; %bb.124:
	s_or_b64 exec, exec, s[2:3]
	s_or_b64 exec, exec, s[8:9]
	s_and_saveexec_b64 s[2:3], vcc
	s_cbranch_execz .LBB49_130
.LBB49_125:
	s_waitcnt vmcnt(0)
	v_and_b32_e32 v5, 1, v17
	v_cmp_eq_u32_e32 vcc, 1, v5
	v_and_b32_e32 v5, 1, v18
	v_cmp_eq_u32_e64 s[0:1], 1, v5
	s_and_b64 s[0:1], vcc, s[0:1]
	s_xor_b64 s[0:1], s[0:1], -1
                                        ; implicit-def: $vgpr17
	s_and_saveexec_b64 s[8:9], s[0:1]
	s_xor_b64 s[0:1], exec, s[8:9]
; %bb.126:
	v_and_b32_e32 v5, 0xff, v18
	v_cndmask_b32_e64 v17, v5, 1, vcc
	v_cndmask_b32_e32 v2, v4, v2, vcc
	v_cndmask_b32_e32 v1, v3, v1, vcc
                                        ; implicit-def: $vgpr3_vgpr4
; %bb.127:
	s_andn2_saveexec_b64 s[0:1], s[0:1]
; %bb.128:
	v_cmp_lt_i64_e32 vcc, v[3:4], v[1:2]
	v_mov_b32_e32 v17, 1
	v_cndmask_b32_e32 v2, v2, v4, vcc
	v_cndmask_b32_e32 v1, v1, v3, vcc
; %bb.129:
	s_or_b64 exec, exec, s[0:1]
.LBB49_130:
	s_or_b64 exec, exec, s[2:3]
	s_waitcnt vmcnt(0)
	v_mbcnt_lo_u32_b32 v3, -1, 0
	v_mbcnt_hi_u32_b32 v5, -1, v3
	v_and_b32_e32 v6, 63, v5
	v_cmp_ne_u32_e32 vcc, 63, v6
	v_addc_co_u32_e32 v3, vcc, 0, v5, vcc
	v_lshlrev_b32_e32 v4, 2, v3
	ds_bpermute_b32 v8, v4, v17
	ds_bpermute_b32 v3, v4, v1
	;; [unrolled: 1-line block ×3, first 2 shown]
	s_min_u32 s8, s30, 0x80
	v_and_b32_e32 v7, 64, v0
	v_sub_u32_e64 v7, s8, v7 clamp
	v_add_u32_e32 v9, 1, v6
	v_cmp_lt_u32_e32 vcc, v9, v7
	s_and_saveexec_b64 s[0:1], vcc
	s_xor_b64 s[0:1], exec, s[0:1]
	s_cbranch_execz .LBB49_136
; %bb.131:
	s_waitcnt lgkmcnt(2)
	v_and_b32_e32 v9, v8, v17
	v_cmp_ne_u32_e32 vcc, 0, v9
	s_and_saveexec_b64 s[2:3], vcc
	s_xor_b64 s[2:3], exec, s[2:3]
	s_cbranch_execz .LBB49_133
; %bb.132:
	s_waitcnt lgkmcnt(0)
	v_cmp_lt_i64_e32 vcc, v[3:4], v[1:2]
                                        ; implicit-def: $vgpr17
                                        ; implicit-def: $vgpr8
	v_cndmask_b32_e32 v2, v2, v4, vcc
	v_cndmask_b32_e32 v1, v1, v3, vcc
                                        ; implicit-def: $vgpr3_vgpr4
.LBB49_133:
	s_or_saveexec_b64 s[2:3], s[2:3]
	v_mov_b32_e32 v9, 1
	s_xor_b64 exec, exec, s[2:3]
	s_cbranch_execz .LBB49_135
; %bb.134:
	v_and_b32_e32 v9, 1, v17
	v_cmp_eq_u32_e32 vcc, 1, v9
	s_waitcnt lgkmcnt(1)
	v_cndmask_b32_e32 v1, v3, v1, vcc
	v_and_b32_e32 v3, 0xff, v8
	s_waitcnt lgkmcnt(0)
	v_cndmask_b32_e32 v2, v4, v2, vcc
	v_cndmask_b32_e64 v9, v3, 1, vcc
.LBB49_135:
	s_or_b64 exec, exec, s[2:3]
	v_mov_b32_e32 v17, v9
.LBB49_136:
	s_or_b64 exec, exec, s[0:1]
	v_cmp_gt_u32_e32 vcc, 62, v6
	s_waitcnt lgkmcnt(1)
	v_cndmask_b32_e64 v3, 0, 2, vcc
	s_waitcnt lgkmcnt(0)
	v_add_lshl_u32 v4, v3, v5, 2
	ds_bpermute_b32 v8, v4, v17
	ds_bpermute_b32 v3, v4, v1
	ds_bpermute_b32 v4, v4, v2
	v_add_u32_e32 v9, 2, v6
	v_cmp_lt_u32_e32 vcc, v9, v7
	s_and_saveexec_b64 s[0:1], vcc
	s_cbranch_execz .LBB49_142
; %bb.137:
	s_waitcnt lgkmcnt(2)
	v_and_b32_e32 v9, v17, v8
	v_and_b32_e32 v9, 1, v9
	v_cmp_eq_u32_e32 vcc, 1, v9
	s_and_saveexec_b64 s[2:3], vcc
	s_xor_b64 s[2:3], exec, s[2:3]
	s_cbranch_execz .LBB49_139
; %bb.138:
	s_waitcnt lgkmcnt(0)
	v_cmp_lt_i64_e32 vcc, v[3:4], v[1:2]
                                        ; implicit-def: $vgpr17
                                        ; implicit-def: $vgpr8
	v_cndmask_b32_e32 v2, v2, v4, vcc
	v_cndmask_b32_e32 v1, v1, v3, vcc
                                        ; implicit-def: $vgpr3_vgpr4
.LBB49_139:
	s_or_saveexec_b64 s[2:3], s[2:3]
	v_mov_b32_e32 v9, 1
	s_xor_b64 exec, exec, s[2:3]
	s_cbranch_execz .LBB49_141
; %bb.140:
	v_and_b32_e32 v9, 1, v17
	v_cmp_eq_u32_e32 vcc, 1, v9
	s_waitcnt lgkmcnt(1)
	v_cndmask_b32_e32 v1, v3, v1, vcc
	v_and_b32_e32 v3, 0xff, v8
	s_waitcnt lgkmcnt(0)
	v_cndmask_b32_e32 v2, v4, v2, vcc
	v_cndmask_b32_e64 v9, v3, 1, vcc
.LBB49_141:
	s_or_b64 exec, exec, s[2:3]
	v_mov_b32_e32 v17, v9
.LBB49_142:
	s_or_b64 exec, exec, s[0:1]
	v_cmp_gt_u32_e32 vcc, 60, v6
	s_waitcnt lgkmcnt(1)
	v_cndmask_b32_e64 v3, 0, 4, vcc
	s_waitcnt lgkmcnt(0)
	v_add_lshl_u32 v4, v3, v5, 2
	ds_bpermute_b32 v8, v4, v17
	ds_bpermute_b32 v3, v4, v1
	ds_bpermute_b32 v4, v4, v2
	v_add_u32_e32 v9, 4, v6
	v_cmp_lt_u32_e32 vcc, v9, v7
	s_and_saveexec_b64 s[0:1], vcc
	s_cbranch_execz .LBB49_148
; %bb.143:
	s_waitcnt lgkmcnt(2)
	v_and_b32_e32 v9, v17, v8
	v_and_b32_e32 v9, 1, v9
	v_cmp_eq_u32_e32 vcc, 1, v9
	s_and_saveexec_b64 s[2:3], vcc
	s_xor_b64 s[2:3], exec, s[2:3]
	s_cbranch_execz .LBB49_145
; %bb.144:
	s_waitcnt lgkmcnt(0)
	v_cmp_lt_i64_e32 vcc, v[3:4], v[1:2]
                                        ; implicit-def: $vgpr17
                                        ; implicit-def: $vgpr8
	v_cndmask_b32_e32 v2, v2, v4, vcc
	v_cndmask_b32_e32 v1, v1, v3, vcc
                                        ; implicit-def: $vgpr3_vgpr4
.LBB49_145:
	s_or_saveexec_b64 s[2:3], s[2:3]
	v_mov_b32_e32 v9, 1
	s_xor_b64 exec, exec, s[2:3]
	s_cbranch_execz .LBB49_147
; %bb.146:
	v_and_b32_e32 v9, 1, v17
	v_cmp_eq_u32_e32 vcc, 1, v9
	s_waitcnt lgkmcnt(1)
	v_cndmask_b32_e32 v1, v3, v1, vcc
	v_and_b32_e32 v3, 0xff, v8
	s_waitcnt lgkmcnt(0)
	v_cndmask_b32_e32 v2, v4, v2, vcc
	v_cndmask_b32_e64 v9, v3, 1, vcc
.LBB49_147:
	s_or_b64 exec, exec, s[2:3]
	v_mov_b32_e32 v17, v9
.LBB49_148:
	;; [unrolled: 47-line block ×4, first 2 shown]
	s_or_b64 exec, exec, s[0:1]
	s_waitcnt lgkmcnt(2)
	v_lshlrev_b32_e32 v8, 2, v5
	s_waitcnt lgkmcnt(0)
	v_or_b32_e32 v4, 0x80, v8
	ds_bpermute_b32 v9, v4, v17
	ds_bpermute_b32 v3, v4, v1
	;; [unrolled: 1-line block ×3, first 2 shown]
	v_add_u32_e32 v6, 32, v6
	v_cmp_lt_u32_e32 vcc, v6, v7
	v_mov_b32_e32 v6, v17
	s_and_saveexec_b64 s[0:1], vcc
	s_cbranch_execz .LBB49_166
; %bb.161:
	s_waitcnt lgkmcnt(2)
	v_and_b32_e32 v6, v17, v9
	v_and_b32_e32 v6, 1, v6
	v_cmp_eq_u32_e32 vcc, 1, v6
	s_and_saveexec_b64 s[2:3], vcc
	s_xor_b64 s[2:3], exec, s[2:3]
	s_cbranch_execz .LBB49_163
; %bb.162:
	s_waitcnt lgkmcnt(0)
	v_cmp_lt_i64_e32 vcc, v[3:4], v[1:2]
                                        ; implicit-def: $vgpr17
                                        ; implicit-def: $vgpr9
	v_cndmask_b32_e32 v2, v2, v4, vcc
	v_cndmask_b32_e32 v1, v1, v3, vcc
                                        ; implicit-def: $vgpr3_vgpr4
.LBB49_163:
	s_or_saveexec_b64 s[2:3], s[2:3]
	v_mov_b32_e32 v6, 1
	s_xor_b64 exec, exec, s[2:3]
	s_cbranch_execz .LBB49_165
; %bb.164:
	v_and_b32_e32 v6, 1, v17
	v_cmp_eq_u32_e32 vcc, 1, v6
	v_cndmask_b32_e64 v6, v9, 1, vcc
	s_waitcnt lgkmcnt(0)
	v_cndmask_b32_e32 v2, v4, v2, vcc
	v_cndmask_b32_e32 v1, v3, v1, vcc
.LBB49_165:
	s_or_b64 exec, exec, s[2:3]
	v_and_b32_e32 v17, 0xff, v6
.LBB49_166:
	s_or_b64 exec, exec, s[0:1]
	v_cmp_eq_u32_e32 vcc, 0, v5
	s_and_saveexec_b64 s[0:1], vcc
	s_cbranch_execz .LBB49_168
; %bb.167:
	s_waitcnt lgkmcnt(1)
	v_lshrrev_b32_e32 v3, 2, v0
	v_and_b32_e32 v3, 16, v3
	ds_write_b8 v3, v6 offset:128
	ds_write_b64 v3, v[1:2] offset:136
.LBB49_168:
	s_or_b64 exec, exec, s[0:1]
	v_cmp_gt_u32_e32 vcc, 2, v0
	s_waitcnt lgkmcnt(0)
	s_barrier
	s_and_saveexec_b64 s[0:1], vcc
	s_cbranch_execz .LBB49_176
; %bb.169:
	v_lshlrev_b32_e32 v1, 4, v5
	ds_read_u8 v6, v1 offset:128
	ds_read_b64 v[1:2], v1 offset:136
	v_or_b32_e32 v4, 4, v8
	s_add_i32 s8, s8, 63
	v_and_b32_e32 v5, 1, v5
	s_waitcnt lgkmcnt(1)
	v_and_b32_e32 v17, 0xff, v6
	s_waitcnt lgkmcnt(0)
	ds_bpermute_b32 v3, v4, v1
	ds_bpermute_b32 v7, v4, v17
	;; [unrolled: 1-line block ×3, first 2 shown]
	s_lshr_b32 s2, s8, 6
	v_add_u32_e32 v5, 1, v5
	v_cmp_gt_u32_e32 vcc, s2, v5
	s_and_saveexec_b64 s[2:3], vcc
	s_cbranch_execz .LBB49_175
; %bb.170:
	s_waitcnt lgkmcnt(1)
	v_and_b32_e32 v5, v17, v7
	v_and_b32_e32 v5, 1, v5
	v_cmp_eq_u32_e32 vcc, 1, v5
	s_and_saveexec_b64 s[8:9], vcc
	s_xor_b64 s[8:9], exec, s[8:9]
	s_cbranch_execz .LBB49_172
; %bb.171:
	s_waitcnt lgkmcnt(0)
	v_cmp_lt_i64_e32 vcc, v[3:4], v[1:2]
                                        ; implicit-def: $vgpr6
                                        ; implicit-def: $vgpr7
	v_cndmask_b32_e32 v2, v2, v4, vcc
	v_cndmask_b32_e32 v1, v1, v3, vcc
                                        ; implicit-def: $vgpr3_vgpr4
.LBB49_172:
	s_or_saveexec_b64 s[8:9], s[8:9]
	v_mov_b32_e32 v17, 1
	s_xor_b64 exec, exec, s[8:9]
	s_cbranch_execz .LBB49_174
; %bb.173:
	v_and_b32_e32 v5, 1, v6
	v_cmp_eq_u32_e32 vcc, 1, v5
	s_waitcnt lgkmcnt(0)
	v_cndmask_b32_e32 v2, v4, v2, vcc
	v_cndmask_b32_e32 v1, v3, v1, vcc
	v_cndmask_b32_e64 v17, v7, 1, vcc
.LBB49_174:
	s_or_b64 exec, exec, s[8:9]
.LBB49_175:
	s_or_b64 exec, exec, s[2:3]
.LBB49_176:
	s_or_b64 exec, exec, s[0:1]
.LBB49_177:
	v_cmp_eq_u32_e32 vcc, 0, v0
	s_mov_b64 s[14:15], 0
                                        ; implicit-def: $vgpr3_vgpr4
                                        ; implicit-def: $vgpr5
	s_and_saveexec_b64 s[0:1], vcc
	s_xor_b64 s[8:9], exec, s[0:1]
	s_cbranch_execz .LBB49_181
; %bb.178:
	s_waitcnt lgkmcnt(0)
	v_mov_b32_e32 v3, s18
	s_cmp_eq_u64 s[22:23], 0
	v_mov_b32_e32 v4, s19
	v_mov_b32_e32 v5, s28
	s_cbranch_scc1 .LBB49_180
; %bb.179:
	v_and_b32_e32 v3, 1, v17
	v_cmp_gt_i64_e64 s[0:1], s[18:19], v[1:2]
	s_bitcmp1_b32 s28, 0
	v_cmp_eq_u32_e32 vcc, 1, v3
	s_cselect_b64 s[2:3], -1, 0
	v_mov_b32_e32 v3, s18
	s_and_b64 vcc, vcc, s[0:1]
	v_mov_b32_e32 v4, s19
	v_cndmask_b32_e32 v3, v3, v1, vcc
	v_cndmask_b32_e32 v4, v4, v2, vcc
	v_cndmask_b32_e64 v5, v17, 1, s[2:3]
	v_cndmask_b32_e64 v4, v2, v4, s[2:3]
	;; [unrolled: 1-line block ×3, first 2 shown]
.LBB49_180:
	s_mov_b64 s[14:15], exec
.LBB49_181:
	s_or_b64 exec, exec, s[8:9]
	v_mov_b32_e32 v1, s6
	v_mov_b32_e32 v2, s7
	s_and_b64 vcc, exec, s[24:25]
	s_cbranch_vccnz .LBB49_40
.LBB49_182:
	s_branch .LBB49_334
.LBB49_183:
	v_lshlrev_b32_e32 v13, 4, v13
	global_load_ubyte v10, v13, s[8:9]
	global_load_dwordx2 v[3:4], v13, s[8:9] offset:8
	s_or_b64 exec, exec, s[10:11]
	s_and_saveexec_b64 s[10:11], s[2:3]
	s_cbranch_execz .LBB49_92
.LBB49_184:
	s_waitcnt vmcnt(1)
	v_and_b32_e32 v9, 1, v9
	v_cmp_eq_u32_e64 s[2:3], 1, v9
	v_and_b32_e32 v9, 1, v12
	v_cmp_eq_u32_e64 s[8:9], 1, v9
	s_and_b64 s[8:9], s[2:3], s[8:9]
	s_xor_b64 s[8:9], s[8:9], -1
                                        ; implicit-def: $vgpr9
	s_and_saveexec_b64 s[16:17], s[8:9]
	s_xor_b64 s[8:9], exec, s[16:17]
	s_cbranch_execz .LBB49_186
; %bb.185:
	v_and_b32_e32 v9, 0xff, v12
	v_cndmask_b32_e64 v9, v9, 1, s[2:3]
	s_waitcnt vmcnt(0)
	v_cndmask_b32_e64 v2, v8, v2, s[2:3]
	v_cndmask_b32_e64 v1, v7, v1, s[2:3]
                                        ; implicit-def: $vgpr7_vgpr8
.LBB49_186:
	s_andn2_saveexec_b64 s[8:9], s[8:9]
	s_cbranch_execz .LBB49_188
; %bb.187:
	s_waitcnt vmcnt(0)
	v_cmp_lt_i64_e64 s[2:3], v[7:8], v[1:2]
	v_mov_b32_e32 v9, 1
	v_cndmask_b32_e64 v2, v2, v8, s[2:3]
	v_cndmask_b32_e64 v1, v1, v7, s[2:3]
.LBB49_188:
	s_or_b64 exec, exec, s[8:9]
	s_or_b64 exec, exec, s[10:11]
	s_and_saveexec_b64 s[8:9], s[0:1]
	s_cbranch_execz .LBB49_93
.LBB49_189:
	s_waitcnt vmcnt(0)
	v_and_b32_e32 v7, 1, v9
	v_cmp_eq_u32_e64 s[0:1], 1, v7
	v_and_b32_e32 v7, 1, v11
	v_cmp_eq_u32_e64 s[2:3], 1, v7
	s_and_b64 s[2:3], s[0:1], s[2:3]
	s_xor_b64 s[2:3], s[2:3], -1
                                        ; implicit-def: $vgpr9
	s_and_saveexec_b64 s[10:11], s[2:3]
	s_xor_b64 s[2:3], exec, s[10:11]
; %bb.190:
	v_and_b32_e32 v7, 0xff, v11
	v_cndmask_b32_e64 v9, v7, 1, s[0:1]
	v_cndmask_b32_e64 v2, v6, v2, s[0:1]
	;; [unrolled: 1-line block ×3, first 2 shown]
                                        ; implicit-def: $vgpr5_vgpr6
; %bb.191:
	s_andn2_saveexec_b64 s[2:3], s[2:3]
; %bb.192:
	v_cmp_lt_i64_e64 s[0:1], v[5:6], v[1:2]
	v_mov_b32_e32 v9, 1
	v_cndmask_b32_e64 v2, v2, v6, s[0:1]
	v_cndmask_b32_e64 v1, v1, v5, s[0:1]
; %bb.193:
	s_or_b64 exec, exec, s[2:3]
	s_or_b64 exec, exec, s[8:9]
	s_and_saveexec_b64 s[2:3], vcc
	s_cbranch_execz .LBB49_199
.LBB49_194:
	s_waitcnt vmcnt(0)
	v_and_b32_e32 v5, 1, v9
	v_cmp_eq_u32_e32 vcc, 1, v5
	v_and_b32_e32 v5, 1, v10
	v_cmp_eq_u32_e64 s[0:1], 1, v5
	s_and_b64 s[0:1], vcc, s[0:1]
	s_xor_b64 s[0:1], s[0:1], -1
                                        ; implicit-def: $vgpr9
	s_and_saveexec_b64 s[8:9], s[0:1]
	s_xor_b64 s[0:1], exec, s[8:9]
; %bb.195:
	v_and_b32_e32 v5, 0xff, v10
	v_cndmask_b32_e64 v9, v5, 1, vcc
	v_cndmask_b32_e32 v2, v4, v2, vcc
	v_cndmask_b32_e32 v1, v3, v1, vcc
                                        ; implicit-def: $vgpr3_vgpr4
; %bb.196:
	s_andn2_saveexec_b64 s[0:1], s[0:1]
; %bb.197:
	v_cmp_lt_i64_e32 vcc, v[3:4], v[1:2]
	v_mov_b32_e32 v9, 1
	v_cndmask_b32_e32 v2, v2, v4, vcc
	v_cndmask_b32_e32 v1, v1, v3, vcc
; %bb.198:
	s_or_b64 exec, exec, s[0:1]
.LBB49_199:
	s_or_b64 exec, exec, s[2:3]
	s_waitcnt vmcnt(0)
	v_mbcnt_lo_u32_b32 v3, -1, 0
	v_mbcnt_hi_u32_b32 v5, -1, v3
	v_and_b32_e32 v6, 63, v5
	v_cmp_ne_u32_e32 vcc, 63, v6
	v_addc_co_u32_e32 v3, vcc, 0, v5, vcc
	v_lshlrev_b32_e32 v4, 2, v3
	ds_bpermute_b32 v8, v4, v9
	ds_bpermute_b32 v3, v4, v1
	;; [unrolled: 1-line block ×3, first 2 shown]
	s_min_u32 s8, s12, 0x80
	v_and_b32_e32 v7, 64, v0
	v_sub_u32_e64 v7, s8, v7 clamp
	v_add_u32_e32 v10, 1, v6
	v_cmp_lt_u32_e32 vcc, v10, v7
	s_and_saveexec_b64 s[0:1], vcc
	s_xor_b64 s[0:1], exec, s[0:1]
	s_cbranch_execz .LBB49_205
; %bb.200:
	s_waitcnt lgkmcnt(2)
	v_and_b32_e32 v10, v8, v9
	v_cmp_ne_u32_e32 vcc, 0, v10
	s_and_saveexec_b64 s[2:3], vcc
	s_xor_b64 s[2:3], exec, s[2:3]
	s_cbranch_execz .LBB49_202
; %bb.201:
	s_waitcnt lgkmcnt(0)
	v_cmp_lt_i64_e32 vcc, v[3:4], v[1:2]
                                        ; implicit-def: $vgpr9
                                        ; implicit-def: $vgpr8
	v_cndmask_b32_e32 v2, v2, v4, vcc
	v_cndmask_b32_e32 v1, v1, v3, vcc
                                        ; implicit-def: $vgpr3_vgpr4
.LBB49_202:
	s_or_saveexec_b64 s[2:3], s[2:3]
	v_mov_b32_e32 v10, 1
	s_xor_b64 exec, exec, s[2:3]
	s_cbranch_execz .LBB49_204
; %bb.203:
	v_and_b32_e32 v9, 1, v9
	v_cmp_eq_u32_e32 vcc, 1, v9
	s_waitcnt lgkmcnt(1)
	v_cndmask_b32_e32 v1, v3, v1, vcc
	v_and_b32_e32 v3, 0xff, v8
	s_waitcnt lgkmcnt(0)
	v_cndmask_b32_e32 v2, v4, v2, vcc
	v_cndmask_b32_e64 v10, v3, 1, vcc
.LBB49_204:
	s_or_b64 exec, exec, s[2:3]
	v_mov_b32_e32 v9, v10
.LBB49_205:
	s_or_b64 exec, exec, s[0:1]
	v_cmp_gt_u32_e32 vcc, 62, v6
	s_waitcnt lgkmcnt(1)
	v_cndmask_b32_e64 v3, 0, 2, vcc
	s_waitcnt lgkmcnt(0)
	v_add_lshl_u32 v4, v3, v5, 2
	ds_bpermute_b32 v8, v4, v9
	ds_bpermute_b32 v3, v4, v1
	ds_bpermute_b32 v4, v4, v2
	v_add_u32_e32 v10, 2, v6
	v_cmp_lt_u32_e32 vcc, v10, v7
	s_and_saveexec_b64 s[0:1], vcc
	s_cbranch_execz .LBB49_211
; %bb.206:
	s_waitcnt lgkmcnt(2)
	v_and_b32_e32 v10, v9, v8
	v_and_b32_e32 v10, 1, v10
	v_cmp_eq_u32_e32 vcc, 1, v10
	s_and_saveexec_b64 s[2:3], vcc
	s_xor_b64 s[2:3], exec, s[2:3]
	s_cbranch_execz .LBB49_208
; %bb.207:
	s_waitcnt lgkmcnt(0)
	v_cmp_lt_i64_e32 vcc, v[3:4], v[1:2]
                                        ; implicit-def: $vgpr9
                                        ; implicit-def: $vgpr8
	v_cndmask_b32_e32 v2, v2, v4, vcc
	v_cndmask_b32_e32 v1, v1, v3, vcc
                                        ; implicit-def: $vgpr3_vgpr4
.LBB49_208:
	s_or_saveexec_b64 s[2:3], s[2:3]
	v_mov_b32_e32 v10, 1
	s_xor_b64 exec, exec, s[2:3]
	s_cbranch_execz .LBB49_210
; %bb.209:
	v_and_b32_e32 v9, 1, v9
	v_cmp_eq_u32_e32 vcc, 1, v9
	s_waitcnt lgkmcnt(1)
	v_cndmask_b32_e32 v1, v3, v1, vcc
	v_and_b32_e32 v3, 0xff, v8
	s_waitcnt lgkmcnt(0)
	v_cndmask_b32_e32 v2, v4, v2, vcc
	v_cndmask_b32_e64 v10, v3, 1, vcc
.LBB49_210:
	s_or_b64 exec, exec, s[2:3]
	v_mov_b32_e32 v9, v10
.LBB49_211:
	s_or_b64 exec, exec, s[0:1]
	v_cmp_gt_u32_e32 vcc, 60, v6
	s_waitcnt lgkmcnt(1)
	v_cndmask_b32_e64 v3, 0, 4, vcc
	s_waitcnt lgkmcnt(0)
	v_add_lshl_u32 v4, v3, v5, 2
	ds_bpermute_b32 v8, v4, v9
	ds_bpermute_b32 v3, v4, v1
	ds_bpermute_b32 v4, v4, v2
	v_add_u32_e32 v10, 4, v6
	v_cmp_lt_u32_e32 vcc, v10, v7
	s_and_saveexec_b64 s[0:1], vcc
	s_cbranch_execz .LBB49_217
; %bb.212:
	s_waitcnt lgkmcnt(2)
	v_and_b32_e32 v10, v9, v8
	v_and_b32_e32 v10, 1, v10
	v_cmp_eq_u32_e32 vcc, 1, v10
	s_and_saveexec_b64 s[2:3], vcc
	s_xor_b64 s[2:3], exec, s[2:3]
	s_cbranch_execz .LBB49_214
; %bb.213:
	s_waitcnt lgkmcnt(0)
	v_cmp_lt_i64_e32 vcc, v[3:4], v[1:2]
                                        ; implicit-def: $vgpr9
                                        ; implicit-def: $vgpr8
	v_cndmask_b32_e32 v2, v2, v4, vcc
	v_cndmask_b32_e32 v1, v1, v3, vcc
                                        ; implicit-def: $vgpr3_vgpr4
.LBB49_214:
	s_or_saveexec_b64 s[2:3], s[2:3]
	v_mov_b32_e32 v10, 1
	s_xor_b64 exec, exec, s[2:3]
	s_cbranch_execz .LBB49_216
; %bb.215:
	v_and_b32_e32 v9, 1, v9
	v_cmp_eq_u32_e32 vcc, 1, v9
	s_waitcnt lgkmcnt(1)
	v_cndmask_b32_e32 v1, v3, v1, vcc
	v_and_b32_e32 v3, 0xff, v8
	s_waitcnt lgkmcnt(0)
	v_cndmask_b32_e32 v2, v4, v2, vcc
	v_cndmask_b32_e64 v10, v3, 1, vcc
.LBB49_216:
	s_or_b64 exec, exec, s[2:3]
	v_mov_b32_e32 v9, v10
.LBB49_217:
	;; [unrolled: 47-line block ×4, first 2 shown]
	s_or_b64 exec, exec, s[0:1]
	s_waitcnt lgkmcnt(2)
	v_lshlrev_b32_e32 v8, 2, v5
	s_waitcnt lgkmcnt(0)
	v_or_b32_e32 v4, 0x80, v8
	ds_bpermute_b32 v10, v4, v9
	ds_bpermute_b32 v3, v4, v1
	;; [unrolled: 1-line block ×3, first 2 shown]
	v_add_u32_e32 v6, 32, v6
	v_cmp_lt_u32_e32 vcc, v6, v7
	v_mov_b32_e32 v6, v9
	s_and_saveexec_b64 s[0:1], vcc
	s_cbranch_execz .LBB49_235
; %bb.230:
	s_waitcnt lgkmcnt(2)
	v_and_b32_e32 v6, v9, v10
	v_and_b32_e32 v6, 1, v6
	v_cmp_eq_u32_e32 vcc, 1, v6
	s_and_saveexec_b64 s[2:3], vcc
	s_xor_b64 s[2:3], exec, s[2:3]
	s_cbranch_execz .LBB49_232
; %bb.231:
	s_waitcnt lgkmcnt(0)
	v_cmp_lt_i64_e32 vcc, v[3:4], v[1:2]
                                        ; implicit-def: $vgpr9
                                        ; implicit-def: $vgpr10
	v_cndmask_b32_e32 v2, v2, v4, vcc
	v_cndmask_b32_e32 v1, v1, v3, vcc
                                        ; implicit-def: $vgpr3_vgpr4
.LBB49_232:
	s_or_saveexec_b64 s[2:3], s[2:3]
	v_mov_b32_e32 v6, 1
	s_xor_b64 exec, exec, s[2:3]
	s_cbranch_execz .LBB49_234
; %bb.233:
	v_and_b32_e32 v6, 1, v9
	v_cmp_eq_u32_e32 vcc, 1, v6
	v_cndmask_b32_e64 v6, v10, 1, vcc
	s_waitcnt lgkmcnt(0)
	v_cndmask_b32_e32 v2, v4, v2, vcc
	v_cndmask_b32_e32 v1, v3, v1, vcc
.LBB49_234:
	s_or_b64 exec, exec, s[2:3]
	v_and_b32_e32 v9, 0xff, v6
.LBB49_235:
	s_or_b64 exec, exec, s[0:1]
	v_cmp_eq_u32_e32 vcc, 0, v5
	s_and_saveexec_b64 s[0:1], vcc
	s_cbranch_execz .LBB49_237
; %bb.236:
	s_waitcnt lgkmcnt(1)
	v_lshrrev_b32_e32 v3, 2, v0
	v_and_b32_e32 v3, 16, v3
	ds_write_b8 v3, v6 offset:128
	ds_write_b64 v3, v[1:2] offset:136
.LBB49_237:
	s_or_b64 exec, exec, s[0:1]
	v_cmp_gt_u32_e32 vcc, 2, v0
	s_waitcnt lgkmcnt(0)
	s_barrier
	s_and_saveexec_b64 s[0:1], vcc
	s_cbranch_execz .LBB49_245
; %bb.238:
	v_lshlrev_b32_e32 v1, 4, v5
	ds_read_u8 v6, v1 offset:128
	ds_read_b64 v[1:2], v1 offset:136
	v_or_b32_e32 v4, 4, v8
	s_add_i32 s8, s8, 63
	v_and_b32_e32 v5, 1, v5
	s_waitcnt lgkmcnt(1)
	v_and_b32_e32 v9, 0xff, v6
	s_waitcnt lgkmcnt(0)
	ds_bpermute_b32 v3, v4, v1
	ds_bpermute_b32 v7, v4, v9
	;; [unrolled: 1-line block ×3, first 2 shown]
	s_lshr_b32 s2, s8, 6
	v_add_u32_e32 v5, 1, v5
	v_cmp_gt_u32_e32 vcc, s2, v5
	s_and_saveexec_b64 s[2:3], vcc
	s_cbranch_execz .LBB49_244
; %bb.239:
	s_waitcnt lgkmcnt(1)
	v_and_b32_e32 v5, v9, v7
	v_and_b32_e32 v5, 1, v5
	v_cmp_eq_u32_e32 vcc, 1, v5
	s_and_saveexec_b64 s[8:9], vcc
	s_xor_b64 s[8:9], exec, s[8:9]
	s_cbranch_execz .LBB49_241
; %bb.240:
	s_waitcnt lgkmcnt(0)
	v_cmp_lt_i64_e32 vcc, v[3:4], v[1:2]
                                        ; implicit-def: $vgpr6
                                        ; implicit-def: $vgpr7
	v_cndmask_b32_e32 v2, v2, v4, vcc
	v_cndmask_b32_e32 v1, v1, v3, vcc
                                        ; implicit-def: $vgpr3_vgpr4
.LBB49_241:
	s_or_saveexec_b64 s[8:9], s[8:9]
	v_mov_b32_e32 v9, 1
	s_xor_b64 exec, exec, s[8:9]
	s_cbranch_execz .LBB49_243
; %bb.242:
	v_and_b32_e32 v5, 1, v6
	v_cmp_eq_u32_e32 vcc, 1, v5
	s_waitcnt lgkmcnt(0)
	v_cndmask_b32_e32 v2, v4, v2, vcc
	v_cndmask_b32_e32 v1, v3, v1, vcc
	v_cndmask_b32_e64 v9, v7, 1, vcc
.LBB49_243:
	s_or_b64 exec, exec, s[8:9]
.LBB49_244:
	s_or_b64 exec, exec, s[2:3]
.LBB49_245:
	s_or_b64 exec, exec, s[0:1]
.LBB49_246:
	v_cmp_eq_u32_e32 vcc, 0, v0
                                        ; implicit-def: $vgpr3_vgpr4
                                        ; implicit-def: $vgpr5
	s_and_saveexec_b64 s[0:1], vcc
	s_xor_b64 s[8:9], exec, s[0:1]
	s_cbranch_execz .LBB49_250
; %bb.247:
	s_waitcnt lgkmcnt(0)
	v_mov_b32_e32 v3, s18
	s_cmp_eq_u64 s[22:23], 0
	v_mov_b32_e32 v4, s19
	v_mov_b32_e32 v5, s28
	s_cbranch_scc1 .LBB49_249
; %bb.248:
	v_and_b32_e32 v3, 1, v9
	v_cmp_gt_i64_e64 s[0:1], s[18:19], v[1:2]
	s_bitcmp1_b32 s28, 0
	v_cmp_eq_u32_e32 vcc, 1, v3
	s_cselect_b64 s[2:3], -1, 0
	v_mov_b32_e32 v3, s18
	s_and_b64 vcc, vcc, s[0:1]
	v_mov_b32_e32 v4, s19
	v_cndmask_b32_e32 v3, v3, v1, vcc
	v_cndmask_b32_e32 v4, v4, v2, vcc
	v_cndmask_b32_e64 v5, v9, 1, s[2:3]
	v_cndmask_b32_e64 v4, v2, v4, s[2:3]
	;; [unrolled: 1-line block ×3, first 2 shown]
.LBB49_249:
	s_or_b64 s[14:15], s[14:15], exec
.LBB49_250:
	s_or_b64 exec, exec, s[8:9]
	v_mov_b32_e32 v1, s6
	v_mov_b32_e32 v2, s7
	s_branch .LBB49_334
.LBB49_251:
	s_cmp_gt_i32 s29, 1
	s_cbranch_scc0 .LBB49_263
; %bb.252:
	s_cmp_eq_u32 s29, 2
	s_cbranch_scc0 .LBB49_264
; %bb.253:
	s_mov_b32 s7, 0
	s_lshl_b32 s24, s6, 8
	s_mov_b32 s25, s7
	s_lshr_b64 s[0:1], s[22:23], 8
	s_lshl_b64 s[2:3], s[24:25], 4
	s_add_u32 s16, s20, s2
	s_addc_u32 s17, s21, s3
	s_cmp_lg_u64 s[0:1], s[6:7]
	s_cbranch_scc0 .LBB49_265
; %bb.254:
	s_waitcnt lgkmcnt(2)
	v_lshlrev_b32_e32 v3, 4, v0
	s_waitcnt lgkmcnt(0)
	global_load_ubyte v4, v3, s[16:17]
	global_load_ubyte v8, v3, s[16:17] offset:2048
	global_load_dwordx2 v[1:2], v3, s[16:17] offset:8
	global_load_dwordx2 v[6:7], v3, s[16:17] offset:2056
	v_mbcnt_lo_u32_b32 v3, -1, 0
	v_mbcnt_hi_u32_b32 v3, -1, v3
	v_lshlrev_b32_e32 v5, 2, v3
	v_or_b32_e32 v10, 0xfc, v5
	s_waitcnt vmcnt(3)
	v_and_b32_e32 v4, 1, v4
	s_waitcnt vmcnt(2)
	v_and_b32_e32 v9, 1, v8
	v_cmp_eq_u32_e64 s[0:1], 1, v9
	s_waitcnt vmcnt(0)
	v_cmp_lt_i64_e32 vcc, v[6:7], v[1:2]
	v_cmp_eq_u32_e64 s[2:3], 1, v4
	s_and_b64 vcc, s[0:1], vcc
	v_cndmask_b32_e32 v1, v1, v6, vcc
	v_cndmask_b32_e32 v2, v2, v7, vcc
	v_cndmask_b32_e64 v1, v6, v1, s[2:3]
	v_cndmask_b32_e64 v2, v7, v2, s[2:3]
	;; [unrolled: 1-line block ×3, first 2 shown]
	v_mov_b32_dpp v6, v1 quad_perm:[1,0,3,2] row_mask:0xf bank_mask:0xf bound_ctrl:1
	v_mov_b32_dpp v7, v2 quad_perm:[1,0,3,2] row_mask:0xf bank_mask:0xf bound_ctrl:1
	v_and_b32_e32 v4, 1, v4
	v_cmp_lt_i64_e64 s[0:1], v[1:2], v[6:7]
	v_cmp_eq_u32_e32 vcc, 1, v4
	v_mov_b32_dpp v8, v4 quad_perm:[1,0,3,2] row_mask:0xf bank_mask:0xf bound_ctrl:1
	v_and_b32_e32 v8, 1, v8
	s_and_b64 vcc, vcc, s[0:1]
	v_cndmask_b32_e32 v6, v6, v1, vcc
	v_cndmask_b32_e32 v7, v7, v2, vcc
	v_cmp_eq_u32_e32 vcc, 1, v8
	v_cndmask_b32_e32 v2, v2, v7, vcc
	v_cndmask_b32_e32 v1, v1, v6, vcc
	v_cndmask_b32_e64 v4, v4, 1, vcc
	v_mov_b32_dpp v7, v2 quad_perm:[2,3,0,1] row_mask:0xf bank_mask:0xf bound_ctrl:1
	v_mov_b32_dpp v6, v1 quad_perm:[2,3,0,1] row_mask:0xf bank_mask:0xf bound_ctrl:1
	v_and_b32_e32 v9, 1, v4
	v_cmp_lt_i64_e64 s[0:1], v[1:2], v[6:7]
	v_mov_b32_dpp v8, v4 quad_perm:[2,3,0,1] row_mask:0xf bank_mask:0xf bound_ctrl:1
	v_cmp_eq_u32_e32 vcc, 1, v9
	v_and_b32_e32 v8, 1, v8
	s_and_b64 vcc, vcc, s[0:1]
	v_cmp_eq_u32_e64 s[2:3], 1, v8
	v_cndmask_b32_e32 v6, v6, v1, vcc
	v_cndmask_b32_e32 v7, v7, v2, vcc
	v_cndmask_b32_e64 v1, v1, v6, s[2:3]
	v_cndmask_b32_e64 v2, v2, v7, s[2:3]
	;; [unrolled: 1-line block ×3, first 2 shown]
	v_mov_b32_dpp v6, v1 row_ror:4 row_mask:0xf bank_mask:0xf bound_ctrl:1
	v_mov_b32_dpp v7, v2 row_ror:4 row_mask:0xf bank_mask:0xf bound_ctrl:1
	v_and_b32_e32 v9, 1, v4
	v_cmp_lt_i64_e64 s[2:3], v[1:2], v[6:7]
	v_mov_b32_dpp v8, v4 row_ror:4 row_mask:0xf bank_mask:0xf bound_ctrl:1
	v_cmp_eq_u32_e32 vcc, 1, v9
	v_and_b32_e32 v8, 1, v8
	s_and_b64 vcc, vcc, s[2:3]
	v_cmp_eq_u32_e64 s[0:1], 1, v8
	v_cndmask_b32_e32 v6, v6, v1, vcc
	v_cndmask_b32_e32 v7, v7, v2, vcc
	v_cndmask_b32_e64 v1, v1, v6, s[0:1]
	v_cndmask_b32_e64 v2, v2, v7, s[0:1]
	v_cndmask_b32_e64 v4, v4, 1, s[0:1]
	v_mov_b32_dpp v6, v1 row_ror:8 row_mask:0xf bank_mask:0xf bound_ctrl:1
	v_mov_b32_dpp v7, v2 row_ror:8 row_mask:0xf bank_mask:0xf bound_ctrl:1
	v_and_b32_e32 v9, 1, v4
	v_cmp_lt_i64_e64 s[2:3], v[1:2], v[6:7]
	v_mov_b32_dpp v8, v4 row_ror:8 row_mask:0xf bank_mask:0xf bound_ctrl:1
	v_cmp_eq_u32_e64 s[8:9], 1, v9
	v_and_b32_e32 v8, 1, v8
	s_and_b64 s[2:3], s[8:9], s[2:3]
	v_cmp_eq_u32_e64 s[10:11], 1, v8
	v_cndmask_b32_e64 v6, v6, v1, s[2:3]
	v_cndmask_b32_e64 v7, v7, v2, s[2:3]
	;; [unrolled: 1-line block ×5, first 2 shown]
	v_mov_b32_dpp v8, v4 row_bcast:15 row_mask:0xf bank_mask:0xf bound_ctrl:1
	v_mov_b32_dpp v6, v1 row_bcast:15 row_mask:0xf bank_mask:0xf bound_ctrl:1
	;; [unrolled: 1-line block ×3, first 2 shown]
	v_and_b32_e32 v9, 1, v4
	v_and_b32_e32 v8, 1, v8
	v_cmp_lt_i64_e64 s[2:3], v[1:2], v[6:7]
	v_cmp_eq_u32_e32 vcc, 1, v9
	v_cmp_eq_u32_e64 s[0:1], 1, v8
	v_cndmask_b32_e64 v4, v4, 1, s[0:1]
	s_and_b64 vcc, vcc, s[2:3]
	v_cndmask_b32_e32 v6, v6, v1, vcc
	v_mov_b32_dpp v8, v4 row_bcast:31 row_mask:0xf bank_mask:0xf bound_ctrl:1
	v_cndmask_b32_e32 v7, v7, v2, vcc
	v_and_b32_e32 v9, 1, v4
	v_and_b32_e32 v8, 1, v8
	v_cndmask_b32_e64 v1, v1, v6, s[0:1]
	v_cndmask_b32_e64 v2, v2, v7, s[0:1]
	v_cmp_eq_u32_e64 s[12:13], 1, v9
	v_cmp_eq_u32_e64 s[8:9], 1, v8
	v_mov_b32_dpp v8, v1 row_bcast:31 row_mask:0xf bank_mask:0xf bound_ctrl:1
	v_mov_b32_dpp v9, v2 row_bcast:31 row_mask:0xf bank_mask:0xf bound_ctrl:1
	v_cmp_lt_i64_e32 vcc, v[1:2], v[8:9]
	v_cndmask_b32_e64 v4, v4, 1, s[8:9]
	s_and_b64 vcc, s[12:13], vcc
	ds_bpermute_b32 v7, v10, v4
	v_cndmask_b32_e32 v4, v8, v1, vcc
	v_cndmask_b32_e32 v6, v9, v2, vcc
	v_cndmask_b32_e64 v1, v1, v4, s[8:9]
	v_cndmask_b32_e64 v2, v2, v6, s[8:9]
	ds_bpermute_b32 v1, v10, v1
	ds_bpermute_b32 v2, v10, v2
	v_cmp_eq_u32_e32 vcc, 0, v3
	s_and_saveexec_b64 s[0:1], vcc
	s_cbranch_execz .LBB49_256
; %bb.255:
	v_lshrrev_b32_e32 v4, 2, v0
	v_and_b32_e32 v4, 16, v4
	s_waitcnt lgkmcnt(2)
	ds_write_b8 v4, v7 offset:32
	s_waitcnt lgkmcnt(1)
	ds_write_b64 v4, v[1:2] offset:40
.LBB49_256:
	s_or_b64 exec, exec, s[0:1]
	v_cmp_gt_u32_e32 vcc, 64, v0
	s_waitcnt lgkmcnt(0)
	s_barrier
	s_and_saveexec_b64 s[0:1], vcc
	s_cbranch_execz .LBB49_262
; %bb.257:
	v_and_b32_e32 v1, 1, v3
	v_lshlrev_b32_e32 v1, 4, v1
	ds_read_u8 v8, v1 offset:32
	ds_read_b64 v[3:4], v1 offset:40
	v_or_b32_e32 v2, 4, v5
	s_waitcnt lgkmcnt(1)
	v_and_b32_e32 v1, 0xff, v8
	ds_bpermute_b32 v9, v2, v1
	s_waitcnt lgkmcnt(1)
	ds_bpermute_b32 v5, v2, v3
	ds_bpermute_b32 v6, v2, v4
	s_waitcnt lgkmcnt(2)
	v_and_b32_e32 v1, v8, v9
	v_and_b32_e32 v1, 1, v1
	v_cmp_eq_u32_e32 vcc, 1, v1
                                        ; implicit-def: $vgpr1_vgpr2
	s_and_saveexec_b64 s[2:3], vcc
	s_xor_b64 s[2:3], exec, s[2:3]
	s_cbranch_execz .LBB49_259
; %bb.258:
	s_waitcnt lgkmcnt(0)
	v_cmp_lt_i64_e32 vcc, v[5:6], v[3:4]
                                        ; implicit-def: $vgpr8
                                        ; implicit-def: $vgpr9
	v_cndmask_b32_e32 v2, v4, v6, vcc
	v_cndmask_b32_e32 v1, v3, v5, vcc
                                        ; implicit-def: $vgpr5_vgpr6
                                        ; implicit-def: $vgpr3_vgpr4
.LBB49_259:
	s_or_saveexec_b64 s[2:3], s[2:3]
	v_mov_b32_e32 v7, 1
	s_xor_b64 exec, exec, s[2:3]
	s_cbranch_execz .LBB49_261
; %bb.260:
	v_and_b32_e32 v1, 1, v8
	v_cmp_eq_u32_e32 vcc, 1, v1
	s_waitcnt lgkmcnt(0)
	v_cndmask_b32_e32 v2, v6, v4, vcc
	v_cndmask_b32_e32 v1, v5, v3, vcc
	v_cndmask_b32_e64 v7, v9, 1, vcc
.LBB49_261:
	s_or_b64 exec, exec, s[2:3]
.LBB49_262:
	s_or_b64 exec, exec, s[0:1]
	s_branch .LBB49_317
.LBB49_263:
                                        ; implicit-def: $vgpr3_vgpr4
                                        ; implicit-def: $vgpr5
                                        ; implicit-def: $vgpr1_vgpr2
	s_cbranch_execnz .LBB49_322
	s_branch .LBB49_334
.LBB49_264:
                                        ; implicit-def: $vgpr3_vgpr4
                                        ; implicit-def: $vgpr5
                                        ; implicit-def: $vgpr1_vgpr2
	s_branch .LBB49_334
.LBB49_265:
                                        ; implicit-def: $vgpr1_vgpr2
                                        ; implicit-def: $vgpr7
	s_cbranch_execz .LBB49_317
; %bb.266:
	s_sub_i32 s10, s22, s24
	s_waitcnt lgkmcnt(0)
	v_mov_b32_e32 v3, 0
	v_mov_b32_e32 v1, 0
	v_cmp_gt_u32_e32 vcc, s10, v0
	v_mov_b32_e32 v5, 0
	v_mov_b32_e32 v4, 0
	;; [unrolled: 1-line block ×4, first 2 shown]
	s_and_saveexec_b64 s[0:1], vcc
	s_cbranch_execz .LBB49_268
; %bb.267:
	v_lshlrev_b32_e32 v7, 4, v0
	global_load_ubyte v6, v7, s[16:17]
	global_load_dwordx2 v[1:2], v7, s[16:17] offset:8
.LBB49_268:
	s_or_b64 exec, exec, s[0:1]
	v_or_b32_e32 v7, 0x80, v0
	v_cmp_gt_u32_e32 vcc, s10, v7
	s_and_saveexec_b64 s[0:1], vcc
	s_cbranch_execz .LBB49_270
; %bb.269:
	v_lshlrev_b32_e32 v7, 4, v0
	global_load_ubyte v5, v7, s[16:17] offset:2048
	global_load_dwordx2 v[3:4], v7, s[16:17] offset:2056
.LBB49_270:
	s_or_b64 exec, exec, s[0:1]
	s_waitcnt vmcnt(1)
	v_and_b32_e32 v8, 0xff, v5
	v_and_b32_e32 v5, 1, v5
	s_waitcnt vmcnt(0)
	v_cmp_lt_i64_e64 s[2:3], v[3:4], v[1:2]
	v_cmp_eq_u32_e64 s[0:1], 1, v5
	v_and_b32_e32 v5, 1, v6
	v_cmp_eq_u32_e64 s[8:9], 1, v5
	s_and_b64 s[0:1], s[0:1], s[2:3]
	v_cndmask_b32_e64 v5, v8, 1, s[8:9]
	v_cndmask_b32_e64 v8, v1, v3, s[0:1]
	;; [unrolled: 1-line block ×3, first 2 shown]
	v_and_b32_e32 v7, 0xff, v6
	v_cndmask_b32_e32 v1, v1, v3, vcc
	v_mbcnt_lo_u32_b32 v3, -1, 0
	v_cndmask_b32_e64 v6, v2, v4, s[0:1]
	v_cndmask_b32_e32 v7, v7, v5, vcc
	v_mbcnt_hi_u32_b32 v5, -1, v3
	v_cndmask_b32_e64 v4, v4, v6, s[8:9]
	v_and_b32_e32 v6, 63, v5
	v_cndmask_b32_e32 v2, v2, v4, vcc
	v_cmp_ne_u32_e32 vcc, 63, v6
	v_addc_co_u32_e32 v3, vcc, 0, v5, vcc
	v_lshlrev_b32_e32 v4, 2, v3
	ds_bpermute_b32 v9, v4, v7
	ds_bpermute_b32 v3, v4, v1
	;; [unrolled: 1-line block ×3, first 2 shown]
	s_min_u32 s8, s10, 0x80
	v_and_b32_e32 v8, 64, v0
	v_sub_u32_e64 v8, s8, v8 clamp
	v_add_u32_e32 v10, 1, v6
	v_cmp_lt_u32_e32 vcc, v10, v8
	s_and_saveexec_b64 s[0:1], vcc
	s_cbranch_execz .LBB49_276
; %bb.271:
	s_waitcnt lgkmcnt(2)
	v_and_b32_e32 v10, v9, v7
	v_cmp_ne_u32_e32 vcc, 0, v10
	s_and_saveexec_b64 s[2:3], vcc
	s_xor_b64 s[2:3], exec, s[2:3]
	s_cbranch_execz .LBB49_273
; %bb.272:
	s_waitcnt lgkmcnt(0)
	v_cmp_lt_i64_e32 vcc, v[3:4], v[1:2]
                                        ; implicit-def: $vgpr7
                                        ; implicit-def: $vgpr9
	v_cndmask_b32_e32 v2, v2, v4, vcc
	v_cndmask_b32_e32 v1, v1, v3, vcc
                                        ; implicit-def: $vgpr3_vgpr4
.LBB49_273:
	s_or_saveexec_b64 s[2:3], s[2:3]
	v_mov_b32_e32 v10, 1
	s_xor_b64 exec, exec, s[2:3]
	s_cbranch_execz .LBB49_275
; %bb.274:
	v_and_b32_e32 v7, 1, v7
	v_cmp_eq_u32_e32 vcc, 1, v7
	s_waitcnt lgkmcnt(1)
	v_cndmask_b32_e32 v1, v3, v1, vcc
	v_and_b32_e32 v3, 0xff, v9
	s_waitcnt lgkmcnt(0)
	v_cndmask_b32_e32 v2, v4, v2, vcc
	v_cndmask_b32_e64 v10, v3, 1, vcc
.LBB49_275:
	s_or_b64 exec, exec, s[2:3]
	v_mov_b32_e32 v7, v10
.LBB49_276:
	s_or_b64 exec, exec, s[0:1]
	v_cmp_gt_u32_e32 vcc, 62, v6
	s_waitcnt lgkmcnt(1)
	v_cndmask_b32_e64 v3, 0, 2, vcc
	s_waitcnt lgkmcnt(0)
	v_add_lshl_u32 v4, v3, v5, 2
	ds_bpermute_b32 v9, v4, v7
	ds_bpermute_b32 v3, v4, v1
	ds_bpermute_b32 v4, v4, v2
	v_add_u32_e32 v10, 2, v6
	v_cmp_lt_u32_e32 vcc, v10, v8
	s_and_saveexec_b64 s[0:1], vcc
	s_cbranch_execz .LBB49_282
; %bb.277:
	s_waitcnt lgkmcnt(2)
	v_and_b32_e32 v10, v7, v9
	v_and_b32_e32 v10, 1, v10
	v_cmp_eq_u32_e32 vcc, 1, v10
	s_and_saveexec_b64 s[2:3], vcc
	s_xor_b64 s[2:3], exec, s[2:3]
	s_cbranch_execz .LBB49_279
; %bb.278:
	s_waitcnt lgkmcnt(0)
	v_cmp_lt_i64_e32 vcc, v[3:4], v[1:2]
                                        ; implicit-def: $vgpr7
                                        ; implicit-def: $vgpr9
	v_cndmask_b32_e32 v2, v2, v4, vcc
	v_cndmask_b32_e32 v1, v1, v3, vcc
                                        ; implicit-def: $vgpr3_vgpr4
.LBB49_279:
	s_or_saveexec_b64 s[2:3], s[2:3]
	v_mov_b32_e32 v10, 1
	s_xor_b64 exec, exec, s[2:3]
	s_cbranch_execz .LBB49_281
; %bb.280:
	v_and_b32_e32 v7, 1, v7
	v_cmp_eq_u32_e32 vcc, 1, v7
	s_waitcnt lgkmcnt(1)
	v_cndmask_b32_e32 v1, v3, v1, vcc
	v_and_b32_e32 v3, 0xff, v9
	s_waitcnt lgkmcnt(0)
	v_cndmask_b32_e32 v2, v4, v2, vcc
	v_cndmask_b32_e64 v10, v3, 1, vcc
.LBB49_281:
	s_or_b64 exec, exec, s[2:3]
	v_mov_b32_e32 v7, v10
.LBB49_282:
	s_or_b64 exec, exec, s[0:1]
	v_cmp_gt_u32_e32 vcc, 60, v6
	s_waitcnt lgkmcnt(1)
	v_cndmask_b32_e64 v3, 0, 4, vcc
	s_waitcnt lgkmcnt(0)
	v_add_lshl_u32 v4, v3, v5, 2
	ds_bpermute_b32 v9, v4, v7
	ds_bpermute_b32 v3, v4, v1
	ds_bpermute_b32 v4, v4, v2
	v_add_u32_e32 v10, 4, v6
	v_cmp_lt_u32_e32 vcc, v10, v8
	s_and_saveexec_b64 s[0:1], vcc
	s_cbranch_execz .LBB49_288
; %bb.283:
	s_waitcnt lgkmcnt(2)
	v_and_b32_e32 v10, v7, v9
	v_and_b32_e32 v10, 1, v10
	v_cmp_eq_u32_e32 vcc, 1, v10
	s_and_saveexec_b64 s[2:3], vcc
	s_xor_b64 s[2:3], exec, s[2:3]
	s_cbranch_execz .LBB49_285
; %bb.284:
	s_waitcnt lgkmcnt(0)
	v_cmp_lt_i64_e32 vcc, v[3:4], v[1:2]
                                        ; implicit-def: $vgpr7
                                        ; implicit-def: $vgpr9
	v_cndmask_b32_e32 v2, v2, v4, vcc
	v_cndmask_b32_e32 v1, v1, v3, vcc
                                        ; implicit-def: $vgpr3_vgpr4
.LBB49_285:
	s_or_saveexec_b64 s[2:3], s[2:3]
	v_mov_b32_e32 v10, 1
	s_xor_b64 exec, exec, s[2:3]
	s_cbranch_execz .LBB49_287
; %bb.286:
	v_and_b32_e32 v7, 1, v7
	v_cmp_eq_u32_e32 vcc, 1, v7
	s_waitcnt lgkmcnt(1)
	v_cndmask_b32_e32 v1, v3, v1, vcc
	v_and_b32_e32 v3, 0xff, v9
	s_waitcnt lgkmcnt(0)
	v_cndmask_b32_e32 v2, v4, v2, vcc
	v_cndmask_b32_e64 v10, v3, 1, vcc
.LBB49_287:
	s_or_b64 exec, exec, s[2:3]
	v_mov_b32_e32 v7, v10
.LBB49_288:
	s_or_b64 exec, exec, s[0:1]
	v_cmp_gt_u32_e32 vcc, 56, v6
	s_waitcnt lgkmcnt(1)
	v_cndmask_b32_e64 v3, 0, 8, vcc
	s_waitcnt lgkmcnt(0)
	v_add_lshl_u32 v4, v3, v5, 2
	ds_bpermute_b32 v9, v4, v7
	ds_bpermute_b32 v3, v4, v1
	ds_bpermute_b32 v4, v4, v2
	v_add_u32_e32 v10, 8, v6
	v_cmp_lt_u32_e32 vcc, v10, v8
	s_and_saveexec_b64 s[0:1], vcc
	s_cbranch_execz .LBB49_294
; %bb.289:
	s_waitcnt lgkmcnt(2)
	v_and_b32_e32 v10, v7, v9
	v_and_b32_e32 v10, 1, v10
	v_cmp_eq_u32_e32 vcc, 1, v10
	s_and_saveexec_b64 s[2:3], vcc
	s_xor_b64 s[2:3], exec, s[2:3]
	s_cbranch_execz .LBB49_291
; %bb.290:
	s_waitcnt lgkmcnt(0)
	v_cmp_lt_i64_e32 vcc, v[3:4], v[1:2]
                                        ; implicit-def: $vgpr7
                                        ; implicit-def: $vgpr9
	v_cndmask_b32_e32 v2, v2, v4, vcc
	v_cndmask_b32_e32 v1, v1, v3, vcc
                                        ; implicit-def: $vgpr3_vgpr4
.LBB49_291:
	s_or_saveexec_b64 s[2:3], s[2:3]
	v_mov_b32_e32 v10, 1
	s_xor_b64 exec, exec, s[2:3]
	s_cbranch_execz .LBB49_293
; %bb.292:
	v_and_b32_e32 v7, 1, v7
	v_cmp_eq_u32_e32 vcc, 1, v7
	s_waitcnt lgkmcnt(1)
	v_cndmask_b32_e32 v1, v3, v1, vcc
	v_and_b32_e32 v3, 0xff, v9
	s_waitcnt lgkmcnt(0)
	v_cndmask_b32_e32 v2, v4, v2, vcc
	v_cndmask_b32_e64 v10, v3, 1, vcc
.LBB49_293:
	s_or_b64 exec, exec, s[2:3]
	v_mov_b32_e32 v7, v10
.LBB49_294:
	s_or_b64 exec, exec, s[0:1]
	v_cmp_gt_u32_e32 vcc, 48, v6
	s_waitcnt lgkmcnt(1)
	v_cndmask_b32_e64 v3, 0, 16, vcc
	s_waitcnt lgkmcnt(0)
	v_add_lshl_u32 v4, v3, v5, 2
	ds_bpermute_b32 v9, v4, v7
	ds_bpermute_b32 v3, v4, v1
	ds_bpermute_b32 v4, v4, v2
	v_add_u32_e32 v10, 16, v6
	v_cmp_lt_u32_e32 vcc, v10, v8
	s_and_saveexec_b64 s[0:1], vcc
	s_cbranch_execz .LBB49_300
; %bb.295:
	s_waitcnt lgkmcnt(2)
	v_and_b32_e32 v10, v7, v9
	v_and_b32_e32 v10, 1, v10
	v_cmp_eq_u32_e32 vcc, 1, v10
	s_and_saveexec_b64 s[2:3], vcc
	s_xor_b64 s[2:3], exec, s[2:3]
	s_cbranch_execz .LBB49_297
; %bb.296:
	s_waitcnt lgkmcnt(0)
	v_cmp_lt_i64_e32 vcc, v[3:4], v[1:2]
                                        ; implicit-def: $vgpr7
                                        ; implicit-def: $vgpr9
	v_cndmask_b32_e32 v2, v2, v4, vcc
	v_cndmask_b32_e32 v1, v1, v3, vcc
                                        ; implicit-def: $vgpr3_vgpr4
.LBB49_297:
	s_or_saveexec_b64 s[2:3], s[2:3]
	v_mov_b32_e32 v10, 1
	s_xor_b64 exec, exec, s[2:3]
	s_cbranch_execz .LBB49_299
; %bb.298:
	v_and_b32_e32 v7, 1, v7
	v_cmp_eq_u32_e32 vcc, 1, v7
	s_waitcnt lgkmcnt(1)
	v_cndmask_b32_e32 v1, v3, v1, vcc
	v_and_b32_e32 v3, 0xff, v9
	s_waitcnt lgkmcnt(0)
	v_cndmask_b32_e32 v2, v4, v2, vcc
	v_cndmask_b32_e64 v10, v3, 1, vcc
.LBB49_299:
	s_or_b64 exec, exec, s[2:3]
	v_mov_b32_e32 v7, v10
.LBB49_300:
	s_or_b64 exec, exec, s[0:1]
	s_waitcnt lgkmcnt(2)
	v_lshlrev_b32_e32 v9, 2, v5
	s_waitcnt lgkmcnt(0)
	v_or_b32_e32 v4, 0x80, v9
	ds_bpermute_b32 v10, v4, v7
	ds_bpermute_b32 v3, v4, v1
	;; [unrolled: 1-line block ×3, first 2 shown]
	v_add_u32_e32 v6, 32, v6
	v_cmp_lt_u32_e32 vcc, v6, v8
	v_mov_b32_e32 v6, v7
	s_and_saveexec_b64 s[0:1], vcc
	s_cbranch_execz .LBB49_306
; %bb.301:
	s_waitcnt lgkmcnt(2)
	v_and_b32_e32 v6, v7, v10
	v_and_b32_e32 v6, 1, v6
	v_cmp_eq_u32_e32 vcc, 1, v6
	s_and_saveexec_b64 s[2:3], vcc
	s_xor_b64 s[2:3], exec, s[2:3]
	s_cbranch_execz .LBB49_303
; %bb.302:
	s_waitcnt lgkmcnt(0)
	v_cmp_lt_i64_e32 vcc, v[3:4], v[1:2]
                                        ; implicit-def: $vgpr7
                                        ; implicit-def: $vgpr10
	v_cndmask_b32_e32 v2, v2, v4, vcc
	v_cndmask_b32_e32 v1, v1, v3, vcc
                                        ; implicit-def: $vgpr3_vgpr4
.LBB49_303:
	s_or_saveexec_b64 s[2:3], s[2:3]
	v_mov_b32_e32 v6, 1
	s_xor_b64 exec, exec, s[2:3]
	s_cbranch_execz .LBB49_305
; %bb.304:
	v_and_b32_e32 v6, 1, v7
	v_cmp_eq_u32_e32 vcc, 1, v6
	v_cndmask_b32_e64 v6, v10, 1, vcc
	s_waitcnt lgkmcnt(0)
	v_cndmask_b32_e32 v2, v4, v2, vcc
	v_cndmask_b32_e32 v1, v3, v1, vcc
.LBB49_305:
	s_or_b64 exec, exec, s[2:3]
	v_and_b32_e32 v7, 0xff, v6
.LBB49_306:
	s_or_b64 exec, exec, s[0:1]
	v_cmp_eq_u32_e32 vcc, 0, v5
	s_and_saveexec_b64 s[0:1], vcc
	s_cbranch_execz .LBB49_308
; %bb.307:
	s_waitcnt lgkmcnt(1)
	v_lshrrev_b32_e32 v3, 2, v0
	v_and_b32_e32 v3, 16, v3
	ds_write_b8 v3, v6 offset:128
	ds_write_b64 v3, v[1:2] offset:136
.LBB49_308:
	s_or_b64 exec, exec, s[0:1]
	v_cmp_gt_u32_e32 vcc, 2, v0
	s_waitcnt lgkmcnt(0)
	s_barrier
	s_and_saveexec_b64 s[0:1], vcc
	s_cbranch_execz .LBB49_316
; %bb.309:
	v_lshlrev_b32_e32 v1, 4, v5
	ds_read_u8 v6, v1 offset:128
	ds_read_b64 v[1:2], v1 offset:136
	v_or_b32_e32 v4, 4, v9
	s_add_i32 s8, s8, 63
	v_and_b32_e32 v5, 1, v5
	s_waitcnt lgkmcnt(1)
	v_and_b32_e32 v7, 0xff, v6
	s_waitcnt lgkmcnt(0)
	ds_bpermute_b32 v3, v4, v1
	ds_bpermute_b32 v8, v4, v7
	ds_bpermute_b32 v4, v4, v2
	s_lshr_b32 s2, s8, 6
	v_add_u32_e32 v5, 1, v5
	v_cmp_gt_u32_e32 vcc, s2, v5
	s_and_saveexec_b64 s[2:3], vcc
	s_cbranch_execz .LBB49_315
; %bb.310:
	s_waitcnt lgkmcnt(1)
	v_and_b32_e32 v5, v7, v8
	v_and_b32_e32 v5, 1, v5
	v_cmp_eq_u32_e32 vcc, 1, v5
	s_and_saveexec_b64 s[8:9], vcc
	s_xor_b64 s[8:9], exec, s[8:9]
	s_cbranch_execz .LBB49_312
; %bb.311:
	s_waitcnt lgkmcnt(0)
	v_cmp_lt_i64_e32 vcc, v[3:4], v[1:2]
                                        ; implicit-def: $vgpr6
                                        ; implicit-def: $vgpr8
	v_cndmask_b32_e32 v2, v2, v4, vcc
	v_cndmask_b32_e32 v1, v1, v3, vcc
                                        ; implicit-def: $vgpr3_vgpr4
.LBB49_312:
	s_or_saveexec_b64 s[8:9], s[8:9]
	v_mov_b32_e32 v7, 1
	s_xor_b64 exec, exec, s[8:9]
	s_cbranch_execz .LBB49_314
; %bb.313:
	v_and_b32_e32 v5, 1, v6
	v_cmp_eq_u32_e32 vcc, 1, v5
	s_waitcnt lgkmcnt(0)
	v_cndmask_b32_e32 v2, v4, v2, vcc
	v_cndmask_b32_e32 v1, v3, v1, vcc
	v_cndmask_b32_e64 v7, v8, 1, vcc
.LBB49_314:
	s_or_b64 exec, exec, s[8:9]
.LBB49_315:
	s_or_b64 exec, exec, s[2:3]
.LBB49_316:
	s_or_b64 exec, exec, s[0:1]
.LBB49_317:
	v_cmp_eq_u32_e32 vcc, 0, v0
                                        ; implicit-def: $vgpr3_vgpr4
                                        ; implicit-def: $vgpr5
	s_and_saveexec_b64 s[0:1], vcc
	s_xor_b64 s[8:9], exec, s[0:1]
	s_cbranch_execz .LBB49_321
; %bb.318:
	s_waitcnt lgkmcnt(0)
	v_mov_b32_e32 v3, s18
	s_cmp_eq_u64 s[22:23], 0
	v_mov_b32_e32 v4, s19
	v_mov_b32_e32 v5, s28
	s_cbranch_scc1 .LBB49_320
; %bb.319:
	v_and_b32_e32 v3, 1, v7
	v_cmp_gt_i64_e64 s[0:1], s[18:19], v[1:2]
	s_bitcmp1_b32 s28, 0
	v_cmp_eq_u32_e32 vcc, 1, v3
	s_cselect_b64 s[2:3], -1, 0
	v_mov_b32_e32 v3, s18
	s_and_b64 vcc, vcc, s[0:1]
	v_mov_b32_e32 v4, s19
	v_cndmask_b32_e32 v3, v3, v1, vcc
	v_cndmask_b32_e32 v4, v4, v2, vcc
	v_cndmask_b32_e64 v5, v7, 1, s[2:3]
	v_cndmask_b32_e64 v4, v2, v4, s[2:3]
	;; [unrolled: 1-line block ×3, first 2 shown]
.LBB49_320:
	s_or_b64 s[14:15], s[14:15], exec
.LBB49_321:
	s_or_b64 exec, exec, s[8:9]
	v_mov_b32_e32 v1, s6
	v_mov_b32_e32 v2, s7
	s_branch .LBB49_334
.LBB49_322:
	s_cmp_eq_u32 s29, 1
	s_cbranch_scc0 .LBB49_333
; %bb.323:
	s_mov_b32 s17, 0
	s_lshl_b32 s16, s6, 7
	s_mov_b32 s7, s17
	s_lshr_b64 s[0:1], s[22:23], 7
	s_cmp_lg_u64 s[0:1], s[6:7]
	s_waitcnt lgkmcnt(1)
	v_mbcnt_lo_u32_b32 v8, -1, 0
	s_cbranch_scc0 .LBB49_337
; %bb.324:
	s_lshl_b64 s[0:1], s[16:17], 4
	s_add_u32 s0, s20, s0
	s_addc_u32 s1, s21, s1
	v_lshlrev_b32_e32 v3, 4, v0
	s_waitcnt lgkmcnt(0)
	global_load_ubyte v4, v3, s[0:1]
	global_load_dwordx2 v[1:2], v3, s[0:1] offset:8
	v_mbcnt_hi_u32_b32 v3, -1, v8
	v_lshlrev_b32_e32 v5, 2, v3
	v_or_b32_e32 v11, 0xfc, v5
	s_waitcnt vmcnt(1)
	v_and_b32_e32 v4, 1, v4
	s_waitcnt vmcnt(0)
	v_mov_b32_dpp v6, v1 quad_perm:[1,0,3,2] row_mask:0xf bank_mask:0xf bound_ctrl:1
	v_mov_b32_dpp v7, v2 quad_perm:[1,0,3,2] row_mask:0xf bank_mask:0xf bound_ctrl:1
	v_cmp_lt_i64_e64 s[0:1], v[1:2], v[6:7]
	v_mov_b32_dpp v9, v4 quad_perm:[1,0,3,2] row_mask:0xf bank_mask:0xf bound_ctrl:1
	v_cmp_eq_u32_e32 vcc, 1, v4
	v_and_b32_e32 v9, 1, v9
	s_and_b64 vcc, vcc, s[0:1]
	v_cndmask_b32_e32 v6, v6, v1, vcc
	v_cndmask_b32_e32 v7, v7, v2, vcc
	v_cmp_eq_u32_e32 vcc, 1, v9
	v_cndmask_b32_e32 v2, v2, v7, vcc
	v_cndmask_b32_e32 v1, v1, v6, vcc
	v_cndmask_b32_e64 v4, v4, 1, vcc
	v_mov_b32_dpp v7, v2 quad_perm:[2,3,0,1] row_mask:0xf bank_mask:0xf bound_ctrl:1
	v_mov_b32_dpp v6, v1 quad_perm:[2,3,0,1] row_mask:0xf bank_mask:0xf bound_ctrl:1
	v_and_b32_e32 v10, 1, v4
	v_cmp_lt_i64_e64 s[0:1], v[1:2], v[6:7]
	v_mov_b32_dpp v9, v4 quad_perm:[2,3,0,1] row_mask:0xf bank_mask:0xf bound_ctrl:1
	v_cmp_eq_u32_e32 vcc, 1, v10
	v_and_b32_e32 v9, 1, v9
	s_and_b64 vcc, vcc, s[0:1]
	v_cmp_eq_u32_e64 s[2:3], 1, v9
	v_cndmask_b32_e32 v6, v6, v1, vcc
	v_cndmask_b32_e32 v7, v7, v2, vcc
	v_cndmask_b32_e64 v1, v1, v6, s[2:3]
	v_cndmask_b32_e64 v2, v2, v7, s[2:3]
	;; [unrolled: 1-line block ×3, first 2 shown]
	v_mov_b32_dpp v6, v1 row_ror:4 row_mask:0xf bank_mask:0xf bound_ctrl:1
	v_mov_b32_dpp v7, v2 row_ror:4 row_mask:0xf bank_mask:0xf bound_ctrl:1
	v_and_b32_e32 v10, 1, v4
	v_cmp_lt_i64_e64 s[2:3], v[1:2], v[6:7]
	v_mov_b32_dpp v9, v4 row_ror:4 row_mask:0xf bank_mask:0xf bound_ctrl:1
	v_cmp_eq_u32_e32 vcc, 1, v10
	v_and_b32_e32 v9, 1, v9
	s_and_b64 vcc, vcc, s[2:3]
	v_cmp_eq_u32_e64 s[0:1], 1, v9
	v_cndmask_b32_e32 v6, v6, v1, vcc
	v_cndmask_b32_e32 v7, v7, v2, vcc
	v_cndmask_b32_e64 v1, v1, v6, s[0:1]
	v_cndmask_b32_e64 v2, v2, v7, s[0:1]
	;; [unrolled: 1-line block ×3, first 2 shown]
	v_mov_b32_dpp v6, v1 row_ror:8 row_mask:0xf bank_mask:0xf bound_ctrl:1
	v_mov_b32_dpp v7, v2 row_ror:8 row_mask:0xf bank_mask:0xf bound_ctrl:1
	v_and_b32_e32 v10, 1, v4
	v_cmp_lt_i64_e64 s[2:3], v[1:2], v[6:7]
	v_mov_b32_dpp v9, v4 row_ror:8 row_mask:0xf bank_mask:0xf bound_ctrl:1
	v_cmp_eq_u32_e64 s[8:9], 1, v10
	v_and_b32_e32 v9, 1, v9
	s_and_b64 s[2:3], s[8:9], s[2:3]
	v_cmp_eq_u32_e64 s[10:11], 1, v9
	v_cndmask_b32_e64 v6, v6, v1, s[2:3]
	v_cndmask_b32_e64 v7, v7, v2, s[2:3]
	;; [unrolled: 1-line block ×5, first 2 shown]
	v_mov_b32_dpp v9, v4 row_bcast:15 row_mask:0xf bank_mask:0xf bound_ctrl:1
	v_mov_b32_dpp v6, v1 row_bcast:15 row_mask:0xf bank_mask:0xf bound_ctrl:1
	;; [unrolled: 1-line block ×3, first 2 shown]
	v_and_b32_e32 v10, 1, v4
	v_and_b32_e32 v9, 1, v9
	v_cmp_lt_i64_e64 s[2:3], v[1:2], v[6:7]
	v_cmp_eq_u32_e32 vcc, 1, v10
	v_cmp_eq_u32_e64 s[0:1], 1, v9
	v_cndmask_b32_e64 v4, v4, 1, s[0:1]
	s_and_b64 vcc, vcc, s[2:3]
	v_cndmask_b32_e32 v6, v6, v1, vcc
	v_mov_b32_dpp v9, v4 row_bcast:31 row_mask:0xf bank_mask:0xf bound_ctrl:1
	v_cndmask_b32_e32 v7, v7, v2, vcc
	v_and_b32_e32 v10, 1, v4
	v_and_b32_e32 v9, 1, v9
	v_cndmask_b32_e64 v1, v1, v6, s[0:1]
	v_cndmask_b32_e64 v2, v2, v7, s[0:1]
	v_cmp_eq_u32_e64 s[12:13], 1, v10
	v_cmp_eq_u32_e64 s[8:9], 1, v9
	v_mov_b32_dpp v9, v1 row_bcast:31 row_mask:0xf bank_mask:0xf bound_ctrl:1
	v_mov_b32_dpp v10, v2 row_bcast:31 row_mask:0xf bank_mask:0xf bound_ctrl:1
	v_cmp_lt_i64_e32 vcc, v[1:2], v[9:10]
	v_cndmask_b32_e64 v4, v4, 1, s[8:9]
	s_and_b64 vcc, s[12:13], vcc
	ds_bpermute_b32 v7, v11, v4
	v_cndmask_b32_e32 v4, v9, v1, vcc
	v_cndmask_b32_e32 v6, v10, v2, vcc
	v_cndmask_b32_e64 v1, v1, v4, s[8:9]
	v_cndmask_b32_e64 v2, v2, v6, s[8:9]
	ds_bpermute_b32 v1, v11, v1
	ds_bpermute_b32 v2, v11, v2
	v_cmp_eq_u32_e32 vcc, 0, v3
	s_and_saveexec_b64 s[0:1], vcc
	s_cbranch_execz .LBB49_326
; %bb.325:
	v_lshrrev_b32_e32 v4, 2, v0
	v_and_b32_e32 v4, 16, v4
	s_waitcnt lgkmcnt(2)
	ds_write_b8 v4, v7
	s_waitcnt lgkmcnt(1)
	ds_write_b64 v4, v[1:2] offset:8
.LBB49_326:
	s_or_b64 exec, exec, s[0:1]
	v_cmp_gt_u32_e32 vcc, 64, v0
	s_waitcnt lgkmcnt(0)
	s_barrier
	s_and_saveexec_b64 s[0:1], vcc
	s_cbranch_execz .LBB49_332
; %bb.327:
	v_and_b32_e32 v1, 1, v3
	v_lshlrev_b32_e32 v1, 4, v1
	ds_read_u8 v9, v1
	ds_read_b64 v[3:4], v1 offset:8
	v_or_b32_e32 v2, 4, v5
	s_waitcnt lgkmcnt(1)
	v_and_b32_e32 v1, 0xff, v9
	ds_bpermute_b32 v10, v2, v1
	s_waitcnt lgkmcnt(1)
	ds_bpermute_b32 v5, v2, v3
	ds_bpermute_b32 v6, v2, v4
	s_waitcnt lgkmcnt(2)
	v_and_b32_e32 v1, v9, v10
	v_and_b32_e32 v1, 1, v1
	v_cmp_eq_u32_e32 vcc, 1, v1
                                        ; implicit-def: $vgpr1_vgpr2
	s_and_saveexec_b64 s[2:3], vcc
	s_xor_b64 s[2:3], exec, s[2:3]
	s_cbranch_execz .LBB49_329
; %bb.328:
	s_waitcnt lgkmcnt(0)
	v_cmp_lt_i64_e32 vcc, v[5:6], v[3:4]
                                        ; implicit-def: $vgpr9
                                        ; implicit-def: $vgpr10
	v_cndmask_b32_e32 v2, v4, v6, vcc
	v_cndmask_b32_e32 v1, v3, v5, vcc
                                        ; implicit-def: $vgpr5_vgpr6
                                        ; implicit-def: $vgpr3_vgpr4
.LBB49_329:
	s_or_saveexec_b64 s[2:3], s[2:3]
	v_mov_b32_e32 v7, 1
	s_xor_b64 exec, exec, s[2:3]
	s_cbranch_execz .LBB49_331
; %bb.330:
	v_and_b32_e32 v1, 1, v9
	v_cmp_eq_u32_e32 vcc, 1, v1
	s_waitcnt lgkmcnt(0)
	v_cndmask_b32_e32 v2, v6, v4, vcc
	v_cndmask_b32_e32 v1, v5, v3, vcc
	v_cndmask_b32_e64 v7, v10, 1, vcc
.LBB49_331:
	s_or_b64 exec, exec, s[2:3]
.LBB49_332:
	s_or_b64 exec, exec, s[0:1]
	s_branch .LBB49_387
.LBB49_333:
                                        ; implicit-def: $vgpr3_vgpr4
                                        ; implicit-def: $vgpr5
                                        ; implicit-def: $vgpr1_vgpr2
.LBB49_334:
	s_and_saveexec_b64 s[0:1], s[14:15]
	s_cbranch_execz .LBB49_336
.LBB49_335:
	s_load_dwordx2 s[0:1], s[4:5], 0x18
	v_lshlrev_b64 v[0:1], 4, v[1:2]
	s_waitcnt lgkmcnt(0)
	v_mov_b32_e32 v2, s1
	v_add_co_u32_e32 v0, vcc, s0, v0
	v_addc_co_u32_e32 v1, vcc, v2, v1, vcc
	global_store_byte v[0:1], v5, off
	global_store_dwordx2 v[0:1], v[3:4], off offset:8
.LBB49_336:
	s_endpgm
.LBB49_337:
                                        ; implicit-def: $vgpr1_vgpr2
                                        ; implicit-def: $vgpr7
	s_cbranch_execz .LBB49_387
; %bb.338:
	s_sub_i32 s2, s22, s16
	v_mov_b32_e32 v1, 0
	v_cmp_gt_u32_e32 vcc, s2, v0
	v_mov_b32_e32 v2, 0
	v_mov_b32_e32 v9, 0
	s_and_saveexec_b64 s[0:1], vcc
	s_cbranch_execz .LBB49_340
; %bb.339:
	s_lshl_b64 s[8:9], s[16:17], 4
	s_add_u32 s8, s20, s8
	s_addc_u32 s9, s21, s9
	v_lshlrev_b32_e32 v3, 4, v0
	global_load_ubyte v9, v3, s[8:9]
	global_load_dwordx2 v[1:2], v3, s[8:9] offset:8
.LBB49_340:
	s_or_b64 exec, exec, s[0:1]
	s_waitcnt lgkmcnt(1)
	v_mbcnt_hi_u32_b32 v5, -1, v8
	s_waitcnt lgkmcnt(0)
	v_and_b32_e32 v6, 63, v5
	v_cmp_ne_u32_e32 vcc, 63, v6
	v_addc_co_u32_e32 v3, vcc, 0, v5, vcc
	s_waitcnt vmcnt(1)
	v_and_b32_e32 v7, 0xff, v9
	v_lshlrev_b32_e32 v4, 2, v3
	ds_bpermute_b32 v10, v4, v7
	s_waitcnt vmcnt(0)
	ds_bpermute_b32 v3, v4, v1
	ds_bpermute_b32 v4, v4, v2
	s_min_u32 s8, s2, 0x80
	v_and_b32_e32 v8, 64, v0
	v_sub_u32_e64 v8, s8, v8 clamp
	v_add_u32_e32 v11, 1, v6
	v_cmp_lt_u32_e32 vcc, v11, v8
	s_and_saveexec_b64 s[0:1], vcc
	s_cbranch_execz .LBB49_346
; %bb.341:
	s_waitcnt lgkmcnt(2)
	v_and_b32_e32 v7, v10, v7
	v_cmp_ne_u32_e32 vcc, 0, v7
	s_and_saveexec_b64 s[2:3], vcc
	s_xor_b64 s[2:3], exec, s[2:3]
	s_cbranch_execz .LBB49_343
; %bb.342:
	s_waitcnt lgkmcnt(0)
	v_cmp_lt_i64_e32 vcc, v[3:4], v[1:2]
                                        ; implicit-def: $vgpr9
                                        ; implicit-def: $vgpr10
	v_cndmask_b32_e32 v2, v2, v4, vcc
	v_cndmask_b32_e32 v1, v1, v3, vcc
                                        ; implicit-def: $vgpr3_vgpr4
.LBB49_343:
	s_or_saveexec_b64 s[2:3], s[2:3]
	v_mov_b32_e32 v7, 1
	s_xor_b64 exec, exec, s[2:3]
	s_cbranch_execz .LBB49_345
; %bb.344:
	v_and_b32_e32 v7, 1, v9
	v_cmp_eq_u32_e32 vcc, 1, v7
	s_waitcnt lgkmcnt(1)
	v_cndmask_b32_e32 v1, v3, v1, vcc
	v_and_b32_e32 v3, 0xff, v10
	s_waitcnt lgkmcnt(0)
	v_cndmask_b32_e32 v2, v4, v2, vcc
	v_cndmask_b32_e64 v7, v3, 1, vcc
.LBB49_345:
	s_or_b64 exec, exec, s[2:3]
.LBB49_346:
	s_or_b64 exec, exec, s[0:1]
	v_cmp_gt_u32_e32 vcc, 62, v6
	s_waitcnt lgkmcnt(1)
	v_cndmask_b32_e64 v3, 0, 2, vcc
	s_waitcnt lgkmcnt(0)
	v_add_lshl_u32 v4, v3, v5, 2
	ds_bpermute_b32 v9, v4, v7
	ds_bpermute_b32 v3, v4, v1
	ds_bpermute_b32 v4, v4, v2
	v_add_u32_e32 v10, 2, v6
	v_cmp_lt_u32_e32 vcc, v10, v8
	s_and_saveexec_b64 s[0:1], vcc
	s_cbranch_execz .LBB49_352
; %bb.347:
	s_waitcnt lgkmcnt(2)
	v_and_b32_e32 v10, v7, v9
	v_and_b32_e32 v10, 1, v10
	v_cmp_eq_u32_e32 vcc, 1, v10
	s_and_saveexec_b64 s[2:3], vcc
	s_xor_b64 s[2:3], exec, s[2:3]
	s_cbranch_execz .LBB49_349
; %bb.348:
	s_waitcnt lgkmcnt(0)
	v_cmp_lt_i64_e32 vcc, v[3:4], v[1:2]
                                        ; implicit-def: $vgpr7
                                        ; implicit-def: $vgpr9
	v_cndmask_b32_e32 v2, v2, v4, vcc
	v_cndmask_b32_e32 v1, v1, v3, vcc
                                        ; implicit-def: $vgpr3_vgpr4
.LBB49_349:
	s_or_saveexec_b64 s[2:3], s[2:3]
	v_mov_b32_e32 v10, 1
	s_xor_b64 exec, exec, s[2:3]
	s_cbranch_execz .LBB49_351
; %bb.350:
	v_and_b32_e32 v7, 1, v7
	v_cmp_eq_u32_e32 vcc, 1, v7
	s_waitcnt lgkmcnt(1)
	v_cndmask_b32_e32 v1, v3, v1, vcc
	v_and_b32_e32 v3, 0xff, v9
	s_waitcnt lgkmcnt(0)
	v_cndmask_b32_e32 v2, v4, v2, vcc
	v_cndmask_b32_e64 v10, v3, 1, vcc
.LBB49_351:
	s_or_b64 exec, exec, s[2:3]
	v_mov_b32_e32 v7, v10
.LBB49_352:
	s_or_b64 exec, exec, s[0:1]
	v_cmp_gt_u32_e32 vcc, 60, v6
	s_waitcnt lgkmcnt(1)
	v_cndmask_b32_e64 v3, 0, 4, vcc
	s_waitcnt lgkmcnt(0)
	v_add_lshl_u32 v4, v3, v5, 2
	ds_bpermute_b32 v9, v4, v7
	ds_bpermute_b32 v3, v4, v1
	ds_bpermute_b32 v4, v4, v2
	v_add_u32_e32 v10, 4, v6
	v_cmp_lt_u32_e32 vcc, v10, v8
	s_and_saveexec_b64 s[0:1], vcc
	s_cbranch_execz .LBB49_358
; %bb.353:
	s_waitcnt lgkmcnt(2)
	v_and_b32_e32 v10, v7, v9
	v_and_b32_e32 v10, 1, v10
	v_cmp_eq_u32_e32 vcc, 1, v10
	s_and_saveexec_b64 s[2:3], vcc
	s_xor_b64 s[2:3], exec, s[2:3]
	s_cbranch_execz .LBB49_355
; %bb.354:
	s_waitcnt lgkmcnt(0)
	v_cmp_lt_i64_e32 vcc, v[3:4], v[1:2]
                                        ; implicit-def: $vgpr7
                                        ; implicit-def: $vgpr9
	v_cndmask_b32_e32 v2, v2, v4, vcc
	v_cndmask_b32_e32 v1, v1, v3, vcc
                                        ; implicit-def: $vgpr3_vgpr4
.LBB49_355:
	s_or_saveexec_b64 s[2:3], s[2:3]
	v_mov_b32_e32 v10, 1
	s_xor_b64 exec, exec, s[2:3]
	s_cbranch_execz .LBB49_357
; %bb.356:
	v_and_b32_e32 v7, 1, v7
	v_cmp_eq_u32_e32 vcc, 1, v7
	s_waitcnt lgkmcnt(1)
	v_cndmask_b32_e32 v1, v3, v1, vcc
	v_and_b32_e32 v3, 0xff, v9
	s_waitcnt lgkmcnt(0)
	v_cndmask_b32_e32 v2, v4, v2, vcc
	v_cndmask_b32_e64 v10, v3, 1, vcc
.LBB49_357:
	s_or_b64 exec, exec, s[2:3]
	v_mov_b32_e32 v7, v10
.LBB49_358:
	;; [unrolled: 47-line block ×4, first 2 shown]
	s_or_b64 exec, exec, s[0:1]
	s_waitcnt lgkmcnt(2)
	v_lshlrev_b32_e32 v9, 2, v5
	s_waitcnt lgkmcnt(0)
	v_or_b32_e32 v4, 0x80, v9
	ds_bpermute_b32 v10, v4, v7
	ds_bpermute_b32 v3, v4, v1
	;; [unrolled: 1-line block ×3, first 2 shown]
	v_add_u32_e32 v6, 32, v6
	v_cmp_lt_u32_e32 vcc, v6, v8
	v_mov_b32_e32 v6, v7
	s_and_saveexec_b64 s[0:1], vcc
	s_cbranch_execz .LBB49_376
; %bb.371:
	s_waitcnt lgkmcnt(2)
	v_and_b32_e32 v6, v7, v10
	v_and_b32_e32 v6, 1, v6
	v_cmp_eq_u32_e32 vcc, 1, v6
	s_and_saveexec_b64 s[2:3], vcc
	s_xor_b64 s[2:3], exec, s[2:3]
	s_cbranch_execz .LBB49_373
; %bb.372:
	s_waitcnt lgkmcnt(0)
	v_cmp_lt_i64_e32 vcc, v[3:4], v[1:2]
                                        ; implicit-def: $vgpr7
                                        ; implicit-def: $vgpr10
	v_cndmask_b32_e32 v2, v2, v4, vcc
	v_cndmask_b32_e32 v1, v1, v3, vcc
                                        ; implicit-def: $vgpr3_vgpr4
.LBB49_373:
	s_or_saveexec_b64 s[2:3], s[2:3]
	v_mov_b32_e32 v6, 1
	s_xor_b64 exec, exec, s[2:3]
	s_cbranch_execz .LBB49_375
; %bb.374:
	v_and_b32_e32 v6, 1, v7
	v_cmp_eq_u32_e32 vcc, 1, v6
	v_cndmask_b32_e64 v6, v10, 1, vcc
	s_waitcnt lgkmcnt(0)
	v_cndmask_b32_e32 v2, v4, v2, vcc
	v_cndmask_b32_e32 v1, v3, v1, vcc
.LBB49_375:
	s_or_b64 exec, exec, s[2:3]
	v_and_b32_e32 v7, 0xff, v6
.LBB49_376:
	s_or_b64 exec, exec, s[0:1]
	v_cmp_eq_u32_e32 vcc, 0, v5
	s_and_saveexec_b64 s[0:1], vcc
	s_cbranch_execz .LBB49_378
; %bb.377:
	s_waitcnt lgkmcnt(1)
	v_lshrrev_b32_e32 v3, 2, v0
	v_and_b32_e32 v3, 16, v3
	ds_write_b8 v3, v6 offset:128
	ds_write_b64 v3, v[1:2] offset:136
.LBB49_378:
	s_or_b64 exec, exec, s[0:1]
	v_cmp_gt_u32_e32 vcc, 2, v0
	s_waitcnt lgkmcnt(0)
	s_barrier
	s_and_saveexec_b64 s[0:1], vcc
	s_cbranch_execz .LBB49_386
; %bb.379:
	v_lshlrev_b32_e32 v1, 4, v5
	ds_read_u8 v6, v1 offset:128
	ds_read_b64 v[1:2], v1 offset:136
	v_or_b32_e32 v4, 4, v9
	s_add_i32 s8, s8, 63
	v_and_b32_e32 v5, 1, v5
	s_waitcnt lgkmcnt(1)
	v_and_b32_e32 v7, 0xff, v6
	s_waitcnt lgkmcnt(0)
	ds_bpermute_b32 v3, v4, v1
	ds_bpermute_b32 v8, v4, v7
	;; [unrolled: 1-line block ×3, first 2 shown]
	s_lshr_b32 s2, s8, 6
	v_add_u32_e32 v5, 1, v5
	v_cmp_gt_u32_e32 vcc, s2, v5
	s_and_saveexec_b64 s[2:3], vcc
	s_cbranch_execz .LBB49_385
; %bb.380:
	s_waitcnt lgkmcnt(1)
	v_and_b32_e32 v5, v7, v8
	v_and_b32_e32 v5, 1, v5
	v_cmp_eq_u32_e32 vcc, 1, v5
	s_and_saveexec_b64 s[8:9], vcc
	s_xor_b64 s[8:9], exec, s[8:9]
	s_cbranch_execz .LBB49_382
; %bb.381:
	s_waitcnt lgkmcnt(0)
	v_cmp_lt_i64_e32 vcc, v[3:4], v[1:2]
                                        ; implicit-def: $vgpr6
                                        ; implicit-def: $vgpr8
	v_cndmask_b32_e32 v2, v2, v4, vcc
	v_cndmask_b32_e32 v1, v1, v3, vcc
                                        ; implicit-def: $vgpr3_vgpr4
.LBB49_382:
	s_or_saveexec_b64 s[8:9], s[8:9]
	v_mov_b32_e32 v7, 1
	s_xor_b64 exec, exec, s[8:9]
	s_cbranch_execz .LBB49_384
; %bb.383:
	v_and_b32_e32 v5, 1, v6
	v_cmp_eq_u32_e32 vcc, 1, v5
	s_waitcnt lgkmcnt(0)
	v_cndmask_b32_e32 v2, v4, v2, vcc
	v_cndmask_b32_e32 v1, v3, v1, vcc
	v_cndmask_b32_e64 v7, v8, 1, vcc
.LBB49_384:
	s_or_b64 exec, exec, s[8:9]
.LBB49_385:
	s_or_b64 exec, exec, s[2:3]
.LBB49_386:
	s_or_b64 exec, exec, s[0:1]
.LBB49_387:
	v_cmp_eq_u32_e32 vcc, 0, v0
                                        ; implicit-def: $vgpr3_vgpr4
                                        ; implicit-def: $vgpr5
	s_and_saveexec_b64 s[8:9], vcc
	s_cbranch_execz .LBB49_391
; %bb.388:
	s_waitcnt lgkmcnt(0)
	v_mov_b32_e32 v3, s18
	s_cmp_eq_u64 s[22:23], 0
	v_mov_b32_e32 v4, s19
	v_mov_b32_e32 v5, s28
	s_cbranch_scc1 .LBB49_390
; %bb.389:
	v_and_b32_e32 v0, 1, v7
	v_cmp_gt_i64_e64 s[0:1], s[18:19], v[1:2]
	s_bitcmp1_b32 s28, 0
	v_cmp_eq_u32_e32 vcc, 1, v0
	s_cselect_b64 s[2:3], -1, 0
	v_mov_b32_e32 v0, s18
	s_and_b64 vcc, vcc, s[0:1]
	v_mov_b32_e32 v3, s19
	v_cndmask_b32_e32 v0, v0, v1, vcc
	v_cndmask_b32_e32 v3, v3, v2, vcc
	v_cndmask_b32_e64 v5, v7, 1, s[2:3]
	v_cndmask_b32_e64 v4, v2, v3, s[2:3]
	;; [unrolled: 1-line block ×3, first 2 shown]
.LBB49_390:
	s_or_b64 s[14:15], s[14:15], exec
.LBB49_391:
	s_or_b64 exec, exec, s[8:9]
	v_mov_b32_e32 v1, s6
	v_mov_b32_e32 v2, s7
	s_and_saveexec_b64 s[0:1], s[14:15]
	s_cbranch_execnz .LBB49_335
	s_branch .LBB49_336
	.section	.rodata,"a",@progbits
	.p2align	6, 0x0
	.amdhsa_kernel _ZN7rocprim17ROCPRIM_400000_NS6detail17trampoline_kernelINS0_14default_configENS1_22reduce_config_selectorIN6thrust23THRUST_200600_302600_NS5tupleIblNS6_9null_typeES8_S8_S8_S8_S8_S8_S8_EEEEZNS1_11reduce_implILb1ES3_PS9_SC_S9_NS6_11hip_rocprim9__find_if7functorIS9_EEEE10hipError_tPvRmT1_T2_T3_mT4_P12ihipStream_tbEUlT_E1_NS1_11comp_targetILNS1_3genE2ELNS1_11target_archE906ELNS1_3gpuE6ELNS1_3repE0EEENS1_30default_config_static_selectorELNS0_4arch9wavefront6targetE1EEEvSK_
		.amdhsa_group_segment_fixed_size 160
		.amdhsa_private_segment_fixed_size 0
		.amdhsa_kernarg_size 56
		.amdhsa_user_sgpr_count 6
		.amdhsa_user_sgpr_private_segment_buffer 1
		.amdhsa_user_sgpr_dispatch_ptr 0
		.amdhsa_user_sgpr_queue_ptr 0
		.amdhsa_user_sgpr_kernarg_segment_ptr 1
		.amdhsa_user_sgpr_dispatch_id 0
		.amdhsa_user_sgpr_flat_scratch_init 0
		.amdhsa_user_sgpr_private_segment_size 0
		.amdhsa_uses_dynamic_stack 0
		.amdhsa_system_sgpr_private_segment_wavefront_offset 0
		.amdhsa_system_sgpr_workgroup_id_x 1
		.amdhsa_system_sgpr_workgroup_id_y 0
		.amdhsa_system_sgpr_workgroup_id_z 0
		.amdhsa_system_sgpr_workgroup_info 0
		.amdhsa_system_vgpr_workitem_id 0
		.amdhsa_next_free_vgpr 27
		.amdhsa_next_free_sgpr 36
		.amdhsa_reserve_vcc 1
		.amdhsa_reserve_flat_scratch 0
		.amdhsa_float_round_mode_32 0
		.amdhsa_float_round_mode_16_64 0
		.amdhsa_float_denorm_mode_32 3
		.amdhsa_float_denorm_mode_16_64 3
		.amdhsa_dx10_clamp 1
		.amdhsa_ieee_mode 1
		.amdhsa_fp16_overflow 0
		.amdhsa_exception_fp_ieee_invalid_op 0
		.amdhsa_exception_fp_denorm_src 0
		.amdhsa_exception_fp_ieee_div_zero 0
		.amdhsa_exception_fp_ieee_overflow 0
		.amdhsa_exception_fp_ieee_underflow 0
		.amdhsa_exception_fp_ieee_inexact 0
		.amdhsa_exception_int_div_zero 0
	.end_amdhsa_kernel
	.section	.text._ZN7rocprim17ROCPRIM_400000_NS6detail17trampoline_kernelINS0_14default_configENS1_22reduce_config_selectorIN6thrust23THRUST_200600_302600_NS5tupleIblNS6_9null_typeES8_S8_S8_S8_S8_S8_S8_EEEEZNS1_11reduce_implILb1ES3_PS9_SC_S9_NS6_11hip_rocprim9__find_if7functorIS9_EEEE10hipError_tPvRmT1_T2_T3_mT4_P12ihipStream_tbEUlT_E1_NS1_11comp_targetILNS1_3genE2ELNS1_11target_archE906ELNS1_3gpuE6ELNS1_3repE0EEENS1_30default_config_static_selectorELNS0_4arch9wavefront6targetE1EEEvSK_,"axG",@progbits,_ZN7rocprim17ROCPRIM_400000_NS6detail17trampoline_kernelINS0_14default_configENS1_22reduce_config_selectorIN6thrust23THRUST_200600_302600_NS5tupleIblNS6_9null_typeES8_S8_S8_S8_S8_S8_S8_EEEEZNS1_11reduce_implILb1ES3_PS9_SC_S9_NS6_11hip_rocprim9__find_if7functorIS9_EEEE10hipError_tPvRmT1_T2_T3_mT4_P12ihipStream_tbEUlT_E1_NS1_11comp_targetILNS1_3genE2ELNS1_11target_archE906ELNS1_3gpuE6ELNS1_3repE0EEENS1_30default_config_static_selectorELNS0_4arch9wavefront6targetE1EEEvSK_,comdat
.Lfunc_end49:
	.size	_ZN7rocprim17ROCPRIM_400000_NS6detail17trampoline_kernelINS0_14default_configENS1_22reduce_config_selectorIN6thrust23THRUST_200600_302600_NS5tupleIblNS6_9null_typeES8_S8_S8_S8_S8_S8_S8_EEEEZNS1_11reduce_implILb1ES3_PS9_SC_S9_NS6_11hip_rocprim9__find_if7functorIS9_EEEE10hipError_tPvRmT1_T2_T3_mT4_P12ihipStream_tbEUlT_E1_NS1_11comp_targetILNS1_3genE2ELNS1_11target_archE906ELNS1_3gpuE6ELNS1_3repE0EEENS1_30default_config_static_selectorELNS0_4arch9wavefront6targetE1EEEvSK_, .Lfunc_end49-_ZN7rocprim17ROCPRIM_400000_NS6detail17trampoline_kernelINS0_14default_configENS1_22reduce_config_selectorIN6thrust23THRUST_200600_302600_NS5tupleIblNS6_9null_typeES8_S8_S8_S8_S8_S8_S8_EEEEZNS1_11reduce_implILb1ES3_PS9_SC_S9_NS6_11hip_rocprim9__find_if7functorIS9_EEEE10hipError_tPvRmT1_T2_T3_mT4_P12ihipStream_tbEUlT_E1_NS1_11comp_targetILNS1_3genE2ELNS1_11target_archE906ELNS1_3gpuE6ELNS1_3repE0EEENS1_30default_config_static_selectorELNS0_4arch9wavefront6targetE1EEEvSK_
                                        ; -- End function
	.set _ZN7rocprim17ROCPRIM_400000_NS6detail17trampoline_kernelINS0_14default_configENS1_22reduce_config_selectorIN6thrust23THRUST_200600_302600_NS5tupleIblNS6_9null_typeES8_S8_S8_S8_S8_S8_S8_EEEEZNS1_11reduce_implILb1ES3_PS9_SC_S9_NS6_11hip_rocprim9__find_if7functorIS9_EEEE10hipError_tPvRmT1_T2_T3_mT4_P12ihipStream_tbEUlT_E1_NS1_11comp_targetILNS1_3genE2ELNS1_11target_archE906ELNS1_3gpuE6ELNS1_3repE0EEENS1_30default_config_static_selectorELNS0_4arch9wavefront6targetE1EEEvSK_.num_vgpr, 27
	.set _ZN7rocprim17ROCPRIM_400000_NS6detail17trampoline_kernelINS0_14default_configENS1_22reduce_config_selectorIN6thrust23THRUST_200600_302600_NS5tupleIblNS6_9null_typeES8_S8_S8_S8_S8_S8_S8_EEEEZNS1_11reduce_implILb1ES3_PS9_SC_S9_NS6_11hip_rocprim9__find_if7functorIS9_EEEE10hipError_tPvRmT1_T2_T3_mT4_P12ihipStream_tbEUlT_E1_NS1_11comp_targetILNS1_3genE2ELNS1_11target_archE906ELNS1_3gpuE6ELNS1_3repE0EEENS1_30default_config_static_selectorELNS0_4arch9wavefront6targetE1EEEvSK_.num_agpr, 0
	.set _ZN7rocprim17ROCPRIM_400000_NS6detail17trampoline_kernelINS0_14default_configENS1_22reduce_config_selectorIN6thrust23THRUST_200600_302600_NS5tupleIblNS6_9null_typeES8_S8_S8_S8_S8_S8_S8_EEEEZNS1_11reduce_implILb1ES3_PS9_SC_S9_NS6_11hip_rocprim9__find_if7functorIS9_EEEE10hipError_tPvRmT1_T2_T3_mT4_P12ihipStream_tbEUlT_E1_NS1_11comp_targetILNS1_3genE2ELNS1_11target_archE906ELNS1_3gpuE6ELNS1_3repE0EEENS1_30default_config_static_selectorELNS0_4arch9wavefront6targetE1EEEvSK_.numbered_sgpr, 36
	.set _ZN7rocprim17ROCPRIM_400000_NS6detail17trampoline_kernelINS0_14default_configENS1_22reduce_config_selectorIN6thrust23THRUST_200600_302600_NS5tupleIblNS6_9null_typeES8_S8_S8_S8_S8_S8_S8_EEEEZNS1_11reduce_implILb1ES3_PS9_SC_S9_NS6_11hip_rocprim9__find_if7functorIS9_EEEE10hipError_tPvRmT1_T2_T3_mT4_P12ihipStream_tbEUlT_E1_NS1_11comp_targetILNS1_3genE2ELNS1_11target_archE906ELNS1_3gpuE6ELNS1_3repE0EEENS1_30default_config_static_selectorELNS0_4arch9wavefront6targetE1EEEvSK_.num_named_barrier, 0
	.set _ZN7rocprim17ROCPRIM_400000_NS6detail17trampoline_kernelINS0_14default_configENS1_22reduce_config_selectorIN6thrust23THRUST_200600_302600_NS5tupleIblNS6_9null_typeES8_S8_S8_S8_S8_S8_S8_EEEEZNS1_11reduce_implILb1ES3_PS9_SC_S9_NS6_11hip_rocprim9__find_if7functorIS9_EEEE10hipError_tPvRmT1_T2_T3_mT4_P12ihipStream_tbEUlT_E1_NS1_11comp_targetILNS1_3genE2ELNS1_11target_archE906ELNS1_3gpuE6ELNS1_3repE0EEENS1_30default_config_static_selectorELNS0_4arch9wavefront6targetE1EEEvSK_.private_seg_size, 0
	.set _ZN7rocprim17ROCPRIM_400000_NS6detail17trampoline_kernelINS0_14default_configENS1_22reduce_config_selectorIN6thrust23THRUST_200600_302600_NS5tupleIblNS6_9null_typeES8_S8_S8_S8_S8_S8_S8_EEEEZNS1_11reduce_implILb1ES3_PS9_SC_S9_NS6_11hip_rocprim9__find_if7functorIS9_EEEE10hipError_tPvRmT1_T2_T3_mT4_P12ihipStream_tbEUlT_E1_NS1_11comp_targetILNS1_3genE2ELNS1_11target_archE906ELNS1_3gpuE6ELNS1_3repE0EEENS1_30default_config_static_selectorELNS0_4arch9wavefront6targetE1EEEvSK_.uses_vcc, 1
	.set _ZN7rocprim17ROCPRIM_400000_NS6detail17trampoline_kernelINS0_14default_configENS1_22reduce_config_selectorIN6thrust23THRUST_200600_302600_NS5tupleIblNS6_9null_typeES8_S8_S8_S8_S8_S8_S8_EEEEZNS1_11reduce_implILb1ES3_PS9_SC_S9_NS6_11hip_rocprim9__find_if7functorIS9_EEEE10hipError_tPvRmT1_T2_T3_mT4_P12ihipStream_tbEUlT_E1_NS1_11comp_targetILNS1_3genE2ELNS1_11target_archE906ELNS1_3gpuE6ELNS1_3repE0EEENS1_30default_config_static_selectorELNS0_4arch9wavefront6targetE1EEEvSK_.uses_flat_scratch, 0
	.set _ZN7rocprim17ROCPRIM_400000_NS6detail17trampoline_kernelINS0_14default_configENS1_22reduce_config_selectorIN6thrust23THRUST_200600_302600_NS5tupleIblNS6_9null_typeES8_S8_S8_S8_S8_S8_S8_EEEEZNS1_11reduce_implILb1ES3_PS9_SC_S9_NS6_11hip_rocprim9__find_if7functorIS9_EEEE10hipError_tPvRmT1_T2_T3_mT4_P12ihipStream_tbEUlT_E1_NS1_11comp_targetILNS1_3genE2ELNS1_11target_archE906ELNS1_3gpuE6ELNS1_3repE0EEENS1_30default_config_static_selectorELNS0_4arch9wavefront6targetE1EEEvSK_.has_dyn_sized_stack, 0
	.set _ZN7rocprim17ROCPRIM_400000_NS6detail17trampoline_kernelINS0_14default_configENS1_22reduce_config_selectorIN6thrust23THRUST_200600_302600_NS5tupleIblNS6_9null_typeES8_S8_S8_S8_S8_S8_S8_EEEEZNS1_11reduce_implILb1ES3_PS9_SC_S9_NS6_11hip_rocprim9__find_if7functorIS9_EEEE10hipError_tPvRmT1_T2_T3_mT4_P12ihipStream_tbEUlT_E1_NS1_11comp_targetILNS1_3genE2ELNS1_11target_archE906ELNS1_3gpuE6ELNS1_3repE0EEENS1_30default_config_static_selectorELNS0_4arch9wavefront6targetE1EEEvSK_.has_recursion, 0
	.set _ZN7rocprim17ROCPRIM_400000_NS6detail17trampoline_kernelINS0_14default_configENS1_22reduce_config_selectorIN6thrust23THRUST_200600_302600_NS5tupleIblNS6_9null_typeES8_S8_S8_S8_S8_S8_S8_EEEEZNS1_11reduce_implILb1ES3_PS9_SC_S9_NS6_11hip_rocprim9__find_if7functorIS9_EEEE10hipError_tPvRmT1_T2_T3_mT4_P12ihipStream_tbEUlT_E1_NS1_11comp_targetILNS1_3genE2ELNS1_11target_archE906ELNS1_3gpuE6ELNS1_3repE0EEENS1_30default_config_static_selectorELNS0_4arch9wavefront6targetE1EEEvSK_.has_indirect_call, 0
	.section	.AMDGPU.csdata,"",@progbits
; Kernel info:
; codeLenInByte = 13204
; TotalNumSgprs: 40
; NumVgprs: 27
; ScratchSize: 0
; MemoryBound: 0
; FloatMode: 240
; IeeeMode: 1
; LDSByteSize: 160 bytes/workgroup (compile time only)
; SGPRBlocks: 4
; VGPRBlocks: 6
; NumSGPRsForWavesPerEU: 40
; NumVGPRsForWavesPerEU: 27
; Occupancy: 9
; WaveLimiterHint : 1
; COMPUTE_PGM_RSRC2:SCRATCH_EN: 0
; COMPUTE_PGM_RSRC2:USER_SGPR: 6
; COMPUTE_PGM_RSRC2:TRAP_HANDLER: 0
; COMPUTE_PGM_RSRC2:TGID_X_EN: 1
; COMPUTE_PGM_RSRC2:TGID_Y_EN: 0
; COMPUTE_PGM_RSRC2:TGID_Z_EN: 0
; COMPUTE_PGM_RSRC2:TIDIG_COMP_CNT: 0
	.section	.text._ZN7rocprim17ROCPRIM_400000_NS6detail17trampoline_kernelINS0_14default_configENS1_22reduce_config_selectorIN6thrust23THRUST_200600_302600_NS5tupleIblNS6_9null_typeES8_S8_S8_S8_S8_S8_S8_EEEEZNS1_11reduce_implILb1ES3_PS9_SC_S9_NS6_11hip_rocprim9__find_if7functorIS9_EEEE10hipError_tPvRmT1_T2_T3_mT4_P12ihipStream_tbEUlT_E1_NS1_11comp_targetILNS1_3genE10ELNS1_11target_archE1201ELNS1_3gpuE5ELNS1_3repE0EEENS1_30default_config_static_selectorELNS0_4arch9wavefront6targetE1EEEvSK_,"axG",@progbits,_ZN7rocprim17ROCPRIM_400000_NS6detail17trampoline_kernelINS0_14default_configENS1_22reduce_config_selectorIN6thrust23THRUST_200600_302600_NS5tupleIblNS6_9null_typeES8_S8_S8_S8_S8_S8_S8_EEEEZNS1_11reduce_implILb1ES3_PS9_SC_S9_NS6_11hip_rocprim9__find_if7functorIS9_EEEE10hipError_tPvRmT1_T2_T3_mT4_P12ihipStream_tbEUlT_E1_NS1_11comp_targetILNS1_3genE10ELNS1_11target_archE1201ELNS1_3gpuE5ELNS1_3repE0EEENS1_30default_config_static_selectorELNS0_4arch9wavefront6targetE1EEEvSK_,comdat
	.protected	_ZN7rocprim17ROCPRIM_400000_NS6detail17trampoline_kernelINS0_14default_configENS1_22reduce_config_selectorIN6thrust23THRUST_200600_302600_NS5tupleIblNS6_9null_typeES8_S8_S8_S8_S8_S8_S8_EEEEZNS1_11reduce_implILb1ES3_PS9_SC_S9_NS6_11hip_rocprim9__find_if7functorIS9_EEEE10hipError_tPvRmT1_T2_T3_mT4_P12ihipStream_tbEUlT_E1_NS1_11comp_targetILNS1_3genE10ELNS1_11target_archE1201ELNS1_3gpuE5ELNS1_3repE0EEENS1_30default_config_static_selectorELNS0_4arch9wavefront6targetE1EEEvSK_ ; -- Begin function _ZN7rocprim17ROCPRIM_400000_NS6detail17trampoline_kernelINS0_14default_configENS1_22reduce_config_selectorIN6thrust23THRUST_200600_302600_NS5tupleIblNS6_9null_typeES8_S8_S8_S8_S8_S8_S8_EEEEZNS1_11reduce_implILb1ES3_PS9_SC_S9_NS6_11hip_rocprim9__find_if7functorIS9_EEEE10hipError_tPvRmT1_T2_T3_mT4_P12ihipStream_tbEUlT_E1_NS1_11comp_targetILNS1_3genE10ELNS1_11target_archE1201ELNS1_3gpuE5ELNS1_3repE0EEENS1_30default_config_static_selectorELNS0_4arch9wavefront6targetE1EEEvSK_
	.globl	_ZN7rocprim17ROCPRIM_400000_NS6detail17trampoline_kernelINS0_14default_configENS1_22reduce_config_selectorIN6thrust23THRUST_200600_302600_NS5tupleIblNS6_9null_typeES8_S8_S8_S8_S8_S8_S8_EEEEZNS1_11reduce_implILb1ES3_PS9_SC_S9_NS6_11hip_rocprim9__find_if7functorIS9_EEEE10hipError_tPvRmT1_T2_T3_mT4_P12ihipStream_tbEUlT_E1_NS1_11comp_targetILNS1_3genE10ELNS1_11target_archE1201ELNS1_3gpuE5ELNS1_3repE0EEENS1_30default_config_static_selectorELNS0_4arch9wavefront6targetE1EEEvSK_
	.p2align	8
	.type	_ZN7rocprim17ROCPRIM_400000_NS6detail17trampoline_kernelINS0_14default_configENS1_22reduce_config_selectorIN6thrust23THRUST_200600_302600_NS5tupleIblNS6_9null_typeES8_S8_S8_S8_S8_S8_S8_EEEEZNS1_11reduce_implILb1ES3_PS9_SC_S9_NS6_11hip_rocprim9__find_if7functorIS9_EEEE10hipError_tPvRmT1_T2_T3_mT4_P12ihipStream_tbEUlT_E1_NS1_11comp_targetILNS1_3genE10ELNS1_11target_archE1201ELNS1_3gpuE5ELNS1_3repE0EEENS1_30default_config_static_selectorELNS0_4arch9wavefront6targetE1EEEvSK_,@function
_ZN7rocprim17ROCPRIM_400000_NS6detail17trampoline_kernelINS0_14default_configENS1_22reduce_config_selectorIN6thrust23THRUST_200600_302600_NS5tupleIblNS6_9null_typeES8_S8_S8_S8_S8_S8_S8_EEEEZNS1_11reduce_implILb1ES3_PS9_SC_S9_NS6_11hip_rocprim9__find_if7functorIS9_EEEE10hipError_tPvRmT1_T2_T3_mT4_P12ihipStream_tbEUlT_E1_NS1_11comp_targetILNS1_3genE10ELNS1_11target_archE1201ELNS1_3gpuE5ELNS1_3repE0EEENS1_30default_config_static_selectorELNS0_4arch9wavefront6targetE1EEEvSK_: ; @_ZN7rocprim17ROCPRIM_400000_NS6detail17trampoline_kernelINS0_14default_configENS1_22reduce_config_selectorIN6thrust23THRUST_200600_302600_NS5tupleIblNS6_9null_typeES8_S8_S8_S8_S8_S8_S8_EEEEZNS1_11reduce_implILb1ES3_PS9_SC_S9_NS6_11hip_rocprim9__find_if7functorIS9_EEEE10hipError_tPvRmT1_T2_T3_mT4_P12ihipStream_tbEUlT_E1_NS1_11comp_targetILNS1_3genE10ELNS1_11target_archE1201ELNS1_3gpuE5ELNS1_3repE0EEENS1_30default_config_static_selectorELNS0_4arch9wavefront6targetE1EEEvSK_
; %bb.0:
	.section	.rodata,"a",@progbits
	.p2align	6, 0x0
	.amdhsa_kernel _ZN7rocprim17ROCPRIM_400000_NS6detail17trampoline_kernelINS0_14default_configENS1_22reduce_config_selectorIN6thrust23THRUST_200600_302600_NS5tupleIblNS6_9null_typeES8_S8_S8_S8_S8_S8_S8_EEEEZNS1_11reduce_implILb1ES3_PS9_SC_S9_NS6_11hip_rocprim9__find_if7functorIS9_EEEE10hipError_tPvRmT1_T2_T3_mT4_P12ihipStream_tbEUlT_E1_NS1_11comp_targetILNS1_3genE10ELNS1_11target_archE1201ELNS1_3gpuE5ELNS1_3repE0EEENS1_30default_config_static_selectorELNS0_4arch9wavefront6targetE1EEEvSK_
		.amdhsa_group_segment_fixed_size 0
		.amdhsa_private_segment_fixed_size 0
		.amdhsa_kernarg_size 56
		.amdhsa_user_sgpr_count 6
		.amdhsa_user_sgpr_private_segment_buffer 1
		.amdhsa_user_sgpr_dispatch_ptr 0
		.amdhsa_user_sgpr_queue_ptr 0
		.amdhsa_user_sgpr_kernarg_segment_ptr 1
		.amdhsa_user_sgpr_dispatch_id 0
		.amdhsa_user_sgpr_flat_scratch_init 0
		.amdhsa_user_sgpr_private_segment_size 0
		.amdhsa_uses_dynamic_stack 0
		.amdhsa_system_sgpr_private_segment_wavefront_offset 0
		.amdhsa_system_sgpr_workgroup_id_x 1
		.amdhsa_system_sgpr_workgroup_id_y 0
		.amdhsa_system_sgpr_workgroup_id_z 0
		.amdhsa_system_sgpr_workgroup_info 0
		.amdhsa_system_vgpr_workitem_id 0
		.amdhsa_next_free_vgpr 1
		.amdhsa_next_free_sgpr 0
		.amdhsa_reserve_vcc 0
		.amdhsa_reserve_flat_scratch 0
		.amdhsa_float_round_mode_32 0
		.amdhsa_float_round_mode_16_64 0
		.amdhsa_float_denorm_mode_32 3
		.amdhsa_float_denorm_mode_16_64 3
		.amdhsa_dx10_clamp 1
		.amdhsa_ieee_mode 1
		.amdhsa_fp16_overflow 0
		.amdhsa_exception_fp_ieee_invalid_op 0
		.amdhsa_exception_fp_denorm_src 0
		.amdhsa_exception_fp_ieee_div_zero 0
		.amdhsa_exception_fp_ieee_overflow 0
		.amdhsa_exception_fp_ieee_underflow 0
		.amdhsa_exception_fp_ieee_inexact 0
		.amdhsa_exception_int_div_zero 0
	.end_amdhsa_kernel
	.section	.text._ZN7rocprim17ROCPRIM_400000_NS6detail17trampoline_kernelINS0_14default_configENS1_22reduce_config_selectorIN6thrust23THRUST_200600_302600_NS5tupleIblNS6_9null_typeES8_S8_S8_S8_S8_S8_S8_EEEEZNS1_11reduce_implILb1ES3_PS9_SC_S9_NS6_11hip_rocprim9__find_if7functorIS9_EEEE10hipError_tPvRmT1_T2_T3_mT4_P12ihipStream_tbEUlT_E1_NS1_11comp_targetILNS1_3genE10ELNS1_11target_archE1201ELNS1_3gpuE5ELNS1_3repE0EEENS1_30default_config_static_selectorELNS0_4arch9wavefront6targetE1EEEvSK_,"axG",@progbits,_ZN7rocprim17ROCPRIM_400000_NS6detail17trampoline_kernelINS0_14default_configENS1_22reduce_config_selectorIN6thrust23THRUST_200600_302600_NS5tupleIblNS6_9null_typeES8_S8_S8_S8_S8_S8_S8_EEEEZNS1_11reduce_implILb1ES3_PS9_SC_S9_NS6_11hip_rocprim9__find_if7functorIS9_EEEE10hipError_tPvRmT1_T2_T3_mT4_P12ihipStream_tbEUlT_E1_NS1_11comp_targetILNS1_3genE10ELNS1_11target_archE1201ELNS1_3gpuE5ELNS1_3repE0EEENS1_30default_config_static_selectorELNS0_4arch9wavefront6targetE1EEEvSK_,comdat
.Lfunc_end50:
	.size	_ZN7rocprim17ROCPRIM_400000_NS6detail17trampoline_kernelINS0_14default_configENS1_22reduce_config_selectorIN6thrust23THRUST_200600_302600_NS5tupleIblNS6_9null_typeES8_S8_S8_S8_S8_S8_S8_EEEEZNS1_11reduce_implILb1ES3_PS9_SC_S9_NS6_11hip_rocprim9__find_if7functorIS9_EEEE10hipError_tPvRmT1_T2_T3_mT4_P12ihipStream_tbEUlT_E1_NS1_11comp_targetILNS1_3genE10ELNS1_11target_archE1201ELNS1_3gpuE5ELNS1_3repE0EEENS1_30default_config_static_selectorELNS0_4arch9wavefront6targetE1EEEvSK_, .Lfunc_end50-_ZN7rocprim17ROCPRIM_400000_NS6detail17trampoline_kernelINS0_14default_configENS1_22reduce_config_selectorIN6thrust23THRUST_200600_302600_NS5tupleIblNS6_9null_typeES8_S8_S8_S8_S8_S8_S8_EEEEZNS1_11reduce_implILb1ES3_PS9_SC_S9_NS6_11hip_rocprim9__find_if7functorIS9_EEEE10hipError_tPvRmT1_T2_T3_mT4_P12ihipStream_tbEUlT_E1_NS1_11comp_targetILNS1_3genE10ELNS1_11target_archE1201ELNS1_3gpuE5ELNS1_3repE0EEENS1_30default_config_static_selectorELNS0_4arch9wavefront6targetE1EEEvSK_
                                        ; -- End function
	.set _ZN7rocprim17ROCPRIM_400000_NS6detail17trampoline_kernelINS0_14default_configENS1_22reduce_config_selectorIN6thrust23THRUST_200600_302600_NS5tupleIblNS6_9null_typeES8_S8_S8_S8_S8_S8_S8_EEEEZNS1_11reduce_implILb1ES3_PS9_SC_S9_NS6_11hip_rocprim9__find_if7functorIS9_EEEE10hipError_tPvRmT1_T2_T3_mT4_P12ihipStream_tbEUlT_E1_NS1_11comp_targetILNS1_3genE10ELNS1_11target_archE1201ELNS1_3gpuE5ELNS1_3repE0EEENS1_30default_config_static_selectorELNS0_4arch9wavefront6targetE1EEEvSK_.num_vgpr, 0
	.set _ZN7rocprim17ROCPRIM_400000_NS6detail17trampoline_kernelINS0_14default_configENS1_22reduce_config_selectorIN6thrust23THRUST_200600_302600_NS5tupleIblNS6_9null_typeES8_S8_S8_S8_S8_S8_S8_EEEEZNS1_11reduce_implILb1ES3_PS9_SC_S9_NS6_11hip_rocprim9__find_if7functorIS9_EEEE10hipError_tPvRmT1_T2_T3_mT4_P12ihipStream_tbEUlT_E1_NS1_11comp_targetILNS1_3genE10ELNS1_11target_archE1201ELNS1_3gpuE5ELNS1_3repE0EEENS1_30default_config_static_selectorELNS0_4arch9wavefront6targetE1EEEvSK_.num_agpr, 0
	.set _ZN7rocprim17ROCPRIM_400000_NS6detail17trampoline_kernelINS0_14default_configENS1_22reduce_config_selectorIN6thrust23THRUST_200600_302600_NS5tupleIblNS6_9null_typeES8_S8_S8_S8_S8_S8_S8_EEEEZNS1_11reduce_implILb1ES3_PS9_SC_S9_NS6_11hip_rocprim9__find_if7functorIS9_EEEE10hipError_tPvRmT1_T2_T3_mT4_P12ihipStream_tbEUlT_E1_NS1_11comp_targetILNS1_3genE10ELNS1_11target_archE1201ELNS1_3gpuE5ELNS1_3repE0EEENS1_30default_config_static_selectorELNS0_4arch9wavefront6targetE1EEEvSK_.numbered_sgpr, 0
	.set _ZN7rocprim17ROCPRIM_400000_NS6detail17trampoline_kernelINS0_14default_configENS1_22reduce_config_selectorIN6thrust23THRUST_200600_302600_NS5tupleIblNS6_9null_typeES8_S8_S8_S8_S8_S8_S8_EEEEZNS1_11reduce_implILb1ES3_PS9_SC_S9_NS6_11hip_rocprim9__find_if7functorIS9_EEEE10hipError_tPvRmT1_T2_T3_mT4_P12ihipStream_tbEUlT_E1_NS1_11comp_targetILNS1_3genE10ELNS1_11target_archE1201ELNS1_3gpuE5ELNS1_3repE0EEENS1_30default_config_static_selectorELNS0_4arch9wavefront6targetE1EEEvSK_.num_named_barrier, 0
	.set _ZN7rocprim17ROCPRIM_400000_NS6detail17trampoline_kernelINS0_14default_configENS1_22reduce_config_selectorIN6thrust23THRUST_200600_302600_NS5tupleIblNS6_9null_typeES8_S8_S8_S8_S8_S8_S8_EEEEZNS1_11reduce_implILb1ES3_PS9_SC_S9_NS6_11hip_rocprim9__find_if7functorIS9_EEEE10hipError_tPvRmT1_T2_T3_mT4_P12ihipStream_tbEUlT_E1_NS1_11comp_targetILNS1_3genE10ELNS1_11target_archE1201ELNS1_3gpuE5ELNS1_3repE0EEENS1_30default_config_static_selectorELNS0_4arch9wavefront6targetE1EEEvSK_.private_seg_size, 0
	.set _ZN7rocprim17ROCPRIM_400000_NS6detail17trampoline_kernelINS0_14default_configENS1_22reduce_config_selectorIN6thrust23THRUST_200600_302600_NS5tupleIblNS6_9null_typeES8_S8_S8_S8_S8_S8_S8_EEEEZNS1_11reduce_implILb1ES3_PS9_SC_S9_NS6_11hip_rocprim9__find_if7functorIS9_EEEE10hipError_tPvRmT1_T2_T3_mT4_P12ihipStream_tbEUlT_E1_NS1_11comp_targetILNS1_3genE10ELNS1_11target_archE1201ELNS1_3gpuE5ELNS1_3repE0EEENS1_30default_config_static_selectorELNS0_4arch9wavefront6targetE1EEEvSK_.uses_vcc, 0
	.set _ZN7rocprim17ROCPRIM_400000_NS6detail17trampoline_kernelINS0_14default_configENS1_22reduce_config_selectorIN6thrust23THRUST_200600_302600_NS5tupleIblNS6_9null_typeES8_S8_S8_S8_S8_S8_S8_EEEEZNS1_11reduce_implILb1ES3_PS9_SC_S9_NS6_11hip_rocprim9__find_if7functorIS9_EEEE10hipError_tPvRmT1_T2_T3_mT4_P12ihipStream_tbEUlT_E1_NS1_11comp_targetILNS1_3genE10ELNS1_11target_archE1201ELNS1_3gpuE5ELNS1_3repE0EEENS1_30default_config_static_selectorELNS0_4arch9wavefront6targetE1EEEvSK_.uses_flat_scratch, 0
	.set _ZN7rocprim17ROCPRIM_400000_NS6detail17trampoline_kernelINS0_14default_configENS1_22reduce_config_selectorIN6thrust23THRUST_200600_302600_NS5tupleIblNS6_9null_typeES8_S8_S8_S8_S8_S8_S8_EEEEZNS1_11reduce_implILb1ES3_PS9_SC_S9_NS6_11hip_rocprim9__find_if7functorIS9_EEEE10hipError_tPvRmT1_T2_T3_mT4_P12ihipStream_tbEUlT_E1_NS1_11comp_targetILNS1_3genE10ELNS1_11target_archE1201ELNS1_3gpuE5ELNS1_3repE0EEENS1_30default_config_static_selectorELNS0_4arch9wavefront6targetE1EEEvSK_.has_dyn_sized_stack, 0
	.set _ZN7rocprim17ROCPRIM_400000_NS6detail17trampoline_kernelINS0_14default_configENS1_22reduce_config_selectorIN6thrust23THRUST_200600_302600_NS5tupleIblNS6_9null_typeES8_S8_S8_S8_S8_S8_S8_EEEEZNS1_11reduce_implILb1ES3_PS9_SC_S9_NS6_11hip_rocprim9__find_if7functorIS9_EEEE10hipError_tPvRmT1_T2_T3_mT4_P12ihipStream_tbEUlT_E1_NS1_11comp_targetILNS1_3genE10ELNS1_11target_archE1201ELNS1_3gpuE5ELNS1_3repE0EEENS1_30default_config_static_selectorELNS0_4arch9wavefront6targetE1EEEvSK_.has_recursion, 0
	.set _ZN7rocprim17ROCPRIM_400000_NS6detail17trampoline_kernelINS0_14default_configENS1_22reduce_config_selectorIN6thrust23THRUST_200600_302600_NS5tupleIblNS6_9null_typeES8_S8_S8_S8_S8_S8_S8_EEEEZNS1_11reduce_implILb1ES3_PS9_SC_S9_NS6_11hip_rocprim9__find_if7functorIS9_EEEE10hipError_tPvRmT1_T2_T3_mT4_P12ihipStream_tbEUlT_E1_NS1_11comp_targetILNS1_3genE10ELNS1_11target_archE1201ELNS1_3gpuE5ELNS1_3repE0EEENS1_30default_config_static_selectorELNS0_4arch9wavefront6targetE1EEEvSK_.has_indirect_call, 0
	.section	.AMDGPU.csdata,"",@progbits
; Kernel info:
; codeLenInByte = 0
; TotalNumSgprs: 4
; NumVgprs: 0
; ScratchSize: 0
; MemoryBound: 0
; FloatMode: 240
; IeeeMode: 1
; LDSByteSize: 0 bytes/workgroup (compile time only)
; SGPRBlocks: 0
; VGPRBlocks: 0
; NumSGPRsForWavesPerEU: 4
; NumVGPRsForWavesPerEU: 1
; Occupancy: 10
; WaveLimiterHint : 0
; COMPUTE_PGM_RSRC2:SCRATCH_EN: 0
; COMPUTE_PGM_RSRC2:USER_SGPR: 6
; COMPUTE_PGM_RSRC2:TRAP_HANDLER: 0
; COMPUTE_PGM_RSRC2:TGID_X_EN: 1
; COMPUTE_PGM_RSRC2:TGID_Y_EN: 0
; COMPUTE_PGM_RSRC2:TGID_Z_EN: 0
; COMPUTE_PGM_RSRC2:TIDIG_COMP_CNT: 0
	.section	.text._ZN7rocprim17ROCPRIM_400000_NS6detail17trampoline_kernelINS0_14default_configENS1_22reduce_config_selectorIN6thrust23THRUST_200600_302600_NS5tupleIblNS6_9null_typeES8_S8_S8_S8_S8_S8_S8_EEEEZNS1_11reduce_implILb1ES3_PS9_SC_S9_NS6_11hip_rocprim9__find_if7functorIS9_EEEE10hipError_tPvRmT1_T2_T3_mT4_P12ihipStream_tbEUlT_E1_NS1_11comp_targetILNS1_3genE10ELNS1_11target_archE1200ELNS1_3gpuE4ELNS1_3repE0EEENS1_30default_config_static_selectorELNS0_4arch9wavefront6targetE1EEEvSK_,"axG",@progbits,_ZN7rocprim17ROCPRIM_400000_NS6detail17trampoline_kernelINS0_14default_configENS1_22reduce_config_selectorIN6thrust23THRUST_200600_302600_NS5tupleIblNS6_9null_typeES8_S8_S8_S8_S8_S8_S8_EEEEZNS1_11reduce_implILb1ES3_PS9_SC_S9_NS6_11hip_rocprim9__find_if7functorIS9_EEEE10hipError_tPvRmT1_T2_T3_mT4_P12ihipStream_tbEUlT_E1_NS1_11comp_targetILNS1_3genE10ELNS1_11target_archE1200ELNS1_3gpuE4ELNS1_3repE0EEENS1_30default_config_static_selectorELNS0_4arch9wavefront6targetE1EEEvSK_,comdat
	.protected	_ZN7rocprim17ROCPRIM_400000_NS6detail17trampoline_kernelINS0_14default_configENS1_22reduce_config_selectorIN6thrust23THRUST_200600_302600_NS5tupleIblNS6_9null_typeES8_S8_S8_S8_S8_S8_S8_EEEEZNS1_11reduce_implILb1ES3_PS9_SC_S9_NS6_11hip_rocprim9__find_if7functorIS9_EEEE10hipError_tPvRmT1_T2_T3_mT4_P12ihipStream_tbEUlT_E1_NS1_11comp_targetILNS1_3genE10ELNS1_11target_archE1200ELNS1_3gpuE4ELNS1_3repE0EEENS1_30default_config_static_selectorELNS0_4arch9wavefront6targetE1EEEvSK_ ; -- Begin function _ZN7rocprim17ROCPRIM_400000_NS6detail17trampoline_kernelINS0_14default_configENS1_22reduce_config_selectorIN6thrust23THRUST_200600_302600_NS5tupleIblNS6_9null_typeES8_S8_S8_S8_S8_S8_S8_EEEEZNS1_11reduce_implILb1ES3_PS9_SC_S9_NS6_11hip_rocprim9__find_if7functorIS9_EEEE10hipError_tPvRmT1_T2_T3_mT4_P12ihipStream_tbEUlT_E1_NS1_11comp_targetILNS1_3genE10ELNS1_11target_archE1200ELNS1_3gpuE4ELNS1_3repE0EEENS1_30default_config_static_selectorELNS0_4arch9wavefront6targetE1EEEvSK_
	.globl	_ZN7rocprim17ROCPRIM_400000_NS6detail17trampoline_kernelINS0_14default_configENS1_22reduce_config_selectorIN6thrust23THRUST_200600_302600_NS5tupleIblNS6_9null_typeES8_S8_S8_S8_S8_S8_S8_EEEEZNS1_11reduce_implILb1ES3_PS9_SC_S9_NS6_11hip_rocprim9__find_if7functorIS9_EEEE10hipError_tPvRmT1_T2_T3_mT4_P12ihipStream_tbEUlT_E1_NS1_11comp_targetILNS1_3genE10ELNS1_11target_archE1200ELNS1_3gpuE4ELNS1_3repE0EEENS1_30default_config_static_selectorELNS0_4arch9wavefront6targetE1EEEvSK_
	.p2align	8
	.type	_ZN7rocprim17ROCPRIM_400000_NS6detail17trampoline_kernelINS0_14default_configENS1_22reduce_config_selectorIN6thrust23THRUST_200600_302600_NS5tupleIblNS6_9null_typeES8_S8_S8_S8_S8_S8_S8_EEEEZNS1_11reduce_implILb1ES3_PS9_SC_S9_NS6_11hip_rocprim9__find_if7functorIS9_EEEE10hipError_tPvRmT1_T2_T3_mT4_P12ihipStream_tbEUlT_E1_NS1_11comp_targetILNS1_3genE10ELNS1_11target_archE1200ELNS1_3gpuE4ELNS1_3repE0EEENS1_30default_config_static_selectorELNS0_4arch9wavefront6targetE1EEEvSK_,@function
_ZN7rocprim17ROCPRIM_400000_NS6detail17trampoline_kernelINS0_14default_configENS1_22reduce_config_selectorIN6thrust23THRUST_200600_302600_NS5tupleIblNS6_9null_typeES8_S8_S8_S8_S8_S8_S8_EEEEZNS1_11reduce_implILb1ES3_PS9_SC_S9_NS6_11hip_rocprim9__find_if7functorIS9_EEEE10hipError_tPvRmT1_T2_T3_mT4_P12ihipStream_tbEUlT_E1_NS1_11comp_targetILNS1_3genE10ELNS1_11target_archE1200ELNS1_3gpuE4ELNS1_3repE0EEENS1_30default_config_static_selectorELNS0_4arch9wavefront6targetE1EEEvSK_: ; @_ZN7rocprim17ROCPRIM_400000_NS6detail17trampoline_kernelINS0_14default_configENS1_22reduce_config_selectorIN6thrust23THRUST_200600_302600_NS5tupleIblNS6_9null_typeES8_S8_S8_S8_S8_S8_S8_EEEEZNS1_11reduce_implILb1ES3_PS9_SC_S9_NS6_11hip_rocprim9__find_if7functorIS9_EEEE10hipError_tPvRmT1_T2_T3_mT4_P12ihipStream_tbEUlT_E1_NS1_11comp_targetILNS1_3genE10ELNS1_11target_archE1200ELNS1_3gpuE4ELNS1_3repE0EEENS1_30default_config_static_selectorELNS0_4arch9wavefront6targetE1EEEvSK_
; %bb.0:
	.section	.rodata,"a",@progbits
	.p2align	6, 0x0
	.amdhsa_kernel _ZN7rocprim17ROCPRIM_400000_NS6detail17trampoline_kernelINS0_14default_configENS1_22reduce_config_selectorIN6thrust23THRUST_200600_302600_NS5tupleIblNS6_9null_typeES8_S8_S8_S8_S8_S8_S8_EEEEZNS1_11reduce_implILb1ES3_PS9_SC_S9_NS6_11hip_rocprim9__find_if7functorIS9_EEEE10hipError_tPvRmT1_T2_T3_mT4_P12ihipStream_tbEUlT_E1_NS1_11comp_targetILNS1_3genE10ELNS1_11target_archE1200ELNS1_3gpuE4ELNS1_3repE0EEENS1_30default_config_static_selectorELNS0_4arch9wavefront6targetE1EEEvSK_
		.amdhsa_group_segment_fixed_size 0
		.amdhsa_private_segment_fixed_size 0
		.amdhsa_kernarg_size 56
		.amdhsa_user_sgpr_count 6
		.amdhsa_user_sgpr_private_segment_buffer 1
		.amdhsa_user_sgpr_dispatch_ptr 0
		.amdhsa_user_sgpr_queue_ptr 0
		.amdhsa_user_sgpr_kernarg_segment_ptr 1
		.amdhsa_user_sgpr_dispatch_id 0
		.amdhsa_user_sgpr_flat_scratch_init 0
		.amdhsa_user_sgpr_private_segment_size 0
		.amdhsa_uses_dynamic_stack 0
		.amdhsa_system_sgpr_private_segment_wavefront_offset 0
		.amdhsa_system_sgpr_workgroup_id_x 1
		.amdhsa_system_sgpr_workgroup_id_y 0
		.amdhsa_system_sgpr_workgroup_id_z 0
		.amdhsa_system_sgpr_workgroup_info 0
		.amdhsa_system_vgpr_workitem_id 0
		.amdhsa_next_free_vgpr 1
		.amdhsa_next_free_sgpr 0
		.amdhsa_reserve_vcc 0
		.amdhsa_reserve_flat_scratch 0
		.amdhsa_float_round_mode_32 0
		.amdhsa_float_round_mode_16_64 0
		.amdhsa_float_denorm_mode_32 3
		.amdhsa_float_denorm_mode_16_64 3
		.amdhsa_dx10_clamp 1
		.amdhsa_ieee_mode 1
		.amdhsa_fp16_overflow 0
		.amdhsa_exception_fp_ieee_invalid_op 0
		.amdhsa_exception_fp_denorm_src 0
		.amdhsa_exception_fp_ieee_div_zero 0
		.amdhsa_exception_fp_ieee_overflow 0
		.amdhsa_exception_fp_ieee_underflow 0
		.amdhsa_exception_fp_ieee_inexact 0
		.amdhsa_exception_int_div_zero 0
	.end_amdhsa_kernel
	.section	.text._ZN7rocprim17ROCPRIM_400000_NS6detail17trampoline_kernelINS0_14default_configENS1_22reduce_config_selectorIN6thrust23THRUST_200600_302600_NS5tupleIblNS6_9null_typeES8_S8_S8_S8_S8_S8_S8_EEEEZNS1_11reduce_implILb1ES3_PS9_SC_S9_NS6_11hip_rocprim9__find_if7functorIS9_EEEE10hipError_tPvRmT1_T2_T3_mT4_P12ihipStream_tbEUlT_E1_NS1_11comp_targetILNS1_3genE10ELNS1_11target_archE1200ELNS1_3gpuE4ELNS1_3repE0EEENS1_30default_config_static_selectorELNS0_4arch9wavefront6targetE1EEEvSK_,"axG",@progbits,_ZN7rocprim17ROCPRIM_400000_NS6detail17trampoline_kernelINS0_14default_configENS1_22reduce_config_selectorIN6thrust23THRUST_200600_302600_NS5tupleIblNS6_9null_typeES8_S8_S8_S8_S8_S8_S8_EEEEZNS1_11reduce_implILb1ES3_PS9_SC_S9_NS6_11hip_rocprim9__find_if7functorIS9_EEEE10hipError_tPvRmT1_T2_T3_mT4_P12ihipStream_tbEUlT_E1_NS1_11comp_targetILNS1_3genE10ELNS1_11target_archE1200ELNS1_3gpuE4ELNS1_3repE0EEENS1_30default_config_static_selectorELNS0_4arch9wavefront6targetE1EEEvSK_,comdat
.Lfunc_end51:
	.size	_ZN7rocprim17ROCPRIM_400000_NS6detail17trampoline_kernelINS0_14default_configENS1_22reduce_config_selectorIN6thrust23THRUST_200600_302600_NS5tupleIblNS6_9null_typeES8_S8_S8_S8_S8_S8_S8_EEEEZNS1_11reduce_implILb1ES3_PS9_SC_S9_NS6_11hip_rocprim9__find_if7functorIS9_EEEE10hipError_tPvRmT1_T2_T3_mT4_P12ihipStream_tbEUlT_E1_NS1_11comp_targetILNS1_3genE10ELNS1_11target_archE1200ELNS1_3gpuE4ELNS1_3repE0EEENS1_30default_config_static_selectorELNS0_4arch9wavefront6targetE1EEEvSK_, .Lfunc_end51-_ZN7rocprim17ROCPRIM_400000_NS6detail17trampoline_kernelINS0_14default_configENS1_22reduce_config_selectorIN6thrust23THRUST_200600_302600_NS5tupleIblNS6_9null_typeES8_S8_S8_S8_S8_S8_S8_EEEEZNS1_11reduce_implILb1ES3_PS9_SC_S9_NS6_11hip_rocprim9__find_if7functorIS9_EEEE10hipError_tPvRmT1_T2_T3_mT4_P12ihipStream_tbEUlT_E1_NS1_11comp_targetILNS1_3genE10ELNS1_11target_archE1200ELNS1_3gpuE4ELNS1_3repE0EEENS1_30default_config_static_selectorELNS0_4arch9wavefront6targetE1EEEvSK_
                                        ; -- End function
	.set _ZN7rocprim17ROCPRIM_400000_NS6detail17trampoline_kernelINS0_14default_configENS1_22reduce_config_selectorIN6thrust23THRUST_200600_302600_NS5tupleIblNS6_9null_typeES8_S8_S8_S8_S8_S8_S8_EEEEZNS1_11reduce_implILb1ES3_PS9_SC_S9_NS6_11hip_rocprim9__find_if7functorIS9_EEEE10hipError_tPvRmT1_T2_T3_mT4_P12ihipStream_tbEUlT_E1_NS1_11comp_targetILNS1_3genE10ELNS1_11target_archE1200ELNS1_3gpuE4ELNS1_3repE0EEENS1_30default_config_static_selectorELNS0_4arch9wavefront6targetE1EEEvSK_.num_vgpr, 0
	.set _ZN7rocprim17ROCPRIM_400000_NS6detail17trampoline_kernelINS0_14default_configENS1_22reduce_config_selectorIN6thrust23THRUST_200600_302600_NS5tupleIblNS6_9null_typeES8_S8_S8_S8_S8_S8_S8_EEEEZNS1_11reduce_implILb1ES3_PS9_SC_S9_NS6_11hip_rocprim9__find_if7functorIS9_EEEE10hipError_tPvRmT1_T2_T3_mT4_P12ihipStream_tbEUlT_E1_NS1_11comp_targetILNS1_3genE10ELNS1_11target_archE1200ELNS1_3gpuE4ELNS1_3repE0EEENS1_30default_config_static_selectorELNS0_4arch9wavefront6targetE1EEEvSK_.num_agpr, 0
	.set _ZN7rocprim17ROCPRIM_400000_NS6detail17trampoline_kernelINS0_14default_configENS1_22reduce_config_selectorIN6thrust23THRUST_200600_302600_NS5tupleIblNS6_9null_typeES8_S8_S8_S8_S8_S8_S8_EEEEZNS1_11reduce_implILb1ES3_PS9_SC_S9_NS6_11hip_rocprim9__find_if7functorIS9_EEEE10hipError_tPvRmT1_T2_T3_mT4_P12ihipStream_tbEUlT_E1_NS1_11comp_targetILNS1_3genE10ELNS1_11target_archE1200ELNS1_3gpuE4ELNS1_3repE0EEENS1_30default_config_static_selectorELNS0_4arch9wavefront6targetE1EEEvSK_.numbered_sgpr, 0
	.set _ZN7rocprim17ROCPRIM_400000_NS6detail17trampoline_kernelINS0_14default_configENS1_22reduce_config_selectorIN6thrust23THRUST_200600_302600_NS5tupleIblNS6_9null_typeES8_S8_S8_S8_S8_S8_S8_EEEEZNS1_11reduce_implILb1ES3_PS9_SC_S9_NS6_11hip_rocprim9__find_if7functorIS9_EEEE10hipError_tPvRmT1_T2_T3_mT4_P12ihipStream_tbEUlT_E1_NS1_11comp_targetILNS1_3genE10ELNS1_11target_archE1200ELNS1_3gpuE4ELNS1_3repE0EEENS1_30default_config_static_selectorELNS0_4arch9wavefront6targetE1EEEvSK_.num_named_barrier, 0
	.set _ZN7rocprim17ROCPRIM_400000_NS6detail17trampoline_kernelINS0_14default_configENS1_22reduce_config_selectorIN6thrust23THRUST_200600_302600_NS5tupleIblNS6_9null_typeES8_S8_S8_S8_S8_S8_S8_EEEEZNS1_11reduce_implILb1ES3_PS9_SC_S9_NS6_11hip_rocprim9__find_if7functorIS9_EEEE10hipError_tPvRmT1_T2_T3_mT4_P12ihipStream_tbEUlT_E1_NS1_11comp_targetILNS1_3genE10ELNS1_11target_archE1200ELNS1_3gpuE4ELNS1_3repE0EEENS1_30default_config_static_selectorELNS0_4arch9wavefront6targetE1EEEvSK_.private_seg_size, 0
	.set _ZN7rocprim17ROCPRIM_400000_NS6detail17trampoline_kernelINS0_14default_configENS1_22reduce_config_selectorIN6thrust23THRUST_200600_302600_NS5tupleIblNS6_9null_typeES8_S8_S8_S8_S8_S8_S8_EEEEZNS1_11reduce_implILb1ES3_PS9_SC_S9_NS6_11hip_rocprim9__find_if7functorIS9_EEEE10hipError_tPvRmT1_T2_T3_mT4_P12ihipStream_tbEUlT_E1_NS1_11comp_targetILNS1_3genE10ELNS1_11target_archE1200ELNS1_3gpuE4ELNS1_3repE0EEENS1_30default_config_static_selectorELNS0_4arch9wavefront6targetE1EEEvSK_.uses_vcc, 0
	.set _ZN7rocprim17ROCPRIM_400000_NS6detail17trampoline_kernelINS0_14default_configENS1_22reduce_config_selectorIN6thrust23THRUST_200600_302600_NS5tupleIblNS6_9null_typeES8_S8_S8_S8_S8_S8_S8_EEEEZNS1_11reduce_implILb1ES3_PS9_SC_S9_NS6_11hip_rocprim9__find_if7functorIS9_EEEE10hipError_tPvRmT1_T2_T3_mT4_P12ihipStream_tbEUlT_E1_NS1_11comp_targetILNS1_3genE10ELNS1_11target_archE1200ELNS1_3gpuE4ELNS1_3repE0EEENS1_30default_config_static_selectorELNS0_4arch9wavefront6targetE1EEEvSK_.uses_flat_scratch, 0
	.set _ZN7rocprim17ROCPRIM_400000_NS6detail17trampoline_kernelINS0_14default_configENS1_22reduce_config_selectorIN6thrust23THRUST_200600_302600_NS5tupleIblNS6_9null_typeES8_S8_S8_S8_S8_S8_S8_EEEEZNS1_11reduce_implILb1ES3_PS9_SC_S9_NS6_11hip_rocprim9__find_if7functorIS9_EEEE10hipError_tPvRmT1_T2_T3_mT4_P12ihipStream_tbEUlT_E1_NS1_11comp_targetILNS1_3genE10ELNS1_11target_archE1200ELNS1_3gpuE4ELNS1_3repE0EEENS1_30default_config_static_selectorELNS0_4arch9wavefront6targetE1EEEvSK_.has_dyn_sized_stack, 0
	.set _ZN7rocprim17ROCPRIM_400000_NS6detail17trampoline_kernelINS0_14default_configENS1_22reduce_config_selectorIN6thrust23THRUST_200600_302600_NS5tupleIblNS6_9null_typeES8_S8_S8_S8_S8_S8_S8_EEEEZNS1_11reduce_implILb1ES3_PS9_SC_S9_NS6_11hip_rocprim9__find_if7functorIS9_EEEE10hipError_tPvRmT1_T2_T3_mT4_P12ihipStream_tbEUlT_E1_NS1_11comp_targetILNS1_3genE10ELNS1_11target_archE1200ELNS1_3gpuE4ELNS1_3repE0EEENS1_30default_config_static_selectorELNS0_4arch9wavefront6targetE1EEEvSK_.has_recursion, 0
	.set _ZN7rocprim17ROCPRIM_400000_NS6detail17trampoline_kernelINS0_14default_configENS1_22reduce_config_selectorIN6thrust23THRUST_200600_302600_NS5tupleIblNS6_9null_typeES8_S8_S8_S8_S8_S8_S8_EEEEZNS1_11reduce_implILb1ES3_PS9_SC_S9_NS6_11hip_rocprim9__find_if7functorIS9_EEEE10hipError_tPvRmT1_T2_T3_mT4_P12ihipStream_tbEUlT_E1_NS1_11comp_targetILNS1_3genE10ELNS1_11target_archE1200ELNS1_3gpuE4ELNS1_3repE0EEENS1_30default_config_static_selectorELNS0_4arch9wavefront6targetE1EEEvSK_.has_indirect_call, 0
	.section	.AMDGPU.csdata,"",@progbits
; Kernel info:
; codeLenInByte = 0
; TotalNumSgprs: 4
; NumVgprs: 0
; ScratchSize: 0
; MemoryBound: 0
; FloatMode: 240
; IeeeMode: 1
; LDSByteSize: 0 bytes/workgroup (compile time only)
; SGPRBlocks: 0
; VGPRBlocks: 0
; NumSGPRsForWavesPerEU: 4
; NumVGPRsForWavesPerEU: 1
; Occupancy: 10
; WaveLimiterHint : 0
; COMPUTE_PGM_RSRC2:SCRATCH_EN: 0
; COMPUTE_PGM_RSRC2:USER_SGPR: 6
; COMPUTE_PGM_RSRC2:TRAP_HANDLER: 0
; COMPUTE_PGM_RSRC2:TGID_X_EN: 1
; COMPUTE_PGM_RSRC2:TGID_Y_EN: 0
; COMPUTE_PGM_RSRC2:TGID_Z_EN: 0
; COMPUTE_PGM_RSRC2:TIDIG_COMP_CNT: 0
	.section	.text._ZN7rocprim17ROCPRIM_400000_NS6detail17trampoline_kernelINS0_14default_configENS1_22reduce_config_selectorIN6thrust23THRUST_200600_302600_NS5tupleIblNS6_9null_typeES8_S8_S8_S8_S8_S8_S8_EEEEZNS1_11reduce_implILb1ES3_PS9_SC_S9_NS6_11hip_rocprim9__find_if7functorIS9_EEEE10hipError_tPvRmT1_T2_T3_mT4_P12ihipStream_tbEUlT_E1_NS1_11comp_targetILNS1_3genE9ELNS1_11target_archE1100ELNS1_3gpuE3ELNS1_3repE0EEENS1_30default_config_static_selectorELNS0_4arch9wavefront6targetE1EEEvSK_,"axG",@progbits,_ZN7rocprim17ROCPRIM_400000_NS6detail17trampoline_kernelINS0_14default_configENS1_22reduce_config_selectorIN6thrust23THRUST_200600_302600_NS5tupleIblNS6_9null_typeES8_S8_S8_S8_S8_S8_S8_EEEEZNS1_11reduce_implILb1ES3_PS9_SC_S9_NS6_11hip_rocprim9__find_if7functorIS9_EEEE10hipError_tPvRmT1_T2_T3_mT4_P12ihipStream_tbEUlT_E1_NS1_11comp_targetILNS1_3genE9ELNS1_11target_archE1100ELNS1_3gpuE3ELNS1_3repE0EEENS1_30default_config_static_selectorELNS0_4arch9wavefront6targetE1EEEvSK_,comdat
	.protected	_ZN7rocprim17ROCPRIM_400000_NS6detail17trampoline_kernelINS0_14default_configENS1_22reduce_config_selectorIN6thrust23THRUST_200600_302600_NS5tupleIblNS6_9null_typeES8_S8_S8_S8_S8_S8_S8_EEEEZNS1_11reduce_implILb1ES3_PS9_SC_S9_NS6_11hip_rocprim9__find_if7functorIS9_EEEE10hipError_tPvRmT1_T2_T3_mT4_P12ihipStream_tbEUlT_E1_NS1_11comp_targetILNS1_3genE9ELNS1_11target_archE1100ELNS1_3gpuE3ELNS1_3repE0EEENS1_30default_config_static_selectorELNS0_4arch9wavefront6targetE1EEEvSK_ ; -- Begin function _ZN7rocprim17ROCPRIM_400000_NS6detail17trampoline_kernelINS0_14default_configENS1_22reduce_config_selectorIN6thrust23THRUST_200600_302600_NS5tupleIblNS6_9null_typeES8_S8_S8_S8_S8_S8_S8_EEEEZNS1_11reduce_implILb1ES3_PS9_SC_S9_NS6_11hip_rocprim9__find_if7functorIS9_EEEE10hipError_tPvRmT1_T2_T3_mT4_P12ihipStream_tbEUlT_E1_NS1_11comp_targetILNS1_3genE9ELNS1_11target_archE1100ELNS1_3gpuE3ELNS1_3repE0EEENS1_30default_config_static_selectorELNS0_4arch9wavefront6targetE1EEEvSK_
	.globl	_ZN7rocprim17ROCPRIM_400000_NS6detail17trampoline_kernelINS0_14default_configENS1_22reduce_config_selectorIN6thrust23THRUST_200600_302600_NS5tupleIblNS6_9null_typeES8_S8_S8_S8_S8_S8_S8_EEEEZNS1_11reduce_implILb1ES3_PS9_SC_S9_NS6_11hip_rocprim9__find_if7functorIS9_EEEE10hipError_tPvRmT1_T2_T3_mT4_P12ihipStream_tbEUlT_E1_NS1_11comp_targetILNS1_3genE9ELNS1_11target_archE1100ELNS1_3gpuE3ELNS1_3repE0EEENS1_30default_config_static_selectorELNS0_4arch9wavefront6targetE1EEEvSK_
	.p2align	8
	.type	_ZN7rocprim17ROCPRIM_400000_NS6detail17trampoline_kernelINS0_14default_configENS1_22reduce_config_selectorIN6thrust23THRUST_200600_302600_NS5tupleIblNS6_9null_typeES8_S8_S8_S8_S8_S8_S8_EEEEZNS1_11reduce_implILb1ES3_PS9_SC_S9_NS6_11hip_rocprim9__find_if7functorIS9_EEEE10hipError_tPvRmT1_T2_T3_mT4_P12ihipStream_tbEUlT_E1_NS1_11comp_targetILNS1_3genE9ELNS1_11target_archE1100ELNS1_3gpuE3ELNS1_3repE0EEENS1_30default_config_static_selectorELNS0_4arch9wavefront6targetE1EEEvSK_,@function
_ZN7rocprim17ROCPRIM_400000_NS6detail17trampoline_kernelINS0_14default_configENS1_22reduce_config_selectorIN6thrust23THRUST_200600_302600_NS5tupleIblNS6_9null_typeES8_S8_S8_S8_S8_S8_S8_EEEEZNS1_11reduce_implILb1ES3_PS9_SC_S9_NS6_11hip_rocprim9__find_if7functorIS9_EEEE10hipError_tPvRmT1_T2_T3_mT4_P12ihipStream_tbEUlT_E1_NS1_11comp_targetILNS1_3genE9ELNS1_11target_archE1100ELNS1_3gpuE3ELNS1_3repE0EEENS1_30default_config_static_selectorELNS0_4arch9wavefront6targetE1EEEvSK_: ; @_ZN7rocprim17ROCPRIM_400000_NS6detail17trampoline_kernelINS0_14default_configENS1_22reduce_config_selectorIN6thrust23THRUST_200600_302600_NS5tupleIblNS6_9null_typeES8_S8_S8_S8_S8_S8_S8_EEEEZNS1_11reduce_implILb1ES3_PS9_SC_S9_NS6_11hip_rocprim9__find_if7functorIS9_EEEE10hipError_tPvRmT1_T2_T3_mT4_P12ihipStream_tbEUlT_E1_NS1_11comp_targetILNS1_3genE9ELNS1_11target_archE1100ELNS1_3gpuE3ELNS1_3repE0EEENS1_30default_config_static_selectorELNS0_4arch9wavefront6targetE1EEEvSK_
; %bb.0:
	.section	.rodata,"a",@progbits
	.p2align	6, 0x0
	.amdhsa_kernel _ZN7rocprim17ROCPRIM_400000_NS6detail17trampoline_kernelINS0_14default_configENS1_22reduce_config_selectorIN6thrust23THRUST_200600_302600_NS5tupleIblNS6_9null_typeES8_S8_S8_S8_S8_S8_S8_EEEEZNS1_11reduce_implILb1ES3_PS9_SC_S9_NS6_11hip_rocprim9__find_if7functorIS9_EEEE10hipError_tPvRmT1_T2_T3_mT4_P12ihipStream_tbEUlT_E1_NS1_11comp_targetILNS1_3genE9ELNS1_11target_archE1100ELNS1_3gpuE3ELNS1_3repE0EEENS1_30default_config_static_selectorELNS0_4arch9wavefront6targetE1EEEvSK_
		.amdhsa_group_segment_fixed_size 0
		.amdhsa_private_segment_fixed_size 0
		.amdhsa_kernarg_size 56
		.amdhsa_user_sgpr_count 6
		.amdhsa_user_sgpr_private_segment_buffer 1
		.amdhsa_user_sgpr_dispatch_ptr 0
		.amdhsa_user_sgpr_queue_ptr 0
		.amdhsa_user_sgpr_kernarg_segment_ptr 1
		.amdhsa_user_sgpr_dispatch_id 0
		.amdhsa_user_sgpr_flat_scratch_init 0
		.amdhsa_user_sgpr_private_segment_size 0
		.amdhsa_uses_dynamic_stack 0
		.amdhsa_system_sgpr_private_segment_wavefront_offset 0
		.amdhsa_system_sgpr_workgroup_id_x 1
		.amdhsa_system_sgpr_workgroup_id_y 0
		.amdhsa_system_sgpr_workgroup_id_z 0
		.amdhsa_system_sgpr_workgroup_info 0
		.amdhsa_system_vgpr_workitem_id 0
		.amdhsa_next_free_vgpr 1
		.amdhsa_next_free_sgpr 0
		.amdhsa_reserve_vcc 0
		.amdhsa_reserve_flat_scratch 0
		.amdhsa_float_round_mode_32 0
		.amdhsa_float_round_mode_16_64 0
		.amdhsa_float_denorm_mode_32 3
		.amdhsa_float_denorm_mode_16_64 3
		.amdhsa_dx10_clamp 1
		.amdhsa_ieee_mode 1
		.amdhsa_fp16_overflow 0
		.amdhsa_exception_fp_ieee_invalid_op 0
		.amdhsa_exception_fp_denorm_src 0
		.amdhsa_exception_fp_ieee_div_zero 0
		.amdhsa_exception_fp_ieee_overflow 0
		.amdhsa_exception_fp_ieee_underflow 0
		.amdhsa_exception_fp_ieee_inexact 0
		.amdhsa_exception_int_div_zero 0
	.end_amdhsa_kernel
	.section	.text._ZN7rocprim17ROCPRIM_400000_NS6detail17trampoline_kernelINS0_14default_configENS1_22reduce_config_selectorIN6thrust23THRUST_200600_302600_NS5tupleIblNS6_9null_typeES8_S8_S8_S8_S8_S8_S8_EEEEZNS1_11reduce_implILb1ES3_PS9_SC_S9_NS6_11hip_rocprim9__find_if7functorIS9_EEEE10hipError_tPvRmT1_T2_T3_mT4_P12ihipStream_tbEUlT_E1_NS1_11comp_targetILNS1_3genE9ELNS1_11target_archE1100ELNS1_3gpuE3ELNS1_3repE0EEENS1_30default_config_static_selectorELNS0_4arch9wavefront6targetE1EEEvSK_,"axG",@progbits,_ZN7rocprim17ROCPRIM_400000_NS6detail17trampoline_kernelINS0_14default_configENS1_22reduce_config_selectorIN6thrust23THRUST_200600_302600_NS5tupleIblNS6_9null_typeES8_S8_S8_S8_S8_S8_S8_EEEEZNS1_11reduce_implILb1ES3_PS9_SC_S9_NS6_11hip_rocprim9__find_if7functorIS9_EEEE10hipError_tPvRmT1_T2_T3_mT4_P12ihipStream_tbEUlT_E1_NS1_11comp_targetILNS1_3genE9ELNS1_11target_archE1100ELNS1_3gpuE3ELNS1_3repE0EEENS1_30default_config_static_selectorELNS0_4arch9wavefront6targetE1EEEvSK_,comdat
.Lfunc_end52:
	.size	_ZN7rocprim17ROCPRIM_400000_NS6detail17trampoline_kernelINS0_14default_configENS1_22reduce_config_selectorIN6thrust23THRUST_200600_302600_NS5tupleIblNS6_9null_typeES8_S8_S8_S8_S8_S8_S8_EEEEZNS1_11reduce_implILb1ES3_PS9_SC_S9_NS6_11hip_rocprim9__find_if7functorIS9_EEEE10hipError_tPvRmT1_T2_T3_mT4_P12ihipStream_tbEUlT_E1_NS1_11comp_targetILNS1_3genE9ELNS1_11target_archE1100ELNS1_3gpuE3ELNS1_3repE0EEENS1_30default_config_static_selectorELNS0_4arch9wavefront6targetE1EEEvSK_, .Lfunc_end52-_ZN7rocprim17ROCPRIM_400000_NS6detail17trampoline_kernelINS0_14default_configENS1_22reduce_config_selectorIN6thrust23THRUST_200600_302600_NS5tupleIblNS6_9null_typeES8_S8_S8_S8_S8_S8_S8_EEEEZNS1_11reduce_implILb1ES3_PS9_SC_S9_NS6_11hip_rocprim9__find_if7functorIS9_EEEE10hipError_tPvRmT1_T2_T3_mT4_P12ihipStream_tbEUlT_E1_NS1_11comp_targetILNS1_3genE9ELNS1_11target_archE1100ELNS1_3gpuE3ELNS1_3repE0EEENS1_30default_config_static_selectorELNS0_4arch9wavefront6targetE1EEEvSK_
                                        ; -- End function
	.set _ZN7rocprim17ROCPRIM_400000_NS6detail17trampoline_kernelINS0_14default_configENS1_22reduce_config_selectorIN6thrust23THRUST_200600_302600_NS5tupleIblNS6_9null_typeES8_S8_S8_S8_S8_S8_S8_EEEEZNS1_11reduce_implILb1ES3_PS9_SC_S9_NS6_11hip_rocprim9__find_if7functorIS9_EEEE10hipError_tPvRmT1_T2_T3_mT4_P12ihipStream_tbEUlT_E1_NS1_11comp_targetILNS1_3genE9ELNS1_11target_archE1100ELNS1_3gpuE3ELNS1_3repE0EEENS1_30default_config_static_selectorELNS0_4arch9wavefront6targetE1EEEvSK_.num_vgpr, 0
	.set _ZN7rocprim17ROCPRIM_400000_NS6detail17trampoline_kernelINS0_14default_configENS1_22reduce_config_selectorIN6thrust23THRUST_200600_302600_NS5tupleIblNS6_9null_typeES8_S8_S8_S8_S8_S8_S8_EEEEZNS1_11reduce_implILb1ES3_PS9_SC_S9_NS6_11hip_rocprim9__find_if7functorIS9_EEEE10hipError_tPvRmT1_T2_T3_mT4_P12ihipStream_tbEUlT_E1_NS1_11comp_targetILNS1_3genE9ELNS1_11target_archE1100ELNS1_3gpuE3ELNS1_3repE0EEENS1_30default_config_static_selectorELNS0_4arch9wavefront6targetE1EEEvSK_.num_agpr, 0
	.set _ZN7rocprim17ROCPRIM_400000_NS6detail17trampoline_kernelINS0_14default_configENS1_22reduce_config_selectorIN6thrust23THRUST_200600_302600_NS5tupleIblNS6_9null_typeES8_S8_S8_S8_S8_S8_S8_EEEEZNS1_11reduce_implILb1ES3_PS9_SC_S9_NS6_11hip_rocprim9__find_if7functorIS9_EEEE10hipError_tPvRmT1_T2_T3_mT4_P12ihipStream_tbEUlT_E1_NS1_11comp_targetILNS1_3genE9ELNS1_11target_archE1100ELNS1_3gpuE3ELNS1_3repE0EEENS1_30default_config_static_selectorELNS0_4arch9wavefront6targetE1EEEvSK_.numbered_sgpr, 0
	.set _ZN7rocprim17ROCPRIM_400000_NS6detail17trampoline_kernelINS0_14default_configENS1_22reduce_config_selectorIN6thrust23THRUST_200600_302600_NS5tupleIblNS6_9null_typeES8_S8_S8_S8_S8_S8_S8_EEEEZNS1_11reduce_implILb1ES3_PS9_SC_S9_NS6_11hip_rocprim9__find_if7functorIS9_EEEE10hipError_tPvRmT1_T2_T3_mT4_P12ihipStream_tbEUlT_E1_NS1_11comp_targetILNS1_3genE9ELNS1_11target_archE1100ELNS1_3gpuE3ELNS1_3repE0EEENS1_30default_config_static_selectorELNS0_4arch9wavefront6targetE1EEEvSK_.num_named_barrier, 0
	.set _ZN7rocprim17ROCPRIM_400000_NS6detail17trampoline_kernelINS0_14default_configENS1_22reduce_config_selectorIN6thrust23THRUST_200600_302600_NS5tupleIblNS6_9null_typeES8_S8_S8_S8_S8_S8_S8_EEEEZNS1_11reduce_implILb1ES3_PS9_SC_S9_NS6_11hip_rocprim9__find_if7functorIS9_EEEE10hipError_tPvRmT1_T2_T3_mT4_P12ihipStream_tbEUlT_E1_NS1_11comp_targetILNS1_3genE9ELNS1_11target_archE1100ELNS1_3gpuE3ELNS1_3repE0EEENS1_30default_config_static_selectorELNS0_4arch9wavefront6targetE1EEEvSK_.private_seg_size, 0
	.set _ZN7rocprim17ROCPRIM_400000_NS6detail17trampoline_kernelINS0_14default_configENS1_22reduce_config_selectorIN6thrust23THRUST_200600_302600_NS5tupleIblNS6_9null_typeES8_S8_S8_S8_S8_S8_S8_EEEEZNS1_11reduce_implILb1ES3_PS9_SC_S9_NS6_11hip_rocprim9__find_if7functorIS9_EEEE10hipError_tPvRmT1_T2_T3_mT4_P12ihipStream_tbEUlT_E1_NS1_11comp_targetILNS1_3genE9ELNS1_11target_archE1100ELNS1_3gpuE3ELNS1_3repE0EEENS1_30default_config_static_selectorELNS0_4arch9wavefront6targetE1EEEvSK_.uses_vcc, 0
	.set _ZN7rocprim17ROCPRIM_400000_NS6detail17trampoline_kernelINS0_14default_configENS1_22reduce_config_selectorIN6thrust23THRUST_200600_302600_NS5tupleIblNS6_9null_typeES8_S8_S8_S8_S8_S8_S8_EEEEZNS1_11reduce_implILb1ES3_PS9_SC_S9_NS6_11hip_rocprim9__find_if7functorIS9_EEEE10hipError_tPvRmT1_T2_T3_mT4_P12ihipStream_tbEUlT_E1_NS1_11comp_targetILNS1_3genE9ELNS1_11target_archE1100ELNS1_3gpuE3ELNS1_3repE0EEENS1_30default_config_static_selectorELNS0_4arch9wavefront6targetE1EEEvSK_.uses_flat_scratch, 0
	.set _ZN7rocprim17ROCPRIM_400000_NS6detail17trampoline_kernelINS0_14default_configENS1_22reduce_config_selectorIN6thrust23THRUST_200600_302600_NS5tupleIblNS6_9null_typeES8_S8_S8_S8_S8_S8_S8_EEEEZNS1_11reduce_implILb1ES3_PS9_SC_S9_NS6_11hip_rocprim9__find_if7functorIS9_EEEE10hipError_tPvRmT1_T2_T3_mT4_P12ihipStream_tbEUlT_E1_NS1_11comp_targetILNS1_3genE9ELNS1_11target_archE1100ELNS1_3gpuE3ELNS1_3repE0EEENS1_30default_config_static_selectorELNS0_4arch9wavefront6targetE1EEEvSK_.has_dyn_sized_stack, 0
	.set _ZN7rocprim17ROCPRIM_400000_NS6detail17trampoline_kernelINS0_14default_configENS1_22reduce_config_selectorIN6thrust23THRUST_200600_302600_NS5tupleIblNS6_9null_typeES8_S8_S8_S8_S8_S8_S8_EEEEZNS1_11reduce_implILb1ES3_PS9_SC_S9_NS6_11hip_rocprim9__find_if7functorIS9_EEEE10hipError_tPvRmT1_T2_T3_mT4_P12ihipStream_tbEUlT_E1_NS1_11comp_targetILNS1_3genE9ELNS1_11target_archE1100ELNS1_3gpuE3ELNS1_3repE0EEENS1_30default_config_static_selectorELNS0_4arch9wavefront6targetE1EEEvSK_.has_recursion, 0
	.set _ZN7rocprim17ROCPRIM_400000_NS6detail17trampoline_kernelINS0_14default_configENS1_22reduce_config_selectorIN6thrust23THRUST_200600_302600_NS5tupleIblNS6_9null_typeES8_S8_S8_S8_S8_S8_S8_EEEEZNS1_11reduce_implILb1ES3_PS9_SC_S9_NS6_11hip_rocprim9__find_if7functorIS9_EEEE10hipError_tPvRmT1_T2_T3_mT4_P12ihipStream_tbEUlT_E1_NS1_11comp_targetILNS1_3genE9ELNS1_11target_archE1100ELNS1_3gpuE3ELNS1_3repE0EEENS1_30default_config_static_selectorELNS0_4arch9wavefront6targetE1EEEvSK_.has_indirect_call, 0
	.section	.AMDGPU.csdata,"",@progbits
; Kernel info:
; codeLenInByte = 0
; TotalNumSgprs: 4
; NumVgprs: 0
; ScratchSize: 0
; MemoryBound: 0
; FloatMode: 240
; IeeeMode: 1
; LDSByteSize: 0 bytes/workgroup (compile time only)
; SGPRBlocks: 0
; VGPRBlocks: 0
; NumSGPRsForWavesPerEU: 4
; NumVGPRsForWavesPerEU: 1
; Occupancy: 10
; WaveLimiterHint : 0
; COMPUTE_PGM_RSRC2:SCRATCH_EN: 0
; COMPUTE_PGM_RSRC2:USER_SGPR: 6
; COMPUTE_PGM_RSRC2:TRAP_HANDLER: 0
; COMPUTE_PGM_RSRC2:TGID_X_EN: 1
; COMPUTE_PGM_RSRC2:TGID_Y_EN: 0
; COMPUTE_PGM_RSRC2:TGID_Z_EN: 0
; COMPUTE_PGM_RSRC2:TIDIG_COMP_CNT: 0
	.section	.text._ZN7rocprim17ROCPRIM_400000_NS6detail17trampoline_kernelINS0_14default_configENS1_22reduce_config_selectorIN6thrust23THRUST_200600_302600_NS5tupleIblNS6_9null_typeES8_S8_S8_S8_S8_S8_S8_EEEEZNS1_11reduce_implILb1ES3_PS9_SC_S9_NS6_11hip_rocprim9__find_if7functorIS9_EEEE10hipError_tPvRmT1_T2_T3_mT4_P12ihipStream_tbEUlT_E1_NS1_11comp_targetILNS1_3genE8ELNS1_11target_archE1030ELNS1_3gpuE2ELNS1_3repE0EEENS1_30default_config_static_selectorELNS0_4arch9wavefront6targetE1EEEvSK_,"axG",@progbits,_ZN7rocprim17ROCPRIM_400000_NS6detail17trampoline_kernelINS0_14default_configENS1_22reduce_config_selectorIN6thrust23THRUST_200600_302600_NS5tupleIblNS6_9null_typeES8_S8_S8_S8_S8_S8_S8_EEEEZNS1_11reduce_implILb1ES3_PS9_SC_S9_NS6_11hip_rocprim9__find_if7functorIS9_EEEE10hipError_tPvRmT1_T2_T3_mT4_P12ihipStream_tbEUlT_E1_NS1_11comp_targetILNS1_3genE8ELNS1_11target_archE1030ELNS1_3gpuE2ELNS1_3repE0EEENS1_30default_config_static_selectorELNS0_4arch9wavefront6targetE1EEEvSK_,comdat
	.protected	_ZN7rocprim17ROCPRIM_400000_NS6detail17trampoline_kernelINS0_14default_configENS1_22reduce_config_selectorIN6thrust23THRUST_200600_302600_NS5tupleIblNS6_9null_typeES8_S8_S8_S8_S8_S8_S8_EEEEZNS1_11reduce_implILb1ES3_PS9_SC_S9_NS6_11hip_rocprim9__find_if7functorIS9_EEEE10hipError_tPvRmT1_T2_T3_mT4_P12ihipStream_tbEUlT_E1_NS1_11comp_targetILNS1_3genE8ELNS1_11target_archE1030ELNS1_3gpuE2ELNS1_3repE0EEENS1_30default_config_static_selectorELNS0_4arch9wavefront6targetE1EEEvSK_ ; -- Begin function _ZN7rocprim17ROCPRIM_400000_NS6detail17trampoline_kernelINS0_14default_configENS1_22reduce_config_selectorIN6thrust23THRUST_200600_302600_NS5tupleIblNS6_9null_typeES8_S8_S8_S8_S8_S8_S8_EEEEZNS1_11reduce_implILb1ES3_PS9_SC_S9_NS6_11hip_rocprim9__find_if7functorIS9_EEEE10hipError_tPvRmT1_T2_T3_mT4_P12ihipStream_tbEUlT_E1_NS1_11comp_targetILNS1_3genE8ELNS1_11target_archE1030ELNS1_3gpuE2ELNS1_3repE0EEENS1_30default_config_static_selectorELNS0_4arch9wavefront6targetE1EEEvSK_
	.globl	_ZN7rocprim17ROCPRIM_400000_NS6detail17trampoline_kernelINS0_14default_configENS1_22reduce_config_selectorIN6thrust23THRUST_200600_302600_NS5tupleIblNS6_9null_typeES8_S8_S8_S8_S8_S8_S8_EEEEZNS1_11reduce_implILb1ES3_PS9_SC_S9_NS6_11hip_rocprim9__find_if7functorIS9_EEEE10hipError_tPvRmT1_T2_T3_mT4_P12ihipStream_tbEUlT_E1_NS1_11comp_targetILNS1_3genE8ELNS1_11target_archE1030ELNS1_3gpuE2ELNS1_3repE0EEENS1_30default_config_static_selectorELNS0_4arch9wavefront6targetE1EEEvSK_
	.p2align	8
	.type	_ZN7rocprim17ROCPRIM_400000_NS6detail17trampoline_kernelINS0_14default_configENS1_22reduce_config_selectorIN6thrust23THRUST_200600_302600_NS5tupleIblNS6_9null_typeES8_S8_S8_S8_S8_S8_S8_EEEEZNS1_11reduce_implILb1ES3_PS9_SC_S9_NS6_11hip_rocprim9__find_if7functorIS9_EEEE10hipError_tPvRmT1_T2_T3_mT4_P12ihipStream_tbEUlT_E1_NS1_11comp_targetILNS1_3genE8ELNS1_11target_archE1030ELNS1_3gpuE2ELNS1_3repE0EEENS1_30default_config_static_selectorELNS0_4arch9wavefront6targetE1EEEvSK_,@function
_ZN7rocprim17ROCPRIM_400000_NS6detail17trampoline_kernelINS0_14default_configENS1_22reduce_config_selectorIN6thrust23THRUST_200600_302600_NS5tupleIblNS6_9null_typeES8_S8_S8_S8_S8_S8_S8_EEEEZNS1_11reduce_implILb1ES3_PS9_SC_S9_NS6_11hip_rocprim9__find_if7functorIS9_EEEE10hipError_tPvRmT1_T2_T3_mT4_P12ihipStream_tbEUlT_E1_NS1_11comp_targetILNS1_3genE8ELNS1_11target_archE1030ELNS1_3gpuE2ELNS1_3repE0EEENS1_30default_config_static_selectorELNS0_4arch9wavefront6targetE1EEEvSK_: ; @_ZN7rocprim17ROCPRIM_400000_NS6detail17trampoline_kernelINS0_14default_configENS1_22reduce_config_selectorIN6thrust23THRUST_200600_302600_NS5tupleIblNS6_9null_typeES8_S8_S8_S8_S8_S8_S8_EEEEZNS1_11reduce_implILb1ES3_PS9_SC_S9_NS6_11hip_rocprim9__find_if7functorIS9_EEEE10hipError_tPvRmT1_T2_T3_mT4_P12ihipStream_tbEUlT_E1_NS1_11comp_targetILNS1_3genE8ELNS1_11target_archE1030ELNS1_3gpuE2ELNS1_3repE0EEENS1_30default_config_static_selectorELNS0_4arch9wavefront6targetE1EEEvSK_
; %bb.0:
	.section	.rodata,"a",@progbits
	.p2align	6, 0x0
	.amdhsa_kernel _ZN7rocprim17ROCPRIM_400000_NS6detail17trampoline_kernelINS0_14default_configENS1_22reduce_config_selectorIN6thrust23THRUST_200600_302600_NS5tupleIblNS6_9null_typeES8_S8_S8_S8_S8_S8_S8_EEEEZNS1_11reduce_implILb1ES3_PS9_SC_S9_NS6_11hip_rocprim9__find_if7functorIS9_EEEE10hipError_tPvRmT1_T2_T3_mT4_P12ihipStream_tbEUlT_E1_NS1_11comp_targetILNS1_3genE8ELNS1_11target_archE1030ELNS1_3gpuE2ELNS1_3repE0EEENS1_30default_config_static_selectorELNS0_4arch9wavefront6targetE1EEEvSK_
		.amdhsa_group_segment_fixed_size 0
		.amdhsa_private_segment_fixed_size 0
		.amdhsa_kernarg_size 56
		.amdhsa_user_sgpr_count 6
		.amdhsa_user_sgpr_private_segment_buffer 1
		.amdhsa_user_sgpr_dispatch_ptr 0
		.amdhsa_user_sgpr_queue_ptr 0
		.amdhsa_user_sgpr_kernarg_segment_ptr 1
		.amdhsa_user_sgpr_dispatch_id 0
		.amdhsa_user_sgpr_flat_scratch_init 0
		.amdhsa_user_sgpr_private_segment_size 0
		.amdhsa_uses_dynamic_stack 0
		.amdhsa_system_sgpr_private_segment_wavefront_offset 0
		.amdhsa_system_sgpr_workgroup_id_x 1
		.amdhsa_system_sgpr_workgroup_id_y 0
		.amdhsa_system_sgpr_workgroup_id_z 0
		.amdhsa_system_sgpr_workgroup_info 0
		.amdhsa_system_vgpr_workitem_id 0
		.amdhsa_next_free_vgpr 1
		.amdhsa_next_free_sgpr 0
		.amdhsa_reserve_vcc 0
		.amdhsa_reserve_flat_scratch 0
		.amdhsa_float_round_mode_32 0
		.amdhsa_float_round_mode_16_64 0
		.amdhsa_float_denorm_mode_32 3
		.amdhsa_float_denorm_mode_16_64 3
		.amdhsa_dx10_clamp 1
		.amdhsa_ieee_mode 1
		.amdhsa_fp16_overflow 0
		.amdhsa_exception_fp_ieee_invalid_op 0
		.amdhsa_exception_fp_denorm_src 0
		.amdhsa_exception_fp_ieee_div_zero 0
		.amdhsa_exception_fp_ieee_overflow 0
		.amdhsa_exception_fp_ieee_underflow 0
		.amdhsa_exception_fp_ieee_inexact 0
		.amdhsa_exception_int_div_zero 0
	.end_amdhsa_kernel
	.section	.text._ZN7rocprim17ROCPRIM_400000_NS6detail17trampoline_kernelINS0_14default_configENS1_22reduce_config_selectorIN6thrust23THRUST_200600_302600_NS5tupleIblNS6_9null_typeES8_S8_S8_S8_S8_S8_S8_EEEEZNS1_11reduce_implILb1ES3_PS9_SC_S9_NS6_11hip_rocprim9__find_if7functorIS9_EEEE10hipError_tPvRmT1_T2_T3_mT4_P12ihipStream_tbEUlT_E1_NS1_11comp_targetILNS1_3genE8ELNS1_11target_archE1030ELNS1_3gpuE2ELNS1_3repE0EEENS1_30default_config_static_selectorELNS0_4arch9wavefront6targetE1EEEvSK_,"axG",@progbits,_ZN7rocprim17ROCPRIM_400000_NS6detail17trampoline_kernelINS0_14default_configENS1_22reduce_config_selectorIN6thrust23THRUST_200600_302600_NS5tupleIblNS6_9null_typeES8_S8_S8_S8_S8_S8_S8_EEEEZNS1_11reduce_implILb1ES3_PS9_SC_S9_NS6_11hip_rocprim9__find_if7functorIS9_EEEE10hipError_tPvRmT1_T2_T3_mT4_P12ihipStream_tbEUlT_E1_NS1_11comp_targetILNS1_3genE8ELNS1_11target_archE1030ELNS1_3gpuE2ELNS1_3repE0EEENS1_30default_config_static_selectorELNS0_4arch9wavefront6targetE1EEEvSK_,comdat
.Lfunc_end53:
	.size	_ZN7rocprim17ROCPRIM_400000_NS6detail17trampoline_kernelINS0_14default_configENS1_22reduce_config_selectorIN6thrust23THRUST_200600_302600_NS5tupleIblNS6_9null_typeES8_S8_S8_S8_S8_S8_S8_EEEEZNS1_11reduce_implILb1ES3_PS9_SC_S9_NS6_11hip_rocprim9__find_if7functorIS9_EEEE10hipError_tPvRmT1_T2_T3_mT4_P12ihipStream_tbEUlT_E1_NS1_11comp_targetILNS1_3genE8ELNS1_11target_archE1030ELNS1_3gpuE2ELNS1_3repE0EEENS1_30default_config_static_selectorELNS0_4arch9wavefront6targetE1EEEvSK_, .Lfunc_end53-_ZN7rocprim17ROCPRIM_400000_NS6detail17trampoline_kernelINS0_14default_configENS1_22reduce_config_selectorIN6thrust23THRUST_200600_302600_NS5tupleIblNS6_9null_typeES8_S8_S8_S8_S8_S8_S8_EEEEZNS1_11reduce_implILb1ES3_PS9_SC_S9_NS6_11hip_rocprim9__find_if7functorIS9_EEEE10hipError_tPvRmT1_T2_T3_mT4_P12ihipStream_tbEUlT_E1_NS1_11comp_targetILNS1_3genE8ELNS1_11target_archE1030ELNS1_3gpuE2ELNS1_3repE0EEENS1_30default_config_static_selectorELNS0_4arch9wavefront6targetE1EEEvSK_
                                        ; -- End function
	.set _ZN7rocprim17ROCPRIM_400000_NS6detail17trampoline_kernelINS0_14default_configENS1_22reduce_config_selectorIN6thrust23THRUST_200600_302600_NS5tupleIblNS6_9null_typeES8_S8_S8_S8_S8_S8_S8_EEEEZNS1_11reduce_implILb1ES3_PS9_SC_S9_NS6_11hip_rocprim9__find_if7functorIS9_EEEE10hipError_tPvRmT1_T2_T3_mT4_P12ihipStream_tbEUlT_E1_NS1_11comp_targetILNS1_3genE8ELNS1_11target_archE1030ELNS1_3gpuE2ELNS1_3repE0EEENS1_30default_config_static_selectorELNS0_4arch9wavefront6targetE1EEEvSK_.num_vgpr, 0
	.set _ZN7rocprim17ROCPRIM_400000_NS6detail17trampoline_kernelINS0_14default_configENS1_22reduce_config_selectorIN6thrust23THRUST_200600_302600_NS5tupleIblNS6_9null_typeES8_S8_S8_S8_S8_S8_S8_EEEEZNS1_11reduce_implILb1ES3_PS9_SC_S9_NS6_11hip_rocprim9__find_if7functorIS9_EEEE10hipError_tPvRmT1_T2_T3_mT4_P12ihipStream_tbEUlT_E1_NS1_11comp_targetILNS1_3genE8ELNS1_11target_archE1030ELNS1_3gpuE2ELNS1_3repE0EEENS1_30default_config_static_selectorELNS0_4arch9wavefront6targetE1EEEvSK_.num_agpr, 0
	.set _ZN7rocprim17ROCPRIM_400000_NS6detail17trampoline_kernelINS0_14default_configENS1_22reduce_config_selectorIN6thrust23THRUST_200600_302600_NS5tupleIblNS6_9null_typeES8_S8_S8_S8_S8_S8_S8_EEEEZNS1_11reduce_implILb1ES3_PS9_SC_S9_NS6_11hip_rocprim9__find_if7functorIS9_EEEE10hipError_tPvRmT1_T2_T3_mT4_P12ihipStream_tbEUlT_E1_NS1_11comp_targetILNS1_3genE8ELNS1_11target_archE1030ELNS1_3gpuE2ELNS1_3repE0EEENS1_30default_config_static_selectorELNS0_4arch9wavefront6targetE1EEEvSK_.numbered_sgpr, 0
	.set _ZN7rocprim17ROCPRIM_400000_NS6detail17trampoline_kernelINS0_14default_configENS1_22reduce_config_selectorIN6thrust23THRUST_200600_302600_NS5tupleIblNS6_9null_typeES8_S8_S8_S8_S8_S8_S8_EEEEZNS1_11reduce_implILb1ES3_PS9_SC_S9_NS6_11hip_rocprim9__find_if7functorIS9_EEEE10hipError_tPvRmT1_T2_T3_mT4_P12ihipStream_tbEUlT_E1_NS1_11comp_targetILNS1_3genE8ELNS1_11target_archE1030ELNS1_3gpuE2ELNS1_3repE0EEENS1_30default_config_static_selectorELNS0_4arch9wavefront6targetE1EEEvSK_.num_named_barrier, 0
	.set _ZN7rocprim17ROCPRIM_400000_NS6detail17trampoline_kernelINS0_14default_configENS1_22reduce_config_selectorIN6thrust23THRUST_200600_302600_NS5tupleIblNS6_9null_typeES8_S8_S8_S8_S8_S8_S8_EEEEZNS1_11reduce_implILb1ES3_PS9_SC_S9_NS6_11hip_rocprim9__find_if7functorIS9_EEEE10hipError_tPvRmT1_T2_T3_mT4_P12ihipStream_tbEUlT_E1_NS1_11comp_targetILNS1_3genE8ELNS1_11target_archE1030ELNS1_3gpuE2ELNS1_3repE0EEENS1_30default_config_static_selectorELNS0_4arch9wavefront6targetE1EEEvSK_.private_seg_size, 0
	.set _ZN7rocprim17ROCPRIM_400000_NS6detail17trampoline_kernelINS0_14default_configENS1_22reduce_config_selectorIN6thrust23THRUST_200600_302600_NS5tupleIblNS6_9null_typeES8_S8_S8_S8_S8_S8_S8_EEEEZNS1_11reduce_implILb1ES3_PS9_SC_S9_NS6_11hip_rocprim9__find_if7functorIS9_EEEE10hipError_tPvRmT1_T2_T3_mT4_P12ihipStream_tbEUlT_E1_NS1_11comp_targetILNS1_3genE8ELNS1_11target_archE1030ELNS1_3gpuE2ELNS1_3repE0EEENS1_30default_config_static_selectorELNS0_4arch9wavefront6targetE1EEEvSK_.uses_vcc, 0
	.set _ZN7rocprim17ROCPRIM_400000_NS6detail17trampoline_kernelINS0_14default_configENS1_22reduce_config_selectorIN6thrust23THRUST_200600_302600_NS5tupleIblNS6_9null_typeES8_S8_S8_S8_S8_S8_S8_EEEEZNS1_11reduce_implILb1ES3_PS9_SC_S9_NS6_11hip_rocprim9__find_if7functorIS9_EEEE10hipError_tPvRmT1_T2_T3_mT4_P12ihipStream_tbEUlT_E1_NS1_11comp_targetILNS1_3genE8ELNS1_11target_archE1030ELNS1_3gpuE2ELNS1_3repE0EEENS1_30default_config_static_selectorELNS0_4arch9wavefront6targetE1EEEvSK_.uses_flat_scratch, 0
	.set _ZN7rocprim17ROCPRIM_400000_NS6detail17trampoline_kernelINS0_14default_configENS1_22reduce_config_selectorIN6thrust23THRUST_200600_302600_NS5tupleIblNS6_9null_typeES8_S8_S8_S8_S8_S8_S8_EEEEZNS1_11reduce_implILb1ES3_PS9_SC_S9_NS6_11hip_rocprim9__find_if7functorIS9_EEEE10hipError_tPvRmT1_T2_T3_mT4_P12ihipStream_tbEUlT_E1_NS1_11comp_targetILNS1_3genE8ELNS1_11target_archE1030ELNS1_3gpuE2ELNS1_3repE0EEENS1_30default_config_static_selectorELNS0_4arch9wavefront6targetE1EEEvSK_.has_dyn_sized_stack, 0
	.set _ZN7rocprim17ROCPRIM_400000_NS6detail17trampoline_kernelINS0_14default_configENS1_22reduce_config_selectorIN6thrust23THRUST_200600_302600_NS5tupleIblNS6_9null_typeES8_S8_S8_S8_S8_S8_S8_EEEEZNS1_11reduce_implILb1ES3_PS9_SC_S9_NS6_11hip_rocprim9__find_if7functorIS9_EEEE10hipError_tPvRmT1_T2_T3_mT4_P12ihipStream_tbEUlT_E1_NS1_11comp_targetILNS1_3genE8ELNS1_11target_archE1030ELNS1_3gpuE2ELNS1_3repE0EEENS1_30default_config_static_selectorELNS0_4arch9wavefront6targetE1EEEvSK_.has_recursion, 0
	.set _ZN7rocprim17ROCPRIM_400000_NS6detail17trampoline_kernelINS0_14default_configENS1_22reduce_config_selectorIN6thrust23THRUST_200600_302600_NS5tupleIblNS6_9null_typeES8_S8_S8_S8_S8_S8_S8_EEEEZNS1_11reduce_implILb1ES3_PS9_SC_S9_NS6_11hip_rocprim9__find_if7functorIS9_EEEE10hipError_tPvRmT1_T2_T3_mT4_P12ihipStream_tbEUlT_E1_NS1_11comp_targetILNS1_3genE8ELNS1_11target_archE1030ELNS1_3gpuE2ELNS1_3repE0EEENS1_30default_config_static_selectorELNS0_4arch9wavefront6targetE1EEEvSK_.has_indirect_call, 0
	.section	.AMDGPU.csdata,"",@progbits
; Kernel info:
; codeLenInByte = 0
; TotalNumSgprs: 4
; NumVgprs: 0
; ScratchSize: 0
; MemoryBound: 0
; FloatMode: 240
; IeeeMode: 1
; LDSByteSize: 0 bytes/workgroup (compile time only)
; SGPRBlocks: 0
; VGPRBlocks: 0
; NumSGPRsForWavesPerEU: 4
; NumVGPRsForWavesPerEU: 1
; Occupancy: 10
; WaveLimiterHint : 0
; COMPUTE_PGM_RSRC2:SCRATCH_EN: 0
; COMPUTE_PGM_RSRC2:USER_SGPR: 6
; COMPUTE_PGM_RSRC2:TRAP_HANDLER: 0
; COMPUTE_PGM_RSRC2:TGID_X_EN: 1
; COMPUTE_PGM_RSRC2:TGID_Y_EN: 0
; COMPUTE_PGM_RSRC2:TGID_Z_EN: 0
; COMPUTE_PGM_RSRC2:TIDIG_COMP_CNT: 0
	.section	.text._ZN7rocprim17ROCPRIM_400000_NS6detail17trampoline_kernelINS0_14default_configENS1_22reduce_config_selectorIN6thrust23THRUST_200600_302600_NS5tupleIblNS6_9null_typeES8_S8_S8_S8_S8_S8_S8_EEEEZNS1_11reduce_implILb1ES3_NS6_12zip_iteratorINS7_INS6_11hip_rocprim26transform_input_iterator_tIbPKhN2at6native10EqualsModeEEENSD_19counting_iterator_tIlEES8_S8_S8_S8_S8_S8_S8_S8_EEEEPS9_S9_NSD_9__find_if7functorIS9_EEEE10hipError_tPvRmT1_T2_T3_mT4_P12ihipStream_tbEUlT_E0_NS1_11comp_targetILNS1_3genE0ELNS1_11target_archE4294967295ELNS1_3gpuE0ELNS1_3repE0EEENS1_30default_config_static_selectorELNS0_4arch9wavefront6targetE1EEEvSW_,"axG",@progbits,_ZN7rocprim17ROCPRIM_400000_NS6detail17trampoline_kernelINS0_14default_configENS1_22reduce_config_selectorIN6thrust23THRUST_200600_302600_NS5tupleIblNS6_9null_typeES8_S8_S8_S8_S8_S8_S8_EEEEZNS1_11reduce_implILb1ES3_NS6_12zip_iteratorINS7_INS6_11hip_rocprim26transform_input_iterator_tIbPKhN2at6native10EqualsModeEEENSD_19counting_iterator_tIlEES8_S8_S8_S8_S8_S8_S8_S8_EEEEPS9_S9_NSD_9__find_if7functorIS9_EEEE10hipError_tPvRmT1_T2_T3_mT4_P12ihipStream_tbEUlT_E0_NS1_11comp_targetILNS1_3genE0ELNS1_11target_archE4294967295ELNS1_3gpuE0ELNS1_3repE0EEENS1_30default_config_static_selectorELNS0_4arch9wavefront6targetE1EEEvSW_,comdat
	.protected	_ZN7rocprim17ROCPRIM_400000_NS6detail17trampoline_kernelINS0_14default_configENS1_22reduce_config_selectorIN6thrust23THRUST_200600_302600_NS5tupleIblNS6_9null_typeES8_S8_S8_S8_S8_S8_S8_EEEEZNS1_11reduce_implILb1ES3_NS6_12zip_iteratorINS7_INS6_11hip_rocprim26transform_input_iterator_tIbPKhN2at6native10EqualsModeEEENSD_19counting_iterator_tIlEES8_S8_S8_S8_S8_S8_S8_S8_EEEEPS9_S9_NSD_9__find_if7functorIS9_EEEE10hipError_tPvRmT1_T2_T3_mT4_P12ihipStream_tbEUlT_E0_NS1_11comp_targetILNS1_3genE0ELNS1_11target_archE4294967295ELNS1_3gpuE0ELNS1_3repE0EEENS1_30default_config_static_selectorELNS0_4arch9wavefront6targetE1EEEvSW_ ; -- Begin function _ZN7rocprim17ROCPRIM_400000_NS6detail17trampoline_kernelINS0_14default_configENS1_22reduce_config_selectorIN6thrust23THRUST_200600_302600_NS5tupleIblNS6_9null_typeES8_S8_S8_S8_S8_S8_S8_EEEEZNS1_11reduce_implILb1ES3_NS6_12zip_iteratorINS7_INS6_11hip_rocprim26transform_input_iterator_tIbPKhN2at6native10EqualsModeEEENSD_19counting_iterator_tIlEES8_S8_S8_S8_S8_S8_S8_S8_EEEEPS9_S9_NSD_9__find_if7functorIS9_EEEE10hipError_tPvRmT1_T2_T3_mT4_P12ihipStream_tbEUlT_E0_NS1_11comp_targetILNS1_3genE0ELNS1_11target_archE4294967295ELNS1_3gpuE0ELNS1_3repE0EEENS1_30default_config_static_selectorELNS0_4arch9wavefront6targetE1EEEvSW_
	.globl	_ZN7rocprim17ROCPRIM_400000_NS6detail17trampoline_kernelINS0_14default_configENS1_22reduce_config_selectorIN6thrust23THRUST_200600_302600_NS5tupleIblNS6_9null_typeES8_S8_S8_S8_S8_S8_S8_EEEEZNS1_11reduce_implILb1ES3_NS6_12zip_iteratorINS7_INS6_11hip_rocprim26transform_input_iterator_tIbPKhN2at6native10EqualsModeEEENSD_19counting_iterator_tIlEES8_S8_S8_S8_S8_S8_S8_S8_EEEEPS9_S9_NSD_9__find_if7functorIS9_EEEE10hipError_tPvRmT1_T2_T3_mT4_P12ihipStream_tbEUlT_E0_NS1_11comp_targetILNS1_3genE0ELNS1_11target_archE4294967295ELNS1_3gpuE0ELNS1_3repE0EEENS1_30default_config_static_selectorELNS0_4arch9wavefront6targetE1EEEvSW_
	.p2align	8
	.type	_ZN7rocprim17ROCPRIM_400000_NS6detail17trampoline_kernelINS0_14default_configENS1_22reduce_config_selectorIN6thrust23THRUST_200600_302600_NS5tupleIblNS6_9null_typeES8_S8_S8_S8_S8_S8_S8_EEEEZNS1_11reduce_implILb1ES3_NS6_12zip_iteratorINS7_INS6_11hip_rocprim26transform_input_iterator_tIbPKhN2at6native10EqualsModeEEENSD_19counting_iterator_tIlEES8_S8_S8_S8_S8_S8_S8_S8_EEEEPS9_S9_NSD_9__find_if7functorIS9_EEEE10hipError_tPvRmT1_T2_T3_mT4_P12ihipStream_tbEUlT_E0_NS1_11comp_targetILNS1_3genE0ELNS1_11target_archE4294967295ELNS1_3gpuE0ELNS1_3repE0EEENS1_30default_config_static_selectorELNS0_4arch9wavefront6targetE1EEEvSW_,@function
_ZN7rocprim17ROCPRIM_400000_NS6detail17trampoline_kernelINS0_14default_configENS1_22reduce_config_selectorIN6thrust23THRUST_200600_302600_NS5tupleIblNS6_9null_typeES8_S8_S8_S8_S8_S8_S8_EEEEZNS1_11reduce_implILb1ES3_NS6_12zip_iteratorINS7_INS6_11hip_rocprim26transform_input_iterator_tIbPKhN2at6native10EqualsModeEEENSD_19counting_iterator_tIlEES8_S8_S8_S8_S8_S8_S8_S8_EEEEPS9_S9_NSD_9__find_if7functorIS9_EEEE10hipError_tPvRmT1_T2_T3_mT4_P12ihipStream_tbEUlT_E0_NS1_11comp_targetILNS1_3genE0ELNS1_11target_archE4294967295ELNS1_3gpuE0ELNS1_3repE0EEENS1_30default_config_static_selectorELNS0_4arch9wavefront6targetE1EEEvSW_: ; @_ZN7rocprim17ROCPRIM_400000_NS6detail17trampoline_kernelINS0_14default_configENS1_22reduce_config_selectorIN6thrust23THRUST_200600_302600_NS5tupleIblNS6_9null_typeES8_S8_S8_S8_S8_S8_S8_EEEEZNS1_11reduce_implILb1ES3_NS6_12zip_iteratorINS7_INS6_11hip_rocprim26transform_input_iterator_tIbPKhN2at6native10EqualsModeEEENSD_19counting_iterator_tIlEES8_S8_S8_S8_S8_S8_S8_S8_EEEEPS9_S9_NSD_9__find_if7functorIS9_EEEE10hipError_tPvRmT1_T2_T3_mT4_P12ihipStream_tbEUlT_E0_NS1_11comp_targetILNS1_3genE0ELNS1_11target_archE4294967295ELNS1_3gpuE0ELNS1_3repE0EEENS1_30default_config_static_selectorELNS0_4arch9wavefront6targetE1EEEvSW_
; %bb.0:
	.section	.rodata,"a",@progbits
	.p2align	6, 0x0
	.amdhsa_kernel _ZN7rocprim17ROCPRIM_400000_NS6detail17trampoline_kernelINS0_14default_configENS1_22reduce_config_selectorIN6thrust23THRUST_200600_302600_NS5tupleIblNS6_9null_typeES8_S8_S8_S8_S8_S8_S8_EEEEZNS1_11reduce_implILb1ES3_NS6_12zip_iteratorINS7_INS6_11hip_rocprim26transform_input_iterator_tIbPKhN2at6native10EqualsModeEEENSD_19counting_iterator_tIlEES8_S8_S8_S8_S8_S8_S8_S8_EEEEPS9_S9_NSD_9__find_if7functorIS9_EEEE10hipError_tPvRmT1_T2_T3_mT4_P12ihipStream_tbEUlT_E0_NS1_11comp_targetILNS1_3genE0ELNS1_11target_archE4294967295ELNS1_3gpuE0ELNS1_3repE0EEENS1_30default_config_static_selectorELNS0_4arch9wavefront6targetE1EEEvSW_
		.amdhsa_group_segment_fixed_size 0
		.amdhsa_private_segment_fixed_size 0
		.amdhsa_kernarg_size 88
		.amdhsa_user_sgpr_count 6
		.amdhsa_user_sgpr_private_segment_buffer 1
		.amdhsa_user_sgpr_dispatch_ptr 0
		.amdhsa_user_sgpr_queue_ptr 0
		.amdhsa_user_sgpr_kernarg_segment_ptr 1
		.amdhsa_user_sgpr_dispatch_id 0
		.amdhsa_user_sgpr_flat_scratch_init 0
		.amdhsa_user_sgpr_private_segment_size 0
		.amdhsa_uses_dynamic_stack 0
		.amdhsa_system_sgpr_private_segment_wavefront_offset 0
		.amdhsa_system_sgpr_workgroup_id_x 1
		.amdhsa_system_sgpr_workgroup_id_y 0
		.amdhsa_system_sgpr_workgroup_id_z 0
		.amdhsa_system_sgpr_workgroup_info 0
		.amdhsa_system_vgpr_workitem_id 0
		.amdhsa_next_free_vgpr 1
		.amdhsa_next_free_sgpr 0
		.amdhsa_reserve_vcc 0
		.amdhsa_reserve_flat_scratch 0
		.amdhsa_float_round_mode_32 0
		.amdhsa_float_round_mode_16_64 0
		.amdhsa_float_denorm_mode_32 3
		.amdhsa_float_denorm_mode_16_64 3
		.amdhsa_dx10_clamp 1
		.amdhsa_ieee_mode 1
		.amdhsa_fp16_overflow 0
		.amdhsa_exception_fp_ieee_invalid_op 0
		.amdhsa_exception_fp_denorm_src 0
		.amdhsa_exception_fp_ieee_div_zero 0
		.amdhsa_exception_fp_ieee_overflow 0
		.amdhsa_exception_fp_ieee_underflow 0
		.amdhsa_exception_fp_ieee_inexact 0
		.amdhsa_exception_int_div_zero 0
	.end_amdhsa_kernel
	.section	.text._ZN7rocprim17ROCPRIM_400000_NS6detail17trampoline_kernelINS0_14default_configENS1_22reduce_config_selectorIN6thrust23THRUST_200600_302600_NS5tupleIblNS6_9null_typeES8_S8_S8_S8_S8_S8_S8_EEEEZNS1_11reduce_implILb1ES3_NS6_12zip_iteratorINS7_INS6_11hip_rocprim26transform_input_iterator_tIbPKhN2at6native10EqualsModeEEENSD_19counting_iterator_tIlEES8_S8_S8_S8_S8_S8_S8_S8_EEEEPS9_S9_NSD_9__find_if7functorIS9_EEEE10hipError_tPvRmT1_T2_T3_mT4_P12ihipStream_tbEUlT_E0_NS1_11comp_targetILNS1_3genE0ELNS1_11target_archE4294967295ELNS1_3gpuE0ELNS1_3repE0EEENS1_30default_config_static_selectorELNS0_4arch9wavefront6targetE1EEEvSW_,"axG",@progbits,_ZN7rocprim17ROCPRIM_400000_NS6detail17trampoline_kernelINS0_14default_configENS1_22reduce_config_selectorIN6thrust23THRUST_200600_302600_NS5tupleIblNS6_9null_typeES8_S8_S8_S8_S8_S8_S8_EEEEZNS1_11reduce_implILb1ES3_NS6_12zip_iteratorINS7_INS6_11hip_rocprim26transform_input_iterator_tIbPKhN2at6native10EqualsModeEEENSD_19counting_iterator_tIlEES8_S8_S8_S8_S8_S8_S8_S8_EEEEPS9_S9_NSD_9__find_if7functorIS9_EEEE10hipError_tPvRmT1_T2_T3_mT4_P12ihipStream_tbEUlT_E0_NS1_11comp_targetILNS1_3genE0ELNS1_11target_archE4294967295ELNS1_3gpuE0ELNS1_3repE0EEENS1_30default_config_static_selectorELNS0_4arch9wavefront6targetE1EEEvSW_,comdat
.Lfunc_end54:
	.size	_ZN7rocprim17ROCPRIM_400000_NS6detail17trampoline_kernelINS0_14default_configENS1_22reduce_config_selectorIN6thrust23THRUST_200600_302600_NS5tupleIblNS6_9null_typeES8_S8_S8_S8_S8_S8_S8_EEEEZNS1_11reduce_implILb1ES3_NS6_12zip_iteratorINS7_INS6_11hip_rocprim26transform_input_iterator_tIbPKhN2at6native10EqualsModeEEENSD_19counting_iterator_tIlEES8_S8_S8_S8_S8_S8_S8_S8_EEEEPS9_S9_NSD_9__find_if7functorIS9_EEEE10hipError_tPvRmT1_T2_T3_mT4_P12ihipStream_tbEUlT_E0_NS1_11comp_targetILNS1_3genE0ELNS1_11target_archE4294967295ELNS1_3gpuE0ELNS1_3repE0EEENS1_30default_config_static_selectorELNS0_4arch9wavefront6targetE1EEEvSW_, .Lfunc_end54-_ZN7rocprim17ROCPRIM_400000_NS6detail17trampoline_kernelINS0_14default_configENS1_22reduce_config_selectorIN6thrust23THRUST_200600_302600_NS5tupleIblNS6_9null_typeES8_S8_S8_S8_S8_S8_S8_EEEEZNS1_11reduce_implILb1ES3_NS6_12zip_iteratorINS7_INS6_11hip_rocprim26transform_input_iterator_tIbPKhN2at6native10EqualsModeEEENSD_19counting_iterator_tIlEES8_S8_S8_S8_S8_S8_S8_S8_EEEEPS9_S9_NSD_9__find_if7functorIS9_EEEE10hipError_tPvRmT1_T2_T3_mT4_P12ihipStream_tbEUlT_E0_NS1_11comp_targetILNS1_3genE0ELNS1_11target_archE4294967295ELNS1_3gpuE0ELNS1_3repE0EEENS1_30default_config_static_selectorELNS0_4arch9wavefront6targetE1EEEvSW_
                                        ; -- End function
	.set _ZN7rocprim17ROCPRIM_400000_NS6detail17trampoline_kernelINS0_14default_configENS1_22reduce_config_selectorIN6thrust23THRUST_200600_302600_NS5tupleIblNS6_9null_typeES8_S8_S8_S8_S8_S8_S8_EEEEZNS1_11reduce_implILb1ES3_NS6_12zip_iteratorINS7_INS6_11hip_rocprim26transform_input_iterator_tIbPKhN2at6native10EqualsModeEEENSD_19counting_iterator_tIlEES8_S8_S8_S8_S8_S8_S8_S8_EEEEPS9_S9_NSD_9__find_if7functorIS9_EEEE10hipError_tPvRmT1_T2_T3_mT4_P12ihipStream_tbEUlT_E0_NS1_11comp_targetILNS1_3genE0ELNS1_11target_archE4294967295ELNS1_3gpuE0ELNS1_3repE0EEENS1_30default_config_static_selectorELNS0_4arch9wavefront6targetE1EEEvSW_.num_vgpr, 0
	.set _ZN7rocprim17ROCPRIM_400000_NS6detail17trampoline_kernelINS0_14default_configENS1_22reduce_config_selectorIN6thrust23THRUST_200600_302600_NS5tupleIblNS6_9null_typeES8_S8_S8_S8_S8_S8_S8_EEEEZNS1_11reduce_implILb1ES3_NS6_12zip_iteratorINS7_INS6_11hip_rocprim26transform_input_iterator_tIbPKhN2at6native10EqualsModeEEENSD_19counting_iterator_tIlEES8_S8_S8_S8_S8_S8_S8_S8_EEEEPS9_S9_NSD_9__find_if7functorIS9_EEEE10hipError_tPvRmT1_T2_T3_mT4_P12ihipStream_tbEUlT_E0_NS1_11comp_targetILNS1_3genE0ELNS1_11target_archE4294967295ELNS1_3gpuE0ELNS1_3repE0EEENS1_30default_config_static_selectorELNS0_4arch9wavefront6targetE1EEEvSW_.num_agpr, 0
	.set _ZN7rocprim17ROCPRIM_400000_NS6detail17trampoline_kernelINS0_14default_configENS1_22reduce_config_selectorIN6thrust23THRUST_200600_302600_NS5tupleIblNS6_9null_typeES8_S8_S8_S8_S8_S8_S8_EEEEZNS1_11reduce_implILb1ES3_NS6_12zip_iteratorINS7_INS6_11hip_rocprim26transform_input_iterator_tIbPKhN2at6native10EqualsModeEEENSD_19counting_iterator_tIlEES8_S8_S8_S8_S8_S8_S8_S8_EEEEPS9_S9_NSD_9__find_if7functorIS9_EEEE10hipError_tPvRmT1_T2_T3_mT4_P12ihipStream_tbEUlT_E0_NS1_11comp_targetILNS1_3genE0ELNS1_11target_archE4294967295ELNS1_3gpuE0ELNS1_3repE0EEENS1_30default_config_static_selectorELNS0_4arch9wavefront6targetE1EEEvSW_.numbered_sgpr, 0
	.set _ZN7rocprim17ROCPRIM_400000_NS6detail17trampoline_kernelINS0_14default_configENS1_22reduce_config_selectorIN6thrust23THRUST_200600_302600_NS5tupleIblNS6_9null_typeES8_S8_S8_S8_S8_S8_S8_EEEEZNS1_11reduce_implILb1ES3_NS6_12zip_iteratorINS7_INS6_11hip_rocprim26transform_input_iterator_tIbPKhN2at6native10EqualsModeEEENSD_19counting_iterator_tIlEES8_S8_S8_S8_S8_S8_S8_S8_EEEEPS9_S9_NSD_9__find_if7functorIS9_EEEE10hipError_tPvRmT1_T2_T3_mT4_P12ihipStream_tbEUlT_E0_NS1_11comp_targetILNS1_3genE0ELNS1_11target_archE4294967295ELNS1_3gpuE0ELNS1_3repE0EEENS1_30default_config_static_selectorELNS0_4arch9wavefront6targetE1EEEvSW_.num_named_barrier, 0
	.set _ZN7rocprim17ROCPRIM_400000_NS6detail17trampoline_kernelINS0_14default_configENS1_22reduce_config_selectorIN6thrust23THRUST_200600_302600_NS5tupleIblNS6_9null_typeES8_S8_S8_S8_S8_S8_S8_EEEEZNS1_11reduce_implILb1ES3_NS6_12zip_iteratorINS7_INS6_11hip_rocprim26transform_input_iterator_tIbPKhN2at6native10EqualsModeEEENSD_19counting_iterator_tIlEES8_S8_S8_S8_S8_S8_S8_S8_EEEEPS9_S9_NSD_9__find_if7functorIS9_EEEE10hipError_tPvRmT1_T2_T3_mT4_P12ihipStream_tbEUlT_E0_NS1_11comp_targetILNS1_3genE0ELNS1_11target_archE4294967295ELNS1_3gpuE0ELNS1_3repE0EEENS1_30default_config_static_selectorELNS0_4arch9wavefront6targetE1EEEvSW_.private_seg_size, 0
	.set _ZN7rocprim17ROCPRIM_400000_NS6detail17trampoline_kernelINS0_14default_configENS1_22reduce_config_selectorIN6thrust23THRUST_200600_302600_NS5tupleIblNS6_9null_typeES8_S8_S8_S8_S8_S8_S8_EEEEZNS1_11reduce_implILb1ES3_NS6_12zip_iteratorINS7_INS6_11hip_rocprim26transform_input_iterator_tIbPKhN2at6native10EqualsModeEEENSD_19counting_iterator_tIlEES8_S8_S8_S8_S8_S8_S8_S8_EEEEPS9_S9_NSD_9__find_if7functorIS9_EEEE10hipError_tPvRmT1_T2_T3_mT4_P12ihipStream_tbEUlT_E0_NS1_11comp_targetILNS1_3genE0ELNS1_11target_archE4294967295ELNS1_3gpuE0ELNS1_3repE0EEENS1_30default_config_static_selectorELNS0_4arch9wavefront6targetE1EEEvSW_.uses_vcc, 0
	.set _ZN7rocprim17ROCPRIM_400000_NS6detail17trampoline_kernelINS0_14default_configENS1_22reduce_config_selectorIN6thrust23THRUST_200600_302600_NS5tupleIblNS6_9null_typeES8_S8_S8_S8_S8_S8_S8_EEEEZNS1_11reduce_implILb1ES3_NS6_12zip_iteratorINS7_INS6_11hip_rocprim26transform_input_iterator_tIbPKhN2at6native10EqualsModeEEENSD_19counting_iterator_tIlEES8_S8_S8_S8_S8_S8_S8_S8_EEEEPS9_S9_NSD_9__find_if7functorIS9_EEEE10hipError_tPvRmT1_T2_T3_mT4_P12ihipStream_tbEUlT_E0_NS1_11comp_targetILNS1_3genE0ELNS1_11target_archE4294967295ELNS1_3gpuE0ELNS1_3repE0EEENS1_30default_config_static_selectorELNS0_4arch9wavefront6targetE1EEEvSW_.uses_flat_scratch, 0
	.set _ZN7rocprim17ROCPRIM_400000_NS6detail17trampoline_kernelINS0_14default_configENS1_22reduce_config_selectorIN6thrust23THRUST_200600_302600_NS5tupleIblNS6_9null_typeES8_S8_S8_S8_S8_S8_S8_EEEEZNS1_11reduce_implILb1ES3_NS6_12zip_iteratorINS7_INS6_11hip_rocprim26transform_input_iterator_tIbPKhN2at6native10EqualsModeEEENSD_19counting_iterator_tIlEES8_S8_S8_S8_S8_S8_S8_S8_EEEEPS9_S9_NSD_9__find_if7functorIS9_EEEE10hipError_tPvRmT1_T2_T3_mT4_P12ihipStream_tbEUlT_E0_NS1_11comp_targetILNS1_3genE0ELNS1_11target_archE4294967295ELNS1_3gpuE0ELNS1_3repE0EEENS1_30default_config_static_selectorELNS0_4arch9wavefront6targetE1EEEvSW_.has_dyn_sized_stack, 0
	.set _ZN7rocprim17ROCPRIM_400000_NS6detail17trampoline_kernelINS0_14default_configENS1_22reduce_config_selectorIN6thrust23THRUST_200600_302600_NS5tupleIblNS6_9null_typeES8_S8_S8_S8_S8_S8_S8_EEEEZNS1_11reduce_implILb1ES3_NS6_12zip_iteratorINS7_INS6_11hip_rocprim26transform_input_iterator_tIbPKhN2at6native10EqualsModeEEENSD_19counting_iterator_tIlEES8_S8_S8_S8_S8_S8_S8_S8_EEEEPS9_S9_NSD_9__find_if7functorIS9_EEEE10hipError_tPvRmT1_T2_T3_mT4_P12ihipStream_tbEUlT_E0_NS1_11comp_targetILNS1_3genE0ELNS1_11target_archE4294967295ELNS1_3gpuE0ELNS1_3repE0EEENS1_30default_config_static_selectorELNS0_4arch9wavefront6targetE1EEEvSW_.has_recursion, 0
	.set _ZN7rocprim17ROCPRIM_400000_NS6detail17trampoline_kernelINS0_14default_configENS1_22reduce_config_selectorIN6thrust23THRUST_200600_302600_NS5tupleIblNS6_9null_typeES8_S8_S8_S8_S8_S8_S8_EEEEZNS1_11reduce_implILb1ES3_NS6_12zip_iteratorINS7_INS6_11hip_rocprim26transform_input_iterator_tIbPKhN2at6native10EqualsModeEEENSD_19counting_iterator_tIlEES8_S8_S8_S8_S8_S8_S8_S8_EEEEPS9_S9_NSD_9__find_if7functorIS9_EEEE10hipError_tPvRmT1_T2_T3_mT4_P12ihipStream_tbEUlT_E0_NS1_11comp_targetILNS1_3genE0ELNS1_11target_archE4294967295ELNS1_3gpuE0ELNS1_3repE0EEENS1_30default_config_static_selectorELNS0_4arch9wavefront6targetE1EEEvSW_.has_indirect_call, 0
	.section	.AMDGPU.csdata,"",@progbits
; Kernel info:
; codeLenInByte = 0
; TotalNumSgprs: 4
; NumVgprs: 0
; ScratchSize: 0
; MemoryBound: 0
; FloatMode: 240
; IeeeMode: 1
; LDSByteSize: 0 bytes/workgroup (compile time only)
; SGPRBlocks: 0
; VGPRBlocks: 0
; NumSGPRsForWavesPerEU: 4
; NumVGPRsForWavesPerEU: 1
; Occupancy: 10
; WaveLimiterHint : 0
; COMPUTE_PGM_RSRC2:SCRATCH_EN: 0
; COMPUTE_PGM_RSRC2:USER_SGPR: 6
; COMPUTE_PGM_RSRC2:TRAP_HANDLER: 0
; COMPUTE_PGM_RSRC2:TGID_X_EN: 1
; COMPUTE_PGM_RSRC2:TGID_Y_EN: 0
; COMPUTE_PGM_RSRC2:TGID_Z_EN: 0
; COMPUTE_PGM_RSRC2:TIDIG_COMP_CNT: 0
	.section	.text._ZN7rocprim17ROCPRIM_400000_NS6detail17trampoline_kernelINS0_14default_configENS1_22reduce_config_selectorIN6thrust23THRUST_200600_302600_NS5tupleIblNS6_9null_typeES8_S8_S8_S8_S8_S8_S8_EEEEZNS1_11reduce_implILb1ES3_NS6_12zip_iteratorINS7_INS6_11hip_rocprim26transform_input_iterator_tIbPKhN2at6native10EqualsModeEEENSD_19counting_iterator_tIlEES8_S8_S8_S8_S8_S8_S8_S8_EEEEPS9_S9_NSD_9__find_if7functorIS9_EEEE10hipError_tPvRmT1_T2_T3_mT4_P12ihipStream_tbEUlT_E0_NS1_11comp_targetILNS1_3genE5ELNS1_11target_archE942ELNS1_3gpuE9ELNS1_3repE0EEENS1_30default_config_static_selectorELNS0_4arch9wavefront6targetE1EEEvSW_,"axG",@progbits,_ZN7rocprim17ROCPRIM_400000_NS6detail17trampoline_kernelINS0_14default_configENS1_22reduce_config_selectorIN6thrust23THRUST_200600_302600_NS5tupleIblNS6_9null_typeES8_S8_S8_S8_S8_S8_S8_EEEEZNS1_11reduce_implILb1ES3_NS6_12zip_iteratorINS7_INS6_11hip_rocprim26transform_input_iterator_tIbPKhN2at6native10EqualsModeEEENSD_19counting_iterator_tIlEES8_S8_S8_S8_S8_S8_S8_S8_EEEEPS9_S9_NSD_9__find_if7functorIS9_EEEE10hipError_tPvRmT1_T2_T3_mT4_P12ihipStream_tbEUlT_E0_NS1_11comp_targetILNS1_3genE5ELNS1_11target_archE942ELNS1_3gpuE9ELNS1_3repE0EEENS1_30default_config_static_selectorELNS0_4arch9wavefront6targetE1EEEvSW_,comdat
	.protected	_ZN7rocprim17ROCPRIM_400000_NS6detail17trampoline_kernelINS0_14default_configENS1_22reduce_config_selectorIN6thrust23THRUST_200600_302600_NS5tupleIblNS6_9null_typeES8_S8_S8_S8_S8_S8_S8_EEEEZNS1_11reduce_implILb1ES3_NS6_12zip_iteratorINS7_INS6_11hip_rocprim26transform_input_iterator_tIbPKhN2at6native10EqualsModeEEENSD_19counting_iterator_tIlEES8_S8_S8_S8_S8_S8_S8_S8_EEEEPS9_S9_NSD_9__find_if7functorIS9_EEEE10hipError_tPvRmT1_T2_T3_mT4_P12ihipStream_tbEUlT_E0_NS1_11comp_targetILNS1_3genE5ELNS1_11target_archE942ELNS1_3gpuE9ELNS1_3repE0EEENS1_30default_config_static_selectorELNS0_4arch9wavefront6targetE1EEEvSW_ ; -- Begin function _ZN7rocprim17ROCPRIM_400000_NS6detail17trampoline_kernelINS0_14default_configENS1_22reduce_config_selectorIN6thrust23THRUST_200600_302600_NS5tupleIblNS6_9null_typeES8_S8_S8_S8_S8_S8_S8_EEEEZNS1_11reduce_implILb1ES3_NS6_12zip_iteratorINS7_INS6_11hip_rocprim26transform_input_iterator_tIbPKhN2at6native10EqualsModeEEENSD_19counting_iterator_tIlEES8_S8_S8_S8_S8_S8_S8_S8_EEEEPS9_S9_NSD_9__find_if7functorIS9_EEEE10hipError_tPvRmT1_T2_T3_mT4_P12ihipStream_tbEUlT_E0_NS1_11comp_targetILNS1_3genE5ELNS1_11target_archE942ELNS1_3gpuE9ELNS1_3repE0EEENS1_30default_config_static_selectorELNS0_4arch9wavefront6targetE1EEEvSW_
	.globl	_ZN7rocprim17ROCPRIM_400000_NS6detail17trampoline_kernelINS0_14default_configENS1_22reduce_config_selectorIN6thrust23THRUST_200600_302600_NS5tupleIblNS6_9null_typeES8_S8_S8_S8_S8_S8_S8_EEEEZNS1_11reduce_implILb1ES3_NS6_12zip_iteratorINS7_INS6_11hip_rocprim26transform_input_iterator_tIbPKhN2at6native10EqualsModeEEENSD_19counting_iterator_tIlEES8_S8_S8_S8_S8_S8_S8_S8_EEEEPS9_S9_NSD_9__find_if7functorIS9_EEEE10hipError_tPvRmT1_T2_T3_mT4_P12ihipStream_tbEUlT_E0_NS1_11comp_targetILNS1_3genE5ELNS1_11target_archE942ELNS1_3gpuE9ELNS1_3repE0EEENS1_30default_config_static_selectorELNS0_4arch9wavefront6targetE1EEEvSW_
	.p2align	8
	.type	_ZN7rocprim17ROCPRIM_400000_NS6detail17trampoline_kernelINS0_14default_configENS1_22reduce_config_selectorIN6thrust23THRUST_200600_302600_NS5tupleIblNS6_9null_typeES8_S8_S8_S8_S8_S8_S8_EEEEZNS1_11reduce_implILb1ES3_NS6_12zip_iteratorINS7_INS6_11hip_rocprim26transform_input_iterator_tIbPKhN2at6native10EqualsModeEEENSD_19counting_iterator_tIlEES8_S8_S8_S8_S8_S8_S8_S8_EEEEPS9_S9_NSD_9__find_if7functorIS9_EEEE10hipError_tPvRmT1_T2_T3_mT4_P12ihipStream_tbEUlT_E0_NS1_11comp_targetILNS1_3genE5ELNS1_11target_archE942ELNS1_3gpuE9ELNS1_3repE0EEENS1_30default_config_static_selectorELNS0_4arch9wavefront6targetE1EEEvSW_,@function
_ZN7rocprim17ROCPRIM_400000_NS6detail17trampoline_kernelINS0_14default_configENS1_22reduce_config_selectorIN6thrust23THRUST_200600_302600_NS5tupleIblNS6_9null_typeES8_S8_S8_S8_S8_S8_S8_EEEEZNS1_11reduce_implILb1ES3_NS6_12zip_iteratorINS7_INS6_11hip_rocprim26transform_input_iterator_tIbPKhN2at6native10EqualsModeEEENSD_19counting_iterator_tIlEES8_S8_S8_S8_S8_S8_S8_S8_EEEEPS9_S9_NSD_9__find_if7functorIS9_EEEE10hipError_tPvRmT1_T2_T3_mT4_P12ihipStream_tbEUlT_E0_NS1_11comp_targetILNS1_3genE5ELNS1_11target_archE942ELNS1_3gpuE9ELNS1_3repE0EEENS1_30default_config_static_selectorELNS0_4arch9wavefront6targetE1EEEvSW_: ; @_ZN7rocprim17ROCPRIM_400000_NS6detail17trampoline_kernelINS0_14default_configENS1_22reduce_config_selectorIN6thrust23THRUST_200600_302600_NS5tupleIblNS6_9null_typeES8_S8_S8_S8_S8_S8_S8_EEEEZNS1_11reduce_implILb1ES3_NS6_12zip_iteratorINS7_INS6_11hip_rocprim26transform_input_iterator_tIbPKhN2at6native10EqualsModeEEENSD_19counting_iterator_tIlEES8_S8_S8_S8_S8_S8_S8_S8_EEEEPS9_S9_NSD_9__find_if7functorIS9_EEEE10hipError_tPvRmT1_T2_T3_mT4_P12ihipStream_tbEUlT_E0_NS1_11comp_targetILNS1_3genE5ELNS1_11target_archE942ELNS1_3gpuE9ELNS1_3repE0EEENS1_30default_config_static_selectorELNS0_4arch9wavefront6targetE1EEEvSW_
; %bb.0:
	.section	.rodata,"a",@progbits
	.p2align	6, 0x0
	.amdhsa_kernel _ZN7rocprim17ROCPRIM_400000_NS6detail17trampoline_kernelINS0_14default_configENS1_22reduce_config_selectorIN6thrust23THRUST_200600_302600_NS5tupleIblNS6_9null_typeES8_S8_S8_S8_S8_S8_S8_EEEEZNS1_11reduce_implILb1ES3_NS6_12zip_iteratorINS7_INS6_11hip_rocprim26transform_input_iterator_tIbPKhN2at6native10EqualsModeEEENSD_19counting_iterator_tIlEES8_S8_S8_S8_S8_S8_S8_S8_EEEEPS9_S9_NSD_9__find_if7functorIS9_EEEE10hipError_tPvRmT1_T2_T3_mT4_P12ihipStream_tbEUlT_E0_NS1_11comp_targetILNS1_3genE5ELNS1_11target_archE942ELNS1_3gpuE9ELNS1_3repE0EEENS1_30default_config_static_selectorELNS0_4arch9wavefront6targetE1EEEvSW_
		.amdhsa_group_segment_fixed_size 0
		.amdhsa_private_segment_fixed_size 0
		.amdhsa_kernarg_size 88
		.amdhsa_user_sgpr_count 6
		.amdhsa_user_sgpr_private_segment_buffer 1
		.amdhsa_user_sgpr_dispatch_ptr 0
		.amdhsa_user_sgpr_queue_ptr 0
		.amdhsa_user_sgpr_kernarg_segment_ptr 1
		.amdhsa_user_sgpr_dispatch_id 0
		.amdhsa_user_sgpr_flat_scratch_init 0
		.amdhsa_user_sgpr_private_segment_size 0
		.amdhsa_uses_dynamic_stack 0
		.amdhsa_system_sgpr_private_segment_wavefront_offset 0
		.amdhsa_system_sgpr_workgroup_id_x 1
		.amdhsa_system_sgpr_workgroup_id_y 0
		.amdhsa_system_sgpr_workgroup_id_z 0
		.amdhsa_system_sgpr_workgroup_info 0
		.amdhsa_system_vgpr_workitem_id 0
		.amdhsa_next_free_vgpr 1
		.amdhsa_next_free_sgpr 0
		.amdhsa_reserve_vcc 0
		.amdhsa_reserve_flat_scratch 0
		.amdhsa_float_round_mode_32 0
		.amdhsa_float_round_mode_16_64 0
		.amdhsa_float_denorm_mode_32 3
		.amdhsa_float_denorm_mode_16_64 3
		.amdhsa_dx10_clamp 1
		.amdhsa_ieee_mode 1
		.amdhsa_fp16_overflow 0
		.amdhsa_exception_fp_ieee_invalid_op 0
		.amdhsa_exception_fp_denorm_src 0
		.amdhsa_exception_fp_ieee_div_zero 0
		.amdhsa_exception_fp_ieee_overflow 0
		.amdhsa_exception_fp_ieee_underflow 0
		.amdhsa_exception_fp_ieee_inexact 0
		.amdhsa_exception_int_div_zero 0
	.end_amdhsa_kernel
	.section	.text._ZN7rocprim17ROCPRIM_400000_NS6detail17trampoline_kernelINS0_14default_configENS1_22reduce_config_selectorIN6thrust23THRUST_200600_302600_NS5tupleIblNS6_9null_typeES8_S8_S8_S8_S8_S8_S8_EEEEZNS1_11reduce_implILb1ES3_NS6_12zip_iteratorINS7_INS6_11hip_rocprim26transform_input_iterator_tIbPKhN2at6native10EqualsModeEEENSD_19counting_iterator_tIlEES8_S8_S8_S8_S8_S8_S8_S8_EEEEPS9_S9_NSD_9__find_if7functorIS9_EEEE10hipError_tPvRmT1_T2_T3_mT4_P12ihipStream_tbEUlT_E0_NS1_11comp_targetILNS1_3genE5ELNS1_11target_archE942ELNS1_3gpuE9ELNS1_3repE0EEENS1_30default_config_static_selectorELNS0_4arch9wavefront6targetE1EEEvSW_,"axG",@progbits,_ZN7rocprim17ROCPRIM_400000_NS6detail17trampoline_kernelINS0_14default_configENS1_22reduce_config_selectorIN6thrust23THRUST_200600_302600_NS5tupleIblNS6_9null_typeES8_S8_S8_S8_S8_S8_S8_EEEEZNS1_11reduce_implILb1ES3_NS6_12zip_iteratorINS7_INS6_11hip_rocprim26transform_input_iterator_tIbPKhN2at6native10EqualsModeEEENSD_19counting_iterator_tIlEES8_S8_S8_S8_S8_S8_S8_S8_EEEEPS9_S9_NSD_9__find_if7functorIS9_EEEE10hipError_tPvRmT1_T2_T3_mT4_P12ihipStream_tbEUlT_E0_NS1_11comp_targetILNS1_3genE5ELNS1_11target_archE942ELNS1_3gpuE9ELNS1_3repE0EEENS1_30default_config_static_selectorELNS0_4arch9wavefront6targetE1EEEvSW_,comdat
.Lfunc_end55:
	.size	_ZN7rocprim17ROCPRIM_400000_NS6detail17trampoline_kernelINS0_14default_configENS1_22reduce_config_selectorIN6thrust23THRUST_200600_302600_NS5tupleIblNS6_9null_typeES8_S8_S8_S8_S8_S8_S8_EEEEZNS1_11reduce_implILb1ES3_NS6_12zip_iteratorINS7_INS6_11hip_rocprim26transform_input_iterator_tIbPKhN2at6native10EqualsModeEEENSD_19counting_iterator_tIlEES8_S8_S8_S8_S8_S8_S8_S8_EEEEPS9_S9_NSD_9__find_if7functorIS9_EEEE10hipError_tPvRmT1_T2_T3_mT4_P12ihipStream_tbEUlT_E0_NS1_11comp_targetILNS1_3genE5ELNS1_11target_archE942ELNS1_3gpuE9ELNS1_3repE0EEENS1_30default_config_static_selectorELNS0_4arch9wavefront6targetE1EEEvSW_, .Lfunc_end55-_ZN7rocprim17ROCPRIM_400000_NS6detail17trampoline_kernelINS0_14default_configENS1_22reduce_config_selectorIN6thrust23THRUST_200600_302600_NS5tupleIblNS6_9null_typeES8_S8_S8_S8_S8_S8_S8_EEEEZNS1_11reduce_implILb1ES3_NS6_12zip_iteratorINS7_INS6_11hip_rocprim26transform_input_iterator_tIbPKhN2at6native10EqualsModeEEENSD_19counting_iterator_tIlEES8_S8_S8_S8_S8_S8_S8_S8_EEEEPS9_S9_NSD_9__find_if7functorIS9_EEEE10hipError_tPvRmT1_T2_T3_mT4_P12ihipStream_tbEUlT_E0_NS1_11comp_targetILNS1_3genE5ELNS1_11target_archE942ELNS1_3gpuE9ELNS1_3repE0EEENS1_30default_config_static_selectorELNS0_4arch9wavefront6targetE1EEEvSW_
                                        ; -- End function
	.set _ZN7rocprim17ROCPRIM_400000_NS6detail17trampoline_kernelINS0_14default_configENS1_22reduce_config_selectorIN6thrust23THRUST_200600_302600_NS5tupleIblNS6_9null_typeES8_S8_S8_S8_S8_S8_S8_EEEEZNS1_11reduce_implILb1ES3_NS6_12zip_iteratorINS7_INS6_11hip_rocprim26transform_input_iterator_tIbPKhN2at6native10EqualsModeEEENSD_19counting_iterator_tIlEES8_S8_S8_S8_S8_S8_S8_S8_EEEEPS9_S9_NSD_9__find_if7functorIS9_EEEE10hipError_tPvRmT1_T2_T3_mT4_P12ihipStream_tbEUlT_E0_NS1_11comp_targetILNS1_3genE5ELNS1_11target_archE942ELNS1_3gpuE9ELNS1_3repE0EEENS1_30default_config_static_selectorELNS0_4arch9wavefront6targetE1EEEvSW_.num_vgpr, 0
	.set _ZN7rocprim17ROCPRIM_400000_NS6detail17trampoline_kernelINS0_14default_configENS1_22reduce_config_selectorIN6thrust23THRUST_200600_302600_NS5tupleIblNS6_9null_typeES8_S8_S8_S8_S8_S8_S8_EEEEZNS1_11reduce_implILb1ES3_NS6_12zip_iteratorINS7_INS6_11hip_rocprim26transform_input_iterator_tIbPKhN2at6native10EqualsModeEEENSD_19counting_iterator_tIlEES8_S8_S8_S8_S8_S8_S8_S8_EEEEPS9_S9_NSD_9__find_if7functorIS9_EEEE10hipError_tPvRmT1_T2_T3_mT4_P12ihipStream_tbEUlT_E0_NS1_11comp_targetILNS1_3genE5ELNS1_11target_archE942ELNS1_3gpuE9ELNS1_3repE0EEENS1_30default_config_static_selectorELNS0_4arch9wavefront6targetE1EEEvSW_.num_agpr, 0
	.set _ZN7rocprim17ROCPRIM_400000_NS6detail17trampoline_kernelINS0_14default_configENS1_22reduce_config_selectorIN6thrust23THRUST_200600_302600_NS5tupleIblNS6_9null_typeES8_S8_S8_S8_S8_S8_S8_EEEEZNS1_11reduce_implILb1ES3_NS6_12zip_iteratorINS7_INS6_11hip_rocprim26transform_input_iterator_tIbPKhN2at6native10EqualsModeEEENSD_19counting_iterator_tIlEES8_S8_S8_S8_S8_S8_S8_S8_EEEEPS9_S9_NSD_9__find_if7functorIS9_EEEE10hipError_tPvRmT1_T2_T3_mT4_P12ihipStream_tbEUlT_E0_NS1_11comp_targetILNS1_3genE5ELNS1_11target_archE942ELNS1_3gpuE9ELNS1_3repE0EEENS1_30default_config_static_selectorELNS0_4arch9wavefront6targetE1EEEvSW_.numbered_sgpr, 0
	.set _ZN7rocprim17ROCPRIM_400000_NS6detail17trampoline_kernelINS0_14default_configENS1_22reduce_config_selectorIN6thrust23THRUST_200600_302600_NS5tupleIblNS6_9null_typeES8_S8_S8_S8_S8_S8_S8_EEEEZNS1_11reduce_implILb1ES3_NS6_12zip_iteratorINS7_INS6_11hip_rocprim26transform_input_iterator_tIbPKhN2at6native10EqualsModeEEENSD_19counting_iterator_tIlEES8_S8_S8_S8_S8_S8_S8_S8_EEEEPS9_S9_NSD_9__find_if7functorIS9_EEEE10hipError_tPvRmT1_T2_T3_mT4_P12ihipStream_tbEUlT_E0_NS1_11comp_targetILNS1_3genE5ELNS1_11target_archE942ELNS1_3gpuE9ELNS1_3repE0EEENS1_30default_config_static_selectorELNS0_4arch9wavefront6targetE1EEEvSW_.num_named_barrier, 0
	.set _ZN7rocprim17ROCPRIM_400000_NS6detail17trampoline_kernelINS0_14default_configENS1_22reduce_config_selectorIN6thrust23THRUST_200600_302600_NS5tupleIblNS6_9null_typeES8_S8_S8_S8_S8_S8_S8_EEEEZNS1_11reduce_implILb1ES3_NS6_12zip_iteratorINS7_INS6_11hip_rocprim26transform_input_iterator_tIbPKhN2at6native10EqualsModeEEENSD_19counting_iterator_tIlEES8_S8_S8_S8_S8_S8_S8_S8_EEEEPS9_S9_NSD_9__find_if7functorIS9_EEEE10hipError_tPvRmT1_T2_T3_mT4_P12ihipStream_tbEUlT_E0_NS1_11comp_targetILNS1_3genE5ELNS1_11target_archE942ELNS1_3gpuE9ELNS1_3repE0EEENS1_30default_config_static_selectorELNS0_4arch9wavefront6targetE1EEEvSW_.private_seg_size, 0
	.set _ZN7rocprim17ROCPRIM_400000_NS6detail17trampoline_kernelINS0_14default_configENS1_22reduce_config_selectorIN6thrust23THRUST_200600_302600_NS5tupleIblNS6_9null_typeES8_S8_S8_S8_S8_S8_S8_EEEEZNS1_11reduce_implILb1ES3_NS6_12zip_iteratorINS7_INS6_11hip_rocprim26transform_input_iterator_tIbPKhN2at6native10EqualsModeEEENSD_19counting_iterator_tIlEES8_S8_S8_S8_S8_S8_S8_S8_EEEEPS9_S9_NSD_9__find_if7functorIS9_EEEE10hipError_tPvRmT1_T2_T3_mT4_P12ihipStream_tbEUlT_E0_NS1_11comp_targetILNS1_3genE5ELNS1_11target_archE942ELNS1_3gpuE9ELNS1_3repE0EEENS1_30default_config_static_selectorELNS0_4arch9wavefront6targetE1EEEvSW_.uses_vcc, 0
	.set _ZN7rocprim17ROCPRIM_400000_NS6detail17trampoline_kernelINS0_14default_configENS1_22reduce_config_selectorIN6thrust23THRUST_200600_302600_NS5tupleIblNS6_9null_typeES8_S8_S8_S8_S8_S8_S8_EEEEZNS1_11reduce_implILb1ES3_NS6_12zip_iteratorINS7_INS6_11hip_rocprim26transform_input_iterator_tIbPKhN2at6native10EqualsModeEEENSD_19counting_iterator_tIlEES8_S8_S8_S8_S8_S8_S8_S8_EEEEPS9_S9_NSD_9__find_if7functorIS9_EEEE10hipError_tPvRmT1_T2_T3_mT4_P12ihipStream_tbEUlT_E0_NS1_11comp_targetILNS1_3genE5ELNS1_11target_archE942ELNS1_3gpuE9ELNS1_3repE0EEENS1_30default_config_static_selectorELNS0_4arch9wavefront6targetE1EEEvSW_.uses_flat_scratch, 0
	.set _ZN7rocprim17ROCPRIM_400000_NS6detail17trampoline_kernelINS0_14default_configENS1_22reduce_config_selectorIN6thrust23THRUST_200600_302600_NS5tupleIblNS6_9null_typeES8_S8_S8_S8_S8_S8_S8_EEEEZNS1_11reduce_implILb1ES3_NS6_12zip_iteratorINS7_INS6_11hip_rocprim26transform_input_iterator_tIbPKhN2at6native10EqualsModeEEENSD_19counting_iterator_tIlEES8_S8_S8_S8_S8_S8_S8_S8_EEEEPS9_S9_NSD_9__find_if7functorIS9_EEEE10hipError_tPvRmT1_T2_T3_mT4_P12ihipStream_tbEUlT_E0_NS1_11comp_targetILNS1_3genE5ELNS1_11target_archE942ELNS1_3gpuE9ELNS1_3repE0EEENS1_30default_config_static_selectorELNS0_4arch9wavefront6targetE1EEEvSW_.has_dyn_sized_stack, 0
	.set _ZN7rocprim17ROCPRIM_400000_NS6detail17trampoline_kernelINS0_14default_configENS1_22reduce_config_selectorIN6thrust23THRUST_200600_302600_NS5tupleIblNS6_9null_typeES8_S8_S8_S8_S8_S8_S8_EEEEZNS1_11reduce_implILb1ES3_NS6_12zip_iteratorINS7_INS6_11hip_rocprim26transform_input_iterator_tIbPKhN2at6native10EqualsModeEEENSD_19counting_iterator_tIlEES8_S8_S8_S8_S8_S8_S8_S8_EEEEPS9_S9_NSD_9__find_if7functorIS9_EEEE10hipError_tPvRmT1_T2_T3_mT4_P12ihipStream_tbEUlT_E0_NS1_11comp_targetILNS1_3genE5ELNS1_11target_archE942ELNS1_3gpuE9ELNS1_3repE0EEENS1_30default_config_static_selectorELNS0_4arch9wavefront6targetE1EEEvSW_.has_recursion, 0
	.set _ZN7rocprim17ROCPRIM_400000_NS6detail17trampoline_kernelINS0_14default_configENS1_22reduce_config_selectorIN6thrust23THRUST_200600_302600_NS5tupleIblNS6_9null_typeES8_S8_S8_S8_S8_S8_S8_EEEEZNS1_11reduce_implILb1ES3_NS6_12zip_iteratorINS7_INS6_11hip_rocprim26transform_input_iterator_tIbPKhN2at6native10EqualsModeEEENSD_19counting_iterator_tIlEES8_S8_S8_S8_S8_S8_S8_S8_EEEEPS9_S9_NSD_9__find_if7functorIS9_EEEE10hipError_tPvRmT1_T2_T3_mT4_P12ihipStream_tbEUlT_E0_NS1_11comp_targetILNS1_3genE5ELNS1_11target_archE942ELNS1_3gpuE9ELNS1_3repE0EEENS1_30default_config_static_selectorELNS0_4arch9wavefront6targetE1EEEvSW_.has_indirect_call, 0
	.section	.AMDGPU.csdata,"",@progbits
; Kernel info:
; codeLenInByte = 0
; TotalNumSgprs: 4
; NumVgprs: 0
; ScratchSize: 0
; MemoryBound: 0
; FloatMode: 240
; IeeeMode: 1
; LDSByteSize: 0 bytes/workgroup (compile time only)
; SGPRBlocks: 0
; VGPRBlocks: 0
; NumSGPRsForWavesPerEU: 4
; NumVGPRsForWavesPerEU: 1
; Occupancy: 10
; WaveLimiterHint : 0
; COMPUTE_PGM_RSRC2:SCRATCH_EN: 0
; COMPUTE_PGM_RSRC2:USER_SGPR: 6
; COMPUTE_PGM_RSRC2:TRAP_HANDLER: 0
; COMPUTE_PGM_RSRC2:TGID_X_EN: 1
; COMPUTE_PGM_RSRC2:TGID_Y_EN: 0
; COMPUTE_PGM_RSRC2:TGID_Z_EN: 0
; COMPUTE_PGM_RSRC2:TIDIG_COMP_CNT: 0
	.section	.text._ZN7rocprim17ROCPRIM_400000_NS6detail17trampoline_kernelINS0_14default_configENS1_22reduce_config_selectorIN6thrust23THRUST_200600_302600_NS5tupleIblNS6_9null_typeES8_S8_S8_S8_S8_S8_S8_EEEEZNS1_11reduce_implILb1ES3_NS6_12zip_iteratorINS7_INS6_11hip_rocprim26transform_input_iterator_tIbPKhN2at6native10EqualsModeEEENSD_19counting_iterator_tIlEES8_S8_S8_S8_S8_S8_S8_S8_EEEEPS9_S9_NSD_9__find_if7functorIS9_EEEE10hipError_tPvRmT1_T2_T3_mT4_P12ihipStream_tbEUlT_E0_NS1_11comp_targetILNS1_3genE4ELNS1_11target_archE910ELNS1_3gpuE8ELNS1_3repE0EEENS1_30default_config_static_selectorELNS0_4arch9wavefront6targetE1EEEvSW_,"axG",@progbits,_ZN7rocprim17ROCPRIM_400000_NS6detail17trampoline_kernelINS0_14default_configENS1_22reduce_config_selectorIN6thrust23THRUST_200600_302600_NS5tupleIblNS6_9null_typeES8_S8_S8_S8_S8_S8_S8_EEEEZNS1_11reduce_implILb1ES3_NS6_12zip_iteratorINS7_INS6_11hip_rocprim26transform_input_iterator_tIbPKhN2at6native10EqualsModeEEENSD_19counting_iterator_tIlEES8_S8_S8_S8_S8_S8_S8_S8_EEEEPS9_S9_NSD_9__find_if7functorIS9_EEEE10hipError_tPvRmT1_T2_T3_mT4_P12ihipStream_tbEUlT_E0_NS1_11comp_targetILNS1_3genE4ELNS1_11target_archE910ELNS1_3gpuE8ELNS1_3repE0EEENS1_30default_config_static_selectorELNS0_4arch9wavefront6targetE1EEEvSW_,comdat
	.protected	_ZN7rocprim17ROCPRIM_400000_NS6detail17trampoline_kernelINS0_14default_configENS1_22reduce_config_selectorIN6thrust23THRUST_200600_302600_NS5tupleIblNS6_9null_typeES8_S8_S8_S8_S8_S8_S8_EEEEZNS1_11reduce_implILb1ES3_NS6_12zip_iteratorINS7_INS6_11hip_rocprim26transform_input_iterator_tIbPKhN2at6native10EqualsModeEEENSD_19counting_iterator_tIlEES8_S8_S8_S8_S8_S8_S8_S8_EEEEPS9_S9_NSD_9__find_if7functorIS9_EEEE10hipError_tPvRmT1_T2_T3_mT4_P12ihipStream_tbEUlT_E0_NS1_11comp_targetILNS1_3genE4ELNS1_11target_archE910ELNS1_3gpuE8ELNS1_3repE0EEENS1_30default_config_static_selectorELNS0_4arch9wavefront6targetE1EEEvSW_ ; -- Begin function _ZN7rocprim17ROCPRIM_400000_NS6detail17trampoline_kernelINS0_14default_configENS1_22reduce_config_selectorIN6thrust23THRUST_200600_302600_NS5tupleIblNS6_9null_typeES8_S8_S8_S8_S8_S8_S8_EEEEZNS1_11reduce_implILb1ES3_NS6_12zip_iteratorINS7_INS6_11hip_rocprim26transform_input_iterator_tIbPKhN2at6native10EqualsModeEEENSD_19counting_iterator_tIlEES8_S8_S8_S8_S8_S8_S8_S8_EEEEPS9_S9_NSD_9__find_if7functorIS9_EEEE10hipError_tPvRmT1_T2_T3_mT4_P12ihipStream_tbEUlT_E0_NS1_11comp_targetILNS1_3genE4ELNS1_11target_archE910ELNS1_3gpuE8ELNS1_3repE0EEENS1_30default_config_static_selectorELNS0_4arch9wavefront6targetE1EEEvSW_
	.globl	_ZN7rocprim17ROCPRIM_400000_NS6detail17trampoline_kernelINS0_14default_configENS1_22reduce_config_selectorIN6thrust23THRUST_200600_302600_NS5tupleIblNS6_9null_typeES8_S8_S8_S8_S8_S8_S8_EEEEZNS1_11reduce_implILb1ES3_NS6_12zip_iteratorINS7_INS6_11hip_rocprim26transform_input_iterator_tIbPKhN2at6native10EqualsModeEEENSD_19counting_iterator_tIlEES8_S8_S8_S8_S8_S8_S8_S8_EEEEPS9_S9_NSD_9__find_if7functorIS9_EEEE10hipError_tPvRmT1_T2_T3_mT4_P12ihipStream_tbEUlT_E0_NS1_11comp_targetILNS1_3genE4ELNS1_11target_archE910ELNS1_3gpuE8ELNS1_3repE0EEENS1_30default_config_static_selectorELNS0_4arch9wavefront6targetE1EEEvSW_
	.p2align	8
	.type	_ZN7rocprim17ROCPRIM_400000_NS6detail17trampoline_kernelINS0_14default_configENS1_22reduce_config_selectorIN6thrust23THRUST_200600_302600_NS5tupleIblNS6_9null_typeES8_S8_S8_S8_S8_S8_S8_EEEEZNS1_11reduce_implILb1ES3_NS6_12zip_iteratorINS7_INS6_11hip_rocprim26transform_input_iterator_tIbPKhN2at6native10EqualsModeEEENSD_19counting_iterator_tIlEES8_S8_S8_S8_S8_S8_S8_S8_EEEEPS9_S9_NSD_9__find_if7functorIS9_EEEE10hipError_tPvRmT1_T2_T3_mT4_P12ihipStream_tbEUlT_E0_NS1_11comp_targetILNS1_3genE4ELNS1_11target_archE910ELNS1_3gpuE8ELNS1_3repE0EEENS1_30default_config_static_selectorELNS0_4arch9wavefront6targetE1EEEvSW_,@function
_ZN7rocprim17ROCPRIM_400000_NS6detail17trampoline_kernelINS0_14default_configENS1_22reduce_config_selectorIN6thrust23THRUST_200600_302600_NS5tupleIblNS6_9null_typeES8_S8_S8_S8_S8_S8_S8_EEEEZNS1_11reduce_implILb1ES3_NS6_12zip_iteratorINS7_INS6_11hip_rocprim26transform_input_iterator_tIbPKhN2at6native10EqualsModeEEENSD_19counting_iterator_tIlEES8_S8_S8_S8_S8_S8_S8_S8_EEEEPS9_S9_NSD_9__find_if7functorIS9_EEEE10hipError_tPvRmT1_T2_T3_mT4_P12ihipStream_tbEUlT_E0_NS1_11comp_targetILNS1_3genE4ELNS1_11target_archE910ELNS1_3gpuE8ELNS1_3repE0EEENS1_30default_config_static_selectorELNS0_4arch9wavefront6targetE1EEEvSW_: ; @_ZN7rocprim17ROCPRIM_400000_NS6detail17trampoline_kernelINS0_14default_configENS1_22reduce_config_selectorIN6thrust23THRUST_200600_302600_NS5tupleIblNS6_9null_typeES8_S8_S8_S8_S8_S8_S8_EEEEZNS1_11reduce_implILb1ES3_NS6_12zip_iteratorINS7_INS6_11hip_rocprim26transform_input_iterator_tIbPKhN2at6native10EqualsModeEEENSD_19counting_iterator_tIlEES8_S8_S8_S8_S8_S8_S8_S8_EEEEPS9_S9_NSD_9__find_if7functorIS9_EEEE10hipError_tPvRmT1_T2_T3_mT4_P12ihipStream_tbEUlT_E0_NS1_11comp_targetILNS1_3genE4ELNS1_11target_archE910ELNS1_3gpuE8ELNS1_3repE0EEENS1_30default_config_static_selectorELNS0_4arch9wavefront6targetE1EEEvSW_
; %bb.0:
	.section	.rodata,"a",@progbits
	.p2align	6, 0x0
	.amdhsa_kernel _ZN7rocprim17ROCPRIM_400000_NS6detail17trampoline_kernelINS0_14default_configENS1_22reduce_config_selectorIN6thrust23THRUST_200600_302600_NS5tupleIblNS6_9null_typeES8_S8_S8_S8_S8_S8_S8_EEEEZNS1_11reduce_implILb1ES3_NS6_12zip_iteratorINS7_INS6_11hip_rocprim26transform_input_iterator_tIbPKhN2at6native10EqualsModeEEENSD_19counting_iterator_tIlEES8_S8_S8_S8_S8_S8_S8_S8_EEEEPS9_S9_NSD_9__find_if7functorIS9_EEEE10hipError_tPvRmT1_T2_T3_mT4_P12ihipStream_tbEUlT_E0_NS1_11comp_targetILNS1_3genE4ELNS1_11target_archE910ELNS1_3gpuE8ELNS1_3repE0EEENS1_30default_config_static_selectorELNS0_4arch9wavefront6targetE1EEEvSW_
		.amdhsa_group_segment_fixed_size 0
		.amdhsa_private_segment_fixed_size 0
		.amdhsa_kernarg_size 88
		.amdhsa_user_sgpr_count 6
		.amdhsa_user_sgpr_private_segment_buffer 1
		.amdhsa_user_sgpr_dispatch_ptr 0
		.amdhsa_user_sgpr_queue_ptr 0
		.amdhsa_user_sgpr_kernarg_segment_ptr 1
		.amdhsa_user_sgpr_dispatch_id 0
		.amdhsa_user_sgpr_flat_scratch_init 0
		.amdhsa_user_sgpr_private_segment_size 0
		.amdhsa_uses_dynamic_stack 0
		.amdhsa_system_sgpr_private_segment_wavefront_offset 0
		.amdhsa_system_sgpr_workgroup_id_x 1
		.amdhsa_system_sgpr_workgroup_id_y 0
		.amdhsa_system_sgpr_workgroup_id_z 0
		.amdhsa_system_sgpr_workgroup_info 0
		.amdhsa_system_vgpr_workitem_id 0
		.amdhsa_next_free_vgpr 1
		.amdhsa_next_free_sgpr 0
		.amdhsa_reserve_vcc 0
		.amdhsa_reserve_flat_scratch 0
		.amdhsa_float_round_mode_32 0
		.amdhsa_float_round_mode_16_64 0
		.amdhsa_float_denorm_mode_32 3
		.amdhsa_float_denorm_mode_16_64 3
		.amdhsa_dx10_clamp 1
		.amdhsa_ieee_mode 1
		.amdhsa_fp16_overflow 0
		.amdhsa_exception_fp_ieee_invalid_op 0
		.amdhsa_exception_fp_denorm_src 0
		.amdhsa_exception_fp_ieee_div_zero 0
		.amdhsa_exception_fp_ieee_overflow 0
		.amdhsa_exception_fp_ieee_underflow 0
		.amdhsa_exception_fp_ieee_inexact 0
		.amdhsa_exception_int_div_zero 0
	.end_amdhsa_kernel
	.section	.text._ZN7rocprim17ROCPRIM_400000_NS6detail17trampoline_kernelINS0_14default_configENS1_22reduce_config_selectorIN6thrust23THRUST_200600_302600_NS5tupleIblNS6_9null_typeES8_S8_S8_S8_S8_S8_S8_EEEEZNS1_11reduce_implILb1ES3_NS6_12zip_iteratorINS7_INS6_11hip_rocprim26transform_input_iterator_tIbPKhN2at6native10EqualsModeEEENSD_19counting_iterator_tIlEES8_S8_S8_S8_S8_S8_S8_S8_EEEEPS9_S9_NSD_9__find_if7functorIS9_EEEE10hipError_tPvRmT1_T2_T3_mT4_P12ihipStream_tbEUlT_E0_NS1_11comp_targetILNS1_3genE4ELNS1_11target_archE910ELNS1_3gpuE8ELNS1_3repE0EEENS1_30default_config_static_selectorELNS0_4arch9wavefront6targetE1EEEvSW_,"axG",@progbits,_ZN7rocprim17ROCPRIM_400000_NS6detail17trampoline_kernelINS0_14default_configENS1_22reduce_config_selectorIN6thrust23THRUST_200600_302600_NS5tupleIblNS6_9null_typeES8_S8_S8_S8_S8_S8_S8_EEEEZNS1_11reduce_implILb1ES3_NS6_12zip_iteratorINS7_INS6_11hip_rocprim26transform_input_iterator_tIbPKhN2at6native10EqualsModeEEENSD_19counting_iterator_tIlEES8_S8_S8_S8_S8_S8_S8_S8_EEEEPS9_S9_NSD_9__find_if7functorIS9_EEEE10hipError_tPvRmT1_T2_T3_mT4_P12ihipStream_tbEUlT_E0_NS1_11comp_targetILNS1_3genE4ELNS1_11target_archE910ELNS1_3gpuE8ELNS1_3repE0EEENS1_30default_config_static_selectorELNS0_4arch9wavefront6targetE1EEEvSW_,comdat
.Lfunc_end56:
	.size	_ZN7rocprim17ROCPRIM_400000_NS6detail17trampoline_kernelINS0_14default_configENS1_22reduce_config_selectorIN6thrust23THRUST_200600_302600_NS5tupleIblNS6_9null_typeES8_S8_S8_S8_S8_S8_S8_EEEEZNS1_11reduce_implILb1ES3_NS6_12zip_iteratorINS7_INS6_11hip_rocprim26transform_input_iterator_tIbPKhN2at6native10EqualsModeEEENSD_19counting_iterator_tIlEES8_S8_S8_S8_S8_S8_S8_S8_EEEEPS9_S9_NSD_9__find_if7functorIS9_EEEE10hipError_tPvRmT1_T2_T3_mT4_P12ihipStream_tbEUlT_E0_NS1_11comp_targetILNS1_3genE4ELNS1_11target_archE910ELNS1_3gpuE8ELNS1_3repE0EEENS1_30default_config_static_selectorELNS0_4arch9wavefront6targetE1EEEvSW_, .Lfunc_end56-_ZN7rocprim17ROCPRIM_400000_NS6detail17trampoline_kernelINS0_14default_configENS1_22reduce_config_selectorIN6thrust23THRUST_200600_302600_NS5tupleIblNS6_9null_typeES8_S8_S8_S8_S8_S8_S8_EEEEZNS1_11reduce_implILb1ES3_NS6_12zip_iteratorINS7_INS6_11hip_rocprim26transform_input_iterator_tIbPKhN2at6native10EqualsModeEEENSD_19counting_iterator_tIlEES8_S8_S8_S8_S8_S8_S8_S8_EEEEPS9_S9_NSD_9__find_if7functorIS9_EEEE10hipError_tPvRmT1_T2_T3_mT4_P12ihipStream_tbEUlT_E0_NS1_11comp_targetILNS1_3genE4ELNS1_11target_archE910ELNS1_3gpuE8ELNS1_3repE0EEENS1_30default_config_static_selectorELNS0_4arch9wavefront6targetE1EEEvSW_
                                        ; -- End function
	.set _ZN7rocprim17ROCPRIM_400000_NS6detail17trampoline_kernelINS0_14default_configENS1_22reduce_config_selectorIN6thrust23THRUST_200600_302600_NS5tupleIblNS6_9null_typeES8_S8_S8_S8_S8_S8_S8_EEEEZNS1_11reduce_implILb1ES3_NS6_12zip_iteratorINS7_INS6_11hip_rocprim26transform_input_iterator_tIbPKhN2at6native10EqualsModeEEENSD_19counting_iterator_tIlEES8_S8_S8_S8_S8_S8_S8_S8_EEEEPS9_S9_NSD_9__find_if7functorIS9_EEEE10hipError_tPvRmT1_T2_T3_mT4_P12ihipStream_tbEUlT_E0_NS1_11comp_targetILNS1_3genE4ELNS1_11target_archE910ELNS1_3gpuE8ELNS1_3repE0EEENS1_30default_config_static_selectorELNS0_4arch9wavefront6targetE1EEEvSW_.num_vgpr, 0
	.set _ZN7rocprim17ROCPRIM_400000_NS6detail17trampoline_kernelINS0_14default_configENS1_22reduce_config_selectorIN6thrust23THRUST_200600_302600_NS5tupleIblNS6_9null_typeES8_S8_S8_S8_S8_S8_S8_EEEEZNS1_11reduce_implILb1ES3_NS6_12zip_iteratorINS7_INS6_11hip_rocprim26transform_input_iterator_tIbPKhN2at6native10EqualsModeEEENSD_19counting_iterator_tIlEES8_S8_S8_S8_S8_S8_S8_S8_EEEEPS9_S9_NSD_9__find_if7functorIS9_EEEE10hipError_tPvRmT1_T2_T3_mT4_P12ihipStream_tbEUlT_E0_NS1_11comp_targetILNS1_3genE4ELNS1_11target_archE910ELNS1_3gpuE8ELNS1_3repE0EEENS1_30default_config_static_selectorELNS0_4arch9wavefront6targetE1EEEvSW_.num_agpr, 0
	.set _ZN7rocprim17ROCPRIM_400000_NS6detail17trampoline_kernelINS0_14default_configENS1_22reduce_config_selectorIN6thrust23THRUST_200600_302600_NS5tupleIblNS6_9null_typeES8_S8_S8_S8_S8_S8_S8_EEEEZNS1_11reduce_implILb1ES3_NS6_12zip_iteratorINS7_INS6_11hip_rocprim26transform_input_iterator_tIbPKhN2at6native10EqualsModeEEENSD_19counting_iterator_tIlEES8_S8_S8_S8_S8_S8_S8_S8_EEEEPS9_S9_NSD_9__find_if7functorIS9_EEEE10hipError_tPvRmT1_T2_T3_mT4_P12ihipStream_tbEUlT_E0_NS1_11comp_targetILNS1_3genE4ELNS1_11target_archE910ELNS1_3gpuE8ELNS1_3repE0EEENS1_30default_config_static_selectorELNS0_4arch9wavefront6targetE1EEEvSW_.numbered_sgpr, 0
	.set _ZN7rocprim17ROCPRIM_400000_NS6detail17trampoline_kernelINS0_14default_configENS1_22reduce_config_selectorIN6thrust23THRUST_200600_302600_NS5tupleIblNS6_9null_typeES8_S8_S8_S8_S8_S8_S8_EEEEZNS1_11reduce_implILb1ES3_NS6_12zip_iteratorINS7_INS6_11hip_rocprim26transform_input_iterator_tIbPKhN2at6native10EqualsModeEEENSD_19counting_iterator_tIlEES8_S8_S8_S8_S8_S8_S8_S8_EEEEPS9_S9_NSD_9__find_if7functorIS9_EEEE10hipError_tPvRmT1_T2_T3_mT4_P12ihipStream_tbEUlT_E0_NS1_11comp_targetILNS1_3genE4ELNS1_11target_archE910ELNS1_3gpuE8ELNS1_3repE0EEENS1_30default_config_static_selectorELNS0_4arch9wavefront6targetE1EEEvSW_.num_named_barrier, 0
	.set _ZN7rocprim17ROCPRIM_400000_NS6detail17trampoline_kernelINS0_14default_configENS1_22reduce_config_selectorIN6thrust23THRUST_200600_302600_NS5tupleIblNS6_9null_typeES8_S8_S8_S8_S8_S8_S8_EEEEZNS1_11reduce_implILb1ES3_NS6_12zip_iteratorINS7_INS6_11hip_rocprim26transform_input_iterator_tIbPKhN2at6native10EqualsModeEEENSD_19counting_iterator_tIlEES8_S8_S8_S8_S8_S8_S8_S8_EEEEPS9_S9_NSD_9__find_if7functorIS9_EEEE10hipError_tPvRmT1_T2_T3_mT4_P12ihipStream_tbEUlT_E0_NS1_11comp_targetILNS1_3genE4ELNS1_11target_archE910ELNS1_3gpuE8ELNS1_3repE0EEENS1_30default_config_static_selectorELNS0_4arch9wavefront6targetE1EEEvSW_.private_seg_size, 0
	.set _ZN7rocprim17ROCPRIM_400000_NS6detail17trampoline_kernelINS0_14default_configENS1_22reduce_config_selectorIN6thrust23THRUST_200600_302600_NS5tupleIblNS6_9null_typeES8_S8_S8_S8_S8_S8_S8_EEEEZNS1_11reduce_implILb1ES3_NS6_12zip_iteratorINS7_INS6_11hip_rocprim26transform_input_iterator_tIbPKhN2at6native10EqualsModeEEENSD_19counting_iterator_tIlEES8_S8_S8_S8_S8_S8_S8_S8_EEEEPS9_S9_NSD_9__find_if7functorIS9_EEEE10hipError_tPvRmT1_T2_T3_mT4_P12ihipStream_tbEUlT_E0_NS1_11comp_targetILNS1_3genE4ELNS1_11target_archE910ELNS1_3gpuE8ELNS1_3repE0EEENS1_30default_config_static_selectorELNS0_4arch9wavefront6targetE1EEEvSW_.uses_vcc, 0
	.set _ZN7rocprim17ROCPRIM_400000_NS6detail17trampoline_kernelINS0_14default_configENS1_22reduce_config_selectorIN6thrust23THRUST_200600_302600_NS5tupleIblNS6_9null_typeES8_S8_S8_S8_S8_S8_S8_EEEEZNS1_11reduce_implILb1ES3_NS6_12zip_iteratorINS7_INS6_11hip_rocprim26transform_input_iterator_tIbPKhN2at6native10EqualsModeEEENSD_19counting_iterator_tIlEES8_S8_S8_S8_S8_S8_S8_S8_EEEEPS9_S9_NSD_9__find_if7functorIS9_EEEE10hipError_tPvRmT1_T2_T3_mT4_P12ihipStream_tbEUlT_E0_NS1_11comp_targetILNS1_3genE4ELNS1_11target_archE910ELNS1_3gpuE8ELNS1_3repE0EEENS1_30default_config_static_selectorELNS0_4arch9wavefront6targetE1EEEvSW_.uses_flat_scratch, 0
	.set _ZN7rocprim17ROCPRIM_400000_NS6detail17trampoline_kernelINS0_14default_configENS1_22reduce_config_selectorIN6thrust23THRUST_200600_302600_NS5tupleIblNS6_9null_typeES8_S8_S8_S8_S8_S8_S8_EEEEZNS1_11reduce_implILb1ES3_NS6_12zip_iteratorINS7_INS6_11hip_rocprim26transform_input_iterator_tIbPKhN2at6native10EqualsModeEEENSD_19counting_iterator_tIlEES8_S8_S8_S8_S8_S8_S8_S8_EEEEPS9_S9_NSD_9__find_if7functorIS9_EEEE10hipError_tPvRmT1_T2_T3_mT4_P12ihipStream_tbEUlT_E0_NS1_11comp_targetILNS1_3genE4ELNS1_11target_archE910ELNS1_3gpuE8ELNS1_3repE0EEENS1_30default_config_static_selectorELNS0_4arch9wavefront6targetE1EEEvSW_.has_dyn_sized_stack, 0
	.set _ZN7rocprim17ROCPRIM_400000_NS6detail17trampoline_kernelINS0_14default_configENS1_22reduce_config_selectorIN6thrust23THRUST_200600_302600_NS5tupleIblNS6_9null_typeES8_S8_S8_S8_S8_S8_S8_EEEEZNS1_11reduce_implILb1ES3_NS6_12zip_iteratorINS7_INS6_11hip_rocprim26transform_input_iterator_tIbPKhN2at6native10EqualsModeEEENSD_19counting_iterator_tIlEES8_S8_S8_S8_S8_S8_S8_S8_EEEEPS9_S9_NSD_9__find_if7functorIS9_EEEE10hipError_tPvRmT1_T2_T3_mT4_P12ihipStream_tbEUlT_E0_NS1_11comp_targetILNS1_3genE4ELNS1_11target_archE910ELNS1_3gpuE8ELNS1_3repE0EEENS1_30default_config_static_selectorELNS0_4arch9wavefront6targetE1EEEvSW_.has_recursion, 0
	.set _ZN7rocprim17ROCPRIM_400000_NS6detail17trampoline_kernelINS0_14default_configENS1_22reduce_config_selectorIN6thrust23THRUST_200600_302600_NS5tupleIblNS6_9null_typeES8_S8_S8_S8_S8_S8_S8_EEEEZNS1_11reduce_implILb1ES3_NS6_12zip_iteratorINS7_INS6_11hip_rocprim26transform_input_iterator_tIbPKhN2at6native10EqualsModeEEENSD_19counting_iterator_tIlEES8_S8_S8_S8_S8_S8_S8_S8_EEEEPS9_S9_NSD_9__find_if7functorIS9_EEEE10hipError_tPvRmT1_T2_T3_mT4_P12ihipStream_tbEUlT_E0_NS1_11comp_targetILNS1_3genE4ELNS1_11target_archE910ELNS1_3gpuE8ELNS1_3repE0EEENS1_30default_config_static_selectorELNS0_4arch9wavefront6targetE1EEEvSW_.has_indirect_call, 0
	.section	.AMDGPU.csdata,"",@progbits
; Kernel info:
; codeLenInByte = 0
; TotalNumSgprs: 4
; NumVgprs: 0
; ScratchSize: 0
; MemoryBound: 0
; FloatMode: 240
; IeeeMode: 1
; LDSByteSize: 0 bytes/workgroup (compile time only)
; SGPRBlocks: 0
; VGPRBlocks: 0
; NumSGPRsForWavesPerEU: 4
; NumVGPRsForWavesPerEU: 1
; Occupancy: 10
; WaveLimiterHint : 0
; COMPUTE_PGM_RSRC2:SCRATCH_EN: 0
; COMPUTE_PGM_RSRC2:USER_SGPR: 6
; COMPUTE_PGM_RSRC2:TRAP_HANDLER: 0
; COMPUTE_PGM_RSRC2:TGID_X_EN: 1
; COMPUTE_PGM_RSRC2:TGID_Y_EN: 0
; COMPUTE_PGM_RSRC2:TGID_Z_EN: 0
; COMPUTE_PGM_RSRC2:TIDIG_COMP_CNT: 0
	.section	.text._ZN7rocprim17ROCPRIM_400000_NS6detail17trampoline_kernelINS0_14default_configENS1_22reduce_config_selectorIN6thrust23THRUST_200600_302600_NS5tupleIblNS6_9null_typeES8_S8_S8_S8_S8_S8_S8_EEEEZNS1_11reduce_implILb1ES3_NS6_12zip_iteratorINS7_INS6_11hip_rocprim26transform_input_iterator_tIbPKhN2at6native10EqualsModeEEENSD_19counting_iterator_tIlEES8_S8_S8_S8_S8_S8_S8_S8_EEEEPS9_S9_NSD_9__find_if7functorIS9_EEEE10hipError_tPvRmT1_T2_T3_mT4_P12ihipStream_tbEUlT_E0_NS1_11comp_targetILNS1_3genE3ELNS1_11target_archE908ELNS1_3gpuE7ELNS1_3repE0EEENS1_30default_config_static_selectorELNS0_4arch9wavefront6targetE1EEEvSW_,"axG",@progbits,_ZN7rocprim17ROCPRIM_400000_NS6detail17trampoline_kernelINS0_14default_configENS1_22reduce_config_selectorIN6thrust23THRUST_200600_302600_NS5tupleIblNS6_9null_typeES8_S8_S8_S8_S8_S8_S8_EEEEZNS1_11reduce_implILb1ES3_NS6_12zip_iteratorINS7_INS6_11hip_rocprim26transform_input_iterator_tIbPKhN2at6native10EqualsModeEEENSD_19counting_iterator_tIlEES8_S8_S8_S8_S8_S8_S8_S8_EEEEPS9_S9_NSD_9__find_if7functorIS9_EEEE10hipError_tPvRmT1_T2_T3_mT4_P12ihipStream_tbEUlT_E0_NS1_11comp_targetILNS1_3genE3ELNS1_11target_archE908ELNS1_3gpuE7ELNS1_3repE0EEENS1_30default_config_static_selectorELNS0_4arch9wavefront6targetE1EEEvSW_,comdat
	.protected	_ZN7rocprim17ROCPRIM_400000_NS6detail17trampoline_kernelINS0_14default_configENS1_22reduce_config_selectorIN6thrust23THRUST_200600_302600_NS5tupleIblNS6_9null_typeES8_S8_S8_S8_S8_S8_S8_EEEEZNS1_11reduce_implILb1ES3_NS6_12zip_iteratorINS7_INS6_11hip_rocprim26transform_input_iterator_tIbPKhN2at6native10EqualsModeEEENSD_19counting_iterator_tIlEES8_S8_S8_S8_S8_S8_S8_S8_EEEEPS9_S9_NSD_9__find_if7functorIS9_EEEE10hipError_tPvRmT1_T2_T3_mT4_P12ihipStream_tbEUlT_E0_NS1_11comp_targetILNS1_3genE3ELNS1_11target_archE908ELNS1_3gpuE7ELNS1_3repE0EEENS1_30default_config_static_selectorELNS0_4arch9wavefront6targetE1EEEvSW_ ; -- Begin function _ZN7rocprim17ROCPRIM_400000_NS6detail17trampoline_kernelINS0_14default_configENS1_22reduce_config_selectorIN6thrust23THRUST_200600_302600_NS5tupleIblNS6_9null_typeES8_S8_S8_S8_S8_S8_S8_EEEEZNS1_11reduce_implILb1ES3_NS6_12zip_iteratorINS7_INS6_11hip_rocprim26transform_input_iterator_tIbPKhN2at6native10EqualsModeEEENSD_19counting_iterator_tIlEES8_S8_S8_S8_S8_S8_S8_S8_EEEEPS9_S9_NSD_9__find_if7functorIS9_EEEE10hipError_tPvRmT1_T2_T3_mT4_P12ihipStream_tbEUlT_E0_NS1_11comp_targetILNS1_3genE3ELNS1_11target_archE908ELNS1_3gpuE7ELNS1_3repE0EEENS1_30default_config_static_selectorELNS0_4arch9wavefront6targetE1EEEvSW_
	.globl	_ZN7rocprim17ROCPRIM_400000_NS6detail17trampoline_kernelINS0_14default_configENS1_22reduce_config_selectorIN6thrust23THRUST_200600_302600_NS5tupleIblNS6_9null_typeES8_S8_S8_S8_S8_S8_S8_EEEEZNS1_11reduce_implILb1ES3_NS6_12zip_iteratorINS7_INS6_11hip_rocprim26transform_input_iterator_tIbPKhN2at6native10EqualsModeEEENSD_19counting_iterator_tIlEES8_S8_S8_S8_S8_S8_S8_S8_EEEEPS9_S9_NSD_9__find_if7functorIS9_EEEE10hipError_tPvRmT1_T2_T3_mT4_P12ihipStream_tbEUlT_E0_NS1_11comp_targetILNS1_3genE3ELNS1_11target_archE908ELNS1_3gpuE7ELNS1_3repE0EEENS1_30default_config_static_selectorELNS0_4arch9wavefront6targetE1EEEvSW_
	.p2align	8
	.type	_ZN7rocprim17ROCPRIM_400000_NS6detail17trampoline_kernelINS0_14default_configENS1_22reduce_config_selectorIN6thrust23THRUST_200600_302600_NS5tupleIblNS6_9null_typeES8_S8_S8_S8_S8_S8_S8_EEEEZNS1_11reduce_implILb1ES3_NS6_12zip_iteratorINS7_INS6_11hip_rocprim26transform_input_iterator_tIbPKhN2at6native10EqualsModeEEENSD_19counting_iterator_tIlEES8_S8_S8_S8_S8_S8_S8_S8_EEEEPS9_S9_NSD_9__find_if7functorIS9_EEEE10hipError_tPvRmT1_T2_T3_mT4_P12ihipStream_tbEUlT_E0_NS1_11comp_targetILNS1_3genE3ELNS1_11target_archE908ELNS1_3gpuE7ELNS1_3repE0EEENS1_30default_config_static_selectorELNS0_4arch9wavefront6targetE1EEEvSW_,@function
_ZN7rocprim17ROCPRIM_400000_NS6detail17trampoline_kernelINS0_14default_configENS1_22reduce_config_selectorIN6thrust23THRUST_200600_302600_NS5tupleIblNS6_9null_typeES8_S8_S8_S8_S8_S8_S8_EEEEZNS1_11reduce_implILb1ES3_NS6_12zip_iteratorINS7_INS6_11hip_rocprim26transform_input_iterator_tIbPKhN2at6native10EqualsModeEEENSD_19counting_iterator_tIlEES8_S8_S8_S8_S8_S8_S8_S8_EEEEPS9_S9_NSD_9__find_if7functorIS9_EEEE10hipError_tPvRmT1_T2_T3_mT4_P12ihipStream_tbEUlT_E0_NS1_11comp_targetILNS1_3genE3ELNS1_11target_archE908ELNS1_3gpuE7ELNS1_3repE0EEENS1_30default_config_static_selectorELNS0_4arch9wavefront6targetE1EEEvSW_: ; @_ZN7rocprim17ROCPRIM_400000_NS6detail17trampoline_kernelINS0_14default_configENS1_22reduce_config_selectorIN6thrust23THRUST_200600_302600_NS5tupleIblNS6_9null_typeES8_S8_S8_S8_S8_S8_S8_EEEEZNS1_11reduce_implILb1ES3_NS6_12zip_iteratorINS7_INS6_11hip_rocprim26transform_input_iterator_tIbPKhN2at6native10EqualsModeEEENSD_19counting_iterator_tIlEES8_S8_S8_S8_S8_S8_S8_S8_EEEEPS9_S9_NSD_9__find_if7functorIS9_EEEE10hipError_tPvRmT1_T2_T3_mT4_P12ihipStream_tbEUlT_E0_NS1_11comp_targetILNS1_3genE3ELNS1_11target_archE908ELNS1_3gpuE7ELNS1_3repE0EEENS1_30default_config_static_selectorELNS0_4arch9wavefront6targetE1EEEvSW_
; %bb.0:
	.section	.rodata,"a",@progbits
	.p2align	6, 0x0
	.amdhsa_kernel _ZN7rocprim17ROCPRIM_400000_NS6detail17trampoline_kernelINS0_14default_configENS1_22reduce_config_selectorIN6thrust23THRUST_200600_302600_NS5tupleIblNS6_9null_typeES8_S8_S8_S8_S8_S8_S8_EEEEZNS1_11reduce_implILb1ES3_NS6_12zip_iteratorINS7_INS6_11hip_rocprim26transform_input_iterator_tIbPKhN2at6native10EqualsModeEEENSD_19counting_iterator_tIlEES8_S8_S8_S8_S8_S8_S8_S8_EEEEPS9_S9_NSD_9__find_if7functorIS9_EEEE10hipError_tPvRmT1_T2_T3_mT4_P12ihipStream_tbEUlT_E0_NS1_11comp_targetILNS1_3genE3ELNS1_11target_archE908ELNS1_3gpuE7ELNS1_3repE0EEENS1_30default_config_static_selectorELNS0_4arch9wavefront6targetE1EEEvSW_
		.amdhsa_group_segment_fixed_size 0
		.amdhsa_private_segment_fixed_size 0
		.amdhsa_kernarg_size 88
		.amdhsa_user_sgpr_count 6
		.amdhsa_user_sgpr_private_segment_buffer 1
		.amdhsa_user_sgpr_dispatch_ptr 0
		.amdhsa_user_sgpr_queue_ptr 0
		.amdhsa_user_sgpr_kernarg_segment_ptr 1
		.amdhsa_user_sgpr_dispatch_id 0
		.amdhsa_user_sgpr_flat_scratch_init 0
		.amdhsa_user_sgpr_private_segment_size 0
		.amdhsa_uses_dynamic_stack 0
		.amdhsa_system_sgpr_private_segment_wavefront_offset 0
		.amdhsa_system_sgpr_workgroup_id_x 1
		.amdhsa_system_sgpr_workgroup_id_y 0
		.amdhsa_system_sgpr_workgroup_id_z 0
		.amdhsa_system_sgpr_workgroup_info 0
		.amdhsa_system_vgpr_workitem_id 0
		.amdhsa_next_free_vgpr 1
		.amdhsa_next_free_sgpr 0
		.amdhsa_reserve_vcc 0
		.amdhsa_reserve_flat_scratch 0
		.amdhsa_float_round_mode_32 0
		.amdhsa_float_round_mode_16_64 0
		.amdhsa_float_denorm_mode_32 3
		.amdhsa_float_denorm_mode_16_64 3
		.amdhsa_dx10_clamp 1
		.amdhsa_ieee_mode 1
		.amdhsa_fp16_overflow 0
		.amdhsa_exception_fp_ieee_invalid_op 0
		.amdhsa_exception_fp_denorm_src 0
		.amdhsa_exception_fp_ieee_div_zero 0
		.amdhsa_exception_fp_ieee_overflow 0
		.amdhsa_exception_fp_ieee_underflow 0
		.amdhsa_exception_fp_ieee_inexact 0
		.amdhsa_exception_int_div_zero 0
	.end_amdhsa_kernel
	.section	.text._ZN7rocprim17ROCPRIM_400000_NS6detail17trampoline_kernelINS0_14default_configENS1_22reduce_config_selectorIN6thrust23THRUST_200600_302600_NS5tupleIblNS6_9null_typeES8_S8_S8_S8_S8_S8_S8_EEEEZNS1_11reduce_implILb1ES3_NS6_12zip_iteratorINS7_INS6_11hip_rocprim26transform_input_iterator_tIbPKhN2at6native10EqualsModeEEENSD_19counting_iterator_tIlEES8_S8_S8_S8_S8_S8_S8_S8_EEEEPS9_S9_NSD_9__find_if7functorIS9_EEEE10hipError_tPvRmT1_T2_T3_mT4_P12ihipStream_tbEUlT_E0_NS1_11comp_targetILNS1_3genE3ELNS1_11target_archE908ELNS1_3gpuE7ELNS1_3repE0EEENS1_30default_config_static_selectorELNS0_4arch9wavefront6targetE1EEEvSW_,"axG",@progbits,_ZN7rocprim17ROCPRIM_400000_NS6detail17trampoline_kernelINS0_14default_configENS1_22reduce_config_selectorIN6thrust23THRUST_200600_302600_NS5tupleIblNS6_9null_typeES8_S8_S8_S8_S8_S8_S8_EEEEZNS1_11reduce_implILb1ES3_NS6_12zip_iteratorINS7_INS6_11hip_rocprim26transform_input_iterator_tIbPKhN2at6native10EqualsModeEEENSD_19counting_iterator_tIlEES8_S8_S8_S8_S8_S8_S8_S8_EEEEPS9_S9_NSD_9__find_if7functorIS9_EEEE10hipError_tPvRmT1_T2_T3_mT4_P12ihipStream_tbEUlT_E0_NS1_11comp_targetILNS1_3genE3ELNS1_11target_archE908ELNS1_3gpuE7ELNS1_3repE0EEENS1_30default_config_static_selectorELNS0_4arch9wavefront6targetE1EEEvSW_,comdat
.Lfunc_end57:
	.size	_ZN7rocprim17ROCPRIM_400000_NS6detail17trampoline_kernelINS0_14default_configENS1_22reduce_config_selectorIN6thrust23THRUST_200600_302600_NS5tupleIblNS6_9null_typeES8_S8_S8_S8_S8_S8_S8_EEEEZNS1_11reduce_implILb1ES3_NS6_12zip_iteratorINS7_INS6_11hip_rocprim26transform_input_iterator_tIbPKhN2at6native10EqualsModeEEENSD_19counting_iterator_tIlEES8_S8_S8_S8_S8_S8_S8_S8_EEEEPS9_S9_NSD_9__find_if7functorIS9_EEEE10hipError_tPvRmT1_T2_T3_mT4_P12ihipStream_tbEUlT_E0_NS1_11comp_targetILNS1_3genE3ELNS1_11target_archE908ELNS1_3gpuE7ELNS1_3repE0EEENS1_30default_config_static_selectorELNS0_4arch9wavefront6targetE1EEEvSW_, .Lfunc_end57-_ZN7rocprim17ROCPRIM_400000_NS6detail17trampoline_kernelINS0_14default_configENS1_22reduce_config_selectorIN6thrust23THRUST_200600_302600_NS5tupleIblNS6_9null_typeES8_S8_S8_S8_S8_S8_S8_EEEEZNS1_11reduce_implILb1ES3_NS6_12zip_iteratorINS7_INS6_11hip_rocprim26transform_input_iterator_tIbPKhN2at6native10EqualsModeEEENSD_19counting_iterator_tIlEES8_S8_S8_S8_S8_S8_S8_S8_EEEEPS9_S9_NSD_9__find_if7functorIS9_EEEE10hipError_tPvRmT1_T2_T3_mT4_P12ihipStream_tbEUlT_E0_NS1_11comp_targetILNS1_3genE3ELNS1_11target_archE908ELNS1_3gpuE7ELNS1_3repE0EEENS1_30default_config_static_selectorELNS0_4arch9wavefront6targetE1EEEvSW_
                                        ; -- End function
	.set _ZN7rocprim17ROCPRIM_400000_NS6detail17trampoline_kernelINS0_14default_configENS1_22reduce_config_selectorIN6thrust23THRUST_200600_302600_NS5tupleIblNS6_9null_typeES8_S8_S8_S8_S8_S8_S8_EEEEZNS1_11reduce_implILb1ES3_NS6_12zip_iteratorINS7_INS6_11hip_rocprim26transform_input_iterator_tIbPKhN2at6native10EqualsModeEEENSD_19counting_iterator_tIlEES8_S8_S8_S8_S8_S8_S8_S8_EEEEPS9_S9_NSD_9__find_if7functorIS9_EEEE10hipError_tPvRmT1_T2_T3_mT4_P12ihipStream_tbEUlT_E0_NS1_11comp_targetILNS1_3genE3ELNS1_11target_archE908ELNS1_3gpuE7ELNS1_3repE0EEENS1_30default_config_static_selectorELNS0_4arch9wavefront6targetE1EEEvSW_.num_vgpr, 0
	.set _ZN7rocprim17ROCPRIM_400000_NS6detail17trampoline_kernelINS0_14default_configENS1_22reduce_config_selectorIN6thrust23THRUST_200600_302600_NS5tupleIblNS6_9null_typeES8_S8_S8_S8_S8_S8_S8_EEEEZNS1_11reduce_implILb1ES3_NS6_12zip_iteratorINS7_INS6_11hip_rocprim26transform_input_iterator_tIbPKhN2at6native10EqualsModeEEENSD_19counting_iterator_tIlEES8_S8_S8_S8_S8_S8_S8_S8_EEEEPS9_S9_NSD_9__find_if7functorIS9_EEEE10hipError_tPvRmT1_T2_T3_mT4_P12ihipStream_tbEUlT_E0_NS1_11comp_targetILNS1_3genE3ELNS1_11target_archE908ELNS1_3gpuE7ELNS1_3repE0EEENS1_30default_config_static_selectorELNS0_4arch9wavefront6targetE1EEEvSW_.num_agpr, 0
	.set _ZN7rocprim17ROCPRIM_400000_NS6detail17trampoline_kernelINS0_14default_configENS1_22reduce_config_selectorIN6thrust23THRUST_200600_302600_NS5tupleIblNS6_9null_typeES8_S8_S8_S8_S8_S8_S8_EEEEZNS1_11reduce_implILb1ES3_NS6_12zip_iteratorINS7_INS6_11hip_rocprim26transform_input_iterator_tIbPKhN2at6native10EqualsModeEEENSD_19counting_iterator_tIlEES8_S8_S8_S8_S8_S8_S8_S8_EEEEPS9_S9_NSD_9__find_if7functorIS9_EEEE10hipError_tPvRmT1_T2_T3_mT4_P12ihipStream_tbEUlT_E0_NS1_11comp_targetILNS1_3genE3ELNS1_11target_archE908ELNS1_3gpuE7ELNS1_3repE0EEENS1_30default_config_static_selectorELNS0_4arch9wavefront6targetE1EEEvSW_.numbered_sgpr, 0
	.set _ZN7rocprim17ROCPRIM_400000_NS6detail17trampoline_kernelINS0_14default_configENS1_22reduce_config_selectorIN6thrust23THRUST_200600_302600_NS5tupleIblNS6_9null_typeES8_S8_S8_S8_S8_S8_S8_EEEEZNS1_11reduce_implILb1ES3_NS6_12zip_iteratorINS7_INS6_11hip_rocprim26transform_input_iterator_tIbPKhN2at6native10EqualsModeEEENSD_19counting_iterator_tIlEES8_S8_S8_S8_S8_S8_S8_S8_EEEEPS9_S9_NSD_9__find_if7functorIS9_EEEE10hipError_tPvRmT1_T2_T3_mT4_P12ihipStream_tbEUlT_E0_NS1_11comp_targetILNS1_3genE3ELNS1_11target_archE908ELNS1_3gpuE7ELNS1_3repE0EEENS1_30default_config_static_selectorELNS0_4arch9wavefront6targetE1EEEvSW_.num_named_barrier, 0
	.set _ZN7rocprim17ROCPRIM_400000_NS6detail17trampoline_kernelINS0_14default_configENS1_22reduce_config_selectorIN6thrust23THRUST_200600_302600_NS5tupleIblNS6_9null_typeES8_S8_S8_S8_S8_S8_S8_EEEEZNS1_11reduce_implILb1ES3_NS6_12zip_iteratorINS7_INS6_11hip_rocprim26transform_input_iterator_tIbPKhN2at6native10EqualsModeEEENSD_19counting_iterator_tIlEES8_S8_S8_S8_S8_S8_S8_S8_EEEEPS9_S9_NSD_9__find_if7functorIS9_EEEE10hipError_tPvRmT1_T2_T3_mT4_P12ihipStream_tbEUlT_E0_NS1_11comp_targetILNS1_3genE3ELNS1_11target_archE908ELNS1_3gpuE7ELNS1_3repE0EEENS1_30default_config_static_selectorELNS0_4arch9wavefront6targetE1EEEvSW_.private_seg_size, 0
	.set _ZN7rocprim17ROCPRIM_400000_NS6detail17trampoline_kernelINS0_14default_configENS1_22reduce_config_selectorIN6thrust23THRUST_200600_302600_NS5tupleIblNS6_9null_typeES8_S8_S8_S8_S8_S8_S8_EEEEZNS1_11reduce_implILb1ES3_NS6_12zip_iteratorINS7_INS6_11hip_rocprim26transform_input_iterator_tIbPKhN2at6native10EqualsModeEEENSD_19counting_iterator_tIlEES8_S8_S8_S8_S8_S8_S8_S8_EEEEPS9_S9_NSD_9__find_if7functorIS9_EEEE10hipError_tPvRmT1_T2_T3_mT4_P12ihipStream_tbEUlT_E0_NS1_11comp_targetILNS1_3genE3ELNS1_11target_archE908ELNS1_3gpuE7ELNS1_3repE0EEENS1_30default_config_static_selectorELNS0_4arch9wavefront6targetE1EEEvSW_.uses_vcc, 0
	.set _ZN7rocprim17ROCPRIM_400000_NS6detail17trampoline_kernelINS0_14default_configENS1_22reduce_config_selectorIN6thrust23THRUST_200600_302600_NS5tupleIblNS6_9null_typeES8_S8_S8_S8_S8_S8_S8_EEEEZNS1_11reduce_implILb1ES3_NS6_12zip_iteratorINS7_INS6_11hip_rocprim26transform_input_iterator_tIbPKhN2at6native10EqualsModeEEENSD_19counting_iterator_tIlEES8_S8_S8_S8_S8_S8_S8_S8_EEEEPS9_S9_NSD_9__find_if7functorIS9_EEEE10hipError_tPvRmT1_T2_T3_mT4_P12ihipStream_tbEUlT_E0_NS1_11comp_targetILNS1_3genE3ELNS1_11target_archE908ELNS1_3gpuE7ELNS1_3repE0EEENS1_30default_config_static_selectorELNS0_4arch9wavefront6targetE1EEEvSW_.uses_flat_scratch, 0
	.set _ZN7rocprim17ROCPRIM_400000_NS6detail17trampoline_kernelINS0_14default_configENS1_22reduce_config_selectorIN6thrust23THRUST_200600_302600_NS5tupleIblNS6_9null_typeES8_S8_S8_S8_S8_S8_S8_EEEEZNS1_11reduce_implILb1ES3_NS6_12zip_iteratorINS7_INS6_11hip_rocprim26transform_input_iterator_tIbPKhN2at6native10EqualsModeEEENSD_19counting_iterator_tIlEES8_S8_S8_S8_S8_S8_S8_S8_EEEEPS9_S9_NSD_9__find_if7functorIS9_EEEE10hipError_tPvRmT1_T2_T3_mT4_P12ihipStream_tbEUlT_E0_NS1_11comp_targetILNS1_3genE3ELNS1_11target_archE908ELNS1_3gpuE7ELNS1_3repE0EEENS1_30default_config_static_selectorELNS0_4arch9wavefront6targetE1EEEvSW_.has_dyn_sized_stack, 0
	.set _ZN7rocprim17ROCPRIM_400000_NS6detail17trampoline_kernelINS0_14default_configENS1_22reduce_config_selectorIN6thrust23THRUST_200600_302600_NS5tupleIblNS6_9null_typeES8_S8_S8_S8_S8_S8_S8_EEEEZNS1_11reduce_implILb1ES3_NS6_12zip_iteratorINS7_INS6_11hip_rocprim26transform_input_iterator_tIbPKhN2at6native10EqualsModeEEENSD_19counting_iterator_tIlEES8_S8_S8_S8_S8_S8_S8_S8_EEEEPS9_S9_NSD_9__find_if7functorIS9_EEEE10hipError_tPvRmT1_T2_T3_mT4_P12ihipStream_tbEUlT_E0_NS1_11comp_targetILNS1_3genE3ELNS1_11target_archE908ELNS1_3gpuE7ELNS1_3repE0EEENS1_30default_config_static_selectorELNS0_4arch9wavefront6targetE1EEEvSW_.has_recursion, 0
	.set _ZN7rocprim17ROCPRIM_400000_NS6detail17trampoline_kernelINS0_14default_configENS1_22reduce_config_selectorIN6thrust23THRUST_200600_302600_NS5tupleIblNS6_9null_typeES8_S8_S8_S8_S8_S8_S8_EEEEZNS1_11reduce_implILb1ES3_NS6_12zip_iteratorINS7_INS6_11hip_rocprim26transform_input_iterator_tIbPKhN2at6native10EqualsModeEEENSD_19counting_iterator_tIlEES8_S8_S8_S8_S8_S8_S8_S8_EEEEPS9_S9_NSD_9__find_if7functorIS9_EEEE10hipError_tPvRmT1_T2_T3_mT4_P12ihipStream_tbEUlT_E0_NS1_11comp_targetILNS1_3genE3ELNS1_11target_archE908ELNS1_3gpuE7ELNS1_3repE0EEENS1_30default_config_static_selectorELNS0_4arch9wavefront6targetE1EEEvSW_.has_indirect_call, 0
	.section	.AMDGPU.csdata,"",@progbits
; Kernel info:
; codeLenInByte = 0
; TotalNumSgprs: 4
; NumVgprs: 0
; ScratchSize: 0
; MemoryBound: 0
; FloatMode: 240
; IeeeMode: 1
; LDSByteSize: 0 bytes/workgroup (compile time only)
; SGPRBlocks: 0
; VGPRBlocks: 0
; NumSGPRsForWavesPerEU: 4
; NumVGPRsForWavesPerEU: 1
; Occupancy: 10
; WaveLimiterHint : 0
; COMPUTE_PGM_RSRC2:SCRATCH_EN: 0
; COMPUTE_PGM_RSRC2:USER_SGPR: 6
; COMPUTE_PGM_RSRC2:TRAP_HANDLER: 0
; COMPUTE_PGM_RSRC2:TGID_X_EN: 1
; COMPUTE_PGM_RSRC2:TGID_Y_EN: 0
; COMPUTE_PGM_RSRC2:TGID_Z_EN: 0
; COMPUTE_PGM_RSRC2:TIDIG_COMP_CNT: 0
	.section	.text._ZN7rocprim17ROCPRIM_400000_NS6detail17trampoline_kernelINS0_14default_configENS1_22reduce_config_selectorIN6thrust23THRUST_200600_302600_NS5tupleIblNS6_9null_typeES8_S8_S8_S8_S8_S8_S8_EEEEZNS1_11reduce_implILb1ES3_NS6_12zip_iteratorINS7_INS6_11hip_rocprim26transform_input_iterator_tIbPKhN2at6native10EqualsModeEEENSD_19counting_iterator_tIlEES8_S8_S8_S8_S8_S8_S8_S8_EEEEPS9_S9_NSD_9__find_if7functorIS9_EEEE10hipError_tPvRmT1_T2_T3_mT4_P12ihipStream_tbEUlT_E0_NS1_11comp_targetILNS1_3genE2ELNS1_11target_archE906ELNS1_3gpuE6ELNS1_3repE0EEENS1_30default_config_static_selectorELNS0_4arch9wavefront6targetE1EEEvSW_,"axG",@progbits,_ZN7rocprim17ROCPRIM_400000_NS6detail17trampoline_kernelINS0_14default_configENS1_22reduce_config_selectorIN6thrust23THRUST_200600_302600_NS5tupleIblNS6_9null_typeES8_S8_S8_S8_S8_S8_S8_EEEEZNS1_11reduce_implILb1ES3_NS6_12zip_iteratorINS7_INS6_11hip_rocprim26transform_input_iterator_tIbPKhN2at6native10EqualsModeEEENSD_19counting_iterator_tIlEES8_S8_S8_S8_S8_S8_S8_S8_EEEEPS9_S9_NSD_9__find_if7functorIS9_EEEE10hipError_tPvRmT1_T2_T3_mT4_P12ihipStream_tbEUlT_E0_NS1_11comp_targetILNS1_3genE2ELNS1_11target_archE906ELNS1_3gpuE6ELNS1_3repE0EEENS1_30default_config_static_selectorELNS0_4arch9wavefront6targetE1EEEvSW_,comdat
	.protected	_ZN7rocprim17ROCPRIM_400000_NS6detail17trampoline_kernelINS0_14default_configENS1_22reduce_config_selectorIN6thrust23THRUST_200600_302600_NS5tupleIblNS6_9null_typeES8_S8_S8_S8_S8_S8_S8_EEEEZNS1_11reduce_implILb1ES3_NS6_12zip_iteratorINS7_INS6_11hip_rocprim26transform_input_iterator_tIbPKhN2at6native10EqualsModeEEENSD_19counting_iterator_tIlEES8_S8_S8_S8_S8_S8_S8_S8_EEEEPS9_S9_NSD_9__find_if7functorIS9_EEEE10hipError_tPvRmT1_T2_T3_mT4_P12ihipStream_tbEUlT_E0_NS1_11comp_targetILNS1_3genE2ELNS1_11target_archE906ELNS1_3gpuE6ELNS1_3repE0EEENS1_30default_config_static_selectorELNS0_4arch9wavefront6targetE1EEEvSW_ ; -- Begin function _ZN7rocprim17ROCPRIM_400000_NS6detail17trampoline_kernelINS0_14default_configENS1_22reduce_config_selectorIN6thrust23THRUST_200600_302600_NS5tupleIblNS6_9null_typeES8_S8_S8_S8_S8_S8_S8_EEEEZNS1_11reduce_implILb1ES3_NS6_12zip_iteratorINS7_INS6_11hip_rocprim26transform_input_iterator_tIbPKhN2at6native10EqualsModeEEENSD_19counting_iterator_tIlEES8_S8_S8_S8_S8_S8_S8_S8_EEEEPS9_S9_NSD_9__find_if7functorIS9_EEEE10hipError_tPvRmT1_T2_T3_mT4_P12ihipStream_tbEUlT_E0_NS1_11comp_targetILNS1_3genE2ELNS1_11target_archE906ELNS1_3gpuE6ELNS1_3repE0EEENS1_30default_config_static_selectorELNS0_4arch9wavefront6targetE1EEEvSW_
	.globl	_ZN7rocprim17ROCPRIM_400000_NS6detail17trampoline_kernelINS0_14default_configENS1_22reduce_config_selectorIN6thrust23THRUST_200600_302600_NS5tupleIblNS6_9null_typeES8_S8_S8_S8_S8_S8_S8_EEEEZNS1_11reduce_implILb1ES3_NS6_12zip_iteratorINS7_INS6_11hip_rocprim26transform_input_iterator_tIbPKhN2at6native10EqualsModeEEENSD_19counting_iterator_tIlEES8_S8_S8_S8_S8_S8_S8_S8_EEEEPS9_S9_NSD_9__find_if7functorIS9_EEEE10hipError_tPvRmT1_T2_T3_mT4_P12ihipStream_tbEUlT_E0_NS1_11comp_targetILNS1_3genE2ELNS1_11target_archE906ELNS1_3gpuE6ELNS1_3repE0EEENS1_30default_config_static_selectorELNS0_4arch9wavefront6targetE1EEEvSW_
	.p2align	8
	.type	_ZN7rocprim17ROCPRIM_400000_NS6detail17trampoline_kernelINS0_14default_configENS1_22reduce_config_selectorIN6thrust23THRUST_200600_302600_NS5tupleIblNS6_9null_typeES8_S8_S8_S8_S8_S8_S8_EEEEZNS1_11reduce_implILb1ES3_NS6_12zip_iteratorINS7_INS6_11hip_rocprim26transform_input_iterator_tIbPKhN2at6native10EqualsModeEEENSD_19counting_iterator_tIlEES8_S8_S8_S8_S8_S8_S8_S8_EEEEPS9_S9_NSD_9__find_if7functorIS9_EEEE10hipError_tPvRmT1_T2_T3_mT4_P12ihipStream_tbEUlT_E0_NS1_11comp_targetILNS1_3genE2ELNS1_11target_archE906ELNS1_3gpuE6ELNS1_3repE0EEENS1_30default_config_static_selectorELNS0_4arch9wavefront6targetE1EEEvSW_,@function
_ZN7rocprim17ROCPRIM_400000_NS6detail17trampoline_kernelINS0_14default_configENS1_22reduce_config_selectorIN6thrust23THRUST_200600_302600_NS5tupleIblNS6_9null_typeES8_S8_S8_S8_S8_S8_S8_EEEEZNS1_11reduce_implILb1ES3_NS6_12zip_iteratorINS7_INS6_11hip_rocprim26transform_input_iterator_tIbPKhN2at6native10EqualsModeEEENSD_19counting_iterator_tIlEES8_S8_S8_S8_S8_S8_S8_S8_EEEEPS9_S9_NSD_9__find_if7functorIS9_EEEE10hipError_tPvRmT1_T2_T3_mT4_P12ihipStream_tbEUlT_E0_NS1_11comp_targetILNS1_3genE2ELNS1_11target_archE906ELNS1_3gpuE6ELNS1_3repE0EEENS1_30default_config_static_selectorELNS0_4arch9wavefront6targetE1EEEvSW_: ; @_ZN7rocprim17ROCPRIM_400000_NS6detail17trampoline_kernelINS0_14default_configENS1_22reduce_config_selectorIN6thrust23THRUST_200600_302600_NS5tupleIblNS6_9null_typeES8_S8_S8_S8_S8_S8_S8_EEEEZNS1_11reduce_implILb1ES3_NS6_12zip_iteratorINS7_INS6_11hip_rocprim26transform_input_iterator_tIbPKhN2at6native10EqualsModeEEENSD_19counting_iterator_tIlEES8_S8_S8_S8_S8_S8_S8_S8_EEEEPS9_S9_NSD_9__find_if7functorIS9_EEEE10hipError_tPvRmT1_T2_T3_mT4_P12ihipStream_tbEUlT_E0_NS1_11comp_targetILNS1_3genE2ELNS1_11target_archE906ELNS1_3gpuE6ELNS1_3repE0EEENS1_30default_config_static_selectorELNS0_4arch9wavefront6targetE1EEEvSW_
; %bb.0:
	s_load_dwordx8 s[12:19], s[4:5], 0x10
	s_load_dwordx2 s[0:1], s[4:5], 0x0
	s_load_dword s26, s[4:5], 0x8
	s_load_dwordx4 s[20:23], s[4:5], 0x30
	s_mov_b32 s7, 0
	v_mbcnt_lo_u32_b32 v8, -1, 0
	s_waitcnt lgkmcnt(0)
	s_add_u32 s2, s0, s14
	s_addc_u32 s3, s1, s15
	s_lshl_b32 s27, s6, 8
	s_lshr_b64 s[0:1], s[16:17], 8
	s_add_u32 s24, s2, s27
	s_addc_u32 s25, s3, 0
	s_add_u32 s2, s12, s27
	s_addc_u32 s3, s13, 0
	;; [unrolled: 2-line block ×3, first 2 shown]
	s_cmp_lg_u64 s[0:1], s[6:7]
	s_cbranch_scc0 .LBB58_10
; %bb.1:
	global_load_ubyte v1, v0, s[24:25]
	global_load_ubyte v2, v0, s[24:25] offset:128
	v_mov_b32_e32 v4, s15
	v_add_co_u32_e32 v7, vcc, s14, v0
	v_addc_co_u32_e32 v4, vcc, 0, v4, vcc
	v_add_co_u32_e32 v9, vcc, 0x80, v7
	v_addc_co_u32_e32 v10, vcc, 0, v4, vcc
	v_mov_b32_e32 v6, 0
	s_and_b32 s2, s26, 0xff
	v_mbcnt_hi_u32_b32 v3, -1, v8
	v_lshlrev_b32_e32 v5, 2, v3
	v_or_b32_e32 v11, 0xfc, v5
	s_waitcnt vmcnt(1)
	v_cmp_ne_u16_e32 vcc, 0, v1
	v_cndmask_b32_e64 v1, 0, 1, vcc
	s_waitcnt vmcnt(0)
	v_cmp_ne_u16_sdwa s[0:1], v2, v6 src0_sel:BYTE_0 src1_sel:DWORD
	v_cndmask_b32_e64 v2, 0, 1, s[0:1]
	v_cmp_eq_u16_e64 s[0:1], s2, v1
	v_cmp_eq_u16_e32 vcc, s2, v2
	v_cndmask_b32_e64 v2, v10, v4, s[0:1]
	v_cndmask_b32_e64 v1, v9, v7, s[0:1]
	s_or_b64 s[0:1], s[0:1], vcc
	v_mov_b32_dpp v7, v2 quad_perm:[1,0,3,2] row_mask:0xf bank_mask:0xf bound_ctrl:1
	v_mov_b32_dpp v6, v1 quad_perm:[1,0,3,2] row_mask:0xf bank_mask:0xf bound_ctrl:1
	v_cndmask_b32_e64 v4, 0, 1, s[0:1]
	v_cmp_lt_i64_e32 vcc, v[1:2], v[6:7]
	s_and_b64 vcc, s[0:1], vcc
	v_mov_b32_dpp v9, v4 quad_perm:[1,0,3,2] row_mask:0xf bank_mask:0xf bound_ctrl:1
	v_and_b32_e32 v9, 1, v9
	v_cndmask_b32_e32 v6, v6, v1, vcc
	v_cndmask_b32_e32 v7, v7, v2, vcc
	v_cmp_eq_u32_e32 vcc, 1, v9
	v_cndmask_b32_e32 v2, v2, v7, vcc
	v_cndmask_b32_e32 v1, v1, v6, vcc
	v_cndmask_b32_e64 v4, v4, 1, vcc
	v_mov_b32_dpp v7, v2 quad_perm:[2,3,0,1] row_mask:0xf bank_mask:0xf bound_ctrl:1
	v_mov_b32_dpp v6, v1 quad_perm:[2,3,0,1] row_mask:0xf bank_mask:0xf bound_ctrl:1
	v_and_b32_e32 v10, 1, v4
	v_cmp_lt_i64_e64 s[0:1], v[1:2], v[6:7]
	v_mov_b32_dpp v9, v4 quad_perm:[2,3,0,1] row_mask:0xf bank_mask:0xf bound_ctrl:1
	v_cmp_eq_u32_e32 vcc, 1, v10
	v_and_b32_e32 v9, 1, v9
	s_and_b64 vcc, vcc, s[0:1]
	v_cmp_eq_u32_e64 s[2:3], 1, v9
	v_cndmask_b32_e32 v6, v6, v1, vcc
	v_cndmask_b32_e32 v7, v7, v2, vcc
	v_cndmask_b32_e64 v1, v1, v6, s[2:3]
	v_cndmask_b32_e64 v2, v2, v7, s[2:3]
	;; [unrolled: 1-line block ×3, first 2 shown]
	v_mov_b32_dpp v6, v1 row_ror:4 row_mask:0xf bank_mask:0xf bound_ctrl:1
	v_mov_b32_dpp v7, v2 row_ror:4 row_mask:0xf bank_mask:0xf bound_ctrl:1
	v_and_b32_e32 v10, 1, v4
	v_cmp_lt_i64_e64 s[2:3], v[1:2], v[6:7]
	v_mov_b32_dpp v9, v4 row_ror:4 row_mask:0xf bank_mask:0xf bound_ctrl:1
	v_cmp_eq_u32_e32 vcc, 1, v10
	v_and_b32_e32 v9, 1, v9
	s_and_b64 vcc, vcc, s[2:3]
	v_cmp_eq_u32_e64 s[0:1], 1, v9
	v_cndmask_b32_e32 v6, v6, v1, vcc
	v_cndmask_b32_e32 v7, v7, v2, vcc
	v_cndmask_b32_e64 v1, v1, v6, s[0:1]
	v_cndmask_b32_e64 v2, v2, v7, s[0:1]
	;; [unrolled: 1-line block ×3, first 2 shown]
	v_mov_b32_dpp v6, v1 row_ror:8 row_mask:0xf bank_mask:0xf bound_ctrl:1
	v_mov_b32_dpp v7, v2 row_ror:8 row_mask:0xf bank_mask:0xf bound_ctrl:1
	v_and_b32_e32 v10, 1, v4
	v_cmp_lt_i64_e64 s[2:3], v[1:2], v[6:7]
	v_mov_b32_dpp v9, v4 row_ror:8 row_mask:0xf bank_mask:0xf bound_ctrl:1
	v_cmp_eq_u32_e64 s[8:9], 1, v10
	v_and_b32_e32 v9, 1, v9
	s_and_b64 s[2:3], s[8:9], s[2:3]
	v_cmp_eq_u32_e64 s[10:11], 1, v9
	v_cndmask_b32_e64 v6, v6, v1, s[2:3]
	v_cndmask_b32_e64 v7, v7, v2, s[2:3]
	;; [unrolled: 1-line block ×5, first 2 shown]
	v_mov_b32_dpp v9, v4 row_bcast:15 row_mask:0xf bank_mask:0xf bound_ctrl:1
	v_mov_b32_dpp v6, v1 row_bcast:15 row_mask:0xf bank_mask:0xf bound_ctrl:1
	v_mov_b32_dpp v7, v2 row_bcast:15 row_mask:0xf bank_mask:0xf bound_ctrl:1
	v_and_b32_e32 v10, 1, v4
	v_and_b32_e32 v9, 1, v9
	v_cmp_lt_i64_e64 s[2:3], v[1:2], v[6:7]
	v_cmp_eq_u32_e32 vcc, 1, v10
	v_cmp_eq_u32_e64 s[0:1], 1, v9
	v_cndmask_b32_e64 v4, v4, 1, s[0:1]
	s_and_b64 vcc, vcc, s[2:3]
	v_cndmask_b32_e32 v6, v6, v1, vcc
	v_mov_b32_dpp v9, v4 row_bcast:31 row_mask:0xf bank_mask:0xf bound_ctrl:1
	v_cndmask_b32_e32 v7, v7, v2, vcc
	v_and_b32_e32 v10, 1, v4
	v_and_b32_e32 v9, 1, v9
	v_cndmask_b32_e64 v1, v1, v6, s[0:1]
	v_cndmask_b32_e64 v2, v2, v7, s[0:1]
	v_cmp_eq_u32_e64 s[12:13], 1, v10
	v_cmp_eq_u32_e64 s[8:9], 1, v9
	v_mov_b32_dpp v9, v1 row_bcast:31 row_mask:0xf bank_mask:0xf bound_ctrl:1
	v_mov_b32_dpp v10, v2 row_bcast:31 row_mask:0xf bank_mask:0xf bound_ctrl:1
	v_cmp_lt_i64_e32 vcc, v[1:2], v[9:10]
	v_cndmask_b32_e64 v4, v4, 1, s[8:9]
	s_and_b64 vcc, s[12:13], vcc
	ds_bpermute_b32 v7, v11, v4
	v_cndmask_b32_e32 v4, v9, v1, vcc
	v_cndmask_b32_e32 v6, v10, v2, vcc
	v_cndmask_b32_e64 v1, v1, v4, s[8:9]
	v_cndmask_b32_e64 v2, v2, v6, s[8:9]
	ds_bpermute_b32 v1, v11, v1
	ds_bpermute_b32 v2, v11, v2
	v_cmp_eq_u32_e32 vcc, 0, v3
	s_and_saveexec_b64 s[0:1], vcc
	s_cbranch_execz .LBB58_3
; %bb.2:
	v_lshrrev_b32_e32 v4, 2, v0
	v_and_b32_e32 v4, 16, v4
	s_waitcnt lgkmcnt(2)
	ds_write_b8 v4, v7
	s_waitcnt lgkmcnt(1)
	ds_write_b64 v4, v[1:2] offset:8
.LBB58_3:
	s_or_b64 exec, exec, s[0:1]
	v_cmp_gt_u32_e32 vcc, 64, v0
	s_waitcnt lgkmcnt(0)
	s_barrier
	s_and_saveexec_b64 s[0:1], vcc
	s_cbranch_execz .LBB58_9
; %bb.4:
	v_and_b32_e32 v1, 1, v3
	v_lshlrev_b32_e32 v1, 4, v1
	ds_read_u8 v9, v1
	ds_read_b64 v[3:4], v1 offset:8
	v_or_b32_e32 v2, 4, v5
	s_waitcnt lgkmcnt(1)
	v_and_b32_e32 v1, 0xff, v9
	ds_bpermute_b32 v10, v2, v1
	s_waitcnt lgkmcnt(1)
	ds_bpermute_b32 v5, v2, v3
	ds_bpermute_b32 v6, v2, v4
	s_waitcnt lgkmcnt(2)
	v_and_b32_e32 v1, v9, v10
	v_and_b32_e32 v1, 1, v1
	v_cmp_eq_u32_e32 vcc, 1, v1
                                        ; implicit-def: $vgpr1_vgpr2
	s_and_saveexec_b64 s[2:3], vcc
	s_xor_b64 s[2:3], exec, s[2:3]
	s_cbranch_execz .LBB58_6
; %bb.5:
	s_waitcnt lgkmcnt(0)
	v_cmp_lt_i64_e32 vcc, v[5:6], v[3:4]
                                        ; implicit-def: $vgpr9
                                        ; implicit-def: $vgpr10
	v_cndmask_b32_e32 v2, v4, v6, vcc
	v_cndmask_b32_e32 v1, v3, v5, vcc
                                        ; implicit-def: $vgpr5_vgpr6
                                        ; implicit-def: $vgpr3_vgpr4
.LBB58_6:
	s_or_saveexec_b64 s[2:3], s[2:3]
	v_mov_b32_e32 v7, 1
	s_xor_b64 exec, exec, s[2:3]
	s_cbranch_execz .LBB58_8
; %bb.7:
	v_and_b32_e32 v1, 1, v9
	v_cmp_eq_u32_e32 vcc, 1, v1
	s_waitcnt lgkmcnt(0)
	v_cndmask_b32_e32 v2, v6, v4, vcc
	v_cndmask_b32_e32 v1, v5, v3, vcc
	v_cndmask_b32_e64 v7, v10, 1, vcc
.LBB58_8:
	s_or_b64 exec, exec, s[2:3]
.LBB58_9:
	s_or_b64 exec, exec, s[0:1]
	s_load_dword s10, s[4:5], 0x40
	s_load_dwordx2 s[8:9], s[4:5], 0x48
	s_branch .LBB58_62
.LBB58_10:
                                        ; implicit-def: $vgpr1_vgpr2
                                        ; implicit-def: $vgpr7
	s_load_dword s10, s[4:5], 0x40
	s_load_dwordx2 s[8:9], s[4:5], 0x48
	s_cbranch_execz .LBB58_62
; %bb.11:
	s_sub_i32 s11, s16, s27
	v_mov_b32_e32 v3, 0
	v_mov_b32_e32 v1, 0
	v_cmp_gt_u32_e32 vcc, s11, v0
	s_waitcnt lgkmcnt(0)
	v_mov_b32_e32 v5, 0
	v_mov_b32_e32 v4, 0
	;; [unrolled: 1-line block ×4, first 2 shown]
	s_and_saveexec_b64 s[0:1], vcc
	s_cbranch_execz .LBB58_13
; %bb.12:
	global_load_ubyte v6, v0, s[24:25]
	v_mov_b32_e32 v2, s15
	v_add_co_u32_e32 v1, vcc, s14, v0
	v_addc_co_u32_e32 v2, vcc, 0, v2, vcc
	s_and_b32 s2, s26, 0xff
	s_waitcnt vmcnt(0)
	v_cmp_ne_u16_e32 vcc, 0, v6
	v_cndmask_b32_e64 v6, 0, 1, vcc
	v_cmp_eq_u16_e32 vcc, s2, v6
	v_cndmask_b32_e64 v6, 0, 1, vcc
.LBB58_13:
	s_or_b64 exec, exec, s[0:1]
	v_or_b32_e32 v7, 0x80, v0
	v_cmp_gt_u32_e32 vcc, s11, v7
	s_and_saveexec_b64 s[2:3], vcc
	s_cbranch_execz .LBB58_15
; %bb.14:
	global_load_ubyte v5, v0, s[24:25] offset:128
	v_mov_b32_e32 v4, s15
	v_add_co_u32_e64 v3, s[0:1], s14, v7
	v_addc_co_u32_e64 v4, s[0:1], 0, v4, s[0:1]
	s_and_b32 s4, s26, 0xff
	s_waitcnt vmcnt(0)
	v_cmp_ne_u16_e64 s[0:1], 0, v5
	v_cndmask_b32_e64 v5, 0, 1, s[0:1]
	v_cmp_eq_u16_e64 s[0:1], s4, v5
	v_cndmask_b32_e64 v5, 0, 1, s[0:1]
.LBB58_15:
	s_or_b64 exec, exec, s[2:3]
	v_and_b32_e32 v9, 0xffff, v5
	v_and_b32_e32 v5, 1, v5
	v_cmp_eq_u32_e64 s[0:1], 1, v5
	v_and_b32_e32 v5, 1, v6
	v_cmp_lt_i64_e64 s[2:3], v[3:4], v[1:2]
	v_cmp_eq_u32_e64 s[4:5], 1, v5
	v_and_b32_e32 v7, 0xffff, v6
	v_cndmask_b32_e64 v5, v9, 1, s[4:5]
	s_and_b64 s[0:1], s[0:1], s[2:3]
	v_cndmask_b32_e64 v6, v2, v4, s[0:1]
	v_cndmask_b32_e64 v9, v1, v3, s[0:1]
	v_cndmask_b32_e32 v7, v7, v5, vcc
	v_mbcnt_hi_u32_b32 v5, -1, v8
	v_cndmask_b32_e64 v3, v3, v9, s[4:5]
	v_cndmask_b32_e64 v4, v4, v6, s[4:5]
	v_and_b32_e32 v6, 63, v5
	v_cndmask_b32_e32 v2, v2, v4, vcc
	v_cndmask_b32_e32 v1, v1, v3, vcc
	v_cmp_ne_u32_e32 vcc, 63, v6
	v_addc_co_u32_e32 v3, vcc, 0, v5, vcc
	v_lshlrev_b32_e32 v4, 2, v3
	ds_bpermute_b32 v9, v4, v7
	ds_bpermute_b32 v3, v4, v1
	;; [unrolled: 1-line block ×3, first 2 shown]
	s_min_u32 s4, s11, 0x80
	v_and_b32_e32 v8, 64, v0
	v_sub_u32_e64 v8, s4, v8 clamp
	v_add_u32_e32 v10, 1, v6
	v_cmp_lt_u32_e32 vcc, v10, v8
	s_and_saveexec_b64 s[0:1], vcc
	s_cbranch_execz .LBB58_21
; %bb.16:
	s_waitcnt lgkmcnt(2)
	v_and_b32_e32 v10, v9, v7
	v_cmp_ne_u32_e32 vcc, 0, v10
	s_and_saveexec_b64 s[2:3], vcc
	s_xor_b64 s[2:3], exec, s[2:3]
	s_cbranch_execz .LBB58_18
; %bb.17:
	s_waitcnt lgkmcnt(0)
	v_cmp_lt_i64_e32 vcc, v[3:4], v[1:2]
                                        ; implicit-def: $vgpr7
                                        ; implicit-def: $vgpr9
	v_cndmask_b32_e32 v2, v2, v4, vcc
	v_cndmask_b32_e32 v1, v1, v3, vcc
                                        ; implicit-def: $vgpr3_vgpr4
.LBB58_18:
	s_or_saveexec_b64 s[2:3], s[2:3]
	v_mov_b32_e32 v10, 1
	s_xor_b64 exec, exec, s[2:3]
	s_cbranch_execz .LBB58_20
; %bb.19:
	v_and_b32_e32 v7, 1, v7
	v_cmp_eq_u32_e32 vcc, 1, v7
	s_waitcnt lgkmcnt(1)
	v_cndmask_b32_e32 v1, v3, v1, vcc
	v_and_b32_e32 v3, 0xff, v9
	s_waitcnt lgkmcnt(0)
	v_cndmask_b32_e32 v2, v4, v2, vcc
	v_cndmask_b32_e64 v10, v3, 1, vcc
.LBB58_20:
	s_or_b64 exec, exec, s[2:3]
	v_mov_b32_e32 v7, v10
.LBB58_21:
	s_or_b64 exec, exec, s[0:1]
	v_cmp_gt_u32_e32 vcc, 62, v6
	s_waitcnt lgkmcnt(1)
	v_cndmask_b32_e64 v3, 0, 2, vcc
	s_waitcnt lgkmcnt(0)
	v_add_lshl_u32 v4, v3, v5, 2
	ds_bpermute_b32 v9, v4, v7
	ds_bpermute_b32 v3, v4, v1
	ds_bpermute_b32 v4, v4, v2
	v_add_u32_e32 v10, 2, v6
	v_cmp_lt_u32_e32 vcc, v10, v8
	s_and_saveexec_b64 s[0:1], vcc
	s_cbranch_execz .LBB58_27
; %bb.22:
	s_waitcnt lgkmcnt(2)
	v_and_b32_e32 v10, v7, v9
	v_and_b32_e32 v10, 1, v10
	v_cmp_eq_u32_e32 vcc, 1, v10
	s_and_saveexec_b64 s[2:3], vcc
	s_xor_b64 s[2:3], exec, s[2:3]
	s_cbranch_execz .LBB58_24
; %bb.23:
	s_waitcnt lgkmcnt(0)
	v_cmp_lt_i64_e32 vcc, v[3:4], v[1:2]
                                        ; implicit-def: $vgpr7
                                        ; implicit-def: $vgpr9
	v_cndmask_b32_e32 v2, v2, v4, vcc
	v_cndmask_b32_e32 v1, v1, v3, vcc
                                        ; implicit-def: $vgpr3_vgpr4
.LBB58_24:
	s_or_saveexec_b64 s[2:3], s[2:3]
	v_mov_b32_e32 v10, 1
	s_xor_b64 exec, exec, s[2:3]
	s_cbranch_execz .LBB58_26
; %bb.25:
	v_and_b32_e32 v7, 1, v7
	v_cmp_eq_u32_e32 vcc, 1, v7
	s_waitcnt lgkmcnt(1)
	v_cndmask_b32_e32 v1, v3, v1, vcc
	v_and_b32_e32 v3, 0xff, v9
	s_waitcnt lgkmcnt(0)
	v_cndmask_b32_e32 v2, v4, v2, vcc
	v_cndmask_b32_e64 v10, v3, 1, vcc
.LBB58_26:
	s_or_b64 exec, exec, s[2:3]
	v_mov_b32_e32 v7, v10
.LBB58_27:
	s_or_b64 exec, exec, s[0:1]
	v_cmp_gt_u32_e32 vcc, 60, v6
	s_waitcnt lgkmcnt(1)
	v_cndmask_b32_e64 v3, 0, 4, vcc
	s_waitcnt lgkmcnt(0)
	v_add_lshl_u32 v4, v3, v5, 2
	ds_bpermute_b32 v9, v4, v7
	ds_bpermute_b32 v3, v4, v1
	ds_bpermute_b32 v4, v4, v2
	v_add_u32_e32 v10, 4, v6
	v_cmp_lt_u32_e32 vcc, v10, v8
	s_and_saveexec_b64 s[0:1], vcc
	s_cbranch_execz .LBB58_33
; %bb.28:
	s_waitcnt lgkmcnt(2)
	v_and_b32_e32 v10, v7, v9
	v_and_b32_e32 v10, 1, v10
	v_cmp_eq_u32_e32 vcc, 1, v10
	s_and_saveexec_b64 s[2:3], vcc
	s_xor_b64 s[2:3], exec, s[2:3]
	s_cbranch_execz .LBB58_30
; %bb.29:
	s_waitcnt lgkmcnt(0)
	v_cmp_lt_i64_e32 vcc, v[3:4], v[1:2]
                                        ; implicit-def: $vgpr7
                                        ; implicit-def: $vgpr9
	v_cndmask_b32_e32 v2, v2, v4, vcc
	v_cndmask_b32_e32 v1, v1, v3, vcc
                                        ; implicit-def: $vgpr3_vgpr4
.LBB58_30:
	s_or_saveexec_b64 s[2:3], s[2:3]
	v_mov_b32_e32 v10, 1
	s_xor_b64 exec, exec, s[2:3]
	s_cbranch_execz .LBB58_32
; %bb.31:
	v_and_b32_e32 v7, 1, v7
	v_cmp_eq_u32_e32 vcc, 1, v7
	s_waitcnt lgkmcnt(1)
	v_cndmask_b32_e32 v1, v3, v1, vcc
	v_and_b32_e32 v3, 0xff, v9
	s_waitcnt lgkmcnt(0)
	v_cndmask_b32_e32 v2, v4, v2, vcc
	v_cndmask_b32_e64 v10, v3, 1, vcc
.LBB58_32:
	s_or_b64 exec, exec, s[2:3]
	v_mov_b32_e32 v7, v10
.LBB58_33:
	;; [unrolled: 47-line block ×4, first 2 shown]
	s_or_b64 exec, exec, s[0:1]
	s_waitcnt lgkmcnt(2)
	v_lshlrev_b32_e32 v9, 2, v5
	s_waitcnt lgkmcnt(0)
	v_or_b32_e32 v4, 0x80, v9
	ds_bpermute_b32 v10, v4, v7
	ds_bpermute_b32 v3, v4, v1
	ds_bpermute_b32 v4, v4, v2
	v_add_u32_e32 v6, 32, v6
	v_cmp_lt_u32_e32 vcc, v6, v8
	v_mov_b32_e32 v6, v7
	s_and_saveexec_b64 s[0:1], vcc
	s_cbranch_execz .LBB58_51
; %bb.46:
	s_waitcnt lgkmcnt(2)
	v_and_b32_e32 v6, v7, v10
	v_and_b32_e32 v6, 1, v6
	v_cmp_eq_u32_e32 vcc, 1, v6
	s_and_saveexec_b64 s[2:3], vcc
	s_xor_b64 s[2:3], exec, s[2:3]
	s_cbranch_execz .LBB58_48
; %bb.47:
	s_waitcnt lgkmcnt(0)
	v_cmp_lt_i64_e32 vcc, v[3:4], v[1:2]
                                        ; implicit-def: $vgpr7
                                        ; implicit-def: $vgpr10
	v_cndmask_b32_e32 v2, v2, v4, vcc
	v_cndmask_b32_e32 v1, v1, v3, vcc
                                        ; implicit-def: $vgpr3_vgpr4
.LBB58_48:
	s_or_saveexec_b64 s[2:3], s[2:3]
	v_mov_b32_e32 v6, 1
	s_xor_b64 exec, exec, s[2:3]
	s_cbranch_execz .LBB58_50
; %bb.49:
	v_and_b32_e32 v6, 1, v7
	v_cmp_eq_u32_e32 vcc, 1, v6
	v_cndmask_b32_e64 v6, v10, 1, vcc
	s_waitcnt lgkmcnt(0)
	v_cndmask_b32_e32 v2, v4, v2, vcc
	v_cndmask_b32_e32 v1, v3, v1, vcc
.LBB58_50:
	s_or_b64 exec, exec, s[2:3]
	v_and_b32_e32 v7, 0xff, v6
.LBB58_51:
	s_or_b64 exec, exec, s[0:1]
	v_cmp_eq_u32_e32 vcc, 0, v5
	s_and_saveexec_b64 s[0:1], vcc
	s_cbranch_execz .LBB58_53
; %bb.52:
	s_waitcnt lgkmcnt(1)
	v_lshrrev_b32_e32 v3, 2, v0
	v_and_b32_e32 v3, 16, v3
	ds_write_b8 v3, v6 offset:32
	ds_write_b64 v3, v[1:2] offset:40
.LBB58_53:
	s_or_b64 exec, exec, s[0:1]
	v_cmp_gt_u32_e32 vcc, 2, v0
	s_waitcnt lgkmcnt(0)
	s_barrier
	s_and_saveexec_b64 s[0:1], vcc
	s_cbranch_execz .LBB58_61
; %bb.54:
	v_lshlrev_b32_e32 v1, 4, v5
	ds_read_u8 v6, v1 offset:32
	ds_read_b64 v[1:2], v1 offset:40
	v_or_b32_e32 v4, 4, v9
	s_add_i32 s4, s4, 63
	v_and_b32_e32 v5, 1, v5
	s_waitcnt lgkmcnt(1)
	v_and_b32_e32 v7, 0xff, v6
	s_waitcnt lgkmcnt(0)
	ds_bpermute_b32 v3, v4, v1
	ds_bpermute_b32 v8, v4, v7
	;; [unrolled: 1-line block ×3, first 2 shown]
	s_lshr_b32 s2, s4, 6
	v_add_u32_e32 v5, 1, v5
	v_cmp_gt_u32_e32 vcc, s2, v5
	s_and_saveexec_b64 s[2:3], vcc
	s_cbranch_execz .LBB58_60
; %bb.55:
	s_waitcnt lgkmcnt(1)
	v_and_b32_e32 v5, v7, v8
	v_and_b32_e32 v5, 1, v5
	v_cmp_eq_u32_e32 vcc, 1, v5
	s_and_saveexec_b64 s[4:5], vcc
	s_xor_b64 s[4:5], exec, s[4:5]
	s_cbranch_execz .LBB58_57
; %bb.56:
	s_waitcnt lgkmcnt(0)
	v_cmp_lt_i64_e32 vcc, v[3:4], v[1:2]
                                        ; implicit-def: $vgpr6
                                        ; implicit-def: $vgpr8
	v_cndmask_b32_e32 v2, v2, v4, vcc
	v_cndmask_b32_e32 v1, v1, v3, vcc
                                        ; implicit-def: $vgpr3_vgpr4
.LBB58_57:
	s_or_saveexec_b64 s[4:5], s[4:5]
	v_mov_b32_e32 v7, 1
	s_xor_b64 exec, exec, s[4:5]
	s_cbranch_execz .LBB58_59
; %bb.58:
	v_and_b32_e32 v5, 1, v6
	v_cmp_eq_u32_e32 vcc, 1, v5
	s_waitcnt lgkmcnt(0)
	v_cndmask_b32_e32 v2, v4, v2, vcc
	v_cndmask_b32_e32 v1, v3, v1, vcc
	v_cndmask_b32_e64 v7, v8, 1, vcc
.LBB58_59:
	s_or_b64 exec, exec, s[4:5]
.LBB58_60:
	s_or_b64 exec, exec, s[2:3]
.LBB58_61:
	s_or_b64 exec, exec, s[0:1]
.LBB58_62:
	v_cmp_eq_u32_e32 vcc, 0, v0
	s_and_saveexec_b64 s[0:1], vcc
	s_cbranch_execnz .LBB58_64
; %bb.63:
	s_endpgm
.LBB58_64:
	s_mul_i32 s0, s22, s21
	s_mul_hi_u32 s1, s22, s20
	s_add_i32 s0, s1, s0
	s_mul_i32 s1, s23, s20
	s_add_i32 s1, s0, s1
	s_mul_i32 s0, s22, s20
	s_lshl_b64 s[0:1], s[0:1], 4
	s_add_u32 s2, s18, s0
	s_addc_u32 s3, s19, s1
	s_cmp_eq_u64 s[16:17], 0
	s_waitcnt lgkmcnt(0)
	v_mov_b32_e32 v0, s9
	s_cselect_b64 vcc, -1, 0
	v_cndmask_b32_e32 v2, v2, v0, vcc
	v_mov_b32_e32 v0, s8
	s_lshl_b64 s[0:1], s[6:7], 4
	v_cndmask_b32_e32 v1, v1, v0, vcc
	v_mov_b32_e32 v0, s10
	s_add_u32 s0, s2, s0
	v_cndmask_b32_e32 v0, v7, v0, vcc
	s_addc_u32 s1, s3, s1
	v_mov_b32_e32 v3, 0
	global_store_byte v3, v0, s[0:1]
	global_store_dwordx2 v3, v[1:2], s[0:1] offset:8
	s_endpgm
	.section	.rodata,"a",@progbits
	.p2align	6, 0x0
	.amdhsa_kernel _ZN7rocprim17ROCPRIM_400000_NS6detail17trampoline_kernelINS0_14default_configENS1_22reduce_config_selectorIN6thrust23THRUST_200600_302600_NS5tupleIblNS6_9null_typeES8_S8_S8_S8_S8_S8_S8_EEEEZNS1_11reduce_implILb1ES3_NS6_12zip_iteratorINS7_INS6_11hip_rocprim26transform_input_iterator_tIbPKhN2at6native10EqualsModeEEENSD_19counting_iterator_tIlEES8_S8_S8_S8_S8_S8_S8_S8_EEEEPS9_S9_NSD_9__find_if7functorIS9_EEEE10hipError_tPvRmT1_T2_T3_mT4_P12ihipStream_tbEUlT_E0_NS1_11comp_targetILNS1_3genE2ELNS1_11target_archE906ELNS1_3gpuE6ELNS1_3repE0EEENS1_30default_config_static_selectorELNS0_4arch9wavefront6targetE1EEEvSW_
		.amdhsa_group_segment_fixed_size 64
		.amdhsa_private_segment_fixed_size 0
		.amdhsa_kernarg_size 88
		.amdhsa_user_sgpr_count 6
		.amdhsa_user_sgpr_private_segment_buffer 1
		.amdhsa_user_sgpr_dispatch_ptr 0
		.amdhsa_user_sgpr_queue_ptr 0
		.amdhsa_user_sgpr_kernarg_segment_ptr 1
		.amdhsa_user_sgpr_dispatch_id 0
		.amdhsa_user_sgpr_flat_scratch_init 0
		.amdhsa_user_sgpr_private_segment_size 0
		.amdhsa_uses_dynamic_stack 0
		.amdhsa_system_sgpr_private_segment_wavefront_offset 0
		.amdhsa_system_sgpr_workgroup_id_x 1
		.amdhsa_system_sgpr_workgroup_id_y 0
		.amdhsa_system_sgpr_workgroup_id_z 0
		.amdhsa_system_sgpr_workgroup_info 0
		.amdhsa_system_vgpr_workitem_id 0
		.amdhsa_next_free_vgpr 12
		.amdhsa_next_free_sgpr 28
		.amdhsa_reserve_vcc 1
		.amdhsa_reserve_flat_scratch 0
		.amdhsa_float_round_mode_32 0
		.amdhsa_float_round_mode_16_64 0
		.amdhsa_float_denorm_mode_32 3
		.amdhsa_float_denorm_mode_16_64 3
		.amdhsa_dx10_clamp 1
		.amdhsa_ieee_mode 1
		.amdhsa_fp16_overflow 0
		.amdhsa_exception_fp_ieee_invalid_op 0
		.amdhsa_exception_fp_denorm_src 0
		.amdhsa_exception_fp_ieee_div_zero 0
		.amdhsa_exception_fp_ieee_overflow 0
		.amdhsa_exception_fp_ieee_underflow 0
		.amdhsa_exception_fp_ieee_inexact 0
		.amdhsa_exception_int_div_zero 0
	.end_amdhsa_kernel
	.section	.text._ZN7rocprim17ROCPRIM_400000_NS6detail17trampoline_kernelINS0_14default_configENS1_22reduce_config_selectorIN6thrust23THRUST_200600_302600_NS5tupleIblNS6_9null_typeES8_S8_S8_S8_S8_S8_S8_EEEEZNS1_11reduce_implILb1ES3_NS6_12zip_iteratorINS7_INS6_11hip_rocprim26transform_input_iterator_tIbPKhN2at6native10EqualsModeEEENSD_19counting_iterator_tIlEES8_S8_S8_S8_S8_S8_S8_S8_EEEEPS9_S9_NSD_9__find_if7functorIS9_EEEE10hipError_tPvRmT1_T2_T3_mT4_P12ihipStream_tbEUlT_E0_NS1_11comp_targetILNS1_3genE2ELNS1_11target_archE906ELNS1_3gpuE6ELNS1_3repE0EEENS1_30default_config_static_selectorELNS0_4arch9wavefront6targetE1EEEvSW_,"axG",@progbits,_ZN7rocprim17ROCPRIM_400000_NS6detail17trampoline_kernelINS0_14default_configENS1_22reduce_config_selectorIN6thrust23THRUST_200600_302600_NS5tupleIblNS6_9null_typeES8_S8_S8_S8_S8_S8_S8_EEEEZNS1_11reduce_implILb1ES3_NS6_12zip_iteratorINS7_INS6_11hip_rocprim26transform_input_iterator_tIbPKhN2at6native10EqualsModeEEENSD_19counting_iterator_tIlEES8_S8_S8_S8_S8_S8_S8_S8_EEEEPS9_S9_NSD_9__find_if7functorIS9_EEEE10hipError_tPvRmT1_T2_T3_mT4_P12ihipStream_tbEUlT_E0_NS1_11comp_targetILNS1_3genE2ELNS1_11target_archE906ELNS1_3gpuE6ELNS1_3repE0EEENS1_30default_config_static_selectorELNS0_4arch9wavefront6targetE1EEEvSW_,comdat
.Lfunc_end58:
	.size	_ZN7rocprim17ROCPRIM_400000_NS6detail17trampoline_kernelINS0_14default_configENS1_22reduce_config_selectorIN6thrust23THRUST_200600_302600_NS5tupleIblNS6_9null_typeES8_S8_S8_S8_S8_S8_S8_EEEEZNS1_11reduce_implILb1ES3_NS6_12zip_iteratorINS7_INS6_11hip_rocprim26transform_input_iterator_tIbPKhN2at6native10EqualsModeEEENSD_19counting_iterator_tIlEES8_S8_S8_S8_S8_S8_S8_S8_EEEEPS9_S9_NSD_9__find_if7functorIS9_EEEE10hipError_tPvRmT1_T2_T3_mT4_P12ihipStream_tbEUlT_E0_NS1_11comp_targetILNS1_3genE2ELNS1_11target_archE906ELNS1_3gpuE6ELNS1_3repE0EEENS1_30default_config_static_selectorELNS0_4arch9wavefront6targetE1EEEvSW_, .Lfunc_end58-_ZN7rocprim17ROCPRIM_400000_NS6detail17trampoline_kernelINS0_14default_configENS1_22reduce_config_selectorIN6thrust23THRUST_200600_302600_NS5tupleIblNS6_9null_typeES8_S8_S8_S8_S8_S8_S8_EEEEZNS1_11reduce_implILb1ES3_NS6_12zip_iteratorINS7_INS6_11hip_rocprim26transform_input_iterator_tIbPKhN2at6native10EqualsModeEEENSD_19counting_iterator_tIlEES8_S8_S8_S8_S8_S8_S8_S8_EEEEPS9_S9_NSD_9__find_if7functorIS9_EEEE10hipError_tPvRmT1_T2_T3_mT4_P12ihipStream_tbEUlT_E0_NS1_11comp_targetILNS1_3genE2ELNS1_11target_archE906ELNS1_3gpuE6ELNS1_3repE0EEENS1_30default_config_static_selectorELNS0_4arch9wavefront6targetE1EEEvSW_
                                        ; -- End function
	.set _ZN7rocprim17ROCPRIM_400000_NS6detail17trampoline_kernelINS0_14default_configENS1_22reduce_config_selectorIN6thrust23THRUST_200600_302600_NS5tupleIblNS6_9null_typeES8_S8_S8_S8_S8_S8_S8_EEEEZNS1_11reduce_implILb1ES3_NS6_12zip_iteratorINS7_INS6_11hip_rocprim26transform_input_iterator_tIbPKhN2at6native10EqualsModeEEENSD_19counting_iterator_tIlEES8_S8_S8_S8_S8_S8_S8_S8_EEEEPS9_S9_NSD_9__find_if7functorIS9_EEEE10hipError_tPvRmT1_T2_T3_mT4_P12ihipStream_tbEUlT_E0_NS1_11comp_targetILNS1_3genE2ELNS1_11target_archE906ELNS1_3gpuE6ELNS1_3repE0EEENS1_30default_config_static_selectorELNS0_4arch9wavefront6targetE1EEEvSW_.num_vgpr, 12
	.set _ZN7rocprim17ROCPRIM_400000_NS6detail17trampoline_kernelINS0_14default_configENS1_22reduce_config_selectorIN6thrust23THRUST_200600_302600_NS5tupleIblNS6_9null_typeES8_S8_S8_S8_S8_S8_S8_EEEEZNS1_11reduce_implILb1ES3_NS6_12zip_iteratorINS7_INS6_11hip_rocprim26transform_input_iterator_tIbPKhN2at6native10EqualsModeEEENSD_19counting_iterator_tIlEES8_S8_S8_S8_S8_S8_S8_S8_EEEEPS9_S9_NSD_9__find_if7functorIS9_EEEE10hipError_tPvRmT1_T2_T3_mT4_P12ihipStream_tbEUlT_E0_NS1_11comp_targetILNS1_3genE2ELNS1_11target_archE906ELNS1_3gpuE6ELNS1_3repE0EEENS1_30default_config_static_selectorELNS0_4arch9wavefront6targetE1EEEvSW_.num_agpr, 0
	.set _ZN7rocprim17ROCPRIM_400000_NS6detail17trampoline_kernelINS0_14default_configENS1_22reduce_config_selectorIN6thrust23THRUST_200600_302600_NS5tupleIblNS6_9null_typeES8_S8_S8_S8_S8_S8_S8_EEEEZNS1_11reduce_implILb1ES3_NS6_12zip_iteratorINS7_INS6_11hip_rocprim26transform_input_iterator_tIbPKhN2at6native10EqualsModeEEENSD_19counting_iterator_tIlEES8_S8_S8_S8_S8_S8_S8_S8_EEEEPS9_S9_NSD_9__find_if7functorIS9_EEEE10hipError_tPvRmT1_T2_T3_mT4_P12ihipStream_tbEUlT_E0_NS1_11comp_targetILNS1_3genE2ELNS1_11target_archE906ELNS1_3gpuE6ELNS1_3repE0EEENS1_30default_config_static_selectorELNS0_4arch9wavefront6targetE1EEEvSW_.numbered_sgpr, 28
	.set _ZN7rocprim17ROCPRIM_400000_NS6detail17trampoline_kernelINS0_14default_configENS1_22reduce_config_selectorIN6thrust23THRUST_200600_302600_NS5tupleIblNS6_9null_typeES8_S8_S8_S8_S8_S8_S8_EEEEZNS1_11reduce_implILb1ES3_NS6_12zip_iteratorINS7_INS6_11hip_rocprim26transform_input_iterator_tIbPKhN2at6native10EqualsModeEEENSD_19counting_iterator_tIlEES8_S8_S8_S8_S8_S8_S8_S8_EEEEPS9_S9_NSD_9__find_if7functorIS9_EEEE10hipError_tPvRmT1_T2_T3_mT4_P12ihipStream_tbEUlT_E0_NS1_11comp_targetILNS1_3genE2ELNS1_11target_archE906ELNS1_3gpuE6ELNS1_3repE0EEENS1_30default_config_static_selectorELNS0_4arch9wavefront6targetE1EEEvSW_.num_named_barrier, 0
	.set _ZN7rocprim17ROCPRIM_400000_NS6detail17trampoline_kernelINS0_14default_configENS1_22reduce_config_selectorIN6thrust23THRUST_200600_302600_NS5tupleIblNS6_9null_typeES8_S8_S8_S8_S8_S8_S8_EEEEZNS1_11reduce_implILb1ES3_NS6_12zip_iteratorINS7_INS6_11hip_rocprim26transform_input_iterator_tIbPKhN2at6native10EqualsModeEEENSD_19counting_iterator_tIlEES8_S8_S8_S8_S8_S8_S8_S8_EEEEPS9_S9_NSD_9__find_if7functorIS9_EEEE10hipError_tPvRmT1_T2_T3_mT4_P12ihipStream_tbEUlT_E0_NS1_11comp_targetILNS1_3genE2ELNS1_11target_archE906ELNS1_3gpuE6ELNS1_3repE0EEENS1_30default_config_static_selectorELNS0_4arch9wavefront6targetE1EEEvSW_.private_seg_size, 0
	.set _ZN7rocprim17ROCPRIM_400000_NS6detail17trampoline_kernelINS0_14default_configENS1_22reduce_config_selectorIN6thrust23THRUST_200600_302600_NS5tupleIblNS6_9null_typeES8_S8_S8_S8_S8_S8_S8_EEEEZNS1_11reduce_implILb1ES3_NS6_12zip_iteratorINS7_INS6_11hip_rocprim26transform_input_iterator_tIbPKhN2at6native10EqualsModeEEENSD_19counting_iterator_tIlEES8_S8_S8_S8_S8_S8_S8_S8_EEEEPS9_S9_NSD_9__find_if7functorIS9_EEEE10hipError_tPvRmT1_T2_T3_mT4_P12ihipStream_tbEUlT_E0_NS1_11comp_targetILNS1_3genE2ELNS1_11target_archE906ELNS1_3gpuE6ELNS1_3repE0EEENS1_30default_config_static_selectorELNS0_4arch9wavefront6targetE1EEEvSW_.uses_vcc, 1
	.set _ZN7rocprim17ROCPRIM_400000_NS6detail17trampoline_kernelINS0_14default_configENS1_22reduce_config_selectorIN6thrust23THRUST_200600_302600_NS5tupleIblNS6_9null_typeES8_S8_S8_S8_S8_S8_S8_EEEEZNS1_11reduce_implILb1ES3_NS6_12zip_iteratorINS7_INS6_11hip_rocprim26transform_input_iterator_tIbPKhN2at6native10EqualsModeEEENSD_19counting_iterator_tIlEES8_S8_S8_S8_S8_S8_S8_S8_EEEEPS9_S9_NSD_9__find_if7functorIS9_EEEE10hipError_tPvRmT1_T2_T3_mT4_P12ihipStream_tbEUlT_E0_NS1_11comp_targetILNS1_3genE2ELNS1_11target_archE906ELNS1_3gpuE6ELNS1_3repE0EEENS1_30default_config_static_selectorELNS0_4arch9wavefront6targetE1EEEvSW_.uses_flat_scratch, 0
	.set _ZN7rocprim17ROCPRIM_400000_NS6detail17trampoline_kernelINS0_14default_configENS1_22reduce_config_selectorIN6thrust23THRUST_200600_302600_NS5tupleIblNS6_9null_typeES8_S8_S8_S8_S8_S8_S8_EEEEZNS1_11reduce_implILb1ES3_NS6_12zip_iteratorINS7_INS6_11hip_rocprim26transform_input_iterator_tIbPKhN2at6native10EqualsModeEEENSD_19counting_iterator_tIlEES8_S8_S8_S8_S8_S8_S8_S8_EEEEPS9_S9_NSD_9__find_if7functorIS9_EEEE10hipError_tPvRmT1_T2_T3_mT4_P12ihipStream_tbEUlT_E0_NS1_11comp_targetILNS1_3genE2ELNS1_11target_archE906ELNS1_3gpuE6ELNS1_3repE0EEENS1_30default_config_static_selectorELNS0_4arch9wavefront6targetE1EEEvSW_.has_dyn_sized_stack, 0
	.set _ZN7rocprim17ROCPRIM_400000_NS6detail17trampoline_kernelINS0_14default_configENS1_22reduce_config_selectorIN6thrust23THRUST_200600_302600_NS5tupleIblNS6_9null_typeES8_S8_S8_S8_S8_S8_S8_EEEEZNS1_11reduce_implILb1ES3_NS6_12zip_iteratorINS7_INS6_11hip_rocprim26transform_input_iterator_tIbPKhN2at6native10EqualsModeEEENSD_19counting_iterator_tIlEES8_S8_S8_S8_S8_S8_S8_S8_EEEEPS9_S9_NSD_9__find_if7functorIS9_EEEE10hipError_tPvRmT1_T2_T3_mT4_P12ihipStream_tbEUlT_E0_NS1_11comp_targetILNS1_3genE2ELNS1_11target_archE906ELNS1_3gpuE6ELNS1_3repE0EEENS1_30default_config_static_selectorELNS0_4arch9wavefront6targetE1EEEvSW_.has_recursion, 0
	.set _ZN7rocprim17ROCPRIM_400000_NS6detail17trampoline_kernelINS0_14default_configENS1_22reduce_config_selectorIN6thrust23THRUST_200600_302600_NS5tupleIblNS6_9null_typeES8_S8_S8_S8_S8_S8_S8_EEEEZNS1_11reduce_implILb1ES3_NS6_12zip_iteratorINS7_INS6_11hip_rocprim26transform_input_iterator_tIbPKhN2at6native10EqualsModeEEENSD_19counting_iterator_tIlEES8_S8_S8_S8_S8_S8_S8_S8_EEEEPS9_S9_NSD_9__find_if7functorIS9_EEEE10hipError_tPvRmT1_T2_T3_mT4_P12ihipStream_tbEUlT_E0_NS1_11comp_targetILNS1_3genE2ELNS1_11target_archE906ELNS1_3gpuE6ELNS1_3repE0EEENS1_30default_config_static_selectorELNS0_4arch9wavefront6targetE1EEEvSW_.has_indirect_call, 0
	.section	.AMDGPU.csdata,"",@progbits
; Kernel info:
; codeLenInByte = 2820
; TotalNumSgprs: 32
; NumVgprs: 12
; ScratchSize: 0
; MemoryBound: 0
; FloatMode: 240
; IeeeMode: 1
; LDSByteSize: 64 bytes/workgroup (compile time only)
; SGPRBlocks: 3
; VGPRBlocks: 2
; NumSGPRsForWavesPerEU: 32
; NumVGPRsForWavesPerEU: 12
; Occupancy: 10
; WaveLimiterHint : 1
; COMPUTE_PGM_RSRC2:SCRATCH_EN: 0
; COMPUTE_PGM_RSRC2:USER_SGPR: 6
; COMPUTE_PGM_RSRC2:TRAP_HANDLER: 0
; COMPUTE_PGM_RSRC2:TGID_X_EN: 1
; COMPUTE_PGM_RSRC2:TGID_Y_EN: 0
; COMPUTE_PGM_RSRC2:TGID_Z_EN: 0
; COMPUTE_PGM_RSRC2:TIDIG_COMP_CNT: 0
	.section	.text._ZN7rocprim17ROCPRIM_400000_NS6detail17trampoline_kernelINS0_14default_configENS1_22reduce_config_selectorIN6thrust23THRUST_200600_302600_NS5tupleIblNS6_9null_typeES8_S8_S8_S8_S8_S8_S8_EEEEZNS1_11reduce_implILb1ES3_NS6_12zip_iteratorINS7_INS6_11hip_rocprim26transform_input_iterator_tIbPKhN2at6native10EqualsModeEEENSD_19counting_iterator_tIlEES8_S8_S8_S8_S8_S8_S8_S8_EEEEPS9_S9_NSD_9__find_if7functorIS9_EEEE10hipError_tPvRmT1_T2_T3_mT4_P12ihipStream_tbEUlT_E0_NS1_11comp_targetILNS1_3genE10ELNS1_11target_archE1201ELNS1_3gpuE5ELNS1_3repE0EEENS1_30default_config_static_selectorELNS0_4arch9wavefront6targetE1EEEvSW_,"axG",@progbits,_ZN7rocprim17ROCPRIM_400000_NS6detail17trampoline_kernelINS0_14default_configENS1_22reduce_config_selectorIN6thrust23THRUST_200600_302600_NS5tupleIblNS6_9null_typeES8_S8_S8_S8_S8_S8_S8_EEEEZNS1_11reduce_implILb1ES3_NS6_12zip_iteratorINS7_INS6_11hip_rocprim26transform_input_iterator_tIbPKhN2at6native10EqualsModeEEENSD_19counting_iterator_tIlEES8_S8_S8_S8_S8_S8_S8_S8_EEEEPS9_S9_NSD_9__find_if7functorIS9_EEEE10hipError_tPvRmT1_T2_T3_mT4_P12ihipStream_tbEUlT_E0_NS1_11comp_targetILNS1_3genE10ELNS1_11target_archE1201ELNS1_3gpuE5ELNS1_3repE0EEENS1_30default_config_static_selectorELNS0_4arch9wavefront6targetE1EEEvSW_,comdat
	.protected	_ZN7rocprim17ROCPRIM_400000_NS6detail17trampoline_kernelINS0_14default_configENS1_22reduce_config_selectorIN6thrust23THRUST_200600_302600_NS5tupleIblNS6_9null_typeES8_S8_S8_S8_S8_S8_S8_EEEEZNS1_11reduce_implILb1ES3_NS6_12zip_iteratorINS7_INS6_11hip_rocprim26transform_input_iterator_tIbPKhN2at6native10EqualsModeEEENSD_19counting_iterator_tIlEES8_S8_S8_S8_S8_S8_S8_S8_EEEEPS9_S9_NSD_9__find_if7functorIS9_EEEE10hipError_tPvRmT1_T2_T3_mT4_P12ihipStream_tbEUlT_E0_NS1_11comp_targetILNS1_3genE10ELNS1_11target_archE1201ELNS1_3gpuE5ELNS1_3repE0EEENS1_30default_config_static_selectorELNS0_4arch9wavefront6targetE1EEEvSW_ ; -- Begin function _ZN7rocprim17ROCPRIM_400000_NS6detail17trampoline_kernelINS0_14default_configENS1_22reduce_config_selectorIN6thrust23THRUST_200600_302600_NS5tupleIblNS6_9null_typeES8_S8_S8_S8_S8_S8_S8_EEEEZNS1_11reduce_implILb1ES3_NS6_12zip_iteratorINS7_INS6_11hip_rocprim26transform_input_iterator_tIbPKhN2at6native10EqualsModeEEENSD_19counting_iterator_tIlEES8_S8_S8_S8_S8_S8_S8_S8_EEEEPS9_S9_NSD_9__find_if7functorIS9_EEEE10hipError_tPvRmT1_T2_T3_mT4_P12ihipStream_tbEUlT_E0_NS1_11comp_targetILNS1_3genE10ELNS1_11target_archE1201ELNS1_3gpuE5ELNS1_3repE0EEENS1_30default_config_static_selectorELNS0_4arch9wavefront6targetE1EEEvSW_
	.globl	_ZN7rocprim17ROCPRIM_400000_NS6detail17trampoline_kernelINS0_14default_configENS1_22reduce_config_selectorIN6thrust23THRUST_200600_302600_NS5tupleIblNS6_9null_typeES8_S8_S8_S8_S8_S8_S8_EEEEZNS1_11reduce_implILb1ES3_NS6_12zip_iteratorINS7_INS6_11hip_rocprim26transform_input_iterator_tIbPKhN2at6native10EqualsModeEEENSD_19counting_iterator_tIlEES8_S8_S8_S8_S8_S8_S8_S8_EEEEPS9_S9_NSD_9__find_if7functorIS9_EEEE10hipError_tPvRmT1_T2_T3_mT4_P12ihipStream_tbEUlT_E0_NS1_11comp_targetILNS1_3genE10ELNS1_11target_archE1201ELNS1_3gpuE5ELNS1_3repE0EEENS1_30default_config_static_selectorELNS0_4arch9wavefront6targetE1EEEvSW_
	.p2align	8
	.type	_ZN7rocprim17ROCPRIM_400000_NS6detail17trampoline_kernelINS0_14default_configENS1_22reduce_config_selectorIN6thrust23THRUST_200600_302600_NS5tupleIblNS6_9null_typeES8_S8_S8_S8_S8_S8_S8_EEEEZNS1_11reduce_implILb1ES3_NS6_12zip_iteratorINS7_INS6_11hip_rocprim26transform_input_iterator_tIbPKhN2at6native10EqualsModeEEENSD_19counting_iterator_tIlEES8_S8_S8_S8_S8_S8_S8_S8_EEEEPS9_S9_NSD_9__find_if7functorIS9_EEEE10hipError_tPvRmT1_T2_T3_mT4_P12ihipStream_tbEUlT_E0_NS1_11comp_targetILNS1_3genE10ELNS1_11target_archE1201ELNS1_3gpuE5ELNS1_3repE0EEENS1_30default_config_static_selectorELNS0_4arch9wavefront6targetE1EEEvSW_,@function
_ZN7rocprim17ROCPRIM_400000_NS6detail17trampoline_kernelINS0_14default_configENS1_22reduce_config_selectorIN6thrust23THRUST_200600_302600_NS5tupleIblNS6_9null_typeES8_S8_S8_S8_S8_S8_S8_EEEEZNS1_11reduce_implILb1ES3_NS6_12zip_iteratorINS7_INS6_11hip_rocprim26transform_input_iterator_tIbPKhN2at6native10EqualsModeEEENSD_19counting_iterator_tIlEES8_S8_S8_S8_S8_S8_S8_S8_EEEEPS9_S9_NSD_9__find_if7functorIS9_EEEE10hipError_tPvRmT1_T2_T3_mT4_P12ihipStream_tbEUlT_E0_NS1_11comp_targetILNS1_3genE10ELNS1_11target_archE1201ELNS1_3gpuE5ELNS1_3repE0EEENS1_30default_config_static_selectorELNS0_4arch9wavefront6targetE1EEEvSW_: ; @_ZN7rocprim17ROCPRIM_400000_NS6detail17trampoline_kernelINS0_14default_configENS1_22reduce_config_selectorIN6thrust23THRUST_200600_302600_NS5tupleIblNS6_9null_typeES8_S8_S8_S8_S8_S8_S8_EEEEZNS1_11reduce_implILb1ES3_NS6_12zip_iteratorINS7_INS6_11hip_rocprim26transform_input_iterator_tIbPKhN2at6native10EqualsModeEEENSD_19counting_iterator_tIlEES8_S8_S8_S8_S8_S8_S8_S8_EEEEPS9_S9_NSD_9__find_if7functorIS9_EEEE10hipError_tPvRmT1_T2_T3_mT4_P12ihipStream_tbEUlT_E0_NS1_11comp_targetILNS1_3genE10ELNS1_11target_archE1201ELNS1_3gpuE5ELNS1_3repE0EEENS1_30default_config_static_selectorELNS0_4arch9wavefront6targetE1EEEvSW_
; %bb.0:
	.section	.rodata,"a",@progbits
	.p2align	6, 0x0
	.amdhsa_kernel _ZN7rocprim17ROCPRIM_400000_NS6detail17trampoline_kernelINS0_14default_configENS1_22reduce_config_selectorIN6thrust23THRUST_200600_302600_NS5tupleIblNS6_9null_typeES8_S8_S8_S8_S8_S8_S8_EEEEZNS1_11reduce_implILb1ES3_NS6_12zip_iteratorINS7_INS6_11hip_rocprim26transform_input_iterator_tIbPKhN2at6native10EqualsModeEEENSD_19counting_iterator_tIlEES8_S8_S8_S8_S8_S8_S8_S8_EEEEPS9_S9_NSD_9__find_if7functorIS9_EEEE10hipError_tPvRmT1_T2_T3_mT4_P12ihipStream_tbEUlT_E0_NS1_11comp_targetILNS1_3genE10ELNS1_11target_archE1201ELNS1_3gpuE5ELNS1_3repE0EEENS1_30default_config_static_selectorELNS0_4arch9wavefront6targetE1EEEvSW_
		.amdhsa_group_segment_fixed_size 0
		.amdhsa_private_segment_fixed_size 0
		.amdhsa_kernarg_size 88
		.amdhsa_user_sgpr_count 6
		.amdhsa_user_sgpr_private_segment_buffer 1
		.amdhsa_user_sgpr_dispatch_ptr 0
		.amdhsa_user_sgpr_queue_ptr 0
		.amdhsa_user_sgpr_kernarg_segment_ptr 1
		.amdhsa_user_sgpr_dispatch_id 0
		.amdhsa_user_sgpr_flat_scratch_init 0
		.amdhsa_user_sgpr_private_segment_size 0
		.amdhsa_uses_dynamic_stack 0
		.amdhsa_system_sgpr_private_segment_wavefront_offset 0
		.amdhsa_system_sgpr_workgroup_id_x 1
		.amdhsa_system_sgpr_workgroup_id_y 0
		.amdhsa_system_sgpr_workgroup_id_z 0
		.amdhsa_system_sgpr_workgroup_info 0
		.amdhsa_system_vgpr_workitem_id 0
		.amdhsa_next_free_vgpr 1
		.amdhsa_next_free_sgpr 0
		.amdhsa_reserve_vcc 0
		.amdhsa_reserve_flat_scratch 0
		.amdhsa_float_round_mode_32 0
		.amdhsa_float_round_mode_16_64 0
		.amdhsa_float_denorm_mode_32 3
		.amdhsa_float_denorm_mode_16_64 3
		.amdhsa_dx10_clamp 1
		.amdhsa_ieee_mode 1
		.amdhsa_fp16_overflow 0
		.amdhsa_exception_fp_ieee_invalid_op 0
		.amdhsa_exception_fp_denorm_src 0
		.amdhsa_exception_fp_ieee_div_zero 0
		.amdhsa_exception_fp_ieee_overflow 0
		.amdhsa_exception_fp_ieee_underflow 0
		.amdhsa_exception_fp_ieee_inexact 0
		.amdhsa_exception_int_div_zero 0
	.end_amdhsa_kernel
	.section	.text._ZN7rocprim17ROCPRIM_400000_NS6detail17trampoline_kernelINS0_14default_configENS1_22reduce_config_selectorIN6thrust23THRUST_200600_302600_NS5tupleIblNS6_9null_typeES8_S8_S8_S8_S8_S8_S8_EEEEZNS1_11reduce_implILb1ES3_NS6_12zip_iteratorINS7_INS6_11hip_rocprim26transform_input_iterator_tIbPKhN2at6native10EqualsModeEEENSD_19counting_iterator_tIlEES8_S8_S8_S8_S8_S8_S8_S8_EEEEPS9_S9_NSD_9__find_if7functorIS9_EEEE10hipError_tPvRmT1_T2_T3_mT4_P12ihipStream_tbEUlT_E0_NS1_11comp_targetILNS1_3genE10ELNS1_11target_archE1201ELNS1_3gpuE5ELNS1_3repE0EEENS1_30default_config_static_selectorELNS0_4arch9wavefront6targetE1EEEvSW_,"axG",@progbits,_ZN7rocprim17ROCPRIM_400000_NS6detail17trampoline_kernelINS0_14default_configENS1_22reduce_config_selectorIN6thrust23THRUST_200600_302600_NS5tupleIblNS6_9null_typeES8_S8_S8_S8_S8_S8_S8_EEEEZNS1_11reduce_implILb1ES3_NS6_12zip_iteratorINS7_INS6_11hip_rocprim26transform_input_iterator_tIbPKhN2at6native10EqualsModeEEENSD_19counting_iterator_tIlEES8_S8_S8_S8_S8_S8_S8_S8_EEEEPS9_S9_NSD_9__find_if7functorIS9_EEEE10hipError_tPvRmT1_T2_T3_mT4_P12ihipStream_tbEUlT_E0_NS1_11comp_targetILNS1_3genE10ELNS1_11target_archE1201ELNS1_3gpuE5ELNS1_3repE0EEENS1_30default_config_static_selectorELNS0_4arch9wavefront6targetE1EEEvSW_,comdat
.Lfunc_end59:
	.size	_ZN7rocprim17ROCPRIM_400000_NS6detail17trampoline_kernelINS0_14default_configENS1_22reduce_config_selectorIN6thrust23THRUST_200600_302600_NS5tupleIblNS6_9null_typeES8_S8_S8_S8_S8_S8_S8_EEEEZNS1_11reduce_implILb1ES3_NS6_12zip_iteratorINS7_INS6_11hip_rocprim26transform_input_iterator_tIbPKhN2at6native10EqualsModeEEENSD_19counting_iterator_tIlEES8_S8_S8_S8_S8_S8_S8_S8_EEEEPS9_S9_NSD_9__find_if7functorIS9_EEEE10hipError_tPvRmT1_T2_T3_mT4_P12ihipStream_tbEUlT_E0_NS1_11comp_targetILNS1_3genE10ELNS1_11target_archE1201ELNS1_3gpuE5ELNS1_3repE0EEENS1_30default_config_static_selectorELNS0_4arch9wavefront6targetE1EEEvSW_, .Lfunc_end59-_ZN7rocprim17ROCPRIM_400000_NS6detail17trampoline_kernelINS0_14default_configENS1_22reduce_config_selectorIN6thrust23THRUST_200600_302600_NS5tupleIblNS6_9null_typeES8_S8_S8_S8_S8_S8_S8_EEEEZNS1_11reduce_implILb1ES3_NS6_12zip_iteratorINS7_INS6_11hip_rocprim26transform_input_iterator_tIbPKhN2at6native10EqualsModeEEENSD_19counting_iterator_tIlEES8_S8_S8_S8_S8_S8_S8_S8_EEEEPS9_S9_NSD_9__find_if7functorIS9_EEEE10hipError_tPvRmT1_T2_T3_mT4_P12ihipStream_tbEUlT_E0_NS1_11comp_targetILNS1_3genE10ELNS1_11target_archE1201ELNS1_3gpuE5ELNS1_3repE0EEENS1_30default_config_static_selectorELNS0_4arch9wavefront6targetE1EEEvSW_
                                        ; -- End function
	.set _ZN7rocprim17ROCPRIM_400000_NS6detail17trampoline_kernelINS0_14default_configENS1_22reduce_config_selectorIN6thrust23THRUST_200600_302600_NS5tupleIblNS6_9null_typeES8_S8_S8_S8_S8_S8_S8_EEEEZNS1_11reduce_implILb1ES3_NS6_12zip_iteratorINS7_INS6_11hip_rocprim26transform_input_iterator_tIbPKhN2at6native10EqualsModeEEENSD_19counting_iterator_tIlEES8_S8_S8_S8_S8_S8_S8_S8_EEEEPS9_S9_NSD_9__find_if7functorIS9_EEEE10hipError_tPvRmT1_T2_T3_mT4_P12ihipStream_tbEUlT_E0_NS1_11comp_targetILNS1_3genE10ELNS1_11target_archE1201ELNS1_3gpuE5ELNS1_3repE0EEENS1_30default_config_static_selectorELNS0_4arch9wavefront6targetE1EEEvSW_.num_vgpr, 0
	.set _ZN7rocprim17ROCPRIM_400000_NS6detail17trampoline_kernelINS0_14default_configENS1_22reduce_config_selectorIN6thrust23THRUST_200600_302600_NS5tupleIblNS6_9null_typeES8_S8_S8_S8_S8_S8_S8_EEEEZNS1_11reduce_implILb1ES3_NS6_12zip_iteratorINS7_INS6_11hip_rocprim26transform_input_iterator_tIbPKhN2at6native10EqualsModeEEENSD_19counting_iterator_tIlEES8_S8_S8_S8_S8_S8_S8_S8_EEEEPS9_S9_NSD_9__find_if7functorIS9_EEEE10hipError_tPvRmT1_T2_T3_mT4_P12ihipStream_tbEUlT_E0_NS1_11comp_targetILNS1_3genE10ELNS1_11target_archE1201ELNS1_3gpuE5ELNS1_3repE0EEENS1_30default_config_static_selectorELNS0_4arch9wavefront6targetE1EEEvSW_.num_agpr, 0
	.set _ZN7rocprim17ROCPRIM_400000_NS6detail17trampoline_kernelINS0_14default_configENS1_22reduce_config_selectorIN6thrust23THRUST_200600_302600_NS5tupleIblNS6_9null_typeES8_S8_S8_S8_S8_S8_S8_EEEEZNS1_11reduce_implILb1ES3_NS6_12zip_iteratorINS7_INS6_11hip_rocprim26transform_input_iterator_tIbPKhN2at6native10EqualsModeEEENSD_19counting_iterator_tIlEES8_S8_S8_S8_S8_S8_S8_S8_EEEEPS9_S9_NSD_9__find_if7functorIS9_EEEE10hipError_tPvRmT1_T2_T3_mT4_P12ihipStream_tbEUlT_E0_NS1_11comp_targetILNS1_3genE10ELNS1_11target_archE1201ELNS1_3gpuE5ELNS1_3repE0EEENS1_30default_config_static_selectorELNS0_4arch9wavefront6targetE1EEEvSW_.numbered_sgpr, 0
	.set _ZN7rocprim17ROCPRIM_400000_NS6detail17trampoline_kernelINS0_14default_configENS1_22reduce_config_selectorIN6thrust23THRUST_200600_302600_NS5tupleIblNS6_9null_typeES8_S8_S8_S8_S8_S8_S8_EEEEZNS1_11reduce_implILb1ES3_NS6_12zip_iteratorINS7_INS6_11hip_rocprim26transform_input_iterator_tIbPKhN2at6native10EqualsModeEEENSD_19counting_iterator_tIlEES8_S8_S8_S8_S8_S8_S8_S8_EEEEPS9_S9_NSD_9__find_if7functorIS9_EEEE10hipError_tPvRmT1_T2_T3_mT4_P12ihipStream_tbEUlT_E0_NS1_11comp_targetILNS1_3genE10ELNS1_11target_archE1201ELNS1_3gpuE5ELNS1_3repE0EEENS1_30default_config_static_selectorELNS0_4arch9wavefront6targetE1EEEvSW_.num_named_barrier, 0
	.set _ZN7rocprim17ROCPRIM_400000_NS6detail17trampoline_kernelINS0_14default_configENS1_22reduce_config_selectorIN6thrust23THRUST_200600_302600_NS5tupleIblNS6_9null_typeES8_S8_S8_S8_S8_S8_S8_EEEEZNS1_11reduce_implILb1ES3_NS6_12zip_iteratorINS7_INS6_11hip_rocprim26transform_input_iterator_tIbPKhN2at6native10EqualsModeEEENSD_19counting_iterator_tIlEES8_S8_S8_S8_S8_S8_S8_S8_EEEEPS9_S9_NSD_9__find_if7functorIS9_EEEE10hipError_tPvRmT1_T2_T3_mT4_P12ihipStream_tbEUlT_E0_NS1_11comp_targetILNS1_3genE10ELNS1_11target_archE1201ELNS1_3gpuE5ELNS1_3repE0EEENS1_30default_config_static_selectorELNS0_4arch9wavefront6targetE1EEEvSW_.private_seg_size, 0
	.set _ZN7rocprim17ROCPRIM_400000_NS6detail17trampoline_kernelINS0_14default_configENS1_22reduce_config_selectorIN6thrust23THRUST_200600_302600_NS5tupleIblNS6_9null_typeES8_S8_S8_S8_S8_S8_S8_EEEEZNS1_11reduce_implILb1ES3_NS6_12zip_iteratorINS7_INS6_11hip_rocprim26transform_input_iterator_tIbPKhN2at6native10EqualsModeEEENSD_19counting_iterator_tIlEES8_S8_S8_S8_S8_S8_S8_S8_EEEEPS9_S9_NSD_9__find_if7functorIS9_EEEE10hipError_tPvRmT1_T2_T3_mT4_P12ihipStream_tbEUlT_E0_NS1_11comp_targetILNS1_3genE10ELNS1_11target_archE1201ELNS1_3gpuE5ELNS1_3repE0EEENS1_30default_config_static_selectorELNS0_4arch9wavefront6targetE1EEEvSW_.uses_vcc, 0
	.set _ZN7rocprim17ROCPRIM_400000_NS6detail17trampoline_kernelINS0_14default_configENS1_22reduce_config_selectorIN6thrust23THRUST_200600_302600_NS5tupleIblNS6_9null_typeES8_S8_S8_S8_S8_S8_S8_EEEEZNS1_11reduce_implILb1ES3_NS6_12zip_iteratorINS7_INS6_11hip_rocprim26transform_input_iterator_tIbPKhN2at6native10EqualsModeEEENSD_19counting_iterator_tIlEES8_S8_S8_S8_S8_S8_S8_S8_EEEEPS9_S9_NSD_9__find_if7functorIS9_EEEE10hipError_tPvRmT1_T2_T3_mT4_P12ihipStream_tbEUlT_E0_NS1_11comp_targetILNS1_3genE10ELNS1_11target_archE1201ELNS1_3gpuE5ELNS1_3repE0EEENS1_30default_config_static_selectorELNS0_4arch9wavefront6targetE1EEEvSW_.uses_flat_scratch, 0
	.set _ZN7rocprim17ROCPRIM_400000_NS6detail17trampoline_kernelINS0_14default_configENS1_22reduce_config_selectorIN6thrust23THRUST_200600_302600_NS5tupleIblNS6_9null_typeES8_S8_S8_S8_S8_S8_S8_EEEEZNS1_11reduce_implILb1ES3_NS6_12zip_iteratorINS7_INS6_11hip_rocprim26transform_input_iterator_tIbPKhN2at6native10EqualsModeEEENSD_19counting_iterator_tIlEES8_S8_S8_S8_S8_S8_S8_S8_EEEEPS9_S9_NSD_9__find_if7functorIS9_EEEE10hipError_tPvRmT1_T2_T3_mT4_P12ihipStream_tbEUlT_E0_NS1_11comp_targetILNS1_3genE10ELNS1_11target_archE1201ELNS1_3gpuE5ELNS1_3repE0EEENS1_30default_config_static_selectorELNS0_4arch9wavefront6targetE1EEEvSW_.has_dyn_sized_stack, 0
	.set _ZN7rocprim17ROCPRIM_400000_NS6detail17trampoline_kernelINS0_14default_configENS1_22reduce_config_selectorIN6thrust23THRUST_200600_302600_NS5tupleIblNS6_9null_typeES8_S8_S8_S8_S8_S8_S8_EEEEZNS1_11reduce_implILb1ES3_NS6_12zip_iteratorINS7_INS6_11hip_rocprim26transform_input_iterator_tIbPKhN2at6native10EqualsModeEEENSD_19counting_iterator_tIlEES8_S8_S8_S8_S8_S8_S8_S8_EEEEPS9_S9_NSD_9__find_if7functorIS9_EEEE10hipError_tPvRmT1_T2_T3_mT4_P12ihipStream_tbEUlT_E0_NS1_11comp_targetILNS1_3genE10ELNS1_11target_archE1201ELNS1_3gpuE5ELNS1_3repE0EEENS1_30default_config_static_selectorELNS0_4arch9wavefront6targetE1EEEvSW_.has_recursion, 0
	.set _ZN7rocprim17ROCPRIM_400000_NS6detail17trampoline_kernelINS0_14default_configENS1_22reduce_config_selectorIN6thrust23THRUST_200600_302600_NS5tupleIblNS6_9null_typeES8_S8_S8_S8_S8_S8_S8_EEEEZNS1_11reduce_implILb1ES3_NS6_12zip_iteratorINS7_INS6_11hip_rocprim26transform_input_iterator_tIbPKhN2at6native10EqualsModeEEENSD_19counting_iterator_tIlEES8_S8_S8_S8_S8_S8_S8_S8_EEEEPS9_S9_NSD_9__find_if7functorIS9_EEEE10hipError_tPvRmT1_T2_T3_mT4_P12ihipStream_tbEUlT_E0_NS1_11comp_targetILNS1_3genE10ELNS1_11target_archE1201ELNS1_3gpuE5ELNS1_3repE0EEENS1_30default_config_static_selectorELNS0_4arch9wavefront6targetE1EEEvSW_.has_indirect_call, 0
	.section	.AMDGPU.csdata,"",@progbits
; Kernel info:
; codeLenInByte = 0
; TotalNumSgprs: 4
; NumVgprs: 0
; ScratchSize: 0
; MemoryBound: 0
; FloatMode: 240
; IeeeMode: 1
; LDSByteSize: 0 bytes/workgroup (compile time only)
; SGPRBlocks: 0
; VGPRBlocks: 0
; NumSGPRsForWavesPerEU: 4
; NumVGPRsForWavesPerEU: 1
; Occupancy: 10
; WaveLimiterHint : 0
; COMPUTE_PGM_RSRC2:SCRATCH_EN: 0
; COMPUTE_PGM_RSRC2:USER_SGPR: 6
; COMPUTE_PGM_RSRC2:TRAP_HANDLER: 0
; COMPUTE_PGM_RSRC2:TGID_X_EN: 1
; COMPUTE_PGM_RSRC2:TGID_Y_EN: 0
; COMPUTE_PGM_RSRC2:TGID_Z_EN: 0
; COMPUTE_PGM_RSRC2:TIDIG_COMP_CNT: 0
	.section	.text._ZN7rocprim17ROCPRIM_400000_NS6detail17trampoline_kernelINS0_14default_configENS1_22reduce_config_selectorIN6thrust23THRUST_200600_302600_NS5tupleIblNS6_9null_typeES8_S8_S8_S8_S8_S8_S8_EEEEZNS1_11reduce_implILb1ES3_NS6_12zip_iteratorINS7_INS6_11hip_rocprim26transform_input_iterator_tIbPKhN2at6native10EqualsModeEEENSD_19counting_iterator_tIlEES8_S8_S8_S8_S8_S8_S8_S8_EEEEPS9_S9_NSD_9__find_if7functorIS9_EEEE10hipError_tPvRmT1_T2_T3_mT4_P12ihipStream_tbEUlT_E0_NS1_11comp_targetILNS1_3genE10ELNS1_11target_archE1200ELNS1_3gpuE4ELNS1_3repE0EEENS1_30default_config_static_selectorELNS0_4arch9wavefront6targetE1EEEvSW_,"axG",@progbits,_ZN7rocprim17ROCPRIM_400000_NS6detail17trampoline_kernelINS0_14default_configENS1_22reduce_config_selectorIN6thrust23THRUST_200600_302600_NS5tupleIblNS6_9null_typeES8_S8_S8_S8_S8_S8_S8_EEEEZNS1_11reduce_implILb1ES3_NS6_12zip_iteratorINS7_INS6_11hip_rocprim26transform_input_iterator_tIbPKhN2at6native10EqualsModeEEENSD_19counting_iterator_tIlEES8_S8_S8_S8_S8_S8_S8_S8_EEEEPS9_S9_NSD_9__find_if7functorIS9_EEEE10hipError_tPvRmT1_T2_T3_mT4_P12ihipStream_tbEUlT_E0_NS1_11comp_targetILNS1_3genE10ELNS1_11target_archE1200ELNS1_3gpuE4ELNS1_3repE0EEENS1_30default_config_static_selectorELNS0_4arch9wavefront6targetE1EEEvSW_,comdat
	.protected	_ZN7rocprim17ROCPRIM_400000_NS6detail17trampoline_kernelINS0_14default_configENS1_22reduce_config_selectorIN6thrust23THRUST_200600_302600_NS5tupleIblNS6_9null_typeES8_S8_S8_S8_S8_S8_S8_EEEEZNS1_11reduce_implILb1ES3_NS6_12zip_iteratorINS7_INS6_11hip_rocprim26transform_input_iterator_tIbPKhN2at6native10EqualsModeEEENSD_19counting_iterator_tIlEES8_S8_S8_S8_S8_S8_S8_S8_EEEEPS9_S9_NSD_9__find_if7functorIS9_EEEE10hipError_tPvRmT1_T2_T3_mT4_P12ihipStream_tbEUlT_E0_NS1_11comp_targetILNS1_3genE10ELNS1_11target_archE1200ELNS1_3gpuE4ELNS1_3repE0EEENS1_30default_config_static_selectorELNS0_4arch9wavefront6targetE1EEEvSW_ ; -- Begin function _ZN7rocprim17ROCPRIM_400000_NS6detail17trampoline_kernelINS0_14default_configENS1_22reduce_config_selectorIN6thrust23THRUST_200600_302600_NS5tupleIblNS6_9null_typeES8_S8_S8_S8_S8_S8_S8_EEEEZNS1_11reduce_implILb1ES3_NS6_12zip_iteratorINS7_INS6_11hip_rocprim26transform_input_iterator_tIbPKhN2at6native10EqualsModeEEENSD_19counting_iterator_tIlEES8_S8_S8_S8_S8_S8_S8_S8_EEEEPS9_S9_NSD_9__find_if7functorIS9_EEEE10hipError_tPvRmT1_T2_T3_mT4_P12ihipStream_tbEUlT_E0_NS1_11comp_targetILNS1_3genE10ELNS1_11target_archE1200ELNS1_3gpuE4ELNS1_3repE0EEENS1_30default_config_static_selectorELNS0_4arch9wavefront6targetE1EEEvSW_
	.globl	_ZN7rocprim17ROCPRIM_400000_NS6detail17trampoline_kernelINS0_14default_configENS1_22reduce_config_selectorIN6thrust23THRUST_200600_302600_NS5tupleIblNS6_9null_typeES8_S8_S8_S8_S8_S8_S8_EEEEZNS1_11reduce_implILb1ES3_NS6_12zip_iteratorINS7_INS6_11hip_rocprim26transform_input_iterator_tIbPKhN2at6native10EqualsModeEEENSD_19counting_iterator_tIlEES8_S8_S8_S8_S8_S8_S8_S8_EEEEPS9_S9_NSD_9__find_if7functorIS9_EEEE10hipError_tPvRmT1_T2_T3_mT4_P12ihipStream_tbEUlT_E0_NS1_11comp_targetILNS1_3genE10ELNS1_11target_archE1200ELNS1_3gpuE4ELNS1_3repE0EEENS1_30default_config_static_selectorELNS0_4arch9wavefront6targetE1EEEvSW_
	.p2align	8
	.type	_ZN7rocprim17ROCPRIM_400000_NS6detail17trampoline_kernelINS0_14default_configENS1_22reduce_config_selectorIN6thrust23THRUST_200600_302600_NS5tupleIblNS6_9null_typeES8_S8_S8_S8_S8_S8_S8_EEEEZNS1_11reduce_implILb1ES3_NS6_12zip_iteratorINS7_INS6_11hip_rocprim26transform_input_iterator_tIbPKhN2at6native10EqualsModeEEENSD_19counting_iterator_tIlEES8_S8_S8_S8_S8_S8_S8_S8_EEEEPS9_S9_NSD_9__find_if7functorIS9_EEEE10hipError_tPvRmT1_T2_T3_mT4_P12ihipStream_tbEUlT_E0_NS1_11comp_targetILNS1_3genE10ELNS1_11target_archE1200ELNS1_3gpuE4ELNS1_3repE0EEENS1_30default_config_static_selectorELNS0_4arch9wavefront6targetE1EEEvSW_,@function
_ZN7rocprim17ROCPRIM_400000_NS6detail17trampoline_kernelINS0_14default_configENS1_22reduce_config_selectorIN6thrust23THRUST_200600_302600_NS5tupleIblNS6_9null_typeES8_S8_S8_S8_S8_S8_S8_EEEEZNS1_11reduce_implILb1ES3_NS6_12zip_iteratorINS7_INS6_11hip_rocprim26transform_input_iterator_tIbPKhN2at6native10EqualsModeEEENSD_19counting_iterator_tIlEES8_S8_S8_S8_S8_S8_S8_S8_EEEEPS9_S9_NSD_9__find_if7functorIS9_EEEE10hipError_tPvRmT1_T2_T3_mT4_P12ihipStream_tbEUlT_E0_NS1_11comp_targetILNS1_3genE10ELNS1_11target_archE1200ELNS1_3gpuE4ELNS1_3repE0EEENS1_30default_config_static_selectorELNS0_4arch9wavefront6targetE1EEEvSW_: ; @_ZN7rocprim17ROCPRIM_400000_NS6detail17trampoline_kernelINS0_14default_configENS1_22reduce_config_selectorIN6thrust23THRUST_200600_302600_NS5tupleIblNS6_9null_typeES8_S8_S8_S8_S8_S8_S8_EEEEZNS1_11reduce_implILb1ES3_NS6_12zip_iteratorINS7_INS6_11hip_rocprim26transform_input_iterator_tIbPKhN2at6native10EqualsModeEEENSD_19counting_iterator_tIlEES8_S8_S8_S8_S8_S8_S8_S8_EEEEPS9_S9_NSD_9__find_if7functorIS9_EEEE10hipError_tPvRmT1_T2_T3_mT4_P12ihipStream_tbEUlT_E0_NS1_11comp_targetILNS1_3genE10ELNS1_11target_archE1200ELNS1_3gpuE4ELNS1_3repE0EEENS1_30default_config_static_selectorELNS0_4arch9wavefront6targetE1EEEvSW_
; %bb.0:
	.section	.rodata,"a",@progbits
	.p2align	6, 0x0
	.amdhsa_kernel _ZN7rocprim17ROCPRIM_400000_NS6detail17trampoline_kernelINS0_14default_configENS1_22reduce_config_selectorIN6thrust23THRUST_200600_302600_NS5tupleIblNS6_9null_typeES8_S8_S8_S8_S8_S8_S8_EEEEZNS1_11reduce_implILb1ES3_NS6_12zip_iteratorINS7_INS6_11hip_rocprim26transform_input_iterator_tIbPKhN2at6native10EqualsModeEEENSD_19counting_iterator_tIlEES8_S8_S8_S8_S8_S8_S8_S8_EEEEPS9_S9_NSD_9__find_if7functorIS9_EEEE10hipError_tPvRmT1_T2_T3_mT4_P12ihipStream_tbEUlT_E0_NS1_11comp_targetILNS1_3genE10ELNS1_11target_archE1200ELNS1_3gpuE4ELNS1_3repE0EEENS1_30default_config_static_selectorELNS0_4arch9wavefront6targetE1EEEvSW_
		.amdhsa_group_segment_fixed_size 0
		.amdhsa_private_segment_fixed_size 0
		.amdhsa_kernarg_size 88
		.amdhsa_user_sgpr_count 6
		.amdhsa_user_sgpr_private_segment_buffer 1
		.amdhsa_user_sgpr_dispatch_ptr 0
		.amdhsa_user_sgpr_queue_ptr 0
		.amdhsa_user_sgpr_kernarg_segment_ptr 1
		.amdhsa_user_sgpr_dispatch_id 0
		.amdhsa_user_sgpr_flat_scratch_init 0
		.amdhsa_user_sgpr_private_segment_size 0
		.amdhsa_uses_dynamic_stack 0
		.amdhsa_system_sgpr_private_segment_wavefront_offset 0
		.amdhsa_system_sgpr_workgroup_id_x 1
		.amdhsa_system_sgpr_workgroup_id_y 0
		.amdhsa_system_sgpr_workgroup_id_z 0
		.amdhsa_system_sgpr_workgroup_info 0
		.amdhsa_system_vgpr_workitem_id 0
		.amdhsa_next_free_vgpr 1
		.amdhsa_next_free_sgpr 0
		.amdhsa_reserve_vcc 0
		.amdhsa_reserve_flat_scratch 0
		.amdhsa_float_round_mode_32 0
		.amdhsa_float_round_mode_16_64 0
		.amdhsa_float_denorm_mode_32 3
		.amdhsa_float_denorm_mode_16_64 3
		.amdhsa_dx10_clamp 1
		.amdhsa_ieee_mode 1
		.amdhsa_fp16_overflow 0
		.amdhsa_exception_fp_ieee_invalid_op 0
		.amdhsa_exception_fp_denorm_src 0
		.amdhsa_exception_fp_ieee_div_zero 0
		.amdhsa_exception_fp_ieee_overflow 0
		.amdhsa_exception_fp_ieee_underflow 0
		.amdhsa_exception_fp_ieee_inexact 0
		.amdhsa_exception_int_div_zero 0
	.end_amdhsa_kernel
	.section	.text._ZN7rocprim17ROCPRIM_400000_NS6detail17trampoline_kernelINS0_14default_configENS1_22reduce_config_selectorIN6thrust23THRUST_200600_302600_NS5tupleIblNS6_9null_typeES8_S8_S8_S8_S8_S8_S8_EEEEZNS1_11reduce_implILb1ES3_NS6_12zip_iteratorINS7_INS6_11hip_rocprim26transform_input_iterator_tIbPKhN2at6native10EqualsModeEEENSD_19counting_iterator_tIlEES8_S8_S8_S8_S8_S8_S8_S8_EEEEPS9_S9_NSD_9__find_if7functorIS9_EEEE10hipError_tPvRmT1_T2_T3_mT4_P12ihipStream_tbEUlT_E0_NS1_11comp_targetILNS1_3genE10ELNS1_11target_archE1200ELNS1_3gpuE4ELNS1_3repE0EEENS1_30default_config_static_selectorELNS0_4arch9wavefront6targetE1EEEvSW_,"axG",@progbits,_ZN7rocprim17ROCPRIM_400000_NS6detail17trampoline_kernelINS0_14default_configENS1_22reduce_config_selectorIN6thrust23THRUST_200600_302600_NS5tupleIblNS6_9null_typeES8_S8_S8_S8_S8_S8_S8_EEEEZNS1_11reduce_implILb1ES3_NS6_12zip_iteratorINS7_INS6_11hip_rocprim26transform_input_iterator_tIbPKhN2at6native10EqualsModeEEENSD_19counting_iterator_tIlEES8_S8_S8_S8_S8_S8_S8_S8_EEEEPS9_S9_NSD_9__find_if7functorIS9_EEEE10hipError_tPvRmT1_T2_T3_mT4_P12ihipStream_tbEUlT_E0_NS1_11comp_targetILNS1_3genE10ELNS1_11target_archE1200ELNS1_3gpuE4ELNS1_3repE0EEENS1_30default_config_static_selectorELNS0_4arch9wavefront6targetE1EEEvSW_,comdat
.Lfunc_end60:
	.size	_ZN7rocprim17ROCPRIM_400000_NS6detail17trampoline_kernelINS0_14default_configENS1_22reduce_config_selectorIN6thrust23THRUST_200600_302600_NS5tupleIblNS6_9null_typeES8_S8_S8_S8_S8_S8_S8_EEEEZNS1_11reduce_implILb1ES3_NS6_12zip_iteratorINS7_INS6_11hip_rocprim26transform_input_iterator_tIbPKhN2at6native10EqualsModeEEENSD_19counting_iterator_tIlEES8_S8_S8_S8_S8_S8_S8_S8_EEEEPS9_S9_NSD_9__find_if7functorIS9_EEEE10hipError_tPvRmT1_T2_T3_mT4_P12ihipStream_tbEUlT_E0_NS1_11comp_targetILNS1_3genE10ELNS1_11target_archE1200ELNS1_3gpuE4ELNS1_3repE0EEENS1_30default_config_static_selectorELNS0_4arch9wavefront6targetE1EEEvSW_, .Lfunc_end60-_ZN7rocprim17ROCPRIM_400000_NS6detail17trampoline_kernelINS0_14default_configENS1_22reduce_config_selectorIN6thrust23THRUST_200600_302600_NS5tupleIblNS6_9null_typeES8_S8_S8_S8_S8_S8_S8_EEEEZNS1_11reduce_implILb1ES3_NS6_12zip_iteratorINS7_INS6_11hip_rocprim26transform_input_iterator_tIbPKhN2at6native10EqualsModeEEENSD_19counting_iterator_tIlEES8_S8_S8_S8_S8_S8_S8_S8_EEEEPS9_S9_NSD_9__find_if7functorIS9_EEEE10hipError_tPvRmT1_T2_T3_mT4_P12ihipStream_tbEUlT_E0_NS1_11comp_targetILNS1_3genE10ELNS1_11target_archE1200ELNS1_3gpuE4ELNS1_3repE0EEENS1_30default_config_static_selectorELNS0_4arch9wavefront6targetE1EEEvSW_
                                        ; -- End function
	.set _ZN7rocprim17ROCPRIM_400000_NS6detail17trampoline_kernelINS0_14default_configENS1_22reduce_config_selectorIN6thrust23THRUST_200600_302600_NS5tupleIblNS6_9null_typeES8_S8_S8_S8_S8_S8_S8_EEEEZNS1_11reduce_implILb1ES3_NS6_12zip_iteratorINS7_INS6_11hip_rocprim26transform_input_iterator_tIbPKhN2at6native10EqualsModeEEENSD_19counting_iterator_tIlEES8_S8_S8_S8_S8_S8_S8_S8_EEEEPS9_S9_NSD_9__find_if7functorIS9_EEEE10hipError_tPvRmT1_T2_T3_mT4_P12ihipStream_tbEUlT_E0_NS1_11comp_targetILNS1_3genE10ELNS1_11target_archE1200ELNS1_3gpuE4ELNS1_3repE0EEENS1_30default_config_static_selectorELNS0_4arch9wavefront6targetE1EEEvSW_.num_vgpr, 0
	.set _ZN7rocprim17ROCPRIM_400000_NS6detail17trampoline_kernelINS0_14default_configENS1_22reduce_config_selectorIN6thrust23THRUST_200600_302600_NS5tupleIblNS6_9null_typeES8_S8_S8_S8_S8_S8_S8_EEEEZNS1_11reduce_implILb1ES3_NS6_12zip_iteratorINS7_INS6_11hip_rocprim26transform_input_iterator_tIbPKhN2at6native10EqualsModeEEENSD_19counting_iterator_tIlEES8_S8_S8_S8_S8_S8_S8_S8_EEEEPS9_S9_NSD_9__find_if7functorIS9_EEEE10hipError_tPvRmT1_T2_T3_mT4_P12ihipStream_tbEUlT_E0_NS1_11comp_targetILNS1_3genE10ELNS1_11target_archE1200ELNS1_3gpuE4ELNS1_3repE0EEENS1_30default_config_static_selectorELNS0_4arch9wavefront6targetE1EEEvSW_.num_agpr, 0
	.set _ZN7rocprim17ROCPRIM_400000_NS6detail17trampoline_kernelINS0_14default_configENS1_22reduce_config_selectorIN6thrust23THRUST_200600_302600_NS5tupleIblNS6_9null_typeES8_S8_S8_S8_S8_S8_S8_EEEEZNS1_11reduce_implILb1ES3_NS6_12zip_iteratorINS7_INS6_11hip_rocprim26transform_input_iterator_tIbPKhN2at6native10EqualsModeEEENSD_19counting_iterator_tIlEES8_S8_S8_S8_S8_S8_S8_S8_EEEEPS9_S9_NSD_9__find_if7functorIS9_EEEE10hipError_tPvRmT1_T2_T3_mT4_P12ihipStream_tbEUlT_E0_NS1_11comp_targetILNS1_3genE10ELNS1_11target_archE1200ELNS1_3gpuE4ELNS1_3repE0EEENS1_30default_config_static_selectorELNS0_4arch9wavefront6targetE1EEEvSW_.numbered_sgpr, 0
	.set _ZN7rocprim17ROCPRIM_400000_NS6detail17trampoline_kernelINS0_14default_configENS1_22reduce_config_selectorIN6thrust23THRUST_200600_302600_NS5tupleIblNS6_9null_typeES8_S8_S8_S8_S8_S8_S8_EEEEZNS1_11reduce_implILb1ES3_NS6_12zip_iteratorINS7_INS6_11hip_rocprim26transform_input_iterator_tIbPKhN2at6native10EqualsModeEEENSD_19counting_iterator_tIlEES8_S8_S8_S8_S8_S8_S8_S8_EEEEPS9_S9_NSD_9__find_if7functorIS9_EEEE10hipError_tPvRmT1_T2_T3_mT4_P12ihipStream_tbEUlT_E0_NS1_11comp_targetILNS1_3genE10ELNS1_11target_archE1200ELNS1_3gpuE4ELNS1_3repE0EEENS1_30default_config_static_selectorELNS0_4arch9wavefront6targetE1EEEvSW_.num_named_barrier, 0
	.set _ZN7rocprim17ROCPRIM_400000_NS6detail17trampoline_kernelINS0_14default_configENS1_22reduce_config_selectorIN6thrust23THRUST_200600_302600_NS5tupleIblNS6_9null_typeES8_S8_S8_S8_S8_S8_S8_EEEEZNS1_11reduce_implILb1ES3_NS6_12zip_iteratorINS7_INS6_11hip_rocprim26transform_input_iterator_tIbPKhN2at6native10EqualsModeEEENSD_19counting_iterator_tIlEES8_S8_S8_S8_S8_S8_S8_S8_EEEEPS9_S9_NSD_9__find_if7functorIS9_EEEE10hipError_tPvRmT1_T2_T3_mT4_P12ihipStream_tbEUlT_E0_NS1_11comp_targetILNS1_3genE10ELNS1_11target_archE1200ELNS1_3gpuE4ELNS1_3repE0EEENS1_30default_config_static_selectorELNS0_4arch9wavefront6targetE1EEEvSW_.private_seg_size, 0
	.set _ZN7rocprim17ROCPRIM_400000_NS6detail17trampoline_kernelINS0_14default_configENS1_22reduce_config_selectorIN6thrust23THRUST_200600_302600_NS5tupleIblNS6_9null_typeES8_S8_S8_S8_S8_S8_S8_EEEEZNS1_11reduce_implILb1ES3_NS6_12zip_iteratorINS7_INS6_11hip_rocprim26transform_input_iterator_tIbPKhN2at6native10EqualsModeEEENSD_19counting_iterator_tIlEES8_S8_S8_S8_S8_S8_S8_S8_EEEEPS9_S9_NSD_9__find_if7functorIS9_EEEE10hipError_tPvRmT1_T2_T3_mT4_P12ihipStream_tbEUlT_E0_NS1_11comp_targetILNS1_3genE10ELNS1_11target_archE1200ELNS1_3gpuE4ELNS1_3repE0EEENS1_30default_config_static_selectorELNS0_4arch9wavefront6targetE1EEEvSW_.uses_vcc, 0
	.set _ZN7rocprim17ROCPRIM_400000_NS6detail17trampoline_kernelINS0_14default_configENS1_22reduce_config_selectorIN6thrust23THRUST_200600_302600_NS5tupleIblNS6_9null_typeES8_S8_S8_S8_S8_S8_S8_EEEEZNS1_11reduce_implILb1ES3_NS6_12zip_iteratorINS7_INS6_11hip_rocprim26transform_input_iterator_tIbPKhN2at6native10EqualsModeEEENSD_19counting_iterator_tIlEES8_S8_S8_S8_S8_S8_S8_S8_EEEEPS9_S9_NSD_9__find_if7functorIS9_EEEE10hipError_tPvRmT1_T2_T3_mT4_P12ihipStream_tbEUlT_E0_NS1_11comp_targetILNS1_3genE10ELNS1_11target_archE1200ELNS1_3gpuE4ELNS1_3repE0EEENS1_30default_config_static_selectorELNS0_4arch9wavefront6targetE1EEEvSW_.uses_flat_scratch, 0
	.set _ZN7rocprim17ROCPRIM_400000_NS6detail17trampoline_kernelINS0_14default_configENS1_22reduce_config_selectorIN6thrust23THRUST_200600_302600_NS5tupleIblNS6_9null_typeES8_S8_S8_S8_S8_S8_S8_EEEEZNS1_11reduce_implILb1ES3_NS6_12zip_iteratorINS7_INS6_11hip_rocprim26transform_input_iterator_tIbPKhN2at6native10EqualsModeEEENSD_19counting_iterator_tIlEES8_S8_S8_S8_S8_S8_S8_S8_EEEEPS9_S9_NSD_9__find_if7functorIS9_EEEE10hipError_tPvRmT1_T2_T3_mT4_P12ihipStream_tbEUlT_E0_NS1_11comp_targetILNS1_3genE10ELNS1_11target_archE1200ELNS1_3gpuE4ELNS1_3repE0EEENS1_30default_config_static_selectorELNS0_4arch9wavefront6targetE1EEEvSW_.has_dyn_sized_stack, 0
	.set _ZN7rocprim17ROCPRIM_400000_NS6detail17trampoline_kernelINS0_14default_configENS1_22reduce_config_selectorIN6thrust23THRUST_200600_302600_NS5tupleIblNS6_9null_typeES8_S8_S8_S8_S8_S8_S8_EEEEZNS1_11reduce_implILb1ES3_NS6_12zip_iteratorINS7_INS6_11hip_rocprim26transform_input_iterator_tIbPKhN2at6native10EqualsModeEEENSD_19counting_iterator_tIlEES8_S8_S8_S8_S8_S8_S8_S8_EEEEPS9_S9_NSD_9__find_if7functorIS9_EEEE10hipError_tPvRmT1_T2_T3_mT4_P12ihipStream_tbEUlT_E0_NS1_11comp_targetILNS1_3genE10ELNS1_11target_archE1200ELNS1_3gpuE4ELNS1_3repE0EEENS1_30default_config_static_selectorELNS0_4arch9wavefront6targetE1EEEvSW_.has_recursion, 0
	.set _ZN7rocprim17ROCPRIM_400000_NS6detail17trampoline_kernelINS0_14default_configENS1_22reduce_config_selectorIN6thrust23THRUST_200600_302600_NS5tupleIblNS6_9null_typeES8_S8_S8_S8_S8_S8_S8_EEEEZNS1_11reduce_implILb1ES3_NS6_12zip_iteratorINS7_INS6_11hip_rocprim26transform_input_iterator_tIbPKhN2at6native10EqualsModeEEENSD_19counting_iterator_tIlEES8_S8_S8_S8_S8_S8_S8_S8_EEEEPS9_S9_NSD_9__find_if7functorIS9_EEEE10hipError_tPvRmT1_T2_T3_mT4_P12ihipStream_tbEUlT_E0_NS1_11comp_targetILNS1_3genE10ELNS1_11target_archE1200ELNS1_3gpuE4ELNS1_3repE0EEENS1_30default_config_static_selectorELNS0_4arch9wavefront6targetE1EEEvSW_.has_indirect_call, 0
	.section	.AMDGPU.csdata,"",@progbits
; Kernel info:
; codeLenInByte = 0
; TotalNumSgprs: 4
; NumVgprs: 0
; ScratchSize: 0
; MemoryBound: 0
; FloatMode: 240
; IeeeMode: 1
; LDSByteSize: 0 bytes/workgroup (compile time only)
; SGPRBlocks: 0
; VGPRBlocks: 0
; NumSGPRsForWavesPerEU: 4
; NumVGPRsForWavesPerEU: 1
; Occupancy: 10
; WaveLimiterHint : 0
; COMPUTE_PGM_RSRC2:SCRATCH_EN: 0
; COMPUTE_PGM_RSRC2:USER_SGPR: 6
; COMPUTE_PGM_RSRC2:TRAP_HANDLER: 0
; COMPUTE_PGM_RSRC2:TGID_X_EN: 1
; COMPUTE_PGM_RSRC2:TGID_Y_EN: 0
; COMPUTE_PGM_RSRC2:TGID_Z_EN: 0
; COMPUTE_PGM_RSRC2:TIDIG_COMP_CNT: 0
	.section	.text._ZN7rocprim17ROCPRIM_400000_NS6detail17trampoline_kernelINS0_14default_configENS1_22reduce_config_selectorIN6thrust23THRUST_200600_302600_NS5tupleIblNS6_9null_typeES8_S8_S8_S8_S8_S8_S8_EEEEZNS1_11reduce_implILb1ES3_NS6_12zip_iteratorINS7_INS6_11hip_rocprim26transform_input_iterator_tIbPKhN2at6native10EqualsModeEEENSD_19counting_iterator_tIlEES8_S8_S8_S8_S8_S8_S8_S8_EEEEPS9_S9_NSD_9__find_if7functorIS9_EEEE10hipError_tPvRmT1_T2_T3_mT4_P12ihipStream_tbEUlT_E0_NS1_11comp_targetILNS1_3genE9ELNS1_11target_archE1100ELNS1_3gpuE3ELNS1_3repE0EEENS1_30default_config_static_selectorELNS0_4arch9wavefront6targetE1EEEvSW_,"axG",@progbits,_ZN7rocprim17ROCPRIM_400000_NS6detail17trampoline_kernelINS0_14default_configENS1_22reduce_config_selectorIN6thrust23THRUST_200600_302600_NS5tupleIblNS6_9null_typeES8_S8_S8_S8_S8_S8_S8_EEEEZNS1_11reduce_implILb1ES3_NS6_12zip_iteratorINS7_INS6_11hip_rocprim26transform_input_iterator_tIbPKhN2at6native10EqualsModeEEENSD_19counting_iterator_tIlEES8_S8_S8_S8_S8_S8_S8_S8_EEEEPS9_S9_NSD_9__find_if7functorIS9_EEEE10hipError_tPvRmT1_T2_T3_mT4_P12ihipStream_tbEUlT_E0_NS1_11comp_targetILNS1_3genE9ELNS1_11target_archE1100ELNS1_3gpuE3ELNS1_3repE0EEENS1_30default_config_static_selectorELNS0_4arch9wavefront6targetE1EEEvSW_,comdat
	.protected	_ZN7rocprim17ROCPRIM_400000_NS6detail17trampoline_kernelINS0_14default_configENS1_22reduce_config_selectorIN6thrust23THRUST_200600_302600_NS5tupleIblNS6_9null_typeES8_S8_S8_S8_S8_S8_S8_EEEEZNS1_11reduce_implILb1ES3_NS6_12zip_iteratorINS7_INS6_11hip_rocprim26transform_input_iterator_tIbPKhN2at6native10EqualsModeEEENSD_19counting_iterator_tIlEES8_S8_S8_S8_S8_S8_S8_S8_EEEEPS9_S9_NSD_9__find_if7functorIS9_EEEE10hipError_tPvRmT1_T2_T3_mT4_P12ihipStream_tbEUlT_E0_NS1_11comp_targetILNS1_3genE9ELNS1_11target_archE1100ELNS1_3gpuE3ELNS1_3repE0EEENS1_30default_config_static_selectorELNS0_4arch9wavefront6targetE1EEEvSW_ ; -- Begin function _ZN7rocprim17ROCPRIM_400000_NS6detail17trampoline_kernelINS0_14default_configENS1_22reduce_config_selectorIN6thrust23THRUST_200600_302600_NS5tupleIblNS6_9null_typeES8_S8_S8_S8_S8_S8_S8_EEEEZNS1_11reduce_implILb1ES3_NS6_12zip_iteratorINS7_INS6_11hip_rocprim26transform_input_iterator_tIbPKhN2at6native10EqualsModeEEENSD_19counting_iterator_tIlEES8_S8_S8_S8_S8_S8_S8_S8_EEEEPS9_S9_NSD_9__find_if7functorIS9_EEEE10hipError_tPvRmT1_T2_T3_mT4_P12ihipStream_tbEUlT_E0_NS1_11comp_targetILNS1_3genE9ELNS1_11target_archE1100ELNS1_3gpuE3ELNS1_3repE0EEENS1_30default_config_static_selectorELNS0_4arch9wavefront6targetE1EEEvSW_
	.globl	_ZN7rocprim17ROCPRIM_400000_NS6detail17trampoline_kernelINS0_14default_configENS1_22reduce_config_selectorIN6thrust23THRUST_200600_302600_NS5tupleIblNS6_9null_typeES8_S8_S8_S8_S8_S8_S8_EEEEZNS1_11reduce_implILb1ES3_NS6_12zip_iteratorINS7_INS6_11hip_rocprim26transform_input_iterator_tIbPKhN2at6native10EqualsModeEEENSD_19counting_iterator_tIlEES8_S8_S8_S8_S8_S8_S8_S8_EEEEPS9_S9_NSD_9__find_if7functorIS9_EEEE10hipError_tPvRmT1_T2_T3_mT4_P12ihipStream_tbEUlT_E0_NS1_11comp_targetILNS1_3genE9ELNS1_11target_archE1100ELNS1_3gpuE3ELNS1_3repE0EEENS1_30default_config_static_selectorELNS0_4arch9wavefront6targetE1EEEvSW_
	.p2align	8
	.type	_ZN7rocprim17ROCPRIM_400000_NS6detail17trampoline_kernelINS0_14default_configENS1_22reduce_config_selectorIN6thrust23THRUST_200600_302600_NS5tupleIblNS6_9null_typeES8_S8_S8_S8_S8_S8_S8_EEEEZNS1_11reduce_implILb1ES3_NS6_12zip_iteratorINS7_INS6_11hip_rocprim26transform_input_iterator_tIbPKhN2at6native10EqualsModeEEENSD_19counting_iterator_tIlEES8_S8_S8_S8_S8_S8_S8_S8_EEEEPS9_S9_NSD_9__find_if7functorIS9_EEEE10hipError_tPvRmT1_T2_T3_mT4_P12ihipStream_tbEUlT_E0_NS1_11comp_targetILNS1_3genE9ELNS1_11target_archE1100ELNS1_3gpuE3ELNS1_3repE0EEENS1_30default_config_static_selectorELNS0_4arch9wavefront6targetE1EEEvSW_,@function
_ZN7rocprim17ROCPRIM_400000_NS6detail17trampoline_kernelINS0_14default_configENS1_22reduce_config_selectorIN6thrust23THRUST_200600_302600_NS5tupleIblNS6_9null_typeES8_S8_S8_S8_S8_S8_S8_EEEEZNS1_11reduce_implILb1ES3_NS6_12zip_iteratorINS7_INS6_11hip_rocprim26transform_input_iterator_tIbPKhN2at6native10EqualsModeEEENSD_19counting_iterator_tIlEES8_S8_S8_S8_S8_S8_S8_S8_EEEEPS9_S9_NSD_9__find_if7functorIS9_EEEE10hipError_tPvRmT1_T2_T3_mT4_P12ihipStream_tbEUlT_E0_NS1_11comp_targetILNS1_3genE9ELNS1_11target_archE1100ELNS1_3gpuE3ELNS1_3repE0EEENS1_30default_config_static_selectorELNS0_4arch9wavefront6targetE1EEEvSW_: ; @_ZN7rocprim17ROCPRIM_400000_NS6detail17trampoline_kernelINS0_14default_configENS1_22reduce_config_selectorIN6thrust23THRUST_200600_302600_NS5tupleIblNS6_9null_typeES8_S8_S8_S8_S8_S8_S8_EEEEZNS1_11reduce_implILb1ES3_NS6_12zip_iteratorINS7_INS6_11hip_rocprim26transform_input_iterator_tIbPKhN2at6native10EqualsModeEEENSD_19counting_iterator_tIlEES8_S8_S8_S8_S8_S8_S8_S8_EEEEPS9_S9_NSD_9__find_if7functorIS9_EEEE10hipError_tPvRmT1_T2_T3_mT4_P12ihipStream_tbEUlT_E0_NS1_11comp_targetILNS1_3genE9ELNS1_11target_archE1100ELNS1_3gpuE3ELNS1_3repE0EEENS1_30default_config_static_selectorELNS0_4arch9wavefront6targetE1EEEvSW_
; %bb.0:
	.section	.rodata,"a",@progbits
	.p2align	6, 0x0
	.amdhsa_kernel _ZN7rocprim17ROCPRIM_400000_NS6detail17trampoline_kernelINS0_14default_configENS1_22reduce_config_selectorIN6thrust23THRUST_200600_302600_NS5tupleIblNS6_9null_typeES8_S8_S8_S8_S8_S8_S8_EEEEZNS1_11reduce_implILb1ES3_NS6_12zip_iteratorINS7_INS6_11hip_rocprim26transform_input_iterator_tIbPKhN2at6native10EqualsModeEEENSD_19counting_iterator_tIlEES8_S8_S8_S8_S8_S8_S8_S8_EEEEPS9_S9_NSD_9__find_if7functorIS9_EEEE10hipError_tPvRmT1_T2_T3_mT4_P12ihipStream_tbEUlT_E0_NS1_11comp_targetILNS1_3genE9ELNS1_11target_archE1100ELNS1_3gpuE3ELNS1_3repE0EEENS1_30default_config_static_selectorELNS0_4arch9wavefront6targetE1EEEvSW_
		.amdhsa_group_segment_fixed_size 0
		.amdhsa_private_segment_fixed_size 0
		.amdhsa_kernarg_size 88
		.amdhsa_user_sgpr_count 6
		.amdhsa_user_sgpr_private_segment_buffer 1
		.amdhsa_user_sgpr_dispatch_ptr 0
		.amdhsa_user_sgpr_queue_ptr 0
		.amdhsa_user_sgpr_kernarg_segment_ptr 1
		.amdhsa_user_sgpr_dispatch_id 0
		.amdhsa_user_sgpr_flat_scratch_init 0
		.amdhsa_user_sgpr_private_segment_size 0
		.amdhsa_uses_dynamic_stack 0
		.amdhsa_system_sgpr_private_segment_wavefront_offset 0
		.amdhsa_system_sgpr_workgroup_id_x 1
		.amdhsa_system_sgpr_workgroup_id_y 0
		.amdhsa_system_sgpr_workgroup_id_z 0
		.amdhsa_system_sgpr_workgroup_info 0
		.amdhsa_system_vgpr_workitem_id 0
		.amdhsa_next_free_vgpr 1
		.amdhsa_next_free_sgpr 0
		.amdhsa_reserve_vcc 0
		.amdhsa_reserve_flat_scratch 0
		.amdhsa_float_round_mode_32 0
		.amdhsa_float_round_mode_16_64 0
		.amdhsa_float_denorm_mode_32 3
		.amdhsa_float_denorm_mode_16_64 3
		.amdhsa_dx10_clamp 1
		.amdhsa_ieee_mode 1
		.amdhsa_fp16_overflow 0
		.amdhsa_exception_fp_ieee_invalid_op 0
		.amdhsa_exception_fp_denorm_src 0
		.amdhsa_exception_fp_ieee_div_zero 0
		.amdhsa_exception_fp_ieee_overflow 0
		.amdhsa_exception_fp_ieee_underflow 0
		.amdhsa_exception_fp_ieee_inexact 0
		.amdhsa_exception_int_div_zero 0
	.end_amdhsa_kernel
	.section	.text._ZN7rocprim17ROCPRIM_400000_NS6detail17trampoline_kernelINS0_14default_configENS1_22reduce_config_selectorIN6thrust23THRUST_200600_302600_NS5tupleIblNS6_9null_typeES8_S8_S8_S8_S8_S8_S8_EEEEZNS1_11reduce_implILb1ES3_NS6_12zip_iteratorINS7_INS6_11hip_rocprim26transform_input_iterator_tIbPKhN2at6native10EqualsModeEEENSD_19counting_iterator_tIlEES8_S8_S8_S8_S8_S8_S8_S8_EEEEPS9_S9_NSD_9__find_if7functorIS9_EEEE10hipError_tPvRmT1_T2_T3_mT4_P12ihipStream_tbEUlT_E0_NS1_11comp_targetILNS1_3genE9ELNS1_11target_archE1100ELNS1_3gpuE3ELNS1_3repE0EEENS1_30default_config_static_selectorELNS0_4arch9wavefront6targetE1EEEvSW_,"axG",@progbits,_ZN7rocprim17ROCPRIM_400000_NS6detail17trampoline_kernelINS0_14default_configENS1_22reduce_config_selectorIN6thrust23THRUST_200600_302600_NS5tupleIblNS6_9null_typeES8_S8_S8_S8_S8_S8_S8_EEEEZNS1_11reduce_implILb1ES3_NS6_12zip_iteratorINS7_INS6_11hip_rocprim26transform_input_iterator_tIbPKhN2at6native10EqualsModeEEENSD_19counting_iterator_tIlEES8_S8_S8_S8_S8_S8_S8_S8_EEEEPS9_S9_NSD_9__find_if7functorIS9_EEEE10hipError_tPvRmT1_T2_T3_mT4_P12ihipStream_tbEUlT_E0_NS1_11comp_targetILNS1_3genE9ELNS1_11target_archE1100ELNS1_3gpuE3ELNS1_3repE0EEENS1_30default_config_static_selectorELNS0_4arch9wavefront6targetE1EEEvSW_,comdat
.Lfunc_end61:
	.size	_ZN7rocprim17ROCPRIM_400000_NS6detail17trampoline_kernelINS0_14default_configENS1_22reduce_config_selectorIN6thrust23THRUST_200600_302600_NS5tupleIblNS6_9null_typeES8_S8_S8_S8_S8_S8_S8_EEEEZNS1_11reduce_implILb1ES3_NS6_12zip_iteratorINS7_INS6_11hip_rocprim26transform_input_iterator_tIbPKhN2at6native10EqualsModeEEENSD_19counting_iterator_tIlEES8_S8_S8_S8_S8_S8_S8_S8_EEEEPS9_S9_NSD_9__find_if7functorIS9_EEEE10hipError_tPvRmT1_T2_T3_mT4_P12ihipStream_tbEUlT_E0_NS1_11comp_targetILNS1_3genE9ELNS1_11target_archE1100ELNS1_3gpuE3ELNS1_3repE0EEENS1_30default_config_static_selectorELNS0_4arch9wavefront6targetE1EEEvSW_, .Lfunc_end61-_ZN7rocprim17ROCPRIM_400000_NS6detail17trampoline_kernelINS0_14default_configENS1_22reduce_config_selectorIN6thrust23THRUST_200600_302600_NS5tupleIblNS6_9null_typeES8_S8_S8_S8_S8_S8_S8_EEEEZNS1_11reduce_implILb1ES3_NS6_12zip_iteratorINS7_INS6_11hip_rocprim26transform_input_iterator_tIbPKhN2at6native10EqualsModeEEENSD_19counting_iterator_tIlEES8_S8_S8_S8_S8_S8_S8_S8_EEEEPS9_S9_NSD_9__find_if7functorIS9_EEEE10hipError_tPvRmT1_T2_T3_mT4_P12ihipStream_tbEUlT_E0_NS1_11comp_targetILNS1_3genE9ELNS1_11target_archE1100ELNS1_3gpuE3ELNS1_3repE0EEENS1_30default_config_static_selectorELNS0_4arch9wavefront6targetE1EEEvSW_
                                        ; -- End function
	.set _ZN7rocprim17ROCPRIM_400000_NS6detail17trampoline_kernelINS0_14default_configENS1_22reduce_config_selectorIN6thrust23THRUST_200600_302600_NS5tupleIblNS6_9null_typeES8_S8_S8_S8_S8_S8_S8_EEEEZNS1_11reduce_implILb1ES3_NS6_12zip_iteratorINS7_INS6_11hip_rocprim26transform_input_iterator_tIbPKhN2at6native10EqualsModeEEENSD_19counting_iterator_tIlEES8_S8_S8_S8_S8_S8_S8_S8_EEEEPS9_S9_NSD_9__find_if7functorIS9_EEEE10hipError_tPvRmT1_T2_T3_mT4_P12ihipStream_tbEUlT_E0_NS1_11comp_targetILNS1_3genE9ELNS1_11target_archE1100ELNS1_3gpuE3ELNS1_3repE0EEENS1_30default_config_static_selectorELNS0_4arch9wavefront6targetE1EEEvSW_.num_vgpr, 0
	.set _ZN7rocprim17ROCPRIM_400000_NS6detail17trampoline_kernelINS0_14default_configENS1_22reduce_config_selectorIN6thrust23THRUST_200600_302600_NS5tupleIblNS6_9null_typeES8_S8_S8_S8_S8_S8_S8_EEEEZNS1_11reduce_implILb1ES3_NS6_12zip_iteratorINS7_INS6_11hip_rocprim26transform_input_iterator_tIbPKhN2at6native10EqualsModeEEENSD_19counting_iterator_tIlEES8_S8_S8_S8_S8_S8_S8_S8_EEEEPS9_S9_NSD_9__find_if7functorIS9_EEEE10hipError_tPvRmT1_T2_T3_mT4_P12ihipStream_tbEUlT_E0_NS1_11comp_targetILNS1_3genE9ELNS1_11target_archE1100ELNS1_3gpuE3ELNS1_3repE0EEENS1_30default_config_static_selectorELNS0_4arch9wavefront6targetE1EEEvSW_.num_agpr, 0
	.set _ZN7rocprim17ROCPRIM_400000_NS6detail17trampoline_kernelINS0_14default_configENS1_22reduce_config_selectorIN6thrust23THRUST_200600_302600_NS5tupleIblNS6_9null_typeES8_S8_S8_S8_S8_S8_S8_EEEEZNS1_11reduce_implILb1ES3_NS6_12zip_iteratorINS7_INS6_11hip_rocprim26transform_input_iterator_tIbPKhN2at6native10EqualsModeEEENSD_19counting_iterator_tIlEES8_S8_S8_S8_S8_S8_S8_S8_EEEEPS9_S9_NSD_9__find_if7functorIS9_EEEE10hipError_tPvRmT1_T2_T3_mT4_P12ihipStream_tbEUlT_E0_NS1_11comp_targetILNS1_3genE9ELNS1_11target_archE1100ELNS1_3gpuE3ELNS1_3repE0EEENS1_30default_config_static_selectorELNS0_4arch9wavefront6targetE1EEEvSW_.numbered_sgpr, 0
	.set _ZN7rocprim17ROCPRIM_400000_NS6detail17trampoline_kernelINS0_14default_configENS1_22reduce_config_selectorIN6thrust23THRUST_200600_302600_NS5tupleIblNS6_9null_typeES8_S8_S8_S8_S8_S8_S8_EEEEZNS1_11reduce_implILb1ES3_NS6_12zip_iteratorINS7_INS6_11hip_rocprim26transform_input_iterator_tIbPKhN2at6native10EqualsModeEEENSD_19counting_iterator_tIlEES8_S8_S8_S8_S8_S8_S8_S8_EEEEPS9_S9_NSD_9__find_if7functorIS9_EEEE10hipError_tPvRmT1_T2_T3_mT4_P12ihipStream_tbEUlT_E0_NS1_11comp_targetILNS1_3genE9ELNS1_11target_archE1100ELNS1_3gpuE3ELNS1_3repE0EEENS1_30default_config_static_selectorELNS0_4arch9wavefront6targetE1EEEvSW_.num_named_barrier, 0
	.set _ZN7rocprim17ROCPRIM_400000_NS6detail17trampoline_kernelINS0_14default_configENS1_22reduce_config_selectorIN6thrust23THRUST_200600_302600_NS5tupleIblNS6_9null_typeES8_S8_S8_S8_S8_S8_S8_EEEEZNS1_11reduce_implILb1ES3_NS6_12zip_iteratorINS7_INS6_11hip_rocprim26transform_input_iterator_tIbPKhN2at6native10EqualsModeEEENSD_19counting_iterator_tIlEES8_S8_S8_S8_S8_S8_S8_S8_EEEEPS9_S9_NSD_9__find_if7functorIS9_EEEE10hipError_tPvRmT1_T2_T3_mT4_P12ihipStream_tbEUlT_E0_NS1_11comp_targetILNS1_3genE9ELNS1_11target_archE1100ELNS1_3gpuE3ELNS1_3repE0EEENS1_30default_config_static_selectorELNS0_4arch9wavefront6targetE1EEEvSW_.private_seg_size, 0
	.set _ZN7rocprim17ROCPRIM_400000_NS6detail17trampoline_kernelINS0_14default_configENS1_22reduce_config_selectorIN6thrust23THRUST_200600_302600_NS5tupleIblNS6_9null_typeES8_S8_S8_S8_S8_S8_S8_EEEEZNS1_11reduce_implILb1ES3_NS6_12zip_iteratorINS7_INS6_11hip_rocprim26transform_input_iterator_tIbPKhN2at6native10EqualsModeEEENSD_19counting_iterator_tIlEES8_S8_S8_S8_S8_S8_S8_S8_EEEEPS9_S9_NSD_9__find_if7functorIS9_EEEE10hipError_tPvRmT1_T2_T3_mT4_P12ihipStream_tbEUlT_E0_NS1_11comp_targetILNS1_3genE9ELNS1_11target_archE1100ELNS1_3gpuE3ELNS1_3repE0EEENS1_30default_config_static_selectorELNS0_4arch9wavefront6targetE1EEEvSW_.uses_vcc, 0
	.set _ZN7rocprim17ROCPRIM_400000_NS6detail17trampoline_kernelINS0_14default_configENS1_22reduce_config_selectorIN6thrust23THRUST_200600_302600_NS5tupleIblNS6_9null_typeES8_S8_S8_S8_S8_S8_S8_EEEEZNS1_11reduce_implILb1ES3_NS6_12zip_iteratorINS7_INS6_11hip_rocprim26transform_input_iterator_tIbPKhN2at6native10EqualsModeEEENSD_19counting_iterator_tIlEES8_S8_S8_S8_S8_S8_S8_S8_EEEEPS9_S9_NSD_9__find_if7functorIS9_EEEE10hipError_tPvRmT1_T2_T3_mT4_P12ihipStream_tbEUlT_E0_NS1_11comp_targetILNS1_3genE9ELNS1_11target_archE1100ELNS1_3gpuE3ELNS1_3repE0EEENS1_30default_config_static_selectorELNS0_4arch9wavefront6targetE1EEEvSW_.uses_flat_scratch, 0
	.set _ZN7rocprim17ROCPRIM_400000_NS6detail17trampoline_kernelINS0_14default_configENS1_22reduce_config_selectorIN6thrust23THRUST_200600_302600_NS5tupleIblNS6_9null_typeES8_S8_S8_S8_S8_S8_S8_EEEEZNS1_11reduce_implILb1ES3_NS6_12zip_iteratorINS7_INS6_11hip_rocprim26transform_input_iterator_tIbPKhN2at6native10EqualsModeEEENSD_19counting_iterator_tIlEES8_S8_S8_S8_S8_S8_S8_S8_EEEEPS9_S9_NSD_9__find_if7functorIS9_EEEE10hipError_tPvRmT1_T2_T3_mT4_P12ihipStream_tbEUlT_E0_NS1_11comp_targetILNS1_3genE9ELNS1_11target_archE1100ELNS1_3gpuE3ELNS1_3repE0EEENS1_30default_config_static_selectorELNS0_4arch9wavefront6targetE1EEEvSW_.has_dyn_sized_stack, 0
	.set _ZN7rocprim17ROCPRIM_400000_NS6detail17trampoline_kernelINS0_14default_configENS1_22reduce_config_selectorIN6thrust23THRUST_200600_302600_NS5tupleIblNS6_9null_typeES8_S8_S8_S8_S8_S8_S8_EEEEZNS1_11reduce_implILb1ES3_NS6_12zip_iteratorINS7_INS6_11hip_rocprim26transform_input_iterator_tIbPKhN2at6native10EqualsModeEEENSD_19counting_iterator_tIlEES8_S8_S8_S8_S8_S8_S8_S8_EEEEPS9_S9_NSD_9__find_if7functorIS9_EEEE10hipError_tPvRmT1_T2_T3_mT4_P12ihipStream_tbEUlT_E0_NS1_11comp_targetILNS1_3genE9ELNS1_11target_archE1100ELNS1_3gpuE3ELNS1_3repE0EEENS1_30default_config_static_selectorELNS0_4arch9wavefront6targetE1EEEvSW_.has_recursion, 0
	.set _ZN7rocprim17ROCPRIM_400000_NS6detail17trampoline_kernelINS0_14default_configENS1_22reduce_config_selectorIN6thrust23THRUST_200600_302600_NS5tupleIblNS6_9null_typeES8_S8_S8_S8_S8_S8_S8_EEEEZNS1_11reduce_implILb1ES3_NS6_12zip_iteratorINS7_INS6_11hip_rocprim26transform_input_iterator_tIbPKhN2at6native10EqualsModeEEENSD_19counting_iterator_tIlEES8_S8_S8_S8_S8_S8_S8_S8_EEEEPS9_S9_NSD_9__find_if7functorIS9_EEEE10hipError_tPvRmT1_T2_T3_mT4_P12ihipStream_tbEUlT_E0_NS1_11comp_targetILNS1_3genE9ELNS1_11target_archE1100ELNS1_3gpuE3ELNS1_3repE0EEENS1_30default_config_static_selectorELNS0_4arch9wavefront6targetE1EEEvSW_.has_indirect_call, 0
	.section	.AMDGPU.csdata,"",@progbits
; Kernel info:
; codeLenInByte = 0
; TotalNumSgprs: 4
; NumVgprs: 0
; ScratchSize: 0
; MemoryBound: 0
; FloatMode: 240
; IeeeMode: 1
; LDSByteSize: 0 bytes/workgroup (compile time only)
; SGPRBlocks: 0
; VGPRBlocks: 0
; NumSGPRsForWavesPerEU: 4
; NumVGPRsForWavesPerEU: 1
; Occupancy: 10
; WaveLimiterHint : 0
; COMPUTE_PGM_RSRC2:SCRATCH_EN: 0
; COMPUTE_PGM_RSRC2:USER_SGPR: 6
; COMPUTE_PGM_RSRC2:TRAP_HANDLER: 0
; COMPUTE_PGM_RSRC2:TGID_X_EN: 1
; COMPUTE_PGM_RSRC2:TGID_Y_EN: 0
; COMPUTE_PGM_RSRC2:TGID_Z_EN: 0
; COMPUTE_PGM_RSRC2:TIDIG_COMP_CNT: 0
	.section	.text._ZN7rocprim17ROCPRIM_400000_NS6detail17trampoline_kernelINS0_14default_configENS1_22reduce_config_selectorIN6thrust23THRUST_200600_302600_NS5tupleIblNS6_9null_typeES8_S8_S8_S8_S8_S8_S8_EEEEZNS1_11reduce_implILb1ES3_NS6_12zip_iteratorINS7_INS6_11hip_rocprim26transform_input_iterator_tIbPKhN2at6native10EqualsModeEEENSD_19counting_iterator_tIlEES8_S8_S8_S8_S8_S8_S8_S8_EEEEPS9_S9_NSD_9__find_if7functorIS9_EEEE10hipError_tPvRmT1_T2_T3_mT4_P12ihipStream_tbEUlT_E0_NS1_11comp_targetILNS1_3genE8ELNS1_11target_archE1030ELNS1_3gpuE2ELNS1_3repE0EEENS1_30default_config_static_selectorELNS0_4arch9wavefront6targetE1EEEvSW_,"axG",@progbits,_ZN7rocprim17ROCPRIM_400000_NS6detail17trampoline_kernelINS0_14default_configENS1_22reduce_config_selectorIN6thrust23THRUST_200600_302600_NS5tupleIblNS6_9null_typeES8_S8_S8_S8_S8_S8_S8_EEEEZNS1_11reduce_implILb1ES3_NS6_12zip_iteratorINS7_INS6_11hip_rocprim26transform_input_iterator_tIbPKhN2at6native10EqualsModeEEENSD_19counting_iterator_tIlEES8_S8_S8_S8_S8_S8_S8_S8_EEEEPS9_S9_NSD_9__find_if7functorIS9_EEEE10hipError_tPvRmT1_T2_T3_mT4_P12ihipStream_tbEUlT_E0_NS1_11comp_targetILNS1_3genE8ELNS1_11target_archE1030ELNS1_3gpuE2ELNS1_3repE0EEENS1_30default_config_static_selectorELNS0_4arch9wavefront6targetE1EEEvSW_,comdat
	.protected	_ZN7rocprim17ROCPRIM_400000_NS6detail17trampoline_kernelINS0_14default_configENS1_22reduce_config_selectorIN6thrust23THRUST_200600_302600_NS5tupleIblNS6_9null_typeES8_S8_S8_S8_S8_S8_S8_EEEEZNS1_11reduce_implILb1ES3_NS6_12zip_iteratorINS7_INS6_11hip_rocprim26transform_input_iterator_tIbPKhN2at6native10EqualsModeEEENSD_19counting_iterator_tIlEES8_S8_S8_S8_S8_S8_S8_S8_EEEEPS9_S9_NSD_9__find_if7functorIS9_EEEE10hipError_tPvRmT1_T2_T3_mT4_P12ihipStream_tbEUlT_E0_NS1_11comp_targetILNS1_3genE8ELNS1_11target_archE1030ELNS1_3gpuE2ELNS1_3repE0EEENS1_30default_config_static_selectorELNS0_4arch9wavefront6targetE1EEEvSW_ ; -- Begin function _ZN7rocprim17ROCPRIM_400000_NS6detail17trampoline_kernelINS0_14default_configENS1_22reduce_config_selectorIN6thrust23THRUST_200600_302600_NS5tupleIblNS6_9null_typeES8_S8_S8_S8_S8_S8_S8_EEEEZNS1_11reduce_implILb1ES3_NS6_12zip_iteratorINS7_INS6_11hip_rocprim26transform_input_iterator_tIbPKhN2at6native10EqualsModeEEENSD_19counting_iterator_tIlEES8_S8_S8_S8_S8_S8_S8_S8_EEEEPS9_S9_NSD_9__find_if7functorIS9_EEEE10hipError_tPvRmT1_T2_T3_mT4_P12ihipStream_tbEUlT_E0_NS1_11comp_targetILNS1_3genE8ELNS1_11target_archE1030ELNS1_3gpuE2ELNS1_3repE0EEENS1_30default_config_static_selectorELNS0_4arch9wavefront6targetE1EEEvSW_
	.globl	_ZN7rocprim17ROCPRIM_400000_NS6detail17trampoline_kernelINS0_14default_configENS1_22reduce_config_selectorIN6thrust23THRUST_200600_302600_NS5tupleIblNS6_9null_typeES8_S8_S8_S8_S8_S8_S8_EEEEZNS1_11reduce_implILb1ES3_NS6_12zip_iteratorINS7_INS6_11hip_rocprim26transform_input_iterator_tIbPKhN2at6native10EqualsModeEEENSD_19counting_iterator_tIlEES8_S8_S8_S8_S8_S8_S8_S8_EEEEPS9_S9_NSD_9__find_if7functorIS9_EEEE10hipError_tPvRmT1_T2_T3_mT4_P12ihipStream_tbEUlT_E0_NS1_11comp_targetILNS1_3genE8ELNS1_11target_archE1030ELNS1_3gpuE2ELNS1_3repE0EEENS1_30default_config_static_selectorELNS0_4arch9wavefront6targetE1EEEvSW_
	.p2align	8
	.type	_ZN7rocprim17ROCPRIM_400000_NS6detail17trampoline_kernelINS0_14default_configENS1_22reduce_config_selectorIN6thrust23THRUST_200600_302600_NS5tupleIblNS6_9null_typeES8_S8_S8_S8_S8_S8_S8_EEEEZNS1_11reduce_implILb1ES3_NS6_12zip_iteratorINS7_INS6_11hip_rocprim26transform_input_iterator_tIbPKhN2at6native10EqualsModeEEENSD_19counting_iterator_tIlEES8_S8_S8_S8_S8_S8_S8_S8_EEEEPS9_S9_NSD_9__find_if7functorIS9_EEEE10hipError_tPvRmT1_T2_T3_mT4_P12ihipStream_tbEUlT_E0_NS1_11comp_targetILNS1_3genE8ELNS1_11target_archE1030ELNS1_3gpuE2ELNS1_3repE0EEENS1_30default_config_static_selectorELNS0_4arch9wavefront6targetE1EEEvSW_,@function
_ZN7rocprim17ROCPRIM_400000_NS6detail17trampoline_kernelINS0_14default_configENS1_22reduce_config_selectorIN6thrust23THRUST_200600_302600_NS5tupleIblNS6_9null_typeES8_S8_S8_S8_S8_S8_S8_EEEEZNS1_11reduce_implILb1ES3_NS6_12zip_iteratorINS7_INS6_11hip_rocprim26transform_input_iterator_tIbPKhN2at6native10EqualsModeEEENSD_19counting_iterator_tIlEES8_S8_S8_S8_S8_S8_S8_S8_EEEEPS9_S9_NSD_9__find_if7functorIS9_EEEE10hipError_tPvRmT1_T2_T3_mT4_P12ihipStream_tbEUlT_E0_NS1_11comp_targetILNS1_3genE8ELNS1_11target_archE1030ELNS1_3gpuE2ELNS1_3repE0EEENS1_30default_config_static_selectorELNS0_4arch9wavefront6targetE1EEEvSW_: ; @_ZN7rocprim17ROCPRIM_400000_NS6detail17trampoline_kernelINS0_14default_configENS1_22reduce_config_selectorIN6thrust23THRUST_200600_302600_NS5tupleIblNS6_9null_typeES8_S8_S8_S8_S8_S8_S8_EEEEZNS1_11reduce_implILb1ES3_NS6_12zip_iteratorINS7_INS6_11hip_rocprim26transform_input_iterator_tIbPKhN2at6native10EqualsModeEEENSD_19counting_iterator_tIlEES8_S8_S8_S8_S8_S8_S8_S8_EEEEPS9_S9_NSD_9__find_if7functorIS9_EEEE10hipError_tPvRmT1_T2_T3_mT4_P12ihipStream_tbEUlT_E0_NS1_11comp_targetILNS1_3genE8ELNS1_11target_archE1030ELNS1_3gpuE2ELNS1_3repE0EEENS1_30default_config_static_selectorELNS0_4arch9wavefront6targetE1EEEvSW_
; %bb.0:
	.section	.rodata,"a",@progbits
	.p2align	6, 0x0
	.amdhsa_kernel _ZN7rocprim17ROCPRIM_400000_NS6detail17trampoline_kernelINS0_14default_configENS1_22reduce_config_selectorIN6thrust23THRUST_200600_302600_NS5tupleIblNS6_9null_typeES8_S8_S8_S8_S8_S8_S8_EEEEZNS1_11reduce_implILb1ES3_NS6_12zip_iteratorINS7_INS6_11hip_rocprim26transform_input_iterator_tIbPKhN2at6native10EqualsModeEEENSD_19counting_iterator_tIlEES8_S8_S8_S8_S8_S8_S8_S8_EEEEPS9_S9_NSD_9__find_if7functorIS9_EEEE10hipError_tPvRmT1_T2_T3_mT4_P12ihipStream_tbEUlT_E0_NS1_11comp_targetILNS1_3genE8ELNS1_11target_archE1030ELNS1_3gpuE2ELNS1_3repE0EEENS1_30default_config_static_selectorELNS0_4arch9wavefront6targetE1EEEvSW_
		.amdhsa_group_segment_fixed_size 0
		.amdhsa_private_segment_fixed_size 0
		.amdhsa_kernarg_size 88
		.amdhsa_user_sgpr_count 6
		.amdhsa_user_sgpr_private_segment_buffer 1
		.amdhsa_user_sgpr_dispatch_ptr 0
		.amdhsa_user_sgpr_queue_ptr 0
		.amdhsa_user_sgpr_kernarg_segment_ptr 1
		.amdhsa_user_sgpr_dispatch_id 0
		.amdhsa_user_sgpr_flat_scratch_init 0
		.amdhsa_user_sgpr_private_segment_size 0
		.amdhsa_uses_dynamic_stack 0
		.amdhsa_system_sgpr_private_segment_wavefront_offset 0
		.amdhsa_system_sgpr_workgroup_id_x 1
		.amdhsa_system_sgpr_workgroup_id_y 0
		.amdhsa_system_sgpr_workgroup_id_z 0
		.amdhsa_system_sgpr_workgroup_info 0
		.amdhsa_system_vgpr_workitem_id 0
		.amdhsa_next_free_vgpr 1
		.amdhsa_next_free_sgpr 0
		.amdhsa_reserve_vcc 0
		.amdhsa_reserve_flat_scratch 0
		.amdhsa_float_round_mode_32 0
		.amdhsa_float_round_mode_16_64 0
		.amdhsa_float_denorm_mode_32 3
		.amdhsa_float_denorm_mode_16_64 3
		.amdhsa_dx10_clamp 1
		.amdhsa_ieee_mode 1
		.amdhsa_fp16_overflow 0
		.amdhsa_exception_fp_ieee_invalid_op 0
		.amdhsa_exception_fp_denorm_src 0
		.amdhsa_exception_fp_ieee_div_zero 0
		.amdhsa_exception_fp_ieee_overflow 0
		.amdhsa_exception_fp_ieee_underflow 0
		.amdhsa_exception_fp_ieee_inexact 0
		.amdhsa_exception_int_div_zero 0
	.end_amdhsa_kernel
	.section	.text._ZN7rocprim17ROCPRIM_400000_NS6detail17trampoline_kernelINS0_14default_configENS1_22reduce_config_selectorIN6thrust23THRUST_200600_302600_NS5tupleIblNS6_9null_typeES8_S8_S8_S8_S8_S8_S8_EEEEZNS1_11reduce_implILb1ES3_NS6_12zip_iteratorINS7_INS6_11hip_rocprim26transform_input_iterator_tIbPKhN2at6native10EqualsModeEEENSD_19counting_iterator_tIlEES8_S8_S8_S8_S8_S8_S8_S8_EEEEPS9_S9_NSD_9__find_if7functorIS9_EEEE10hipError_tPvRmT1_T2_T3_mT4_P12ihipStream_tbEUlT_E0_NS1_11comp_targetILNS1_3genE8ELNS1_11target_archE1030ELNS1_3gpuE2ELNS1_3repE0EEENS1_30default_config_static_selectorELNS0_4arch9wavefront6targetE1EEEvSW_,"axG",@progbits,_ZN7rocprim17ROCPRIM_400000_NS6detail17trampoline_kernelINS0_14default_configENS1_22reduce_config_selectorIN6thrust23THRUST_200600_302600_NS5tupleIblNS6_9null_typeES8_S8_S8_S8_S8_S8_S8_EEEEZNS1_11reduce_implILb1ES3_NS6_12zip_iteratorINS7_INS6_11hip_rocprim26transform_input_iterator_tIbPKhN2at6native10EqualsModeEEENSD_19counting_iterator_tIlEES8_S8_S8_S8_S8_S8_S8_S8_EEEEPS9_S9_NSD_9__find_if7functorIS9_EEEE10hipError_tPvRmT1_T2_T3_mT4_P12ihipStream_tbEUlT_E0_NS1_11comp_targetILNS1_3genE8ELNS1_11target_archE1030ELNS1_3gpuE2ELNS1_3repE0EEENS1_30default_config_static_selectorELNS0_4arch9wavefront6targetE1EEEvSW_,comdat
.Lfunc_end62:
	.size	_ZN7rocprim17ROCPRIM_400000_NS6detail17trampoline_kernelINS0_14default_configENS1_22reduce_config_selectorIN6thrust23THRUST_200600_302600_NS5tupleIblNS6_9null_typeES8_S8_S8_S8_S8_S8_S8_EEEEZNS1_11reduce_implILb1ES3_NS6_12zip_iteratorINS7_INS6_11hip_rocprim26transform_input_iterator_tIbPKhN2at6native10EqualsModeEEENSD_19counting_iterator_tIlEES8_S8_S8_S8_S8_S8_S8_S8_EEEEPS9_S9_NSD_9__find_if7functorIS9_EEEE10hipError_tPvRmT1_T2_T3_mT4_P12ihipStream_tbEUlT_E0_NS1_11comp_targetILNS1_3genE8ELNS1_11target_archE1030ELNS1_3gpuE2ELNS1_3repE0EEENS1_30default_config_static_selectorELNS0_4arch9wavefront6targetE1EEEvSW_, .Lfunc_end62-_ZN7rocprim17ROCPRIM_400000_NS6detail17trampoline_kernelINS0_14default_configENS1_22reduce_config_selectorIN6thrust23THRUST_200600_302600_NS5tupleIblNS6_9null_typeES8_S8_S8_S8_S8_S8_S8_EEEEZNS1_11reduce_implILb1ES3_NS6_12zip_iteratorINS7_INS6_11hip_rocprim26transform_input_iterator_tIbPKhN2at6native10EqualsModeEEENSD_19counting_iterator_tIlEES8_S8_S8_S8_S8_S8_S8_S8_EEEEPS9_S9_NSD_9__find_if7functorIS9_EEEE10hipError_tPvRmT1_T2_T3_mT4_P12ihipStream_tbEUlT_E0_NS1_11comp_targetILNS1_3genE8ELNS1_11target_archE1030ELNS1_3gpuE2ELNS1_3repE0EEENS1_30default_config_static_selectorELNS0_4arch9wavefront6targetE1EEEvSW_
                                        ; -- End function
	.set _ZN7rocprim17ROCPRIM_400000_NS6detail17trampoline_kernelINS0_14default_configENS1_22reduce_config_selectorIN6thrust23THRUST_200600_302600_NS5tupleIblNS6_9null_typeES8_S8_S8_S8_S8_S8_S8_EEEEZNS1_11reduce_implILb1ES3_NS6_12zip_iteratorINS7_INS6_11hip_rocprim26transform_input_iterator_tIbPKhN2at6native10EqualsModeEEENSD_19counting_iterator_tIlEES8_S8_S8_S8_S8_S8_S8_S8_EEEEPS9_S9_NSD_9__find_if7functorIS9_EEEE10hipError_tPvRmT1_T2_T3_mT4_P12ihipStream_tbEUlT_E0_NS1_11comp_targetILNS1_3genE8ELNS1_11target_archE1030ELNS1_3gpuE2ELNS1_3repE0EEENS1_30default_config_static_selectorELNS0_4arch9wavefront6targetE1EEEvSW_.num_vgpr, 0
	.set _ZN7rocprim17ROCPRIM_400000_NS6detail17trampoline_kernelINS0_14default_configENS1_22reduce_config_selectorIN6thrust23THRUST_200600_302600_NS5tupleIblNS6_9null_typeES8_S8_S8_S8_S8_S8_S8_EEEEZNS1_11reduce_implILb1ES3_NS6_12zip_iteratorINS7_INS6_11hip_rocprim26transform_input_iterator_tIbPKhN2at6native10EqualsModeEEENSD_19counting_iterator_tIlEES8_S8_S8_S8_S8_S8_S8_S8_EEEEPS9_S9_NSD_9__find_if7functorIS9_EEEE10hipError_tPvRmT1_T2_T3_mT4_P12ihipStream_tbEUlT_E0_NS1_11comp_targetILNS1_3genE8ELNS1_11target_archE1030ELNS1_3gpuE2ELNS1_3repE0EEENS1_30default_config_static_selectorELNS0_4arch9wavefront6targetE1EEEvSW_.num_agpr, 0
	.set _ZN7rocprim17ROCPRIM_400000_NS6detail17trampoline_kernelINS0_14default_configENS1_22reduce_config_selectorIN6thrust23THRUST_200600_302600_NS5tupleIblNS6_9null_typeES8_S8_S8_S8_S8_S8_S8_EEEEZNS1_11reduce_implILb1ES3_NS6_12zip_iteratorINS7_INS6_11hip_rocprim26transform_input_iterator_tIbPKhN2at6native10EqualsModeEEENSD_19counting_iterator_tIlEES8_S8_S8_S8_S8_S8_S8_S8_EEEEPS9_S9_NSD_9__find_if7functorIS9_EEEE10hipError_tPvRmT1_T2_T3_mT4_P12ihipStream_tbEUlT_E0_NS1_11comp_targetILNS1_3genE8ELNS1_11target_archE1030ELNS1_3gpuE2ELNS1_3repE0EEENS1_30default_config_static_selectorELNS0_4arch9wavefront6targetE1EEEvSW_.numbered_sgpr, 0
	.set _ZN7rocprim17ROCPRIM_400000_NS6detail17trampoline_kernelINS0_14default_configENS1_22reduce_config_selectorIN6thrust23THRUST_200600_302600_NS5tupleIblNS6_9null_typeES8_S8_S8_S8_S8_S8_S8_EEEEZNS1_11reduce_implILb1ES3_NS6_12zip_iteratorINS7_INS6_11hip_rocprim26transform_input_iterator_tIbPKhN2at6native10EqualsModeEEENSD_19counting_iterator_tIlEES8_S8_S8_S8_S8_S8_S8_S8_EEEEPS9_S9_NSD_9__find_if7functorIS9_EEEE10hipError_tPvRmT1_T2_T3_mT4_P12ihipStream_tbEUlT_E0_NS1_11comp_targetILNS1_3genE8ELNS1_11target_archE1030ELNS1_3gpuE2ELNS1_3repE0EEENS1_30default_config_static_selectorELNS0_4arch9wavefront6targetE1EEEvSW_.num_named_barrier, 0
	.set _ZN7rocprim17ROCPRIM_400000_NS6detail17trampoline_kernelINS0_14default_configENS1_22reduce_config_selectorIN6thrust23THRUST_200600_302600_NS5tupleIblNS6_9null_typeES8_S8_S8_S8_S8_S8_S8_EEEEZNS1_11reduce_implILb1ES3_NS6_12zip_iteratorINS7_INS6_11hip_rocprim26transform_input_iterator_tIbPKhN2at6native10EqualsModeEEENSD_19counting_iterator_tIlEES8_S8_S8_S8_S8_S8_S8_S8_EEEEPS9_S9_NSD_9__find_if7functorIS9_EEEE10hipError_tPvRmT1_T2_T3_mT4_P12ihipStream_tbEUlT_E0_NS1_11comp_targetILNS1_3genE8ELNS1_11target_archE1030ELNS1_3gpuE2ELNS1_3repE0EEENS1_30default_config_static_selectorELNS0_4arch9wavefront6targetE1EEEvSW_.private_seg_size, 0
	.set _ZN7rocprim17ROCPRIM_400000_NS6detail17trampoline_kernelINS0_14default_configENS1_22reduce_config_selectorIN6thrust23THRUST_200600_302600_NS5tupleIblNS6_9null_typeES8_S8_S8_S8_S8_S8_S8_EEEEZNS1_11reduce_implILb1ES3_NS6_12zip_iteratorINS7_INS6_11hip_rocprim26transform_input_iterator_tIbPKhN2at6native10EqualsModeEEENSD_19counting_iterator_tIlEES8_S8_S8_S8_S8_S8_S8_S8_EEEEPS9_S9_NSD_9__find_if7functorIS9_EEEE10hipError_tPvRmT1_T2_T3_mT4_P12ihipStream_tbEUlT_E0_NS1_11comp_targetILNS1_3genE8ELNS1_11target_archE1030ELNS1_3gpuE2ELNS1_3repE0EEENS1_30default_config_static_selectorELNS0_4arch9wavefront6targetE1EEEvSW_.uses_vcc, 0
	.set _ZN7rocprim17ROCPRIM_400000_NS6detail17trampoline_kernelINS0_14default_configENS1_22reduce_config_selectorIN6thrust23THRUST_200600_302600_NS5tupleIblNS6_9null_typeES8_S8_S8_S8_S8_S8_S8_EEEEZNS1_11reduce_implILb1ES3_NS6_12zip_iteratorINS7_INS6_11hip_rocprim26transform_input_iterator_tIbPKhN2at6native10EqualsModeEEENSD_19counting_iterator_tIlEES8_S8_S8_S8_S8_S8_S8_S8_EEEEPS9_S9_NSD_9__find_if7functorIS9_EEEE10hipError_tPvRmT1_T2_T3_mT4_P12ihipStream_tbEUlT_E0_NS1_11comp_targetILNS1_3genE8ELNS1_11target_archE1030ELNS1_3gpuE2ELNS1_3repE0EEENS1_30default_config_static_selectorELNS0_4arch9wavefront6targetE1EEEvSW_.uses_flat_scratch, 0
	.set _ZN7rocprim17ROCPRIM_400000_NS6detail17trampoline_kernelINS0_14default_configENS1_22reduce_config_selectorIN6thrust23THRUST_200600_302600_NS5tupleIblNS6_9null_typeES8_S8_S8_S8_S8_S8_S8_EEEEZNS1_11reduce_implILb1ES3_NS6_12zip_iteratorINS7_INS6_11hip_rocprim26transform_input_iterator_tIbPKhN2at6native10EqualsModeEEENSD_19counting_iterator_tIlEES8_S8_S8_S8_S8_S8_S8_S8_EEEEPS9_S9_NSD_9__find_if7functorIS9_EEEE10hipError_tPvRmT1_T2_T3_mT4_P12ihipStream_tbEUlT_E0_NS1_11comp_targetILNS1_3genE8ELNS1_11target_archE1030ELNS1_3gpuE2ELNS1_3repE0EEENS1_30default_config_static_selectorELNS0_4arch9wavefront6targetE1EEEvSW_.has_dyn_sized_stack, 0
	.set _ZN7rocprim17ROCPRIM_400000_NS6detail17trampoline_kernelINS0_14default_configENS1_22reduce_config_selectorIN6thrust23THRUST_200600_302600_NS5tupleIblNS6_9null_typeES8_S8_S8_S8_S8_S8_S8_EEEEZNS1_11reduce_implILb1ES3_NS6_12zip_iteratorINS7_INS6_11hip_rocprim26transform_input_iterator_tIbPKhN2at6native10EqualsModeEEENSD_19counting_iterator_tIlEES8_S8_S8_S8_S8_S8_S8_S8_EEEEPS9_S9_NSD_9__find_if7functorIS9_EEEE10hipError_tPvRmT1_T2_T3_mT4_P12ihipStream_tbEUlT_E0_NS1_11comp_targetILNS1_3genE8ELNS1_11target_archE1030ELNS1_3gpuE2ELNS1_3repE0EEENS1_30default_config_static_selectorELNS0_4arch9wavefront6targetE1EEEvSW_.has_recursion, 0
	.set _ZN7rocprim17ROCPRIM_400000_NS6detail17trampoline_kernelINS0_14default_configENS1_22reduce_config_selectorIN6thrust23THRUST_200600_302600_NS5tupleIblNS6_9null_typeES8_S8_S8_S8_S8_S8_S8_EEEEZNS1_11reduce_implILb1ES3_NS6_12zip_iteratorINS7_INS6_11hip_rocprim26transform_input_iterator_tIbPKhN2at6native10EqualsModeEEENSD_19counting_iterator_tIlEES8_S8_S8_S8_S8_S8_S8_S8_EEEEPS9_S9_NSD_9__find_if7functorIS9_EEEE10hipError_tPvRmT1_T2_T3_mT4_P12ihipStream_tbEUlT_E0_NS1_11comp_targetILNS1_3genE8ELNS1_11target_archE1030ELNS1_3gpuE2ELNS1_3repE0EEENS1_30default_config_static_selectorELNS0_4arch9wavefront6targetE1EEEvSW_.has_indirect_call, 0
	.section	.AMDGPU.csdata,"",@progbits
; Kernel info:
; codeLenInByte = 0
; TotalNumSgprs: 4
; NumVgprs: 0
; ScratchSize: 0
; MemoryBound: 0
; FloatMode: 240
; IeeeMode: 1
; LDSByteSize: 0 bytes/workgroup (compile time only)
; SGPRBlocks: 0
; VGPRBlocks: 0
; NumSGPRsForWavesPerEU: 4
; NumVGPRsForWavesPerEU: 1
; Occupancy: 10
; WaveLimiterHint : 0
; COMPUTE_PGM_RSRC2:SCRATCH_EN: 0
; COMPUTE_PGM_RSRC2:USER_SGPR: 6
; COMPUTE_PGM_RSRC2:TRAP_HANDLER: 0
; COMPUTE_PGM_RSRC2:TGID_X_EN: 1
; COMPUTE_PGM_RSRC2:TGID_Y_EN: 0
; COMPUTE_PGM_RSRC2:TGID_Z_EN: 0
; COMPUTE_PGM_RSRC2:TIDIG_COMP_CNT: 0
	.section	.text._ZN7rocprim17ROCPRIM_400000_NS6detail17trampoline_kernelINS0_14default_configENS1_22reduce_config_selectorIN6thrust23THRUST_200600_302600_NS5tupleIblNS6_9null_typeES8_S8_S8_S8_S8_S8_S8_EEEEZNS1_11reduce_implILb1ES3_NS6_12zip_iteratorINS7_INS6_11hip_rocprim26transform_input_iterator_tIbPKhN2at6native10EqualsModeEEENSD_19counting_iterator_tIlEES8_S8_S8_S8_S8_S8_S8_S8_EEEEPS9_S9_NSD_9__find_if7functorIS9_EEEE10hipError_tPvRmT1_T2_T3_mT4_P12ihipStream_tbEUlT_E1_NS1_11comp_targetILNS1_3genE0ELNS1_11target_archE4294967295ELNS1_3gpuE0ELNS1_3repE0EEENS1_30default_config_static_selectorELNS0_4arch9wavefront6targetE1EEEvSW_,"axG",@progbits,_ZN7rocprim17ROCPRIM_400000_NS6detail17trampoline_kernelINS0_14default_configENS1_22reduce_config_selectorIN6thrust23THRUST_200600_302600_NS5tupleIblNS6_9null_typeES8_S8_S8_S8_S8_S8_S8_EEEEZNS1_11reduce_implILb1ES3_NS6_12zip_iteratorINS7_INS6_11hip_rocprim26transform_input_iterator_tIbPKhN2at6native10EqualsModeEEENSD_19counting_iterator_tIlEES8_S8_S8_S8_S8_S8_S8_S8_EEEEPS9_S9_NSD_9__find_if7functorIS9_EEEE10hipError_tPvRmT1_T2_T3_mT4_P12ihipStream_tbEUlT_E1_NS1_11comp_targetILNS1_3genE0ELNS1_11target_archE4294967295ELNS1_3gpuE0ELNS1_3repE0EEENS1_30default_config_static_selectorELNS0_4arch9wavefront6targetE1EEEvSW_,comdat
	.protected	_ZN7rocprim17ROCPRIM_400000_NS6detail17trampoline_kernelINS0_14default_configENS1_22reduce_config_selectorIN6thrust23THRUST_200600_302600_NS5tupleIblNS6_9null_typeES8_S8_S8_S8_S8_S8_S8_EEEEZNS1_11reduce_implILb1ES3_NS6_12zip_iteratorINS7_INS6_11hip_rocprim26transform_input_iterator_tIbPKhN2at6native10EqualsModeEEENSD_19counting_iterator_tIlEES8_S8_S8_S8_S8_S8_S8_S8_EEEEPS9_S9_NSD_9__find_if7functorIS9_EEEE10hipError_tPvRmT1_T2_T3_mT4_P12ihipStream_tbEUlT_E1_NS1_11comp_targetILNS1_3genE0ELNS1_11target_archE4294967295ELNS1_3gpuE0ELNS1_3repE0EEENS1_30default_config_static_selectorELNS0_4arch9wavefront6targetE1EEEvSW_ ; -- Begin function _ZN7rocprim17ROCPRIM_400000_NS6detail17trampoline_kernelINS0_14default_configENS1_22reduce_config_selectorIN6thrust23THRUST_200600_302600_NS5tupleIblNS6_9null_typeES8_S8_S8_S8_S8_S8_S8_EEEEZNS1_11reduce_implILb1ES3_NS6_12zip_iteratorINS7_INS6_11hip_rocprim26transform_input_iterator_tIbPKhN2at6native10EqualsModeEEENSD_19counting_iterator_tIlEES8_S8_S8_S8_S8_S8_S8_S8_EEEEPS9_S9_NSD_9__find_if7functorIS9_EEEE10hipError_tPvRmT1_T2_T3_mT4_P12ihipStream_tbEUlT_E1_NS1_11comp_targetILNS1_3genE0ELNS1_11target_archE4294967295ELNS1_3gpuE0ELNS1_3repE0EEENS1_30default_config_static_selectorELNS0_4arch9wavefront6targetE1EEEvSW_
	.globl	_ZN7rocprim17ROCPRIM_400000_NS6detail17trampoline_kernelINS0_14default_configENS1_22reduce_config_selectorIN6thrust23THRUST_200600_302600_NS5tupleIblNS6_9null_typeES8_S8_S8_S8_S8_S8_S8_EEEEZNS1_11reduce_implILb1ES3_NS6_12zip_iteratorINS7_INS6_11hip_rocprim26transform_input_iterator_tIbPKhN2at6native10EqualsModeEEENSD_19counting_iterator_tIlEES8_S8_S8_S8_S8_S8_S8_S8_EEEEPS9_S9_NSD_9__find_if7functorIS9_EEEE10hipError_tPvRmT1_T2_T3_mT4_P12ihipStream_tbEUlT_E1_NS1_11comp_targetILNS1_3genE0ELNS1_11target_archE4294967295ELNS1_3gpuE0ELNS1_3repE0EEENS1_30default_config_static_selectorELNS0_4arch9wavefront6targetE1EEEvSW_
	.p2align	8
	.type	_ZN7rocprim17ROCPRIM_400000_NS6detail17trampoline_kernelINS0_14default_configENS1_22reduce_config_selectorIN6thrust23THRUST_200600_302600_NS5tupleIblNS6_9null_typeES8_S8_S8_S8_S8_S8_S8_EEEEZNS1_11reduce_implILb1ES3_NS6_12zip_iteratorINS7_INS6_11hip_rocprim26transform_input_iterator_tIbPKhN2at6native10EqualsModeEEENSD_19counting_iterator_tIlEES8_S8_S8_S8_S8_S8_S8_S8_EEEEPS9_S9_NSD_9__find_if7functorIS9_EEEE10hipError_tPvRmT1_T2_T3_mT4_P12ihipStream_tbEUlT_E1_NS1_11comp_targetILNS1_3genE0ELNS1_11target_archE4294967295ELNS1_3gpuE0ELNS1_3repE0EEENS1_30default_config_static_selectorELNS0_4arch9wavefront6targetE1EEEvSW_,@function
_ZN7rocprim17ROCPRIM_400000_NS6detail17trampoline_kernelINS0_14default_configENS1_22reduce_config_selectorIN6thrust23THRUST_200600_302600_NS5tupleIblNS6_9null_typeES8_S8_S8_S8_S8_S8_S8_EEEEZNS1_11reduce_implILb1ES3_NS6_12zip_iteratorINS7_INS6_11hip_rocprim26transform_input_iterator_tIbPKhN2at6native10EqualsModeEEENSD_19counting_iterator_tIlEES8_S8_S8_S8_S8_S8_S8_S8_EEEEPS9_S9_NSD_9__find_if7functorIS9_EEEE10hipError_tPvRmT1_T2_T3_mT4_P12ihipStream_tbEUlT_E1_NS1_11comp_targetILNS1_3genE0ELNS1_11target_archE4294967295ELNS1_3gpuE0ELNS1_3repE0EEENS1_30default_config_static_selectorELNS0_4arch9wavefront6targetE1EEEvSW_: ; @_ZN7rocprim17ROCPRIM_400000_NS6detail17trampoline_kernelINS0_14default_configENS1_22reduce_config_selectorIN6thrust23THRUST_200600_302600_NS5tupleIblNS6_9null_typeES8_S8_S8_S8_S8_S8_S8_EEEEZNS1_11reduce_implILb1ES3_NS6_12zip_iteratorINS7_INS6_11hip_rocprim26transform_input_iterator_tIbPKhN2at6native10EqualsModeEEENSD_19counting_iterator_tIlEES8_S8_S8_S8_S8_S8_S8_S8_EEEEPS9_S9_NSD_9__find_if7functorIS9_EEEE10hipError_tPvRmT1_T2_T3_mT4_P12ihipStream_tbEUlT_E1_NS1_11comp_targetILNS1_3genE0ELNS1_11target_archE4294967295ELNS1_3gpuE0ELNS1_3repE0EEENS1_30default_config_static_selectorELNS0_4arch9wavefront6targetE1EEEvSW_
; %bb.0:
	.section	.rodata,"a",@progbits
	.p2align	6, 0x0
	.amdhsa_kernel _ZN7rocprim17ROCPRIM_400000_NS6detail17trampoline_kernelINS0_14default_configENS1_22reduce_config_selectorIN6thrust23THRUST_200600_302600_NS5tupleIblNS6_9null_typeES8_S8_S8_S8_S8_S8_S8_EEEEZNS1_11reduce_implILb1ES3_NS6_12zip_iteratorINS7_INS6_11hip_rocprim26transform_input_iterator_tIbPKhN2at6native10EqualsModeEEENSD_19counting_iterator_tIlEES8_S8_S8_S8_S8_S8_S8_S8_EEEEPS9_S9_NSD_9__find_if7functorIS9_EEEE10hipError_tPvRmT1_T2_T3_mT4_P12ihipStream_tbEUlT_E1_NS1_11comp_targetILNS1_3genE0ELNS1_11target_archE4294967295ELNS1_3gpuE0ELNS1_3repE0EEENS1_30default_config_static_selectorELNS0_4arch9wavefront6targetE1EEEvSW_
		.amdhsa_group_segment_fixed_size 0
		.amdhsa_private_segment_fixed_size 0
		.amdhsa_kernarg_size 72
		.amdhsa_user_sgpr_count 6
		.amdhsa_user_sgpr_private_segment_buffer 1
		.amdhsa_user_sgpr_dispatch_ptr 0
		.amdhsa_user_sgpr_queue_ptr 0
		.amdhsa_user_sgpr_kernarg_segment_ptr 1
		.amdhsa_user_sgpr_dispatch_id 0
		.amdhsa_user_sgpr_flat_scratch_init 0
		.amdhsa_user_sgpr_private_segment_size 0
		.amdhsa_uses_dynamic_stack 0
		.amdhsa_system_sgpr_private_segment_wavefront_offset 0
		.amdhsa_system_sgpr_workgroup_id_x 1
		.amdhsa_system_sgpr_workgroup_id_y 0
		.amdhsa_system_sgpr_workgroup_id_z 0
		.amdhsa_system_sgpr_workgroup_info 0
		.amdhsa_system_vgpr_workitem_id 0
		.amdhsa_next_free_vgpr 1
		.amdhsa_next_free_sgpr 0
		.amdhsa_reserve_vcc 0
		.amdhsa_reserve_flat_scratch 0
		.amdhsa_float_round_mode_32 0
		.amdhsa_float_round_mode_16_64 0
		.amdhsa_float_denorm_mode_32 3
		.amdhsa_float_denorm_mode_16_64 3
		.amdhsa_dx10_clamp 1
		.amdhsa_ieee_mode 1
		.amdhsa_fp16_overflow 0
		.amdhsa_exception_fp_ieee_invalid_op 0
		.amdhsa_exception_fp_denorm_src 0
		.amdhsa_exception_fp_ieee_div_zero 0
		.amdhsa_exception_fp_ieee_overflow 0
		.amdhsa_exception_fp_ieee_underflow 0
		.amdhsa_exception_fp_ieee_inexact 0
		.amdhsa_exception_int_div_zero 0
	.end_amdhsa_kernel
	.section	.text._ZN7rocprim17ROCPRIM_400000_NS6detail17trampoline_kernelINS0_14default_configENS1_22reduce_config_selectorIN6thrust23THRUST_200600_302600_NS5tupleIblNS6_9null_typeES8_S8_S8_S8_S8_S8_S8_EEEEZNS1_11reduce_implILb1ES3_NS6_12zip_iteratorINS7_INS6_11hip_rocprim26transform_input_iterator_tIbPKhN2at6native10EqualsModeEEENSD_19counting_iterator_tIlEES8_S8_S8_S8_S8_S8_S8_S8_EEEEPS9_S9_NSD_9__find_if7functorIS9_EEEE10hipError_tPvRmT1_T2_T3_mT4_P12ihipStream_tbEUlT_E1_NS1_11comp_targetILNS1_3genE0ELNS1_11target_archE4294967295ELNS1_3gpuE0ELNS1_3repE0EEENS1_30default_config_static_selectorELNS0_4arch9wavefront6targetE1EEEvSW_,"axG",@progbits,_ZN7rocprim17ROCPRIM_400000_NS6detail17trampoline_kernelINS0_14default_configENS1_22reduce_config_selectorIN6thrust23THRUST_200600_302600_NS5tupleIblNS6_9null_typeES8_S8_S8_S8_S8_S8_S8_EEEEZNS1_11reduce_implILb1ES3_NS6_12zip_iteratorINS7_INS6_11hip_rocprim26transform_input_iterator_tIbPKhN2at6native10EqualsModeEEENSD_19counting_iterator_tIlEES8_S8_S8_S8_S8_S8_S8_S8_EEEEPS9_S9_NSD_9__find_if7functorIS9_EEEE10hipError_tPvRmT1_T2_T3_mT4_P12ihipStream_tbEUlT_E1_NS1_11comp_targetILNS1_3genE0ELNS1_11target_archE4294967295ELNS1_3gpuE0ELNS1_3repE0EEENS1_30default_config_static_selectorELNS0_4arch9wavefront6targetE1EEEvSW_,comdat
.Lfunc_end63:
	.size	_ZN7rocprim17ROCPRIM_400000_NS6detail17trampoline_kernelINS0_14default_configENS1_22reduce_config_selectorIN6thrust23THRUST_200600_302600_NS5tupleIblNS6_9null_typeES8_S8_S8_S8_S8_S8_S8_EEEEZNS1_11reduce_implILb1ES3_NS6_12zip_iteratorINS7_INS6_11hip_rocprim26transform_input_iterator_tIbPKhN2at6native10EqualsModeEEENSD_19counting_iterator_tIlEES8_S8_S8_S8_S8_S8_S8_S8_EEEEPS9_S9_NSD_9__find_if7functorIS9_EEEE10hipError_tPvRmT1_T2_T3_mT4_P12ihipStream_tbEUlT_E1_NS1_11comp_targetILNS1_3genE0ELNS1_11target_archE4294967295ELNS1_3gpuE0ELNS1_3repE0EEENS1_30default_config_static_selectorELNS0_4arch9wavefront6targetE1EEEvSW_, .Lfunc_end63-_ZN7rocprim17ROCPRIM_400000_NS6detail17trampoline_kernelINS0_14default_configENS1_22reduce_config_selectorIN6thrust23THRUST_200600_302600_NS5tupleIblNS6_9null_typeES8_S8_S8_S8_S8_S8_S8_EEEEZNS1_11reduce_implILb1ES3_NS6_12zip_iteratorINS7_INS6_11hip_rocprim26transform_input_iterator_tIbPKhN2at6native10EqualsModeEEENSD_19counting_iterator_tIlEES8_S8_S8_S8_S8_S8_S8_S8_EEEEPS9_S9_NSD_9__find_if7functorIS9_EEEE10hipError_tPvRmT1_T2_T3_mT4_P12ihipStream_tbEUlT_E1_NS1_11comp_targetILNS1_3genE0ELNS1_11target_archE4294967295ELNS1_3gpuE0ELNS1_3repE0EEENS1_30default_config_static_selectorELNS0_4arch9wavefront6targetE1EEEvSW_
                                        ; -- End function
	.set _ZN7rocprim17ROCPRIM_400000_NS6detail17trampoline_kernelINS0_14default_configENS1_22reduce_config_selectorIN6thrust23THRUST_200600_302600_NS5tupleIblNS6_9null_typeES8_S8_S8_S8_S8_S8_S8_EEEEZNS1_11reduce_implILb1ES3_NS6_12zip_iteratorINS7_INS6_11hip_rocprim26transform_input_iterator_tIbPKhN2at6native10EqualsModeEEENSD_19counting_iterator_tIlEES8_S8_S8_S8_S8_S8_S8_S8_EEEEPS9_S9_NSD_9__find_if7functorIS9_EEEE10hipError_tPvRmT1_T2_T3_mT4_P12ihipStream_tbEUlT_E1_NS1_11comp_targetILNS1_3genE0ELNS1_11target_archE4294967295ELNS1_3gpuE0ELNS1_3repE0EEENS1_30default_config_static_selectorELNS0_4arch9wavefront6targetE1EEEvSW_.num_vgpr, 0
	.set _ZN7rocprim17ROCPRIM_400000_NS6detail17trampoline_kernelINS0_14default_configENS1_22reduce_config_selectorIN6thrust23THRUST_200600_302600_NS5tupleIblNS6_9null_typeES8_S8_S8_S8_S8_S8_S8_EEEEZNS1_11reduce_implILb1ES3_NS6_12zip_iteratorINS7_INS6_11hip_rocprim26transform_input_iterator_tIbPKhN2at6native10EqualsModeEEENSD_19counting_iterator_tIlEES8_S8_S8_S8_S8_S8_S8_S8_EEEEPS9_S9_NSD_9__find_if7functorIS9_EEEE10hipError_tPvRmT1_T2_T3_mT4_P12ihipStream_tbEUlT_E1_NS1_11comp_targetILNS1_3genE0ELNS1_11target_archE4294967295ELNS1_3gpuE0ELNS1_3repE0EEENS1_30default_config_static_selectorELNS0_4arch9wavefront6targetE1EEEvSW_.num_agpr, 0
	.set _ZN7rocprim17ROCPRIM_400000_NS6detail17trampoline_kernelINS0_14default_configENS1_22reduce_config_selectorIN6thrust23THRUST_200600_302600_NS5tupleIblNS6_9null_typeES8_S8_S8_S8_S8_S8_S8_EEEEZNS1_11reduce_implILb1ES3_NS6_12zip_iteratorINS7_INS6_11hip_rocprim26transform_input_iterator_tIbPKhN2at6native10EqualsModeEEENSD_19counting_iterator_tIlEES8_S8_S8_S8_S8_S8_S8_S8_EEEEPS9_S9_NSD_9__find_if7functorIS9_EEEE10hipError_tPvRmT1_T2_T3_mT4_P12ihipStream_tbEUlT_E1_NS1_11comp_targetILNS1_3genE0ELNS1_11target_archE4294967295ELNS1_3gpuE0ELNS1_3repE0EEENS1_30default_config_static_selectorELNS0_4arch9wavefront6targetE1EEEvSW_.numbered_sgpr, 0
	.set _ZN7rocprim17ROCPRIM_400000_NS6detail17trampoline_kernelINS0_14default_configENS1_22reduce_config_selectorIN6thrust23THRUST_200600_302600_NS5tupleIblNS6_9null_typeES8_S8_S8_S8_S8_S8_S8_EEEEZNS1_11reduce_implILb1ES3_NS6_12zip_iteratorINS7_INS6_11hip_rocprim26transform_input_iterator_tIbPKhN2at6native10EqualsModeEEENSD_19counting_iterator_tIlEES8_S8_S8_S8_S8_S8_S8_S8_EEEEPS9_S9_NSD_9__find_if7functorIS9_EEEE10hipError_tPvRmT1_T2_T3_mT4_P12ihipStream_tbEUlT_E1_NS1_11comp_targetILNS1_3genE0ELNS1_11target_archE4294967295ELNS1_3gpuE0ELNS1_3repE0EEENS1_30default_config_static_selectorELNS0_4arch9wavefront6targetE1EEEvSW_.num_named_barrier, 0
	.set _ZN7rocprim17ROCPRIM_400000_NS6detail17trampoline_kernelINS0_14default_configENS1_22reduce_config_selectorIN6thrust23THRUST_200600_302600_NS5tupleIblNS6_9null_typeES8_S8_S8_S8_S8_S8_S8_EEEEZNS1_11reduce_implILb1ES3_NS6_12zip_iteratorINS7_INS6_11hip_rocprim26transform_input_iterator_tIbPKhN2at6native10EqualsModeEEENSD_19counting_iterator_tIlEES8_S8_S8_S8_S8_S8_S8_S8_EEEEPS9_S9_NSD_9__find_if7functorIS9_EEEE10hipError_tPvRmT1_T2_T3_mT4_P12ihipStream_tbEUlT_E1_NS1_11comp_targetILNS1_3genE0ELNS1_11target_archE4294967295ELNS1_3gpuE0ELNS1_3repE0EEENS1_30default_config_static_selectorELNS0_4arch9wavefront6targetE1EEEvSW_.private_seg_size, 0
	.set _ZN7rocprim17ROCPRIM_400000_NS6detail17trampoline_kernelINS0_14default_configENS1_22reduce_config_selectorIN6thrust23THRUST_200600_302600_NS5tupleIblNS6_9null_typeES8_S8_S8_S8_S8_S8_S8_EEEEZNS1_11reduce_implILb1ES3_NS6_12zip_iteratorINS7_INS6_11hip_rocprim26transform_input_iterator_tIbPKhN2at6native10EqualsModeEEENSD_19counting_iterator_tIlEES8_S8_S8_S8_S8_S8_S8_S8_EEEEPS9_S9_NSD_9__find_if7functorIS9_EEEE10hipError_tPvRmT1_T2_T3_mT4_P12ihipStream_tbEUlT_E1_NS1_11comp_targetILNS1_3genE0ELNS1_11target_archE4294967295ELNS1_3gpuE0ELNS1_3repE0EEENS1_30default_config_static_selectorELNS0_4arch9wavefront6targetE1EEEvSW_.uses_vcc, 0
	.set _ZN7rocprim17ROCPRIM_400000_NS6detail17trampoline_kernelINS0_14default_configENS1_22reduce_config_selectorIN6thrust23THRUST_200600_302600_NS5tupleIblNS6_9null_typeES8_S8_S8_S8_S8_S8_S8_EEEEZNS1_11reduce_implILb1ES3_NS6_12zip_iteratorINS7_INS6_11hip_rocprim26transform_input_iterator_tIbPKhN2at6native10EqualsModeEEENSD_19counting_iterator_tIlEES8_S8_S8_S8_S8_S8_S8_S8_EEEEPS9_S9_NSD_9__find_if7functorIS9_EEEE10hipError_tPvRmT1_T2_T3_mT4_P12ihipStream_tbEUlT_E1_NS1_11comp_targetILNS1_3genE0ELNS1_11target_archE4294967295ELNS1_3gpuE0ELNS1_3repE0EEENS1_30default_config_static_selectorELNS0_4arch9wavefront6targetE1EEEvSW_.uses_flat_scratch, 0
	.set _ZN7rocprim17ROCPRIM_400000_NS6detail17trampoline_kernelINS0_14default_configENS1_22reduce_config_selectorIN6thrust23THRUST_200600_302600_NS5tupleIblNS6_9null_typeES8_S8_S8_S8_S8_S8_S8_EEEEZNS1_11reduce_implILb1ES3_NS6_12zip_iteratorINS7_INS6_11hip_rocprim26transform_input_iterator_tIbPKhN2at6native10EqualsModeEEENSD_19counting_iterator_tIlEES8_S8_S8_S8_S8_S8_S8_S8_EEEEPS9_S9_NSD_9__find_if7functorIS9_EEEE10hipError_tPvRmT1_T2_T3_mT4_P12ihipStream_tbEUlT_E1_NS1_11comp_targetILNS1_3genE0ELNS1_11target_archE4294967295ELNS1_3gpuE0ELNS1_3repE0EEENS1_30default_config_static_selectorELNS0_4arch9wavefront6targetE1EEEvSW_.has_dyn_sized_stack, 0
	.set _ZN7rocprim17ROCPRIM_400000_NS6detail17trampoline_kernelINS0_14default_configENS1_22reduce_config_selectorIN6thrust23THRUST_200600_302600_NS5tupleIblNS6_9null_typeES8_S8_S8_S8_S8_S8_S8_EEEEZNS1_11reduce_implILb1ES3_NS6_12zip_iteratorINS7_INS6_11hip_rocprim26transform_input_iterator_tIbPKhN2at6native10EqualsModeEEENSD_19counting_iterator_tIlEES8_S8_S8_S8_S8_S8_S8_S8_EEEEPS9_S9_NSD_9__find_if7functorIS9_EEEE10hipError_tPvRmT1_T2_T3_mT4_P12ihipStream_tbEUlT_E1_NS1_11comp_targetILNS1_3genE0ELNS1_11target_archE4294967295ELNS1_3gpuE0ELNS1_3repE0EEENS1_30default_config_static_selectorELNS0_4arch9wavefront6targetE1EEEvSW_.has_recursion, 0
	.set _ZN7rocprim17ROCPRIM_400000_NS6detail17trampoline_kernelINS0_14default_configENS1_22reduce_config_selectorIN6thrust23THRUST_200600_302600_NS5tupleIblNS6_9null_typeES8_S8_S8_S8_S8_S8_S8_EEEEZNS1_11reduce_implILb1ES3_NS6_12zip_iteratorINS7_INS6_11hip_rocprim26transform_input_iterator_tIbPKhN2at6native10EqualsModeEEENSD_19counting_iterator_tIlEES8_S8_S8_S8_S8_S8_S8_S8_EEEEPS9_S9_NSD_9__find_if7functorIS9_EEEE10hipError_tPvRmT1_T2_T3_mT4_P12ihipStream_tbEUlT_E1_NS1_11comp_targetILNS1_3genE0ELNS1_11target_archE4294967295ELNS1_3gpuE0ELNS1_3repE0EEENS1_30default_config_static_selectorELNS0_4arch9wavefront6targetE1EEEvSW_.has_indirect_call, 0
	.section	.AMDGPU.csdata,"",@progbits
; Kernel info:
; codeLenInByte = 0
; TotalNumSgprs: 4
; NumVgprs: 0
; ScratchSize: 0
; MemoryBound: 0
; FloatMode: 240
; IeeeMode: 1
; LDSByteSize: 0 bytes/workgroup (compile time only)
; SGPRBlocks: 0
; VGPRBlocks: 0
; NumSGPRsForWavesPerEU: 4
; NumVGPRsForWavesPerEU: 1
; Occupancy: 10
; WaveLimiterHint : 0
; COMPUTE_PGM_RSRC2:SCRATCH_EN: 0
; COMPUTE_PGM_RSRC2:USER_SGPR: 6
; COMPUTE_PGM_RSRC2:TRAP_HANDLER: 0
; COMPUTE_PGM_RSRC2:TGID_X_EN: 1
; COMPUTE_PGM_RSRC2:TGID_Y_EN: 0
; COMPUTE_PGM_RSRC2:TGID_Z_EN: 0
; COMPUTE_PGM_RSRC2:TIDIG_COMP_CNT: 0
	.section	.text._ZN7rocprim17ROCPRIM_400000_NS6detail17trampoline_kernelINS0_14default_configENS1_22reduce_config_selectorIN6thrust23THRUST_200600_302600_NS5tupleIblNS6_9null_typeES8_S8_S8_S8_S8_S8_S8_EEEEZNS1_11reduce_implILb1ES3_NS6_12zip_iteratorINS7_INS6_11hip_rocprim26transform_input_iterator_tIbPKhN2at6native10EqualsModeEEENSD_19counting_iterator_tIlEES8_S8_S8_S8_S8_S8_S8_S8_EEEEPS9_S9_NSD_9__find_if7functorIS9_EEEE10hipError_tPvRmT1_T2_T3_mT4_P12ihipStream_tbEUlT_E1_NS1_11comp_targetILNS1_3genE5ELNS1_11target_archE942ELNS1_3gpuE9ELNS1_3repE0EEENS1_30default_config_static_selectorELNS0_4arch9wavefront6targetE1EEEvSW_,"axG",@progbits,_ZN7rocprim17ROCPRIM_400000_NS6detail17trampoline_kernelINS0_14default_configENS1_22reduce_config_selectorIN6thrust23THRUST_200600_302600_NS5tupleIblNS6_9null_typeES8_S8_S8_S8_S8_S8_S8_EEEEZNS1_11reduce_implILb1ES3_NS6_12zip_iteratorINS7_INS6_11hip_rocprim26transform_input_iterator_tIbPKhN2at6native10EqualsModeEEENSD_19counting_iterator_tIlEES8_S8_S8_S8_S8_S8_S8_S8_EEEEPS9_S9_NSD_9__find_if7functorIS9_EEEE10hipError_tPvRmT1_T2_T3_mT4_P12ihipStream_tbEUlT_E1_NS1_11comp_targetILNS1_3genE5ELNS1_11target_archE942ELNS1_3gpuE9ELNS1_3repE0EEENS1_30default_config_static_selectorELNS0_4arch9wavefront6targetE1EEEvSW_,comdat
	.protected	_ZN7rocprim17ROCPRIM_400000_NS6detail17trampoline_kernelINS0_14default_configENS1_22reduce_config_selectorIN6thrust23THRUST_200600_302600_NS5tupleIblNS6_9null_typeES8_S8_S8_S8_S8_S8_S8_EEEEZNS1_11reduce_implILb1ES3_NS6_12zip_iteratorINS7_INS6_11hip_rocprim26transform_input_iterator_tIbPKhN2at6native10EqualsModeEEENSD_19counting_iterator_tIlEES8_S8_S8_S8_S8_S8_S8_S8_EEEEPS9_S9_NSD_9__find_if7functorIS9_EEEE10hipError_tPvRmT1_T2_T3_mT4_P12ihipStream_tbEUlT_E1_NS1_11comp_targetILNS1_3genE5ELNS1_11target_archE942ELNS1_3gpuE9ELNS1_3repE0EEENS1_30default_config_static_selectorELNS0_4arch9wavefront6targetE1EEEvSW_ ; -- Begin function _ZN7rocprim17ROCPRIM_400000_NS6detail17trampoline_kernelINS0_14default_configENS1_22reduce_config_selectorIN6thrust23THRUST_200600_302600_NS5tupleIblNS6_9null_typeES8_S8_S8_S8_S8_S8_S8_EEEEZNS1_11reduce_implILb1ES3_NS6_12zip_iteratorINS7_INS6_11hip_rocprim26transform_input_iterator_tIbPKhN2at6native10EqualsModeEEENSD_19counting_iterator_tIlEES8_S8_S8_S8_S8_S8_S8_S8_EEEEPS9_S9_NSD_9__find_if7functorIS9_EEEE10hipError_tPvRmT1_T2_T3_mT4_P12ihipStream_tbEUlT_E1_NS1_11comp_targetILNS1_3genE5ELNS1_11target_archE942ELNS1_3gpuE9ELNS1_3repE0EEENS1_30default_config_static_selectorELNS0_4arch9wavefront6targetE1EEEvSW_
	.globl	_ZN7rocprim17ROCPRIM_400000_NS6detail17trampoline_kernelINS0_14default_configENS1_22reduce_config_selectorIN6thrust23THRUST_200600_302600_NS5tupleIblNS6_9null_typeES8_S8_S8_S8_S8_S8_S8_EEEEZNS1_11reduce_implILb1ES3_NS6_12zip_iteratorINS7_INS6_11hip_rocprim26transform_input_iterator_tIbPKhN2at6native10EqualsModeEEENSD_19counting_iterator_tIlEES8_S8_S8_S8_S8_S8_S8_S8_EEEEPS9_S9_NSD_9__find_if7functorIS9_EEEE10hipError_tPvRmT1_T2_T3_mT4_P12ihipStream_tbEUlT_E1_NS1_11comp_targetILNS1_3genE5ELNS1_11target_archE942ELNS1_3gpuE9ELNS1_3repE0EEENS1_30default_config_static_selectorELNS0_4arch9wavefront6targetE1EEEvSW_
	.p2align	8
	.type	_ZN7rocprim17ROCPRIM_400000_NS6detail17trampoline_kernelINS0_14default_configENS1_22reduce_config_selectorIN6thrust23THRUST_200600_302600_NS5tupleIblNS6_9null_typeES8_S8_S8_S8_S8_S8_S8_EEEEZNS1_11reduce_implILb1ES3_NS6_12zip_iteratorINS7_INS6_11hip_rocprim26transform_input_iterator_tIbPKhN2at6native10EqualsModeEEENSD_19counting_iterator_tIlEES8_S8_S8_S8_S8_S8_S8_S8_EEEEPS9_S9_NSD_9__find_if7functorIS9_EEEE10hipError_tPvRmT1_T2_T3_mT4_P12ihipStream_tbEUlT_E1_NS1_11comp_targetILNS1_3genE5ELNS1_11target_archE942ELNS1_3gpuE9ELNS1_3repE0EEENS1_30default_config_static_selectorELNS0_4arch9wavefront6targetE1EEEvSW_,@function
_ZN7rocprim17ROCPRIM_400000_NS6detail17trampoline_kernelINS0_14default_configENS1_22reduce_config_selectorIN6thrust23THRUST_200600_302600_NS5tupleIblNS6_9null_typeES8_S8_S8_S8_S8_S8_S8_EEEEZNS1_11reduce_implILb1ES3_NS6_12zip_iteratorINS7_INS6_11hip_rocprim26transform_input_iterator_tIbPKhN2at6native10EqualsModeEEENSD_19counting_iterator_tIlEES8_S8_S8_S8_S8_S8_S8_S8_EEEEPS9_S9_NSD_9__find_if7functorIS9_EEEE10hipError_tPvRmT1_T2_T3_mT4_P12ihipStream_tbEUlT_E1_NS1_11comp_targetILNS1_3genE5ELNS1_11target_archE942ELNS1_3gpuE9ELNS1_3repE0EEENS1_30default_config_static_selectorELNS0_4arch9wavefront6targetE1EEEvSW_: ; @_ZN7rocprim17ROCPRIM_400000_NS6detail17trampoline_kernelINS0_14default_configENS1_22reduce_config_selectorIN6thrust23THRUST_200600_302600_NS5tupleIblNS6_9null_typeES8_S8_S8_S8_S8_S8_S8_EEEEZNS1_11reduce_implILb1ES3_NS6_12zip_iteratorINS7_INS6_11hip_rocprim26transform_input_iterator_tIbPKhN2at6native10EqualsModeEEENSD_19counting_iterator_tIlEES8_S8_S8_S8_S8_S8_S8_S8_EEEEPS9_S9_NSD_9__find_if7functorIS9_EEEE10hipError_tPvRmT1_T2_T3_mT4_P12ihipStream_tbEUlT_E1_NS1_11comp_targetILNS1_3genE5ELNS1_11target_archE942ELNS1_3gpuE9ELNS1_3repE0EEENS1_30default_config_static_selectorELNS0_4arch9wavefront6targetE1EEEvSW_
; %bb.0:
	.section	.rodata,"a",@progbits
	.p2align	6, 0x0
	.amdhsa_kernel _ZN7rocprim17ROCPRIM_400000_NS6detail17trampoline_kernelINS0_14default_configENS1_22reduce_config_selectorIN6thrust23THRUST_200600_302600_NS5tupleIblNS6_9null_typeES8_S8_S8_S8_S8_S8_S8_EEEEZNS1_11reduce_implILb1ES3_NS6_12zip_iteratorINS7_INS6_11hip_rocprim26transform_input_iterator_tIbPKhN2at6native10EqualsModeEEENSD_19counting_iterator_tIlEES8_S8_S8_S8_S8_S8_S8_S8_EEEEPS9_S9_NSD_9__find_if7functorIS9_EEEE10hipError_tPvRmT1_T2_T3_mT4_P12ihipStream_tbEUlT_E1_NS1_11comp_targetILNS1_3genE5ELNS1_11target_archE942ELNS1_3gpuE9ELNS1_3repE0EEENS1_30default_config_static_selectorELNS0_4arch9wavefront6targetE1EEEvSW_
		.amdhsa_group_segment_fixed_size 0
		.amdhsa_private_segment_fixed_size 0
		.amdhsa_kernarg_size 72
		.amdhsa_user_sgpr_count 6
		.amdhsa_user_sgpr_private_segment_buffer 1
		.amdhsa_user_sgpr_dispatch_ptr 0
		.amdhsa_user_sgpr_queue_ptr 0
		.amdhsa_user_sgpr_kernarg_segment_ptr 1
		.amdhsa_user_sgpr_dispatch_id 0
		.amdhsa_user_sgpr_flat_scratch_init 0
		.amdhsa_user_sgpr_private_segment_size 0
		.amdhsa_uses_dynamic_stack 0
		.amdhsa_system_sgpr_private_segment_wavefront_offset 0
		.amdhsa_system_sgpr_workgroup_id_x 1
		.amdhsa_system_sgpr_workgroup_id_y 0
		.amdhsa_system_sgpr_workgroup_id_z 0
		.amdhsa_system_sgpr_workgroup_info 0
		.amdhsa_system_vgpr_workitem_id 0
		.amdhsa_next_free_vgpr 1
		.amdhsa_next_free_sgpr 0
		.amdhsa_reserve_vcc 0
		.amdhsa_reserve_flat_scratch 0
		.amdhsa_float_round_mode_32 0
		.amdhsa_float_round_mode_16_64 0
		.amdhsa_float_denorm_mode_32 3
		.amdhsa_float_denorm_mode_16_64 3
		.amdhsa_dx10_clamp 1
		.amdhsa_ieee_mode 1
		.amdhsa_fp16_overflow 0
		.amdhsa_exception_fp_ieee_invalid_op 0
		.amdhsa_exception_fp_denorm_src 0
		.amdhsa_exception_fp_ieee_div_zero 0
		.amdhsa_exception_fp_ieee_overflow 0
		.amdhsa_exception_fp_ieee_underflow 0
		.amdhsa_exception_fp_ieee_inexact 0
		.amdhsa_exception_int_div_zero 0
	.end_amdhsa_kernel
	.section	.text._ZN7rocprim17ROCPRIM_400000_NS6detail17trampoline_kernelINS0_14default_configENS1_22reduce_config_selectorIN6thrust23THRUST_200600_302600_NS5tupleIblNS6_9null_typeES8_S8_S8_S8_S8_S8_S8_EEEEZNS1_11reduce_implILb1ES3_NS6_12zip_iteratorINS7_INS6_11hip_rocprim26transform_input_iterator_tIbPKhN2at6native10EqualsModeEEENSD_19counting_iterator_tIlEES8_S8_S8_S8_S8_S8_S8_S8_EEEEPS9_S9_NSD_9__find_if7functorIS9_EEEE10hipError_tPvRmT1_T2_T3_mT4_P12ihipStream_tbEUlT_E1_NS1_11comp_targetILNS1_3genE5ELNS1_11target_archE942ELNS1_3gpuE9ELNS1_3repE0EEENS1_30default_config_static_selectorELNS0_4arch9wavefront6targetE1EEEvSW_,"axG",@progbits,_ZN7rocprim17ROCPRIM_400000_NS6detail17trampoline_kernelINS0_14default_configENS1_22reduce_config_selectorIN6thrust23THRUST_200600_302600_NS5tupleIblNS6_9null_typeES8_S8_S8_S8_S8_S8_S8_EEEEZNS1_11reduce_implILb1ES3_NS6_12zip_iteratorINS7_INS6_11hip_rocprim26transform_input_iterator_tIbPKhN2at6native10EqualsModeEEENSD_19counting_iterator_tIlEES8_S8_S8_S8_S8_S8_S8_S8_EEEEPS9_S9_NSD_9__find_if7functorIS9_EEEE10hipError_tPvRmT1_T2_T3_mT4_P12ihipStream_tbEUlT_E1_NS1_11comp_targetILNS1_3genE5ELNS1_11target_archE942ELNS1_3gpuE9ELNS1_3repE0EEENS1_30default_config_static_selectorELNS0_4arch9wavefront6targetE1EEEvSW_,comdat
.Lfunc_end64:
	.size	_ZN7rocprim17ROCPRIM_400000_NS6detail17trampoline_kernelINS0_14default_configENS1_22reduce_config_selectorIN6thrust23THRUST_200600_302600_NS5tupleIblNS6_9null_typeES8_S8_S8_S8_S8_S8_S8_EEEEZNS1_11reduce_implILb1ES3_NS6_12zip_iteratorINS7_INS6_11hip_rocprim26transform_input_iterator_tIbPKhN2at6native10EqualsModeEEENSD_19counting_iterator_tIlEES8_S8_S8_S8_S8_S8_S8_S8_EEEEPS9_S9_NSD_9__find_if7functorIS9_EEEE10hipError_tPvRmT1_T2_T3_mT4_P12ihipStream_tbEUlT_E1_NS1_11comp_targetILNS1_3genE5ELNS1_11target_archE942ELNS1_3gpuE9ELNS1_3repE0EEENS1_30default_config_static_selectorELNS0_4arch9wavefront6targetE1EEEvSW_, .Lfunc_end64-_ZN7rocprim17ROCPRIM_400000_NS6detail17trampoline_kernelINS0_14default_configENS1_22reduce_config_selectorIN6thrust23THRUST_200600_302600_NS5tupleIblNS6_9null_typeES8_S8_S8_S8_S8_S8_S8_EEEEZNS1_11reduce_implILb1ES3_NS6_12zip_iteratorINS7_INS6_11hip_rocprim26transform_input_iterator_tIbPKhN2at6native10EqualsModeEEENSD_19counting_iterator_tIlEES8_S8_S8_S8_S8_S8_S8_S8_EEEEPS9_S9_NSD_9__find_if7functorIS9_EEEE10hipError_tPvRmT1_T2_T3_mT4_P12ihipStream_tbEUlT_E1_NS1_11comp_targetILNS1_3genE5ELNS1_11target_archE942ELNS1_3gpuE9ELNS1_3repE0EEENS1_30default_config_static_selectorELNS0_4arch9wavefront6targetE1EEEvSW_
                                        ; -- End function
	.set _ZN7rocprim17ROCPRIM_400000_NS6detail17trampoline_kernelINS0_14default_configENS1_22reduce_config_selectorIN6thrust23THRUST_200600_302600_NS5tupleIblNS6_9null_typeES8_S8_S8_S8_S8_S8_S8_EEEEZNS1_11reduce_implILb1ES3_NS6_12zip_iteratorINS7_INS6_11hip_rocprim26transform_input_iterator_tIbPKhN2at6native10EqualsModeEEENSD_19counting_iterator_tIlEES8_S8_S8_S8_S8_S8_S8_S8_EEEEPS9_S9_NSD_9__find_if7functorIS9_EEEE10hipError_tPvRmT1_T2_T3_mT4_P12ihipStream_tbEUlT_E1_NS1_11comp_targetILNS1_3genE5ELNS1_11target_archE942ELNS1_3gpuE9ELNS1_3repE0EEENS1_30default_config_static_selectorELNS0_4arch9wavefront6targetE1EEEvSW_.num_vgpr, 0
	.set _ZN7rocprim17ROCPRIM_400000_NS6detail17trampoline_kernelINS0_14default_configENS1_22reduce_config_selectorIN6thrust23THRUST_200600_302600_NS5tupleIblNS6_9null_typeES8_S8_S8_S8_S8_S8_S8_EEEEZNS1_11reduce_implILb1ES3_NS6_12zip_iteratorINS7_INS6_11hip_rocprim26transform_input_iterator_tIbPKhN2at6native10EqualsModeEEENSD_19counting_iterator_tIlEES8_S8_S8_S8_S8_S8_S8_S8_EEEEPS9_S9_NSD_9__find_if7functorIS9_EEEE10hipError_tPvRmT1_T2_T3_mT4_P12ihipStream_tbEUlT_E1_NS1_11comp_targetILNS1_3genE5ELNS1_11target_archE942ELNS1_3gpuE9ELNS1_3repE0EEENS1_30default_config_static_selectorELNS0_4arch9wavefront6targetE1EEEvSW_.num_agpr, 0
	.set _ZN7rocprim17ROCPRIM_400000_NS6detail17trampoline_kernelINS0_14default_configENS1_22reduce_config_selectorIN6thrust23THRUST_200600_302600_NS5tupleIblNS6_9null_typeES8_S8_S8_S8_S8_S8_S8_EEEEZNS1_11reduce_implILb1ES3_NS6_12zip_iteratorINS7_INS6_11hip_rocprim26transform_input_iterator_tIbPKhN2at6native10EqualsModeEEENSD_19counting_iterator_tIlEES8_S8_S8_S8_S8_S8_S8_S8_EEEEPS9_S9_NSD_9__find_if7functorIS9_EEEE10hipError_tPvRmT1_T2_T3_mT4_P12ihipStream_tbEUlT_E1_NS1_11comp_targetILNS1_3genE5ELNS1_11target_archE942ELNS1_3gpuE9ELNS1_3repE0EEENS1_30default_config_static_selectorELNS0_4arch9wavefront6targetE1EEEvSW_.numbered_sgpr, 0
	.set _ZN7rocprim17ROCPRIM_400000_NS6detail17trampoline_kernelINS0_14default_configENS1_22reduce_config_selectorIN6thrust23THRUST_200600_302600_NS5tupleIblNS6_9null_typeES8_S8_S8_S8_S8_S8_S8_EEEEZNS1_11reduce_implILb1ES3_NS6_12zip_iteratorINS7_INS6_11hip_rocprim26transform_input_iterator_tIbPKhN2at6native10EqualsModeEEENSD_19counting_iterator_tIlEES8_S8_S8_S8_S8_S8_S8_S8_EEEEPS9_S9_NSD_9__find_if7functorIS9_EEEE10hipError_tPvRmT1_T2_T3_mT4_P12ihipStream_tbEUlT_E1_NS1_11comp_targetILNS1_3genE5ELNS1_11target_archE942ELNS1_3gpuE9ELNS1_3repE0EEENS1_30default_config_static_selectorELNS0_4arch9wavefront6targetE1EEEvSW_.num_named_barrier, 0
	.set _ZN7rocprim17ROCPRIM_400000_NS6detail17trampoline_kernelINS0_14default_configENS1_22reduce_config_selectorIN6thrust23THRUST_200600_302600_NS5tupleIblNS6_9null_typeES8_S8_S8_S8_S8_S8_S8_EEEEZNS1_11reduce_implILb1ES3_NS6_12zip_iteratorINS7_INS6_11hip_rocprim26transform_input_iterator_tIbPKhN2at6native10EqualsModeEEENSD_19counting_iterator_tIlEES8_S8_S8_S8_S8_S8_S8_S8_EEEEPS9_S9_NSD_9__find_if7functorIS9_EEEE10hipError_tPvRmT1_T2_T3_mT4_P12ihipStream_tbEUlT_E1_NS1_11comp_targetILNS1_3genE5ELNS1_11target_archE942ELNS1_3gpuE9ELNS1_3repE0EEENS1_30default_config_static_selectorELNS0_4arch9wavefront6targetE1EEEvSW_.private_seg_size, 0
	.set _ZN7rocprim17ROCPRIM_400000_NS6detail17trampoline_kernelINS0_14default_configENS1_22reduce_config_selectorIN6thrust23THRUST_200600_302600_NS5tupleIblNS6_9null_typeES8_S8_S8_S8_S8_S8_S8_EEEEZNS1_11reduce_implILb1ES3_NS6_12zip_iteratorINS7_INS6_11hip_rocprim26transform_input_iterator_tIbPKhN2at6native10EqualsModeEEENSD_19counting_iterator_tIlEES8_S8_S8_S8_S8_S8_S8_S8_EEEEPS9_S9_NSD_9__find_if7functorIS9_EEEE10hipError_tPvRmT1_T2_T3_mT4_P12ihipStream_tbEUlT_E1_NS1_11comp_targetILNS1_3genE5ELNS1_11target_archE942ELNS1_3gpuE9ELNS1_3repE0EEENS1_30default_config_static_selectorELNS0_4arch9wavefront6targetE1EEEvSW_.uses_vcc, 0
	.set _ZN7rocprim17ROCPRIM_400000_NS6detail17trampoline_kernelINS0_14default_configENS1_22reduce_config_selectorIN6thrust23THRUST_200600_302600_NS5tupleIblNS6_9null_typeES8_S8_S8_S8_S8_S8_S8_EEEEZNS1_11reduce_implILb1ES3_NS6_12zip_iteratorINS7_INS6_11hip_rocprim26transform_input_iterator_tIbPKhN2at6native10EqualsModeEEENSD_19counting_iterator_tIlEES8_S8_S8_S8_S8_S8_S8_S8_EEEEPS9_S9_NSD_9__find_if7functorIS9_EEEE10hipError_tPvRmT1_T2_T3_mT4_P12ihipStream_tbEUlT_E1_NS1_11comp_targetILNS1_3genE5ELNS1_11target_archE942ELNS1_3gpuE9ELNS1_3repE0EEENS1_30default_config_static_selectorELNS0_4arch9wavefront6targetE1EEEvSW_.uses_flat_scratch, 0
	.set _ZN7rocprim17ROCPRIM_400000_NS6detail17trampoline_kernelINS0_14default_configENS1_22reduce_config_selectorIN6thrust23THRUST_200600_302600_NS5tupleIblNS6_9null_typeES8_S8_S8_S8_S8_S8_S8_EEEEZNS1_11reduce_implILb1ES3_NS6_12zip_iteratorINS7_INS6_11hip_rocprim26transform_input_iterator_tIbPKhN2at6native10EqualsModeEEENSD_19counting_iterator_tIlEES8_S8_S8_S8_S8_S8_S8_S8_EEEEPS9_S9_NSD_9__find_if7functorIS9_EEEE10hipError_tPvRmT1_T2_T3_mT4_P12ihipStream_tbEUlT_E1_NS1_11comp_targetILNS1_3genE5ELNS1_11target_archE942ELNS1_3gpuE9ELNS1_3repE0EEENS1_30default_config_static_selectorELNS0_4arch9wavefront6targetE1EEEvSW_.has_dyn_sized_stack, 0
	.set _ZN7rocprim17ROCPRIM_400000_NS6detail17trampoline_kernelINS0_14default_configENS1_22reduce_config_selectorIN6thrust23THRUST_200600_302600_NS5tupleIblNS6_9null_typeES8_S8_S8_S8_S8_S8_S8_EEEEZNS1_11reduce_implILb1ES3_NS6_12zip_iteratorINS7_INS6_11hip_rocprim26transform_input_iterator_tIbPKhN2at6native10EqualsModeEEENSD_19counting_iterator_tIlEES8_S8_S8_S8_S8_S8_S8_S8_EEEEPS9_S9_NSD_9__find_if7functorIS9_EEEE10hipError_tPvRmT1_T2_T3_mT4_P12ihipStream_tbEUlT_E1_NS1_11comp_targetILNS1_3genE5ELNS1_11target_archE942ELNS1_3gpuE9ELNS1_3repE0EEENS1_30default_config_static_selectorELNS0_4arch9wavefront6targetE1EEEvSW_.has_recursion, 0
	.set _ZN7rocprim17ROCPRIM_400000_NS6detail17trampoline_kernelINS0_14default_configENS1_22reduce_config_selectorIN6thrust23THRUST_200600_302600_NS5tupleIblNS6_9null_typeES8_S8_S8_S8_S8_S8_S8_EEEEZNS1_11reduce_implILb1ES3_NS6_12zip_iteratorINS7_INS6_11hip_rocprim26transform_input_iterator_tIbPKhN2at6native10EqualsModeEEENSD_19counting_iterator_tIlEES8_S8_S8_S8_S8_S8_S8_S8_EEEEPS9_S9_NSD_9__find_if7functorIS9_EEEE10hipError_tPvRmT1_T2_T3_mT4_P12ihipStream_tbEUlT_E1_NS1_11comp_targetILNS1_3genE5ELNS1_11target_archE942ELNS1_3gpuE9ELNS1_3repE0EEENS1_30default_config_static_selectorELNS0_4arch9wavefront6targetE1EEEvSW_.has_indirect_call, 0
	.section	.AMDGPU.csdata,"",@progbits
; Kernel info:
; codeLenInByte = 0
; TotalNumSgprs: 4
; NumVgprs: 0
; ScratchSize: 0
; MemoryBound: 0
; FloatMode: 240
; IeeeMode: 1
; LDSByteSize: 0 bytes/workgroup (compile time only)
; SGPRBlocks: 0
; VGPRBlocks: 0
; NumSGPRsForWavesPerEU: 4
; NumVGPRsForWavesPerEU: 1
; Occupancy: 10
; WaveLimiterHint : 0
; COMPUTE_PGM_RSRC2:SCRATCH_EN: 0
; COMPUTE_PGM_RSRC2:USER_SGPR: 6
; COMPUTE_PGM_RSRC2:TRAP_HANDLER: 0
; COMPUTE_PGM_RSRC2:TGID_X_EN: 1
; COMPUTE_PGM_RSRC2:TGID_Y_EN: 0
; COMPUTE_PGM_RSRC2:TGID_Z_EN: 0
; COMPUTE_PGM_RSRC2:TIDIG_COMP_CNT: 0
	.section	.text._ZN7rocprim17ROCPRIM_400000_NS6detail17trampoline_kernelINS0_14default_configENS1_22reduce_config_selectorIN6thrust23THRUST_200600_302600_NS5tupleIblNS6_9null_typeES8_S8_S8_S8_S8_S8_S8_EEEEZNS1_11reduce_implILb1ES3_NS6_12zip_iteratorINS7_INS6_11hip_rocprim26transform_input_iterator_tIbPKhN2at6native10EqualsModeEEENSD_19counting_iterator_tIlEES8_S8_S8_S8_S8_S8_S8_S8_EEEEPS9_S9_NSD_9__find_if7functorIS9_EEEE10hipError_tPvRmT1_T2_T3_mT4_P12ihipStream_tbEUlT_E1_NS1_11comp_targetILNS1_3genE4ELNS1_11target_archE910ELNS1_3gpuE8ELNS1_3repE0EEENS1_30default_config_static_selectorELNS0_4arch9wavefront6targetE1EEEvSW_,"axG",@progbits,_ZN7rocprim17ROCPRIM_400000_NS6detail17trampoline_kernelINS0_14default_configENS1_22reduce_config_selectorIN6thrust23THRUST_200600_302600_NS5tupleIblNS6_9null_typeES8_S8_S8_S8_S8_S8_S8_EEEEZNS1_11reduce_implILb1ES3_NS6_12zip_iteratorINS7_INS6_11hip_rocprim26transform_input_iterator_tIbPKhN2at6native10EqualsModeEEENSD_19counting_iterator_tIlEES8_S8_S8_S8_S8_S8_S8_S8_EEEEPS9_S9_NSD_9__find_if7functorIS9_EEEE10hipError_tPvRmT1_T2_T3_mT4_P12ihipStream_tbEUlT_E1_NS1_11comp_targetILNS1_3genE4ELNS1_11target_archE910ELNS1_3gpuE8ELNS1_3repE0EEENS1_30default_config_static_selectorELNS0_4arch9wavefront6targetE1EEEvSW_,comdat
	.protected	_ZN7rocprim17ROCPRIM_400000_NS6detail17trampoline_kernelINS0_14default_configENS1_22reduce_config_selectorIN6thrust23THRUST_200600_302600_NS5tupleIblNS6_9null_typeES8_S8_S8_S8_S8_S8_S8_EEEEZNS1_11reduce_implILb1ES3_NS6_12zip_iteratorINS7_INS6_11hip_rocprim26transform_input_iterator_tIbPKhN2at6native10EqualsModeEEENSD_19counting_iterator_tIlEES8_S8_S8_S8_S8_S8_S8_S8_EEEEPS9_S9_NSD_9__find_if7functorIS9_EEEE10hipError_tPvRmT1_T2_T3_mT4_P12ihipStream_tbEUlT_E1_NS1_11comp_targetILNS1_3genE4ELNS1_11target_archE910ELNS1_3gpuE8ELNS1_3repE0EEENS1_30default_config_static_selectorELNS0_4arch9wavefront6targetE1EEEvSW_ ; -- Begin function _ZN7rocprim17ROCPRIM_400000_NS6detail17trampoline_kernelINS0_14default_configENS1_22reduce_config_selectorIN6thrust23THRUST_200600_302600_NS5tupleIblNS6_9null_typeES8_S8_S8_S8_S8_S8_S8_EEEEZNS1_11reduce_implILb1ES3_NS6_12zip_iteratorINS7_INS6_11hip_rocprim26transform_input_iterator_tIbPKhN2at6native10EqualsModeEEENSD_19counting_iterator_tIlEES8_S8_S8_S8_S8_S8_S8_S8_EEEEPS9_S9_NSD_9__find_if7functorIS9_EEEE10hipError_tPvRmT1_T2_T3_mT4_P12ihipStream_tbEUlT_E1_NS1_11comp_targetILNS1_3genE4ELNS1_11target_archE910ELNS1_3gpuE8ELNS1_3repE0EEENS1_30default_config_static_selectorELNS0_4arch9wavefront6targetE1EEEvSW_
	.globl	_ZN7rocprim17ROCPRIM_400000_NS6detail17trampoline_kernelINS0_14default_configENS1_22reduce_config_selectorIN6thrust23THRUST_200600_302600_NS5tupleIblNS6_9null_typeES8_S8_S8_S8_S8_S8_S8_EEEEZNS1_11reduce_implILb1ES3_NS6_12zip_iteratorINS7_INS6_11hip_rocprim26transform_input_iterator_tIbPKhN2at6native10EqualsModeEEENSD_19counting_iterator_tIlEES8_S8_S8_S8_S8_S8_S8_S8_EEEEPS9_S9_NSD_9__find_if7functorIS9_EEEE10hipError_tPvRmT1_T2_T3_mT4_P12ihipStream_tbEUlT_E1_NS1_11comp_targetILNS1_3genE4ELNS1_11target_archE910ELNS1_3gpuE8ELNS1_3repE0EEENS1_30default_config_static_selectorELNS0_4arch9wavefront6targetE1EEEvSW_
	.p2align	8
	.type	_ZN7rocprim17ROCPRIM_400000_NS6detail17trampoline_kernelINS0_14default_configENS1_22reduce_config_selectorIN6thrust23THRUST_200600_302600_NS5tupleIblNS6_9null_typeES8_S8_S8_S8_S8_S8_S8_EEEEZNS1_11reduce_implILb1ES3_NS6_12zip_iteratorINS7_INS6_11hip_rocprim26transform_input_iterator_tIbPKhN2at6native10EqualsModeEEENSD_19counting_iterator_tIlEES8_S8_S8_S8_S8_S8_S8_S8_EEEEPS9_S9_NSD_9__find_if7functorIS9_EEEE10hipError_tPvRmT1_T2_T3_mT4_P12ihipStream_tbEUlT_E1_NS1_11comp_targetILNS1_3genE4ELNS1_11target_archE910ELNS1_3gpuE8ELNS1_3repE0EEENS1_30default_config_static_selectorELNS0_4arch9wavefront6targetE1EEEvSW_,@function
_ZN7rocprim17ROCPRIM_400000_NS6detail17trampoline_kernelINS0_14default_configENS1_22reduce_config_selectorIN6thrust23THRUST_200600_302600_NS5tupleIblNS6_9null_typeES8_S8_S8_S8_S8_S8_S8_EEEEZNS1_11reduce_implILb1ES3_NS6_12zip_iteratorINS7_INS6_11hip_rocprim26transform_input_iterator_tIbPKhN2at6native10EqualsModeEEENSD_19counting_iterator_tIlEES8_S8_S8_S8_S8_S8_S8_S8_EEEEPS9_S9_NSD_9__find_if7functorIS9_EEEE10hipError_tPvRmT1_T2_T3_mT4_P12ihipStream_tbEUlT_E1_NS1_11comp_targetILNS1_3genE4ELNS1_11target_archE910ELNS1_3gpuE8ELNS1_3repE0EEENS1_30default_config_static_selectorELNS0_4arch9wavefront6targetE1EEEvSW_: ; @_ZN7rocprim17ROCPRIM_400000_NS6detail17trampoline_kernelINS0_14default_configENS1_22reduce_config_selectorIN6thrust23THRUST_200600_302600_NS5tupleIblNS6_9null_typeES8_S8_S8_S8_S8_S8_S8_EEEEZNS1_11reduce_implILb1ES3_NS6_12zip_iteratorINS7_INS6_11hip_rocprim26transform_input_iterator_tIbPKhN2at6native10EqualsModeEEENSD_19counting_iterator_tIlEES8_S8_S8_S8_S8_S8_S8_S8_EEEEPS9_S9_NSD_9__find_if7functorIS9_EEEE10hipError_tPvRmT1_T2_T3_mT4_P12ihipStream_tbEUlT_E1_NS1_11comp_targetILNS1_3genE4ELNS1_11target_archE910ELNS1_3gpuE8ELNS1_3repE0EEENS1_30default_config_static_selectorELNS0_4arch9wavefront6targetE1EEEvSW_
; %bb.0:
	.section	.rodata,"a",@progbits
	.p2align	6, 0x0
	.amdhsa_kernel _ZN7rocprim17ROCPRIM_400000_NS6detail17trampoline_kernelINS0_14default_configENS1_22reduce_config_selectorIN6thrust23THRUST_200600_302600_NS5tupleIblNS6_9null_typeES8_S8_S8_S8_S8_S8_S8_EEEEZNS1_11reduce_implILb1ES3_NS6_12zip_iteratorINS7_INS6_11hip_rocprim26transform_input_iterator_tIbPKhN2at6native10EqualsModeEEENSD_19counting_iterator_tIlEES8_S8_S8_S8_S8_S8_S8_S8_EEEEPS9_S9_NSD_9__find_if7functorIS9_EEEE10hipError_tPvRmT1_T2_T3_mT4_P12ihipStream_tbEUlT_E1_NS1_11comp_targetILNS1_3genE4ELNS1_11target_archE910ELNS1_3gpuE8ELNS1_3repE0EEENS1_30default_config_static_selectorELNS0_4arch9wavefront6targetE1EEEvSW_
		.amdhsa_group_segment_fixed_size 0
		.amdhsa_private_segment_fixed_size 0
		.amdhsa_kernarg_size 72
		.amdhsa_user_sgpr_count 6
		.amdhsa_user_sgpr_private_segment_buffer 1
		.amdhsa_user_sgpr_dispatch_ptr 0
		.amdhsa_user_sgpr_queue_ptr 0
		.amdhsa_user_sgpr_kernarg_segment_ptr 1
		.amdhsa_user_sgpr_dispatch_id 0
		.amdhsa_user_sgpr_flat_scratch_init 0
		.amdhsa_user_sgpr_private_segment_size 0
		.amdhsa_uses_dynamic_stack 0
		.amdhsa_system_sgpr_private_segment_wavefront_offset 0
		.amdhsa_system_sgpr_workgroup_id_x 1
		.amdhsa_system_sgpr_workgroup_id_y 0
		.amdhsa_system_sgpr_workgroup_id_z 0
		.amdhsa_system_sgpr_workgroup_info 0
		.amdhsa_system_vgpr_workitem_id 0
		.amdhsa_next_free_vgpr 1
		.amdhsa_next_free_sgpr 0
		.amdhsa_reserve_vcc 0
		.amdhsa_reserve_flat_scratch 0
		.amdhsa_float_round_mode_32 0
		.amdhsa_float_round_mode_16_64 0
		.amdhsa_float_denorm_mode_32 3
		.amdhsa_float_denorm_mode_16_64 3
		.amdhsa_dx10_clamp 1
		.amdhsa_ieee_mode 1
		.amdhsa_fp16_overflow 0
		.amdhsa_exception_fp_ieee_invalid_op 0
		.amdhsa_exception_fp_denorm_src 0
		.amdhsa_exception_fp_ieee_div_zero 0
		.amdhsa_exception_fp_ieee_overflow 0
		.amdhsa_exception_fp_ieee_underflow 0
		.amdhsa_exception_fp_ieee_inexact 0
		.amdhsa_exception_int_div_zero 0
	.end_amdhsa_kernel
	.section	.text._ZN7rocprim17ROCPRIM_400000_NS6detail17trampoline_kernelINS0_14default_configENS1_22reduce_config_selectorIN6thrust23THRUST_200600_302600_NS5tupleIblNS6_9null_typeES8_S8_S8_S8_S8_S8_S8_EEEEZNS1_11reduce_implILb1ES3_NS6_12zip_iteratorINS7_INS6_11hip_rocprim26transform_input_iterator_tIbPKhN2at6native10EqualsModeEEENSD_19counting_iterator_tIlEES8_S8_S8_S8_S8_S8_S8_S8_EEEEPS9_S9_NSD_9__find_if7functorIS9_EEEE10hipError_tPvRmT1_T2_T3_mT4_P12ihipStream_tbEUlT_E1_NS1_11comp_targetILNS1_3genE4ELNS1_11target_archE910ELNS1_3gpuE8ELNS1_3repE0EEENS1_30default_config_static_selectorELNS0_4arch9wavefront6targetE1EEEvSW_,"axG",@progbits,_ZN7rocprim17ROCPRIM_400000_NS6detail17trampoline_kernelINS0_14default_configENS1_22reduce_config_selectorIN6thrust23THRUST_200600_302600_NS5tupleIblNS6_9null_typeES8_S8_S8_S8_S8_S8_S8_EEEEZNS1_11reduce_implILb1ES3_NS6_12zip_iteratorINS7_INS6_11hip_rocprim26transform_input_iterator_tIbPKhN2at6native10EqualsModeEEENSD_19counting_iterator_tIlEES8_S8_S8_S8_S8_S8_S8_S8_EEEEPS9_S9_NSD_9__find_if7functorIS9_EEEE10hipError_tPvRmT1_T2_T3_mT4_P12ihipStream_tbEUlT_E1_NS1_11comp_targetILNS1_3genE4ELNS1_11target_archE910ELNS1_3gpuE8ELNS1_3repE0EEENS1_30default_config_static_selectorELNS0_4arch9wavefront6targetE1EEEvSW_,comdat
.Lfunc_end65:
	.size	_ZN7rocprim17ROCPRIM_400000_NS6detail17trampoline_kernelINS0_14default_configENS1_22reduce_config_selectorIN6thrust23THRUST_200600_302600_NS5tupleIblNS6_9null_typeES8_S8_S8_S8_S8_S8_S8_EEEEZNS1_11reduce_implILb1ES3_NS6_12zip_iteratorINS7_INS6_11hip_rocprim26transform_input_iterator_tIbPKhN2at6native10EqualsModeEEENSD_19counting_iterator_tIlEES8_S8_S8_S8_S8_S8_S8_S8_EEEEPS9_S9_NSD_9__find_if7functorIS9_EEEE10hipError_tPvRmT1_T2_T3_mT4_P12ihipStream_tbEUlT_E1_NS1_11comp_targetILNS1_3genE4ELNS1_11target_archE910ELNS1_3gpuE8ELNS1_3repE0EEENS1_30default_config_static_selectorELNS0_4arch9wavefront6targetE1EEEvSW_, .Lfunc_end65-_ZN7rocprim17ROCPRIM_400000_NS6detail17trampoline_kernelINS0_14default_configENS1_22reduce_config_selectorIN6thrust23THRUST_200600_302600_NS5tupleIblNS6_9null_typeES8_S8_S8_S8_S8_S8_S8_EEEEZNS1_11reduce_implILb1ES3_NS6_12zip_iteratorINS7_INS6_11hip_rocprim26transform_input_iterator_tIbPKhN2at6native10EqualsModeEEENSD_19counting_iterator_tIlEES8_S8_S8_S8_S8_S8_S8_S8_EEEEPS9_S9_NSD_9__find_if7functorIS9_EEEE10hipError_tPvRmT1_T2_T3_mT4_P12ihipStream_tbEUlT_E1_NS1_11comp_targetILNS1_3genE4ELNS1_11target_archE910ELNS1_3gpuE8ELNS1_3repE0EEENS1_30default_config_static_selectorELNS0_4arch9wavefront6targetE1EEEvSW_
                                        ; -- End function
	.set _ZN7rocprim17ROCPRIM_400000_NS6detail17trampoline_kernelINS0_14default_configENS1_22reduce_config_selectorIN6thrust23THRUST_200600_302600_NS5tupleIblNS6_9null_typeES8_S8_S8_S8_S8_S8_S8_EEEEZNS1_11reduce_implILb1ES3_NS6_12zip_iteratorINS7_INS6_11hip_rocprim26transform_input_iterator_tIbPKhN2at6native10EqualsModeEEENSD_19counting_iterator_tIlEES8_S8_S8_S8_S8_S8_S8_S8_EEEEPS9_S9_NSD_9__find_if7functorIS9_EEEE10hipError_tPvRmT1_T2_T3_mT4_P12ihipStream_tbEUlT_E1_NS1_11comp_targetILNS1_3genE4ELNS1_11target_archE910ELNS1_3gpuE8ELNS1_3repE0EEENS1_30default_config_static_selectorELNS0_4arch9wavefront6targetE1EEEvSW_.num_vgpr, 0
	.set _ZN7rocprim17ROCPRIM_400000_NS6detail17trampoline_kernelINS0_14default_configENS1_22reduce_config_selectorIN6thrust23THRUST_200600_302600_NS5tupleIblNS6_9null_typeES8_S8_S8_S8_S8_S8_S8_EEEEZNS1_11reduce_implILb1ES3_NS6_12zip_iteratorINS7_INS6_11hip_rocprim26transform_input_iterator_tIbPKhN2at6native10EqualsModeEEENSD_19counting_iterator_tIlEES8_S8_S8_S8_S8_S8_S8_S8_EEEEPS9_S9_NSD_9__find_if7functorIS9_EEEE10hipError_tPvRmT1_T2_T3_mT4_P12ihipStream_tbEUlT_E1_NS1_11comp_targetILNS1_3genE4ELNS1_11target_archE910ELNS1_3gpuE8ELNS1_3repE0EEENS1_30default_config_static_selectorELNS0_4arch9wavefront6targetE1EEEvSW_.num_agpr, 0
	.set _ZN7rocprim17ROCPRIM_400000_NS6detail17trampoline_kernelINS0_14default_configENS1_22reduce_config_selectorIN6thrust23THRUST_200600_302600_NS5tupleIblNS6_9null_typeES8_S8_S8_S8_S8_S8_S8_EEEEZNS1_11reduce_implILb1ES3_NS6_12zip_iteratorINS7_INS6_11hip_rocprim26transform_input_iterator_tIbPKhN2at6native10EqualsModeEEENSD_19counting_iterator_tIlEES8_S8_S8_S8_S8_S8_S8_S8_EEEEPS9_S9_NSD_9__find_if7functorIS9_EEEE10hipError_tPvRmT1_T2_T3_mT4_P12ihipStream_tbEUlT_E1_NS1_11comp_targetILNS1_3genE4ELNS1_11target_archE910ELNS1_3gpuE8ELNS1_3repE0EEENS1_30default_config_static_selectorELNS0_4arch9wavefront6targetE1EEEvSW_.numbered_sgpr, 0
	.set _ZN7rocprim17ROCPRIM_400000_NS6detail17trampoline_kernelINS0_14default_configENS1_22reduce_config_selectorIN6thrust23THRUST_200600_302600_NS5tupleIblNS6_9null_typeES8_S8_S8_S8_S8_S8_S8_EEEEZNS1_11reduce_implILb1ES3_NS6_12zip_iteratorINS7_INS6_11hip_rocprim26transform_input_iterator_tIbPKhN2at6native10EqualsModeEEENSD_19counting_iterator_tIlEES8_S8_S8_S8_S8_S8_S8_S8_EEEEPS9_S9_NSD_9__find_if7functorIS9_EEEE10hipError_tPvRmT1_T2_T3_mT4_P12ihipStream_tbEUlT_E1_NS1_11comp_targetILNS1_3genE4ELNS1_11target_archE910ELNS1_3gpuE8ELNS1_3repE0EEENS1_30default_config_static_selectorELNS0_4arch9wavefront6targetE1EEEvSW_.num_named_barrier, 0
	.set _ZN7rocprim17ROCPRIM_400000_NS6detail17trampoline_kernelINS0_14default_configENS1_22reduce_config_selectorIN6thrust23THRUST_200600_302600_NS5tupleIblNS6_9null_typeES8_S8_S8_S8_S8_S8_S8_EEEEZNS1_11reduce_implILb1ES3_NS6_12zip_iteratorINS7_INS6_11hip_rocprim26transform_input_iterator_tIbPKhN2at6native10EqualsModeEEENSD_19counting_iterator_tIlEES8_S8_S8_S8_S8_S8_S8_S8_EEEEPS9_S9_NSD_9__find_if7functorIS9_EEEE10hipError_tPvRmT1_T2_T3_mT4_P12ihipStream_tbEUlT_E1_NS1_11comp_targetILNS1_3genE4ELNS1_11target_archE910ELNS1_3gpuE8ELNS1_3repE0EEENS1_30default_config_static_selectorELNS0_4arch9wavefront6targetE1EEEvSW_.private_seg_size, 0
	.set _ZN7rocprim17ROCPRIM_400000_NS6detail17trampoline_kernelINS0_14default_configENS1_22reduce_config_selectorIN6thrust23THRUST_200600_302600_NS5tupleIblNS6_9null_typeES8_S8_S8_S8_S8_S8_S8_EEEEZNS1_11reduce_implILb1ES3_NS6_12zip_iteratorINS7_INS6_11hip_rocprim26transform_input_iterator_tIbPKhN2at6native10EqualsModeEEENSD_19counting_iterator_tIlEES8_S8_S8_S8_S8_S8_S8_S8_EEEEPS9_S9_NSD_9__find_if7functorIS9_EEEE10hipError_tPvRmT1_T2_T3_mT4_P12ihipStream_tbEUlT_E1_NS1_11comp_targetILNS1_3genE4ELNS1_11target_archE910ELNS1_3gpuE8ELNS1_3repE0EEENS1_30default_config_static_selectorELNS0_4arch9wavefront6targetE1EEEvSW_.uses_vcc, 0
	.set _ZN7rocprim17ROCPRIM_400000_NS6detail17trampoline_kernelINS0_14default_configENS1_22reduce_config_selectorIN6thrust23THRUST_200600_302600_NS5tupleIblNS6_9null_typeES8_S8_S8_S8_S8_S8_S8_EEEEZNS1_11reduce_implILb1ES3_NS6_12zip_iteratorINS7_INS6_11hip_rocprim26transform_input_iterator_tIbPKhN2at6native10EqualsModeEEENSD_19counting_iterator_tIlEES8_S8_S8_S8_S8_S8_S8_S8_EEEEPS9_S9_NSD_9__find_if7functorIS9_EEEE10hipError_tPvRmT1_T2_T3_mT4_P12ihipStream_tbEUlT_E1_NS1_11comp_targetILNS1_3genE4ELNS1_11target_archE910ELNS1_3gpuE8ELNS1_3repE0EEENS1_30default_config_static_selectorELNS0_4arch9wavefront6targetE1EEEvSW_.uses_flat_scratch, 0
	.set _ZN7rocprim17ROCPRIM_400000_NS6detail17trampoline_kernelINS0_14default_configENS1_22reduce_config_selectorIN6thrust23THRUST_200600_302600_NS5tupleIblNS6_9null_typeES8_S8_S8_S8_S8_S8_S8_EEEEZNS1_11reduce_implILb1ES3_NS6_12zip_iteratorINS7_INS6_11hip_rocprim26transform_input_iterator_tIbPKhN2at6native10EqualsModeEEENSD_19counting_iterator_tIlEES8_S8_S8_S8_S8_S8_S8_S8_EEEEPS9_S9_NSD_9__find_if7functorIS9_EEEE10hipError_tPvRmT1_T2_T3_mT4_P12ihipStream_tbEUlT_E1_NS1_11comp_targetILNS1_3genE4ELNS1_11target_archE910ELNS1_3gpuE8ELNS1_3repE0EEENS1_30default_config_static_selectorELNS0_4arch9wavefront6targetE1EEEvSW_.has_dyn_sized_stack, 0
	.set _ZN7rocprim17ROCPRIM_400000_NS6detail17trampoline_kernelINS0_14default_configENS1_22reduce_config_selectorIN6thrust23THRUST_200600_302600_NS5tupleIblNS6_9null_typeES8_S8_S8_S8_S8_S8_S8_EEEEZNS1_11reduce_implILb1ES3_NS6_12zip_iteratorINS7_INS6_11hip_rocprim26transform_input_iterator_tIbPKhN2at6native10EqualsModeEEENSD_19counting_iterator_tIlEES8_S8_S8_S8_S8_S8_S8_S8_EEEEPS9_S9_NSD_9__find_if7functorIS9_EEEE10hipError_tPvRmT1_T2_T3_mT4_P12ihipStream_tbEUlT_E1_NS1_11comp_targetILNS1_3genE4ELNS1_11target_archE910ELNS1_3gpuE8ELNS1_3repE0EEENS1_30default_config_static_selectorELNS0_4arch9wavefront6targetE1EEEvSW_.has_recursion, 0
	.set _ZN7rocprim17ROCPRIM_400000_NS6detail17trampoline_kernelINS0_14default_configENS1_22reduce_config_selectorIN6thrust23THRUST_200600_302600_NS5tupleIblNS6_9null_typeES8_S8_S8_S8_S8_S8_S8_EEEEZNS1_11reduce_implILb1ES3_NS6_12zip_iteratorINS7_INS6_11hip_rocprim26transform_input_iterator_tIbPKhN2at6native10EqualsModeEEENSD_19counting_iterator_tIlEES8_S8_S8_S8_S8_S8_S8_S8_EEEEPS9_S9_NSD_9__find_if7functorIS9_EEEE10hipError_tPvRmT1_T2_T3_mT4_P12ihipStream_tbEUlT_E1_NS1_11comp_targetILNS1_3genE4ELNS1_11target_archE910ELNS1_3gpuE8ELNS1_3repE0EEENS1_30default_config_static_selectorELNS0_4arch9wavefront6targetE1EEEvSW_.has_indirect_call, 0
	.section	.AMDGPU.csdata,"",@progbits
; Kernel info:
; codeLenInByte = 0
; TotalNumSgprs: 4
; NumVgprs: 0
; ScratchSize: 0
; MemoryBound: 0
; FloatMode: 240
; IeeeMode: 1
; LDSByteSize: 0 bytes/workgroup (compile time only)
; SGPRBlocks: 0
; VGPRBlocks: 0
; NumSGPRsForWavesPerEU: 4
; NumVGPRsForWavesPerEU: 1
; Occupancy: 10
; WaveLimiterHint : 0
; COMPUTE_PGM_RSRC2:SCRATCH_EN: 0
; COMPUTE_PGM_RSRC2:USER_SGPR: 6
; COMPUTE_PGM_RSRC2:TRAP_HANDLER: 0
; COMPUTE_PGM_RSRC2:TGID_X_EN: 1
; COMPUTE_PGM_RSRC2:TGID_Y_EN: 0
; COMPUTE_PGM_RSRC2:TGID_Z_EN: 0
; COMPUTE_PGM_RSRC2:TIDIG_COMP_CNT: 0
	.section	.text._ZN7rocprim17ROCPRIM_400000_NS6detail17trampoline_kernelINS0_14default_configENS1_22reduce_config_selectorIN6thrust23THRUST_200600_302600_NS5tupleIblNS6_9null_typeES8_S8_S8_S8_S8_S8_S8_EEEEZNS1_11reduce_implILb1ES3_NS6_12zip_iteratorINS7_INS6_11hip_rocprim26transform_input_iterator_tIbPKhN2at6native10EqualsModeEEENSD_19counting_iterator_tIlEES8_S8_S8_S8_S8_S8_S8_S8_EEEEPS9_S9_NSD_9__find_if7functorIS9_EEEE10hipError_tPvRmT1_T2_T3_mT4_P12ihipStream_tbEUlT_E1_NS1_11comp_targetILNS1_3genE3ELNS1_11target_archE908ELNS1_3gpuE7ELNS1_3repE0EEENS1_30default_config_static_selectorELNS0_4arch9wavefront6targetE1EEEvSW_,"axG",@progbits,_ZN7rocprim17ROCPRIM_400000_NS6detail17trampoline_kernelINS0_14default_configENS1_22reduce_config_selectorIN6thrust23THRUST_200600_302600_NS5tupleIblNS6_9null_typeES8_S8_S8_S8_S8_S8_S8_EEEEZNS1_11reduce_implILb1ES3_NS6_12zip_iteratorINS7_INS6_11hip_rocprim26transform_input_iterator_tIbPKhN2at6native10EqualsModeEEENSD_19counting_iterator_tIlEES8_S8_S8_S8_S8_S8_S8_S8_EEEEPS9_S9_NSD_9__find_if7functorIS9_EEEE10hipError_tPvRmT1_T2_T3_mT4_P12ihipStream_tbEUlT_E1_NS1_11comp_targetILNS1_3genE3ELNS1_11target_archE908ELNS1_3gpuE7ELNS1_3repE0EEENS1_30default_config_static_selectorELNS0_4arch9wavefront6targetE1EEEvSW_,comdat
	.protected	_ZN7rocprim17ROCPRIM_400000_NS6detail17trampoline_kernelINS0_14default_configENS1_22reduce_config_selectorIN6thrust23THRUST_200600_302600_NS5tupleIblNS6_9null_typeES8_S8_S8_S8_S8_S8_S8_EEEEZNS1_11reduce_implILb1ES3_NS6_12zip_iteratorINS7_INS6_11hip_rocprim26transform_input_iterator_tIbPKhN2at6native10EqualsModeEEENSD_19counting_iterator_tIlEES8_S8_S8_S8_S8_S8_S8_S8_EEEEPS9_S9_NSD_9__find_if7functorIS9_EEEE10hipError_tPvRmT1_T2_T3_mT4_P12ihipStream_tbEUlT_E1_NS1_11comp_targetILNS1_3genE3ELNS1_11target_archE908ELNS1_3gpuE7ELNS1_3repE0EEENS1_30default_config_static_selectorELNS0_4arch9wavefront6targetE1EEEvSW_ ; -- Begin function _ZN7rocprim17ROCPRIM_400000_NS6detail17trampoline_kernelINS0_14default_configENS1_22reduce_config_selectorIN6thrust23THRUST_200600_302600_NS5tupleIblNS6_9null_typeES8_S8_S8_S8_S8_S8_S8_EEEEZNS1_11reduce_implILb1ES3_NS6_12zip_iteratorINS7_INS6_11hip_rocprim26transform_input_iterator_tIbPKhN2at6native10EqualsModeEEENSD_19counting_iterator_tIlEES8_S8_S8_S8_S8_S8_S8_S8_EEEEPS9_S9_NSD_9__find_if7functorIS9_EEEE10hipError_tPvRmT1_T2_T3_mT4_P12ihipStream_tbEUlT_E1_NS1_11comp_targetILNS1_3genE3ELNS1_11target_archE908ELNS1_3gpuE7ELNS1_3repE0EEENS1_30default_config_static_selectorELNS0_4arch9wavefront6targetE1EEEvSW_
	.globl	_ZN7rocprim17ROCPRIM_400000_NS6detail17trampoline_kernelINS0_14default_configENS1_22reduce_config_selectorIN6thrust23THRUST_200600_302600_NS5tupleIblNS6_9null_typeES8_S8_S8_S8_S8_S8_S8_EEEEZNS1_11reduce_implILb1ES3_NS6_12zip_iteratorINS7_INS6_11hip_rocprim26transform_input_iterator_tIbPKhN2at6native10EqualsModeEEENSD_19counting_iterator_tIlEES8_S8_S8_S8_S8_S8_S8_S8_EEEEPS9_S9_NSD_9__find_if7functorIS9_EEEE10hipError_tPvRmT1_T2_T3_mT4_P12ihipStream_tbEUlT_E1_NS1_11comp_targetILNS1_3genE3ELNS1_11target_archE908ELNS1_3gpuE7ELNS1_3repE0EEENS1_30default_config_static_selectorELNS0_4arch9wavefront6targetE1EEEvSW_
	.p2align	8
	.type	_ZN7rocprim17ROCPRIM_400000_NS6detail17trampoline_kernelINS0_14default_configENS1_22reduce_config_selectorIN6thrust23THRUST_200600_302600_NS5tupleIblNS6_9null_typeES8_S8_S8_S8_S8_S8_S8_EEEEZNS1_11reduce_implILb1ES3_NS6_12zip_iteratorINS7_INS6_11hip_rocprim26transform_input_iterator_tIbPKhN2at6native10EqualsModeEEENSD_19counting_iterator_tIlEES8_S8_S8_S8_S8_S8_S8_S8_EEEEPS9_S9_NSD_9__find_if7functorIS9_EEEE10hipError_tPvRmT1_T2_T3_mT4_P12ihipStream_tbEUlT_E1_NS1_11comp_targetILNS1_3genE3ELNS1_11target_archE908ELNS1_3gpuE7ELNS1_3repE0EEENS1_30default_config_static_selectorELNS0_4arch9wavefront6targetE1EEEvSW_,@function
_ZN7rocprim17ROCPRIM_400000_NS6detail17trampoline_kernelINS0_14default_configENS1_22reduce_config_selectorIN6thrust23THRUST_200600_302600_NS5tupleIblNS6_9null_typeES8_S8_S8_S8_S8_S8_S8_EEEEZNS1_11reduce_implILb1ES3_NS6_12zip_iteratorINS7_INS6_11hip_rocprim26transform_input_iterator_tIbPKhN2at6native10EqualsModeEEENSD_19counting_iterator_tIlEES8_S8_S8_S8_S8_S8_S8_S8_EEEEPS9_S9_NSD_9__find_if7functorIS9_EEEE10hipError_tPvRmT1_T2_T3_mT4_P12ihipStream_tbEUlT_E1_NS1_11comp_targetILNS1_3genE3ELNS1_11target_archE908ELNS1_3gpuE7ELNS1_3repE0EEENS1_30default_config_static_selectorELNS0_4arch9wavefront6targetE1EEEvSW_: ; @_ZN7rocprim17ROCPRIM_400000_NS6detail17trampoline_kernelINS0_14default_configENS1_22reduce_config_selectorIN6thrust23THRUST_200600_302600_NS5tupleIblNS6_9null_typeES8_S8_S8_S8_S8_S8_S8_EEEEZNS1_11reduce_implILb1ES3_NS6_12zip_iteratorINS7_INS6_11hip_rocprim26transform_input_iterator_tIbPKhN2at6native10EqualsModeEEENSD_19counting_iterator_tIlEES8_S8_S8_S8_S8_S8_S8_S8_EEEEPS9_S9_NSD_9__find_if7functorIS9_EEEE10hipError_tPvRmT1_T2_T3_mT4_P12ihipStream_tbEUlT_E1_NS1_11comp_targetILNS1_3genE3ELNS1_11target_archE908ELNS1_3gpuE7ELNS1_3repE0EEENS1_30default_config_static_selectorELNS0_4arch9wavefront6targetE1EEEvSW_
; %bb.0:
	.section	.rodata,"a",@progbits
	.p2align	6, 0x0
	.amdhsa_kernel _ZN7rocprim17ROCPRIM_400000_NS6detail17trampoline_kernelINS0_14default_configENS1_22reduce_config_selectorIN6thrust23THRUST_200600_302600_NS5tupleIblNS6_9null_typeES8_S8_S8_S8_S8_S8_S8_EEEEZNS1_11reduce_implILb1ES3_NS6_12zip_iteratorINS7_INS6_11hip_rocprim26transform_input_iterator_tIbPKhN2at6native10EqualsModeEEENSD_19counting_iterator_tIlEES8_S8_S8_S8_S8_S8_S8_S8_EEEEPS9_S9_NSD_9__find_if7functorIS9_EEEE10hipError_tPvRmT1_T2_T3_mT4_P12ihipStream_tbEUlT_E1_NS1_11comp_targetILNS1_3genE3ELNS1_11target_archE908ELNS1_3gpuE7ELNS1_3repE0EEENS1_30default_config_static_selectorELNS0_4arch9wavefront6targetE1EEEvSW_
		.amdhsa_group_segment_fixed_size 0
		.amdhsa_private_segment_fixed_size 0
		.amdhsa_kernarg_size 72
		.amdhsa_user_sgpr_count 6
		.amdhsa_user_sgpr_private_segment_buffer 1
		.amdhsa_user_sgpr_dispatch_ptr 0
		.amdhsa_user_sgpr_queue_ptr 0
		.amdhsa_user_sgpr_kernarg_segment_ptr 1
		.amdhsa_user_sgpr_dispatch_id 0
		.amdhsa_user_sgpr_flat_scratch_init 0
		.amdhsa_user_sgpr_private_segment_size 0
		.amdhsa_uses_dynamic_stack 0
		.amdhsa_system_sgpr_private_segment_wavefront_offset 0
		.amdhsa_system_sgpr_workgroup_id_x 1
		.amdhsa_system_sgpr_workgroup_id_y 0
		.amdhsa_system_sgpr_workgroup_id_z 0
		.amdhsa_system_sgpr_workgroup_info 0
		.amdhsa_system_vgpr_workitem_id 0
		.amdhsa_next_free_vgpr 1
		.amdhsa_next_free_sgpr 0
		.amdhsa_reserve_vcc 0
		.amdhsa_reserve_flat_scratch 0
		.amdhsa_float_round_mode_32 0
		.amdhsa_float_round_mode_16_64 0
		.amdhsa_float_denorm_mode_32 3
		.amdhsa_float_denorm_mode_16_64 3
		.amdhsa_dx10_clamp 1
		.amdhsa_ieee_mode 1
		.amdhsa_fp16_overflow 0
		.amdhsa_exception_fp_ieee_invalid_op 0
		.amdhsa_exception_fp_denorm_src 0
		.amdhsa_exception_fp_ieee_div_zero 0
		.amdhsa_exception_fp_ieee_overflow 0
		.amdhsa_exception_fp_ieee_underflow 0
		.amdhsa_exception_fp_ieee_inexact 0
		.amdhsa_exception_int_div_zero 0
	.end_amdhsa_kernel
	.section	.text._ZN7rocprim17ROCPRIM_400000_NS6detail17trampoline_kernelINS0_14default_configENS1_22reduce_config_selectorIN6thrust23THRUST_200600_302600_NS5tupleIblNS6_9null_typeES8_S8_S8_S8_S8_S8_S8_EEEEZNS1_11reduce_implILb1ES3_NS6_12zip_iteratorINS7_INS6_11hip_rocprim26transform_input_iterator_tIbPKhN2at6native10EqualsModeEEENSD_19counting_iterator_tIlEES8_S8_S8_S8_S8_S8_S8_S8_EEEEPS9_S9_NSD_9__find_if7functorIS9_EEEE10hipError_tPvRmT1_T2_T3_mT4_P12ihipStream_tbEUlT_E1_NS1_11comp_targetILNS1_3genE3ELNS1_11target_archE908ELNS1_3gpuE7ELNS1_3repE0EEENS1_30default_config_static_selectorELNS0_4arch9wavefront6targetE1EEEvSW_,"axG",@progbits,_ZN7rocprim17ROCPRIM_400000_NS6detail17trampoline_kernelINS0_14default_configENS1_22reduce_config_selectorIN6thrust23THRUST_200600_302600_NS5tupleIblNS6_9null_typeES8_S8_S8_S8_S8_S8_S8_EEEEZNS1_11reduce_implILb1ES3_NS6_12zip_iteratorINS7_INS6_11hip_rocprim26transform_input_iterator_tIbPKhN2at6native10EqualsModeEEENSD_19counting_iterator_tIlEES8_S8_S8_S8_S8_S8_S8_S8_EEEEPS9_S9_NSD_9__find_if7functorIS9_EEEE10hipError_tPvRmT1_T2_T3_mT4_P12ihipStream_tbEUlT_E1_NS1_11comp_targetILNS1_3genE3ELNS1_11target_archE908ELNS1_3gpuE7ELNS1_3repE0EEENS1_30default_config_static_selectorELNS0_4arch9wavefront6targetE1EEEvSW_,comdat
.Lfunc_end66:
	.size	_ZN7rocprim17ROCPRIM_400000_NS6detail17trampoline_kernelINS0_14default_configENS1_22reduce_config_selectorIN6thrust23THRUST_200600_302600_NS5tupleIblNS6_9null_typeES8_S8_S8_S8_S8_S8_S8_EEEEZNS1_11reduce_implILb1ES3_NS6_12zip_iteratorINS7_INS6_11hip_rocprim26transform_input_iterator_tIbPKhN2at6native10EqualsModeEEENSD_19counting_iterator_tIlEES8_S8_S8_S8_S8_S8_S8_S8_EEEEPS9_S9_NSD_9__find_if7functorIS9_EEEE10hipError_tPvRmT1_T2_T3_mT4_P12ihipStream_tbEUlT_E1_NS1_11comp_targetILNS1_3genE3ELNS1_11target_archE908ELNS1_3gpuE7ELNS1_3repE0EEENS1_30default_config_static_selectorELNS0_4arch9wavefront6targetE1EEEvSW_, .Lfunc_end66-_ZN7rocprim17ROCPRIM_400000_NS6detail17trampoline_kernelINS0_14default_configENS1_22reduce_config_selectorIN6thrust23THRUST_200600_302600_NS5tupleIblNS6_9null_typeES8_S8_S8_S8_S8_S8_S8_EEEEZNS1_11reduce_implILb1ES3_NS6_12zip_iteratorINS7_INS6_11hip_rocprim26transform_input_iterator_tIbPKhN2at6native10EqualsModeEEENSD_19counting_iterator_tIlEES8_S8_S8_S8_S8_S8_S8_S8_EEEEPS9_S9_NSD_9__find_if7functorIS9_EEEE10hipError_tPvRmT1_T2_T3_mT4_P12ihipStream_tbEUlT_E1_NS1_11comp_targetILNS1_3genE3ELNS1_11target_archE908ELNS1_3gpuE7ELNS1_3repE0EEENS1_30default_config_static_selectorELNS0_4arch9wavefront6targetE1EEEvSW_
                                        ; -- End function
	.set _ZN7rocprim17ROCPRIM_400000_NS6detail17trampoline_kernelINS0_14default_configENS1_22reduce_config_selectorIN6thrust23THRUST_200600_302600_NS5tupleIblNS6_9null_typeES8_S8_S8_S8_S8_S8_S8_EEEEZNS1_11reduce_implILb1ES3_NS6_12zip_iteratorINS7_INS6_11hip_rocprim26transform_input_iterator_tIbPKhN2at6native10EqualsModeEEENSD_19counting_iterator_tIlEES8_S8_S8_S8_S8_S8_S8_S8_EEEEPS9_S9_NSD_9__find_if7functorIS9_EEEE10hipError_tPvRmT1_T2_T3_mT4_P12ihipStream_tbEUlT_E1_NS1_11comp_targetILNS1_3genE3ELNS1_11target_archE908ELNS1_3gpuE7ELNS1_3repE0EEENS1_30default_config_static_selectorELNS0_4arch9wavefront6targetE1EEEvSW_.num_vgpr, 0
	.set _ZN7rocprim17ROCPRIM_400000_NS6detail17trampoline_kernelINS0_14default_configENS1_22reduce_config_selectorIN6thrust23THRUST_200600_302600_NS5tupleIblNS6_9null_typeES8_S8_S8_S8_S8_S8_S8_EEEEZNS1_11reduce_implILb1ES3_NS6_12zip_iteratorINS7_INS6_11hip_rocprim26transform_input_iterator_tIbPKhN2at6native10EqualsModeEEENSD_19counting_iterator_tIlEES8_S8_S8_S8_S8_S8_S8_S8_EEEEPS9_S9_NSD_9__find_if7functorIS9_EEEE10hipError_tPvRmT1_T2_T3_mT4_P12ihipStream_tbEUlT_E1_NS1_11comp_targetILNS1_3genE3ELNS1_11target_archE908ELNS1_3gpuE7ELNS1_3repE0EEENS1_30default_config_static_selectorELNS0_4arch9wavefront6targetE1EEEvSW_.num_agpr, 0
	.set _ZN7rocprim17ROCPRIM_400000_NS6detail17trampoline_kernelINS0_14default_configENS1_22reduce_config_selectorIN6thrust23THRUST_200600_302600_NS5tupleIblNS6_9null_typeES8_S8_S8_S8_S8_S8_S8_EEEEZNS1_11reduce_implILb1ES3_NS6_12zip_iteratorINS7_INS6_11hip_rocprim26transform_input_iterator_tIbPKhN2at6native10EqualsModeEEENSD_19counting_iterator_tIlEES8_S8_S8_S8_S8_S8_S8_S8_EEEEPS9_S9_NSD_9__find_if7functorIS9_EEEE10hipError_tPvRmT1_T2_T3_mT4_P12ihipStream_tbEUlT_E1_NS1_11comp_targetILNS1_3genE3ELNS1_11target_archE908ELNS1_3gpuE7ELNS1_3repE0EEENS1_30default_config_static_selectorELNS0_4arch9wavefront6targetE1EEEvSW_.numbered_sgpr, 0
	.set _ZN7rocprim17ROCPRIM_400000_NS6detail17trampoline_kernelINS0_14default_configENS1_22reduce_config_selectorIN6thrust23THRUST_200600_302600_NS5tupleIblNS6_9null_typeES8_S8_S8_S8_S8_S8_S8_EEEEZNS1_11reduce_implILb1ES3_NS6_12zip_iteratorINS7_INS6_11hip_rocprim26transform_input_iterator_tIbPKhN2at6native10EqualsModeEEENSD_19counting_iterator_tIlEES8_S8_S8_S8_S8_S8_S8_S8_EEEEPS9_S9_NSD_9__find_if7functorIS9_EEEE10hipError_tPvRmT1_T2_T3_mT4_P12ihipStream_tbEUlT_E1_NS1_11comp_targetILNS1_3genE3ELNS1_11target_archE908ELNS1_3gpuE7ELNS1_3repE0EEENS1_30default_config_static_selectorELNS0_4arch9wavefront6targetE1EEEvSW_.num_named_barrier, 0
	.set _ZN7rocprim17ROCPRIM_400000_NS6detail17trampoline_kernelINS0_14default_configENS1_22reduce_config_selectorIN6thrust23THRUST_200600_302600_NS5tupleIblNS6_9null_typeES8_S8_S8_S8_S8_S8_S8_EEEEZNS1_11reduce_implILb1ES3_NS6_12zip_iteratorINS7_INS6_11hip_rocprim26transform_input_iterator_tIbPKhN2at6native10EqualsModeEEENSD_19counting_iterator_tIlEES8_S8_S8_S8_S8_S8_S8_S8_EEEEPS9_S9_NSD_9__find_if7functorIS9_EEEE10hipError_tPvRmT1_T2_T3_mT4_P12ihipStream_tbEUlT_E1_NS1_11comp_targetILNS1_3genE3ELNS1_11target_archE908ELNS1_3gpuE7ELNS1_3repE0EEENS1_30default_config_static_selectorELNS0_4arch9wavefront6targetE1EEEvSW_.private_seg_size, 0
	.set _ZN7rocprim17ROCPRIM_400000_NS6detail17trampoline_kernelINS0_14default_configENS1_22reduce_config_selectorIN6thrust23THRUST_200600_302600_NS5tupleIblNS6_9null_typeES8_S8_S8_S8_S8_S8_S8_EEEEZNS1_11reduce_implILb1ES3_NS6_12zip_iteratorINS7_INS6_11hip_rocprim26transform_input_iterator_tIbPKhN2at6native10EqualsModeEEENSD_19counting_iterator_tIlEES8_S8_S8_S8_S8_S8_S8_S8_EEEEPS9_S9_NSD_9__find_if7functorIS9_EEEE10hipError_tPvRmT1_T2_T3_mT4_P12ihipStream_tbEUlT_E1_NS1_11comp_targetILNS1_3genE3ELNS1_11target_archE908ELNS1_3gpuE7ELNS1_3repE0EEENS1_30default_config_static_selectorELNS0_4arch9wavefront6targetE1EEEvSW_.uses_vcc, 0
	.set _ZN7rocprim17ROCPRIM_400000_NS6detail17trampoline_kernelINS0_14default_configENS1_22reduce_config_selectorIN6thrust23THRUST_200600_302600_NS5tupleIblNS6_9null_typeES8_S8_S8_S8_S8_S8_S8_EEEEZNS1_11reduce_implILb1ES3_NS6_12zip_iteratorINS7_INS6_11hip_rocprim26transform_input_iterator_tIbPKhN2at6native10EqualsModeEEENSD_19counting_iterator_tIlEES8_S8_S8_S8_S8_S8_S8_S8_EEEEPS9_S9_NSD_9__find_if7functorIS9_EEEE10hipError_tPvRmT1_T2_T3_mT4_P12ihipStream_tbEUlT_E1_NS1_11comp_targetILNS1_3genE3ELNS1_11target_archE908ELNS1_3gpuE7ELNS1_3repE0EEENS1_30default_config_static_selectorELNS0_4arch9wavefront6targetE1EEEvSW_.uses_flat_scratch, 0
	.set _ZN7rocprim17ROCPRIM_400000_NS6detail17trampoline_kernelINS0_14default_configENS1_22reduce_config_selectorIN6thrust23THRUST_200600_302600_NS5tupleIblNS6_9null_typeES8_S8_S8_S8_S8_S8_S8_EEEEZNS1_11reduce_implILb1ES3_NS6_12zip_iteratorINS7_INS6_11hip_rocprim26transform_input_iterator_tIbPKhN2at6native10EqualsModeEEENSD_19counting_iterator_tIlEES8_S8_S8_S8_S8_S8_S8_S8_EEEEPS9_S9_NSD_9__find_if7functorIS9_EEEE10hipError_tPvRmT1_T2_T3_mT4_P12ihipStream_tbEUlT_E1_NS1_11comp_targetILNS1_3genE3ELNS1_11target_archE908ELNS1_3gpuE7ELNS1_3repE0EEENS1_30default_config_static_selectorELNS0_4arch9wavefront6targetE1EEEvSW_.has_dyn_sized_stack, 0
	.set _ZN7rocprim17ROCPRIM_400000_NS6detail17trampoline_kernelINS0_14default_configENS1_22reduce_config_selectorIN6thrust23THRUST_200600_302600_NS5tupleIblNS6_9null_typeES8_S8_S8_S8_S8_S8_S8_EEEEZNS1_11reduce_implILb1ES3_NS6_12zip_iteratorINS7_INS6_11hip_rocprim26transform_input_iterator_tIbPKhN2at6native10EqualsModeEEENSD_19counting_iterator_tIlEES8_S8_S8_S8_S8_S8_S8_S8_EEEEPS9_S9_NSD_9__find_if7functorIS9_EEEE10hipError_tPvRmT1_T2_T3_mT4_P12ihipStream_tbEUlT_E1_NS1_11comp_targetILNS1_3genE3ELNS1_11target_archE908ELNS1_3gpuE7ELNS1_3repE0EEENS1_30default_config_static_selectorELNS0_4arch9wavefront6targetE1EEEvSW_.has_recursion, 0
	.set _ZN7rocprim17ROCPRIM_400000_NS6detail17trampoline_kernelINS0_14default_configENS1_22reduce_config_selectorIN6thrust23THRUST_200600_302600_NS5tupleIblNS6_9null_typeES8_S8_S8_S8_S8_S8_S8_EEEEZNS1_11reduce_implILb1ES3_NS6_12zip_iteratorINS7_INS6_11hip_rocprim26transform_input_iterator_tIbPKhN2at6native10EqualsModeEEENSD_19counting_iterator_tIlEES8_S8_S8_S8_S8_S8_S8_S8_EEEEPS9_S9_NSD_9__find_if7functorIS9_EEEE10hipError_tPvRmT1_T2_T3_mT4_P12ihipStream_tbEUlT_E1_NS1_11comp_targetILNS1_3genE3ELNS1_11target_archE908ELNS1_3gpuE7ELNS1_3repE0EEENS1_30default_config_static_selectorELNS0_4arch9wavefront6targetE1EEEvSW_.has_indirect_call, 0
	.section	.AMDGPU.csdata,"",@progbits
; Kernel info:
; codeLenInByte = 0
; TotalNumSgprs: 4
; NumVgprs: 0
; ScratchSize: 0
; MemoryBound: 0
; FloatMode: 240
; IeeeMode: 1
; LDSByteSize: 0 bytes/workgroup (compile time only)
; SGPRBlocks: 0
; VGPRBlocks: 0
; NumSGPRsForWavesPerEU: 4
; NumVGPRsForWavesPerEU: 1
; Occupancy: 10
; WaveLimiterHint : 0
; COMPUTE_PGM_RSRC2:SCRATCH_EN: 0
; COMPUTE_PGM_RSRC2:USER_SGPR: 6
; COMPUTE_PGM_RSRC2:TRAP_HANDLER: 0
; COMPUTE_PGM_RSRC2:TGID_X_EN: 1
; COMPUTE_PGM_RSRC2:TGID_Y_EN: 0
; COMPUTE_PGM_RSRC2:TGID_Z_EN: 0
; COMPUTE_PGM_RSRC2:TIDIG_COMP_CNT: 0
	.section	.text._ZN7rocprim17ROCPRIM_400000_NS6detail17trampoline_kernelINS0_14default_configENS1_22reduce_config_selectorIN6thrust23THRUST_200600_302600_NS5tupleIblNS6_9null_typeES8_S8_S8_S8_S8_S8_S8_EEEEZNS1_11reduce_implILb1ES3_NS6_12zip_iteratorINS7_INS6_11hip_rocprim26transform_input_iterator_tIbPKhN2at6native10EqualsModeEEENSD_19counting_iterator_tIlEES8_S8_S8_S8_S8_S8_S8_S8_EEEEPS9_S9_NSD_9__find_if7functorIS9_EEEE10hipError_tPvRmT1_T2_T3_mT4_P12ihipStream_tbEUlT_E1_NS1_11comp_targetILNS1_3genE2ELNS1_11target_archE906ELNS1_3gpuE6ELNS1_3repE0EEENS1_30default_config_static_selectorELNS0_4arch9wavefront6targetE1EEEvSW_,"axG",@progbits,_ZN7rocprim17ROCPRIM_400000_NS6detail17trampoline_kernelINS0_14default_configENS1_22reduce_config_selectorIN6thrust23THRUST_200600_302600_NS5tupleIblNS6_9null_typeES8_S8_S8_S8_S8_S8_S8_EEEEZNS1_11reduce_implILb1ES3_NS6_12zip_iteratorINS7_INS6_11hip_rocprim26transform_input_iterator_tIbPKhN2at6native10EqualsModeEEENSD_19counting_iterator_tIlEES8_S8_S8_S8_S8_S8_S8_S8_EEEEPS9_S9_NSD_9__find_if7functorIS9_EEEE10hipError_tPvRmT1_T2_T3_mT4_P12ihipStream_tbEUlT_E1_NS1_11comp_targetILNS1_3genE2ELNS1_11target_archE906ELNS1_3gpuE6ELNS1_3repE0EEENS1_30default_config_static_selectorELNS0_4arch9wavefront6targetE1EEEvSW_,comdat
	.protected	_ZN7rocprim17ROCPRIM_400000_NS6detail17trampoline_kernelINS0_14default_configENS1_22reduce_config_selectorIN6thrust23THRUST_200600_302600_NS5tupleIblNS6_9null_typeES8_S8_S8_S8_S8_S8_S8_EEEEZNS1_11reduce_implILb1ES3_NS6_12zip_iteratorINS7_INS6_11hip_rocprim26transform_input_iterator_tIbPKhN2at6native10EqualsModeEEENSD_19counting_iterator_tIlEES8_S8_S8_S8_S8_S8_S8_S8_EEEEPS9_S9_NSD_9__find_if7functorIS9_EEEE10hipError_tPvRmT1_T2_T3_mT4_P12ihipStream_tbEUlT_E1_NS1_11comp_targetILNS1_3genE2ELNS1_11target_archE906ELNS1_3gpuE6ELNS1_3repE0EEENS1_30default_config_static_selectorELNS0_4arch9wavefront6targetE1EEEvSW_ ; -- Begin function _ZN7rocprim17ROCPRIM_400000_NS6detail17trampoline_kernelINS0_14default_configENS1_22reduce_config_selectorIN6thrust23THRUST_200600_302600_NS5tupleIblNS6_9null_typeES8_S8_S8_S8_S8_S8_S8_EEEEZNS1_11reduce_implILb1ES3_NS6_12zip_iteratorINS7_INS6_11hip_rocprim26transform_input_iterator_tIbPKhN2at6native10EqualsModeEEENSD_19counting_iterator_tIlEES8_S8_S8_S8_S8_S8_S8_S8_EEEEPS9_S9_NSD_9__find_if7functorIS9_EEEE10hipError_tPvRmT1_T2_T3_mT4_P12ihipStream_tbEUlT_E1_NS1_11comp_targetILNS1_3genE2ELNS1_11target_archE906ELNS1_3gpuE6ELNS1_3repE0EEENS1_30default_config_static_selectorELNS0_4arch9wavefront6targetE1EEEvSW_
	.globl	_ZN7rocprim17ROCPRIM_400000_NS6detail17trampoline_kernelINS0_14default_configENS1_22reduce_config_selectorIN6thrust23THRUST_200600_302600_NS5tupleIblNS6_9null_typeES8_S8_S8_S8_S8_S8_S8_EEEEZNS1_11reduce_implILb1ES3_NS6_12zip_iteratorINS7_INS6_11hip_rocprim26transform_input_iterator_tIbPKhN2at6native10EqualsModeEEENSD_19counting_iterator_tIlEES8_S8_S8_S8_S8_S8_S8_S8_EEEEPS9_S9_NSD_9__find_if7functorIS9_EEEE10hipError_tPvRmT1_T2_T3_mT4_P12ihipStream_tbEUlT_E1_NS1_11comp_targetILNS1_3genE2ELNS1_11target_archE906ELNS1_3gpuE6ELNS1_3repE0EEENS1_30default_config_static_selectorELNS0_4arch9wavefront6targetE1EEEvSW_
	.p2align	8
	.type	_ZN7rocprim17ROCPRIM_400000_NS6detail17trampoline_kernelINS0_14default_configENS1_22reduce_config_selectorIN6thrust23THRUST_200600_302600_NS5tupleIblNS6_9null_typeES8_S8_S8_S8_S8_S8_S8_EEEEZNS1_11reduce_implILb1ES3_NS6_12zip_iteratorINS7_INS6_11hip_rocprim26transform_input_iterator_tIbPKhN2at6native10EqualsModeEEENSD_19counting_iterator_tIlEES8_S8_S8_S8_S8_S8_S8_S8_EEEEPS9_S9_NSD_9__find_if7functorIS9_EEEE10hipError_tPvRmT1_T2_T3_mT4_P12ihipStream_tbEUlT_E1_NS1_11comp_targetILNS1_3genE2ELNS1_11target_archE906ELNS1_3gpuE6ELNS1_3repE0EEENS1_30default_config_static_selectorELNS0_4arch9wavefront6targetE1EEEvSW_,@function
_ZN7rocprim17ROCPRIM_400000_NS6detail17trampoline_kernelINS0_14default_configENS1_22reduce_config_selectorIN6thrust23THRUST_200600_302600_NS5tupleIblNS6_9null_typeES8_S8_S8_S8_S8_S8_S8_EEEEZNS1_11reduce_implILb1ES3_NS6_12zip_iteratorINS7_INS6_11hip_rocprim26transform_input_iterator_tIbPKhN2at6native10EqualsModeEEENSD_19counting_iterator_tIlEES8_S8_S8_S8_S8_S8_S8_S8_EEEEPS9_S9_NSD_9__find_if7functorIS9_EEEE10hipError_tPvRmT1_T2_T3_mT4_P12ihipStream_tbEUlT_E1_NS1_11comp_targetILNS1_3genE2ELNS1_11target_archE906ELNS1_3gpuE6ELNS1_3repE0EEENS1_30default_config_static_selectorELNS0_4arch9wavefront6targetE1EEEvSW_: ; @_ZN7rocprim17ROCPRIM_400000_NS6detail17trampoline_kernelINS0_14default_configENS1_22reduce_config_selectorIN6thrust23THRUST_200600_302600_NS5tupleIblNS6_9null_typeES8_S8_S8_S8_S8_S8_S8_EEEEZNS1_11reduce_implILb1ES3_NS6_12zip_iteratorINS7_INS6_11hip_rocprim26transform_input_iterator_tIbPKhN2at6native10EqualsModeEEENSD_19counting_iterator_tIlEES8_S8_S8_S8_S8_S8_S8_S8_EEEEPS9_S9_NSD_9__find_if7functorIS9_EEEE10hipError_tPvRmT1_T2_T3_mT4_P12ihipStream_tbEUlT_E1_NS1_11comp_targetILNS1_3genE2ELNS1_11target_archE906ELNS1_3gpuE6ELNS1_3repE0EEENS1_30default_config_static_selectorELNS0_4arch9wavefront6targetE1EEEvSW_
; %bb.0:
	s_load_dword s35, s[4:5], 0x4
	s_load_dwordx2 s[24:25], s[4:5], 0x8
	s_load_dword s34, s[4:5], 0x10
	s_load_dwordx4 s[20:23], s[4:5], 0x18
	s_load_dword s33, s[4:5], 0x30
	s_load_dwordx2 s[18:19], s[4:5], 0x38
	s_waitcnt lgkmcnt(0)
	s_cmp_lt_i32 s35, 4
	s_cbranch_scc1 .LBB67_13
; %bb.1:
	s_cmp_gt_i32 s35, 7
	s_cbranch_scc0 .LBB67_14
; %bb.2:
	s_cmp_eq_u32 s35, 8
	s_mov_b64 s[26:27], 0
	s_cbranch_scc0 .LBB67_15
; %bb.3:
	s_lshl_b32 s30, s6, 10
	s_lshr_b64 s[0:1], s[22:23], 10
	s_add_u32 s28, s24, s30
	s_addc_u32 s29, s25, 0
	s_add_u32 s37, s20, s30
	s_mov_b32 s7, 0
	s_addc_u32 s38, s21, 0
	s_cmp_lg_u64 s[0:1], s[6:7]
	s_cbranch_scc0 .LBB67_28
; %bb.4:
	global_load_ubyte v1, v0, s[28:29]
	global_load_ubyte v2, v0, s[28:29] offset:128
	global_load_ubyte v4, v0, s[28:29] offset:256
	;; [unrolled: 1-line block ×7, first 2 shown]
	v_mov_b32_e32 v3, s38
	v_add_co_u32_e32 v19, vcc, s37, v0
	v_mov_b32_e32 v10, 0
	v_addc_co_u32_e32 v20, vcc, 0, v3, vcc
	s_and_b32 s16, s34, 0xff
	v_mov_b32_e32 v11, 0x100
	v_mov_b32_e32 v12, 0x80
	;; [unrolled: 1-line block ×7, first 2 shown]
	v_mbcnt_lo_u32_b32 v18, -1, 0
	v_mbcnt_hi_u32_b32 v3, -1, v18
	s_waitcnt vmcnt(7)
	v_cmp_ne_u16_e32 vcc, 0, v1
	v_cndmask_b32_e64 v1, 0, 1, vcc
	s_waitcnt vmcnt(5)
	v_cmp_ne_u16_sdwa s[0:1], v4, v10 src0_sel:BYTE_0 src1_sel:DWORD
	v_cmp_ne_u16_e32 vcc, 0, v2
	v_cndmask_b32_e64 v4, 0, 1, s[0:1]
	s_waitcnt vmcnt(3)
	v_cmp_ne_u16_sdwa s[0:1], v6, v10 src0_sel:BYTE_0 src1_sel:DWORD
	v_cndmask_b32_e64 v2, 0, 1, vcc
	v_cmp_ne_u16_e32 vcc, 0, v5
	v_cndmask_b32_e64 v6, 0, 1, s[0:1]
	s_waitcnt vmcnt(1)
	v_cmp_ne_u16_sdwa s[0:1], v8, v10 src0_sel:BYTE_0 src1_sel:DWORD
	v_cndmask_b32_e64 v5, 0, 1, vcc
	;; [unrolled: 5-line block ×3, first 2 shown]
	v_cndmask_b32_e64 v9, 0, 1, s[0:1]
	v_cmp_eq_u16_e32 vcc, s16, v4
	v_cmp_eq_u16_e64 s[0:1], s16, v6
	v_cmp_eq_u16_e64 s[2:3], s16, v8
	v_cmp_eq_u16_e64 s[8:9], s16, v9
	v_cmp_eq_u16_e64 s[10:11], s16, v2
	v_cmp_eq_u16_e64 s[12:13], s16, v5
	v_cmp_eq_u16_e64 s[14:15], s16, v7
	v_cmp_eq_u16_e64 s[16:17], s16, v1
	v_cndmask_b32_e64 v2, v11, v12, s[10:11]
	s_or_b64 s[10:11], s[16:17], s[10:11]
	s_or_b64 vcc, s[10:11], vcc
	v_cndmask_b32_e64 v4, v13, v14, s[12:13]
	v_cndmask_b32_e64 v1, v2, 0, s[16:17]
	s_or_b64 s[10:11], vcc, s[12:13]
	v_cndmask_b32_e32 v1, v4, v1, vcc
	s_or_b64 vcc, s[10:11], s[0:1]
	v_cndmask_b32_e64 v5, v15, v16, s[14:15]
	s_or_b64 s[0:1], vcc, s[14:15]
	v_cndmask_b32_e32 v1, v5, v1, vcc
	s_or_b64 vcc, s[0:1], s[2:3]
	v_cndmask_b32_e32 v1, v17, v1, vcc
	v_add_co_u32_e64 v1, s[0:1], v19, v1
	v_addc_co_u32_e64 v2, s[0:1], 0, v20, s[0:1]
	s_or_b64 s[0:1], vcc, s[8:9]
	v_mov_b32_dpp v4, v1 quad_perm:[1,0,3,2] row_mask:0xf bank_mask:0xf bound_ctrl:1
	v_mov_b32_dpp v5, v2 quad_perm:[1,0,3,2] row_mask:0xf bank_mask:0xf bound_ctrl:1
	v_cndmask_b32_e64 v6, 0, 1, s[0:1]
	v_cmp_lt_i64_e32 vcc, v[1:2], v[4:5]
	s_and_b64 vcc, s[0:1], vcc
	v_mov_b32_dpp v7, v6 quad_perm:[1,0,3,2] row_mask:0xf bank_mask:0xf bound_ctrl:1
	v_and_b32_e32 v7, 1, v7
	v_cndmask_b32_e32 v4, v4, v1, vcc
	v_cndmask_b32_e32 v5, v5, v2, vcc
	v_cmp_eq_u32_e32 vcc, 1, v7
	v_cndmask_b32_e32 v2, v2, v5, vcc
	v_cndmask_b32_e32 v1, v1, v4, vcc
	v_cndmask_b32_e64 v6, v6, 1, vcc
	v_mov_b32_dpp v5, v2 quad_perm:[2,3,0,1] row_mask:0xf bank_mask:0xf bound_ctrl:1
	v_mov_b32_dpp v4, v1 quad_perm:[2,3,0,1] row_mask:0xf bank_mask:0xf bound_ctrl:1
	v_and_b32_e32 v8, 1, v6
	v_cmp_lt_i64_e64 s[0:1], v[1:2], v[4:5]
	v_mov_b32_dpp v7, v6 quad_perm:[2,3,0,1] row_mask:0xf bank_mask:0xf bound_ctrl:1
	v_cmp_eq_u32_e32 vcc, 1, v8
	v_and_b32_e32 v7, 1, v7
	s_and_b64 vcc, vcc, s[0:1]
	v_cmp_eq_u32_e64 s[2:3], 1, v7
	v_cndmask_b32_e32 v4, v4, v1, vcc
	v_cndmask_b32_e32 v5, v5, v2, vcc
	v_cndmask_b32_e64 v1, v1, v4, s[2:3]
	v_cndmask_b32_e64 v2, v2, v5, s[2:3]
	v_cndmask_b32_e64 v6, v6, 1, s[2:3]
	v_mov_b32_dpp v4, v1 row_ror:4 row_mask:0xf bank_mask:0xf bound_ctrl:1
	v_mov_b32_dpp v5, v2 row_ror:4 row_mask:0xf bank_mask:0xf bound_ctrl:1
	v_and_b32_e32 v8, 1, v6
	v_cmp_lt_i64_e64 s[0:1], v[1:2], v[4:5]
	v_mov_b32_dpp v7, v6 row_ror:4 row_mask:0xf bank_mask:0xf bound_ctrl:1
	v_cmp_eq_u32_e32 vcc, 1, v8
	v_and_b32_e32 v7, 1, v7
	s_and_b64 vcc, vcc, s[0:1]
	v_cmp_eq_u32_e64 s[2:3], 1, v7
	v_cndmask_b32_e32 v4, v4, v1, vcc
	v_cndmask_b32_e32 v5, v5, v2, vcc
	v_cndmask_b32_e64 v1, v1, v4, s[2:3]
	v_cndmask_b32_e64 v2, v2, v5, s[2:3]
	;; [unrolled: 1-line block ×3, first 2 shown]
	v_mov_b32_dpp v4, v1 row_ror:8 row_mask:0xf bank_mask:0xf bound_ctrl:1
	v_mov_b32_dpp v5, v2 row_ror:8 row_mask:0xf bank_mask:0xf bound_ctrl:1
	v_and_b32_e32 v8, 1, v6
	v_cmp_lt_i64_e64 s[0:1], v[1:2], v[4:5]
	v_mov_b32_dpp v7, v6 row_ror:8 row_mask:0xf bank_mask:0xf bound_ctrl:1
	v_cmp_eq_u32_e32 vcc, 1, v8
	v_and_b32_e32 v7, 1, v7
	s_and_b64 vcc, vcc, s[0:1]
	v_cmp_eq_u32_e64 s[2:3], 1, v7
	v_cndmask_b32_e32 v4, v4, v1, vcc
	v_cndmask_b32_e32 v5, v5, v2, vcc
	v_cndmask_b32_e64 v2, v2, v5, s[2:3]
	v_cndmask_b32_e64 v1, v1, v4, s[2:3]
	;; [unrolled: 1-line block ×3, first 2 shown]
	v_mov_b32_dpp v5, v2 row_bcast:15 row_mask:0xf bank_mask:0xf bound_ctrl:1
	v_mov_b32_dpp v4, v1 row_bcast:15 row_mask:0xf bank_mask:0xf bound_ctrl:1
	v_and_b32_e32 v8, 1, v6
	v_cmp_lt_i64_e64 s[0:1], v[1:2], v[4:5]
	v_mov_b32_dpp v7, v6 row_bcast:15 row_mask:0xf bank_mask:0xf bound_ctrl:1
	v_cmp_eq_u32_e32 vcc, 1, v8
	v_and_b32_e32 v7, 1, v7
	s_and_b64 vcc, vcc, s[0:1]
	v_cmp_eq_u32_e64 s[2:3], 1, v7
	v_cndmask_b32_e32 v4, v4, v1, vcc
	v_cndmask_b32_e32 v5, v5, v2, vcc
	v_cndmask_b32_e64 v2, v2, v5, s[2:3]
	v_cndmask_b32_e64 v1, v1, v4, s[2:3]
	;; [unrolled: 1-line block ×3, first 2 shown]
	v_mov_b32_dpp v5, v2 row_bcast:31 row_mask:0xf bank_mask:0xf bound_ctrl:1
	v_mov_b32_dpp v4, v1 row_bcast:31 row_mask:0xf bank_mask:0xf bound_ctrl:1
	v_and_b32_e32 v8, 1, v6
	v_cmp_lt_i64_e64 s[0:1], v[1:2], v[4:5]
	v_mov_b32_dpp v7, v6 row_bcast:31 row_mask:0xf bank_mask:0xf bound_ctrl:1
	v_cmp_eq_u32_e32 vcc, 1, v8
	v_and_b32_e32 v7, 1, v7
	s_and_b64 vcc, vcc, s[0:1]
	v_cmp_eq_u32_e64 s[2:3], 1, v7
	v_cndmask_b32_e32 v5, v5, v2, vcc
	v_cndmask_b32_e32 v4, v4, v1, vcc
	v_cndmask_b32_e64 v2, v2, v5, s[2:3]
	v_lshlrev_b32_e32 v5, 2, v3
	v_cndmask_b32_e64 v6, v6, 1, s[2:3]
	v_cndmask_b32_e64 v1, v1, v4, s[2:3]
	v_or_b32_e32 v4, 0xfc, v5
	ds_bpermute_b32 v17, v4, v6
	ds_bpermute_b32 v1, v4, v1
	;; [unrolled: 1-line block ×3, first 2 shown]
	v_cmp_eq_u32_e32 vcc, 0, v3
	s_and_saveexec_b64 s[0:1], vcc
	s_cbranch_execz .LBB67_6
; %bb.5:
	v_lshrrev_b32_e32 v4, 2, v0
	v_and_b32_e32 v4, 16, v4
	s_waitcnt lgkmcnt(2)
	ds_write_b8 v4, v17 offset:96
	s_waitcnt lgkmcnt(1)
	ds_write_b64 v4, v[1:2] offset:104
.LBB67_6:
	s_or_b64 exec, exec, s[0:1]
	v_cmp_gt_u32_e32 vcc, 64, v0
	s_waitcnt lgkmcnt(0)
	s_barrier
	s_and_saveexec_b64 s[0:1], vcc
	s_cbranch_execz .LBB67_12
; %bb.7:
	v_and_b32_e32 v1, 1, v3
	v_lshlrev_b32_e32 v1, 4, v1
	ds_read_u8 v7, v1 offset:96
	ds_read_b64 v[3:4], v1 offset:104
	v_or_b32_e32 v2, 4, v5
	s_waitcnt lgkmcnt(1)
	v_and_b32_e32 v1, 0xff, v7
	ds_bpermute_b32 v8, v2, v1
	s_waitcnt lgkmcnt(1)
	ds_bpermute_b32 v5, v2, v3
	ds_bpermute_b32 v6, v2, v4
	s_waitcnt lgkmcnt(2)
	v_and_b32_e32 v1, v7, v8
	v_and_b32_e32 v1, 1, v1
	v_cmp_eq_u32_e32 vcc, 1, v1
                                        ; implicit-def: $vgpr1_vgpr2
	s_and_saveexec_b64 s[2:3], vcc
	s_xor_b64 s[2:3], exec, s[2:3]
	s_cbranch_execz .LBB67_9
; %bb.8:
	s_waitcnt lgkmcnt(0)
	v_cmp_lt_i64_e32 vcc, v[5:6], v[3:4]
                                        ; implicit-def: $vgpr7
                                        ; implicit-def: $vgpr8
	v_cndmask_b32_e32 v2, v4, v6, vcc
	v_cndmask_b32_e32 v1, v3, v5, vcc
                                        ; implicit-def: $vgpr5_vgpr6
                                        ; implicit-def: $vgpr3_vgpr4
.LBB67_9:
	s_or_saveexec_b64 s[2:3], s[2:3]
	v_mov_b32_e32 v17, 1
	s_xor_b64 exec, exec, s[2:3]
	s_cbranch_execz .LBB67_11
; %bb.10:
	v_and_b32_e32 v1, 1, v7
	v_cmp_eq_u32_e32 vcc, 1, v1
	s_waitcnt lgkmcnt(0)
	v_cndmask_b32_e32 v2, v6, v4, vcc
	v_cndmask_b32_e32 v1, v5, v3, vcc
	v_cndmask_b32_e64 v17, v8, 1, vcc
.LBB67_11:
	s_or_b64 exec, exec, s[2:3]
.LBB67_12:
	s_or_b64 exec, exec, s[0:1]
	s_branch .LBB67_145
.LBB67_13:
	s_mov_b64 s[14:15], 0
                                        ; implicit-def: $vgpr3_vgpr4
                                        ; implicit-def: $vgpr5
                                        ; implicit-def: $vgpr1_vgpr2
	s_cbranch_execnz .LBB67_219
	s_branch .LBB67_306
.LBB67_14:
	s_mov_b64 s[26:27], -1
.LBB67_15:
	s_mov_b64 s[14:15], 0
                                        ; implicit-def: $vgpr3_vgpr4
                                        ; implicit-def: $vgpr5
                                        ; implicit-def: $vgpr1_vgpr2
	s_and_b64 vcc, exec, s[26:27]
	s_cbranch_vccz .LBB67_150
.LBB67_16:
	s_cmp_eq_u32 s35, 4
	s_cbranch_scc0 .LBB67_27
; %bb.17:
	s_lshl_b32 s26, s6, 9
	s_lshr_b64 s[0:1], s[22:23], 9
	s_add_u32 s12, s24, s26
	s_addc_u32 s13, s25, 0
	s_add_u32 s16, s20, s26
	s_mov_b32 s7, 0
	s_addc_u32 s17, s21, 0
	s_cmp_lg_u64 s[0:1], s[6:7]
	s_cbranch_scc0 .LBB67_51
; %bb.18:
	global_load_ubyte v1, v0, s[12:13]
	global_load_ubyte v2, v0, s[12:13] offset:128
	s_waitcnt lgkmcnt(0)
	global_load_ubyte v4, v0, s[12:13] offset:256
	global_load_ubyte v5, v0, s[12:13] offset:384
	v_mov_b32_e32 v3, s17
	v_add_co_u32_e32 v11, vcc, s16, v0
	v_mov_b32_e32 v6, 0
	v_addc_co_u32_e32 v12, vcc, 0, v3, vcc
	s_and_b32 s8, s34, 0xff
	v_mov_b32_e32 v7, 0x100
	v_mov_b32_e32 v8, 0x80
	;; [unrolled: 1-line block ×3, first 2 shown]
	v_mbcnt_lo_u32_b32 v10, -1, 0
	v_mbcnt_hi_u32_b32 v3, -1, v10
	s_waitcnt vmcnt(3)
	v_cmp_ne_u16_e32 vcc, 0, v1
	v_cndmask_b32_e64 v1, 0, 1, vcc
	s_waitcnt vmcnt(1)
	v_cmp_ne_u16_sdwa s[0:1], v4, v6 src0_sel:BYTE_0 src1_sel:DWORD
	v_cmp_ne_u16_e32 vcc, 0, v2
	v_cndmask_b32_e64 v4, 0, 1, s[0:1]
	s_waitcnt vmcnt(0)
	v_cmp_ne_u16_sdwa s[0:1], v5, v6 src0_sel:BYTE_0 src1_sel:DWORD
	v_cndmask_b32_e64 v2, 0, 1, vcc
	v_cndmask_b32_e64 v5, 0, 1, s[0:1]
	v_cmp_eq_u16_e32 vcc, s8, v4
	v_cmp_eq_u16_e64 s[0:1], s8, v5
	v_cmp_eq_u16_e64 s[2:3], s8, v2
	;; [unrolled: 1-line block ×3, first 2 shown]
	v_cndmask_b32_e64 v2, v7, v8, s[2:3]
	s_or_b64 s[2:3], s[8:9], s[2:3]
	v_cndmask_b32_e64 v1, v2, 0, s[8:9]
	s_or_b64 vcc, s[2:3], vcc
	v_cndmask_b32_e32 v1, v9, v1, vcc
	v_add_co_u32_e64 v1, s[2:3], v11, v1
	v_addc_co_u32_e64 v2, s[2:3], 0, v12, s[2:3]
	s_or_b64 s[0:1], vcc, s[0:1]
	v_mov_b32_dpp v4, v1 quad_perm:[1,0,3,2] row_mask:0xf bank_mask:0xf bound_ctrl:1
	v_mov_b32_dpp v5, v2 quad_perm:[1,0,3,2] row_mask:0xf bank_mask:0xf bound_ctrl:1
	v_cndmask_b32_e64 v6, 0, 1, s[0:1]
	v_cmp_lt_i64_e32 vcc, v[1:2], v[4:5]
	s_and_b64 vcc, s[0:1], vcc
	v_mov_b32_dpp v7, v6 quad_perm:[1,0,3,2] row_mask:0xf bank_mask:0xf bound_ctrl:1
	v_and_b32_e32 v7, 1, v7
	v_cndmask_b32_e32 v4, v4, v1, vcc
	v_cndmask_b32_e32 v5, v5, v2, vcc
	v_cmp_eq_u32_e32 vcc, 1, v7
	v_cndmask_b32_e32 v2, v2, v5, vcc
	v_cndmask_b32_e32 v1, v1, v4, vcc
	v_cndmask_b32_e64 v6, v6, 1, vcc
	v_mov_b32_dpp v5, v2 quad_perm:[2,3,0,1] row_mask:0xf bank_mask:0xf bound_ctrl:1
	v_mov_b32_dpp v4, v1 quad_perm:[2,3,0,1] row_mask:0xf bank_mask:0xf bound_ctrl:1
	v_and_b32_e32 v8, 1, v6
	v_cmp_lt_i64_e64 s[0:1], v[1:2], v[4:5]
	v_mov_b32_dpp v7, v6 quad_perm:[2,3,0,1] row_mask:0xf bank_mask:0xf bound_ctrl:1
	v_cmp_eq_u32_e32 vcc, 1, v8
	v_and_b32_e32 v7, 1, v7
	s_and_b64 vcc, vcc, s[0:1]
	v_cmp_eq_u32_e64 s[2:3], 1, v7
	v_cndmask_b32_e32 v4, v4, v1, vcc
	v_cndmask_b32_e32 v5, v5, v2, vcc
	v_cndmask_b32_e64 v1, v1, v4, s[2:3]
	v_cndmask_b32_e64 v2, v2, v5, s[2:3]
	;; [unrolled: 1-line block ×3, first 2 shown]
	v_mov_b32_dpp v4, v1 row_ror:4 row_mask:0xf bank_mask:0xf bound_ctrl:1
	v_mov_b32_dpp v5, v2 row_ror:4 row_mask:0xf bank_mask:0xf bound_ctrl:1
	v_and_b32_e32 v8, 1, v6
	v_cmp_lt_i64_e64 s[2:3], v[1:2], v[4:5]
	v_mov_b32_dpp v7, v6 row_ror:4 row_mask:0xf bank_mask:0xf bound_ctrl:1
	v_cmp_eq_u32_e32 vcc, 1, v8
	v_and_b32_e32 v7, 1, v7
	s_and_b64 vcc, vcc, s[2:3]
	v_cmp_eq_u32_e64 s[0:1], 1, v7
	v_cndmask_b32_e32 v4, v4, v1, vcc
	v_cndmask_b32_e32 v5, v5, v2, vcc
	v_cndmask_b32_e64 v1, v1, v4, s[0:1]
	v_cndmask_b32_e64 v2, v2, v5, s[0:1]
	;; [unrolled: 1-line block ×3, first 2 shown]
	v_mov_b32_dpp v4, v1 row_ror:8 row_mask:0xf bank_mask:0xf bound_ctrl:1
	v_mov_b32_dpp v5, v2 row_ror:8 row_mask:0xf bank_mask:0xf bound_ctrl:1
	v_and_b32_e32 v8, 1, v6
	v_cmp_lt_i64_e64 s[2:3], v[1:2], v[4:5]
	v_mov_b32_dpp v7, v6 row_ror:8 row_mask:0xf bank_mask:0xf bound_ctrl:1
	v_cmp_eq_u32_e64 s[8:9], 1, v8
	v_and_b32_e32 v7, 1, v7
	s_and_b64 s[2:3], s[8:9], s[2:3]
	v_cmp_eq_u32_e64 s[10:11], 1, v7
	v_cndmask_b32_e64 v4, v4, v1, s[2:3]
	v_cndmask_b32_e64 v5, v5, v2, s[2:3]
	;; [unrolled: 1-line block ×5, first 2 shown]
	v_mov_b32_dpp v4, v1 row_bcast:15 row_mask:0xf bank_mask:0xf bound_ctrl:1
	v_mov_b32_dpp v5, v2 row_bcast:15 row_mask:0xf bank_mask:0xf bound_ctrl:1
	v_and_b32_e32 v8, 1, v6
	v_cmp_lt_i64_e64 s[2:3], v[1:2], v[4:5]
	v_mov_b32_dpp v7, v6 row_bcast:15 row_mask:0xf bank_mask:0xf bound_ctrl:1
	v_cmp_eq_u32_e32 vcc, 1, v8
	v_and_b32_e32 v7, 1, v7
	s_and_b64 vcc, vcc, s[2:3]
	v_cmp_eq_u32_e64 s[0:1], 1, v7
	v_cndmask_b32_e32 v4, v4, v1, vcc
	v_cndmask_b32_e32 v5, v5, v2, vcc
	v_cndmask_b32_e64 v1, v1, v4, s[0:1]
	v_cndmask_b32_e64 v2, v2, v5, s[0:1]
	;; [unrolled: 1-line block ×3, first 2 shown]
	v_mov_b32_dpp v4, v1 row_bcast:31 row_mask:0xf bank_mask:0xf bound_ctrl:1
	v_mov_b32_dpp v5, v2 row_bcast:31 row_mask:0xf bank_mask:0xf bound_ctrl:1
	v_and_b32_e32 v8, 1, v6
	v_cmp_lt_i64_e32 vcc, v[1:2], v[4:5]
	v_mov_b32_dpp v7, v6 row_bcast:31 row_mask:0xf bank_mask:0xf bound_ctrl:1
	v_cmp_eq_u32_e64 s[8:9], 1, v8
	v_and_b32_e32 v7, 1, v7
	s_and_b64 vcc, s[8:9], vcc
	v_cmp_eq_u32_e64 s[0:1], 1, v7
	v_cndmask_b32_e32 v5, v5, v2, vcc
	v_cndmask_b32_e32 v4, v4, v1, vcc
	v_cndmask_b32_e64 v2, v2, v5, s[0:1]
	v_lshlrev_b32_e32 v5, 2, v3
	v_cndmask_b32_e64 v6, v6, 1, s[0:1]
	v_cndmask_b32_e64 v1, v1, v4, s[0:1]
	v_or_b32_e32 v4, 0xfc, v5
	ds_bpermute_b32 v9, v4, v6
	ds_bpermute_b32 v1, v4, v1
	ds_bpermute_b32 v2, v4, v2
	v_cmp_eq_u32_e32 vcc, 0, v3
	s_and_saveexec_b64 s[0:1], vcc
	s_cbranch_execz .LBB67_20
; %bb.19:
	v_lshrrev_b32_e32 v4, 2, v0
	v_and_b32_e32 v4, 16, v4
	s_waitcnt lgkmcnt(2)
	ds_write_b8 v4, v9 offset:64
	s_waitcnt lgkmcnt(1)
	ds_write_b64 v4, v[1:2] offset:72
.LBB67_20:
	s_or_b64 exec, exec, s[0:1]
	v_cmp_gt_u32_e32 vcc, 64, v0
	s_waitcnt lgkmcnt(0)
	s_barrier
	s_and_saveexec_b64 s[0:1], vcc
	s_cbranch_execz .LBB67_26
; %bb.21:
	v_and_b32_e32 v1, 1, v3
	v_lshlrev_b32_e32 v1, 4, v1
	ds_read_u8 v7, v1 offset:64
	ds_read_b64 v[3:4], v1 offset:72
	v_or_b32_e32 v2, 4, v5
	s_waitcnt lgkmcnt(1)
	v_and_b32_e32 v1, 0xff, v7
	ds_bpermute_b32 v8, v2, v1
	s_waitcnt lgkmcnt(1)
	ds_bpermute_b32 v5, v2, v3
	ds_bpermute_b32 v6, v2, v4
	s_waitcnt lgkmcnt(2)
	v_and_b32_e32 v1, v7, v8
	v_and_b32_e32 v1, 1, v1
	v_cmp_eq_u32_e32 vcc, 1, v1
                                        ; implicit-def: $vgpr1_vgpr2
	s_and_saveexec_b64 s[2:3], vcc
	s_xor_b64 s[2:3], exec, s[2:3]
	s_cbranch_execz .LBB67_23
; %bb.22:
	s_waitcnt lgkmcnt(0)
	v_cmp_lt_i64_e32 vcc, v[5:6], v[3:4]
                                        ; implicit-def: $vgpr7
                                        ; implicit-def: $vgpr8
	v_cndmask_b32_e32 v2, v4, v6, vcc
	v_cndmask_b32_e32 v1, v3, v5, vcc
                                        ; implicit-def: $vgpr5_vgpr6
                                        ; implicit-def: $vgpr3_vgpr4
.LBB67_23:
	s_or_saveexec_b64 s[2:3], s[2:3]
	v_mov_b32_e32 v9, 1
	s_xor_b64 exec, exec, s[2:3]
	s_cbranch_execz .LBB67_25
; %bb.24:
	v_and_b32_e32 v1, 1, v7
	v_cmp_eq_u32_e32 vcc, 1, v1
	s_waitcnt lgkmcnt(0)
	v_cndmask_b32_e32 v2, v6, v4, vcc
	v_cndmask_b32_e32 v1, v5, v3, vcc
	v_cndmask_b32_e64 v9, v8, 1, vcc
.LBB67_25:
	s_or_b64 exec, exec, s[2:3]
.LBB67_26:
	s_or_b64 exec, exec, s[0:1]
	s_branch .LBB67_214
.LBB67_27:
                                        ; implicit-def: $vgpr3_vgpr4
                                        ; implicit-def: $vgpr5
                                        ; implicit-def: $vgpr1_vgpr2
	s_branch .LBB67_306
.LBB67_28:
                                        ; implicit-def: $vgpr1_vgpr2
                                        ; implicit-def: $vgpr17
	s_cbranch_execz .LBB67_145
; %bb.29:
	s_sub_i32 s36, s22, s30
	v_mov_b32_e32 v15, 0
	v_mov_b32_e32 v1, 0
	v_cmp_gt_u32_e32 vcc, s36, v0
	v_mov_b32_e32 v23, 0
	v_mov_b32_e32 v16, 0
	;; [unrolled: 1-line block ×4, first 2 shown]
	s_and_saveexec_b64 s[0:1], vcc
	s_cbranch_execz .LBB67_31
; %bb.30:
	global_load_ubyte v3, v0, s[28:29]
	v_mov_b32_e32 v2, s38
	v_add_co_u32_e32 v1, vcc, s37, v0
	v_addc_co_u32_e32 v2, vcc, 0, v2, vcc
	s_and_b32 s2, s34, 0xff
	s_waitcnt vmcnt(0)
	v_cmp_ne_u16_e32 vcc, 0, v3
	v_cndmask_b32_e64 v3, 0, 1, vcc
	v_cmp_eq_u16_e32 vcc, s2, v3
	v_cndmask_b32_e64 v17, 0, 1, vcc
.LBB67_31:
	s_or_b64 exec, exec, s[0:1]
	v_or_b32_e32 v3, 0x80, v0
	v_cmp_gt_u32_e64 s[14:15], s36, v3
	s_and_saveexec_b64 s[0:1], s[14:15]
	s_cbranch_execz .LBB67_33
; %bb.32:
	global_load_ubyte v4, v0, s[28:29] offset:128
	s_waitcnt lgkmcnt(1)
	v_mov_b32_e32 v5, s38
	v_add_co_u32_e32 v15, vcc, s37, v3
	v_addc_co_u32_e32 v16, vcc, 0, v5, vcc
	s_and_b32 s2, s34, 0xff
	s_waitcnt vmcnt(0)
	v_cmp_ne_u16_e32 vcc, 0, v4
	v_cndmask_b32_e64 v3, 0, 1, vcc
	v_cmp_eq_u16_e32 vcc, s2, v3
	v_cndmask_b32_e64 v23, 0, 1, vcc
.LBB67_33:
	s_or_b64 exec, exec, s[0:1]
	v_or_b32_e32 v3, 0x100, v0
	v_mov_b32_e32 v11, 0
	v_mov_b32_e32 v13, 0
	v_cmp_gt_u32_e64 s[12:13], s36, v3
	v_mov_b32_e32 v21, 0
	v_mov_b32_e32 v12, 0
	;; [unrolled: 1-line block ×4, first 2 shown]
	s_and_saveexec_b64 s[0:1], s[12:13]
	s_cbranch_execz .LBB67_35
; %bb.34:
	global_load_ubyte v4, v0, s[28:29] offset:256
	s_waitcnt lgkmcnt(1)
	v_mov_b32_e32 v5, s38
	v_add_co_u32_e32 v13, vcc, s37, v3
	v_addc_co_u32_e32 v14, vcc, 0, v5, vcc
	s_and_b32 s2, s34, 0xff
	s_waitcnt vmcnt(0)
	v_cmp_ne_u16_e32 vcc, 0, v4
	v_cndmask_b32_e64 v3, 0, 1, vcc
	v_cmp_eq_u16_e32 vcc, s2, v3
	v_cndmask_b32_e64 v24, 0, 1, vcc
.LBB67_35:
	s_or_b64 exec, exec, s[0:1]
	v_or_b32_e32 v3, 0x180, v0
	v_cmp_gt_u32_e64 s[10:11], s36, v3
	s_and_saveexec_b64 s[0:1], s[10:11]
	s_cbranch_execz .LBB67_37
; %bb.36:
	global_load_ubyte v4, v0, s[28:29] offset:384
	s_waitcnt lgkmcnt(1)
	v_mov_b32_e32 v5, s38
	v_add_co_u32_e32 v11, vcc, s37, v3
	v_addc_co_u32_e32 v12, vcc, 0, v5, vcc
	s_and_b32 s2, s34, 0xff
	s_waitcnt vmcnt(0)
	v_cmp_ne_u16_e32 vcc, 0, v4
	v_cndmask_b32_e64 v3, 0, 1, vcc
	v_cmp_eq_u16_e32 vcc, s2, v3
	v_cndmask_b32_e64 v21, 0, 1, vcc
.LBB67_37:
	s_or_b64 exec, exec, s[0:1]
	v_or_b32_e32 v3, 0x200, v0
	s_waitcnt lgkmcnt(0)
	v_mov_b32_e32 v5, 0
	v_mov_b32_e32 v9, 0
	v_cmp_gt_u32_e64 s[8:9], s36, v3
	v_mov_b32_e32 v19, 0
	v_mov_b32_e32 v6, 0
	v_mov_b32_e32 v10, 0
	v_mov_b32_e32 v22, 0
	s_and_saveexec_b64 s[0:1], s[8:9]
	s_cbranch_execz .LBB67_39
; %bb.38:
	global_load_ubyte v4, v0, s[28:29] offset:512
	v_mov_b32_e32 v7, s38
	v_add_co_u32_e32 v9, vcc, s37, v3
	v_addc_co_u32_e32 v10, vcc, 0, v7, vcc
	s_and_b32 s2, s34, 0xff
	s_waitcnt vmcnt(0)
	v_cmp_ne_u16_e32 vcc, 0, v4
	v_cndmask_b32_e64 v3, 0, 1, vcc
	v_cmp_eq_u16_e32 vcc, s2, v3
	v_cndmask_b32_e64 v22, 0, 1, vcc
.LBB67_39:
	s_or_b64 exec, exec, s[0:1]
	v_or_b32_e32 v3, 0x280, v0
	v_cmp_gt_u32_e64 s[2:3], s36, v3
	s_and_saveexec_b64 s[0:1], s[2:3]
	s_cbranch_execz .LBB67_41
; %bb.40:
	global_load_ubyte v4, v0, s[28:29] offset:640
	v_mov_b32_e32 v6, s38
	v_add_co_u32_e32 v5, vcc, s37, v3
	v_addc_co_u32_e32 v6, vcc, 0, v6, vcc
	s_and_b32 s16, s34, 0xff
	s_waitcnt vmcnt(0)
	v_cmp_ne_u16_e32 vcc, 0, v4
	v_cndmask_b32_e64 v3, 0, 1, vcc
	v_cmp_eq_u16_e32 vcc, s16, v3
	v_cndmask_b32_e64 v19, 0, 1, vcc
.LBB67_41:
	s_or_b64 exec, exec, s[0:1]
	v_or_b32_e32 v25, 0x300, v0
	v_mov_b32_e32 v3, 0
	v_mov_b32_e32 v7, 0
	v_cmp_gt_u32_e64 s[0:1], s36, v25
	v_mov_b32_e32 v4, 0
	v_mov_b32_e32 v18, 0
	;; [unrolled: 1-line block ×4, first 2 shown]
	s_and_saveexec_b64 s[16:17], s[0:1]
	s_cbranch_execz .LBB67_43
; %bb.42:
	global_load_ubyte v20, v0, s[28:29] offset:768
	v_mov_b32_e32 v8, s38
	v_add_co_u32_e32 v7, vcc, s37, v25
	v_addc_co_u32_e32 v8, vcc, 0, v8, vcc
	s_and_b32 s30, s34, 0xff
	s_waitcnt vmcnt(0)
	v_cmp_ne_u16_e32 vcc, 0, v20
	v_cndmask_b32_e64 v20, 0, 1, vcc
	v_cmp_eq_u16_e32 vcc, s30, v20
	v_cndmask_b32_e64 v20, 0, 1, vcc
.LBB67_43:
	s_or_b64 exec, exec, s[16:17]
	v_or_b32_e32 v25, 0x380, v0
	v_cmp_gt_u32_e32 vcc, s36, v25
	s_and_saveexec_b64 s[30:31], vcc
	s_cbranch_execnz .LBB67_62
; %bb.44:
	s_or_b64 exec, exec, s[30:31]
	s_and_saveexec_b64 s[28:29], s[14:15]
	s_cbranch_execnz .LBB67_63
.LBB67_45:
	s_or_b64 exec, exec, s[28:29]
	s_and_saveexec_b64 s[16:17], s[12:13]
	s_cbranch_execnz .LBB67_68
.LBB67_46:
	s_or_b64 exec, exec, s[16:17]
	s_and_saveexec_b64 s[14:15], s[10:11]
	s_cbranch_execnz .LBB67_73
.LBB67_47:
	s_or_b64 exec, exec, s[14:15]
	s_and_saveexec_b64 s[12:13], s[8:9]
	s_cbranch_execnz .LBB67_78
.LBB67_48:
	s_or_b64 exec, exec, s[12:13]
	s_and_saveexec_b64 s[10:11], s[2:3]
	s_cbranch_execnz .LBB67_83
.LBB67_49:
	s_or_b64 exec, exec, s[10:11]
	s_and_saveexec_b64 s[8:9], s[0:1]
	s_cbranch_execnz .LBB67_88
.LBB67_50:
	s_or_b64 exec, exec, s[8:9]
	s_and_saveexec_b64 s[2:3], vcc
	s_cbranch_execnz .LBB67_93
	s_branch .LBB67_98
.LBB67_51:
                                        ; implicit-def: $vgpr1_vgpr2
                                        ; implicit-def: $vgpr9
	s_cbranch_execz .LBB67_214
; %bb.52:
	s_sub_i32 s26, s22, s26
	s_waitcnt lgkmcnt(1)
	v_mov_b32_e32 v7, 0
	v_mov_b32_e32 v1, 0
	v_cmp_gt_u32_e32 vcc, s26, v0
	v_mov_b32_e32 v11, 0
	v_mov_b32_e32 v8, 0
	;; [unrolled: 1-line block ×4, first 2 shown]
	s_and_saveexec_b64 s[0:1], vcc
	s_cbranch_execz .LBB67_54
; %bb.53:
	global_load_ubyte v3, v0, s[12:13]
	v_mov_b32_e32 v2, s17
	v_add_co_u32_e32 v1, vcc, s16, v0
	v_addc_co_u32_e32 v2, vcc, 0, v2, vcc
	s_and_b32 s2, s34, 0xff
	s_waitcnt vmcnt(0)
	v_cmp_ne_u16_e32 vcc, 0, v3
	v_cndmask_b32_e64 v3, 0, 1, vcc
	v_cmp_eq_u16_e32 vcc, s2, v3
	v_cndmask_b32_e64 v9, 0, 1, vcc
.LBB67_54:
	s_or_b64 exec, exec, s[0:1]
	v_or_b32_e32 v3, 0x80, v0
	v_cmp_gt_u32_e64 s[2:3], s26, v3
	s_and_saveexec_b64 s[0:1], s[2:3]
	s_cbranch_execz .LBB67_56
; %bb.55:
	s_waitcnt lgkmcnt(0)
	global_load_ubyte v4, v0, s[12:13] offset:128
	v_mov_b32_e32 v5, s17
	v_add_co_u32_e32 v7, vcc, s16, v3
	v_addc_co_u32_e32 v8, vcc, 0, v5, vcc
	s_and_b32 s8, s34, 0xff
	s_waitcnt vmcnt(0)
	v_cmp_ne_u16_e32 vcc, 0, v4
	v_cndmask_b32_e64 v3, 0, 1, vcc
	v_cmp_eq_u16_e32 vcc, s8, v3
	v_cndmask_b32_e64 v11, 0, 1, vcc
.LBB67_56:
	s_or_b64 exec, exec, s[0:1]
	v_or_b32_e32 v13, 0x100, v0
	s_waitcnt lgkmcnt(0)
	v_mov_b32_e32 v3, 0
	v_mov_b32_e32 v5, 0
	v_cmp_gt_u32_e64 s[0:1], s26, v13
	v_mov_b32_e32 v10, 0
	v_mov_b32_e32 v4, 0
	;; [unrolled: 1-line block ×4, first 2 shown]
	s_and_saveexec_b64 s[8:9], s[0:1]
	s_cbranch_execz .LBB67_58
; %bb.57:
	global_load_ubyte v12, v0, s[12:13] offset:256
	v_mov_b32_e32 v6, s17
	v_add_co_u32_e32 v5, vcc, s16, v13
	v_addc_co_u32_e32 v6, vcc, 0, v6, vcc
	s_and_b32 s10, s34, 0xff
	s_waitcnt vmcnt(0)
	v_cmp_ne_u16_e32 vcc, 0, v12
	v_cndmask_b32_e64 v12, 0, 1, vcc
	v_cmp_eq_u16_e32 vcc, s10, v12
	v_cndmask_b32_e64 v12, 0, 1, vcc
.LBB67_58:
	s_or_b64 exec, exec, s[8:9]
	v_or_b32_e32 v13, 0x180, v0
	v_cmp_gt_u32_e32 vcc, s26, v13
	s_and_saveexec_b64 s[10:11], vcc
	s_cbranch_execnz .LBB67_151
; %bb.59:
	s_or_b64 exec, exec, s[10:11]
	s_and_saveexec_b64 s[10:11], s[2:3]
	s_cbranch_execnz .LBB67_152
.LBB67_60:
	s_or_b64 exec, exec, s[10:11]
	s_and_saveexec_b64 s[8:9], s[0:1]
	s_cbranch_execnz .LBB67_157
.LBB67_61:
	s_or_b64 exec, exec, s[8:9]
	s_and_saveexec_b64 s[2:3], vcc
	s_cbranch_execnz .LBB67_162
	s_branch .LBB67_167
.LBB67_62:
	global_load_ubyte v18, v0, s[28:29] offset:896
	v_mov_b32_e32 v4, s38
	v_add_co_u32_e64 v3, s[16:17], s37, v25
	v_addc_co_u32_e64 v4, s[16:17], 0, v4, s[16:17]
	s_and_b32 s28, s34, 0xff
	s_waitcnt vmcnt(0)
	v_cmp_ne_u16_e64 s[16:17], 0, v18
	v_cndmask_b32_e64 v18, 0, 1, s[16:17]
	v_cmp_eq_u16_e64 s[16:17], s28, v18
	v_cndmask_b32_e64 v18, 0, 1, s[16:17]
	s_or_b64 exec, exec, s[30:31]
	s_and_saveexec_b64 s[28:29], s[14:15]
	s_cbranch_execz .LBB67_45
.LBB67_63:
	v_and_b32_e32 v17, 1, v17
	v_cmp_eq_u32_e64 s[14:15], 1, v17
	v_and_b32_e32 v17, 1, v23
	v_cmp_eq_u32_e64 s[16:17], 1, v17
	s_and_b64 s[16:17], s[14:15], s[16:17]
	s_xor_b64 s[16:17], s[16:17], -1
                                        ; implicit-def: $vgpr17
	s_and_saveexec_b64 s[30:31], s[16:17]
	s_xor_b64 s[16:17], exec, s[30:31]
; %bb.64:
	v_and_b32_e32 v17, 0xffff, v23
	v_cndmask_b32_e64 v17, v17, 1, s[14:15]
	v_cndmask_b32_e64 v2, v16, v2, s[14:15]
	;; [unrolled: 1-line block ×3, first 2 shown]
                                        ; implicit-def: $vgpr15_vgpr16
; %bb.65:
	s_andn2_saveexec_b64 s[16:17], s[16:17]
; %bb.66:
	v_cmp_lt_i64_e64 s[14:15], v[15:16], v[1:2]
	v_mov_b32_e32 v17, 1
	v_cndmask_b32_e64 v2, v2, v16, s[14:15]
	v_cndmask_b32_e64 v1, v1, v15, s[14:15]
; %bb.67:
	s_or_b64 exec, exec, s[16:17]
	s_or_b64 exec, exec, s[28:29]
	s_and_saveexec_b64 s[16:17], s[12:13]
	s_cbranch_execz .LBB67_46
.LBB67_68:
	v_and_b32_e32 v15, 1, v17
	v_cmp_eq_u32_e64 s[12:13], 1, v15
	v_and_b32_e32 v15, 1, v24
	v_cmp_eq_u32_e64 s[14:15], 1, v15
	s_and_b64 s[14:15], s[12:13], s[14:15]
	s_xor_b64 s[14:15], s[14:15], -1
                                        ; implicit-def: $vgpr17
	s_and_saveexec_b64 s[28:29], s[14:15]
	s_xor_b64 s[14:15], exec, s[28:29]
; %bb.69:
	v_and_b32_e32 v15, 0xffff, v24
	v_cndmask_b32_e64 v17, v15, 1, s[12:13]
	v_cndmask_b32_e64 v2, v14, v2, s[12:13]
	;; [unrolled: 1-line block ×3, first 2 shown]
                                        ; implicit-def: $vgpr13_vgpr14
; %bb.70:
	s_andn2_saveexec_b64 s[14:15], s[14:15]
; %bb.71:
	v_cmp_lt_i64_e64 s[12:13], v[13:14], v[1:2]
	v_mov_b32_e32 v17, 1
	v_cndmask_b32_e64 v2, v2, v14, s[12:13]
	v_cndmask_b32_e64 v1, v1, v13, s[12:13]
; %bb.72:
	s_or_b64 exec, exec, s[14:15]
	s_or_b64 exec, exec, s[16:17]
	s_and_saveexec_b64 s[14:15], s[10:11]
	s_cbranch_execz .LBB67_47
.LBB67_73:
	v_and_b32_e32 v13, 1, v17
	v_cmp_eq_u32_e64 s[10:11], 1, v13
	v_and_b32_e32 v13, 1, v21
	v_cmp_eq_u32_e64 s[12:13], 1, v13
	s_and_b64 s[12:13], s[10:11], s[12:13]
	s_xor_b64 s[12:13], s[12:13], -1
                                        ; implicit-def: $vgpr17
	s_and_saveexec_b64 s[16:17], s[12:13]
	s_xor_b64 s[12:13], exec, s[16:17]
; %bb.74:
	v_and_b32_e32 v13, 0xffff, v21
	v_cndmask_b32_e64 v17, v13, 1, s[10:11]
	v_cndmask_b32_e64 v2, v12, v2, s[10:11]
	;; [unrolled: 1-line block ×3, first 2 shown]
                                        ; implicit-def: $vgpr11_vgpr12
; %bb.75:
	s_andn2_saveexec_b64 s[12:13], s[12:13]
; %bb.76:
	v_cmp_lt_i64_e64 s[10:11], v[11:12], v[1:2]
	v_mov_b32_e32 v17, 1
	v_cndmask_b32_e64 v2, v2, v12, s[10:11]
	v_cndmask_b32_e64 v1, v1, v11, s[10:11]
; %bb.77:
	s_or_b64 exec, exec, s[12:13]
	s_or_b64 exec, exec, s[14:15]
	s_and_saveexec_b64 s[12:13], s[8:9]
	s_cbranch_execz .LBB67_48
.LBB67_78:
	v_and_b32_e32 v11, 1, v17
	v_cmp_eq_u32_e64 s[8:9], 1, v11
	v_and_b32_e32 v11, 1, v22
	v_cmp_eq_u32_e64 s[10:11], 1, v11
	s_and_b64 s[10:11], s[8:9], s[10:11]
	s_xor_b64 s[10:11], s[10:11], -1
                                        ; implicit-def: $vgpr17
	s_and_saveexec_b64 s[14:15], s[10:11]
	s_xor_b64 s[10:11], exec, s[14:15]
; %bb.79:
	v_and_b32_e32 v11, 0xffff, v22
	v_cndmask_b32_e64 v17, v11, 1, s[8:9]
	v_cndmask_b32_e64 v2, v10, v2, s[8:9]
	;; [unrolled: 1-line block ×3, first 2 shown]
                                        ; implicit-def: $vgpr9_vgpr10
; %bb.80:
	s_andn2_saveexec_b64 s[10:11], s[10:11]
; %bb.81:
	v_cmp_lt_i64_e64 s[8:9], v[9:10], v[1:2]
	v_mov_b32_e32 v17, 1
	v_cndmask_b32_e64 v2, v2, v10, s[8:9]
	v_cndmask_b32_e64 v1, v1, v9, s[8:9]
; %bb.82:
	s_or_b64 exec, exec, s[10:11]
	s_or_b64 exec, exec, s[12:13]
	s_and_saveexec_b64 s[10:11], s[2:3]
	s_cbranch_execz .LBB67_49
.LBB67_83:
	v_and_b32_e32 v9, 1, v17
	v_cmp_eq_u32_e64 s[2:3], 1, v9
	v_and_b32_e32 v9, 1, v19
	v_cmp_eq_u32_e64 s[8:9], 1, v9
	s_and_b64 s[8:9], s[2:3], s[8:9]
	s_xor_b64 s[8:9], s[8:9], -1
                                        ; implicit-def: $vgpr17
	s_and_saveexec_b64 s[12:13], s[8:9]
	s_xor_b64 s[8:9], exec, s[12:13]
; %bb.84:
	v_and_b32_e32 v9, 0xffff, v19
	v_cndmask_b32_e64 v17, v9, 1, s[2:3]
	v_cndmask_b32_e64 v2, v6, v2, s[2:3]
	;; [unrolled: 1-line block ×3, first 2 shown]
                                        ; implicit-def: $vgpr5_vgpr6
; %bb.85:
	s_andn2_saveexec_b64 s[8:9], s[8:9]
; %bb.86:
	v_cmp_lt_i64_e64 s[2:3], v[5:6], v[1:2]
	v_mov_b32_e32 v17, 1
	v_cndmask_b32_e64 v2, v2, v6, s[2:3]
	v_cndmask_b32_e64 v1, v1, v5, s[2:3]
; %bb.87:
	s_or_b64 exec, exec, s[8:9]
	s_or_b64 exec, exec, s[10:11]
	s_and_saveexec_b64 s[8:9], s[0:1]
	s_cbranch_execz .LBB67_50
.LBB67_88:
	v_and_b32_e32 v5, 1, v17
	v_cmp_eq_u32_e64 s[0:1], 1, v5
	v_and_b32_e32 v5, 1, v20
	v_cmp_eq_u32_e64 s[2:3], 1, v5
	s_and_b64 s[2:3], s[0:1], s[2:3]
	s_xor_b64 s[2:3], s[2:3], -1
                                        ; implicit-def: $vgpr17
	s_and_saveexec_b64 s[10:11], s[2:3]
	s_xor_b64 s[2:3], exec, s[10:11]
; %bb.89:
	v_and_b32_e32 v5, 0xffff, v20
	v_cndmask_b32_e64 v17, v5, 1, s[0:1]
	v_cndmask_b32_e64 v2, v8, v2, s[0:1]
	;; [unrolled: 1-line block ×3, first 2 shown]
                                        ; implicit-def: $vgpr7_vgpr8
; %bb.90:
	s_andn2_saveexec_b64 s[2:3], s[2:3]
; %bb.91:
	v_cmp_lt_i64_e64 s[0:1], v[7:8], v[1:2]
	v_mov_b32_e32 v17, 1
	v_cndmask_b32_e64 v2, v2, v8, s[0:1]
	v_cndmask_b32_e64 v1, v1, v7, s[0:1]
; %bb.92:
	s_or_b64 exec, exec, s[2:3]
	s_or_b64 exec, exec, s[8:9]
	s_and_saveexec_b64 s[2:3], vcc
	s_cbranch_execz .LBB67_98
.LBB67_93:
	v_and_b32_e32 v5, 1, v17
	v_cmp_eq_u32_e32 vcc, 1, v5
	v_and_b32_e32 v5, 1, v18
	v_cmp_eq_u32_e64 s[0:1], 1, v5
	s_and_b64 s[0:1], vcc, s[0:1]
	s_xor_b64 s[0:1], s[0:1], -1
                                        ; implicit-def: $vgpr17
	s_and_saveexec_b64 s[8:9], s[0:1]
	s_xor_b64 s[0:1], exec, s[8:9]
; %bb.94:
	v_and_b32_e32 v5, 0xffff, v18
	v_cndmask_b32_e64 v17, v5, 1, vcc
	v_cndmask_b32_e32 v2, v4, v2, vcc
	v_cndmask_b32_e32 v1, v3, v1, vcc
                                        ; implicit-def: $vgpr3_vgpr4
; %bb.95:
	s_andn2_saveexec_b64 s[0:1], s[0:1]
; %bb.96:
	v_cmp_lt_i64_e32 vcc, v[3:4], v[1:2]
	v_mov_b32_e32 v17, 1
	v_cndmask_b32_e32 v2, v2, v4, vcc
	v_cndmask_b32_e32 v1, v1, v3, vcc
; %bb.97:
	s_or_b64 exec, exec, s[0:1]
.LBB67_98:
	s_or_b64 exec, exec, s[2:3]
	v_mbcnt_lo_u32_b32 v3, -1, 0
	v_mbcnt_hi_u32_b32 v5, -1, v3
	v_and_b32_e32 v6, 63, v5
	v_cmp_ne_u32_e32 vcc, 63, v6
	v_addc_co_u32_e32 v3, vcc, 0, v5, vcc
	v_lshlrev_b32_e32 v4, 2, v3
	ds_bpermute_b32 v8, v4, v17
	ds_bpermute_b32 v3, v4, v1
	;; [unrolled: 1-line block ×3, first 2 shown]
	s_min_u32 s8, s36, 0x80
	v_and_b32_e32 v7, 64, v0
	v_sub_u32_e64 v7, s8, v7 clamp
	v_add_u32_e32 v9, 1, v6
	v_cmp_lt_u32_e32 vcc, v9, v7
	s_and_saveexec_b64 s[0:1], vcc
	s_xor_b64 s[0:1], exec, s[0:1]
	s_cbranch_execz .LBB67_104
; %bb.99:
	s_waitcnt lgkmcnt(2)
	v_and_b32_e32 v9, v8, v17
	v_cmp_ne_u32_e32 vcc, 0, v9
	s_and_saveexec_b64 s[2:3], vcc
	s_xor_b64 s[2:3], exec, s[2:3]
	s_cbranch_execz .LBB67_101
; %bb.100:
	s_waitcnt lgkmcnt(0)
	v_cmp_lt_i64_e32 vcc, v[3:4], v[1:2]
                                        ; implicit-def: $vgpr17
                                        ; implicit-def: $vgpr8
	v_cndmask_b32_e32 v2, v2, v4, vcc
	v_cndmask_b32_e32 v1, v1, v3, vcc
                                        ; implicit-def: $vgpr3_vgpr4
.LBB67_101:
	s_or_saveexec_b64 s[2:3], s[2:3]
	v_mov_b32_e32 v9, 1
	s_xor_b64 exec, exec, s[2:3]
	s_cbranch_execz .LBB67_103
; %bb.102:
	v_and_b32_e32 v9, 1, v17
	v_cmp_eq_u32_e32 vcc, 1, v9
	s_waitcnt lgkmcnt(1)
	v_cndmask_b32_e32 v1, v3, v1, vcc
	v_and_b32_e32 v3, 0xff, v8
	s_waitcnt lgkmcnt(0)
	v_cndmask_b32_e32 v2, v4, v2, vcc
	v_cndmask_b32_e64 v9, v3, 1, vcc
.LBB67_103:
	s_or_b64 exec, exec, s[2:3]
	v_mov_b32_e32 v17, v9
.LBB67_104:
	s_or_b64 exec, exec, s[0:1]
	v_cmp_gt_u32_e32 vcc, 62, v6
	s_waitcnt lgkmcnt(1)
	v_cndmask_b32_e64 v3, 0, 2, vcc
	s_waitcnt lgkmcnt(0)
	v_add_lshl_u32 v4, v3, v5, 2
	ds_bpermute_b32 v8, v4, v17
	ds_bpermute_b32 v3, v4, v1
	ds_bpermute_b32 v4, v4, v2
	v_add_u32_e32 v9, 2, v6
	v_cmp_lt_u32_e32 vcc, v9, v7
	s_and_saveexec_b64 s[0:1], vcc
	s_cbranch_execz .LBB67_110
; %bb.105:
	s_waitcnt lgkmcnt(2)
	v_and_b32_e32 v9, v17, v8
	v_and_b32_e32 v9, 1, v9
	v_cmp_eq_u32_e32 vcc, 1, v9
	s_and_saveexec_b64 s[2:3], vcc
	s_xor_b64 s[2:3], exec, s[2:3]
	s_cbranch_execz .LBB67_107
; %bb.106:
	s_waitcnt lgkmcnt(0)
	v_cmp_lt_i64_e32 vcc, v[3:4], v[1:2]
                                        ; implicit-def: $vgpr17
                                        ; implicit-def: $vgpr8
	v_cndmask_b32_e32 v2, v2, v4, vcc
	v_cndmask_b32_e32 v1, v1, v3, vcc
                                        ; implicit-def: $vgpr3_vgpr4
.LBB67_107:
	s_or_saveexec_b64 s[2:3], s[2:3]
	v_mov_b32_e32 v9, 1
	s_xor_b64 exec, exec, s[2:3]
	s_cbranch_execz .LBB67_109
; %bb.108:
	v_and_b32_e32 v9, 1, v17
	v_cmp_eq_u32_e32 vcc, 1, v9
	s_waitcnt lgkmcnt(1)
	v_cndmask_b32_e32 v1, v3, v1, vcc
	v_and_b32_e32 v3, 0xff, v8
	s_waitcnt lgkmcnt(0)
	v_cndmask_b32_e32 v2, v4, v2, vcc
	v_cndmask_b32_e64 v9, v3, 1, vcc
.LBB67_109:
	s_or_b64 exec, exec, s[2:3]
	v_mov_b32_e32 v17, v9
.LBB67_110:
	s_or_b64 exec, exec, s[0:1]
	v_cmp_gt_u32_e32 vcc, 60, v6
	s_waitcnt lgkmcnt(1)
	v_cndmask_b32_e64 v3, 0, 4, vcc
	s_waitcnt lgkmcnt(0)
	v_add_lshl_u32 v4, v3, v5, 2
	ds_bpermute_b32 v8, v4, v17
	ds_bpermute_b32 v3, v4, v1
	ds_bpermute_b32 v4, v4, v2
	v_add_u32_e32 v9, 4, v6
	v_cmp_lt_u32_e32 vcc, v9, v7
	s_and_saveexec_b64 s[0:1], vcc
	s_cbranch_execz .LBB67_116
; %bb.111:
	s_waitcnt lgkmcnt(2)
	v_and_b32_e32 v9, v17, v8
	v_and_b32_e32 v9, 1, v9
	v_cmp_eq_u32_e32 vcc, 1, v9
	s_and_saveexec_b64 s[2:3], vcc
	s_xor_b64 s[2:3], exec, s[2:3]
	s_cbranch_execz .LBB67_113
; %bb.112:
	s_waitcnt lgkmcnt(0)
	v_cmp_lt_i64_e32 vcc, v[3:4], v[1:2]
                                        ; implicit-def: $vgpr17
                                        ; implicit-def: $vgpr8
	v_cndmask_b32_e32 v2, v2, v4, vcc
	v_cndmask_b32_e32 v1, v1, v3, vcc
                                        ; implicit-def: $vgpr3_vgpr4
.LBB67_113:
	s_or_saveexec_b64 s[2:3], s[2:3]
	v_mov_b32_e32 v9, 1
	s_xor_b64 exec, exec, s[2:3]
	s_cbranch_execz .LBB67_115
; %bb.114:
	v_and_b32_e32 v9, 1, v17
	v_cmp_eq_u32_e32 vcc, 1, v9
	s_waitcnt lgkmcnt(1)
	v_cndmask_b32_e32 v1, v3, v1, vcc
	v_and_b32_e32 v3, 0xff, v8
	s_waitcnt lgkmcnt(0)
	v_cndmask_b32_e32 v2, v4, v2, vcc
	v_cndmask_b32_e64 v9, v3, 1, vcc
.LBB67_115:
	s_or_b64 exec, exec, s[2:3]
	v_mov_b32_e32 v17, v9
.LBB67_116:
	;; [unrolled: 47-line block ×4, first 2 shown]
	s_or_b64 exec, exec, s[0:1]
	s_waitcnt lgkmcnt(2)
	v_lshlrev_b32_e32 v8, 2, v5
	s_waitcnt lgkmcnt(0)
	v_or_b32_e32 v4, 0x80, v8
	ds_bpermute_b32 v9, v4, v17
	ds_bpermute_b32 v3, v4, v1
	;; [unrolled: 1-line block ×3, first 2 shown]
	v_add_u32_e32 v6, 32, v6
	v_cmp_lt_u32_e32 vcc, v6, v7
	v_mov_b32_e32 v6, v17
	s_and_saveexec_b64 s[0:1], vcc
	s_cbranch_execz .LBB67_134
; %bb.129:
	s_waitcnt lgkmcnt(2)
	v_and_b32_e32 v6, v17, v9
	v_and_b32_e32 v6, 1, v6
	v_cmp_eq_u32_e32 vcc, 1, v6
	s_and_saveexec_b64 s[2:3], vcc
	s_xor_b64 s[2:3], exec, s[2:3]
	s_cbranch_execz .LBB67_131
; %bb.130:
	s_waitcnt lgkmcnt(0)
	v_cmp_lt_i64_e32 vcc, v[3:4], v[1:2]
                                        ; implicit-def: $vgpr17
                                        ; implicit-def: $vgpr9
	v_cndmask_b32_e32 v2, v2, v4, vcc
	v_cndmask_b32_e32 v1, v1, v3, vcc
                                        ; implicit-def: $vgpr3_vgpr4
.LBB67_131:
	s_or_saveexec_b64 s[2:3], s[2:3]
	v_mov_b32_e32 v6, 1
	s_xor_b64 exec, exec, s[2:3]
	s_cbranch_execz .LBB67_133
; %bb.132:
	v_and_b32_e32 v6, 1, v17
	v_cmp_eq_u32_e32 vcc, 1, v6
	v_cndmask_b32_e64 v6, v9, 1, vcc
	s_waitcnt lgkmcnt(0)
	v_cndmask_b32_e32 v2, v4, v2, vcc
	v_cndmask_b32_e32 v1, v3, v1, vcc
.LBB67_133:
	s_or_b64 exec, exec, s[2:3]
	v_and_b32_e32 v17, 0xff, v6
.LBB67_134:
	s_or_b64 exec, exec, s[0:1]
	v_cmp_eq_u32_e32 vcc, 0, v5
	s_and_saveexec_b64 s[0:1], vcc
	s_cbranch_execz .LBB67_136
; %bb.135:
	s_waitcnt lgkmcnt(1)
	v_lshrrev_b32_e32 v3, 2, v0
	v_and_b32_e32 v3, 16, v3
	ds_write_b8 v3, v6 offset:128
	ds_write_b64 v3, v[1:2] offset:136
.LBB67_136:
	s_or_b64 exec, exec, s[0:1]
	v_cmp_gt_u32_e32 vcc, 2, v0
	s_waitcnt lgkmcnt(0)
	s_barrier
	s_and_saveexec_b64 s[0:1], vcc
	s_cbranch_execz .LBB67_144
; %bb.137:
	v_lshlrev_b32_e32 v1, 4, v5
	ds_read_u8 v6, v1 offset:128
	ds_read_b64 v[1:2], v1 offset:136
	v_or_b32_e32 v4, 4, v8
	s_add_i32 s8, s8, 63
	v_and_b32_e32 v5, 1, v5
	s_waitcnt lgkmcnt(1)
	v_and_b32_e32 v17, 0xff, v6
	s_waitcnt lgkmcnt(0)
	ds_bpermute_b32 v3, v4, v1
	ds_bpermute_b32 v7, v4, v17
	;; [unrolled: 1-line block ×3, first 2 shown]
	s_lshr_b32 s2, s8, 6
	v_add_u32_e32 v5, 1, v5
	v_cmp_gt_u32_e32 vcc, s2, v5
	s_and_saveexec_b64 s[2:3], vcc
	s_cbranch_execz .LBB67_143
; %bb.138:
	s_waitcnt lgkmcnt(1)
	v_and_b32_e32 v5, v17, v7
	v_and_b32_e32 v5, 1, v5
	v_cmp_eq_u32_e32 vcc, 1, v5
	s_and_saveexec_b64 s[8:9], vcc
	s_xor_b64 s[8:9], exec, s[8:9]
	s_cbranch_execz .LBB67_140
; %bb.139:
	s_waitcnt lgkmcnt(0)
	v_cmp_lt_i64_e32 vcc, v[3:4], v[1:2]
                                        ; implicit-def: $vgpr6
                                        ; implicit-def: $vgpr7
	v_cndmask_b32_e32 v2, v2, v4, vcc
	v_cndmask_b32_e32 v1, v1, v3, vcc
                                        ; implicit-def: $vgpr3_vgpr4
.LBB67_140:
	s_or_saveexec_b64 s[8:9], s[8:9]
	v_mov_b32_e32 v17, 1
	s_xor_b64 exec, exec, s[8:9]
	s_cbranch_execz .LBB67_142
; %bb.141:
	v_and_b32_e32 v5, 1, v6
	v_cmp_eq_u32_e32 vcc, 1, v5
	s_waitcnt lgkmcnt(0)
	v_cndmask_b32_e32 v2, v4, v2, vcc
	v_cndmask_b32_e32 v1, v3, v1, vcc
	v_cndmask_b32_e64 v17, v7, 1, vcc
.LBB67_142:
	s_or_b64 exec, exec, s[8:9]
.LBB67_143:
	s_or_b64 exec, exec, s[2:3]
.LBB67_144:
	s_or_b64 exec, exec, s[0:1]
.LBB67_145:
	v_cmp_eq_u32_e32 vcc, 0, v0
	s_mov_b64 s[14:15], 0
                                        ; implicit-def: $vgpr3_vgpr4
                                        ; implicit-def: $vgpr5
	s_and_saveexec_b64 s[0:1], vcc
	s_xor_b64 s[8:9], exec, s[0:1]
	s_cbranch_execz .LBB67_149
; %bb.146:
	s_waitcnt lgkmcnt(0)
	v_mov_b32_e32 v3, s18
	s_cmp_eq_u64 s[22:23], 0
	v_mov_b32_e32 v4, s19
	v_mov_b32_e32 v5, s33
	s_cbranch_scc1 .LBB67_148
; %bb.147:
	v_and_b32_e32 v3, 1, v17
	v_cmp_gt_i64_e64 s[0:1], s[18:19], v[1:2]
	s_bitcmp1_b32 s33, 0
	v_cmp_eq_u32_e32 vcc, 1, v3
	s_cselect_b64 s[2:3], -1, 0
	v_mov_b32_e32 v3, s18
	s_and_b64 vcc, vcc, s[0:1]
	v_mov_b32_e32 v4, s19
	v_cndmask_b32_e32 v3, v3, v1, vcc
	v_cndmask_b32_e32 v4, v4, v2, vcc
	v_cndmask_b32_e64 v5, v17, 1, s[2:3]
	v_cndmask_b32_e64 v4, v2, v4, s[2:3]
	;; [unrolled: 1-line block ×3, first 2 shown]
.LBB67_148:
	s_mov_b64 s[14:15], exec
.LBB67_149:
	s_or_b64 exec, exec, s[8:9]
	v_mov_b32_e32 v1, s6
	v_mov_b32_e32 v2, s7
	s_and_b64 vcc, exec, s[26:27]
	s_cbranch_vccnz .LBB67_16
.LBB67_150:
	s_branch .LBB67_306
.LBB67_151:
	global_load_ubyte v10, v0, s[12:13] offset:384
	v_mov_b32_e32 v4, s17
	v_add_co_u32_e64 v3, s[8:9], s16, v13
	v_addc_co_u32_e64 v4, s[8:9], 0, v4, s[8:9]
	s_and_b32 s12, s34, 0xff
	s_waitcnt vmcnt(0)
	v_cmp_ne_u16_e64 s[8:9], 0, v10
	v_cndmask_b32_e64 v10, 0, 1, s[8:9]
	v_cmp_eq_u16_e64 s[8:9], s12, v10
	v_cndmask_b32_e64 v10, 0, 1, s[8:9]
	s_or_b64 exec, exec, s[10:11]
	s_and_saveexec_b64 s[10:11], s[2:3]
	s_cbranch_execz .LBB67_60
.LBB67_152:
	v_and_b32_e32 v9, 1, v9
	v_cmp_eq_u32_e64 s[2:3], 1, v9
	v_and_b32_e32 v9, 1, v11
	v_cmp_eq_u32_e64 s[8:9], 1, v9
	s_and_b64 s[8:9], s[2:3], s[8:9]
	s_xor_b64 s[8:9], s[8:9], -1
                                        ; implicit-def: $vgpr9
	s_and_saveexec_b64 s[12:13], s[8:9]
	s_xor_b64 s[8:9], exec, s[12:13]
; %bb.153:
	v_and_b32_e32 v9, 0xffff, v11
	v_cndmask_b32_e64 v9, v9, 1, s[2:3]
	v_cndmask_b32_e64 v2, v8, v2, s[2:3]
	;; [unrolled: 1-line block ×3, first 2 shown]
                                        ; implicit-def: $vgpr7_vgpr8
; %bb.154:
	s_andn2_saveexec_b64 s[8:9], s[8:9]
; %bb.155:
	v_cmp_lt_i64_e64 s[2:3], v[7:8], v[1:2]
	v_mov_b32_e32 v9, 1
	v_cndmask_b32_e64 v2, v2, v8, s[2:3]
	v_cndmask_b32_e64 v1, v1, v7, s[2:3]
; %bb.156:
	s_or_b64 exec, exec, s[8:9]
	s_or_b64 exec, exec, s[10:11]
	s_and_saveexec_b64 s[8:9], s[0:1]
	s_cbranch_execz .LBB67_61
.LBB67_157:
	v_and_b32_e32 v7, 1, v9
	v_cmp_eq_u32_e64 s[0:1], 1, v7
	v_and_b32_e32 v7, 1, v12
	v_cmp_eq_u32_e64 s[2:3], 1, v7
	s_and_b64 s[2:3], s[0:1], s[2:3]
	s_xor_b64 s[2:3], s[2:3], -1
                                        ; implicit-def: $vgpr9
	s_and_saveexec_b64 s[10:11], s[2:3]
	s_xor_b64 s[2:3], exec, s[10:11]
; %bb.158:
	v_and_b32_e32 v7, 0xffff, v12
	v_cndmask_b32_e64 v9, v7, 1, s[0:1]
	v_cndmask_b32_e64 v2, v6, v2, s[0:1]
	v_cndmask_b32_e64 v1, v5, v1, s[0:1]
                                        ; implicit-def: $vgpr5_vgpr6
; %bb.159:
	s_andn2_saveexec_b64 s[2:3], s[2:3]
; %bb.160:
	v_cmp_lt_i64_e64 s[0:1], v[5:6], v[1:2]
	v_mov_b32_e32 v9, 1
	v_cndmask_b32_e64 v2, v2, v6, s[0:1]
	v_cndmask_b32_e64 v1, v1, v5, s[0:1]
; %bb.161:
	s_or_b64 exec, exec, s[2:3]
	s_or_b64 exec, exec, s[8:9]
	s_and_saveexec_b64 s[2:3], vcc
	s_cbranch_execz .LBB67_167
.LBB67_162:
	v_and_b32_e32 v5, 1, v9
	v_cmp_eq_u32_e32 vcc, 1, v5
	v_and_b32_e32 v5, 1, v10
	v_cmp_eq_u32_e64 s[0:1], 1, v5
	s_and_b64 s[0:1], vcc, s[0:1]
	s_xor_b64 s[0:1], s[0:1], -1
                                        ; implicit-def: $vgpr9
	s_and_saveexec_b64 s[8:9], s[0:1]
	s_xor_b64 s[0:1], exec, s[8:9]
; %bb.163:
	v_and_b32_e32 v5, 0xffff, v10
	v_cndmask_b32_e64 v9, v5, 1, vcc
	v_cndmask_b32_e32 v2, v4, v2, vcc
	v_cndmask_b32_e32 v1, v3, v1, vcc
                                        ; implicit-def: $vgpr3_vgpr4
; %bb.164:
	s_andn2_saveexec_b64 s[0:1], s[0:1]
; %bb.165:
	v_cmp_lt_i64_e32 vcc, v[3:4], v[1:2]
	v_mov_b32_e32 v9, 1
	v_cndmask_b32_e32 v2, v2, v4, vcc
	v_cndmask_b32_e32 v1, v1, v3, vcc
; %bb.166:
	s_or_b64 exec, exec, s[0:1]
.LBB67_167:
	s_or_b64 exec, exec, s[2:3]
	v_mbcnt_lo_u32_b32 v3, -1, 0
	v_mbcnt_hi_u32_b32 v5, -1, v3
	v_and_b32_e32 v6, 63, v5
	v_cmp_ne_u32_e32 vcc, 63, v6
	v_addc_co_u32_e32 v3, vcc, 0, v5, vcc
	v_lshlrev_b32_e32 v4, 2, v3
	ds_bpermute_b32 v8, v4, v9
	ds_bpermute_b32 v3, v4, v1
	;; [unrolled: 1-line block ×3, first 2 shown]
	s_min_u32 s8, s26, 0x80
	v_and_b32_e32 v7, 64, v0
	v_sub_u32_e64 v7, s8, v7 clamp
	v_add_u32_e32 v10, 1, v6
	v_cmp_lt_u32_e32 vcc, v10, v7
	s_and_saveexec_b64 s[0:1], vcc
	s_xor_b64 s[0:1], exec, s[0:1]
	s_cbranch_execz .LBB67_173
; %bb.168:
	s_waitcnt lgkmcnt(2)
	v_and_b32_e32 v10, v8, v9
	v_cmp_ne_u32_e32 vcc, 0, v10
	s_and_saveexec_b64 s[2:3], vcc
	s_xor_b64 s[2:3], exec, s[2:3]
	s_cbranch_execz .LBB67_170
; %bb.169:
	s_waitcnt lgkmcnt(0)
	v_cmp_lt_i64_e32 vcc, v[3:4], v[1:2]
                                        ; implicit-def: $vgpr9
                                        ; implicit-def: $vgpr8
	v_cndmask_b32_e32 v2, v2, v4, vcc
	v_cndmask_b32_e32 v1, v1, v3, vcc
                                        ; implicit-def: $vgpr3_vgpr4
.LBB67_170:
	s_or_saveexec_b64 s[2:3], s[2:3]
	v_mov_b32_e32 v10, 1
	s_xor_b64 exec, exec, s[2:3]
	s_cbranch_execz .LBB67_172
; %bb.171:
	v_and_b32_e32 v9, 1, v9
	v_cmp_eq_u32_e32 vcc, 1, v9
	s_waitcnt lgkmcnt(1)
	v_cndmask_b32_e32 v1, v3, v1, vcc
	v_and_b32_e32 v3, 0xff, v8
	s_waitcnt lgkmcnt(0)
	v_cndmask_b32_e32 v2, v4, v2, vcc
	v_cndmask_b32_e64 v10, v3, 1, vcc
.LBB67_172:
	s_or_b64 exec, exec, s[2:3]
	v_mov_b32_e32 v9, v10
.LBB67_173:
	s_or_b64 exec, exec, s[0:1]
	v_cmp_gt_u32_e32 vcc, 62, v6
	s_waitcnt lgkmcnt(1)
	v_cndmask_b32_e64 v3, 0, 2, vcc
	s_waitcnt lgkmcnt(0)
	v_add_lshl_u32 v4, v3, v5, 2
	ds_bpermute_b32 v8, v4, v9
	ds_bpermute_b32 v3, v4, v1
	ds_bpermute_b32 v4, v4, v2
	v_add_u32_e32 v10, 2, v6
	v_cmp_lt_u32_e32 vcc, v10, v7
	s_and_saveexec_b64 s[0:1], vcc
	s_cbranch_execz .LBB67_179
; %bb.174:
	s_waitcnt lgkmcnt(2)
	v_and_b32_e32 v10, v9, v8
	v_and_b32_e32 v10, 1, v10
	v_cmp_eq_u32_e32 vcc, 1, v10
	s_and_saveexec_b64 s[2:3], vcc
	s_xor_b64 s[2:3], exec, s[2:3]
	s_cbranch_execz .LBB67_176
; %bb.175:
	s_waitcnt lgkmcnt(0)
	v_cmp_lt_i64_e32 vcc, v[3:4], v[1:2]
                                        ; implicit-def: $vgpr9
                                        ; implicit-def: $vgpr8
	v_cndmask_b32_e32 v2, v2, v4, vcc
	v_cndmask_b32_e32 v1, v1, v3, vcc
                                        ; implicit-def: $vgpr3_vgpr4
.LBB67_176:
	s_or_saveexec_b64 s[2:3], s[2:3]
	v_mov_b32_e32 v10, 1
	s_xor_b64 exec, exec, s[2:3]
	s_cbranch_execz .LBB67_178
; %bb.177:
	v_and_b32_e32 v9, 1, v9
	v_cmp_eq_u32_e32 vcc, 1, v9
	s_waitcnt lgkmcnt(1)
	v_cndmask_b32_e32 v1, v3, v1, vcc
	v_and_b32_e32 v3, 0xff, v8
	s_waitcnt lgkmcnt(0)
	v_cndmask_b32_e32 v2, v4, v2, vcc
	v_cndmask_b32_e64 v10, v3, 1, vcc
.LBB67_178:
	s_or_b64 exec, exec, s[2:3]
	v_mov_b32_e32 v9, v10
.LBB67_179:
	s_or_b64 exec, exec, s[0:1]
	v_cmp_gt_u32_e32 vcc, 60, v6
	s_waitcnt lgkmcnt(1)
	v_cndmask_b32_e64 v3, 0, 4, vcc
	s_waitcnt lgkmcnt(0)
	v_add_lshl_u32 v4, v3, v5, 2
	ds_bpermute_b32 v8, v4, v9
	ds_bpermute_b32 v3, v4, v1
	ds_bpermute_b32 v4, v4, v2
	v_add_u32_e32 v10, 4, v6
	v_cmp_lt_u32_e32 vcc, v10, v7
	s_and_saveexec_b64 s[0:1], vcc
	s_cbranch_execz .LBB67_185
; %bb.180:
	s_waitcnt lgkmcnt(2)
	v_and_b32_e32 v10, v9, v8
	v_and_b32_e32 v10, 1, v10
	v_cmp_eq_u32_e32 vcc, 1, v10
	s_and_saveexec_b64 s[2:3], vcc
	s_xor_b64 s[2:3], exec, s[2:3]
	s_cbranch_execz .LBB67_182
; %bb.181:
	s_waitcnt lgkmcnt(0)
	v_cmp_lt_i64_e32 vcc, v[3:4], v[1:2]
                                        ; implicit-def: $vgpr9
                                        ; implicit-def: $vgpr8
	v_cndmask_b32_e32 v2, v2, v4, vcc
	v_cndmask_b32_e32 v1, v1, v3, vcc
                                        ; implicit-def: $vgpr3_vgpr4
.LBB67_182:
	s_or_saveexec_b64 s[2:3], s[2:3]
	v_mov_b32_e32 v10, 1
	s_xor_b64 exec, exec, s[2:3]
	s_cbranch_execz .LBB67_184
; %bb.183:
	v_and_b32_e32 v9, 1, v9
	v_cmp_eq_u32_e32 vcc, 1, v9
	s_waitcnt lgkmcnt(1)
	v_cndmask_b32_e32 v1, v3, v1, vcc
	v_and_b32_e32 v3, 0xff, v8
	s_waitcnt lgkmcnt(0)
	v_cndmask_b32_e32 v2, v4, v2, vcc
	v_cndmask_b32_e64 v10, v3, 1, vcc
.LBB67_184:
	s_or_b64 exec, exec, s[2:3]
	v_mov_b32_e32 v9, v10
.LBB67_185:
	;; [unrolled: 47-line block ×4, first 2 shown]
	s_or_b64 exec, exec, s[0:1]
	s_waitcnt lgkmcnt(2)
	v_lshlrev_b32_e32 v8, 2, v5
	s_waitcnt lgkmcnt(0)
	v_or_b32_e32 v4, 0x80, v8
	ds_bpermute_b32 v10, v4, v9
	ds_bpermute_b32 v3, v4, v1
	;; [unrolled: 1-line block ×3, first 2 shown]
	v_add_u32_e32 v6, 32, v6
	v_cmp_lt_u32_e32 vcc, v6, v7
	v_mov_b32_e32 v6, v9
	s_and_saveexec_b64 s[0:1], vcc
	s_cbranch_execz .LBB67_203
; %bb.198:
	s_waitcnt lgkmcnt(2)
	v_and_b32_e32 v6, v9, v10
	v_and_b32_e32 v6, 1, v6
	v_cmp_eq_u32_e32 vcc, 1, v6
	s_and_saveexec_b64 s[2:3], vcc
	s_xor_b64 s[2:3], exec, s[2:3]
	s_cbranch_execz .LBB67_200
; %bb.199:
	s_waitcnt lgkmcnt(0)
	v_cmp_lt_i64_e32 vcc, v[3:4], v[1:2]
                                        ; implicit-def: $vgpr9
                                        ; implicit-def: $vgpr10
	v_cndmask_b32_e32 v2, v2, v4, vcc
	v_cndmask_b32_e32 v1, v1, v3, vcc
                                        ; implicit-def: $vgpr3_vgpr4
.LBB67_200:
	s_or_saveexec_b64 s[2:3], s[2:3]
	v_mov_b32_e32 v6, 1
	s_xor_b64 exec, exec, s[2:3]
	s_cbranch_execz .LBB67_202
; %bb.201:
	v_and_b32_e32 v6, 1, v9
	v_cmp_eq_u32_e32 vcc, 1, v6
	v_cndmask_b32_e64 v6, v10, 1, vcc
	s_waitcnt lgkmcnt(0)
	v_cndmask_b32_e32 v2, v4, v2, vcc
	v_cndmask_b32_e32 v1, v3, v1, vcc
.LBB67_202:
	s_or_b64 exec, exec, s[2:3]
	v_and_b32_e32 v9, 0xff, v6
.LBB67_203:
	s_or_b64 exec, exec, s[0:1]
	v_cmp_eq_u32_e32 vcc, 0, v5
	s_and_saveexec_b64 s[0:1], vcc
	s_cbranch_execz .LBB67_205
; %bb.204:
	s_waitcnt lgkmcnt(1)
	v_lshrrev_b32_e32 v3, 2, v0
	v_and_b32_e32 v3, 16, v3
	ds_write_b8 v3, v6 offset:128
	ds_write_b64 v3, v[1:2] offset:136
.LBB67_205:
	s_or_b64 exec, exec, s[0:1]
	v_cmp_gt_u32_e32 vcc, 2, v0
	s_waitcnt lgkmcnt(0)
	s_barrier
	s_and_saveexec_b64 s[0:1], vcc
	s_cbranch_execz .LBB67_213
; %bb.206:
	v_lshlrev_b32_e32 v1, 4, v5
	ds_read_u8 v6, v1 offset:128
	ds_read_b64 v[1:2], v1 offset:136
	v_or_b32_e32 v4, 4, v8
	s_add_i32 s8, s8, 63
	v_and_b32_e32 v5, 1, v5
	s_waitcnt lgkmcnt(1)
	v_and_b32_e32 v9, 0xff, v6
	s_waitcnt lgkmcnt(0)
	ds_bpermute_b32 v3, v4, v1
	ds_bpermute_b32 v7, v4, v9
	;; [unrolled: 1-line block ×3, first 2 shown]
	s_lshr_b32 s2, s8, 6
	v_add_u32_e32 v5, 1, v5
	v_cmp_gt_u32_e32 vcc, s2, v5
	s_and_saveexec_b64 s[2:3], vcc
	s_cbranch_execz .LBB67_212
; %bb.207:
	s_waitcnt lgkmcnt(1)
	v_and_b32_e32 v5, v9, v7
	v_and_b32_e32 v5, 1, v5
	v_cmp_eq_u32_e32 vcc, 1, v5
	s_and_saveexec_b64 s[8:9], vcc
	s_xor_b64 s[8:9], exec, s[8:9]
	s_cbranch_execz .LBB67_209
; %bb.208:
	s_waitcnt lgkmcnt(0)
	v_cmp_lt_i64_e32 vcc, v[3:4], v[1:2]
                                        ; implicit-def: $vgpr6
                                        ; implicit-def: $vgpr7
	v_cndmask_b32_e32 v2, v2, v4, vcc
	v_cndmask_b32_e32 v1, v1, v3, vcc
                                        ; implicit-def: $vgpr3_vgpr4
.LBB67_209:
	s_or_saveexec_b64 s[8:9], s[8:9]
	v_mov_b32_e32 v9, 1
	s_xor_b64 exec, exec, s[8:9]
	s_cbranch_execz .LBB67_211
; %bb.210:
	v_and_b32_e32 v5, 1, v6
	v_cmp_eq_u32_e32 vcc, 1, v5
	s_waitcnt lgkmcnt(0)
	v_cndmask_b32_e32 v2, v4, v2, vcc
	v_cndmask_b32_e32 v1, v3, v1, vcc
	v_cndmask_b32_e64 v9, v7, 1, vcc
.LBB67_211:
	s_or_b64 exec, exec, s[8:9]
.LBB67_212:
	s_or_b64 exec, exec, s[2:3]
.LBB67_213:
	s_or_b64 exec, exec, s[0:1]
.LBB67_214:
	v_cmp_eq_u32_e32 vcc, 0, v0
                                        ; implicit-def: $vgpr3_vgpr4
                                        ; implicit-def: $vgpr5
	s_and_saveexec_b64 s[0:1], vcc
	s_xor_b64 s[8:9], exec, s[0:1]
	s_cbranch_execz .LBB67_218
; %bb.215:
	s_waitcnt lgkmcnt(0)
	v_mov_b32_e32 v3, s18
	s_cmp_eq_u64 s[22:23], 0
	v_mov_b32_e32 v4, s19
	v_mov_b32_e32 v5, s33
	s_cbranch_scc1 .LBB67_217
; %bb.216:
	v_and_b32_e32 v3, 1, v9
	v_cmp_gt_i64_e64 s[0:1], s[18:19], v[1:2]
	s_bitcmp1_b32 s33, 0
	v_cmp_eq_u32_e32 vcc, 1, v3
	s_cselect_b64 s[2:3], -1, 0
	v_mov_b32_e32 v3, s18
	s_and_b64 vcc, vcc, s[0:1]
	v_mov_b32_e32 v4, s19
	v_cndmask_b32_e32 v3, v3, v1, vcc
	v_cndmask_b32_e32 v4, v4, v2, vcc
	v_cndmask_b32_e64 v5, v9, 1, s[2:3]
	v_cndmask_b32_e64 v4, v2, v4, s[2:3]
	;; [unrolled: 1-line block ×3, first 2 shown]
.LBB67_217:
	s_or_b64 s[14:15], s[14:15], exec
.LBB67_218:
	s_or_b64 exec, exec, s[8:9]
	v_mov_b32_e32 v1, s6
	v_mov_b32_e32 v2, s7
	s_branch .LBB67_306
.LBB67_219:
	s_cmp_gt_i32 s35, 1
	s_cbranch_scc0 .LBB67_231
; %bb.220:
	s_cmp_eq_u32 s35, 2
	s_cbranch_scc0 .LBB67_232
; %bb.221:
	s_lshl_b32 s28, s6, 8
	s_lshr_b64 s[0:1], s[22:23], 8
	s_add_u32 s16, s24, s28
	s_addc_u32 s17, s25, 0
	s_add_u32 s26, s20, s28
	s_mov_b32 s7, 0
	s_addc_u32 s27, s21, 0
	s_cmp_lg_u64 s[0:1], s[6:7]
	s_cbranch_scc0 .LBB67_233
; %bb.222:
	global_load_ubyte v1, v0, s[16:17]
	global_load_ubyte v2, v0, s[16:17] offset:128
	s_waitcnt lgkmcnt(2)
	v_mov_b32_e32 v3, s27
	s_waitcnt lgkmcnt(0)
	v_add_co_u32_e32 v6, vcc, s26, v0
	v_addc_co_u32_e32 v7, vcc, 0, v3, vcc
	v_add_co_u32_e32 v8, vcc, 0x80, v6
	v_addc_co_u32_e32 v9, vcc, 0, v7, vcc
	v_mov_b32_e32 v4, 0
	s_and_b32 s2, s34, 0xff
	v_mbcnt_lo_u32_b32 v5, -1, 0
	v_mbcnt_hi_u32_b32 v3, -1, v5
	v_lshlrev_b32_e32 v5, 2, v3
	v_or_b32_e32 v10, 0xfc, v5
	s_waitcnt vmcnt(1)
	v_cmp_ne_u16_e32 vcc, 0, v1
	v_cndmask_b32_e64 v1, 0, 1, vcc
	s_waitcnt vmcnt(0)
	v_cmp_ne_u16_sdwa s[0:1], v2, v4 src0_sel:BYTE_0 src1_sel:DWORD
	v_cndmask_b32_e64 v2, 0, 1, s[0:1]
	v_cmp_eq_u16_e64 s[0:1], s2, v1
	v_cmp_eq_u16_e32 vcc, s2, v2
	v_cndmask_b32_e64 v2, v9, v7, s[0:1]
	v_cndmask_b32_e64 v1, v8, v6, s[0:1]
	s_or_b64 s[0:1], s[0:1], vcc
	v_mov_b32_dpp v7, v2 quad_perm:[1,0,3,2] row_mask:0xf bank_mask:0xf bound_ctrl:1
	v_mov_b32_dpp v6, v1 quad_perm:[1,0,3,2] row_mask:0xf bank_mask:0xf bound_ctrl:1
	v_cndmask_b32_e64 v4, 0, 1, s[0:1]
	v_cmp_lt_i64_e32 vcc, v[1:2], v[6:7]
	s_and_b64 vcc, s[0:1], vcc
	v_mov_b32_dpp v8, v4 quad_perm:[1,0,3,2] row_mask:0xf bank_mask:0xf bound_ctrl:1
	v_and_b32_e32 v8, 1, v8
	v_cndmask_b32_e32 v6, v6, v1, vcc
	v_cndmask_b32_e32 v7, v7, v2, vcc
	v_cmp_eq_u32_e32 vcc, 1, v8
	v_cndmask_b32_e32 v2, v2, v7, vcc
	v_cndmask_b32_e32 v1, v1, v6, vcc
	v_cndmask_b32_e64 v4, v4, 1, vcc
	v_mov_b32_dpp v7, v2 quad_perm:[2,3,0,1] row_mask:0xf bank_mask:0xf bound_ctrl:1
	v_mov_b32_dpp v6, v1 quad_perm:[2,3,0,1] row_mask:0xf bank_mask:0xf bound_ctrl:1
	v_and_b32_e32 v9, 1, v4
	v_cmp_lt_i64_e64 s[0:1], v[1:2], v[6:7]
	v_mov_b32_dpp v8, v4 quad_perm:[2,3,0,1] row_mask:0xf bank_mask:0xf bound_ctrl:1
	v_cmp_eq_u32_e32 vcc, 1, v9
	v_and_b32_e32 v8, 1, v8
	s_and_b64 vcc, vcc, s[0:1]
	v_cmp_eq_u32_e64 s[2:3], 1, v8
	v_cndmask_b32_e32 v6, v6, v1, vcc
	v_cndmask_b32_e32 v7, v7, v2, vcc
	v_cndmask_b32_e64 v1, v1, v6, s[2:3]
	v_cndmask_b32_e64 v2, v2, v7, s[2:3]
	;; [unrolled: 1-line block ×3, first 2 shown]
	v_mov_b32_dpp v6, v1 row_ror:4 row_mask:0xf bank_mask:0xf bound_ctrl:1
	v_mov_b32_dpp v7, v2 row_ror:4 row_mask:0xf bank_mask:0xf bound_ctrl:1
	v_and_b32_e32 v9, 1, v4
	v_cmp_lt_i64_e64 s[2:3], v[1:2], v[6:7]
	v_mov_b32_dpp v8, v4 row_ror:4 row_mask:0xf bank_mask:0xf bound_ctrl:1
	v_cmp_eq_u32_e32 vcc, 1, v9
	v_and_b32_e32 v8, 1, v8
	s_and_b64 vcc, vcc, s[2:3]
	v_cmp_eq_u32_e64 s[0:1], 1, v8
	v_cndmask_b32_e32 v6, v6, v1, vcc
	v_cndmask_b32_e32 v7, v7, v2, vcc
	v_cndmask_b32_e64 v1, v1, v6, s[0:1]
	v_cndmask_b32_e64 v2, v2, v7, s[0:1]
	v_cndmask_b32_e64 v4, v4, 1, s[0:1]
	v_mov_b32_dpp v6, v1 row_ror:8 row_mask:0xf bank_mask:0xf bound_ctrl:1
	v_mov_b32_dpp v7, v2 row_ror:8 row_mask:0xf bank_mask:0xf bound_ctrl:1
	v_and_b32_e32 v9, 1, v4
	v_cmp_lt_i64_e64 s[2:3], v[1:2], v[6:7]
	v_mov_b32_dpp v8, v4 row_ror:8 row_mask:0xf bank_mask:0xf bound_ctrl:1
	v_cmp_eq_u32_e64 s[8:9], 1, v9
	v_and_b32_e32 v8, 1, v8
	s_and_b64 s[2:3], s[8:9], s[2:3]
	v_cmp_eq_u32_e64 s[10:11], 1, v8
	v_cndmask_b32_e64 v6, v6, v1, s[2:3]
	v_cndmask_b32_e64 v7, v7, v2, s[2:3]
	;; [unrolled: 1-line block ×5, first 2 shown]
	v_mov_b32_dpp v8, v4 row_bcast:15 row_mask:0xf bank_mask:0xf bound_ctrl:1
	v_mov_b32_dpp v6, v1 row_bcast:15 row_mask:0xf bank_mask:0xf bound_ctrl:1
	;; [unrolled: 1-line block ×3, first 2 shown]
	v_and_b32_e32 v9, 1, v4
	v_and_b32_e32 v8, 1, v8
	v_cmp_lt_i64_e64 s[2:3], v[1:2], v[6:7]
	v_cmp_eq_u32_e32 vcc, 1, v9
	v_cmp_eq_u32_e64 s[0:1], 1, v8
	v_cndmask_b32_e64 v4, v4, 1, s[0:1]
	s_and_b64 vcc, vcc, s[2:3]
	v_cndmask_b32_e32 v6, v6, v1, vcc
	v_mov_b32_dpp v8, v4 row_bcast:31 row_mask:0xf bank_mask:0xf bound_ctrl:1
	v_cndmask_b32_e32 v7, v7, v2, vcc
	v_and_b32_e32 v9, 1, v4
	v_and_b32_e32 v8, 1, v8
	v_cndmask_b32_e64 v1, v1, v6, s[0:1]
	v_cndmask_b32_e64 v2, v2, v7, s[0:1]
	v_cmp_eq_u32_e64 s[12:13], 1, v9
	v_cmp_eq_u32_e64 s[8:9], 1, v8
	v_mov_b32_dpp v8, v1 row_bcast:31 row_mask:0xf bank_mask:0xf bound_ctrl:1
	v_mov_b32_dpp v9, v2 row_bcast:31 row_mask:0xf bank_mask:0xf bound_ctrl:1
	v_cmp_lt_i64_e32 vcc, v[1:2], v[8:9]
	v_cndmask_b32_e64 v4, v4, 1, s[8:9]
	s_and_b64 vcc, s[12:13], vcc
	ds_bpermute_b32 v7, v10, v4
	v_cndmask_b32_e32 v4, v8, v1, vcc
	v_cndmask_b32_e32 v6, v9, v2, vcc
	v_cndmask_b32_e64 v1, v1, v4, s[8:9]
	v_cndmask_b32_e64 v2, v2, v6, s[8:9]
	ds_bpermute_b32 v1, v10, v1
	ds_bpermute_b32 v2, v10, v2
	v_cmp_eq_u32_e32 vcc, 0, v3
	s_and_saveexec_b64 s[0:1], vcc
	s_cbranch_execz .LBB67_224
; %bb.223:
	v_lshrrev_b32_e32 v4, 2, v0
	v_and_b32_e32 v4, 16, v4
	s_waitcnt lgkmcnt(2)
	ds_write_b8 v4, v7 offset:32
	s_waitcnt lgkmcnt(1)
	ds_write_b64 v4, v[1:2] offset:40
.LBB67_224:
	s_or_b64 exec, exec, s[0:1]
	v_cmp_gt_u32_e32 vcc, 64, v0
	s_waitcnt lgkmcnt(0)
	s_barrier
	s_and_saveexec_b64 s[0:1], vcc
	s_cbranch_execz .LBB67_230
; %bb.225:
	v_and_b32_e32 v1, 1, v3
	v_lshlrev_b32_e32 v1, 4, v1
	ds_read_u8 v8, v1 offset:32
	ds_read_b64 v[3:4], v1 offset:40
	v_or_b32_e32 v2, 4, v5
	s_waitcnt lgkmcnt(1)
	v_and_b32_e32 v1, 0xff, v8
	ds_bpermute_b32 v9, v2, v1
	s_waitcnt lgkmcnt(1)
	ds_bpermute_b32 v5, v2, v3
	ds_bpermute_b32 v6, v2, v4
	s_waitcnt lgkmcnt(2)
	v_and_b32_e32 v1, v8, v9
	v_and_b32_e32 v1, 1, v1
	v_cmp_eq_u32_e32 vcc, 1, v1
                                        ; implicit-def: $vgpr1_vgpr2
	s_and_saveexec_b64 s[2:3], vcc
	s_xor_b64 s[2:3], exec, s[2:3]
	s_cbranch_execz .LBB67_227
; %bb.226:
	s_waitcnt lgkmcnt(0)
	v_cmp_lt_i64_e32 vcc, v[5:6], v[3:4]
                                        ; implicit-def: $vgpr8
                                        ; implicit-def: $vgpr9
	v_cndmask_b32_e32 v2, v4, v6, vcc
	v_cndmask_b32_e32 v1, v3, v5, vcc
                                        ; implicit-def: $vgpr5_vgpr6
                                        ; implicit-def: $vgpr3_vgpr4
.LBB67_227:
	s_or_saveexec_b64 s[2:3], s[2:3]
	v_mov_b32_e32 v7, 1
	s_xor_b64 exec, exec, s[2:3]
	s_cbranch_execz .LBB67_229
; %bb.228:
	v_and_b32_e32 v1, 1, v8
	v_cmp_eq_u32_e32 vcc, 1, v1
	s_waitcnt lgkmcnt(0)
	v_cndmask_b32_e32 v2, v6, v4, vcc
	v_cndmask_b32_e32 v1, v5, v3, vcc
	v_cndmask_b32_e64 v7, v9, 1, vcc
.LBB67_229:
	s_or_b64 exec, exec, s[2:3]
.LBB67_230:
	s_or_b64 exec, exec, s[0:1]
	s_branch .LBB67_285
.LBB67_231:
                                        ; implicit-def: $vgpr3_vgpr4
                                        ; implicit-def: $vgpr5
                                        ; implicit-def: $vgpr1_vgpr2
	s_cbranch_execnz .LBB67_290
	s_branch .LBB67_306
.LBB67_232:
                                        ; implicit-def: $vgpr3_vgpr4
                                        ; implicit-def: $vgpr5
                                        ; implicit-def: $vgpr1_vgpr2
	s_branch .LBB67_306
.LBB67_233:
                                        ; implicit-def: $vgpr1_vgpr2
                                        ; implicit-def: $vgpr7
	s_cbranch_execz .LBB67_285
; %bb.234:
	s_sub_i32 s10, s22, s28
	s_waitcnt lgkmcnt(0)
	v_mov_b32_e32 v3, 0
	v_mov_b32_e32 v1, 0
	v_cmp_gt_u32_e32 vcc, s10, v0
	v_mov_b32_e32 v5, 0
	v_mov_b32_e32 v4, 0
	v_mov_b32_e32 v2, 0
	v_mov_b32_e32 v6, 0
	s_and_saveexec_b64 s[0:1], vcc
	s_cbranch_execz .LBB67_236
; %bb.235:
	global_load_ubyte v6, v0, s[16:17]
	v_mov_b32_e32 v2, s27
	v_add_co_u32_e32 v1, vcc, s26, v0
	v_addc_co_u32_e32 v2, vcc, 0, v2, vcc
	s_and_b32 s2, s34, 0xff
	s_waitcnt vmcnt(0)
	v_cmp_ne_u16_e32 vcc, 0, v6
	v_cndmask_b32_e64 v6, 0, 1, vcc
	v_cmp_eq_u16_e32 vcc, s2, v6
	v_cndmask_b32_e64 v6, 0, 1, vcc
.LBB67_236:
	s_or_b64 exec, exec, s[0:1]
	v_or_b32_e32 v7, 0x80, v0
	v_cmp_gt_u32_e32 vcc, s10, v7
	s_and_saveexec_b64 s[2:3], vcc
	s_cbranch_execz .LBB67_238
; %bb.237:
	global_load_ubyte v5, v0, s[16:17] offset:128
	v_mov_b32_e32 v4, s27
	v_add_co_u32_e64 v3, s[0:1], s26, v7
	v_addc_co_u32_e64 v4, s[0:1], 0, v4, s[0:1]
	s_and_b32 s8, s34, 0xff
	s_waitcnt vmcnt(0)
	v_cmp_ne_u16_e64 s[0:1], 0, v5
	v_cndmask_b32_e64 v5, 0, 1, s[0:1]
	v_cmp_eq_u16_e64 s[0:1], s8, v5
	v_cndmask_b32_e64 v5, 0, 1, s[0:1]
.LBB67_238:
	s_or_b64 exec, exec, s[2:3]
	v_and_b32_e32 v8, 0xffff, v5
	v_and_b32_e32 v5, 1, v5
	v_cmp_lt_i64_e64 s[2:3], v[3:4], v[1:2]
	v_cmp_eq_u32_e64 s[0:1], 1, v5
	v_and_b32_e32 v5, 1, v6
	v_cmp_eq_u32_e64 s[8:9], 1, v5
	s_and_b64 s[0:1], s[0:1], s[2:3]
	v_cndmask_b32_e64 v5, v8, 1, s[8:9]
	v_cndmask_b32_e64 v8, v1, v3, s[0:1]
	;; [unrolled: 1-line block ×3, first 2 shown]
	v_and_b32_e32 v7, 0xffff, v6
	v_cndmask_b32_e32 v1, v1, v3, vcc
	v_mbcnt_lo_u32_b32 v3, -1, 0
	v_cndmask_b32_e64 v6, v2, v4, s[0:1]
	v_cndmask_b32_e32 v7, v7, v5, vcc
	v_mbcnt_hi_u32_b32 v5, -1, v3
	v_cndmask_b32_e64 v4, v4, v6, s[8:9]
	v_and_b32_e32 v6, 63, v5
	v_cndmask_b32_e32 v2, v2, v4, vcc
	v_cmp_ne_u32_e32 vcc, 63, v6
	v_addc_co_u32_e32 v3, vcc, 0, v5, vcc
	v_lshlrev_b32_e32 v4, 2, v3
	ds_bpermute_b32 v9, v4, v7
	ds_bpermute_b32 v3, v4, v1
	;; [unrolled: 1-line block ×3, first 2 shown]
	s_min_u32 s8, s10, 0x80
	v_and_b32_e32 v8, 64, v0
	v_sub_u32_e64 v8, s8, v8 clamp
	v_add_u32_e32 v10, 1, v6
	v_cmp_lt_u32_e32 vcc, v10, v8
	s_and_saveexec_b64 s[0:1], vcc
	s_cbranch_execz .LBB67_244
; %bb.239:
	s_waitcnt lgkmcnt(2)
	v_and_b32_e32 v10, v9, v7
	v_cmp_ne_u32_e32 vcc, 0, v10
	s_and_saveexec_b64 s[2:3], vcc
	s_xor_b64 s[2:3], exec, s[2:3]
	s_cbranch_execz .LBB67_241
; %bb.240:
	s_waitcnt lgkmcnt(0)
	v_cmp_lt_i64_e32 vcc, v[3:4], v[1:2]
                                        ; implicit-def: $vgpr7
                                        ; implicit-def: $vgpr9
	v_cndmask_b32_e32 v2, v2, v4, vcc
	v_cndmask_b32_e32 v1, v1, v3, vcc
                                        ; implicit-def: $vgpr3_vgpr4
.LBB67_241:
	s_or_saveexec_b64 s[2:3], s[2:3]
	v_mov_b32_e32 v10, 1
	s_xor_b64 exec, exec, s[2:3]
	s_cbranch_execz .LBB67_243
; %bb.242:
	v_and_b32_e32 v7, 1, v7
	v_cmp_eq_u32_e32 vcc, 1, v7
	s_waitcnt lgkmcnt(1)
	v_cndmask_b32_e32 v1, v3, v1, vcc
	v_and_b32_e32 v3, 0xff, v9
	s_waitcnt lgkmcnt(0)
	v_cndmask_b32_e32 v2, v4, v2, vcc
	v_cndmask_b32_e64 v10, v3, 1, vcc
.LBB67_243:
	s_or_b64 exec, exec, s[2:3]
	v_mov_b32_e32 v7, v10
.LBB67_244:
	s_or_b64 exec, exec, s[0:1]
	v_cmp_gt_u32_e32 vcc, 62, v6
	s_waitcnt lgkmcnt(1)
	v_cndmask_b32_e64 v3, 0, 2, vcc
	s_waitcnt lgkmcnt(0)
	v_add_lshl_u32 v4, v3, v5, 2
	ds_bpermute_b32 v9, v4, v7
	ds_bpermute_b32 v3, v4, v1
	ds_bpermute_b32 v4, v4, v2
	v_add_u32_e32 v10, 2, v6
	v_cmp_lt_u32_e32 vcc, v10, v8
	s_and_saveexec_b64 s[0:1], vcc
	s_cbranch_execz .LBB67_250
; %bb.245:
	s_waitcnt lgkmcnt(2)
	v_and_b32_e32 v10, v7, v9
	v_and_b32_e32 v10, 1, v10
	v_cmp_eq_u32_e32 vcc, 1, v10
	s_and_saveexec_b64 s[2:3], vcc
	s_xor_b64 s[2:3], exec, s[2:3]
	s_cbranch_execz .LBB67_247
; %bb.246:
	s_waitcnt lgkmcnt(0)
	v_cmp_lt_i64_e32 vcc, v[3:4], v[1:2]
                                        ; implicit-def: $vgpr7
                                        ; implicit-def: $vgpr9
	v_cndmask_b32_e32 v2, v2, v4, vcc
	v_cndmask_b32_e32 v1, v1, v3, vcc
                                        ; implicit-def: $vgpr3_vgpr4
.LBB67_247:
	s_or_saveexec_b64 s[2:3], s[2:3]
	v_mov_b32_e32 v10, 1
	s_xor_b64 exec, exec, s[2:3]
	s_cbranch_execz .LBB67_249
; %bb.248:
	v_and_b32_e32 v7, 1, v7
	v_cmp_eq_u32_e32 vcc, 1, v7
	s_waitcnt lgkmcnt(1)
	v_cndmask_b32_e32 v1, v3, v1, vcc
	v_and_b32_e32 v3, 0xff, v9
	s_waitcnt lgkmcnt(0)
	v_cndmask_b32_e32 v2, v4, v2, vcc
	v_cndmask_b32_e64 v10, v3, 1, vcc
.LBB67_249:
	s_or_b64 exec, exec, s[2:3]
	v_mov_b32_e32 v7, v10
.LBB67_250:
	s_or_b64 exec, exec, s[0:1]
	v_cmp_gt_u32_e32 vcc, 60, v6
	s_waitcnt lgkmcnt(1)
	v_cndmask_b32_e64 v3, 0, 4, vcc
	s_waitcnt lgkmcnt(0)
	v_add_lshl_u32 v4, v3, v5, 2
	ds_bpermute_b32 v9, v4, v7
	ds_bpermute_b32 v3, v4, v1
	ds_bpermute_b32 v4, v4, v2
	v_add_u32_e32 v10, 4, v6
	v_cmp_lt_u32_e32 vcc, v10, v8
	s_and_saveexec_b64 s[0:1], vcc
	s_cbranch_execz .LBB67_256
; %bb.251:
	s_waitcnt lgkmcnt(2)
	v_and_b32_e32 v10, v7, v9
	v_and_b32_e32 v10, 1, v10
	v_cmp_eq_u32_e32 vcc, 1, v10
	s_and_saveexec_b64 s[2:3], vcc
	s_xor_b64 s[2:3], exec, s[2:3]
	s_cbranch_execz .LBB67_253
; %bb.252:
	s_waitcnt lgkmcnt(0)
	v_cmp_lt_i64_e32 vcc, v[3:4], v[1:2]
                                        ; implicit-def: $vgpr7
                                        ; implicit-def: $vgpr9
	v_cndmask_b32_e32 v2, v2, v4, vcc
	v_cndmask_b32_e32 v1, v1, v3, vcc
                                        ; implicit-def: $vgpr3_vgpr4
.LBB67_253:
	s_or_saveexec_b64 s[2:3], s[2:3]
	v_mov_b32_e32 v10, 1
	s_xor_b64 exec, exec, s[2:3]
	s_cbranch_execz .LBB67_255
; %bb.254:
	v_and_b32_e32 v7, 1, v7
	v_cmp_eq_u32_e32 vcc, 1, v7
	s_waitcnt lgkmcnt(1)
	v_cndmask_b32_e32 v1, v3, v1, vcc
	v_and_b32_e32 v3, 0xff, v9
	s_waitcnt lgkmcnt(0)
	v_cndmask_b32_e32 v2, v4, v2, vcc
	v_cndmask_b32_e64 v10, v3, 1, vcc
.LBB67_255:
	s_or_b64 exec, exec, s[2:3]
	v_mov_b32_e32 v7, v10
.LBB67_256:
	s_or_b64 exec, exec, s[0:1]
	v_cmp_gt_u32_e32 vcc, 56, v6
	s_waitcnt lgkmcnt(1)
	v_cndmask_b32_e64 v3, 0, 8, vcc
	s_waitcnt lgkmcnt(0)
	v_add_lshl_u32 v4, v3, v5, 2
	ds_bpermute_b32 v9, v4, v7
	ds_bpermute_b32 v3, v4, v1
	ds_bpermute_b32 v4, v4, v2
	v_add_u32_e32 v10, 8, v6
	v_cmp_lt_u32_e32 vcc, v10, v8
	s_and_saveexec_b64 s[0:1], vcc
	s_cbranch_execz .LBB67_262
; %bb.257:
	s_waitcnt lgkmcnt(2)
	v_and_b32_e32 v10, v7, v9
	v_and_b32_e32 v10, 1, v10
	v_cmp_eq_u32_e32 vcc, 1, v10
	s_and_saveexec_b64 s[2:3], vcc
	s_xor_b64 s[2:3], exec, s[2:3]
	s_cbranch_execz .LBB67_259
; %bb.258:
	s_waitcnt lgkmcnt(0)
	v_cmp_lt_i64_e32 vcc, v[3:4], v[1:2]
                                        ; implicit-def: $vgpr7
                                        ; implicit-def: $vgpr9
	v_cndmask_b32_e32 v2, v2, v4, vcc
	v_cndmask_b32_e32 v1, v1, v3, vcc
                                        ; implicit-def: $vgpr3_vgpr4
.LBB67_259:
	s_or_saveexec_b64 s[2:3], s[2:3]
	v_mov_b32_e32 v10, 1
	s_xor_b64 exec, exec, s[2:3]
	s_cbranch_execz .LBB67_261
; %bb.260:
	v_and_b32_e32 v7, 1, v7
	v_cmp_eq_u32_e32 vcc, 1, v7
	s_waitcnt lgkmcnt(1)
	v_cndmask_b32_e32 v1, v3, v1, vcc
	v_and_b32_e32 v3, 0xff, v9
	s_waitcnt lgkmcnt(0)
	v_cndmask_b32_e32 v2, v4, v2, vcc
	v_cndmask_b32_e64 v10, v3, 1, vcc
.LBB67_261:
	s_or_b64 exec, exec, s[2:3]
	v_mov_b32_e32 v7, v10
.LBB67_262:
	s_or_b64 exec, exec, s[0:1]
	v_cmp_gt_u32_e32 vcc, 48, v6
	s_waitcnt lgkmcnt(1)
	v_cndmask_b32_e64 v3, 0, 16, vcc
	s_waitcnt lgkmcnt(0)
	v_add_lshl_u32 v4, v3, v5, 2
	ds_bpermute_b32 v9, v4, v7
	ds_bpermute_b32 v3, v4, v1
	ds_bpermute_b32 v4, v4, v2
	v_add_u32_e32 v10, 16, v6
	v_cmp_lt_u32_e32 vcc, v10, v8
	s_and_saveexec_b64 s[0:1], vcc
	s_cbranch_execz .LBB67_268
; %bb.263:
	s_waitcnt lgkmcnt(2)
	v_and_b32_e32 v10, v7, v9
	v_and_b32_e32 v10, 1, v10
	v_cmp_eq_u32_e32 vcc, 1, v10
	s_and_saveexec_b64 s[2:3], vcc
	s_xor_b64 s[2:3], exec, s[2:3]
	s_cbranch_execz .LBB67_265
; %bb.264:
	s_waitcnt lgkmcnt(0)
	v_cmp_lt_i64_e32 vcc, v[3:4], v[1:2]
                                        ; implicit-def: $vgpr7
                                        ; implicit-def: $vgpr9
	v_cndmask_b32_e32 v2, v2, v4, vcc
	v_cndmask_b32_e32 v1, v1, v3, vcc
                                        ; implicit-def: $vgpr3_vgpr4
.LBB67_265:
	s_or_saveexec_b64 s[2:3], s[2:3]
	v_mov_b32_e32 v10, 1
	s_xor_b64 exec, exec, s[2:3]
	s_cbranch_execz .LBB67_267
; %bb.266:
	v_and_b32_e32 v7, 1, v7
	v_cmp_eq_u32_e32 vcc, 1, v7
	s_waitcnt lgkmcnt(1)
	v_cndmask_b32_e32 v1, v3, v1, vcc
	v_and_b32_e32 v3, 0xff, v9
	s_waitcnt lgkmcnt(0)
	v_cndmask_b32_e32 v2, v4, v2, vcc
	v_cndmask_b32_e64 v10, v3, 1, vcc
.LBB67_267:
	s_or_b64 exec, exec, s[2:3]
	v_mov_b32_e32 v7, v10
.LBB67_268:
	s_or_b64 exec, exec, s[0:1]
	s_waitcnt lgkmcnt(2)
	v_lshlrev_b32_e32 v9, 2, v5
	s_waitcnt lgkmcnt(0)
	v_or_b32_e32 v4, 0x80, v9
	ds_bpermute_b32 v10, v4, v7
	ds_bpermute_b32 v3, v4, v1
	;; [unrolled: 1-line block ×3, first 2 shown]
	v_add_u32_e32 v6, 32, v6
	v_cmp_lt_u32_e32 vcc, v6, v8
	v_mov_b32_e32 v6, v7
	s_and_saveexec_b64 s[0:1], vcc
	s_cbranch_execz .LBB67_274
; %bb.269:
	s_waitcnt lgkmcnt(2)
	v_and_b32_e32 v6, v7, v10
	v_and_b32_e32 v6, 1, v6
	v_cmp_eq_u32_e32 vcc, 1, v6
	s_and_saveexec_b64 s[2:3], vcc
	s_xor_b64 s[2:3], exec, s[2:3]
	s_cbranch_execz .LBB67_271
; %bb.270:
	s_waitcnt lgkmcnt(0)
	v_cmp_lt_i64_e32 vcc, v[3:4], v[1:2]
                                        ; implicit-def: $vgpr7
                                        ; implicit-def: $vgpr10
	v_cndmask_b32_e32 v2, v2, v4, vcc
	v_cndmask_b32_e32 v1, v1, v3, vcc
                                        ; implicit-def: $vgpr3_vgpr4
.LBB67_271:
	s_or_saveexec_b64 s[2:3], s[2:3]
	v_mov_b32_e32 v6, 1
	s_xor_b64 exec, exec, s[2:3]
	s_cbranch_execz .LBB67_273
; %bb.272:
	v_and_b32_e32 v6, 1, v7
	v_cmp_eq_u32_e32 vcc, 1, v6
	v_cndmask_b32_e64 v6, v10, 1, vcc
	s_waitcnt lgkmcnt(0)
	v_cndmask_b32_e32 v2, v4, v2, vcc
	v_cndmask_b32_e32 v1, v3, v1, vcc
.LBB67_273:
	s_or_b64 exec, exec, s[2:3]
	v_and_b32_e32 v7, 0xff, v6
.LBB67_274:
	s_or_b64 exec, exec, s[0:1]
	v_cmp_eq_u32_e32 vcc, 0, v5
	s_and_saveexec_b64 s[0:1], vcc
	s_cbranch_execz .LBB67_276
; %bb.275:
	s_waitcnt lgkmcnt(1)
	v_lshrrev_b32_e32 v3, 2, v0
	v_and_b32_e32 v3, 16, v3
	ds_write_b8 v3, v6 offset:128
	ds_write_b64 v3, v[1:2] offset:136
.LBB67_276:
	s_or_b64 exec, exec, s[0:1]
	v_cmp_gt_u32_e32 vcc, 2, v0
	s_waitcnt lgkmcnt(0)
	s_barrier
	s_and_saveexec_b64 s[0:1], vcc
	s_cbranch_execz .LBB67_284
; %bb.277:
	v_lshlrev_b32_e32 v1, 4, v5
	ds_read_u8 v6, v1 offset:128
	ds_read_b64 v[1:2], v1 offset:136
	v_or_b32_e32 v4, 4, v9
	s_add_i32 s8, s8, 63
	v_and_b32_e32 v5, 1, v5
	s_waitcnt lgkmcnt(1)
	v_and_b32_e32 v7, 0xff, v6
	s_waitcnt lgkmcnt(0)
	ds_bpermute_b32 v3, v4, v1
	ds_bpermute_b32 v8, v4, v7
	;; [unrolled: 1-line block ×3, first 2 shown]
	s_lshr_b32 s2, s8, 6
	v_add_u32_e32 v5, 1, v5
	v_cmp_gt_u32_e32 vcc, s2, v5
	s_and_saveexec_b64 s[2:3], vcc
	s_cbranch_execz .LBB67_283
; %bb.278:
	s_waitcnt lgkmcnt(1)
	v_and_b32_e32 v5, v7, v8
	v_and_b32_e32 v5, 1, v5
	v_cmp_eq_u32_e32 vcc, 1, v5
	s_and_saveexec_b64 s[8:9], vcc
	s_xor_b64 s[8:9], exec, s[8:9]
	s_cbranch_execz .LBB67_280
; %bb.279:
	s_waitcnt lgkmcnt(0)
	v_cmp_lt_i64_e32 vcc, v[3:4], v[1:2]
                                        ; implicit-def: $vgpr6
                                        ; implicit-def: $vgpr8
	v_cndmask_b32_e32 v2, v2, v4, vcc
	v_cndmask_b32_e32 v1, v1, v3, vcc
                                        ; implicit-def: $vgpr3_vgpr4
.LBB67_280:
	s_or_saveexec_b64 s[8:9], s[8:9]
	v_mov_b32_e32 v7, 1
	s_xor_b64 exec, exec, s[8:9]
	s_cbranch_execz .LBB67_282
; %bb.281:
	v_and_b32_e32 v5, 1, v6
	v_cmp_eq_u32_e32 vcc, 1, v5
	s_waitcnt lgkmcnt(0)
	v_cndmask_b32_e32 v2, v4, v2, vcc
	v_cndmask_b32_e32 v1, v3, v1, vcc
	v_cndmask_b32_e64 v7, v8, 1, vcc
.LBB67_282:
	s_or_b64 exec, exec, s[8:9]
.LBB67_283:
	s_or_b64 exec, exec, s[2:3]
.LBB67_284:
	s_or_b64 exec, exec, s[0:1]
.LBB67_285:
	v_cmp_eq_u32_e32 vcc, 0, v0
                                        ; implicit-def: $vgpr3_vgpr4
                                        ; implicit-def: $vgpr5
	s_and_saveexec_b64 s[0:1], vcc
	s_xor_b64 s[8:9], exec, s[0:1]
	s_cbranch_execz .LBB67_289
; %bb.286:
	s_waitcnt lgkmcnt(0)
	v_mov_b32_e32 v3, s18
	s_cmp_eq_u64 s[22:23], 0
	v_mov_b32_e32 v4, s19
	v_mov_b32_e32 v5, s33
	s_cbranch_scc1 .LBB67_288
; %bb.287:
	v_and_b32_e32 v3, 1, v7
	v_cmp_gt_i64_e64 s[0:1], s[18:19], v[1:2]
	s_bitcmp1_b32 s33, 0
	v_cmp_eq_u32_e32 vcc, 1, v3
	s_cselect_b64 s[2:3], -1, 0
	v_mov_b32_e32 v3, s18
	s_and_b64 vcc, vcc, s[0:1]
	v_mov_b32_e32 v4, s19
	v_cndmask_b32_e32 v3, v3, v1, vcc
	v_cndmask_b32_e32 v4, v4, v2, vcc
	v_cndmask_b32_e64 v5, v7, 1, s[2:3]
	v_cndmask_b32_e64 v4, v2, v4, s[2:3]
	v_cndmask_b32_e64 v3, v1, v3, s[2:3]
.LBB67_288:
	s_or_b64 s[14:15], s[14:15], exec
.LBB67_289:
	s_or_b64 exec, exec, s[8:9]
	v_mov_b32_e32 v1, s6
	v_mov_b32_e32 v2, s7
	s_branch .LBB67_306
.LBB67_290:
	s_cmp_eq_u32 s35, 1
	s_cbranch_scc0 .LBB67_305
; %bb.291:
	s_lshl_b32 s8, s6, 7
	s_mov_b32 s7, 0
	s_lshr_b64 s[0:1], s[22:23], 7
	s_cmp_lg_u64 s[0:1], s[6:7]
	s_cbranch_scc0 .LBB67_309
; %bb.292:
	s_add_u32 s0, s24, s8
	s_addc_u32 s1, s25, 0
	s_waitcnt lgkmcnt(1)
	global_load_ubyte v5, v0, s[0:1]
	s_add_u32 s0, s20, s8
	s_addc_u32 s1, s21, 0
	v_mov_b32_e32 v2, s1
	v_add_co_u32_e32 v1, vcc, s0, v0
	s_and_b32 s2, s34, 0xff
	v_addc_co_u32_e32 v2, vcc, 0, v2, vcc
	v_mov_b32_dpp v3, v1 quad_perm:[1,0,3,2] row_mask:0xf bank_mask:0xf bound_ctrl:1
	s_waitcnt lgkmcnt(0)
	v_mov_b32_dpp v4, v2 quad_perm:[1,0,3,2] row_mask:0xf bank_mask:0xf bound_ctrl:1
	v_cmp_lt_i64_e32 vcc, v[1:2], v[3:4]
                                        ; implicit-def: $vgpr7
	s_waitcnt vmcnt(0)
	v_cmp_ne_u16_e64 s[0:1], 0, v5
	v_cndmask_b32_e64 v5, 0, 1, s[0:1]
	v_cmp_eq_u16_e64 s[0:1], s2, v5
	v_cndmask_b32_e64 v5, 0, 1, s[0:1]
	s_and_b64 vcc, s[0:1], vcc
	v_cndmask_b32_e32 v3, v3, v1, vcc
	v_mov_b32_dpp v5, v5 quad_perm:[1,0,3,2] row_mask:0xf bank_mask:0xf bound_ctrl:1
	v_and_b32_e32 v5, 1, v5
	v_cndmask_b32_e32 v4, v4, v2, vcc
	v_cmp_eq_u32_e32 vcc, 1, v5
	s_or_b64 s[0:1], vcc, s[0:1]
	v_cndmask_b32_e32 v3, v1, v3, vcc
	v_cndmask_b32_e64 v1, 0, 1, s[0:1]
	v_cndmask_b32_e32 v4, v2, v4, vcc
	v_mov_b32_dpp v5, v3 quad_perm:[2,3,0,1] row_mask:0xf bank_mask:0xf bound_ctrl:1
	v_mov_b32_dpp v1, v1 quad_perm:[2,3,0,1] row_mask:0xf bank_mask:0xf bound_ctrl:1
	v_and_b32_e32 v1, 1, v1
	v_cmp_eq_u32_e32 vcc, 1, v1
	s_and_b64 s[2:3], vcc, s[0:1]
	v_mov_b32_dpp v6, v4 quad_perm:[2,3,0,1] row_mask:0xf bank_mask:0xf bound_ctrl:1
	s_xor_b64 s[2:3], s[2:3], -1
                                        ; implicit-def: $vgpr1_vgpr2
	s_and_saveexec_b64 s[10:11], s[2:3]
	s_xor_b64 s[2:3], exec, s[10:11]
; %bb.293:
	s_or_b64 s[0:1], vcc, s[0:1]
	v_cndmask_b32_e32 v2, v4, v6, vcc
	v_cndmask_b32_e32 v1, v3, v5, vcc
	v_cndmask_b32_e64 v7, 0, 1, s[0:1]
                                        ; implicit-def: $vgpr3_vgpr4
                                        ; implicit-def: $vgpr5_vgpr6
; %bb.294:
	s_andn2_saveexec_b64 s[0:1], s[2:3]
; %bb.295:
	v_cmp_lt_i64_e32 vcc, v[3:4], v[5:6]
	v_mov_b32_e32 v7, 1
	v_cndmask_b32_e32 v2, v6, v4, vcc
	v_cndmask_b32_e32 v1, v5, v3, vcc
; %bb.296:
	s_or_b64 exec, exec, s[0:1]
	s_nop 0
	v_mov_b32_dpp v4, v1 row_ror:4 row_mask:0xf bank_mask:0xf bound_ctrl:1
	v_mov_b32_dpp v5, v2 row_ror:4 row_mask:0xf bank_mask:0xf bound_ctrl:1
	v_and_b32_e32 v8, 1, v7
	v_cmp_lt_i64_e64 s[0:1], v[1:2], v[4:5]
	v_mov_b32_dpp v6, v7 row_ror:4 row_mask:0xf bank_mask:0xf bound_ctrl:1
	v_cmp_eq_u32_e32 vcc, 1, v8
	v_and_b32_e32 v6, 1, v6
	s_and_b64 vcc, vcc, s[0:1]
	v_cmp_eq_u32_e64 s[2:3], 1, v6
	v_cndmask_b32_e32 v4, v4, v1, vcc
	v_cndmask_b32_e32 v5, v5, v2, vcc
	v_cndmask_b32_e64 v2, v2, v5, s[2:3]
	v_cndmask_b32_e64 v1, v1, v4, s[2:3]
	;; [unrolled: 1-line block ×3, first 2 shown]
	v_mov_b32_dpp v5, v2 row_ror:8 row_mask:0xf bank_mask:0xf bound_ctrl:1
	v_mov_b32_dpp v4, v1 row_ror:8 row_mask:0xf bank_mask:0xf bound_ctrl:1
	v_and_b32_e32 v8, 1, v6
	v_cmp_lt_i64_e64 s[0:1], v[1:2], v[4:5]
	v_mov_b32_dpp v7, v6 row_ror:8 row_mask:0xf bank_mask:0xf bound_ctrl:1
	v_cmp_eq_u32_e32 vcc, 1, v8
	v_and_b32_e32 v7, 1, v7
	s_and_b64 vcc, vcc, s[0:1]
	v_cmp_eq_u32_e64 s[2:3], 1, v7
	v_cndmask_b32_e32 v4, v4, v1, vcc
	v_cndmask_b32_e32 v5, v5, v2, vcc
	v_cndmask_b32_e64 v2, v2, v5, s[2:3]
	v_cndmask_b32_e64 v1, v1, v4, s[2:3]
	;; [unrolled: 1-line block ×3, first 2 shown]
	v_mov_b32_dpp v5, v2 row_bcast:15 row_mask:0xf bank_mask:0xf bound_ctrl:1
	v_mov_b32_dpp v4, v1 row_bcast:15 row_mask:0xf bank_mask:0xf bound_ctrl:1
	v_and_b32_e32 v8, 1, v6
	v_cmp_lt_i64_e64 s[0:1], v[1:2], v[4:5]
	v_mov_b32_dpp v7, v6 row_bcast:15 row_mask:0xf bank_mask:0xf bound_ctrl:1
	v_cmp_eq_u32_e32 vcc, 1, v8
	v_and_b32_e32 v7, 1, v7
	s_and_b64 vcc, vcc, s[0:1]
	v_cmp_eq_u32_e64 s[2:3], 1, v7
	v_cndmask_b32_e32 v4, v4, v1, vcc
	v_cndmask_b32_e32 v5, v5, v2, vcc
	v_cndmask_b32_e64 v2, v2, v5, s[2:3]
	v_cndmask_b32_e64 v1, v1, v4, s[2:3]
	;; [unrolled: 1-line block ×3, first 2 shown]
	v_mov_b32_dpp v5, v2 row_bcast:31 row_mask:0xf bank_mask:0xf bound_ctrl:1
	v_mov_b32_dpp v4, v1 row_bcast:31 row_mask:0xf bank_mask:0xf bound_ctrl:1
	v_and_b32_e32 v8, 1, v6
	v_cmp_lt_i64_e64 s[0:1], v[1:2], v[4:5]
	v_mov_b32_dpp v7, v6 row_bcast:31 row_mask:0xf bank_mask:0xf bound_ctrl:1
	v_cmp_eq_u32_e32 vcc, 1, v8
	v_mbcnt_lo_u32_b32 v3, -1, 0
	v_and_b32_e32 v7, 1, v7
	s_and_b64 vcc, vcc, s[0:1]
	v_mbcnt_hi_u32_b32 v3, -1, v3
	v_cmp_eq_u32_e64 s[2:3], 1, v7
	v_cndmask_b32_e32 v5, v5, v2, vcc
	v_cndmask_b32_e32 v4, v4, v1, vcc
	v_cndmask_b32_e64 v2, v2, v5, s[2:3]
	v_lshlrev_b32_e32 v5, 2, v3
	v_cndmask_b32_e64 v6, v6, 1, s[2:3]
	v_cndmask_b32_e64 v1, v1, v4, s[2:3]
	v_or_b32_e32 v4, 0xfc, v5
	ds_bpermute_b32 v7, v4, v6
	ds_bpermute_b32 v1, v4, v1
	;; [unrolled: 1-line block ×3, first 2 shown]
	v_cmp_eq_u32_e32 vcc, 0, v3
	s_and_saveexec_b64 s[0:1], vcc
	s_cbranch_execz .LBB67_298
; %bb.297:
	v_lshrrev_b32_e32 v4, 2, v0
	v_and_b32_e32 v4, 16, v4
	s_waitcnt lgkmcnt(2)
	ds_write_b8 v4, v7
	s_waitcnt lgkmcnt(1)
	ds_write_b64 v4, v[1:2] offset:8
.LBB67_298:
	s_or_b64 exec, exec, s[0:1]
	v_cmp_gt_u32_e32 vcc, 64, v0
	s_waitcnt lgkmcnt(0)
	s_barrier
	s_and_saveexec_b64 s[0:1], vcc
	s_cbranch_execz .LBB67_304
; %bb.299:
	v_and_b32_e32 v1, 1, v3
	v_lshlrev_b32_e32 v1, 4, v1
	ds_read_u8 v8, v1
	ds_read_b64 v[3:4], v1 offset:8
	v_or_b32_e32 v2, 4, v5
	s_waitcnt lgkmcnt(1)
	v_and_b32_e32 v1, 0xff, v8
	ds_bpermute_b32 v9, v2, v1
	s_waitcnt lgkmcnt(1)
	ds_bpermute_b32 v5, v2, v3
	ds_bpermute_b32 v6, v2, v4
	s_waitcnt lgkmcnt(2)
	v_and_b32_e32 v1, v8, v9
	v_and_b32_e32 v1, 1, v1
	v_cmp_eq_u32_e32 vcc, 1, v1
                                        ; implicit-def: $vgpr1_vgpr2
	s_and_saveexec_b64 s[2:3], vcc
	s_xor_b64 s[2:3], exec, s[2:3]
	s_cbranch_execz .LBB67_301
; %bb.300:
	s_waitcnt lgkmcnt(0)
	v_cmp_lt_i64_e32 vcc, v[5:6], v[3:4]
                                        ; implicit-def: $vgpr8
                                        ; implicit-def: $vgpr9
	v_cndmask_b32_e32 v2, v4, v6, vcc
	v_cndmask_b32_e32 v1, v3, v5, vcc
                                        ; implicit-def: $vgpr5_vgpr6
                                        ; implicit-def: $vgpr3_vgpr4
.LBB67_301:
	s_or_saveexec_b64 s[2:3], s[2:3]
	v_mov_b32_e32 v7, 1
	s_xor_b64 exec, exec, s[2:3]
	s_cbranch_execz .LBB67_303
; %bb.302:
	v_and_b32_e32 v1, 1, v8
	v_cmp_eq_u32_e32 vcc, 1, v1
	s_waitcnt lgkmcnt(0)
	v_cndmask_b32_e32 v2, v6, v4, vcc
	v_cndmask_b32_e32 v1, v5, v3, vcc
	v_cndmask_b32_e64 v7, v9, 1, vcc
.LBB67_303:
	s_or_b64 exec, exec, s[2:3]
.LBB67_304:
	s_or_b64 exec, exec, s[0:1]
	s_branch .LBB67_359
.LBB67_305:
                                        ; implicit-def: $vgpr3_vgpr4
                                        ; implicit-def: $vgpr5
                                        ; implicit-def: $vgpr1_vgpr2
.LBB67_306:
	s_and_saveexec_b64 s[0:1], s[14:15]
	s_cbranch_execz .LBB67_308
.LBB67_307:
	s_load_dwordx2 s[0:1], s[4:5], 0x28
	v_lshlrev_b64 v[0:1], 4, v[1:2]
	s_waitcnt lgkmcnt(0)
	v_mov_b32_e32 v2, s1
	v_add_co_u32_e32 v0, vcc, s0, v0
	v_addc_co_u32_e32 v1, vcc, v2, v1, vcc
	global_store_byte v[0:1], v5, off
	global_store_dwordx2 v[0:1], v[3:4], off offset:8
.LBB67_308:
	s_endpgm
.LBB67_309:
                                        ; implicit-def: $vgpr1_vgpr2
                                        ; implicit-def: $vgpr7
	s_cbranch_execz .LBB67_359
; %bb.310:
	s_sub_i32 s2, s22, s8
	v_mov_b32_e32 v1, 0
	v_cmp_gt_u32_e32 vcc, s2, v0
	v_mov_b32_e32 v2, 0
	v_mov_b32_e32 v9, 0
	s_and_saveexec_b64 s[0:1], vcc
	s_cbranch_execz .LBB67_312
; %bb.311:
	s_add_u32 s10, s24, s8
	s_addc_u32 s11, s25, 0
	s_waitcnt lgkmcnt(2)
	global_load_ubyte v3, v0, s[10:11]
	s_add_u32 s3, s20, s8
	s_addc_u32 s8, s21, 0
	v_mov_b32_e32 v2, s8
	v_add_co_u32_e32 v1, vcc, s3, v0
	v_addc_co_u32_e32 v2, vcc, 0, v2, vcc
	s_and_b32 s9, s34, 0xff
	s_waitcnt vmcnt(0)
	v_cmp_ne_u16_e32 vcc, 0, v3
	v_cndmask_b32_e64 v3, 0, 1, vcc
	v_cmp_eq_u16_e32 vcc, s9, v3
	v_cndmask_b32_e64 v9, 0, 1, vcc
.LBB67_312:
	s_or_b64 exec, exec, s[0:1]
	s_waitcnt lgkmcnt(2)
	v_mbcnt_lo_u32_b32 v3, -1, 0
	s_waitcnt lgkmcnt(1)
	v_mbcnt_hi_u32_b32 v5, -1, v3
	s_waitcnt lgkmcnt(0)
	v_and_b32_e32 v6, 63, v5
	v_cmp_ne_u32_e32 vcc, 63, v6
	v_addc_co_u32_e32 v3, vcc, 0, v5, vcc
	v_and_b32_e32 v7, 0xffff, v9
	v_lshlrev_b32_e32 v4, 2, v3
	ds_bpermute_b32 v10, v4, v7
	ds_bpermute_b32 v3, v4, v1
	;; [unrolled: 1-line block ×3, first 2 shown]
	s_min_u32 s8, s2, 0x80
	v_and_b32_e32 v8, 64, v0
	v_sub_u32_e64 v8, s8, v8 clamp
	v_add_u32_e32 v11, 1, v6
	v_cmp_lt_u32_e32 vcc, v11, v8
	s_and_saveexec_b64 s[0:1], vcc
	s_cbranch_execz .LBB67_318
; %bb.313:
	s_waitcnt lgkmcnt(2)
	v_and_b32_e32 v7, v10, v7
	v_and_b32_e32 v7, 1, v7
	v_cmp_eq_u32_e32 vcc, 1, v7
	s_and_saveexec_b64 s[2:3], vcc
	s_xor_b64 s[2:3], exec, s[2:3]
	s_cbranch_execz .LBB67_315
; %bb.314:
	s_waitcnt lgkmcnt(0)
	v_cmp_lt_i64_e32 vcc, v[3:4], v[1:2]
                                        ; implicit-def: $vgpr9
                                        ; implicit-def: $vgpr10
	v_cndmask_b32_e32 v2, v2, v4, vcc
	v_cndmask_b32_e32 v1, v1, v3, vcc
                                        ; implicit-def: $vgpr3_vgpr4
.LBB67_315:
	s_or_saveexec_b64 s[2:3], s[2:3]
	v_mov_b32_e32 v7, 1
	s_xor_b64 exec, exec, s[2:3]
	s_cbranch_execz .LBB67_317
; %bb.316:
	v_and_b32_e32 v7, 1, v9
	v_cmp_eq_u32_e32 vcc, 1, v7
	s_waitcnt lgkmcnt(1)
	v_cndmask_b32_e32 v1, v3, v1, vcc
	v_and_b32_e32 v3, 0xff, v10
	s_waitcnt lgkmcnt(0)
	v_cndmask_b32_e32 v2, v4, v2, vcc
	v_cndmask_b32_e64 v7, v3, 1, vcc
.LBB67_317:
	s_or_b64 exec, exec, s[2:3]
.LBB67_318:
	s_or_b64 exec, exec, s[0:1]
	v_cmp_gt_u32_e32 vcc, 62, v6
	s_waitcnt lgkmcnt(1)
	v_cndmask_b32_e64 v3, 0, 2, vcc
	s_waitcnt lgkmcnt(0)
	v_add_lshl_u32 v4, v3, v5, 2
	ds_bpermute_b32 v9, v4, v7
	ds_bpermute_b32 v3, v4, v1
	ds_bpermute_b32 v4, v4, v2
	v_add_u32_e32 v10, 2, v6
	v_cmp_lt_u32_e32 vcc, v10, v8
	s_and_saveexec_b64 s[0:1], vcc
	s_cbranch_execz .LBB67_324
; %bb.319:
	s_waitcnt lgkmcnt(2)
	v_and_b32_e32 v10, v7, v9
	v_and_b32_e32 v10, 1, v10
	v_cmp_eq_u32_e32 vcc, 1, v10
	s_and_saveexec_b64 s[2:3], vcc
	s_xor_b64 s[2:3], exec, s[2:3]
	s_cbranch_execz .LBB67_321
; %bb.320:
	s_waitcnt lgkmcnt(0)
	v_cmp_lt_i64_e32 vcc, v[3:4], v[1:2]
                                        ; implicit-def: $vgpr7
                                        ; implicit-def: $vgpr9
	v_cndmask_b32_e32 v2, v2, v4, vcc
	v_cndmask_b32_e32 v1, v1, v3, vcc
                                        ; implicit-def: $vgpr3_vgpr4
.LBB67_321:
	s_or_saveexec_b64 s[2:3], s[2:3]
	v_mov_b32_e32 v10, 1
	s_xor_b64 exec, exec, s[2:3]
	s_cbranch_execz .LBB67_323
; %bb.322:
	v_and_b32_e32 v7, 1, v7
	v_cmp_eq_u32_e32 vcc, 1, v7
	s_waitcnt lgkmcnt(1)
	v_cndmask_b32_e32 v1, v3, v1, vcc
	v_and_b32_e32 v3, 0xff, v9
	s_waitcnt lgkmcnt(0)
	v_cndmask_b32_e32 v2, v4, v2, vcc
	v_cndmask_b32_e64 v10, v3, 1, vcc
.LBB67_323:
	s_or_b64 exec, exec, s[2:3]
	v_mov_b32_e32 v7, v10
.LBB67_324:
	s_or_b64 exec, exec, s[0:1]
	v_cmp_gt_u32_e32 vcc, 60, v6
	s_waitcnt lgkmcnt(1)
	v_cndmask_b32_e64 v3, 0, 4, vcc
	s_waitcnt lgkmcnt(0)
	v_add_lshl_u32 v4, v3, v5, 2
	ds_bpermute_b32 v9, v4, v7
	ds_bpermute_b32 v3, v4, v1
	ds_bpermute_b32 v4, v4, v2
	v_add_u32_e32 v10, 4, v6
	v_cmp_lt_u32_e32 vcc, v10, v8
	s_and_saveexec_b64 s[0:1], vcc
	s_cbranch_execz .LBB67_330
; %bb.325:
	s_waitcnt lgkmcnt(2)
	v_and_b32_e32 v10, v7, v9
	v_and_b32_e32 v10, 1, v10
	v_cmp_eq_u32_e32 vcc, 1, v10
	s_and_saveexec_b64 s[2:3], vcc
	s_xor_b64 s[2:3], exec, s[2:3]
	s_cbranch_execz .LBB67_327
; %bb.326:
	s_waitcnt lgkmcnt(0)
	v_cmp_lt_i64_e32 vcc, v[3:4], v[1:2]
                                        ; implicit-def: $vgpr7
                                        ; implicit-def: $vgpr9
	v_cndmask_b32_e32 v2, v2, v4, vcc
	v_cndmask_b32_e32 v1, v1, v3, vcc
                                        ; implicit-def: $vgpr3_vgpr4
.LBB67_327:
	s_or_saveexec_b64 s[2:3], s[2:3]
	v_mov_b32_e32 v10, 1
	s_xor_b64 exec, exec, s[2:3]
	s_cbranch_execz .LBB67_329
; %bb.328:
	v_and_b32_e32 v7, 1, v7
	v_cmp_eq_u32_e32 vcc, 1, v7
	s_waitcnt lgkmcnt(1)
	v_cndmask_b32_e32 v1, v3, v1, vcc
	v_and_b32_e32 v3, 0xff, v9
	s_waitcnt lgkmcnt(0)
	v_cndmask_b32_e32 v2, v4, v2, vcc
	v_cndmask_b32_e64 v10, v3, 1, vcc
.LBB67_329:
	s_or_b64 exec, exec, s[2:3]
	v_mov_b32_e32 v7, v10
.LBB67_330:
	;; [unrolled: 47-line block ×4, first 2 shown]
	s_or_b64 exec, exec, s[0:1]
	s_waitcnt lgkmcnt(2)
	v_lshlrev_b32_e32 v9, 2, v5
	s_waitcnt lgkmcnt(0)
	v_or_b32_e32 v4, 0x80, v9
	ds_bpermute_b32 v10, v4, v7
	ds_bpermute_b32 v3, v4, v1
	;; [unrolled: 1-line block ×3, first 2 shown]
	v_add_u32_e32 v6, 32, v6
	v_cmp_lt_u32_e32 vcc, v6, v8
	v_mov_b32_e32 v6, v7
	s_and_saveexec_b64 s[0:1], vcc
	s_cbranch_execz .LBB67_348
; %bb.343:
	s_waitcnt lgkmcnt(2)
	v_and_b32_e32 v6, v7, v10
	v_and_b32_e32 v6, 1, v6
	v_cmp_eq_u32_e32 vcc, 1, v6
	s_and_saveexec_b64 s[2:3], vcc
	s_xor_b64 s[2:3], exec, s[2:3]
	s_cbranch_execz .LBB67_345
; %bb.344:
	s_waitcnt lgkmcnt(0)
	v_cmp_lt_i64_e32 vcc, v[3:4], v[1:2]
                                        ; implicit-def: $vgpr7
                                        ; implicit-def: $vgpr10
	v_cndmask_b32_e32 v2, v2, v4, vcc
	v_cndmask_b32_e32 v1, v1, v3, vcc
                                        ; implicit-def: $vgpr3_vgpr4
.LBB67_345:
	s_or_saveexec_b64 s[2:3], s[2:3]
	v_mov_b32_e32 v6, 1
	s_xor_b64 exec, exec, s[2:3]
	s_cbranch_execz .LBB67_347
; %bb.346:
	v_and_b32_e32 v6, 1, v7
	v_cmp_eq_u32_e32 vcc, 1, v6
	v_cndmask_b32_e64 v6, v10, 1, vcc
	s_waitcnt lgkmcnt(0)
	v_cndmask_b32_e32 v2, v4, v2, vcc
	v_cndmask_b32_e32 v1, v3, v1, vcc
.LBB67_347:
	s_or_b64 exec, exec, s[2:3]
	v_and_b32_e32 v7, 0xff, v6
.LBB67_348:
	s_or_b64 exec, exec, s[0:1]
	v_cmp_eq_u32_e32 vcc, 0, v5
	s_and_saveexec_b64 s[0:1], vcc
	s_cbranch_execz .LBB67_350
; %bb.349:
	s_waitcnt lgkmcnt(1)
	v_lshrrev_b32_e32 v3, 2, v0
	v_and_b32_e32 v3, 16, v3
	ds_write_b8 v3, v6 offset:128
	ds_write_b64 v3, v[1:2] offset:136
.LBB67_350:
	s_or_b64 exec, exec, s[0:1]
	v_cmp_gt_u32_e32 vcc, 2, v0
	s_waitcnt lgkmcnt(0)
	s_barrier
	s_and_saveexec_b64 s[0:1], vcc
	s_cbranch_execz .LBB67_358
; %bb.351:
	v_lshlrev_b32_e32 v1, 4, v5
	ds_read_u8 v6, v1 offset:128
	ds_read_b64 v[1:2], v1 offset:136
	v_or_b32_e32 v4, 4, v9
	s_add_i32 s8, s8, 63
	v_and_b32_e32 v5, 1, v5
	s_waitcnt lgkmcnt(1)
	v_and_b32_e32 v7, 0xff, v6
	s_waitcnt lgkmcnt(0)
	ds_bpermute_b32 v3, v4, v1
	ds_bpermute_b32 v8, v4, v7
	ds_bpermute_b32 v4, v4, v2
	s_lshr_b32 s2, s8, 6
	v_add_u32_e32 v5, 1, v5
	v_cmp_gt_u32_e32 vcc, s2, v5
	s_and_saveexec_b64 s[2:3], vcc
	s_cbranch_execz .LBB67_357
; %bb.352:
	s_waitcnt lgkmcnt(1)
	v_and_b32_e32 v5, v7, v8
	v_and_b32_e32 v5, 1, v5
	v_cmp_eq_u32_e32 vcc, 1, v5
	s_and_saveexec_b64 s[8:9], vcc
	s_xor_b64 s[8:9], exec, s[8:9]
	s_cbranch_execz .LBB67_354
; %bb.353:
	s_waitcnt lgkmcnt(0)
	v_cmp_lt_i64_e32 vcc, v[3:4], v[1:2]
                                        ; implicit-def: $vgpr6
                                        ; implicit-def: $vgpr8
	v_cndmask_b32_e32 v2, v2, v4, vcc
	v_cndmask_b32_e32 v1, v1, v3, vcc
                                        ; implicit-def: $vgpr3_vgpr4
.LBB67_354:
	s_or_saveexec_b64 s[8:9], s[8:9]
	v_mov_b32_e32 v7, 1
	s_xor_b64 exec, exec, s[8:9]
	s_cbranch_execz .LBB67_356
; %bb.355:
	v_and_b32_e32 v5, 1, v6
	v_cmp_eq_u32_e32 vcc, 1, v5
	s_waitcnt lgkmcnt(0)
	v_cndmask_b32_e32 v2, v4, v2, vcc
	v_cndmask_b32_e32 v1, v3, v1, vcc
	v_cndmask_b32_e64 v7, v8, 1, vcc
.LBB67_356:
	s_or_b64 exec, exec, s[8:9]
.LBB67_357:
	s_or_b64 exec, exec, s[2:3]
.LBB67_358:
	s_or_b64 exec, exec, s[0:1]
.LBB67_359:
	v_cmp_eq_u32_e32 vcc, 0, v0
                                        ; implicit-def: $vgpr3_vgpr4
                                        ; implicit-def: $vgpr5
	s_and_saveexec_b64 s[8:9], vcc
	s_cbranch_execz .LBB67_363
; %bb.360:
	s_waitcnt lgkmcnt(0)
	v_mov_b32_e32 v3, s18
	s_cmp_eq_u64 s[22:23], 0
	v_mov_b32_e32 v4, s19
	v_mov_b32_e32 v5, s33
	s_cbranch_scc1 .LBB67_362
; %bb.361:
	v_and_b32_e32 v0, 1, v7
	v_cmp_gt_i64_e64 s[0:1], s[18:19], v[1:2]
	s_bitcmp1_b32 s33, 0
	v_cmp_eq_u32_e32 vcc, 1, v0
	s_cselect_b64 s[2:3], -1, 0
	v_mov_b32_e32 v0, s18
	s_and_b64 vcc, vcc, s[0:1]
	v_mov_b32_e32 v3, s19
	v_cndmask_b32_e32 v0, v0, v1, vcc
	v_cndmask_b32_e32 v3, v3, v2, vcc
	v_cndmask_b32_e64 v5, v7, 1, s[2:3]
	v_cndmask_b32_e64 v4, v2, v3, s[2:3]
	;; [unrolled: 1-line block ×3, first 2 shown]
.LBB67_362:
	s_or_b64 s[14:15], s[14:15], exec
.LBB67_363:
	s_or_b64 exec, exec, s[8:9]
	v_mov_b32_e32 v1, s6
	v_mov_b32_e32 v2, s7
	s_and_saveexec_b64 s[0:1], s[14:15]
	s_cbranch_execnz .LBB67_307
	s_branch .LBB67_308
	.section	.rodata,"a",@progbits
	.p2align	6, 0x0
	.amdhsa_kernel _ZN7rocprim17ROCPRIM_400000_NS6detail17trampoline_kernelINS0_14default_configENS1_22reduce_config_selectorIN6thrust23THRUST_200600_302600_NS5tupleIblNS6_9null_typeES8_S8_S8_S8_S8_S8_S8_EEEEZNS1_11reduce_implILb1ES3_NS6_12zip_iteratorINS7_INS6_11hip_rocprim26transform_input_iterator_tIbPKhN2at6native10EqualsModeEEENSD_19counting_iterator_tIlEES8_S8_S8_S8_S8_S8_S8_S8_EEEEPS9_S9_NSD_9__find_if7functorIS9_EEEE10hipError_tPvRmT1_T2_T3_mT4_P12ihipStream_tbEUlT_E1_NS1_11comp_targetILNS1_3genE2ELNS1_11target_archE906ELNS1_3gpuE6ELNS1_3repE0EEENS1_30default_config_static_selectorELNS0_4arch9wavefront6targetE1EEEvSW_
		.amdhsa_group_segment_fixed_size 160
		.amdhsa_private_segment_fixed_size 0
		.amdhsa_kernarg_size 72
		.amdhsa_user_sgpr_count 6
		.amdhsa_user_sgpr_private_segment_buffer 1
		.amdhsa_user_sgpr_dispatch_ptr 0
		.amdhsa_user_sgpr_queue_ptr 0
		.amdhsa_user_sgpr_kernarg_segment_ptr 1
		.amdhsa_user_sgpr_dispatch_id 0
		.amdhsa_user_sgpr_flat_scratch_init 0
		.amdhsa_user_sgpr_private_segment_size 0
		.amdhsa_uses_dynamic_stack 0
		.amdhsa_system_sgpr_private_segment_wavefront_offset 0
		.amdhsa_system_sgpr_workgroup_id_x 1
		.amdhsa_system_sgpr_workgroup_id_y 0
		.amdhsa_system_sgpr_workgroup_id_z 0
		.amdhsa_system_sgpr_workgroup_info 0
		.amdhsa_system_vgpr_workitem_id 0
		.amdhsa_next_free_vgpr 26
		.amdhsa_next_free_sgpr 39
		.amdhsa_reserve_vcc 1
		.amdhsa_reserve_flat_scratch 0
		.amdhsa_float_round_mode_32 0
		.amdhsa_float_round_mode_16_64 0
		.amdhsa_float_denorm_mode_32 3
		.amdhsa_float_denorm_mode_16_64 3
		.amdhsa_dx10_clamp 1
		.amdhsa_ieee_mode 1
		.amdhsa_fp16_overflow 0
		.amdhsa_exception_fp_ieee_invalid_op 0
		.amdhsa_exception_fp_denorm_src 0
		.amdhsa_exception_fp_ieee_div_zero 0
		.amdhsa_exception_fp_ieee_overflow 0
		.amdhsa_exception_fp_ieee_underflow 0
		.amdhsa_exception_fp_ieee_inexact 0
		.amdhsa_exception_int_div_zero 0
	.end_amdhsa_kernel
	.section	.text._ZN7rocprim17ROCPRIM_400000_NS6detail17trampoline_kernelINS0_14default_configENS1_22reduce_config_selectorIN6thrust23THRUST_200600_302600_NS5tupleIblNS6_9null_typeES8_S8_S8_S8_S8_S8_S8_EEEEZNS1_11reduce_implILb1ES3_NS6_12zip_iteratorINS7_INS6_11hip_rocprim26transform_input_iterator_tIbPKhN2at6native10EqualsModeEEENSD_19counting_iterator_tIlEES8_S8_S8_S8_S8_S8_S8_S8_EEEEPS9_S9_NSD_9__find_if7functorIS9_EEEE10hipError_tPvRmT1_T2_T3_mT4_P12ihipStream_tbEUlT_E1_NS1_11comp_targetILNS1_3genE2ELNS1_11target_archE906ELNS1_3gpuE6ELNS1_3repE0EEENS1_30default_config_static_selectorELNS0_4arch9wavefront6targetE1EEEvSW_,"axG",@progbits,_ZN7rocprim17ROCPRIM_400000_NS6detail17trampoline_kernelINS0_14default_configENS1_22reduce_config_selectorIN6thrust23THRUST_200600_302600_NS5tupleIblNS6_9null_typeES8_S8_S8_S8_S8_S8_S8_EEEEZNS1_11reduce_implILb1ES3_NS6_12zip_iteratorINS7_INS6_11hip_rocprim26transform_input_iterator_tIbPKhN2at6native10EqualsModeEEENSD_19counting_iterator_tIlEES8_S8_S8_S8_S8_S8_S8_S8_EEEEPS9_S9_NSD_9__find_if7functorIS9_EEEE10hipError_tPvRmT1_T2_T3_mT4_P12ihipStream_tbEUlT_E1_NS1_11comp_targetILNS1_3genE2ELNS1_11target_archE906ELNS1_3gpuE6ELNS1_3repE0EEENS1_30default_config_static_selectorELNS0_4arch9wavefront6targetE1EEEvSW_,comdat
.Lfunc_end67:
	.size	_ZN7rocprim17ROCPRIM_400000_NS6detail17trampoline_kernelINS0_14default_configENS1_22reduce_config_selectorIN6thrust23THRUST_200600_302600_NS5tupleIblNS6_9null_typeES8_S8_S8_S8_S8_S8_S8_EEEEZNS1_11reduce_implILb1ES3_NS6_12zip_iteratorINS7_INS6_11hip_rocprim26transform_input_iterator_tIbPKhN2at6native10EqualsModeEEENSD_19counting_iterator_tIlEES8_S8_S8_S8_S8_S8_S8_S8_EEEEPS9_S9_NSD_9__find_if7functorIS9_EEEE10hipError_tPvRmT1_T2_T3_mT4_P12ihipStream_tbEUlT_E1_NS1_11comp_targetILNS1_3genE2ELNS1_11target_archE906ELNS1_3gpuE6ELNS1_3repE0EEENS1_30default_config_static_selectorELNS0_4arch9wavefront6targetE1EEEvSW_, .Lfunc_end67-_ZN7rocprim17ROCPRIM_400000_NS6detail17trampoline_kernelINS0_14default_configENS1_22reduce_config_selectorIN6thrust23THRUST_200600_302600_NS5tupleIblNS6_9null_typeES8_S8_S8_S8_S8_S8_S8_EEEEZNS1_11reduce_implILb1ES3_NS6_12zip_iteratorINS7_INS6_11hip_rocprim26transform_input_iterator_tIbPKhN2at6native10EqualsModeEEENSD_19counting_iterator_tIlEES8_S8_S8_S8_S8_S8_S8_S8_EEEEPS9_S9_NSD_9__find_if7functorIS9_EEEE10hipError_tPvRmT1_T2_T3_mT4_P12ihipStream_tbEUlT_E1_NS1_11comp_targetILNS1_3genE2ELNS1_11target_archE906ELNS1_3gpuE6ELNS1_3repE0EEENS1_30default_config_static_selectorELNS0_4arch9wavefront6targetE1EEEvSW_
                                        ; -- End function
	.set _ZN7rocprim17ROCPRIM_400000_NS6detail17trampoline_kernelINS0_14default_configENS1_22reduce_config_selectorIN6thrust23THRUST_200600_302600_NS5tupleIblNS6_9null_typeES8_S8_S8_S8_S8_S8_S8_EEEEZNS1_11reduce_implILb1ES3_NS6_12zip_iteratorINS7_INS6_11hip_rocprim26transform_input_iterator_tIbPKhN2at6native10EqualsModeEEENSD_19counting_iterator_tIlEES8_S8_S8_S8_S8_S8_S8_S8_EEEEPS9_S9_NSD_9__find_if7functorIS9_EEEE10hipError_tPvRmT1_T2_T3_mT4_P12ihipStream_tbEUlT_E1_NS1_11comp_targetILNS1_3genE2ELNS1_11target_archE906ELNS1_3gpuE6ELNS1_3repE0EEENS1_30default_config_static_selectorELNS0_4arch9wavefront6targetE1EEEvSW_.num_vgpr, 26
	.set _ZN7rocprim17ROCPRIM_400000_NS6detail17trampoline_kernelINS0_14default_configENS1_22reduce_config_selectorIN6thrust23THRUST_200600_302600_NS5tupleIblNS6_9null_typeES8_S8_S8_S8_S8_S8_S8_EEEEZNS1_11reduce_implILb1ES3_NS6_12zip_iteratorINS7_INS6_11hip_rocprim26transform_input_iterator_tIbPKhN2at6native10EqualsModeEEENSD_19counting_iterator_tIlEES8_S8_S8_S8_S8_S8_S8_S8_EEEEPS9_S9_NSD_9__find_if7functorIS9_EEEE10hipError_tPvRmT1_T2_T3_mT4_P12ihipStream_tbEUlT_E1_NS1_11comp_targetILNS1_3genE2ELNS1_11target_archE906ELNS1_3gpuE6ELNS1_3repE0EEENS1_30default_config_static_selectorELNS0_4arch9wavefront6targetE1EEEvSW_.num_agpr, 0
	.set _ZN7rocprim17ROCPRIM_400000_NS6detail17trampoline_kernelINS0_14default_configENS1_22reduce_config_selectorIN6thrust23THRUST_200600_302600_NS5tupleIblNS6_9null_typeES8_S8_S8_S8_S8_S8_S8_EEEEZNS1_11reduce_implILb1ES3_NS6_12zip_iteratorINS7_INS6_11hip_rocprim26transform_input_iterator_tIbPKhN2at6native10EqualsModeEEENSD_19counting_iterator_tIlEES8_S8_S8_S8_S8_S8_S8_S8_EEEEPS9_S9_NSD_9__find_if7functorIS9_EEEE10hipError_tPvRmT1_T2_T3_mT4_P12ihipStream_tbEUlT_E1_NS1_11comp_targetILNS1_3genE2ELNS1_11target_archE906ELNS1_3gpuE6ELNS1_3repE0EEENS1_30default_config_static_selectorELNS0_4arch9wavefront6targetE1EEEvSW_.numbered_sgpr, 39
	.set _ZN7rocprim17ROCPRIM_400000_NS6detail17trampoline_kernelINS0_14default_configENS1_22reduce_config_selectorIN6thrust23THRUST_200600_302600_NS5tupleIblNS6_9null_typeES8_S8_S8_S8_S8_S8_S8_EEEEZNS1_11reduce_implILb1ES3_NS6_12zip_iteratorINS7_INS6_11hip_rocprim26transform_input_iterator_tIbPKhN2at6native10EqualsModeEEENSD_19counting_iterator_tIlEES8_S8_S8_S8_S8_S8_S8_S8_EEEEPS9_S9_NSD_9__find_if7functorIS9_EEEE10hipError_tPvRmT1_T2_T3_mT4_P12ihipStream_tbEUlT_E1_NS1_11comp_targetILNS1_3genE2ELNS1_11target_archE906ELNS1_3gpuE6ELNS1_3repE0EEENS1_30default_config_static_selectorELNS0_4arch9wavefront6targetE1EEEvSW_.num_named_barrier, 0
	.set _ZN7rocprim17ROCPRIM_400000_NS6detail17trampoline_kernelINS0_14default_configENS1_22reduce_config_selectorIN6thrust23THRUST_200600_302600_NS5tupleIblNS6_9null_typeES8_S8_S8_S8_S8_S8_S8_EEEEZNS1_11reduce_implILb1ES3_NS6_12zip_iteratorINS7_INS6_11hip_rocprim26transform_input_iterator_tIbPKhN2at6native10EqualsModeEEENSD_19counting_iterator_tIlEES8_S8_S8_S8_S8_S8_S8_S8_EEEEPS9_S9_NSD_9__find_if7functorIS9_EEEE10hipError_tPvRmT1_T2_T3_mT4_P12ihipStream_tbEUlT_E1_NS1_11comp_targetILNS1_3genE2ELNS1_11target_archE906ELNS1_3gpuE6ELNS1_3repE0EEENS1_30default_config_static_selectorELNS0_4arch9wavefront6targetE1EEEvSW_.private_seg_size, 0
	.set _ZN7rocprim17ROCPRIM_400000_NS6detail17trampoline_kernelINS0_14default_configENS1_22reduce_config_selectorIN6thrust23THRUST_200600_302600_NS5tupleIblNS6_9null_typeES8_S8_S8_S8_S8_S8_S8_EEEEZNS1_11reduce_implILb1ES3_NS6_12zip_iteratorINS7_INS6_11hip_rocprim26transform_input_iterator_tIbPKhN2at6native10EqualsModeEEENSD_19counting_iterator_tIlEES8_S8_S8_S8_S8_S8_S8_S8_EEEEPS9_S9_NSD_9__find_if7functorIS9_EEEE10hipError_tPvRmT1_T2_T3_mT4_P12ihipStream_tbEUlT_E1_NS1_11comp_targetILNS1_3genE2ELNS1_11target_archE906ELNS1_3gpuE6ELNS1_3repE0EEENS1_30default_config_static_selectorELNS0_4arch9wavefront6targetE1EEEvSW_.uses_vcc, 1
	.set _ZN7rocprim17ROCPRIM_400000_NS6detail17trampoline_kernelINS0_14default_configENS1_22reduce_config_selectorIN6thrust23THRUST_200600_302600_NS5tupleIblNS6_9null_typeES8_S8_S8_S8_S8_S8_S8_EEEEZNS1_11reduce_implILb1ES3_NS6_12zip_iteratorINS7_INS6_11hip_rocprim26transform_input_iterator_tIbPKhN2at6native10EqualsModeEEENSD_19counting_iterator_tIlEES8_S8_S8_S8_S8_S8_S8_S8_EEEEPS9_S9_NSD_9__find_if7functorIS9_EEEE10hipError_tPvRmT1_T2_T3_mT4_P12ihipStream_tbEUlT_E1_NS1_11comp_targetILNS1_3genE2ELNS1_11target_archE906ELNS1_3gpuE6ELNS1_3repE0EEENS1_30default_config_static_selectorELNS0_4arch9wavefront6targetE1EEEvSW_.uses_flat_scratch, 0
	.set _ZN7rocprim17ROCPRIM_400000_NS6detail17trampoline_kernelINS0_14default_configENS1_22reduce_config_selectorIN6thrust23THRUST_200600_302600_NS5tupleIblNS6_9null_typeES8_S8_S8_S8_S8_S8_S8_EEEEZNS1_11reduce_implILb1ES3_NS6_12zip_iteratorINS7_INS6_11hip_rocprim26transform_input_iterator_tIbPKhN2at6native10EqualsModeEEENSD_19counting_iterator_tIlEES8_S8_S8_S8_S8_S8_S8_S8_EEEEPS9_S9_NSD_9__find_if7functorIS9_EEEE10hipError_tPvRmT1_T2_T3_mT4_P12ihipStream_tbEUlT_E1_NS1_11comp_targetILNS1_3genE2ELNS1_11target_archE906ELNS1_3gpuE6ELNS1_3repE0EEENS1_30default_config_static_selectorELNS0_4arch9wavefront6targetE1EEEvSW_.has_dyn_sized_stack, 0
	.set _ZN7rocprim17ROCPRIM_400000_NS6detail17trampoline_kernelINS0_14default_configENS1_22reduce_config_selectorIN6thrust23THRUST_200600_302600_NS5tupleIblNS6_9null_typeES8_S8_S8_S8_S8_S8_S8_EEEEZNS1_11reduce_implILb1ES3_NS6_12zip_iteratorINS7_INS6_11hip_rocprim26transform_input_iterator_tIbPKhN2at6native10EqualsModeEEENSD_19counting_iterator_tIlEES8_S8_S8_S8_S8_S8_S8_S8_EEEEPS9_S9_NSD_9__find_if7functorIS9_EEEE10hipError_tPvRmT1_T2_T3_mT4_P12ihipStream_tbEUlT_E1_NS1_11comp_targetILNS1_3genE2ELNS1_11target_archE906ELNS1_3gpuE6ELNS1_3repE0EEENS1_30default_config_static_selectorELNS0_4arch9wavefront6targetE1EEEvSW_.has_recursion, 0
	.set _ZN7rocprim17ROCPRIM_400000_NS6detail17trampoline_kernelINS0_14default_configENS1_22reduce_config_selectorIN6thrust23THRUST_200600_302600_NS5tupleIblNS6_9null_typeES8_S8_S8_S8_S8_S8_S8_EEEEZNS1_11reduce_implILb1ES3_NS6_12zip_iteratorINS7_INS6_11hip_rocprim26transform_input_iterator_tIbPKhN2at6native10EqualsModeEEENSD_19counting_iterator_tIlEES8_S8_S8_S8_S8_S8_S8_S8_EEEEPS9_S9_NSD_9__find_if7functorIS9_EEEE10hipError_tPvRmT1_T2_T3_mT4_P12ihipStream_tbEUlT_E1_NS1_11comp_targetILNS1_3genE2ELNS1_11target_archE906ELNS1_3gpuE6ELNS1_3repE0EEENS1_30default_config_static_selectorELNS0_4arch9wavefront6targetE1EEEvSW_.has_indirect_call, 0
	.section	.AMDGPU.csdata,"",@progbits
; Kernel info:
; codeLenInByte = 13268
; TotalNumSgprs: 43
; NumVgprs: 26
; ScratchSize: 0
; MemoryBound: 0
; FloatMode: 240
; IeeeMode: 1
; LDSByteSize: 160 bytes/workgroup (compile time only)
; SGPRBlocks: 5
; VGPRBlocks: 6
; NumSGPRsForWavesPerEU: 43
; NumVGPRsForWavesPerEU: 26
; Occupancy: 9
; WaveLimiterHint : 1
; COMPUTE_PGM_RSRC2:SCRATCH_EN: 0
; COMPUTE_PGM_RSRC2:USER_SGPR: 6
; COMPUTE_PGM_RSRC2:TRAP_HANDLER: 0
; COMPUTE_PGM_RSRC2:TGID_X_EN: 1
; COMPUTE_PGM_RSRC2:TGID_Y_EN: 0
; COMPUTE_PGM_RSRC2:TGID_Z_EN: 0
; COMPUTE_PGM_RSRC2:TIDIG_COMP_CNT: 0
	.section	.text._ZN7rocprim17ROCPRIM_400000_NS6detail17trampoline_kernelINS0_14default_configENS1_22reduce_config_selectorIN6thrust23THRUST_200600_302600_NS5tupleIblNS6_9null_typeES8_S8_S8_S8_S8_S8_S8_EEEEZNS1_11reduce_implILb1ES3_NS6_12zip_iteratorINS7_INS6_11hip_rocprim26transform_input_iterator_tIbPKhN2at6native10EqualsModeEEENSD_19counting_iterator_tIlEES8_S8_S8_S8_S8_S8_S8_S8_EEEEPS9_S9_NSD_9__find_if7functorIS9_EEEE10hipError_tPvRmT1_T2_T3_mT4_P12ihipStream_tbEUlT_E1_NS1_11comp_targetILNS1_3genE10ELNS1_11target_archE1201ELNS1_3gpuE5ELNS1_3repE0EEENS1_30default_config_static_selectorELNS0_4arch9wavefront6targetE1EEEvSW_,"axG",@progbits,_ZN7rocprim17ROCPRIM_400000_NS6detail17trampoline_kernelINS0_14default_configENS1_22reduce_config_selectorIN6thrust23THRUST_200600_302600_NS5tupleIblNS6_9null_typeES8_S8_S8_S8_S8_S8_S8_EEEEZNS1_11reduce_implILb1ES3_NS6_12zip_iteratorINS7_INS6_11hip_rocprim26transform_input_iterator_tIbPKhN2at6native10EqualsModeEEENSD_19counting_iterator_tIlEES8_S8_S8_S8_S8_S8_S8_S8_EEEEPS9_S9_NSD_9__find_if7functorIS9_EEEE10hipError_tPvRmT1_T2_T3_mT4_P12ihipStream_tbEUlT_E1_NS1_11comp_targetILNS1_3genE10ELNS1_11target_archE1201ELNS1_3gpuE5ELNS1_3repE0EEENS1_30default_config_static_selectorELNS0_4arch9wavefront6targetE1EEEvSW_,comdat
	.protected	_ZN7rocprim17ROCPRIM_400000_NS6detail17trampoline_kernelINS0_14default_configENS1_22reduce_config_selectorIN6thrust23THRUST_200600_302600_NS5tupleIblNS6_9null_typeES8_S8_S8_S8_S8_S8_S8_EEEEZNS1_11reduce_implILb1ES3_NS6_12zip_iteratorINS7_INS6_11hip_rocprim26transform_input_iterator_tIbPKhN2at6native10EqualsModeEEENSD_19counting_iterator_tIlEES8_S8_S8_S8_S8_S8_S8_S8_EEEEPS9_S9_NSD_9__find_if7functorIS9_EEEE10hipError_tPvRmT1_T2_T3_mT4_P12ihipStream_tbEUlT_E1_NS1_11comp_targetILNS1_3genE10ELNS1_11target_archE1201ELNS1_3gpuE5ELNS1_3repE0EEENS1_30default_config_static_selectorELNS0_4arch9wavefront6targetE1EEEvSW_ ; -- Begin function _ZN7rocprim17ROCPRIM_400000_NS6detail17trampoline_kernelINS0_14default_configENS1_22reduce_config_selectorIN6thrust23THRUST_200600_302600_NS5tupleIblNS6_9null_typeES8_S8_S8_S8_S8_S8_S8_EEEEZNS1_11reduce_implILb1ES3_NS6_12zip_iteratorINS7_INS6_11hip_rocprim26transform_input_iterator_tIbPKhN2at6native10EqualsModeEEENSD_19counting_iterator_tIlEES8_S8_S8_S8_S8_S8_S8_S8_EEEEPS9_S9_NSD_9__find_if7functorIS9_EEEE10hipError_tPvRmT1_T2_T3_mT4_P12ihipStream_tbEUlT_E1_NS1_11comp_targetILNS1_3genE10ELNS1_11target_archE1201ELNS1_3gpuE5ELNS1_3repE0EEENS1_30default_config_static_selectorELNS0_4arch9wavefront6targetE1EEEvSW_
	.globl	_ZN7rocprim17ROCPRIM_400000_NS6detail17trampoline_kernelINS0_14default_configENS1_22reduce_config_selectorIN6thrust23THRUST_200600_302600_NS5tupleIblNS6_9null_typeES8_S8_S8_S8_S8_S8_S8_EEEEZNS1_11reduce_implILb1ES3_NS6_12zip_iteratorINS7_INS6_11hip_rocprim26transform_input_iterator_tIbPKhN2at6native10EqualsModeEEENSD_19counting_iterator_tIlEES8_S8_S8_S8_S8_S8_S8_S8_EEEEPS9_S9_NSD_9__find_if7functorIS9_EEEE10hipError_tPvRmT1_T2_T3_mT4_P12ihipStream_tbEUlT_E1_NS1_11comp_targetILNS1_3genE10ELNS1_11target_archE1201ELNS1_3gpuE5ELNS1_3repE0EEENS1_30default_config_static_selectorELNS0_4arch9wavefront6targetE1EEEvSW_
	.p2align	8
	.type	_ZN7rocprim17ROCPRIM_400000_NS6detail17trampoline_kernelINS0_14default_configENS1_22reduce_config_selectorIN6thrust23THRUST_200600_302600_NS5tupleIblNS6_9null_typeES8_S8_S8_S8_S8_S8_S8_EEEEZNS1_11reduce_implILb1ES3_NS6_12zip_iteratorINS7_INS6_11hip_rocprim26transform_input_iterator_tIbPKhN2at6native10EqualsModeEEENSD_19counting_iterator_tIlEES8_S8_S8_S8_S8_S8_S8_S8_EEEEPS9_S9_NSD_9__find_if7functorIS9_EEEE10hipError_tPvRmT1_T2_T3_mT4_P12ihipStream_tbEUlT_E1_NS1_11comp_targetILNS1_3genE10ELNS1_11target_archE1201ELNS1_3gpuE5ELNS1_3repE0EEENS1_30default_config_static_selectorELNS0_4arch9wavefront6targetE1EEEvSW_,@function
_ZN7rocprim17ROCPRIM_400000_NS6detail17trampoline_kernelINS0_14default_configENS1_22reduce_config_selectorIN6thrust23THRUST_200600_302600_NS5tupleIblNS6_9null_typeES8_S8_S8_S8_S8_S8_S8_EEEEZNS1_11reduce_implILb1ES3_NS6_12zip_iteratorINS7_INS6_11hip_rocprim26transform_input_iterator_tIbPKhN2at6native10EqualsModeEEENSD_19counting_iterator_tIlEES8_S8_S8_S8_S8_S8_S8_S8_EEEEPS9_S9_NSD_9__find_if7functorIS9_EEEE10hipError_tPvRmT1_T2_T3_mT4_P12ihipStream_tbEUlT_E1_NS1_11comp_targetILNS1_3genE10ELNS1_11target_archE1201ELNS1_3gpuE5ELNS1_3repE0EEENS1_30default_config_static_selectorELNS0_4arch9wavefront6targetE1EEEvSW_: ; @_ZN7rocprim17ROCPRIM_400000_NS6detail17trampoline_kernelINS0_14default_configENS1_22reduce_config_selectorIN6thrust23THRUST_200600_302600_NS5tupleIblNS6_9null_typeES8_S8_S8_S8_S8_S8_S8_EEEEZNS1_11reduce_implILb1ES3_NS6_12zip_iteratorINS7_INS6_11hip_rocprim26transform_input_iterator_tIbPKhN2at6native10EqualsModeEEENSD_19counting_iterator_tIlEES8_S8_S8_S8_S8_S8_S8_S8_EEEEPS9_S9_NSD_9__find_if7functorIS9_EEEE10hipError_tPvRmT1_T2_T3_mT4_P12ihipStream_tbEUlT_E1_NS1_11comp_targetILNS1_3genE10ELNS1_11target_archE1201ELNS1_3gpuE5ELNS1_3repE0EEENS1_30default_config_static_selectorELNS0_4arch9wavefront6targetE1EEEvSW_
; %bb.0:
	.section	.rodata,"a",@progbits
	.p2align	6, 0x0
	.amdhsa_kernel _ZN7rocprim17ROCPRIM_400000_NS6detail17trampoline_kernelINS0_14default_configENS1_22reduce_config_selectorIN6thrust23THRUST_200600_302600_NS5tupleIblNS6_9null_typeES8_S8_S8_S8_S8_S8_S8_EEEEZNS1_11reduce_implILb1ES3_NS6_12zip_iteratorINS7_INS6_11hip_rocprim26transform_input_iterator_tIbPKhN2at6native10EqualsModeEEENSD_19counting_iterator_tIlEES8_S8_S8_S8_S8_S8_S8_S8_EEEEPS9_S9_NSD_9__find_if7functorIS9_EEEE10hipError_tPvRmT1_T2_T3_mT4_P12ihipStream_tbEUlT_E1_NS1_11comp_targetILNS1_3genE10ELNS1_11target_archE1201ELNS1_3gpuE5ELNS1_3repE0EEENS1_30default_config_static_selectorELNS0_4arch9wavefront6targetE1EEEvSW_
		.amdhsa_group_segment_fixed_size 0
		.amdhsa_private_segment_fixed_size 0
		.amdhsa_kernarg_size 72
		.amdhsa_user_sgpr_count 6
		.amdhsa_user_sgpr_private_segment_buffer 1
		.amdhsa_user_sgpr_dispatch_ptr 0
		.amdhsa_user_sgpr_queue_ptr 0
		.amdhsa_user_sgpr_kernarg_segment_ptr 1
		.amdhsa_user_sgpr_dispatch_id 0
		.amdhsa_user_sgpr_flat_scratch_init 0
		.amdhsa_user_sgpr_private_segment_size 0
		.amdhsa_uses_dynamic_stack 0
		.amdhsa_system_sgpr_private_segment_wavefront_offset 0
		.amdhsa_system_sgpr_workgroup_id_x 1
		.amdhsa_system_sgpr_workgroup_id_y 0
		.amdhsa_system_sgpr_workgroup_id_z 0
		.amdhsa_system_sgpr_workgroup_info 0
		.amdhsa_system_vgpr_workitem_id 0
		.amdhsa_next_free_vgpr 1
		.amdhsa_next_free_sgpr 0
		.amdhsa_reserve_vcc 0
		.amdhsa_reserve_flat_scratch 0
		.amdhsa_float_round_mode_32 0
		.amdhsa_float_round_mode_16_64 0
		.amdhsa_float_denorm_mode_32 3
		.amdhsa_float_denorm_mode_16_64 3
		.amdhsa_dx10_clamp 1
		.amdhsa_ieee_mode 1
		.amdhsa_fp16_overflow 0
		.amdhsa_exception_fp_ieee_invalid_op 0
		.amdhsa_exception_fp_denorm_src 0
		.amdhsa_exception_fp_ieee_div_zero 0
		.amdhsa_exception_fp_ieee_overflow 0
		.amdhsa_exception_fp_ieee_underflow 0
		.amdhsa_exception_fp_ieee_inexact 0
		.amdhsa_exception_int_div_zero 0
	.end_amdhsa_kernel
	.section	.text._ZN7rocprim17ROCPRIM_400000_NS6detail17trampoline_kernelINS0_14default_configENS1_22reduce_config_selectorIN6thrust23THRUST_200600_302600_NS5tupleIblNS6_9null_typeES8_S8_S8_S8_S8_S8_S8_EEEEZNS1_11reduce_implILb1ES3_NS6_12zip_iteratorINS7_INS6_11hip_rocprim26transform_input_iterator_tIbPKhN2at6native10EqualsModeEEENSD_19counting_iterator_tIlEES8_S8_S8_S8_S8_S8_S8_S8_EEEEPS9_S9_NSD_9__find_if7functorIS9_EEEE10hipError_tPvRmT1_T2_T3_mT4_P12ihipStream_tbEUlT_E1_NS1_11comp_targetILNS1_3genE10ELNS1_11target_archE1201ELNS1_3gpuE5ELNS1_3repE0EEENS1_30default_config_static_selectorELNS0_4arch9wavefront6targetE1EEEvSW_,"axG",@progbits,_ZN7rocprim17ROCPRIM_400000_NS6detail17trampoline_kernelINS0_14default_configENS1_22reduce_config_selectorIN6thrust23THRUST_200600_302600_NS5tupleIblNS6_9null_typeES8_S8_S8_S8_S8_S8_S8_EEEEZNS1_11reduce_implILb1ES3_NS6_12zip_iteratorINS7_INS6_11hip_rocprim26transform_input_iterator_tIbPKhN2at6native10EqualsModeEEENSD_19counting_iterator_tIlEES8_S8_S8_S8_S8_S8_S8_S8_EEEEPS9_S9_NSD_9__find_if7functorIS9_EEEE10hipError_tPvRmT1_T2_T3_mT4_P12ihipStream_tbEUlT_E1_NS1_11comp_targetILNS1_3genE10ELNS1_11target_archE1201ELNS1_3gpuE5ELNS1_3repE0EEENS1_30default_config_static_selectorELNS0_4arch9wavefront6targetE1EEEvSW_,comdat
.Lfunc_end68:
	.size	_ZN7rocprim17ROCPRIM_400000_NS6detail17trampoline_kernelINS0_14default_configENS1_22reduce_config_selectorIN6thrust23THRUST_200600_302600_NS5tupleIblNS6_9null_typeES8_S8_S8_S8_S8_S8_S8_EEEEZNS1_11reduce_implILb1ES3_NS6_12zip_iteratorINS7_INS6_11hip_rocprim26transform_input_iterator_tIbPKhN2at6native10EqualsModeEEENSD_19counting_iterator_tIlEES8_S8_S8_S8_S8_S8_S8_S8_EEEEPS9_S9_NSD_9__find_if7functorIS9_EEEE10hipError_tPvRmT1_T2_T3_mT4_P12ihipStream_tbEUlT_E1_NS1_11comp_targetILNS1_3genE10ELNS1_11target_archE1201ELNS1_3gpuE5ELNS1_3repE0EEENS1_30default_config_static_selectorELNS0_4arch9wavefront6targetE1EEEvSW_, .Lfunc_end68-_ZN7rocprim17ROCPRIM_400000_NS6detail17trampoline_kernelINS0_14default_configENS1_22reduce_config_selectorIN6thrust23THRUST_200600_302600_NS5tupleIblNS6_9null_typeES8_S8_S8_S8_S8_S8_S8_EEEEZNS1_11reduce_implILb1ES3_NS6_12zip_iteratorINS7_INS6_11hip_rocprim26transform_input_iterator_tIbPKhN2at6native10EqualsModeEEENSD_19counting_iterator_tIlEES8_S8_S8_S8_S8_S8_S8_S8_EEEEPS9_S9_NSD_9__find_if7functorIS9_EEEE10hipError_tPvRmT1_T2_T3_mT4_P12ihipStream_tbEUlT_E1_NS1_11comp_targetILNS1_3genE10ELNS1_11target_archE1201ELNS1_3gpuE5ELNS1_3repE0EEENS1_30default_config_static_selectorELNS0_4arch9wavefront6targetE1EEEvSW_
                                        ; -- End function
	.set _ZN7rocprim17ROCPRIM_400000_NS6detail17trampoline_kernelINS0_14default_configENS1_22reduce_config_selectorIN6thrust23THRUST_200600_302600_NS5tupleIblNS6_9null_typeES8_S8_S8_S8_S8_S8_S8_EEEEZNS1_11reduce_implILb1ES3_NS6_12zip_iteratorINS7_INS6_11hip_rocprim26transform_input_iterator_tIbPKhN2at6native10EqualsModeEEENSD_19counting_iterator_tIlEES8_S8_S8_S8_S8_S8_S8_S8_EEEEPS9_S9_NSD_9__find_if7functorIS9_EEEE10hipError_tPvRmT1_T2_T3_mT4_P12ihipStream_tbEUlT_E1_NS1_11comp_targetILNS1_3genE10ELNS1_11target_archE1201ELNS1_3gpuE5ELNS1_3repE0EEENS1_30default_config_static_selectorELNS0_4arch9wavefront6targetE1EEEvSW_.num_vgpr, 0
	.set _ZN7rocprim17ROCPRIM_400000_NS6detail17trampoline_kernelINS0_14default_configENS1_22reduce_config_selectorIN6thrust23THRUST_200600_302600_NS5tupleIblNS6_9null_typeES8_S8_S8_S8_S8_S8_S8_EEEEZNS1_11reduce_implILb1ES3_NS6_12zip_iteratorINS7_INS6_11hip_rocprim26transform_input_iterator_tIbPKhN2at6native10EqualsModeEEENSD_19counting_iterator_tIlEES8_S8_S8_S8_S8_S8_S8_S8_EEEEPS9_S9_NSD_9__find_if7functorIS9_EEEE10hipError_tPvRmT1_T2_T3_mT4_P12ihipStream_tbEUlT_E1_NS1_11comp_targetILNS1_3genE10ELNS1_11target_archE1201ELNS1_3gpuE5ELNS1_3repE0EEENS1_30default_config_static_selectorELNS0_4arch9wavefront6targetE1EEEvSW_.num_agpr, 0
	.set _ZN7rocprim17ROCPRIM_400000_NS6detail17trampoline_kernelINS0_14default_configENS1_22reduce_config_selectorIN6thrust23THRUST_200600_302600_NS5tupleIblNS6_9null_typeES8_S8_S8_S8_S8_S8_S8_EEEEZNS1_11reduce_implILb1ES3_NS6_12zip_iteratorINS7_INS6_11hip_rocprim26transform_input_iterator_tIbPKhN2at6native10EqualsModeEEENSD_19counting_iterator_tIlEES8_S8_S8_S8_S8_S8_S8_S8_EEEEPS9_S9_NSD_9__find_if7functorIS9_EEEE10hipError_tPvRmT1_T2_T3_mT4_P12ihipStream_tbEUlT_E1_NS1_11comp_targetILNS1_3genE10ELNS1_11target_archE1201ELNS1_3gpuE5ELNS1_3repE0EEENS1_30default_config_static_selectorELNS0_4arch9wavefront6targetE1EEEvSW_.numbered_sgpr, 0
	.set _ZN7rocprim17ROCPRIM_400000_NS6detail17trampoline_kernelINS0_14default_configENS1_22reduce_config_selectorIN6thrust23THRUST_200600_302600_NS5tupleIblNS6_9null_typeES8_S8_S8_S8_S8_S8_S8_EEEEZNS1_11reduce_implILb1ES3_NS6_12zip_iteratorINS7_INS6_11hip_rocprim26transform_input_iterator_tIbPKhN2at6native10EqualsModeEEENSD_19counting_iterator_tIlEES8_S8_S8_S8_S8_S8_S8_S8_EEEEPS9_S9_NSD_9__find_if7functorIS9_EEEE10hipError_tPvRmT1_T2_T3_mT4_P12ihipStream_tbEUlT_E1_NS1_11comp_targetILNS1_3genE10ELNS1_11target_archE1201ELNS1_3gpuE5ELNS1_3repE0EEENS1_30default_config_static_selectorELNS0_4arch9wavefront6targetE1EEEvSW_.num_named_barrier, 0
	.set _ZN7rocprim17ROCPRIM_400000_NS6detail17trampoline_kernelINS0_14default_configENS1_22reduce_config_selectorIN6thrust23THRUST_200600_302600_NS5tupleIblNS6_9null_typeES8_S8_S8_S8_S8_S8_S8_EEEEZNS1_11reduce_implILb1ES3_NS6_12zip_iteratorINS7_INS6_11hip_rocprim26transform_input_iterator_tIbPKhN2at6native10EqualsModeEEENSD_19counting_iterator_tIlEES8_S8_S8_S8_S8_S8_S8_S8_EEEEPS9_S9_NSD_9__find_if7functorIS9_EEEE10hipError_tPvRmT1_T2_T3_mT4_P12ihipStream_tbEUlT_E1_NS1_11comp_targetILNS1_3genE10ELNS1_11target_archE1201ELNS1_3gpuE5ELNS1_3repE0EEENS1_30default_config_static_selectorELNS0_4arch9wavefront6targetE1EEEvSW_.private_seg_size, 0
	.set _ZN7rocprim17ROCPRIM_400000_NS6detail17trampoline_kernelINS0_14default_configENS1_22reduce_config_selectorIN6thrust23THRUST_200600_302600_NS5tupleIblNS6_9null_typeES8_S8_S8_S8_S8_S8_S8_EEEEZNS1_11reduce_implILb1ES3_NS6_12zip_iteratorINS7_INS6_11hip_rocprim26transform_input_iterator_tIbPKhN2at6native10EqualsModeEEENSD_19counting_iterator_tIlEES8_S8_S8_S8_S8_S8_S8_S8_EEEEPS9_S9_NSD_9__find_if7functorIS9_EEEE10hipError_tPvRmT1_T2_T3_mT4_P12ihipStream_tbEUlT_E1_NS1_11comp_targetILNS1_3genE10ELNS1_11target_archE1201ELNS1_3gpuE5ELNS1_3repE0EEENS1_30default_config_static_selectorELNS0_4arch9wavefront6targetE1EEEvSW_.uses_vcc, 0
	.set _ZN7rocprim17ROCPRIM_400000_NS6detail17trampoline_kernelINS0_14default_configENS1_22reduce_config_selectorIN6thrust23THRUST_200600_302600_NS5tupleIblNS6_9null_typeES8_S8_S8_S8_S8_S8_S8_EEEEZNS1_11reduce_implILb1ES3_NS6_12zip_iteratorINS7_INS6_11hip_rocprim26transform_input_iterator_tIbPKhN2at6native10EqualsModeEEENSD_19counting_iterator_tIlEES8_S8_S8_S8_S8_S8_S8_S8_EEEEPS9_S9_NSD_9__find_if7functorIS9_EEEE10hipError_tPvRmT1_T2_T3_mT4_P12ihipStream_tbEUlT_E1_NS1_11comp_targetILNS1_3genE10ELNS1_11target_archE1201ELNS1_3gpuE5ELNS1_3repE0EEENS1_30default_config_static_selectorELNS0_4arch9wavefront6targetE1EEEvSW_.uses_flat_scratch, 0
	.set _ZN7rocprim17ROCPRIM_400000_NS6detail17trampoline_kernelINS0_14default_configENS1_22reduce_config_selectorIN6thrust23THRUST_200600_302600_NS5tupleIblNS6_9null_typeES8_S8_S8_S8_S8_S8_S8_EEEEZNS1_11reduce_implILb1ES3_NS6_12zip_iteratorINS7_INS6_11hip_rocprim26transform_input_iterator_tIbPKhN2at6native10EqualsModeEEENSD_19counting_iterator_tIlEES8_S8_S8_S8_S8_S8_S8_S8_EEEEPS9_S9_NSD_9__find_if7functorIS9_EEEE10hipError_tPvRmT1_T2_T3_mT4_P12ihipStream_tbEUlT_E1_NS1_11comp_targetILNS1_3genE10ELNS1_11target_archE1201ELNS1_3gpuE5ELNS1_3repE0EEENS1_30default_config_static_selectorELNS0_4arch9wavefront6targetE1EEEvSW_.has_dyn_sized_stack, 0
	.set _ZN7rocprim17ROCPRIM_400000_NS6detail17trampoline_kernelINS0_14default_configENS1_22reduce_config_selectorIN6thrust23THRUST_200600_302600_NS5tupleIblNS6_9null_typeES8_S8_S8_S8_S8_S8_S8_EEEEZNS1_11reduce_implILb1ES3_NS6_12zip_iteratorINS7_INS6_11hip_rocprim26transform_input_iterator_tIbPKhN2at6native10EqualsModeEEENSD_19counting_iterator_tIlEES8_S8_S8_S8_S8_S8_S8_S8_EEEEPS9_S9_NSD_9__find_if7functorIS9_EEEE10hipError_tPvRmT1_T2_T3_mT4_P12ihipStream_tbEUlT_E1_NS1_11comp_targetILNS1_3genE10ELNS1_11target_archE1201ELNS1_3gpuE5ELNS1_3repE0EEENS1_30default_config_static_selectorELNS0_4arch9wavefront6targetE1EEEvSW_.has_recursion, 0
	.set _ZN7rocprim17ROCPRIM_400000_NS6detail17trampoline_kernelINS0_14default_configENS1_22reduce_config_selectorIN6thrust23THRUST_200600_302600_NS5tupleIblNS6_9null_typeES8_S8_S8_S8_S8_S8_S8_EEEEZNS1_11reduce_implILb1ES3_NS6_12zip_iteratorINS7_INS6_11hip_rocprim26transform_input_iterator_tIbPKhN2at6native10EqualsModeEEENSD_19counting_iterator_tIlEES8_S8_S8_S8_S8_S8_S8_S8_EEEEPS9_S9_NSD_9__find_if7functorIS9_EEEE10hipError_tPvRmT1_T2_T3_mT4_P12ihipStream_tbEUlT_E1_NS1_11comp_targetILNS1_3genE10ELNS1_11target_archE1201ELNS1_3gpuE5ELNS1_3repE0EEENS1_30default_config_static_selectorELNS0_4arch9wavefront6targetE1EEEvSW_.has_indirect_call, 0
	.section	.AMDGPU.csdata,"",@progbits
; Kernel info:
; codeLenInByte = 0
; TotalNumSgprs: 4
; NumVgprs: 0
; ScratchSize: 0
; MemoryBound: 0
; FloatMode: 240
; IeeeMode: 1
; LDSByteSize: 0 bytes/workgroup (compile time only)
; SGPRBlocks: 0
; VGPRBlocks: 0
; NumSGPRsForWavesPerEU: 4
; NumVGPRsForWavesPerEU: 1
; Occupancy: 10
; WaveLimiterHint : 0
; COMPUTE_PGM_RSRC2:SCRATCH_EN: 0
; COMPUTE_PGM_RSRC2:USER_SGPR: 6
; COMPUTE_PGM_RSRC2:TRAP_HANDLER: 0
; COMPUTE_PGM_RSRC2:TGID_X_EN: 1
; COMPUTE_PGM_RSRC2:TGID_Y_EN: 0
; COMPUTE_PGM_RSRC2:TGID_Z_EN: 0
; COMPUTE_PGM_RSRC2:TIDIG_COMP_CNT: 0
	.section	.text._ZN7rocprim17ROCPRIM_400000_NS6detail17trampoline_kernelINS0_14default_configENS1_22reduce_config_selectorIN6thrust23THRUST_200600_302600_NS5tupleIblNS6_9null_typeES8_S8_S8_S8_S8_S8_S8_EEEEZNS1_11reduce_implILb1ES3_NS6_12zip_iteratorINS7_INS6_11hip_rocprim26transform_input_iterator_tIbPKhN2at6native10EqualsModeEEENSD_19counting_iterator_tIlEES8_S8_S8_S8_S8_S8_S8_S8_EEEEPS9_S9_NSD_9__find_if7functorIS9_EEEE10hipError_tPvRmT1_T2_T3_mT4_P12ihipStream_tbEUlT_E1_NS1_11comp_targetILNS1_3genE10ELNS1_11target_archE1200ELNS1_3gpuE4ELNS1_3repE0EEENS1_30default_config_static_selectorELNS0_4arch9wavefront6targetE1EEEvSW_,"axG",@progbits,_ZN7rocprim17ROCPRIM_400000_NS6detail17trampoline_kernelINS0_14default_configENS1_22reduce_config_selectorIN6thrust23THRUST_200600_302600_NS5tupleIblNS6_9null_typeES8_S8_S8_S8_S8_S8_S8_EEEEZNS1_11reduce_implILb1ES3_NS6_12zip_iteratorINS7_INS6_11hip_rocprim26transform_input_iterator_tIbPKhN2at6native10EqualsModeEEENSD_19counting_iterator_tIlEES8_S8_S8_S8_S8_S8_S8_S8_EEEEPS9_S9_NSD_9__find_if7functorIS9_EEEE10hipError_tPvRmT1_T2_T3_mT4_P12ihipStream_tbEUlT_E1_NS1_11comp_targetILNS1_3genE10ELNS1_11target_archE1200ELNS1_3gpuE4ELNS1_3repE0EEENS1_30default_config_static_selectorELNS0_4arch9wavefront6targetE1EEEvSW_,comdat
	.protected	_ZN7rocprim17ROCPRIM_400000_NS6detail17trampoline_kernelINS0_14default_configENS1_22reduce_config_selectorIN6thrust23THRUST_200600_302600_NS5tupleIblNS6_9null_typeES8_S8_S8_S8_S8_S8_S8_EEEEZNS1_11reduce_implILb1ES3_NS6_12zip_iteratorINS7_INS6_11hip_rocprim26transform_input_iterator_tIbPKhN2at6native10EqualsModeEEENSD_19counting_iterator_tIlEES8_S8_S8_S8_S8_S8_S8_S8_EEEEPS9_S9_NSD_9__find_if7functorIS9_EEEE10hipError_tPvRmT1_T2_T3_mT4_P12ihipStream_tbEUlT_E1_NS1_11comp_targetILNS1_3genE10ELNS1_11target_archE1200ELNS1_3gpuE4ELNS1_3repE0EEENS1_30default_config_static_selectorELNS0_4arch9wavefront6targetE1EEEvSW_ ; -- Begin function _ZN7rocprim17ROCPRIM_400000_NS6detail17trampoline_kernelINS0_14default_configENS1_22reduce_config_selectorIN6thrust23THRUST_200600_302600_NS5tupleIblNS6_9null_typeES8_S8_S8_S8_S8_S8_S8_EEEEZNS1_11reduce_implILb1ES3_NS6_12zip_iteratorINS7_INS6_11hip_rocprim26transform_input_iterator_tIbPKhN2at6native10EqualsModeEEENSD_19counting_iterator_tIlEES8_S8_S8_S8_S8_S8_S8_S8_EEEEPS9_S9_NSD_9__find_if7functorIS9_EEEE10hipError_tPvRmT1_T2_T3_mT4_P12ihipStream_tbEUlT_E1_NS1_11comp_targetILNS1_3genE10ELNS1_11target_archE1200ELNS1_3gpuE4ELNS1_3repE0EEENS1_30default_config_static_selectorELNS0_4arch9wavefront6targetE1EEEvSW_
	.globl	_ZN7rocprim17ROCPRIM_400000_NS6detail17trampoline_kernelINS0_14default_configENS1_22reduce_config_selectorIN6thrust23THRUST_200600_302600_NS5tupleIblNS6_9null_typeES8_S8_S8_S8_S8_S8_S8_EEEEZNS1_11reduce_implILb1ES3_NS6_12zip_iteratorINS7_INS6_11hip_rocprim26transform_input_iterator_tIbPKhN2at6native10EqualsModeEEENSD_19counting_iterator_tIlEES8_S8_S8_S8_S8_S8_S8_S8_EEEEPS9_S9_NSD_9__find_if7functorIS9_EEEE10hipError_tPvRmT1_T2_T3_mT4_P12ihipStream_tbEUlT_E1_NS1_11comp_targetILNS1_3genE10ELNS1_11target_archE1200ELNS1_3gpuE4ELNS1_3repE0EEENS1_30default_config_static_selectorELNS0_4arch9wavefront6targetE1EEEvSW_
	.p2align	8
	.type	_ZN7rocprim17ROCPRIM_400000_NS6detail17trampoline_kernelINS0_14default_configENS1_22reduce_config_selectorIN6thrust23THRUST_200600_302600_NS5tupleIblNS6_9null_typeES8_S8_S8_S8_S8_S8_S8_EEEEZNS1_11reduce_implILb1ES3_NS6_12zip_iteratorINS7_INS6_11hip_rocprim26transform_input_iterator_tIbPKhN2at6native10EqualsModeEEENSD_19counting_iterator_tIlEES8_S8_S8_S8_S8_S8_S8_S8_EEEEPS9_S9_NSD_9__find_if7functorIS9_EEEE10hipError_tPvRmT1_T2_T3_mT4_P12ihipStream_tbEUlT_E1_NS1_11comp_targetILNS1_3genE10ELNS1_11target_archE1200ELNS1_3gpuE4ELNS1_3repE0EEENS1_30default_config_static_selectorELNS0_4arch9wavefront6targetE1EEEvSW_,@function
_ZN7rocprim17ROCPRIM_400000_NS6detail17trampoline_kernelINS0_14default_configENS1_22reduce_config_selectorIN6thrust23THRUST_200600_302600_NS5tupleIblNS6_9null_typeES8_S8_S8_S8_S8_S8_S8_EEEEZNS1_11reduce_implILb1ES3_NS6_12zip_iteratorINS7_INS6_11hip_rocprim26transform_input_iterator_tIbPKhN2at6native10EqualsModeEEENSD_19counting_iterator_tIlEES8_S8_S8_S8_S8_S8_S8_S8_EEEEPS9_S9_NSD_9__find_if7functorIS9_EEEE10hipError_tPvRmT1_T2_T3_mT4_P12ihipStream_tbEUlT_E1_NS1_11comp_targetILNS1_3genE10ELNS1_11target_archE1200ELNS1_3gpuE4ELNS1_3repE0EEENS1_30default_config_static_selectorELNS0_4arch9wavefront6targetE1EEEvSW_: ; @_ZN7rocprim17ROCPRIM_400000_NS6detail17trampoline_kernelINS0_14default_configENS1_22reduce_config_selectorIN6thrust23THRUST_200600_302600_NS5tupleIblNS6_9null_typeES8_S8_S8_S8_S8_S8_S8_EEEEZNS1_11reduce_implILb1ES3_NS6_12zip_iteratorINS7_INS6_11hip_rocprim26transform_input_iterator_tIbPKhN2at6native10EqualsModeEEENSD_19counting_iterator_tIlEES8_S8_S8_S8_S8_S8_S8_S8_EEEEPS9_S9_NSD_9__find_if7functorIS9_EEEE10hipError_tPvRmT1_T2_T3_mT4_P12ihipStream_tbEUlT_E1_NS1_11comp_targetILNS1_3genE10ELNS1_11target_archE1200ELNS1_3gpuE4ELNS1_3repE0EEENS1_30default_config_static_selectorELNS0_4arch9wavefront6targetE1EEEvSW_
; %bb.0:
	.section	.rodata,"a",@progbits
	.p2align	6, 0x0
	.amdhsa_kernel _ZN7rocprim17ROCPRIM_400000_NS6detail17trampoline_kernelINS0_14default_configENS1_22reduce_config_selectorIN6thrust23THRUST_200600_302600_NS5tupleIblNS6_9null_typeES8_S8_S8_S8_S8_S8_S8_EEEEZNS1_11reduce_implILb1ES3_NS6_12zip_iteratorINS7_INS6_11hip_rocprim26transform_input_iterator_tIbPKhN2at6native10EqualsModeEEENSD_19counting_iterator_tIlEES8_S8_S8_S8_S8_S8_S8_S8_EEEEPS9_S9_NSD_9__find_if7functorIS9_EEEE10hipError_tPvRmT1_T2_T3_mT4_P12ihipStream_tbEUlT_E1_NS1_11comp_targetILNS1_3genE10ELNS1_11target_archE1200ELNS1_3gpuE4ELNS1_3repE0EEENS1_30default_config_static_selectorELNS0_4arch9wavefront6targetE1EEEvSW_
		.amdhsa_group_segment_fixed_size 0
		.amdhsa_private_segment_fixed_size 0
		.amdhsa_kernarg_size 72
		.amdhsa_user_sgpr_count 6
		.amdhsa_user_sgpr_private_segment_buffer 1
		.amdhsa_user_sgpr_dispatch_ptr 0
		.amdhsa_user_sgpr_queue_ptr 0
		.amdhsa_user_sgpr_kernarg_segment_ptr 1
		.amdhsa_user_sgpr_dispatch_id 0
		.amdhsa_user_sgpr_flat_scratch_init 0
		.amdhsa_user_sgpr_private_segment_size 0
		.amdhsa_uses_dynamic_stack 0
		.amdhsa_system_sgpr_private_segment_wavefront_offset 0
		.amdhsa_system_sgpr_workgroup_id_x 1
		.amdhsa_system_sgpr_workgroup_id_y 0
		.amdhsa_system_sgpr_workgroup_id_z 0
		.amdhsa_system_sgpr_workgroup_info 0
		.amdhsa_system_vgpr_workitem_id 0
		.amdhsa_next_free_vgpr 1
		.amdhsa_next_free_sgpr 0
		.amdhsa_reserve_vcc 0
		.amdhsa_reserve_flat_scratch 0
		.amdhsa_float_round_mode_32 0
		.amdhsa_float_round_mode_16_64 0
		.amdhsa_float_denorm_mode_32 3
		.amdhsa_float_denorm_mode_16_64 3
		.amdhsa_dx10_clamp 1
		.amdhsa_ieee_mode 1
		.amdhsa_fp16_overflow 0
		.amdhsa_exception_fp_ieee_invalid_op 0
		.amdhsa_exception_fp_denorm_src 0
		.amdhsa_exception_fp_ieee_div_zero 0
		.amdhsa_exception_fp_ieee_overflow 0
		.amdhsa_exception_fp_ieee_underflow 0
		.amdhsa_exception_fp_ieee_inexact 0
		.amdhsa_exception_int_div_zero 0
	.end_amdhsa_kernel
	.section	.text._ZN7rocprim17ROCPRIM_400000_NS6detail17trampoline_kernelINS0_14default_configENS1_22reduce_config_selectorIN6thrust23THRUST_200600_302600_NS5tupleIblNS6_9null_typeES8_S8_S8_S8_S8_S8_S8_EEEEZNS1_11reduce_implILb1ES3_NS6_12zip_iteratorINS7_INS6_11hip_rocprim26transform_input_iterator_tIbPKhN2at6native10EqualsModeEEENSD_19counting_iterator_tIlEES8_S8_S8_S8_S8_S8_S8_S8_EEEEPS9_S9_NSD_9__find_if7functorIS9_EEEE10hipError_tPvRmT1_T2_T3_mT4_P12ihipStream_tbEUlT_E1_NS1_11comp_targetILNS1_3genE10ELNS1_11target_archE1200ELNS1_3gpuE4ELNS1_3repE0EEENS1_30default_config_static_selectorELNS0_4arch9wavefront6targetE1EEEvSW_,"axG",@progbits,_ZN7rocprim17ROCPRIM_400000_NS6detail17trampoline_kernelINS0_14default_configENS1_22reduce_config_selectorIN6thrust23THRUST_200600_302600_NS5tupleIblNS6_9null_typeES8_S8_S8_S8_S8_S8_S8_EEEEZNS1_11reduce_implILb1ES3_NS6_12zip_iteratorINS7_INS6_11hip_rocprim26transform_input_iterator_tIbPKhN2at6native10EqualsModeEEENSD_19counting_iterator_tIlEES8_S8_S8_S8_S8_S8_S8_S8_EEEEPS9_S9_NSD_9__find_if7functorIS9_EEEE10hipError_tPvRmT1_T2_T3_mT4_P12ihipStream_tbEUlT_E1_NS1_11comp_targetILNS1_3genE10ELNS1_11target_archE1200ELNS1_3gpuE4ELNS1_3repE0EEENS1_30default_config_static_selectorELNS0_4arch9wavefront6targetE1EEEvSW_,comdat
.Lfunc_end69:
	.size	_ZN7rocprim17ROCPRIM_400000_NS6detail17trampoline_kernelINS0_14default_configENS1_22reduce_config_selectorIN6thrust23THRUST_200600_302600_NS5tupleIblNS6_9null_typeES8_S8_S8_S8_S8_S8_S8_EEEEZNS1_11reduce_implILb1ES3_NS6_12zip_iteratorINS7_INS6_11hip_rocprim26transform_input_iterator_tIbPKhN2at6native10EqualsModeEEENSD_19counting_iterator_tIlEES8_S8_S8_S8_S8_S8_S8_S8_EEEEPS9_S9_NSD_9__find_if7functorIS9_EEEE10hipError_tPvRmT1_T2_T3_mT4_P12ihipStream_tbEUlT_E1_NS1_11comp_targetILNS1_3genE10ELNS1_11target_archE1200ELNS1_3gpuE4ELNS1_3repE0EEENS1_30default_config_static_selectorELNS0_4arch9wavefront6targetE1EEEvSW_, .Lfunc_end69-_ZN7rocprim17ROCPRIM_400000_NS6detail17trampoline_kernelINS0_14default_configENS1_22reduce_config_selectorIN6thrust23THRUST_200600_302600_NS5tupleIblNS6_9null_typeES8_S8_S8_S8_S8_S8_S8_EEEEZNS1_11reduce_implILb1ES3_NS6_12zip_iteratorINS7_INS6_11hip_rocprim26transform_input_iterator_tIbPKhN2at6native10EqualsModeEEENSD_19counting_iterator_tIlEES8_S8_S8_S8_S8_S8_S8_S8_EEEEPS9_S9_NSD_9__find_if7functorIS9_EEEE10hipError_tPvRmT1_T2_T3_mT4_P12ihipStream_tbEUlT_E1_NS1_11comp_targetILNS1_3genE10ELNS1_11target_archE1200ELNS1_3gpuE4ELNS1_3repE0EEENS1_30default_config_static_selectorELNS0_4arch9wavefront6targetE1EEEvSW_
                                        ; -- End function
	.set _ZN7rocprim17ROCPRIM_400000_NS6detail17trampoline_kernelINS0_14default_configENS1_22reduce_config_selectorIN6thrust23THRUST_200600_302600_NS5tupleIblNS6_9null_typeES8_S8_S8_S8_S8_S8_S8_EEEEZNS1_11reduce_implILb1ES3_NS6_12zip_iteratorINS7_INS6_11hip_rocprim26transform_input_iterator_tIbPKhN2at6native10EqualsModeEEENSD_19counting_iterator_tIlEES8_S8_S8_S8_S8_S8_S8_S8_EEEEPS9_S9_NSD_9__find_if7functorIS9_EEEE10hipError_tPvRmT1_T2_T3_mT4_P12ihipStream_tbEUlT_E1_NS1_11comp_targetILNS1_3genE10ELNS1_11target_archE1200ELNS1_3gpuE4ELNS1_3repE0EEENS1_30default_config_static_selectorELNS0_4arch9wavefront6targetE1EEEvSW_.num_vgpr, 0
	.set _ZN7rocprim17ROCPRIM_400000_NS6detail17trampoline_kernelINS0_14default_configENS1_22reduce_config_selectorIN6thrust23THRUST_200600_302600_NS5tupleIblNS6_9null_typeES8_S8_S8_S8_S8_S8_S8_EEEEZNS1_11reduce_implILb1ES3_NS6_12zip_iteratorINS7_INS6_11hip_rocprim26transform_input_iterator_tIbPKhN2at6native10EqualsModeEEENSD_19counting_iterator_tIlEES8_S8_S8_S8_S8_S8_S8_S8_EEEEPS9_S9_NSD_9__find_if7functorIS9_EEEE10hipError_tPvRmT1_T2_T3_mT4_P12ihipStream_tbEUlT_E1_NS1_11comp_targetILNS1_3genE10ELNS1_11target_archE1200ELNS1_3gpuE4ELNS1_3repE0EEENS1_30default_config_static_selectorELNS0_4arch9wavefront6targetE1EEEvSW_.num_agpr, 0
	.set _ZN7rocprim17ROCPRIM_400000_NS6detail17trampoline_kernelINS0_14default_configENS1_22reduce_config_selectorIN6thrust23THRUST_200600_302600_NS5tupleIblNS6_9null_typeES8_S8_S8_S8_S8_S8_S8_EEEEZNS1_11reduce_implILb1ES3_NS6_12zip_iteratorINS7_INS6_11hip_rocprim26transform_input_iterator_tIbPKhN2at6native10EqualsModeEEENSD_19counting_iterator_tIlEES8_S8_S8_S8_S8_S8_S8_S8_EEEEPS9_S9_NSD_9__find_if7functorIS9_EEEE10hipError_tPvRmT1_T2_T3_mT4_P12ihipStream_tbEUlT_E1_NS1_11comp_targetILNS1_3genE10ELNS1_11target_archE1200ELNS1_3gpuE4ELNS1_3repE0EEENS1_30default_config_static_selectorELNS0_4arch9wavefront6targetE1EEEvSW_.numbered_sgpr, 0
	.set _ZN7rocprim17ROCPRIM_400000_NS6detail17trampoline_kernelINS0_14default_configENS1_22reduce_config_selectorIN6thrust23THRUST_200600_302600_NS5tupleIblNS6_9null_typeES8_S8_S8_S8_S8_S8_S8_EEEEZNS1_11reduce_implILb1ES3_NS6_12zip_iteratorINS7_INS6_11hip_rocprim26transform_input_iterator_tIbPKhN2at6native10EqualsModeEEENSD_19counting_iterator_tIlEES8_S8_S8_S8_S8_S8_S8_S8_EEEEPS9_S9_NSD_9__find_if7functorIS9_EEEE10hipError_tPvRmT1_T2_T3_mT4_P12ihipStream_tbEUlT_E1_NS1_11comp_targetILNS1_3genE10ELNS1_11target_archE1200ELNS1_3gpuE4ELNS1_3repE0EEENS1_30default_config_static_selectorELNS0_4arch9wavefront6targetE1EEEvSW_.num_named_barrier, 0
	.set _ZN7rocprim17ROCPRIM_400000_NS6detail17trampoline_kernelINS0_14default_configENS1_22reduce_config_selectorIN6thrust23THRUST_200600_302600_NS5tupleIblNS6_9null_typeES8_S8_S8_S8_S8_S8_S8_EEEEZNS1_11reduce_implILb1ES3_NS6_12zip_iteratorINS7_INS6_11hip_rocprim26transform_input_iterator_tIbPKhN2at6native10EqualsModeEEENSD_19counting_iterator_tIlEES8_S8_S8_S8_S8_S8_S8_S8_EEEEPS9_S9_NSD_9__find_if7functorIS9_EEEE10hipError_tPvRmT1_T2_T3_mT4_P12ihipStream_tbEUlT_E1_NS1_11comp_targetILNS1_3genE10ELNS1_11target_archE1200ELNS1_3gpuE4ELNS1_3repE0EEENS1_30default_config_static_selectorELNS0_4arch9wavefront6targetE1EEEvSW_.private_seg_size, 0
	.set _ZN7rocprim17ROCPRIM_400000_NS6detail17trampoline_kernelINS0_14default_configENS1_22reduce_config_selectorIN6thrust23THRUST_200600_302600_NS5tupleIblNS6_9null_typeES8_S8_S8_S8_S8_S8_S8_EEEEZNS1_11reduce_implILb1ES3_NS6_12zip_iteratorINS7_INS6_11hip_rocprim26transform_input_iterator_tIbPKhN2at6native10EqualsModeEEENSD_19counting_iterator_tIlEES8_S8_S8_S8_S8_S8_S8_S8_EEEEPS9_S9_NSD_9__find_if7functorIS9_EEEE10hipError_tPvRmT1_T2_T3_mT4_P12ihipStream_tbEUlT_E1_NS1_11comp_targetILNS1_3genE10ELNS1_11target_archE1200ELNS1_3gpuE4ELNS1_3repE0EEENS1_30default_config_static_selectorELNS0_4arch9wavefront6targetE1EEEvSW_.uses_vcc, 0
	.set _ZN7rocprim17ROCPRIM_400000_NS6detail17trampoline_kernelINS0_14default_configENS1_22reduce_config_selectorIN6thrust23THRUST_200600_302600_NS5tupleIblNS6_9null_typeES8_S8_S8_S8_S8_S8_S8_EEEEZNS1_11reduce_implILb1ES3_NS6_12zip_iteratorINS7_INS6_11hip_rocprim26transform_input_iterator_tIbPKhN2at6native10EqualsModeEEENSD_19counting_iterator_tIlEES8_S8_S8_S8_S8_S8_S8_S8_EEEEPS9_S9_NSD_9__find_if7functorIS9_EEEE10hipError_tPvRmT1_T2_T3_mT4_P12ihipStream_tbEUlT_E1_NS1_11comp_targetILNS1_3genE10ELNS1_11target_archE1200ELNS1_3gpuE4ELNS1_3repE0EEENS1_30default_config_static_selectorELNS0_4arch9wavefront6targetE1EEEvSW_.uses_flat_scratch, 0
	.set _ZN7rocprim17ROCPRIM_400000_NS6detail17trampoline_kernelINS0_14default_configENS1_22reduce_config_selectorIN6thrust23THRUST_200600_302600_NS5tupleIblNS6_9null_typeES8_S8_S8_S8_S8_S8_S8_EEEEZNS1_11reduce_implILb1ES3_NS6_12zip_iteratorINS7_INS6_11hip_rocprim26transform_input_iterator_tIbPKhN2at6native10EqualsModeEEENSD_19counting_iterator_tIlEES8_S8_S8_S8_S8_S8_S8_S8_EEEEPS9_S9_NSD_9__find_if7functorIS9_EEEE10hipError_tPvRmT1_T2_T3_mT4_P12ihipStream_tbEUlT_E1_NS1_11comp_targetILNS1_3genE10ELNS1_11target_archE1200ELNS1_3gpuE4ELNS1_3repE0EEENS1_30default_config_static_selectorELNS0_4arch9wavefront6targetE1EEEvSW_.has_dyn_sized_stack, 0
	.set _ZN7rocprim17ROCPRIM_400000_NS6detail17trampoline_kernelINS0_14default_configENS1_22reduce_config_selectorIN6thrust23THRUST_200600_302600_NS5tupleIblNS6_9null_typeES8_S8_S8_S8_S8_S8_S8_EEEEZNS1_11reduce_implILb1ES3_NS6_12zip_iteratorINS7_INS6_11hip_rocprim26transform_input_iterator_tIbPKhN2at6native10EqualsModeEEENSD_19counting_iterator_tIlEES8_S8_S8_S8_S8_S8_S8_S8_EEEEPS9_S9_NSD_9__find_if7functorIS9_EEEE10hipError_tPvRmT1_T2_T3_mT4_P12ihipStream_tbEUlT_E1_NS1_11comp_targetILNS1_3genE10ELNS1_11target_archE1200ELNS1_3gpuE4ELNS1_3repE0EEENS1_30default_config_static_selectorELNS0_4arch9wavefront6targetE1EEEvSW_.has_recursion, 0
	.set _ZN7rocprim17ROCPRIM_400000_NS6detail17trampoline_kernelINS0_14default_configENS1_22reduce_config_selectorIN6thrust23THRUST_200600_302600_NS5tupleIblNS6_9null_typeES8_S8_S8_S8_S8_S8_S8_EEEEZNS1_11reduce_implILb1ES3_NS6_12zip_iteratorINS7_INS6_11hip_rocprim26transform_input_iterator_tIbPKhN2at6native10EqualsModeEEENSD_19counting_iterator_tIlEES8_S8_S8_S8_S8_S8_S8_S8_EEEEPS9_S9_NSD_9__find_if7functorIS9_EEEE10hipError_tPvRmT1_T2_T3_mT4_P12ihipStream_tbEUlT_E1_NS1_11comp_targetILNS1_3genE10ELNS1_11target_archE1200ELNS1_3gpuE4ELNS1_3repE0EEENS1_30default_config_static_selectorELNS0_4arch9wavefront6targetE1EEEvSW_.has_indirect_call, 0
	.section	.AMDGPU.csdata,"",@progbits
; Kernel info:
; codeLenInByte = 0
; TotalNumSgprs: 4
; NumVgprs: 0
; ScratchSize: 0
; MemoryBound: 0
; FloatMode: 240
; IeeeMode: 1
; LDSByteSize: 0 bytes/workgroup (compile time only)
; SGPRBlocks: 0
; VGPRBlocks: 0
; NumSGPRsForWavesPerEU: 4
; NumVGPRsForWavesPerEU: 1
; Occupancy: 10
; WaveLimiterHint : 0
; COMPUTE_PGM_RSRC2:SCRATCH_EN: 0
; COMPUTE_PGM_RSRC2:USER_SGPR: 6
; COMPUTE_PGM_RSRC2:TRAP_HANDLER: 0
; COMPUTE_PGM_RSRC2:TGID_X_EN: 1
; COMPUTE_PGM_RSRC2:TGID_Y_EN: 0
; COMPUTE_PGM_RSRC2:TGID_Z_EN: 0
; COMPUTE_PGM_RSRC2:TIDIG_COMP_CNT: 0
	.section	.text._ZN7rocprim17ROCPRIM_400000_NS6detail17trampoline_kernelINS0_14default_configENS1_22reduce_config_selectorIN6thrust23THRUST_200600_302600_NS5tupleIblNS6_9null_typeES8_S8_S8_S8_S8_S8_S8_EEEEZNS1_11reduce_implILb1ES3_NS6_12zip_iteratorINS7_INS6_11hip_rocprim26transform_input_iterator_tIbPKhN2at6native10EqualsModeEEENSD_19counting_iterator_tIlEES8_S8_S8_S8_S8_S8_S8_S8_EEEEPS9_S9_NSD_9__find_if7functorIS9_EEEE10hipError_tPvRmT1_T2_T3_mT4_P12ihipStream_tbEUlT_E1_NS1_11comp_targetILNS1_3genE9ELNS1_11target_archE1100ELNS1_3gpuE3ELNS1_3repE0EEENS1_30default_config_static_selectorELNS0_4arch9wavefront6targetE1EEEvSW_,"axG",@progbits,_ZN7rocprim17ROCPRIM_400000_NS6detail17trampoline_kernelINS0_14default_configENS1_22reduce_config_selectorIN6thrust23THRUST_200600_302600_NS5tupleIblNS6_9null_typeES8_S8_S8_S8_S8_S8_S8_EEEEZNS1_11reduce_implILb1ES3_NS6_12zip_iteratorINS7_INS6_11hip_rocprim26transform_input_iterator_tIbPKhN2at6native10EqualsModeEEENSD_19counting_iterator_tIlEES8_S8_S8_S8_S8_S8_S8_S8_EEEEPS9_S9_NSD_9__find_if7functorIS9_EEEE10hipError_tPvRmT1_T2_T3_mT4_P12ihipStream_tbEUlT_E1_NS1_11comp_targetILNS1_3genE9ELNS1_11target_archE1100ELNS1_3gpuE3ELNS1_3repE0EEENS1_30default_config_static_selectorELNS0_4arch9wavefront6targetE1EEEvSW_,comdat
	.protected	_ZN7rocprim17ROCPRIM_400000_NS6detail17trampoline_kernelINS0_14default_configENS1_22reduce_config_selectorIN6thrust23THRUST_200600_302600_NS5tupleIblNS6_9null_typeES8_S8_S8_S8_S8_S8_S8_EEEEZNS1_11reduce_implILb1ES3_NS6_12zip_iteratorINS7_INS6_11hip_rocprim26transform_input_iterator_tIbPKhN2at6native10EqualsModeEEENSD_19counting_iterator_tIlEES8_S8_S8_S8_S8_S8_S8_S8_EEEEPS9_S9_NSD_9__find_if7functorIS9_EEEE10hipError_tPvRmT1_T2_T3_mT4_P12ihipStream_tbEUlT_E1_NS1_11comp_targetILNS1_3genE9ELNS1_11target_archE1100ELNS1_3gpuE3ELNS1_3repE0EEENS1_30default_config_static_selectorELNS0_4arch9wavefront6targetE1EEEvSW_ ; -- Begin function _ZN7rocprim17ROCPRIM_400000_NS6detail17trampoline_kernelINS0_14default_configENS1_22reduce_config_selectorIN6thrust23THRUST_200600_302600_NS5tupleIblNS6_9null_typeES8_S8_S8_S8_S8_S8_S8_EEEEZNS1_11reduce_implILb1ES3_NS6_12zip_iteratorINS7_INS6_11hip_rocprim26transform_input_iterator_tIbPKhN2at6native10EqualsModeEEENSD_19counting_iterator_tIlEES8_S8_S8_S8_S8_S8_S8_S8_EEEEPS9_S9_NSD_9__find_if7functorIS9_EEEE10hipError_tPvRmT1_T2_T3_mT4_P12ihipStream_tbEUlT_E1_NS1_11comp_targetILNS1_3genE9ELNS1_11target_archE1100ELNS1_3gpuE3ELNS1_3repE0EEENS1_30default_config_static_selectorELNS0_4arch9wavefront6targetE1EEEvSW_
	.globl	_ZN7rocprim17ROCPRIM_400000_NS6detail17trampoline_kernelINS0_14default_configENS1_22reduce_config_selectorIN6thrust23THRUST_200600_302600_NS5tupleIblNS6_9null_typeES8_S8_S8_S8_S8_S8_S8_EEEEZNS1_11reduce_implILb1ES3_NS6_12zip_iteratorINS7_INS6_11hip_rocprim26transform_input_iterator_tIbPKhN2at6native10EqualsModeEEENSD_19counting_iterator_tIlEES8_S8_S8_S8_S8_S8_S8_S8_EEEEPS9_S9_NSD_9__find_if7functorIS9_EEEE10hipError_tPvRmT1_T2_T3_mT4_P12ihipStream_tbEUlT_E1_NS1_11comp_targetILNS1_3genE9ELNS1_11target_archE1100ELNS1_3gpuE3ELNS1_3repE0EEENS1_30default_config_static_selectorELNS0_4arch9wavefront6targetE1EEEvSW_
	.p2align	8
	.type	_ZN7rocprim17ROCPRIM_400000_NS6detail17trampoline_kernelINS0_14default_configENS1_22reduce_config_selectorIN6thrust23THRUST_200600_302600_NS5tupleIblNS6_9null_typeES8_S8_S8_S8_S8_S8_S8_EEEEZNS1_11reduce_implILb1ES3_NS6_12zip_iteratorINS7_INS6_11hip_rocprim26transform_input_iterator_tIbPKhN2at6native10EqualsModeEEENSD_19counting_iterator_tIlEES8_S8_S8_S8_S8_S8_S8_S8_EEEEPS9_S9_NSD_9__find_if7functorIS9_EEEE10hipError_tPvRmT1_T2_T3_mT4_P12ihipStream_tbEUlT_E1_NS1_11comp_targetILNS1_3genE9ELNS1_11target_archE1100ELNS1_3gpuE3ELNS1_3repE0EEENS1_30default_config_static_selectorELNS0_4arch9wavefront6targetE1EEEvSW_,@function
_ZN7rocprim17ROCPRIM_400000_NS6detail17trampoline_kernelINS0_14default_configENS1_22reduce_config_selectorIN6thrust23THRUST_200600_302600_NS5tupleIblNS6_9null_typeES8_S8_S8_S8_S8_S8_S8_EEEEZNS1_11reduce_implILb1ES3_NS6_12zip_iteratorINS7_INS6_11hip_rocprim26transform_input_iterator_tIbPKhN2at6native10EqualsModeEEENSD_19counting_iterator_tIlEES8_S8_S8_S8_S8_S8_S8_S8_EEEEPS9_S9_NSD_9__find_if7functorIS9_EEEE10hipError_tPvRmT1_T2_T3_mT4_P12ihipStream_tbEUlT_E1_NS1_11comp_targetILNS1_3genE9ELNS1_11target_archE1100ELNS1_3gpuE3ELNS1_3repE0EEENS1_30default_config_static_selectorELNS0_4arch9wavefront6targetE1EEEvSW_: ; @_ZN7rocprim17ROCPRIM_400000_NS6detail17trampoline_kernelINS0_14default_configENS1_22reduce_config_selectorIN6thrust23THRUST_200600_302600_NS5tupleIblNS6_9null_typeES8_S8_S8_S8_S8_S8_S8_EEEEZNS1_11reduce_implILb1ES3_NS6_12zip_iteratorINS7_INS6_11hip_rocprim26transform_input_iterator_tIbPKhN2at6native10EqualsModeEEENSD_19counting_iterator_tIlEES8_S8_S8_S8_S8_S8_S8_S8_EEEEPS9_S9_NSD_9__find_if7functorIS9_EEEE10hipError_tPvRmT1_T2_T3_mT4_P12ihipStream_tbEUlT_E1_NS1_11comp_targetILNS1_3genE9ELNS1_11target_archE1100ELNS1_3gpuE3ELNS1_3repE0EEENS1_30default_config_static_selectorELNS0_4arch9wavefront6targetE1EEEvSW_
; %bb.0:
	.section	.rodata,"a",@progbits
	.p2align	6, 0x0
	.amdhsa_kernel _ZN7rocprim17ROCPRIM_400000_NS6detail17trampoline_kernelINS0_14default_configENS1_22reduce_config_selectorIN6thrust23THRUST_200600_302600_NS5tupleIblNS6_9null_typeES8_S8_S8_S8_S8_S8_S8_EEEEZNS1_11reduce_implILb1ES3_NS6_12zip_iteratorINS7_INS6_11hip_rocprim26transform_input_iterator_tIbPKhN2at6native10EqualsModeEEENSD_19counting_iterator_tIlEES8_S8_S8_S8_S8_S8_S8_S8_EEEEPS9_S9_NSD_9__find_if7functorIS9_EEEE10hipError_tPvRmT1_T2_T3_mT4_P12ihipStream_tbEUlT_E1_NS1_11comp_targetILNS1_3genE9ELNS1_11target_archE1100ELNS1_3gpuE3ELNS1_3repE0EEENS1_30default_config_static_selectorELNS0_4arch9wavefront6targetE1EEEvSW_
		.amdhsa_group_segment_fixed_size 0
		.amdhsa_private_segment_fixed_size 0
		.amdhsa_kernarg_size 72
		.amdhsa_user_sgpr_count 6
		.amdhsa_user_sgpr_private_segment_buffer 1
		.amdhsa_user_sgpr_dispatch_ptr 0
		.amdhsa_user_sgpr_queue_ptr 0
		.amdhsa_user_sgpr_kernarg_segment_ptr 1
		.amdhsa_user_sgpr_dispatch_id 0
		.amdhsa_user_sgpr_flat_scratch_init 0
		.amdhsa_user_sgpr_private_segment_size 0
		.amdhsa_uses_dynamic_stack 0
		.amdhsa_system_sgpr_private_segment_wavefront_offset 0
		.amdhsa_system_sgpr_workgroup_id_x 1
		.amdhsa_system_sgpr_workgroup_id_y 0
		.amdhsa_system_sgpr_workgroup_id_z 0
		.amdhsa_system_sgpr_workgroup_info 0
		.amdhsa_system_vgpr_workitem_id 0
		.amdhsa_next_free_vgpr 1
		.amdhsa_next_free_sgpr 0
		.amdhsa_reserve_vcc 0
		.amdhsa_reserve_flat_scratch 0
		.amdhsa_float_round_mode_32 0
		.amdhsa_float_round_mode_16_64 0
		.amdhsa_float_denorm_mode_32 3
		.amdhsa_float_denorm_mode_16_64 3
		.amdhsa_dx10_clamp 1
		.amdhsa_ieee_mode 1
		.amdhsa_fp16_overflow 0
		.amdhsa_exception_fp_ieee_invalid_op 0
		.amdhsa_exception_fp_denorm_src 0
		.amdhsa_exception_fp_ieee_div_zero 0
		.amdhsa_exception_fp_ieee_overflow 0
		.amdhsa_exception_fp_ieee_underflow 0
		.amdhsa_exception_fp_ieee_inexact 0
		.amdhsa_exception_int_div_zero 0
	.end_amdhsa_kernel
	.section	.text._ZN7rocprim17ROCPRIM_400000_NS6detail17trampoline_kernelINS0_14default_configENS1_22reduce_config_selectorIN6thrust23THRUST_200600_302600_NS5tupleIblNS6_9null_typeES8_S8_S8_S8_S8_S8_S8_EEEEZNS1_11reduce_implILb1ES3_NS6_12zip_iteratorINS7_INS6_11hip_rocprim26transform_input_iterator_tIbPKhN2at6native10EqualsModeEEENSD_19counting_iterator_tIlEES8_S8_S8_S8_S8_S8_S8_S8_EEEEPS9_S9_NSD_9__find_if7functorIS9_EEEE10hipError_tPvRmT1_T2_T3_mT4_P12ihipStream_tbEUlT_E1_NS1_11comp_targetILNS1_3genE9ELNS1_11target_archE1100ELNS1_3gpuE3ELNS1_3repE0EEENS1_30default_config_static_selectorELNS0_4arch9wavefront6targetE1EEEvSW_,"axG",@progbits,_ZN7rocprim17ROCPRIM_400000_NS6detail17trampoline_kernelINS0_14default_configENS1_22reduce_config_selectorIN6thrust23THRUST_200600_302600_NS5tupleIblNS6_9null_typeES8_S8_S8_S8_S8_S8_S8_EEEEZNS1_11reduce_implILb1ES3_NS6_12zip_iteratorINS7_INS6_11hip_rocprim26transform_input_iterator_tIbPKhN2at6native10EqualsModeEEENSD_19counting_iterator_tIlEES8_S8_S8_S8_S8_S8_S8_S8_EEEEPS9_S9_NSD_9__find_if7functorIS9_EEEE10hipError_tPvRmT1_T2_T3_mT4_P12ihipStream_tbEUlT_E1_NS1_11comp_targetILNS1_3genE9ELNS1_11target_archE1100ELNS1_3gpuE3ELNS1_3repE0EEENS1_30default_config_static_selectorELNS0_4arch9wavefront6targetE1EEEvSW_,comdat
.Lfunc_end70:
	.size	_ZN7rocprim17ROCPRIM_400000_NS6detail17trampoline_kernelINS0_14default_configENS1_22reduce_config_selectorIN6thrust23THRUST_200600_302600_NS5tupleIblNS6_9null_typeES8_S8_S8_S8_S8_S8_S8_EEEEZNS1_11reduce_implILb1ES3_NS6_12zip_iteratorINS7_INS6_11hip_rocprim26transform_input_iterator_tIbPKhN2at6native10EqualsModeEEENSD_19counting_iterator_tIlEES8_S8_S8_S8_S8_S8_S8_S8_EEEEPS9_S9_NSD_9__find_if7functorIS9_EEEE10hipError_tPvRmT1_T2_T3_mT4_P12ihipStream_tbEUlT_E1_NS1_11comp_targetILNS1_3genE9ELNS1_11target_archE1100ELNS1_3gpuE3ELNS1_3repE0EEENS1_30default_config_static_selectorELNS0_4arch9wavefront6targetE1EEEvSW_, .Lfunc_end70-_ZN7rocprim17ROCPRIM_400000_NS6detail17trampoline_kernelINS0_14default_configENS1_22reduce_config_selectorIN6thrust23THRUST_200600_302600_NS5tupleIblNS6_9null_typeES8_S8_S8_S8_S8_S8_S8_EEEEZNS1_11reduce_implILb1ES3_NS6_12zip_iteratorINS7_INS6_11hip_rocprim26transform_input_iterator_tIbPKhN2at6native10EqualsModeEEENSD_19counting_iterator_tIlEES8_S8_S8_S8_S8_S8_S8_S8_EEEEPS9_S9_NSD_9__find_if7functorIS9_EEEE10hipError_tPvRmT1_T2_T3_mT4_P12ihipStream_tbEUlT_E1_NS1_11comp_targetILNS1_3genE9ELNS1_11target_archE1100ELNS1_3gpuE3ELNS1_3repE0EEENS1_30default_config_static_selectorELNS0_4arch9wavefront6targetE1EEEvSW_
                                        ; -- End function
	.set _ZN7rocprim17ROCPRIM_400000_NS6detail17trampoline_kernelINS0_14default_configENS1_22reduce_config_selectorIN6thrust23THRUST_200600_302600_NS5tupleIblNS6_9null_typeES8_S8_S8_S8_S8_S8_S8_EEEEZNS1_11reduce_implILb1ES3_NS6_12zip_iteratorINS7_INS6_11hip_rocprim26transform_input_iterator_tIbPKhN2at6native10EqualsModeEEENSD_19counting_iterator_tIlEES8_S8_S8_S8_S8_S8_S8_S8_EEEEPS9_S9_NSD_9__find_if7functorIS9_EEEE10hipError_tPvRmT1_T2_T3_mT4_P12ihipStream_tbEUlT_E1_NS1_11comp_targetILNS1_3genE9ELNS1_11target_archE1100ELNS1_3gpuE3ELNS1_3repE0EEENS1_30default_config_static_selectorELNS0_4arch9wavefront6targetE1EEEvSW_.num_vgpr, 0
	.set _ZN7rocprim17ROCPRIM_400000_NS6detail17trampoline_kernelINS0_14default_configENS1_22reduce_config_selectorIN6thrust23THRUST_200600_302600_NS5tupleIblNS6_9null_typeES8_S8_S8_S8_S8_S8_S8_EEEEZNS1_11reduce_implILb1ES3_NS6_12zip_iteratorINS7_INS6_11hip_rocprim26transform_input_iterator_tIbPKhN2at6native10EqualsModeEEENSD_19counting_iterator_tIlEES8_S8_S8_S8_S8_S8_S8_S8_EEEEPS9_S9_NSD_9__find_if7functorIS9_EEEE10hipError_tPvRmT1_T2_T3_mT4_P12ihipStream_tbEUlT_E1_NS1_11comp_targetILNS1_3genE9ELNS1_11target_archE1100ELNS1_3gpuE3ELNS1_3repE0EEENS1_30default_config_static_selectorELNS0_4arch9wavefront6targetE1EEEvSW_.num_agpr, 0
	.set _ZN7rocprim17ROCPRIM_400000_NS6detail17trampoline_kernelINS0_14default_configENS1_22reduce_config_selectorIN6thrust23THRUST_200600_302600_NS5tupleIblNS6_9null_typeES8_S8_S8_S8_S8_S8_S8_EEEEZNS1_11reduce_implILb1ES3_NS6_12zip_iteratorINS7_INS6_11hip_rocprim26transform_input_iterator_tIbPKhN2at6native10EqualsModeEEENSD_19counting_iterator_tIlEES8_S8_S8_S8_S8_S8_S8_S8_EEEEPS9_S9_NSD_9__find_if7functorIS9_EEEE10hipError_tPvRmT1_T2_T3_mT4_P12ihipStream_tbEUlT_E1_NS1_11comp_targetILNS1_3genE9ELNS1_11target_archE1100ELNS1_3gpuE3ELNS1_3repE0EEENS1_30default_config_static_selectorELNS0_4arch9wavefront6targetE1EEEvSW_.numbered_sgpr, 0
	.set _ZN7rocprim17ROCPRIM_400000_NS6detail17trampoline_kernelINS0_14default_configENS1_22reduce_config_selectorIN6thrust23THRUST_200600_302600_NS5tupleIblNS6_9null_typeES8_S8_S8_S8_S8_S8_S8_EEEEZNS1_11reduce_implILb1ES3_NS6_12zip_iteratorINS7_INS6_11hip_rocprim26transform_input_iterator_tIbPKhN2at6native10EqualsModeEEENSD_19counting_iterator_tIlEES8_S8_S8_S8_S8_S8_S8_S8_EEEEPS9_S9_NSD_9__find_if7functorIS9_EEEE10hipError_tPvRmT1_T2_T3_mT4_P12ihipStream_tbEUlT_E1_NS1_11comp_targetILNS1_3genE9ELNS1_11target_archE1100ELNS1_3gpuE3ELNS1_3repE0EEENS1_30default_config_static_selectorELNS0_4arch9wavefront6targetE1EEEvSW_.num_named_barrier, 0
	.set _ZN7rocprim17ROCPRIM_400000_NS6detail17trampoline_kernelINS0_14default_configENS1_22reduce_config_selectorIN6thrust23THRUST_200600_302600_NS5tupleIblNS6_9null_typeES8_S8_S8_S8_S8_S8_S8_EEEEZNS1_11reduce_implILb1ES3_NS6_12zip_iteratorINS7_INS6_11hip_rocprim26transform_input_iterator_tIbPKhN2at6native10EqualsModeEEENSD_19counting_iterator_tIlEES8_S8_S8_S8_S8_S8_S8_S8_EEEEPS9_S9_NSD_9__find_if7functorIS9_EEEE10hipError_tPvRmT1_T2_T3_mT4_P12ihipStream_tbEUlT_E1_NS1_11comp_targetILNS1_3genE9ELNS1_11target_archE1100ELNS1_3gpuE3ELNS1_3repE0EEENS1_30default_config_static_selectorELNS0_4arch9wavefront6targetE1EEEvSW_.private_seg_size, 0
	.set _ZN7rocprim17ROCPRIM_400000_NS6detail17trampoline_kernelINS0_14default_configENS1_22reduce_config_selectorIN6thrust23THRUST_200600_302600_NS5tupleIblNS6_9null_typeES8_S8_S8_S8_S8_S8_S8_EEEEZNS1_11reduce_implILb1ES3_NS6_12zip_iteratorINS7_INS6_11hip_rocprim26transform_input_iterator_tIbPKhN2at6native10EqualsModeEEENSD_19counting_iterator_tIlEES8_S8_S8_S8_S8_S8_S8_S8_EEEEPS9_S9_NSD_9__find_if7functorIS9_EEEE10hipError_tPvRmT1_T2_T3_mT4_P12ihipStream_tbEUlT_E1_NS1_11comp_targetILNS1_3genE9ELNS1_11target_archE1100ELNS1_3gpuE3ELNS1_3repE0EEENS1_30default_config_static_selectorELNS0_4arch9wavefront6targetE1EEEvSW_.uses_vcc, 0
	.set _ZN7rocprim17ROCPRIM_400000_NS6detail17trampoline_kernelINS0_14default_configENS1_22reduce_config_selectorIN6thrust23THRUST_200600_302600_NS5tupleIblNS6_9null_typeES8_S8_S8_S8_S8_S8_S8_EEEEZNS1_11reduce_implILb1ES3_NS6_12zip_iteratorINS7_INS6_11hip_rocprim26transform_input_iterator_tIbPKhN2at6native10EqualsModeEEENSD_19counting_iterator_tIlEES8_S8_S8_S8_S8_S8_S8_S8_EEEEPS9_S9_NSD_9__find_if7functorIS9_EEEE10hipError_tPvRmT1_T2_T3_mT4_P12ihipStream_tbEUlT_E1_NS1_11comp_targetILNS1_3genE9ELNS1_11target_archE1100ELNS1_3gpuE3ELNS1_3repE0EEENS1_30default_config_static_selectorELNS0_4arch9wavefront6targetE1EEEvSW_.uses_flat_scratch, 0
	.set _ZN7rocprim17ROCPRIM_400000_NS6detail17trampoline_kernelINS0_14default_configENS1_22reduce_config_selectorIN6thrust23THRUST_200600_302600_NS5tupleIblNS6_9null_typeES8_S8_S8_S8_S8_S8_S8_EEEEZNS1_11reduce_implILb1ES3_NS6_12zip_iteratorINS7_INS6_11hip_rocprim26transform_input_iterator_tIbPKhN2at6native10EqualsModeEEENSD_19counting_iterator_tIlEES8_S8_S8_S8_S8_S8_S8_S8_EEEEPS9_S9_NSD_9__find_if7functorIS9_EEEE10hipError_tPvRmT1_T2_T3_mT4_P12ihipStream_tbEUlT_E1_NS1_11comp_targetILNS1_3genE9ELNS1_11target_archE1100ELNS1_3gpuE3ELNS1_3repE0EEENS1_30default_config_static_selectorELNS0_4arch9wavefront6targetE1EEEvSW_.has_dyn_sized_stack, 0
	.set _ZN7rocprim17ROCPRIM_400000_NS6detail17trampoline_kernelINS0_14default_configENS1_22reduce_config_selectorIN6thrust23THRUST_200600_302600_NS5tupleIblNS6_9null_typeES8_S8_S8_S8_S8_S8_S8_EEEEZNS1_11reduce_implILb1ES3_NS6_12zip_iteratorINS7_INS6_11hip_rocprim26transform_input_iterator_tIbPKhN2at6native10EqualsModeEEENSD_19counting_iterator_tIlEES8_S8_S8_S8_S8_S8_S8_S8_EEEEPS9_S9_NSD_9__find_if7functorIS9_EEEE10hipError_tPvRmT1_T2_T3_mT4_P12ihipStream_tbEUlT_E1_NS1_11comp_targetILNS1_3genE9ELNS1_11target_archE1100ELNS1_3gpuE3ELNS1_3repE0EEENS1_30default_config_static_selectorELNS0_4arch9wavefront6targetE1EEEvSW_.has_recursion, 0
	.set _ZN7rocprim17ROCPRIM_400000_NS6detail17trampoline_kernelINS0_14default_configENS1_22reduce_config_selectorIN6thrust23THRUST_200600_302600_NS5tupleIblNS6_9null_typeES8_S8_S8_S8_S8_S8_S8_EEEEZNS1_11reduce_implILb1ES3_NS6_12zip_iteratorINS7_INS6_11hip_rocprim26transform_input_iterator_tIbPKhN2at6native10EqualsModeEEENSD_19counting_iterator_tIlEES8_S8_S8_S8_S8_S8_S8_S8_EEEEPS9_S9_NSD_9__find_if7functorIS9_EEEE10hipError_tPvRmT1_T2_T3_mT4_P12ihipStream_tbEUlT_E1_NS1_11comp_targetILNS1_3genE9ELNS1_11target_archE1100ELNS1_3gpuE3ELNS1_3repE0EEENS1_30default_config_static_selectorELNS0_4arch9wavefront6targetE1EEEvSW_.has_indirect_call, 0
	.section	.AMDGPU.csdata,"",@progbits
; Kernel info:
; codeLenInByte = 0
; TotalNumSgprs: 4
; NumVgprs: 0
; ScratchSize: 0
; MemoryBound: 0
; FloatMode: 240
; IeeeMode: 1
; LDSByteSize: 0 bytes/workgroup (compile time only)
; SGPRBlocks: 0
; VGPRBlocks: 0
; NumSGPRsForWavesPerEU: 4
; NumVGPRsForWavesPerEU: 1
; Occupancy: 10
; WaveLimiterHint : 0
; COMPUTE_PGM_RSRC2:SCRATCH_EN: 0
; COMPUTE_PGM_RSRC2:USER_SGPR: 6
; COMPUTE_PGM_RSRC2:TRAP_HANDLER: 0
; COMPUTE_PGM_RSRC2:TGID_X_EN: 1
; COMPUTE_PGM_RSRC2:TGID_Y_EN: 0
; COMPUTE_PGM_RSRC2:TGID_Z_EN: 0
; COMPUTE_PGM_RSRC2:TIDIG_COMP_CNT: 0
	.section	.text._ZN7rocprim17ROCPRIM_400000_NS6detail17trampoline_kernelINS0_14default_configENS1_22reduce_config_selectorIN6thrust23THRUST_200600_302600_NS5tupleIblNS6_9null_typeES8_S8_S8_S8_S8_S8_S8_EEEEZNS1_11reduce_implILb1ES3_NS6_12zip_iteratorINS7_INS6_11hip_rocprim26transform_input_iterator_tIbPKhN2at6native10EqualsModeEEENSD_19counting_iterator_tIlEES8_S8_S8_S8_S8_S8_S8_S8_EEEEPS9_S9_NSD_9__find_if7functorIS9_EEEE10hipError_tPvRmT1_T2_T3_mT4_P12ihipStream_tbEUlT_E1_NS1_11comp_targetILNS1_3genE8ELNS1_11target_archE1030ELNS1_3gpuE2ELNS1_3repE0EEENS1_30default_config_static_selectorELNS0_4arch9wavefront6targetE1EEEvSW_,"axG",@progbits,_ZN7rocprim17ROCPRIM_400000_NS6detail17trampoline_kernelINS0_14default_configENS1_22reduce_config_selectorIN6thrust23THRUST_200600_302600_NS5tupleIblNS6_9null_typeES8_S8_S8_S8_S8_S8_S8_EEEEZNS1_11reduce_implILb1ES3_NS6_12zip_iteratorINS7_INS6_11hip_rocprim26transform_input_iterator_tIbPKhN2at6native10EqualsModeEEENSD_19counting_iterator_tIlEES8_S8_S8_S8_S8_S8_S8_S8_EEEEPS9_S9_NSD_9__find_if7functorIS9_EEEE10hipError_tPvRmT1_T2_T3_mT4_P12ihipStream_tbEUlT_E1_NS1_11comp_targetILNS1_3genE8ELNS1_11target_archE1030ELNS1_3gpuE2ELNS1_3repE0EEENS1_30default_config_static_selectorELNS0_4arch9wavefront6targetE1EEEvSW_,comdat
	.protected	_ZN7rocprim17ROCPRIM_400000_NS6detail17trampoline_kernelINS0_14default_configENS1_22reduce_config_selectorIN6thrust23THRUST_200600_302600_NS5tupleIblNS6_9null_typeES8_S8_S8_S8_S8_S8_S8_EEEEZNS1_11reduce_implILb1ES3_NS6_12zip_iteratorINS7_INS6_11hip_rocprim26transform_input_iterator_tIbPKhN2at6native10EqualsModeEEENSD_19counting_iterator_tIlEES8_S8_S8_S8_S8_S8_S8_S8_EEEEPS9_S9_NSD_9__find_if7functorIS9_EEEE10hipError_tPvRmT1_T2_T3_mT4_P12ihipStream_tbEUlT_E1_NS1_11comp_targetILNS1_3genE8ELNS1_11target_archE1030ELNS1_3gpuE2ELNS1_3repE0EEENS1_30default_config_static_selectorELNS0_4arch9wavefront6targetE1EEEvSW_ ; -- Begin function _ZN7rocprim17ROCPRIM_400000_NS6detail17trampoline_kernelINS0_14default_configENS1_22reduce_config_selectorIN6thrust23THRUST_200600_302600_NS5tupleIblNS6_9null_typeES8_S8_S8_S8_S8_S8_S8_EEEEZNS1_11reduce_implILb1ES3_NS6_12zip_iteratorINS7_INS6_11hip_rocprim26transform_input_iterator_tIbPKhN2at6native10EqualsModeEEENSD_19counting_iterator_tIlEES8_S8_S8_S8_S8_S8_S8_S8_EEEEPS9_S9_NSD_9__find_if7functorIS9_EEEE10hipError_tPvRmT1_T2_T3_mT4_P12ihipStream_tbEUlT_E1_NS1_11comp_targetILNS1_3genE8ELNS1_11target_archE1030ELNS1_3gpuE2ELNS1_3repE0EEENS1_30default_config_static_selectorELNS0_4arch9wavefront6targetE1EEEvSW_
	.globl	_ZN7rocprim17ROCPRIM_400000_NS6detail17trampoline_kernelINS0_14default_configENS1_22reduce_config_selectorIN6thrust23THRUST_200600_302600_NS5tupleIblNS6_9null_typeES8_S8_S8_S8_S8_S8_S8_EEEEZNS1_11reduce_implILb1ES3_NS6_12zip_iteratorINS7_INS6_11hip_rocprim26transform_input_iterator_tIbPKhN2at6native10EqualsModeEEENSD_19counting_iterator_tIlEES8_S8_S8_S8_S8_S8_S8_S8_EEEEPS9_S9_NSD_9__find_if7functorIS9_EEEE10hipError_tPvRmT1_T2_T3_mT4_P12ihipStream_tbEUlT_E1_NS1_11comp_targetILNS1_3genE8ELNS1_11target_archE1030ELNS1_3gpuE2ELNS1_3repE0EEENS1_30default_config_static_selectorELNS0_4arch9wavefront6targetE1EEEvSW_
	.p2align	8
	.type	_ZN7rocprim17ROCPRIM_400000_NS6detail17trampoline_kernelINS0_14default_configENS1_22reduce_config_selectorIN6thrust23THRUST_200600_302600_NS5tupleIblNS6_9null_typeES8_S8_S8_S8_S8_S8_S8_EEEEZNS1_11reduce_implILb1ES3_NS6_12zip_iteratorINS7_INS6_11hip_rocprim26transform_input_iterator_tIbPKhN2at6native10EqualsModeEEENSD_19counting_iterator_tIlEES8_S8_S8_S8_S8_S8_S8_S8_EEEEPS9_S9_NSD_9__find_if7functorIS9_EEEE10hipError_tPvRmT1_T2_T3_mT4_P12ihipStream_tbEUlT_E1_NS1_11comp_targetILNS1_3genE8ELNS1_11target_archE1030ELNS1_3gpuE2ELNS1_3repE0EEENS1_30default_config_static_selectorELNS0_4arch9wavefront6targetE1EEEvSW_,@function
_ZN7rocprim17ROCPRIM_400000_NS6detail17trampoline_kernelINS0_14default_configENS1_22reduce_config_selectorIN6thrust23THRUST_200600_302600_NS5tupleIblNS6_9null_typeES8_S8_S8_S8_S8_S8_S8_EEEEZNS1_11reduce_implILb1ES3_NS6_12zip_iteratorINS7_INS6_11hip_rocprim26transform_input_iterator_tIbPKhN2at6native10EqualsModeEEENSD_19counting_iterator_tIlEES8_S8_S8_S8_S8_S8_S8_S8_EEEEPS9_S9_NSD_9__find_if7functorIS9_EEEE10hipError_tPvRmT1_T2_T3_mT4_P12ihipStream_tbEUlT_E1_NS1_11comp_targetILNS1_3genE8ELNS1_11target_archE1030ELNS1_3gpuE2ELNS1_3repE0EEENS1_30default_config_static_selectorELNS0_4arch9wavefront6targetE1EEEvSW_: ; @_ZN7rocprim17ROCPRIM_400000_NS6detail17trampoline_kernelINS0_14default_configENS1_22reduce_config_selectorIN6thrust23THRUST_200600_302600_NS5tupleIblNS6_9null_typeES8_S8_S8_S8_S8_S8_S8_EEEEZNS1_11reduce_implILb1ES3_NS6_12zip_iteratorINS7_INS6_11hip_rocprim26transform_input_iterator_tIbPKhN2at6native10EqualsModeEEENSD_19counting_iterator_tIlEES8_S8_S8_S8_S8_S8_S8_S8_EEEEPS9_S9_NSD_9__find_if7functorIS9_EEEE10hipError_tPvRmT1_T2_T3_mT4_P12ihipStream_tbEUlT_E1_NS1_11comp_targetILNS1_3genE8ELNS1_11target_archE1030ELNS1_3gpuE2ELNS1_3repE0EEENS1_30default_config_static_selectorELNS0_4arch9wavefront6targetE1EEEvSW_
; %bb.0:
	.section	.rodata,"a",@progbits
	.p2align	6, 0x0
	.amdhsa_kernel _ZN7rocprim17ROCPRIM_400000_NS6detail17trampoline_kernelINS0_14default_configENS1_22reduce_config_selectorIN6thrust23THRUST_200600_302600_NS5tupleIblNS6_9null_typeES8_S8_S8_S8_S8_S8_S8_EEEEZNS1_11reduce_implILb1ES3_NS6_12zip_iteratorINS7_INS6_11hip_rocprim26transform_input_iterator_tIbPKhN2at6native10EqualsModeEEENSD_19counting_iterator_tIlEES8_S8_S8_S8_S8_S8_S8_S8_EEEEPS9_S9_NSD_9__find_if7functorIS9_EEEE10hipError_tPvRmT1_T2_T3_mT4_P12ihipStream_tbEUlT_E1_NS1_11comp_targetILNS1_3genE8ELNS1_11target_archE1030ELNS1_3gpuE2ELNS1_3repE0EEENS1_30default_config_static_selectorELNS0_4arch9wavefront6targetE1EEEvSW_
		.amdhsa_group_segment_fixed_size 0
		.amdhsa_private_segment_fixed_size 0
		.amdhsa_kernarg_size 72
		.amdhsa_user_sgpr_count 6
		.amdhsa_user_sgpr_private_segment_buffer 1
		.amdhsa_user_sgpr_dispatch_ptr 0
		.amdhsa_user_sgpr_queue_ptr 0
		.amdhsa_user_sgpr_kernarg_segment_ptr 1
		.amdhsa_user_sgpr_dispatch_id 0
		.amdhsa_user_sgpr_flat_scratch_init 0
		.amdhsa_user_sgpr_private_segment_size 0
		.amdhsa_uses_dynamic_stack 0
		.amdhsa_system_sgpr_private_segment_wavefront_offset 0
		.amdhsa_system_sgpr_workgroup_id_x 1
		.amdhsa_system_sgpr_workgroup_id_y 0
		.amdhsa_system_sgpr_workgroup_id_z 0
		.amdhsa_system_sgpr_workgroup_info 0
		.amdhsa_system_vgpr_workitem_id 0
		.amdhsa_next_free_vgpr 1
		.amdhsa_next_free_sgpr 0
		.amdhsa_reserve_vcc 0
		.amdhsa_reserve_flat_scratch 0
		.amdhsa_float_round_mode_32 0
		.amdhsa_float_round_mode_16_64 0
		.amdhsa_float_denorm_mode_32 3
		.amdhsa_float_denorm_mode_16_64 3
		.amdhsa_dx10_clamp 1
		.amdhsa_ieee_mode 1
		.amdhsa_fp16_overflow 0
		.amdhsa_exception_fp_ieee_invalid_op 0
		.amdhsa_exception_fp_denorm_src 0
		.amdhsa_exception_fp_ieee_div_zero 0
		.amdhsa_exception_fp_ieee_overflow 0
		.amdhsa_exception_fp_ieee_underflow 0
		.amdhsa_exception_fp_ieee_inexact 0
		.amdhsa_exception_int_div_zero 0
	.end_amdhsa_kernel
	.section	.text._ZN7rocprim17ROCPRIM_400000_NS6detail17trampoline_kernelINS0_14default_configENS1_22reduce_config_selectorIN6thrust23THRUST_200600_302600_NS5tupleIblNS6_9null_typeES8_S8_S8_S8_S8_S8_S8_EEEEZNS1_11reduce_implILb1ES3_NS6_12zip_iteratorINS7_INS6_11hip_rocprim26transform_input_iterator_tIbPKhN2at6native10EqualsModeEEENSD_19counting_iterator_tIlEES8_S8_S8_S8_S8_S8_S8_S8_EEEEPS9_S9_NSD_9__find_if7functorIS9_EEEE10hipError_tPvRmT1_T2_T3_mT4_P12ihipStream_tbEUlT_E1_NS1_11comp_targetILNS1_3genE8ELNS1_11target_archE1030ELNS1_3gpuE2ELNS1_3repE0EEENS1_30default_config_static_selectorELNS0_4arch9wavefront6targetE1EEEvSW_,"axG",@progbits,_ZN7rocprim17ROCPRIM_400000_NS6detail17trampoline_kernelINS0_14default_configENS1_22reduce_config_selectorIN6thrust23THRUST_200600_302600_NS5tupleIblNS6_9null_typeES8_S8_S8_S8_S8_S8_S8_EEEEZNS1_11reduce_implILb1ES3_NS6_12zip_iteratorINS7_INS6_11hip_rocprim26transform_input_iterator_tIbPKhN2at6native10EqualsModeEEENSD_19counting_iterator_tIlEES8_S8_S8_S8_S8_S8_S8_S8_EEEEPS9_S9_NSD_9__find_if7functorIS9_EEEE10hipError_tPvRmT1_T2_T3_mT4_P12ihipStream_tbEUlT_E1_NS1_11comp_targetILNS1_3genE8ELNS1_11target_archE1030ELNS1_3gpuE2ELNS1_3repE0EEENS1_30default_config_static_selectorELNS0_4arch9wavefront6targetE1EEEvSW_,comdat
.Lfunc_end71:
	.size	_ZN7rocprim17ROCPRIM_400000_NS6detail17trampoline_kernelINS0_14default_configENS1_22reduce_config_selectorIN6thrust23THRUST_200600_302600_NS5tupleIblNS6_9null_typeES8_S8_S8_S8_S8_S8_S8_EEEEZNS1_11reduce_implILb1ES3_NS6_12zip_iteratorINS7_INS6_11hip_rocprim26transform_input_iterator_tIbPKhN2at6native10EqualsModeEEENSD_19counting_iterator_tIlEES8_S8_S8_S8_S8_S8_S8_S8_EEEEPS9_S9_NSD_9__find_if7functorIS9_EEEE10hipError_tPvRmT1_T2_T3_mT4_P12ihipStream_tbEUlT_E1_NS1_11comp_targetILNS1_3genE8ELNS1_11target_archE1030ELNS1_3gpuE2ELNS1_3repE0EEENS1_30default_config_static_selectorELNS0_4arch9wavefront6targetE1EEEvSW_, .Lfunc_end71-_ZN7rocprim17ROCPRIM_400000_NS6detail17trampoline_kernelINS0_14default_configENS1_22reduce_config_selectorIN6thrust23THRUST_200600_302600_NS5tupleIblNS6_9null_typeES8_S8_S8_S8_S8_S8_S8_EEEEZNS1_11reduce_implILb1ES3_NS6_12zip_iteratorINS7_INS6_11hip_rocprim26transform_input_iterator_tIbPKhN2at6native10EqualsModeEEENSD_19counting_iterator_tIlEES8_S8_S8_S8_S8_S8_S8_S8_EEEEPS9_S9_NSD_9__find_if7functorIS9_EEEE10hipError_tPvRmT1_T2_T3_mT4_P12ihipStream_tbEUlT_E1_NS1_11comp_targetILNS1_3genE8ELNS1_11target_archE1030ELNS1_3gpuE2ELNS1_3repE0EEENS1_30default_config_static_selectorELNS0_4arch9wavefront6targetE1EEEvSW_
                                        ; -- End function
	.set _ZN7rocprim17ROCPRIM_400000_NS6detail17trampoline_kernelINS0_14default_configENS1_22reduce_config_selectorIN6thrust23THRUST_200600_302600_NS5tupleIblNS6_9null_typeES8_S8_S8_S8_S8_S8_S8_EEEEZNS1_11reduce_implILb1ES3_NS6_12zip_iteratorINS7_INS6_11hip_rocprim26transform_input_iterator_tIbPKhN2at6native10EqualsModeEEENSD_19counting_iterator_tIlEES8_S8_S8_S8_S8_S8_S8_S8_EEEEPS9_S9_NSD_9__find_if7functorIS9_EEEE10hipError_tPvRmT1_T2_T3_mT4_P12ihipStream_tbEUlT_E1_NS1_11comp_targetILNS1_3genE8ELNS1_11target_archE1030ELNS1_3gpuE2ELNS1_3repE0EEENS1_30default_config_static_selectorELNS0_4arch9wavefront6targetE1EEEvSW_.num_vgpr, 0
	.set _ZN7rocprim17ROCPRIM_400000_NS6detail17trampoline_kernelINS0_14default_configENS1_22reduce_config_selectorIN6thrust23THRUST_200600_302600_NS5tupleIblNS6_9null_typeES8_S8_S8_S8_S8_S8_S8_EEEEZNS1_11reduce_implILb1ES3_NS6_12zip_iteratorINS7_INS6_11hip_rocprim26transform_input_iterator_tIbPKhN2at6native10EqualsModeEEENSD_19counting_iterator_tIlEES8_S8_S8_S8_S8_S8_S8_S8_EEEEPS9_S9_NSD_9__find_if7functorIS9_EEEE10hipError_tPvRmT1_T2_T3_mT4_P12ihipStream_tbEUlT_E1_NS1_11comp_targetILNS1_3genE8ELNS1_11target_archE1030ELNS1_3gpuE2ELNS1_3repE0EEENS1_30default_config_static_selectorELNS0_4arch9wavefront6targetE1EEEvSW_.num_agpr, 0
	.set _ZN7rocprim17ROCPRIM_400000_NS6detail17trampoline_kernelINS0_14default_configENS1_22reduce_config_selectorIN6thrust23THRUST_200600_302600_NS5tupleIblNS6_9null_typeES8_S8_S8_S8_S8_S8_S8_EEEEZNS1_11reduce_implILb1ES3_NS6_12zip_iteratorINS7_INS6_11hip_rocprim26transform_input_iterator_tIbPKhN2at6native10EqualsModeEEENSD_19counting_iterator_tIlEES8_S8_S8_S8_S8_S8_S8_S8_EEEEPS9_S9_NSD_9__find_if7functorIS9_EEEE10hipError_tPvRmT1_T2_T3_mT4_P12ihipStream_tbEUlT_E1_NS1_11comp_targetILNS1_3genE8ELNS1_11target_archE1030ELNS1_3gpuE2ELNS1_3repE0EEENS1_30default_config_static_selectorELNS0_4arch9wavefront6targetE1EEEvSW_.numbered_sgpr, 0
	.set _ZN7rocprim17ROCPRIM_400000_NS6detail17trampoline_kernelINS0_14default_configENS1_22reduce_config_selectorIN6thrust23THRUST_200600_302600_NS5tupleIblNS6_9null_typeES8_S8_S8_S8_S8_S8_S8_EEEEZNS1_11reduce_implILb1ES3_NS6_12zip_iteratorINS7_INS6_11hip_rocprim26transform_input_iterator_tIbPKhN2at6native10EqualsModeEEENSD_19counting_iterator_tIlEES8_S8_S8_S8_S8_S8_S8_S8_EEEEPS9_S9_NSD_9__find_if7functorIS9_EEEE10hipError_tPvRmT1_T2_T3_mT4_P12ihipStream_tbEUlT_E1_NS1_11comp_targetILNS1_3genE8ELNS1_11target_archE1030ELNS1_3gpuE2ELNS1_3repE0EEENS1_30default_config_static_selectorELNS0_4arch9wavefront6targetE1EEEvSW_.num_named_barrier, 0
	.set _ZN7rocprim17ROCPRIM_400000_NS6detail17trampoline_kernelINS0_14default_configENS1_22reduce_config_selectorIN6thrust23THRUST_200600_302600_NS5tupleIblNS6_9null_typeES8_S8_S8_S8_S8_S8_S8_EEEEZNS1_11reduce_implILb1ES3_NS6_12zip_iteratorINS7_INS6_11hip_rocprim26transform_input_iterator_tIbPKhN2at6native10EqualsModeEEENSD_19counting_iterator_tIlEES8_S8_S8_S8_S8_S8_S8_S8_EEEEPS9_S9_NSD_9__find_if7functorIS9_EEEE10hipError_tPvRmT1_T2_T3_mT4_P12ihipStream_tbEUlT_E1_NS1_11comp_targetILNS1_3genE8ELNS1_11target_archE1030ELNS1_3gpuE2ELNS1_3repE0EEENS1_30default_config_static_selectorELNS0_4arch9wavefront6targetE1EEEvSW_.private_seg_size, 0
	.set _ZN7rocprim17ROCPRIM_400000_NS6detail17trampoline_kernelINS0_14default_configENS1_22reduce_config_selectorIN6thrust23THRUST_200600_302600_NS5tupleIblNS6_9null_typeES8_S8_S8_S8_S8_S8_S8_EEEEZNS1_11reduce_implILb1ES3_NS6_12zip_iteratorINS7_INS6_11hip_rocprim26transform_input_iterator_tIbPKhN2at6native10EqualsModeEEENSD_19counting_iterator_tIlEES8_S8_S8_S8_S8_S8_S8_S8_EEEEPS9_S9_NSD_9__find_if7functorIS9_EEEE10hipError_tPvRmT1_T2_T3_mT4_P12ihipStream_tbEUlT_E1_NS1_11comp_targetILNS1_3genE8ELNS1_11target_archE1030ELNS1_3gpuE2ELNS1_3repE0EEENS1_30default_config_static_selectorELNS0_4arch9wavefront6targetE1EEEvSW_.uses_vcc, 0
	.set _ZN7rocprim17ROCPRIM_400000_NS6detail17trampoline_kernelINS0_14default_configENS1_22reduce_config_selectorIN6thrust23THRUST_200600_302600_NS5tupleIblNS6_9null_typeES8_S8_S8_S8_S8_S8_S8_EEEEZNS1_11reduce_implILb1ES3_NS6_12zip_iteratorINS7_INS6_11hip_rocprim26transform_input_iterator_tIbPKhN2at6native10EqualsModeEEENSD_19counting_iterator_tIlEES8_S8_S8_S8_S8_S8_S8_S8_EEEEPS9_S9_NSD_9__find_if7functorIS9_EEEE10hipError_tPvRmT1_T2_T3_mT4_P12ihipStream_tbEUlT_E1_NS1_11comp_targetILNS1_3genE8ELNS1_11target_archE1030ELNS1_3gpuE2ELNS1_3repE0EEENS1_30default_config_static_selectorELNS0_4arch9wavefront6targetE1EEEvSW_.uses_flat_scratch, 0
	.set _ZN7rocprim17ROCPRIM_400000_NS6detail17trampoline_kernelINS0_14default_configENS1_22reduce_config_selectorIN6thrust23THRUST_200600_302600_NS5tupleIblNS6_9null_typeES8_S8_S8_S8_S8_S8_S8_EEEEZNS1_11reduce_implILb1ES3_NS6_12zip_iteratorINS7_INS6_11hip_rocprim26transform_input_iterator_tIbPKhN2at6native10EqualsModeEEENSD_19counting_iterator_tIlEES8_S8_S8_S8_S8_S8_S8_S8_EEEEPS9_S9_NSD_9__find_if7functorIS9_EEEE10hipError_tPvRmT1_T2_T3_mT4_P12ihipStream_tbEUlT_E1_NS1_11comp_targetILNS1_3genE8ELNS1_11target_archE1030ELNS1_3gpuE2ELNS1_3repE0EEENS1_30default_config_static_selectorELNS0_4arch9wavefront6targetE1EEEvSW_.has_dyn_sized_stack, 0
	.set _ZN7rocprim17ROCPRIM_400000_NS6detail17trampoline_kernelINS0_14default_configENS1_22reduce_config_selectorIN6thrust23THRUST_200600_302600_NS5tupleIblNS6_9null_typeES8_S8_S8_S8_S8_S8_S8_EEEEZNS1_11reduce_implILb1ES3_NS6_12zip_iteratorINS7_INS6_11hip_rocprim26transform_input_iterator_tIbPKhN2at6native10EqualsModeEEENSD_19counting_iterator_tIlEES8_S8_S8_S8_S8_S8_S8_S8_EEEEPS9_S9_NSD_9__find_if7functorIS9_EEEE10hipError_tPvRmT1_T2_T3_mT4_P12ihipStream_tbEUlT_E1_NS1_11comp_targetILNS1_3genE8ELNS1_11target_archE1030ELNS1_3gpuE2ELNS1_3repE0EEENS1_30default_config_static_selectorELNS0_4arch9wavefront6targetE1EEEvSW_.has_recursion, 0
	.set _ZN7rocprim17ROCPRIM_400000_NS6detail17trampoline_kernelINS0_14default_configENS1_22reduce_config_selectorIN6thrust23THRUST_200600_302600_NS5tupleIblNS6_9null_typeES8_S8_S8_S8_S8_S8_S8_EEEEZNS1_11reduce_implILb1ES3_NS6_12zip_iteratorINS7_INS6_11hip_rocprim26transform_input_iterator_tIbPKhN2at6native10EqualsModeEEENSD_19counting_iterator_tIlEES8_S8_S8_S8_S8_S8_S8_S8_EEEEPS9_S9_NSD_9__find_if7functorIS9_EEEE10hipError_tPvRmT1_T2_T3_mT4_P12ihipStream_tbEUlT_E1_NS1_11comp_targetILNS1_3genE8ELNS1_11target_archE1030ELNS1_3gpuE2ELNS1_3repE0EEENS1_30default_config_static_selectorELNS0_4arch9wavefront6targetE1EEEvSW_.has_indirect_call, 0
	.section	.AMDGPU.csdata,"",@progbits
; Kernel info:
; codeLenInByte = 0
; TotalNumSgprs: 4
; NumVgprs: 0
; ScratchSize: 0
; MemoryBound: 0
; FloatMode: 240
; IeeeMode: 1
; LDSByteSize: 0 bytes/workgroup (compile time only)
; SGPRBlocks: 0
; VGPRBlocks: 0
; NumSGPRsForWavesPerEU: 4
; NumVGPRsForWavesPerEU: 1
; Occupancy: 10
; WaveLimiterHint : 0
; COMPUTE_PGM_RSRC2:SCRATCH_EN: 0
; COMPUTE_PGM_RSRC2:USER_SGPR: 6
; COMPUTE_PGM_RSRC2:TRAP_HANDLER: 0
; COMPUTE_PGM_RSRC2:TGID_X_EN: 1
; COMPUTE_PGM_RSRC2:TGID_Y_EN: 0
; COMPUTE_PGM_RSRC2:TGID_Z_EN: 0
; COMPUTE_PGM_RSRC2:TIDIG_COMP_CNT: 0
	.section	.text._ZN6thrust23THRUST_200600_302600_NS11hip_rocprim14__parallel_for6kernelILj256ENS1_10for_each_fINS0_7pointerINS0_5tupleIblNS0_9null_typeES7_S7_S7_S7_S7_S7_S7_EENS0_6detail22execute_with_allocatorIRN2at4cuda15ThrustAllocatorENS1_22execute_on_stream_baseEEENS0_11use_defaultESH_EENS9_16wrapped_functionINS9_23allocator_traits_detail24construct1_via_allocatorINS9_18no_throw_allocatorINS9_19temporary_allocatorIS8_SG_EEEEEEvEEEEmLj1EEEvT0_T1_SU_,"axG",@progbits,_ZN6thrust23THRUST_200600_302600_NS11hip_rocprim14__parallel_for6kernelILj256ENS1_10for_each_fINS0_7pointerINS0_5tupleIblNS0_9null_typeES7_S7_S7_S7_S7_S7_S7_EENS0_6detail22execute_with_allocatorIRN2at4cuda15ThrustAllocatorENS1_22execute_on_stream_baseEEENS0_11use_defaultESH_EENS9_16wrapped_functionINS9_23allocator_traits_detail24construct1_via_allocatorINS9_18no_throw_allocatorINS9_19temporary_allocatorIS8_SG_EEEEEEvEEEEmLj1EEEvT0_T1_SU_,comdat
	.protected	_ZN6thrust23THRUST_200600_302600_NS11hip_rocprim14__parallel_for6kernelILj256ENS1_10for_each_fINS0_7pointerINS0_5tupleIblNS0_9null_typeES7_S7_S7_S7_S7_S7_S7_EENS0_6detail22execute_with_allocatorIRN2at4cuda15ThrustAllocatorENS1_22execute_on_stream_baseEEENS0_11use_defaultESH_EENS9_16wrapped_functionINS9_23allocator_traits_detail24construct1_via_allocatorINS9_18no_throw_allocatorINS9_19temporary_allocatorIS8_SG_EEEEEEvEEEEmLj1EEEvT0_T1_SU_ ; -- Begin function _ZN6thrust23THRUST_200600_302600_NS11hip_rocprim14__parallel_for6kernelILj256ENS1_10for_each_fINS0_7pointerINS0_5tupleIblNS0_9null_typeES7_S7_S7_S7_S7_S7_S7_EENS0_6detail22execute_with_allocatorIRN2at4cuda15ThrustAllocatorENS1_22execute_on_stream_baseEEENS0_11use_defaultESH_EENS9_16wrapped_functionINS9_23allocator_traits_detail24construct1_via_allocatorINS9_18no_throw_allocatorINS9_19temporary_allocatorIS8_SG_EEEEEEvEEEEmLj1EEEvT0_T1_SU_
	.globl	_ZN6thrust23THRUST_200600_302600_NS11hip_rocprim14__parallel_for6kernelILj256ENS1_10for_each_fINS0_7pointerINS0_5tupleIblNS0_9null_typeES7_S7_S7_S7_S7_S7_S7_EENS0_6detail22execute_with_allocatorIRN2at4cuda15ThrustAllocatorENS1_22execute_on_stream_baseEEENS0_11use_defaultESH_EENS9_16wrapped_functionINS9_23allocator_traits_detail24construct1_via_allocatorINS9_18no_throw_allocatorINS9_19temporary_allocatorIS8_SG_EEEEEEvEEEEmLj1EEEvT0_T1_SU_
	.p2align	8
	.type	_ZN6thrust23THRUST_200600_302600_NS11hip_rocprim14__parallel_for6kernelILj256ENS1_10for_each_fINS0_7pointerINS0_5tupleIblNS0_9null_typeES7_S7_S7_S7_S7_S7_S7_EENS0_6detail22execute_with_allocatorIRN2at4cuda15ThrustAllocatorENS1_22execute_on_stream_baseEEENS0_11use_defaultESH_EENS9_16wrapped_functionINS9_23allocator_traits_detail24construct1_via_allocatorINS9_18no_throw_allocatorINS9_19temporary_allocatorIS8_SG_EEEEEEvEEEEmLj1EEEvT0_T1_SU_,@function
_ZN6thrust23THRUST_200600_302600_NS11hip_rocprim14__parallel_for6kernelILj256ENS1_10for_each_fINS0_7pointerINS0_5tupleIblNS0_9null_typeES7_S7_S7_S7_S7_S7_S7_EENS0_6detail22execute_with_allocatorIRN2at4cuda15ThrustAllocatorENS1_22execute_on_stream_baseEEENS0_11use_defaultESH_EENS9_16wrapped_functionINS9_23allocator_traits_detail24construct1_via_allocatorINS9_18no_throw_allocatorINS9_19temporary_allocatorIS8_SG_EEEEEEvEEEEmLj1EEEvT0_T1_SU_: ; @_ZN6thrust23THRUST_200600_302600_NS11hip_rocprim14__parallel_for6kernelILj256ENS1_10for_each_fINS0_7pointerINS0_5tupleIblNS0_9null_typeES7_S7_S7_S7_S7_S7_S7_EENS0_6detail22execute_with_allocatorIRN2at4cuda15ThrustAllocatorENS1_22execute_on_stream_baseEEENS0_11use_defaultESH_EENS9_16wrapped_functionINS9_23allocator_traits_detail24construct1_via_allocatorINS9_18no_throw_allocatorINS9_19temporary_allocatorIS8_SG_EEEEEEvEEEEmLj1EEEvT0_T1_SU_
; %bb.0:
	s_load_dwordx4 s[8:11], s[4:5], 0x10
	s_load_dwordx2 s[0:1], s[4:5], 0x0
	s_lshl_b32 s2, s6, 8
	v_mov_b32_e32 v1, 0xff
	v_mov_b32_e32 v2, 0
	s_waitcnt lgkmcnt(0)
	s_add_u32 s2, s10, s2
	s_addc_u32 s3, s11, 0
	s_sub_u32 s4, s8, s2
	s_subb_u32 s5, s9, s3
	v_cmp_gt_u64_e32 vcc, s[4:5], v[1:2]
	s_mov_b64 s[6:7], -1
	s_cbranch_vccz .LBB72_3
; %bb.1:
	s_andn2_b64 vcc, exec, s[6:7]
	s_cbranch_vccz .LBB72_6
.LBB72_2:
	s_endpgm
.LBB72_3:
	v_cmp_gt_u32_e32 vcc, s4, v0
	s_and_saveexec_b64 s[4:5], vcc
	s_cbranch_execz .LBB72_5
; %bb.4:
	s_lshl_b64 s[6:7], s[2:3], 4
	s_add_u32 s6, s0, s6
	s_addc_u32 s7, s1, s7
	v_lshlrev_b32_e32 v2, 4, v0
	v_mov_b32_e32 v1, 0
	v_mov_b32_e32 v4, s7
	v_add_co_u32_e32 v3, vcc, s6, v2
	v_addc_co_u32_e32 v4, vcc, 0, v4, vcc
	v_mov_b32_e32 v2, v1
	flat_store_byte v[3:4], v1
	flat_store_dwordx2 v[3:4], v[1:2] offset:8
.LBB72_5:
	s_or_b64 exec, exec, s[4:5]
	s_cbranch_execnz .LBB72_2
.LBB72_6:
	s_lshl_b64 s[2:3], s[2:3], 4
	s_add_u32 s0, s0, s2
	s_addc_u32 s1, s1, s3
	v_lshlrev_b32_e32 v1, 4, v0
	v_mov_b32_e32 v0, 0
	v_mov_b32_e32 v3, s1
	v_add_co_u32_e32 v2, vcc, s0, v1
	v_addc_co_u32_e32 v3, vcc, 0, v3, vcc
	v_mov_b32_e32 v1, v0
	flat_store_byte v[2:3], v0
	flat_store_dwordx2 v[2:3], v[0:1] offset:8
	s_endpgm
	.section	.rodata,"a",@progbits
	.p2align	6, 0x0
	.amdhsa_kernel _ZN6thrust23THRUST_200600_302600_NS11hip_rocprim14__parallel_for6kernelILj256ENS1_10for_each_fINS0_7pointerINS0_5tupleIblNS0_9null_typeES7_S7_S7_S7_S7_S7_S7_EENS0_6detail22execute_with_allocatorIRN2at4cuda15ThrustAllocatorENS1_22execute_on_stream_baseEEENS0_11use_defaultESH_EENS9_16wrapped_functionINS9_23allocator_traits_detail24construct1_via_allocatorINS9_18no_throw_allocatorINS9_19temporary_allocatorIS8_SG_EEEEEEvEEEEmLj1EEEvT0_T1_SU_
		.amdhsa_group_segment_fixed_size 0
		.amdhsa_private_segment_fixed_size 0
		.amdhsa_kernarg_size 32
		.amdhsa_user_sgpr_count 6
		.amdhsa_user_sgpr_private_segment_buffer 1
		.amdhsa_user_sgpr_dispatch_ptr 0
		.amdhsa_user_sgpr_queue_ptr 0
		.amdhsa_user_sgpr_kernarg_segment_ptr 1
		.amdhsa_user_sgpr_dispatch_id 0
		.amdhsa_user_sgpr_flat_scratch_init 0
		.amdhsa_user_sgpr_private_segment_size 0
		.amdhsa_uses_dynamic_stack 0
		.amdhsa_system_sgpr_private_segment_wavefront_offset 0
		.amdhsa_system_sgpr_workgroup_id_x 1
		.amdhsa_system_sgpr_workgroup_id_y 0
		.amdhsa_system_sgpr_workgroup_id_z 0
		.amdhsa_system_sgpr_workgroup_info 0
		.amdhsa_system_vgpr_workitem_id 0
		.amdhsa_next_free_vgpr 5
		.amdhsa_next_free_sgpr 12
		.amdhsa_reserve_vcc 1
		.amdhsa_reserve_flat_scratch 0
		.amdhsa_float_round_mode_32 0
		.amdhsa_float_round_mode_16_64 0
		.amdhsa_float_denorm_mode_32 3
		.amdhsa_float_denorm_mode_16_64 3
		.amdhsa_dx10_clamp 1
		.amdhsa_ieee_mode 1
		.amdhsa_fp16_overflow 0
		.amdhsa_exception_fp_ieee_invalid_op 0
		.amdhsa_exception_fp_denorm_src 0
		.amdhsa_exception_fp_ieee_div_zero 0
		.amdhsa_exception_fp_ieee_overflow 0
		.amdhsa_exception_fp_ieee_underflow 0
		.amdhsa_exception_fp_ieee_inexact 0
		.amdhsa_exception_int_div_zero 0
	.end_amdhsa_kernel
	.section	.text._ZN6thrust23THRUST_200600_302600_NS11hip_rocprim14__parallel_for6kernelILj256ENS1_10for_each_fINS0_7pointerINS0_5tupleIblNS0_9null_typeES7_S7_S7_S7_S7_S7_S7_EENS0_6detail22execute_with_allocatorIRN2at4cuda15ThrustAllocatorENS1_22execute_on_stream_baseEEENS0_11use_defaultESH_EENS9_16wrapped_functionINS9_23allocator_traits_detail24construct1_via_allocatorINS9_18no_throw_allocatorINS9_19temporary_allocatorIS8_SG_EEEEEEvEEEEmLj1EEEvT0_T1_SU_,"axG",@progbits,_ZN6thrust23THRUST_200600_302600_NS11hip_rocprim14__parallel_for6kernelILj256ENS1_10for_each_fINS0_7pointerINS0_5tupleIblNS0_9null_typeES7_S7_S7_S7_S7_S7_S7_EENS0_6detail22execute_with_allocatorIRN2at4cuda15ThrustAllocatorENS1_22execute_on_stream_baseEEENS0_11use_defaultESH_EENS9_16wrapped_functionINS9_23allocator_traits_detail24construct1_via_allocatorINS9_18no_throw_allocatorINS9_19temporary_allocatorIS8_SG_EEEEEEvEEEEmLj1EEEvT0_T1_SU_,comdat
.Lfunc_end72:
	.size	_ZN6thrust23THRUST_200600_302600_NS11hip_rocprim14__parallel_for6kernelILj256ENS1_10for_each_fINS0_7pointerINS0_5tupleIblNS0_9null_typeES7_S7_S7_S7_S7_S7_S7_EENS0_6detail22execute_with_allocatorIRN2at4cuda15ThrustAllocatorENS1_22execute_on_stream_baseEEENS0_11use_defaultESH_EENS9_16wrapped_functionINS9_23allocator_traits_detail24construct1_via_allocatorINS9_18no_throw_allocatorINS9_19temporary_allocatorIS8_SG_EEEEEEvEEEEmLj1EEEvT0_T1_SU_, .Lfunc_end72-_ZN6thrust23THRUST_200600_302600_NS11hip_rocprim14__parallel_for6kernelILj256ENS1_10for_each_fINS0_7pointerINS0_5tupleIblNS0_9null_typeES7_S7_S7_S7_S7_S7_S7_EENS0_6detail22execute_with_allocatorIRN2at4cuda15ThrustAllocatorENS1_22execute_on_stream_baseEEENS0_11use_defaultESH_EENS9_16wrapped_functionINS9_23allocator_traits_detail24construct1_via_allocatorINS9_18no_throw_allocatorINS9_19temporary_allocatorIS8_SG_EEEEEEvEEEEmLj1EEEvT0_T1_SU_
                                        ; -- End function
	.set _ZN6thrust23THRUST_200600_302600_NS11hip_rocprim14__parallel_for6kernelILj256ENS1_10for_each_fINS0_7pointerINS0_5tupleIblNS0_9null_typeES7_S7_S7_S7_S7_S7_S7_EENS0_6detail22execute_with_allocatorIRN2at4cuda15ThrustAllocatorENS1_22execute_on_stream_baseEEENS0_11use_defaultESH_EENS9_16wrapped_functionINS9_23allocator_traits_detail24construct1_via_allocatorINS9_18no_throw_allocatorINS9_19temporary_allocatorIS8_SG_EEEEEEvEEEEmLj1EEEvT0_T1_SU_.num_vgpr, 5
	.set _ZN6thrust23THRUST_200600_302600_NS11hip_rocprim14__parallel_for6kernelILj256ENS1_10for_each_fINS0_7pointerINS0_5tupleIblNS0_9null_typeES7_S7_S7_S7_S7_S7_S7_EENS0_6detail22execute_with_allocatorIRN2at4cuda15ThrustAllocatorENS1_22execute_on_stream_baseEEENS0_11use_defaultESH_EENS9_16wrapped_functionINS9_23allocator_traits_detail24construct1_via_allocatorINS9_18no_throw_allocatorINS9_19temporary_allocatorIS8_SG_EEEEEEvEEEEmLj1EEEvT0_T1_SU_.num_agpr, 0
	.set _ZN6thrust23THRUST_200600_302600_NS11hip_rocprim14__parallel_for6kernelILj256ENS1_10for_each_fINS0_7pointerINS0_5tupleIblNS0_9null_typeES7_S7_S7_S7_S7_S7_S7_EENS0_6detail22execute_with_allocatorIRN2at4cuda15ThrustAllocatorENS1_22execute_on_stream_baseEEENS0_11use_defaultESH_EENS9_16wrapped_functionINS9_23allocator_traits_detail24construct1_via_allocatorINS9_18no_throw_allocatorINS9_19temporary_allocatorIS8_SG_EEEEEEvEEEEmLj1EEEvT0_T1_SU_.numbered_sgpr, 12
	.set _ZN6thrust23THRUST_200600_302600_NS11hip_rocprim14__parallel_for6kernelILj256ENS1_10for_each_fINS0_7pointerINS0_5tupleIblNS0_9null_typeES7_S7_S7_S7_S7_S7_S7_EENS0_6detail22execute_with_allocatorIRN2at4cuda15ThrustAllocatorENS1_22execute_on_stream_baseEEENS0_11use_defaultESH_EENS9_16wrapped_functionINS9_23allocator_traits_detail24construct1_via_allocatorINS9_18no_throw_allocatorINS9_19temporary_allocatorIS8_SG_EEEEEEvEEEEmLj1EEEvT0_T1_SU_.num_named_barrier, 0
	.set _ZN6thrust23THRUST_200600_302600_NS11hip_rocprim14__parallel_for6kernelILj256ENS1_10for_each_fINS0_7pointerINS0_5tupleIblNS0_9null_typeES7_S7_S7_S7_S7_S7_S7_EENS0_6detail22execute_with_allocatorIRN2at4cuda15ThrustAllocatorENS1_22execute_on_stream_baseEEENS0_11use_defaultESH_EENS9_16wrapped_functionINS9_23allocator_traits_detail24construct1_via_allocatorINS9_18no_throw_allocatorINS9_19temporary_allocatorIS8_SG_EEEEEEvEEEEmLj1EEEvT0_T1_SU_.private_seg_size, 0
	.set _ZN6thrust23THRUST_200600_302600_NS11hip_rocprim14__parallel_for6kernelILj256ENS1_10for_each_fINS0_7pointerINS0_5tupleIblNS0_9null_typeES7_S7_S7_S7_S7_S7_S7_EENS0_6detail22execute_with_allocatorIRN2at4cuda15ThrustAllocatorENS1_22execute_on_stream_baseEEENS0_11use_defaultESH_EENS9_16wrapped_functionINS9_23allocator_traits_detail24construct1_via_allocatorINS9_18no_throw_allocatorINS9_19temporary_allocatorIS8_SG_EEEEEEvEEEEmLj1EEEvT0_T1_SU_.uses_vcc, 1
	.set _ZN6thrust23THRUST_200600_302600_NS11hip_rocprim14__parallel_for6kernelILj256ENS1_10for_each_fINS0_7pointerINS0_5tupleIblNS0_9null_typeES7_S7_S7_S7_S7_S7_S7_EENS0_6detail22execute_with_allocatorIRN2at4cuda15ThrustAllocatorENS1_22execute_on_stream_baseEEENS0_11use_defaultESH_EENS9_16wrapped_functionINS9_23allocator_traits_detail24construct1_via_allocatorINS9_18no_throw_allocatorINS9_19temporary_allocatorIS8_SG_EEEEEEvEEEEmLj1EEEvT0_T1_SU_.uses_flat_scratch, 0
	.set _ZN6thrust23THRUST_200600_302600_NS11hip_rocprim14__parallel_for6kernelILj256ENS1_10for_each_fINS0_7pointerINS0_5tupleIblNS0_9null_typeES7_S7_S7_S7_S7_S7_S7_EENS0_6detail22execute_with_allocatorIRN2at4cuda15ThrustAllocatorENS1_22execute_on_stream_baseEEENS0_11use_defaultESH_EENS9_16wrapped_functionINS9_23allocator_traits_detail24construct1_via_allocatorINS9_18no_throw_allocatorINS9_19temporary_allocatorIS8_SG_EEEEEEvEEEEmLj1EEEvT0_T1_SU_.has_dyn_sized_stack, 0
	.set _ZN6thrust23THRUST_200600_302600_NS11hip_rocprim14__parallel_for6kernelILj256ENS1_10for_each_fINS0_7pointerINS0_5tupleIblNS0_9null_typeES7_S7_S7_S7_S7_S7_S7_EENS0_6detail22execute_with_allocatorIRN2at4cuda15ThrustAllocatorENS1_22execute_on_stream_baseEEENS0_11use_defaultESH_EENS9_16wrapped_functionINS9_23allocator_traits_detail24construct1_via_allocatorINS9_18no_throw_allocatorINS9_19temporary_allocatorIS8_SG_EEEEEEvEEEEmLj1EEEvT0_T1_SU_.has_recursion, 0
	.set _ZN6thrust23THRUST_200600_302600_NS11hip_rocprim14__parallel_for6kernelILj256ENS1_10for_each_fINS0_7pointerINS0_5tupleIblNS0_9null_typeES7_S7_S7_S7_S7_S7_S7_EENS0_6detail22execute_with_allocatorIRN2at4cuda15ThrustAllocatorENS1_22execute_on_stream_baseEEENS0_11use_defaultESH_EENS9_16wrapped_functionINS9_23allocator_traits_detail24construct1_via_allocatorINS9_18no_throw_allocatorINS9_19temporary_allocatorIS8_SG_EEEEEEvEEEEmLj1EEEvT0_T1_SU_.has_indirect_call, 0
	.section	.AMDGPU.csdata,"",@progbits
; Kernel info:
; codeLenInByte = 204
; TotalNumSgprs: 16
; NumVgprs: 5
; ScratchSize: 0
; MemoryBound: 0
; FloatMode: 240
; IeeeMode: 1
; LDSByteSize: 0 bytes/workgroup (compile time only)
; SGPRBlocks: 1
; VGPRBlocks: 1
; NumSGPRsForWavesPerEU: 16
; NumVGPRsForWavesPerEU: 5
; Occupancy: 10
; WaveLimiterHint : 0
; COMPUTE_PGM_RSRC2:SCRATCH_EN: 0
; COMPUTE_PGM_RSRC2:USER_SGPR: 6
; COMPUTE_PGM_RSRC2:TRAP_HANDLER: 0
; COMPUTE_PGM_RSRC2:TGID_X_EN: 1
; COMPUTE_PGM_RSRC2:TGID_Y_EN: 0
; COMPUTE_PGM_RSRC2:TGID_Z_EN: 0
; COMPUTE_PGM_RSRC2:TIDIG_COMP_CNT: 0
	.section	.text._ZN6thrust23THRUST_200600_302600_NS11hip_rocprim14__parallel_for6kernelILj256ENS1_10for_each_fINS0_7pointerINS0_5tupleIblNS0_9null_typeES7_S7_S7_S7_S7_S7_S7_EENS0_6detail22execute_with_allocatorIRN2at4cuda15ThrustAllocatorENS1_22execute_on_stream_baseEEENS0_11use_defaultESH_EENS9_16wrapped_functionINS9_23allocator_traits_detail5gozerEvEEEElLj1EEEvT0_T1_SP_,"axG",@progbits,_ZN6thrust23THRUST_200600_302600_NS11hip_rocprim14__parallel_for6kernelILj256ENS1_10for_each_fINS0_7pointerINS0_5tupleIblNS0_9null_typeES7_S7_S7_S7_S7_S7_S7_EENS0_6detail22execute_with_allocatorIRN2at4cuda15ThrustAllocatorENS1_22execute_on_stream_baseEEENS0_11use_defaultESH_EENS9_16wrapped_functionINS9_23allocator_traits_detail5gozerEvEEEElLj1EEEvT0_T1_SP_,comdat
	.protected	_ZN6thrust23THRUST_200600_302600_NS11hip_rocprim14__parallel_for6kernelILj256ENS1_10for_each_fINS0_7pointerINS0_5tupleIblNS0_9null_typeES7_S7_S7_S7_S7_S7_S7_EENS0_6detail22execute_with_allocatorIRN2at4cuda15ThrustAllocatorENS1_22execute_on_stream_baseEEENS0_11use_defaultESH_EENS9_16wrapped_functionINS9_23allocator_traits_detail5gozerEvEEEElLj1EEEvT0_T1_SP_ ; -- Begin function _ZN6thrust23THRUST_200600_302600_NS11hip_rocprim14__parallel_for6kernelILj256ENS1_10for_each_fINS0_7pointerINS0_5tupleIblNS0_9null_typeES7_S7_S7_S7_S7_S7_S7_EENS0_6detail22execute_with_allocatorIRN2at4cuda15ThrustAllocatorENS1_22execute_on_stream_baseEEENS0_11use_defaultESH_EENS9_16wrapped_functionINS9_23allocator_traits_detail5gozerEvEEEElLj1EEEvT0_T1_SP_
	.globl	_ZN6thrust23THRUST_200600_302600_NS11hip_rocprim14__parallel_for6kernelILj256ENS1_10for_each_fINS0_7pointerINS0_5tupleIblNS0_9null_typeES7_S7_S7_S7_S7_S7_S7_EENS0_6detail22execute_with_allocatorIRN2at4cuda15ThrustAllocatorENS1_22execute_on_stream_baseEEENS0_11use_defaultESH_EENS9_16wrapped_functionINS9_23allocator_traits_detail5gozerEvEEEElLj1EEEvT0_T1_SP_
	.p2align	8
	.type	_ZN6thrust23THRUST_200600_302600_NS11hip_rocprim14__parallel_for6kernelILj256ENS1_10for_each_fINS0_7pointerINS0_5tupleIblNS0_9null_typeES7_S7_S7_S7_S7_S7_S7_EENS0_6detail22execute_with_allocatorIRN2at4cuda15ThrustAllocatorENS1_22execute_on_stream_baseEEENS0_11use_defaultESH_EENS9_16wrapped_functionINS9_23allocator_traits_detail5gozerEvEEEElLj1EEEvT0_T1_SP_,@function
_ZN6thrust23THRUST_200600_302600_NS11hip_rocprim14__parallel_for6kernelILj256ENS1_10for_each_fINS0_7pointerINS0_5tupleIblNS0_9null_typeES7_S7_S7_S7_S7_S7_S7_EENS0_6detail22execute_with_allocatorIRN2at4cuda15ThrustAllocatorENS1_22execute_on_stream_baseEEENS0_11use_defaultESH_EENS9_16wrapped_functionINS9_23allocator_traits_detail5gozerEvEEEElLj1EEEvT0_T1_SP_: ; @_ZN6thrust23THRUST_200600_302600_NS11hip_rocprim14__parallel_for6kernelILj256ENS1_10for_each_fINS0_7pointerINS0_5tupleIblNS0_9null_typeES7_S7_S7_S7_S7_S7_S7_EENS0_6detail22execute_with_allocatorIRN2at4cuda15ThrustAllocatorENS1_22execute_on_stream_baseEEENS0_11use_defaultESH_EENS9_16wrapped_functionINS9_23allocator_traits_detail5gozerEvEEEElLj1EEEvT0_T1_SP_
; %bb.0:
	s_endpgm
	.section	.rodata,"a",@progbits
	.p2align	6, 0x0
	.amdhsa_kernel _ZN6thrust23THRUST_200600_302600_NS11hip_rocprim14__parallel_for6kernelILj256ENS1_10for_each_fINS0_7pointerINS0_5tupleIblNS0_9null_typeES7_S7_S7_S7_S7_S7_S7_EENS0_6detail22execute_with_allocatorIRN2at4cuda15ThrustAllocatorENS1_22execute_on_stream_baseEEENS0_11use_defaultESH_EENS9_16wrapped_functionINS9_23allocator_traits_detail5gozerEvEEEElLj1EEEvT0_T1_SP_
		.amdhsa_group_segment_fixed_size 0
		.amdhsa_private_segment_fixed_size 0
		.amdhsa_kernarg_size 32
		.amdhsa_user_sgpr_count 6
		.amdhsa_user_sgpr_private_segment_buffer 1
		.amdhsa_user_sgpr_dispatch_ptr 0
		.amdhsa_user_sgpr_queue_ptr 0
		.amdhsa_user_sgpr_kernarg_segment_ptr 1
		.amdhsa_user_sgpr_dispatch_id 0
		.amdhsa_user_sgpr_flat_scratch_init 0
		.amdhsa_user_sgpr_private_segment_size 0
		.amdhsa_uses_dynamic_stack 0
		.amdhsa_system_sgpr_private_segment_wavefront_offset 0
		.amdhsa_system_sgpr_workgroup_id_x 1
		.amdhsa_system_sgpr_workgroup_id_y 0
		.amdhsa_system_sgpr_workgroup_id_z 0
		.amdhsa_system_sgpr_workgroup_info 0
		.amdhsa_system_vgpr_workitem_id 0
		.amdhsa_next_free_vgpr 1
		.amdhsa_next_free_sgpr 0
		.amdhsa_reserve_vcc 0
		.amdhsa_reserve_flat_scratch 0
		.amdhsa_float_round_mode_32 0
		.amdhsa_float_round_mode_16_64 0
		.amdhsa_float_denorm_mode_32 3
		.amdhsa_float_denorm_mode_16_64 3
		.amdhsa_dx10_clamp 1
		.amdhsa_ieee_mode 1
		.amdhsa_fp16_overflow 0
		.amdhsa_exception_fp_ieee_invalid_op 0
		.amdhsa_exception_fp_denorm_src 0
		.amdhsa_exception_fp_ieee_div_zero 0
		.amdhsa_exception_fp_ieee_overflow 0
		.amdhsa_exception_fp_ieee_underflow 0
		.amdhsa_exception_fp_ieee_inexact 0
		.amdhsa_exception_int_div_zero 0
	.end_amdhsa_kernel
	.section	.text._ZN6thrust23THRUST_200600_302600_NS11hip_rocprim14__parallel_for6kernelILj256ENS1_10for_each_fINS0_7pointerINS0_5tupleIblNS0_9null_typeES7_S7_S7_S7_S7_S7_S7_EENS0_6detail22execute_with_allocatorIRN2at4cuda15ThrustAllocatorENS1_22execute_on_stream_baseEEENS0_11use_defaultESH_EENS9_16wrapped_functionINS9_23allocator_traits_detail5gozerEvEEEElLj1EEEvT0_T1_SP_,"axG",@progbits,_ZN6thrust23THRUST_200600_302600_NS11hip_rocprim14__parallel_for6kernelILj256ENS1_10for_each_fINS0_7pointerINS0_5tupleIblNS0_9null_typeES7_S7_S7_S7_S7_S7_S7_EENS0_6detail22execute_with_allocatorIRN2at4cuda15ThrustAllocatorENS1_22execute_on_stream_baseEEENS0_11use_defaultESH_EENS9_16wrapped_functionINS9_23allocator_traits_detail5gozerEvEEEElLj1EEEvT0_T1_SP_,comdat
.Lfunc_end73:
	.size	_ZN6thrust23THRUST_200600_302600_NS11hip_rocprim14__parallel_for6kernelILj256ENS1_10for_each_fINS0_7pointerINS0_5tupleIblNS0_9null_typeES7_S7_S7_S7_S7_S7_S7_EENS0_6detail22execute_with_allocatorIRN2at4cuda15ThrustAllocatorENS1_22execute_on_stream_baseEEENS0_11use_defaultESH_EENS9_16wrapped_functionINS9_23allocator_traits_detail5gozerEvEEEElLj1EEEvT0_T1_SP_, .Lfunc_end73-_ZN6thrust23THRUST_200600_302600_NS11hip_rocprim14__parallel_for6kernelILj256ENS1_10for_each_fINS0_7pointerINS0_5tupleIblNS0_9null_typeES7_S7_S7_S7_S7_S7_S7_EENS0_6detail22execute_with_allocatorIRN2at4cuda15ThrustAllocatorENS1_22execute_on_stream_baseEEENS0_11use_defaultESH_EENS9_16wrapped_functionINS9_23allocator_traits_detail5gozerEvEEEElLj1EEEvT0_T1_SP_
                                        ; -- End function
	.set _ZN6thrust23THRUST_200600_302600_NS11hip_rocprim14__parallel_for6kernelILj256ENS1_10for_each_fINS0_7pointerINS0_5tupleIblNS0_9null_typeES7_S7_S7_S7_S7_S7_S7_EENS0_6detail22execute_with_allocatorIRN2at4cuda15ThrustAllocatorENS1_22execute_on_stream_baseEEENS0_11use_defaultESH_EENS9_16wrapped_functionINS9_23allocator_traits_detail5gozerEvEEEElLj1EEEvT0_T1_SP_.num_vgpr, 0
	.set _ZN6thrust23THRUST_200600_302600_NS11hip_rocprim14__parallel_for6kernelILj256ENS1_10for_each_fINS0_7pointerINS0_5tupleIblNS0_9null_typeES7_S7_S7_S7_S7_S7_S7_EENS0_6detail22execute_with_allocatorIRN2at4cuda15ThrustAllocatorENS1_22execute_on_stream_baseEEENS0_11use_defaultESH_EENS9_16wrapped_functionINS9_23allocator_traits_detail5gozerEvEEEElLj1EEEvT0_T1_SP_.num_agpr, 0
	.set _ZN6thrust23THRUST_200600_302600_NS11hip_rocprim14__parallel_for6kernelILj256ENS1_10for_each_fINS0_7pointerINS0_5tupleIblNS0_9null_typeES7_S7_S7_S7_S7_S7_S7_EENS0_6detail22execute_with_allocatorIRN2at4cuda15ThrustAllocatorENS1_22execute_on_stream_baseEEENS0_11use_defaultESH_EENS9_16wrapped_functionINS9_23allocator_traits_detail5gozerEvEEEElLj1EEEvT0_T1_SP_.numbered_sgpr, 0
	.set _ZN6thrust23THRUST_200600_302600_NS11hip_rocprim14__parallel_for6kernelILj256ENS1_10for_each_fINS0_7pointerINS0_5tupleIblNS0_9null_typeES7_S7_S7_S7_S7_S7_S7_EENS0_6detail22execute_with_allocatorIRN2at4cuda15ThrustAllocatorENS1_22execute_on_stream_baseEEENS0_11use_defaultESH_EENS9_16wrapped_functionINS9_23allocator_traits_detail5gozerEvEEEElLj1EEEvT0_T1_SP_.num_named_barrier, 0
	.set _ZN6thrust23THRUST_200600_302600_NS11hip_rocprim14__parallel_for6kernelILj256ENS1_10for_each_fINS0_7pointerINS0_5tupleIblNS0_9null_typeES7_S7_S7_S7_S7_S7_S7_EENS0_6detail22execute_with_allocatorIRN2at4cuda15ThrustAllocatorENS1_22execute_on_stream_baseEEENS0_11use_defaultESH_EENS9_16wrapped_functionINS9_23allocator_traits_detail5gozerEvEEEElLj1EEEvT0_T1_SP_.private_seg_size, 0
	.set _ZN6thrust23THRUST_200600_302600_NS11hip_rocprim14__parallel_for6kernelILj256ENS1_10for_each_fINS0_7pointerINS0_5tupleIblNS0_9null_typeES7_S7_S7_S7_S7_S7_S7_EENS0_6detail22execute_with_allocatorIRN2at4cuda15ThrustAllocatorENS1_22execute_on_stream_baseEEENS0_11use_defaultESH_EENS9_16wrapped_functionINS9_23allocator_traits_detail5gozerEvEEEElLj1EEEvT0_T1_SP_.uses_vcc, 0
	.set _ZN6thrust23THRUST_200600_302600_NS11hip_rocprim14__parallel_for6kernelILj256ENS1_10for_each_fINS0_7pointerINS0_5tupleIblNS0_9null_typeES7_S7_S7_S7_S7_S7_S7_EENS0_6detail22execute_with_allocatorIRN2at4cuda15ThrustAllocatorENS1_22execute_on_stream_baseEEENS0_11use_defaultESH_EENS9_16wrapped_functionINS9_23allocator_traits_detail5gozerEvEEEElLj1EEEvT0_T1_SP_.uses_flat_scratch, 0
	.set _ZN6thrust23THRUST_200600_302600_NS11hip_rocprim14__parallel_for6kernelILj256ENS1_10for_each_fINS0_7pointerINS0_5tupleIblNS0_9null_typeES7_S7_S7_S7_S7_S7_S7_EENS0_6detail22execute_with_allocatorIRN2at4cuda15ThrustAllocatorENS1_22execute_on_stream_baseEEENS0_11use_defaultESH_EENS9_16wrapped_functionINS9_23allocator_traits_detail5gozerEvEEEElLj1EEEvT0_T1_SP_.has_dyn_sized_stack, 0
	.set _ZN6thrust23THRUST_200600_302600_NS11hip_rocprim14__parallel_for6kernelILj256ENS1_10for_each_fINS0_7pointerINS0_5tupleIblNS0_9null_typeES7_S7_S7_S7_S7_S7_S7_EENS0_6detail22execute_with_allocatorIRN2at4cuda15ThrustAllocatorENS1_22execute_on_stream_baseEEENS0_11use_defaultESH_EENS9_16wrapped_functionINS9_23allocator_traits_detail5gozerEvEEEElLj1EEEvT0_T1_SP_.has_recursion, 0
	.set _ZN6thrust23THRUST_200600_302600_NS11hip_rocprim14__parallel_for6kernelILj256ENS1_10for_each_fINS0_7pointerINS0_5tupleIblNS0_9null_typeES7_S7_S7_S7_S7_S7_S7_EENS0_6detail22execute_with_allocatorIRN2at4cuda15ThrustAllocatorENS1_22execute_on_stream_baseEEENS0_11use_defaultESH_EENS9_16wrapped_functionINS9_23allocator_traits_detail5gozerEvEEEElLj1EEEvT0_T1_SP_.has_indirect_call, 0
	.section	.AMDGPU.csdata,"",@progbits
; Kernel info:
; codeLenInByte = 4
; TotalNumSgprs: 4
; NumVgprs: 0
; ScratchSize: 0
; MemoryBound: 0
; FloatMode: 240
; IeeeMode: 1
; LDSByteSize: 0 bytes/workgroup (compile time only)
; SGPRBlocks: 0
; VGPRBlocks: 0
; NumSGPRsForWavesPerEU: 4
; NumVGPRsForWavesPerEU: 1
; Occupancy: 10
; WaveLimiterHint : 0
; COMPUTE_PGM_RSRC2:SCRATCH_EN: 0
; COMPUTE_PGM_RSRC2:USER_SGPR: 6
; COMPUTE_PGM_RSRC2:TRAP_HANDLER: 0
; COMPUTE_PGM_RSRC2:TGID_X_EN: 1
; COMPUTE_PGM_RSRC2:TGID_Y_EN: 0
; COMPUTE_PGM_RSRC2:TGID_Z_EN: 0
; COMPUTE_PGM_RSRC2:TIDIG_COMP_CNT: 0
	.section	.text._ZN6thrust23THRUST_200600_302600_NS11hip_rocprim14__parallel_for6kernelILj256ENS1_20__uninitialized_copy7functorIPNS0_5tupleIblNS0_9null_typeES7_S7_S7_S7_S7_S7_S7_EENS0_7pointerIS8_NS0_6detail22execute_with_allocatorIRN2at4cuda15ThrustAllocatorENS1_22execute_on_stream_baseEEENS0_11use_defaultESJ_EEEEmLj1EEEvT0_T1_SN_,"axG",@progbits,_ZN6thrust23THRUST_200600_302600_NS11hip_rocprim14__parallel_for6kernelILj256ENS1_20__uninitialized_copy7functorIPNS0_5tupleIblNS0_9null_typeES7_S7_S7_S7_S7_S7_S7_EENS0_7pointerIS8_NS0_6detail22execute_with_allocatorIRN2at4cuda15ThrustAllocatorENS1_22execute_on_stream_baseEEENS0_11use_defaultESJ_EEEEmLj1EEEvT0_T1_SN_,comdat
	.protected	_ZN6thrust23THRUST_200600_302600_NS11hip_rocprim14__parallel_for6kernelILj256ENS1_20__uninitialized_copy7functorIPNS0_5tupleIblNS0_9null_typeES7_S7_S7_S7_S7_S7_S7_EENS0_7pointerIS8_NS0_6detail22execute_with_allocatorIRN2at4cuda15ThrustAllocatorENS1_22execute_on_stream_baseEEENS0_11use_defaultESJ_EEEEmLj1EEEvT0_T1_SN_ ; -- Begin function _ZN6thrust23THRUST_200600_302600_NS11hip_rocprim14__parallel_for6kernelILj256ENS1_20__uninitialized_copy7functorIPNS0_5tupleIblNS0_9null_typeES7_S7_S7_S7_S7_S7_S7_EENS0_7pointerIS8_NS0_6detail22execute_with_allocatorIRN2at4cuda15ThrustAllocatorENS1_22execute_on_stream_baseEEENS0_11use_defaultESJ_EEEEmLj1EEEvT0_T1_SN_
	.globl	_ZN6thrust23THRUST_200600_302600_NS11hip_rocprim14__parallel_for6kernelILj256ENS1_20__uninitialized_copy7functorIPNS0_5tupleIblNS0_9null_typeES7_S7_S7_S7_S7_S7_S7_EENS0_7pointerIS8_NS0_6detail22execute_with_allocatorIRN2at4cuda15ThrustAllocatorENS1_22execute_on_stream_baseEEENS0_11use_defaultESJ_EEEEmLj1EEEvT0_T1_SN_
	.p2align	8
	.type	_ZN6thrust23THRUST_200600_302600_NS11hip_rocprim14__parallel_for6kernelILj256ENS1_20__uninitialized_copy7functorIPNS0_5tupleIblNS0_9null_typeES7_S7_S7_S7_S7_S7_S7_EENS0_7pointerIS8_NS0_6detail22execute_with_allocatorIRN2at4cuda15ThrustAllocatorENS1_22execute_on_stream_baseEEENS0_11use_defaultESJ_EEEEmLj1EEEvT0_T1_SN_,@function
_ZN6thrust23THRUST_200600_302600_NS11hip_rocprim14__parallel_for6kernelILj256ENS1_20__uninitialized_copy7functorIPNS0_5tupleIblNS0_9null_typeES7_S7_S7_S7_S7_S7_S7_EENS0_7pointerIS8_NS0_6detail22execute_with_allocatorIRN2at4cuda15ThrustAllocatorENS1_22execute_on_stream_baseEEENS0_11use_defaultESJ_EEEEmLj1EEEvT0_T1_SN_: ; @_ZN6thrust23THRUST_200600_302600_NS11hip_rocprim14__parallel_for6kernelILj256ENS1_20__uninitialized_copy7functorIPNS0_5tupleIblNS0_9null_typeES7_S7_S7_S7_S7_S7_S7_EENS0_7pointerIS8_NS0_6detail22execute_with_allocatorIRN2at4cuda15ThrustAllocatorENS1_22execute_on_stream_baseEEENS0_11use_defaultESJ_EEEEmLj1EEEvT0_T1_SN_
; %bb.0:
	s_load_dwordx8 s[8:15], s[4:5], 0x0
	s_lshl_b32 s0, s6, 8
	v_mov_b32_e32 v1, 0xff
	v_mov_b32_e32 v2, 0
	s_waitcnt lgkmcnt(0)
	s_add_u32 s4, s14, s0
	s_addc_u32 s5, s15, 0
	s_sub_u32 s0, s12, s4
	s_subb_u32 s1, s13, s5
	v_cmp_gt_u64_e32 vcc, s[0:1], v[1:2]
	s_cbranch_vccnz .LBB74_2
; %bb.1:
	v_cmp_gt_u32_e32 vcc, s0, v0
	s_and_b64 s[0:1], vcc, exec
	s_cbranch_execz .LBB74_3
	s_branch .LBB74_4
.LBB74_2:
	s_mov_b64 s[0:1], 0
.LBB74_3:
	s_or_b64 s[0:1], s[0:1], exec
.LBB74_4:
	s_and_saveexec_b64 s[2:3], s[0:1]
	s_cbranch_execnz .LBB74_6
; %bb.5:
	s_endpgm
.LBB74_6:
	v_mov_b32_e32 v1, s5
	v_add_co_u32_e32 v0, vcc, s4, v0
	v_addc_co_u32_e32 v1, vcc, 0, v1, vcc
	v_lshlrev_b64 v[4:5], 4, v[0:1]
	v_mov_b32_e32 v1, s9
	v_add_co_u32_e32 v0, vcc, s8, v4
	v_addc_co_u32_e32 v1, vcc, v1, v5, vcc
	global_load_dwordx4 v[0:3], v[0:1], off
	v_mov_b32_e32 v6, s11
	v_add_co_u32_e32 v4, vcc, s10, v4
	v_addc_co_u32_e32 v5, vcc, v6, v5, vcc
	s_waitcnt vmcnt(0)
	flat_store_dwordx4 v[4:5], v[0:3]
	s_endpgm
	.section	.rodata,"a",@progbits
	.p2align	6, 0x0
	.amdhsa_kernel _ZN6thrust23THRUST_200600_302600_NS11hip_rocprim14__parallel_for6kernelILj256ENS1_20__uninitialized_copy7functorIPNS0_5tupleIblNS0_9null_typeES7_S7_S7_S7_S7_S7_S7_EENS0_7pointerIS8_NS0_6detail22execute_with_allocatorIRN2at4cuda15ThrustAllocatorENS1_22execute_on_stream_baseEEENS0_11use_defaultESJ_EEEEmLj1EEEvT0_T1_SN_
		.amdhsa_group_segment_fixed_size 0
		.amdhsa_private_segment_fixed_size 0
		.amdhsa_kernarg_size 32
		.amdhsa_user_sgpr_count 6
		.amdhsa_user_sgpr_private_segment_buffer 1
		.amdhsa_user_sgpr_dispatch_ptr 0
		.amdhsa_user_sgpr_queue_ptr 0
		.amdhsa_user_sgpr_kernarg_segment_ptr 1
		.amdhsa_user_sgpr_dispatch_id 0
		.amdhsa_user_sgpr_flat_scratch_init 0
		.amdhsa_user_sgpr_private_segment_size 0
		.amdhsa_uses_dynamic_stack 0
		.amdhsa_system_sgpr_private_segment_wavefront_offset 0
		.amdhsa_system_sgpr_workgroup_id_x 1
		.amdhsa_system_sgpr_workgroup_id_y 0
		.amdhsa_system_sgpr_workgroup_id_z 0
		.amdhsa_system_sgpr_workgroup_info 0
		.amdhsa_system_vgpr_workitem_id 0
		.amdhsa_next_free_vgpr 7
		.amdhsa_next_free_sgpr 16
		.amdhsa_reserve_vcc 1
		.amdhsa_reserve_flat_scratch 0
		.amdhsa_float_round_mode_32 0
		.amdhsa_float_round_mode_16_64 0
		.amdhsa_float_denorm_mode_32 3
		.amdhsa_float_denorm_mode_16_64 3
		.amdhsa_dx10_clamp 1
		.amdhsa_ieee_mode 1
		.amdhsa_fp16_overflow 0
		.amdhsa_exception_fp_ieee_invalid_op 0
		.amdhsa_exception_fp_denorm_src 0
		.amdhsa_exception_fp_ieee_div_zero 0
		.amdhsa_exception_fp_ieee_overflow 0
		.amdhsa_exception_fp_ieee_underflow 0
		.amdhsa_exception_fp_ieee_inexact 0
		.amdhsa_exception_int_div_zero 0
	.end_amdhsa_kernel
	.section	.text._ZN6thrust23THRUST_200600_302600_NS11hip_rocprim14__parallel_for6kernelILj256ENS1_20__uninitialized_copy7functorIPNS0_5tupleIblNS0_9null_typeES7_S7_S7_S7_S7_S7_S7_EENS0_7pointerIS8_NS0_6detail22execute_with_allocatorIRN2at4cuda15ThrustAllocatorENS1_22execute_on_stream_baseEEENS0_11use_defaultESJ_EEEEmLj1EEEvT0_T1_SN_,"axG",@progbits,_ZN6thrust23THRUST_200600_302600_NS11hip_rocprim14__parallel_for6kernelILj256ENS1_20__uninitialized_copy7functorIPNS0_5tupleIblNS0_9null_typeES7_S7_S7_S7_S7_S7_S7_EENS0_7pointerIS8_NS0_6detail22execute_with_allocatorIRN2at4cuda15ThrustAllocatorENS1_22execute_on_stream_baseEEENS0_11use_defaultESJ_EEEEmLj1EEEvT0_T1_SN_,comdat
.Lfunc_end74:
	.size	_ZN6thrust23THRUST_200600_302600_NS11hip_rocprim14__parallel_for6kernelILj256ENS1_20__uninitialized_copy7functorIPNS0_5tupleIblNS0_9null_typeES7_S7_S7_S7_S7_S7_S7_EENS0_7pointerIS8_NS0_6detail22execute_with_allocatorIRN2at4cuda15ThrustAllocatorENS1_22execute_on_stream_baseEEENS0_11use_defaultESJ_EEEEmLj1EEEvT0_T1_SN_, .Lfunc_end74-_ZN6thrust23THRUST_200600_302600_NS11hip_rocprim14__parallel_for6kernelILj256ENS1_20__uninitialized_copy7functorIPNS0_5tupleIblNS0_9null_typeES7_S7_S7_S7_S7_S7_S7_EENS0_7pointerIS8_NS0_6detail22execute_with_allocatorIRN2at4cuda15ThrustAllocatorENS1_22execute_on_stream_baseEEENS0_11use_defaultESJ_EEEEmLj1EEEvT0_T1_SN_
                                        ; -- End function
	.set _ZN6thrust23THRUST_200600_302600_NS11hip_rocprim14__parallel_for6kernelILj256ENS1_20__uninitialized_copy7functorIPNS0_5tupleIblNS0_9null_typeES7_S7_S7_S7_S7_S7_S7_EENS0_7pointerIS8_NS0_6detail22execute_with_allocatorIRN2at4cuda15ThrustAllocatorENS1_22execute_on_stream_baseEEENS0_11use_defaultESJ_EEEEmLj1EEEvT0_T1_SN_.num_vgpr, 7
	.set _ZN6thrust23THRUST_200600_302600_NS11hip_rocprim14__parallel_for6kernelILj256ENS1_20__uninitialized_copy7functorIPNS0_5tupleIblNS0_9null_typeES7_S7_S7_S7_S7_S7_S7_EENS0_7pointerIS8_NS0_6detail22execute_with_allocatorIRN2at4cuda15ThrustAllocatorENS1_22execute_on_stream_baseEEENS0_11use_defaultESJ_EEEEmLj1EEEvT0_T1_SN_.num_agpr, 0
	.set _ZN6thrust23THRUST_200600_302600_NS11hip_rocprim14__parallel_for6kernelILj256ENS1_20__uninitialized_copy7functorIPNS0_5tupleIblNS0_9null_typeES7_S7_S7_S7_S7_S7_S7_EENS0_7pointerIS8_NS0_6detail22execute_with_allocatorIRN2at4cuda15ThrustAllocatorENS1_22execute_on_stream_baseEEENS0_11use_defaultESJ_EEEEmLj1EEEvT0_T1_SN_.numbered_sgpr, 16
	.set _ZN6thrust23THRUST_200600_302600_NS11hip_rocprim14__parallel_for6kernelILj256ENS1_20__uninitialized_copy7functorIPNS0_5tupleIblNS0_9null_typeES7_S7_S7_S7_S7_S7_S7_EENS0_7pointerIS8_NS0_6detail22execute_with_allocatorIRN2at4cuda15ThrustAllocatorENS1_22execute_on_stream_baseEEENS0_11use_defaultESJ_EEEEmLj1EEEvT0_T1_SN_.num_named_barrier, 0
	.set _ZN6thrust23THRUST_200600_302600_NS11hip_rocprim14__parallel_for6kernelILj256ENS1_20__uninitialized_copy7functorIPNS0_5tupleIblNS0_9null_typeES7_S7_S7_S7_S7_S7_S7_EENS0_7pointerIS8_NS0_6detail22execute_with_allocatorIRN2at4cuda15ThrustAllocatorENS1_22execute_on_stream_baseEEENS0_11use_defaultESJ_EEEEmLj1EEEvT0_T1_SN_.private_seg_size, 0
	.set _ZN6thrust23THRUST_200600_302600_NS11hip_rocprim14__parallel_for6kernelILj256ENS1_20__uninitialized_copy7functorIPNS0_5tupleIblNS0_9null_typeES7_S7_S7_S7_S7_S7_S7_EENS0_7pointerIS8_NS0_6detail22execute_with_allocatorIRN2at4cuda15ThrustAllocatorENS1_22execute_on_stream_baseEEENS0_11use_defaultESJ_EEEEmLj1EEEvT0_T1_SN_.uses_vcc, 1
	.set _ZN6thrust23THRUST_200600_302600_NS11hip_rocprim14__parallel_for6kernelILj256ENS1_20__uninitialized_copy7functorIPNS0_5tupleIblNS0_9null_typeES7_S7_S7_S7_S7_S7_S7_EENS0_7pointerIS8_NS0_6detail22execute_with_allocatorIRN2at4cuda15ThrustAllocatorENS1_22execute_on_stream_baseEEENS0_11use_defaultESJ_EEEEmLj1EEEvT0_T1_SN_.uses_flat_scratch, 0
	.set _ZN6thrust23THRUST_200600_302600_NS11hip_rocprim14__parallel_for6kernelILj256ENS1_20__uninitialized_copy7functorIPNS0_5tupleIblNS0_9null_typeES7_S7_S7_S7_S7_S7_S7_EENS0_7pointerIS8_NS0_6detail22execute_with_allocatorIRN2at4cuda15ThrustAllocatorENS1_22execute_on_stream_baseEEENS0_11use_defaultESJ_EEEEmLj1EEEvT0_T1_SN_.has_dyn_sized_stack, 0
	.set _ZN6thrust23THRUST_200600_302600_NS11hip_rocprim14__parallel_for6kernelILj256ENS1_20__uninitialized_copy7functorIPNS0_5tupleIblNS0_9null_typeES7_S7_S7_S7_S7_S7_S7_EENS0_7pointerIS8_NS0_6detail22execute_with_allocatorIRN2at4cuda15ThrustAllocatorENS1_22execute_on_stream_baseEEENS0_11use_defaultESJ_EEEEmLj1EEEvT0_T1_SN_.has_recursion, 0
	.set _ZN6thrust23THRUST_200600_302600_NS11hip_rocprim14__parallel_for6kernelILj256ENS1_20__uninitialized_copy7functorIPNS0_5tupleIblNS0_9null_typeES7_S7_S7_S7_S7_S7_S7_EENS0_7pointerIS8_NS0_6detail22execute_with_allocatorIRN2at4cuda15ThrustAllocatorENS1_22execute_on_stream_baseEEENS0_11use_defaultESJ_EEEEmLj1EEEvT0_T1_SN_.has_indirect_call, 0
	.section	.AMDGPU.csdata,"",@progbits
; Kernel info:
; codeLenInByte = 156
; TotalNumSgprs: 20
; NumVgprs: 7
; ScratchSize: 0
; MemoryBound: 0
; FloatMode: 240
; IeeeMode: 1
; LDSByteSize: 0 bytes/workgroup (compile time only)
; SGPRBlocks: 2
; VGPRBlocks: 1
; NumSGPRsForWavesPerEU: 20
; NumVGPRsForWavesPerEU: 7
; Occupancy: 10
; WaveLimiterHint : 0
; COMPUTE_PGM_RSRC2:SCRATCH_EN: 0
; COMPUTE_PGM_RSRC2:USER_SGPR: 6
; COMPUTE_PGM_RSRC2:TRAP_HANDLER: 0
; COMPUTE_PGM_RSRC2:TGID_X_EN: 1
; COMPUTE_PGM_RSRC2:TGID_Y_EN: 0
; COMPUTE_PGM_RSRC2:TGID_Z_EN: 0
; COMPUTE_PGM_RSRC2:TIDIG_COMP_CNT: 0
	.section	.text._ZN2at6native12compute_modeIhLj2048EEEvPKT_NS_4cuda6detail10TensorInfoIS2_jEENS7_IljEEll,"axG",@progbits,_ZN2at6native12compute_modeIhLj2048EEEvPKT_NS_4cuda6detail10TensorInfoIS2_jEENS7_IljEEll,comdat
	.protected	_ZN2at6native12compute_modeIhLj2048EEEvPKT_NS_4cuda6detail10TensorInfoIS2_jEENS7_IljEEll ; -- Begin function _ZN2at6native12compute_modeIhLj2048EEEvPKT_NS_4cuda6detail10TensorInfoIS2_jEENS7_IljEEll
	.globl	_ZN2at6native12compute_modeIhLj2048EEEvPKT_NS_4cuda6detail10TensorInfoIS2_jEENS7_IljEEll
	.p2align	8
	.type	_ZN2at6native12compute_modeIhLj2048EEEvPKT_NS_4cuda6detail10TensorInfoIS2_jEENS7_IljEEll,@function
_ZN2at6native12compute_modeIhLj2048EEEvPKT_NS_4cuda6detail10TensorInfoIS2_jEENS7_IljEEll: ; @_ZN2at6native12compute_modeIhLj2048EEEvPKT_NS_4cuda6detail10TensorInfoIS2_jEENS7_IljEEll
; %bb.0:
	s_load_dwordx2 s[2:3], s[4:5], 0x1c8
	s_load_dwordx4 s[16:19], s[4:5], 0x1b8
	s_add_u32 s0, s4, 0x1c8
	s_addc_u32 s1, s5, 0
	v_mov_b32_e32 v2, 0
	s_waitcnt lgkmcnt(0)
	s_mul_i32 s3, s3, s8
	s_add_i32 s3, s3, s7
	s_mul_i32 s2, s3, s2
	s_add_i32 s20, s2, s6
	v_mov_b32_e32 v1, s20
	v_cmp_le_i64_e32 vcc, s[18:19], v[1:2]
	s_cbranch_vccnz .LBB75_197
; %bb.1:
	s_load_dwordx2 s[14:15], s[4:5], 0x0
	s_load_dword s2, s[0:1], 0xc
	v_mov_b32_e32 v1, v2
	v_cmp_gt_i64_e32 vcc, s[16:17], v[0:1]
	s_mul_i32 s21, s20, s16
	v_add_u32_e32 v3, 1, v0
	s_and_saveexec_b64 s[0:1], vcc
	s_cbranch_execz .LBB75_3
; %bb.2:
	v_add_u32_e32 v1, s21, v0
	s_waitcnt lgkmcnt(0)
	global_load_ubyte v1, v1, s[14:15]
	s_waitcnt vmcnt(0)
	ds_write_b8 v3, v1
.LBB75_3:
	s_or_b64 exec, exec, s[0:1]
	s_waitcnt lgkmcnt(0)
	s_and_b32 s18, 0xffff, s2
	v_add_u32_e32 v1, s18, v0
	v_cmp_gt_i64_e64 s[0:1], s[16:17], v[1:2]
	s_and_saveexec_b64 s[2:3], s[0:1]
	s_cbranch_execz .LBB75_5
; %bb.4:
	v_add_u32_e32 v2, s21, v1
	global_load_ubyte v2, v2, s[14:15]
	v_add_u32_e32 v1, 1, v1
	s_waitcnt vmcnt(0)
	ds_write_b8 v1, v2
.LBB75_5:
	s_or_b64 exec, exec, s[2:3]
	v_cndmask_b32_e64 v1, 0, 1, vcc
	ds_write_b8 v3, v1 offset:2048
	v_add_u32_e32 v1, s18, v3
	v_cndmask_b32_e64 v2, 0, 1, s[0:1]
	ds_write_b8 v1, v2 offset:2048
	v_add_u32_e32 v2, v3, v0
	s_waitcnt lgkmcnt(0)
	s_barrier
	s_barrier
	ds_read_u8 v1, v2
	ds_read_u8 v6, v2 offset:1
	ds_read_u8 v5, v2 offset:2048
	;; [unrolled: 1-line block ×3, first 2 shown]
	v_and_b32_e32 v4, 1, v0
	s_waitcnt lgkmcnt(2)
	v_cmp_lt_u16_e32 vcc, v1, v6
	s_waitcnt lgkmcnt(1)
	v_and_b32_e32 v8, 1, v5
	v_cmp_eq_u32_e64 s[0:1], 1, v8
	s_waitcnt lgkmcnt(0)
	v_cmp_ne_u16_e64 s[2:3], v7, v4
	v_cndmask_b32_e64 v8, 0, 1, s[2:3]
	s_and_b64 vcc, vcc, s[0:1]
	v_cndmask_b32_e32 v8, v8, v0, vcc
	v_and_b32_e32 v8, 1, v8
	v_cmp_eq_u32_e32 vcc, 1, v8
	s_and_saveexec_b64 s[0:1], vcc
	s_cbranch_execz .LBB75_7
; %bb.6:
	ds_write_b8 v2, v6
	ds_write_b8 v2, v1 offset:1
	ds_write_b8 v2, v7 offset:2048
	;; [unrolled: 1-line block ×3, first 2 shown]
.LBB75_7:
	s_or_b64 exec, exec, s[0:1]
	v_lshlrev_b32_e32 v1, 1, v0
	v_sub_u32_e32 v4, v1, v4
	v_add_u32_e32 v4, 1, v4
	s_waitcnt lgkmcnt(0)
	s_barrier
	ds_read_u8 v6, v4
	ds_read_u8 v8, v4 offset:2
	ds_read_u8 v7, v4 offset:2048
	;; [unrolled: 1-line block ×3, first 2 shown]
	v_bfe_u32 v10, v0, 1, 1
	v_and_b32_e32 v5, 2, v0
	s_waitcnt lgkmcnt(2)
	v_cmp_lt_u16_e64 s[0:1], v6, v8
	s_waitcnt lgkmcnt(1)
	v_and_b32_e32 v11, 1, v7
	v_cmp_eq_u32_e64 s[2:3], 1, v11
	s_waitcnt lgkmcnt(0)
	v_cmp_ne_u16_e64 s[6:7], v9, v10
	v_cndmask_b32_e64 v11, 0, 1, s[6:7]
	s_and_b64 s[0:1], s[0:1], s[2:3]
	v_cndmask_b32_e64 v10, v11, v10, s[0:1]
	v_and_b32_e32 v10, 1, v10
	v_cmp_ne_u32_e32 vcc, 0, v5
	v_cmp_eq_u32_e64 s[0:1], 1, v10
	s_and_saveexec_b64 s[2:3], s[0:1]
	s_xor_b64 s[0:1], exec, s[2:3]
	s_cbranch_execz .LBB75_9
; %bb.8:
	ds_write_b8 v4, v8
	ds_write_b8 v4, v6 offset:2
	ds_write_b8 v4, v9 offset:2048
	;; [unrolled: 1-line block ×3, first 2 shown]
.LBB75_9:
	s_or_b64 exec, exec, s[0:1]
	s_waitcnt lgkmcnt(0)
	s_barrier
	ds_read_u8 v6, v2
	ds_read_u8 v8, v2 offset:1
	ds_read_u8 v7, v2 offset:2048
	;; [unrolled: 1-line block ×3, first 2 shown]
	v_lshrrev_b32_e32 v5, 1, v5
	s_waitcnt lgkmcnt(2)
	v_cmp_lt_u16_e64 s[0:1], v6, v8
	s_waitcnt lgkmcnt(1)
	v_and_b32_e32 v10, 1, v7
	v_cmp_eq_u32_e64 s[2:3], 1, v10
	s_waitcnt lgkmcnt(0)
	v_cmp_ne_u16_e64 s[6:7], v9, v5
	v_cndmask_b32_e64 v5, 0, 1, s[6:7]
	v_cndmask_b32_e64 v10, 0, 1, vcc
	s_and_b64 vcc, s[0:1], s[2:3]
	v_cndmask_b32_e32 v5, v5, v10, vcc
	v_and_b32_e32 v5, 1, v5
	v_cmp_eq_u32_e32 vcc, 1, v5
	s_and_saveexec_b64 s[0:1], vcc
	s_cbranch_execz .LBB75_11
; %bb.10:
	ds_write_b8 v2, v8
	ds_write_b8 v2, v6 offset:1
	ds_write_b8 v2, v9 offset:2048
	;; [unrolled: 1-line block ×3, first 2 shown]
.LBB75_11:
	s_or_b64 exec, exec, s[0:1]
	v_and_b32_e32 v6, 3, v0
	v_sub_u32_e32 v6, v1, v6
	v_add_u32_e32 v6, 1, v6
	s_waitcnt lgkmcnt(0)
	s_barrier
	ds_read_u8 v7, v6
	ds_read_u8 v9, v6 offset:4
	ds_read_u8 v8, v6 offset:2048
	;; [unrolled: 1-line block ×3, first 2 shown]
	v_bfe_u32 v11, v0, 2, 1
	v_and_b32_e32 v5, 4, v0
	s_waitcnt lgkmcnt(2)
	v_cmp_lt_u16_e64 s[0:1], v7, v9
	s_waitcnt lgkmcnt(1)
	v_and_b32_e32 v12, 1, v8
	v_cmp_eq_u32_e64 s[2:3], 1, v12
	s_waitcnt lgkmcnt(0)
	v_cmp_ne_u16_e64 s[6:7], v10, v11
	v_cndmask_b32_e64 v12, 0, 1, s[6:7]
	s_and_b64 s[0:1], s[0:1], s[2:3]
	v_cndmask_b32_e64 v11, v12, v11, s[0:1]
	v_and_b32_e32 v11, 1, v11
	v_cmp_ne_u32_e32 vcc, 0, v5
	v_cmp_eq_u32_e64 s[0:1], 1, v11
	s_and_saveexec_b64 s[2:3], s[0:1]
	s_cbranch_execz .LBB75_13
; %bb.12:
	ds_write_b8 v6, v9
	ds_write_b8 v6, v7 offset:4
	ds_write_b8 v6, v10 offset:2048
	;; [unrolled: 1-line block ×3, first 2 shown]
.LBB75_13:
	s_or_b64 exec, exec, s[2:3]
	s_waitcnt lgkmcnt(0)
	s_barrier
	ds_read_u8 v8, v4
	ds_read_u8 v10, v4 offset:2
	ds_read_u8 v9, v4 offset:2048
	;; [unrolled: 1-line block ×3, first 2 shown]
	v_lshrrev_b32_e32 v5, 2, v5
	s_waitcnt lgkmcnt(2)
	v_cmp_lt_u16_e64 s[0:1], v8, v10
	s_waitcnt lgkmcnt(1)
	v_and_b32_e32 v7, 1, v9
	v_cmp_eq_u32_e64 s[2:3], 1, v7
	s_waitcnt lgkmcnt(0)
	v_cmp_ne_u16_e64 s[6:7], v11, v5
	v_cndmask_b32_e64 v12, 0, 1, s[6:7]
	v_cndmask_b32_e64 v7, 0, 1, vcc
	s_and_b64 vcc, s[0:1], s[2:3]
	v_cndmask_b32_e32 v12, v12, v7, vcc
	v_and_b32_e32 v12, 1, v12
	v_cmp_eq_u32_e32 vcc, 1, v12
	s_and_saveexec_b64 s[0:1], vcc
	s_cbranch_execz .LBB75_15
; %bb.14:
	ds_write_b8 v4, v10
	ds_write_b8 v4, v8 offset:2
	ds_write_b8 v4, v11 offset:2048
	;; [unrolled: 1-line block ×3, first 2 shown]
.LBB75_15:
	s_or_b64 exec, exec, s[0:1]
	s_waitcnt lgkmcnt(0)
	s_barrier
	ds_read_u8 v8, v2
	ds_read_u8 v10, v2 offset:1
	ds_read_u8 v9, v2 offset:2048
	;; [unrolled: 1-line block ×3, first 2 shown]
	s_waitcnt lgkmcnt(2)
	v_cmp_lt_u16_e32 vcc, v8, v10
	s_waitcnt lgkmcnt(1)
	v_and_b32_e32 v12, 1, v9
	v_cmp_eq_u32_e64 s[0:1], 1, v12
	s_waitcnt lgkmcnt(0)
	v_cmp_ne_u16_e64 s[2:3], v11, v5
	v_cndmask_b32_e64 v5, 0, 1, s[2:3]
	s_and_b64 vcc, vcc, s[0:1]
	v_cndmask_b32_e32 v5, v5, v7, vcc
	v_and_b32_e32 v5, 1, v5
	v_cmp_eq_u32_e32 vcc, 1, v5
	s_and_saveexec_b64 s[0:1], vcc
	s_cbranch_execz .LBB75_17
; %bb.16:
	ds_write_b8 v2, v10
	ds_write_b8 v2, v8 offset:1
	ds_write_b8 v2, v11 offset:2048
	;; [unrolled: 1-line block ×3, first 2 shown]
.LBB75_17:
	s_or_b64 exec, exec, s[0:1]
	v_and_b32_e32 v7, 7, v0
	v_sub_u32_e32 v7, v1, v7
	v_add_u32_e32 v7, 1, v7
	s_waitcnt lgkmcnt(0)
	s_barrier
	ds_read_u8 v8, v7
	ds_read_u8 v10, v7 offset:8
	ds_read_u8 v9, v7 offset:2048
	;; [unrolled: 1-line block ×3, first 2 shown]
	v_bfe_u32 v12, v0, 3, 1
	v_and_b32_e32 v5, 8, v0
	s_waitcnt lgkmcnt(2)
	v_cmp_lt_u16_e64 s[0:1], v8, v10
	s_waitcnt lgkmcnt(1)
	v_and_b32_e32 v13, 1, v9
	v_cmp_eq_u32_e64 s[2:3], 1, v13
	s_waitcnt lgkmcnt(0)
	v_cmp_ne_u16_e64 s[6:7], v11, v12
	v_cndmask_b32_e64 v13, 0, 1, s[6:7]
	s_and_b64 s[0:1], s[0:1], s[2:3]
	v_cndmask_b32_e64 v12, v13, v12, s[0:1]
	v_and_b32_e32 v12, 1, v12
	v_cmp_ne_u32_e32 vcc, 0, v5
	v_cmp_eq_u32_e64 s[0:1], 1, v12
	s_and_saveexec_b64 s[2:3], s[0:1]
	s_cbranch_execz .LBB75_19
; %bb.18:
	ds_write_b8 v7, v10
	ds_write_b8 v7, v8 offset:8
	ds_write_b8 v7, v11 offset:2048
	;; [unrolled: 1-line block ×3, first 2 shown]
.LBB75_19:
	s_or_b64 exec, exec, s[2:3]
	s_waitcnt lgkmcnt(0)
	s_barrier
	ds_read_u8 v9, v6
	ds_read_u8 v11, v6 offset:4
	ds_read_u8 v10, v6 offset:2048
	;; [unrolled: 1-line block ×3, first 2 shown]
	v_lshrrev_b32_e32 v5, 3, v5
	s_waitcnt lgkmcnt(2)
	v_cmp_lt_u16_e64 s[0:1], v9, v11
	s_waitcnt lgkmcnt(1)
	v_and_b32_e32 v8, 1, v10
	v_cmp_eq_u32_e64 s[2:3], 1, v8
	s_waitcnt lgkmcnt(0)
	v_cmp_ne_u16_e64 s[6:7], v12, v5
	v_cndmask_b32_e64 v13, 0, 1, s[6:7]
	v_cndmask_b32_e64 v8, 0, 1, vcc
	s_and_b64 vcc, s[0:1], s[2:3]
	v_cndmask_b32_e32 v13, v13, v8, vcc
	v_and_b32_e32 v13, 1, v13
	v_cmp_eq_u32_e32 vcc, 1, v13
	s_and_saveexec_b64 s[0:1], vcc
	s_cbranch_execz .LBB75_21
; %bb.20:
	ds_write_b8 v6, v11
	ds_write_b8 v6, v9 offset:4
	ds_write_b8 v6, v12 offset:2048
	;; [unrolled: 1-line block ×3, first 2 shown]
.LBB75_21:
	s_or_b64 exec, exec, s[0:1]
	s_waitcnt lgkmcnt(0)
	s_barrier
	ds_read_u8 v9, v4
	ds_read_u8 v11, v4 offset:2
	ds_read_u8 v10, v4 offset:2048
	;; [unrolled: 1-line block ×3, first 2 shown]
	s_waitcnt lgkmcnt(2)
	v_cmp_lt_u16_e32 vcc, v9, v11
	s_waitcnt lgkmcnt(1)
	v_and_b32_e32 v13, 1, v10
	v_cmp_eq_u32_e64 s[0:1], 1, v13
	s_waitcnt lgkmcnt(0)
	v_cmp_ne_u16_e64 s[2:3], v12, v5
	v_cndmask_b32_e64 v13, 0, 1, s[2:3]
	s_and_b64 vcc, vcc, s[0:1]
	v_cndmask_b32_e32 v13, v13, v8, vcc
	v_and_b32_e32 v13, 1, v13
	v_cmp_eq_u32_e32 vcc, 1, v13
	s_and_saveexec_b64 s[0:1], vcc
	s_cbranch_execz .LBB75_23
; %bb.22:
	ds_write_b8 v4, v11
	ds_write_b8 v4, v9 offset:2
	ds_write_b8 v4, v12 offset:2048
	;; [unrolled: 1-line block ×3, first 2 shown]
.LBB75_23:
	s_or_b64 exec, exec, s[0:1]
	s_waitcnt lgkmcnt(0)
	s_barrier
	ds_read_u8 v9, v2
	ds_read_u8 v11, v2 offset:1
	ds_read_u8 v10, v2 offset:2048
	;; [unrolled: 1-line block ×3, first 2 shown]
	s_waitcnt lgkmcnt(2)
	v_cmp_lt_u16_e32 vcc, v9, v11
	s_waitcnt lgkmcnt(1)
	v_and_b32_e32 v13, 1, v10
	v_cmp_eq_u32_e64 s[0:1], 1, v13
	s_waitcnt lgkmcnt(0)
	v_cmp_ne_u16_e64 s[2:3], v12, v5
	v_cndmask_b32_e64 v5, 0, 1, s[2:3]
	s_and_b64 vcc, vcc, s[0:1]
	v_cndmask_b32_e32 v5, v5, v8, vcc
	v_and_b32_e32 v5, 1, v5
	v_cmp_eq_u32_e32 vcc, 1, v5
	s_and_saveexec_b64 s[0:1], vcc
	s_cbranch_execz .LBB75_25
; %bb.24:
	ds_write_b8 v2, v11
	ds_write_b8 v2, v9 offset:1
	ds_write_b8 v2, v12 offset:2048
	;; [unrolled: 1-line block ×3, first 2 shown]
.LBB75_25:
	s_or_b64 exec, exec, s[0:1]
	v_and_b32_e32 v8, 15, v0
	v_sub_u32_e32 v8, v1, v8
	v_add_u32_e32 v8, 1, v8
	s_waitcnt lgkmcnt(0)
	s_barrier
	ds_read_u8 v9, v8
	ds_read_u8 v11, v8 offset:16
	ds_read_u8 v10, v8 offset:2048
	;; [unrolled: 1-line block ×3, first 2 shown]
	v_bfe_u32 v13, v0, 4, 1
	v_and_b32_e32 v5, 16, v0
	s_waitcnt lgkmcnt(2)
	v_cmp_lt_u16_e64 s[0:1], v9, v11
	s_waitcnt lgkmcnt(1)
	v_and_b32_e32 v14, 1, v10
	v_cmp_eq_u32_e64 s[2:3], 1, v14
	s_waitcnt lgkmcnt(0)
	v_cmp_ne_u16_e64 s[6:7], v12, v13
	v_cndmask_b32_e64 v14, 0, 1, s[6:7]
	s_and_b64 s[0:1], s[0:1], s[2:3]
	v_cndmask_b32_e64 v13, v14, v13, s[0:1]
	v_and_b32_e32 v13, 1, v13
	v_cmp_ne_u32_e32 vcc, 0, v5
	v_cmp_eq_u32_e64 s[0:1], 1, v13
	s_and_saveexec_b64 s[2:3], s[0:1]
	s_cbranch_execz .LBB75_27
; %bb.26:
	ds_write_b8 v8, v11
	ds_write_b8 v8, v9 offset:16
	ds_write_b8 v8, v12 offset:2048
	;; [unrolled: 1-line block ×3, first 2 shown]
.LBB75_27:
	s_or_b64 exec, exec, s[2:3]
	s_waitcnt lgkmcnt(0)
	s_barrier
	ds_read_u8 v10, v7
	ds_read_u8 v12, v7 offset:8
	ds_read_u8 v11, v7 offset:2048
	;; [unrolled: 1-line block ×3, first 2 shown]
	v_lshrrev_b32_e32 v5, 4, v5
	s_waitcnt lgkmcnt(2)
	v_cmp_lt_u16_e64 s[0:1], v10, v12
	s_waitcnt lgkmcnt(1)
	v_and_b32_e32 v9, 1, v11
	v_cmp_eq_u32_e64 s[2:3], 1, v9
	s_waitcnt lgkmcnt(0)
	v_cmp_ne_u16_e64 s[6:7], v13, v5
	v_cndmask_b32_e64 v14, 0, 1, s[6:7]
	v_cndmask_b32_e64 v9, 0, 1, vcc
	s_and_b64 vcc, s[0:1], s[2:3]
	v_cndmask_b32_e32 v14, v14, v9, vcc
	v_and_b32_e32 v14, 1, v14
	v_cmp_eq_u32_e32 vcc, 1, v14
	s_and_saveexec_b64 s[0:1], vcc
	s_cbranch_execz .LBB75_29
; %bb.28:
	ds_write_b8 v7, v12
	ds_write_b8 v7, v10 offset:8
	ds_write_b8 v7, v13 offset:2048
	ds_write_b8 v7, v11 offset:2056
.LBB75_29:
	s_or_b64 exec, exec, s[0:1]
	s_waitcnt lgkmcnt(0)
	s_barrier
	ds_read_u8 v10, v6
	ds_read_u8 v12, v6 offset:4
	ds_read_u8 v11, v6 offset:2048
	ds_read_u8 v13, v6 offset:2052
	s_waitcnt lgkmcnt(2)
	v_cmp_lt_u16_e32 vcc, v10, v12
	s_waitcnt lgkmcnt(1)
	v_and_b32_e32 v14, 1, v11
	v_cmp_eq_u32_e64 s[0:1], 1, v14
	s_waitcnt lgkmcnt(0)
	v_cmp_ne_u16_e64 s[2:3], v13, v5
	v_cndmask_b32_e64 v14, 0, 1, s[2:3]
	s_and_b64 vcc, vcc, s[0:1]
	v_cndmask_b32_e32 v14, v14, v9, vcc
	v_and_b32_e32 v14, 1, v14
	v_cmp_eq_u32_e32 vcc, 1, v14
	s_and_saveexec_b64 s[0:1], vcc
	s_cbranch_execz .LBB75_31
; %bb.30:
	ds_write_b8 v6, v12
	ds_write_b8 v6, v10 offset:4
	ds_write_b8 v6, v13 offset:2048
	ds_write_b8 v6, v11 offset:2052
.LBB75_31:
	s_or_b64 exec, exec, s[0:1]
	s_waitcnt lgkmcnt(0)
	s_barrier
	ds_read_u8 v10, v4
	ds_read_u8 v12, v4 offset:2
	ds_read_u8 v11, v4 offset:2048
	ds_read_u8 v13, v4 offset:2050
	s_waitcnt lgkmcnt(2)
	v_cmp_lt_u16_e32 vcc, v10, v12
	s_waitcnt lgkmcnt(1)
	v_and_b32_e32 v14, 1, v11
	v_cmp_eq_u32_e64 s[0:1], 1, v14
	s_waitcnt lgkmcnt(0)
	v_cmp_ne_u16_e64 s[2:3], v13, v5
	v_cndmask_b32_e64 v14, 0, 1, s[2:3]
	s_and_b64 vcc, vcc, s[0:1]
	;; [unrolled: 27-line block ×3, first 2 shown]
	v_cndmask_b32_e32 v5, v5, v9, vcc
	v_and_b32_e32 v5, 1, v5
	v_cmp_eq_u32_e32 vcc, 1, v5
	s_and_saveexec_b64 s[0:1], vcc
	s_cbranch_execz .LBB75_35
; %bb.34:
	ds_write_b8 v2, v12
	ds_write_b8 v2, v10 offset:1
	ds_write_b8 v2, v13 offset:2048
	;; [unrolled: 1-line block ×3, first 2 shown]
.LBB75_35:
	s_or_b64 exec, exec, s[0:1]
	v_and_b32_e32 v9, 31, v0
	v_sub_u32_e32 v9, v1, v9
	v_add_u32_e32 v9, 1, v9
	s_waitcnt lgkmcnt(0)
	s_barrier
	ds_read_u8 v10, v9
	ds_read_u8 v12, v9 offset:32
	ds_read_u8 v11, v9 offset:2048
	;; [unrolled: 1-line block ×3, first 2 shown]
	v_bfe_u32 v14, v0, 5, 1
	v_and_b32_e32 v5, 32, v0
	s_waitcnt lgkmcnt(2)
	v_cmp_lt_u16_e64 s[0:1], v10, v12
	s_waitcnt lgkmcnt(1)
	v_and_b32_e32 v15, 1, v11
	v_cmp_eq_u32_e64 s[2:3], 1, v15
	s_waitcnt lgkmcnt(0)
	v_cmp_ne_u16_e64 s[6:7], v13, v14
	v_cndmask_b32_e64 v15, 0, 1, s[6:7]
	s_and_b64 s[0:1], s[0:1], s[2:3]
	v_cndmask_b32_e64 v14, v15, v14, s[0:1]
	v_and_b32_e32 v14, 1, v14
	v_cmp_ne_u32_e32 vcc, 0, v5
	v_cmp_eq_u32_e64 s[0:1], 1, v14
	s_and_saveexec_b64 s[2:3], s[0:1]
	s_cbranch_execz .LBB75_37
; %bb.36:
	ds_write_b8 v9, v12
	ds_write_b8 v9, v10 offset:32
	ds_write_b8 v9, v13 offset:2048
	;; [unrolled: 1-line block ×3, first 2 shown]
.LBB75_37:
	s_or_b64 exec, exec, s[2:3]
	s_waitcnt lgkmcnt(0)
	s_barrier
	ds_read_u8 v11, v8
	ds_read_u8 v13, v8 offset:16
	ds_read_u8 v12, v8 offset:2048
	;; [unrolled: 1-line block ×3, first 2 shown]
	v_lshrrev_b32_e32 v5, 5, v5
	s_waitcnt lgkmcnt(2)
	v_cmp_lt_u16_e64 s[0:1], v11, v13
	s_waitcnt lgkmcnt(1)
	v_and_b32_e32 v10, 1, v12
	v_cmp_eq_u32_e64 s[2:3], 1, v10
	s_waitcnt lgkmcnt(0)
	v_cmp_ne_u16_e64 s[6:7], v14, v5
	v_cndmask_b32_e64 v15, 0, 1, s[6:7]
	v_cndmask_b32_e64 v10, 0, 1, vcc
	s_and_b64 vcc, s[0:1], s[2:3]
	v_cndmask_b32_e32 v15, v15, v10, vcc
	v_and_b32_e32 v15, 1, v15
	v_cmp_eq_u32_e32 vcc, 1, v15
	s_and_saveexec_b64 s[0:1], vcc
	s_cbranch_execz .LBB75_39
; %bb.38:
	ds_write_b8 v8, v13
	ds_write_b8 v8, v11 offset:16
	ds_write_b8 v8, v14 offset:2048
	ds_write_b8 v8, v12 offset:2064
.LBB75_39:
	s_or_b64 exec, exec, s[0:1]
	s_waitcnt lgkmcnt(0)
	s_barrier
	ds_read_u8 v11, v7
	ds_read_u8 v13, v7 offset:8
	ds_read_u8 v12, v7 offset:2048
	ds_read_u8 v14, v7 offset:2056
	s_waitcnt lgkmcnt(2)
	v_cmp_lt_u16_e32 vcc, v11, v13
	s_waitcnt lgkmcnt(1)
	v_and_b32_e32 v15, 1, v12
	v_cmp_eq_u32_e64 s[0:1], 1, v15
	s_waitcnt lgkmcnt(0)
	v_cmp_ne_u16_e64 s[2:3], v14, v5
	v_cndmask_b32_e64 v15, 0, 1, s[2:3]
	s_and_b64 vcc, vcc, s[0:1]
	v_cndmask_b32_e32 v15, v15, v10, vcc
	v_and_b32_e32 v15, 1, v15
	v_cmp_eq_u32_e32 vcc, 1, v15
	s_and_saveexec_b64 s[0:1], vcc
	s_cbranch_execz .LBB75_41
; %bb.40:
	ds_write_b8 v7, v13
	ds_write_b8 v7, v11 offset:8
	ds_write_b8 v7, v14 offset:2048
	ds_write_b8 v7, v12 offset:2056
.LBB75_41:
	s_or_b64 exec, exec, s[0:1]
	s_waitcnt lgkmcnt(0)
	s_barrier
	ds_read_u8 v11, v6
	ds_read_u8 v13, v6 offset:4
	ds_read_u8 v12, v6 offset:2048
	ds_read_u8 v14, v6 offset:2052
	s_waitcnt lgkmcnt(2)
	v_cmp_lt_u16_e32 vcc, v11, v13
	s_waitcnt lgkmcnt(1)
	v_and_b32_e32 v15, 1, v12
	v_cmp_eq_u32_e64 s[0:1], 1, v15
	s_waitcnt lgkmcnt(0)
	v_cmp_ne_u16_e64 s[2:3], v14, v5
	v_cndmask_b32_e64 v15, 0, 1, s[2:3]
	s_and_b64 vcc, vcc, s[0:1]
	;; [unrolled: 27-line block ×4, first 2 shown]
	v_cndmask_b32_e32 v5, v5, v10, vcc
	v_and_b32_e32 v5, 1, v5
	v_cmp_eq_u32_e32 vcc, 1, v5
	s_and_saveexec_b64 s[0:1], vcc
	s_cbranch_execz .LBB75_47
; %bb.46:
	ds_write_b8 v2, v13
	ds_write_b8 v2, v11 offset:1
	ds_write_b8 v2, v14 offset:2048
	;; [unrolled: 1-line block ×3, first 2 shown]
.LBB75_47:
	s_or_b64 exec, exec, s[0:1]
	v_and_b32_e32 v5, 63, v0
	v_sub_u32_e32 v10, v1, v5
	v_add_u32_e32 v10, 1, v10
	s_waitcnt lgkmcnt(0)
	s_barrier
	ds_read_u8 v12, v10
	ds_read_u8 v14, v10 offset:64
	ds_read_u8 v13, v10 offset:2048
	;; [unrolled: 1-line block ×3, first 2 shown]
	v_bfe_u32 v16, v0, 6, 1
	v_and_b32_e32 v11, 64, v0
	s_waitcnt lgkmcnt(2)
	v_cmp_lt_u16_e64 s[0:1], v12, v14
	s_waitcnt lgkmcnt(1)
	v_and_b32_e32 v17, 1, v13
	v_cmp_eq_u32_e64 s[2:3], 1, v17
	s_waitcnt lgkmcnt(0)
	v_cmp_ne_u16_e64 s[6:7], v15, v16
	v_cndmask_b32_e64 v17, 0, 1, s[6:7]
	s_and_b64 s[0:1], s[0:1], s[2:3]
	v_cndmask_b32_e64 v16, v17, v16, s[0:1]
	v_and_b32_e32 v16, 1, v16
	v_cmp_ne_u32_e32 vcc, 0, v11
	v_cmp_eq_u32_e64 s[0:1], 1, v16
	s_and_saveexec_b64 s[2:3], s[0:1]
	s_cbranch_execz .LBB75_49
; %bb.48:
	ds_write_b8 v10, v14
	ds_write_b8 v10, v12 offset:64
	ds_write_b8 v10, v15 offset:2048
	;; [unrolled: 1-line block ×3, first 2 shown]
.LBB75_49:
	s_or_b64 exec, exec, s[2:3]
	s_waitcnt lgkmcnt(0)
	s_barrier
	ds_read_u8 v13, v9
	ds_read_u8 v15, v9 offset:32
	ds_read_u8 v14, v9 offset:2048
	;; [unrolled: 1-line block ×3, first 2 shown]
	v_lshrrev_b32_e32 v11, 6, v11
	s_waitcnt lgkmcnt(2)
	v_cmp_lt_u16_e64 s[0:1], v13, v15
	s_waitcnt lgkmcnt(1)
	v_and_b32_e32 v12, 1, v14
	v_cmp_eq_u32_e64 s[2:3], 1, v12
	s_waitcnt lgkmcnt(0)
	v_cmp_ne_u16_e64 s[6:7], v16, v11
	v_cndmask_b32_e64 v17, 0, 1, s[6:7]
	v_cndmask_b32_e64 v12, 0, 1, vcc
	s_and_b64 vcc, s[0:1], s[2:3]
	v_cndmask_b32_e32 v17, v17, v12, vcc
	v_and_b32_e32 v17, 1, v17
	v_cmp_eq_u32_e32 vcc, 1, v17
	s_and_saveexec_b64 s[0:1], vcc
	s_cbranch_execz .LBB75_51
; %bb.50:
	ds_write_b8 v9, v15
	ds_write_b8 v9, v13 offset:32
	ds_write_b8 v9, v16 offset:2048
	ds_write_b8 v9, v14 offset:2080
.LBB75_51:
	s_or_b64 exec, exec, s[0:1]
	s_waitcnt lgkmcnt(0)
	s_barrier
	ds_read_u8 v13, v8
	ds_read_u8 v15, v8 offset:16
	ds_read_u8 v14, v8 offset:2048
	ds_read_u8 v16, v8 offset:2064
	s_waitcnt lgkmcnt(2)
	v_cmp_lt_u16_e32 vcc, v13, v15
	s_waitcnt lgkmcnt(1)
	v_and_b32_e32 v17, 1, v14
	v_cmp_eq_u32_e64 s[0:1], 1, v17
	s_waitcnt lgkmcnt(0)
	v_cmp_ne_u16_e64 s[2:3], v16, v11
	v_cndmask_b32_e64 v17, 0, 1, s[2:3]
	s_and_b64 vcc, vcc, s[0:1]
	v_cndmask_b32_e32 v17, v17, v12, vcc
	v_and_b32_e32 v17, 1, v17
	v_cmp_eq_u32_e32 vcc, 1, v17
	s_and_saveexec_b64 s[0:1], vcc
	s_cbranch_execz .LBB75_53
; %bb.52:
	ds_write_b8 v8, v15
	ds_write_b8 v8, v13 offset:16
	ds_write_b8 v8, v16 offset:2048
	ds_write_b8 v8, v14 offset:2064
.LBB75_53:
	s_or_b64 exec, exec, s[0:1]
	s_waitcnt lgkmcnt(0)
	s_barrier
	ds_read_u8 v13, v7
	ds_read_u8 v15, v7 offset:8
	ds_read_u8 v14, v7 offset:2048
	ds_read_u8 v16, v7 offset:2056
	s_waitcnt lgkmcnt(2)
	v_cmp_lt_u16_e32 vcc, v13, v15
	s_waitcnt lgkmcnt(1)
	v_and_b32_e32 v17, 1, v14
	v_cmp_eq_u32_e64 s[0:1], 1, v17
	s_waitcnt lgkmcnt(0)
	v_cmp_ne_u16_e64 s[2:3], v16, v11
	v_cndmask_b32_e64 v17, 0, 1, s[2:3]
	s_and_b64 vcc, vcc, s[0:1]
	;; [unrolled: 27-line block ×5, first 2 shown]
	v_cndmask_b32_e32 v11, v11, v12, vcc
	v_and_b32_e32 v11, 1, v11
	v_cmp_eq_u32_e32 vcc, 1, v11
	s_and_saveexec_b64 s[0:1], vcc
	s_cbranch_execz .LBB75_61
; %bb.60:
	ds_write_b8 v2, v15
	ds_write_b8 v2, v13 offset:1
	ds_write_b8 v2, v16 offset:2048
	;; [unrolled: 1-line block ×3, first 2 shown]
.LBB75_61:
	s_or_b64 exec, exec, s[0:1]
	v_and_b32_e32 v11, 0x7f, v0
	v_sub_u32_e32 v11, v1, v11
	v_add_u32_e32 v11, 1, v11
	s_waitcnt lgkmcnt(0)
	s_barrier
	ds_read_u8 v13, v11
	ds_read_u8 v15, v11 offset:128
	ds_read_u8 v14, v11 offset:2048
	;; [unrolled: 1-line block ×3, first 2 shown]
	v_lshrrev_b32_e32 v17, 7, v0
	v_and_b32_e32 v12, 0x80, v0
	v_cmp_ne_u32_e32 vcc, 0, v12
	v_and_b32_e32 v12, 1, v17
	s_waitcnt lgkmcnt(1)
	v_and_b32_e32 v18, 1, v14
	v_cmp_lt_u16_e64 s[0:1], v13, v15
	v_cmp_eq_u32_e64 s[2:3], 1, v18
	s_waitcnt lgkmcnt(0)
	v_cmp_ne_u16_e64 s[6:7], v16, v12
	v_cndmask_b32_e64 v18, 0, 1, s[6:7]
	s_and_b64 s[0:1], s[0:1], s[2:3]
	v_cndmask_b32_e64 v17, v18, v17, s[0:1]
	v_and_b32_e32 v17, 1, v17
	v_cmp_eq_u32_e64 s[0:1], 1, v17
	s_and_saveexec_b64 s[2:3], s[0:1]
	s_cbranch_execz .LBB75_63
; %bb.62:
	ds_write_b8 v11, v15
	ds_write_b8 v11, v13 offset:128
	ds_write_b8 v11, v16 offset:2048
	;; [unrolled: 1-line block ×3, first 2 shown]
.LBB75_63:
	s_or_b64 exec, exec, s[2:3]
	s_waitcnt lgkmcnt(0)
	s_barrier
	ds_read_u8 v14, v10
	ds_read_u8 v16, v10 offset:64
	ds_read_u8 v15, v10 offset:2048
	;; [unrolled: 1-line block ×3, first 2 shown]
	s_waitcnt lgkmcnt(2)
	v_cmp_lt_u16_e64 s[0:1], v14, v16
	s_waitcnt lgkmcnt(1)
	v_and_b32_e32 v13, 1, v15
	v_cmp_eq_u32_e64 s[2:3], 1, v13
	s_waitcnt lgkmcnt(0)
	v_cmp_ne_u16_e64 s[6:7], v17, v12
	v_cndmask_b32_e64 v18, 0, 1, s[6:7]
	v_cndmask_b32_e64 v13, 0, 1, vcc
	s_and_b64 vcc, s[0:1], s[2:3]
	v_cndmask_b32_e32 v18, v18, v13, vcc
	v_and_b32_e32 v18, 1, v18
	v_cmp_eq_u32_e32 vcc, 1, v18
	s_and_saveexec_b64 s[0:1], vcc
	s_cbranch_execz .LBB75_65
; %bb.64:
	ds_write_b8 v10, v16
	ds_write_b8 v10, v14 offset:64
	ds_write_b8 v10, v17 offset:2048
	ds_write_b8 v10, v15 offset:2112
.LBB75_65:
	s_or_b64 exec, exec, s[0:1]
	s_waitcnt lgkmcnt(0)
	s_barrier
	ds_read_u8 v14, v9
	ds_read_u8 v16, v9 offset:32
	ds_read_u8 v15, v9 offset:2048
	ds_read_u8 v17, v9 offset:2080
	s_waitcnt lgkmcnt(2)
	v_cmp_lt_u16_e32 vcc, v14, v16
	s_waitcnt lgkmcnt(1)
	v_and_b32_e32 v18, 1, v15
	v_cmp_eq_u32_e64 s[0:1], 1, v18
	s_waitcnt lgkmcnt(0)
	v_cmp_ne_u16_e64 s[2:3], v17, v12
	v_cndmask_b32_e64 v18, 0, 1, s[2:3]
	s_and_b64 vcc, vcc, s[0:1]
	v_cndmask_b32_e32 v18, v18, v13, vcc
	v_and_b32_e32 v18, 1, v18
	v_cmp_eq_u32_e32 vcc, 1, v18
	s_and_saveexec_b64 s[0:1], vcc
	s_cbranch_execz .LBB75_67
; %bb.66:
	ds_write_b8 v9, v16
	ds_write_b8 v9, v14 offset:32
	ds_write_b8 v9, v17 offset:2048
	ds_write_b8 v9, v15 offset:2080
.LBB75_67:
	s_or_b64 exec, exec, s[0:1]
	s_waitcnt lgkmcnt(0)
	s_barrier
	ds_read_u8 v14, v8
	ds_read_u8 v16, v8 offset:16
	ds_read_u8 v15, v8 offset:2048
	ds_read_u8 v17, v8 offset:2064
	s_waitcnt lgkmcnt(2)
	v_cmp_lt_u16_e32 vcc, v14, v16
	s_waitcnt lgkmcnt(1)
	v_and_b32_e32 v18, 1, v15
	v_cmp_eq_u32_e64 s[0:1], 1, v18
	s_waitcnt lgkmcnt(0)
	v_cmp_ne_u16_e64 s[2:3], v17, v12
	v_cndmask_b32_e64 v18, 0, 1, s[2:3]
	s_and_b64 vcc, vcc, s[0:1]
	;; [unrolled: 27-line block ×6, first 2 shown]
	v_cndmask_b32_e32 v12, v12, v13, vcc
	v_and_b32_e32 v12, 1, v12
	v_cmp_eq_u32_e32 vcc, 1, v12
	s_and_saveexec_b64 s[0:1], vcc
	s_cbranch_execz .LBB75_77
; %bb.76:
	ds_write_b8 v2, v16
	ds_write_b8 v2, v14 offset:1
	ds_write_b8 v2, v17 offset:2048
	;; [unrolled: 1-line block ×3, first 2 shown]
.LBB75_77:
	s_or_b64 exec, exec, s[0:1]
	v_sub_u32_sdwa v12, v1, v0 dst_sel:DWORD dst_unused:UNUSED_PAD src0_sel:DWORD src1_sel:BYTE_0
	v_add_u32_e32 v12, 1, v12
	v_and_b32_e32 v17, 0x100, v0
	s_waitcnt lgkmcnt(0)
	s_barrier
	ds_read_u8 v14, v12
	ds_read_u8 v16, v12 offset:256
	ds_read_u8 v15, v12 offset:2048
	v_cmp_ne_u32_e32 vcc, 0, v17
	ds_read_u8 v17, v12 offset:2304
	v_bfe_u32 v18, v0, 8, 1
	s_waitcnt lgkmcnt(2)
	v_cmp_lt_u16_e64 s[0:1], v14, v16
	s_waitcnt lgkmcnt(1)
	v_and_b32_e32 v19, 1, v15
	v_cmp_eq_u32_e64 s[2:3], 1, v19
	s_waitcnt lgkmcnt(0)
	v_cmp_ne_u16_e64 s[6:7], v17, v18
	v_cndmask_b32_e64 v19, 0, 1, s[6:7]
	s_and_b64 s[0:1], s[0:1], s[2:3]
	v_cndmask_b32_e64 v18, v19, v18, s[0:1]
	v_and_b32_e32 v18, 1, v18
	v_and_b32_e32 v13, 0x100, v0
	v_cmp_eq_u32_e64 s[0:1], 1, v18
	s_and_saveexec_b64 s[2:3], s[0:1]
	s_cbranch_execz .LBB75_79
; %bb.78:
	ds_write_b8 v12, v16
	ds_write_b8 v12, v14 offset:256
	ds_write_b8 v12, v17 offset:2048
	;; [unrolled: 1-line block ×3, first 2 shown]
.LBB75_79:
	s_or_b64 exec, exec, s[2:3]
	s_waitcnt lgkmcnt(0)
	s_barrier
	ds_read_u8 v15, v11
	ds_read_u8 v17, v11 offset:128
	ds_read_u8 v16, v11 offset:2048
	;; [unrolled: 1-line block ×3, first 2 shown]
	v_lshrrev_b32_e32 v13, 8, v13
	s_waitcnt lgkmcnt(2)
	v_cmp_lt_u16_e64 s[0:1], v15, v17
	s_waitcnt lgkmcnt(1)
	v_and_b32_e32 v14, 1, v16
	v_cmp_eq_u32_e64 s[2:3], 1, v14
	s_waitcnt lgkmcnt(0)
	v_cmp_ne_u16_e64 s[6:7], v18, v13
	v_cndmask_b32_e64 v19, 0, 1, s[6:7]
	v_cndmask_b32_e64 v14, 0, 1, vcc
	s_and_b64 vcc, s[0:1], s[2:3]
	v_cndmask_b32_e32 v19, v19, v14, vcc
	v_and_b32_e32 v19, 1, v19
	v_cmp_eq_u32_e32 vcc, 1, v19
	s_and_saveexec_b64 s[0:1], vcc
	s_cbranch_execz .LBB75_81
; %bb.80:
	ds_write_b8 v11, v17
	ds_write_b8 v11, v15 offset:128
	ds_write_b8 v11, v18 offset:2048
	ds_write_b8 v11, v16 offset:2176
.LBB75_81:
	s_or_b64 exec, exec, s[0:1]
	s_waitcnt lgkmcnt(0)
	s_barrier
	ds_read_u8 v15, v10
	ds_read_u8 v17, v10 offset:64
	ds_read_u8 v16, v10 offset:2048
	ds_read_u8 v18, v10 offset:2112
	s_waitcnt lgkmcnt(2)
	v_cmp_lt_u16_e32 vcc, v15, v17
	s_waitcnt lgkmcnt(1)
	v_and_b32_e32 v19, 1, v16
	v_cmp_eq_u32_e64 s[0:1], 1, v19
	s_waitcnt lgkmcnt(0)
	v_cmp_ne_u16_e64 s[2:3], v18, v13
	v_cndmask_b32_e64 v19, 0, 1, s[2:3]
	s_and_b64 vcc, vcc, s[0:1]
	v_cndmask_b32_e32 v19, v19, v14, vcc
	v_and_b32_e32 v19, 1, v19
	v_cmp_eq_u32_e32 vcc, 1, v19
	s_and_saveexec_b64 s[0:1], vcc
	s_cbranch_execz .LBB75_83
; %bb.82:
	ds_write_b8 v10, v17
	ds_write_b8 v10, v15 offset:64
	ds_write_b8 v10, v18 offset:2048
	ds_write_b8 v10, v16 offset:2112
.LBB75_83:
	s_or_b64 exec, exec, s[0:1]
	s_waitcnt lgkmcnt(0)
	s_barrier
	ds_read_u8 v15, v9
	ds_read_u8 v17, v9 offset:32
	ds_read_u8 v16, v9 offset:2048
	ds_read_u8 v18, v9 offset:2080
	s_waitcnt lgkmcnt(2)
	v_cmp_lt_u16_e32 vcc, v15, v17
	s_waitcnt lgkmcnt(1)
	v_and_b32_e32 v19, 1, v16
	v_cmp_eq_u32_e64 s[0:1], 1, v19
	s_waitcnt lgkmcnt(0)
	v_cmp_ne_u16_e64 s[2:3], v18, v13
	v_cndmask_b32_e64 v19, 0, 1, s[2:3]
	s_and_b64 vcc, vcc, s[0:1]
	;; [unrolled: 27-line block ×7, first 2 shown]
	v_cndmask_b32_e32 v13, v13, v14, vcc
	v_and_b32_e32 v13, 1, v13
	v_cmp_eq_u32_e32 vcc, 1, v13
	s_and_saveexec_b64 s[0:1], vcc
	s_cbranch_execz .LBB75_95
; %bb.94:
	ds_write_b8 v2, v17
	ds_write_b8 v2, v15 offset:1
	ds_write_b8 v2, v18 offset:2048
	;; [unrolled: 1-line block ×3, first 2 shown]
.LBB75_95:
	s_or_b64 exec, exec, s[0:1]
	v_and_b32_e32 v13, 0x1ff, v0
	v_sub_u32_e32 v13, v1, v13
	v_add_u32_e32 v13, 1, v13
	s_waitcnt lgkmcnt(0)
	s_barrier
	ds_read_u8 v15, v13
	ds_read_u8 v17, v13 offset:512
	ds_read_u8 v16, v13 offset:2048
	;; [unrolled: 1-line block ×3, first 2 shown]
	s_movk_i32 s0, 0x1ff
	v_cmp_lt_u32_e32 vcc, s0, v0
	v_cndmask_b32_e64 v14, 0, 1, vcc
	s_waitcnt lgkmcnt(1)
	v_and_b32_e32 v19, 1, v16
	v_cmp_lt_u16_e32 vcc, v15, v17
	v_cmp_eq_u32_e64 s[0:1], 1, v19
	s_waitcnt lgkmcnt(0)
	v_cmp_ne_u16_e64 s[2:3], v18, v14
	v_cndmask_b32_e64 v19, 0, 1, s[2:3]
	s_and_b64 vcc, vcc, s[0:1]
	v_cndmask_b32_e32 v19, v19, v14, vcc
	v_and_b32_e32 v19, 1, v19
	v_cmp_eq_u32_e32 vcc, 1, v19
	s_and_saveexec_b64 s[0:1], vcc
	s_cbranch_execz .LBB75_97
; %bb.96:
	ds_write_b8 v13, v17
	ds_write_b8 v13, v15 offset:512
	ds_write_b8 v13, v18 offset:2048
	ds_write_b8 v13, v16 offset:2560
.LBB75_97:
	s_or_b64 exec, exec, s[0:1]
	s_waitcnt lgkmcnt(0)
	s_barrier
	ds_read_u8 v15, v12
	ds_read_u8 v17, v12 offset:256
	ds_read_u8 v16, v12 offset:2048
	ds_read_u8 v18, v12 offset:2304
	s_waitcnt lgkmcnt(2)
	v_cmp_lt_u16_e32 vcc, v15, v17
	s_waitcnt lgkmcnt(1)
	v_and_b32_e32 v19, 1, v16
	v_cmp_eq_u32_e64 s[0:1], 1, v19
	s_waitcnt lgkmcnt(0)
	v_cmp_ne_u16_e64 s[2:3], v18, v14
	v_cndmask_b32_e64 v19, 0, 1, s[2:3]
	s_and_b64 vcc, vcc, s[0:1]
	v_cndmask_b32_e32 v19, v19, v14, vcc
	v_and_b32_e32 v19, 1, v19
	v_cmp_eq_u32_e32 vcc, 1, v19
	s_and_saveexec_b64 s[0:1], vcc
	s_cbranch_execz .LBB75_99
; %bb.98:
	ds_write_b8 v12, v17
	ds_write_b8 v12, v15 offset:256
	ds_write_b8 v12, v18 offset:2048
	ds_write_b8 v12, v16 offset:2304
.LBB75_99:
	s_or_b64 exec, exec, s[0:1]
	s_waitcnt lgkmcnt(0)
	s_barrier
	ds_read_u8 v15, v11
	ds_read_u8 v17, v11 offset:128
	ds_read_u8 v16, v11 offset:2048
	ds_read_u8 v18, v11 offset:2176
	s_waitcnt lgkmcnt(2)
	v_cmp_lt_u16_e32 vcc, v15, v17
	s_waitcnt lgkmcnt(1)
	v_and_b32_e32 v19, 1, v16
	;; [unrolled: 27-line block ×9, first 2 shown]
	v_cmp_eq_u32_e64 s[0:1], 1, v19
	s_waitcnt lgkmcnt(0)
	v_cmp_ne_u16_e64 s[2:3], v18, v14
	v_cndmask_b32_e64 v19, 0, 1, s[2:3]
	s_and_b64 vcc, vcc, s[0:1]
	v_cndmask_b32_e32 v14, v19, v14, vcc
	v_and_b32_e32 v14, 1, v14
	v_cmp_eq_u32_e32 vcc, 1, v14
	s_and_saveexec_b64 s[0:1], vcc
	s_cbranch_execz .LBB75_115
; %bb.114:
	ds_write_b8 v2, v17
	ds_write_b8 v2, v15 offset:1
	ds_write_b8 v2, v18 offset:2048
	;; [unrolled: 1-line block ×3, first 2 shown]
.LBB75_115:
	s_or_b64 exec, exec, s[0:1]
	s_waitcnt lgkmcnt(0)
	s_barrier
	ds_read_u8 v15, v3
	ds_read_u8 v17, v3 offset:1024
	ds_read_u8 v16, v3 offset:2048
	;; [unrolled: 1-line block ×3, first 2 shown]
	s_waitcnt lgkmcnt(2)
	v_cmp_ge_u16_e32 vcc, v15, v17
	s_waitcnt lgkmcnt(1)
	v_and_b32_e32 v14, 1, v16
	v_cmp_eq_u32_e64 s[0:1], 1, v14
	s_xor_b64 s[0:1], s[0:1], -1
	v_mov_b32_e32 v14, 0
	s_or_b64 s[0:1], vcc, s[0:1]
	s_waitcnt lgkmcnt(0)
	v_cmp_ne_u16_sdwa s[2:3], v18, v14 src0_sel:BYTE_0 src1_sel:DWORD
	s_and_b64 s[2:3], s[0:1], s[2:3]
	s_and_saveexec_b64 s[0:1], s[2:3]
	s_cbranch_execz .LBB75_117
; %bb.116:
	ds_write_b8 v3, v17
	ds_write_b8 v3, v15 offset:1024
	v_mov_b32_e32 v15, 1
	ds_write_b8 v3, v15 offset:2048
	ds_write_b8 v3, v16 offset:3072
.LBB75_117:
	s_or_b64 exec, exec, s[0:1]
	s_waitcnt lgkmcnt(0)
	s_barrier
	ds_read_u8 v15, v13
	ds_read_u8 v17, v13 offset:512
	ds_read_u8 v16, v13 offset:2048
	;; [unrolled: 1-line block ×3, first 2 shown]
	s_waitcnt lgkmcnt(2)
	v_cmp_ge_u16_e32 vcc, v15, v17
	s_waitcnt lgkmcnt(1)
	v_and_b32_e32 v19, 1, v16
	v_cmp_eq_u32_e64 s[0:1], 1, v19
	s_xor_b64 s[0:1], s[0:1], -1
	s_or_b64 s[0:1], vcc, s[0:1]
	s_waitcnt lgkmcnt(0)
	v_cmp_ne_u16_sdwa s[2:3], v18, v14 src0_sel:BYTE_0 src1_sel:DWORD
	s_and_b64 s[2:3], s[0:1], s[2:3]
	s_and_saveexec_b64 s[0:1], s[2:3]
	s_cbranch_execz .LBB75_119
; %bb.118:
	v_mov_b32_e32 v14, 1
	ds_write_b8 v13, v17
	ds_write_b8 v13, v15 offset:512
	ds_write_b8 v13, v14 offset:2048
	;; [unrolled: 1-line block ×3, first 2 shown]
.LBB75_119:
	s_or_b64 exec, exec, s[0:1]
	s_waitcnt lgkmcnt(0)
	s_barrier
	ds_read_u8 v14, v12
	ds_read_u8 v16, v12 offset:256
	ds_read_u8 v15, v12 offset:2048
	ds_read_u8 v17, v12 offset:2304
	s_waitcnt lgkmcnt(2)
	v_cmp_ge_u16_e32 vcc, v14, v16
	s_waitcnt lgkmcnt(1)
	v_and_b32_e32 v13, 1, v15
	v_cmp_eq_u32_e64 s[0:1], 1, v13
	s_xor_b64 s[0:1], s[0:1], -1
	v_mov_b32_e32 v13, 0
	s_or_b64 s[0:1], vcc, s[0:1]
	s_waitcnt lgkmcnt(0)
	v_cmp_ne_u16_sdwa s[2:3], v17, v13 src0_sel:BYTE_0 src1_sel:DWORD
	s_and_b64 s[2:3], s[0:1], s[2:3]
	s_and_saveexec_b64 s[0:1], s[2:3]
	s_cbranch_execz .LBB75_121
; %bb.120:
	ds_write_b8 v12, v16
	ds_write_b8 v12, v14 offset:256
	v_mov_b32_e32 v14, 1
	ds_write_b8 v12, v14 offset:2048
	ds_write_b8 v12, v15 offset:2304
.LBB75_121:
	s_or_b64 exec, exec, s[0:1]
	s_waitcnt lgkmcnt(0)
	s_barrier
	ds_read_u8 v12, v11
	ds_read_u8 v15, v11 offset:128
	ds_read_u8 v14, v11 offset:2048
	ds_read_u8 v16, v11 offset:2176
	s_waitcnt lgkmcnt(2)
	v_cmp_ge_u16_e32 vcc, v12, v15
	s_waitcnt lgkmcnt(1)
	v_and_b32_e32 v17, 1, v14
	v_cmp_eq_u32_e64 s[0:1], 1, v17
	s_xor_b64 s[0:1], s[0:1], -1
	s_or_b64 s[0:1], vcc, s[0:1]
	s_waitcnt lgkmcnt(0)
	v_cmp_ne_u16_sdwa s[2:3], v16, v13 src0_sel:BYTE_0 src1_sel:DWORD
	s_and_b64 s[2:3], s[0:1], s[2:3]
	s_and_saveexec_b64 s[0:1], s[2:3]
	s_cbranch_execz .LBB75_123
; %bb.122:
	ds_write_b8 v11, v15
	ds_write_b8 v11, v12 offset:128
	v_mov_b32_e32 v12, 1
	ds_write_b8 v11, v12 offset:2048
	ds_write_b8 v11, v14 offset:2176
.LBB75_123:
	s_or_b64 exec, exec, s[0:1]
	s_waitcnt lgkmcnt(0)
	s_barrier
	ds_read_u8 v12, v10
	ds_read_u8 v14, v10 offset:64
	ds_read_u8 v13, v10 offset:2048
	ds_read_u8 v15, v10 offset:2112
	s_waitcnt lgkmcnt(2)
	v_cmp_ge_u16_e32 vcc, v12, v14
	s_waitcnt lgkmcnt(1)
	v_and_b32_e32 v11, 1, v13
	v_cmp_eq_u32_e64 s[0:1], 1, v11
	s_xor_b64 s[0:1], s[0:1], -1
	v_mov_b32_e32 v11, 0
	s_or_b64 s[0:1], vcc, s[0:1]
	s_waitcnt lgkmcnt(0)
	v_cmp_ne_u16_sdwa s[2:3], v15, v11 src0_sel:BYTE_0 src1_sel:DWORD
	s_and_b64 s[2:3], s[0:1], s[2:3]
	s_and_saveexec_b64 s[0:1], s[2:3]
	s_cbranch_execz .LBB75_125
; %bb.124:
	ds_write_b8 v10, v14
	ds_write_b8 v10, v12 offset:64
	v_mov_b32_e32 v12, 1
	ds_write_b8 v10, v12 offset:2048
	ds_write_b8 v10, v13 offset:2112
.LBB75_125:
	s_or_b64 exec, exec, s[0:1]
	s_waitcnt lgkmcnt(0)
	s_barrier
	ds_read_u8 v10, v9
	ds_read_u8 v13, v9 offset:32
	ds_read_u8 v12, v9 offset:2048
	ds_read_u8 v14, v9 offset:2080
	s_waitcnt lgkmcnt(2)
	v_cmp_ge_u16_e32 vcc, v10, v13
	s_waitcnt lgkmcnt(1)
	v_and_b32_e32 v15, 1, v12
	v_cmp_eq_u32_e64 s[0:1], 1, v15
	s_xor_b64 s[0:1], s[0:1], -1
	s_or_b64 s[0:1], vcc, s[0:1]
	s_waitcnt lgkmcnt(0)
	v_cmp_ne_u16_sdwa s[2:3], v14, v11 src0_sel:BYTE_0 src1_sel:DWORD
	s_and_b64 s[2:3], s[0:1], s[2:3]
	s_and_saveexec_b64 s[0:1], s[2:3]
	s_cbranch_execz .LBB75_127
; %bb.126:
	ds_write_b8 v9, v13
	ds_write_b8 v9, v10 offset:32
	v_mov_b32_e32 v10, 1
	ds_write_b8 v9, v10 offset:2048
	ds_write_b8 v9, v12 offset:2080
.LBB75_127:
	;; [unrolled: 53-line block ×4, first 2 shown]
	s_or_b64 exec, exec, s[0:1]
	s_waitcnt lgkmcnt(0)
	s_barrier
	ds_read_u8 v4, v2
	ds_read_u8 v7, v2 offset:1
	ds_read_u8 v6, v2 offset:2048
	;; [unrolled: 1-line block ×3, first 2 shown]
	s_waitcnt lgkmcnt(2)
	v_cmp_ge_u16_e32 vcc, v4, v7
	s_waitcnt lgkmcnt(1)
	v_and_b32_e32 v9, 1, v6
	v_cmp_eq_u32_e64 s[0:1], 1, v9
	s_xor_b64 s[0:1], s[0:1], -1
	v_mov_b32_e32 v9, 0
	s_or_b64 s[0:1], vcc, s[0:1]
	s_waitcnt lgkmcnt(0)
	v_cmp_ne_u16_sdwa s[2:3], v8, v9 src0_sel:BYTE_0 src1_sel:DWORD
	s_and_b64 s[2:3], s[0:1], s[2:3]
	s_and_saveexec_b64 s[0:1], s[2:3]
	s_cbranch_execz .LBB75_137
; %bb.136:
	ds_write_b8 v2, v7
	ds_write_b8 v2, v4 offset:1
	v_mov_b32_e32 v4, 1
	ds_write_b8 v2, v4 offset:2048
	ds_write_b8 v2, v6 offset:2049
.LBB75_137:
	s_or_b64 exec, exec, s[0:1]
	v_cmp_eq_u32_e32 vcc, 0, v0
	s_waitcnt lgkmcnt(0)
	s_barrier
	s_barrier
	s_and_saveexec_b64 s[0:1], vcc
	s_cbranch_execz .LBB75_139
; %bb.138:
	v_mov_b32_e32 v4, 1
	v_mov_b32_e32 v6, 0
	ds_write_b8 v4, v4 offset:2052
	ds_write_b32 v4, v6 offset:2048
.LBB75_139:
	s_or_b64 exec, exec, s[0:1]
	ds_read_u8 v7, v2
	ds_read_u8 v6, v2 offset:1
	v_mad_u32_u24 v2, v0, 15, v3
	v_mul_u32_u24_e32 v4, 15, v0
	s_waitcnt lgkmcnt(0)
	v_cmp_ne_u16_e64 s[0:1], v7, v6
	v_cndmask_b32_e64 v8, 0, 1, s[0:1]
	v_cmp_eq_u16_e64 s[0:1], v7, v6
	v_cndmask_b32_e64 v7, 0, 1, s[0:1]
	s_movk_i32 s0, 0x3ff
	ds_write_b8 v2, v8 offset:2060
	ds_write_b32 v2, v7 offset:2056
	v_cmp_ne_u32_e64 s[2:3], s0, v0
	v_mov_b32_e32 v2, 0x800
	s_and_saveexec_b64 s[6:7], s[2:3]
	s_cbranch_execz .LBB75_141
; %bb.140:
	v_add_u32_e32 v7, 1, v1
	ds_read_u8 v8, v7 offset:2
	v_add_u32_e32 v2, 2, v1
	v_mad_u32_u24 v7, v0, 14, v7
	s_waitcnt lgkmcnt(0)
	v_cmp_ne_u16_e64 s[0:1], v6, v8
	v_cndmask_b32_e64 v9, 0, 1, s[0:1]
	v_cmp_eq_u16_e64 s[0:1], v6, v8
	v_cndmask_b32_e64 v6, 0, 1, s[0:1]
	ds_write_b8 v7, v9 offset:2068
	ds_write_b32 v7, v6 offset:2064
.LBB75_141:
	s_or_b64 exec, exec, s[6:7]
	v_add_u32_e32 v3, v3, v4
	s_waitcnt lgkmcnt(0)
	s_barrier
	ds_read_u8 v4, v3 offset:2060
	v_add_u32_e32 v6, 0x800, v3
	ds_read2_b32 v[6:7], v6 offset1:2
	ds_read_u8 v8, v3 offset:2052
	v_add_u32_e32 v9, 0x808, v3
	s_waitcnt lgkmcnt(2)
	v_and_b32_e32 v10, 1, v4
	v_cmp_eq_u32_e64 s[0:1], 1, v10
	s_waitcnt lgkmcnt(1)
	v_cndmask_b32_e64 v6, v6, 0, s[0:1]
	s_waitcnt lgkmcnt(0)
	v_or_b32_e32 v4, v8, v4
	v_add_u32_e32 v6, v6, v7
	v_and_b32_e32 v4, 1, v4
	ds_write2_b32 v9, v6, v4 offset1:1
	v_lshlrev_b32_e32 v4, 1, v2
	s_movk_i32 s0, 0x200
	v_cmp_gt_u32_e64 s[0:1], s0, v0
	v_lshl_add_u32 v4, v4, 3, 1
	s_waitcnt lgkmcnt(0)
	s_barrier
	s_and_saveexec_b64 s[6:7], s[0:1]
	s_cbranch_execz .LBB75_143
; %bb.142:
	ds_read_u8 v8, v4 offset:2044
	v_add_u32_e32 v6, 0x400, v4
	ds_read2_b32 v[6:7], v6 offset0:250 offset1:254
	ds_read_u8 v9, v4 offset:2028
	v_add_u32_e32 v10, 0x7f8, v4
	s_waitcnt lgkmcnt(2)
	v_and_b32_e32 v11, 1, v8
	v_cmp_eq_u32_e64 s[0:1], 1, v11
	s_waitcnt lgkmcnt(1)
	v_cndmask_b32_e64 v6, v6, 0, s[0:1]
	v_add_u32_e32 v6, v6, v7
	s_waitcnt lgkmcnt(0)
	v_or_b32_e32 v7, v9, v8
	v_and_b32_e32 v7, 1, v7
	ds_write2_b32 v10, v6, v7 offset1:1
.LBB75_143:
	s_or_b64 exec, exec, s[6:7]
	v_lshlrev_b32_e32 v6, 2, v2
	s_movk_i32 s0, 0x100
	v_cmp_gt_u32_e64 s[0:1], s0, v0
	v_lshl_add_u32 v6, v6, 3, 1
	s_waitcnt lgkmcnt(0)
	s_barrier
	s_and_saveexec_b64 s[6:7], s[0:1]
	s_cbranch_execz .LBB75_145
; %bb.144:
	ds_read_u8 v9, v6 offset:2044
	v_add_u32_e32 v7, 0x400, v6
	ds_read2_b32 v[7:8], v7 offset0:246 offset1:254
	ds_read_u8 v10, v6 offset:2012
	v_add_u32_e32 v11, 0x7f8, v6
	s_waitcnt lgkmcnt(2)
	v_and_b32_e32 v12, 1, v9
	v_cmp_eq_u32_e64 s[0:1], 1, v12
	s_waitcnt lgkmcnt(1)
	v_cndmask_b32_e64 v7, v7, 0, s[0:1]
	v_add_u32_e32 v7, v7, v8
	s_waitcnt lgkmcnt(0)
	v_or_b32_e32 v8, v10, v9
	v_and_b32_e32 v8, 1, v8
	ds_write2_b32 v11, v7, v8 offset1:1
.LBB75_145:
	s_or_b64 exec, exec, s[6:7]
	v_lshlrev_b32_e32 v7, 3, v2
	s_movk_i32 s0, 0x80
	v_cmp_gt_u32_e64 s[0:1], s0, v0
	v_lshl_add_u32 v7, v7, 3, 1
	s_waitcnt lgkmcnt(0)
	s_barrier
	s_and_saveexec_b64 s[6:7], s[0:1]
	s_cbranch_execz .LBB75_147
; %bb.146:
	ds_read_u8 v10, v7 offset:2044
	ds_read_u8 v12, v7 offset:1980
	v_add_u32_e32 v8, 0x400, v7
	ds_read2_b32 v[8:9], v8 offset0:238 offset1:254
	v_add_u32_e32 v11, 0x7f8, v7
	s_waitcnt lgkmcnt(2)
	v_and_b32_e32 v13, 1, v10
	v_cmp_eq_u32_e64 s[0:1], 1, v13
	s_waitcnt lgkmcnt(0)
	v_cndmask_b32_e64 v8, v8, 0, s[0:1]
	v_add_u32_e32 v8, v8, v9
	v_or_b32_e32 v9, v12, v10
	v_and_b32_e32 v9, 1, v9
	ds_write2_b32 v11, v8, v9 offset1:1
.LBB75_147:
	s_or_b64 exec, exec, s[6:7]
	v_lshlrev_b32_e32 v8, 4, v2
	v_cmp_gt_u32_e64 s[0:1], 64, v0
	v_lshl_add_u32 v8, v8, 3, 1
	s_waitcnt lgkmcnt(0)
	s_barrier
	s_and_saveexec_b64 s[8:9], s[0:1]
	s_cbranch_execz .LBB75_149
; %bb.148:
	ds_read_u8 v11, v8 offset:2044
	ds_read_u8 v13, v8 offset:1916
	v_add_u32_e32 v9, 0x400, v8
	ds_read2_b32 v[9:10], v9 offset0:222 offset1:254
	v_add_u32_e32 v12, 0x7f8, v8
	s_waitcnt lgkmcnt(2)
	v_and_b32_e32 v14, 1, v11
	v_cmp_eq_u32_e64 s[6:7], 1, v14
	s_waitcnt lgkmcnt(0)
	v_cndmask_b32_e64 v9, v9, 0, s[6:7]
	v_add_u32_e32 v9, v9, v10
	v_or_b32_e32 v10, v13, v11
	v_and_b32_e32 v10, 1, v10
	ds_write2_b32 v12, v9, v10 offset1:1
.LBB75_149:
	s_or_b64 exec, exec, s[8:9]
	v_lshlrev_b32_e32 v9, 5, v2
	v_cmp_gt_u32_e64 s[6:7], 32, v0
	v_lshl_add_u32 v9, v9, 3, 1
	s_waitcnt lgkmcnt(0)
	s_barrier
	s_and_saveexec_b64 s[8:9], s[6:7]
	s_cbranch_execz .LBB75_151
; %bb.150:
	ds_read_u8 v12, v9 offset:2044
	ds_read_u8 v14, v9 offset:1788
	v_add_u32_e32 v10, 0xf8, v9
	ds_read2st64_b32 v[10:11], v10 offset0:6 offset1:7
	v_add_u32_e32 v13, 0x7f8, v9
	s_waitcnt lgkmcnt(2)
	v_and_b32_e32 v15, 1, v12
	v_cmp_eq_u32_e64 s[6:7], 1, v15
	s_waitcnt lgkmcnt(0)
	v_cndmask_b32_e64 v10, v10, 0, s[6:7]
	v_add_u32_e32 v10, v10, v11
	v_or_b32_e32 v11, v14, v12
	v_and_b32_e32 v11, 1, v11
	ds_write2_b32 v13, v10, v11 offset1:1
.LBB75_151:
	s_or_b64 exec, exec, s[8:9]
	v_lshlrev_b32_e32 v10, 6, v2
	v_cmp_gt_u32_e64 s[6:7], 16, v0
	v_lshl_add_u32 v10, v10, 3, 1
	s_waitcnt lgkmcnt(0)
	s_barrier
	s_and_saveexec_b64 s[8:9], s[6:7]
	s_cbranch_execz .LBB75_153
; %bb.152:
	ds_read_u8 v13, v10 offset:2044
	ds_read_u8 v15, v10 offset:1532
	v_add_u32_e32 v11, 0xf8, v10
	ds_read2st64_b32 v[11:12], v11 offset0:5 offset1:7
	v_add_u32_e32 v14, 0x7f8, v10
	s_waitcnt lgkmcnt(2)
	v_and_b32_e32 v16, 1, v13
	v_cmp_eq_u32_e64 s[6:7], 1, v16
	s_waitcnt lgkmcnt(0)
	v_cndmask_b32_e64 v11, v11, 0, s[6:7]
	v_add_u32_e32 v11, v11, v12
	v_or_b32_e32 v12, v15, v13
	v_and_b32_e32 v12, 1, v12
	ds_write2_b32 v14, v11, v12 offset1:1
.LBB75_153:
	;; [unrolled: 24-line block ×3, first 2 shown]
	s_or_b64 exec, exec, s[8:9]
	v_lshlrev_b32_e32 v12, 8, v2
	v_cmp_gt_u32_e64 s[6:7], 4, v0
	v_lshl_add_u32 v12, v12, 3, 1
	s_waitcnt lgkmcnt(0)
	s_barrier
	s_and_saveexec_b64 s[8:9], s[6:7]
	s_cbranch_execz .LBB75_157
; %bb.156:
	ds_read_u8 v15, v12 offset:2044
	v_add_u32_e32 v14, -8, v12
	v_add_u32_e32 v16, -4, v12
	ds_read_b32 v14, v14
	ds_read_b32 v17, v12 offset:2040
	ds_read_u8 v16, v16
	v_add_u32_e32 v13, 0x7f8, v12
	s_waitcnt lgkmcnt(3)
	v_and_b32_e32 v18, 1, v15
	v_cmp_eq_u32_e64 s[6:7], 1, v18
	s_waitcnt lgkmcnt(2)
	v_cndmask_b32_e64 v14, v14, 0, s[6:7]
	s_waitcnt lgkmcnt(0)
	v_or_b32_e32 v15, v16, v15
	v_add_u32_e32 v14, v14, v17
	v_and_b32_e32 v15, 1, v15
	ds_write2_b32 v13, v14, v15 offset1:1
.LBB75_157:
	s_or_b64 exec, exec, s[8:9]
	v_lshlrev_b32_e32 v13, 9, v2
	v_cmp_gt_u32_e64 s[6:7], 2, v0
	v_lshl_add_u32 v13, v13, 3, 1
	s_waitcnt lgkmcnt(0)
	s_barrier
	s_and_saveexec_b64 s[8:9], s[6:7]
	s_cbranch_execz .LBB75_159
; %bb.158:
	ds_read_u8 v16, v13 offset:2044
	v_add_u32_e32 v15, 0xfffff7f8, v13
	v_add_u32_e32 v17, 0xfffff7fc, v13
	ds_read_b32 v15, v15
	ds_read_b32 v18, v13 offset:2040
	ds_read_u8 v17, v17
	v_add_u32_e32 v14, 0x7f8, v13
	s_waitcnt lgkmcnt(3)
	v_and_b32_e32 v19, 1, v16
	v_cmp_eq_u32_e64 s[6:7], 1, v19
	s_waitcnt lgkmcnt(2)
	v_cndmask_b32_e64 v15, v15, 0, s[6:7]
	s_waitcnt lgkmcnt(0)
	v_or_b32_e32 v16, v17, v16
	v_add_u32_e32 v15, v15, v18
	v_and_b32_e32 v16, 1, v16
	ds_write2_b32 v14, v15, v16 offset1:1
.LBB75_159:
	s_or_b64 exec, exec, s[8:9]
	s_waitcnt lgkmcnt(0)
	s_barrier
	s_and_saveexec_b64 s[8:9], vcc
	s_cbranch_execz .LBB75_161
; %bb.160:
	v_mov_b32_e32 v14, 1
	ds_read_u8 v15, v14 offset:18428
	ds_read_b32 v16, v14 offset:10232
	ds_read_b32 v17, v14 offset:18424
	ds_read_u8 v14, v14 offset:10236
	s_add_i32 s10, 1, 0x47f8
	s_waitcnt lgkmcnt(3)
	v_and_b32_e32 v18, 1, v15
	v_cmp_eq_u32_e64 s[6:7], 1, v18
	s_waitcnt lgkmcnt(2)
	v_cndmask_b32_e64 v16, v16, 0, s[6:7]
	s_waitcnt lgkmcnt(0)
	v_or_b32_e32 v14, v14, v15
	v_add_u32_e32 v16, v16, v17
	v_and_b32_e32 v14, 1, v14
	v_mov_b32_e32 v15, s10
	ds_write2_b32 v15, v16, v14 offset1:1
.LBB75_161:
	s_or_b64 exec, exec, s[8:9]
	s_waitcnt lgkmcnt(0)
	s_barrier
	s_and_saveexec_b64 s[8:9], vcc
	s_cbranch_execz .LBB75_163
; %bb.162:
	ds_read_u8 v16, v13 offset:6140
	v_add_u32_e32 v14, 0xf8, v13
	ds_read2st64_b32 v[14:15], v14 offset0:7 offset1:23
	v_add_u32_e32 v17, 0x17f8, v13
	ds_read_u8 v13, v13 offset:2044
	s_waitcnt lgkmcnt(2)
	v_and_b32_e32 v18, 1, v16
	v_cmp_eq_u32_e64 s[6:7], 1, v18
	s_waitcnt lgkmcnt(1)
	v_cndmask_b32_e64 v14, v14, 0, s[6:7]
	v_add_u32_e32 v14, v14, v15
	s_waitcnt lgkmcnt(0)
	v_or_b32_e32 v13, v13, v16
	v_and_b32_e32 v13, 1, v13
	ds_write2_b32 v17, v14, v13 offset1:1
.LBB75_163:
	s_or_b64 exec, exec, s[8:9]
	v_cmp_gt_u32_e64 s[6:7], 3, v0
	s_waitcnt lgkmcnt(0)
	s_barrier
	s_and_saveexec_b64 s[8:9], s[6:7]
	s_cbranch_execz .LBB75_165
; %bb.164:
	ds_read_u8 v15, v12 offset:4092
	v_add_u32_e32 v13, 0xf8, v12
	ds_read2st64_b32 v[13:14], v13 offset0:7 offset1:15
	v_add_u32_e32 v16, 0xff8, v12
	ds_read_u8 v12, v12 offset:2044
	s_waitcnt lgkmcnt(2)
	v_and_b32_e32 v17, 1, v15
	v_cmp_eq_u32_e64 s[6:7], 1, v17
	s_waitcnt lgkmcnt(1)
	v_cndmask_b32_e64 v13, v13, 0, s[6:7]
	v_add_u32_e32 v13, v13, v14
	s_waitcnt lgkmcnt(0)
	v_or_b32_e32 v12, v12, v15
	v_and_b32_e32 v12, 1, v12
	ds_write2_b32 v16, v13, v12 offset1:1
.LBB75_165:
	s_or_b64 exec, exec, s[8:9]
	v_cmp_gt_u32_e64 s[6:7], 7, v0
	s_waitcnt lgkmcnt(0)
	s_barrier
	s_and_saveexec_b64 s[8:9], s[6:7]
	;; [unrolled: 23-line block ×5, first 2 shown]
	s_cbranch_execz .LBB75_173
; %bb.172:
	ds_read_u8 v11, v8 offset:2172
	v_add_u32_e32 v9, 0x600, v8
	ds_read2_b32 v[9:10], v9 offset0:126 offset1:158
	v_add_u32_e32 v12, 0x878, v8
	ds_read_u8 v8, v8 offset:2044
	s_waitcnt lgkmcnt(2)
	v_and_b32_e32 v13, 1, v11
	v_cmp_eq_u32_e64 s[6:7], 1, v13
	s_waitcnt lgkmcnt(1)
	v_cndmask_b32_e64 v9, v9, 0, s[6:7]
	v_add_u32_e32 v9, v9, v10
	s_waitcnt lgkmcnt(0)
	v_or_b32_e32 v8, v8, v11
	v_and_b32_e32 v8, 1, v8
	ds_write2_b32 v12, v9, v8 offset1:1
.LBB75_173:
	s_or_b64 exec, exec, s[8:9]
	s_movk_i32 s6, 0x7f
	v_cmp_gt_u32_e64 s[6:7], s6, v0
	s_waitcnt lgkmcnt(0)
	s_barrier
	s_and_saveexec_b64 s[8:9], s[6:7]
	s_cbranch_execz .LBB75_175
; %bb.174:
	ds_read_u8 v10, v7 offset:2108
	v_add_u32_e32 v8, 0x600, v7
	ds_read2_b32 v[8:9], v8 offset0:126 offset1:142
	v_add_u32_e32 v11, 0x838, v7
	ds_read_u8 v7, v7 offset:2044
	s_waitcnt lgkmcnt(2)
	v_and_b32_e32 v12, 1, v10
	v_cmp_eq_u32_e64 s[6:7], 1, v12
	s_waitcnt lgkmcnt(1)
	v_cndmask_b32_e64 v8, v8, 0, s[6:7]
	v_add_u32_e32 v8, v8, v9
	s_waitcnt lgkmcnt(0)
	v_or_b32_e32 v7, v7, v10
	v_and_b32_e32 v7, 1, v7
	ds_write2_b32 v11, v8, v7 offset1:1
.LBB75_175:
	s_or_b64 exec, exec, s[8:9]
	s_movk_i32 s6, 0xff
	v_cmp_gt_u32_e64 s[6:7], s6, v0
	s_waitcnt lgkmcnt(0)
	s_barrier
	s_and_saveexec_b64 s[8:9], s[6:7]
	s_cbranch_execz .LBB75_177
; %bb.176:
	ds_read_u8 v9, v6 offset:2076
	v_add_u32_e32 v7, 0x600, v6
	ds_read2_b32 v[7:8], v7 offset0:126 offset1:134
	ds_read_u8 v10, v6 offset:2044
	v_add_u32_e32 v6, 0x818, v6
	s_waitcnt lgkmcnt(2)
	v_and_b32_e32 v11, 1, v9
	v_cmp_eq_u32_e64 s[6:7], 1, v11
	s_waitcnt lgkmcnt(1)
	v_cndmask_b32_e64 v7, v7, 0, s[6:7]
	v_add_u32_e32 v7, v7, v8
	s_waitcnt lgkmcnt(0)
	v_or_b32_e32 v8, v10, v9
	v_and_b32_e32 v8, 1, v8
	ds_write2_b32 v6, v7, v8 offset1:1
.LBB75_177:
	s_or_b64 exec, exec, s[8:9]
	s_movk_i32 s6, 0x1ff
	v_cmp_gt_u32_e64 s[6:7], s6, v0
	s_waitcnt lgkmcnt(0)
	s_barrier
	s_and_saveexec_b64 s[8:9], s[6:7]
	s_cbranch_execz .LBB75_179
; %bb.178:
	ds_read_u8 v8, v4 offset:2060
	v_add_u32_e32 v6, 0x600, v4
	ds_read2_b32 v[6:7], v6 offset0:126 offset1:130
	ds_read_u8 v9, v4 offset:2044
	v_add_u32_e32 v4, 0x808, v4
	s_waitcnt lgkmcnt(2)
	v_and_b32_e32 v10, 1, v8
	v_cmp_eq_u32_e64 s[6:7], 1, v10
	s_waitcnt lgkmcnt(1)
	v_cndmask_b32_e64 v6, v6, 0, s[6:7]
	v_add_u32_e32 v6, v6, v7
	s_waitcnt lgkmcnt(0)
	v_or_b32_e32 v7, v9, v8
	v_and_b32_e32 v7, 1, v7
	ds_write2_b32 v4, v6, v7 offset1:1
.LBB75_179:
	s_or_b64 exec, exec, s[8:9]
	s_waitcnt lgkmcnt(0)
	s_barrier
	s_and_saveexec_b64 s[6:7], s[2:3]
	s_cbranch_execz .LBB75_181
; %bb.180:
	v_lshl_add_u32 v2, v2, 3, 1
	ds_read_u8 v4, v2 offset:2052
	v_add_u32_e32 v6, 0x800, v2
	ds_read_b32 v7, v3 offset:2056
	ds_read_b32 v2, v2 offset:2048
	ds_read_u8 v8, v3 offset:2060
	s_waitcnt lgkmcnt(3)
	v_and_b32_e32 v9, 1, v4
	v_cmp_eq_u32_e64 s[2:3], 1, v9
	s_waitcnt lgkmcnt(2)
	v_cndmask_b32_e64 v7, v7, 0, s[2:3]
	s_waitcnt lgkmcnt(0)
	v_or_b32_e32 v4, v8, v4
	v_add_u32_e32 v2, v7, v2
	v_and_b32_e32 v4, 1, v4
	ds_write2_b32 v6, v2, v4 offset1:1
.LBB75_181:
	s_or_b64 exec, exec, s[6:7]
	v_add_u32_e32 v2, 0x800, v3
	s_waitcnt lgkmcnt(0)
	s_barrier
	ds_read2_b32 v[6:7], v2 offset1:2
	v_or_b32_e32 v3, 1, v1
	v_cmp_gt_u32_e64 s[2:3], s16, v1
	v_cmp_gt_u32_e64 s[6:7], s16, v3
	v_cndmask_b32_e64 v4, 0, v1, s[2:3]
	s_waitcnt lgkmcnt(0)
	v_cndmask_b32_e64 v2, 0, v6, s[2:3]
	v_mbcnt_lo_u32_b32 v6, -1, 0
	v_cndmask_b32_e64 v7, 0, v7, s[6:7]
	v_mbcnt_hi_u32_b32 v11, -1, v6
	v_mov_b32_e32 v6, 0x80
	v_cndmask_b32_e64 v8, 0, v3, s[6:7]
	v_max_u32_e32 v9, v7, v2
	v_lshl_or_b32 v6, v11, 2, v6
	v_cmp_gt_u32_e64 s[8:9], v7, v2
	ds_bpermute_b32 v10, v6, v9
	v_cndmask_b32_e64 v2, v4, v8, s[8:9]
	ds_bpermute_b32 v4, v6, v2
	v_and_b32_e32 v12, 63, v11
	v_cmp_gt_u32_e64 s[8:9], 48, v12
	v_cndmask_b32_e64 v7, 0, 16, s[8:9]
	s_waitcnt lgkmcnt(1)
	v_max_u32_e32 v13, v10, v9
	v_add_lshl_u32 v7, v7, v11, 2
	v_cmp_gt_u32_e64 s[8:9], v10, v9
	ds_bpermute_b32 v14, v7, v13
	s_waitcnt lgkmcnt(1)
	v_cndmask_b32_e64 v2, v2, v4, s[8:9]
	ds_bpermute_b32 v4, v7, v2
	v_cmp_gt_u32_e64 s[8:9], 56, v12
	v_cndmask_b32_e64 v8, 0, 8, s[8:9]
	s_waitcnt lgkmcnt(1)
	v_max_u32_e32 v10, v14, v13
	v_add_lshl_u32 v8, v8, v11, 2
	v_cmp_gt_u32_e64 s[8:9], v14, v13
	ds_bpermute_b32 v15, v8, v10
	s_waitcnt lgkmcnt(1)
	v_cndmask_b32_e64 v2, v2, v4, s[8:9]
	ds_bpermute_b32 v4, v8, v2
	;; [unrolled: 10-line block ×4, first 2 shown]
	s_waitcnt lgkmcnt(0)
	s_barrier
	v_cmp_gt_u32_e64 s[8:9], v16, v15
	v_max_u32_e32 v2, v16, v15
	v_cndmask_b32_e64 v4, v4, v13, s[8:9]
	v_cmp_ne_u32_e64 s[8:9], 63, v12
	v_addc_co_u32_e64 v11, s[8:9], 0, v11, s[8:9]
	v_lshlrev_b32_e32 v11, 2, v11
	ds_bpermute_b32 v12, v11, v4
	ds_bpermute_b32 v13, v11, v2
	v_cmp_eq_u32_e64 s[8:9], 0, v5
	s_waitcnt lgkmcnt(0)
	s_barrier
	s_and_saveexec_b64 s[12:13], s[8:9]
	s_cbranch_execz .LBB75_183
; %bb.182:
	v_lshrrev_b32_e32 v14, 3, v0
	v_add_u32_e32 v14, 1, v14
	v_cmp_gt_u32_e64 s[10:11], v13, v2
	v_add_u32_e32 v14, 0x800, v14
	v_cndmask_b32_e64 v4, v4, v12, s[10:11]
	v_max_u32_e32 v2, v13, v2
	ds_write2_b32 v14, v2, v4 offset1:1
.LBB75_183:
	s_or_b64 exec, exec, s[12:13]
	s_lshr_b32 s10, s18, 6
	v_cmp_gt_u32_e64 s[10:11], s10, v0
	v_lshl_add_u32 v12, v5, 3, 1
	v_mov_b32_e32 v2, 0
	v_mov_b32_e32 v4, 0
	s_waitcnt lgkmcnt(0)
	s_barrier
	s_and_saveexec_b64 s[12:13], s[10:11]
	s_cbranch_execnz .LBB75_198
; %bb.184:
	s_or_b64 exec, exec, s[12:13]
	s_and_saveexec_b64 s[12:13], s[10:11]
	s_cbranch_execnz .LBB75_199
.LBB75_185:
	s_or_b64 exec, exec, s[12:13]
	s_and_saveexec_b64 s[18:19], s[0:1]
	s_cbranch_execnz .LBB75_200
.LBB75_186:
	s_or_b64 exec, exec, s[18:19]
	s_and_saveexec_b64 s[12:13], vcc
	s_cbranch_execz .LBB75_188
.LBB75_187:
	s_waitcnt lgkmcnt(0)
	v_add_u32_e32 v2, 1, v2
	ds_read_u8 v2, v2
	v_mov_b32_e32 v4, 0
	s_waitcnt lgkmcnt(0)
	ds_write_b8 v4, v2
.LBB75_188:
	s_or_b64 exec, exec, s[12:13]
	s_waitcnt lgkmcnt(0)
	v_mov_b32_e32 v2, 0
	v_cmp_gt_i64_e64 s[12:13], s[16:17], v[1:2]
	v_mov_b32_e32 v13, 0
	s_barrier
	s_and_saveexec_b64 s[18:19], s[12:13]
	s_cbranch_execz .LBB75_190
; %bb.189:
	v_add_u32_e32 v4, s21, v1
	global_load_ubyte v4, v4, s[14:15]
	v_mov_b32_e32 v13, 0
	ds_read_u8 v13, v13
	s_waitcnt vmcnt(0) lgkmcnt(0)
	v_cmp_eq_u16_e64 s[12:13], v4, v13
	v_cndmask_b32_e64 v13, 0, v1, s[12:13]
.LBB75_190:
	s_or_b64 exec, exec, s[18:19]
	v_mov_b32_e32 v4, v2
	v_cmp_gt_i64_e64 s[12:13], s[16:17], v[3:4]
	s_and_saveexec_b64 s[16:17], s[12:13]
	s_cbranch_execz .LBB75_192
; %bb.191:
	v_add_u32_e32 v1, s21, v3
	global_load_ubyte v1, v1, s[14:15]
	v_mov_b32_e32 v2, 0
	ds_read_u8 v2, v2
	s_waitcnt vmcnt(0) lgkmcnt(0)
	v_cmp_eq_u16_e64 s[12:13], v1, v2
	v_cndmask_b32_e64 v2, 0, v3, s[12:13]
.LBB75_192:
	s_or_b64 exec, exec, s[16:17]
	v_cndmask_b32_e64 v1, 0, v13, s[2:3]
	v_max_u32_e32 v2, v2, v1
	v_cndmask_b32_e64 v1, v1, v2, s[6:7]
	ds_bpermute_b32 v2, v6, v1
	s_waitcnt lgkmcnt(0)
	s_barrier
	v_max_u32_e32 v1, v2, v1
	ds_bpermute_b32 v2, v7, v1
	s_waitcnt lgkmcnt(0)
	v_max_u32_e32 v1, v2, v1
	ds_bpermute_b32 v2, v8, v1
	s_waitcnt lgkmcnt(0)
	;; [unrolled: 3-line block ×4, first 2 shown]
	v_max_u32_e32 v1, v2, v1
	ds_bpermute_b32 v2, v11, v1
	s_and_saveexec_b64 s[2:3], s[8:9]
	s_cbranch_execz .LBB75_194
; %bb.193:
	v_lshrrev_b32_e32 v0, 4, v0
	v_add_u32_e32 v0, 1, v0
	s_waitcnt lgkmcnt(0)
	v_max_u32_e32 v1, v2, v1
	ds_write_b32 v0, v1
.LBB75_194:
	s_or_b64 exec, exec, s[2:3]
	v_mov_b32_e32 v0, 0
	s_waitcnt lgkmcnt(0)
	s_barrier
	s_and_saveexec_b64 s[2:3], s[10:11]
	s_cbranch_execnz .LBB75_201
; %bb.195:
	s_or_b64 exec, exec, s[2:3]
	s_and_saveexec_b64 s[2:3], s[0:1]
	s_cbranch_execnz .LBB75_202
.LBB75_196:
	s_or_b64 exec, exec, s[2:3]
	s_and_saveexec_b64 s[0:1], vcc
	s_cbranch_execnz .LBB75_203
.LBB75_197:
	s_endpgm
.LBB75_198:
	ds_read_b32 v4, v12 offset:2048
	s_or_b64 exec, exec, s[12:13]
	s_and_saveexec_b64 s[12:13], s[10:11]
	s_cbranch_execz .LBB75_185
.LBB75_199:
	ds_read_b32 v2, v12 offset:2052
	s_or_b64 exec, exec, s[12:13]
	s_and_saveexec_b64 s[18:19], s[0:1]
	s_cbranch_execz .LBB75_186
.LBB75_200:
	s_waitcnt lgkmcnt(0)
	ds_bpermute_b32 v13, v6, v4
	ds_bpermute_b32 v14, v6, v2
	s_waitcnt lgkmcnt(1)
	v_max_u32_e32 v15, v13, v4
	v_cmp_gt_u32_e64 s[12:13], v13, v4
	ds_bpermute_b32 v16, v7, v15
	s_waitcnt lgkmcnt(1)
	v_cndmask_b32_e64 v2, v2, v14, s[12:13]
	ds_bpermute_b32 v4, v7, v2
	s_waitcnt lgkmcnt(1)
	v_max_u32_e32 v13, v16, v15
	v_cmp_gt_u32_e64 s[12:13], v16, v15
	ds_bpermute_b32 v14, v8, v13
	s_waitcnt lgkmcnt(1)
	v_cndmask_b32_e64 v2, v2, v4, s[12:13]
	;; [unrolled: 7-line block ×4, first 2 shown]
	ds_bpermute_b32 v4, v10, v2
	s_waitcnt lgkmcnt(1)
	v_max_u32_e32 v15, v14, v13
	v_cmp_gt_u32_e64 s[12:13], v14, v13
	s_waitcnt lgkmcnt(0)
	v_cndmask_b32_e64 v2, v2, v4, s[12:13]
	ds_bpermute_b32 v4, v11, v15
	ds_bpermute_b32 v13, v11, v2
	s_waitcnt lgkmcnt(1)
	v_cmp_gt_u32_e64 s[12:13], v4, v15
	s_waitcnt lgkmcnt(0)
	v_cndmask_b32_e64 v2, v2, v13, s[12:13]
	s_or_b64 exec, exec, s[18:19]
	s_and_saveexec_b64 s[12:13], vcc
	s_cbranch_execnz .LBB75_187
	s_branch .LBB75_188
.LBB75_201:
	v_lshlrev_b32_e32 v0, 2, v5
	v_sub_u32_e32 v0, v12, v0
	ds_read_b32 v0, v0
	s_or_b64 exec, exec, s[2:3]
	s_and_saveexec_b64 s[2:3], s[0:1]
	s_cbranch_execz .LBB75_196
.LBB75_202:
	s_waitcnt lgkmcnt(0)
	ds_bpermute_b32 v1, v6, v0
	s_waitcnt lgkmcnt(0)
	v_max_u32_e32 v0, v1, v0
	ds_bpermute_b32 v1, v7, v0
	s_waitcnt lgkmcnt(0)
	v_max_u32_e32 v0, v1, v0
	;; [unrolled: 3-line block ×6, first 2 shown]
	s_or_b64 exec, exec, s[2:3]
	s_and_saveexec_b64 s[0:1], vcc
	s_cbranch_execz .LBB75_197
.LBB75_203:
	s_load_dword s6, s[4:5], 0xd8
	s_load_dwordx2 s[0:1], s[4:5], 0xe0
	s_add_u32 s2, s4, 8
	s_addc_u32 s3, s5, 0
	s_mov_b32 s5, 0
	s_waitcnt lgkmcnt(0)
	s_cmp_lt_i32 s6, 2
	s_cbranch_scc1 .LBB75_206
; %bb.204:
	s_add_i32 s4, s6, -1
	s_add_i32 s8, s6, 1
	s_lshl_b64 s[6:7], s[4:5], 2
	s_add_u32 s4, s2, s6
	s_addc_u32 s7, s3, s7
	s_add_u32 s6, s4, 8
	s_addc_u32 s7, s7, 0
.LBB75_205:                             ; =>This Inner Loop Header: Depth=1
	s_load_dword s4, s[6:7], 0x0
	s_load_dword s10, s[6:7], 0x64
	s_mov_b32 s9, s20
	s_waitcnt lgkmcnt(0)
	v_cvt_f32_u32_e32 v1, s4
	s_sub_i32 s11, 0, s4
	v_rcp_iflag_f32_e32 v1, v1
	v_mul_f32_e32 v1, 0x4f7ffffe, v1
	v_cvt_u32_f32_e32 v1, v1
	v_readfirstlane_b32 s12, v1
	s_mul_i32 s11, s11, s12
	s_mul_hi_u32 s11, s12, s11
	s_add_i32 s12, s12, s11
	s_mul_hi_u32 s11, s20, s12
	s_mul_i32 s12, s11, s4
	s_sub_i32 s12, s20, s12
	s_add_i32 s13, s11, 1
	s_sub_i32 s14, s12, s4
	s_cmp_ge_u32 s12, s4
	s_cselect_b32 s11, s13, s11
	s_cselect_b32 s12, s14, s12
	s_add_i32 s13, s11, 1
	s_cmp_ge_u32 s12, s4
	s_cselect_b32 s20, s13, s11
	s_mul_i32 s4, s20, s4
	s_sub_i32 s4, s9, s4
	s_mul_i32 s4, s10, s4
	s_add_i32 s8, s8, -1
	s_add_i32 s5, s4, s5
	s_add_u32 s6, s6, -4
	s_addc_u32 s7, s7, -1
	s_cmp_gt_u32 s8, 2
	s_cbranch_scc1 .LBB75_205
.LBB75_206:
	s_load_dword s4, s[2:3], 0x6c
	v_mov_b32_e32 v1, 0
	s_load_dwordx2 s[2:3], s[2:3], 0x0
	ds_read_u8 v2, v1
	s_mov_b32 s7, 0
	s_waitcnt lgkmcnt(0)
	s_mul_i32 s4, s4, s20
	s_add_i32 s6, s4, s5
	v_mov_b32_e32 v3, s6
	global_store_byte v3, v2, s[2:3]
	s_lshl_b64 s[2:3], s[6:7], 3
	s_add_u32 s0, s0, s2
	s_addc_u32 s1, s1, s3
	global_store_dwordx2 v1, v[0:1], s[0:1]
	s_endpgm
	.section	.rodata,"a",@progbits
	.p2align	6, 0x0
	.amdhsa_kernel _ZN2at6native12compute_modeIhLj2048EEEvPKT_NS_4cuda6detail10TensorInfoIS2_jEENS7_IljEEll
		.amdhsa_group_segment_fixed_size 1
		.amdhsa_private_segment_fixed_size 0
		.amdhsa_kernarg_size 712
		.amdhsa_user_sgpr_count 6
		.amdhsa_user_sgpr_private_segment_buffer 1
		.amdhsa_user_sgpr_dispatch_ptr 0
		.amdhsa_user_sgpr_queue_ptr 0
		.amdhsa_user_sgpr_kernarg_segment_ptr 1
		.amdhsa_user_sgpr_dispatch_id 0
		.amdhsa_user_sgpr_flat_scratch_init 0
		.amdhsa_user_sgpr_private_segment_size 0
		.amdhsa_uses_dynamic_stack 0
		.amdhsa_system_sgpr_private_segment_wavefront_offset 0
		.amdhsa_system_sgpr_workgroup_id_x 1
		.amdhsa_system_sgpr_workgroup_id_y 1
		.amdhsa_system_sgpr_workgroup_id_z 1
		.amdhsa_system_sgpr_workgroup_info 0
		.amdhsa_system_vgpr_workitem_id 0
		.amdhsa_next_free_vgpr 20
		.amdhsa_next_free_sgpr 22
		.amdhsa_reserve_vcc 1
		.amdhsa_reserve_flat_scratch 0
		.amdhsa_float_round_mode_32 0
		.amdhsa_float_round_mode_16_64 0
		.amdhsa_float_denorm_mode_32 3
		.amdhsa_float_denorm_mode_16_64 3
		.amdhsa_dx10_clamp 1
		.amdhsa_ieee_mode 1
		.amdhsa_fp16_overflow 0
		.amdhsa_exception_fp_ieee_invalid_op 0
		.amdhsa_exception_fp_denorm_src 0
		.amdhsa_exception_fp_ieee_div_zero 0
		.amdhsa_exception_fp_ieee_overflow 0
		.amdhsa_exception_fp_ieee_underflow 0
		.amdhsa_exception_fp_ieee_inexact 0
		.amdhsa_exception_int_div_zero 0
	.end_amdhsa_kernel
	.section	.text._ZN2at6native12compute_modeIhLj2048EEEvPKT_NS_4cuda6detail10TensorInfoIS2_jEENS7_IljEEll,"axG",@progbits,_ZN2at6native12compute_modeIhLj2048EEEvPKT_NS_4cuda6detail10TensorInfoIS2_jEENS7_IljEEll,comdat
.Lfunc_end75:
	.size	_ZN2at6native12compute_modeIhLj2048EEEvPKT_NS_4cuda6detail10TensorInfoIS2_jEENS7_IljEEll, .Lfunc_end75-_ZN2at6native12compute_modeIhLj2048EEEvPKT_NS_4cuda6detail10TensorInfoIS2_jEENS7_IljEEll
                                        ; -- End function
	.set _ZN2at6native12compute_modeIhLj2048EEEvPKT_NS_4cuda6detail10TensorInfoIS2_jEENS7_IljEEll.num_vgpr, 20
	.set _ZN2at6native12compute_modeIhLj2048EEEvPKT_NS_4cuda6detail10TensorInfoIS2_jEENS7_IljEEll.num_agpr, 0
	.set _ZN2at6native12compute_modeIhLj2048EEEvPKT_NS_4cuda6detail10TensorInfoIS2_jEENS7_IljEEll.numbered_sgpr, 22
	.set _ZN2at6native12compute_modeIhLj2048EEEvPKT_NS_4cuda6detail10TensorInfoIS2_jEENS7_IljEEll.num_named_barrier, 0
	.set _ZN2at6native12compute_modeIhLj2048EEEvPKT_NS_4cuda6detail10TensorInfoIS2_jEENS7_IljEEll.private_seg_size, 0
	.set _ZN2at6native12compute_modeIhLj2048EEEvPKT_NS_4cuda6detail10TensorInfoIS2_jEENS7_IljEEll.uses_vcc, 1
	.set _ZN2at6native12compute_modeIhLj2048EEEvPKT_NS_4cuda6detail10TensorInfoIS2_jEENS7_IljEEll.uses_flat_scratch, 0
	.set _ZN2at6native12compute_modeIhLj2048EEEvPKT_NS_4cuda6detail10TensorInfoIS2_jEENS7_IljEEll.has_dyn_sized_stack, 0
	.set _ZN2at6native12compute_modeIhLj2048EEEvPKT_NS_4cuda6detail10TensorInfoIS2_jEENS7_IljEEll.has_recursion, 0
	.set _ZN2at6native12compute_modeIhLj2048EEEvPKT_NS_4cuda6detail10TensorInfoIS2_jEENS7_IljEEll.has_indirect_call, 0
	.section	.AMDGPU.csdata,"",@progbits
; Kernel info:
; codeLenInByte = 14824
; TotalNumSgprs: 26
; NumVgprs: 20
; ScratchSize: 0
; MemoryBound: 0
; FloatMode: 240
; IeeeMode: 1
; LDSByteSize: 1 bytes/workgroup (compile time only)
; SGPRBlocks: 3
; VGPRBlocks: 4
; NumSGPRsForWavesPerEU: 26
; NumVGPRsForWavesPerEU: 20
; Occupancy: 10
; WaveLimiterHint : 1
; COMPUTE_PGM_RSRC2:SCRATCH_EN: 0
; COMPUTE_PGM_RSRC2:USER_SGPR: 6
; COMPUTE_PGM_RSRC2:TRAP_HANDLER: 0
; COMPUTE_PGM_RSRC2:TGID_X_EN: 1
; COMPUTE_PGM_RSRC2:TGID_Y_EN: 1
; COMPUTE_PGM_RSRC2:TGID_Z_EN: 1
; COMPUTE_PGM_RSRC2:TIDIG_COMP_CNT: 0
	.section	.text._ZN2at6native12compute_modeIhLj1024EEEvPKT_NS_4cuda6detail10TensorInfoIS2_jEENS7_IljEEll,"axG",@progbits,_ZN2at6native12compute_modeIhLj1024EEEvPKT_NS_4cuda6detail10TensorInfoIS2_jEENS7_IljEEll,comdat
	.protected	_ZN2at6native12compute_modeIhLj1024EEEvPKT_NS_4cuda6detail10TensorInfoIS2_jEENS7_IljEEll ; -- Begin function _ZN2at6native12compute_modeIhLj1024EEEvPKT_NS_4cuda6detail10TensorInfoIS2_jEENS7_IljEEll
	.globl	_ZN2at6native12compute_modeIhLj1024EEEvPKT_NS_4cuda6detail10TensorInfoIS2_jEENS7_IljEEll
	.p2align	8
	.type	_ZN2at6native12compute_modeIhLj1024EEEvPKT_NS_4cuda6detail10TensorInfoIS2_jEENS7_IljEEll,@function
_ZN2at6native12compute_modeIhLj1024EEEvPKT_NS_4cuda6detail10TensorInfoIS2_jEENS7_IljEEll: ; @_ZN2at6native12compute_modeIhLj1024EEEvPKT_NS_4cuda6detail10TensorInfoIS2_jEENS7_IljEEll
; %bb.0:
	s_load_dwordx2 s[2:3], s[4:5], 0x1c8
	s_load_dwordx4 s[16:19], s[4:5], 0x1b8
	s_add_u32 s0, s4, 0x1c8
	s_addc_u32 s1, s5, 0
	v_mov_b32_e32 v2, 0
	s_waitcnt lgkmcnt(0)
	s_mul_i32 s3, s3, s8
	s_add_i32 s3, s3, s7
	s_mul_i32 s2, s3, s2
	s_add_i32 s20, s2, s6
	v_mov_b32_e32 v1, s20
	v_cmp_le_i64_e32 vcc, s[18:19], v[1:2]
	s_cbranch_vccnz .LBB76_173
; %bb.1:
	s_load_dwordx2 s[14:15], s[4:5], 0x0
	s_load_dword s2, s[0:1], 0xc
	v_mov_b32_e32 v1, v2
	v_cmp_gt_i64_e32 vcc, s[16:17], v[0:1]
	s_mul_i32 s21, s20, s16
	v_add_u32_e32 v3, 1, v0
	s_and_saveexec_b64 s[0:1], vcc
	s_cbranch_execz .LBB76_3
; %bb.2:
	v_add_u32_e32 v1, s21, v0
	s_waitcnt lgkmcnt(0)
	global_load_ubyte v1, v1, s[14:15]
	s_waitcnt vmcnt(0)
	ds_write_b8 v3, v1
.LBB76_3:
	s_or_b64 exec, exec, s[0:1]
	s_waitcnt lgkmcnt(0)
	s_and_b32 s18, 0xffff, s2
	v_add_u32_e32 v1, s18, v0
	v_cmp_gt_i64_e64 s[0:1], s[16:17], v[1:2]
	s_and_saveexec_b64 s[2:3], s[0:1]
	s_cbranch_execz .LBB76_5
; %bb.4:
	v_add_u32_e32 v2, s21, v1
	global_load_ubyte v2, v2, s[14:15]
	v_add_u32_e32 v1, 1, v1
	s_waitcnt vmcnt(0)
	ds_write_b8 v1, v2
.LBB76_5:
	s_or_b64 exec, exec, s[2:3]
	v_cndmask_b32_e64 v1, 0, 1, vcc
	ds_write_b8 v3, v1 offset:1024
	v_add_u32_e32 v1, s18, v3
	v_cndmask_b32_e64 v2, 0, 1, s[0:1]
	ds_write_b8 v1, v2 offset:1024
	v_add_u32_e32 v2, v3, v0
	s_waitcnt lgkmcnt(0)
	s_barrier
	s_barrier
	ds_read_u8 v1, v2
	ds_read_u8 v5, v2 offset:1
	ds_read_u8 v4, v2 offset:1024
	;; [unrolled: 1-line block ×3, first 2 shown]
	v_and_b32_e32 v3, 1, v0
	s_waitcnt lgkmcnt(2)
	v_cmp_lt_u16_e32 vcc, v1, v5
	s_waitcnt lgkmcnt(1)
	v_and_b32_e32 v7, 1, v4
	v_cmp_eq_u32_e64 s[0:1], 1, v7
	s_waitcnt lgkmcnt(0)
	v_cmp_ne_u16_e64 s[2:3], v6, v3
	v_cndmask_b32_e64 v7, 0, 1, s[2:3]
	s_and_b64 vcc, vcc, s[0:1]
	v_cndmask_b32_e32 v7, v7, v0, vcc
	v_and_b32_e32 v7, 1, v7
	v_cmp_eq_u32_e32 vcc, 1, v7
	s_and_saveexec_b64 s[0:1], vcc
	s_cbranch_execz .LBB76_7
; %bb.6:
	ds_write_b8 v2, v5
	ds_write_b8 v2, v1 offset:1
	ds_write_b8 v2, v6 offset:1024
	;; [unrolled: 1-line block ×3, first 2 shown]
.LBB76_7:
	s_or_b64 exec, exec, s[0:1]
	v_lshlrev_b32_e32 v1, 1, v0
	v_sub_u32_e32 v3, v1, v3
	v_add_u32_e32 v3, 1, v3
	s_waitcnt lgkmcnt(0)
	s_barrier
	ds_read_u8 v5, v3
	ds_read_u8 v7, v3 offset:2
	ds_read_u8 v6, v3 offset:1024
	;; [unrolled: 1-line block ×3, first 2 shown]
	v_bfe_u32 v9, v0, 1, 1
	v_and_b32_e32 v4, 2, v0
	s_waitcnt lgkmcnt(2)
	v_cmp_lt_u16_e64 s[0:1], v5, v7
	s_waitcnt lgkmcnt(1)
	v_and_b32_e32 v10, 1, v6
	v_cmp_eq_u32_e64 s[2:3], 1, v10
	s_waitcnt lgkmcnt(0)
	v_cmp_ne_u16_e64 s[6:7], v8, v9
	v_cndmask_b32_e64 v10, 0, 1, s[6:7]
	s_and_b64 s[0:1], s[0:1], s[2:3]
	v_cndmask_b32_e64 v9, v10, v9, s[0:1]
	v_and_b32_e32 v9, 1, v9
	v_cmp_ne_u32_e32 vcc, 0, v4
	v_cmp_eq_u32_e64 s[0:1], 1, v9
	s_and_saveexec_b64 s[2:3], s[0:1]
	s_xor_b64 s[0:1], exec, s[2:3]
	s_cbranch_execz .LBB76_9
; %bb.8:
	ds_write_b8 v3, v7
	ds_write_b8 v3, v5 offset:2
	ds_write_b8 v3, v8 offset:1024
	;; [unrolled: 1-line block ×3, first 2 shown]
.LBB76_9:
	s_or_b64 exec, exec, s[0:1]
	s_waitcnt lgkmcnt(0)
	s_barrier
	ds_read_u8 v5, v2
	ds_read_u8 v7, v2 offset:1
	ds_read_u8 v6, v2 offset:1024
	;; [unrolled: 1-line block ×3, first 2 shown]
	v_lshrrev_b32_e32 v4, 1, v4
	s_waitcnt lgkmcnt(2)
	v_cmp_lt_u16_e64 s[0:1], v5, v7
	s_waitcnt lgkmcnt(1)
	v_and_b32_e32 v9, 1, v6
	v_cmp_eq_u32_e64 s[2:3], 1, v9
	s_waitcnt lgkmcnt(0)
	v_cmp_ne_u16_e64 s[6:7], v8, v4
	v_cndmask_b32_e64 v4, 0, 1, s[6:7]
	v_cndmask_b32_e64 v9, 0, 1, vcc
	s_and_b64 vcc, s[0:1], s[2:3]
	v_cndmask_b32_e32 v4, v4, v9, vcc
	v_and_b32_e32 v4, 1, v4
	v_cmp_eq_u32_e32 vcc, 1, v4
	s_and_saveexec_b64 s[0:1], vcc
	s_cbranch_execz .LBB76_11
; %bb.10:
	ds_write_b8 v2, v7
	ds_write_b8 v2, v5 offset:1
	ds_write_b8 v2, v8 offset:1024
	;; [unrolled: 1-line block ×3, first 2 shown]
.LBB76_11:
	s_or_b64 exec, exec, s[0:1]
	v_and_b32_e32 v4, 3, v0
	v_sub_u32_e32 v4, v1, v4
	v_add_u32_e32 v4, 1, v4
	s_waitcnt lgkmcnt(0)
	s_barrier
	ds_read_u8 v6, v4
	ds_read_u8 v8, v4 offset:4
	ds_read_u8 v7, v4 offset:1024
	;; [unrolled: 1-line block ×3, first 2 shown]
	v_bfe_u32 v10, v0, 2, 1
	v_and_b32_e32 v5, 4, v0
	s_waitcnt lgkmcnt(2)
	v_cmp_lt_u16_e64 s[0:1], v6, v8
	s_waitcnt lgkmcnt(1)
	v_and_b32_e32 v11, 1, v7
	v_cmp_eq_u32_e64 s[2:3], 1, v11
	s_waitcnt lgkmcnt(0)
	v_cmp_ne_u16_e64 s[6:7], v9, v10
	v_cndmask_b32_e64 v11, 0, 1, s[6:7]
	s_and_b64 s[0:1], s[0:1], s[2:3]
	v_cndmask_b32_e64 v10, v11, v10, s[0:1]
	v_and_b32_e32 v10, 1, v10
	v_cmp_ne_u32_e32 vcc, 0, v5
	v_cmp_eq_u32_e64 s[0:1], 1, v10
	s_and_saveexec_b64 s[2:3], s[0:1]
	s_cbranch_execz .LBB76_13
; %bb.12:
	ds_write_b8 v4, v8
	ds_write_b8 v4, v6 offset:4
	ds_write_b8 v4, v9 offset:1024
	;; [unrolled: 1-line block ×3, first 2 shown]
.LBB76_13:
	s_or_b64 exec, exec, s[2:3]
	s_waitcnt lgkmcnt(0)
	s_barrier
	ds_read_u8 v7, v3
	ds_read_u8 v9, v3 offset:2
	ds_read_u8 v8, v3 offset:1024
	;; [unrolled: 1-line block ×3, first 2 shown]
	v_lshrrev_b32_e32 v5, 2, v5
	s_waitcnt lgkmcnt(2)
	v_cmp_lt_u16_e64 s[0:1], v7, v9
	s_waitcnt lgkmcnt(1)
	v_and_b32_e32 v6, 1, v8
	v_cmp_eq_u32_e64 s[2:3], 1, v6
	s_waitcnt lgkmcnt(0)
	v_cmp_ne_u16_e64 s[6:7], v10, v5
	v_cndmask_b32_e64 v11, 0, 1, s[6:7]
	v_cndmask_b32_e64 v6, 0, 1, vcc
	s_and_b64 vcc, s[0:1], s[2:3]
	v_cndmask_b32_e32 v11, v11, v6, vcc
	v_and_b32_e32 v11, 1, v11
	v_cmp_eq_u32_e32 vcc, 1, v11
	s_and_saveexec_b64 s[0:1], vcc
	s_cbranch_execz .LBB76_15
; %bb.14:
	ds_write_b8 v3, v9
	ds_write_b8 v3, v7 offset:2
	ds_write_b8 v3, v10 offset:1024
	;; [unrolled: 1-line block ×3, first 2 shown]
.LBB76_15:
	s_or_b64 exec, exec, s[0:1]
	s_waitcnt lgkmcnt(0)
	s_barrier
	ds_read_u8 v7, v2
	ds_read_u8 v9, v2 offset:1
	ds_read_u8 v8, v2 offset:1024
	;; [unrolled: 1-line block ×3, first 2 shown]
	s_waitcnt lgkmcnt(2)
	v_cmp_lt_u16_e32 vcc, v7, v9
	s_waitcnt lgkmcnt(1)
	v_and_b32_e32 v11, 1, v8
	v_cmp_eq_u32_e64 s[0:1], 1, v11
	s_waitcnt lgkmcnt(0)
	v_cmp_ne_u16_e64 s[2:3], v10, v5
	v_cndmask_b32_e64 v5, 0, 1, s[2:3]
	s_and_b64 vcc, vcc, s[0:1]
	v_cndmask_b32_e32 v5, v5, v6, vcc
	v_and_b32_e32 v5, 1, v5
	v_cmp_eq_u32_e32 vcc, 1, v5
	s_and_saveexec_b64 s[0:1], vcc
	s_cbranch_execz .LBB76_17
; %bb.16:
	ds_write_b8 v2, v9
	ds_write_b8 v2, v7 offset:1
	ds_write_b8 v2, v10 offset:1024
	;; [unrolled: 1-line block ×3, first 2 shown]
.LBB76_17:
	s_or_b64 exec, exec, s[0:1]
	v_and_b32_e32 v6, 7, v0
	v_sub_u32_e32 v6, v1, v6
	v_add_u32_e32 v6, 1, v6
	s_waitcnt lgkmcnt(0)
	s_barrier
	ds_read_u8 v7, v6
	ds_read_u8 v9, v6 offset:8
	ds_read_u8 v8, v6 offset:1024
	;; [unrolled: 1-line block ×3, first 2 shown]
	v_bfe_u32 v11, v0, 3, 1
	v_and_b32_e32 v5, 8, v0
	s_waitcnt lgkmcnt(2)
	v_cmp_lt_u16_e64 s[0:1], v7, v9
	s_waitcnt lgkmcnt(1)
	v_and_b32_e32 v12, 1, v8
	v_cmp_eq_u32_e64 s[2:3], 1, v12
	s_waitcnt lgkmcnt(0)
	v_cmp_ne_u16_e64 s[6:7], v10, v11
	v_cndmask_b32_e64 v12, 0, 1, s[6:7]
	s_and_b64 s[0:1], s[0:1], s[2:3]
	v_cndmask_b32_e64 v11, v12, v11, s[0:1]
	v_and_b32_e32 v11, 1, v11
	v_cmp_ne_u32_e32 vcc, 0, v5
	v_cmp_eq_u32_e64 s[0:1], 1, v11
	s_and_saveexec_b64 s[2:3], s[0:1]
	s_cbranch_execz .LBB76_19
; %bb.18:
	ds_write_b8 v6, v9
	ds_write_b8 v6, v7 offset:8
	ds_write_b8 v6, v10 offset:1024
	;; [unrolled: 1-line block ×3, first 2 shown]
.LBB76_19:
	s_or_b64 exec, exec, s[2:3]
	s_waitcnt lgkmcnt(0)
	s_barrier
	ds_read_u8 v8, v4
	ds_read_u8 v10, v4 offset:4
	ds_read_u8 v9, v4 offset:1024
	;; [unrolled: 1-line block ×3, first 2 shown]
	v_lshrrev_b32_e32 v5, 3, v5
	s_waitcnt lgkmcnt(2)
	v_cmp_lt_u16_e64 s[0:1], v8, v10
	s_waitcnt lgkmcnt(1)
	v_and_b32_e32 v7, 1, v9
	v_cmp_eq_u32_e64 s[2:3], 1, v7
	s_waitcnt lgkmcnt(0)
	v_cmp_ne_u16_e64 s[6:7], v11, v5
	v_cndmask_b32_e64 v12, 0, 1, s[6:7]
	v_cndmask_b32_e64 v7, 0, 1, vcc
	s_and_b64 vcc, s[0:1], s[2:3]
	v_cndmask_b32_e32 v12, v12, v7, vcc
	v_and_b32_e32 v12, 1, v12
	v_cmp_eq_u32_e32 vcc, 1, v12
	s_and_saveexec_b64 s[0:1], vcc
	s_cbranch_execz .LBB76_21
; %bb.20:
	ds_write_b8 v4, v10
	ds_write_b8 v4, v8 offset:4
	ds_write_b8 v4, v11 offset:1024
	;; [unrolled: 1-line block ×3, first 2 shown]
.LBB76_21:
	s_or_b64 exec, exec, s[0:1]
	s_waitcnt lgkmcnt(0)
	s_barrier
	ds_read_u8 v8, v3
	ds_read_u8 v10, v3 offset:2
	ds_read_u8 v9, v3 offset:1024
	;; [unrolled: 1-line block ×3, first 2 shown]
	s_waitcnt lgkmcnt(2)
	v_cmp_lt_u16_e32 vcc, v8, v10
	s_waitcnt lgkmcnt(1)
	v_and_b32_e32 v12, 1, v9
	v_cmp_eq_u32_e64 s[0:1], 1, v12
	s_waitcnt lgkmcnt(0)
	v_cmp_ne_u16_e64 s[2:3], v11, v5
	v_cndmask_b32_e64 v12, 0, 1, s[2:3]
	s_and_b64 vcc, vcc, s[0:1]
	v_cndmask_b32_e32 v12, v12, v7, vcc
	v_and_b32_e32 v12, 1, v12
	v_cmp_eq_u32_e32 vcc, 1, v12
	s_and_saveexec_b64 s[0:1], vcc
	s_cbranch_execz .LBB76_23
; %bb.22:
	ds_write_b8 v3, v10
	ds_write_b8 v3, v8 offset:2
	ds_write_b8 v3, v11 offset:1024
	;; [unrolled: 1-line block ×3, first 2 shown]
.LBB76_23:
	s_or_b64 exec, exec, s[0:1]
	s_waitcnt lgkmcnt(0)
	s_barrier
	ds_read_u8 v8, v2
	ds_read_u8 v10, v2 offset:1
	ds_read_u8 v9, v2 offset:1024
	ds_read_u8 v11, v2 offset:1025
	s_waitcnt lgkmcnt(2)
	v_cmp_lt_u16_e32 vcc, v8, v10
	s_waitcnt lgkmcnt(1)
	v_and_b32_e32 v12, 1, v9
	v_cmp_eq_u32_e64 s[0:1], 1, v12
	s_waitcnt lgkmcnt(0)
	v_cmp_ne_u16_e64 s[2:3], v11, v5
	v_cndmask_b32_e64 v5, 0, 1, s[2:3]
	s_and_b64 vcc, vcc, s[0:1]
	v_cndmask_b32_e32 v5, v5, v7, vcc
	v_and_b32_e32 v5, 1, v5
	v_cmp_eq_u32_e32 vcc, 1, v5
	s_and_saveexec_b64 s[0:1], vcc
	s_cbranch_execz .LBB76_25
; %bb.24:
	ds_write_b8 v2, v10
	ds_write_b8 v2, v8 offset:1
	ds_write_b8 v2, v11 offset:1024
	;; [unrolled: 1-line block ×3, first 2 shown]
.LBB76_25:
	s_or_b64 exec, exec, s[0:1]
	v_and_b32_e32 v7, 15, v0
	v_sub_u32_e32 v7, v1, v7
	v_add_u32_e32 v7, 1, v7
	s_waitcnt lgkmcnt(0)
	s_barrier
	ds_read_u8 v8, v7
	ds_read_u8 v10, v7 offset:16
	ds_read_u8 v9, v7 offset:1024
	;; [unrolled: 1-line block ×3, first 2 shown]
	v_bfe_u32 v12, v0, 4, 1
	v_and_b32_e32 v5, 16, v0
	s_waitcnt lgkmcnt(2)
	v_cmp_lt_u16_e64 s[0:1], v8, v10
	s_waitcnt lgkmcnt(1)
	v_and_b32_e32 v13, 1, v9
	v_cmp_eq_u32_e64 s[2:3], 1, v13
	s_waitcnt lgkmcnt(0)
	v_cmp_ne_u16_e64 s[6:7], v11, v12
	v_cndmask_b32_e64 v13, 0, 1, s[6:7]
	s_and_b64 s[0:1], s[0:1], s[2:3]
	v_cndmask_b32_e64 v12, v13, v12, s[0:1]
	v_and_b32_e32 v12, 1, v12
	v_cmp_ne_u32_e32 vcc, 0, v5
	v_cmp_eq_u32_e64 s[0:1], 1, v12
	s_and_saveexec_b64 s[2:3], s[0:1]
	s_cbranch_execz .LBB76_27
; %bb.26:
	ds_write_b8 v7, v10
	ds_write_b8 v7, v8 offset:16
	ds_write_b8 v7, v11 offset:1024
	;; [unrolled: 1-line block ×3, first 2 shown]
.LBB76_27:
	s_or_b64 exec, exec, s[2:3]
	s_waitcnt lgkmcnt(0)
	s_barrier
	ds_read_u8 v9, v6
	ds_read_u8 v11, v6 offset:8
	ds_read_u8 v10, v6 offset:1024
	;; [unrolled: 1-line block ×3, first 2 shown]
	v_lshrrev_b32_e32 v5, 4, v5
	s_waitcnt lgkmcnt(2)
	v_cmp_lt_u16_e64 s[0:1], v9, v11
	s_waitcnt lgkmcnt(1)
	v_and_b32_e32 v8, 1, v10
	v_cmp_eq_u32_e64 s[2:3], 1, v8
	s_waitcnt lgkmcnt(0)
	v_cmp_ne_u16_e64 s[6:7], v12, v5
	v_cndmask_b32_e64 v13, 0, 1, s[6:7]
	v_cndmask_b32_e64 v8, 0, 1, vcc
	s_and_b64 vcc, s[0:1], s[2:3]
	v_cndmask_b32_e32 v13, v13, v8, vcc
	v_and_b32_e32 v13, 1, v13
	v_cmp_eq_u32_e32 vcc, 1, v13
	s_and_saveexec_b64 s[0:1], vcc
	s_cbranch_execz .LBB76_29
; %bb.28:
	ds_write_b8 v6, v11
	ds_write_b8 v6, v9 offset:8
	ds_write_b8 v6, v12 offset:1024
	ds_write_b8 v6, v10 offset:1032
.LBB76_29:
	s_or_b64 exec, exec, s[0:1]
	s_waitcnt lgkmcnt(0)
	s_barrier
	ds_read_u8 v9, v4
	ds_read_u8 v11, v4 offset:4
	ds_read_u8 v10, v4 offset:1024
	ds_read_u8 v12, v4 offset:1028
	s_waitcnt lgkmcnt(2)
	v_cmp_lt_u16_e32 vcc, v9, v11
	s_waitcnt lgkmcnt(1)
	v_and_b32_e32 v13, 1, v10
	v_cmp_eq_u32_e64 s[0:1], 1, v13
	s_waitcnt lgkmcnt(0)
	v_cmp_ne_u16_e64 s[2:3], v12, v5
	v_cndmask_b32_e64 v13, 0, 1, s[2:3]
	s_and_b64 vcc, vcc, s[0:1]
	v_cndmask_b32_e32 v13, v13, v8, vcc
	v_and_b32_e32 v13, 1, v13
	v_cmp_eq_u32_e32 vcc, 1, v13
	s_and_saveexec_b64 s[0:1], vcc
	s_cbranch_execz .LBB76_31
; %bb.30:
	ds_write_b8 v4, v11
	ds_write_b8 v4, v9 offset:4
	ds_write_b8 v4, v12 offset:1024
	ds_write_b8 v4, v10 offset:1028
.LBB76_31:
	s_or_b64 exec, exec, s[0:1]
	s_waitcnt lgkmcnt(0)
	s_barrier
	ds_read_u8 v9, v3
	ds_read_u8 v11, v3 offset:2
	ds_read_u8 v10, v3 offset:1024
	ds_read_u8 v12, v3 offset:1026
	s_waitcnt lgkmcnt(2)
	v_cmp_lt_u16_e32 vcc, v9, v11
	s_waitcnt lgkmcnt(1)
	v_and_b32_e32 v13, 1, v10
	v_cmp_eq_u32_e64 s[0:1], 1, v13
	s_waitcnt lgkmcnt(0)
	v_cmp_ne_u16_e64 s[2:3], v12, v5
	v_cndmask_b32_e64 v13, 0, 1, s[2:3]
	s_and_b64 vcc, vcc, s[0:1]
	;; [unrolled: 27-line block ×3, first 2 shown]
	v_cndmask_b32_e32 v5, v5, v8, vcc
	v_and_b32_e32 v5, 1, v5
	v_cmp_eq_u32_e32 vcc, 1, v5
	s_and_saveexec_b64 s[0:1], vcc
	s_cbranch_execz .LBB76_35
; %bb.34:
	ds_write_b8 v2, v11
	ds_write_b8 v2, v9 offset:1
	ds_write_b8 v2, v12 offset:1024
	;; [unrolled: 1-line block ×3, first 2 shown]
.LBB76_35:
	s_or_b64 exec, exec, s[0:1]
	v_and_b32_e32 v8, 31, v0
	v_sub_u32_e32 v8, v1, v8
	v_add_u32_e32 v8, 1, v8
	s_waitcnt lgkmcnt(0)
	s_barrier
	ds_read_u8 v9, v8
	ds_read_u8 v11, v8 offset:32
	ds_read_u8 v10, v8 offset:1024
	;; [unrolled: 1-line block ×3, first 2 shown]
	v_bfe_u32 v13, v0, 5, 1
	v_and_b32_e32 v5, 32, v0
	s_waitcnt lgkmcnt(2)
	v_cmp_lt_u16_e64 s[0:1], v9, v11
	s_waitcnt lgkmcnt(1)
	v_and_b32_e32 v14, 1, v10
	v_cmp_eq_u32_e64 s[2:3], 1, v14
	s_waitcnt lgkmcnt(0)
	v_cmp_ne_u16_e64 s[6:7], v12, v13
	v_cndmask_b32_e64 v14, 0, 1, s[6:7]
	s_and_b64 s[0:1], s[0:1], s[2:3]
	v_cndmask_b32_e64 v13, v14, v13, s[0:1]
	v_and_b32_e32 v13, 1, v13
	v_cmp_ne_u32_e32 vcc, 0, v5
	v_cmp_eq_u32_e64 s[0:1], 1, v13
	s_and_saveexec_b64 s[2:3], s[0:1]
	s_cbranch_execz .LBB76_37
; %bb.36:
	ds_write_b8 v8, v11
	ds_write_b8 v8, v9 offset:32
	ds_write_b8 v8, v12 offset:1024
	;; [unrolled: 1-line block ×3, first 2 shown]
.LBB76_37:
	s_or_b64 exec, exec, s[2:3]
	s_waitcnt lgkmcnt(0)
	s_barrier
	ds_read_u8 v10, v7
	ds_read_u8 v12, v7 offset:16
	ds_read_u8 v11, v7 offset:1024
	;; [unrolled: 1-line block ×3, first 2 shown]
	v_lshrrev_b32_e32 v5, 5, v5
	s_waitcnt lgkmcnt(2)
	v_cmp_lt_u16_e64 s[0:1], v10, v12
	s_waitcnt lgkmcnt(1)
	v_and_b32_e32 v9, 1, v11
	v_cmp_eq_u32_e64 s[2:3], 1, v9
	s_waitcnt lgkmcnt(0)
	v_cmp_ne_u16_e64 s[6:7], v13, v5
	v_cndmask_b32_e64 v14, 0, 1, s[6:7]
	v_cndmask_b32_e64 v9, 0, 1, vcc
	s_and_b64 vcc, s[0:1], s[2:3]
	v_cndmask_b32_e32 v14, v14, v9, vcc
	v_and_b32_e32 v14, 1, v14
	v_cmp_eq_u32_e32 vcc, 1, v14
	s_and_saveexec_b64 s[0:1], vcc
	s_cbranch_execz .LBB76_39
; %bb.38:
	ds_write_b8 v7, v12
	ds_write_b8 v7, v10 offset:16
	ds_write_b8 v7, v13 offset:1024
	ds_write_b8 v7, v11 offset:1040
.LBB76_39:
	s_or_b64 exec, exec, s[0:1]
	s_waitcnt lgkmcnt(0)
	s_barrier
	ds_read_u8 v10, v6
	ds_read_u8 v12, v6 offset:8
	ds_read_u8 v11, v6 offset:1024
	ds_read_u8 v13, v6 offset:1032
	s_waitcnt lgkmcnt(2)
	v_cmp_lt_u16_e32 vcc, v10, v12
	s_waitcnt lgkmcnt(1)
	v_and_b32_e32 v14, 1, v11
	v_cmp_eq_u32_e64 s[0:1], 1, v14
	s_waitcnt lgkmcnt(0)
	v_cmp_ne_u16_e64 s[2:3], v13, v5
	v_cndmask_b32_e64 v14, 0, 1, s[2:3]
	s_and_b64 vcc, vcc, s[0:1]
	v_cndmask_b32_e32 v14, v14, v9, vcc
	v_and_b32_e32 v14, 1, v14
	v_cmp_eq_u32_e32 vcc, 1, v14
	s_and_saveexec_b64 s[0:1], vcc
	s_cbranch_execz .LBB76_41
; %bb.40:
	ds_write_b8 v6, v12
	ds_write_b8 v6, v10 offset:8
	ds_write_b8 v6, v13 offset:1024
	ds_write_b8 v6, v11 offset:1032
.LBB76_41:
	s_or_b64 exec, exec, s[0:1]
	s_waitcnt lgkmcnt(0)
	s_barrier
	ds_read_u8 v10, v4
	ds_read_u8 v12, v4 offset:4
	ds_read_u8 v11, v4 offset:1024
	ds_read_u8 v13, v4 offset:1028
	s_waitcnt lgkmcnt(2)
	v_cmp_lt_u16_e32 vcc, v10, v12
	s_waitcnt lgkmcnt(1)
	v_and_b32_e32 v14, 1, v11
	v_cmp_eq_u32_e64 s[0:1], 1, v14
	s_waitcnt lgkmcnt(0)
	v_cmp_ne_u16_e64 s[2:3], v13, v5
	v_cndmask_b32_e64 v14, 0, 1, s[2:3]
	s_and_b64 vcc, vcc, s[0:1]
	;; [unrolled: 27-line block ×4, first 2 shown]
	v_cndmask_b32_e32 v5, v5, v9, vcc
	v_and_b32_e32 v5, 1, v5
	v_cmp_eq_u32_e32 vcc, 1, v5
	s_and_saveexec_b64 s[0:1], vcc
	s_cbranch_execz .LBB76_47
; %bb.46:
	ds_write_b8 v2, v12
	ds_write_b8 v2, v10 offset:1
	ds_write_b8 v2, v13 offset:1024
	;; [unrolled: 1-line block ×3, first 2 shown]
.LBB76_47:
	s_or_b64 exec, exec, s[0:1]
	v_and_b32_e32 v5, 63, v0
	v_sub_u32_e32 v9, v1, v5
	v_add_u32_e32 v9, 1, v9
	s_waitcnt lgkmcnt(0)
	s_barrier
	ds_read_u8 v11, v9
	ds_read_u8 v13, v9 offset:64
	ds_read_u8 v12, v9 offset:1024
	;; [unrolled: 1-line block ×3, first 2 shown]
	v_bfe_u32 v15, v0, 6, 1
	v_and_b32_e32 v10, 64, v0
	s_waitcnt lgkmcnt(2)
	v_cmp_lt_u16_e64 s[0:1], v11, v13
	s_waitcnt lgkmcnt(1)
	v_and_b32_e32 v16, 1, v12
	v_cmp_eq_u32_e64 s[2:3], 1, v16
	s_waitcnt lgkmcnt(0)
	v_cmp_ne_u16_e64 s[6:7], v14, v15
	v_cndmask_b32_e64 v16, 0, 1, s[6:7]
	s_and_b64 s[0:1], s[0:1], s[2:3]
	v_cndmask_b32_e64 v15, v16, v15, s[0:1]
	v_and_b32_e32 v15, 1, v15
	v_cmp_ne_u32_e32 vcc, 0, v10
	v_cmp_eq_u32_e64 s[0:1], 1, v15
	s_and_saveexec_b64 s[2:3], s[0:1]
	s_cbranch_execz .LBB76_49
; %bb.48:
	ds_write_b8 v9, v13
	ds_write_b8 v9, v11 offset:64
	ds_write_b8 v9, v14 offset:1024
	;; [unrolled: 1-line block ×3, first 2 shown]
.LBB76_49:
	s_or_b64 exec, exec, s[2:3]
	s_waitcnt lgkmcnt(0)
	s_barrier
	ds_read_u8 v12, v8
	ds_read_u8 v14, v8 offset:32
	ds_read_u8 v13, v8 offset:1024
	;; [unrolled: 1-line block ×3, first 2 shown]
	v_lshrrev_b32_e32 v10, 6, v10
	s_waitcnt lgkmcnt(2)
	v_cmp_lt_u16_e64 s[0:1], v12, v14
	s_waitcnt lgkmcnt(1)
	v_and_b32_e32 v11, 1, v13
	v_cmp_eq_u32_e64 s[2:3], 1, v11
	s_waitcnt lgkmcnt(0)
	v_cmp_ne_u16_e64 s[6:7], v15, v10
	v_cndmask_b32_e64 v16, 0, 1, s[6:7]
	v_cndmask_b32_e64 v11, 0, 1, vcc
	s_and_b64 vcc, s[0:1], s[2:3]
	v_cndmask_b32_e32 v16, v16, v11, vcc
	v_and_b32_e32 v16, 1, v16
	v_cmp_eq_u32_e32 vcc, 1, v16
	s_and_saveexec_b64 s[0:1], vcc
	s_cbranch_execz .LBB76_51
; %bb.50:
	ds_write_b8 v8, v14
	ds_write_b8 v8, v12 offset:32
	ds_write_b8 v8, v15 offset:1024
	ds_write_b8 v8, v13 offset:1056
.LBB76_51:
	s_or_b64 exec, exec, s[0:1]
	s_waitcnt lgkmcnt(0)
	s_barrier
	ds_read_u8 v12, v7
	ds_read_u8 v14, v7 offset:16
	ds_read_u8 v13, v7 offset:1024
	ds_read_u8 v15, v7 offset:1040
	s_waitcnt lgkmcnt(2)
	v_cmp_lt_u16_e32 vcc, v12, v14
	s_waitcnt lgkmcnt(1)
	v_and_b32_e32 v16, 1, v13
	v_cmp_eq_u32_e64 s[0:1], 1, v16
	s_waitcnt lgkmcnt(0)
	v_cmp_ne_u16_e64 s[2:3], v15, v10
	v_cndmask_b32_e64 v16, 0, 1, s[2:3]
	s_and_b64 vcc, vcc, s[0:1]
	v_cndmask_b32_e32 v16, v16, v11, vcc
	v_and_b32_e32 v16, 1, v16
	v_cmp_eq_u32_e32 vcc, 1, v16
	s_and_saveexec_b64 s[0:1], vcc
	s_cbranch_execz .LBB76_53
; %bb.52:
	ds_write_b8 v7, v14
	ds_write_b8 v7, v12 offset:16
	ds_write_b8 v7, v15 offset:1024
	ds_write_b8 v7, v13 offset:1040
.LBB76_53:
	s_or_b64 exec, exec, s[0:1]
	s_waitcnt lgkmcnt(0)
	s_barrier
	ds_read_u8 v12, v6
	ds_read_u8 v14, v6 offset:8
	ds_read_u8 v13, v6 offset:1024
	ds_read_u8 v15, v6 offset:1032
	s_waitcnt lgkmcnt(2)
	v_cmp_lt_u16_e32 vcc, v12, v14
	s_waitcnt lgkmcnt(1)
	v_and_b32_e32 v16, 1, v13
	v_cmp_eq_u32_e64 s[0:1], 1, v16
	s_waitcnt lgkmcnt(0)
	v_cmp_ne_u16_e64 s[2:3], v15, v10
	v_cndmask_b32_e64 v16, 0, 1, s[2:3]
	s_and_b64 vcc, vcc, s[0:1]
	;; [unrolled: 27-line block ×5, first 2 shown]
	v_cndmask_b32_e32 v10, v10, v11, vcc
	v_and_b32_e32 v10, 1, v10
	v_cmp_eq_u32_e32 vcc, 1, v10
	s_and_saveexec_b64 s[0:1], vcc
	s_cbranch_execz .LBB76_61
; %bb.60:
	ds_write_b8 v2, v14
	ds_write_b8 v2, v12 offset:1
	ds_write_b8 v2, v15 offset:1024
	;; [unrolled: 1-line block ×3, first 2 shown]
.LBB76_61:
	s_or_b64 exec, exec, s[0:1]
	v_and_b32_e32 v10, 0x7f, v0
	v_sub_u32_e32 v10, v1, v10
	v_add_u32_e32 v10, 1, v10
	s_waitcnt lgkmcnt(0)
	s_barrier
	ds_read_u8 v12, v10
	ds_read_u8 v14, v10 offset:128
	ds_read_u8 v13, v10 offset:1024
	;; [unrolled: 1-line block ×3, first 2 shown]
	v_lshrrev_b32_e32 v16, 7, v0
	v_and_b32_e32 v11, 0x80, v0
	v_cmp_ne_u32_e32 vcc, 0, v11
	v_and_b32_e32 v11, 1, v16
	s_waitcnt lgkmcnt(1)
	v_and_b32_e32 v17, 1, v13
	v_cmp_lt_u16_e64 s[0:1], v12, v14
	v_cmp_eq_u32_e64 s[2:3], 1, v17
	s_waitcnt lgkmcnt(0)
	v_cmp_ne_u16_e64 s[6:7], v15, v11
	v_cndmask_b32_e64 v17, 0, 1, s[6:7]
	s_and_b64 s[0:1], s[0:1], s[2:3]
	v_cndmask_b32_e64 v16, v17, v16, s[0:1]
	v_and_b32_e32 v16, 1, v16
	v_cmp_eq_u32_e64 s[0:1], 1, v16
	s_and_saveexec_b64 s[2:3], s[0:1]
	s_cbranch_execz .LBB76_63
; %bb.62:
	ds_write_b8 v10, v14
	ds_write_b8 v10, v12 offset:128
	ds_write_b8 v10, v15 offset:1024
	;; [unrolled: 1-line block ×3, first 2 shown]
.LBB76_63:
	s_or_b64 exec, exec, s[2:3]
	s_waitcnt lgkmcnt(0)
	s_barrier
	ds_read_u8 v13, v9
	ds_read_u8 v15, v9 offset:64
	ds_read_u8 v14, v9 offset:1024
	;; [unrolled: 1-line block ×3, first 2 shown]
	s_waitcnt lgkmcnt(2)
	v_cmp_lt_u16_e64 s[0:1], v13, v15
	s_waitcnt lgkmcnt(1)
	v_and_b32_e32 v12, 1, v14
	v_cmp_eq_u32_e64 s[2:3], 1, v12
	s_waitcnt lgkmcnt(0)
	v_cmp_ne_u16_e64 s[6:7], v16, v11
	v_cndmask_b32_e64 v17, 0, 1, s[6:7]
	v_cndmask_b32_e64 v12, 0, 1, vcc
	s_and_b64 vcc, s[0:1], s[2:3]
	v_cndmask_b32_e32 v17, v17, v12, vcc
	v_and_b32_e32 v17, 1, v17
	v_cmp_eq_u32_e32 vcc, 1, v17
	s_and_saveexec_b64 s[0:1], vcc
	s_cbranch_execz .LBB76_65
; %bb.64:
	ds_write_b8 v9, v15
	ds_write_b8 v9, v13 offset:64
	ds_write_b8 v9, v16 offset:1024
	ds_write_b8 v9, v14 offset:1088
.LBB76_65:
	s_or_b64 exec, exec, s[0:1]
	s_waitcnt lgkmcnt(0)
	s_barrier
	ds_read_u8 v13, v8
	ds_read_u8 v15, v8 offset:32
	ds_read_u8 v14, v8 offset:1024
	ds_read_u8 v16, v8 offset:1056
	s_waitcnt lgkmcnt(2)
	v_cmp_lt_u16_e32 vcc, v13, v15
	s_waitcnt lgkmcnt(1)
	v_and_b32_e32 v17, 1, v14
	v_cmp_eq_u32_e64 s[0:1], 1, v17
	s_waitcnt lgkmcnt(0)
	v_cmp_ne_u16_e64 s[2:3], v16, v11
	v_cndmask_b32_e64 v17, 0, 1, s[2:3]
	s_and_b64 vcc, vcc, s[0:1]
	v_cndmask_b32_e32 v17, v17, v12, vcc
	v_and_b32_e32 v17, 1, v17
	v_cmp_eq_u32_e32 vcc, 1, v17
	s_and_saveexec_b64 s[0:1], vcc
	s_cbranch_execz .LBB76_67
; %bb.66:
	ds_write_b8 v8, v15
	ds_write_b8 v8, v13 offset:32
	ds_write_b8 v8, v16 offset:1024
	ds_write_b8 v8, v14 offset:1056
.LBB76_67:
	s_or_b64 exec, exec, s[0:1]
	s_waitcnt lgkmcnt(0)
	s_barrier
	ds_read_u8 v13, v7
	ds_read_u8 v15, v7 offset:16
	ds_read_u8 v14, v7 offset:1024
	ds_read_u8 v16, v7 offset:1040
	s_waitcnt lgkmcnt(2)
	v_cmp_lt_u16_e32 vcc, v13, v15
	s_waitcnt lgkmcnt(1)
	v_and_b32_e32 v17, 1, v14
	v_cmp_eq_u32_e64 s[0:1], 1, v17
	s_waitcnt lgkmcnt(0)
	v_cmp_ne_u16_e64 s[2:3], v16, v11
	v_cndmask_b32_e64 v17, 0, 1, s[2:3]
	s_and_b64 vcc, vcc, s[0:1]
	;; [unrolled: 27-line block ×6, first 2 shown]
	v_cndmask_b32_e32 v11, v11, v12, vcc
	v_and_b32_e32 v11, 1, v11
	v_cmp_eq_u32_e32 vcc, 1, v11
	s_and_saveexec_b64 s[0:1], vcc
	s_cbranch_execz .LBB76_77
; %bb.76:
	ds_write_b8 v2, v15
	ds_write_b8 v2, v13 offset:1
	ds_write_b8 v2, v16 offset:1024
	;; [unrolled: 1-line block ×3, first 2 shown]
.LBB76_77:
	s_or_b64 exec, exec, s[0:1]
	v_sub_u32_sdwa v11, v1, v0 dst_sel:DWORD dst_unused:UNUSED_PAD src0_sel:DWORD src1_sel:BYTE_0
	v_add_u32_e32 v11, 1, v11
	v_and_b32_e32 v16, 0x100, v0
	s_waitcnt lgkmcnt(0)
	s_barrier
	ds_read_u8 v13, v11
	ds_read_u8 v15, v11 offset:256
	ds_read_u8 v14, v11 offset:1024
	v_cmp_ne_u32_e32 vcc, 0, v16
	ds_read_u8 v16, v11 offset:1280
	v_bfe_u32 v17, v0, 8, 1
	s_waitcnt lgkmcnt(2)
	v_cmp_lt_u16_e64 s[0:1], v13, v15
	s_waitcnt lgkmcnt(1)
	v_and_b32_e32 v18, 1, v14
	v_cmp_eq_u32_e64 s[2:3], 1, v18
	s_waitcnt lgkmcnt(0)
	v_cmp_ne_u16_e64 s[6:7], v16, v17
	v_cndmask_b32_e64 v18, 0, 1, s[6:7]
	s_and_b64 s[0:1], s[0:1], s[2:3]
	v_cndmask_b32_e64 v17, v18, v17, s[0:1]
	v_and_b32_e32 v17, 1, v17
	v_and_b32_e32 v12, 0x100, v0
	v_cmp_eq_u32_e64 s[0:1], 1, v17
	s_and_saveexec_b64 s[2:3], s[0:1]
	s_cbranch_execz .LBB76_79
; %bb.78:
	ds_write_b8 v11, v15
	ds_write_b8 v11, v13 offset:256
	ds_write_b8 v11, v16 offset:1024
	;; [unrolled: 1-line block ×3, first 2 shown]
.LBB76_79:
	s_or_b64 exec, exec, s[2:3]
	s_waitcnt lgkmcnt(0)
	s_barrier
	ds_read_u8 v14, v10
	ds_read_u8 v16, v10 offset:128
	ds_read_u8 v15, v10 offset:1024
	;; [unrolled: 1-line block ×3, first 2 shown]
	v_lshrrev_b32_e32 v12, 8, v12
	s_waitcnt lgkmcnt(2)
	v_cmp_lt_u16_e64 s[0:1], v14, v16
	s_waitcnt lgkmcnt(1)
	v_and_b32_e32 v13, 1, v15
	v_cmp_eq_u32_e64 s[2:3], 1, v13
	s_waitcnt lgkmcnt(0)
	v_cmp_ne_u16_e64 s[6:7], v17, v12
	v_cndmask_b32_e64 v18, 0, 1, s[6:7]
	v_cndmask_b32_e64 v13, 0, 1, vcc
	s_and_b64 vcc, s[0:1], s[2:3]
	v_cndmask_b32_e32 v18, v18, v13, vcc
	v_and_b32_e32 v18, 1, v18
	v_cmp_eq_u32_e32 vcc, 1, v18
	s_and_saveexec_b64 s[0:1], vcc
	s_cbranch_execz .LBB76_81
; %bb.80:
	ds_write_b8 v10, v16
	ds_write_b8 v10, v14 offset:128
	ds_write_b8 v10, v17 offset:1024
	ds_write_b8 v10, v15 offset:1152
.LBB76_81:
	s_or_b64 exec, exec, s[0:1]
	s_waitcnt lgkmcnt(0)
	s_barrier
	ds_read_u8 v14, v9
	ds_read_u8 v16, v9 offset:64
	ds_read_u8 v15, v9 offset:1024
	ds_read_u8 v17, v9 offset:1088
	s_waitcnt lgkmcnt(2)
	v_cmp_lt_u16_e32 vcc, v14, v16
	s_waitcnt lgkmcnt(1)
	v_and_b32_e32 v18, 1, v15
	v_cmp_eq_u32_e64 s[0:1], 1, v18
	s_waitcnt lgkmcnt(0)
	v_cmp_ne_u16_e64 s[2:3], v17, v12
	v_cndmask_b32_e64 v18, 0, 1, s[2:3]
	s_and_b64 vcc, vcc, s[0:1]
	v_cndmask_b32_e32 v18, v18, v13, vcc
	v_and_b32_e32 v18, 1, v18
	v_cmp_eq_u32_e32 vcc, 1, v18
	s_and_saveexec_b64 s[0:1], vcc
	s_cbranch_execz .LBB76_83
; %bb.82:
	ds_write_b8 v9, v16
	ds_write_b8 v9, v14 offset:64
	ds_write_b8 v9, v17 offset:1024
	ds_write_b8 v9, v15 offset:1088
.LBB76_83:
	s_or_b64 exec, exec, s[0:1]
	s_waitcnt lgkmcnt(0)
	s_barrier
	ds_read_u8 v14, v8
	ds_read_u8 v16, v8 offset:32
	ds_read_u8 v15, v8 offset:1024
	ds_read_u8 v17, v8 offset:1056
	s_waitcnt lgkmcnt(2)
	v_cmp_lt_u16_e32 vcc, v14, v16
	s_waitcnt lgkmcnt(1)
	v_and_b32_e32 v18, 1, v15
	v_cmp_eq_u32_e64 s[0:1], 1, v18
	s_waitcnt lgkmcnt(0)
	v_cmp_ne_u16_e64 s[2:3], v17, v12
	v_cndmask_b32_e64 v18, 0, 1, s[2:3]
	s_and_b64 vcc, vcc, s[0:1]
	;; [unrolled: 27-line block ×7, first 2 shown]
	v_cndmask_b32_e32 v12, v12, v13, vcc
	v_and_b32_e32 v12, 1, v12
	v_cmp_eq_u32_e32 vcc, 1, v12
	s_and_saveexec_b64 s[0:1], vcc
	s_cbranch_execz .LBB76_95
; %bb.94:
	ds_write_b8 v2, v16
	ds_write_b8 v2, v14 offset:1
	ds_write_b8 v2, v17 offset:1024
	ds_write_b8 v2, v15 offset:1025
.LBB76_95:
	s_or_b64 exec, exec, s[0:1]
	v_and_b32_e32 v12, 0x1ff, v0
	v_sub_u32_e32 v12, v1, v12
	v_add_u32_e32 v13, 1, v12
	s_waitcnt lgkmcnt(0)
	s_barrier
	ds_read_u8 v14, v13
	ds_read_u8 v16, v13 offset:512
	ds_read_u8 v15, v13 offset:1024
	;; [unrolled: 1-line block ×3, first 2 shown]
	s_waitcnt lgkmcnt(2)
	v_cmp_ge_u16_e32 vcc, v14, v16
	s_waitcnt lgkmcnt(1)
	v_and_b32_e32 v12, 1, v15
	v_cmp_eq_u32_e64 s[0:1], 1, v12
	s_xor_b64 s[0:1], s[0:1], -1
	v_mov_b32_e32 v12, 0
	s_or_b64 s[0:1], vcc, s[0:1]
	s_waitcnt lgkmcnt(0)
	v_cmp_ne_u16_sdwa s[2:3], v17, v12 src0_sel:BYTE_0 src1_sel:DWORD
	s_and_b64 s[2:3], s[0:1], s[2:3]
	s_and_saveexec_b64 s[0:1], s[2:3]
	s_cbranch_execz .LBB76_97
; %bb.96:
	ds_write_b8 v13, v16
	ds_write_b8 v13, v14 offset:512
	v_mov_b32_e32 v14, 1
	ds_write_b8 v13, v14 offset:1024
	ds_write_b8 v13, v15 offset:1536
.LBB76_97:
	s_or_b64 exec, exec, s[0:1]
	s_waitcnt lgkmcnt(0)
	s_barrier
	ds_read_u8 v13, v11
	ds_read_u8 v15, v11 offset:256
	ds_read_u8 v14, v11 offset:1024
	;; [unrolled: 1-line block ×3, first 2 shown]
	s_waitcnt lgkmcnt(2)
	v_cmp_ge_u16_e32 vcc, v13, v15
	s_waitcnt lgkmcnt(1)
	v_and_b32_e32 v17, 1, v14
	v_cmp_eq_u32_e64 s[0:1], 1, v17
	s_xor_b64 s[0:1], s[0:1], -1
	s_or_b64 s[0:1], vcc, s[0:1]
	s_waitcnt lgkmcnt(0)
	v_cmp_ne_u16_sdwa s[2:3], v16, v12 src0_sel:BYTE_0 src1_sel:DWORD
	s_and_b64 s[2:3], s[0:1], s[2:3]
	s_and_saveexec_b64 s[0:1], s[2:3]
	s_cbranch_execz .LBB76_99
; %bb.98:
	v_mov_b32_e32 v12, 1
	ds_write_b8 v11, v15
	ds_write_b8 v11, v13 offset:256
	ds_write_b8 v11, v12 offset:1024
	;; [unrolled: 1-line block ×3, first 2 shown]
.LBB76_99:
	s_or_b64 exec, exec, s[0:1]
	s_waitcnt lgkmcnt(0)
	s_barrier
	ds_read_u8 v12, v10
	ds_read_u8 v14, v10 offset:128
	ds_read_u8 v13, v10 offset:1024
	ds_read_u8 v15, v10 offset:1152
	s_waitcnt lgkmcnt(2)
	v_cmp_ge_u16_e32 vcc, v12, v14
	s_waitcnt lgkmcnt(1)
	v_and_b32_e32 v11, 1, v13
	v_cmp_eq_u32_e64 s[0:1], 1, v11
	s_xor_b64 s[0:1], s[0:1], -1
	v_mov_b32_e32 v11, 0
	s_or_b64 s[0:1], vcc, s[0:1]
	s_waitcnt lgkmcnt(0)
	v_cmp_ne_u16_sdwa s[2:3], v15, v11 src0_sel:BYTE_0 src1_sel:DWORD
	s_and_b64 s[2:3], s[0:1], s[2:3]
	s_and_saveexec_b64 s[0:1], s[2:3]
	s_cbranch_execz .LBB76_101
; %bb.100:
	ds_write_b8 v10, v14
	ds_write_b8 v10, v12 offset:128
	v_mov_b32_e32 v12, 1
	ds_write_b8 v10, v12 offset:1024
	ds_write_b8 v10, v13 offset:1152
.LBB76_101:
	s_or_b64 exec, exec, s[0:1]
	s_waitcnt lgkmcnt(0)
	s_barrier
	ds_read_u8 v10, v9
	ds_read_u8 v13, v9 offset:64
	ds_read_u8 v12, v9 offset:1024
	ds_read_u8 v14, v9 offset:1088
	s_waitcnt lgkmcnt(2)
	v_cmp_ge_u16_e32 vcc, v10, v13
	s_waitcnt lgkmcnt(1)
	v_and_b32_e32 v15, 1, v12
	v_cmp_eq_u32_e64 s[0:1], 1, v15
	s_xor_b64 s[0:1], s[0:1], -1
	s_or_b64 s[0:1], vcc, s[0:1]
	s_waitcnt lgkmcnt(0)
	v_cmp_ne_u16_sdwa s[2:3], v14, v11 src0_sel:BYTE_0 src1_sel:DWORD
	s_and_b64 s[2:3], s[0:1], s[2:3]
	s_and_saveexec_b64 s[0:1], s[2:3]
	s_cbranch_execz .LBB76_103
; %bb.102:
	ds_write_b8 v9, v13
	ds_write_b8 v9, v10 offset:64
	v_mov_b32_e32 v10, 1
	ds_write_b8 v9, v10 offset:1024
	ds_write_b8 v9, v12 offset:1088
.LBB76_103:
	s_or_b64 exec, exec, s[0:1]
	s_waitcnt lgkmcnt(0)
	s_barrier
	ds_read_u8 v10, v8
	ds_read_u8 v12, v8 offset:32
	ds_read_u8 v11, v8 offset:1024
	ds_read_u8 v13, v8 offset:1056
	s_waitcnt lgkmcnt(2)
	v_cmp_ge_u16_e32 vcc, v10, v12
	s_waitcnt lgkmcnt(1)
	v_and_b32_e32 v9, 1, v11
	v_cmp_eq_u32_e64 s[0:1], 1, v9
	s_xor_b64 s[0:1], s[0:1], -1
	v_mov_b32_e32 v9, 0
	s_or_b64 s[0:1], vcc, s[0:1]
	s_waitcnt lgkmcnt(0)
	v_cmp_ne_u16_sdwa s[2:3], v13, v9 src0_sel:BYTE_0 src1_sel:DWORD
	s_and_b64 s[2:3], s[0:1], s[2:3]
	s_and_saveexec_b64 s[0:1], s[2:3]
	s_cbranch_execz .LBB76_105
; %bb.104:
	ds_write_b8 v8, v12
	ds_write_b8 v8, v10 offset:32
	v_mov_b32_e32 v10, 1
	ds_write_b8 v8, v10 offset:1024
	ds_write_b8 v8, v11 offset:1056
.LBB76_105:
	s_or_b64 exec, exec, s[0:1]
	s_waitcnt lgkmcnt(0)
	s_barrier
	ds_read_u8 v8, v7
	ds_read_u8 v11, v7 offset:16
	ds_read_u8 v10, v7 offset:1024
	ds_read_u8 v12, v7 offset:1040
	s_waitcnt lgkmcnt(2)
	v_cmp_ge_u16_e32 vcc, v8, v11
	s_waitcnt lgkmcnt(1)
	v_and_b32_e32 v13, 1, v10
	v_cmp_eq_u32_e64 s[0:1], 1, v13
	s_xor_b64 s[0:1], s[0:1], -1
	s_or_b64 s[0:1], vcc, s[0:1]
	s_waitcnt lgkmcnt(0)
	v_cmp_ne_u16_sdwa s[2:3], v12, v9 src0_sel:BYTE_0 src1_sel:DWORD
	s_and_b64 s[2:3], s[0:1], s[2:3]
	s_and_saveexec_b64 s[0:1], s[2:3]
	s_cbranch_execz .LBB76_107
; %bb.106:
	ds_write_b8 v7, v11
	ds_write_b8 v7, v8 offset:16
	v_mov_b32_e32 v8, 1
	ds_write_b8 v7, v8 offset:1024
	ds_write_b8 v7, v10 offset:1040
.LBB76_107:
	;; [unrolled: 53-line block ×4, first 2 shown]
	s_or_b64 exec, exec, s[0:1]
	v_cmp_eq_u32_e32 vcc, 0, v0
	s_waitcnt lgkmcnt(0)
	s_barrier
	s_barrier
	s_and_saveexec_b64 s[0:1], vcc
	s_cbranch_execz .LBB76_117
; %bb.116:
	v_mov_b32_e32 v3, 1
	v_mov_b32_e32 v4, 0
	ds_write_b8 v3, v3 offset:1028
	ds_write_b32 v3, v4 offset:1024
.LBB76_117:
	s_or_b64 exec, exec, s[0:1]
	ds_read_u8 v4, v2
	ds_read_u8 v3, v2 offset:1
	v_lshl_add_u32 v2, v1, 3, 1
	s_waitcnt lgkmcnt(0)
	v_cmp_ne_u16_e64 s[0:1], v4, v3
	v_cndmask_b32_e64 v6, 0, 1, s[0:1]
	v_cmp_eq_u16_e64 s[0:1], v4, v3
	v_cndmask_b32_e64 v4, 0, 1, s[0:1]
	s_movk_i32 s0, 0x1ff
	v_cmp_gt_u32_e64 s[2:3], s0, v0
	ds_write_b8 v2, v6 offset:1036
	ds_write_b32 v2, v4 offset:1032
	s_and_saveexec_b64 s[6:7], s[2:3]
	s_cbranch_execz .LBB76_119
; %bb.118:
	v_mad_i32_i24 v4, v0, -14, v2
	ds_read_u8 v6, v4 offset:2
	v_mad_u32_u24 v4, v0, 14, v4
	s_waitcnt lgkmcnt(0)
	v_cmp_ne_u16_e64 s[0:1], v3, v6
	v_cndmask_b32_e64 v7, 0, 1, s[0:1]
	v_cmp_eq_u16_e64 s[0:1], v3, v6
	v_cndmask_b32_e64 v3, 0, 1, s[0:1]
	ds_write_b8 v4, v7 offset:1044
	ds_write_b32 v4, v3 offset:1040
.LBB76_119:
	s_or_b64 exec, exec, s[6:7]
	s_movk_i32 s0, 0x200
	v_cmp_gt_u32_e64 s[0:1], s0, v0
	s_waitcnt lgkmcnt(0)
	s_barrier
	s_and_saveexec_b64 s[6:7], s[0:1]
	s_cbranch_execz .LBB76_121
; %bb.120:
	ds_read_u8 v6, v2 offset:1036
	v_add_u32_e32 v3, 0x400, v2
	ds_read2_b32 v[3:4], v3 offset1:2
	ds_read_u8 v7, v2 offset:1028
	v_add_u32_e32 v8, 0x408, v2
	s_waitcnt lgkmcnt(2)
	v_and_b32_e32 v9, 1, v6
	v_cmp_eq_u32_e64 s[0:1], 1, v9
	s_waitcnt lgkmcnt(1)
	v_cndmask_b32_e64 v3, v3, 0, s[0:1]
	v_add_u32_e32 v3, v3, v4
	s_waitcnt lgkmcnt(0)
	v_or_b32_e32 v4, v7, v6
	v_and_b32_e32 v4, 1, v4
	ds_write2_b32 v8, v3, v4 offset1:1
.LBB76_121:
	s_or_b64 exec, exec, s[6:7]
	v_add_u32_e32 v9, 2, v1
	v_lshlrev_b32_e32 v3, 1, v9
	s_movk_i32 s0, 0x100
	v_cmp_gt_u32_e64 s[0:1], s0, v0
	v_lshl_add_u32 v3, v3, 3, 1
	s_waitcnt lgkmcnt(0)
	s_barrier
	s_and_saveexec_b64 s[6:7], s[0:1]
	s_cbranch_execz .LBB76_123
; %bb.122:
	ds_read_u8 v4, v3 offset:1020
	ds_read_u8 v8, v3 offset:1004
	ds_read2_b32 v[6:7], v3 offset0:250 offset1:254
	s_waitcnt lgkmcnt(2)
	v_and_b32_e32 v10, 1, v4
	v_cmp_eq_u32_e64 s[0:1], 1, v10
	s_waitcnt lgkmcnt(1)
	v_or_b32_e32 v4, v8, v4
	s_waitcnt lgkmcnt(0)
	v_cndmask_b32_e64 v6, v6, 0, s[0:1]
	v_add_u32_e32 v6, v6, v7
	v_and_b32_e32 v4, 1, v4
	ds_write2_b32 v3, v6, v4 offset0:254 offset1:255
.LBB76_123:
	s_or_b64 exec, exec, s[6:7]
	v_lshlrev_b32_e32 v4, 2, v9
	s_movk_i32 s0, 0x80
	v_cmp_gt_u32_e64 s[0:1], s0, v0
	v_lshl_add_u32 v4, v4, 3, 1
	s_waitcnt lgkmcnt(0)
	s_barrier
	s_and_saveexec_b64 s[6:7], s[0:1]
	s_cbranch_execz .LBB76_125
; %bb.124:
	ds_read_u8 v8, v4 offset:1020
	ds_read_u8 v10, v4 offset:988
	ds_read2_b32 v[6:7], v4 offset0:246 offset1:254
	s_waitcnt lgkmcnt(2)
	v_and_b32_e32 v11, 1, v8
	v_cmp_eq_u32_e64 s[0:1], 1, v11
	s_waitcnt lgkmcnt(1)
	v_or_b32_e32 v8, v10, v8
	s_waitcnt lgkmcnt(0)
	v_cndmask_b32_e64 v6, v6, 0, s[0:1]
	v_add_u32_e32 v6, v6, v7
	v_and_b32_e32 v7, 1, v8
	ds_write2_b32 v4, v6, v7 offset0:254 offset1:255
.LBB76_125:
	s_or_b64 exec, exec, s[6:7]
	v_lshlrev_b32_e32 v6, 3, v9
	v_cmp_gt_u32_e64 s[0:1], 64, v0
	v_lshl_add_u32 v6, v6, 3, 1
	s_waitcnt lgkmcnt(0)
	s_barrier
	s_and_saveexec_b64 s[8:9], s[0:1]
	s_cbranch_execz .LBB76_127
; %bb.126:
	ds_read_u8 v10, v6 offset:1020
	ds_read_u8 v11, v6 offset:956
	ds_read2_b32 v[7:8], v6 offset0:238 offset1:254
	s_waitcnt lgkmcnt(2)
	v_and_b32_e32 v12, 1, v10
	v_cmp_eq_u32_e64 s[6:7], 1, v12
	s_waitcnt lgkmcnt(1)
	v_or_b32_e32 v10, v11, v10
	s_waitcnt lgkmcnt(0)
	v_cndmask_b32_e64 v7, v7, 0, s[6:7]
	v_add_u32_e32 v7, v7, v8
	v_and_b32_e32 v8, 1, v10
	ds_write2_b32 v6, v7, v8 offset0:254 offset1:255
.LBB76_127:
	s_or_b64 exec, exec, s[8:9]
	v_lshlrev_b32_e32 v7, 4, v9
	;; [unrolled: 23-line block ×5, first 2 shown]
	v_cmp_gt_u32_e64 s[6:7], 4, v0
	v_lshl_add_u32 v11, v11, 3, 1
	s_waitcnt lgkmcnt(0)
	s_barrier
	s_and_saveexec_b64 s[8:9], s[6:7]
	s_cbranch_execz .LBB76_135
; %bb.134:
	ds_read_u8 v13, v11 offset:1020
	v_add_u32_e32 v12, -8, v11
	v_add_u32_e32 v14, -4, v11
	ds_read_b32 v12, v12
	ds_read_b32 v15, v11 offset:1016
	ds_read_u8 v14, v14
	s_waitcnt lgkmcnt(3)
	v_and_b32_e32 v16, 1, v13
	v_cmp_eq_u32_e64 s[6:7], 1, v16
	s_waitcnt lgkmcnt(2)
	v_cndmask_b32_e64 v12, v12, 0, s[6:7]
	s_waitcnt lgkmcnt(0)
	v_or_b32_e32 v13, v14, v13
	v_add_u32_e32 v12, v12, v15
	v_and_b32_e32 v13, 1, v13
	ds_write2_b32 v11, v12, v13 offset0:254 offset1:255
.LBB76_135:
	s_or_b64 exec, exec, s[8:9]
	v_lshlrev_b32_e32 v9, 8, v9
	v_cmp_gt_u32_e64 s[6:7], 2, v0
	v_lshl_add_u32 v9, v9, 3, 1
	s_waitcnt lgkmcnt(0)
	s_barrier
	s_and_saveexec_b64 s[8:9], s[6:7]
	s_cbranch_execz .LBB76_137
; %bb.136:
	ds_read_u8 v13, v9 offset:1020
	v_add_u32_e32 v12, 0xfffffbf8, v9
	v_add_u32_e32 v14, 0xfffffbfc, v9
	ds_read_b32 v12, v12
	ds_read_b32 v15, v9 offset:1016
	ds_read_u8 v14, v14
	s_waitcnt lgkmcnt(3)
	v_and_b32_e32 v16, 1, v13
	v_cmp_eq_u32_e64 s[6:7], 1, v16
	s_waitcnt lgkmcnt(2)
	v_cndmask_b32_e64 v12, v12, 0, s[6:7]
	s_waitcnt lgkmcnt(0)
	v_or_b32_e32 v13, v14, v13
	v_add_u32_e32 v12, v12, v15
	v_and_b32_e32 v13, 1, v13
	ds_write2_b32 v9, v12, v13 offset0:254 offset1:255
.LBB76_137:
	s_or_b64 exec, exec, s[8:9]
	s_waitcnt lgkmcnt(0)
	s_barrier
	s_and_saveexec_b64 s[8:9], vcc
	s_cbranch_execz .LBB76_139
; %bb.138:
	v_mov_b32_e32 v12, 1
	ds_read_u8 v13, v12 offset:9212
	ds_read_b32 v14, v12 offset:5112
	ds_read_b32 v15, v12 offset:9208
	ds_read_u8 v12, v12 offset:5116
	s_add_i32 s10, 1, 0x23f8
	s_waitcnt lgkmcnt(3)
	v_and_b32_e32 v16, 1, v13
	v_cmp_eq_u32_e64 s[6:7], 1, v16
	s_waitcnt lgkmcnt(2)
	v_cndmask_b32_e64 v14, v14, 0, s[6:7]
	s_waitcnt lgkmcnt(0)
	v_or_b32_e32 v12, v12, v13
	v_add_u32_e32 v14, v14, v15
	v_and_b32_e32 v12, 1, v12
	v_mov_b32_e32 v13, s10
	ds_write2_b32 v13, v14, v12 offset1:1
.LBB76_139:
	s_or_b64 exec, exec, s[8:9]
	s_waitcnt lgkmcnt(0)
	s_barrier
	s_and_saveexec_b64 s[8:9], vcc
	s_cbranch_execz .LBB76_141
; %bb.140:
	ds_read_u8 v14, v9 offset:3068
	v_add_u32_e32 v12, 0xf8, v9
	ds_read2st64_b32 v[12:13], v12 offset0:3 offset1:11
	v_add_u32_e32 v15, 0xbf8, v9
	ds_read_u8 v9, v9 offset:1020
	s_waitcnt lgkmcnt(2)
	v_and_b32_e32 v16, 1, v14
	v_cmp_eq_u32_e64 s[6:7], 1, v16
	s_waitcnt lgkmcnt(1)
	v_cndmask_b32_e64 v12, v12, 0, s[6:7]
	v_add_u32_e32 v12, v12, v13
	s_waitcnt lgkmcnt(0)
	v_or_b32_e32 v9, v9, v14
	v_and_b32_e32 v9, 1, v9
	ds_write2_b32 v15, v12, v9 offset1:1
.LBB76_141:
	s_or_b64 exec, exec, s[8:9]
	v_cmp_gt_u32_e64 s[6:7], 3, v0
	s_waitcnt lgkmcnt(0)
	s_barrier
	s_and_saveexec_b64 s[8:9], s[6:7]
	s_cbranch_execz .LBB76_143
; %bb.142:
	ds_read_u8 v9, v11 offset:2044
	v_add_u32_e32 v12, 0xf8, v11
	ds_read2st64_b32 v[12:13], v12 offset0:3 offset1:7
	v_add_u32_e32 v14, 0x7f8, v11
	ds_read_u8 v11, v11 offset:1020
	s_waitcnt lgkmcnt(2)
	v_and_b32_e32 v15, 1, v9
	v_cmp_eq_u32_e64 s[6:7], 1, v15
	s_waitcnt lgkmcnt(1)
	v_cndmask_b32_e64 v12, v12, 0, s[6:7]
	v_add_u32_e32 v12, v12, v13
	s_waitcnt lgkmcnt(0)
	v_or_b32_e32 v9, v11, v9
	v_and_b32_e32 v9, 1, v9
	ds_write2_b32 v14, v12, v9 offset1:1
.LBB76_143:
	s_or_b64 exec, exec, s[8:9]
	v_cmp_gt_u32_e64 s[6:7], 7, v0
	s_waitcnt lgkmcnt(0)
	s_barrier
	s_and_saveexec_b64 s[8:9], s[6:7]
	;; [unrolled: 23-line block ×4, first 2 shown]
	s_cbranch_execz .LBB76_149
; %bb.148:
	ds_read_u8 v10, v7 offset:1148
	v_add_u32_e32 v8, 0x200, v7
	ds_read2_b32 v[8:9], v8 offset0:126 offset1:158
	v_add_u32_e32 v11, 0x478, v7
	ds_read_u8 v7, v7 offset:1020
	s_waitcnt lgkmcnt(2)
	v_and_b32_e32 v12, 1, v10
	v_cmp_eq_u32_e64 s[6:7], 1, v12
	s_waitcnt lgkmcnt(1)
	v_cndmask_b32_e64 v8, v8, 0, s[6:7]
	v_add_u32_e32 v8, v8, v9
	s_waitcnt lgkmcnt(0)
	v_or_b32_e32 v7, v7, v10
	v_and_b32_e32 v7, 1, v7
	ds_write2_b32 v11, v8, v7 offset1:1
.LBB76_149:
	s_or_b64 exec, exec, s[8:9]
	v_cmp_gt_u32_e64 s[6:7], 63, v0
	s_waitcnt lgkmcnt(0)
	s_barrier
	s_and_saveexec_b64 s[8:9], s[6:7]
	s_cbranch_execz .LBB76_151
; %bb.150:
	ds_read_u8 v9, v6 offset:1084
	v_add_u32_e32 v7, 0x200, v6
	ds_read2_b32 v[7:8], v7 offset0:126 offset1:142
	v_add_u32_e32 v10, 0x438, v6
	ds_read_u8 v6, v6 offset:1020
	s_waitcnt lgkmcnt(2)
	v_and_b32_e32 v11, 1, v9
	v_cmp_eq_u32_e64 s[6:7], 1, v11
	s_waitcnt lgkmcnt(1)
	v_cndmask_b32_e64 v7, v7, 0, s[6:7]
	v_add_u32_e32 v7, v7, v8
	s_waitcnt lgkmcnt(0)
	v_or_b32_e32 v6, v6, v9
	v_and_b32_e32 v6, 1, v6
	ds_write2_b32 v10, v7, v6 offset1:1
.LBB76_151:
	s_or_b64 exec, exec, s[8:9]
	s_movk_i32 s6, 0x7f
	v_cmp_gt_u32_e64 s[6:7], s6, v0
	s_waitcnt lgkmcnt(0)
	s_barrier
	s_and_saveexec_b64 s[8:9], s[6:7]
	s_cbranch_execz .LBB76_153
; %bb.152:
	ds_read_u8 v8, v4 offset:1052
	v_add_u32_e32 v6, 0x200, v4
	ds_read2_b32 v[6:7], v6 offset0:126 offset1:134
	ds_read_u8 v9, v4 offset:1020
	v_add_u32_e32 v4, 0x418, v4
	s_waitcnt lgkmcnt(2)
	v_and_b32_e32 v10, 1, v8
	v_cmp_eq_u32_e64 s[6:7], 1, v10
	s_waitcnt lgkmcnt(1)
	v_cndmask_b32_e64 v6, v6, 0, s[6:7]
	v_add_u32_e32 v6, v6, v7
	s_waitcnt lgkmcnt(0)
	v_or_b32_e32 v7, v9, v8
	v_and_b32_e32 v7, 1, v7
	ds_write2_b32 v4, v6, v7 offset1:1
.LBB76_153:
	s_or_b64 exec, exec, s[8:9]
	s_movk_i32 s6, 0xff
	v_cmp_gt_u32_e64 s[6:7], s6, v0
	s_waitcnt lgkmcnt(0)
	s_barrier
	s_and_saveexec_b64 s[8:9], s[6:7]
	s_cbranch_execz .LBB76_155
; %bb.154:
	ds_read_u8 v4, v3 offset:1036
	v_add_u32_e32 v6, 0x200, v3
	ds_read2_b32 v[6:7], v6 offset0:126 offset1:130
	ds_read_u8 v8, v3 offset:1020
	v_add_u32_e32 v3, 0x408, v3
	s_waitcnt lgkmcnt(2)
	v_and_b32_e32 v9, 1, v4
	v_cmp_eq_u32_e64 s[6:7], 1, v9
	s_waitcnt lgkmcnt(1)
	v_cndmask_b32_e64 v6, v6, 0, s[6:7]
	s_waitcnt lgkmcnt(0)
	v_or_b32_e32 v4, v8, v4
	v_add_u32_e32 v6, v6, v7
	v_and_b32_e32 v4, 1, v4
	ds_write2_b32 v3, v6, v4 offset1:1
.LBB76_155:
	s_or_b64 exec, exec, s[8:9]
	s_waitcnt lgkmcnt(0)
	s_barrier
	s_and_saveexec_b64 s[6:7], s[2:3]
	s_cbranch_execz .LBB76_157
; %bb.156:
	ds_read_u8 v6, v2 offset:1044
	v_add_u32_e32 v3, 0x400, v2
	ds_read2_b32 v[3:4], v3 offset0:2 offset1:4
	ds_read_u8 v7, v2 offset:1036
	v_add_u32_e32 v8, 0x410, v2
	s_waitcnt lgkmcnt(2)
	v_and_b32_e32 v9, 1, v6
	v_cmp_eq_u32_e64 s[2:3], 1, v9
	s_waitcnt lgkmcnt(1)
	v_cndmask_b32_e64 v3, v3, 0, s[2:3]
	v_add_u32_e32 v3, v3, v4
	s_waitcnt lgkmcnt(0)
	v_or_b32_e32 v4, v7, v6
	v_and_b32_e32 v4, 1, v4
	ds_write2_b32 v8, v3, v4 offset1:1
.LBB76_157:
	s_or_b64 exec, exec, s[6:7]
	v_add_u32_e32 v2, 0x400, v2
	s_waitcnt lgkmcnt(0)
	s_barrier
	ds_read2_b32 v[6:7], v2 offset1:2
	v_or_b32_e32 v3, 1, v1
	v_cmp_gt_u32_e64 s[2:3], s16, v1
	v_cmp_gt_u32_e64 s[6:7], s16, v3
	v_cndmask_b32_e64 v4, 0, v1, s[2:3]
	s_waitcnt lgkmcnt(0)
	v_cndmask_b32_e64 v2, 0, v6, s[2:3]
	v_mbcnt_lo_u32_b32 v6, -1, 0
	v_cndmask_b32_e64 v7, 0, v7, s[6:7]
	v_mbcnt_hi_u32_b32 v11, -1, v6
	v_mov_b32_e32 v6, 0x80
	v_cndmask_b32_e64 v8, 0, v3, s[6:7]
	v_max_u32_e32 v9, v7, v2
	v_lshl_or_b32 v6, v11, 2, v6
	v_cmp_gt_u32_e64 s[8:9], v7, v2
	ds_bpermute_b32 v10, v6, v9
	v_cndmask_b32_e64 v2, v4, v8, s[8:9]
	ds_bpermute_b32 v4, v6, v2
	v_and_b32_e32 v12, 63, v11
	v_cmp_gt_u32_e64 s[8:9], 48, v12
	v_cndmask_b32_e64 v7, 0, 16, s[8:9]
	s_waitcnt lgkmcnt(1)
	v_max_u32_e32 v13, v10, v9
	v_add_lshl_u32 v7, v7, v11, 2
	v_cmp_gt_u32_e64 s[8:9], v10, v9
	ds_bpermute_b32 v14, v7, v13
	s_waitcnt lgkmcnt(1)
	v_cndmask_b32_e64 v2, v2, v4, s[8:9]
	ds_bpermute_b32 v4, v7, v2
	v_cmp_gt_u32_e64 s[8:9], 56, v12
	v_cndmask_b32_e64 v8, 0, 8, s[8:9]
	s_waitcnt lgkmcnt(1)
	v_max_u32_e32 v10, v14, v13
	v_add_lshl_u32 v8, v8, v11, 2
	v_cmp_gt_u32_e64 s[8:9], v14, v13
	ds_bpermute_b32 v15, v8, v10
	s_waitcnt lgkmcnt(1)
	v_cndmask_b32_e64 v2, v2, v4, s[8:9]
	ds_bpermute_b32 v4, v8, v2
	v_cmp_gt_u32_e64 s[8:9], 60, v12
	v_cndmask_b32_e64 v9, 0, 4, s[8:9]
	s_waitcnt lgkmcnt(1)
	v_max_u32_e32 v13, v15, v10
	v_add_lshl_u32 v9, v9, v11, 2
	v_cmp_gt_u32_e64 s[8:9], v15, v10
	ds_bpermute_b32 v14, v9, v13
	s_waitcnt lgkmcnt(1)
	v_cndmask_b32_e64 v2, v2, v4, s[8:9]
	ds_bpermute_b32 v4, v9, v2
	v_cmp_gt_u32_e64 s[8:9], 62, v12
	v_cndmask_b32_e64 v10, 0, 2, s[8:9]
	s_waitcnt lgkmcnt(1)
	v_max_u32_e32 v15, v14, v13
	v_add_lshl_u32 v10, v10, v11, 2
	v_cmp_gt_u32_e64 s[8:9], v14, v13
	ds_bpermute_b32 v16, v10, v15
	s_waitcnt lgkmcnt(1)
	v_cndmask_b32_e64 v4, v2, v4, s[8:9]
	ds_bpermute_b32 v13, v10, v4
	s_waitcnt lgkmcnt(0)
	s_barrier
	v_cmp_gt_u32_e64 s[8:9], v16, v15
	v_max_u32_e32 v2, v16, v15
	v_cndmask_b32_e64 v4, v4, v13, s[8:9]
	v_cmp_ne_u32_e64 s[8:9], 63, v12
	v_addc_co_u32_e64 v11, s[8:9], 0, v11, s[8:9]
	v_lshlrev_b32_e32 v11, 2, v11
	ds_bpermute_b32 v12, v11, v4
	ds_bpermute_b32 v13, v11, v2
	v_cmp_eq_u32_e64 s[8:9], 0, v5
	s_waitcnt lgkmcnt(0)
	s_barrier
	s_and_saveexec_b64 s[12:13], s[8:9]
	s_cbranch_execz .LBB76_159
; %bb.158:
	v_lshrrev_b32_e32 v14, 3, v0
	v_add_u32_e32 v14, 1, v14
	v_cmp_gt_u32_e64 s[10:11], v13, v2
	v_add_u32_e32 v14, 0x400, v14
	v_cndmask_b32_e64 v4, v4, v12, s[10:11]
	v_max_u32_e32 v2, v13, v2
	ds_write2_b32 v14, v2, v4 offset1:1
.LBB76_159:
	s_or_b64 exec, exec, s[12:13]
	s_lshr_b32 s10, s18, 6
	v_cmp_gt_u32_e64 s[10:11], s10, v0
	v_lshl_add_u32 v12, v5, 3, 1
	v_mov_b32_e32 v2, 0
	v_mov_b32_e32 v4, 0
	s_waitcnt lgkmcnt(0)
	s_barrier
	s_and_saveexec_b64 s[12:13], s[10:11]
	s_cbranch_execnz .LBB76_174
; %bb.160:
	s_or_b64 exec, exec, s[12:13]
	s_and_saveexec_b64 s[12:13], s[10:11]
	s_cbranch_execnz .LBB76_175
.LBB76_161:
	s_or_b64 exec, exec, s[12:13]
	s_and_saveexec_b64 s[18:19], s[0:1]
	s_cbranch_execnz .LBB76_176
.LBB76_162:
	s_or_b64 exec, exec, s[18:19]
	s_and_saveexec_b64 s[12:13], vcc
	s_cbranch_execz .LBB76_164
.LBB76_163:
	s_waitcnt lgkmcnt(0)
	v_add_u32_e32 v2, 1, v2
	ds_read_u8 v2, v2
	v_mov_b32_e32 v4, 0
	s_waitcnt lgkmcnt(0)
	ds_write_b8 v4, v2
.LBB76_164:
	s_or_b64 exec, exec, s[12:13]
	s_waitcnt lgkmcnt(0)
	v_mov_b32_e32 v2, 0
	v_cmp_gt_i64_e64 s[12:13], s[16:17], v[1:2]
	v_mov_b32_e32 v13, 0
	s_barrier
	s_and_saveexec_b64 s[18:19], s[12:13]
	s_cbranch_execz .LBB76_166
; %bb.165:
	v_add_u32_e32 v4, s21, v1
	global_load_ubyte v4, v4, s[14:15]
	v_mov_b32_e32 v13, 0
	ds_read_u8 v13, v13
	s_waitcnt vmcnt(0) lgkmcnt(0)
	v_cmp_eq_u16_e64 s[12:13], v4, v13
	v_cndmask_b32_e64 v13, 0, v1, s[12:13]
.LBB76_166:
	s_or_b64 exec, exec, s[18:19]
	v_mov_b32_e32 v4, v2
	v_cmp_gt_i64_e64 s[12:13], s[16:17], v[3:4]
	s_and_saveexec_b64 s[16:17], s[12:13]
	s_cbranch_execz .LBB76_168
; %bb.167:
	v_add_u32_e32 v1, s21, v3
	global_load_ubyte v1, v1, s[14:15]
	v_mov_b32_e32 v2, 0
	ds_read_u8 v2, v2
	s_waitcnt vmcnt(0) lgkmcnt(0)
	v_cmp_eq_u16_e64 s[12:13], v1, v2
	v_cndmask_b32_e64 v2, 0, v3, s[12:13]
.LBB76_168:
	s_or_b64 exec, exec, s[16:17]
	v_cndmask_b32_e64 v1, 0, v13, s[2:3]
	v_max_u32_e32 v2, v2, v1
	v_cndmask_b32_e64 v1, v1, v2, s[6:7]
	ds_bpermute_b32 v2, v6, v1
	s_waitcnt lgkmcnt(0)
	s_barrier
	v_max_u32_e32 v1, v2, v1
	ds_bpermute_b32 v2, v7, v1
	s_waitcnt lgkmcnt(0)
	v_max_u32_e32 v1, v2, v1
	ds_bpermute_b32 v2, v8, v1
	s_waitcnt lgkmcnt(0)
	;; [unrolled: 3-line block ×4, first 2 shown]
	v_max_u32_e32 v1, v2, v1
	ds_bpermute_b32 v2, v11, v1
	s_and_saveexec_b64 s[2:3], s[8:9]
	s_cbranch_execz .LBB76_170
; %bb.169:
	v_lshrrev_b32_e32 v0, 4, v0
	v_add_u32_e32 v0, 1, v0
	s_waitcnt lgkmcnt(0)
	v_max_u32_e32 v1, v2, v1
	ds_write_b32 v0, v1
.LBB76_170:
	s_or_b64 exec, exec, s[2:3]
	v_mov_b32_e32 v0, 0
	s_waitcnt lgkmcnt(0)
	s_barrier
	s_and_saveexec_b64 s[2:3], s[10:11]
	s_cbranch_execnz .LBB76_177
; %bb.171:
	s_or_b64 exec, exec, s[2:3]
	s_and_saveexec_b64 s[2:3], s[0:1]
	s_cbranch_execnz .LBB76_178
.LBB76_172:
	s_or_b64 exec, exec, s[2:3]
	s_and_saveexec_b64 s[0:1], vcc
	s_cbranch_execnz .LBB76_179
.LBB76_173:
	s_endpgm
.LBB76_174:
	ds_read_b32 v4, v12 offset:1024
	s_or_b64 exec, exec, s[12:13]
	s_and_saveexec_b64 s[12:13], s[10:11]
	s_cbranch_execz .LBB76_161
.LBB76_175:
	ds_read_b32 v2, v12 offset:1028
	s_or_b64 exec, exec, s[12:13]
	s_and_saveexec_b64 s[18:19], s[0:1]
	s_cbranch_execz .LBB76_162
.LBB76_176:
	s_waitcnt lgkmcnt(0)
	ds_bpermute_b32 v13, v6, v4
	ds_bpermute_b32 v14, v6, v2
	s_waitcnt lgkmcnt(1)
	v_max_u32_e32 v15, v13, v4
	v_cmp_gt_u32_e64 s[12:13], v13, v4
	ds_bpermute_b32 v16, v7, v15
	s_waitcnt lgkmcnt(1)
	v_cndmask_b32_e64 v2, v2, v14, s[12:13]
	ds_bpermute_b32 v4, v7, v2
	s_waitcnt lgkmcnt(1)
	v_max_u32_e32 v13, v16, v15
	v_cmp_gt_u32_e64 s[12:13], v16, v15
	ds_bpermute_b32 v14, v8, v13
	s_waitcnt lgkmcnt(1)
	v_cndmask_b32_e64 v2, v2, v4, s[12:13]
	;; [unrolled: 7-line block ×4, first 2 shown]
	ds_bpermute_b32 v4, v10, v2
	s_waitcnt lgkmcnt(1)
	v_max_u32_e32 v15, v14, v13
	v_cmp_gt_u32_e64 s[12:13], v14, v13
	s_waitcnt lgkmcnt(0)
	v_cndmask_b32_e64 v2, v2, v4, s[12:13]
	ds_bpermute_b32 v4, v11, v15
	ds_bpermute_b32 v13, v11, v2
	s_waitcnt lgkmcnt(1)
	v_cmp_gt_u32_e64 s[12:13], v4, v15
	s_waitcnt lgkmcnt(0)
	v_cndmask_b32_e64 v2, v2, v13, s[12:13]
	s_or_b64 exec, exec, s[18:19]
	s_and_saveexec_b64 s[12:13], vcc
	s_cbranch_execnz .LBB76_163
	s_branch .LBB76_164
.LBB76_177:
	v_lshlrev_b32_e32 v0, 2, v5
	v_sub_u32_e32 v0, v12, v0
	ds_read_b32 v0, v0
	s_or_b64 exec, exec, s[2:3]
	s_and_saveexec_b64 s[2:3], s[0:1]
	s_cbranch_execz .LBB76_172
.LBB76_178:
	s_waitcnt lgkmcnt(0)
	ds_bpermute_b32 v1, v6, v0
	s_waitcnt lgkmcnt(0)
	v_max_u32_e32 v0, v1, v0
	ds_bpermute_b32 v1, v7, v0
	s_waitcnt lgkmcnt(0)
	v_max_u32_e32 v0, v1, v0
	;; [unrolled: 3-line block ×6, first 2 shown]
	s_or_b64 exec, exec, s[2:3]
	s_and_saveexec_b64 s[0:1], vcc
	s_cbranch_execz .LBB76_173
.LBB76_179:
	s_load_dword s6, s[4:5], 0xd8
	s_load_dwordx2 s[0:1], s[4:5], 0xe0
	s_add_u32 s2, s4, 8
	s_addc_u32 s3, s5, 0
	s_mov_b32 s5, 0
	s_waitcnt lgkmcnt(0)
	s_cmp_lt_i32 s6, 2
	s_cbranch_scc1 .LBB76_182
; %bb.180:
	s_add_i32 s4, s6, -1
	s_add_i32 s8, s6, 1
	s_lshl_b64 s[6:7], s[4:5], 2
	s_add_u32 s4, s2, s6
	s_addc_u32 s7, s3, s7
	s_add_u32 s6, s4, 8
	s_addc_u32 s7, s7, 0
.LBB76_181:                             ; =>This Inner Loop Header: Depth=1
	s_load_dword s4, s[6:7], 0x0
	s_load_dword s10, s[6:7], 0x64
	s_mov_b32 s9, s20
	s_waitcnt lgkmcnt(0)
	v_cvt_f32_u32_e32 v1, s4
	s_sub_i32 s11, 0, s4
	v_rcp_iflag_f32_e32 v1, v1
	v_mul_f32_e32 v1, 0x4f7ffffe, v1
	v_cvt_u32_f32_e32 v1, v1
	v_readfirstlane_b32 s12, v1
	s_mul_i32 s11, s11, s12
	s_mul_hi_u32 s11, s12, s11
	s_add_i32 s12, s12, s11
	s_mul_hi_u32 s11, s20, s12
	s_mul_i32 s12, s11, s4
	s_sub_i32 s12, s20, s12
	s_add_i32 s13, s11, 1
	s_sub_i32 s14, s12, s4
	s_cmp_ge_u32 s12, s4
	s_cselect_b32 s11, s13, s11
	s_cselect_b32 s12, s14, s12
	s_add_i32 s13, s11, 1
	s_cmp_ge_u32 s12, s4
	s_cselect_b32 s20, s13, s11
	s_mul_i32 s4, s20, s4
	s_sub_i32 s4, s9, s4
	s_mul_i32 s4, s10, s4
	s_add_i32 s8, s8, -1
	s_add_i32 s5, s4, s5
	s_add_u32 s6, s6, -4
	s_addc_u32 s7, s7, -1
	s_cmp_gt_u32 s8, 2
	s_cbranch_scc1 .LBB76_181
.LBB76_182:
	s_load_dword s4, s[2:3], 0x6c
	v_mov_b32_e32 v1, 0
	s_load_dwordx2 s[2:3], s[2:3], 0x0
	ds_read_u8 v2, v1
	s_mov_b32 s7, 0
	s_waitcnt lgkmcnt(0)
	s_mul_i32 s4, s4, s20
	s_add_i32 s6, s4, s5
	v_mov_b32_e32 v3, s6
	global_store_byte v3, v2, s[2:3]
	s_lshl_b64 s[2:3], s[6:7], 3
	s_add_u32 s0, s0, s2
	s_addc_u32 s1, s1, s3
	global_store_dwordx2 v1, v[0:1], s[0:1]
	s_endpgm
	.section	.rodata,"a",@progbits
	.p2align	6, 0x0
	.amdhsa_kernel _ZN2at6native12compute_modeIhLj1024EEEvPKT_NS_4cuda6detail10TensorInfoIS2_jEENS7_IljEEll
		.amdhsa_group_segment_fixed_size 1
		.amdhsa_private_segment_fixed_size 0
		.amdhsa_kernarg_size 712
		.amdhsa_user_sgpr_count 6
		.amdhsa_user_sgpr_private_segment_buffer 1
		.amdhsa_user_sgpr_dispatch_ptr 0
		.amdhsa_user_sgpr_queue_ptr 0
		.amdhsa_user_sgpr_kernarg_segment_ptr 1
		.amdhsa_user_sgpr_dispatch_id 0
		.amdhsa_user_sgpr_flat_scratch_init 0
		.amdhsa_user_sgpr_private_segment_size 0
		.amdhsa_uses_dynamic_stack 0
		.amdhsa_system_sgpr_private_segment_wavefront_offset 0
		.amdhsa_system_sgpr_workgroup_id_x 1
		.amdhsa_system_sgpr_workgroup_id_y 1
		.amdhsa_system_sgpr_workgroup_id_z 1
		.amdhsa_system_sgpr_workgroup_info 0
		.amdhsa_system_vgpr_workitem_id 0
		.amdhsa_next_free_vgpr 19
		.amdhsa_next_free_sgpr 22
		.amdhsa_reserve_vcc 1
		.amdhsa_reserve_flat_scratch 0
		.amdhsa_float_round_mode_32 0
		.amdhsa_float_round_mode_16_64 0
		.amdhsa_float_denorm_mode_32 3
		.amdhsa_float_denorm_mode_16_64 3
		.amdhsa_dx10_clamp 1
		.amdhsa_ieee_mode 1
		.amdhsa_fp16_overflow 0
		.amdhsa_exception_fp_ieee_invalid_op 0
		.amdhsa_exception_fp_denorm_src 0
		.amdhsa_exception_fp_ieee_div_zero 0
		.amdhsa_exception_fp_ieee_overflow 0
		.amdhsa_exception_fp_ieee_underflow 0
		.amdhsa_exception_fp_ieee_inexact 0
		.amdhsa_exception_int_div_zero 0
	.end_amdhsa_kernel
	.section	.text._ZN2at6native12compute_modeIhLj1024EEEvPKT_NS_4cuda6detail10TensorInfoIS2_jEENS7_IljEEll,"axG",@progbits,_ZN2at6native12compute_modeIhLj1024EEEvPKT_NS_4cuda6detail10TensorInfoIS2_jEENS7_IljEEll,comdat
.Lfunc_end76:
	.size	_ZN2at6native12compute_modeIhLj1024EEEvPKT_NS_4cuda6detail10TensorInfoIS2_jEENS7_IljEEll, .Lfunc_end76-_ZN2at6native12compute_modeIhLj1024EEEvPKT_NS_4cuda6detail10TensorInfoIS2_jEENS7_IljEEll
                                        ; -- End function
	.set _ZN2at6native12compute_modeIhLj1024EEEvPKT_NS_4cuda6detail10TensorInfoIS2_jEENS7_IljEEll.num_vgpr, 19
	.set _ZN2at6native12compute_modeIhLj1024EEEvPKT_NS_4cuda6detail10TensorInfoIS2_jEENS7_IljEEll.num_agpr, 0
	.set _ZN2at6native12compute_modeIhLj1024EEEvPKT_NS_4cuda6detail10TensorInfoIS2_jEENS7_IljEEll.numbered_sgpr, 22
	.set _ZN2at6native12compute_modeIhLj1024EEEvPKT_NS_4cuda6detail10TensorInfoIS2_jEENS7_IljEEll.num_named_barrier, 0
	.set _ZN2at6native12compute_modeIhLj1024EEEvPKT_NS_4cuda6detail10TensorInfoIS2_jEENS7_IljEEll.private_seg_size, 0
	.set _ZN2at6native12compute_modeIhLj1024EEEvPKT_NS_4cuda6detail10TensorInfoIS2_jEENS7_IljEEll.uses_vcc, 1
	.set _ZN2at6native12compute_modeIhLj1024EEEvPKT_NS_4cuda6detail10TensorInfoIS2_jEENS7_IljEEll.uses_flat_scratch, 0
	.set _ZN2at6native12compute_modeIhLj1024EEEvPKT_NS_4cuda6detail10TensorInfoIS2_jEENS7_IljEEll.has_dyn_sized_stack, 0
	.set _ZN2at6native12compute_modeIhLj1024EEEvPKT_NS_4cuda6detail10TensorInfoIS2_jEENS7_IljEEll.has_recursion, 0
	.set _ZN2at6native12compute_modeIhLj1024EEEvPKT_NS_4cuda6detail10TensorInfoIS2_jEENS7_IljEEll.has_indirect_call, 0
	.section	.AMDGPU.csdata,"",@progbits
; Kernel info:
; codeLenInByte = 12884
; TotalNumSgprs: 26
; NumVgprs: 19
; ScratchSize: 0
; MemoryBound: 0
; FloatMode: 240
; IeeeMode: 1
; LDSByteSize: 1 bytes/workgroup (compile time only)
; SGPRBlocks: 3
; VGPRBlocks: 4
; NumSGPRsForWavesPerEU: 26
; NumVGPRsForWavesPerEU: 19
; Occupancy: 10
; WaveLimiterHint : 1
; COMPUTE_PGM_RSRC2:SCRATCH_EN: 0
; COMPUTE_PGM_RSRC2:USER_SGPR: 6
; COMPUTE_PGM_RSRC2:TRAP_HANDLER: 0
; COMPUTE_PGM_RSRC2:TGID_X_EN: 1
; COMPUTE_PGM_RSRC2:TGID_Y_EN: 1
; COMPUTE_PGM_RSRC2:TGID_Z_EN: 1
; COMPUTE_PGM_RSRC2:TIDIG_COMP_CNT: 0
	.section	.text._ZN2at6native12compute_modeIhLj128EEEvPKT_NS_4cuda6detail10TensorInfoIS2_jEENS7_IljEEll,"axG",@progbits,_ZN2at6native12compute_modeIhLj128EEEvPKT_NS_4cuda6detail10TensorInfoIS2_jEENS7_IljEEll,comdat
	.protected	_ZN2at6native12compute_modeIhLj128EEEvPKT_NS_4cuda6detail10TensorInfoIS2_jEENS7_IljEEll ; -- Begin function _ZN2at6native12compute_modeIhLj128EEEvPKT_NS_4cuda6detail10TensorInfoIS2_jEENS7_IljEEll
	.globl	_ZN2at6native12compute_modeIhLj128EEEvPKT_NS_4cuda6detail10TensorInfoIS2_jEENS7_IljEEll
	.p2align	8
	.type	_ZN2at6native12compute_modeIhLj128EEEvPKT_NS_4cuda6detail10TensorInfoIS2_jEENS7_IljEEll,@function
_ZN2at6native12compute_modeIhLj128EEEvPKT_NS_4cuda6detail10TensorInfoIS2_jEENS7_IljEEll: ; @_ZN2at6native12compute_modeIhLj128EEEvPKT_NS_4cuda6detail10TensorInfoIS2_jEENS7_IljEEll
; %bb.0:
	s_load_dwordx2 s[2:3], s[4:5], 0x1c8
	s_load_dwordx4 s[16:19], s[4:5], 0x1b8
	s_add_u32 s0, s4, 0x1c8
	s_addc_u32 s1, s5, 0
	v_mov_b32_e32 v2, 0
	s_waitcnt lgkmcnt(0)
	s_mul_i32 s3, s3, s8
	s_add_i32 s3, s3, s7
	s_mul_i32 s2, s3, s2
	s_add_i32 s20, s2, s6
	v_mov_b32_e32 v1, s20
	v_cmp_le_i64_e32 vcc, s[18:19], v[1:2]
	s_cbranch_vccnz .LBB77_107
; %bb.1:
	s_load_dwordx2 s[14:15], s[4:5], 0x0
	s_load_dword s2, s[0:1], 0xc
	v_mov_b32_e32 v1, v2
	v_cmp_gt_i64_e32 vcc, s[16:17], v[0:1]
	s_mul_i32 s21, s20, s16
	v_add_u32_e32 v3, 1, v0
	s_and_saveexec_b64 s[0:1], vcc
	s_cbranch_execz .LBB77_3
; %bb.2:
	v_add_u32_e32 v1, s21, v0
	s_waitcnt lgkmcnt(0)
	global_load_ubyte v1, v1, s[14:15]
	s_waitcnt vmcnt(0)
	ds_write_b8 v3, v1
.LBB77_3:
	s_or_b64 exec, exec, s[0:1]
	s_waitcnt lgkmcnt(0)
	s_and_b32 s18, 0xffff, s2
	v_add_u32_e32 v1, s18, v0
	v_cmp_gt_i64_e64 s[0:1], s[16:17], v[1:2]
	s_and_saveexec_b64 s[2:3], s[0:1]
	s_cbranch_execz .LBB77_5
; %bb.4:
	v_add_u32_e32 v2, s21, v1
	global_load_ubyte v2, v2, s[14:15]
	v_add_u32_e32 v1, 1, v1
	s_waitcnt vmcnt(0)
	ds_write_b8 v1, v2
.LBB77_5:
	s_or_b64 exec, exec, s[2:3]
	v_cndmask_b32_e64 v1, 0, 1, vcc
	ds_write_b8 v3, v1 offset:128
	v_add_u32_e32 v1, s18, v3
	v_cndmask_b32_e64 v2, 0, 1, s[0:1]
	ds_write_b8 v1, v2 offset:128
	v_add_u32_e32 v2, v3, v0
	s_waitcnt lgkmcnt(0)
	s_barrier
	s_barrier
	ds_read_u8 v1, v2
	ds_read_u8 v5, v2 offset:1
	ds_read_u8 v4, v2 offset:128
	;; [unrolled: 1-line block ×3, first 2 shown]
	v_and_b32_e32 v3, 1, v0
	s_waitcnt lgkmcnt(2)
	v_cmp_lt_u16_e32 vcc, v1, v5
	s_waitcnt lgkmcnt(1)
	v_and_b32_e32 v7, 1, v4
	v_cmp_eq_u32_e64 s[0:1], 1, v7
	s_waitcnt lgkmcnt(0)
	v_cmp_ne_u16_e64 s[2:3], v6, v3
	v_cndmask_b32_e64 v7, 0, 1, s[2:3]
	s_and_b64 vcc, vcc, s[0:1]
	v_cndmask_b32_e32 v7, v7, v0, vcc
	v_and_b32_e32 v7, 1, v7
	v_cmp_eq_u32_e32 vcc, 1, v7
	s_and_saveexec_b64 s[0:1], vcc
	s_cbranch_execz .LBB77_7
; %bb.6:
	ds_write_b8 v2, v5
	ds_write_b8 v2, v1 offset:1
	ds_write_b8 v2, v6 offset:128
	;; [unrolled: 1-line block ×3, first 2 shown]
.LBB77_7:
	s_or_b64 exec, exec, s[0:1]
	v_lshlrev_b32_e32 v1, 1, v0
	v_sub_u32_e32 v3, v1, v3
	v_add_u32_e32 v3, 1, v3
	s_waitcnt lgkmcnt(0)
	s_barrier
	ds_read_u8 v5, v3
	ds_read_u8 v7, v3 offset:2
	ds_read_u8 v6, v3 offset:128
	;; [unrolled: 1-line block ×3, first 2 shown]
	v_bfe_u32 v9, v0, 1, 1
	v_and_b32_e32 v4, 2, v0
	s_waitcnt lgkmcnt(2)
	v_cmp_lt_u16_e64 s[0:1], v5, v7
	s_waitcnt lgkmcnt(1)
	v_and_b32_e32 v10, 1, v6
	v_cmp_eq_u32_e64 s[2:3], 1, v10
	s_waitcnt lgkmcnt(0)
	v_cmp_ne_u16_e64 s[6:7], v8, v9
	v_cndmask_b32_e64 v10, 0, 1, s[6:7]
	s_and_b64 s[0:1], s[0:1], s[2:3]
	v_cndmask_b32_e64 v9, v10, v9, s[0:1]
	v_and_b32_e32 v9, 1, v9
	v_cmp_ne_u32_e32 vcc, 0, v4
	v_cmp_eq_u32_e64 s[0:1], 1, v9
	s_and_saveexec_b64 s[2:3], s[0:1]
	s_xor_b64 s[0:1], exec, s[2:3]
	s_cbranch_execz .LBB77_9
; %bb.8:
	ds_write_b8 v3, v7
	ds_write_b8 v3, v5 offset:2
	ds_write_b8 v3, v8 offset:128
	;; [unrolled: 1-line block ×3, first 2 shown]
.LBB77_9:
	s_or_b64 exec, exec, s[0:1]
	s_waitcnt lgkmcnt(0)
	s_barrier
	ds_read_u8 v5, v2
	ds_read_u8 v7, v2 offset:1
	ds_read_u8 v6, v2 offset:128
	;; [unrolled: 1-line block ×3, first 2 shown]
	v_lshrrev_b32_e32 v4, 1, v4
	s_waitcnt lgkmcnt(2)
	v_cmp_lt_u16_e64 s[0:1], v5, v7
	s_waitcnt lgkmcnt(1)
	v_and_b32_e32 v9, 1, v6
	v_cmp_eq_u32_e64 s[2:3], 1, v9
	s_waitcnt lgkmcnt(0)
	v_cmp_ne_u16_e64 s[6:7], v8, v4
	v_cndmask_b32_e64 v4, 0, 1, s[6:7]
	v_cndmask_b32_e64 v9, 0, 1, vcc
	s_and_b64 vcc, s[0:1], s[2:3]
	v_cndmask_b32_e32 v4, v4, v9, vcc
	v_and_b32_e32 v4, 1, v4
	v_cmp_eq_u32_e32 vcc, 1, v4
	s_and_saveexec_b64 s[0:1], vcc
	s_cbranch_execz .LBB77_11
; %bb.10:
	ds_write_b8 v2, v7
	ds_write_b8 v2, v5 offset:1
	ds_write_b8 v2, v8 offset:128
	;; [unrolled: 1-line block ×3, first 2 shown]
.LBB77_11:
	s_or_b64 exec, exec, s[0:1]
	v_and_b32_e32 v4, 3, v0
	v_sub_u32_e32 v4, v1, v4
	v_add_u32_e32 v4, 1, v4
	s_waitcnt lgkmcnt(0)
	s_barrier
	ds_read_u8 v6, v4
	ds_read_u8 v8, v4 offset:4
	ds_read_u8 v7, v4 offset:128
	;; [unrolled: 1-line block ×3, first 2 shown]
	v_bfe_u32 v10, v0, 2, 1
	v_and_b32_e32 v5, 4, v0
	s_waitcnt lgkmcnt(2)
	v_cmp_lt_u16_e64 s[0:1], v6, v8
	s_waitcnt lgkmcnt(1)
	v_and_b32_e32 v11, 1, v7
	v_cmp_eq_u32_e64 s[2:3], 1, v11
	s_waitcnt lgkmcnt(0)
	v_cmp_ne_u16_e64 s[6:7], v9, v10
	v_cndmask_b32_e64 v11, 0, 1, s[6:7]
	s_and_b64 s[0:1], s[0:1], s[2:3]
	v_cndmask_b32_e64 v10, v11, v10, s[0:1]
	v_and_b32_e32 v10, 1, v10
	v_cmp_ne_u32_e32 vcc, 0, v5
	v_cmp_eq_u32_e64 s[0:1], 1, v10
	s_and_saveexec_b64 s[2:3], s[0:1]
	s_cbranch_execz .LBB77_13
; %bb.12:
	ds_write_b8 v4, v8
	ds_write_b8 v4, v6 offset:4
	ds_write_b8 v4, v9 offset:128
	;; [unrolled: 1-line block ×3, first 2 shown]
.LBB77_13:
	s_or_b64 exec, exec, s[2:3]
	s_waitcnt lgkmcnt(0)
	s_barrier
	ds_read_u8 v7, v3
	ds_read_u8 v9, v3 offset:2
	ds_read_u8 v8, v3 offset:128
	ds_read_u8 v10, v3 offset:130
	v_lshrrev_b32_e32 v5, 2, v5
	s_waitcnt lgkmcnt(2)
	v_cmp_lt_u16_e64 s[0:1], v7, v9
	s_waitcnt lgkmcnt(1)
	v_and_b32_e32 v6, 1, v8
	v_cmp_eq_u32_e64 s[2:3], 1, v6
	s_waitcnt lgkmcnt(0)
	v_cmp_ne_u16_e64 s[6:7], v10, v5
	v_cndmask_b32_e64 v11, 0, 1, s[6:7]
	v_cndmask_b32_e64 v6, 0, 1, vcc
	s_and_b64 vcc, s[0:1], s[2:3]
	v_cndmask_b32_e32 v11, v11, v6, vcc
	v_and_b32_e32 v11, 1, v11
	v_cmp_eq_u32_e32 vcc, 1, v11
	s_and_saveexec_b64 s[0:1], vcc
	s_cbranch_execz .LBB77_15
; %bb.14:
	ds_write_b8 v3, v9
	ds_write_b8 v3, v7 offset:2
	ds_write_b8 v3, v10 offset:128
	;; [unrolled: 1-line block ×3, first 2 shown]
.LBB77_15:
	s_or_b64 exec, exec, s[0:1]
	s_waitcnt lgkmcnt(0)
	s_barrier
	ds_read_u8 v7, v2
	ds_read_u8 v9, v2 offset:1
	ds_read_u8 v8, v2 offset:128
	;; [unrolled: 1-line block ×3, first 2 shown]
	s_waitcnt lgkmcnt(2)
	v_cmp_lt_u16_e32 vcc, v7, v9
	s_waitcnt lgkmcnt(1)
	v_and_b32_e32 v11, 1, v8
	v_cmp_eq_u32_e64 s[0:1], 1, v11
	s_waitcnt lgkmcnt(0)
	v_cmp_ne_u16_e64 s[2:3], v10, v5
	v_cndmask_b32_e64 v5, 0, 1, s[2:3]
	s_and_b64 vcc, vcc, s[0:1]
	v_cndmask_b32_e32 v5, v5, v6, vcc
	v_and_b32_e32 v5, 1, v5
	v_cmp_eq_u32_e32 vcc, 1, v5
	s_and_saveexec_b64 s[0:1], vcc
	s_cbranch_execz .LBB77_17
; %bb.16:
	ds_write_b8 v2, v9
	ds_write_b8 v2, v7 offset:1
	ds_write_b8 v2, v10 offset:128
	ds_write_b8 v2, v8 offset:129
.LBB77_17:
	s_or_b64 exec, exec, s[0:1]
	v_and_b32_e32 v6, 7, v0
	v_sub_u32_e32 v6, v1, v6
	v_add_u32_e32 v6, 1, v6
	s_waitcnt lgkmcnt(0)
	s_barrier
	ds_read_u8 v7, v6
	ds_read_u8 v9, v6 offset:8
	ds_read_u8 v8, v6 offset:128
	;; [unrolled: 1-line block ×3, first 2 shown]
	v_bfe_u32 v11, v0, 3, 1
	v_and_b32_e32 v5, 8, v0
	s_waitcnt lgkmcnt(2)
	v_cmp_lt_u16_e64 s[0:1], v7, v9
	s_waitcnt lgkmcnt(1)
	v_and_b32_e32 v12, 1, v8
	v_cmp_eq_u32_e64 s[2:3], 1, v12
	s_waitcnt lgkmcnt(0)
	v_cmp_ne_u16_e64 s[6:7], v10, v11
	v_cndmask_b32_e64 v12, 0, 1, s[6:7]
	s_and_b64 s[0:1], s[0:1], s[2:3]
	v_cndmask_b32_e64 v11, v12, v11, s[0:1]
	v_and_b32_e32 v11, 1, v11
	v_cmp_ne_u32_e32 vcc, 0, v5
	v_cmp_eq_u32_e64 s[0:1], 1, v11
	s_and_saveexec_b64 s[2:3], s[0:1]
	s_cbranch_execz .LBB77_19
; %bb.18:
	ds_write_b8 v6, v9
	ds_write_b8 v6, v7 offset:8
	ds_write_b8 v6, v10 offset:128
	;; [unrolled: 1-line block ×3, first 2 shown]
.LBB77_19:
	s_or_b64 exec, exec, s[2:3]
	s_waitcnt lgkmcnt(0)
	s_barrier
	ds_read_u8 v8, v4
	ds_read_u8 v10, v4 offset:4
	ds_read_u8 v9, v4 offset:128
	;; [unrolled: 1-line block ×3, first 2 shown]
	v_lshrrev_b32_e32 v5, 3, v5
	s_waitcnt lgkmcnt(2)
	v_cmp_lt_u16_e64 s[0:1], v8, v10
	s_waitcnt lgkmcnt(1)
	v_and_b32_e32 v7, 1, v9
	v_cmp_eq_u32_e64 s[2:3], 1, v7
	s_waitcnt lgkmcnt(0)
	v_cmp_ne_u16_e64 s[6:7], v11, v5
	v_cndmask_b32_e64 v12, 0, 1, s[6:7]
	v_cndmask_b32_e64 v7, 0, 1, vcc
	s_and_b64 vcc, s[0:1], s[2:3]
	v_cndmask_b32_e32 v12, v12, v7, vcc
	v_and_b32_e32 v12, 1, v12
	v_cmp_eq_u32_e32 vcc, 1, v12
	s_and_saveexec_b64 s[0:1], vcc
	s_cbranch_execz .LBB77_21
; %bb.20:
	ds_write_b8 v4, v10
	ds_write_b8 v4, v8 offset:4
	ds_write_b8 v4, v11 offset:128
	;; [unrolled: 1-line block ×3, first 2 shown]
.LBB77_21:
	s_or_b64 exec, exec, s[0:1]
	s_waitcnt lgkmcnt(0)
	s_barrier
	ds_read_u8 v8, v3
	ds_read_u8 v10, v3 offset:2
	ds_read_u8 v9, v3 offset:128
	;; [unrolled: 1-line block ×3, first 2 shown]
	s_waitcnt lgkmcnt(2)
	v_cmp_lt_u16_e32 vcc, v8, v10
	s_waitcnt lgkmcnt(1)
	v_and_b32_e32 v12, 1, v9
	v_cmp_eq_u32_e64 s[0:1], 1, v12
	s_waitcnt lgkmcnt(0)
	v_cmp_ne_u16_e64 s[2:3], v11, v5
	v_cndmask_b32_e64 v12, 0, 1, s[2:3]
	s_and_b64 vcc, vcc, s[0:1]
	v_cndmask_b32_e32 v12, v12, v7, vcc
	v_and_b32_e32 v12, 1, v12
	v_cmp_eq_u32_e32 vcc, 1, v12
	s_and_saveexec_b64 s[0:1], vcc
	s_cbranch_execz .LBB77_23
; %bb.22:
	ds_write_b8 v3, v10
	ds_write_b8 v3, v8 offset:2
	ds_write_b8 v3, v11 offset:128
	;; [unrolled: 1-line block ×3, first 2 shown]
.LBB77_23:
	s_or_b64 exec, exec, s[0:1]
	s_waitcnt lgkmcnt(0)
	s_barrier
	ds_read_u8 v8, v2
	ds_read_u8 v10, v2 offset:1
	ds_read_u8 v9, v2 offset:128
	;; [unrolled: 1-line block ×3, first 2 shown]
	s_waitcnt lgkmcnt(2)
	v_cmp_lt_u16_e32 vcc, v8, v10
	s_waitcnt lgkmcnt(1)
	v_and_b32_e32 v12, 1, v9
	v_cmp_eq_u32_e64 s[0:1], 1, v12
	s_waitcnt lgkmcnt(0)
	v_cmp_ne_u16_e64 s[2:3], v11, v5
	v_cndmask_b32_e64 v5, 0, 1, s[2:3]
	s_and_b64 vcc, vcc, s[0:1]
	v_cndmask_b32_e32 v5, v5, v7, vcc
	v_and_b32_e32 v5, 1, v5
	v_cmp_eq_u32_e32 vcc, 1, v5
	s_and_saveexec_b64 s[0:1], vcc
	s_cbranch_execz .LBB77_25
; %bb.24:
	ds_write_b8 v2, v10
	ds_write_b8 v2, v8 offset:1
	ds_write_b8 v2, v11 offset:128
	;; [unrolled: 1-line block ×3, first 2 shown]
.LBB77_25:
	s_or_b64 exec, exec, s[0:1]
	v_and_b32_e32 v7, 15, v0
	v_sub_u32_e32 v7, v1, v7
	v_add_u32_e32 v7, 1, v7
	s_waitcnt lgkmcnt(0)
	s_barrier
	ds_read_u8 v8, v7
	ds_read_u8 v10, v7 offset:16
	ds_read_u8 v9, v7 offset:128
	;; [unrolled: 1-line block ×3, first 2 shown]
	v_bfe_u32 v12, v0, 4, 1
	v_and_b32_e32 v5, 16, v0
	s_waitcnt lgkmcnt(2)
	v_cmp_lt_u16_e64 s[0:1], v8, v10
	s_waitcnt lgkmcnt(1)
	v_and_b32_e32 v13, 1, v9
	v_cmp_eq_u32_e64 s[2:3], 1, v13
	s_waitcnt lgkmcnt(0)
	v_cmp_ne_u16_e64 s[6:7], v11, v12
	v_cndmask_b32_e64 v13, 0, 1, s[6:7]
	s_and_b64 s[0:1], s[0:1], s[2:3]
	v_cndmask_b32_e64 v12, v13, v12, s[0:1]
	v_and_b32_e32 v12, 1, v12
	v_cmp_ne_u32_e32 vcc, 0, v5
	v_cmp_eq_u32_e64 s[0:1], 1, v12
	s_and_saveexec_b64 s[2:3], s[0:1]
	s_cbranch_execz .LBB77_27
; %bb.26:
	ds_write_b8 v7, v10
	ds_write_b8 v7, v8 offset:16
	ds_write_b8 v7, v11 offset:128
	;; [unrolled: 1-line block ×3, first 2 shown]
.LBB77_27:
	s_or_b64 exec, exec, s[2:3]
	s_waitcnt lgkmcnt(0)
	s_barrier
	ds_read_u8 v9, v6
	ds_read_u8 v11, v6 offset:8
	ds_read_u8 v10, v6 offset:128
	;; [unrolled: 1-line block ×3, first 2 shown]
	v_lshrrev_b32_e32 v5, 4, v5
	s_waitcnt lgkmcnt(2)
	v_cmp_lt_u16_e64 s[0:1], v9, v11
	s_waitcnt lgkmcnt(1)
	v_and_b32_e32 v8, 1, v10
	v_cmp_eq_u32_e64 s[2:3], 1, v8
	s_waitcnt lgkmcnt(0)
	v_cmp_ne_u16_e64 s[6:7], v12, v5
	v_cndmask_b32_e64 v13, 0, 1, s[6:7]
	v_cndmask_b32_e64 v8, 0, 1, vcc
	s_and_b64 vcc, s[0:1], s[2:3]
	v_cndmask_b32_e32 v13, v13, v8, vcc
	v_and_b32_e32 v13, 1, v13
	v_cmp_eq_u32_e32 vcc, 1, v13
	s_and_saveexec_b64 s[0:1], vcc
	s_cbranch_execz .LBB77_29
; %bb.28:
	ds_write_b8 v6, v11
	ds_write_b8 v6, v9 offset:8
	ds_write_b8 v6, v12 offset:128
	ds_write_b8 v6, v10 offset:136
.LBB77_29:
	s_or_b64 exec, exec, s[0:1]
	s_waitcnt lgkmcnt(0)
	s_barrier
	ds_read_u8 v9, v4
	ds_read_u8 v11, v4 offset:4
	ds_read_u8 v10, v4 offset:128
	ds_read_u8 v12, v4 offset:132
	s_waitcnt lgkmcnt(2)
	v_cmp_lt_u16_e32 vcc, v9, v11
	s_waitcnt lgkmcnt(1)
	v_and_b32_e32 v13, 1, v10
	v_cmp_eq_u32_e64 s[0:1], 1, v13
	s_waitcnt lgkmcnt(0)
	v_cmp_ne_u16_e64 s[2:3], v12, v5
	v_cndmask_b32_e64 v13, 0, 1, s[2:3]
	s_and_b64 vcc, vcc, s[0:1]
	v_cndmask_b32_e32 v13, v13, v8, vcc
	v_and_b32_e32 v13, 1, v13
	v_cmp_eq_u32_e32 vcc, 1, v13
	s_and_saveexec_b64 s[0:1], vcc
	s_cbranch_execz .LBB77_31
; %bb.30:
	ds_write_b8 v4, v11
	ds_write_b8 v4, v9 offset:4
	ds_write_b8 v4, v12 offset:128
	ds_write_b8 v4, v10 offset:132
.LBB77_31:
	s_or_b64 exec, exec, s[0:1]
	s_waitcnt lgkmcnt(0)
	s_barrier
	ds_read_u8 v9, v3
	ds_read_u8 v11, v3 offset:2
	ds_read_u8 v10, v3 offset:128
	ds_read_u8 v12, v3 offset:130
	s_waitcnt lgkmcnt(2)
	v_cmp_lt_u16_e32 vcc, v9, v11
	s_waitcnt lgkmcnt(1)
	v_and_b32_e32 v13, 1, v10
	v_cmp_eq_u32_e64 s[0:1], 1, v13
	s_waitcnt lgkmcnt(0)
	v_cmp_ne_u16_e64 s[2:3], v12, v5
	v_cndmask_b32_e64 v13, 0, 1, s[2:3]
	s_and_b64 vcc, vcc, s[0:1]
	;; [unrolled: 27-line block ×3, first 2 shown]
	v_cndmask_b32_e32 v5, v5, v8, vcc
	v_and_b32_e32 v5, 1, v5
	v_cmp_eq_u32_e32 vcc, 1, v5
	s_and_saveexec_b64 s[0:1], vcc
	s_cbranch_execz .LBB77_35
; %bb.34:
	ds_write_b8 v2, v11
	ds_write_b8 v2, v9 offset:1
	ds_write_b8 v2, v12 offset:128
	;; [unrolled: 1-line block ×3, first 2 shown]
.LBB77_35:
	s_or_b64 exec, exec, s[0:1]
	v_and_b32_e32 v8, 31, v0
	v_sub_u32_e32 v8, v1, v8
	v_add_u32_e32 v8, 1, v8
	s_waitcnt lgkmcnt(0)
	s_barrier
	ds_read_u8 v9, v8
	ds_read_u8 v11, v8 offset:32
	ds_read_u8 v10, v8 offset:128
	ds_read_u8 v12, v8 offset:160
	v_bfe_u32 v13, v0, 5, 1
	v_and_b32_e32 v5, 32, v0
	s_waitcnt lgkmcnt(2)
	v_cmp_lt_u16_e64 s[0:1], v9, v11
	s_waitcnt lgkmcnt(1)
	v_and_b32_e32 v14, 1, v10
	v_cmp_eq_u32_e64 s[2:3], 1, v14
	s_waitcnt lgkmcnt(0)
	v_cmp_ne_u16_e64 s[6:7], v12, v13
	v_cndmask_b32_e64 v14, 0, 1, s[6:7]
	s_and_b64 s[0:1], s[0:1], s[2:3]
	v_cndmask_b32_e64 v13, v14, v13, s[0:1]
	v_and_b32_e32 v13, 1, v13
	v_cmp_ne_u32_e32 vcc, 0, v5
	v_cmp_eq_u32_e64 s[0:1], 1, v13
	s_and_saveexec_b64 s[2:3], s[0:1]
	s_cbranch_execz .LBB77_37
; %bb.36:
	ds_write_b8 v8, v11
	ds_write_b8 v8, v9 offset:32
	ds_write_b8 v8, v12 offset:128
	;; [unrolled: 1-line block ×3, first 2 shown]
.LBB77_37:
	s_or_b64 exec, exec, s[2:3]
	s_waitcnt lgkmcnt(0)
	s_barrier
	ds_read_u8 v10, v7
	ds_read_u8 v12, v7 offset:16
	ds_read_u8 v11, v7 offset:128
	;; [unrolled: 1-line block ×3, first 2 shown]
	v_lshrrev_b32_e32 v5, 5, v5
	s_waitcnt lgkmcnt(2)
	v_cmp_lt_u16_e64 s[0:1], v10, v12
	s_waitcnt lgkmcnt(1)
	v_and_b32_e32 v9, 1, v11
	v_cmp_eq_u32_e64 s[2:3], 1, v9
	s_waitcnt lgkmcnt(0)
	v_cmp_ne_u16_e64 s[6:7], v13, v5
	v_cndmask_b32_e64 v14, 0, 1, s[6:7]
	v_cndmask_b32_e64 v9, 0, 1, vcc
	s_and_b64 vcc, s[0:1], s[2:3]
	v_cndmask_b32_e32 v14, v14, v9, vcc
	v_and_b32_e32 v14, 1, v14
	v_cmp_eq_u32_e32 vcc, 1, v14
	s_and_saveexec_b64 s[0:1], vcc
	s_cbranch_execz .LBB77_39
; %bb.38:
	ds_write_b8 v7, v12
	ds_write_b8 v7, v10 offset:16
	ds_write_b8 v7, v13 offset:128
	ds_write_b8 v7, v11 offset:144
.LBB77_39:
	s_or_b64 exec, exec, s[0:1]
	s_waitcnt lgkmcnt(0)
	s_barrier
	ds_read_u8 v10, v6
	ds_read_u8 v12, v6 offset:8
	ds_read_u8 v11, v6 offset:128
	ds_read_u8 v13, v6 offset:136
	s_waitcnt lgkmcnt(2)
	v_cmp_lt_u16_e32 vcc, v10, v12
	s_waitcnt lgkmcnt(1)
	v_and_b32_e32 v14, 1, v11
	v_cmp_eq_u32_e64 s[0:1], 1, v14
	s_waitcnt lgkmcnt(0)
	v_cmp_ne_u16_e64 s[2:3], v13, v5
	v_cndmask_b32_e64 v14, 0, 1, s[2:3]
	s_and_b64 vcc, vcc, s[0:1]
	v_cndmask_b32_e32 v14, v14, v9, vcc
	v_and_b32_e32 v14, 1, v14
	v_cmp_eq_u32_e32 vcc, 1, v14
	s_and_saveexec_b64 s[0:1], vcc
	s_cbranch_execz .LBB77_41
; %bb.40:
	ds_write_b8 v6, v12
	ds_write_b8 v6, v10 offset:8
	ds_write_b8 v6, v13 offset:128
	ds_write_b8 v6, v11 offset:136
.LBB77_41:
	s_or_b64 exec, exec, s[0:1]
	s_waitcnt lgkmcnt(0)
	s_barrier
	ds_read_u8 v10, v4
	ds_read_u8 v12, v4 offset:4
	ds_read_u8 v11, v4 offset:128
	ds_read_u8 v13, v4 offset:132
	s_waitcnt lgkmcnt(2)
	v_cmp_lt_u16_e32 vcc, v10, v12
	s_waitcnt lgkmcnt(1)
	v_and_b32_e32 v14, 1, v11
	v_cmp_eq_u32_e64 s[0:1], 1, v14
	s_waitcnt lgkmcnt(0)
	v_cmp_ne_u16_e64 s[2:3], v13, v5
	v_cndmask_b32_e64 v14, 0, 1, s[2:3]
	s_and_b64 vcc, vcc, s[0:1]
	;; [unrolled: 27-line block ×4, first 2 shown]
	v_cndmask_b32_e32 v5, v5, v9, vcc
	v_and_b32_e32 v5, 1, v5
	v_cmp_eq_u32_e32 vcc, 1, v5
	s_and_saveexec_b64 s[0:1], vcc
	s_cbranch_execz .LBB77_47
; %bb.46:
	ds_write_b8 v2, v12
	ds_write_b8 v2, v10 offset:1
	ds_write_b8 v2, v13 offset:128
	ds_write_b8 v2, v11 offset:129
.LBB77_47:
	s_or_b64 exec, exec, s[0:1]
	v_and_b32_e32 v5, 63, v0
	v_sub_u32_e32 v9, v1, v5
	v_add_u32_e32 v10, 1, v9
	s_waitcnt lgkmcnt(0)
	s_barrier
	ds_read_u8 v11, v10
	ds_read_u8 v13, v10 offset:64
	ds_read_u8 v12, v10 offset:128
	;; [unrolled: 1-line block ×3, first 2 shown]
	s_waitcnt lgkmcnt(2)
	v_cmp_ge_u16_e32 vcc, v11, v13
	s_waitcnt lgkmcnt(1)
	v_and_b32_e32 v9, 1, v12
	v_cmp_eq_u32_e64 s[0:1], 1, v9
	s_xor_b64 s[0:1], s[0:1], -1
	v_mov_b32_e32 v9, 0
	s_or_b64 s[0:1], vcc, s[0:1]
	s_waitcnt lgkmcnt(0)
	v_cmp_ne_u16_sdwa s[2:3], v14, v9 src0_sel:BYTE_0 src1_sel:DWORD
	s_and_b64 s[2:3], s[0:1], s[2:3]
	s_and_saveexec_b64 s[0:1], s[2:3]
	s_cbranch_execz .LBB77_49
; %bb.48:
	ds_write_b8 v10, v13
	ds_write_b8 v10, v11 offset:64
	v_mov_b32_e32 v11, 1
	ds_write_b8 v10, v11 offset:128
	ds_write_b8 v10, v12 offset:192
.LBB77_49:
	s_or_b64 exec, exec, s[0:1]
	s_waitcnt lgkmcnt(0)
	s_barrier
	ds_read_u8 v10, v8
	ds_read_u8 v12, v8 offset:32
	ds_read_u8 v11, v8 offset:128
	;; [unrolled: 1-line block ×3, first 2 shown]
	s_waitcnt lgkmcnt(2)
	v_cmp_ge_u16_e32 vcc, v10, v12
	s_waitcnt lgkmcnt(1)
	v_and_b32_e32 v14, 1, v11
	v_cmp_eq_u32_e64 s[0:1], 1, v14
	s_xor_b64 s[0:1], s[0:1], -1
	s_or_b64 s[0:1], vcc, s[0:1]
	s_waitcnt lgkmcnt(0)
	v_cmp_ne_u16_sdwa s[2:3], v13, v9 src0_sel:BYTE_0 src1_sel:DWORD
	s_and_b64 s[2:3], s[0:1], s[2:3]
	s_and_saveexec_b64 s[0:1], s[2:3]
	s_cbranch_execz .LBB77_51
; %bb.50:
	v_mov_b32_e32 v9, 1
	ds_write_b8 v8, v12
	ds_write_b8 v8, v10 offset:32
	ds_write_b8 v8, v9 offset:128
	;; [unrolled: 1-line block ×3, first 2 shown]
.LBB77_51:
	s_or_b64 exec, exec, s[0:1]
	s_waitcnt lgkmcnt(0)
	s_barrier
	ds_read_u8 v9, v7
	ds_read_u8 v11, v7 offset:16
	ds_read_u8 v10, v7 offset:128
	;; [unrolled: 1-line block ×3, first 2 shown]
	s_waitcnt lgkmcnt(2)
	v_cmp_ge_u16_e32 vcc, v9, v11
	s_waitcnt lgkmcnt(1)
	v_and_b32_e32 v8, 1, v10
	v_cmp_eq_u32_e64 s[0:1], 1, v8
	s_xor_b64 s[0:1], s[0:1], -1
	v_mov_b32_e32 v8, 0
	s_or_b64 s[0:1], vcc, s[0:1]
	s_waitcnt lgkmcnt(0)
	v_cmp_ne_u16_sdwa s[2:3], v12, v8 src0_sel:BYTE_0 src1_sel:DWORD
	s_and_b64 s[2:3], s[0:1], s[2:3]
	s_and_saveexec_b64 s[0:1], s[2:3]
	s_cbranch_execz .LBB77_53
; %bb.52:
	ds_write_b8 v7, v11
	ds_write_b8 v7, v9 offset:16
	v_mov_b32_e32 v9, 1
	ds_write_b8 v7, v9 offset:128
	ds_write_b8 v7, v10 offset:144
.LBB77_53:
	s_or_b64 exec, exec, s[0:1]
	s_waitcnt lgkmcnt(0)
	s_barrier
	ds_read_u8 v7, v6
	ds_read_u8 v10, v6 offset:8
	ds_read_u8 v9, v6 offset:128
	ds_read_u8 v11, v6 offset:136
	s_waitcnt lgkmcnt(2)
	v_cmp_ge_u16_e32 vcc, v7, v10
	s_waitcnt lgkmcnt(1)
	v_and_b32_e32 v12, 1, v9
	v_cmp_eq_u32_e64 s[0:1], 1, v12
	s_xor_b64 s[0:1], s[0:1], -1
	s_or_b64 s[0:1], vcc, s[0:1]
	s_waitcnt lgkmcnt(0)
	v_cmp_ne_u16_sdwa s[2:3], v11, v8 src0_sel:BYTE_0 src1_sel:DWORD
	s_and_b64 s[2:3], s[0:1], s[2:3]
	s_and_saveexec_b64 s[0:1], s[2:3]
	s_cbranch_execz .LBB77_55
; %bb.54:
	ds_write_b8 v6, v10
	ds_write_b8 v6, v7 offset:8
	v_mov_b32_e32 v7, 1
	ds_write_b8 v6, v7 offset:128
	ds_write_b8 v6, v9 offset:136
.LBB77_55:
	s_or_b64 exec, exec, s[0:1]
	s_waitcnt lgkmcnt(0)
	s_barrier
	ds_read_u8 v7, v4
	ds_read_u8 v9, v4 offset:4
	ds_read_u8 v8, v4 offset:128
	;; [unrolled: 1-line block ×3, first 2 shown]
	s_waitcnt lgkmcnt(2)
	v_cmp_ge_u16_e32 vcc, v7, v9
	s_waitcnt lgkmcnt(1)
	v_and_b32_e32 v6, 1, v8
	v_cmp_eq_u32_e64 s[0:1], 1, v6
	s_xor_b64 s[0:1], s[0:1], -1
	v_mov_b32_e32 v6, 0
	s_or_b64 s[0:1], vcc, s[0:1]
	s_waitcnt lgkmcnt(0)
	v_cmp_ne_u16_sdwa s[2:3], v10, v6 src0_sel:BYTE_0 src1_sel:DWORD
	s_and_b64 s[2:3], s[0:1], s[2:3]
	s_and_saveexec_b64 s[0:1], s[2:3]
	s_cbranch_execz .LBB77_57
; %bb.56:
	ds_write_b8 v4, v9
	ds_write_b8 v4, v7 offset:4
	v_mov_b32_e32 v7, 1
	ds_write_b8 v4, v7 offset:128
	ds_write_b8 v4, v8 offset:132
.LBB77_57:
	s_or_b64 exec, exec, s[0:1]
	s_waitcnt lgkmcnt(0)
	s_barrier
	ds_read_u8 v4, v3
	ds_read_u8 v8, v3 offset:2
	ds_read_u8 v7, v3 offset:128
	;; [unrolled: 1-line block ×3, first 2 shown]
	s_waitcnt lgkmcnt(2)
	v_cmp_ge_u16_e32 vcc, v4, v8
	s_waitcnt lgkmcnt(1)
	v_and_b32_e32 v10, 1, v7
	v_cmp_eq_u32_e64 s[0:1], 1, v10
	s_xor_b64 s[0:1], s[0:1], -1
	s_or_b64 s[0:1], vcc, s[0:1]
	s_waitcnt lgkmcnt(0)
	v_cmp_ne_u16_sdwa s[2:3], v9, v6 src0_sel:BYTE_0 src1_sel:DWORD
	s_and_b64 s[2:3], s[0:1], s[2:3]
	s_and_saveexec_b64 s[0:1], s[2:3]
	s_cbranch_execz .LBB77_59
; %bb.58:
	ds_write_b8 v3, v8
	ds_write_b8 v3, v4 offset:2
	v_mov_b32_e32 v4, 1
	ds_write_b8 v3, v4 offset:128
	ds_write_b8 v3, v7 offset:130
.LBB77_59:
	s_or_b64 exec, exec, s[0:1]
	s_waitcnt lgkmcnt(0)
	s_barrier
	ds_read_u8 v3, v2
	ds_read_u8 v6, v2 offset:1
	ds_read_u8 v4, v2 offset:128
	;; [unrolled: 1-line block ×3, first 2 shown]
	s_waitcnt lgkmcnt(2)
	v_cmp_ge_u16_e32 vcc, v3, v6
	s_waitcnt lgkmcnt(1)
	v_and_b32_e32 v8, 1, v4
	v_cmp_eq_u32_e64 s[0:1], 1, v8
	s_xor_b64 s[0:1], s[0:1], -1
	v_mov_b32_e32 v8, 0
	s_or_b64 s[0:1], vcc, s[0:1]
	s_waitcnt lgkmcnt(0)
	v_cmp_ne_u16_sdwa s[2:3], v7, v8 src0_sel:BYTE_0 src1_sel:DWORD
	s_and_b64 s[2:3], s[0:1], s[2:3]
	s_and_saveexec_b64 s[0:1], s[2:3]
	s_cbranch_execz .LBB77_61
; %bb.60:
	ds_write_b8 v2, v6
	ds_write_b8 v2, v3 offset:1
	v_mov_b32_e32 v3, 1
	ds_write_b8 v2, v3 offset:128
	ds_write_b8 v2, v4 offset:129
.LBB77_61:
	s_or_b64 exec, exec, s[0:1]
	v_cmp_eq_u32_e32 vcc, 0, v0
	s_waitcnt lgkmcnt(0)
	s_barrier
	s_barrier
	s_and_saveexec_b64 s[0:1], vcc
	s_cbranch_execz .LBB77_63
; %bb.62:
	v_mov_b32_e32 v3, 1
	v_mov_b32_e32 v4, 0
	ds_write_b8 v3, v3 offset:132
	ds_write_b32 v3, v4 offset:128
.LBB77_63:
	s_or_b64 exec, exec, s[0:1]
	ds_read_u8 v4, v2
	ds_read_u8 v3, v2 offset:1
	v_mad_u32_u24 v2, v0, 14, v2
	v_cmp_gt_u32_e64 s[2:3], 63, v0
	s_waitcnt lgkmcnt(0)
	v_cmp_ne_u16_e64 s[0:1], v4, v3
	v_cndmask_b32_e64 v6, 0, 1, s[0:1]
	v_cmp_eq_u16_e64 s[0:1], v4, v3
	v_cndmask_b32_e64 v4, 0, 1, s[0:1]
	ds_write_b8 v2, v6 offset:140
	ds_write_b32 v2, v4 offset:136
	s_and_saveexec_b64 s[6:7], s[2:3]
	s_cbranch_execz .LBB77_65
; %bb.64:
	v_mad_i32_i24 v4, v0, -14, v2
	ds_read_u8 v6, v4 offset:2
	v_mul_u32_u24_e32 v7, 14, v0
	v_add_u32_e32 v4, v4, v7
	s_waitcnt lgkmcnt(0)
	v_cmp_ne_u16_e64 s[0:1], v3, v6
	v_cndmask_b32_e64 v7, 0, 1, s[0:1]
	v_cmp_eq_u16_e64 s[0:1], v3, v6
	v_cndmask_b32_e64 v3, 0, 1, s[0:1]
	ds_write_b8 v4, v7 offset:148
	ds_write_b32 v4, v3 offset:144
.LBB77_65:
	s_or_b64 exec, exec, s[6:7]
	v_cmp_gt_u32_e64 s[0:1], 64, v0
	s_waitcnt lgkmcnt(0)
	s_barrier
	s_and_saveexec_b64 s[8:9], s[0:1]
	s_cbranch_execz .LBB77_67
; %bb.66:
	ds_read_u8 v6, v2 offset:140
	ds_read_u8 v7, v2 offset:132
	ds_read2_b32 v[3:4], v2 offset0:32 offset1:34
	s_waitcnt lgkmcnt(2)
	v_and_b32_e32 v8, 1, v6
	v_cmp_eq_u32_e64 s[6:7], 1, v8
	s_waitcnt lgkmcnt(1)
	v_or_b32_e32 v6, v7, v6
	s_waitcnt lgkmcnt(0)
	v_cndmask_b32_e64 v3, v3, 0, s[6:7]
	v_add_u32_e32 v3, v3, v4
	v_and_b32_e32 v4, 1, v6
	ds_write2_b32 v2, v3, v4 offset0:34 offset1:35
.LBB77_67:
	s_or_b64 exec, exec, s[8:9]
	v_add_u32_e32 v8, 2, v1
	v_lshlrev_b32_e32 v3, 1, v8
	v_cmp_gt_u32_e64 s[6:7], 32, v0
	v_lshl_add_u32 v3, v3, 3, 1
	s_waitcnt lgkmcnt(0)
	s_barrier
	s_and_saveexec_b64 s[8:9], s[6:7]
	s_cbranch_execz .LBB77_69
; %bb.68:
	ds_read_u8 v4, v3 offset:124
	ds_read_u8 v9, v3 offset:108
	ds_read2_b32 v[6:7], v3 offset0:26 offset1:30
	s_waitcnt lgkmcnt(2)
	v_and_b32_e32 v10, 1, v4
	v_cmp_eq_u32_e64 s[6:7], 1, v10
	s_waitcnt lgkmcnt(1)
	v_or_b32_e32 v4, v9, v4
	s_waitcnt lgkmcnt(0)
	v_cndmask_b32_e64 v6, v6, 0, s[6:7]
	v_add_u32_e32 v6, v6, v7
	v_and_b32_e32 v4, 1, v4
	ds_write2_b32 v3, v6, v4 offset0:30 offset1:31
.LBB77_69:
	s_or_b64 exec, exec, s[8:9]
	v_lshlrev_b32_e32 v4, 2, v8
	v_cmp_gt_u32_e64 s[6:7], 16, v0
	v_lshl_add_u32 v4, v4, 3, 1
	s_waitcnt lgkmcnt(0)
	s_barrier
	s_and_saveexec_b64 s[8:9], s[6:7]
	s_cbranch_execz .LBB77_71
; %bb.70:
	ds_read_u8 v9, v4 offset:124
	ds_read_u8 v10, v4 offset:92
	ds_read2_b32 v[6:7], v4 offset0:22 offset1:30
	s_waitcnt lgkmcnt(2)
	v_and_b32_e32 v11, 1, v9
	v_cmp_eq_u32_e64 s[6:7], 1, v11
	s_waitcnt lgkmcnt(1)
	v_or_b32_e32 v9, v10, v9
	s_waitcnt lgkmcnt(0)
	v_cndmask_b32_e64 v6, v6, 0, s[6:7]
	v_add_u32_e32 v6, v6, v7
	v_and_b32_e32 v7, 1, v9
	ds_write2_b32 v4, v6, v7 offset0:30 offset1:31
.LBB77_71:
	s_or_b64 exec, exec, s[8:9]
	v_lshlrev_b32_e32 v6, 3, v8
	v_cmp_gt_u32_e64 s[6:7], 8, v0
	v_lshl_add_u32 v6, v6, 3, 1
	s_waitcnt lgkmcnt(0)
	s_barrier
	s_and_saveexec_b64 s[8:9], s[6:7]
	s_cbranch_execz .LBB77_73
; %bb.72:
	ds_read_u8 v7, v6 offset:124
	ds_read_u8 v11, v6 offset:60
	ds_read2_b32 v[9:10], v6 offset0:14 offset1:30
	s_waitcnt lgkmcnt(2)
	v_and_b32_e32 v12, 1, v7
	v_cmp_eq_u32_e64 s[6:7], 1, v12
	s_waitcnt lgkmcnt(1)
	v_or_b32_e32 v7, v11, v7
	s_waitcnt lgkmcnt(0)
	v_cndmask_b32_e64 v9, v9, 0, s[6:7]
	v_add_u32_e32 v9, v9, v10
	v_and_b32_e32 v7, 1, v7
	ds_write2_b32 v6, v9, v7 offset0:30 offset1:31
.LBB77_73:
	s_or_b64 exec, exec, s[8:9]
	v_lshlrev_b32_e32 v7, 4, v8
	v_cmp_gt_u32_e64 s[6:7], 4, v0
	v_lshl_add_u32 v7, v7, 3, 1
	s_waitcnt lgkmcnt(0)
	s_barrier
	s_and_saveexec_b64 s[8:9], s[6:7]
	s_cbranch_execz .LBB77_75
; %bb.74:
	ds_read_u8 v10, v7 offset:124
	v_add_u32_e32 v9, -8, v7
	v_add_u32_e32 v11, -4, v7
	ds_read_b32 v9, v9
	ds_read_b32 v12, v7 offset:120
	ds_read_u8 v11, v11
	s_waitcnt lgkmcnt(3)
	v_and_b32_e32 v13, 1, v10
	v_cmp_eq_u32_e64 s[6:7], 1, v13
	s_waitcnt lgkmcnt(2)
	v_cndmask_b32_e64 v9, v9, 0, s[6:7]
	s_waitcnt lgkmcnt(0)
	v_or_b32_e32 v10, v11, v10
	v_add_u32_e32 v9, v9, v12
	v_and_b32_e32 v10, 1, v10
	ds_write2_b32 v7, v9, v10 offset0:30 offset1:31
.LBB77_75:
	s_or_b64 exec, exec, s[8:9]
	v_lshlrev_b32_e32 v8, 5, v8
	v_cmp_gt_u32_e64 s[6:7], 2, v0
	v_lshl_add_u32 v8, v8, 3, 1
	s_waitcnt lgkmcnt(0)
	s_barrier
	s_and_saveexec_b64 s[8:9], s[6:7]
	s_cbranch_execz .LBB77_77
; %bb.76:
	ds_read_u8 v10, v8 offset:124
	v_add_u32_e32 v9, 0xffffff78, v8
	v_add_u32_e32 v11, 0xffffff7c, v8
	ds_read_b32 v9, v9
	ds_read_b32 v12, v8 offset:120
	ds_read_u8 v11, v11
	s_waitcnt lgkmcnt(3)
	v_and_b32_e32 v13, 1, v10
	v_cmp_eq_u32_e64 s[6:7], 1, v13
	s_waitcnt lgkmcnt(2)
	v_cndmask_b32_e64 v9, v9, 0, s[6:7]
	s_waitcnt lgkmcnt(0)
	v_or_b32_e32 v10, v11, v10
	v_add_u32_e32 v9, v9, v12
	v_and_b32_e32 v10, 1, v10
	ds_write2_b32 v8, v9, v10 offset0:30 offset1:31
.LBB77_77:
	s_or_b64 exec, exec, s[8:9]
	s_waitcnt lgkmcnt(0)
	s_barrier
	s_and_saveexec_b64 s[8:9], vcc
	s_cbranch_execz .LBB77_79
; %bb.78:
	v_mov_b32_e32 v9, 1
	ds_read_u8 v10, v9 offset:1148
	ds_read_b32 v11, v9 offset:632
	ds_read_b32 v12, v9 offset:1144
	ds_read_u8 v9, v9 offset:636
	s_add_i32 s10, 1, 0x478
	s_waitcnt lgkmcnt(3)
	v_and_b32_e32 v13, 1, v10
	v_cmp_eq_u32_e64 s[6:7], 1, v13
	s_waitcnt lgkmcnt(2)
	v_cndmask_b32_e64 v11, v11, 0, s[6:7]
	s_waitcnt lgkmcnt(0)
	v_or_b32_e32 v9, v9, v10
	v_add_u32_e32 v11, v11, v12
	v_and_b32_e32 v9, 1, v9
	v_mov_b32_e32 v10, s10
	ds_write2_b32 v10, v11, v9 offset1:1
.LBB77_79:
	s_or_b64 exec, exec, s[8:9]
	s_waitcnt lgkmcnt(0)
	s_barrier
	s_and_saveexec_b64 s[8:9], vcc
	s_cbranch_execz .LBB77_81
; %bb.80:
	ds_read_u8 v11, v8 offset:380
	ds_read_u8 v12, v8 offset:124
	ds_read2_b32 v[9:10], v8 offset0:30 offset1:94
	s_waitcnt lgkmcnt(2)
	v_and_b32_e32 v13, 1, v11
	v_cmp_eq_u32_e64 s[6:7], 1, v13
	s_waitcnt lgkmcnt(1)
	v_or_b32_e32 v11, v12, v11
	s_waitcnt lgkmcnt(0)
	v_cndmask_b32_e64 v9, v9, 0, s[6:7]
	v_add_u32_e32 v9, v9, v10
	v_and_b32_e32 v10, 1, v11
	ds_write2_b32 v8, v9, v10 offset0:94 offset1:95
.LBB77_81:
	s_or_b64 exec, exec, s[8:9]
	v_cmp_gt_u32_e64 s[6:7], 3, v0
	s_waitcnt lgkmcnt(0)
	s_barrier
	s_and_saveexec_b64 s[8:9], s[6:7]
	s_cbranch_execz .LBB77_83
; %bb.82:
	ds_read_u8 v10, v7 offset:252
	ds_read_u8 v11, v7 offset:124
	ds_read2_b32 v[8:9], v7 offset0:30 offset1:62
	s_waitcnt lgkmcnt(2)
	v_and_b32_e32 v12, 1, v10
	v_cmp_eq_u32_e64 s[6:7], 1, v12
	s_waitcnt lgkmcnt(1)
	v_or_b32_e32 v10, v11, v10
	s_waitcnt lgkmcnt(0)
	v_cndmask_b32_e64 v8, v8, 0, s[6:7]
	v_add_u32_e32 v8, v8, v9
	v_and_b32_e32 v9, 1, v10
	ds_write2_b32 v7, v8, v9 offset0:62 offset1:63
.LBB77_83:
	s_or_b64 exec, exec, s[8:9]
	v_cmp_gt_u32_e64 s[6:7], 7, v0
	s_waitcnt lgkmcnt(0)
	s_barrier
	s_and_saveexec_b64 s[8:9], s[6:7]
	;; [unrolled: 21-line block ×4, first 2 shown]
	s_cbranch_execz .LBB77_89
; %bb.88:
	ds_read_u8 v4, v3 offset:140
	ds_read_u8 v8, v3 offset:124
	ds_read2_b32 v[6:7], v3 offset0:30 offset1:34
	s_waitcnt lgkmcnt(2)
	v_and_b32_e32 v9, 1, v4
	v_cmp_eq_u32_e64 s[6:7], 1, v9
	s_waitcnt lgkmcnt(1)
	v_or_b32_e32 v4, v8, v4
	s_waitcnt lgkmcnt(0)
	v_cndmask_b32_e64 v6, v6, 0, s[6:7]
	v_add_u32_e32 v6, v6, v7
	v_and_b32_e32 v4, 1, v4
	ds_write2_b32 v3, v6, v4 offset0:34 offset1:35
.LBB77_89:
	s_or_b64 exec, exec, s[8:9]
	v_lshl_add_u32 v3, v1, 3, 1
	s_waitcnt lgkmcnt(0)
	s_barrier
	s_and_saveexec_b64 s[6:7], s[2:3]
	s_cbranch_execz .LBB77_91
; %bb.90:
	ds_read_u8 v4, v3 offset:148
	ds_read_b32 v6, v2 offset:136
	ds_read_b32 v7, v3 offset:144
	ds_read_u8 v8, v2 offset:140
	s_waitcnt lgkmcnt(3)
	v_and_b32_e32 v9, 1, v4
	v_cmp_eq_u32_e64 s[2:3], 1, v9
	s_waitcnt lgkmcnt(2)
	v_cndmask_b32_e64 v6, v6, 0, s[2:3]
	s_waitcnt lgkmcnt(0)
	v_or_b32_e32 v4, v8, v4
	v_add_u32_e32 v6, v6, v7
	v_and_b32_e32 v4, 1, v4
	ds_write2_b32 v3, v6, v4 offset0:36 offset1:37
.LBB77_91:
	s_or_b64 exec, exec, s[6:7]
	s_waitcnt lgkmcnt(0)
	s_barrier
	ds_read_b32 v4, v3 offset:128
	ds_read_b32 v2, v2 offset:136
	v_or_b32_e32 v3, 1, v1
	v_cmp_gt_u32_e64 s[2:3], s16, v1
	v_cmp_gt_u32_e64 s[6:7], s16, v3
	v_mbcnt_lo_u32_b32 v6, -1, 0
	s_waitcnt lgkmcnt(1)
	v_cndmask_b32_e64 v4, 0, v4, s[2:3]
	s_waitcnt lgkmcnt(0)
	v_cndmask_b32_e64 v2, 0, v2, s[6:7]
	v_mbcnt_hi_u32_b32 v11, -1, v6
	v_mov_b32_e32 v6, 0x80
	v_cndmask_b32_e64 v7, 0, v1, s[2:3]
	v_cndmask_b32_e64 v8, 0, v3, s[6:7]
	v_max_u32_e32 v9, v2, v4
	v_lshl_or_b32 v6, v11, 2, v6
	v_cmp_gt_u32_e64 s[8:9], v2, v4
	ds_bpermute_b32 v10, v6, v9
	v_cndmask_b32_e64 v2, v7, v8, s[8:9]
	ds_bpermute_b32 v4, v6, v2
	v_and_b32_e32 v12, 63, v11
	v_cmp_gt_u32_e64 s[8:9], 48, v12
	v_cndmask_b32_e64 v7, 0, 16, s[8:9]
	s_waitcnt lgkmcnt(1)
	v_max_u32_e32 v13, v10, v9
	v_add_lshl_u32 v7, v7, v11, 2
	v_cmp_gt_u32_e64 s[8:9], v10, v9
	ds_bpermute_b32 v14, v7, v13
	s_waitcnt lgkmcnt(1)
	v_cndmask_b32_e64 v2, v2, v4, s[8:9]
	ds_bpermute_b32 v4, v7, v2
	v_cmp_gt_u32_e64 s[8:9], 56, v12
	v_cndmask_b32_e64 v8, 0, 8, s[8:9]
	s_waitcnt lgkmcnt(1)
	v_max_u32_e32 v10, v14, v13
	v_add_lshl_u32 v8, v8, v11, 2
	v_cmp_gt_u32_e64 s[8:9], v14, v13
	ds_bpermute_b32 v15, v8, v10
	s_waitcnt lgkmcnt(1)
	v_cndmask_b32_e64 v2, v2, v4, s[8:9]
	ds_bpermute_b32 v4, v8, v2
	;; [unrolled: 10-line block ×4, first 2 shown]
	s_waitcnt lgkmcnt(0)
	s_barrier
	v_cmp_gt_u32_e64 s[8:9], v16, v15
	v_max_u32_e32 v2, v16, v15
	v_cndmask_b32_e64 v4, v4, v13, s[8:9]
	v_cmp_ne_u32_e64 s[8:9], 63, v12
	v_addc_co_u32_e64 v11, s[8:9], 0, v11, s[8:9]
	v_lshlrev_b32_e32 v11, 2, v11
	ds_bpermute_b32 v12, v11, v4
	ds_bpermute_b32 v13, v11, v2
	v_cmp_eq_u32_e64 s[8:9], 0, v5
	s_waitcnt lgkmcnt(0)
	s_barrier
	s_and_saveexec_b64 s[12:13], s[8:9]
	s_cbranch_execz .LBB77_93
; %bb.92:
	v_lshrrev_b32_e32 v14, 3, v0
	v_cmp_gt_u32_e64 s[10:11], v13, v2
	v_add_u32_e32 v14, 1, v14
	v_cndmask_b32_e64 v4, v4, v12, s[10:11]
	v_max_u32_e32 v2, v13, v2
	ds_write2_b32 v14, v2, v4 offset0:32 offset1:33
.LBB77_93:
	s_or_b64 exec, exec, s[12:13]
	s_lshr_b32 s10, s18, 6
	v_cmp_gt_u32_e64 s[10:11], s10, v0
	v_lshl_add_u32 v12, v5, 3, 1
	v_mov_b32_e32 v2, 0
	v_mov_b32_e32 v4, 0
	s_waitcnt lgkmcnt(0)
	s_barrier
	s_and_saveexec_b64 s[12:13], s[10:11]
	s_cbranch_execnz .LBB77_108
; %bb.94:
	s_or_b64 exec, exec, s[12:13]
	s_and_saveexec_b64 s[12:13], s[10:11]
	s_cbranch_execnz .LBB77_109
.LBB77_95:
	s_or_b64 exec, exec, s[12:13]
	s_and_saveexec_b64 s[18:19], s[0:1]
	s_cbranch_execnz .LBB77_110
.LBB77_96:
	s_or_b64 exec, exec, s[18:19]
	s_and_saveexec_b64 s[12:13], vcc
	s_cbranch_execz .LBB77_98
.LBB77_97:
	s_waitcnt lgkmcnt(0)
	v_add_u32_e32 v2, 1, v2
	ds_read_u8 v2, v2
	v_mov_b32_e32 v4, 0
	s_waitcnt lgkmcnt(0)
	ds_write_b8 v4, v2
.LBB77_98:
	s_or_b64 exec, exec, s[12:13]
	s_waitcnt lgkmcnt(0)
	v_mov_b32_e32 v2, 0
	v_cmp_gt_i64_e64 s[12:13], s[16:17], v[1:2]
	v_mov_b32_e32 v13, 0
	s_barrier
	s_and_saveexec_b64 s[18:19], s[12:13]
	s_cbranch_execz .LBB77_100
; %bb.99:
	v_add_u32_e32 v4, s21, v1
	global_load_ubyte v4, v4, s[14:15]
	v_mov_b32_e32 v13, 0
	ds_read_u8 v13, v13
	s_waitcnt vmcnt(0) lgkmcnt(0)
	v_cmp_eq_u16_e64 s[12:13], v4, v13
	v_cndmask_b32_e64 v13, 0, v1, s[12:13]
.LBB77_100:
	s_or_b64 exec, exec, s[18:19]
	v_mov_b32_e32 v4, v2
	v_cmp_gt_i64_e64 s[12:13], s[16:17], v[3:4]
	s_and_saveexec_b64 s[16:17], s[12:13]
	s_cbranch_execz .LBB77_102
; %bb.101:
	v_add_u32_e32 v1, s21, v3
	global_load_ubyte v1, v1, s[14:15]
	v_mov_b32_e32 v2, 0
	ds_read_u8 v2, v2
	s_waitcnt vmcnt(0) lgkmcnt(0)
	v_cmp_eq_u16_e64 s[12:13], v1, v2
	v_cndmask_b32_e64 v2, 0, v3, s[12:13]
.LBB77_102:
	s_or_b64 exec, exec, s[16:17]
	v_cndmask_b32_e64 v1, 0, v13, s[2:3]
	v_max_u32_e32 v2, v2, v1
	v_cndmask_b32_e64 v1, v1, v2, s[6:7]
	ds_bpermute_b32 v2, v6, v1
	s_waitcnt lgkmcnt(0)
	s_barrier
	v_max_u32_e32 v1, v2, v1
	ds_bpermute_b32 v2, v7, v1
	s_waitcnt lgkmcnt(0)
	v_max_u32_e32 v1, v2, v1
	ds_bpermute_b32 v2, v8, v1
	s_waitcnt lgkmcnt(0)
	;; [unrolled: 3-line block ×4, first 2 shown]
	v_max_u32_e32 v1, v2, v1
	ds_bpermute_b32 v2, v11, v1
	s_and_saveexec_b64 s[2:3], s[8:9]
	s_cbranch_execz .LBB77_104
; %bb.103:
	v_lshrrev_b32_e32 v0, 4, v0
	v_add_u32_e32 v0, 1, v0
	s_waitcnt lgkmcnt(0)
	v_max_u32_e32 v1, v2, v1
	ds_write_b32 v0, v1
.LBB77_104:
	s_or_b64 exec, exec, s[2:3]
	v_mov_b32_e32 v0, 0
	s_waitcnt lgkmcnt(0)
	s_barrier
	s_and_saveexec_b64 s[2:3], s[10:11]
	s_cbranch_execnz .LBB77_111
; %bb.105:
	s_or_b64 exec, exec, s[2:3]
	s_and_saveexec_b64 s[2:3], s[0:1]
	s_cbranch_execnz .LBB77_112
.LBB77_106:
	s_or_b64 exec, exec, s[2:3]
	s_and_saveexec_b64 s[0:1], vcc
	s_cbranch_execnz .LBB77_113
.LBB77_107:
	s_endpgm
.LBB77_108:
	ds_read_b32 v4, v12 offset:128
	s_or_b64 exec, exec, s[12:13]
	s_and_saveexec_b64 s[12:13], s[10:11]
	s_cbranch_execz .LBB77_95
.LBB77_109:
	ds_read_b32 v2, v12 offset:132
	s_or_b64 exec, exec, s[12:13]
	s_and_saveexec_b64 s[18:19], s[0:1]
	s_cbranch_execz .LBB77_96
.LBB77_110:
	s_waitcnt lgkmcnt(0)
	ds_bpermute_b32 v13, v6, v4
	ds_bpermute_b32 v14, v6, v2
	s_waitcnt lgkmcnt(1)
	v_max_u32_e32 v15, v13, v4
	v_cmp_gt_u32_e64 s[12:13], v13, v4
	ds_bpermute_b32 v16, v7, v15
	s_waitcnt lgkmcnt(1)
	v_cndmask_b32_e64 v2, v2, v14, s[12:13]
	ds_bpermute_b32 v4, v7, v2
	s_waitcnt lgkmcnt(1)
	v_max_u32_e32 v13, v16, v15
	v_cmp_gt_u32_e64 s[12:13], v16, v15
	ds_bpermute_b32 v14, v8, v13
	s_waitcnt lgkmcnt(1)
	v_cndmask_b32_e64 v2, v2, v4, s[12:13]
	;; [unrolled: 7-line block ×4, first 2 shown]
	ds_bpermute_b32 v4, v10, v2
	s_waitcnt lgkmcnt(1)
	v_max_u32_e32 v15, v14, v13
	v_cmp_gt_u32_e64 s[12:13], v14, v13
	s_waitcnt lgkmcnt(0)
	v_cndmask_b32_e64 v2, v2, v4, s[12:13]
	ds_bpermute_b32 v4, v11, v15
	ds_bpermute_b32 v13, v11, v2
	s_waitcnt lgkmcnt(1)
	v_cmp_gt_u32_e64 s[12:13], v4, v15
	s_waitcnt lgkmcnt(0)
	v_cndmask_b32_e64 v2, v2, v13, s[12:13]
	s_or_b64 exec, exec, s[18:19]
	s_and_saveexec_b64 s[12:13], vcc
	s_cbranch_execnz .LBB77_97
	s_branch .LBB77_98
.LBB77_111:
	v_lshlrev_b32_e32 v0, 2, v5
	v_sub_u32_e32 v0, v12, v0
	ds_read_b32 v0, v0
	s_or_b64 exec, exec, s[2:3]
	s_and_saveexec_b64 s[2:3], s[0:1]
	s_cbranch_execz .LBB77_106
.LBB77_112:
	s_waitcnt lgkmcnt(0)
	ds_bpermute_b32 v1, v6, v0
	s_waitcnt lgkmcnt(0)
	v_max_u32_e32 v0, v1, v0
	ds_bpermute_b32 v1, v7, v0
	s_waitcnt lgkmcnt(0)
	v_max_u32_e32 v0, v1, v0
	;; [unrolled: 3-line block ×6, first 2 shown]
	s_or_b64 exec, exec, s[2:3]
	s_and_saveexec_b64 s[0:1], vcc
	s_cbranch_execz .LBB77_107
.LBB77_113:
	s_load_dword s6, s[4:5], 0xd8
	s_load_dwordx2 s[0:1], s[4:5], 0xe0
	s_add_u32 s2, s4, 8
	s_addc_u32 s3, s5, 0
	s_mov_b32 s5, 0
	s_waitcnt lgkmcnt(0)
	s_cmp_lt_i32 s6, 2
	s_cbranch_scc1 .LBB77_116
; %bb.114:
	s_add_i32 s4, s6, -1
	s_add_i32 s8, s6, 1
	s_lshl_b64 s[6:7], s[4:5], 2
	s_add_u32 s4, s2, s6
	s_addc_u32 s7, s3, s7
	s_add_u32 s6, s4, 8
	s_addc_u32 s7, s7, 0
.LBB77_115:                             ; =>This Inner Loop Header: Depth=1
	s_load_dword s4, s[6:7], 0x0
	s_load_dword s10, s[6:7], 0x64
	s_mov_b32 s9, s20
	s_waitcnt lgkmcnt(0)
	v_cvt_f32_u32_e32 v1, s4
	s_sub_i32 s11, 0, s4
	v_rcp_iflag_f32_e32 v1, v1
	v_mul_f32_e32 v1, 0x4f7ffffe, v1
	v_cvt_u32_f32_e32 v1, v1
	v_readfirstlane_b32 s12, v1
	s_mul_i32 s11, s11, s12
	s_mul_hi_u32 s11, s12, s11
	s_add_i32 s12, s12, s11
	s_mul_hi_u32 s11, s20, s12
	s_mul_i32 s12, s11, s4
	s_sub_i32 s12, s20, s12
	s_add_i32 s13, s11, 1
	s_sub_i32 s14, s12, s4
	s_cmp_ge_u32 s12, s4
	s_cselect_b32 s11, s13, s11
	s_cselect_b32 s12, s14, s12
	s_add_i32 s13, s11, 1
	s_cmp_ge_u32 s12, s4
	s_cselect_b32 s20, s13, s11
	s_mul_i32 s4, s20, s4
	s_sub_i32 s4, s9, s4
	s_mul_i32 s4, s10, s4
	s_add_i32 s8, s8, -1
	s_add_i32 s5, s4, s5
	s_add_u32 s6, s6, -4
	s_addc_u32 s7, s7, -1
	s_cmp_gt_u32 s8, 2
	s_cbranch_scc1 .LBB77_115
.LBB77_116:
	s_load_dword s4, s[2:3], 0x6c
	v_mov_b32_e32 v1, 0
	s_load_dwordx2 s[2:3], s[2:3], 0x0
	ds_read_u8 v2, v1
	s_mov_b32 s7, 0
	s_waitcnt lgkmcnt(0)
	s_mul_i32 s4, s4, s20
	s_add_i32 s6, s4, s5
	v_mov_b32_e32 v3, s6
	global_store_byte v3, v2, s[2:3]
	s_lshl_b64 s[2:3], s[6:7], 3
	s_add_u32 s0, s0, s2
	s_addc_u32 s1, s1, s3
	global_store_dwordx2 v1, v[0:1], s[0:1]
	s_endpgm
	.section	.rodata,"a",@progbits
	.p2align	6, 0x0
	.amdhsa_kernel _ZN2at6native12compute_modeIhLj128EEEvPKT_NS_4cuda6detail10TensorInfoIS2_jEENS7_IljEEll
		.amdhsa_group_segment_fixed_size 1
		.amdhsa_private_segment_fixed_size 0
		.amdhsa_kernarg_size 712
		.amdhsa_user_sgpr_count 6
		.amdhsa_user_sgpr_private_segment_buffer 1
		.amdhsa_user_sgpr_dispatch_ptr 0
		.amdhsa_user_sgpr_queue_ptr 0
		.amdhsa_user_sgpr_kernarg_segment_ptr 1
		.amdhsa_user_sgpr_dispatch_id 0
		.amdhsa_user_sgpr_flat_scratch_init 0
		.amdhsa_user_sgpr_private_segment_size 0
		.amdhsa_uses_dynamic_stack 0
		.amdhsa_system_sgpr_private_segment_wavefront_offset 0
		.amdhsa_system_sgpr_workgroup_id_x 1
		.amdhsa_system_sgpr_workgroup_id_y 1
		.amdhsa_system_sgpr_workgroup_id_z 1
		.amdhsa_system_sgpr_workgroup_info 0
		.amdhsa_system_vgpr_workitem_id 0
		.amdhsa_next_free_vgpr 17
		.amdhsa_next_free_sgpr 22
		.amdhsa_reserve_vcc 1
		.amdhsa_reserve_flat_scratch 0
		.amdhsa_float_round_mode_32 0
		.amdhsa_float_round_mode_16_64 0
		.amdhsa_float_denorm_mode_32 3
		.amdhsa_float_denorm_mode_16_64 3
		.amdhsa_dx10_clamp 1
		.amdhsa_ieee_mode 1
		.amdhsa_fp16_overflow 0
		.amdhsa_exception_fp_ieee_invalid_op 0
		.amdhsa_exception_fp_denorm_src 0
		.amdhsa_exception_fp_ieee_div_zero 0
		.amdhsa_exception_fp_ieee_overflow 0
		.amdhsa_exception_fp_ieee_underflow 0
		.amdhsa_exception_fp_ieee_inexact 0
		.amdhsa_exception_int_div_zero 0
	.end_amdhsa_kernel
	.section	.text._ZN2at6native12compute_modeIhLj128EEEvPKT_NS_4cuda6detail10TensorInfoIS2_jEENS7_IljEEll,"axG",@progbits,_ZN2at6native12compute_modeIhLj128EEEvPKT_NS_4cuda6detail10TensorInfoIS2_jEENS7_IljEEll,comdat
.Lfunc_end77:
	.size	_ZN2at6native12compute_modeIhLj128EEEvPKT_NS_4cuda6detail10TensorInfoIS2_jEENS7_IljEEll, .Lfunc_end77-_ZN2at6native12compute_modeIhLj128EEEvPKT_NS_4cuda6detail10TensorInfoIS2_jEENS7_IljEEll
                                        ; -- End function
	.set _ZN2at6native12compute_modeIhLj128EEEvPKT_NS_4cuda6detail10TensorInfoIS2_jEENS7_IljEEll.num_vgpr, 17
	.set _ZN2at6native12compute_modeIhLj128EEEvPKT_NS_4cuda6detail10TensorInfoIS2_jEENS7_IljEEll.num_agpr, 0
	.set _ZN2at6native12compute_modeIhLj128EEEvPKT_NS_4cuda6detail10TensorInfoIS2_jEENS7_IljEEll.numbered_sgpr, 22
	.set _ZN2at6native12compute_modeIhLj128EEEvPKT_NS_4cuda6detail10TensorInfoIS2_jEENS7_IljEEll.num_named_barrier, 0
	.set _ZN2at6native12compute_modeIhLj128EEEvPKT_NS_4cuda6detail10TensorInfoIS2_jEENS7_IljEEll.private_seg_size, 0
	.set _ZN2at6native12compute_modeIhLj128EEEvPKT_NS_4cuda6detail10TensorInfoIS2_jEENS7_IljEEll.uses_vcc, 1
	.set _ZN2at6native12compute_modeIhLj128EEEvPKT_NS_4cuda6detail10TensorInfoIS2_jEENS7_IljEEll.uses_flat_scratch, 0
	.set _ZN2at6native12compute_modeIhLj128EEEvPKT_NS_4cuda6detail10TensorInfoIS2_jEENS7_IljEEll.has_dyn_sized_stack, 0
	.set _ZN2at6native12compute_modeIhLj128EEEvPKT_NS_4cuda6detail10TensorInfoIS2_jEENS7_IljEEll.has_recursion, 0
	.set _ZN2at6native12compute_modeIhLj128EEEvPKT_NS_4cuda6detail10TensorInfoIS2_jEENS7_IljEEll.has_indirect_call, 0
	.section	.AMDGPU.csdata,"",@progbits
; Kernel info:
; codeLenInByte = 8000
; TotalNumSgprs: 26
; NumVgprs: 17
; ScratchSize: 0
; MemoryBound: 0
; FloatMode: 240
; IeeeMode: 1
; LDSByteSize: 1 bytes/workgroup (compile time only)
; SGPRBlocks: 3
; VGPRBlocks: 4
; NumSGPRsForWavesPerEU: 26
; NumVGPRsForWavesPerEU: 17
; Occupancy: 10
; WaveLimiterHint : 1
; COMPUTE_PGM_RSRC2:SCRATCH_EN: 0
; COMPUTE_PGM_RSRC2:USER_SGPR: 6
; COMPUTE_PGM_RSRC2:TRAP_HANDLER: 0
; COMPUTE_PGM_RSRC2:TGID_X_EN: 1
; COMPUTE_PGM_RSRC2:TGID_Y_EN: 1
; COMPUTE_PGM_RSRC2:TGID_Z_EN: 1
; COMPUTE_PGM_RSRC2:TIDIG_COMP_CNT: 0
	.section	.text._ZN2at6native12compute_modeIaLj2048EEEvPKT_NS_4cuda6detail10TensorInfoIS2_jEENS7_IljEEll,"axG",@progbits,_ZN2at6native12compute_modeIaLj2048EEEvPKT_NS_4cuda6detail10TensorInfoIS2_jEENS7_IljEEll,comdat
	.protected	_ZN2at6native12compute_modeIaLj2048EEEvPKT_NS_4cuda6detail10TensorInfoIS2_jEENS7_IljEEll ; -- Begin function _ZN2at6native12compute_modeIaLj2048EEEvPKT_NS_4cuda6detail10TensorInfoIS2_jEENS7_IljEEll
	.globl	_ZN2at6native12compute_modeIaLj2048EEEvPKT_NS_4cuda6detail10TensorInfoIS2_jEENS7_IljEEll
	.p2align	8
	.type	_ZN2at6native12compute_modeIaLj2048EEEvPKT_NS_4cuda6detail10TensorInfoIS2_jEENS7_IljEEll,@function
_ZN2at6native12compute_modeIaLj2048EEEvPKT_NS_4cuda6detail10TensorInfoIS2_jEENS7_IljEEll: ; @_ZN2at6native12compute_modeIaLj2048EEEvPKT_NS_4cuda6detail10TensorInfoIS2_jEENS7_IljEEll
; %bb.0:
	s_load_dwordx2 s[2:3], s[4:5], 0x1c8
	s_load_dwordx4 s[16:19], s[4:5], 0x1b8
	s_add_u32 s0, s4, 0x1c8
	s_addc_u32 s1, s5, 0
	v_mov_b32_e32 v2, 0
	s_waitcnt lgkmcnt(0)
	s_mul_i32 s3, s3, s8
	s_add_i32 s3, s3, s7
	s_mul_i32 s2, s3, s2
	s_add_i32 s20, s2, s6
	v_mov_b32_e32 v1, s20
	v_cmp_le_i64_e32 vcc, s[18:19], v[1:2]
	s_cbranch_vccnz .LBB78_197
; %bb.1:
	s_load_dwordx2 s[14:15], s[4:5], 0x0
	s_load_dword s2, s[0:1], 0xc
	v_mov_b32_e32 v1, v2
	v_cmp_gt_i64_e32 vcc, s[16:17], v[0:1]
	s_mul_i32 s21, s20, s16
	v_add_u32_e32 v3, 1, v0
	s_and_saveexec_b64 s[0:1], vcc
	s_cbranch_execz .LBB78_3
; %bb.2:
	v_add_u32_e32 v1, s21, v0
	s_waitcnt lgkmcnt(0)
	global_load_ubyte v1, v1, s[14:15]
	s_waitcnt vmcnt(0)
	ds_write_b8 v3, v1
.LBB78_3:
	s_or_b64 exec, exec, s[0:1]
	s_waitcnt lgkmcnt(0)
	s_and_b32 s18, 0xffff, s2
	v_add_u32_e32 v1, s18, v0
	v_cmp_gt_i64_e64 s[0:1], s[16:17], v[1:2]
	s_and_saveexec_b64 s[2:3], s[0:1]
	s_cbranch_execz .LBB78_5
; %bb.4:
	v_add_u32_e32 v2, s21, v1
	global_load_ubyte v2, v2, s[14:15]
	v_add_u32_e32 v1, 1, v1
	s_waitcnt vmcnt(0)
	ds_write_b8 v1, v2
.LBB78_5:
	s_or_b64 exec, exec, s[2:3]
	v_cndmask_b32_e64 v1, 0, 1, vcc
	ds_write_b8 v3, v1 offset:2048
	v_add_u32_e32 v1, s18, v3
	v_cndmask_b32_e64 v2, 0, 1, s[0:1]
	ds_write_b8 v1, v2 offset:2048
	v_add_u32_e32 v2, v3, v0
	s_waitcnt lgkmcnt(0)
	s_barrier
	s_barrier
	ds_read_i8 v1, v2
	ds_read_i8 v6, v2 offset:1
	ds_read_u8 v5, v2 offset:2048
	ds_read_u8 v7, v2 offset:2049
	v_and_b32_e32 v4, 1, v0
	s_waitcnt lgkmcnt(2)
	v_cmp_lt_i16_e32 vcc, v1, v6
	s_waitcnt lgkmcnt(1)
	v_and_b32_e32 v8, 1, v5
	v_cmp_eq_u32_e64 s[0:1], 1, v8
	s_waitcnt lgkmcnt(0)
	v_cmp_ne_u16_e64 s[2:3], v7, v4
	v_cndmask_b32_e64 v8, 0, 1, s[2:3]
	s_and_b64 vcc, vcc, s[0:1]
	v_cndmask_b32_e32 v8, v8, v0, vcc
	v_and_b32_e32 v8, 1, v8
	v_cmp_eq_u32_e32 vcc, 1, v8
	s_and_saveexec_b64 s[0:1], vcc
	s_cbranch_execz .LBB78_7
; %bb.6:
	ds_write_b8 v2, v6
	ds_write_b8 v2, v1 offset:1
	ds_write_b8 v2, v7 offset:2048
	;; [unrolled: 1-line block ×3, first 2 shown]
.LBB78_7:
	s_or_b64 exec, exec, s[0:1]
	v_lshlrev_b32_e32 v1, 1, v0
	v_sub_u32_e32 v4, v1, v4
	v_add_u32_e32 v4, 1, v4
	s_waitcnt lgkmcnt(0)
	s_barrier
	ds_read_i8 v6, v4
	ds_read_i8 v8, v4 offset:2
	ds_read_u8 v7, v4 offset:2048
	ds_read_u8 v9, v4 offset:2050
	v_bfe_u32 v10, v0, 1, 1
	v_and_b32_e32 v5, 2, v0
	s_waitcnt lgkmcnt(2)
	v_cmp_lt_i16_e64 s[0:1], v6, v8
	s_waitcnt lgkmcnt(1)
	v_and_b32_e32 v11, 1, v7
	v_cmp_eq_u32_e64 s[2:3], 1, v11
	s_waitcnt lgkmcnt(0)
	v_cmp_ne_u16_e64 s[6:7], v9, v10
	v_cndmask_b32_e64 v11, 0, 1, s[6:7]
	s_and_b64 s[0:1], s[0:1], s[2:3]
	v_cndmask_b32_e64 v10, v11, v10, s[0:1]
	v_and_b32_e32 v10, 1, v10
	v_cmp_ne_u32_e32 vcc, 0, v5
	v_cmp_eq_u32_e64 s[0:1], 1, v10
	s_and_saveexec_b64 s[2:3], s[0:1]
	s_xor_b64 s[0:1], exec, s[2:3]
	s_cbranch_execz .LBB78_9
; %bb.8:
	ds_write_b8 v4, v8
	ds_write_b8 v4, v6 offset:2
	ds_write_b8 v4, v9 offset:2048
	;; [unrolled: 1-line block ×3, first 2 shown]
.LBB78_9:
	s_or_b64 exec, exec, s[0:1]
	s_waitcnt lgkmcnt(0)
	s_barrier
	ds_read_i8 v6, v2
	ds_read_i8 v8, v2 offset:1
	ds_read_u8 v7, v2 offset:2048
	ds_read_u8 v9, v2 offset:2049
	v_lshrrev_b32_e32 v5, 1, v5
	s_waitcnt lgkmcnt(2)
	v_cmp_lt_i16_e64 s[0:1], v6, v8
	s_waitcnt lgkmcnt(1)
	v_and_b32_e32 v10, 1, v7
	v_cmp_eq_u32_e64 s[2:3], 1, v10
	s_waitcnt lgkmcnt(0)
	v_cmp_ne_u16_e64 s[6:7], v9, v5
	v_cndmask_b32_e64 v5, 0, 1, s[6:7]
	v_cndmask_b32_e64 v10, 0, 1, vcc
	s_and_b64 vcc, s[0:1], s[2:3]
	v_cndmask_b32_e32 v5, v5, v10, vcc
	v_and_b32_e32 v5, 1, v5
	v_cmp_eq_u32_e32 vcc, 1, v5
	s_and_saveexec_b64 s[0:1], vcc
	s_cbranch_execz .LBB78_11
; %bb.10:
	ds_write_b8 v2, v8
	ds_write_b8 v2, v6 offset:1
	ds_write_b8 v2, v9 offset:2048
	ds_write_b8 v2, v7 offset:2049
.LBB78_11:
	s_or_b64 exec, exec, s[0:1]
	v_and_b32_e32 v6, 3, v0
	v_sub_u32_e32 v6, v1, v6
	v_add_u32_e32 v6, 1, v6
	s_waitcnt lgkmcnt(0)
	s_barrier
	ds_read_i8 v7, v6
	ds_read_i8 v9, v6 offset:4
	ds_read_u8 v8, v6 offset:2048
	ds_read_u8 v10, v6 offset:2052
	v_bfe_u32 v11, v0, 2, 1
	v_and_b32_e32 v5, 4, v0
	s_waitcnt lgkmcnt(2)
	v_cmp_lt_i16_e64 s[0:1], v7, v9
	s_waitcnt lgkmcnt(1)
	v_and_b32_e32 v12, 1, v8
	v_cmp_eq_u32_e64 s[2:3], 1, v12
	s_waitcnt lgkmcnt(0)
	v_cmp_ne_u16_e64 s[6:7], v10, v11
	v_cndmask_b32_e64 v12, 0, 1, s[6:7]
	s_and_b64 s[0:1], s[0:1], s[2:3]
	v_cndmask_b32_e64 v11, v12, v11, s[0:1]
	v_and_b32_e32 v11, 1, v11
	v_cmp_ne_u32_e32 vcc, 0, v5
	v_cmp_eq_u32_e64 s[0:1], 1, v11
	s_and_saveexec_b64 s[2:3], s[0:1]
	s_cbranch_execz .LBB78_13
; %bb.12:
	ds_write_b8 v6, v9
	ds_write_b8 v6, v7 offset:4
	ds_write_b8 v6, v10 offset:2048
	;; [unrolled: 1-line block ×3, first 2 shown]
.LBB78_13:
	s_or_b64 exec, exec, s[2:3]
	s_waitcnt lgkmcnt(0)
	s_barrier
	ds_read_i8 v8, v4
	ds_read_i8 v10, v4 offset:2
	ds_read_u8 v9, v4 offset:2048
	ds_read_u8 v11, v4 offset:2050
	v_lshrrev_b32_e32 v5, 2, v5
	s_waitcnt lgkmcnt(2)
	v_cmp_lt_i16_e64 s[0:1], v8, v10
	s_waitcnt lgkmcnt(1)
	v_and_b32_e32 v7, 1, v9
	v_cmp_eq_u32_e64 s[2:3], 1, v7
	s_waitcnt lgkmcnt(0)
	v_cmp_ne_u16_e64 s[6:7], v11, v5
	v_cndmask_b32_e64 v12, 0, 1, s[6:7]
	v_cndmask_b32_e64 v7, 0, 1, vcc
	s_and_b64 vcc, s[0:1], s[2:3]
	v_cndmask_b32_e32 v12, v12, v7, vcc
	v_and_b32_e32 v12, 1, v12
	v_cmp_eq_u32_e32 vcc, 1, v12
	s_and_saveexec_b64 s[0:1], vcc
	s_cbranch_execz .LBB78_15
; %bb.14:
	ds_write_b8 v4, v10
	ds_write_b8 v4, v8 offset:2
	ds_write_b8 v4, v11 offset:2048
	;; [unrolled: 1-line block ×3, first 2 shown]
.LBB78_15:
	s_or_b64 exec, exec, s[0:1]
	s_waitcnt lgkmcnt(0)
	s_barrier
	ds_read_i8 v8, v2
	ds_read_i8 v10, v2 offset:1
	ds_read_u8 v9, v2 offset:2048
	ds_read_u8 v11, v2 offset:2049
	s_waitcnt lgkmcnt(2)
	v_cmp_lt_i16_e32 vcc, v8, v10
	s_waitcnt lgkmcnt(1)
	v_and_b32_e32 v12, 1, v9
	v_cmp_eq_u32_e64 s[0:1], 1, v12
	s_waitcnt lgkmcnt(0)
	v_cmp_ne_u16_e64 s[2:3], v11, v5
	v_cndmask_b32_e64 v5, 0, 1, s[2:3]
	s_and_b64 vcc, vcc, s[0:1]
	v_cndmask_b32_e32 v5, v5, v7, vcc
	v_and_b32_e32 v5, 1, v5
	v_cmp_eq_u32_e32 vcc, 1, v5
	s_and_saveexec_b64 s[0:1], vcc
	s_cbranch_execz .LBB78_17
; %bb.16:
	ds_write_b8 v2, v10
	ds_write_b8 v2, v8 offset:1
	ds_write_b8 v2, v11 offset:2048
	;; [unrolled: 1-line block ×3, first 2 shown]
.LBB78_17:
	s_or_b64 exec, exec, s[0:1]
	v_and_b32_e32 v7, 7, v0
	v_sub_u32_e32 v7, v1, v7
	v_add_u32_e32 v7, 1, v7
	s_waitcnt lgkmcnt(0)
	s_barrier
	ds_read_i8 v8, v7
	ds_read_i8 v10, v7 offset:8
	ds_read_u8 v9, v7 offset:2048
	ds_read_u8 v11, v7 offset:2056
	v_bfe_u32 v12, v0, 3, 1
	v_and_b32_e32 v5, 8, v0
	s_waitcnt lgkmcnt(2)
	v_cmp_lt_i16_e64 s[0:1], v8, v10
	s_waitcnt lgkmcnt(1)
	v_and_b32_e32 v13, 1, v9
	v_cmp_eq_u32_e64 s[2:3], 1, v13
	s_waitcnt lgkmcnt(0)
	v_cmp_ne_u16_e64 s[6:7], v11, v12
	v_cndmask_b32_e64 v13, 0, 1, s[6:7]
	s_and_b64 s[0:1], s[0:1], s[2:3]
	v_cndmask_b32_e64 v12, v13, v12, s[0:1]
	v_and_b32_e32 v12, 1, v12
	v_cmp_ne_u32_e32 vcc, 0, v5
	v_cmp_eq_u32_e64 s[0:1], 1, v12
	s_and_saveexec_b64 s[2:3], s[0:1]
	s_cbranch_execz .LBB78_19
; %bb.18:
	ds_write_b8 v7, v10
	ds_write_b8 v7, v8 offset:8
	ds_write_b8 v7, v11 offset:2048
	;; [unrolled: 1-line block ×3, first 2 shown]
.LBB78_19:
	s_or_b64 exec, exec, s[2:3]
	s_waitcnt lgkmcnt(0)
	s_barrier
	ds_read_i8 v9, v6
	ds_read_i8 v11, v6 offset:4
	ds_read_u8 v10, v6 offset:2048
	ds_read_u8 v12, v6 offset:2052
	v_lshrrev_b32_e32 v5, 3, v5
	s_waitcnt lgkmcnt(2)
	v_cmp_lt_i16_e64 s[0:1], v9, v11
	s_waitcnt lgkmcnt(1)
	v_and_b32_e32 v8, 1, v10
	v_cmp_eq_u32_e64 s[2:3], 1, v8
	s_waitcnt lgkmcnt(0)
	v_cmp_ne_u16_e64 s[6:7], v12, v5
	v_cndmask_b32_e64 v13, 0, 1, s[6:7]
	v_cndmask_b32_e64 v8, 0, 1, vcc
	s_and_b64 vcc, s[0:1], s[2:3]
	v_cndmask_b32_e32 v13, v13, v8, vcc
	v_and_b32_e32 v13, 1, v13
	v_cmp_eq_u32_e32 vcc, 1, v13
	s_and_saveexec_b64 s[0:1], vcc
	s_cbranch_execz .LBB78_21
; %bb.20:
	ds_write_b8 v6, v11
	ds_write_b8 v6, v9 offset:4
	ds_write_b8 v6, v12 offset:2048
	;; [unrolled: 1-line block ×3, first 2 shown]
.LBB78_21:
	s_or_b64 exec, exec, s[0:1]
	s_waitcnt lgkmcnt(0)
	s_barrier
	ds_read_i8 v9, v4
	ds_read_i8 v11, v4 offset:2
	ds_read_u8 v10, v4 offset:2048
	ds_read_u8 v12, v4 offset:2050
	s_waitcnt lgkmcnt(2)
	v_cmp_lt_i16_e32 vcc, v9, v11
	s_waitcnt lgkmcnt(1)
	v_and_b32_e32 v13, 1, v10
	v_cmp_eq_u32_e64 s[0:1], 1, v13
	s_waitcnt lgkmcnt(0)
	v_cmp_ne_u16_e64 s[2:3], v12, v5
	v_cndmask_b32_e64 v13, 0, 1, s[2:3]
	s_and_b64 vcc, vcc, s[0:1]
	v_cndmask_b32_e32 v13, v13, v8, vcc
	v_and_b32_e32 v13, 1, v13
	v_cmp_eq_u32_e32 vcc, 1, v13
	s_and_saveexec_b64 s[0:1], vcc
	s_cbranch_execz .LBB78_23
; %bb.22:
	ds_write_b8 v4, v11
	ds_write_b8 v4, v9 offset:2
	ds_write_b8 v4, v12 offset:2048
	;; [unrolled: 1-line block ×3, first 2 shown]
.LBB78_23:
	s_or_b64 exec, exec, s[0:1]
	s_waitcnt lgkmcnt(0)
	s_barrier
	ds_read_i8 v9, v2
	ds_read_i8 v11, v2 offset:1
	ds_read_u8 v10, v2 offset:2048
	ds_read_u8 v12, v2 offset:2049
	s_waitcnt lgkmcnt(2)
	v_cmp_lt_i16_e32 vcc, v9, v11
	s_waitcnt lgkmcnt(1)
	v_and_b32_e32 v13, 1, v10
	v_cmp_eq_u32_e64 s[0:1], 1, v13
	s_waitcnt lgkmcnt(0)
	v_cmp_ne_u16_e64 s[2:3], v12, v5
	v_cndmask_b32_e64 v5, 0, 1, s[2:3]
	s_and_b64 vcc, vcc, s[0:1]
	v_cndmask_b32_e32 v5, v5, v8, vcc
	v_and_b32_e32 v5, 1, v5
	v_cmp_eq_u32_e32 vcc, 1, v5
	s_and_saveexec_b64 s[0:1], vcc
	s_cbranch_execz .LBB78_25
; %bb.24:
	ds_write_b8 v2, v11
	ds_write_b8 v2, v9 offset:1
	ds_write_b8 v2, v12 offset:2048
	;; [unrolled: 1-line block ×3, first 2 shown]
.LBB78_25:
	s_or_b64 exec, exec, s[0:1]
	v_and_b32_e32 v8, 15, v0
	v_sub_u32_e32 v8, v1, v8
	v_add_u32_e32 v8, 1, v8
	s_waitcnt lgkmcnt(0)
	s_barrier
	ds_read_i8 v9, v8
	ds_read_i8 v11, v8 offset:16
	ds_read_u8 v10, v8 offset:2048
	ds_read_u8 v12, v8 offset:2064
	v_bfe_u32 v13, v0, 4, 1
	v_and_b32_e32 v5, 16, v0
	s_waitcnt lgkmcnt(2)
	v_cmp_lt_i16_e64 s[0:1], v9, v11
	s_waitcnt lgkmcnt(1)
	v_and_b32_e32 v14, 1, v10
	v_cmp_eq_u32_e64 s[2:3], 1, v14
	s_waitcnt lgkmcnt(0)
	v_cmp_ne_u16_e64 s[6:7], v12, v13
	v_cndmask_b32_e64 v14, 0, 1, s[6:7]
	s_and_b64 s[0:1], s[0:1], s[2:3]
	v_cndmask_b32_e64 v13, v14, v13, s[0:1]
	v_and_b32_e32 v13, 1, v13
	v_cmp_ne_u32_e32 vcc, 0, v5
	v_cmp_eq_u32_e64 s[0:1], 1, v13
	s_and_saveexec_b64 s[2:3], s[0:1]
	s_cbranch_execz .LBB78_27
; %bb.26:
	ds_write_b8 v8, v11
	ds_write_b8 v8, v9 offset:16
	ds_write_b8 v8, v12 offset:2048
	ds_write_b8 v8, v10 offset:2064
.LBB78_27:
	s_or_b64 exec, exec, s[2:3]
	s_waitcnt lgkmcnt(0)
	s_barrier
	ds_read_i8 v10, v7
	ds_read_i8 v12, v7 offset:8
	ds_read_u8 v11, v7 offset:2048
	ds_read_u8 v13, v7 offset:2056
	v_lshrrev_b32_e32 v5, 4, v5
	s_waitcnt lgkmcnt(2)
	v_cmp_lt_i16_e64 s[0:1], v10, v12
	s_waitcnt lgkmcnt(1)
	v_and_b32_e32 v9, 1, v11
	v_cmp_eq_u32_e64 s[2:3], 1, v9
	s_waitcnt lgkmcnt(0)
	v_cmp_ne_u16_e64 s[6:7], v13, v5
	v_cndmask_b32_e64 v14, 0, 1, s[6:7]
	v_cndmask_b32_e64 v9, 0, 1, vcc
	s_and_b64 vcc, s[0:1], s[2:3]
	v_cndmask_b32_e32 v14, v14, v9, vcc
	v_and_b32_e32 v14, 1, v14
	v_cmp_eq_u32_e32 vcc, 1, v14
	s_and_saveexec_b64 s[0:1], vcc
	s_cbranch_execz .LBB78_29
; %bb.28:
	ds_write_b8 v7, v12
	ds_write_b8 v7, v10 offset:8
	ds_write_b8 v7, v13 offset:2048
	ds_write_b8 v7, v11 offset:2056
.LBB78_29:
	s_or_b64 exec, exec, s[0:1]
	s_waitcnt lgkmcnt(0)
	s_barrier
	ds_read_i8 v10, v6
	ds_read_i8 v12, v6 offset:4
	ds_read_u8 v11, v6 offset:2048
	ds_read_u8 v13, v6 offset:2052
	s_waitcnt lgkmcnt(2)
	v_cmp_lt_i16_e32 vcc, v10, v12
	s_waitcnt lgkmcnt(1)
	v_and_b32_e32 v14, 1, v11
	v_cmp_eq_u32_e64 s[0:1], 1, v14
	s_waitcnt lgkmcnt(0)
	v_cmp_ne_u16_e64 s[2:3], v13, v5
	v_cndmask_b32_e64 v14, 0, 1, s[2:3]
	s_and_b64 vcc, vcc, s[0:1]
	v_cndmask_b32_e32 v14, v14, v9, vcc
	v_and_b32_e32 v14, 1, v14
	v_cmp_eq_u32_e32 vcc, 1, v14
	s_and_saveexec_b64 s[0:1], vcc
	s_cbranch_execz .LBB78_31
; %bb.30:
	ds_write_b8 v6, v12
	ds_write_b8 v6, v10 offset:4
	ds_write_b8 v6, v13 offset:2048
	ds_write_b8 v6, v11 offset:2052
.LBB78_31:
	s_or_b64 exec, exec, s[0:1]
	s_waitcnt lgkmcnt(0)
	s_barrier
	ds_read_i8 v10, v4
	ds_read_i8 v12, v4 offset:2
	ds_read_u8 v11, v4 offset:2048
	ds_read_u8 v13, v4 offset:2050
	s_waitcnt lgkmcnt(2)
	v_cmp_lt_i16_e32 vcc, v10, v12
	s_waitcnt lgkmcnt(1)
	v_and_b32_e32 v14, 1, v11
	v_cmp_eq_u32_e64 s[0:1], 1, v14
	s_waitcnt lgkmcnt(0)
	v_cmp_ne_u16_e64 s[2:3], v13, v5
	v_cndmask_b32_e64 v14, 0, 1, s[2:3]
	s_and_b64 vcc, vcc, s[0:1]
	;; [unrolled: 27-line block ×3, first 2 shown]
	v_cndmask_b32_e32 v5, v5, v9, vcc
	v_and_b32_e32 v5, 1, v5
	v_cmp_eq_u32_e32 vcc, 1, v5
	s_and_saveexec_b64 s[0:1], vcc
	s_cbranch_execz .LBB78_35
; %bb.34:
	ds_write_b8 v2, v12
	ds_write_b8 v2, v10 offset:1
	ds_write_b8 v2, v13 offset:2048
	;; [unrolled: 1-line block ×3, first 2 shown]
.LBB78_35:
	s_or_b64 exec, exec, s[0:1]
	v_and_b32_e32 v9, 31, v0
	v_sub_u32_e32 v9, v1, v9
	v_add_u32_e32 v9, 1, v9
	s_waitcnt lgkmcnt(0)
	s_barrier
	ds_read_i8 v10, v9
	ds_read_i8 v12, v9 offset:32
	ds_read_u8 v11, v9 offset:2048
	ds_read_u8 v13, v9 offset:2080
	v_bfe_u32 v14, v0, 5, 1
	v_and_b32_e32 v5, 32, v0
	s_waitcnt lgkmcnt(2)
	v_cmp_lt_i16_e64 s[0:1], v10, v12
	s_waitcnt lgkmcnt(1)
	v_and_b32_e32 v15, 1, v11
	v_cmp_eq_u32_e64 s[2:3], 1, v15
	s_waitcnt lgkmcnt(0)
	v_cmp_ne_u16_e64 s[6:7], v13, v14
	v_cndmask_b32_e64 v15, 0, 1, s[6:7]
	s_and_b64 s[0:1], s[0:1], s[2:3]
	v_cndmask_b32_e64 v14, v15, v14, s[0:1]
	v_and_b32_e32 v14, 1, v14
	v_cmp_ne_u32_e32 vcc, 0, v5
	v_cmp_eq_u32_e64 s[0:1], 1, v14
	s_and_saveexec_b64 s[2:3], s[0:1]
	s_cbranch_execz .LBB78_37
; %bb.36:
	ds_write_b8 v9, v12
	ds_write_b8 v9, v10 offset:32
	ds_write_b8 v9, v13 offset:2048
	;; [unrolled: 1-line block ×3, first 2 shown]
.LBB78_37:
	s_or_b64 exec, exec, s[2:3]
	s_waitcnt lgkmcnt(0)
	s_barrier
	ds_read_i8 v11, v8
	ds_read_i8 v13, v8 offset:16
	ds_read_u8 v12, v8 offset:2048
	ds_read_u8 v14, v8 offset:2064
	v_lshrrev_b32_e32 v5, 5, v5
	s_waitcnt lgkmcnt(2)
	v_cmp_lt_i16_e64 s[0:1], v11, v13
	s_waitcnt lgkmcnt(1)
	v_and_b32_e32 v10, 1, v12
	v_cmp_eq_u32_e64 s[2:3], 1, v10
	s_waitcnt lgkmcnt(0)
	v_cmp_ne_u16_e64 s[6:7], v14, v5
	v_cndmask_b32_e64 v15, 0, 1, s[6:7]
	v_cndmask_b32_e64 v10, 0, 1, vcc
	s_and_b64 vcc, s[0:1], s[2:3]
	v_cndmask_b32_e32 v15, v15, v10, vcc
	v_and_b32_e32 v15, 1, v15
	v_cmp_eq_u32_e32 vcc, 1, v15
	s_and_saveexec_b64 s[0:1], vcc
	s_cbranch_execz .LBB78_39
; %bb.38:
	ds_write_b8 v8, v13
	ds_write_b8 v8, v11 offset:16
	ds_write_b8 v8, v14 offset:2048
	ds_write_b8 v8, v12 offset:2064
.LBB78_39:
	s_or_b64 exec, exec, s[0:1]
	s_waitcnt lgkmcnt(0)
	s_barrier
	ds_read_i8 v11, v7
	ds_read_i8 v13, v7 offset:8
	ds_read_u8 v12, v7 offset:2048
	ds_read_u8 v14, v7 offset:2056
	s_waitcnt lgkmcnt(2)
	v_cmp_lt_i16_e32 vcc, v11, v13
	s_waitcnt lgkmcnt(1)
	v_and_b32_e32 v15, 1, v12
	v_cmp_eq_u32_e64 s[0:1], 1, v15
	s_waitcnt lgkmcnt(0)
	v_cmp_ne_u16_e64 s[2:3], v14, v5
	v_cndmask_b32_e64 v15, 0, 1, s[2:3]
	s_and_b64 vcc, vcc, s[0:1]
	v_cndmask_b32_e32 v15, v15, v10, vcc
	v_and_b32_e32 v15, 1, v15
	v_cmp_eq_u32_e32 vcc, 1, v15
	s_and_saveexec_b64 s[0:1], vcc
	s_cbranch_execz .LBB78_41
; %bb.40:
	ds_write_b8 v7, v13
	ds_write_b8 v7, v11 offset:8
	ds_write_b8 v7, v14 offset:2048
	ds_write_b8 v7, v12 offset:2056
.LBB78_41:
	s_or_b64 exec, exec, s[0:1]
	s_waitcnt lgkmcnt(0)
	s_barrier
	ds_read_i8 v11, v6
	ds_read_i8 v13, v6 offset:4
	ds_read_u8 v12, v6 offset:2048
	ds_read_u8 v14, v6 offset:2052
	s_waitcnt lgkmcnt(2)
	v_cmp_lt_i16_e32 vcc, v11, v13
	s_waitcnt lgkmcnt(1)
	v_and_b32_e32 v15, 1, v12
	v_cmp_eq_u32_e64 s[0:1], 1, v15
	s_waitcnt lgkmcnt(0)
	v_cmp_ne_u16_e64 s[2:3], v14, v5
	v_cndmask_b32_e64 v15, 0, 1, s[2:3]
	s_and_b64 vcc, vcc, s[0:1]
	;; [unrolled: 27-line block ×4, first 2 shown]
	v_cndmask_b32_e32 v5, v5, v10, vcc
	v_and_b32_e32 v5, 1, v5
	v_cmp_eq_u32_e32 vcc, 1, v5
	s_and_saveexec_b64 s[0:1], vcc
	s_cbranch_execz .LBB78_47
; %bb.46:
	ds_write_b8 v2, v13
	ds_write_b8 v2, v11 offset:1
	ds_write_b8 v2, v14 offset:2048
	;; [unrolled: 1-line block ×3, first 2 shown]
.LBB78_47:
	s_or_b64 exec, exec, s[0:1]
	v_and_b32_e32 v5, 63, v0
	v_sub_u32_e32 v10, v1, v5
	v_add_u32_e32 v10, 1, v10
	s_waitcnt lgkmcnt(0)
	s_barrier
	ds_read_i8 v12, v10
	ds_read_i8 v14, v10 offset:64
	ds_read_u8 v13, v10 offset:2048
	ds_read_u8 v15, v10 offset:2112
	v_bfe_u32 v16, v0, 6, 1
	v_and_b32_e32 v11, 64, v0
	s_waitcnt lgkmcnt(2)
	v_cmp_lt_i16_e64 s[0:1], v12, v14
	s_waitcnt lgkmcnt(1)
	v_and_b32_e32 v17, 1, v13
	v_cmp_eq_u32_e64 s[2:3], 1, v17
	s_waitcnt lgkmcnt(0)
	v_cmp_ne_u16_e64 s[6:7], v15, v16
	v_cndmask_b32_e64 v17, 0, 1, s[6:7]
	s_and_b64 s[0:1], s[0:1], s[2:3]
	v_cndmask_b32_e64 v16, v17, v16, s[0:1]
	v_and_b32_e32 v16, 1, v16
	v_cmp_ne_u32_e32 vcc, 0, v11
	v_cmp_eq_u32_e64 s[0:1], 1, v16
	s_and_saveexec_b64 s[2:3], s[0:1]
	s_cbranch_execz .LBB78_49
; %bb.48:
	ds_write_b8 v10, v14
	ds_write_b8 v10, v12 offset:64
	ds_write_b8 v10, v15 offset:2048
	;; [unrolled: 1-line block ×3, first 2 shown]
.LBB78_49:
	s_or_b64 exec, exec, s[2:3]
	s_waitcnt lgkmcnt(0)
	s_barrier
	ds_read_i8 v13, v9
	ds_read_i8 v15, v9 offset:32
	ds_read_u8 v14, v9 offset:2048
	ds_read_u8 v16, v9 offset:2080
	v_lshrrev_b32_e32 v11, 6, v11
	s_waitcnt lgkmcnt(2)
	v_cmp_lt_i16_e64 s[0:1], v13, v15
	s_waitcnt lgkmcnt(1)
	v_and_b32_e32 v12, 1, v14
	v_cmp_eq_u32_e64 s[2:3], 1, v12
	s_waitcnt lgkmcnt(0)
	v_cmp_ne_u16_e64 s[6:7], v16, v11
	v_cndmask_b32_e64 v17, 0, 1, s[6:7]
	v_cndmask_b32_e64 v12, 0, 1, vcc
	s_and_b64 vcc, s[0:1], s[2:3]
	v_cndmask_b32_e32 v17, v17, v12, vcc
	v_and_b32_e32 v17, 1, v17
	v_cmp_eq_u32_e32 vcc, 1, v17
	s_and_saveexec_b64 s[0:1], vcc
	s_cbranch_execz .LBB78_51
; %bb.50:
	ds_write_b8 v9, v15
	ds_write_b8 v9, v13 offset:32
	ds_write_b8 v9, v16 offset:2048
	ds_write_b8 v9, v14 offset:2080
.LBB78_51:
	s_or_b64 exec, exec, s[0:1]
	s_waitcnt lgkmcnt(0)
	s_barrier
	ds_read_i8 v13, v8
	ds_read_i8 v15, v8 offset:16
	ds_read_u8 v14, v8 offset:2048
	ds_read_u8 v16, v8 offset:2064
	s_waitcnt lgkmcnt(2)
	v_cmp_lt_i16_e32 vcc, v13, v15
	s_waitcnt lgkmcnt(1)
	v_and_b32_e32 v17, 1, v14
	v_cmp_eq_u32_e64 s[0:1], 1, v17
	s_waitcnt lgkmcnt(0)
	v_cmp_ne_u16_e64 s[2:3], v16, v11
	v_cndmask_b32_e64 v17, 0, 1, s[2:3]
	s_and_b64 vcc, vcc, s[0:1]
	v_cndmask_b32_e32 v17, v17, v12, vcc
	v_and_b32_e32 v17, 1, v17
	v_cmp_eq_u32_e32 vcc, 1, v17
	s_and_saveexec_b64 s[0:1], vcc
	s_cbranch_execz .LBB78_53
; %bb.52:
	ds_write_b8 v8, v15
	ds_write_b8 v8, v13 offset:16
	ds_write_b8 v8, v16 offset:2048
	ds_write_b8 v8, v14 offset:2064
.LBB78_53:
	s_or_b64 exec, exec, s[0:1]
	s_waitcnt lgkmcnt(0)
	s_barrier
	ds_read_i8 v13, v7
	ds_read_i8 v15, v7 offset:8
	ds_read_u8 v14, v7 offset:2048
	ds_read_u8 v16, v7 offset:2056
	s_waitcnt lgkmcnt(2)
	v_cmp_lt_i16_e32 vcc, v13, v15
	s_waitcnt lgkmcnt(1)
	v_and_b32_e32 v17, 1, v14
	v_cmp_eq_u32_e64 s[0:1], 1, v17
	s_waitcnt lgkmcnt(0)
	v_cmp_ne_u16_e64 s[2:3], v16, v11
	v_cndmask_b32_e64 v17, 0, 1, s[2:3]
	s_and_b64 vcc, vcc, s[0:1]
	;; [unrolled: 27-line block ×5, first 2 shown]
	v_cndmask_b32_e32 v11, v11, v12, vcc
	v_and_b32_e32 v11, 1, v11
	v_cmp_eq_u32_e32 vcc, 1, v11
	s_and_saveexec_b64 s[0:1], vcc
	s_cbranch_execz .LBB78_61
; %bb.60:
	ds_write_b8 v2, v15
	ds_write_b8 v2, v13 offset:1
	ds_write_b8 v2, v16 offset:2048
	;; [unrolled: 1-line block ×3, first 2 shown]
.LBB78_61:
	s_or_b64 exec, exec, s[0:1]
	v_and_b32_e32 v11, 0x7f, v0
	v_sub_u32_e32 v11, v1, v11
	v_add_u32_e32 v11, 1, v11
	s_waitcnt lgkmcnt(0)
	s_barrier
	ds_read_i8 v13, v11
	ds_read_i8 v15, v11 offset:128
	ds_read_u8 v14, v11 offset:2048
	ds_read_u8 v16, v11 offset:2176
	v_lshrrev_b32_e32 v17, 7, v0
	v_and_b32_e32 v12, 0x80, v0
	v_cmp_ne_u32_e32 vcc, 0, v12
	v_and_b32_e32 v12, 1, v17
	s_waitcnt lgkmcnt(1)
	v_and_b32_e32 v18, 1, v14
	v_cmp_lt_i16_e64 s[0:1], v13, v15
	v_cmp_eq_u32_e64 s[2:3], 1, v18
	s_waitcnt lgkmcnt(0)
	v_cmp_ne_u16_e64 s[6:7], v16, v12
	v_cndmask_b32_e64 v18, 0, 1, s[6:7]
	s_and_b64 s[0:1], s[0:1], s[2:3]
	v_cndmask_b32_e64 v17, v18, v17, s[0:1]
	v_and_b32_e32 v17, 1, v17
	v_cmp_eq_u32_e64 s[0:1], 1, v17
	s_and_saveexec_b64 s[2:3], s[0:1]
	s_cbranch_execz .LBB78_63
; %bb.62:
	ds_write_b8 v11, v15
	ds_write_b8 v11, v13 offset:128
	ds_write_b8 v11, v16 offset:2048
	;; [unrolled: 1-line block ×3, first 2 shown]
.LBB78_63:
	s_or_b64 exec, exec, s[2:3]
	s_waitcnt lgkmcnt(0)
	s_barrier
	ds_read_i8 v14, v10
	ds_read_i8 v16, v10 offset:64
	ds_read_u8 v15, v10 offset:2048
	ds_read_u8 v17, v10 offset:2112
	s_waitcnt lgkmcnt(2)
	v_cmp_lt_i16_e64 s[0:1], v14, v16
	s_waitcnt lgkmcnt(1)
	v_and_b32_e32 v13, 1, v15
	v_cmp_eq_u32_e64 s[2:3], 1, v13
	s_waitcnt lgkmcnt(0)
	v_cmp_ne_u16_e64 s[6:7], v17, v12
	v_cndmask_b32_e64 v18, 0, 1, s[6:7]
	v_cndmask_b32_e64 v13, 0, 1, vcc
	s_and_b64 vcc, s[0:1], s[2:3]
	v_cndmask_b32_e32 v18, v18, v13, vcc
	v_and_b32_e32 v18, 1, v18
	v_cmp_eq_u32_e32 vcc, 1, v18
	s_and_saveexec_b64 s[0:1], vcc
	s_cbranch_execz .LBB78_65
; %bb.64:
	ds_write_b8 v10, v16
	ds_write_b8 v10, v14 offset:64
	ds_write_b8 v10, v17 offset:2048
	ds_write_b8 v10, v15 offset:2112
.LBB78_65:
	s_or_b64 exec, exec, s[0:1]
	s_waitcnt lgkmcnt(0)
	s_barrier
	ds_read_i8 v14, v9
	ds_read_i8 v16, v9 offset:32
	ds_read_u8 v15, v9 offset:2048
	ds_read_u8 v17, v9 offset:2080
	s_waitcnt lgkmcnt(2)
	v_cmp_lt_i16_e32 vcc, v14, v16
	s_waitcnt lgkmcnt(1)
	v_and_b32_e32 v18, 1, v15
	v_cmp_eq_u32_e64 s[0:1], 1, v18
	s_waitcnt lgkmcnt(0)
	v_cmp_ne_u16_e64 s[2:3], v17, v12
	v_cndmask_b32_e64 v18, 0, 1, s[2:3]
	s_and_b64 vcc, vcc, s[0:1]
	v_cndmask_b32_e32 v18, v18, v13, vcc
	v_and_b32_e32 v18, 1, v18
	v_cmp_eq_u32_e32 vcc, 1, v18
	s_and_saveexec_b64 s[0:1], vcc
	s_cbranch_execz .LBB78_67
; %bb.66:
	ds_write_b8 v9, v16
	ds_write_b8 v9, v14 offset:32
	ds_write_b8 v9, v17 offset:2048
	ds_write_b8 v9, v15 offset:2080
.LBB78_67:
	s_or_b64 exec, exec, s[0:1]
	s_waitcnt lgkmcnt(0)
	s_barrier
	ds_read_i8 v14, v8
	ds_read_i8 v16, v8 offset:16
	ds_read_u8 v15, v8 offset:2048
	ds_read_u8 v17, v8 offset:2064
	s_waitcnt lgkmcnt(2)
	v_cmp_lt_i16_e32 vcc, v14, v16
	s_waitcnt lgkmcnt(1)
	v_and_b32_e32 v18, 1, v15
	v_cmp_eq_u32_e64 s[0:1], 1, v18
	s_waitcnt lgkmcnt(0)
	v_cmp_ne_u16_e64 s[2:3], v17, v12
	v_cndmask_b32_e64 v18, 0, 1, s[2:3]
	s_and_b64 vcc, vcc, s[0:1]
	;; [unrolled: 27-line block ×6, first 2 shown]
	v_cndmask_b32_e32 v12, v12, v13, vcc
	v_and_b32_e32 v12, 1, v12
	v_cmp_eq_u32_e32 vcc, 1, v12
	s_and_saveexec_b64 s[0:1], vcc
	s_cbranch_execz .LBB78_77
; %bb.76:
	ds_write_b8 v2, v16
	ds_write_b8 v2, v14 offset:1
	ds_write_b8 v2, v17 offset:2048
	;; [unrolled: 1-line block ×3, first 2 shown]
.LBB78_77:
	s_or_b64 exec, exec, s[0:1]
	v_sub_u32_sdwa v12, v1, v0 dst_sel:DWORD dst_unused:UNUSED_PAD src0_sel:DWORD src1_sel:BYTE_0
	v_add_u32_e32 v12, 1, v12
	v_and_b32_e32 v17, 0x100, v0
	s_waitcnt lgkmcnt(0)
	s_barrier
	ds_read_i8 v14, v12
	ds_read_i8 v16, v12 offset:256
	ds_read_u8 v15, v12 offset:2048
	v_cmp_ne_u32_e32 vcc, 0, v17
	ds_read_u8 v17, v12 offset:2304
	v_bfe_u32 v18, v0, 8, 1
	s_waitcnt lgkmcnt(2)
	v_cmp_lt_i16_e64 s[0:1], v14, v16
	s_waitcnt lgkmcnt(1)
	v_and_b32_e32 v19, 1, v15
	v_cmp_eq_u32_e64 s[2:3], 1, v19
	s_waitcnt lgkmcnt(0)
	v_cmp_ne_u16_e64 s[6:7], v17, v18
	v_cndmask_b32_e64 v19, 0, 1, s[6:7]
	s_and_b64 s[0:1], s[0:1], s[2:3]
	v_cndmask_b32_e64 v18, v19, v18, s[0:1]
	v_and_b32_e32 v18, 1, v18
	v_and_b32_e32 v13, 0x100, v0
	v_cmp_eq_u32_e64 s[0:1], 1, v18
	s_and_saveexec_b64 s[2:3], s[0:1]
	s_cbranch_execz .LBB78_79
; %bb.78:
	ds_write_b8 v12, v16
	ds_write_b8 v12, v14 offset:256
	ds_write_b8 v12, v17 offset:2048
	;; [unrolled: 1-line block ×3, first 2 shown]
.LBB78_79:
	s_or_b64 exec, exec, s[2:3]
	s_waitcnt lgkmcnt(0)
	s_barrier
	ds_read_i8 v15, v11
	ds_read_i8 v17, v11 offset:128
	ds_read_u8 v16, v11 offset:2048
	ds_read_u8 v18, v11 offset:2176
	v_lshrrev_b32_e32 v13, 8, v13
	s_waitcnt lgkmcnt(2)
	v_cmp_lt_i16_e64 s[0:1], v15, v17
	s_waitcnt lgkmcnt(1)
	v_and_b32_e32 v14, 1, v16
	v_cmp_eq_u32_e64 s[2:3], 1, v14
	s_waitcnt lgkmcnt(0)
	v_cmp_ne_u16_e64 s[6:7], v18, v13
	v_cndmask_b32_e64 v19, 0, 1, s[6:7]
	v_cndmask_b32_e64 v14, 0, 1, vcc
	s_and_b64 vcc, s[0:1], s[2:3]
	v_cndmask_b32_e32 v19, v19, v14, vcc
	v_and_b32_e32 v19, 1, v19
	v_cmp_eq_u32_e32 vcc, 1, v19
	s_and_saveexec_b64 s[0:1], vcc
	s_cbranch_execz .LBB78_81
; %bb.80:
	ds_write_b8 v11, v17
	ds_write_b8 v11, v15 offset:128
	ds_write_b8 v11, v18 offset:2048
	ds_write_b8 v11, v16 offset:2176
.LBB78_81:
	s_or_b64 exec, exec, s[0:1]
	s_waitcnt lgkmcnt(0)
	s_barrier
	ds_read_i8 v15, v10
	ds_read_i8 v17, v10 offset:64
	ds_read_u8 v16, v10 offset:2048
	ds_read_u8 v18, v10 offset:2112
	s_waitcnt lgkmcnt(2)
	v_cmp_lt_i16_e32 vcc, v15, v17
	s_waitcnt lgkmcnt(1)
	v_and_b32_e32 v19, 1, v16
	v_cmp_eq_u32_e64 s[0:1], 1, v19
	s_waitcnt lgkmcnt(0)
	v_cmp_ne_u16_e64 s[2:3], v18, v13
	v_cndmask_b32_e64 v19, 0, 1, s[2:3]
	s_and_b64 vcc, vcc, s[0:1]
	v_cndmask_b32_e32 v19, v19, v14, vcc
	v_and_b32_e32 v19, 1, v19
	v_cmp_eq_u32_e32 vcc, 1, v19
	s_and_saveexec_b64 s[0:1], vcc
	s_cbranch_execz .LBB78_83
; %bb.82:
	ds_write_b8 v10, v17
	ds_write_b8 v10, v15 offset:64
	ds_write_b8 v10, v18 offset:2048
	ds_write_b8 v10, v16 offset:2112
.LBB78_83:
	s_or_b64 exec, exec, s[0:1]
	s_waitcnt lgkmcnt(0)
	s_barrier
	ds_read_i8 v15, v9
	ds_read_i8 v17, v9 offset:32
	ds_read_u8 v16, v9 offset:2048
	ds_read_u8 v18, v9 offset:2080
	s_waitcnt lgkmcnt(2)
	v_cmp_lt_i16_e32 vcc, v15, v17
	s_waitcnt lgkmcnt(1)
	v_and_b32_e32 v19, 1, v16
	v_cmp_eq_u32_e64 s[0:1], 1, v19
	s_waitcnt lgkmcnt(0)
	v_cmp_ne_u16_e64 s[2:3], v18, v13
	v_cndmask_b32_e64 v19, 0, 1, s[2:3]
	s_and_b64 vcc, vcc, s[0:1]
	;; [unrolled: 27-line block ×7, first 2 shown]
	v_cndmask_b32_e32 v13, v13, v14, vcc
	v_and_b32_e32 v13, 1, v13
	v_cmp_eq_u32_e32 vcc, 1, v13
	s_and_saveexec_b64 s[0:1], vcc
	s_cbranch_execz .LBB78_95
; %bb.94:
	ds_write_b8 v2, v17
	ds_write_b8 v2, v15 offset:1
	ds_write_b8 v2, v18 offset:2048
	;; [unrolled: 1-line block ×3, first 2 shown]
.LBB78_95:
	s_or_b64 exec, exec, s[0:1]
	v_and_b32_e32 v13, 0x1ff, v0
	v_sub_u32_e32 v13, v1, v13
	v_add_u32_e32 v13, 1, v13
	s_waitcnt lgkmcnt(0)
	s_barrier
	ds_read_i8 v15, v13
	ds_read_i8 v17, v13 offset:512
	ds_read_u8 v16, v13 offset:2048
	ds_read_u8 v18, v13 offset:2560
	s_movk_i32 s0, 0x1ff
	v_cmp_lt_u32_e32 vcc, s0, v0
	v_cndmask_b32_e64 v14, 0, 1, vcc
	s_waitcnt lgkmcnt(1)
	v_and_b32_e32 v19, 1, v16
	v_cmp_lt_i16_e32 vcc, v15, v17
	v_cmp_eq_u32_e64 s[0:1], 1, v19
	s_waitcnt lgkmcnt(0)
	v_cmp_ne_u16_e64 s[2:3], v18, v14
	v_cndmask_b32_e64 v19, 0, 1, s[2:3]
	s_and_b64 vcc, vcc, s[0:1]
	v_cndmask_b32_e32 v19, v19, v14, vcc
	v_and_b32_e32 v19, 1, v19
	v_cmp_eq_u32_e32 vcc, 1, v19
	s_and_saveexec_b64 s[0:1], vcc
	s_cbranch_execz .LBB78_97
; %bb.96:
	ds_write_b8 v13, v17
	ds_write_b8 v13, v15 offset:512
	ds_write_b8 v13, v18 offset:2048
	ds_write_b8 v13, v16 offset:2560
.LBB78_97:
	s_or_b64 exec, exec, s[0:1]
	s_waitcnt lgkmcnt(0)
	s_barrier
	ds_read_i8 v15, v12
	ds_read_i8 v17, v12 offset:256
	ds_read_u8 v16, v12 offset:2048
	ds_read_u8 v18, v12 offset:2304
	s_waitcnt lgkmcnt(2)
	v_cmp_lt_i16_e32 vcc, v15, v17
	s_waitcnt lgkmcnt(1)
	v_and_b32_e32 v19, 1, v16
	v_cmp_eq_u32_e64 s[0:1], 1, v19
	s_waitcnt lgkmcnt(0)
	v_cmp_ne_u16_e64 s[2:3], v18, v14
	v_cndmask_b32_e64 v19, 0, 1, s[2:3]
	s_and_b64 vcc, vcc, s[0:1]
	v_cndmask_b32_e32 v19, v19, v14, vcc
	v_and_b32_e32 v19, 1, v19
	v_cmp_eq_u32_e32 vcc, 1, v19
	s_and_saveexec_b64 s[0:1], vcc
	s_cbranch_execz .LBB78_99
; %bb.98:
	ds_write_b8 v12, v17
	ds_write_b8 v12, v15 offset:256
	ds_write_b8 v12, v18 offset:2048
	ds_write_b8 v12, v16 offset:2304
.LBB78_99:
	s_or_b64 exec, exec, s[0:1]
	s_waitcnt lgkmcnt(0)
	s_barrier
	ds_read_i8 v15, v11
	ds_read_i8 v17, v11 offset:128
	ds_read_u8 v16, v11 offset:2048
	ds_read_u8 v18, v11 offset:2176
	s_waitcnt lgkmcnt(2)
	v_cmp_lt_i16_e32 vcc, v15, v17
	s_waitcnt lgkmcnt(1)
	v_and_b32_e32 v19, 1, v16
	;; [unrolled: 27-line block ×9, first 2 shown]
	v_cmp_eq_u32_e64 s[0:1], 1, v19
	s_waitcnt lgkmcnt(0)
	v_cmp_ne_u16_e64 s[2:3], v18, v14
	v_cndmask_b32_e64 v19, 0, 1, s[2:3]
	s_and_b64 vcc, vcc, s[0:1]
	v_cndmask_b32_e32 v14, v19, v14, vcc
	v_and_b32_e32 v14, 1, v14
	v_cmp_eq_u32_e32 vcc, 1, v14
	s_and_saveexec_b64 s[0:1], vcc
	s_cbranch_execz .LBB78_115
; %bb.114:
	ds_write_b8 v2, v17
	ds_write_b8 v2, v15 offset:1
	ds_write_b8 v2, v18 offset:2048
	;; [unrolled: 1-line block ×3, first 2 shown]
.LBB78_115:
	s_or_b64 exec, exec, s[0:1]
	s_waitcnt lgkmcnt(0)
	s_barrier
	ds_read_i8 v15, v3
	ds_read_i8 v17, v3 offset:1024
	ds_read_u8 v16, v3 offset:2048
	ds_read_u8 v18, v3 offset:3072
	s_waitcnt lgkmcnt(2)
	v_cmp_ge_i16_e32 vcc, v15, v17
	s_waitcnt lgkmcnt(1)
	v_and_b32_e32 v14, 1, v16
	v_cmp_eq_u32_e64 s[0:1], 1, v14
	s_xor_b64 s[0:1], s[0:1], -1
	v_mov_b32_e32 v14, 0
	s_or_b64 s[0:1], vcc, s[0:1]
	s_waitcnt lgkmcnt(0)
	v_cmp_ne_u16_sdwa s[2:3], v18, v14 src0_sel:BYTE_0 src1_sel:DWORD
	s_and_b64 s[2:3], s[0:1], s[2:3]
	s_and_saveexec_b64 s[0:1], s[2:3]
	s_cbranch_execz .LBB78_117
; %bb.116:
	ds_write_b8 v3, v17
	ds_write_b8 v3, v15 offset:1024
	v_mov_b32_e32 v15, 1
	ds_write_b8 v3, v15 offset:2048
	ds_write_b8 v3, v16 offset:3072
.LBB78_117:
	s_or_b64 exec, exec, s[0:1]
	s_waitcnt lgkmcnt(0)
	s_barrier
	ds_read_i8 v15, v13
	ds_read_i8 v17, v13 offset:512
	ds_read_u8 v16, v13 offset:2048
	ds_read_u8 v18, v13 offset:2560
	s_waitcnt lgkmcnt(2)
	v_cmp_ge_i16_e32 vcc, v15, v17
	s_waitcnt lgkmcnt(1)
	v_and_b32_e32 v19, 1, v16
	v_cmp_eq_u32_e64 s[0:1], 1, v19
	s_xor_b64 s[0:1], s[0:1], -1
	s_or_b64 s[0:1], vcc, s[0:1]
	s_waitcnt lgkmcnt(0)
	v_cmp_ne_u16_sdwa s[2:3], v18, v14 src0_sel:BYTE_0 src1_sel:DWORD
	s_and_b64 s[2:3], s[0:1], s[2:3]
	s_and_saveexec_b64 s[0:1], s[2:3]
	s_cbranch_execz .LBB78_119
; %bb.118:
	v_mov_b32_e32 v14, 1
	ds_write_b8 v13, v17
	ds_write_b8 v13, v15 offset:512
	ds_write_b8 v13, v14 offset:2048
	;; [unrolled: 1-line block ×3, first 2 shown]
.LBB78_119:
	s_or_b64 exec, exec, s[0:1]
	s_waitcnt lgkmcnt(0)
	s_barrier
	ds_read_i8 v14, v12
	ds_read_i8 v16, v12 offset:256
	ds_read_u8 v15, v12 offset:2048
	ds_read_u8 v17, v12 offset:2304
	s_waitcnt lgkmcnt(2)
	v_cmp_ge_i16_e32 vcc, v14, v16
	s_waitcnt lgkmcnt(1)
	v_and_b32_e32 v13, 1, v15
	v_cmp_eq_u32_e64 s[0:1], 1, v13
	s_xor_b64 s[0:1], s[0:1], -1
	v_mov_b32_e32 v13, 0
	s_or_b64 s[0:1], vcc, s[0:1]
	s_waitcnt lgkmcnt(0)
	v_cmp_ne_u16_sdwa s[2:3], v17, v13 src0_sel:BYTE_0 src1_sel:DWORD
	s_and_b64 s[2:3], s[0:1], s[2:3]
	s_and_saveexec_b64 s[0:1], s[2:3]
	s_cbranch_execz .LBB78_121
; %bb.120:
	ds_write_b8 v12, v16
	ds_write_b8 v12, v14 offset:256
	v_mov_b32_e32 v14, 1
	ds_write_b8 v12, v14 offset:2048
	ds_write_b8 v12, v15 offset:2304
.LBB78_121:
	s_or_b64 exec, exec, s[0:1]
	s_waitcnt lgkmcnt(0)
	s_barrier
	ds_read_i8 v12, v11
	ds_read_i8 v15, v11 offset:128
	ds_read_u8 v14, v11 offset:2048
	ds_read_u8 v16, v11 offset:2176
	s_waitcnt lgkmcnt(2)
	v_cmp_ge_i16_e32 vcc, v12, v15
	s_waitcnt lgkmcnt(1)
	v_and_b32_e32 v17, 1, v14
	v_cmp_eq_u32_e64 s[0:1], 1, v17
	s_xor_b64 s[0:1], s[0:1], -1
	s_or_b64 s[0:1], vcc, s[0:1]
	s_waitcnt lgkmcnt(0)
	v_cmp_ne_u16_sdwa s[2:3], v16, v13 src0_sel:BYTE_0 src1_sel:DWORD
	s_and_b64 s[2:3], s[0:1], s[2:3]
	s_and_saveexec_b64 s[0:1], s[2:3]
	s_cbranch_execz .LBB78_123
; %bb.122:
	ds_write_b8 v11, v15
	ds_write_b8 v11, v12 offset:128
	v_mov_b32_e32 v12, 1
	ds_write_b8 v11, v12 offset:2048
	ds_write_b8 v11, v14 offset:2176
.LBB78_123:
	s_or_b64 exec, exec, s[0:1]
	s_waitcnt lgkmcnt(0)
	s_barrier
	ds_read_i8 v12, v10
	ds_read_i8 v14, v10 offset:64
	ds_read_u8 v13, v10 offset:2048
	ds_read_u8 v15, v10 offset:2112
	s_waitcnt lgkmcnt(2)
	v_cmp_ge_i16_e32 vcc, v12, v14
	s_waitcnt lgkmcnt(1)
	v_and_b32_e32 v11, 1, v13
	v_cmp_eq_u32_e64 s[0:1], 1, v11
	s_xor_b64 s[0:1], s[0:1], -1
	v_mov_b32_e32 v11, 0
	s_or_b64 s[0:1], vcc, s[0:1]
	s_waitcnt lgkmcnt(0)
	v_cmp_ne_u16_sdwa s[2:3], v15, v11 src0_sel:BYTE_0 src1_sel:DWORD
	s_and_b64 s[2:3], s[0:1], s[2:3]
	s_and_saveexec_b64 s[0:1], s[2:3]
	s_cbranch_execz .LBB78_125
; %bb.124:
	ds_write_b8 v10, v14
	ds_write_b8 v10, v12 offset:64
	v_mov_b32_e32 v12, 1
	ds_write_b8 v10, v12 offset:2048
	ds_write_b8 v10, v13 offset:2112
.LBB78_125:
	s_or_b64 exec, exec, s[0:1]
	s_waitcnt lgkmcnt(0)
	s_barrier
	ds_read_i8 v10, v9
	ds_read_i8 v13, v9 offset:32
	ds_read_u8 v12, v9 offset:2048
	ds_read_u8 v14, v9 offset:2080
	s_waitcnt lgkmcnt(2)
	v_cmp_ge_i16_e32 vcc, v10, v13
	s_waitcnt lgkmcnt(1)
	v_and_b32_e32 v15, 1, v12
	v_cmp_eq_u32_e64 s[0:1], 1, v15
	s_xor_b64 s[0:1], s[0:1], -1
	s_or_b64 s[0:1], vcc, s[0:1]
	s_waitcnt lgkmcnt(0)
	v_cmp_ne_u16_sdwa s[2:3], v14, v11 src0_sel:BYTE_0 src1_sel:DWORD
	s_and_b64 s[2:3], s[0:1], s[2:3]
	s_and_saveexec_b64 s[0:1], s[2:3]
	s_cbranch_execz .LBB78_127
; %bb.126:
	ds_write_b8 v9, v13
	ds_write_b8 v9, v10 offset:32
	v_mov_b32_e32 v10, 1
	ds_write_b8 v9, v10 offset:2048
	ds_write_b8 v9, v12 offset:2080
.LBB78_127:
	;; [unrolled: 53-line block ×4, first 2 shown]
	s_or_b64 exec, exec, s[0:1]
	s_waitcnt lgkmcnt(0)
	s_barrier
	ds_read_i8 v4, v2
	ds_read_i8 v7, v2 offset:1
	ds_read_u8 v6, v2 offset:2048
	ds_read_u8 v8, v2 offset:2049
	s_waitcnt lgkmcnt(2)
	v_cmp_ge_i16_e32 vcc, v4, v7
	s_waitcnt lgkmcnt(1)
	v_and_b32_e32 v9, 1, v6
	v_cmp_eq_u32_e64 s[0:1], 1, v9
	s_xor_b64 s[0:1], s[0:1], -1
	v_mov_b32_e32 v9, 0
	s_or_b64 s[0:1], vcc, s[0:1]
	s_waitcnt lgkmcnt(0)
	v_cmp_ne_u16_sdwa s[2:3], v8, v9 src0_sel:BYTE_0 src1_sel:DWORD
	s_and_b64 s[2:3], s[0:1], s[2:3]
	s_and_saveexec_b64 s[0:1], s[2:3]
	s_cbranch_execz .LBB78_137
; %bb.136:
	ds_write_b8 v2, v7
	ds_write_b8 v2, v4 offset:1
	v_mov_b32_e32 v4, 1
	ds_write_b8 v2, v4 offset:2048
	ds_write_b8 v2, v6 offset:2049
.LBB78_137:
	s_or_b64 exec, exec, s[0:1]
	v_cmp_eq_u32_e32 vcc, 0, v0
	s_waitcnt lgkmcnt(0)
	s_barrier
	s_barrier
	s_and_saveexec_b64 s[0:1], vcc
	s_cbranch_execz .LBB78_139
; %bb.138:
	v_mov_b32_e32 v4, 1
	v_mov_b32_e32 v6, 0
	ds_write_b8 v4, v4 offset:2052
	ds_write_b32 v4, v6 offset:2048
.LBB78_139:
	s_or_b64 exec, exec, s[0:1]
	ds_read_u8 v7, v2
	ds_read_u8 v6, v2 offset:1
	v_mad_u32_u24 v2, v0, 15, v3
	v_mul_u32_u24_e32 v4, 15, v0
	s_waitcnt lgkmcnt(0)
	v_cmp_ne_u16_e64 s[0:1], v7, v6
	v_cndmask_b32_e64 v8, 0, 1, s[0:1]
	v_cmp_eq_u16_e64 s[0:1], v7, v6
	v_cndmask_b32_e64 v7, 0, 1, s[0:1]
	s_movk_i32 s0, 0x3ff
	ds_write_b8 v2, v8 offset:2060
	ds_write_b32 v2, v7 offset:2056
	v_cmp_ne_u32_e64 s[2:3], s0, v0
	v_mov_b32_e32 v2, 0x800
	s_and_saveexec_b64 s[6:7], s[2:3]
	s_cbranch_execz .LBB78_141
; %bb.140:
	v_add_u32_e32 v7, 1, v1
	ds_read_u8 v8, v7 offset:2
	v_add_u32_e32 v2, 2, v1
	v_mad_u32_u24 v7, v0, 14, v7
	s_waitcnt lgkmcnt(0)
	v_cmp_ne_u16_e64 s[0:1], v6, v8
	v_cndmask_b32_e64 v9, 0, 1, s[0:1]
	v_cmp_eq_u16_e64 s[0:1], v6, v8
	v_cndmask_b32_e64 v6, 0, 1, s[0:1]
	ds_write_b8 v7, v9 offset:2068
	ds_write_b32 v7, v6 offset:2064
.LBB78_141:
	s_or_b64 exec, exec, s[6:7]
	v_add_u32_e32 v3, v3, v4
	s_waitcnt lgkmcnt(0)
	s_barrier
	ds_read_u8 v4, v3 offset:2060
	v_add_u32_e32 v6, 0x800, v3
	ds_read2_b32 v[6:7], v6 offset1:2
	ds_read_u8 v8, v3 offset:2052
	v_add_u32_e32 v9, 0x808, v3
	s_waitcnt lgkmcnt(2)
	v_and_b32_e32 v10, 1, v4
	v_cmp_eq_u32_e64 s[0:1], 1, v10
	s_waitcnt lgkmcnt(1)
	v_cndmask_b32_e64 v6, v6, 0, s[0:1]
	s_waitcnt lgkmcnt(0)
	v_or_b32_e32 v4, v8, v4
	v_add_u32_e32 v6, v6, v7
	v_and_b32_e32 v4, 1, v4
	ds_write2_b32 v9, v6, v4 offset1:1
	v_lshlrev_b32_e32 v4, 1, v2
	s_movk_i32 s0, 0x200
	v_cmp_gt_u32_e64 s[0:1], s0, v0
	v_lshl_add_u32 v4, v4, 3, 1
	s_waitcnt lgkmcnt(0)
	s_barrier
	s_and_saveexec_b64 s[6:7], s[0:1]
	s_cbranch_execz .LBB78_143
; %bb.142:
	ds_read_u8 v8, v4 offset:2044
	v_add_u32_e32 v6, 0x400, v4
	ds_read2_b32 v[6:7], v6 offset0:250 offset1:254
	ds_read_u8 v9, v4 offset:2028
	v_add_u32_e32 v10, 0x7f8, v4
	s_waitcnt lgkmcnt(2)
	v_and_b32_e32 v11, 1, v8
	v_cmp_eq_u32_e64 s[0:1], 1, v11
	s_waitcnt lgkmcnt(1)
	v_cndmask_b32_e64 v6, v6, 0, s[0:1]
	v_add_u32_e32 v6, v6, v7
	s_waitcnt lgkmcnt(0)
	v_or_b32_e32 v7, v9, v8
	v_and_b32_e32 v7, 1, v7
	ds_write2_b32 v10, v6, v7 offset1:1
.LBB78_143:
	s_or_b64 exec, exec, s[6:7]
	v_lshlrev_b32_e32 v6, 2, v2
	s_movk_i32 s0, 0x100
	v_cmp_gt_u32_e64 s[0:1], s0, v0
	v_lshl_add_u32 v6, v6, 3, 1
	s_waitcnt lgkmcnt(0)
	s_barrier
	s_and_saveexec_b64 s[6:7], s[0:1]
	s_cbranch_execz .LBB78_145
; %bb.144:
	ds_read_u8 v9, v6 offset:2044
	v_add_u32_e32 v7, 0x400, v6
	ds_read2_b32 v[7:8], v7 offset0:246 offset1:254
	ds_read_u8 v10, v6 offset:2012
	v_add_u32_e32 v11, 0x7f8, v6
	s_waitcnt lgkmcnt(2)
	v_and_b32_e32 v12, 1, v9
	v_cmp_eq_u32_e64 s[0:1], 1, v12
	s_waitcnt lgkmcnt(1)
	v_cndmask_b32_e64 v7, v7, 0, s[0:1]
	v_add_u32_e32 v7, v7, v8
	s_waitcnt lgkmcnt(0)
	v_or_b32_e32 v8, v10, v9
	v_and_b32_e32 v8, 1, v8
	ds_write2_b32 v11, v7, v8 offset1:1
.LBB78_145:
	s_or_b64 exec, exec, s[6:7]
	v_lshlrev_b32_e32 v7, 3, v2
	s_movk_i32 s0, 0x80
	v_cmp_gt_u32_e64 s[0:1], s0, v0
	v_lshl_add_u32 v7, v7, 3, 1
	s_waitcnt lgkmcnt(0)
	s_barrier
	s_and_saveexec_b64 s[6:7], s[0:1]
	s_cbranch_execz .LBB78_147
; %bb.146:
	ds_read_u8 v10, v7 offset:2044
	ds_read_u8 v12, v7 offset:1980
	v_add_u32_e32 v8, 0x400, v7
	ds_read2_b32 v[8:9], v8 offset0:238 offset1:254
	v_add_u32_e32 v11, 0x7f8, v7
	s_waitcnt lgkmcnt(2)
	v_and_b32_e32 v13, 1, v10
	v_cmp_eq_u32_e64 s[0:1], 1, v13
	s_waitcnt lgkmcnt(0)
	v_cndmask_b32_e64 v8, v8, 0, s[0:1]
	v_add_u32_e32 v8, v8, v9
	v_or_b32_e32 v9, v12, v10
	v_and_b32_e32 v9, 1, v9
	ds_write2_b32 v11, v8, v9 offset1:1
.LBB78_147:
	s_or_b64 exec, exec, s[6:7]
	v_lshlrev_b32_e32 v8, 4, v2
	v_cmp_gt_u32_e64 s[0:1], 64, v0
	v_lshl_add_u32 v8, v8, 3, 1
	s_waitcnt lgkmcnt(0)
	s_barrier
	s_and_saveexec_b64 s[8:9], s[0:1]
	s_cbranch_execz .LBB78_149
; %bb.148:
	ds_read_u8 v11, v8 offset:2044
	ds_read_u8 v13, v8 offset:1916
	v_add_u32_e32 v9, 0x400, v8
	ds_read2_b32 v[9:10], v9 offset0:222 offset1:254
	v_add_u32_e32 v12, 0x7f8, v8
	s_waitcnt lgkmcnt(2)
	v_and_b32_e32 v14, 1, v11
	v_cmp_eq_u32_e64 s[6:7], 1, v14
	s_waitcnt lgkmcnt(0)
	v_cndmask_b32_e64 v9, v9, 0, s[6:7]
	v_add_u32_e32 v9, v9, v10
	v_or_b32_e32 v10, v13, v11
	v_and_b32_e32 v10, 1, v10
	ds_write2_b32 v12, v9, v10 offset1:1
.LBB78_149:
	s_or_b64 exec, exec, s[8:9]
	v_lshlrev_b32_e32 v9, 5, v2
	v_cmp_gt_u32_e64 s[6:7], 32, v0
	v_lshl_add_u32 v9, v9, 3, 1
	s_waitcnt lgkmcnt(0)
	s_barrier
	s_and_saveexec_b64 s[8:9], s[6:7]
	s_cbranch_execz .LBB78_151
; %bb.150:
	ds_read_u8 v12, v9 offset:2044
	ds_read_u8 v14, v9 offset:1788
	v_add_u32_e32 v10, 0xf8, v9
	ds_read2st64_b32 v[10:11], v10 offset0:6 offset1:7
	v_add_u32_e32 v13, 0x7f8, v9
	s_waitcnt lgkmcnt(2)
	v_and_b32_e32 v15, 1, v12
	v_cmp_eq_u32_e64 s[6:7], 1, v15
	s_waitcnt lgkmcnt(0)
	v_cndmask_b32_e64 v10, v10, 0, s[6:7]
	v_add_u32_e32 v10, v10, v11
	v_or_b32_e32 v11, v14, v12
	v_and_b32_e32 v11, 1, v11
	ds_write2_b32 v13, v10, v11 offset1:1
.LBB78_151:
	s_or_b64 exec, exec, s[8:9]
	v_lshlrev_b32_e32 v10, 6, v2
	v_cmp_gt_u32_e64 s[6:7], 16, v0
	v_lshl_add_u32 v10, v10, 3, 1
	s_waitcnt lgkmcnt(0)
	s_barrier
	s_and_saveexec_b64 s[8:9], s[6:7]
	s_cbranch_execz .LBB78_153
; %bb.152:
	ds_read_u8 v13, v10 offset:2044
	ds_read_u8 v15, v10 offset:1532
	v_add_u32_e32 v11, 0xf8, v10
	ds_read2st64_b32 v[11:12], v11 offset0:5 offset1:7
	v_add_u32_e32 v14, 0x7f8, v10
	s_waitcnt lgkmcnt(2)
	v_and_b32_e32 v16, 1, v13
	v_cmp_eq_u32_e64 s[6:7], 1, v16
	s_waitcnt lgkmcnt(0)
	v_cndmask_b32_e64 v11, v11, 0, s[6:7]
	v_add_u32_e32 v11, v11, v12
	v_or_b32_e32 v12, v15, v13
	v_and_b32_e32 v12, 1, v12
	ds_write2_b32 v14, v11, v12 offset1:1
.LBB78_153:
	s_or_b64 exec, exec, s[8:9]
	v_lshlrev_b32_e32 v11, 7, v2
	v_cmp_gt_u32_e64 s[6:7], 8, v0
	v_lshl_add_u32 v11, v11, 3, 1
	s_waitcnt lgkmcnt(0)
	s_barrier
	s_and_saveexec_b64 s[8:9], s[6:7]
	s_cbranch_execz .LBB78_155
; %bb.154:
	ds_read_u8 v14, v11 offset:2044
	ds_read_u8 v16, v11 offset:1020
	v_add_u32_e32 v12, 0xf8, v11
	ds_read2st64_b32 v[12:13], v12 offset0:3 offset1:7
	v_add_u32_e32 v15, 0x7f8, v11
	s_waitcnt lgkmcnt(2)
	v_and_b32_e32 v17, 1, v14
	v_cmp_eq_u32_e64 s[6:7], 1, v17
	s_waitcnt lgkmcnt(0)
	v_cndmask_b32_e64 v12, v12, 0, s[6:7]
	v_add_u32_e32 v12, v12, v13
	v_or_b32_e32 v13, v16, v14
	v_and_b32_e32 v13, 1, v13
	ds_write2_b32 v15, v12, v13 offset1:1
.LBB78_155:
	s_or_b64 exec, exec, s[8:9]
	v_lshlrev_b32_e32 v12, 8, v2
	v_cmp_gt_u32_e64 s[6:7], 4, v0
	v_lshl_add_u32 v12, v12, 3, 1
	s_waitcnt lgkmcnt(0)
	s_barrier
	s_and_saveexec_b64 s[8:9], s[6:7]
	s_cbranch_execz .LBB78_157
; %bb.156:
	ds_read_u8 v15, v12 offset:2044
	v_add_u32_e32 v14, -8, v12
	v_add_u32_e32 v16, -4, v12
	ds_read_b32 v14, v14
	ds_read_b32 v17, v12 offset:2040
	ds_read_u8 v16, v16
	v_add_u32_e32 v13, 0x7f8, v12
	s_waitcnt lgkmcnt(3)
	v_and_b32_e32 v18, 1, v15
	v_cmp_eq_u32_e64 s[6:7], 1, v18
	s_waitcnt lgkmcnt(2)
	v_cndmask_b32_e64 v14, v14, 0, s[6:7]
	s_waitcnt lgkmcnt(0)
	v_or_b32_e32 v15, v16, v15
	v_add_u32_e32 v14, v14, v17
	v_and_b32_e32 v15, 1, v15
	ds_write2_b32 v13, v14, v15 offset1:1
.LBB78_157:
	s_or_b64 exec, exec, s[8:9]
	v_lshlrev_b32_e32 v13, 9, v2
	v_cmp_gt_u32_e64 s[6:7], 2, v0
	v_lshl_add_u32 v13, v13, 3, 1
	s_waitcnt lgkmcnt(0)
	s_barrier
	s_and_saveexec_b64 s[8:9], s[6:7]
	s_cbranch_execz .LBB78_159
; %bb.158:
	ds_read_u8 v16, v13 offset:2044
	v_add_u32_e32 v15, 0xfffff7f8, v13
	v_add_u32_e32 v17, 0xfffff7fc, v13
	ds_read_b32 v15, v15
	ds_read_b32 v18, v13 offset:2040
	ds_read_u8 v17, v17
	v_add_u32_e32 v14, 0x7f8, v13
	s_waitcnt lgkmcnt(3)
	v_and_b32_e32 v19, 1, v16
	v_cmp_eq_u32_e64 s[6:7], 1, v19
	s_waitcnt lgkmcnt(2)
	v_cndmask_b32_e64 v15, v15, 0, s[6:7]
	s_waitcnt lgkmcnt(0)
	v_or_b32_e32 v16, v17, v16
	v_add_u32_e32 v15, v15, v18
	v_and_b32_e32 v16, 1, v16
	ds_write2_b32 v14, v15, v16 offset1:1
.LBB78_159:
	s_or_b64 exec, exec, s[8:9]
	s_waitcnt lgkmcnt(0)
	s_barrier
	s_and_saveexec_b64 s[8:9], vcc
	s_cbranch_execz .LBB78_161
; %bb.160:
	v_mov_b32_e32 v14, 1
	ds_read_u8 v15, v14 offset:18428
	ds_read_b32 v16, v14 offset:10232
	ds_read_b32 v17, v14 offset:18424
	ds_read_u8 v14, v14 offset:10236
	s_add_i32 s10, 1, 0x47f8
	s_waitcnt lgkmcnt(3)
	v_and_b32_e32 v18, 1, v15
	v_cmp_eq_u32_e64 s[6:7], 1, v18
	s_waitcnt lgkmcnt(2)
	v_cndmask_b32_e64 v16, v16, 0, s[6:7]
	s_waitcnt lgkmcnt(0)
	v_or_b32_e32 v14, v14, v15
	v_add_u32_e32 v16, v16, v17
	v_and_b32_e32 v14, 1, v14
	v_mov_b32_e32 v15, s10
	ds_write2_b32 v15, v16, v14 offset1:1
.LBB78_161:
	s_or_b64 exec, exec, s[8:9]
	s_waitcnt lgkmcnt(0)
	s_barrier
	s_and_saveexec_b64 s[8:9], vcc
	s_cbranch_execz .LBB78_163
; %bb.162:
	ds_read_u8 v16, v13 offset:6140
	v_add_u32_e32 v14, 0xf8, v13
	ds_read2st64_b32 v[14:15], v14 offset0:7 offset1:23
	v_add_u32_e32 v17, 0x17f8, v13
	ds_read_u8 v13, v13 offset:2044
	s_waitcnt lgkmcnt(2)
	v_and_b32_e32 v18, 1, v16
	v_cmp_eq_u32_e64 s[6:7], 1, v18
	s_waitcnt lgkmcnt(1)
	v_cndmask_b32_e64 v14, v14, 0, s[6:7]
	v_add_u32_e32 v14, v14, v15
	s_waitcnt lgkmcnt(0)
	v_or_b32_e32 v13, v13, v16
	v_and_b32_e32 v13, 1, v13
	ds_write2_b32 v17, v14, v13 offset1:1
.LBB78_163:
	s_or_b64 exec, exec, s[8:9]
	v_cmp_gt_u32_e64 s[6:7], 3, v0
	s_waitcnt lgkmcnt(0)
	s_barrier
	s_and_saveexec_b64 s[8:9], s[6:7]
	s_cbranch_execz .LBB78_165
; %bb.164:
	ds_read_u8 v15, v12 offset:4092
	v_add_u32_e32 v13, 0xf8, v12
	ds_read2st64_b32 v[13:14], v13 offset0:7 offset1:15
	v_add_u32_e32 v16, 0xff8, v12
	ds_read_u8 v12, v12 offset:2044
	s_waitcnt lgkmcnt(2)
	v_and_b32_e32 v17, 1, v15
	v_cmp_eq_u32_e64 s[6:7], 1, v17
	s_waitcnt lgkmcnt(1)
	v_cndmask_b32_e64 v13, v13, 0, s[6:7]
	v_add_u32_e32 v13, v13, v14
	s_waitcnt lgkmcnt(0)
	v_or_b32_e32 v12, v12, v15
	v_and_b32_e32 v12, 1, v12
	ds_write2_b32 v16, v13, v12 offset1:1
.LBB78_165:
	s_or_b64 exec, exec, s[8:9]
	v_cmp_gt_u32_e64 s[6:7], 7, v0
	s_waitcnt lgkmcnt(0)
	s_barrier
	s_and_saveexec_b64 s[8:9], s[6:7]
	s_cbranch_execz .LBB78_167
; %bb.166:
	ds_read_u8 v14, v11 offset:3068
	v_add_u32_e32 v12, 0xf8, v11
	ds_read2st64_b32 v[12:13], v12 offset0:7 offset1:11
	v_add_u32_e32 v15, 0xbf8, v11
	ds_read_u8 v11, v11 offset:2044
	s_waitcnt lgkmcnt(2)
	v_and_b32_e32 v16, 1, v14
	v_cmp_eq_u32_e64 s[6:7], 1, v16
	s_waitcnt lgkmcnt(1)
	v_cndmask_b32_e64 v12, v12, 0, s[6:7]
	v_add_u32_e32 v12, v12, v13
	s_waitcnt lgkmcnt(0)
	v_or_b32_e32 v11, v11, v14
	v_and_b32_e32 v11, 1, v11
	ds_write2_b32 v15, v12, v11 offset1:1
.LBB78_167:
	s_or_b64 exec, exec, s[8:9]
	v_cmp_gt_u32_e64 s[6:7], 15, v0
	s_waitcnt lgkmcnt(0)
	s_barrier
	s_and_saveexec_b64 s[8:9], s[6:7]
	s_cbranch_execz .LBB78_169
; %bb.168:
	ds_read_u8 v13, v10 offset:2556
	v_add_u32_e32 v11, 0xf8, v10
	ds_read2st64_b32 v[11:12], v11 offset0:7 offset1:9
	v_add_u32_e32 v14, 0x9f8, v10
	ds_read_u8 v10, v10 offset:2044
	s_waitcnt lgkmcnt(2)
	v_and_b32_e32 v15, 1, v13
	v_cmp_eq_u32_e64 s[6:7], 1, v15
	s_waitcnt lgkmcnt(1)
	v_cndmask_b32_e64 v11, v11, 0, s[6:7]
	v_add_u32_e32 v11, v11, v12
	s_waitcnt lgkmcnt(0)
	v_or_b32_e32 v10, v10, v13
	v_and_b32_e32 v10, 1, v10
	ds_write2_b32 v14, v11, v10 offset1:1
.LBB78_169:
	s_or_b64 exec, exec, s[8:9]
	v_cmp_gt_u32_e64 s[6:7], 31, v0
	s_waitcnt lgkmcnt(0)
	s_barrier
	s_and_saveexec_b64 s[8:9], s[6:7]
	s_cbranch_execz .LBB78_171
; %bb.170:
	ds_read_u8 v12, v9 offset:2300
	v_add_u32_e32 v10, 0xf8, v9
	ds_read2st64_b32 v[10:11], v10 offset0:7 offset1:8
	v_add_u32_e32 v13, 0x8f8, v9
	ds_read_u8 v9, v9 offset:2044
	s_waitcnt lgkmcnt(2)
	v_and_b32_e32 v14, 1, v12
	v_cmp_eq_u32_e64 s[6:7], 1, v14
	s_waitcnt lgkmcnt(1)
	v_cndmask_b32_e64 v10, v10, 0, s[6:7]
	v_add_u32_e32 v10, v10, v11
	s_waitcnt lgkmcnt(0)
	v_or_b32_e32 v9, v9, v12
	v_and_b32_e32 v9, 1, v9
	ds_write2_b32 v13, v10, v9 offset1:1
.LBB78_171:
	s_or_b64 exec, exec, s[8:9]
	v_cmp_gt_u32_e64 s[6:7], 63, v0
	s_waitcnt lgkmcnt(0)
	s_barrier
	s_and_saveexec_b64 s[8:9], s[6:7]
	s_cbranch_execz .LBB78_173
; %bb.172:
	ds_read_u8 v11, v8 offset:2172
	v_add_u32_e32 v9, 0x600, v8
	ds_read2_b32 v[9:10], v9 offset0:126 offset1:158
	v_add_u32_e32 v12, 0x878, v8
	ds_read_u8 v8, v8 offset:2044
	s_waitcnt lgkmcnt(2)
	v_and_b32_e32 v13, 1, v11
	v_cmp_eq_u32_e64 s[6:7], 1, v13
	s_waitcnt lgkmcnt(1)
	v_cndmask_b32_e64 v9, v9, 0, s[6:7]
	v_add_u32_e32 v9, v9, v10
	s_waitcnt lgkmcnt(0)
	v_or_b32_e32 v8, v8, v11
	v_and_b32_e32 v8, 1, v8
	ds_write2_b32 v12, v9, v8 offset1:1
.LBB78_173:
	s_or_b64 exec, exec, s[8:9]
	s_movk_i32 s6, 0x7f
	v_cmp_gt_u32_e64 s[6:7], s6, v0
	s_waitcnt lgkmcnt(0)
	s_barrier
	s_and_saveexec_b64 s[8:9], s[6:7]
	s_cbranch_execz .LBB78_175
; %bb.174:
	ds_read_u8 v10, v7 offset:2108
	v_add_u32_e32 v8, 0x600, v7
	ds_read2_b32 v[8:9], v8 offset0:126 offset1:142
	v_add_u32_e32 v11, 0x838, v7
	ds_read_u8 v7, v7 offset:2044
	s_waitcnt lgkmcnt(2)
	v_and_b32_e32 v12, 1, v10
	v_cmp_eq_u32_e64 s[6:7], 1, v12
	s_waitcnt lgkmcnt(1)
	v_cndmask_b32_e64 v8, v8, 0, s[6:7]
	v_add_u32_e32 v8, v8, v9
	s_waitcnt lgkmcnt(0)
	v_or_b32_e32 v7, v7, v10
	v_and_b32_e32 v7, 1, v7
	ds_write2_b32 v11, v8, v7 offset1:1
.LBB78_175:
	s_or_b64 exec, exec, s[8:9]
	s_movk_i32 s6, 0xff
	v_cmp_gt_u32_e64 s[6:7], s6, v0
	s_waitcnt lgkmcnt(0)
	s_barrier
	s_and_saveexec_b64 s[8:9], s[6:7]
	s_cbranch_execz .LBB78_177
; %bb.176:
	ds_read_u8 v9, v6 offset:2076
	v_add_u32_e32 v7, 0x600, v6
	ds_read2_b32 v[7:8], v7 offset0:126 offset1:134
	ds_read_u8 v10, v6 offset:2044
	v_add_u32_e32 v6, 0x818, v6
	s_waitcnt lgkmcnt(2)
	v_and_b32_e32 v11, 1, v9
	v_cmp_eq_u32_e64 s[6:7], 1, v11
	s_waitcnt lgkmcnt(1)
	v_cndmask_b32_e64 v7, v7, 0, s[6:7]
	v_add_u32_e32 v7, v7, v8
	s_waitcnt lgkmcnt(0)
	v_or_b32_e32 v8, v10, v9
	v_and_b32_e32 v8, 1, v8
	ds_write2_b32 v6, v7, v8 offset1:1
.LBB78_177:
	s_or_b64 exec, exec, s[8:9]
	s_movk_i32 s6, 0x1ff
	v_cmp_gt_u32_e64 s[6:7], s6, v0
	s_waitcnt lgkmcnt(0)
	s_barrier
	s_and_saveexec_b64 s[8:9], s[6:7]
	s_cbranch_execz .LBB78_179
; %bb.178:
	ds_read_u8 v8, v4 offset:2060
	v_add_u32_e32 v6, 0x600, v4
	ds_read2_b32 v[6:7], v6 offset0:126 offset1:130
	ds_read_u8 v9, v4 offset:2044
	v_add_u32_e32 v4, 0x808, v4
	s_waitcnt lgkmcnt(2)
	v_and_b32_e32 v10, 1, v8
	v_cmp_eq_u32_e64 s[6:7], 1, v10
	s_waitcnt lgkmcnt(1)
	v_cndmask_b32_e64 v6, v6, 0, s[6:7]
	v_add_u32_e32 v6, v6, v7
	s_waitcnt lgkmcnt(0)
	v_or_b32_e32 v7, v9, v8
	v_and_b32_e32 v7, 1, v7
	ds_write2_b32 v4, v6, v7 offset1:1
.LBB78_179:
	s_or_b64 exec, exec, s[8:9]
	s_waitcnt lgkmcnt(0)
	s_barrier
	s_and_saveexec_b64 s[6:7], s[2:3]
	s_cbranch_execz .LBB78_181
; %bb.180:
	v_lshl_add_u32 v2, v2, 3, 1
	ds_read_u8 v4, v2 offset:2052
	v_add_u32_e32 v6, 0x800, v2
	ds_read_b32 v7, v3 offset:2056
	ds_read_b32 v2, v2 offset:2048
	ds_read_u8 v8, v3 offset:2060
	s_waitcnt lgkmcnt(3)
	v_and_b32_e32 v9, 1, v4
	v_cmp_eq_u32_e64 s[2:3], 1, v9
	s_waitcnt lgkmcnt(2)
	v_cndmask_b32_e64 v7, v7, 0, s[2:3]
	s_waitcnt lgkmcnt(0)
	v_or_b32_e32 v4, v8, v4
	v_add_u32_e32 v2, v7, v2
	v_and_b32_e32 v4, 1, v4
	ds_write2_b32 v6, v2, v4 offset1:1
.LBB78_181:
	s_or_b64 exec, exec, s[6:7]
	v_add_u32_e32 v2, 0x800, v3
	s_waitcnt lgkmcnt(0)
	s_barrier
	ds_read2_b32 v[6:7], v2 offset1:2
	v_or_b32_e32 v3, 1, v1
	v_cmp_gt_u32_e64 s[2:3], s16, v1
	v_cmp_gt_u32_e64 s[6:7], s16, v3
	v_cndmask_b32_e64 v4, 0, v1, s[2:3]
	s_waitcnt lgkmcnt(0)
	v_cndmask_b32_e64 v2, 0, v6, s[2:3]
	v_mbcnt_lo_u32_b32 v6, -1, 0
	v_cndmask_b32_e64 v7, 0, v7, s[6:7]
	v_mbcnt_hi_u32_b32 v11, -1, v6
	v_mov_b32_e32 v6, 0x80
	v_cndmask_b32_e64 v8, 0, v3, s[6:7]
	v_max_u32_e32 v9, v7, v2
	v_lshl_or_b32 v6, v11, 2, v6
	v_cmp_gt_u32_e64 s[8:9], v7, v2
	ds_bpermute_b32 v10, v6, v9
	v_cndmask_b32_e64 v2, v4, v8, s[8:9]
	ds_bpermute_b32 v4, v6, v2
	v_and_b32_e32 v12, 63, v11
	v_cmp_gt_u32_e64 s[8:9], 48, v12
	v_cndmask_b32_e64 v7, 0, 16, s[8:9]
	s_waitcnt lgkmcnt(1)
	v_max_u32_e32 v13, v10, v9
	v_add_lshl_u32 v7, v7, v11, 2
	v_cmp_gt_u32_e64 s[8:9], v10, v9
	ds_bpermute_b32 v14, v7, v13
	s_waitcnt lgkmcnt(1)
	v_cndmask_b32_e64 v2, v2, v4, s[8:9]
	ds_bpermute_b32 v4, v7, v2
	v_cmp_gt_u32_e64 s[8:9], 56, v12
	v_cndmask_b32_e64 v8, 0, 8, s[8:9]
	s_waitcnt lgkmcnt(1)
	v_max_u32_e32 v10, v14, v13
	v_add_lshl_u32 v8, v8, v11, 2
	v_cmp_gt_u32_e64 s[8:9], v14, v13
	ds_bpermute_b32 v15, v8, v10
	s_waitcnt lgkmcnt(1)
	v_cndmask_b32_e64 v2, v2, v4, s[8:9]
	ds_bpermute_b32 v4, v8, v2
	v_cmp_gt_u32_e64 s[8:9], 60, v12
	v_cndmask_b32_e64 v9, 0, 4, s[8:9]
	s_waitcnt lgkmcnt(1)
	v_max_u32_e32 v13, v15, v10
	v_add_lshl_u32 v9, v9, v11, 2
	v_cmp_gt_u32_e64 s[8:9], v15, v10
	ds_bpermute_b32 v14, v9, v13
	s_waitcnt lgkmcnt(1)
	v_cndmask_b32_e64 v2, v2, v4, s[8:9]
	ds_bpermute_b32 v4, v9, v2
	v_cmp_gt_u32_e64 s[8:9], 62, v12
	v_cndmask_b32_e64 v10, 0, 2, s[8:9]
	s_waitcnt lgkmcnt(1)
	v_max_u32_e32 v15, v14, v13
	v_add_lshl_u32 v10, v10, v11, 2
	v_cmp_gt_u32_e64 s[8:9], v14, v13
	ds_bpermute_b32 v16, v10, v15
	s_waitcnt lgkmcnt(1)
	v_cndmask_b32_e64 v4, v2, v4, s[8:9]
	ds_bpermute_b32 v13, v10, v4
	s_waitcnt lgkmcnt(0)
	s_barrier
	v_cmp_gt_u32_e64 s[8:9], v16, v15
	v_max_u32_e32 v2, v16, v15
	v_cndmask_b32_e64 v4, v4, v13, s[8:9]
	v_cmp_ne_u32_e64 s[8:9], 63, v12
	v_addc_co_u32_e64 v11, s[8:9], 0, v11, s[8:9]
	v_lshlrev_b32_e32 v11, 2, v11
	ds_bpermute_b32 v12, v11, v4
	ds_bpermute_b32 v13, v11, v2
	v_cmp_eq_u32_e64 s[8:9], 0, v5
	s_waitcnt lgkmcnt(0)
	s_barrier
	s_and_saveexec_b64 s[12:13], s[8:9]
	s_cbranch_execz .LBB78_183
; %bb.182:
	v_lshrrev_b32_e32 v14, 3, v0
	v_add_u32_e32 v14, 1, v14
	v_cmp_gt_u32_e64 s[10:11], v13, v2
	v_add_u32_e32 v14, 0x800, v14
	v_cndmask_b32_e64 v4, v4, v12, s[10:11]
	v_max_u32_e32 v2, v13, v2
	ds_write2_b32 v14, v2, v4 offset1:1
.LBB78_183:
	s_or_b64 exec, exec, s[12:13]
	s_lshr_b32 s10, s18, 6
	v_cmp_gt_u32_e64 s[10:11], s10, v0
	v_lshl_add_u32 v12, v5, 3, 1
	v_mov_b32_e32 v2, 0
	v_mov_b32_e32 v4, 0
	s_waitcnt lgkmcnt(0)
	s_barrier
	s_and_saveexec_b64 s[12:13], s[10:11]
	s_cbranch_execnz .LBB78_198
; %bb.184:
	s_or_b64 exec, exec, s[12:13]
	s_and_saveexec_b64 s[12:13], s[10:11]
	s_cbranch_execnz .LBB78_199
.LBB78_185:
	s_or_b64 exec, exec, s[12:13]
	s_and_saveexec_b64 s[18:19], s[0:1]
	s_cbranch_execnz .LBB78_200
.LBB78_186:
	s_or_b64 exec, exec, s[18:19]
	s_and_saveexec_b64 s[12:13], vcc
	s_cbranch_execz .LBB78_188
.LBB78_187:
	s_waitcnt lgkmcnt(0)
	v_add_u32_e32 v2, 1, v2
	ds_read_u8 v2, v2
	v_mov_b32_e32 v4, 0
	s_waitcnt lgkmcnt(0)
	ds_write_b8 v4, v2
.LBB78_188:
	s_or_b64 exec, exec, s[12:13]
	s_waitcnt lgkmcnt(0)
	v_mov_b32_e32 v2, 0
	v_cmp_gt_i64_e64 s[12:13], s[16:17], v[1:2]
	v_mov_b32_e32 v13, 0
	s_barrier
	s_and_saveexec_b64 s[18:19], s[12:13]
	s_cbranch_execz .LBB78_190
; %bb.189:
	v_add_u32_e32 v4, s21, v1
	global_load_ubyte v4, v4, s[14:15]
	v_mov_b32_e32 v13, 0
	ds_read_u8 v13, v13
	s_waitcnt vmcnt(0) lgkmcnt(0)
	v_cmp_eq_u16_e64 s[12:13], v4, v13
	v_cndmask_b32_e64 v13, 0, v1, s[12:13]
.LBB78_190:
	s_or_b64 exec, exec, s[18:19]
	v_mov_b32_e32 v4, v2
	v_cmp_gt_i64_e64 s[12:13], s[16:17], v[3:4]
	s_and_saveexec_b64 s[16:17], s[12:13]
	s_cbranch_execz .LBB78_192
; %bb.191:
	v_add_u32_e32 v1, s21, v3
	global_load_ubyte v1, v1, s[14:15]
	v_mov_b32_e32 v2, 0
	ds_read_u8 v2, v2
	s_waitcnt vmcnt(0) lgkmcnt(0)
	v_cmp_eq_u16_e64 s[12:13], v1, v2
	v_cndmask_b32_e64 v2, 0, v3, s[12:13]
.LBB78_192:
	s_or_b64 exec, exec, s[16:17]
	v_cndmask_b32_e64 v1, 0, v13, s[2:3]
	v_max_u32_e32 v2, v2, v1
	v_cndmask_b32_e64 v1, v1, v2, s[6:7]
	ds_bpermute_b32 v2, v6, v1
	s_waitcnt lgkmcnt(0)
	s_barrier
	v_max_u32_e32 v1, v2, v1
	ds_bpermute_b32 v2, v7, v1
	s_waitcnt lgkmcnt(0)
	v_max_u32_e32 v1, v2, v1
	ds_bpermute_b32 v2, v8, v1
	s_waitcnt lgkmcnt(0)
	;; [unrolled: 3-line block ×4, first 2 shown]
	v_max_u32_e32 v1, v2, v1
	ds_bpermute_b32 v2, v11, v1
	s_and_saveexec_b64 s[2:3], s[8:9]
	s_cbranch_execz .LBB78_194
; %bb.193:
	v_lshrrev_b32_e32 v0, 4, v0
	v_add_u32_e32 v0, 1, v0
	s_waitcnt lgkmcnt(0)
	v_max_u32_e32 v1, v2, v1
	ds_write_b32 v0, v1
.LBB78_194:
	s_or_b64 exec, exec, s[2:3]
	v_mov_b32_e32 v0, 0
	s_waitcnt lgkmcnt(0)
	s_barrier
	s_and_saveexec_b64 s[2:3], s[10:11]
	s_cbranch_execnz .LBB78_201
; %bb.195:
	s_or_b64 exec, exec, s[2:3]
	s_and_saveexec_b64 s[2:3], s[0:1]
	s_cbranch_execnz .LBB78_202
.LBB78_196:
	s_or_b64 exec, exec, s[2:3]
	s_and_saveexec_b64 s[0:1], vcc
	s_cbranch_execnz .LBB78_203
.LBB78_197:
	s_endpgm
.LBB78_198:
	ds_read_b32 v4, v12 offset:2048
	s_or_b64 exec, exec, s[12:13]
	s_and_saveexec_b64 s[12:13], s[10:11]
	s_cbranch_execz .LBB78_185
.LBB78_199:
	ds_read_b32 v2, v12 offset:2052
	s_or_b64 exec, exec, s[12:13]
	s_and_saveexec_b64 s[18:19], s[0:1]
	s_cbranch_execz .LBB78_186
.LBB78_200:
	s_waitcnt lgkmcnt(0)
	ds_bpermute_b32 v13, v6, v4
	ds_bpermute_b32 v14, v6, v2
	s_waitcnt lgkmcnt(1)
	v_max_u32_e32 v15, v13, v4
	v_cmp_gt_u32_e64 s[12:13], v13, v4
	ds_bpermute_b32 v16, v7, v15
	s_waitcnt lgkmcnt(1)
	v_cndmask_b32_e64 v2, v2, v14, s[12:13]
	ds_bpermute_b32 v4, v7, v2
	s_waitcnt lgkmcnt(1)
	v_max_u32_e32 v13, v16, v15
	v_cmp_gt_u32_e64 s[12:13], v16, v15
	ds_bpermute_b32 v14, v8, v13
	s_waitcnt lgkmcnt(1)
	v_cndmask_b32_e64 v2, v2, v4, s[12:13]
	;; [unrolled: 7-line block ×4, first 2 shown]
	ds_bpermute_b32 v4, v10, v2
	s_waitcnt lgkmcnt(1)
	v_max_u32_e32 v15, v14, v13
	v_cmp_gt_u32_e64 s[12:13], v14, v13
	s_waitcnt lgkmcnt(0)
	v_cndmask_b32_e64 v2, v2, v4, s[12:13]
	ds_bpermute_b32 v4, v11, v15
	ds_bpermute_b32 v13, v11, v2
	s_waitcnt lgkmcnt(1)
	v_cmp_gt_u32_e64 s[12:13], v4, v15
	s_waitcnt lgkmcnt(0)
	v_cndmask_b32_e64 v2, v2, v13, s[12:13]
	s_or_b64 exec, exec, s[18:19]
	s_and_saveexec_b64 s[12:13], vcc
	s_cbranch_execnz .LBB78_187
	s_branch .LBB78_188
.LBB78_201:
	v_lshlrev_b32_e32 v0, 2, v5
	v_sub_u32_e32 v0, v12, v0
	ds_read_b32 v0, v0
	s_or_b64 exec, exec, s[2:3]
	s_and_saveexec_b64 s[2:3], s[0:1]
	s_cbranch_execz .LBB78_196
.LBB78_202:
	s_waitcnt lgkmcnt(0)
	ds_bpermute_b32 v1, v6, v0
	s_waitcnt lgkmcnt(0)
	v_max_u32_e32 v0, v1, v0
	ds_bpermute_b32 v1, v7, v0
	s_waitcnt lgkmcnt(0)
	v_max_u32_e32 v0, v1, v0
	;; [unrolled: 3-line block ×6, first 2 shown]
	s_or_b64 exec, exec, s[2:3]
	s_and_saveexec_b64 s[0:1], vcc
	s_cbranch_execz .LBB78_197
.LBB78_203:
	s_load_dword s6, s[4:5], 0xd8
	s_load_dwordx2 s[0:1], s[4:5], 0xe0
	s_add_u32 s2, s4, 8
	s_addc_u32 s3, s5, 0
	s_mov_b32 s5, 0
	s_waitcnt lgkmcnt(0)
	s_cmp_lt_i32 s6, 2
	s_cbranch_scc1 .LBB78_206
; %bb.204:
	s_add_i32 s4, s6, -1
	s_add_i32 s8, s6, 1
	s_lshl_b64 s[6:7], s[4:5], 2
	s_add_u32 s4, s2, s6
	s_addc_u32 s7, s3, s7
	s_add_u32 s6, s4, 8
	s_addc_u32 s7, s7, 0
.LBB78_205:                             ; =>This Inner Loop Header: Depth=1
	s_load_dword s4, s[6:7], 0x0
	s_load_dword s10, s[6:7], 0x64
	s_mov_b32 s9, s20
	s_waitcnt lgkmcnt(0)
	v_cvt_f32_u32_e32 v1, s4
	s_sub_i32 s11, 0, s4
	v_rcp_iflag_f32_e32 v1, v1
	v_mul_f32_e32 v1, 0x4f7ffffe, v1
	v_cvt_u32_f32_e32 v1, v1
	v_readfirstlane_b32 s12, v1
	s_mul_i32 s11, s11, s12
	s_mul_hi_u32 s11, s12, s11
	s_add_i32 s12, s12, s11
	s_mul_hi_u32 s11, s20, s12
	s_mul_i32 s12, s11, s4
	s_sub_i32 s12, s20, s12
	s_add_i32 s13, s11, 1
	s_sub_i32 s14, s12, s4
	s_cmp_ge_u32 s12, s4
	s_cselect_b32 s11, s13, s11
	s_cselect_b32 s12, s14, s12
	s_add_i32 s13, s11, 1
	s_cmp_ge_u32 s12, s4
	s_cselect_b32 s20, s13, s11
	s_mul_i32 s4, s20, s4
	s_sub_i32 s4, s9, s4
	s_mul_i32 s4, s10, s4
	s_add_i32 s8, s8, -1
	s_add_i32 s5, s4, s5
	s_add_u32 s6, s6, -4
	s_addc_u32 s7, s7, -1
	s_cmp_gt_u32 s8, 2
	s_cbranch_scc1 .LBB78_205
.LBB78_206:
	s_load_dword s4, s[2:3], 0x6c
	v_mov_b32_e32 v1, 0
	s_load_dwordx2 s[2:3], s[2:3], 0x0
	ds_read_u8 v2, v1
	s_mov_b32 s7, 0
	s_waitcnt lgkmcnt(0)
	s_mul_i32 s4, s4, s20
	s_add_i32 s6, s4, s5
	v_mov_b32_e32 v3, s6
	global_store_byte v3, v2, s[2:3]
	s_lshl_b64 s[2:3], s[6:7], 3
	s_add_u32 s0, s0, s2
	s_addc_u32 s1, s1, s3
	global_store_dwordx2 v1, v[0:1], s[0:1]
	s_endpgm
	.section	.rodata,"a",@progbits
	.p2align	6, 0x0
	.amdhsa_kernel _ZN2at6native12compute_modeIaLj2048EEEvPKT_NS_4cuda6detail10TensorInfoIS2_jEENS7_IljEEll
		.amdhsa_group_segment_fixed_size 1
		.amdhsa_private_segment_fixed_size 0
		.amdhsa_kernarg_size 712
		.amdhsa_user_sgpr_count 6
		.amdhsa_user_sgpr_private_segment_buffer 1
		.amdhsa_user_sgpr_dispatch_ptr 0
		.amdhsa_user_sgpr_queue_ptr 0
		.amdhsa_user_sgpr_kernarg_segment_ptr 1
		.amdhsa_user_sgpr_dispatch_id 0
		.amdhsa_user_sgpr_flat_scratch_init 0
		.amdhsa_user_sgpr_private_segment_size 0
		.amdhsa_uses_dynamic_stack 0
		.amdhsa_system_sgpr_private_segment_wavefront_offset 0
		.amdhsa_system_sgpr_workgroup_id_x 1
		.amdhsa_system_sgpr_workgroup_id_y 1
		.amdhsa_system_sgpr_workgroup_id_z 1
		.amdhsa_system_sgpr_workgroup_info 0
		.amdhsa_system_vgpr_workitem_id 0
		.amdhsa_next_free_vgpr 20
		.amdhsa_next_free_sgpr 22
		.amdhsa_reserve_vcc 1
		.amdhsa_reserve_flat_scratch 0
		.amdhsa_float_round_mode_32 0
		.amdhsa_float_round_mode_16_64 0
		.amdhsa_float_denorm_mode_32 3
		.amdhsa_float_denorm_mode_16_64 3
		.amdhsa_dx10_clamp 1
		.amdhsa_ieee_mode 1
		.amdhsa_fp16_overflow 0
		.amdhsa_exception_fp_ieee_invalid_op 0
		.amdhsa_exception_fp_denorm_src 0
		.amdhsa_exception_fp_ieee_div_zero 0
		.amdhsa_exception_fp_ieee_overflow 0
		.amdhsa_exception_fp_ieee_underflow 0
		.amdhsa_exception_fp_ieee_inexact 0
		.amdhsa_exception_int_div_zero 0
	.end_amdhsa_kernel
	.section	.text._ZN2at6native12compute_modeIaLj2048EEEvPKT_NS_4cuda6detail10TensorInfoIS2_jEENS7_IljEEll,"axG",@progbits,_ZN2at6native12compute_modeIaLj2048EEEvPKT_NS_4cuda6detail10TensorInfoIS2_jEENS7_IljEEll,comdat
.Lfunc_end78:
	.size	_ZN2at6native12compute_modeIaLj2048EEEvPKT_NS_4cuda6detail10TensorInfoIS2_jEENS7_IljEEll, .Lfunc_end78-_ZN2at6native12compute_modeIaLj2048EEEvPKT_NS_4cuda6detail10TensorInfoIS2_jEENS7_IljEEll
                                        ; -- End function
	.set _ZN2at6native12compute_modeIaLj2048EEEvPKT_NS_4cuda6detail10TensorInfoIS2_jEENS7_IljEEll.num_vgpr, 20
	.set _ZN2at6native12compute_modeIaLj2048EEEvPKT_NS_4cuda6detail10TensorInfoIS2_jEENS7_IljEEll.num_agpr, 0
	.set _ZN2at6native12compute_modeIaLj2048EEEvPKT_NS_4cuda6detail10TensorInfoIS2_jEENS7_IljEEll.numbered_sgpr, 22
	.set _ZN2at6native12compute_modeIaLj2048EEEvPKT_NS_4cuda6detail10TensorInfoIS2_jEENS7_IljEEll.num_named_barrier, 0
	.set _ZN2at6native12compute_modeIaLj2048EEEvPKT_NS_4cuda6detail10TensorInfoIS2_jEENS7_IljEEll.private_seg_size, 0
	.set _ZN2at6native12compute_modeIaLj2048EEEvPKT_NS_4cuda6detail10TensorInfoIS2_jEENS7_IljEEll.uses_vcc, 1
	.set _ZN2at6native12compute_modeIaLj2048EEEvPKT_NS_4cuda6detail10TensorInfoIS2_jEENS7_IljEEll.uses_flat_scratch, 0
	.set _ZN2at6native12compute_modeIaLj2048EEEvPKT_NS_4cuda6detail10TensorInfoIS2_jEENS7_IljEEll.has_dyn_sized_stack, 0
	.set _ZN2at6native12compute_modeIaLj2048EEEvPKT_NS_4cuda6detail10TensorInfoIS2_jEENS7_IljEEll.has_recursion, 0
	.set _ZN2at6native12compute_modeIaLj2048EEEvPKT_NS_4cuda6detail10TensorInfoIS2_jEENS7_IljEEll.has_indirect_call, 0
	.section	.AMDGPU.csdata,"",@progbits
; Kernel info:
; codeLenInByte = 14824
; TotalNumSgprs: 26
; NumVgprs: 20
; ScratchSize: 0
; MemoryBound: 0
; FloatMode: 240
; IeeeMode: 1
; LDSByteSize: 1 bytes/workgroup (compile time only)
; SGPRBlocks: 3
; VGPRBlocks: 4
; NumSGPRsForWavesPerEU: 26
; NumVGPRsForWavesPerEU: 20
; Occupancy: 10
; WaveLimiterHint : 1
; COMPUTE_PGM_RSRC2:SCRATCH_EN: 0
; COMPUTE_PGM_RSRC2:USER_SGPR: 6
; COMPUTE_PGM_RSRC2:TRAP_HANDLER: 0
; COMPUTE_PGM_RSRC2:TGID_X_EN: 1
; COMPUTE_PGM_RSRC2:TGID_Y_EN: 1
; COMPUTE_PGM_RSRC2:TGID_Z_EN: 1
; COMPUTE_PGM_RSRC2:TIDIG_COMP_CNT: 0
	.section	.text._ZN2at6native12compute_modeIaLj1024EEEvPKT_NS_4cuda6detail10TensorInfoIS2_jEENS7_IljEEll,"axG",@progbits,_ZN2at6native12compute_modeIaLj1024EEEvPKT_NS_4cuda6detail10TensorInfoIS2_jEENS7_IljEEll,comdat
	.protected	_ZN2at6native12compute_modeIaLj1024EEEvPKT_NS_4cuda6detail10TensorInfoIS2_jEENS7_IljEEll ; -- Begin function _ZN2at6native12compute_modeIaLj1024EEEvPKT_NS_4cuda6detail10TensorInfoIS2_jEENS7_IljEEll
	.globl	_ZN2at6native12compute_modeIaLj1024EEEvPKT_NS_4cuda6detail10TensorInfoIS2_jEENS7_IljEEll
	.p2align	8
	.type	_ZN2at6native12compute_modeIaLj1024EEEvPKT_NS_4cuda6detail10TensorInfoIS2_jEENS7_IljEEll,@function
_ZN2at6native12compute_modeIaLj1024EEEvPKT_NS_4cuda6detail10TensorInfoIS2_jEENS7_IljEEll: ; @_ZN2at6native12compute_modeIaLj1024EEEvPKT_NS_4cuda6detail10TensorInfoIS2_jEENS7_IljEEll
; %bb.0:
	s_load_dwordx2 s[2:3], s[4:5], 0x1c8
	s_load_dwordx4 s[16:19], s[4:5], 0x1b8
	s_add_u32 s0, s4, 0x1c8
	s_addc_u32 s1, s5, 0
	v_mov_b32_e32 v2, 0
	s_waitcnt lgkmcnt(0)
	s_mul_i32 s3, s3, s8
	s_add_i32 s3, s3, s7
	s_mul_i32 s2, s3, s2
	s_add_i32 s20, s2, s6
	v_mov_b32_e32 v1, s20
	v_cmp_le_i64_e32 vcc, s[18:19], v[1:2]
	s_cbranch_vccnz .LBB79_173
; %bb.1:
	s_load_dwordx2 s[14:15], s[4:5], 0x0
	s_load_dword s2, s[0:1], 0xc
	v_mov_b32_e32 v1, v2
	v_cmp_gt_i64_e32 vcc, s[16:17], v[0:1]
	s_mul_i32 s21, s20, s16
	v_add_u32_e32 v3, 1, v0
	s_and_saveexec_b64 s[0:1], vcc
	s_cbranch_execz .LBB79_3
; %bb.2:
	v_add_u32_e32 v1, s21, v0
	s_waitcnt lgkmcnt(0)
	global_load_ubyte v1, v1, s[14:15]
	s_waitcnt vmcnt(0)
	ds_write_b8 v3, v1
.LBB79_3:
	s_or_b64 exec, exec, s[0:1]
	s_waitcnt lgkmcnt(0)
	s_and_b32 s18, 0xffff, s2
	v_add_u32_e32 v1, s18, v0
	v_cmp_gt_i64_e64 s[0:1], s[16:17], v[1:2]
	s_and_saveexec_b64 s[2:3], s[0:1]
	s_cbranch_execz .LBB79_5
; %bb.4:
	v_add_u32_e32 v2, s21, v1
	global_load_ubyte v2, v2, s[14:15]
	v_add_u32_e32 v1, 1, v1
	s_waitcnt vmcnt(0)
	ds_write_b8 v1, v2
.LBB79_5:
	s_or_b64 exec, exec, s[2:3]
	v_cndmask_b32_e64 v1, 0, 1, vcc
	ds_write_b8 v3, v1 offset:1024
	v_add_u32_e32 v1, s18, v3
	v_cndmask_b32_e64 v2, 0, 1, s[0:1]
	ds_write_b8 v1, v2 offset:1024
	v_add_u32_e32 v2, v3, v0
	s_waitcnt lgkmcnt(0)
	s_barrier
	s_barrier
	ds_read_i8 v1, v2
	ds_read_i8 v5, v2 offset:1
	ds_read_u8 v4, v2 offset:1024
	ds_read_u8 v6, v2 offset:1025
	v_and_b32_e32 v3, 1, v0
	s_waitcnt lgkmcnt(2)
	v_cmp_lt_i16_e32 vcc, v1, v5
	s_waitcnt lgkmcnt(1)
	v_and_b32_e32 v7, 1, v4
	v_cmp_eq_u32_e64 s[0:1], 1, v7
	s_waitcnt lgkmcnt(0)
	v_cmp_ne_u16_e64 s[2:3], v6, v3
	v_cndmask_b32_e64 v7, 0, 1, s[2:3]
	s_and_b64 vcc, vcc, s[0:1]
	v_cndmask_b32_e32 v7, v7, v0, vcc
	v_and_b32_e32 v7, 1, v7
	v_cmp_eq_u32_e32 vcc, 1, v7
	s_and_saveexec_b64 s[0:1], vcc
	s_cbranch_execz .LBB79_7
; %bb.6:
	ds_write_b8 v2, v5
	ds_write_b8 v2, v1 offset:1
	ds_write_b8 v2, v6 offset:1024
	;; [unrolled: 1-line block ×3, first 2 shown]
.LBB79_7:
	s_or_b64 exec, exec, s[0:1]
	v_lshlrev_b32_e32 v1, 1, v0
	v_sub_u32_e32 v3, v1, v3
	v_add_u32_e32 v3, 1, v3
	s_waitcnt lgkmcnt(0)
	s_barrier
	ds_read_i8 v5, v3
	ds_read_i8 v7, v3 offset:2
	ds_read_u8 v6, v3 offset:1024
	ds_read_u8 v8, v3 offset:1026
	v_bfe_u32 v9, v0, 1, 1
	v_and_b32_e32 v4, 2, v0
	s_waitcnt lgkmcnt(2)
	v_cmp_lt_i16_e64 s[0:1], v5, v7
	s_waitcnt lgkmcnt(1)
	v_and_b32_e32 v10, 1, v6
	v_cmp_eq_u32_e64 s[2:3], 1, v10
	s_waitcnt lgkmcnt(0)
	v_cmp_ne_u16_e64 s[6:7], v8, v9
	v_cndmask_b32_e64 v10, 0, 1, s[6:7]
	s_and_b64 s[0:1], s[0:1], s[2:3]
	v_cndmask_b32_e64 v9, v10, v9, s[0:1]
	v_and_b32_e32 v9, 1, v9
	v_cmp_ne_u32_e32 vcc, 0, v4
	v_cmp_eq_u32_e64 s[0:1], 1, v9
	s_and_saveexec_b64 s[2:3], s[0:1]
	s_xor_b64 s[0:1], exec, s[2:3]
	s_cbranch_execz .LBB79_9
; %bb.8:
	ds_write_b8 v3, v7
	ds_write_b8 v3, v5 offset:2
	ds_write_b8 v3, v8 offset:1024
	;; [unrolled: 1-line block ×3, first 2 shown]
.LBB79_9:
	s_or_b64 exec, exec, s[0:1]
	s_waitcnt lgkmcnt(0)
	s_barrier
	ds_read_i8 v5, v2
	ds_read_i8 v7, v2 offset:1
	ds_read_u8 v6, v2 offset:1024
	ds_read_u8 v8, v2 offset:1025
	v_lshrrev_b32_e32 v4, 1, v4
	s_waitcnt lgkmcnt(2)
	v_cmp_lt_i16_e64 s[0:1], v5, v7
	s_waitcnt lgkmcnt(1)
	v_and_b32_e32 v9, 1, v6
	v_cmp_eq_u32_e64 s[2:3], 1, v9
	s_waitcnt lgkmcnt(0)
	v_cmp_ne_u16_e64 s[6:7], v8, v4
	v_cndmask_b32_e64 v4, 0, 1, s[6:7]
	v_cndmask_b32_e64 v9, 0, 1, vcc
	s_and_b64 vcc, s[0:1], s[2:3]
	v_cndmask_b32_e32 v4, v4, v9, vcc
	v_and_b32_e32 v4, 1, v4
	v_cmp_eq_u32_e32 vcc, 1, v4
	s_and_saveexec_b64 s[0:1], vcc
	s_cbranch_execz .LBB79_11
; %bb.10:
	ds_write_b8 v2, v7
	ds_write_b8 v2, v5 offset:1
	ds_write_b8 v2, v8 offset:1024
	;; [unrolled: 1-line block ×3, first 2 shown]
.LBB79_11:
	s_or_b64 exec, exec, s[0:1]
	v_and_b32_e32 v4, 3, v0
	v_sub_u32_e32 v4, v1, v4
	v_add_u32_e32 v4, 1, v4
	s_waitcnt lgkmcnt(0)
	s_barrier
	ds_read_i8 v6, v4
	ds_read_i8 v8, v4 offset:4
	ds_read_u8 v7, v4 offset:1024
	ds_read_u8 v9, v4 offset:1028
	v_bfe_u32 v10, v0, 2, 1
	v_and_b32_e32 v5, 4, v0
	s_waitcnt lgkmcnt(2)
	v_cmp_lt_i16_e64 s[0:1], v6, v8
	s_waitcnt lgkmcnt(1)
	v_and_b32_e32 v11, 1, v7
	v_cmp_eq_u32_e64 s[2:3], 1, v11
	s_waitcnt lgkmcnt(0)
	v_cmp_ne_u16_e64 s[6:7], v9, v10
	v_cndmask_b32_e64 v11, 0, 1, s[6:7]
	s_and_b64 s[0:1], s[0:1], s[2:3]
	v_cndmask_b32_e64 v10, v11, v10, s[0:1]
	v_and_b32_e32 v10, 1, v10
	v_cmp_ne_u32_e32 vcc, 0, v5
	v_cmp_eq_u32_e64 s[0:1], 1, v10
	s_and_saveexec_b64 s[2:3], s[0:1]
	s_cbranch_execz .LBB79_13
; %bb.12:
	ds_write_b8 v4, v8
	ds_write_b8 v4, v6 offset:4
	ds_write_b8 v4, v9 offset:1024
	;; [unrolled: 1-line block ×3, first 2 shown]
.LBB79_13:
	s_or_b64 exec, exec, s[2:3]
	s_waitcnt lgkmcnt(0)
	s_barrier
	ds_read_i8 v7, v3
	ds_read_i8 v9, v3 offset:2
	ds_read_u8 v8, v3 offset:1024
	ds_read_u8 v10, v3 offset:1026
	v_lshrrev_b32_e32 v5, 2, v5
	s_waitcnt lgkmcnt(2)
	v_cmp_lt_i16_e64 s[0:1], v7, v9
	s_waitcnt lgkmcnt(1)
	v_and_b32_e32 v6, 1, v8
	v_cmp_eq_u32_e64 s[2:3], 1, v6
	s_waitcnt lgkmcnt(0)
	v_cmp_ne_u16_e64 s[6:7], v10, v5
	v_cndmask_b32_e64 v11, 0, 1, s[6:7]
	v_cndmask_b32_e64 v6, 0, 1, vcc
	s_and_b64 vcc, s[0:1], s[2:3]
	v_cndmask_b32_e32 v11, v11, v6, vcc
	v_and_b32_e32 v11, 1, v11
	v_cmp_eq_u32_e32 vcc, 1, v11
	s_and_saveexec_b64 s[0:1], vcc
	s_cbranch_execz .LBB79_15
; %bb.14:
	ds_write_b8 v3, v9
	ds_write_b8 v3, v7 offset:2
	ds_write_b8 v3, v10 offset:1024
	;; [unrolled: 1-line block ×3, first 2 shown]
.LBB79_15:
	s_or_b64 exec, exec, s[0:1]
	s_waitcnt lgkmcnt(0)
	s_barrier
	ds_read_i8 v7, v2
	ds_read_i8 v9, v2 offset:1
	ds_read_u8 v8, v2 offset:1024
	ds_read_u8 v10, v2 offset:1025
	s_waitcnt lgkmcnt(2)
	v_cmp_lt_i16_e32 vcc, v7, v9
	s_waitcnt lgkmcnt(1)
	v_and_b32_e32 v11, 1, v8
	v_cmp_eq_u32_e64 s[0:1], 1, v11
	s_waitcnt lgkmcnt(0)
	v_cmp_ne_u16_e64 s[2:3], v10, v5
	v_cndmask_b32_e64 v5, 0, 1, s[2:3]
	s_and_b64 vcc, vcc, s[0:1]
	v_cndmask_b32_e32 v5, v5, v6, vcc
	v_and_b32_e32 v5, 1, v5
	v_cmp_eq_u32_e32 vcc, 1, v5
	s_and_saveexec_b64 s[0:1], vcc
	s_cbranch_execz .LBB79_17
; %bb.16:
	ds_write_b8 v2, v9
	ds_write_b8 v2, v7 offset:1
	ds_write_b8 v2, v10 offset:1024
	;; [unrolled: 1-line block ×3, first 2 shown]
.LBB79_17:
	s_or_b64 exec, exec, s[0:1]
	v_and_b32_e32 v6, 7, v0
	v_sub_u32_e32 v6, v1, v6
	v_add_u32_e32 v6, 1, v6
	s_waitcnt lgkmcnt(0)
	s_barrier
	ds_read_i8 v7, v6
	ds_read_i8 v9, v6 offset:8
	ds_read_u8 v8, v6 offset:1024
	ds_read_u8 v10, v6 offset:1032
	v_bfe_u32 v11, v0, 3, 1
	v_and_b32_e32 v5, 8, v0
	s_waitcnt lgkmcnt(2)
	v_cmp_lt_i16_e64 s[0:1], v7, v9
	s_waitcnt lgkmcnt(1)
	v_and_b32_e32 v12, 1, v8
	v_cmp_eq_u32_e64 s[2:3], 1, v12
	s_waitcnt lgkmcnt(0)
	v_cmp_ne_u16_e64 s[6:7], v10, v11
	v_cndmask_b32_e64 v12, 0, 1, s[6:7]
	s_and_b64 s[0:1], s[0:1], s[2:3]
	v_cndmask_b32_e64 v11, v12, v11, s[0:1]
	v_and_b32_e32 v11, 1, v11
	v_cmp_ne_u32_e32 vcc, 0, v5
	v_cmp_eq_u32_e64 s[0:1], 1, v11
	s_and_saveexec_b64 s[2:3], s[0:1]
	s_cbranch_execz .LBB79_19
; %bb.18:
	ds_write_b8 v6, v9
	ds_write_b8 v6, v7 offset:8
	ds_write_b8 v6, v10 offset:1024
	;; [unrolled: 1-line block ×3, first 2 shown]
.LBB79_19:
	s_or_b64 exec, exec, s[2:3]
	s_waitcnt lgkmcnt(0)
	s_barrier
	ds_read_i8 v8, v4
	ds_read_i8 v10, v4 offset:4
	ds_read_u8 v9, v4 offset:1024
	ds_read_u8 v11, v4 offset:1028
	v_lshrrev_b32_e32 v5, 3, v5
	s_waitcnt lgkmcnt(2)
	v_cmp_lt_i16_e64 s[0:1], v8, v10
	s_waitcnt lgkmcnt(1)
	v_and_b32_e32 v7, 1, v9
	v_cmp_eq_u32_e64 s[2:3], 1, v7
	s_waitcnt lgkmcnt(0)
	v_cmp_ne_u16_e64 s[6:7], v11, v5
	v_cndmask_b32_e64 v12, 0, 1, s[6:7]
	v_cndmask_b32_e64 v7, 0, 1, vcc
	s_and_b64 vcc, s[0:1], s[2:3]
	v_cndmask_b32_e32 v12, v12, v7, vcc
	v_and_b32_e32 v12, 1, v12
	v_cmp_eq_u32_e32 vcc, 1, v12
	s_and_saveexec_b64 s[0:1], vcc
	s_cbranch_execz .LBB79_21
; %bb.20:
	ds_write_b8 v4, v10
	ds_write_b8 v4, v8 offset:4
	ds_write_b8 v4, v11 offset:1024
	;; [unrolled: 1-line block ×3, first 2 shown]
.LBB79_21:
	s_or_b64 exec, exec, s[0:1]
	s_waitcnt lgkmcnt(0)
	s_barrier
	ds_read_i8 v8, v3
	ds_read_i8 v10, v3 offset:2
	ds_read_u8 v9, v3 offset:1024
	ds_read_u8 v11, v3 offset:1026
	s_waitcnt lgkmcnt(2)
	v_cmp_lt_i16_e32 vcc, v8, v10
	s_waitcnt lgkmcnt(1)
	v_and_b32_e32 v12, 1, v9
	v_cmp_eq_u32_e64 s[0:1], 1, v12
	s_waitcnt lgkmcnt(0)
	v_cmp_ne_u16_e64 s[2:3], v11, v5
	v_cndmask_b32_e64 v12, 0, 1, s[2:3]
	s_and_b64 vcc, vcc, s[0:1]
	v_cndmask_b32_e32 v12, v12, v7, vcc
	v_and_b32_e32 v12, 1, v12
	v_cmp_eq_u32_e32 vcc, 1, v12
	s_and_saveexec_b64 s[0:1], vcc
	s_cbranch_execz .LBB79_23
; %bb.22:
	ds_write_b8 v3, v10
	ds_write_b8 v3, v8 offset:2
	ds_write_b8 v3, v11 offset:1024
	;; [unrolled: 1-line block ×3, first 2 shown]
.LBB79_23:
	s_or_b64 exec, exec, s[0:1]
	s_waitcnt lgkmcnt(0)
	s_barrier
	ds_read_i8 v8, v2
	ds_read_i8 v10, v2 offset:1
	ds_read_u8 v9, v2 offset:1024
	ds_read_u8 v11, v2 offset:1025
	s_waitcnt lgkmcnt(2)
	v_cmp_lt_i16_e32 vcc, v8, v10
	s_waitcnt lgkmcnt(1)
	v_and_b32_e32 v12, 1, v9
	v_cmp_eq_u32_e64 s[0:1], 1, v12
	s_waitcnt lgkmcnt(0)
	v_cmp_ne_u16_e64 s[2:3], v11, v5
	v_cndmask_b32_e64 v5, 0, 1, s[2:3]
	s_and_b64 vcc, vcc, s[0:1]
	v_cndmask_b32_e32 v5, v5, v7, vcc
	v_and_b32_e32 v5, 1, v5
	v_cmp_eq_u32_e32 vcc, 1, v5
	s_and_saveexec_b64 s[0:1], vcc
	s_cbranch_execz .LBB79_25
; %bb.24:
	ds_write_b8 v2, v10
	ds_write_b8 v2, v8 offset:1
	ds_write_b8 v2, v11 offset:1024
	;; [unrolled: 1-line block ×3, first 2 shown]
.LBB79_25:
	s_or_b64 exec, exec, s[0:1]
	v_and_b32_e32 v7, 15, v0
	v_sub_u32_e32 v7, v1, v7
	v_add_u32_e32 v7, 1, v7
	s_waitcnt lgkmcnt(0)
	s_barrier
	ds_read_i8 v8, v7
	ds_read_i8 v10, v7 offset:16
	ds_read_u8 v9, v7 offset:1024
	ds_read_u8 v11, v7 offset:1040
	v_bfe_u32 v12, v0, 4, 1
	v_and_b32_e32 v5, 16, v0
	s_waitcnt lgkmcnt(2)
	v_cmp_lt_i16_e64 s[0:1], v8, v10
	s_waitcnt lgkmcnt(1)
	v_and_b32_e32 v13, 1, v9
	v_cmp_eq_u32_e64 s[2:3], 1, v13
	s_waitcnt lgkmcnt(0)
	v_cmp_ne_u16_e64 s[6:7], v11, v12
	v_cndmask_b32_e64 v13, 0, 1, s[6:7]
	s_and_b64 s[0:1], s[0:1], s[2:3]
	v_cndmask_b32_e64 v12, v13, v12, s[0:1]
	v_and_b32_e32 v12, 1, v12
	v_cmp_ne_u32_e32 vcc, 0, v5
	v_cmp_eq_u32_e64 s[0:1], 1, v12
	s_and_saveexec_b64 s[2:3], s[0:1]
	s_cbranch_execz .LBB79_27
; %bb.26:
	ds_write_b8 v7, v10
	ds_write_b8 v7, v8 offset:16
	ds_write_b8 v7, v11 offset:1024
	;; [unrolled: 1-line block ×3, first 2 shown]
.LBB79_27:
	s_or_b64 exec, exec, s[2:3]
	s_waitcnt lgkmcnt(0)
	s_barrier
	ds_read_i8 v9, v6
	ds_read_i8 v11, v6 offset:8
	ds_read_u8 v10, v6 offset:1024
	ds_read_u8 v12, v6 offset:1032
	v_lshrrev_b32_e32 v5, 4, v5
	s_waitcnt lgkmcnt(2)
	v_cmp_lt_i16_e64 s[0:1], v9, v11
	s_waitcnt lgkmcnt(1)
	v_and_b32_e32 v8, 1, v10
	v_cmp_eq_u32_e64 s[2:3], 1, v8
	s_waitcnt lgkmcnt(0)
	v_cmp_ne_u16_e64 s[6:7], v12, v5
	v_cndmask_b32_e64 v13, 0, 1, s[6:7]
	v_cndmask_b32_e64 v8, 0, 1, vcc
	s_and_b64 vcc, s[0:1], s[2:3]
	v_cndmask_b32_e32 v13, v13, v8, vcc
	v_and_b32_e32 v13, 1, v13
	v_cmp_eq_u32_e32 vcc, 1, v13
	s_and_saveexec_b64 s[0:1], vcc
	s_cbranch_execz .LBB79_29
; %bb.28:
	ds_write_b8 v6, v11
	ds_write_b8 v6, v9 offset:8
	ds_write_b8 v6, v12 offset:1024
	ds_write_b8 v6, v10 offset:1032
.LBB79_29:
	s_or_b64 exec, exec, s[0:1]
	s_waitcnt lgkmcnt(0)
	s_barrier
	ds_read_i8 v9, v4
	ds_read_i8 v11, v4 offset:4
	ds_read_u8 v10, v4 offset:1024
	ds_read_u8 v12, v4 offset:1028
	s_waitcnt lgkmcnt(2)
	v_cmp_lt_i16_e32 vcc, v9, v11
	s_waitcnt lgkmcnt(1)
	v_and_b32_e32 v13, 1, v10
	v_cmp_eq_u32_e64 s[0:1], 1, v13
	s_waitcnt lgkmcnt(0)
	v_cmp_ne_u16_e64 s[2:3], v12, v5
	v_cndmask_b32_e64 v13, 0, 1, s[2:3]
	s_and_b64 vcc, vcc, s[0:1]
	v_cndmask_b32_e32 v13, v13, v8, vcc
	v_and_b32_e32 v13, 1, v13
	v_cmp_eq_u32_e32 vcc, 1, v13
	s_and_saveexec_b64 s[0:1], vcc
	s_cbranch_execz .LBB79_31
; %bb.30:
	ds_write_b8 v4, v11
	ds_write_b8 v4, v9 offset:4
	ds_write_b8 v4, v12 offset:1024
	ds_write_b8 v4, v10 offset:1028
.LBB79_31:
	s_or_b64 exec, exec, s[0:1]
	s_waitcnt lgkmcnt(0)
	s_barrier
	ds_read_i8 v9, v3
	ds_read_i8 v11, v3 offset:2
	ds_read_u8 v10, v3 offset:1024
	ds_read_u8 v12, v3 offset:1026
	s_waitcnt lgkmcnt(2)
	v_cmp_lt_i16_e32 vcc, v9, v11
	s_waitcnt lgkmcnt(1)
	v_and_b32_e32 v13, 1, v10
	v_cmp_eq_u32_e64 s[0:1], 1, v13
	s_waitcnt lgkmcnt(0)
	v_cmp_ne_u16_e64 s[2:3], v12, v5
	v_cndmask_b32_e64 v13, 0, 1, s[2:3]
	s_and_b64 vcc, vcc, s[0:1]
	;; [unrolled: 27-line block ×3, first 2 shown]
	v_cndmask_b32_e32 v5, v5, v8, vcc
	v_and_b32_e32 v5, 1, v5
	v_cmp_eq_u32_e32 vcc, 1, v5
	s_and_saveexec_b64 s[0:1], vcc
	s_cbranch_execz .LBB79_35
; %bb.34:
	ds_write_b8 v2, v11
	ds_write_b8 v2, v9 offset:1
	ds_write_b8 v2, v12 offset:1024
	;; [unrolled: 1-line block ×3, first 2 shown]
.LBB79_35:
	s_or_b64 exec, exec, s[0:1]
	v_and_b32_e32 v8, 31, v0
	v_sub_u32_e32 v8, v1, v8
	v_add_u32_e32 v8, 1, v8
	s_waitcnt lgkmcnt(0)
	s_barrier
	ds_read_i8 v9, v8
	ds_read_i8 v11, v8 offset:32
	ds_read_u8 v10, v8 offset:1024
	ds_read_u8 v12, v8 offset:1056
	v_bfe_u32 v13, v0, 5, 1
	v_and_b32_e32 v5, 32, v0
	s_waitcnt lgkmcnt(2)
	v_cmp_lt_i16_e64 s[0:1], v9, v11
	s_waitcnt lgkmcnt(1)
	v_and_b32_e32 v14, 1, v10
	v_cmp_eq_u32_e64 s[2:3], 1, v14
	s_waitcnt lgkmcnt(0)
	v_cmp_ne_u16_e64 s[6:7], v12, v13
	v_cndmask_b32_e64 v14, 0, 1, s[6:7]
	s_and_b64 s[0:1], s[0:1], s[2:3]
	v_cndmask_b32_e64 v13, v14, v13, s[0:1]
	v_and_b32_e32 v13, 1, v13
	v_cmp_ne_u32_e32 vcc, 0, v5
	v_cmp_eq_u32_e64 s[0:1], 1, v13
	s_and_saveexec_b64 s[2:3], s[0:1]
	s_cbranch_execz .LBB79_37
; %bb.36:
	ds_write_b8 v8, v11
	ds_write_b8 v8, v9 offset:32
	ds_write_b8 v8, v12 offset:1024
	;; [unrolled: 1-line block ×3, first 2 shown]
.LBB79_37:
	s_or_b64 exec, exec, s[2:3]
	s_waitcnt lgkmcnt(0)
	s_barrier
	ds_read_i8 v10, v7
	ds_read_i8 v12, v7 offset:16
	ds_read_u8 v11, v7 offset:1024
	ds_read_u8 v13, v7 offset:1040
	v_lshrrev_b32_e32 v5, 5, v5
	s_waitcnt lgkmcnt(2)
	v_cmp_lt_i16_e64 s[0:1], v10, v12
	s_waitcnt lgkmcnt(1)
	v_and_b32_e32 v9, 1, v11
	v_cmp_eq_u32_e64 s[2:3], 1, v9
	s_waitcnt lgkmcnt(0)
	v_cmp_ne_u16_e64 s[6:7], v13, v5
	v_cndmask_b32_e64 v14, 0, 1, s[6:7]
	v_cndmask_b32_e64 v9, 0, 1, vcc
	s_and_b64 vcc, s[0:1], s[2:3]
	v_cndmask_b32_e32 v14, v14, v9, vcc
	v_and_b32_e32 v14, 1, v14
	v_cmp_eq_u32_e32 vcc, 1, v14
	s_and_saveexec_b64 s[0:1], vcc
	s_cbranch_execz .LBB79_39
; %bb.38:
	ds_write_b8 v7, v12
	ds_write_b8 v7, v10 offset:16
	ds_write_b8 v7, v13 offset:1024
	ds_write_b8 v7, v11 offset:1040
.LBB79_39:
	s_or_b64 exec, exec, s[0:1]
	s_waitcnt lgkmcnt(0)
	s_barrier
	ds_read_i8 v10, v6
	ds_read_i8 v12, v6 offset:8
	ds_read_u8 v11, v6 offset:1024
	ds_read_u8 v13, v6 offset:1032
	s_waitcnt lgkmcnt(2)
	v_cmp_lt_i16_e32 vcc, v10, v12
	s_waitcnt lgkmcnt(1)
	v_and_b32_e32 v14, 1, v11
	v_cmp_eq_u32_e64 s[0:1], 1, v14
	s_waitcnt lgkmcnt(0)
	v_cmp_ne_u16_e64 s[2:3], v13, v5
	v_cndmask_b32_e64 v14, 0, 1, s[2:3]
	s_and_b64 vcc, vcc, s[0:1]
	v_cndmask_b32_e32 v14, v14, v9, vcc
	v_and_b32_e32 v14, 1, v14
	v_cmp_eq_u32_e32 vcc, 1, v14
	s_and_saveexec_b64 s[0:1], vcc
	s_cbranch_execz .LBB79_41
; %bb.40:
	ds_write_b8 v6, v12
	ds_write_b8 v6, v10 offset:8
	ds_write_b8 v6, v13 offset:1024
	ds_write_b8 v6, v11 offset:1032
.LBB79_41:
	s_or_b64 exec, exec, s[0:1]
	s_waitcnt lgkmcnt(0)
	s_barrier
	ds_read_i8 v10, v4
	ds_read_i8 v12, v4 offset:4
	ds_read_u8 v11, v4 offset:1024
	ds_read_u8 v13, v4 offset:1028
	s_waitcnt lgkmcnt(2)
	v_cmp_lt_i16_e32 vcc, v10, v12
	s_waitcnt lgkmcnt(1)
	v_and_b32_e32 v14, 1, v11
	v_cmp_eq_u32_e64 s[0:1], 1, v14
	s_waitcnt lgkmcnt(0)
	v_cmp_ne_u16_e64 s[2:3], v13, v5
	v_cndmask_b32_e64 v14, 0, 1, s[2:3]
	s_and_b64 vcc, vcc, s[0:1]
	;; [unrolled: 27-line block ×4, first 2 shown]
	v_cndmask_b32_e32 v5, v5, v9, vcc
	v_and_b32_e32 v5, 1, v5
	v_cmp_eq_u32_e32 vcc, 1, v5
	s_and_saveexec_b64 s[0:1], vcc
	s_cbranch_execz .LBB79_47
; %bb.46:
	ds_write_b8 v2, v12
	ds_write_b8 v2, v10 offset:1
	ds_write_b8 v2, v13 offset:1024
	;; [unrolled: 1-line block ×3, first 2 shown]
.LBB79_47:
	s_or_b64 exec, exec, s[0:1]
	v_and_b32_e32 v5, 63, v0
	v_sub_u32_e32 v9, v1, v5
	v_add_u32_e32 v9, 1, v9
	s_waitcnt lgkmcnt(0)
	s_barrier
	ds_read_i8 v11, v9
	ds_read_i8 v13, v9 offset:64
	ds_read_u8 v12, v9 offset:1024
	ds_read_u8 v14, v9 offset:1088
	v_bfe_u32 v15, v0, 6, 1
	v_and_b32_e32 v10, 64, v0
	s_waitcnt lgkmcnt(2)
	v_cmp_lt_i16_e64 s[0:1], v11, v13
	s_waitcnt lgkmcnt(1)
	v_and_b32_e32 v16, 1, v12
	v_cmp_eq_u32_e64 s[2:3], 1, v16
	s_waitcnt lgkmcnt(0)
	v_cmp_ne_u16_e64 s[6:7], v14, v15
	v_cndmask_b32_e64 v16, 0, 1, s[6:7]
	s_and_b64 s[0:1], s[0:1], s[2:3]
	v_cndmask_b32_e64 v15, v16, v15, s[0:1]
	v_and_b32_e32 v15, 1, v15
	v_cmp_ne_u32_e32 vcc, 0, v10
	v_cmp_eq_u32_e64 s[0:1], 1, v15
	s_and_saveexec_b64 s[2:3], s[0:1]
	s_cbranch_execz .LBB79_49
; %bb.48:
	ds_write_b8 v9, v13
	ds_write_b8 v9, v11 offset:64
	ds_write_b8 v9, v14 offset:1024
	;; [unrolled: 1-line block ×3, first 2 shown]
.LBB79_49:
	s_or_b64 exec, exec, s[2:3]
	s_waitcnt lgkmcnt(0)
	s_barrier
	ds_read_i8 v12, v8
	ds_read_i8 v14, v8 offset:32
	ds_read_u8 v13, v8 offset:1024
	ds_read_u8 v15, v8 offset:1056
	v_lshrrev_b32_e32 v10, 6, v10
	s_waitcnt lgkmcnt(2)
	v_cmp_lt_i16_e64 s[0:1], v12, v14
	s_waitcnt lgkmcnt(1)
	v_and_b32_e32 v11, 1, v13
	v_cmp_eq_u32_e64 s[2:3], 1, v11
	s_waitcnt lgkmcnt(0)
	v_cmp_ne_u16_e64 s[6:7], v15, v10
	v_cndmask_b32_e64 v16, 0, 1, s[6:7]
	v_cndmask_b32_e64 v11, 0, 1, vcc
	s_and_b64 vcc, s[0:1], s[2:3]
	v_cndmask_b32_e32 v16, v16, v11, vcc
	v_and_b32_e32 v16, 1, v16
	v_cmp_eq_u32_e32 vcc, 1, v16
	s_and_saveexec_b64 s[0:1], vcc
	s_cbranch_execz .LBB79_51
; %bb.50:
	ds_write_b8 v8, v14
	ds_write_b8 v8, v12 offset:32
	ds_write_b8 v8, v15 offset:1024
	ds_write_b8 v8, v13 offset:1056
.LBB79_51:
	s_or_b64 exec, exec, s[0:1]
	s_waitcnt lgkmcnt(0)
	s_barrier
	ds_read_i8 v12, v7
	ds_read_i8 v14, v7 offset:16
	ds_read_u8 v13, v7 offset:1024
	ds_read_u8 v15, v7 offset:1040
	s_waitcnt lgkmcnt(2)
	v_cmp_lt_i16_e32 vcc, v12, v14
	s_waitcnt lgkmcnt(1)
	v_and_b32_e32 v16, 1, v13
	v_cmp_eq_u32_e64 s[0:1], 1, v16
	s_waitcnt lgkmcnt(0)
	v_cmp_ne_u16_e64 s[2:3], v15, v10
	v_cndmask_b32_e64 v16, 0, 1, s[2:3]
	s_and_b64 vcc, vcc, s[0:1]
	v_cndmask_b32_e32 v16, v16, v11, vcc
	v_and_b32_e32 v16, 1, v16
	v_cmp_eq_u32_e32 vcc, 1, v16
	s_and_saveexec_b64 s[0:1], vcc
	s_cbranch_execz .LBB79_53
; %bb.52:
	ds_write_b8 v7, v14
	ds_write_b8 v7, v12 offset:16
	ds_write_b8 v7, v15 offset:1024
	ds_write_b8 v7, v13 offset:1040
.LBB79_53:
	s_or_b64 exec, exec, s[0:1]
	s_waitcnt lgkmcnt(0)
	s_barrier
	ds_read_i8 v12, v6
	ds_read_i8 v14, v6 offset:8
	ds_read_u8 v13, v6 offset:1024
	ds_read_u8 v15, v6 offset:1032
	s_waitcnt lgkmcnt(2)
	v_cmp_lt_i16_e32 vcc, v12, v14
	s_waitcnt lgkmcnt(1)
	v_and_b32_e32 v16, 1, v13
	v_cmp_eq_u32_e64 s[0:1], 1, v16
	s_waitcnt lgkmcnt(0)
	v_cmp_ne_u16_e64 s[2:3], v15, v10
	v_cndmask_b32_e64 v16, 0, 1, s[2:3]
	s_and_b64 vcc, vcc, s[0:1]
	;; [unrolled: 27-line block ×5, first 2 shown]
	v_cndmask_b32_e32 v10, v10, v11, vcc
	v_and_b32_e32 v10, 1, v10
	v_cmp_eq_u32_e32 vcc, 1, v10
	s_and_saveexec_b64 s[0:1], vcc
	s_cbranch_execz .LBB79_61
; %bb.60:
	ds_write_b8 v2, v14
	ds_write_b8 v2, v12 offset:1
	ds_write_b8 v2, v15 offset:1024
	;; [unrolled: 1-line block ×3, first 2 shown]
.LBB79_61:
	s_or_b64 exec, exec, s[0:1]
	v_and_b32_e32 v10, 0x7f, v0
	v_sub_u32_e32 v10, v1, v10
	v_add_u32_e32 v10, 1, v10
	s_waitcnt lgkmcnt(0)
	s_barrier
	ds_read_i8 v12, v10
	ds_read_i8 v14, v10 offset:128
	ds_read_u8 v13, v10 offset:1024
	ds_read_u8 v15, v10 offset:1152
	v_lshrrev_b32_e32 v16, 7, v0
	v_and_b32_e32 v11, 0x80, v0
	v_cmp_ne_u32_e32 vcc, 0, v11
	v_and_b32_e32 v11, 1, v16
	s_waitcnt lgkmcnt(1)
	v_and_b32_e32 v17, 1, v13
	v_cmp_lt_i16_e64 s[0:1], v12, v14
	v_cmp_eq_u32_e64 s[2:3], 1, v17
	s_waitcnt lgkmcnt(0)
	v_cmp_ne_u16_e64 s[6:7], v15, v11
	v_cndmask_b32_e64 v17, 0, 1, s[6:7]
	s_and_b64 s[0:1], s[0:1], s[2:3]
	v_cndmask_b32_e64 v16, v17, v16, s[0:1]
	v_and_b32_e32 v16, 1, v16
	v_cmp_eq_u32_e64 s[0:1], 1, v16
	s_and_saveexec_b64 s[2:3], s[0:1]
	s_cbranch_execz .LBB79_63
; %bb.62:
	ds_write_b8 v10, v14
	ds_write_b8 v10, v12 offset:128
	ds_write_b8 v10, v15 offset:1024
	;; [unrolled: 1-line block ×3, first 2 shown]
.LBB79_63:
	s_or_b64 exec, exec, s[2:3]
	s_waitcnt lgkmcnt(0)
	s_barrier
	ds_read_i8 v13, v9
	ds_read_i8 v15, v9 offset:64
	ds_read_u8 v14, v9 offset:1024
	ds_read_u8 v16, v9 offset:1088
	s_waitcnt lgkmcnt(2)
	v_cmp_lt_i16_e64 s[0:1], v13, v15
	s_waitcnt lgkmcnt(1)
	v_and_b32_e32 v12, 1, v14
	v_cmp_eq_u32_e64 s[2:3], 1, v12
	s_waitcnt lgkmcnt(0)
	v_cmp_ne_u16_e64 s[6:7], v16, v11
	v_cndmask_b32_e64 v17, 0, 1, s[6:7]
	v_cndmask_b32_e64 v12, 0, 1, vcc
	s_and_b64 vcc, s[0:1], s[2:3]
	v_cndmask_b32_e32 v17, v17, v12, vcc
	v_and_b32_e32 v17, 1, v17
	v_cmp_eq_u32_e32 vcc, 1, v17
	s_and_saveexec_b64 s[0:1], vcc
	s_cbranch_execz .LBB79_65
; %bb.64:
	ds_write_b8 v9, v15
	ds_write_b8 v9, v13 offset:64
	ds_write_b8 v9, v16 offset:1024
	ds_write_b8 v9, v14 offset:1088
.LBB79_65:
	s_or_b64 exec, exec, s[0:1]
	s_waitcnt lgkmcnt(0)
	s_barrier
	ds_read_i8 v13, v8
	ds_read_i8 v15, v8 offset:32
	ds_read_u8 v14, v8 offset:1024
	ds_read_u8 v16, v8 offset:1056
	s_waitcnt lgkmcnt(2)
	v_cmp_lt_i16_e32 vcc, v13, v15
	s_waitcnt lgkmcnt(1)
	v_and_b32_e32 v17, 1, v14
	v_cmp_eq_u32_e64 s[0:1], 1, v17
	s_waitcnt lgkmcnt(0)
	v_cmp_ne_u16_e64 s[2:3], v16, v11
	v_cndmask_b32_e64 v17, 0, 1, s[2:3]
	s_and_b64 vcc, vcc, s[0:1]
	v_cndmask_b32_e32 v17, v17, v12, vcc
	v_and_b32_e32 v17, 1, v17
	v_cmp_eq_u32_e32 vcc, 1, v17
	s_and_saveexec_b64 s[0:1], vcc
	s_cbranch_execz .LBB79_67
; %bb.66:
	ds_write_b8 v8, v15
	ds_write_b8 v8, v13 offset:32
	ds_write_b8 v8, v16 offset:1024
	ds_write_b8 v8, v14 offset:1056
.LBB79_67:
	s_or_b64 exec, exec, s[0:1]
	s_waitcnt lgkmcnt(0)
	s_barrier
	ds_read_i8 v13, v7
	ds_read_i8 v15, v7 offset:16
	ds_read_u8 v14, v7 offset:1024
	ds_read_u8 v16, v7 offset:1040
	s_waitcnt lgkmcnt(2)
	v_cmp_lt_i16_e32 vcc, v13, v15
	s_waitcnt lgkmcnt(1)
	v_and_b32_e32 v17, 1, v14
	v_cmp_eq_u32_e64 s[0:1], 1, v17
	s_waitcnt lgkmcnt(0)
	v_cmp_ne_u16_e64 s[2:3], v16, v11
	v_cndmask_b32_e64 v17, 0, 1, s[2:3]
	s_and_b64 vcc, vcc, s[0:1]
	;; [unrolled: 27-line block ×6, first 2 shown]
	v_cndmask_b32_e32 v11, v11, v12, vcc
	v_and_b32_e32 v11, 1, v11
	v_cmp_eq_u32_e32 vcc, 1, v11
	s_and_saveexec_b64 s[0:1], vcc
	s_cbranch_execz .LBB79_77
; %bb.76:
	ds_write_b8 v2, v15
	ds_write_b8 v2, v13 offset:1
	ds_write_b8 v2, v16 offset:1024
	;; [unrolled: 1-line block ×3, first 2 shown]
.LBB79_77:
	s_or_b64 exec, exec, s[0:1]
	v_sub_u32_sdwa v11, v1, v0 dst_sel:DWORD dst_unused:UNUSED_PAD src0_sel:DWORD src1_sel:BYTE_0
	v_add_u32_e32 v11, 1, v11
	v_and_b32_e32 v16, 0x100, v0
	s_waitcnt lgkmcnt(0)
	s_barrier
	ds_read_i8 v13, v11
	ds_read_i8 v15, v11 offset:256
	ds_read_u8 v14, v11 offset:1024
	v_cmp_ne_u32_e32 vcc, 0, v16
	ds_read_u8 v16, v11 offset:1280
	v_bfe_u32 v17, v0, 8, 1
	s_waitcnt lgkmcnt(2)
	v_cmp_lt_i16_e64 s[0:1], v13, v15
	s_waitcnt lgkmcnt(1)
	v_and_b32_e32 v18, 1, v14
	v_cmp_eq_u32_e64 s[2:3], 1, v18
	s_waitcnt lgkmcnt(0)
	v_cmp_ne_u16_e64 s[6:7], v16, v17
	v_cndmask_b32_e64 v18, 0, 1, s[6:7]
	s_and_b64 s[0:1], s[0:1], s[2:3]
	v_cndmask_b32_e64 v17, v18, v17, s[0:1]
	v_and_b32_e32 v17, 1, v17
	v_and_b32_e32 v12, 0x100, v0
	v_cmp_eq_u32_e64 s[0:1], 1, v17
	s_and_saveexec_b64 s[2:3], s[0:1]
	s_cbranch_execz .LBB79_79
; %bb.78:
	ds_write_b8 v11, v15
	ds_write_b8 v11, v13 offset:256
	ds_write_b8 v11, v16 offset:1024
	;; [unrolled: 1-line block ×3, first 2 shown]
.LBB79_79:
	s_or_b64 exec, exec, s[2:3]
	s_waitcnt lgkmcnt(0)
	s_barrier
	ds_read_i8 v14, v10
	ds_read_i8 v16, v10 offset:128
	ds_read_u8 v15, v10 offset:1024
	ds_read_u8 v17, v10 offset:1152
	v_lshrrev_b32_e32 v12, 8, v12
	s_waitcnt lgkmcnt(2)
	v_cmp_lt_i16_e64 s[0:1], v14, v16
	s_waitcnt lgkmcnt(1)
	v_and_b32_e32 v13, 1, v15
	v_cmp_eq_u32_e64 s[2:3], 1, v13
	s_waitcnt lgkmcnt(0)
	v_cmp_ne_u16_e64 s[6:7], v17, v12
	v_cndmask_b32_e64 v18, 0, 1, s[6:7]
	v_cndmask_b32_e64 v13, 0, 1, vcc
	s_and_b64 vcc, s[0:1], s[2:3]
	v_cndmask_b32_e32 v18, v18, v13, vcc
	v_and_b32_e32 v18, 1, v18
	v_cmp_eq_u32_e32 vcc, 1, v18
	s_and_saveexec_b64 s[0:1], vcc
	s_cbranch_execz .LBB79_81
; %bb.80:
	ds_write_b8 v10, v16
	ds_write_b8 v10, v14 offset:128
	ds_write_b8 v10, v17 offset:1024
	ds_write_b8 v10, v15 offset:1152
.LBB79_81:
	s_or_b64 exec, exec, s[0:1]
	s_waitcnt lgkmcnt(0)
	s_barrier
	ds_read_i8 v14, v9
	ds_read_i8 v16, v9 offset:64
	ds_read_u8 v15, v9 offset:1024
	ds_read_u8 v17, v9 offset:1088
	s_waitcnt lgkmcnt(2)
	v_cmp_lt_i16_e32 vcc, v14, v16
	s_waitcnt lgkmcnt(1)
	v_and_b32_e32 v18, 1, v15
	v_cmp_eq_u32_e64 s[0:1], 1, v18
	s_waitcnt lgkmcnt(0)
	v_cmp_ne_u16_e64 s[2:3], v17, v12
	v_cndmask_b32_e64 v18, 0, 1, s[2:3]
	s_and_b64 vcc, vcc, s[0:1]
	v_cndmask_b32_e32 v18, v18, v13, vcc
	v_and_b32_e32 v18, 1, v18
	v_cmp_eq_u32_e32 vcc, 1, v18
	s_and_saveexec_b64 s[0:1], vcc
	s_cbranch_execz .LBB79_83
; %bb.82:
	ds_write_b8 v9, v16
	ds_write_b8 v9, v14 offset:64
	ds_write_b8 v9, v17 offset:1024
	ds_write_b8 v9, v15 offset:1088
.LBB79_83:
	s_or_b64 exec, exec, s[0:1]
	s_waitcnt lgkmcnt(0)
	s_barrier
	ds_read_i8 v14, v8
	ds_read_i8 v16, v8 offset:32
	ds_read_u8 v15, v8 offset:1024
	ds_read_u8 v17, v8 offset:1056
	s_waitcnt lgkmcnt(2)
	v_cmp_lt_i16_e32 vcc, v14, v16
	s_waitcnt lgkmcnt(1)
	v_and_b32_e32 v18, 1, v15
	v_cmp_eq_u32_e64 s[0:1], 1, v18
	s_waitcnt lgkmcnt(0)
	v_cmp_ne_u16_e64 s[2:3], v17, v12
	v_cndmask_b32_e64 v18, 0, 1, s[2:3]
	s_and_b64 vcc, vcc, s[0:1]
	;; [unrolled: 27-line block ×7, first 2 shown]
	v_cndmask_b32_e32 v12, v12, v13, vcc
	v_and_b32_e32 v12, 1, v12
	v_cmp_eq_u32_e32 vcc, 1, v12
	s_and_saveexec_b64 s[0:1], vcc
	s_cbranch_execz .LBB79_95
; %bb.94:
	ds_write_b8 v2, v16
	ds_write_b8 v2, v14 offset:1
	ds_write_b8 v2, v17 offset:1024
	;; [unrolled: 1-line block ×3, first 2 shown]
.LBB79_95:
	s_or_b64 exec, exec, s[0:1]
	v_and_b32_e32 v12, 0x1ff, v0
	v_sub_u32_e32 v12, v1, v12
	v_add_u32_e32 v13, 1, v12
	s_waitcnt lgkmcnt(0)
	s_barrier
	ds_read_i8 v14, v13
	ds_read_i8 v16, v13 offset:512
	ds_read_u8 v15, v13 offset:1024
	ds_read_u8 v17, v13 offset:1536
	s_waitcnt lgkmcnt(2)
	v_cmp_ge_i16_e32 vcc, v14, v16
	s_waitcnt lgkmcnt(1)
	v_and_b32_e32 v12, 1, v15
	v_cmp_eq_u32_e64 s[0:1], 1, v12
	s_xor_b64 s[0:1], s[0:1], -1
	v_mov_b32_e32 v12, 0
	s_or_b64 s[0:1], vcc, s[0:1]
	s_waitcnt lgkmcnt(0)
	v_cmp_ne_u16_sdwa s[2:3], v17, v12 src0_sel:BYTE_0 src1_sel:DWORD
	s_and_b64 s[2:3], s[0:1], s[2:3]
	s_and_saveexec_b64 s[0:1], s[2:3]
	s_cbranch_execz .LBB79_97
; %bb.96:
	ds_write_b8 v13, v16
	ds_write_b8 v13, v14 offset:512
	v_mov_b32_e32 v14, 1
	ds_write_b8 v13, v14 offset:1024
	ds_write_b8 v13, v15 offset:1536
.LBB79_97:
	s_or_b64 exec, exec, s[0:1]
	s_waitcnt lgkmcnt(0)
	s_barrier
	ds_read_i8 v13, v11
	ds_read_i8 v15, v11 offset:256
	ds_read_u8 v14, v11 offset:1024
	ds_read_u8 v16, v11 offset:1280
	s_waitcnt lgkmcnt(2)
	v_cmp_ge_i16_e32 vcc, v13, v15
	s_waitcnt lgkmcnt(1)
	v_and_b32_e32 v17, 1, v14
	v_cmp_eq_u32_e64 s[0:1], 1, v17
	s_xor_b64 s[0:1], s[0:1], -1
	s_or_b64 s[0:1], vcc, s[0:1]
	s_waitcnt lgkmcnt(0)
	v_cmp_ne_u16_sdwa s[2:3], v16, v12 src0_sel:BYTE_0 src1_sel:DWORD
	s_and_b64 s[2:3], s[0:1], s[2:3]
	s_and_saveexec_b64 s[0:1], s[2:3]
	s_cbranch_execz .LBB79_99
; %bb.98:
	v_mov_b32_e32 v12, 1
	ds_write_b8 v11, v15
	ds_write_b8 v11, v13 offset:256
	ds_write_b8 v11, v12 offset:1024
	;; [unrolled: 1-line block ×3, first 2 shown]
.LBB79_99:
	s_or_b64 exec, exec, s[0:1]
	s_waitcnt lgkmcnt(0)
	s_barrier
	ds_read_i8 v12, v10
	ds_read_i8 v14, v10 offset:128
	ds_read_u8 v13, v10 offset:1024
	ds_read_u8 v15, v10 offset:1152
	s_waitcnt lgkmcnt(2)
	v_cmp_ge_i16_e32 vcc, v12, v14
	s_waitcnt lgkmcnt(1)
	v_and_b32_e32 v11, 1, v13
	v_cmp_eq_u32_e64 s[0:1], 1, v11
	s_xor_b64 s[0:1], s[0:1], -1
	v_mov_b32_e32 v11, 0
	s_or_b64 s[0:1], vcc, s[0:1]
	s_waitcnt lgkmcnt(0)
	v_cmp_ne_u16_sdwa s[2:3], v15, v11 src0_sel:BYTE_0 src1_sel:DWORD
	s_and_b64 s[2:3], s[0:1], s[2:3]
	s_and_saveexec_b64 s[0:1], s[2:3]
	s_cbranch_execz .LBB79_101
; %bb.100:
	ds_write_b8 v10, v14
	ds_write_b8 v10, v12 offset:128
	v_mov_b32_e32 v12, 1
	ds_write_b8 v10, v12 offset:1024
	ds_write_b8 v10, v13 offset:1152
.LBB79_101:
	s_or_b64 exec, exec, s[0:1]
	s_waitcnt lgkmcnt(0)
	s_barrier
	ds_read_i8 v10, v9
	ds_read_i8 v13, v9 offset:64
	ds_read_u8 v12, v9 offset:1024
	ds_read_u8 v14, v9 offset:1088
	s_waitcnt lgkmcnt(2)
	v_cmp_ge_i16_e32 vcc, v10, v13
	s_waitcnt lgkmcnt(1)
	v_and_b32_e32 v15, 1, v12
	v_cmp_eq_u32_e64 s[0:1], 1, v15
	s_xor_b64 s[0:1], s[0:1], -1
	s_or_b64 s[0:1], vcc, s[0:1]
	s_waitcnt lgkmcnt(0)
	v_cmp_ne_u16_sdwa s[2:3], v14, v11 src0_sel:BYTE_0 src1_sel:DWORD
	s_and_b64 s[2:3], s[0:1], s[2:3]
	s_and_saveexec_b64 s[0:1], s[2:3]
	s_cbranch_execz .LBB79_103
; %bb.102:
	ds_write_b8 v9, v13
	ds_write_b8 v9, v10 offset:64
	v_mov_b32_e32 v10, 1
	ds_write_b8 v9, v10 offset:1024
	ds_write_b8 v9, v12 offset:1088
.LBB79_103:
	s_or_b64 exec, exec, s[0:1]
	s_waitcnt lgkmcnt(0)
	s_barrier
	ds_read_i8 v10, v8
	ds_read_i8 v12, v8 offset:32
	ds_read_u8 v11, v8 offset:1024
	ds_read_u8 v13, v8 offset:1056
	s_waitcnt lgkmcnt(2)
	v_cmp_ge_i16_e32 vcc, v10, v12
	s_waitcnt lgkmcnt(1)
	v_and_b32_e32 v9, 1, v11
	v_cmp_eq_u32_e64 s[0:1], 1, v9
	s_xor_b64 s[0:1], s[0:1], -1
	v_mov_b32_e32 v9, 0
	s_or_b64 s[0:1], vcc, s[0:1]
	s_waitcnt lgkmcnt(0)
	v_cmp_ne_u16_sdwa s[2:3], v13, v9 src0_sel:BYTE_0 src1_sel:DWORD
	s_and_b64 s[2:3], s[0:1], s[2:3]
	s_and_saveexec_b64 s[0:1], s[2:3]
	s_cbranch_execz .LBB79_105
; %bb.104:
	ds_write_b8 v8, v12
	ds_write_b8 v8, v10 offset:32
	v_mov_b32_e32 v10, 1
	ds_write_b8 v8, v10 offset:1024
	ds_write_b8 v8, v11 offset:1056
.LBB79_105:
	s_or_b64 exec, exec, s[0:1]
	s_waitcnt lgkmcnt(0)
	s_barrier
	ds_read_i8 v8, v7
	ds_read_i8 v11, v7 offset:16
	ds_read_u8 v10, v7 offset:1024
	ds_read_u8 v12, v7 offset:1040
	s_waitcnt lgkmcnt(2)
	v_cmp_ge_i16_e32 vcc, v8, v11
	s_waitcnt lgkmcnt(1)
	v_and_b32_e32 v13, 1, v10
	v_cmp_eq_u32_e64 s[0:1], 1, v13
	s_xor_b64 s[0:1], s[0:1], -1
	s_or_b64 s[0:1], vcc, s[0:1]
	s_waitcnt lgkmcnt(0)
	v_cmp_ne_u16_sdwa s[2:3], v12, v9 src0_sel:BYTE_0 src1_sel:DWORD
	s_and_b64 s[2:3], s[0:1], s[2:3]
	s_and_saveexec_b64 s[0:1], s[2:3]
	s_cbranch_execz .LBB79_107
; %bb.106:
	ds_write_b8 v7, v11
	ds_write_b8 v7, v8 offset:16
	v_mov_b32_e32 v8, 1
	ds_write_b8 v7, v8 offset:1024
	ds_write_b8 v7, v10 offset:1040
.LBB79_107:
	;; [unrolled: 53-line block ×4, first 2 shown]
	s_or_b64 exec, exec, s[0:1]
	v_cmp_eq_u32_e32 vcc, 0, v0
	s_waitcnt lgkmcnt(0)
	s_barrier
	s_barrier
	s_and_saveexec_b64 s[0:1], vcc
	s_cbranch_execz .LBB79_117
; %bb.116:
	v_mov_b32_e32 v3, 1
	v_mov_b32_e32 v4, 0
	ds_write_b8 v3, v3 offset:1028
	ds_write_b32 v3, v4 offset:1024
.LBB79_117:
	s_or_b64 exec, exec, s[0:1]
	ds_read_u8 v4, v2
	ds_read_u8 v3, v2 offset:1
	v_lshl_add_u32 v2, v1, 3, 1
	s_waitcnt lgkmcnt(0)
	v_cmp_ne_u16_e64 s[0:1], v4, v3
	v_cndmask_b32_e64 v6, 0, 1, s[0:1]
	v_cmp_eq_u16_e64 s[0:1], v4, v3
	v_cndmask_b32_e64 v4, 0, 1, s[0:1]
	s_movk_i32 s0, 0x1ff
	v_cmp_gt_u32_e64 s[2:3], s0, v0
	ds_write_b8 v2, v6 offset:1036
	ds_write_b32 v2, v4 offset:1032
	s_and_saveexec_b64 s[6:7], s[2:3]
	s_cbranch_execz .LBB79_119
; %bb.118:
	v_mad_i32_i24 v4, v0, -14, v2
	ds_read_u8 v6, v4 offset:2
	v_mad_u32_u24 v4, v0, 14, v4
	s_waitcnt lgkmcnt(0)
	v_cmp_ne_u16_e64 s[0:1], v3, v6
	v_cndmask_b32_e64 v7, 0, 1, s[0:1]
	v_cmp_eq_u16_e64 s[0:1], v3, v6
	v_cndmask_b32_e64 v3, 0, 1, s[0:1]
	ds_write_b8 v4, v7 offset:1044
	ds_write_b32 v4, v3 offset:1040
.LBB79_119:
	s_or_b64 exec, exec, s[6:7]
	s_movk_i32 s0, 0x200
	v_cmp_gt_u32_e64 s[0:1], s0, v0
	s_waitcnt lgkmcnt(0)
	s_barrier
	s_and_saveexec_b64 s[6:7], s[0:1]
	s_cbranch_execz .LBB79_121
; %bb.120:
	ds_read_u8 v6, v2 offset:1036
	v_add_u32_e32 v3, 0x400, v2
	ds_read2_b32 v[3:4], v3 offset1:2
	ds_read_u8 v7, v2 offset:1028
	v_add_u32_e32 v8, 0x408, v2
	s_waitcnt lgkmcnt(2)
	v_and_b32_e32 v9, 1, v6
	v_cmp_eq_u32_e64 s[0:1], 1, v9
	s_waitcnt lgkmcnt(1)
	v_cndmask_b32_e64 v3, v3, 0, s[0:1]
	v_add_u32_e32 v3, v3, v4
	s_waitcnt lgkmcnt(0)
	v_or_b32_e32 v4, v7, v6
	v_and_b32_e32 v4, 1, v4
	ds_write2_b32 v8, v3, v4 offset1:1
.LBB79_121:
	s_or_b64 exec, exec, s[6:7]
	v_add_u32_e32 v9, 2, v1
	v_lshlrev_b32_e32 v3, 1, v9
	s_movk_i32 s0, 0x100
	v_cmp_gt_u32_e64 s[0:1], s0, v0
	v_lshl_add_u32 v3, v3, 3, 1
	s_waitcnt lgkmcnt(0)
	s_barrier
	s_and_saveexec_b64 s[6:7], s[0:1]
	s_cbranch_execz .LBB79_123
; %bb.122:
	ds_read_u8 v4, v3 offset:1020
	ds_read_u8 v8, v3 offset:1004
	ds_read2_b32 v[6:7], v3 offset0:250 offset1:254
	s_waitcnt lgkmcnt(2)
	v_and_b32_e32 v10, 1, v4
	v_cmp_eq_u32_e64 s[0:1], 1, v10
	s_waitcnt lgkmcnt(1)
	v_or_b32_e32 v4, v8, v4
	s_waitcnt lgkmcnt(0)
	v_cndmask_b32_e64 v6, v6, 0, s[0:1]
	v_add_u32_e32 v6, v6, v7
	v_and_b32_e32 v4, 1, v4
	ds_write2_b32 v3, v6, v4 offset0:254 offset1:255
.LBB79_123:
	s_or_b64 exec, exec, s[6:7]
	v_lshlrev_b32_e32 v4, 2, v9
	s_movk_i32 s0, 0x80
	v_cmp_gt_u32_e64 s[0:1], s0, v0
	v_lshl_add_u32 v4, v4, 3, 1
	s_waitcnt lgkmcnt(0)
	s_barrier
	s_and_saveexec_b64 s[6:7], s[0:1]
	s_cbranch_execz .LBB79_125
; %bb.124:
	ds_read_u8 v8, v4 offset:1020
	ds_read_u8 v10, v4 offset:988
	ds_read2_b32 v[6:7], v4 offset0:246 offset1:254
	s_waitcnt lgkmcnt(2)
	v_and_b32_e32 v11, 1, v8
	v_cmp_eq_u32_e64 s[0:1], 1, v11
	s_waitcnt lgkmcnt(1)
	v_or_b32_e32 v8, v10, v8
	s_waitcnt lgkmcnt(0)
	v_cndmask_b32_e64 v6, v6, 0, s[0:1]
	v_add_u32_e32 v6, v6, v7
	v_and_b32_e32 v7, 1, v8
	ds_write2_b32 v4, v6, v7 offset0:254 offset1:255
.LBB79_125:
	s_or_b64 exec, exec, s[6:7]
	v_lshlrev_b32_e32 v6, 3, v9
	v_cmp_gt_u32_e64 s[0:1], 64, v0
	v_lshl_add_u32 v6, v6, 3, 1
	s_waitcnt lgkmcnt(0)
	s_barrier
	s_and_saveexec_b64 s[8:9], s[0:1]
	s_cbranch_execz .LBB79_127
; %bb.126:
	ds_read_u8 v10, v6 offset:1020
	ds_read_u8 v11, v6 offset:956
	ds_read2_b32 v[7:8], v6 offset0:238 offset1:254
	s_waitcnt lgkmcnt(2)
	v_and_b32_e32 v12, 1, v10
	v_cmp_eq_u32_e64 s[6:7], 1, v12
	s_waitcnt lgkmcnt(1)
	v_or_b32_e32 v10, v11, v10
	s_waitcnt lgkmcnt(0)
	v_cndmask_b32_e64 v7, v7, 0, s[6:7]
	v_add_u32_e32 v7, v7, v8
	v_and_b32_e32 v8, 1, v10
	ds_write2_b32 v6, v7, v8 offset0:254 offset1:255
.LBB79_127:
	s_or_b64 exec, exec, s[8:9]
	v_lshlrev_b32_e32 v7, 4, v9
	;; [unrolled: 23-line block ×5, first 2 shown]
	v_cmp_gt_u32_e64 s[6:7], 4, v0
	v_lshl_add_u32 v11, v11, 3, 1
	s_waitcnt lgkmcnt(0)
	s_barrier
	s_and_saveexec_b64 s[8:9], s[6:7]
	s_cbranch_execz .LBB79_135
; %bb.134:
	ds_read_u8 v13, v11 offset:1020
	v_add_u32_e32 v12, -8, v11
	v_add_u32_e32 v14, -4, v11
	ds_read_b32 v12, v12
	ds_read_b32 v15, v11 offset:1016
	ds_read_u8 v14, v14
	s_waitcnt lgkmcnt(3)
	v_and_b32_e32 v16, 1, v13
	v_cmp_eq_u32_e64 s[6:7], 1, v16
	s_waitcnt lgkmcnt(2)
	v_cndmask_b32_e64 v12, v12, 0, s[6:7]
	s_waitcnt lgkmcnt(0)
	v_or_b32_e32 v13, v14, v13
	v_add_u32_e32 v12, v12, v15
	v_and_b32_e32 v13, 1, v13
	ds_write2_b32 v11, v12, v13 offset0:254 offset1:255
.LBB79_135:
	s_or_b64 exec, exec, s[8:9]
	v_lshlrev_b32_e32 v9, 8, v9
	v_cmp_gt_u32_e64 s[6:7], 2, v0
	v_lshl_add_u32 v9, v9, 3, 1
	s_waitcnt lgkmcnt(0)
	s_barrier
	s_and_saveexec_b64 s[8:9], s[6:7]
	s_cbranch_execz .LBB79_137
; %bb.136:
	ds_read_u8 v13, v9 offset:1020
	v_add_u32_e32 v12, 0xfffffbf8, v9
	v_add_u32_e32 v14, 0xfffffbfc, v9
	ds_read_b32 v12, v12
	ds_read_b32 v15, v9 offset:1016
	ds_read_u8 v14, v14
	s_waitcnt lgkmcnt(3)
	v_and_b32_e32 v16, 1, v13
	v_cmp_eq_u32_e64 s[6:7], 1, v16
	s_waitcnt lgkmcnt(2)
	v_cndmask_b32_e64 v12, v12, 0, s[6:7]
	s_waitcnt lgkmcnt(0)
	v_or_b32_e32 v13, v14, v13
	v_add_u32_e32 v12, v12, v15
	v_and_b32_e32 v13, 1, v13
	ds_write2_b32 v9, v12, v13 offset0:254 offset1:255
.LBB79_137:
	s_or_b64 exec, exec, s[8:9]
	s_waitcnt lgkmcnt(0)
	s_barrier
	s_and_saveexec_b64 s[8:9], vcc
	s_cbranch_execz .LBB79_139
; %bb.138:
	v_mov_b32_e32 v12, 1
	ds_read_u8 v13, v12 offset:9212
	ds_read_b32 v14, v12 offset:5112
	ds_read_b32 v15, v12 offset:9208
	ds_read_u8 v12, v12 offset:5116
	s_add_i32 s10, 1, 0x23f8
	s_waitcnt lgkmcnt(3)
	v_and_b32_e32 v16, 1, v13
	v_cmp_eq_u32_e64 s[6:7], 1, v16
	s_waitcnt lgkmcnt(2)
	v_cndmask_b32_e64 v14, v14, 0, s[6:7]
	s_waitcnt lgkmcnt(0)
	v_or_b32_e32 v12, v12, v13
	v_add_u32_e32 v14, v14, v15
	v_and_b32_e32 v12, 1, v12
	v_mov_b32_e32 v13, s10
	ds_write2_b32 v13, v14, v12 offset1:1
.LBB79_139:
	s_or_b64 exec, exec, s[8:9]
	s_waitcnt lgkmcnt(0)
	s_barrier
	s_and_saveexec_b64 s[8:9], vcc
	s_cbranch_execz .LBB79_141
; %bb.140:
	ds_read_u8 v14, v9 offset:3068
	v_add_u32_e32 v12, 0xf8, v9
	ds_read2st64_b32 v[12:13], v12 offset0:3 offset1:11
	v_add_u32_e32 v15, 0xbf8, v9
	ds_read_u8 v9, v9 offset:1020
	s_waitcnt lgkmcnt(2)
	v_and_b32_e32 v16, 1, v14
	v_cmp_eq_u32_e64 s[6:7], 1, v16
	s_waitcnt lgkmcnt(1)
	v_cndmask_b32_e64 v12, v12, 0, s[6:7]
	v_add_u32_e32 v12, v12, v13
	s_waitcnt lgkmcnt(0)
	v_or_b32_e32 v9, v9, v14
	v_and_b32_e32 v9, 1, v9
	ds_write2_b32 v15, v12, v9 offset1:1
.LBB79_141:
	s_or_b64 exec, exec, s[8:9]
	v_cmp_gt_u32_e64 s[6:7], 3, v0
	s_waitcnt lgkmcnt(0)
	s_barrier
	s_and_saveexec_b64 s[8:9], s[6:7]
	s_cbranch_execz .LBB79_143
; %bb.142:
	ds_read_u8 v9, v11 offset:2044
	v_add_u32_e32 v12, 0xf8, v11
	ds_read2st64_b32 v[12:13], v12 offset0:3 offset1:7
	v_add_u32_e32 v14, 0x7f8, v11
	ds_read_u8 v11, v11 offset:1020
	s_waitcnt lgkmcnt(2)
	v_and_b32_e32 v15, 1, v9
	v_cmp_eq_u32_e64 s[6:7], 1, v15
	s_waitcnt lgkmcnt(1)
	v_cndmask_b32_e64 v12, v12, 0, s[6:7]
	v_add_u32_e32 v12, v12, v13
	s_waitcnt lgkmcnt(0)
	v_or_b32_e32 v9, v11, v9
	v_and_b32_e32 v9, 1, v9
	ds_write2_b32 v14, v12, v9 offset1:1
.LBB79_143:
	s_or_b64 exec, exec, s[8:9]
	v_cmp_gt_u32_e64 s[6:7], 7, v0
	s_waitcnt lgkmcnt(0)
	s_barrier
	s_and_saveexec_b64 s[8:9], s[6:7]
	;; [unrolled: 23-line block ×4, first 2 shown]
	s_cbranch_execz .LBB79_149
; %bb.148:
	ds_read_u8 v10, v7 offset:1148
	v_add_u32_e32 v8, 0x200, v7
	ds_read2_b32 v[8:9], v8 offset0:126 offset1:158
	v_add_u32_e32 v11, 0x478, v7
	ds_read_u8 v7, v7 offset:1020
	s_waitcnt lgkmcnt(2)
	v_and_b32_e32 v12, 1, v10
	v_cmp_eq_u32_e64 s[6:7], 1, v12
	s_waitcnt lgkmcnt(1)
	v_cndmask_b32_e64 v8, v8, 0, s[6:7]
	v_add_u32_e32 v8, v8, v9
	s_waitcnt lgkmcnt(0)
	v_or_b32_e32 v7, v7, v10
	v_and_b32_e32 v7, 1, v7
	ds_write2_b32 v11, v8, v7 offset1:1
.LBB79_149:
	s_or_b64 exec, exec, s[8:9]
	v_cmp_gt_u32_e64 s[6:7], 63, v0
	s_waitcnt lgkmcnt(0)
	s_barrier
	s_and_saveexec_b64 s[8:9], s[6:7]
	s_cbranch_execz .LBB79_151
; %bb.150:
	ds_read_u8 v9, v6 offset:1084
	v_add_u32_e32 v7, 0x200, v6
	ds_read2_b32 v[7:8], v7 offset0:126 offset1:142
	v_add_u32_e32 v10, 0x438, v6
	ds_read_u8 v6, v6 offset:1020
	s_waitcnt lgkmcnt(2)
	v_and_b32_e32 v11, 1, v9
	v_cmp_eq_u32_e64 s[6:7], 1, v11
	s_waitcnt lgkmcnt(1)
	v_cndmask_b32_e64 v7, v7, 0, s[6:7]
	v_add_u32_e32 v7, v7, v8
	s_waitcnt lgkmcnt(0)
	v_or_b32_e32 v6, v6, v9
	v_and_b32_e32 v6, 1, v6
	ds_write2_b32 v10, v7, v6 offset1:1
.LBB79_151:
	s_or_b64 exec, exec, s[8:9]
	s_movk_i32 s6, 0x7f
	v_cmp_gt_u32_e64 s[6:7], s6, v0
	s_waitcnt lgkmcnt(0)
	s_barrier
	s_and_saveexec_b64 s[8:9], s[6:7]
	s_cbranch_execz .LBB79_153
; %bb.152:
	ds_read_u8 v8, v4 offset:1052
	v_add_u32_e32 v6, 0x200, v4
	ds_read2_b32 v[6:7], v6 offset0:126 offset1:134
	ds_read_u8 v9, v4 offset:1020
	v_add_u32_e32 v4, 0x418, v4
	s_waitcnt lgkmcnt(2)
	v_and_b32_e32 v10, 1, v8
	v_cmp_eq_u32_e64 s[6:7], 1, v10
	s_waitcnt lgkmcnt(1)
	v_cndmask_b32_e64 v6, v6, 0, s[6:7]
	v_add_u32_e32 v6, v6, v7
	s_waitcnt lgkmcnt(0)
	v_or_b32_e32 v7, v9, v8
	v_and_b32_e32 v7, 1, v7
	ds_write2_b32 v4, v6, v7 offset1:1
.LBB79_153:
	s_or_b64 exec, exec, s[8:9]
	s_movk_i32 s6, 0xff
	v_cmp_gt_u32_e64 s[6:7], s6, v0
	s_waitcnt lgkmcnt(0)
	s_barrier
	s_and_saveexec_b64 s[8:9], s[6:7]
	s_cbranch_execz .LBB79_155
; %bb.154:
	ds_read_u8 v4, v3 offset:1036
	v_add_u32_e32 v6, 0x200, v3
	ds_read2_b32 v[6:7], v6 offset0:126 offset1:130
	ds_read_u8 v8, v3 offset:1020
	v_add_u32_e32 v3, 0x408, v3
	s_waitcnt lgkmcnt(2)
	v_and_b32_e32 v9, 1, v4
	v_cmp_eq_u32_e64 s[6:7], 1, v9
	s_waitcnt lgkmcnt(1)
	v_cndmask_b32_e64 v6, v6, 0, s[6:7]
	s_waitcnt lgkmcnt(0)
	v_or_b32_e32 v4, v8, v4
	v_add_u32_e32 v6, v6, v7
	v_and_b32_e32 v4, 1, v4
	ds_write2_b32 v3, v6, v4 offset1:1
.LBB79_155:
	s_or_b64 exec, exec, s[8:9]
	s_waitcnt lgkmcnt(0)
	s_barrier
	s_and_saveexec_b64 s[6:7], s[2:3]
	s_cbranch_execz .LBB79_157
; %bb.156:
	ds_read_u8 v6, v2 offset:1044
	v_add_u32_e32 v3, 0x400, v2
	ds_read2_b32 v[3:4], v3 offset0:2 offset1:4
	ds_read_u8 v7, v2 offset:1036
	v_add_u32_e32 v8, 0x410, v2
	s_waitcnt lgkmcnt(2)
	v_and_b32_e32 v9, 1, v6
	v_cmp_eq_u32_e64 s[2:3], 1, v9
	s_waitcnt lgkmcnt(1)
	v_cndmask_b32_e64 v3, v3, 0, s[2:3]
	v_add_u32_e32 v3, v3, v4
	s_waitcnt lgkmcnt(0)
	v_or_b32_e32 v4, v7, v6
	v_and_b32_e32 v4, 1, v4
	ds_write2_b32 v8, v3, v4 offset1:1
.LBB79_157:
	s_or_b64 exec, exec, s[6:7]
	v_add_u32_e32 v2, 0x400, v2
	s_waitcnt lgkmcnt(0)
	s_barrier
	ds_read2_b32 v[6:7], v2 offset1:2
	v_or_b32_e32 v3, 1, v1
	v_cmp_gt_u32_e64 s[2:3], s16, v1
	v_cmp_gt_u32_e64 s[6:7], s16, v3
	v_cndmask_b32_e64 v4, 0, v1, s[2:3]
	s_waitcnt lgkmcnt(0)
	v_cndmask_b32_e64 v2, 0, v6, s[2:3]
	v_mbcnt_lo_u32_b32 v6, -1, 0
	v_cndmask_b32_e64 v7, 0, v7, s[6:7]
	v_mbcnt_hi_u32_b32 v11, -1, v6
	v_mov_b32_e32 v6, 0x80
	v_cndmask_b32_e64 v8, 0, v3, s[6:7]
	v_max_u32_e32 v9, v7, v2
	v_lshl_or_b32 v6, v11, 2, v6
	v_cmp_gt_u32_e64 s[8:9], v7, v2
	ds_bpermute_b32 v10, v6, v9
	v_cndmask_b32_e64 v2, v4, v8, s[8:9]
	ds_bpermute_b32 v4, v6, v2
	v_and_b32_e32 v12, 63, v11
	v_cmp_gt_u32_e64 s[8:9], 48, v12
	v_cndmask_b32_e64 v7, 0, 16, s[8:9]
	s_waitcnt lgkmcnt(1)
	v_max_u32_e32 v13, v10, v9
	v_add_lshl_u32 v7, v7, v11, 2
	v_cmp_gt_u32_e64 s[8:9], v10, v9
	ds_bpermute_b32 v14, v7, v13
	s_waitcnt lgkmcnt(1)
	v_cndmask_b32_e64 v2, v2, v4, s[8:9]
	ds_bpermute_b32 v4, v7, v2
	v_cmp_gt_u32_e64 s[8:9], 56, v12
	v_cndmask_b32_e64 v8, 0, 8, s[8:9]
	s_waitcnt lgkmcnt(1)
	v_max_u32_e32 v10, v14, v13
	v_add_lshl_u32 v8, v8, v11, 2
	v_cmp_gt_u32_e64 s[8:9], v14, v13
	ds_bpermute_b32 v15, v8, v10
	s_waitcnt lgkmcnt(1)
	v_cndmask_b32_e64 v2, v2, v4, s[8:9]
	ds_bpermute_b32 v4, v8, v2
	;; [unrolled: 10-line block ×4, first 2 shown]
	s_waitcnt lgkmcnt(0)
	s_barrier
	v_cmp_gt_u32_e64 s[8:9], v16, v15
	v_max_u32_e32 v2, v16, v15
	v_cndmask_b32_e64 v4, v4, v13, s[8:9]
	v_cmp_ne_u32_e64 s[8:9], 63, v12
	v_addc_co_u32_e64 v11, s[8:9], 0, v11, s[8:9]
	v_lshlrev_b32_e32 v11, 2, v11
	ds_bpermute_b32 v12, v11, v4
	ds_bpermute_b32 v13, v11, v2
	v_cmp_eq_u32_e64 s[8:9], 0, v5
	s_waitcnt lgkmcnt(0)
	s_barrier
	s_and_saveexec_b64 s[12:13], s[8:9]
	s_cbranch_execz .LBB79_159
; %bb.158:
	v_lshrrev_b32_e32 v14, 3, v0
	v_add_u32_e32 v14, 1, v14
	v_cmp_gt_u32_e64 s[10:11], v13, v2
	v_add_u32_e32 v14, 0x400, v14
	v_cndmask_b32_e64 v4, v4, v12, s[10:11]
	v_max_u32_e32 v2, v13, v2
	ds_write2_b32 v14, v2, v4 offset1:1
.LBB79_159:
	s_or_b64 exec, exec, s[12:13]
	s_lshr_b32 s10, s18, 6
	v_cmp_gt_u32_e64 s[10:11], s10, v0
	v_lshl_add_u32 v12, v5, 3, 1
	v_mov_b32_e32 v2, 0
	v_mov_b32_e32 v4, 0
	s_waitcnt lgkmcnt(0)
	s_barrier
	s_and_saveexec_b64 s[12:13], s[10:11]
	s_cbranch_execnz .LBB79_174
; %bb.160:
	s_or_b64 exec, exec, s[12:13]
	s_and_saveexec_b64 s[12:13], s[10:11]
	s_cbranch_execnz .LBB79_175
.LBB79_161:
	s_or_b64 exec, exec, s[12:13]
	s_and_saveexec_b64 s[18:19], s[0:1]
	s_cbranch_execnz .LBB79_176
.LBB79_162:
	s_or_b64 exec, exec, s[18:19]
	s_and_saveexec_b64 s[12:13], vcc
	s_cbranch_execz .LBB79_164
.LBB79_163:
	s_waitcnt lgkmcnt(0)
	v_add_u32_e32 v2, 1, v2
	ds_read_u8 v2, v2
	v_mov_b32_e32 v4, 0
	s_waitcnt lgkmcnt(0)
	ds_write_b8 v4, v2
.LBB79_164:
	s_or_b64 exec, exec, s[12:13]
	s_waitcnt lgkmcnt(0)
	v_mov_b32_e32 v2, 0
	v_cmp_gt_i64_e64 s[12:13], s[16:17], v[1:2]
	v_mov_b32_e32 v13, 0
	s_barrier
	s_and_saveexec_b64 s[18:19], s[12:13]
	s_cbranch_execz .LBB79_166
; %bb.165:
	v_add_u32_e32 v4, s21, v1
	global_load_ubyte v4, v4, s[14:15]
	v_mov_b32_e32 v13, 0
	ds_read_u8 v13, v13
	s_waitcnt vmcnt(0) lgkmcnt(0)
	v_cmp_eq_u16_e64 s[12:13], v4, v13
	v_cndmask_b32_e64 v13, 0, v1, s[12:13]
.LBB79_166:
	s_or_b64 exec, exec, s[18:19]
	v_mov_b32_e32 v4, v2
	v_cmp_gt_i64_e64 s[12:13], s[16:17], v[3:4]
	s_and_saveexec_b64 s[16:17], s[12:13]
	s_cbranch_execz .LBB79_168
; %bb.167:
	v_add_u32_e32 v1, s21, v3
	global_load_ubyte v1, v1, s[14:15]
	v_mov_b32_e32 v2, 0
	ds_read_u8 v2, v2
	s_waitcnt vmcnt(0) lgkmcnt(0)
	v_cmp_eq_u16_e64 s[12:13], v1, v2
	v_cndmask_b32_e64 v2, 0, v3, s[12:13]
.LBB79_168:
	s_or_b64 exec, exec, s[16:17]
	v_cndmask_b32_e64 v1, 0, v13, s[2:3]
	v_max_u32_e32 v2, v2, v1
	v_cndmask_b32_e64 v1, v1, v2, s[6:7]
	ds_bpermute_b32 v2, v6, v1
	s_waitcnt lgkmcnt(0)
	s_barrier
	v_max_u32_e32 v1, v2, v1
	ds_bpermute_b32 v2, v7, v1
	s_waitcnt lgkmcnt(0)
	v_max_u32_e32 v1, v2, v1
	ds_bpermute_b32 v2, v8, v1
	s_waitcnt lgkmcnt(0)
	;; [unrolled: 3-line block ×4, first 2 shown]
	v_max_u32_e32 v1, v2, v1
	ds_bpermute_b32 v2, v11, v1
	s_and_saveexec_b64 s[2:3], s[8:9]
	s_cbranch_execz .LBB79_170
; %bb.169:
	v_lshrrev_b32_e32 v0, 4, v0
	v_add_u32_e32 v0, 1, v0
	s_waitcnt lgkmcnt(0)
	v_max_u32_e32 v1, v2, v1
	ds_write_b32 v0, v1
.LBB79_170:
	s_or_b64 exec, exec, s[2:3]
	v_mov_b32_e32 v0, 0
	s_waitcnt lgkmcnt(0)
	s_barrier
	s_and_saveexec_b64 s[2:3], s[10:11]
	s_cbranch_execnz .LBB79_177
; %bb.171:
	s_or_b64 exec, exec, s[2:3]
	s_and_saveexec_b64 s[2:3], s[0:1]
	s_cbranch_execnz .LBB79_178
.LBB79_172:
	s_or_b64 exec, exec, s[2:3]
	s_and_saveexec_b64 s[0:1], vcc
	s_cbranch_execnz .LBB79_179
.LBB79_173:
	s_endpgm
.LBB79_174:
	ds_read_b32 v4, v12 offset:1024
	s_or_b64 exec, exec, s[12:13]
	s_and_saveexec_b64 s[12:13], s[10:11]
	s_cbranch_execz .LBB79_161
.LBB79_175:
	ds_read_b32 v2, v12 offset:1028
	s_or_b64 exec, exec, s[12:13]
	s_and_saveexec_b64 s[18:19], s[0:1]
	s_cbranch_execz .LBB79_162
.LBB79_176:
	s_waitcnt lgkmcnt(0)
	ds_bpermute_b32 v13, v6, v4
	ds_bpermute_b32 v14, v6, v2
	s_waitcnt lgkmcnt(1)
	v_max_u32_e32 v15, v13, v4
	v_cmp_gt_u32_e64 s[12:13], v13, v4
	ds_bpermute_b32 v16, v7, v15
	s_waitcnt lgkmcnt(1)
	v_cndmask_b32_e64 v2, v2, v14, s[12:13]
	ds_bpermute_b32 v4, v7, v2
	s_waitcnt lgkmcnt(1)
	v_max_u32_e32 v13, v16, v15
	v_cmp_gt_u32_e64 s[12:13], v16, v15
	ds_bpermute_b32 v14, v8, v13
	s_waitcnt lgkmcnt(1)
	v_cndmask_b32_e64 v2, v2, v4, s[12:13]
	;; [unrolled: 7-line block ×4, first 2 shown]
	ds_bpermute_b32 v4, v10, v2
	s_waitcnt lgkmcnt(1)
	v_max_u32_e32 v15, v14, v13
	v_cmp_gt_u32_e64 s[12:13], v14, v13
	s_waitcnt lgkmcnt(0)
	v_cndmask_b32_e64 v2, v2, v4, s[12:13]
	ds_bpermute_b32 v4, v11, v15
	ds_bpermute_b32 v13, v11, v2
	s_waitcnt lgkmcnt(1)
	v_cmp_gt_u32_e64 s[12:13], v4, v15
	s_waitcnt lgkmcnt(0)
	v_cndmask_b32_e64 v2, v2, v13, s[12:13]
	s_or_b64 exec, exec, s[18:19]
	s_and_saveexec_b64 s[12:13], vcc
	s_cbranch_execnz .LBB79_163
	s_branch .LBB79_164
.LBB79_177:
	v_lshlrev_b32_e32 v0, 2, v5
	v_sub_u32_e32 v0, v12, v0
	ds_read_b32 v0, v0
	s_or_b64 exec, exec, s[2:3]
	s_and_saveexec_b64 s[2:3], s[0:1]
	s_cbranch_execz .LBB79_172
.LBB79_178:
	s_waitcnt lgkmcnt(0)
	ds_bpermute_b32 v1, v6, v0
	s_waitcnt lgkmcnt(0)
	v_max_u32_e32 v0, v1, v0
	ds_bpermute_b32 v1, v7, v0
	s_waitcnt lgkmcnt(0)
	v_max_u32_e32 v0, v1, v0
	;; [unrolled: 3-line block ×6, first 2 shown]
	s_or_b64 exec, exec, s[2:3]
	s_and_saveexec_b64 s[0:1], vcc
	s_cbranch_execz .LBB79_173
.LBB79_179:
	s_load_dword s6, s[4:5], 0xd8
	s_load_dwordx2 s[0:1], s[4:5], 0xe0
	s_add_u32 s2, s4, 8
	s_addc_u32 s3, s5, 0
	s_mov_b32 s5, 0
	s_waitcnt lgkmcnt(0)
	s_cmp_lt_i32 s6, 2
	s_cbranch_scc1 .LBB79_182
; %bb.180:
	s_add_i32 s4, s6, -1
	s_add_i32 s8, s6, 1
	s_lshl_b64 s[6:7], s[4:5], 2
	s_add_u32 s4, s2, s6
	s_addc_u32 s7, s3, s7
	s_add_u32 s6, s4, 8
	s_addc_u32 s7, s7, 0
.LBB79_181:                             ; =>This Inner Loop Header: Depth=1
	s_load_dword s4, s[6:7], 0x0
	s_load_dword s10, s[6:7], 0x64
	s_mov_b32 s9, s20
	s_waitcnt lgkmcnt(0)
	v_cvt_f32_u32_e32 v1, s4
	s_sub_i32 s11, 0, s4
	v_rcp_iflag_f32_e32 v1, v1
	v_mul_f32_e32 v1, 0x4f7ffffe, v1
	v_cvt_u32_f32_e32 v1, v1
	v_readfirstlane_b32 s12, v1
	s_mul_i32 s11, s11, s12
	s_mul_hi_u32 s11, s12, s11
	s_add_i32 s12, s12, s11
	s_mul_hi_u32 s11, s20, s12
	s_mul_i32 s12, s11, s4
	s_sub_i32 s12, s20, s12
	s_add_i32 s13, s11, 1
	s_sub_i32 s14, s12, s4
	s_cmp_ge_u32 s12, s4
	s_cselect_b32 s11, s13, s11
	s_cselect_b32 s12, s14, s12
	s_add_i32 s13, s11, 1
	s_cmp_ge_u32 s12, s4
	s_cselect_b32 s20, s13, s11
	s_mul_i32 s4, s20, s4
	s_sub_i32 s4, s9, s4
	s_mul_i32 s4, s10, s4
	s_add_i32 s8, s8, -1
	s_add_i32 s5, s4, s5
	s_add_u32 s6, s6, -4
	s_addc_u32 s7, s7, -1
	s_cmp_gt_u32 s8, 2
	s_cbranch_scc1 .LBB79_181
.LBB79_182:
	s_load_dword s4, s[2:3], 0x6c
	v_mov_b32_e32 v1, 0
	s_load_dwordx2 s[2:3], s[2:3], 0x0
	ds_read_u8 v2, v1
	s_mov_b32 s7, 0
	s_waitcnt lgkmcnt(0)
	s_mul_i32 s4, s4, s20
	s_add_i32 s6, s4, s5
	v_mov_b32_e32 v3, s6
	global_store_byte v3, v2, s[2:3]
	s_lshl_b64 s[2:3], s[6:7], 3
	s_add_u32 s0, s0, s2
	s_addc_u32 s1, s1, s3
	global_store_dwordx2 v1, v[0:1], s[0:1]
	s_endpgm
	.section	.rodata,"a",@progbits
	.p2align	6, 0x0
	.amdhsa_kernel _ZN2at6native12compute_modeIaLj1024EEEvPKT_NS_4cuda6detail10TensorInfoIS2_jEENS7_IljEEll
		.amdhsa_group_segment_fixed_size 1
		.amdhsa_private_segment_fixed_size 0
		.amdhsa_kernarg_size 712
		.amdhsa_user_sgpr_count 6
		.amdhsa_user_sgpr_private_segment_buffer 1
		.amdhsa_user_sgpr_dispatch_ptr 0
		.amdhsa_user_sgpr_queue_ptr 0
		.amdhsa_user_sgpr_kernarg_segment_ptr 1
		.amdhsa_user_sgpr_dispatch_id 0
		.amdhsa_user_sgpr_flat_scratch_init 0
		.amdhsa_user_sgpr_private_segment_size 0
		.amdhsa_uses_dynamic_stack 0
		.amdhsa_system_sgpr_private_segment_wavefront_offset 0
		.amdhsa_system_sgpr_workgroup_id_x 1
		.amdhsa_system_sgpr_workgroup_id_y 1
		.amdhsa_system_sgpr_workgroup_id_z 1
		.amdhsa_system_sgpr_workgroup_info 0
		.amdhsa_system_vgpr_workitem_id 0
		.amdhsa_next_free_vgpr 19
		.amdhsa_next_free_sgpr 22
		.amdhsa_reserve_vcc 1
		.amdhsa_reserve_flat_scratch 0
		.amdhsa_float_round_mode_32 0
		.amdhsa_float_round_mode_16_64 0
		.amdhsa_float_denorm_mode_32 3
		.amdhsa_float_denorm_mode_16_64 3
		.amdhsa_dx10_clamp 1
		.amdhsa_ieee_mode 1
		.amdhsa_fp16_overflow 0
		.amdhsa_exception_fp_ieee_invalid_op 0
		.amdhsa_exception_fp_denorm_src 0
		.amdhsa_exception_fp_ieee_div_zero 0
		.amdhsa_exception_fp_ieee_overflow 0
		.amdhsa_exception_fp_ieee_underflow 0
		.amdhsa_exception_fp_ieee_inexact 0
		.amdhsa_exception_int_div_zero 0
	.end_amdhsa_kernel
	.section	.text._ZN2at6native12compute_modeIaLj1024EEEvPKT_NS_4cuda6detail10TensorInfoIS2_jEENS7_IljEEll,"axG",@progbits,_ZN2at6native12compute_modeIaLj1024EEEvPKT_NS_4cuda6detail10TensorInfoIS2_jEENS7_IljEEll,comdat
.Lfunc_end79:
	.size	_ZN2at6native12compute_modeIaLj1024EEEvPKT_NS_4cuda6detail10TensorInfoIS2_jEENS7_IljEEll, .Lfunc_end79-_ZN2at6native12compute_modeIaLj1024EEEvPKT_NS_4cuda6detail10TensorInfoIS2_jEENS7_IljEEll
                                        ; -- End function
	.set _ZN2at6native12compute_modeIaLj1024EEEvPKT_NS_4cuda6detail10TensorInfoIS2_jEENS7_IljEEll.num_vgpr, 19
	.set _ZN2at6native12compute_modeIaLj1024EEEvPKT_NS_4cuda6detail10TensorInfoIS2_jEENS7_IljEEll.num_agpr, 0
	.set _ZN2at6native12compute_modeIaLj1024EEEvPKT_NS_4cuda6detail10TensorInfoIS2_jEENS7_IljEEll.numbered_sgpr, 22
	.set _ZN2at6native12compute_modeIaLj1024EEEvPKT_NS_4cuda6detail10TensorInfoIS2_jEENS7_IljEEll.num_named_barrier, 0
	.set _ZN2at6native12compute_modeIaLj1024EEEvPKT_NS_4cuda6detail10TensorInfoIS2_jEENS7_IljEEll.private_seg_size, 0
	.set _ZN2at6native12compute_modeIaLj1024EEEvPKT_NS_4cuda6detail10TensorInfoIS2_jEENS7_IljEEll.uses_vcc, 1
	.set _ZN2at6native12compute_modeIaLj1024EEEvPKT_NS_4cuda6detail10TensorInfoIS2_jEENS7_IljEEll.uses_flat_scratch, 0
	.set _ZN2at6native12compute_modeIaLj1024EEEvPKT_NS_4cuda6detail10TensorInfoIS2_jEENS7_IljEEll.has_dyn_sized_stack, 0
	.set _ZN2at6native12compute_modeIaLj1024EEEvPKT_NS_4cuda6detail10TensorInfoIS2_jEENS7_IljEEll.has_recursion, 0
	.set _ZN2at6native12compute_modeIaLj1024EEEvPKT_NS_4cuda6detail10TensorInfoIS2_jEENS7_IljEEll.has_indirect_call, 0
	.section	.AMDGPU.csdata,"",@progbits
; Kernel info:
; codeLenInByte = 12884
; TotalNumSgprs: 26
; NumVgprs: 19
; ScratchSize: 0
; MemoryBound: 0
; FloatMode: 240
; IeeeMode: 1
; LDSByteSize: 1 bytes/workgroup (compile time only)
; SGPRBlocks: 3
; VGPRBlocks: 4
; NumSGPRsForWavesPerEU: 26
; NumVGPRsForWavesPerEU: 19
; Occupancy: 10
; WaveLimiterHint : 1
; COMPUTE_PGM_RSRC2:SCRATCH_EN: 0
; COMPUTE_PGM_RSRC2:USER_SGPR: 6
; COMPUTE_PGM_RSRC2:TRAP_HANDLER: 0
; COMPUTE_PGM_RSRC2:TGID_X_EN: 1
; COMPUTE_PGM_RSRC2:TGID_Y_EN: 1
; COMPUTE_PGM_RSRC2:TGID_Z_EN: 1
; COMPUTE_PGM_RSRC2:TIDIG_COMP_CNT: 0
	.section	.text._ZN2at6native12compute_modeIaLj128EEEvPKT_NS_4cuda6detail10TensorInfoIS2_jEENS7_IljEEll,"axG",@progbits,_ZN2at6native12compute_modeIaLj128EEEvPKT_NS_4cuda6detail10TensorInfoIS2_jEENS7_IljEEll,comdat
	.protected	_ZN2at6native12compute_modeIaLj128EEEvPKT_NS_4cuda6detail10TensorInfoIS2_jEENS7_IljEEll ; -- Begin function _ZN2at6native12compute_modeIaLj128EEEvPKT_NS_4cuda6detail10TensorInfoIS2_jEENS7_IljEEll
	.globl	_ZN2at6native12compute_modeIaLj128EEEvPKT_NS_4cuda6detail10TensorInfoIS2_jEENS7_IljEEll
	.p2align	8
	.type	_ZN2at6native12compute_modeIaLj128EEEvPKT_NS_4cuda6detail10TensorInfoIS2_jEENS7_IljEEll,@function
_ZN2at6native12compute_modeIaLj128EEEvPKT_NS_4cuda6detail10TensorInfoIS2_jEENS7_IljEEll: ; @_ZN2at6native12compute_modeIaLj128EEEvPKT_NS_4cuda6detail10TensorInfoIS2_jEENS7_IljEEll
; %bb.0:
	s_load_dwordx2 s[2:3], s[4:5], 0x1c8
	s_load_dwordx4 s[16:19], s[4:5], 0x1b8
	s_add_u32 s0, s4, 0x1c8
	s_addc_u32 s1, s5, 0
	v_mov_b32_e32 v2, 0
	s_waitcnt lgkmcnt(0)
	s_mul_i32 s3, s3, s8
	s_add_i32 s3, s3, s7
	s_mul_i32 s2, s3, s2
	s_add_i32 s20, s2, s6
	v_mov_b32_e32 v1, s20
	v_cmp_le_i64_e32 vcc, s[18:19], v[1:2]
	s_cbranch_vccnz .LBB80_107
; %bb.1:
	s_load_dwordx2 s[14:15], s[4:5], 0x0
	s_load_dword s2, s[0:1], 0xc
	v_mov_b32_e32 v1, v2
	v_cmp_gt_i64_e32 vcc, s[16:17], v[0:1]
	s_mul_i32 s21, s20, s16
	v_add_u32_e32 v3, 1, v0
	s_and_saveexec_b64 s[0:1], vcc
	s_cbranch_execz .LBB80_3
; %bb.2:
	v_add_u32_e32 v1, s21, v0
	s_waitcnt lgkmcnt(0)
	global_load_ubyte v1, v1, s[14:15]
	s_waitcnt vmcnt(0)
	ds_write_b8 v3, v1
.LBB80_3:
	s_or_b64 exec, exec, s[0:1]
	s_waitcnt lgkmcnt(0)
	s_and_b32 s18, 0xffff, s2
	v_add_u32_e32 v1, s18, v0
	v_cmp_gt_i64_e64 s[0:1], s[16:17], v[1:2]
	s_and_saveexec_b64 s[2:3], s[0:1]
	s_cbranch_execz .LBB80_5
; %bb.4:
	v_add_u32_e32 v2, s21, v1
	global_load_ubyte v2, v2, s[14:15]
	v_add_u32_e32 v1, 1, v1
	s_waitcnt vmcnt(0)
	ds_write_b8 v1, v2
.LBB80_5:
	s_or_b64 exec, exec, s[2:3]
	v_cndmask_b32_e64 v1, 0, 1, vcc
	ds_write_b8 v3, v1 offset:128
	v_add_u32_e32 v1, s18, v3
	v_cndmask_b32_e64 v2, 0, 1, s[0:1]
	ds_write_b8 v1, v2 offset:128
	v_add_u32_e32 v2, v3, v0
	s_waitcnt lgkmcnt(0)
	s_barrier
	s_barrier
	ds_read_i8 v1, v2
	ds_read_i8 v5, v2 offset:1
	ds_read_u8 v4, v2 offset:128
	ds_read_u8 v6, v2 offset:129
	v_and_b32_e32 v3, 1, v0
	s_waitcnt lgkmcnt(2)
	v_cmp_lt_i16_e32 vcc, v1, v5
	s_waitcnt lgkmcnt(1)
	v_and_b32_e32 v7, 1, v4
	v_cmp_eq_u32_e64 s[0:1], 1, v7
	s_waitcnt lgkmcnt(0)
	v_cmp_ne_u16_e64 s[2:3], v6, v3
	v_cndmask_b32_e64 v7, 0, 1, s[2:3]
	s_and_b64 vcc, vcc, s[0:1]
	v_cndmask_b32_e32 v7, v7, v0, vcc
	v_and_b32_e32 v7, 1, v7
	v_cmp_eq_u32_e32 vcc, 1, v7
	s_and_saveexec_b64 s[0:1], vcc
	s_cbranch_execz .LBB80_7
; %bb.6:
	ds_write_b8 v2, v5
	ds_write_b8 v2, v1 offset:1
	ds_write_b8 v2, v6 offset:128
	;; [unrolled: 1-line block ×3, first 2 shown]
.LBB80_7:
	s_or_b64 exec, exec, s[0:1]
	v_lshlrev_b32_e32 v1, 1, v0
	v_sub_u32_e32 v3, v1, v3
	v_add_u32_e32 v3, 1, v3
	s_waitcnt lgkmcnt(0)
	s_barrier
	ds_read_i8 v5, v3
	ds_read_i8 v7, v3 offset:2
	ds_read_u8 v6, v3 offset:128
	ds_read_u8 v8, v3 offset:130
	v_bfe_u32 v9, v0, 1, 1
	v_and_b32_e32 v4, 2, v0
	s_waitcnt lgkmcnt(2)
	v_cmp_lt_i16_e64 s[0:1], v5, v7
	s_waitcnt lgkmcnt(1)
	v_and_b32_e32 v10, 1, v6
	v_cmp_eq_u32_e64 s[2:3], 1, v10
	s_waitcnt lgkmcnt(0)
	v_cmp_ne_u16_e64 s[6:7], v8, v9
	v_cndmask_b32_e64 v10, 0, 1, s[6:7]
	s_and_b64 s[0:1], s[0:1], s[2:3]
	v_cndmask_b32_e64 v9, v10, v9, s[0:1]
	v_and_b32_e32 v9, 1, v9
	v_cmp_ne_u32_e32 vcc, 0, v4
	v_cmp_eq_u32_e64 s[0:1], 1, v9
	s_and_saveexec_b64 s[2:3], s[0:1]
	s_xor_b64 s[0:1], exec, s[2:3]
	s_cbranch_execz .LBB80_9
; %bb.8:
	ds_write_b8 v3, v7
	ds_write_b8 v3, v5 offset:2
	ds_write_b8 v3, v8 offset:128
	;; [unrolled: 1-line block ×3, first 2 shown]
.LBB80_9:
	s_or_b64 exec, exec, s[0:1]
	s_waitcnt lgkmcnt(0)
	s_barrier
	ds_read_i8 v5, v2
	ds_read_i8 v7, v2 offset:1
	ds_read_u8 v6, v2 offset:128
	ds_read_u8 v8, v2 offset:129
	v_lshrrev_b32_e32 v4, 1, v4
	s_waitcnt lgkmcnt(2)
	v_cmp_lt_i16_e64 s[0:1], v5, v7
	s_waitcnt lgkmcnt(1)
	v_and_b32_e32 v9, 1, v6
	v_cmp_eq_u32_e64 s[2:3], 1, v9
	s_waitcnt lgkmcnt(0)
	v_cmp_ne_u16_e64 s[6:7], v8, v4
	v_cndmask_b32_e64 v4, 0, 1, s[6:7]
	v_cndmask_b32_e64 v9, 0, 1, vcc
	s_and_b64 vcc, s[0:1], s[2:3]
	v_cndmask_b32_e32 v4, v4, v9, vcc
	v_and_b32_e32 v4, 1, v4
	v_cmp_eq_u32_e32 vcc, 1, v4
	s_and_saveexec_b64 s[0:1], vcc
	s_cbranch_execz .LBB80_11
; %bb.10:
	ds_write_b8 v2, v7
	ds_write_b8 v2, v5 offset:1
	ds_write_b8 v2, v8 offset:128
	;; [unrolled: 1-line block ×3, first 2 shown]
.LBB80_11:
	s_or_b64 exec, exec, s[0:1]
	v_and_b32_e32 v4, 3, v0
	v_sub_u32_e32 v4, v1, v4
	v_add_u32_e32 v4, 1, v4
	s_waitcnt lgkmcnt(0)
	s_barrier
	ds_read_i8 v6, v4
	ds_read_i8 v8, v4 offset:4
	ds_read_u8 v7, v4 offset:128
	ds_read_u8 v9, v4 offset:132
	v_bfe_u32 v10, v0, 2, 1
	v_and_b32_e32 v5, 4, v0
	s_waitcnt lgkmcnt(2)
	v_cmp_lt_i16_e64 s[0:1], v6, v8
	s_waitcnt lgkmcnt(1)
	v_and_b32_e32 v11, 1, v7
	v_cmp_eq_u32_e64 s[2:3], 1, v11
	s_waitcnt lgkmcnt(0)
	v_cmp_ne_u16_e64 s[6:7], v9, v10
	v_cndmask_b32_e64 v11, 0, 1, s[6:7]
	s_and_b64 s[0:1], s[0:1], s[2:3]
	v_cndmask_b32_e64 v10, v11, v10, s[0:1]
	v_and_b32_e32 v10, 1, v10
	v_cmp_ne_u32_e32 vcc, 0, v5
	v_cmp_eq_u32_e64 s[0:1], 1, v10
	s_and_saveexec_b64 s[2:3], s[0:1]
	s_cbranch_execz .LBB80_13
; %bb.12:
	ds_write_b8 v4, v8
	ds_write_b8 v4, v6 offset:4
	ds_write_b8 v4, v9 offset:128
	ds_write_b8 v4, v7 offset:132
.LBB80_13:
	s_or_b64 exec, exec, s[2:3]
	s_waitcnt lgkmcnt(0)
	s_barrier
	ds_read_i8 v7, v3
	ds_read_i8 v9, v3 offset:2
	ds_read_u8 v8, v3 offset:128
	ds_read_u8 v10, v3 offset:130
	v_lshrrev_b32_e32 v5, 2, v5
	s_waitcnt lgkmcnt(2)
	v_cmp_lt_i16_e64 s[0:1], v7, v9
	s_waitcnt lgkmcnt(1)
	v_and_b32_e32 v6, 1, v8
	v_cmp_eq_u32_e64 s[2:3], 1, v6
	s_waitcnt lgkmcnt(0)
	v_cmp_ne_u16_e64 s[6:7], v10, v5
	v_cndmask_b32_e64 v11, 0, 1, s[6:7]
	v_cndmask_b32_e64 v6, 0, 1, vcc
	s_and_b64 vcc, s[0:1], s[2:3]
	v_cndmask_b32_e32 v11, v11, v6, vcc
	v_and_b32_e32 v11, 1, v11
	v_cmp_eq_u32_e32 vcc, 1, v11
	s_and_saveexec_b64 s[0:1], vcc
	s_cbranch_execz .LBB80_15
; %bb.14:
	ds_write_b8 v3, v9
	ds_write_b8 v3, v7 offset:2
	ds_write_b8 v3, v10 offset:128
	;; [unrolled: 1-line block ×3, first 2 shown]
.LBB80_15:
	s_or_b64 exec, exec, s[0:1]
	s_waitcnt lgkmcnt(0)
	s_barrier
	ds_read_i8 v7, v2
	ds_read_i8 v9, v2 offset:1
	ds_read_u8 v8, v2 offset:128
	ds_read_u8 v10, v2 offset:129
	s_waitcnt lgkmcnt(2)
	v_cmp_lt_i16_e32 vcc, v7, v9
	s_waitcnt lgkmcnt(1)
	v_and_b32_e32 v11, 1, v8
	v_cmp_eq_u32_e64 s[0:1], 1, v11
	s_waitcnt lgkmcnt(0)
	v_cmp_ne_u16_e64 s[2:3], v10, v5
	v_cndmask_b32_e64 v5, 0, 1, s[2:3]
	s_and_b64 vcc, vcc, s[0:1]
	v_cndmask_b32_e32 v5, v5, v6, vcc
	v_and_b32_e32 v5, 1, v5
	v_cmp_eq_u32_e32 vcc, 1, v5
	s_and_saveexec_b64 s[0:1], vcc
	s_cbranch_execz .LBB80_17
; %bb.16:
	ds_write_b8 v2, v9
	ds_write_b8 v2, v7 offset:1
	ds_write_b8 v2, v10 offset:128
	;; [unrolled: 1-line block ×3, first 2 shown]
.LBB80_17:
	s_or_b64 exec, exec, s[0:1]
	v_and_b32_e32 v6, 7, v0
	v_sub_u32_e32 v6, v1, v6
	v_add_u32_e32 v6, 1, v6
	s_waitcnt lgkmcnt(0)
	s_barrier
	ds_read_i8 v7, v6
	ds_read_i8 v9, v6 offset:8
	ds_read_u8 v8, v6 offset:128
	ds_read_u8 v10, v6 offset:136
	v_bfe_u32 v11, v0, 3, 1
	v_and_b32_e32 v5, 8, v0
	s_waitcnt lgkmcnt(2)
	v_cmp_lt_i16_e64 s[0:1], v7, v9
	s_waitcnt lgkmcnt(1)
	v_and_b32_e32 v12, 1, v8
	v_cmp_eq_u32_e64 s[2:3], 1, v12
	s_waitcnt lgkmcnt(0)
	v_cmp_ne_u16_e64 s[6:7], v10, v11
	v_cndmask_b32_e64 v12, 0, 1, s[6:7]
	s_and_b64 s[0:1], s[0:1], s[2:3]
	v_cndmask_b32_e64 v11, v12, v11, s[0:1]
	v_and_b32_e32 v11, 1, v11
	v_cmp_ne_u32_e32 vcc, 0, v5
	v_cmp_eq_u32_e64 s[0:1], 1, v11
	s_and_saveexec_b64 s[2:3], s[0:1]
	s_cbranch_execz .LBB80_19
; %bb.18:
	ds_write_b8 v6, v9
	ds_write_b8 v6, v7 offset:8
	ds_write_b8 v6, v10 offset:128
	;; [unrolled: 1-line block ×3, first 2 shown]
.LBB80_19:
	s_or_b64 exec, exec, s[2:3]
	s_waitcnt lgkmcnt(0)
	s_barrier
	ds_read_i8 v8, v4
	ds_read_i8 v10, v4 offset:4
	ds_read_u8 v9, v4 offset:128
	ds_read_u8 v11, v4 offset:132
	v_lshrrev_b32_e32 v5, 3, v5
	s_waitcnt lgkmcnt(2)
	v_cmp_lt_i16_e64 s[0:1], v8, v10
	s_waitcnt lgkmcnt(1)
	v_and_b32_e32 v7, 1, v9
	v_cmp_eq_u32_e64 s[2:3], 1, v7
	s_waitcnt lgkmcnt(0)
	v_cmp_ne_u16_e64 s[6:7], v11, v5
	v_cndmask_b32_e64 v12, 0, 1, s[6:7]
	v_cndmask_b32_e64 v7, 0, 1, vcc
	s_and_b64 vcc, s[0:1], s[2:3]
	v_cndmask_b32_e32 v12, v12, v7, vcc
	v_and_b32_e32 v12, 1, v12
	v_cmp_eq_u32_e32 vcc, 1, v12
	s_and_saveexec_b64 s[0:1], vcc
	s_cbranch_execz .LBB80_21
; %bb.20:
	ds_write_b8 v4, v10
	ds_write_b8 v4, v8 offset:4
	ds_write_b8 v4, v11 offset:128
	;; [unrolled: 1-line block ×3, first 2 shown]
.LBB80_21:
	s_or_b64 exec, exec, s[0:1]
	s_waitcnt lgkmcnt(0)
	s_barrier
	ds_read_i8 v8, v3
	ds_read_i8 v10, v3 offset:2
	ds_read_u8 v9, v3 offset:128
	ds_read_u8 v11, v3 offset:130
	s_waitcnt lgkmcnt(2)
	v_cmp_lt_i16_e32 vcc, v8, v10
	s_waitcnt lgkmcnt(1)
	v_and_b32_e32 v12, 1, v9
	v_cmp_eq_u32_e64 s[0:1], 1, v12
	s_waitcnt lgkmcnt(0)
	v_cmp_ne_u16_e64 s[2:3], v11, v5
	v_cndmask_b32_e64 v12, 0, 1, s[2:3]
	s_and_b64 vcc, vcc, s[0:1]
	v_cndmask_b32_e32 v12, v12, v7, vcc
	v_and_b32_e32 v12, 1, v12
	v_cmp_eq_u32_e32 vcc, 1, v12
	s_and_saveexec_b64 s[0:1], vcc
	s_cbranch_execz .LBB80_23
; %bb.22:
	ds_write_b8 v3, v10
	ds_write_b8 v3, v8 offset:2
	ds_write_b8 v3, v11 offset:128
	;; [unrolled: 1-line block ×3, first 2 shown]
.LBB80_23:
	s_or_b64 exec, exec, s[0:1]
	s_waitcnt lgkmcnt(0)
	s_barrier
	ds_read_i8 v8, v2
	ds_read_i8 v10, v2 offset:1
	ds_read_u8 v9, v2 offset:128
	ds_read_u8 v11, v2 offset:129
	s_waitcnt lgkmcnt(2)
	v_cmp_lt_i16_e32 vcc, v8, v10
	s_waitcnt lgkmcnt(1)
	v_and_b32_e32 v12, 1, v9
	v_cmp_eq_u32_e64 s[0:1], 1, v12
	s_waitcnt lgkmcnt(0)
	v_cmp_ne_u16_e64 s[2:3], v11, v5
	v_cndmask_b32_e64 v5, 0, 1, s[2:3]
	s_and_b64 vcc, vcc, s[0:1]
	v_cndmask_b32_e32 v5, v5, v7, vcc
	v_and_b32_e32 v5, 1, v5
	v_cmp_eq_u32_e32 vcc, 1, v5
	s_and_saveexec_b64 s[0:1], vcc
	s_cbranch_execz .LBB80_25
; %bb.24:
	ds_write_b8 v2, v10
	ds_write_b8 v2, v8 offset:1
	ds_write_b8 v2, v11 offset:128
	;; [unrolled: 1-line block ×3, first 2 shown]
.LBB80_25:
	s_or_b64 exec, exec, s[0:1]
	v_and_b32_e32 v7, 15, v0
	v_sub_u32_e32 v7, v1, v7
	v_add_u32_e32 v7, 1, v7
	s_waitcnt lgkmcnt(0)
	s_barrier
	ds_read_i8 v8, v7
	ds_read_i8 v10, v7 offset:16
	ds_read_u8 v9, v7 offset:128
	ds_read_u8 v11, v7 offset:144
	v_bfe_u32 v12, v0, 4, 1
	v_and_b32_e32 v5, 16, v0
	s_waitcnt lgkmcnt(2)
	v_cmp_lt_i16_e64 s[0:1], v8, v10
	s_waitcnt lgkmcnt(1)
	v_and_b32_e32 v13, 1, v9
	v_cmp_eq_u32_e64 s[2:3], 1, v13
	s_waitcnt lgkmcnt(0)
	v_cmp_ne_u16_e64 s[6:7], v11, v12
	v_cndmask_b32_e64 v13, 0, 1, s[6:7]
	s_and_b64 s[0:1], s[0:1], s[2:3]
	v_cndmask_b32_e64 v12, v13, v12, s[0:1]
	v_and_b32_e32 v12, 1, v12
	v_cmp_ne_u32_e32 vcc, 0, v5
	v_cmp_eq_u32_e64 s[0:1], 1, v12
	s_and_saveexec_b64 s[2:3], s[0:1]
	s_cbranch_execz .LBB80_27
; %bb.26:
	ds_write_b8 v7, v10
	ds_write_b8 v7, v8 offset:16
	ds_write_b8 v7, v11 offset:128
	;; [unrolled: 1-line block ×3, first 2 shown]
.LBB80_27:
	s_or_b64 exec, exec, s[2:3]
	s_waitcnt lgkmcnt(0)
	s_barrier
	ds_read_i8 v9, v6
	ds_read_i8 v11, v6 offset:8
	ds_read_u8 v10, v6 offset:128
	ds_read_u8 v12, v6 offset:136
	v_lshrrev_b32_e32 v5, 4, v5
	s_waitcnt lgkmcnt(2)
	v_cmp_lt_i16_e64 s[0:1], v9, v11
	s_waitcnt lgkmcnt(1)
	v_and_b32_e32 v8, 1, v10
	v_cmp_eq_u32_e64 s[2:3], 1, v8
	s_waitcnt lgkmcnt(0)
	v_cmp_ne_u16_e64 s[6:7], v12, v5
	v_cndmask_b32_e64 v13, 0, 1, s[6:7]
	v_cndmask_b32_e64 v8, 0, 1, vcc
	s_and_b64 vcc, s[0:1], s[2:3]
	v_cndmask_b32_e32 v13, v13, v8, vcc
	v_and_b32_e32 v13, 1, v13
	v_cmp_eq_u32_e32 vcc, 1, v13
	s_and_saveexec_b64 s[0:1], vcc
	s_cbranch_execz .LBB80_29
; %bb.28:
	ds_write_b8 v6, v11
	ds_write_b8 v6, v9 offset:8
	ds_write_b8 v6, v12 offset:128
	ds_write_b8 v6, v10 offset:136
.LBB80_29:
	s_or_b64 exec, exec, s[0:1]
	s_waitcnt lgkmcnt(0)
	s_barrier
	ds_read_i8 v9, v4
	ds_read_i8 v11, v4 offset:4
	ds_read_u8 v10, v4 offset:128
	ds_read_u8 v12, v4 offset:132
	s_waitcnt lgkmcnt(2)
	v_cmp_lt_i16_e32 vcc, v9, v11
	s_waitcnt lgkmcnt(1)
	v_and_b32_e32 v13, 1, v10
	v_cmp_eq_u32_e64 s[0:1], 1, v13
	s_waitcnt lgkmcnt(0)
	v_cmp_ne_u16_e64 s[2:3], v12, v5
	v_cndmask_b32_e64 v13, 0, 1, s[2:3]
	s_and_b64 vcc, vcc, s[0:1]
	v_cndmask_b32_e32 v13, v13, v8, vcc
	v_and_b32_e32 v13, 1, v13
	v_cmp_eq_u32_e32 vcc, 1, v13
	s_and_saveexec_b64 s[0:1], vcc
	s_cbranch_execz .LBB80_31
; %bb.30:
	ds_write_b8 v4, v11
	ds_write_b8 v4, v9 offset:4
	ds_write_b8 v4, v12 offset:128
	ds_write_b8 v4, v10 offset:132
.LBB80_31:
	s_or_b64 exec, exec, s[0:1]
	s_waitcnt lgkmcnt(0)
	s_barrier
	ds_read_i8 v9, v3
	ds_read_i8 v11, v3 offset:2
	ds_read_u8 v10, v3 offset:128
	ds_read_u8 v12, v3 offset:130
	s_waitcnt lgkmcnt(2)
	v_cmp_lt_i16_e32 vcc, v9, v11
	s_waitcnt lgkmcnt(1)
	v_and_b32_e32 v13, 1, v10
	v_cmp_eq_u32_e64 s[0:1], 1, v13
	s_waitcnt lgkmcnt(0)
	v_cmp_ne_u16_e64 s[2:3], v12, v5
	v_cndmask_b32_e64 v13, 0, 1, s[2:3]
	s_and_b64 vcc, vcc, s[0:1]
	;; [unrolled: 27-line block ×3, first 2 shown]
	v_cndmask_b32_e32 v5, v5, v8, vcc
	v_and_b32_e32 v5, 1, v5
	v_cmp_eq_u32_e32 vcc, 1, v5
	s_and_saveexec_b64 s[0:1], vcc
	s_cbranch_execz .LBB80_35
; %bb.34:
	ds_write_b8 v2, v11
	ds_write_b8 v2, v9 offset:1
	ds_write_b8 v2, v12 offset:128
	;; [unrolled: 1-line block ×3, first 2 shown]
.LBB80_35:
	s_or_b64 exec, exec, s[0:1]
	v_and_b32_e32 v8, 31, v0
	v_sub_u32_e32 v8, v1, v8
	v_add_u32_e32 v8, 1, v8
	s_waitcnt lgkmcnt(0)
	s_barrier
	ds_read_i8 v9, v8
	ds_read_i8 v11, v8 offset:32
	ds_read_u8 v10, v8 offset:128
	ds_read_u8 v12, v8 offset:160
	v_bfe_u32 v13, v0, 5, 1
	v_and_b32_e32 v5, 32, v0
	s_waitcnt lgkmcnt(2)
	v_cmp_lt_i16_e64 s[0:1], v9, v11
	s_waitcnt lgkmcnt(1)
	v_and_b32_e32 v14, 1, v10
	v_cmp_eq_u32_e64 s[2:3], 1, v14
	s_waitcnt lgkmcnt(0)
	v_cmp_ne_u16_e64 s[6:7], v12, v13
	v_cndmask_b32_e64 v14, 0, 1, s[6:7]
	s_and_b64 s[0:1], s[0:1], s[2:3]
	v_cndmask_b32_e64 v13, v14, v13, s[0:1]
	v_and_b32_e32 v13, 1, v13
	v_cmp_ne_u32_e32 vcc, 0, v5
	v_cmp_eq_u32_e64 s[0:1], 1, v13
	s_and_saveexec_b64 s[2:3], s[0:1]
	s_cbranch_execz .LBB80_37
; %bb.36:
	ds_write_b8 v8, v11
	ds_write_b8 v8, v9 offset:32
	ds_write_b8 v8, v12 offset:128
	;; [unrolled: 1-line block ×3, first 2 shown]
.LBB80_37:
	s_or_b64 exec, exec, s[2:3]
	s_waitcnt lgkmcnt(0)
	s_barrier
	ds_read_i8 v10, v7
	ds_read_i8 v12, v7 offset:16
	ds_read_u8 v11, v7 offset:128
	ds_read_u8 v13, v7 offset:144
	v_lshrrev_b32_e32 v5, 5, v5
	s_waitcnt lgkmcnt(2)
	v_cmp_lt_i16_e64 s[0:1], v10, v12
	s_waitcnt lgkmcnt(1)
	v_and_b32_e32 v9, 1, v11
	v_cmp_eq_u32_e64 s[2:3], 1, v9
	s_waitcnt lgkmcnt(0)
	v_cmp_ne_u16_e64 s[6:7], v13, v5
	v_cndmask_b32_e64 v14, 0, 1, s[6:7]
	v_cndmask_b32_e64 v9, 0, 1, vcc
	s_and_b64 vcc, s[0:1], s[2:3]
	v_cndmask_b32_e32 v14, v14, v9, vcc
	v_and_b32_e32 v14, 1, v14
	v_cmp_eq_u32_e32 vcc, 1, v14
	s_and_saveexec_b64 s[0:1], vcc
	s_cbranch_execz .LBB80_39
; %bb.38:
	ds_write_b8 v7, v12
	ds_write_b8 v7, v10 offset:16
	ds_write_b8 v7, v13 offset:128
	ds_write_b8 v7, v11 offset:144
.LBB80_39:
	s_or_b64 exec, exec, s[0:1]
	s_waitcnt lgkmcnt(0)
	s_barrier
	ds_read_i8 v10, v6
	ds_read_i8 v12, v6 offset:8
	ds_read_u8 v11, v6 offset:128
	ds_read_u8 v13, v6 offset:136
	s_waitcnt lgkmcnt(2)
	v_cmp_lt_i16_e32 vcc, v10, v12
	s_waitcnt lgkmcnt(1)
	v_and_b32_e32 v14, 1, v11
	v_cmp_eq_u32_e64 s[0:1], 1, v14
	s_waitcnt lgkmcnt(0)
	v_cmp_ne_u16_e64 s[2:3], v13, v5
	v_cndmask_b32_e64 v14, 0, 1, s[2:3]
	s_and_b64 vcc, vcc, s[0:1]
	v_cndmask_b32_e32 v14, v14, v9, vcc
	v_and_b32_e32 v14, 1, v14
	v_cmp_eq_u32_e32 vcc, 1, v14
	s_and_saveexec_b64 s[0:1], vcc
	s_cbranch_execz .LBB80_41
; %bb.40:
	ds_write_b8 v6, v12
	ds_write_b8 v6, v10 offset:8
	ds_write_b8 v6, v13 offset:128
	ds_write_b8 v6, v11 offset:136
.LBB80_41:
	s_or_b64 exec, exec, s[0:1]
	s_waitcnt lgkmcnt(0)
	s_barrier
	ds_read_i8 v10, v4
	ds_read_i8 v12, v4 offset:4
	ds_read_u8 v11, v4 offset:128
	ds_read_u8 v13, v4 offset:132
	s_waitcnt lgkmcnt(2)
	v_cmp_lt_i16_e32 vcc, v10, v12
	s_waitcnt lgkmcnt(1)
	v_and_b32_e32 v14, 1, v11
	v_cmp_eq_u32_e64 s[0:1], 1, v14
	s_waitcnt lgkmcnt(0)
	v_cmp_ne_u16_e64 s[2:3], v13, v5
	v_cndmask_b32_e64 v14, 0, 1, s[2:3]
	s_and_b64 vcc, vcc, s[0:1]
	;; [unrolled: 27-line block ×4, first 2 shown]
	v_cndmask_b32_e32 v5, v5, v9, vcc
	v_and_b32_e32 v5, 1, v5
	v_cmp_eq_u32_e32 vcc, 1, v5
	s_and_saveexec_b64 s[0:1], vcc
	s_cbranch_execz .LBB80_47
; %bb.46:
	ds_write_b8 v2, v12
	ds_write_b8 v2, v10 offset:1
	ds_write_b8 v2, v13 offset:128
	;; [unrolled: 1-line block ×3, first 2 shown]
.LBB80_47:
	s_or_b64 exec, exec, s[0:1]
	v_and_b32_e32 v5, 63, v0
	v_sub_u32_e32 v9, v1, v5
	v_add_u32_e32 v10, 1, v9
	s_waitcnt lgkmcnt(0)
	s_barrier
	ds_read_i8 v11, v10
	ds_read_i8 v13, v10 offset:64
	ds_read_u8 v12, v10 offset:128
	ds_read_u8 v14, v10 offset:192
	s_waitcnt lgkmcnt(2)
	v_cmp_ge_i16_e32 vcc, v11, v13
	s_waitcnt lgkmcnt(1)
	v_and_b32_e32 v9, 1, v12
	v_cmp_eq_u32_e64 s[0:1], 1, v9
	s_xor_b64 s[0:1], s[0:1], -1
	v_mov_b32_e32 v9, 0
	s_or_b64 s[0:1], vcc, s[0:1]
	s_waitcnt lgkmcnt(0)
	v_cmp_ne_u16_sdwa s[2:3], v14, v9 src0_sel:BYTE_0 src1_sel:DWORD
	s_and_b64 s[2:3], s[0:1], s[2:3]
	s_and_saveexec_b64 s[0:1], s[2:3]
	s_cbranch_execz .LBB80_49
; %bb.48:
	ds_write_b8 v10, v13
	ds_write_b8 v10, v11 offset:64
	v_mov_b32_e32 v11, 1
	ds_write_b8 v10, v11 offset:128
	ds_write_b8 v10, v12 offset:192
.LBB80_49:
	s_or_b64 exec, exec, s[0:1]
	s_waitcnt lgkmcnt(0)
	s_barrier
	ds_read_i8 v10, v8
	ds_read_i8 v12, v8 offset:32
	ds_read_u8 v11, v8 offset:128
	ds_read_u8 v13, v8 offset:160
	s_waitcnt lgkmcnt(2)
	v_cmp_ge_i16_e32 vcc, v10, v12
	s_waitcnt lgkmcnt(1)
	v_and_b32_e32 v14, 1, v11
	v_cmp_eq_u32_e64 s[0:1], 1, v14
	s_xor_b64 s[0:1], s[0:1], -1
	s_or_b64 s[0:1], vcc, s[0:1]
	s_waitcnt lgkmcnt(0)
	v_cmp_ne_u16_sdwa s[2:3], v13, v9 src0_sel:BYTE_0 src1_sel:DWORD
	s_and_b64 s[2:3], s[0:1], s[2:3]
	s_and_saveexec_b64 s[0:1], s[2:3]
	s_cbranch_execz .LBB80_51
; %bb.50:
	v_mov_b32_e32 v9, 1
	ds_write_b8 v8, v12
	ds_write_b8 v8, v10 offset:32
	ds_write_b8 v8, v9 offset:128
	;; [unrolled: 1-line block ×3, first 2 shown]
.LBB80_51:
	s_or_b64 exec, exec, s[0:1]
	s_waitcnt lgkmcnt(0)
	s_barrier
	ds_read_i8 v9, v7
	ds_read_i8 v11, v7 offset:16
	ds_read_u8 v10, v7 offset:128
	ds_read_u8 v12, v7 offset:144
	s_waitcnt lgkmcnt(2)
	v_cmp_ge_i16_e32 vcc, v9, v11
	s_waitcnt lgkmcnt(1)
	v_and_b32_e32 v8, 1, v10
	v_cmp_eq_u32_e64 s[0:1], 1, v8
	s_xor_b64 s[0:1], s[0:1], -1
	v_mov_b32_e32 v8, 0
	s_or_b64 s[0:1], vcc, s[0:1]
	s_waitcnt lgkmcnt(0)
	v_cmp_ne_u16_sdwa s[2:3], v12, v8 src0_sel:BYTE_0 src1_sel:DWORD
	s_and_b64 s[2:3], s[0:1], s[2:3]
	s_and_saveexec_b64 s[0:1], s[2:3]
	s_cbranch_execz .LBB80_53
; %bb.52:
	ds_write_b8 v7, v11
	ds_write_b8 v7, v9 offset:16
	v_mov_b32_e32 v9, 1
	ds_write_b8 v7, v9 offset:128
	ds_write_b8 v7, v10 offset:144
.LBB80_53:
	s_or_b64 exec, exec, s[0:1]
	s_waitcnt lgkmcnt(0)
	s_barrier
	ds_read_i8 v7, v6
	ds_read_i8 v10, v6 offset:8
	ds_read_u8 v9, v6 offset:128
	ds_read_u8 v11, v6 offset:136
	s_waitcnt lgkmcnt(2)
	v_cmp_ge_i16_e32 vcc, v7, v10
	s_waitcnt lgkmcnt(1)
	v_and_b32_e32 v12, 1, v9
	v_cmp_eq_u32_e64 s[0:1], 1, v12
	s_xor_b64 s[0:1], s[0:1], -1
	s_or_b64 s[0:1], vcc, s[0:1]
	s_waitcnt lgkmcnt(0)
	v_cmp_ne_u16_sdwa s[2:3], v11, v8 src0_sel:BYTE_0 src1_sel:DWORD
	s_and_b64 s[2:3], s[0:1], s[2:3]
	s_and_saveexec_b64 s[0:1], s[2:3]
	s_cbranch_execz .LBB80_55
; %bb.54:
	ds_write_b8 v6, v10
	ds_write_b8 v6, v7 offset:8
	v_mov_b32_e32 v7, 1
	ds_write_b8 v6, v7 offset:128
	ds_write_b8 v6, v9 offset:136
.LBB80_55:
	s_or_b64 exec, exec, s[0:1]
	s_waitcnt lgkmcnt(0)
	s_barrier
	ds_read_i8 v7, v4
	ds_read_i8 v9, v4 offset:4
	ds_read_u8 v8, v4 offset:128
	ds_read_u8 v10, v4 offset:132
	s_waitcnt lgkmcnt(2)
	v_cmp_ge_i16_e32 vcc, v7, v9
	s_waitcnt lgkmcnt(1)
	v_and_b32_e32 v6, 1, v8
	v_cmp_eq_u32_e64 s[0:1], 1, v6
	s_xor_b64 s[0:1], s[0:1], -1
	v_mov_b32_e32 v6, 0
	s_or_b64 s[0:1], vcc, s[0:1]
	s_waitcnt lgkmcnt(0)
	v_cmp_ne_u16_sdwa s[2:3], v10, v6 src0_sel:BYTE_0 src1_sel:DWORD
	s_and_b64 s[2:3], s[0:1], s[2:3]
	s_and_saveexec_b64 s[0:1], s[2:3]
	s_cbranch_execz .LBB80_57
; %bb.56:
	ds_write_b8 v4, v9
	ds_write_b8 v4, v7 offset:4
	v_mov_b32_e32 v7, 1
	ds_write_b8 v4, v7 offset:128
	ds_write_b8 v4, v8 offset:132
.LBB80_57:
	s_or_b64 exec, exec, s[0:1]
	s_waitcnt lgkmcnt(0)
	s_barrier
	ds_read_i8 v4, v3
	ds_read_i8 v8, v3 offset:2
	ds_read_u8 v7, v3 offset:128
	ds_read_u8 v9, v3 offset:130
	s_waitcnt lgkmcnt(2)
	v_cmp_ge_i16_e32 vcc, v4, v8
	s_waitcnt lgkmcnt(1)
	v_and_b32_e32 v10, 1, v7
	v_cmp_eq_u32_e64 s[0:1], 1, v10
	s_xor_b64 s[0:1], s[0:1], -1
	s_or_b64 s[0:1], vcc, s[0:1]
	s_waitcnt lgkmcnt(0)
	v_cmp_ne_u16_sdwa s[2:3], v9, v6 src0_sel:BYTE_0 src1_sel:DWORD
	s_and_b64 s[2:3], s[0:1], s[2:3]
	s_and_saveexec_b64 s[0:1], s[2:3]
	s_cbranch_execz .LBB80_59
; %bb.58:
	ds_write_b8 v3, v8
	ds_write_b8 v3, v4 offset:2
	v_mov_b32_e32 v4, 1
	ds_write_b8 v3, v4 offset:128
	ds_write_b8 v3, v7 offset:130
.LBB80_59:
	s_or_b64 exec, exec, s[0:1]
	s_waitcnt lgkmcnt(0)
	s_barrier
	ds_read_i8 v3, v2
	ds_read_i8 v6, v2 offset:1
	ds_read_u8 v4, v2 offset:128
	ds_read_u8 v7, v2 offset:129
	s_waitcnt lgkmcnt(2)
	v_cmp_ge_i16_e32 vcc, v3, v6
	s_waitcnt lgkmcnt(1)
	v_and_b32_e32 v8, 1, v4
	v_cmp_eq_u32_e64 s[0:1], 1, v8
	s_xor_b64 s[0:1], s[0:1], -1
	v_mov_b32_e32 v8, 0
	s_or_b64 s[0:1], vcc, s[0:1]
	s_waitcnt lgkmcnt(0)
	v_cmp_ne_u16_sdwa s[2:3], v7, v8 src0_sel:BYTE_0 src1_sel:DWORD
	s_and_b64 s[2:3], s[0:1], s[2:3]
	s_and_saveexec_b64 s[0:1], s[2:3]
	s_cbranch_execz .LBB80_61
; %bb.60:
	ds_write_b8 v2, v6
	ds_write_b8 v2, v3 offset:1
	v_mov_b32_e32 v3, 1
	ds_write_b8 v2, v3 offset:128
	ds_write_b8 v2, v4 offset:129
.LBB80_61:
	s_or_b64 exec, exec, s[0:1]
	v_cmp_eq_u32_e32 vcc, 0, v0
	s_waitcnt lgkmcnt(0)
	s_barrier
	s_barrier
	s_and_saveexec_b64 s[0:1], vcc
	s_cbranch_execz .LBB80_63
; %bb.62:
	v_mov_b32_e32 v3, 1
	v_mov_b32_e32 v4, 0
	ds_write_b8 v3, v3 offset:132
	ds_write_b32 v3, v4 offset:128
.LBB80_63:
	s_or_b64 exec, exec, s[0:1]
	ds_read_u8 v4, v2
	ds_read_u8 v3, v2 offset:1
	v_mad_u32_u24 v2, v0, 14, v2
	v_cmp_gt_u32_e64 s[2:3], 63, v0
	s_waitcnt lgkmcnt(0)
	v_cmp_ne_u16_e64 s[0:1], v4, v3
	v_cndmask_b32_e64 v6, 0, 1, s[0:1]
	v_cmp_eq_u16_e64 s[0:1], v4, v3
	v_cndmask_b32_e64 v4, 0, 1, s[0:1]
	ds_write_b8 v2, v6 offset:140
	ds_write_b32 v2, v4 offset:136
	s_and_saveexec_b64 s[6:7], s[2:3]
	s_cbranch_execz .LBB80_65
; %bb.64:
	v_mad_i32_i24 v4, v0, -14, v2
	ds_read_u8 v6, v4 offset:2
	v_mul_u32_u24_e32 v7, 14, v0
	v_add_u32_e32 v4, v4, v7
	s_waitcnt lgkmcnt(0)
	v_cmp_ne_u16_e64 s[0:1], v3, v6
	v_cndmask_b32_e64 v7, 0, 1, s[0:1]
	v_cmp_eq_u16_e64 s[0:1], v3, v6
	v_cndmask_b32_e64 v3, 0, 1, s[0:1]
	ds_write_b8 v4, v7 offset:148
	ds_write_b32 v4, v3 offset:144
.LBB80_65:
	s_or_b64 exec, exec, s[6:7]
	v_cmp_gt_u32_e64 s[0:1], 64, v0
	s_waitcnt lgkmcnt(0)
	s_barrier
	s_and_saveexec_b64 s[8:9], s[0:1]
	s_cbranch_execz .LBB80_67
; %bb.66:
	ds_read_u8 v6, v2 offset:140
	ds_read_u8 v7, v2 offset:132
	ds_read2_b32 v[3:4], v2 offset0:32 offset1:34
	s_waitcnt lgkmcnt(2)
	v_and_b32_e32 v8, 1, v6
	v_cmp_eq_u32_e64 s[6:7], 1, v8
	s_waitcnt lgkmcnt(1)
	v_or_b32_e32 v6, v7, v6
	s_waitcnt lgkmcnt(0)
	v_cndmask_b32_e64 v3, v3, 0, s[6:7]
	v_add_u32_e32 v3, v3, v4
	v_and_b32_e32 v4, 1, v6
	ds_write2_b32 v2, v3, v4 offset0:34 offset1:35
.LBB80_67:
	s_or_b64 exec, exec, s[8:9]
	v_add_u32_e32 v8, 2, v1
	v_lshlrev_b32_e32 v3, 1, v8
	v_cmp_gt_u32_e64 s[6:7], 32, v0
	v_lshl_add_u32 v3, v3, 3, 1
	s_waitcnt lgkmcnt(0)
	s_barrier
	s_and_saveexec_b64 s[8:9], s[6:7]
	s_cbranch_execz .LBB80_69
; %bb.68:
	ds_read_u8 v4, v3 offset:124
	ds_read_u8 v9, v3 offset:108
	ds_read2_b32 v[6:7], v3 offset0:26 offset1:30
	s_waitcnt lgkmcnt(2)
	v_and_b32_e32 v10, 1, v4
	v_cmp_eq_u32_e64 s[6:7], 1, v10
	s_waitcnt lgkmcnt(1)
	v_or_b32_e32 v4, v9, v4
	s_waitcnt lgkmcnt(0)
	v_cndmask_b32_e64 v6, v6, 0, s[6:7]
	v_add_u32_e32 v6, v6, v7
	v_and_b32_e32 v4, 1, v4
	ds_write2_b32 v3, v6, v4 offset0:30 offset1:31
.LBB80_69:
	s_or_b64 exec, exec, s[8:9]
	v_lshlrev_b32_e32 v4, 2, v8
	v_cmp_gt_u32_e64 s[6:7], 16, v0
	v_lshl_add_u32 v4, v4, 3, 1
	s_waitcnt lgkmcnt(0)
	s_barrier
	s_and_saveexec_b64 s[8:9], s[6:7]
	s_cbranch_execz .LBB80_71
; %bb.70:
	ds_read_u8 v9, v4 offset:124
	ds_read_u8 v10, v4 offset:92
	ds_read2_b32 v[6:7], v4 offset0:22 offset1:30
	s_waitcnt lgkmcnt(2)
	v_and_b32_e32 v11, 1, v9
	v_cmp_eq_u32_e64 s[6:7], 1, v11
	s_waitcnt lgkmcnt(1)
	v_or_b32_e32 v9, v10, v9
	s_waitcnt lgkmcnt(0)
	v_cndmask_b32_e64 v6, v6, 0, s[6:7]
	v_add_u32_e32 v6, v6, v7
	v_and_b32_e32 v7, 1, v9
	ds_write2_b32 v4, v6, v7 offset0:30 offset1:31
.LBB80_71:
	s_or_b64 exec, exec, s[8:9]
	v_lshlrev_b32_e32 v6, 3, v8
	v_cmp_gt_u32_e64 s[6:7], 8, v0
	v_lshl_add_u32 v6, v6, 3, 1
	s_waitcnt lgkmcnt(0)
	s_barrier
	s_and_saveexec_b64 s[8:9], s[6:7]
	s_cbranch_execz .LBB80_73
; %bb.72:
	ds_read_u8 v7, v6 offset:124
	ds_read_u8 v11, v6 offset:60
	ds_read2_b32 v[9:10], v6 offset0:14 offset1:30
	s_waitcnt lgkmcnt(2)
	v_and_b32_e32 v12, 1, v7
	v_cmp_eq_u32_e64 s[6:7], 1, v12
	s_waitcnt lgkmcnt(1)
	v_or_b32_e32 v7, v11, v7
	s_waitcnt lgkmcnt(0)
	v_cndmask_b32_e64 v9, v9, 0, s[6:7]
	v_add_u32_e32 v9, v9, v10
	v_and_b32_e32 v7, 1, v7
	ds_write2_b32 v6, v9, v7 offset0:30 offset1:31
.LBB80_73:
	s_or_b64 exec, exec, s[8:9]
	v_lshlrev_b32_e32 v7, 4, v8
	v_cmp_gt_u32_e64 s[6:7], 4, v0
	v_lshl_add_u32 v7, v7, 3, 1
	s_waitcnt lgkmcnt(0)
	s_barrier
	s_and_saveexec_b64 s[8:9], s[6:7]
	s_cbranch_execz .LBB80_75
; %bb.74:
	ds_read_u8 v10, v7 offset:124
	v_add_u32_e32 v9, -8, v7
	v_add_u32_e32 v11, -4, v7
	ds_read_b32 v9, v9
	ds_read_b32 v12, v7 offset:120
	ds_read_u8 v11, v11
	s_waitcnt lgkmcnt(3)
	v_and_b32_e32 v13, 1, v10
	v_cmp_eq_u32_e64 s[6:7], 1, v13
	s_waitcnt lgkmcnt(2)
	v_cndmask_b32_e64 v9, v9, 0, s[6:7]
	s_waitcnt lgkmcnt(0)
	v_or_b32_e32 v10, v11, v10
	v_add_u32_e32 v9, v9, v12
	v_and_b32_e32 v10, 1, v10
	ds_write2_b32 v7, v9, v10 offset0:30 offset1:31
.LBB80_75:
	s_or_b64 exec, exec, s[8:9]
	v_lshlrev_b32_e32 v8, 5, v8
	v_cmp_gt_u32_e64 s[6:7], 2, v0
	v_lshl_add_u32 v8, v8, 3, 1
	s_waitcnt lgkmcnt(0)
	s_barrier
	s_and_saveexec_b64 s[8:9], s[6:7]
	s_cbranch_execz .LBB80_77
; %bb.76:
	ds_read_u8 v10, v8 offset:124
	v_add_u32_e32 v9, 0xffffff78, v8
	v_add_u32_e32 v11, 0xffffff7c, v8
	ds_read_b32 v9, v9
	ds_read_b32 v12, v8 offset:120
	ds_read_u8 v11, v11
	s_waitcnt lgkmcnt(3)
	v_and_b32_e32 v13, 1, v10
	v_cmp_eq_u32_e64 s[6:7], 1, v13
	s_waitcnt lgkmcnt(2)
	v_cndmask_b32_e64 v9, v9, 0, s[6:7]
	s_waitcnt lgkmcnt(0)
	v_or_b32_e32 v10, v11, v10
	v_add_u32_e32 v9, v9, v12
	v_and_b32_e32 v10, 1, v10
	ds_write2_b32 v8, v9, v10 offset0:30 offset1:31
.LBB80_77:
	s_or_b64 exec, exec, s[8:9]
	s_waitcnt lgkmcnt(0)
	s_barrier
	s_and_saveexec_b64 s[8:9], vcc
	s_cbranch_execz .LBB80_79
; %bb.78:
	v_mov_b32_e32 v9, 1
	ds_read_u8 v10, v9 offset:1148
	ds_read_b32 v11, v9 offset:632
	ds_read_b32 v12, v9 offset:1144
	ds_read_u8 v9, v9 offset:636
	s_add_i32 s10, 1, 0x478
	s_waitcnt lgkmcnt(3)
	v_and_b32_e32 v13, 1, v10
	v_cmp_eq_u32_e64 s[6:7], 1, v13
	s_waitcnt lgkmcnt(2)
	v_cndmask_b32_e64 v11, v11, 0, s[6:7]
	s_waitcnt lgkmcnt(0)
	v_or_b32_e32 v9, v9, v10
	v_add_u32_e32 v11, v11, v12
	v_and_b32_e32 v9, 1, v9
	v_mov_b32_e32 v10, s10
	ds_write2_b32 v10, v11, v9 offset1:1
.LBB80_79:
	s_or_b64 exec, exec, s[8:9]
	s_waitcnt lgkmcnt(0)
	s_barrier
	s_and_saveexec_b64 s[8:9], vcc
	s_cbranch_execz .LBB80_81
; %bb.80:
	ds_read_u8 v11, v8 offset:380
	ds_read_u8 v12, v8 offset:124
	ds_read2_b32 v[9:10], v8 offset0:30 offset1:94
	s_waitcnt lgkmcnt(2)
	v_and_b32_e32 v13, 1, v11
	v_cmp_eq_u32_e64 s[6:7], 1, v13
	s_waitcnt lgkmcnt(1)
	v_or_b32_e32 v11, v12, v11
	s_waitcnt lgkmcnt(0)
	v_cndmask_b32_e64 v9, v9, 0, s[6:7]
	v_add_u32_e32 v9, v9, v10
	v_and_b32_e32 v10, 1, v11
	ds_write2_b32 v8, v9, v10 offset0:94 offset1:95
.LBB80_81:
	s_or_b64 exec, exec, s[8:9]
	v_cmp_gt_u32_e64 s[6:7], 3, v0
	s_waitcnt lgkmcnt(0)
	s_barrier
	s_and_saveexec_b64 s[8:9], s[6:7]
	s_cbranch_execz .LBB80_83
; %bb.82:
	ds_read_u8 v10, v7 offset:252
	ds_read_u8 v11, v7 offset:124
	ds_read2_b32 v[8:9], v7 offset0:30 offset1:62
	s_waitcnt lgkmcnt(2)
	v_and_b32_e32 v12, 1, v10
	v_cmp_eq_u32_e64 s[6:7], 1, v12
	s_waitcnt lgkmcnt(1)
	v_or_b32_e32 v10, v11, v10
	s_waitcnt lgkmcnt(0)
	v_cndmask_b32_e64 v8, v8, 0, s[6:7]
	v_add_u32_e32 v8, v8, v9
	v_and_b32_e32 v9, 1, v10
	ds_write2_b32 v7, v8, v9 offset0:62 offset1:63
.LBB80_83:
	s_or_b64 exec, exec, s[8:9]
	v_cmp_gt_u32_e64 s[6:7], 7, v0
	s_waitcnt lgkmcnt(0)
	s_barrier
	s_and_saveexec_b64 s[8:9], s[6:7]
	;; [unrolled: 21-line block ×4, first 2 shown]
	s_cbranch_execz .LBB80_89
; %bb.88:
	ds_read_u8 v4, v3 offset:140
	ds_read_u8 v8, v3 offset:124
	ds_read2_b32 v[6:7], v3 offset0:30 offset1:34
	s_waitcnt lgkmcnt(2)
	v_and_b32_e32 v9, 1, v4
	v_cmp_eq_u32_e64 s[6:7], 1, v9
	s_waitcnt lgkmcnt(1)
	v_or_b32_e32 v4, v8, v4
	s_waitcnt lgkmcnt(0)
	v_cndmask_b32_e64 v6, v6, 0, s[6:7]
	v_add_u32_e32 v6, v6, v7
	v_and_b32_e32 v4, 1, v4
	ds_write2_b32 v3, v6, v4 offset0:34 offset1:35
.LBB80_89:
	s_or_b64 exec, exec, s[8:9]
	v_lshl_add_u32 v3, v1, 3, 1
	s_waitcnt lgkmcnt(0)
	s_barrier
	s_and_saveexec_b64 s[6:7], s[2:3]
	s_cbranch_execz .LBB80_91
; %bb.90:
	ds_read_u8 v4, v3 offset:148
	ds_read_b32 v6, v2 offset:136
	ds_read_b32 v7, v3 offset:144
	ds_read_u8 v8, v2 offset:140
	s_waitcnt lgkmcnt(3)
	v_and_b32_e32 v9, 1, v4
	v_cmp_eq_u32_e64 s[2:3], 1, v9
	s_waitcnt lgkmcnt(2)
	v_cndmask_b32_e64 v6, v6, 0, s[2:3]
	s_waitcnt lgkmcnt(0)
	v_or_b32_e32 v4, v8, v4
	v_add_u32_e32 v6, v6, v7
	v_and_b32_e32 v4, 1, v4
	ds_write2_b32 v3, v6, v4 offset0:36 offset1:37
.LBB80_91:
	s_or_b64 exec, exec, s[6:7]
	s_waitcnt lgkmcnt(0)
	s_barrier
	ds_read_b32 v4, v3 offset:128
	ds_read_b32 v2, v2 offset:136
	v_or_b32_e32 v3, 1, v1
	v_cmp_gt_u32_e64 s[2:3], s16, v1
	v_cmp_gt_u32_e64 s[6:7], s16, v3
	v_mbcnt_lo_u32_b32 v6, -1, 0
	s_waitcnt lgkmcnt(1)
	v_cndmask_b32_e64 v4, 0, v4, s[2:3]
	s_waitcnt lgkmcnt(0)
	v_cndmask_b32_e64 v2, 0, v2, s[6:7]
	v_mbcnt_hi_u32_b32 v11, -1, v6
	v_mov_b32_e32 v6, 0x80
	v_cndmask_b32_e64 v7, 0, v1, s[2:3]
	v_cndmask_b32_e64 v8, 0, v3, s[6:7]
	v_max_u32_e32 v9, v2, v4
	v_lshl_or_b32 v6, v11, 2, v6
	v_cmp_gt_u32_e64 s[8:9], v2, v4
	ds_bpermute_b32 v10, v6, v9
	v_cndmask_b32_e64 v2, v7, v8, s[8:9]
	ds_bpermute_b32 v4, v6, v2
	v_and_b32_e32 v12, 63, v11
	v_cmp_gt_u32_e64 s[8:9], 48, v12
	v_cndmask_b32_e64 v7, 0, 16, s[8:9]
	s_waitcnt lgkmcnt(1)
	v_max_u32_e32 v13, v10, v9
	v_add_lshl_u32 v7, v7, v11, 2
	v_cmp_gt_u32_e64 s[8:9], v10, v9
	ds_bpermute_b32 v14, v7, v13
	s_waitcnt lgkmcnt(1)
	v_cndmask_b32_e64 v2, v2, v4, s[8:9]
	ds_bpermute_b32 v4, v7, v2
	v_cmp_gt_u32_e64 s[8:9], 56, v12
	v_cndmask_b32_e64 v8, 0, 8, s[8:9]
	s_waitcnt lgkmcnt(1)
	v_max_u32_e32 v10, v14, v13
	v_add_lshl_u32 v8, v8, v11, 2
	v_cmp_gt_u32_e64 s[8:9], v14, v13
	ds_bpermute_b32 v15, v8, v10
	s_waitcnt lgkmcnt(1)
	v_cndmask_b32_e64 v2, v2, v4, s[8:9]
	ds_bpermute_b32 v4, v8, v2
	;; [unrolled: 10-line block ×4, first 2 shown]
	s_waitcnt lgkmcnt(0)
	s_barrier
	v_cmp_gt_u32_e64 s[8:9], v16, v15
	v_max_u32_e32 v2, v16, v15
	v_cndmask_b32_e64 v4, v4, v13, s[8:9]
	v_cmp_ne_u32_e64 s[8:9], 63, v12
	v_addc_co_u32_e64 v11, s[8:9], 0, v11, s[8:9]
	v_lshlrev_b32_e32 v11, 2, v11
	ds_bpermute_b32 v12, v11, v4
	ds_bpermute_b32 v13, v11, v2
	v_cmp_eq_u32_e64 s[8:9], 0, v5
	s_waitcnt lgkmcnt(0)
	s_barrier
	s_and_saveexec_b64 s[12:13], s[8:9]
	s_cbranch_execz .LBB80_93
; %bb.92:
	v_lshrrev_b32_e32 v14, 3, v0
	v_cmp_gt_u32_e64 s[10:11], v13, v2
	v_add_u32_e32 v14, 1, v14
	v_cndmask_b32_e64 v4, v4, v12, s[10:11]
	v_max_u32_e32 v2, v13, v2
	ds_write2_b32 v14, v2, v4 offset0:32 offset1:33
.LBB80_93:
	s_or_b64 exec, exec, s[12:13]
	s_lshr_b32 s10, s18, 6
	v_cmp_gt_u32_e64 s[10:11], s10, v0
	v_lshl_add_u32 v12, v5, 3, 1
	v_mov_b32_e32 v2, 0
	v_mov_b32_e32 v4, 0
	s_waitcnt lgkmcnt(0)
	s_barrier
	s_and_saveexec_b64 s[12:13], s[10:11]
	s_cbranch_execnz .LBB80_108
; %bb.94:
	s_or_b64 exec, exec, s[12:13]
	s_and_saveexec_b64 s[12:13], s[10:11]
	s_cbranch_execnz .LBB80_109
.LBB80_95:
	s_or_b64 exec, exec, s[12:13]
	s_and_saveexec_b64 s[18:19], s[0:1]
	s_cbranch_execnz .LBB80_110
.LBB80_96:
	s_or_b64 exec, exec, s[18:19]
	s_and_saveexec_b64 s[12:13], vcc
	s_cbranch_execz .LBB80_98
.LBB80_97:
	s_waitcnt lgkmcnt(0)
	v_add_u32_e32 v2, 1, v2
	ds_read_u8 v2, v2
	v_mov_b32_e32 v4, 0
	s_waitcnt lgkmcnt(0)
	ds_write_b8 v4, v2
.LBB80_98:
	s_or_b64 exec, exec, s[12:13]
	s_waitcnt lgkmcnt(0)
	v_mov_b32_e32 v2, 0
	v_cmp_gt_i64_e64 s[12:13], s[16:17], v[1:2]
	v_mov_b32_e32 v13, 0
	s_barrier
	s_and_saveexec_b64 s[18:19], s[12:13]
	s_cbranch_execz .LBB80_100
; %bb.99:
	v_add_u32_e32 v4, s21, v1
	global_load_ubyte v4, v4, s[14:15]
	v_mov_b32_e32 v13, 0
	ds_read_u8 v13, v13
	s_waitcnt vmcnt(0) lgkmcnt(0)
	v_cmp_eq_u16_e64 s[12:13], v4, v13
	v_cndmask_b32_e64 v13, 0, v1, s[12:13]
.LBB80_100:
	s_or_b64 exec, exec, s[18:19]
	v_mov_b32_e32 v4, v2
	v_cmp_gt_i64_e64 s[12:13], s[16:17], v[3:4]
	s_and_saveexec_b64 s[16:17], s[12:13]
	s_cbranch_execz .LBB80_102
; %bb.101:
	v_add_u32_e32 v1, s21, v3
	global_load_ubyte v1, v1, s[14:15]
	v_mov_b32_e32 v2, 0
	ds_read_u8 v2, v2
	s_waitcnt vmcnt(0) lgkmcnt(0)
	v_cmp_eq_u16_e64 s[12:13], v1, v2
	v_cndmask_b32_e64 v2, 0, v3, s[12:13]
.LBB80_102:
	s_or_b64 exec, exec, s[16:17]
	v_cndmask_b32_e64 v1, 0, v13, s[2:3]
	v_max_u32_e32 v2, v2, v1
	v_cndmask_b32_e64 v1, v1, v2, s[6:7]
	ds_bpermute_b32 v2, v6, v1
	s_waitcnt lgkmcnt(0)
	s_barrier
	v_max_u32_e32 v1, v2, v1
	ds_bpermute_b32 v2, v7, v1
	s_waitcnt lgkmcnt(0)
	v_max_u32_e32 v1, v2, v1
	ds_bpermute_b32 v2, v8, v1
	s_waitcnt lgkmcnt(0)
	;; [unrolled: 3-line block ×4, first 2 shown]
	v_max_u32_e32 v1, v2, v1
	ds_bpermute_b32 v2, v11, v1
	s_and_saveexec_b64 s[2:3], s[8:9]
	s_cbranch_execz .LBB80_104
; %bb.103:
	v_lshrrev_b32_e32 v0, 4, v0
	v_add_u32_e32 v0, 1, v0
	s_waitcnt lgkmcnt(0)
	v_max_u32_e32 v1, v2, v1
	ds_write_b32 v0, v1
.LBB80_104:
	s_or_b64 exec, exec, s[2:3]
	v_mov_b32_e32 v0, 0
	s_waitcnt lgkmcnt(0)
	s_barrier
	s_and_saveexec_b64 s[2:3], s[10:11]
	s_cbranch_execnz .LBB80_111
; %bb.105:
	s_or_b64 exec, exec, s[2:3]
	s_and_saveexec_b64 s[2:3], s[0:1]
	s_cbranch_execnz .LBB80_112
.LBB80_106:
	s_or_b64 exec, exec, s[2:3]
	s_and_saveexec_b64 s[0:1], vcc
	s_cbranch_execnz .LBB80_113
.LBB80_107:
	s_endpgm
.LBB80_108:
	ds_read_b32 v4, v12 offset:128
	s_or_b64 exec, exec, s[12:13]
	s_and_saveexec_b64 s[12:13], s[10:11]
	s_cbranch_execz .LBB80_95
.LBB80_109:
	ds_read_b32 v2, v12 offset:132
	s_or_b64 exec, exec, s[12:13]
	s_and_saveexec_b64 s[18:19], s[0:1]
	s_cbranch_execz .LBB80_96
.LBB80_110:
	s_waitcnt lgkmcnt(0)
	ds_bpermute_b32 v13, v6, v4
	ds_bpermute_b32 v14, v6, v2
	s_waitcnt lgkmcnt(1)
	v_max_u32_e32 v15, v13, v4
	v_cmp_gt_u32_e64 s[12:13], v13, v4
	ds_bpermute_b32 v16, v7, v15
	s_waitcnt lgkmcnt(1)
	v_cndmask_b32_e64 v2, v2, v14, s[12:13]
	ds_bpermute_b32 v4, v7, v2
	s_waitcnt lgkmcnt(1)
	v_max_u32_e32 v13, v16, v15
	v_cmp_gt_u32_e64 s[12:13], v16, v15
	ds_bpermute_b32 v14, v8, v13
	s_waitcnt lgkmcnt(1)
	v_cndmask_b32_e64 v2, v2, v4, s[12:13]
	;; [unrolled: 7-line block ×4, first 2 shown]
	ds_bpermute_b32 v4, v10, v2
	s_waitcnt lgkmcnt(1)
	v_max_u32_e32 v15, v14, v13
	v_cmp_gt_u32_e64 s[12:13], v14, v13
	s_waitcnt lgkmcnt(0)
	v_cndmask_b32_e64 v2, v2, v4, s[12:13]
	ds_bpermute_b32 v4, v11, v15
	ds_bpermute_b32 v13, v11, v2
	s_waitcnt lgkmcnt(1)
	v_cmp_gt_u32_e64 s[12:13], v4, v15
	s_waitcnt lgkmcnt(0)
	v_cndmask_b32_e64 v2, v2, v13, s[12:13]
	s_or_b64 exec, exec, s[18:19]
	s_and_saveexec_b64 s[12:13], vcc
	s_cbranch_execnz .LBB80_97
	s_branch .LBB80_98
.LBB80_111:
	v_lshlrev_b32_e32 v0, 2, v5
	v_sub_u32_e32 v0, v12, v0
	ds_read_b32 v0, v0
	s_or_b64 exec, exec, s[2:3]
	s_and_saveexec_b64 s[2:3], s[0:1]
	s_cbranch_execz .LBB80_106
.LBB80_112:
	s_waitcnt lgkmcnt(0)
	ds_bpermute_b32 v1, v6, v0
	s_waitcnt lgkmcnt(0)
	v_max_u32_e32 v0, v1, v0
	ds_bpermute_b32 v1, v7, v0
	s_waitcnt lgkmcnt(0)
	v_max_u32_e32 v0, v1, v0
	;; [unrolled: 3-line block ×6, first 2 shown]
	s_or_b64 exec, exec, s[2:3]
	s_and_saveexec_b64 s[0:1], vcc
	s_cbranch_execz .LBB80_107
.LBB80_113:
	s_load_dword s6, s[4:5], 0xd8
	s_load_dwordx2 s[0:1], s[4:5], 0xe0
	s_add_u32 s2, s4, 8
	s_addc_u32 s3, s5, 0
	s_mov_b32 s5, 0
	s_waitcnt lgkmcnt(0)
	s_cmp_lt_i32 s6, 2
	s_cbranch_scc1 .LBB80_116
; %bb.114:
	s_add_i32 s4, s6, -1
	s_add_i32 s8, s6, 1
	s_lshl_b64 s[6:7], s[4:5], 2
	s_add_u32 s4, s2, s6
	s_addc_u32 s7, s3, s7
	s_add_u32 s6, s4, 8
	s_addc_u32 s7, s7, 0
.LBB80_115:                             ; =>This Inner Loop Header: Depth=1
	s_load_dword s4, s[6:7], 0x0
	s_load_dword s10, s[6:7], 0x64
	s_mov_b32 s9, s20
	s_waitcnt lgkmcnt(0)
	v_cvt_f32_u32_e32 v1, s4
	s_sub_i32 s11, 0, s4
	v_rcp_iflag_f32_e32 v1, v1
	v_mul_f32_e32 v1, 0x4f7ffffe, v1
	v_cvt_u32_f32_e32 v1, v1
	v_readfirstlane_b32 s12, v1
	s_mul_i32 s11, s11, s12
	s_mul_hi_u32 s11, s12, s11
	s_add_i32 s12, s12, s11
	s_mul_hi_u32 s11, s20, s12
	s_mul_i32 s12, s11, s4
	s_sub_i32 s12, s20, s12
	s_add_i32 s13, s11, 1
	s_sub_i32 s14, s12, s4
	s_cmp_ge_u32 s12, s4
	s_cselect_b32 s11, s13, s11
	s_cselect_b32 s12, s14, s12
	s_add_i32 s13, s11, 1
	s_cmp_ge_u32 s12, s4
	s_cselect_b32 s20, s13, s11
	s_mul_i32 s4, s20, s4
	s_sub_i32 s4, s9, s4
	s_mul_i32 s4, s10, s4
	s_add_i32 s8, s8, -1
	s_add_i32 s5, s4, s5
	s_add_u32 s6, s6, -4
	s_addc_u32 s7, s7, -1
	s_cmp_gt_u32 s8, 2
	s_cbranch_scc1 .LBB80_115
.LBB80_116:
	s_load_dword s4, s[2:3], 0x6c
	v_mov_b32_e32 v1, 0
	s_load_dwordx2 s[2:3], s[2:3], 0x0
	ds_read_u8 v2, v1
	s_mov_b32 s7, 0
	s_waitcnt lgkmcnt(0)
	s_mul_i32 s4, s4, s20
	s_add_i32 s6, s4, s5
	v_mov_b32_e32 v3, s6
	global_store_byte v3, v2, s[2:3]
	s_lshl_b64 s[2:3], s[6:7], 3
	s_add_u32 s0, s0, s2
	s_addc_u32 s1, s1, s3
	global_store_dwordx2 v1, v[0:1], s[0:1]
	s_endpgm
	.section	.rodata,"a",@progbits
	.p2align	6, 0x0
	.amdhsa_kernel _ZN2at6native12compute_modeIaLj128EEEvPKT_NS_4cuda6detail10TensorInfoIS2_jEENS7_IljEEll
		.amdhsa_group_segment_fixed_size 1
		.amdhsa_private_segment_fixed_size 0
		.amdhsa_kernarg_size 712
		.amdhsa_user_sgpr_count 6
		.amdhsa_user_sgpr_private_segment_buffer 1
		.amdhsa_user_sgpr_dispatch_ptr 0
		.amdhsa_user_sgpr_queue_ptr 0
		.amdhsa_user_sgpr_kernarg_segment_ptr 1
		.amdhsa_user_sgpr_dispatch_id 0
		.amdhsa_user_sgpr_flat_scratch_init 0
		.amdhsa_user_sgpr_private_segment_size 0
		.amdhsa_uses_dynamic_stack 0
		.amdhsa_system_sgpr_private_segment_wavefront_offset 0
		.amdhsa_system_sgpr_workgroup_id_x 1
		.amdhsa_system_sgpr_workgroup_id_y 1
		.amdhsa_system_sgpr_workgroup_id_z 1
		.amdhsa_system_sgpr_workgroup_info 0
		.amdhsa_system_vgpr_workitem_id 0
		.amdhsa_next_free_vgpr 17
		.amdhsa_next_free_sgpr 22
		.amdhsa_reserve_vcc 1
		.amdhsa_reserve_flat_scratch 0
		.amdhsa_float_round_mode_32 0
		.amdhsa_float_round_mode_16_64 0
		.amdhsa_float_denorm_mode_32 3
		.amdhsa_float_denorm_mode_16_64 3
		.amdhsa_dx10_clamp 1
		.amdhsa_ieee_mode 1
		.amdhsa_fp16_overflow 0
		.amdhsa_exception_fp_ieee_invalid_op 0
		.amdhsa_exception_fp_denorm_src 0
		.amdhsa_exception_fp_ieee_div_zero 0
		.amdhsa_exception_fp_ieee_overflow 0
		.amdhsa_exception_fp_ieee_underflow 0
		.amdhsa_exception_fp_ieee_inexact 0
		.amdhsa_exception_int_div_zero 0
	.end_amdhsa_kernel
	.section	.text._ZN2at6native12compute_modeIaLj128EEEvPKT_NS_4cuda6detail10TensorInfoIS2_jEENS7_IljEEll,"axG",@progbits,_ZN2at6native12compute_modeIaLj128EEEvPKT_NS_4cuda6detail10TensorInfoIS2_jEENS7_IljEEll,comdat
.Lfunc_end80:
	.size	_ZN2at6native12compute_modeIaLj128EEEvPKT_NS_4cuda6detail10TensorInfoIS2_jEENS7_IljEEll, .Lfunc_end80-_ZN2at6native12compute_modeIaLj128EEEvPKT_NS_4cuda6detail10TensorInfoIS2_jEENS7_IljEEll
                                        ; -- End function
	.set _ZN2at6native12compute_modeIaLj128EEEvPKT_NS_4cuda6detail10TensorInfoIS2_jEENS7_IljEEll.num_vgpr, 17
	.set _ZN2at6native12compute_modeIaLj128EEEvPKT_NS_4cuda6detail10TensorInfoIS2_jEENS7_IljEEll.num_agpr, 0
	.set _ZN2at6native12compute_modeIaLj128EEEvPKT_NS_4cuda6detail10TensorInfoIS2_jEENS7_IljEEll.numbered_sgpr, 22
	.set _ZN2at6native12compute_modeIaLj128EEEvPKT_NS_4cuda6detail10TensorInfoIS2_jEENS7_IljEEll.num_named_barrier, 0
	.set _ZN2at6native12compute_modeIaLj128EEEvPKT_NS_4cuda6detail10TensorInfoIS2_jEENS7_IljEEll.private_seg_size, 0
	.set _ZN2at6native12compute_modeIaLj128EEEvPKT_NS_4cuda6detail10TensorInfoIS2_jEENS7_IljEEll.uses_vcc, 1
	.set _ZN2at6native12compute_modeIaLj128EEEvPKT_NS_4cuda6detail10TensorInfoIS2_jEENS7_IljEEll.uses_flat_scratch, 0
	.set _ZN2at6native12compute_modeIaLj128EEEvPKT_NS_4cuda6detail10TensorInfoIS2_jEENS7_IljEEll.has_dyn_sized_stack, 0
	.set _ZN2at6native12compute_modeIaLj128EEEvPKT_NS_4cuda6detail10TensorInfoIS2_jEENS7_IljEEll.has_recursion, 0
	.set _ZN2at6native12compute_modeIaLj128EEEvPKT_NS_4cuda6detail10TensorInfoIS2_jEENS7_IljEEll.has_indirect_call, 0
	.section	.AMDGPU.csdata,"",@progbits
; Kernel info:
; codeLenInByte = 8000
; TotalNumSgprs: 26
; NumVgprs: 17
; ScratchSize: 0
; MemoryBound: 0
; FloatMode: 240
; IeeeMode: 1
; LDSByteSize: 1 bytes/workgroup (compile time only)
; SGPRBlocks: 3
; VGPRBlocks: 4
; NumSGPRsForWavesPerEU: 26
; NumVGPRsForWavesPerEU: 17
; Occupancy: 10
; WaveLimiterHint : 1
; COMPUTE_PGM_RSRC2:SCRATCH_EN: 0
; COMPUTE_PGM_RSRC2:USER_SGPR: 6
; COMPUTE_PGM_RSRC2:TRAP_HANDLER: 0
; COMPUTE_PGM_RSRC2:TGID_X_EN: 1
; COMPUTE_PGM_RSRC2:TGID_Y_EN: 1
; COMPUTE_PGM_RSRC2:TGID_Z_EN: 1
; COMPUTE_PGM_RSRC2:TIDIG_COMP_CNT: 0
	.section	.text._ZN2at6native12compute_modeIiLj2048EEEvPKT_NS_4cuda6detail10TensorInfoIS2_jEENS7_IljEEll,"axG",@progbits,_ZN2at6native12compute_modeIiLj2048EEEvPKT_NS_4cuda6detail10TensorInfoIS2_jEENS7_IljEEll,comdat
	.protected	_ZN2at6native12compute_modeIiLj2048EEEvPKT_NS_4cuda6detail10TensorInfoIS2_jEENS7_IljEEll ; -- Begin function _ZN2at6native12compute_modeIiLj2048EEEvPKT_NS_4cuda6detail10TensorInfoIS2_jEENS7_IljEEll
	.globl	_ZN2at6native12compute_modeIiLj2048EEEvPKT_NS_4cuda6detail10TensorInfoIS2_jEENS7_IljEEll
	.p2align	8
	.type	_ZN2at6native12compute_modeIiLj2048EEEvPKT_NS_4cuda6detail10TensorInfoIS2_jEENS7_IljEEll,@function
_ZN2at6native12compute_modeIiLj2048EEEvPKT_NS_4cuda6detail10TensorInfoIS2_jEENS7_IljEEll: ; @_ZN2at6native12compute_modeIiLj2048EEEvPKT_NS_4cuda6detail10TensorInfoIS2_jEENS7_IljEEll
; %bb.0:
	s_load_dwordx2 s[2:3], s[4:5], 0x1c8
	s_load_dwordx4 s[16:19], s[4:5], 0x1b8
	s_add_u32 s0, s4, 0x1c8
	s_addc_u32 s1, s5, 0
	v_mov_b32_e32 v2, 0
	s_waitcnt lgkmcnt(0)
	s_mul_i32 s3, s3, s8
	s_add_i32 s3, s3, s7
	s_mul_i32 s2, s3, s2
	s_add_i32 s20, s2, s6
	v_mov_b32_e32 v1, s20
	v_cmp_le_i64_e32 vcc, s[18:19], v[1:2]
	s_cbranch_vccnz .LBB81_197
; %bb.1:
	s_load_dwordx2 s[14:15], s[4:5], 0x0
	s_load_dword s6, s[0:1], 0xc
	v_mov_b32_e32 v1, v2
	v_cmp_gt_i64_e32 vcc, s[16:17], v[0:1]
	s_mul_i32 s21, s20, s16
	v_lshl_add_u32 v16, v0, 2, 4
	s_and_saveexec_b64 s[2:3], vcc
	s_cbranch_execz .LBB81_3
; %bb.2:
	v_add_u32_e32 v1, s21, v0
	v_lshlrev_b64 v[3:4], 2, v[1:2]
	s_waitcnt lgkmcnt(0)
	v_mov_b32_e32 v1, s15
	v_add_co_u32_e64 v3, s[0:1], s14, v3
	v_addc_co_u32_e64 v4, s[0:1], v1, v4, s[0:1]
	global_load_dword v1, v[3:4], off
	s_waitcnt vmcnt(0)
	ds_write_b32 v16, v1
.LBB81_3:
	s_or_b64 exec, exec, s[2:3]
	s_waitcnt lgkmcnt(0)
	s_and_b32 s18, 0xffff, s6
	v_add_u32_e32 v1, s18, v0
	v_cmp_gt_i64_e64 s[0:1], s[16:17], v[1:2]
	s_and_saveexec_b64 s[6:7], s[0:1]
	s_cbranch_execz .LBB81_5
; %bb.4:
	v_add_u32_e32 v2, s21, v1
	v_mov_b32_e32 v3, 0
	v_lshlrev_b64 v[2:3], 2, v[2:3]
	v_mov_b32_e32 v4, s15
	v_add_co_u32_e64 v2, s[2:3], s14, v2
	v_addc_co_u32_e64 v3, s[2:3], v4, v3, s[2:3]
	global_load_dword v2, v[2:3], off
	v_lshl_add_u32 v1, v1, 2, 4
	s_waitcnt vmcnt(0)
	ds_write_b32 v1, v2
.LBB81_5:
	s_or_b64 exec, exec, s[6:7]
	v_add_u32_e32 v4, 4, v0
	v_mad_u32_u24 v6, v0, 7, v4
	v_cndmask_b32_e64 v1, 0, 1, vcc
	v_mad_i32_i24 v5, v0, -6, v6
	ds_write_b8 v4, v1 offset:8192
	v_add_u32_e32 v1, s18, v4
	v_cndmask_b32_e64 v2, 0, 1, s[0:1]
	v_mad_u32_u24 v7, v0, 6, v5
	ds_write_b8 v1, v2 offset:8192
	s_waitcnt lgkmcnt(0)
	s_barrier
	s_barrier
	ds_read2_b32 v[1:2], v6 offset1:1
	ds_read_u8 v5, v5 offset:8192
	v_mad_i32_i24 v8, v0, -6, v7
	ds_read_u8 v10, v8 offset:8193
	v_and_b32_e32 v3, 1, v0
	s_waitcnt lgkmcnt(2)
	v_cmp_lt_i32_e32 vcc, v1, v2
	s_waitcnt lgkmcnt(1)
	v_and_b32_e32 v8, 1, v5
	v_cmp_eq_u32_e64 s[0:1], 1, v8
	s_waitcnt lgkmcnt(0)
	v_cmp_ne_u16_e64 s[2:3], v10, v3
	v_cndmask_b32_e64 v8, 0, 1, s[2:3]
	s_and_b64 vcc, vcc, s[0:1]
	v_cndmask_b32_e32 v8, v8, v0, vcc
	v_mul_i32_i24_e32 v9, -6, v0
	v_and_b32_e32 v8, 1, v8
	v_cmp_eq_u32_e32 vcc, 1, v8
	v_add_u32_e32 v8, v6, v9
	v_add_u32_e32 v9, v7, v9
	s_and_saveexec_b64 s[0:1], vcc
	s_cbranch_execz .LBB81_7
; %bb.6:
	ds_write_b32 v6, v2
	ds_write_b32 v7, v1 offset:4
	ds_write_b8 v8, v10 offset:8192
	ds_write_b8 v9, v5 offset:8193
.LBB81_7:
	s_or_b64 exec, exec, s[0:1]
	v_lshlrev_b32_e32 v1, 1, v0
	v_sub_u32_e32 v12, v1, v3
	v_add_u32_e32 v10, 4, v12
	v_lshl_add_u32 v11, v12, 2, 4
	v_mad_i32_i24 v3, v12, 3, v10
	s_waitcnt lgkmcnt(0)
	s_barrier
	ds_read_b32 v2, v11
	ds_read_b32 v13, v3 offset:8
	ds_read_u8 v3, v10 offset:8192
	ds_read_u8 v14, v10 offset:8194
	v_bfe_u32 v15, v0, 1, 1
	v_and_b32_e32 v5, 2, v0
	s_waitcnt lgkmcnt(2)
	v_cmp_lt_i32_e64 s[0:1], v2, v13
	s_waitcnt lgkmcnt(1)
	v_and_b32_e32 v17, 1, v3
	v_cmp_eq_u32_e64 s[2:3], 1, v17
	s_waitcnt lgkmcnt(0)
	v_cmp_ne_u16_e64 s[6:7], v14, v15
	v_cndmask_b32_e64 v17, 0, 1, s[6:7]
	s_and_b64 s[0:1], s[0:1], s[2:3]
	v_cndmask_b32_e64 v15, v17, v15, s[0:1]
	v_mul_i32_i24_e32 v12, 3, v12
	v_and_b32_e32 v15, 1, v15
	v_cmp_ne_u32_e32 vcc, 0, v5
	v_cmp_eq_u32_e64 s[0:1], 1, v15
	v_add_u32_e32 v12, v10, v12
	s_and_saveexec_b64 s[2:3], s[0:1]
	s_xor_b64 s[0:1], exec, s[2:3]
	s_cbranch_execz .LBB81_9
; %bb.8:
	ds_write_b32 v11, v13
	ds_write_b32 v12, v2 offset:8
	ds_write_b8 v10, v14 offset:8192
	ds_write_b8 v10, v3 offset:8194
.LBB81_9:
	s_or_b64 exec, exec, s[0:1]
	s_waitcnt lgkmcnt(0)
	s_barrier
	ds_read2_b32 v[2:3], v6 offset1:1
	ds_read_u8 v13, v8 offset:8192
	ds_read_u8 v14, v9 offset:8193
	v_lshrrev_b32_e32 v5, 1, v5
	s_waitcnt lgkmcnt(2)
	v_cmp_lt_i32_e64 s[0:1], v2, v3
	s_waitcnt lgkmcnt(1)
	v_and_b32_e32 v15, 1, v13
	v_cmp_eq_u32_e64 s[2:3], 1, v15
	s_waitcnt lgkmcnt(0)
	v_cmp_ne_u16_e64 s[6:7], v14, v5
	v_cndmask_b32_e64 v5, 0, 1, s[6:7]
	v_cndmask_b32_e64 v15, 0, 1, vcc
	s_and_b64 vcc, s[0:1], s[2:3]
	v_cndmask_b32_e32 v5, v5, v15, vcc
	v_and_b32_e32 v5, 1, v5
	v_cmp_eq_u32_e32 vcc, 1, v5
	s_and_saveexec_b64 s[0:1], vcc
	s_cbranch_execz .LBB81_11
; %bb.10:
	ds_write_b32 v6, v3
	ds_write_b32 v7, v2 offset:4
	ds_write_b8 v8, v14 offset:8192
	ds_write_b8 v9, v13 offset:8193
.LBB81_11:
	s_or_b64 exec, exec, s[0:1]
	v_and_b32_e32 v3, 3, v0
	v_sub_u32_e32 v15, v1, v3
	v_add_u32_e32 v13, 4, v15
	v_lshl_add_u32 v14, v15, 2, 4
	v_mad_i32_i24 v5, v15, 3, v13
	s_waitcnt lgkmcnt(0)
	s_barrier
	ds_read_b32 v3, v14
	ds_read_b32 v17, v5 offset:16
	ds_read_u8 v5, v13 offset:8192
	ds_read_u8 v18, v13 offset:8196
	v_bfe_u32 v19, v0, 2, 1
	v_and_b32_e32 v2, 4, v0
	s_waitcnt lgkmcnt(2)
	v_cmp_lt_i32_e64 s[0:1], v3, v17
	s_waitcnt lgkmcnt(1)
	v_and_b32_e32 v20, 1, v5
	v_cmp_eq_u32_e64 s[2:3], 1, v20
	s_waitcnt lgkmcnt(0)
	v_cmp_ne_u16_e64 s[6:7], v18, v19
	v_cndmask_b32_e64 v20, 0, 1, s[6:7]
	s_and_b64 s[0:1], s[0:1], s[2:3]
	v_cndmask_b32_e64 v19, v20, v19, s[0:1]
	v_mul_i32_i24_e32 v15, 3, v15
	v_and_b32_e32 v19, 1, v19
	v_cmp_ne_u32_e32 vcc, 0, v2
	v_cmp_eq_u32_e64 s[0:1], 1, v19
	v_add_u32_e32 v15, v13, v15
	s_and_saveexec_b64 s[2:3], s[0:1]
	s_cbranch_execz .LBB81_13
; %bb.12:
	ds_write_b32 v14, v17
	ds_write_b32 v15, v3 offset:16
	ds_write_b8 v13, v18 offset:8192
	ds_write_b8 v13, v5 offset:8196
.LBB81_13:
	s_or_b64 exec, exec, s[2:3]
	s_waitcnt lgkmcnt(0)
	s_barrier
	ds_read_b32 v3, v11
	ds_read_b32 v19, v12 offset:8
	ds_read_u8 v18, v10 offset:8192
	ds_read_u8 v20, v10 offset:8194
	v_lshrrev_b32_e32 v5, 2, v2
	v_cndmask_b32_e64 v17, 0, 1, vcc
	s_waitcnt lgkmcnt(2)
	v_cmp_lt_i32_e64 s[0:1], v3, v19
	s_waitcnt lgkmcnt(1)
	v_and_b32_e32 v2, 1, v18
	v_cmp_eq_u32_e64 s[2:3], 1, v2
	s_waitcnt lgkmcnt(0)
	v_cmp_ne_u16_e64 s[6:7], v20, v5
	v_cndmask_b32_e64 v2, 0, 1, s[6:7]
	s_and_b64 vcc, s[0:1], s[2:3]
	v_cndmask_b32_e32 v2, v2, v17, vcc
	v_and_b32_e32 v2, 1, v2
	v_cmp_eq_u32_e32 vcc, 1, v2
	s_and_saveexec_b64 s[0:1], vcc
	s_cbranch_execz .LBB81_15
; %bb.14:
	ds_write_b32 v11, v19
	ds_write_b32 v12, v3 offset:8
	ds_write_b8 v10, v20 offset:8192
	ds_write_b8 v10, v18 offset:8194
.LBB81_15:
	s_or_b64 exec, exec, s[0:1]
	s_waitcnt lgkmcnt(0)
	s_barrier
	ds_read2_b32 v[2:3], v6 offset1:1
	ds_read_u8 v18, v8 offset:8192
	ds_read_u8 v19, v9 offset:8193
	s_waitcnt lgkmcnt(2)
	v_cmp_lt_i32_e32 vcc, v2, v3
	s_waitcnt lgkmcnt(1)
	v_and_b32_e32 v20, 1, v18
	v_cmp_eq_u32_e64 s[0:1], 1, v20
	s_waitcnt lgkmcnt(0)
	v_cmp_ne_u16_e64 s[2:3], v19, v5
	v_cndmask_b32_e64 v5, 0, 1, s[2:3]
	s_and_b64 vcc, vcc, s[0:1]
	v_cndmask_b32_e32 v5, v5, v17, vcc
	v_and_b32_e32 v5, 1, v5
	v_cmp_eq_u32_e32 vcc, 1, v5
	s_and_saveexec_b64 s[0:1], vcc
	s_cbranch_execz .LBB81_17
; %bb.16:
	ds_write_b32 v6, v3
	ds_write_b32 v7, v2 offset:4
	ds_write_b8 v8, v19 offset:8192
	ds_write_b8 v9, v18 offset:8193
.LBB81_17:
	s_or_b64 exec, exec, s[0:1]
	v_and_b32_e32 v3, 7, v0
	v_sub_u32_e32 v19, v1, v3
	v_add_u32_e32 v17, 4, v19
	v_lshl_add_u32 v18, v19, 2, 4
	v_mad_i32_i24 v5, v19, 3, v17
	s_waitcnt lgkmcnt(0)
	s_barrier
	ds_read_b32 v3, v18
	ds_read_b32 v20, v5 offset:32
	ds_read_u8 v5, v17 offset:8192
	ds_read_u8 v21, v17 offset:8200
	v_bfe_u32 v22, v0, 3, 1
	v_and_b32_e32 v2, 8, v0
	s_waitcnt lgkmcnt(2)
	v_cmp_lt_i32_e64 s[0:1], v3, v20
	s_waitcnt lgkmcnt(1)
	v_and_b32_e32 v23, 1, v5
	v_cmp_eq_u32_e64 s[2:3], 1, v23
	s_waitcnt lgkmcnt(0)
	v_cmp_ne_u16_e64 s[6:7], v21, v22
	v_cndmask_b32_e64 v23, 0, 1, s[6:7]
	s_and_b64 s[0:1], s[0:1], s[2:3]
	v_cndmask_b32_e64 v22, v23, v22, s[0:1]
	v_mul_i32_i24_e32 v19, 3, v19
	v_and_b32_e32 v22, 1, v22
	v_cmp_ne_u32_e32 vcc, 0, v2
	v_cmp_eq_u32_e64 s[0:1], 1, v22
	v_add_u32_e32 v19, v17, v19
	s_and_saveexec_b64 s[2:3], s[0:1]
	s_cbranch_execz .LBB81_19
; %bb.18:
	ds_write_b32 v18, v20
	ds_write_b32 v19, v3 offset:32
	ds_write_b8 v17, v21 offset:8192
	ds_write_b8 v17, v5 offset:8200
.LBB81_19:
	s_or_b64 exec, exec, s[2:3]
	s_waitcnt lgkmcnt(0)
	s_barrier
	ds_read_b32 v3, v14
	ds_read_b32 v22, v15 offset:16
	ds_read_u8 v21, v13 offset:8192
	ds_read_u8 v23, v13 offset:8196
	v_lshrrev_b32_e32 v5, 3, v2
	v_cndmask_b32_e64 v20, 0, 1, vcc
	s_waitcnt lgkmcnt(2)
	v_cmp_lt_i32_e64 s[0:1], v3, v22
	s_waitcnt lgkmcnt(1)
	v_and_b32_e32 v2, 1, v21
	v_cmp_eq_u32_e64 s[2:3], 1, v2
	s_waitcnt lgkmcnt(0)
	v_cmp_ne_u16_e64 s[6:7], v23, v5
	v_cndmask_b32_e64 v2, 0, 1, s[6:7]
	s_and_b64 vcc, s[0:1], s[2:3]
	v_cndmask_b32_e32 v2, v2, v20, vcc
	v_and_b32_e32 v2, 1, v2
	v_cmp_eq_u32_e32 vcc, 1, v2
	s_and_saveexec_b64 s[0:1], vcc
	s_cbranch_execz .LBB81_21
; %bb.20:
	ds_write_b32 v14, v22
	ds_write_b32 v15, v3 offset:16
	ds_write_b8 v13, v23 offset:8192
	ds_write_b8 v13, v21 offset:8196
.LBB81_21:
	s_or_b64 exec, exec, s[0:1]
	s_waitcnt lgkmcnt(0)
	s_barrier
	ds_read_b32 v2, v11
	ds_read_b32 v21, v12 offset:8
	ds_read_u8 v3, v10 offset:8192
	ds_read_u8 v22, v10 offset:8194
	s_waitcnt lgkmcnt(2)
	v_cmp_lt_i32_e32 vcc, v2, v21
	s_waitcnt lgkmcnt(1)
	v_and_b32_e32 v23, 1, v3
	v_cmp_eq_u32_e64 s[0:1], 1, v23
	s_waitcnt lgkmcnt(0)
	v_cmp_ne_u16_e64 s[2:3], v22, v5
	v_cndmask_b32_e64 v23, 0, 1, s[2:3]
	s_and_b64 vcc, vcc, s[0:1]
	v_cndmask_b32_e32 v23, v23, v20, vcc
	v_and_b32_e32 v23, 1, v23
	v_cmp_eq_u32_e32 vcc, 1, v23
	s_and_saveexec_b64 s[0:1], vcc
	s_cbranch_execz .LBB81_23
; %bb.22:
	ds_write_b32 v11, v21
	ds_write_b32 v12, v2 offset:8
	ds_write_b8 v10, v22 offset:8192
	ds_write_b8 v10, v3 offset:8194
.LBB81_23:
	s_or_b64 exec, exec, s[0:1]
	s_waitcnt lgkmcnt(0)
	s_barrier
	ds_read2_b32 v[2:3], v6 offset1:1
	ds_read_u8 v21, v8 offset:8192
	ds_read_u8 v22, v9 offset:8193
	s_waitcnt lgkmcnt(2)
	v_cmp_lt_i32_e32 vcc, v2, v3
	s_waitcnt lgkmcnt(1)
	v_and_b32_e32 v23, 1, v21
	v_cmp_eq_u32_e64 s[0:1], 1, v23
	s_waitcnt lgkmcnt(0)
	v_cmp_ne_u16_e64 s[2:3], v22, v5
	v_cndmask_b32_e64 v5, 0, 1, s[2:3]
	s_and_b64 vcc, vcc, s[0:1]
	v_cndmask_b32_e32 v5, v5, v20, vcc
	v_and_b32_e32 v5, 1, v5
	v_cmp_eq_u32_e32 vcc, 1, v5
	s_and_saveexec_b64 s[0:1], vcc
	s_cbranch_execz .LBB81_25
; %bb.24:
	ds_write_b32 v6, v3
	ds_write_b32 v7, v2 offset:4
	ds_write_b8 v8, v22 offset:8192
	ds_write_b8 v9, v21 offset:8193
.LBB81_25:
	s_or_b64 exec, exec, s[0:1]
	v_and_b32_e32 v3, 15, v0
	v_sub_u32_e32 v22, v1, v3
	v_add_u32_e32 v20, 4, v22
	v_lshl_add_u32 v21, v22, 2, 4
	v_mad_i32_i24 v5, v22, 3, v20
	s_waitcnt lgkmcnt(0)
	s_barrier
	ds_read_b32 v3, v21
	ds_read_b32 v23, v5 offset:64
	ds_read_u8 v5, v20 offset:8192
	ds_read_u8 v24, v20 offset:8208
	v_bfe_u32 v25, v0, 4, 1
	v_and_b32_e32 v2, 16, v0
	s_waitcnt lgkmcnt(2)
	v_cmp_lt_i32_e64 s[0:1], v3, v23
	s_waitcnt lgkmcnt(1)
	v_and_b32_e32 v26, 1, v5
	v_cmp_eq_u32_e64 s[2:3], 1, v26
	s_waitcnt lgkmcnt(0)
	v_cmp_ne_u16_e64 s[6:7], v24, v25
	v_cndmask_b32_e64 v26, 0, 1, s[6:7]
	s_and_b64 s[0:1], s[0:1], s[2:3]
	v_cndmask_b32_e64 v25, v26, v25, s[0:1]
	v_mul_i32_i24_e32 v22, 3, v22
	v_and_b32_e32 v25, 1, v25
	v_cmp_ne_u32_e32 vcc, 0, v2
	v_cmp_eq_u32_e64 s[0:1], 1, v25
	v_add_u32_e32 v22, v20, v22
	s_and_saveexec_b64 s[2:3], s[0:1]
	s_cbranch_execz .LBB81_27
; %bb.26:
	ds_write_b32 v21, v23
	ds_write_b32 v22, v3 offset:64
	ds_write_b8 v20, v24 offset:8192
	ds_write_b8 v20, v5 offset:8208
.LBB81_27:
	s_or_b64 exec, exec, s[2:3]
	s_waitcnt lgkmcnt(0)
	s_barrier
	ds_read_b32 v3, v18
	ds_read_b32 v25, v19 offset:32
	ds_read_u8 v24, v17 offset:8192
	ds_read_u8 v26, v17 offset:8200
	v_lshrrev_b32_e32 v5, 4, v2
	v_cndmask_b32_e64 v23, 0, 1, vcc
	s_waitcnt lgkmcnt(2)
	v_cmp_lt_i32_e64 s[0:1], v3, v25
	s_waitcnt lgkmcnt(1)
	v_and_b32_e32 v2, 1, v24
	v_cmp_eq_u32_e64 s[2:3], 1, v2
	s_waitcnt lgkmcnt(0)
	v_cmp_ne_u16_e64 s[6:7], v26, v5
	v_cndmask_b32_e64 v2, 0, 1, s[6:7]
	s_and_b64 vcc, s[0:1], s[2:3]
	v_cndmask_b32_e32 v2, v2, v23, vcc
	v_and_b32_e32 v2, 1, v2
	v_cmp_eq_u32_e32 vcc, 1, v2
	s_and_saveexec_b64 s[0:1], vcc
	s_cbranch_execz .LBB81_29
; %bb.28:
	ds_write_b32 v18, v25
	ds_write_b32 v19, v3 offset:32
	ds_write_b8 v17, v26 offset:8192
	ds_write_b8 v17, v24 offset:8200
.LBB81_29:
	s_or_b64 exec, exec, s[0:1]
	s_waitcnt lgkmcnt(0)
	s_barrier
	ds_read_b32 v2, v14
	ds_read_b32 v24, v15 offset:16
	ds_read_u8 v3, v13 offset:8192
	ds_read_u8 v25, v13 offset:8196
	s_waitcnt lgkmcnt(2)
	v_cmp_lt_i32_e32 vcc, v2, v24
	s_waitcnt lgkmcnt(1)
	v_and_b32_e32 v26, 1, v3
	v_cmp_eq_u32_e64 s[0:1], 1, v26
	s_waitcnt lgkmcnt(0)
	v_cmp_ne_u16_e64 s[2:3], v25, v5
	v_cndmask_b32_e64 v26, 0, 1, s[2:3]
	s_and_b64 vcc, vcc, s[0:1]
	v_cndmask_b32_e32 v26, v26, v23, vcc
	v_and_b32_e32 v26, 1, v26
	v_cmp_eq_u32_e32 vcc, 1, v26
	s_and_saveexec_b64 s[0:1], vcc
	s_cbranch_execz .LBB81_31
; %bb.30:
	ds_write_b32 v14, v24
	ds_write_b32 v15, v2 offset:16
	ds_write_b8 v13, v25 offset:8192
	ds_write_b8 v13, v3 offset:8196
.LBB81_31:
	s_or_b64 exec, exec, s[0:1]
	s_waitcnt lgkmcnt(0)
	s_barrier
	ds_read_b32 v2, v11
	ds_read_b32 v24, v12 offset:8
	ds_read_u8 v3, v10 offset:8192
	ds_read_u8 v25, v10 offset:8194
	s_waitcnt lgkmcnt(2)
	v_cmp_lt_i32_e32 vcc, v2, v24
	s_waitcnt lgkmcnt(1)
	v_and_b32_e32 v26, 1, v3
	v_cmp_eq_u32_e64 s[0:1], 1, v26
	s_waitcnt lgkmcnt(0)
	v_cmp_ne_u16_e64 s[2:3], v25, v5
	v_cndmask_b32_e64 v26, 0, 1, s[2:3]
	s_and_b64 vcc, vcc, s[0:1]
	v_cndmask_b32_e32 v26, v26, v23, vcc
	v_and_b32_e32 v26, 1, v26
	v_cmp_eq_u32_e32 vcc, 1, v26
	s_and_saveexec_b64 s[0:1], vcc
	s_cbranch_execz .LBB81_33
; %bb.32:
	ds_write_b32 v11, v24
	ds_write_b32 v12, v2 offset:8
	ds_write_b8 v10, v25 offset:8192
	ds_write_b8 v10, v3 offset:8194
.LBB81_33:
	s_or_b64 exec, exec, s[0:1]
	s_waitcnt lgkmcnt(0)
	s_barrier
	ds_read2_b32 v[2:3], v6 offset1:1
	ds_read_u8 v24, v8 offset:8192
	ds_read_u8 v25, v9 offset:8193
	s_waitcnt lgkmcnt(2)
	v_cmp_lt_i32_e32 vcc, v2, v3
	s_waitcnt lgkmcnt(1)
	v_and_b32_e32 v26, 1, v24
	v_cmp_eq_u32_e64 s[0:1], 1, v26
	s_waitcnt lgkmcnt(0)
	v_cmp_ne_u16_e64 s[2:3], v25, v5
	v_cndmask_b32_e64 v5, 0, 1, s[2:3]
	s_and_b64 vcc, vcc, s[0:1]
	v_cndmask_b32_e32 v5, v5, v23, vcc
	v_and_b32_e32 v5, 1, v5
	v_cmp_eq_u32_e32 vcc, 1, v5
	s_and_saveexec_b64 s[0:1], vcc
	s_cbranch_execz .LBB81_35
; %bb.34:
	ds_write_b32 v6, v3
	ds_write_b32 v7, v2 offset:4
	ds_write_b8 v8, v25 offset:8192
	ds_write_b8 v9, v24 offset:8193
.LBB81_35:
	s_or_b64 exec, exec, s[0:1]
	v_and_b32_e32 v3, 31, v0
	v_sub_u32_e32 v25, v1, v3
	v_add_u32_e32 v23, 4, v25
	v_lshl_add_u32 v24, v25, 2, 4
	v_mad_i32_i24 v5, v25, 3, v23
	s_waitcnt lgkmcnt(0)
	s_barrier
	ds_read_b32 v3, v24
	ds_read_b32 v26, v5 offset:128
	ds_read_u8 v5, v23 offset:8192
	ds_read_u8 v27, v23 offset:8224
	v_bfe_u32 v28, v0, 5, 1
	v_and_b32_e32 v2, 32, v0
	s_waitcnt lgkmcnt(2)
	v_cmp_lt_i32_e64 s[0:1], v3, v26
	s_waitcnt lgkmcnt(1)
	v_and_b32_e32 v29, 1, v5
	v_cmp_eq_u32_e64 s[2:3], 1, v29
	s_waitcnt lgkmcnt(0)
	v_cmp_ne_u16_e64 s[6:7], v27, v28
	v_cndmask_b32_e64 v29, 0, 1, s[6:7]
	s_and_b64 s[0:1], s[0:1], s[2:3]
	v_cndmask_b32_e64 v28, v29, v28, s[0:1]
	v_mul_i32_i24_e32 v25, 3, v25
	v_and_b32_e32 v28, 1, v28
	v_cmp_ne_u32_e32 vcc, 0, v2
	v_cmp_eq_u32_e64 s[0:1], 1, v28
	v_add_u32_e32 v25, v23, v25
	s_and_saveexec_b64 s[2:3], s[0:1]
	s_cbranch_execz .LBB81_37
; %bb.36:
	ds_write_b32 v24, v26
	ds_write_b32 v25, v3 offset:128
	ds_write_b8 v23, v27 offset:8192
	ds_write_b8 v23, v5 offset:8224
.LBB81_37:
	s_or_b64 exec, exec, s[2:3]
	s_waitcnt lgkmcnt(0)
	s_barrier
	ds_read_b32 v3, v21
	ds_read_b32 v28, v22 offset:64
	ds_read_u8 v27, v20 offset:8192
	ds_read_u8 v29, v20 offset:8208
	v_lshrrev_b32_e32 v5, 5, v2
	v_cndmask_b32_e64 v26, 0, 1, vcc
	s_waitcnt lgkmcnt(2)
	v_cmp_lt_i32_e64 s[0:1], v3, v28
	s_waitcnt lgkmcnt(1)
	v_and_b32_e32 v2, 1, v27
	v_cmp_eq_u32_e64 s[2:3], 1, v2
	s_waitcnt lgkmcnt(0)
	v_cmp_ne_u16_e64 s[6:7], v29, v5
	v_cndmask_b32_e64 v2, 0, 1, s[6:7]
	s_and_b64 vcc, s[0:1], s[2:3]
	v_cndmask_b32_e32 v2, v2, v26, vcc
	v_and_b32_e32 v2, 1, v2
	v_cmp_eq_u32_e32 vcc, 1, v2
	s_and_saveexec_b64 s[0:1], vcc
	s_cbranch_execz .LBB81_39
; %bb.38:
	ds_write_b32 v21, v28
	ds_write_b32 v22, v3 offset:64
	ds_write_b8 v20, v29 offset:8192
	ds_write_b8 v20, v27 offset:8208
.LBB81_39:
	s_or_b64 exec, exec, s[0:1]
	s_waitcnt lgkmcnt(0)
	s_barrier
	ds_read_b32 v2, v18
	ds_read_b32 v27, v19 offset:32
	ds_read_u8 v3, v17 offset:8192
	ds_read_u8 v28, v17 offset:8200
	s_waitcnt lgkmcnt(2)
	v_cmp_lt_i32_e32 vcc, v2, v27
	s_waitcnt lgkmcnt(1)
	v_and_b32_e32 v29, 1, v3
	v_cmp_eq_u32_e64 s[0:1], 1, v29
	s_waitcnt lgkmcnt(0)
	v_cmp_ne_u16_e64 s[2:3], v28, v5
	v_cndmask_b32_e64 v29, 0, 1, s[2:3]
	s_and_b64 vcc, vcc, s[0:1]
	v_cndmask_b32_e32 v29, v29, v26, vcc
	v_and_b32_e32 v29, 1, v29
	v_cmp_eq_u32_e32 vcc, 1, v29
	s_and_saveexec_b64 s[0:1], vcc
	s_cbranch_execz .LBB81_41
; %bb.40:
	ds_write_b32 v18, v27
	ds_write_b32 v19, v2 offset:32
	ds_write_b8 v17, v28 offset:8192
	ds_write_b8 v17, v3 offset:8200
.LBB81_41:
	s_or_b64 exec, exec, s[0:1]
	s_waitcnt lgkmcnt(0)
	s_barrier
	ds_read_b32 v2, v14
	ds_read_b32 v27, v15 offset:16
	ds_read_u8 v3, v13 offset:8192
	ds_read_u8 v28, v13 offset:8196
	s_waitcnt lgkmcnt(2)
	v_cmp_lt_i32_e32 vcc, v2, v27
	s_waitcnt lgkmcnt(1)
	v_and_b32_e32 v29, 1, v3
	v_cmp_eq_u32_e64 s[0:1], 1, v29
	s_waitcnt lgkmcnt(0)
	v_cmp_ne_u16_e64 s[2:3], v28, v5
	v_cndmask_b32_e64 v29, 0, 1, s[2:3]
	s_and_b64 vcc, vcc, s[0:1]
	;; [unrolled: 27-line block ×3, first 2 shown]
	v_cndmask_b32_e32 v29, v29, v26, vcc
	v_and_b32_e32 v29, 1, v29
	v_cmp_eq_u32_e32 vcc, 1, v29
	s_and_saveexec_b64 s[0:1], vcc
	s_cbranch_execz .LBB81_45
; %bb.44:
	ds_write_b32 v11, v27
	ds_write_b32 v12, v2 offset:8
	ds_write_b8 v10, v28 offset:8192
	ds_write_b8 v10, v3 offset:8194
.LBB81_45:
	s_or_b64 exec, exec, s[0:1]
	s_waitcnt lgkmcnt(0)
	s_barrier
	ds_read2_b32 v[2:3], v6 offset1:1
	ds_read_u8 v27, v8 offset:8192
	ds_read_u8 v28, v9 offset:8193
	s_waitcnt lgkmcnt(2)
	v_cmp_lt_i32_e32 vcc, v2, v3
	s_waitcnt lgkmcnt(1)
	v_and_b32_e32 v29, 1, v27
	v_cmp_eq_u32_e64 s[0:1], 1, v29
	s_waitcnt lgkmcnt(0)
	v_cmp_ne_u16_e64 s[2:3], v28, v5
	v_cndmask_b32_e64 v5, 0, 1, s[2:3]
	s_and_b64 vcc, vcc, s[0:1]
	v_cndmask_b32_e32 v5, v5, v26, vcc
	v_and_b32_e32 v5, 1, v5
	v_cmp_eq_u32_e32 vcc, 1, v5
	s_and_saveexec_b64 s[0:1], vcc
	s_cbranch_execz .LBB81_47
; %bb.46:
	ds_write_b32 v6, v3
	ds_write_b32 v7, v2 offset:4
	ds_write_b8 v8, v28 offset:8192
	ds_write_b8 v9, v27 offset:8193
.LBB81_47:
	s_or_b64 exec, exec, s[0:1]
	v_and_b32_e32 v5, 63, v0
	v_sub_u32_e32 v28, v1, v5
	v_add_u32_e32 v26, 4, v28
	v_lshl_add_u32 v27, v28, 2, 4
	v_mad_i32_i24 v29, v28, 3, v26
	s_waitcnt lgkmcnt(0)
	s_barrier
	ds_read_b32 v3, v27
	ds_read_b32 v30, v29 offset:256
	ds_read_u8 v29, v26 offset:8192
	ds_read_u8 v31, v26 offset:8256
	v_bfe_u32 v32, v0, 6, 1
	v_and_b32_e32 v2, 64, v0
	s_waitcnt lgkmcnt(2)
	v_cmp_lt_i32_e64 s[0:1], v3, v30
	s_waitcnt lgkmcnt(1)
	v_and_b32_e32 v33, 1, v29
	v_cmp_eq_u32_e64 s[2:3], 1, v33
	s_waitcnt lgkmcnt(0)
	v_cmp_ne_u16_e64 s[6:7], v31, v32
	v_cndmask_b32_e64 v33, 0, 1, s[6:7]
	s_and_b64 s[0:1], s[0:1], s[2:3]
	v_cndmask_b32_e64 v32, v33, v32, s[0:1]
	v_mul_i32_i24_e32 v28, 3, v28
	v_and_b32_e32 v32, 1, v32
	v_cmp_ne_u32_e32 vcc, 0, v2
	v_cmp_eq_u32_e64 s[0:1], 1, v32
	v_add_u32_e32 v28, v26, v28
	s_and_saveexec_b64 s[2:3], s[0:1]
	s_cbranch_execz .LBB81_49
; %bb.48:
	ds_write_b32 v27, v30
	ds_write_b32 v28, v3 offset:256
	ds_write_b8 v26, v31 offset:8192
	ds_write_b8 v26, v29 offset:8256
.LBB81_49:
	s_or_b64 exec, exec, s[2:3]
	s_waitcnt lgkmcnt(0)
	s_barrier
	ds_read_b32 v3, v24
	ds_read_b32 v32, v25 offset:128
	ds_read_u8 v31, v23 offset:8192
	ds_read_u8 v33, v23 offset:8224
	v_lshrrev_b32_e32 v29, 6, v2
	v_cndmask_b32_e64 v30, 0, 1, vcc
	s_waitcnt lgkmcnt(2)
	v_cmp_lt_i32_e64 s[0:1], v3, v32
	s_waitcnt lgkmcnt(1)
	v_and_b32_e32 v2, 1, v31
	v_cmp_eq_u32_e64 s[2:3], 1, v2
	s_waitcnt lgkmcnt(0)
	v_cmp_ne_u16_e64 s[6:7], v33, v29
	v_cndmask_b32_e64 v2, 0, 1, s[6:7]
	s_and_b64 vcc, s[0:1], s[2:3]
	v_cndmask_b32_e32 v2, v2, v30, vcc
	v_and_b32_e32 v2, 1, v2
	v_cmp_eq_u32_e32 vcc, 1, v2
	s_and_saveexec_b64 s[0:1], vcc
	s_cbranch_execz .LBB81_51
; %bb.50:
	ds_write_b32 v24, v32
	ds_write_b32 v25, v3 offset:128
	ds_write_b8 v23, v33 offset:8192
	ds_write_b8 v23, v31 offset:8224
.LBB81_51:
	s_or_b64 exec, exec, s[0:1]
	s_waitcnt lgkmcnt(0)
	s_barrier
	ds_read_b32 v2, v21
	ds_read_b32 v31, v22 offset:64
	ds_read_u8 v3, v20 offset:8192
	ds_read_u8 v32, v20 offset:8208
	s_waitcnt lgkmcnt(2)
	v_cmp_lt_i32_e32 vcc, v2, v31
	s_waitcnt lgkmcnt(1)
	v_and_b32_e32 v33, 1, v3
	v_cmp_eq_u32_e64 s[0:1], 1, v33
	s_waitcnt lgkmcnt(0)
	v_cmp_ne_u16_e64 s[2:3], v32, v29
	v_cndmask_b32_e64 v33, 0, 1, s[2:3]
	s_and_b64 vcc, vcc, s[0:1]
	v_cndmask_b32_e32 v33, v33, v30, vcc
	v_and_b32_e32 v33, 1, v33
	v_cmp_eq_u32_e32 vcc, 1, v33
	s_and_saveexec_b64 s[0:1], vcc
	s_cbranch_execz .LBB81_53
; %bb.52:
	ds_write_b32 v21, v31
	ds_write_b32 v22, v2 offset:64
	ds_write_b8 v20, v32 offset:8192
	ds_write_b8 v20, v3 offset:8208
.LBB81_53:
	s_or_b64 exec, exec, s[0:1]
	s_waitcnt lgkmcnt(0)
	s_barrier
	ds_read_b32 v2, v18
	ds_read_b32 v31, v19 offset:32
	ds_read_u8 v3, v17 offset:8192
	ds_read_u8 v32, v17 offset:8200
	s_waitcnt lgkmcnt(2)
	v_cmp_lt_i32_e32 vcc, v2, v31
	s_waitcnt lgkmcnt(1)
	v_and_b32_e32 v33, 1, v3
	v_cmp_eq_u32_e64 s[0:1], 1, v33
	s_waitcnt lgkmcnt(0)
	v_cmp_ne_u16_e64 s[2:3], v32, v29
	v_cndmask_b32_e64 v33, 0, 1, s[2:3]
	s_and_b64 vcc, vcc, s[0:1]
	;; [unrolled: 27-line block ×4, first 2 shown]
	v_cndmask_b32_e32 v33, v33, v30, vcc
	v_and_b32_e32 v33, 1, v33
	v_cmp_eq_u32_e32 vcc, 1, v33
	s_and_saveexec_b64 s[0:1], vcc
	s_cbranch_execz .LBB81_59
; %bb.58:
	ds_write_b32 v11, v31
	ds_write_b32 v12, v2 offset:8
	ds_write_b8 v10, v32 offset:8192
	ds_write_b8 v10, v3 offset:8194
.LBB81_59:
	s_or_b64 exec, exec, s[0:1]
	s_waitcnt lgkmcnt(0)
	s_barrier
	ds_read2_b32 v[2:3], v6 offset1:1
	ds_read_u8 v31, v8 offset:8192
	ds_read_u8 v32, v9 offset:8193
	s_waitcnt lgkmcnt(2)
	v_cmp_lt_i32_e32 vcc, v2, v3
	s_waitcnt lgkmcnt(1)
	v_and_b32_e32 v33, 1, v31
	v_cmp_eq_u32_e64 s[0:1], 1, v33
	s_waitcnt lgkmcnt(0)
	v_cmp_ne_u16_e64 s[2:3], v32, v29
	v_cndmask_b32_e64 v29, 0, 1, s[2:3]
	s_and_b64 vcc, vcc, s[0:1]
	v_cndmask_b32_e32 v29, v29, v30, vcc
	v_and_b32_e32 v29, 1, v29
	v_cmp_eq_u32_e32 vcc, 1, v29
	s_and_saveexec_b64 s[0:1], vcc
	s_cbranch_execz .LBB81_61
; %bb.60:
	ds_write_b32 v6, v3
	ds_write_b32 v7, v2 offset:4
	ds_write_b8 v8, v32 offset:8192
	ds_write_b8 v9, v31 offset:8193
.LBB81_61:
	s_or_b64 exec, exec, s[0:1]
	v_and_b32_e32 v2, 0x80, v0
	v_cmp_ne_u32_e32 vcc, 0, v2
	v_and_b32_e32 v2, 0x7f, v0
	v_sub_u32_e32 v35, v1, v2
	v_add_u32_e32 v29, 4, v35
	v_lshl_add_u32 v30, v35, 2, 4
	v_mad_i32_i24 v3, v35, 3, v29
	s_waitcnt lgkmcnt(0)
	s_barrier
	ds_read_b32 v2, v30
	ds_read_b32 v33, v3 offset:512
	ds_read_u8 v3, v29 offset:8192
	ds_read_u8 v34, v29 offset:8320
	v_lshrrev_b32_e32 v31, 7, v0
	v_and_b32_e32 v32, 1, v31
	s_waitcnt lgkmcnt(2)
	v_cmp_lt_i32_e64 s[0:1], v2, v33
	s_waitcnt lgkmcnt(1)
	v_and_b32_e32 v36, 1, v3
	v_cmp_eq_u32_e64 s[2:3], 1, v36
	s_waitcnt lgkmcnt(0)
	v_cmp_ne_u16_e64 s[6:7], v34, v32
	v_cndmask_b32_e64 v36, 0, 1, s[6:7]
	s_and_b64 s[0:1], s[0:1], s[2:3]
	v_cndmask_b32_e64 v31, v36, v31, s[0:1]
	v_mul_i32_i24_e32 v35, 3, v35
	v_and_b32_e32 v31, 1, v31
	v_cmp_eq_u32_e64 s[0:1], 1, v31
	v_add_u32_e32 v31, v29, v35
	s_and_saveexec_b64 s[2:3], s[0:1]
	s_cbranch_execz .LBB81_63
; %bb.62:
	ds_write_b32 v30, v33
	ds_write_b32 v31, v2 offset:512
	ds_write_b8 v29, v34 offset:8192
	ds_write_b8 v29, v3 offset:8320
.LBB81_63:
	s_or_b64 exec, exec, s[2:3]
	s_waitcnt lgkmcnt(0)
	s_barrier
	ds_read_b32 v2, v27
	ds_read_b32 v34, v28 offset:256
	ds_read_u8 v3, v26 offset:8192
	ds_read_u8 v35, v26 offset:8256
	s_waitcnt lgkmcnt(2)
	v_cmp_lt_i32_e64 s[0:1], v2, v34
	s_waitcnt lgkmcnt(1)
	v_and_b32_e32 v33, 1, v3
	v_cmp_eq_u32_e64 s[2:3], 1, v33
	s_waitcnt lgkmcnt(0)
	v_cmp_ne_u16_e64 s[6:7], v35, v32
	v_cndmask_b32_e64 v36, 0, 1, s[6:7]
	v_cndmask_b32_e64 v33, 0, 1, vcc
	s_and_b64 vcc, s[0:1], s[2:3]
	v_cndmask_b32_e32 v36, v36, v33, vcc
	v_and_b32_e32 v36, 1, v36
	v_cmp_eq_u32_e32 vcc, 1, v36
	s_and_saveexec_b64 s[0:1], vcc
	s_cbranch_execz .LBB81_65
; %bb.64:
	ds_write_b32 v27, v34
	ds_write_b32 v28, v2 offset:256
	ds_write_b8 v26, v35 offset:8192
	ds_write_b8 v26, v3 offset:8256
.LBB81_65:
	s_or_b64 exec, exec, s[0:1]
	s_waitcnt lgkmcnt(0)
	s_barrier
	ds_read_b32 v2, v24
	ds_read_b32 v34, v25 offset:128
	ds_read_u8 v3, v23 offset:8192
	ds_read_u8 v35, v23 offset:8224
	s_waitcnt lgkmcnt(2)
	v_cmp_lt_i32_e32 vcc, v2, v34
	s_waitcnt lgkmcnt(1)
	v_and_b32_e32 v36, 1, v3
	v_cmp_eq_u32_e64 s[0:1], 1, v36
	s_waitcnt lgkmcnt(0)
	v_cmp_ne_u16_e64 s[2:3], v35, v32
	v_cndmask_b32_e64 v36, 0, 1, s[2:3]
	s_and_b64 vcc, vcc, s[0:1]
	v_cndmask_b32_e32 v36, v36, v33, vcc
	v_and_b32_e32 v36, 1, v36
	v_cmp_eq_u32_e32 vcc, 1, v36
	s_and_saveexec_b64 s[0:1], vcc
	s_cbranch_execz .LBB81_67
; %bb.66:
	ds_write_b32 v24, v34
	ds_write_b32 v25, v2 offset:128
	ds_write_b8 v23, v35 offset:8192
	ds_write_b8 v23, v3 offset:8224
.LBB81_67:
	s_or_b64 exec, exec, s[0:1]
	s_waitcnt lgkmcnt(0)
	s_barrier
	ds_read_b32 v2, v21
	ds_read_b32 v34, v22 offset:64
	ds_read_u8 v3, v20 offset:8192
	ds_read_u8 v35, v20 offset:8208
	s_waitcnt lgkmcnt(2)
	v_cmp_lt_i32_e32 vcc, v2, v34
	s_waitcnt lgkmcnt(1)
	v_and_b32_e32 v36, 1, v3
	v_cmp_eq_u32_e64 s[0:1], 1, v36
	s_waitcnt lgkmcnt(0)
	v_cmp_ne_u16_e64 s[2:3], v35, v32
	v_cndmask_b32_e64 v36, 0, 1, s[2:3]
	s_and_b64 vcc, vcc, s[0:1]
	;; [unrolled: 27-line block ×5, first 2 shown]
	v_cndmask_b32_e32 v36, v36, v33, vcc
	v_and_b32_e32 v36, 1, v36
	v_cmp_eq_u32_e32 vcc, 1, v36
	s_and_saveexec_b64 s[0:1], vcc
	s_cbranch_execz .LBB81_75
; %bb.74:
	ds_write_b32 v11, v34
	ds_write_b32 v12, v2 offset:8
	ds_write_b8 v10, v35 offset:8192
	ds_write_b8 v10, v3 offset:8194
.LBB81_75:
	s_or_b64 exec, exec, s[0:1]
	s_waitcnt lgkmcnt(0)
	s_barrier
	ds_read2_b32 v[2:3], v6 offset1:1
	ds_read_u8 v34, v8 offset:8192
	ds_read_u8 v35, v9 offset:8193
	s_waitcnt lgkmcnt(2)
	v_cmp_lt_i32_e32 vcc, v2, v3
	s_waitcnt lgkmcnt(1)
	v_and_b32_e32 v36, 1, v34
	v_cmp_eq_u32_e64 s[0:1], 1, v36
	s_waitcnt lgkmcnt(0)
	v_cmp_ne_u16_e64 s[2:3], v35, v32
	v_cndmask_b32_e64 v32, 0, 1, s[2:3]
	s_and_b64 vcc, vcc, s[0:1]
	v_cndmask_b32_e32 v32, v32, v33, vcc
	v_and_b32_e32 v32, 1, v32
	v_cmp_eq_u32_e32 vcc, 1, v32
	s_and_saveexec_b64 s[0:1], vcc
	s_cbranch_execz .LBB81_77
; %bb.76:
	ds_write_b32 v6, v3
	ds_write_b32 v7, v2 offset:4
	ds_write_b8 v8, v35 offset:8192
	ds_write_b8 v9, v34 offset:8193
.LBB81_77:
	s_or_b64 exec, exec, s[0:1]
	v_sub_u32_sdwa v34, v1, v0 dst_sel:DWORD dst_unused:UNUSED_PAD src0_sel:DWORD src1_sel:BYTE_0
	v_add_u32_e32 v32, 4, v34
	v_and_b32_e32 v3, 0x100, v0
	v_lshl_add_u32 v33, v34, 2, 4
	v_mad_i32_i24 v35, v34, 3, v32
	v_cmp_ne_u32_e32 vcc, 0, v3
	s_waitcnt lgkmcnt(0)
	s_barrier
	ds_read_b32 v3, v33
	ds_read_b32 v36, v35 offset:1024
	ds_read_u8 v35, v32 offset:8192
	ds_read_u8 v37, v32 offset:8448
	v_bfe_u32 v38, v0, 8, 1
	v_mul_i32_i24_e32 v34, 3, v34
	s_waitcnt lgkmcnt(2)
	v_cmp_lt_i32_e64 s[0:1], v3, v36
	s_waitcnt lgkmcnt(1)
	v_and_b32_e32 v39, 1, v35
	v_cmp_eq_u32_e64 s[2:3], 1, v39
	s_waitcnt lgkmcnt(0)
	v_cmp_ne_u16_e64 s[6:7], v37, v38
	v_cndmask_b32_e64 v39, 0, 1, s[6:7]
	s_and_b64 s[0:1], s[0:1], s[2:3]
	v_cndmask_b32_e64 v38, v39, v38, s[0:1]
	v_and_b32_e32 v38, 1, v38
	v_and_b32_e32 v2, 0x100, v0
	v_cmp_eq_u32_e64 s[0:1], 1, v38
	v_add_u32_e32 v34, v32, v34
	s_and_saveexec_b64 s[2:3], s[0:1]
	s_cbranch_execz .LBB81_79
; %bb.78:
	ds_write_b32 v33, v36
	ds_write_b32 v34, v3 offset:1024
	ds_write_b8 v32, v37 offset:8192
	ds_write_b8 v32, v35 offset:8448
.LBB81_79:
	s_or_b64 exec, exec, s[2:3]
	s_waitcnt lgkmcnt(0)
	s_barrier
	ds_read_b32 v3, v30
	ds_read_b32 v38, v31 offset:512
	ds_read_u8 v37, v29 offset:8192
	ds_read_u8 v39, v29 offset:8320
	v_lshrrev_b32_e32 v35, 8, v2
	v_cndmask_b32_e64 v36, 0, 1, vcc
	s_waitcnt lgkmcnt(2)
	v_cmp_lt_i32_e64 s[0:1], v3, v38
	s_waitcnt lgkmcnt(1)
	v_and_b32_e32 v2, 1, v37
	v_cmp_eq_u32_e64 s[2:3], 1, v2
	s_waitcnt lgkmcnt(0)
	v_cmp_ne_u16_e64 s[6:7], v39, v35
	v_cndmask_b32_e64 v2, 0, 1, s[6:7]
	s_and_b64 vcc, s[0:1], s[2:3]
	v_cndmask_b32_e32 v2, v2, v36, vcc
	v_and_b32_e32 v2, 1, v2
	v_cmp_eq_u32_e32 vcc, 1, v2
	s_and_saveexec_b64 s[0:1], vcc
	s_cbranch_execz .LBB81_81
; %bb.80:
	ds_write_b32 v30, v38
	ds_write_b32 v31, v3 offset:512
	ds_write_b8 v29, v39 offset:8192
	ds_write_b8 v29, v37 offset:8320
.LBB81_81:
	s_or_b64 exec, exec, s[0:1]
	s_waitcnt lgkmcnt(0)
	s_barrier
	ds_read_b32 v2, v27
	ds_read_b32 v37, v28 offset:256
	ds_read_u8 v3, v26 offset:8192
	ds_read_u8 v38, v26 offset:8256
	s_waitcnt lgkmcnt(2)
	v_cmp_lt_i32_e32 vcc, v2, v37
	s_waitcnt lgkmcnt(1)
	v_and_b32_e32 v39, 1, v3
	v_cmp_eq_u32_e64 s[0:1], 1, v39
	s_waitcnt lgkmcnt(0)
	v_cmp_ne_u16_e64 s[2:3], v38, v35
	v_cndmask_b32_e64 v39, 0, 1, s[2:3]
	s_and_b64 vcc, vcc, s[0:1]
	v_cndmask_b32_e32 v39, v39, v36, vcc
	v_and_b32_e32 v39, 1, v39
	v_cmp_eq_u32_e32 vcc, 1, v39
	s_and_saveexec_b64 s[0:1], vcc
	s_cbranch_execz .LBB81_83
; %bb.82:
	ds_write_b32 v27, v37
	ds_write_b32 v28, v2 offset:256
	ds_write_b8 v26, v38 offset:8192
	ds_write_b8 v26, v3 offset:8256
.LBB81_83:
	s_or_b64 exec, exec, s[0:1]
	s_waitcnt lgkmcnt(0)
	s_barrier
	ds_read_b32 v2, v24
	ds_read_b32 v37, v25 offset:128
	ds_read_u8 v3, v23 offset:8192
	ds_read_u8 v38, v23 offset:8224
	s_waitcnt lgkmcnt(2)
	v_cmp_lt_i32_e32 vcc, v2, v37
	s_waitcnt lgkmcnt(1)
	v_and_b32_e32 v39, 1, v3
	v_cmp_eq_u32_e64 s[0:1], 1, v39
	s_waitcnt lgkmcnt(0)
	v_cmp_ne_u16_e64 s[2:3], v38, v35
	v_cndmask_b32_e64 v39, 0, 1, s[2:3]
	s_and_b64 vcc, vcc, s[0:1]
	;; [unrolled: 27-line block ×6, first 2 shown]
	v_cndmask_b32_e32 v39, v39, v36, vcc
	v_and_b32_e32 v39, 1, v39
	v_cmp_eq_u32_e32 vcc, 1, v39
	s_and_saveexec_b64 s[0:1], vcc
	s_cbranch_execz .LBB81_93
; %bb.92:
	ds_write_b32 v11, v37
	ds_write_b32 v12, v2 offset:8
	ds_write_b8 v10, v38 offset:8192
	ds_write_b8 v10, v3 offset:8194
.LBB81_93:
	s_or_b64 exec, exec, s[0:1]
	s_waitcnt lgkmcnt(0)
	s_barrier
	ds_read2_b32 v[2:3], v6 offset1:1
	ds_read_u8 v37, v8 offset:8192
	ds_read_u8 v38, v9 offset:8193
	s_waitcnt lgkmcnt(2)
	v_cmp_lt_i32_e32 vcc, v2, v3
	s_waitcnt lgkmcnt(1)
	v_and_b32_e32 v39, 1, v37
	v_cmp_eq_u32_e64 s[0:1], 1, v39
	s_waitcnt lgkmcnt(0)
	v_cmp_ne_u16_e64 s[2:3], v38, v35
	v_cndmask_b32_e64 v35, 0, 1, s[2:3]
	s_and_b64 vcc, vcc, s[0:1]
	v_cndmask_b32_e32 v35, v35, v36, vcc
	v_and_b32_e32 v35, 1, v35
	v_cmp_eq_u32_e32 vcc, 1, v35
	s_and_saveexec_b64 s[0:1], vcc
	s_cbranch_execz .LBB81_95
; %bb.94:
	ds_write_b32 v6, v3
	ds_write_b32 v7, v2 offset:4
	ds_write_b8 v8, v38 offset:8192
	ds_write_b8 v9, v37 offset:8193
.LBB81_95:
	s_or_b64 exec, exec, s[0:1]
	v_and_b32_e32 v2, 0x1ff, v0
	v_sub_u32_e32 v37, v1, v2
	v_add_u32_e32 v35, 4, v37
	v_lshl_add_u32 v36, v37, 2, 4
	v_mad_i32_i24 v3, v37, 3, v35
	s_waitcnt lgkmcnt(0)
	s_barrier
	ds_read_b32 v2, v36
	ds_read_b32 v39, v3 offset:2048
	ds_read_u8 v3, v35 offset:8192
	ds_read_u8 v40, v35 offset:8704
	s_movk_i32 s0, 0x1ff
	v_cmp_lt_u32_e32 vcc, s0, v0
	v_cndmask_b32_e64 v38, 0, 1, vcc
	s_waitcnt lgkmcnt(1)
	v_and_b32_e32 v41, 1, v3
	v_cmp_lt_i32_e32 vcc, v2, v39
	v_cmp_eq_u32_e64 s[0:1], 1, v41
	s_waitcnt lgkmcnt(0)
	v_cmp_ne_u16_e64 s[2:3], v40, v38
	v_cndmask_b32_e64 v41, 0, 1, s[2:3]
	s_and_b64 vcc, vcc, s[0:1]
	v_cndmask_b32_e32 v41, v41, v38, vcc
	v_mul_i32_i24_e32 v37, 3, v37
	v_and_b32_e32 v41, 1, v41
	v_cmp_eq_u32_e32 vcc, 1, v41
	v_add_u32_e32 v37, v35, v37
	s_and_saveexec_b64 s[0:1], vcc
	s_cbranch_execz .LBB81_97
; %bb.96:
	ds_write_b32 v36, v39
	ds_write_b32 v37, v2 offset:2048
	ds_write_b8 v35, v40 offset:8192
	ds_write_b8 v35, v3 offset:8704
.LBB81_97:
	s_or_b64 exec, exec, s[0:1]
	s_waitcnt lgkmcnt(0)
	s_barrier
	ds_read_b32 v2, v33
	ds_read_b32 v39, v34 offset:1024
	ds_read_u8 v3, v32 offset:8192
	ds_read_u8 v40, v32 offset:8448
	s_waitcnt lgkmcnt(2)
	v_cmp_lt_i32_e32 vcc, v2, v39
	s_waitcnt lgkmcnt(1)
	v_and_b32_e32 v41, 1, v3
	v_cmp_eq_u32_e64 s[0:1], 1, v41
	s_waitcnt lgkmcnt(0)
	v_cmp_ne_u16_e64 s[2:3], v40, v38
	v_cndmask_b32_e64 v41, 0, 1, s[2:3]
	s_and_b64 vcc, vcc, s[0:1]
	v_cndmask_b32_e32 v41, v41, v38, vcc
	v_and_b32_e32 v41, 1, v41
	v_cmp_eq_u32_e32 vcc, 1, v41
	s_and_saveexec_b64 s[0:1], vcc
	s_cbranch_execz .LBB81_99
; %bb.98:
	ds_write_b32 v33, v39
	ds_write_b32 v34, v2 offset:1024
	ds_write_b8 v32, v40 offset:8192
	ds_write_b8 v32, v3 offset:8448
.LBB81_99:
	s_or_b64 exec, exec, s[0:1]
	s_waitcnt lgkmcnt(0)
	s_barrier
	ds_read_b32 v2, v30
	ds_read_b32 v39, v31 offset:512
	ds_read_u8 v3, v29 offset:8192
	ds_read_u8 v40, v29 offset:8320
	s_waitcnt lgkmcnt(2)
	v_cmp_lt_i32_e32 vcc, v2, v39
	s_waitcnt lgkmcnt(1)
	v_and_b32_e32 v41, 1, v3
	v_cmp_eq_u32_e64 s[0:1], 1, v41
	s_waitcnt lgkmcnt(0)
	v_cmp_ne_u16_e64 s[2:3], v40, v38
	v_cndmask_b32_e64 v41, 0, 1, s[2:3]
	s_and_b64 vcc, vcc, s[0:1]
	v_cndmask_b32_e32 v41, v41, v38, vcc
	v_and_b32_e32 v41, 1, v41
	v_cmp_eq_u32_e32 vcc, 1, v41
	;; [unrolled: 27-line block ×8, first 2 shown]
	s_and_saveexec_b64 s[0:1], vcc
	s_cbranch_execz .LBB81_113
; %bb.112:
	ds_write_b32 v11, v39
	ds_write_b32 v12, v2 offset:8
	ds_write_b8 v10, v40 offset:8192
	ds_write_b8 v10, v3 offset:8194
.LBB81_113:
	s_or_b64 exec, exec, s[0:1]
	s_waitcnt lgkmcnt(0)
	s_barrier
	ds_read2_b32 v[2:3], v6 offset1:1
	ds_read_u8 v39, v8 offset:8192
	ds_read_u8 v40, v9 offset:8193
	s_waitcnt lgkmcnt(2)
	v_cmp_lt_i32_e32 vcc, v2, v3
	s_waitcnt lgkmcnt(1)
	v_and_b32_e32 v41, 1, v39
	v_cmp_eq_u32_e64 s[0:1], 1, v41
	s_waitcnt lgkmcnt(0)
	v_cmp_ne_u16_e64 s[2:3], v40, v38
	v_cndmask_b32_e64 v41, 0, 1, s[2:3]
	s_and_b64 vcc, vcc, s[0:1]
	v_cndmask_b32_e32 v38, v41, v38, vcc
	v_and_b32_e32 v38, 1, v38
	v_cmp_eq_u32_e32 vcc, 1, v38
	s_and_saveexec_b64 s[0:1], vcc
	s_cbranch_execz .LBB81_115
; %bb.114:
	ds_write_b32 v6, v3
	ds_write_b32 v7, v2 offset:4
	ds_write_b8 v8, v40 offset:8192
	ds_write_b8 v9, v39 offset:8193
.LBB81_115:
	s_or_b64 exec, exec, s[0:1]
	s_waitcnt lgkmcnt(0)
	s_barrier
	ds_read2st64_b32 v[2:3], v16 offset1:16
	ds_read_u8 v39, v4 offset:8192
	ds_read_u8 v40, v4 offset:9216
	s_waitcnt lgkmcnt(2)
	v_cmp_ge_i32_e32 vcc, v2, v3
	s_waitcnt lgkmcnt(1)
	v_and_b32_e32 v38, 1, v39
	v_cmp_eq_u32_e64 s[0:1], 1, v38
	s_xor_b64 s[0:1], s[0:1], -1
	v_mov_b32_e32 v38, 0
	s_or_b64 s[0:1], vcc, s[0:1]
	s_waitcnt lgkmcnt(0)
	v_cmp_ne_u16_sdwa s[2:3], v40, v38 src0_sel:BYTE_0 src1_sel:DWORD
	s_and_b64 s[2:3], s[0:1], s[2:3]
	s_and_saveexec_b64 s[0:1], s[2:3]
	s_cbranch_execz .LBB81_117
; %bb.116:
	ds_write2st64_b32 v16, v3, v2 offset1:16
	v_mov_b32_e32 v2, 1
	ds_write_b8 v4, v2 offset:8192
	ds_write_b8 v4, v39 offset:9216
.LBB81_117:
	s_or_b64 exec, exec, s[0:1]
	s_waitcnt lgkmcnt(0)
	s_barrier
	ds_read_b32 v2, v36
	ds_read_b32 v16, v37 offset:2048
	ds_read_u8 v3, v35 offset:8192
	ds_read_u8 v39, v35 offset:8704
	s_waitcnt lgkmcnt(2)
	v_cmp_ge_i32_e32 vcc, v2, v16
	s_waitcnt lgkmcnt(1)
	v_and_b32_e32 v40, 1, v3
	v_cmp_eq_u32_e64 s[0:1], 1, v40
	s_xor_b64 s[0:1], s[0:1], -1
	s_or_b64 s[0:1], vcc, s[0:1]
	s_waitcnt lgkmcnt(0)
	v_cmp_ne_u16_sdwa s[2:3], v39, v38 src0_sel:BYTE_0 src1_sel:DWORD
	s_and_b64 s[2:3], s[0:1], s[2:3]
	s_and_saveexec_b64 s[0:1], s[2:3]
	s_cbranch_execz .LBB81_119
; %bb.118:
	ds_write_b32 v36, v16
	ds_write_b32 v37, v2 offset:2048
	v_mov_b32_e32 v2, 1
	ds_write_b8 v35, v2 offset:8192
	ds_write_b8 v35, v3 offset:8704
.LBB81_119:
	s_or_b64 exec, exec, s[0:1]
	s_waitcnt lgkmcnt(0)
	s_barrier
	ds_read_b32 v3, v33
	ds_read_b32 v35, v34 offset:1024
	ds_read_u8 v16, v32 offset:8192
	ds_read_u8 v36, v32 offset:8448
	s_waitcnt lgkmcnt(2)
	v_cmp_ge_i32_e32 vcc, v3, v35
	s_waitcnt lgkmcnt(1)
	v_and_b32_e32 v2, 1, v16
	v_cmp_eq_u32_e64 s[0:1], 1, v2
	s_xor_b64 s[0:1], s[0:1], -1
	v_mov_b32_e32 v2, 0
	s_or_b64 s[0:1], vcc, s[0:1]
	s_waitcnt lgkmcnt(0)
	v_cmp_ne_u16_sdwa s[2:3], v36, v2 src0_sel:BYTE_0 src1_sel:DWORD
	s_and_b64 s[2:3], s[0:1], s[2:3]
	s_and_saveexec_b64 s[0:1], s[2:3]
	s_cbranch_execz .LBB81_121
; %bb.120:
	ds_write_b32 v33, v35
	ds_write_b32 v34, v3 offset:1024
	v_mov_b32_e32 v3, 1
	ds_write_b8 v32, v3 offset:8192
	ds_write_b8 v32, v16 offset:8448
.LBB81_121:
	s_or_b64 exec, exec, s[0:1]
	s_waitcnt lgkmcnt(0)
	s_barrier
	ds_read_b32 v3, v30
	ds_read_b32 v32, v31 offset:512
	ds_read_u8 v16, v29 offset:8192
	ds_read_u8 v33, v29 offset:8320
	s_waitcnt lgkmcnt(2)
	v_cmp_ge_i32_e32 vcc, v3, v32
	s_waitcnt lgkmcnt(1)
	v_and_b32_e32 v34, 1, v16
	v_cmp_eq_u32_e64 s[0:1], 1, v34
	s_xor_b64 s[0:1], s[0:1], -1
	s_or_b64 s[0:1], vcc, s[0:1]
	s_waitcnt lgkmcnt(0)
	v_cmp_ne_u16_sdwa s[2:3], v33, v2 src0_sel:BYTE_0 src1_sel:DWORD
	s_and_b64 s[2:3], s[0:1], s[2:3]
	s_and_saveexec_b64 s[0:1], s[2:3]
	s_cbranch_execz .LBB81_123
; %bb.122:
	v_mov_b32_e32 v2, 1
	ds_write_b32 v30, v32
	ds_write_b32 v31, v3 offset:512
	ds_write_b8 v29, v2 offset:8192
	ds_write_b8 v29, v16 offset:8320
.LBB81_123:
	s_or_b64 exec, exec, s[0:1]
	s_waitcnt lgkmcnt(0)
	s_barrier
	ds_read_b32 v3, v27
	ds_read_b32 v29, v28 offset:256
	ds_read_u8 v16, v26 offset:8192
	ds_read_u8 v30, v26 offset:8256
	s_waitcnt lgkmcnt(2)
	v_cmp_ge_i32_e32 vcc, v3, v29
	s_waitcnt lgkmcnt(1)
	v_and_b32_e32 v2, 1, v16
	v_cmp_eq_u32_e64 s[0:1], 1, v2
	s_xor_b64 s[0:1], s[0:1], -1
	v_mov_b32_e32 v2, 0
	s_or_b64 s[0:1], vcc, s[0:1]
	s_waitcnt lgkmcnt(0)
	v_cmp_ne_u16_sdwa s[2:3], v30, v2 src0_sel:BYTE_0 src1_sel:DWORD
	s_and_b64 s[2:3], s[0:1], s[2:3]
	s_and_saveexec_b64 s[0:1], s[2:3]
	s_cbranch_execz .LBB81_125
; %bb.124:
	ds_write_b32 v27, v29
	ds_write_b32 v28, v3 offset:256
	v_mov_b32_e32 v3, 1
	ds_write_b8 v26, v3 offset:8192
	ds_write_b8 v26, v16 offset:8256
.LBB81_125:
	s_or_b64 exec, exec, s[0:1]
	s_waitcnt lgkmcnt(0)
	s_barrier
	ds_read_b32 v3, v24
	ds_read_b32 v26, v25 offset:128
	ds_read_u8 v16, v23 offset:8192
	ds_read_u8 v27, v23 offset:8224
	s_waitcnt lgkmcnt(2)
	v_cmp_ge_i32_e32 vcc, v3, v26
	s_waitcnt lgkmcnt(1)
	v_and_b32_e32 v28, 1, v16
	v_cmp_eq_u32_e64 s[0:1], 1, v28
	s_xor_b64 s[0:1], s[0:1], -1
	s_or_b64 s[0:1], vcc, s[0:1]
	s_waitcnt lgkmcnt(0)
	v_cmp_ne_u16_sdwa s[2:3], v27, v2 src0_sel:BYTE_0 src1_sel:DWORD
	s_and_b64 s[2:3], s[0:1], s[2:3]
	s_and_saveexec_b64 s[0:1], s[2:3]
	s_cbranch_execz .LBB81_127
; %bb.126:
	v_mov_b32_e32 v2, 1
	ds_write_b32 v24, v26
	ds_write_b32 v25, v3 offset:128
	ds_write_b8 v23, v2 offset:8192
	ds_write_b8 v23, v16 offset:8224
.LBB81_127:
	;; [unrolled: 53-line block ×4, first 2 shown]
	s_or_b64 exec, exec, s[0:1]
	s_waitcnt lgkmcnt(0)
	s_barrier
	ds_read2_b32 v[2:3], v6 offset1:1
	ds_read_u8 v10, v8 offset:8192
	ds_read_u8 v11, v9 offset:8193
	s_waitcnt lgkmcnt(2)
	v_cmp_ge_i32_e32 vcc, v2, v3
	s_waitcnt lgkmcnt(1)
	v_and_b32_e32 v12, 1, v10
	v_cmp_eq_u32_e64 s[0:1], 1, v12
	s_xor_b64 s[0:1], s[0:1], -1
	v_mov_b32_e32 v12, 0
	s_or_b64 s[0:1], vcc, s[0:1]
	s_waitcnt lgkmcnt(0)
	v_cmp_ne_u16_sdwa s[2:3], v11, v12 src0_sel:BYTE_0 src1_sel:DWORD
	s_and_b64 s[2:3], s[0:1], s[2:3]
	s_and_saveexec_b64 s[0:1], s[2:3]
	s_cbranch_execz .LBB81_137
; %bb.136:
	ds_write_b32 v6, v3
	ds_write_b32 v7, v2 offset:4
	v_mov_b32_e32 v2, 1
	ds_write_b8 v8, v2 offset:8192
	ds_write_b8 v9, v10 offset:8193
.LBB81_137:
	s_or_b64 exec, exec, s[0:1]
	v_cmp_eq_u32_e32 vcc, 0, v0
	s_waitcnt lgkmcnt(0)
	s_barrier
	s_barrier
	s_and_saveexec_b64 s[0:1], vcc
	s_cbranch_execz .LBB81_139
; %bb.138:
	v_mov_b32_e32 v2, 1
	v_mov_b32_e32 v3, 4
	ds_write_b8 v3, v2 offset:8196
	v_mov_b32_e32 v2, 0
	ds_write_b32 v3, v2 offset:8192
.LBB81_139:
	s_or_b64 exec, exec, s[0:1]
	ds_read2_b32 v[2:3], v6 offset1:1
	v_mad_u32_u24 v7, v0, 15, v4
	v_mul_u32_u24_e32 v6, 15, v0
	s_waitcnt lgkmcnt(0)
	v_cmp_ne_u32_e64 s[0:1], v2, v3
	v_cndmask_b32_e64 v8, 0, 1, s[0:1]
	v_cmp_eq_u32_e64 s[0:1], v2, v3
	v_cndmask_b32_e64 v2, 0, 1, s[0:1]
	s_movk_i32 s0, 0x3ff
	ds_write_b32 v7, v2 offset:8200
	v_cmp_ne_u32_e64 s[2:3], s0, v0
	v_mov_b32_e32 v2, 0x800
	ds_write_b8 v7, v8 offset:8204
	s_and_saveexec_b64 s[6:7], s[2:3]
	s_cbranch_execz .LBB81_141
; %bb.140:
	v_lshl_add_u32 v7, v1, 2, 4
	ds_read_b32 v8, v7 offset:8
	v_add_u32_e32 v2, 2, v1
	v_lshl_add_u32 v7, v0, 3, v7
	s_waitcnt lgkmcnt(0)
	v_cmp_ne_u32_e64 s[0:1], v3, v8
	v_cndmask_b32_e64 v9, 0, 1, s[0:1]
	v_cmp_eq_u32_e64 s[0:1], v3, v8
	v_cndmask_b32_e64 v3, 0, 1, s[0:1]
	ds_write_b8 v7, v9 offset:8212
	ds_write_b32 v7, v3 offset:8208
.LBB81_141:
	s_or_b64 exec, exec, s[6:7]
	v_add_u32_e32 v3, v4, v6
	s_waitcnt lgkmcnt(0)
	s_barrier
	ds_read_u8 v4, v3 offset:8204
	v_add_u32_e32 v6, 0x2000, v3
	ds_read2_b32 v[6:7], v6 offset1:2
	ds_read_u8 v8, v3 offset:8196
	v_add_u32_e32 v9, 0x2008, v3
	s_waitcnt lgkmcnt(2)
	v_and_b32_e32 v10, 1, v4
	v_cmp_eq_u32_e64 s[0:1], 1, v10
	s_waitcnt lgkmcnt(1)
	v_cndmask_b32_e64 v6, v6, 0, s[0:1]
	s_waitcnt lgkmcnt(0)
	v_or_b32_e32 v4, v8, v4
	v_add_u32_e32 v6, v6, v7
	v_and_b32_e32 v4, 1, v4
	ds_write2_b32 v9, v6, v4 offset1:1
	v_lshlrev_b32_e32 v4, 1, v2
	s_movk_i32 s0, 0x200
	v_cmp_gt_u32_e64 s[0:1], s0, v0
	v_lshl_add_u32 v4, v4, 3, 4
	s_waitcnt lgkmcnt(0)
	s_barrier
	s_and_saveexec_b64 s[6:7], s[0:1]
	s_cbranch_execz .LBB81_143
; %bb.142:
	ds_read_u8 v8, v4 offset:8188
	v_add_u32_e32 v6, 0x1c00, v4
	ds_read2_b32 v[6:7], v6 offset0:250 offset1:254
	ds_read_u8 v9, v4 offset:8172
	v_add_u32_e32 v10, 0x1ff8, v4
	s_waitcnt lgkmcnt(2)
	v_and_b32_e32 v11, 1, v8
	v_cmp_eq_u32_e64 s[0:1], 1, v11
	s_waitcnt lgkmcnt(1)
	v_cndmask_b32_e64 v6, v6, 0, s[0:1]
	v_add_u32_e32 v6, v6, v7
	s_waitcnt lgkmcnt(0)
	v_or_b32_e32 v7, v9, v8
	v_and_b32_e32 v7, 1, v7
	ds_write2_b32 v10, v6, v7 offset1:1
.LBB81_143:
	s_or_b64 exec, exec, s[6:7]
	v_lshlrev_b32_e32 v6, 2, v2
	s_movk_i32 s0, 0x100
	v_cmp_gt_u32_e64 s[0:1], s0, v0
	v_lshl_add_u32 v6, v6, 3, 4
	s_waitcnt lgkmcnt(0)
	s_barrier
	s_and_saveexec_b64 s[6:7], s[0:1]
	s_cbranch_execz .LBB81_145
; %bb.144:
	ds_read_u8 v9, v6 offset:8188
	v_add_u32_e32 v7, 0x1c00, v6
	ds_read2_b32 v[7:8], v7 offset0:246 offset1:254
	ds_read_u8 v10, v6 offset:8156
	v_add_u32_e32 v11, 0x1ff8, v6
	s_waitcnt lgkmcnt(2)
	v_and_b32_e32 v12, 1, v9
	v_cmp_eq_u32_e64 s[0:1], 1, v12
	s_waitcnt lgkmcnt(1)
	v_cndmask_b32_e64 v7, v7, 0, s[0:1]
	v_add_u32_e32 v7, v7, v8
	s_waitcnt lgkmcnt(0)
	v_or_b32_e32 v8, v10, v9
	v_and_b32_e32 v8, 1, v8
	ds_write2_b32 v11, v7, v8 offset1:1
.LBB81_145:
	s_or_b64 exec, exec, s[6:7]
	v_lshlrev_b32_e32 v7, 3, v2
	s_movk_i32 s0, 0x80
	v_cmp_gt_u32_e64 s[0:1], s0, v0
	v_lshl_add_u32 v7, v7, 3, 4
	s_waitcnt lgkmcnt(0)
	s_barrier
	s_and_saveexec_b64 s[6:7], s[0:1]
	s_cbranch_execz .LBB81_147
; %bb.146:
	ds_read_u8 v10, v7 offset:8188
	ds_read_u8 v12, v7 offset:8124
	v_add_u32_e32 v8, 0x1c00, v7
	ds_read2_b32 v[8:9], v8 offset0:238 offset1:254
	v_add_u32_e32 v11, 0x1ff8, v7
	s_waitcnt lgkmcnt(2)
	v_and_b32_e32 v13, 1, v10
	v_cmp_eq_u32_e64 s[0:1], 1, v13
	s_waitcnt lgkmcnt(0)
	v_cndmask_b32_e64 v8, v8, 0, s[0:1]
	v_add_u32_e32 v8, v8, v9
	v_or_b32_e32 v9, v12, v10
	v_and_b32_e32 v9, 1, v9
	ds_write2_b32 v11, v8, v9 offset1:1
.LBB81_147:
	s_or_b64 exec, exec, s[6:7]
	v_lshlrev_b32_e32 v8, 4, v2
	v_cmp_gt_u32_e64 s[0:1], 64, v0
	v_lshl_add_u32 v8, v8, 3, 4
	s_waitcnt lgkmcnt(0)
	s_barrier
	s_and_saveexec_b64 s[8:9], s[0:1]
	s_cbranch_execz .LBB81_149
; %bb.148:
	ds_read_u8 v11, v8 offset:8188
	ds_read_u8 v13, v8 offset:8060
	v_add_u32_e32 v9, 0x1c00, v8
	ds_read2_b32 v[9:10], v9 offset0:222 offset1:254
	v_add_u32_e32 v12, 0x1ff8, v8
	s_waitcnt lgkmcnt(2)
	v_and_b32_e32 v14, 1, v11
	v_cmp_eq_u32_e64 s[6:7], 1, v14
	s_waitcnt lgkmcnt(0)
	v_cndmask_b32_e64 v9, v9, 0, s[6:7]
	v_add_u32_e32 v9, v9, v10
	v_or_b32_e32 v10, v13, v11
	v_and_b32_e32 v10, 1, v10
	ds_write2_b32 v12, v9, v10 offset1:1
.LBB81_149:
	s_or_b64 exec, exec, s[8:9]
	v_lshlrev_b32_e32 v9, 5, v2
	v_cmp_gt_u32_e64 s[6:7], 32, v0
	v_lshl_add_u32 v9, v9, 3, 4
	s_waitcnt lgkmcnt(0)
	s_barrier
	s_and_saveexec_b64 s[8:9], s[6:7]
	s_cbranch_execz .LBB81_151
; %bb.150:
	ds_read_u8 v12, v9 offset:8188
	ds_read_u8 v14, v9 offset:7932
	v_add_u32_e32 v10, 0xf8, v9
	ds_read2st64_b32 v[10:11], v10 offset0:30 offset1:31
	v_add_u32_e32 v13, 0x1ff8, v9
	s_waitcnt lgkmcnt(2)
	v_and_b32_e32 v15, 1, v12
	v_cmp_eq_u32_e64 s[6:7], 1, v15
	s_waitcnt lgkmcnt(0)
	v_cndmask_b32_e64 v10, v10, 0, s[6:7]
	v_add_u32_e32 v10, v10, v11
	v_or_b32_e32 v11, v14, v12
	v_and_b32_e32 v11, 1, v11
	ds_write2_b32 v13, v10, v11 offset1:1
.LBB81_151:
	s_or_b64 exec, exec, s[8:9]
	v_lshlrev_b32_e32 v10, 6, v2
	v_cmp_gt_u32_e64 s[6:7], 16, v0
	v_lshl_add_u32 v10, v10, 3, 4
	s_waitcnt lgkmcnt(0)
	s_barrier
	s_and_saveexec_b64 s[8:9], s[6:7]
	s_cbranch_execz .LBB81_153
; %bb.152:
	ds_read_u8 v13, v10 offset:8188
	ds_read_u8 v15, v10 offset:7676
	v_add_u32_e32 v11, 0xf8, v10
	ds_read2st64_b32 v[11:12], v11 offset0:29 offset1:31
	v_add_u32_e32 v14, 0x1ff8, v10
	s_waitcnt lgkmcnt(2)
	v_and_b32_e32 v16, 1, v13
	v_cmp_eq_u32_e64 s[6:7], 1, v16
	s_waitcnt lgkmcnt(0)
	v_cndmask_b32_e64 v11, v11, 0, s[6:7]
	v_add_u32_e32 v11, v11, v12
	v_or_b32_e32 v12, v15, v13
	v_and_b32_e32 v12, 1, v12
	ds_write2_b32 v14, v11, v12 offset1:1
.LBB81_153:
	;; [unrolled: 24-line block ×5, first 2 shown]
	s_or_b64 exec, exec, s[8:9]
	s_waitcnt lgkmcnt(0)
	s_barrier
	s_and_saveexec_b64 s[8:9], vcc
	s_cbranch_execz .LBB81_161
; %bb.160:
	v_mov_b32_e32 v14, 4
	ds_read_u8 v15, v14 offset:24572
	ds_read_b32 v16, v14 offset:16376
	ds_read_b32 v17, v14 offset:24568
	ds_read_u8 v14, v14 offset:16380
	s_add_i32 s10, 4, 0x5ff8
	s_waitcnt lgkmcnt(3)
	v_and_b32_e32 v18, 1, v15
	v_cmp_eq_u32_e64 s[6:7], 1, v18
	s_waitcnt lgkmcnt(2)
	v_cndmask_b32_e64 v16, v16, 0, s[6:7]
	s_waitcnt lgkmcnt(0)
	v_or_b32_e32 v14, v14, v15
	v_add_u32_e32 v16, v16, v17
	v_and_b32_e32 v14, 1, v14
	v_mov_b32_e32 v15, s10
	ds_write2_b32 v15, v16, v14 offset1:1
.LBB81_161:
	s_or_b64 exec, exec, s[8:9]
	s_waitcnt lgkmcnt(0)
	s_barrier
	s_and_saveexec_b64 s[8:9], vcc
	s_cbranch_execz .LBB81_163
; %bb.162:
	ds_read_u8 v16, v13 offset:12284
	v_add_u32_e32 v14, 0xf8, v13
	ds_read2st64_b32 v[14:15], v14 offset0:31 offset1:47
	v_add_u32_e32 v17, 0x2ff8, v13
	ds_read_u8 v13, v13 offset:8188
	s_waitcnt lgkmcnt(2)
	v_and_b32_e32 v18, 1, v16
	v_cmp_eq_u32_e64 s[6:7], 1, v18
	s_waitcnt lgkmcnt(1)
	v_cndmask_b32_e64 v14, v14, 0, s[6:7]
	v_add_u32_e32 v14, v14, v15
	s_waitcnt lgkmcnt(0)
	v_or_b32_e32 v13, v13, v16
	v_and_b32_e32 v13, 1, v13
	ds_write2_b32 v17, v14, v13 offset1:1
.LBB81_163:
	s_or_b64 exec, exec, s[8:9]
	v_cmp_gt_u32_e64 s[6:7], 3, v0
	s_waitcnt lgkmcnt(0)
	s_barrier
	s_and_saveexec_b64 s[8:9], s[6:7]
	s_cbranch_execz .LBB81_165
; %bb.164:
	ds_read_u8 v15, v12 offset:10236
	v_add_u32_e32 v13, 0xf8, v12
	ds_read2st64_b32 v[13:14], v13 offset0:31 offset1:39
	v_add_u32_e32 v16, 0x27f8, v12
	ds_read_u8 v12, v12 offset:8188
	s_waitcnt lgkmcnt(2)
	v_and_b32_e32 v17, 1, v15
	v_cmp_eq_u32_e64 s[6:7], 1, v17
	s_waitcnt lgkmcnt(1)
	v_cndmask_b32_e64 v13, v13, 0, s[6:7]
	v_add_u32_e32 v13, v13, v14
	s_waitcnt lgkmcnt(0)
	v_or_b32_e32 v12, v12, v15
	v_and_b32_e32 v12, 1, v12
	ds_write2_b32 v16, v13, v12 offset1:1
.LBB81_165:
	s_or_b64 exec, exec, s[8:9]
	v_cmp_gt_u32_e64 s[6:7], 7, v0
	s_waitcnt lgkmcnt(0)
	s_barrier
	s_and_saveexec_b64 s[8:9], s[6:7]
	;; [unrolled: 23-line block ×5, first 2 shown]
	s_cbranch_execz .LBB81_173
; %bb.172:
	ds_read_u8 v11, v8 offset:8316
	v_add_u32_e32 v9, 0x1e00, v8
	ds_read2_b32 v[9:10], v9 offset0:126 offset1:158
	v_add_u32_e32 v12, 0x2078, v8
	ds_read_u8 v8, v8 offset:8188
	s_waitcnt lgkmcnt(2)
	v_and_b32_e32 v13, 1, v11
	v_cmp_eq_u32_e64 s[6:7], 1, v13
	s_waitcnt lgkmcnt(1)
	v_cndmask_b32_e64 v9, v9, 0, s[6:7]
	v_add_u32_e32 v9, v9, v10
	s_waitcnt lgkmcnt(0)
	v_or_b32_e32 v8, v8, v11
	v_and_b32_e32 v8, 1, v8
	ds_write2_b32 v12, v9, v8 offset1:1
.LBB81_173:
	s_or_b64 exec, exec, s[8:9]
	s_movk_i32 s6, 0x7f
	v_cmp_gt_u32_e64 s[6:7], s6, v0
	s_waitcnt lgkmcnt(0)
	s_barrier
	s_and_saveexec_b64 s[8:9], s[6:7]
	s_cbranch_execz .LBB81_175
; %bb.174:
	ds_read_u8 v10, v7 offset:8252
	v_add_u32_e32 v8, 0x1e00, v7
	ds_read2_b32 v[8:9], v8 offset0:126 offset1:142
	v_add_u32_e32 v11, 0x2038, v7
	ds_read_u8 v7, v7 offset:8188
	s_waitcnt lgkmcnt(2)
	v_and_b32_e32 v12, 1, v10
	v_cmp_eq_u32_e64 s[6:7], 1, v12
	s_waitcnt lgkmcnt(1)
	v_cndmask_b32_e64 v8, v8, 0, s[6:7]
	v_add_u32_e32 v8, v8, v9
	s_waitcnt lgkmcnt(0)
	v_or_b32_e32 v7, v7, v10
	v_and_b32_e32 v7, 1, v7
	ds_write2_b32 v11, v8, v7 offset1:1
.LBB81_175:
	s_or_b64 exec, exec, s[8:9]
	s_movk_i32 s6, 0xff
	v_cmp_gt_u32_e64 s[6:7], s6, v0
	s_waitcnt lgkmcnt(0)
	s_barrier
	s_and_saveexec_b64 s[8:9], s[6:7]
	s_cbranch_execz .LBB81_177
; %bb.176:
	ds_read_u8 v9, v6 offset:8220
	v_add_u32_e32 v7, 0x1e00, v6
	ds_read2_b32 v[7:8], v7 offset0:126 offset1:134
	ds_read_u8 v10, v6 offset:8188
	v_add_u32_e32 v6, 0x2018, v6
	s_waitcnt lgkmcnt(2)
	v_and_b32_e32 v11, 1, v9
	v_cmp_eq_u32_e64 s[6:7], 1, v11
	s_waitcnt lgkmcnt(1)
	v_cndmask_b32_e64 v7, v7, 0, s[6:7]
	v_add_u32_e32 v7, v7, v8
	s_waitcnt lgkmcnt(0)
	v_or_b32_e32 v8, v10, v9
	v_and_b32_e32 v8, 1, v8
	ds_write2_b32 v6, v7, v8 offset1:1
.LBB81_177:
	s_or_b64 exec, exec, s[8:9]
	s_movk_i32 s6, 0x1ff
	v_cmp_gt_u32_e64 s[6:7], s6, v0
	s_waitcnt lgkmcnt(0)
	s_barrier
	s_and_saveexec_b64 s[8:9], s[6:7]
	s_cbranch_execz .LBB81_179
; %bb.178:
	ds_read_u8 v8, v4 offset:8204
	v_add_u32_e32 v6, 0x1e00, v4
	ds_read2_b32 v[6:7], v6 offset0:126 offset1:130
	ds_read_u8 v9, v4 offset:8188
	v_add_u32_e32 v4, 0x2008, v4
	s_waitcnt lgkmcnt(2)
	v_and_b32_e32 v10, 1, v8
	v_cmp_eq_u32_e64 s[6:7], 1, v10
	s_waitcnt lgkmcnt(1)
	v_cndmask_b32_e64 v6, v6, 0, s[6:7]
	v_add_u32_e32 v6, v6, v7
	s_waitcnt lgkmcnt(0)
	v_or_b32_e32 v7, v9, v8
	v_and_b32_e32 v7, 1, v7
	ds_write2_b32 v4, v6, v7 offset1:1
.LBB81_179:
	s_or_b64 exec, exec, s[8:9]
	s_waitcnt lgkmcnt(0)
	s_barrier
	s_and_saveexec_b64 s[6:7], s[2:3]
	s_cbranch_execz .LBB81_181
; %bb.180:
	v_lshl_add_u32 v2, v2, 3, 4
	ds_read_u8 v4, v2 offset:8196
	v_add_u32_e32 v6, 0x2000, v2
	ds_read_b32 v7, v3 offset:8200
	ds_read_b32 v2, v2 offset:8192
	ds_read_u8 v8, v3 offset:8204
	s_waitcnt lgkmcnt(3)
	v_and_b32_e32 v9, 1, v4
	v_cmp_eq_u32_e64 s[2:3], 1, v9
	s_waitcnt lgkmcnt(2)
	v_cndmask_b32_e64 v7, v7, 0, s[2:3]
	s_waitcnt lgkmcnt(0)
	v_or_b32_e32 v4, v8, v4
	v_add_u32_e32 v2, v7, v2
	v_and_b32_e32 v4, 1, v4
	ds_write2_b32 v6, v2, v4 offset1:1
.LBB81_181:
	s_or_b64 exec, exec, s[6:7]
	v_add_u32_e32 v2, 0x2000, v3
	s_waitcnt lgkmcnt(0)
	s_barrier
	ds_read2_b32 v[6:7], v2 offset1:2
	v_or_b32_e32 v3, 1, v1
	v_cmp_gt_u32_e64 s[2:3], s16, v1
	v_cmp_gt_u32_e64 s[6:7], s16, v3
	v_cndmask_b32_e64 v4, 0, v1, s[2:3]
	s_waitcnt lgkmcnt(0)
	v_cndmask_b32_e64 v2, 0, v6, s[2:3]
	v_mbcnt_lo_u32_b32 v6, -1, 0
	v_cndmask_b32_e64 v7, 0, v7, s[6:7]
	v_mbcnt_hi_u32_b32 v11, -1, v6
	v_mov_b32_e32 v6, 0x80
	v_cndmask_b32_e64 v8, 0, v3, s[6:7]
	v_max_u32_e32 v9, v7, v2
	v_lshl_or_b32 v6, v11, 2, v6
	v_cmp_gt_u32_e64 s[8:9], v7, v2
	ds_bpermute_b32 v10, v6, v9
	v_cndmask_b32_e64 v2, v4, v8, s[8:9]
	ds_bpermute_b32 v4, v6, v2
	v_and_b32_e32 v12, 63, v11
	v_cmp_gt_u32_e64 s[8:9], 48, v12
	v_cndmask_b32_e64 v7, 0, 16, s[8:9]
	s_waitcnt lgkmcnt(1)
	v_max_u32_e32 v13, v10, v9
	v_add_lshl_u32 v7, v7, v11, 2
	v_cmp_gt_u32_e64 s[8:9], v10, v9
	ds_bpermute_b32 v14, v7, v13
	s_waitcnt lgkmcnt(1)
	v_cndmask_b32_e64 v2, v2, v4, s[8:9]
	ds_bpermute_b32 v4, v7, v2
	v_cmp_gt_u32_e64 s[8:9], 56, v12
	v_cndmask_b32_e64 v8, 0, 8, s[8:9]
	s_waitcnt lgkmcnt(1)
	v_max_u32_e32 v10, v14, v13
	v_add_lshl_u32 v8, v8, v11, 2
	v_cmp_gt_u32_e64 s[8:9], v14, v13
	ds_bpermute_b32 v15, v8, v10
	s_waitcnt lgkmcnt(1)
	v_cndmask_b32_e64 v2, v2, v4, s[8:9]
	ds_bpermute_b32 v4, v8, v2
	;; [unrolled: 10-line block ×4, first 2 shown]
	s_waitcnt lgkmcnt(0)
	s_barrier
	v_cmp_gt_u32_e64 s[8:9], v16, v15
	v_max_u32_e32 v2, v16, v15
	v_cndmask_b32_e64 v4, v4, v13, s[8:9]
	v_cmp_ne_u32_e64 s[8:9], 63, v12
	v_addc_co_u32_e64 v11, s[8:9], 0, v11, s[8:9]
	v_lshlrev_b32_e32 v11, 2, v11
	ds_bpermute_b32 v12, v11, v4
	ds_bpermute_b32 v13, v11, v2
	v_cmp_eq_u32_e64 s[8:9], 0, v5
	s_waitcnt lgkmcnt(0)
	s_barrier
	s_and_saveexec_b64 s[12:13], s[8:9]
	s_cbranch_execz .LBB81_183
; %bb.182:
	v_lshrrev_b32_e32 v14, 3, v0
	v_add_u32_e32 v14, 4, v14
	v_cmp_gt_u32_e64 s[10:11], v13, v2
	v_add_u32_e32 v14, 0x2000, v14
	v_cndmask_b32_e64 v4, v4, v12, s[10:11]
	v_max_u32_e32 v2, v13, v2
	ds_write2_b32 v14, v2, v4 offset1:1
.LBB81_183:
	s_or_b64 exec, exec, s[12:13]
	s_lshr_b32 s10, s18, 6
	v_cmp_gt_u32_e64 s[10:11], s10, v0
	v_lshl_add_u32 v12, v5, 3, 4
	v_mov_b32_e32 v2, 0
	v_mov_b32_e32 v4, 0
	s_waitcnt lgkmcnt(0)
	s_barrier
	s_and_saveexec_b64 s[12:13], s[10:11]
	s_cbranch_execnz .LBB81_198
; %bb.184:
	s_or_b64 exec, exec, s[12:13]
	s_and_saveexec_b64 s[12:13], s[10:11]
	s_cbranch_execnz .LBB81_199
.LBB81_185:
	s_or_b64 exec, exec, s[12:13]
	s_and_saveexec_b64 s[18:19], s[0:1]
	s_cbranch_execnz .LBB81_200
.LBB81_186:
	s_or_b64 exec, exec, s[18:19]
	s_and_saveexec_b64 s[12:13], vcc
	s_cbranch_execz .LBB81_188
.LBB81_187:
	s_waitcnt lgkmcnt(0)
	v_lshl_add_u32 v2, v2, 2, 4
	ds_read_b32 v2, v2
	v_mov_b32_e32 v4, 0
	s_waitcnt lgkmcnt(0)
	ds_write_b32 v4, v2
.LBB81_188:
	s_or_b64 exec, exec, s[12:13]
	s_waitcnt lgkmcnt(0)
	v_mov_b32_e32 v2, 0
	v_cmp_gt_i64_e64 s[12:13], s[16:17], v[1:2]
	v_mov_b32_e32 v13, 0
	s_barrier
	s_and_saveexec_b64 s[18:19], s[12:13]
	s_cbranch_execz .LBB81_190
; %bb.189:
	v_add_u32_e32 v13, s21, v1
	v_mov_b32_e32 v14, 0
	v_lshlrev_b64 v[15:16], 2, v[13:14]
	v_mov_b32_e32 v4, s15
	v_add_co_u32_e64 v15, s[12:13], s14, v15
	v_addc_co_u32_e64 v16, s[12:13], v4, v16, s[12:13]
	global_load_dword v4, v[15:16], off
	ds_read_b32 v13, v14
	s_waitcnt vmcnt(0) lgkmcnt(0)
	v_cmp_eq_u32_e64 s[12:13], v4, v13
	v_cndmask_b32_e64 v13, 0, v1, s[12:13]
.LBB81_190:
	s_or_b64 exec, exec, s[18:19]
	v_mov_b32_e32 v4, v2
	v_cmp_gt_i64_e64 s[12:13], s[16:17], v[3:4]
	s_and_saveexec_b64 s[16:17], s[12:13]
	s_cbranch_execz .LBB81_192
; %bb.191:
	v_add_u32_e32 v1, s21, v3
	v_mov_b32_e32 v2, 0
	v_lshlrev_b64 v[14:15], 2, v[1:2]
	v_mov_b32_e32 v1, s15
	v_add_co_u32_e64 v14, s[12:13], s14, v14
	v_addc_co_u32_e64 v15, s[12:13], v1, v15, s[12:13]
	global_load_dword v1, v[14:15], off
	ds_read_b32 v2, v2
	s_waitcnt vmcnt(0) lgkmcnt(0)
	v_cmp_eq_u32_e64 s[12:13], v1, v2
	v_cndmask_b32_e64 v2, 0, v3, s[12:13]
.LBB81_192:
	s_or_b64 exec, exec, s[16:17]
	v_cndmask_b32_e64 v1, 0, v13, s[2:3]
	v_max_u32_e32 v2, v2, v1
	v_cndmask_b32_e64 v1, v1, v2, s[6:7]
	ds_bpermute_b32 v2, v6, v1
	s_waitcnt lgkmcnt(0)
	s_barrier
	v_max_u32_e32 v1, v2, v1
	ds_bpermute_b32 v2, v7, v1
	s_waitcnt lgkmcnt(0)
	v_max_u32_e32 v1, v2, v1
	ds_bpermute_b32 v2, v8, v1
	s_waitcnt lgkmcnt(0)
	;; [unrolled: 3-line block ×4, first 2 shown]
	v_max_u32_e32 v1, v2, v1
	ds_bpermute_b32 v2, v11, v1
	s_and_saveexec_b64 s[2:3], s[8:9]
	s_cbranch_execz .LBB81_194
; %bb.193:
	v_lshrrev_b32_e32 v0, 4, v0
	v_add_u32_e32 v0, 4, v0
	s_waitcnt lgkmcnt(0)
	v_max_u32_e32 v1, v2, v1
	ds_write_b32 v0, v1
.LBB81_194:
	s_or_b64 exec, exec, s[2:3]
	v_mov_b32_e32 v0, 0
	s_waitcnt lgkmcnt(0)
	s_barrier
	s_and_saveexec_b64 s[2:3], s[10:11]
	s_cbranch_execnz .LBB81_201
; %bb.195:
	s_or_b64 exec, exec, s[2:3]
	s_and_saveexec_b64 s[2:3], s[0:1]
	s_cbranch_execnz .LBB81_202
.LBB81_196:
	s_or_b64 exec, exec, s[2:3]
	s_and_saveexec_b64 s[0:1], vcc
	s_cbranch_execnz .LBB81_203
.LBB81_197:
	s_endpgm
.LBB81_198:
	ds_read_b32 v4, v12 offset:8192
	s_or_b64 exec, exec, s[12:13]
	s_and_saveexec_b64 s[12:13], s[10:11]
	s_cbranch_execz .LBB81_185
.LBB81_199:
	ds_read_b32 v2, v12 offset:8196
	s_or_b64 exec, exec, s[12:13]
	s_and_saveexec_b64 s[18:19], s[0:1]
	s_cbranch_execz .LBB81_186
.LBB81_200:
	s_waitcnt lgkmcnt(0)
	ds_bpermute_b32 v13, v6, v4
	ds_bpermute_b32 v14, v6, v2
	s_waitcnt lgkmcnt(1)
	v_max_u32_e32 v15, v13, v4
	v_cmp_gt_u32_e64 s[12:13], v13, v4
	ds_bpermute_b32 v16, v7, v15
	s_waitcnt lgkmcnt(1)
	v_cndmask_b32_e64 v2, v2, v14, s[12:13]
	ds_bpermute_b32 v4, v7, v2
	s_waitcnt lgkmcnt(1)
	v_max_u32_e32 v13, v16, v15
	v_cmp_gt_u32_e64 s[12:13], v16, v15
	ds_bpermute_b32 v14, v8, v13
	s_waitcnt lgkmcnt(1)
	v_cndmask_b32_e64 v2, v2, v4, s[12:13]
	;; [unrolled: 7-line block ×4, first 2 shown]
	ds_bpermute_b32 v4, v10, v2
	s_waitcnt lgkmcnt(1)
	v_max_u32_e32 v15, v14, v13
	v_cmp_gt_u32_e64 s[12:13], v14, v13
	s_waitcnt lgkmcnt(0)
	v_cndmask_b32_e64 v2, v2, v4, s[12:13]
	ds_bpermute_b32 v4, v11, v15
	ds_bpermute_b32 v13, v11, v2
	s_waitcnt lgkmcnt(1)
	v_cmp_gt_u32_e64 s[12:13], v4, v15
	s_waitcnt lgkmcnt(0)
	v_cndmask_b32_e64 v2, v2, v13, s[12:13]
	s_or_b64 exec, exec, s[18:19]
	s_and_saveexec_b64 s[12:13], vcc
	s_cbranch_execnz .LBB81_187
	s_branch .LBB81_188
.LBB81_201:
	v_lshlrev_b32_e32 v0, 2, v5
	v_sub_u32_e32 v0, v12, v0
	ds_read_b32 v0, v0
	s_or_b64 exec, exec, s[2:3]
	s_and_saveexec_b64 s[2:3], s[0:1]
	s_cbranch_execz .LBB81_196
.LBB81_202:
	s_waitcnt lgkmcnt(0)
	ds_bpermute_b32 v1, v6, v0
	s_waitcnt lgkmcnt(0)
	v_max_u32_e32 v0, v1, v0
	ds_bpermute_b32 v1, v7, v0
	s_waitcnt lgkmcnt(0)
	v_max_u32_e32 v0, v1, v0
	;; [unrolled: 3-line block ×6, first 2 shown]
	s_or_b64 exec, exec, s[2:3]
	s_and_saveexec_b64 s[0:1], vcc
	s_cbranch_execz .LBB81_197
.LBB81_203:
	s_load_dword s6, s[4:5], 0xd8
	s_load_dwordx2 s[0:1], s[4:5], 0xe0
	s_add_u32 s2, s4, 8
	s_addc_u32 s3, s5, 0
	s_mov_b32 s5, 0
	s_waitcnt lgkmcnt(0)
	s_cmp_lt_i32 s6, 2
	s_cbranch_scc1 .LBB81_206
; %bb.204:
	s_add_i32 s4, s6, -1
	s_add_i32 s8, s6, 1
	s_lshl_b64 s[6:7], s[4:5], 2
	s_add_u32 s4, s2, s6
	s_addc_u32 s7, s3, s7
	s_add_u32 s6, s4, 8
	s_addc_u32 s7, s7, 0
.LBB81_205:                             ; =>This Inner Loop Header: Depth=1
	s_load_dword s4, s[6:7], 0x0
	s_load_dword s10, s[6:7], 0x64
	s_mov_b32 s9, s20
	s_waitcnt lgkmcnt(0)
	v_cvt_f32_u32_e32 v1, s4
	s_sub_i32 s11, 0, s4
	v_rcp_iflag_f32_e32 v1, v1
	v_mul_f32_e32 v1, 0x4f7ffffe, v1
	v_cvt_u32_f32_e32 v1, v1
	v_readfirstlane_b32 s12, v1
	s_mul_i32 s11, s11, s12
	s_mul_hi_u32 s11, s12, s11
	s_add_i32 s12, s12, s11
	s_mul_hi_u32 s11, s20, s12
	s_mul_i32 s12, s11, s4
	s_sub_i32 s12, s20, s12
	s_add_i32 s13, s11, 1
	s_sub_i32 s14, s12, s4
	s_cmp_ge_u32 s12, s4
	s_cselect_b32 s11, s13, s11
	s_cselect_b32 s12, s14, s12
	s_add_i32 s13, s11, 1
	s_cmp_ge_u32 s12, s4
	s_cselect_b32 s20, s13, s11
	s_mul_i32 s4, s20, s4
	s_sub_i32 s4, s9, s4
	s_mul_i32 s4, s10, s4
	s_add_i32 s8, s8, -1
	s_add_i32 s5, s4, s5
	s_add_u32 s6, s6, -4
	s_addc_u32 s7, s7, -1
	s_cmp_gt_u32 s8, 2
	s_cbranch_scc1 .LBB81_205
.LBB81_206:
	s_load_dword s4, s[2:3], 0x6c
	v_mov_b32_e32 v1, 0
	s_load_dwordx2 s[2:3], s[2:3], 0x0
	ds_read_b32 v2, v1
	s_mov_b32 s7, 0
	s_waitcnt lgkmcnt(0)
	s_mul_i32 s4, s4, s20
	s_add_i32 s6, s4, s5
	s_lshl_b64 s[4:5], s[6:7], 2
	s_add_u32 s2, s2, s4
	s_addc_u32 s3, s3, s5
	global_store_dword v1, v2, s[2:3]
	s_lshl_b64 s[2:3], s[6:7], 3
	s_add_u32 s0, s0, s2
	s_addc_u32 s1, s1, s3
	global_store_dwordx2 v1, v[0:1], s[0:1]
	s_endpgm
	.section	.rodata,"a",@progbits
	.p2align	6, 0x0
	.amdhsa_kernel _ZN2at6native12compute_modeIiLj2048EEEvPKT_NS_4cuda6detail10TensorInfoIS2_jEENS7_IljEEll
		.amdhsa_group_segment_fixed_size 4
		.amdhsa_private_segment_fixed_size 0
		.amdhsa_kernarg_size 712
		.amdhsa_user_sgpr_count 6
		.amdhsa_user_sgpr_private_segment_buffer 1
		.amdhsa_user_sgpr_dispatch_ptr 0
		.amdhsa_user_sgpr_queue_ptr 0
		.amdhsa_user_sgpr_kernarg_segment_ptr 1
		.amdhsa_user_sgpr_dispatch_id 0
		.amdhsa_user_sgpr_flat_scratch_init 0
		.amdhsa_user_sgpr_private_segment_size 0
		.amdhsa_uses_dynamic_stack 0
		.amdhsa_system_sgpr_private_segment_wavefront_offset 0
		.amdhsa_system_sgpr_workgroup_id_x 1
		.amdhsa_system_sgpr_workgroup_id_y 1
		.amdhsa_system_sgpr_workgroup_id_z 1
		.amdhsa_system_sgpr_workgroup_info 0
		.amdhsa_system_vgpr_workitem_id 0
		.amdhsa_next_free_vgpr 42
		.amdhsa_next_free_sgpr 22
		.amdhsa_reserve_vcc 1
		.amdhsa_reserve_flat_scratch 0
		.amdhsa_float_round_mode_32 0
		.amdhsa_float_round_mode_16_64 0
		.amdhsa_float_denorm_mode_32 3
		.amdhsa_float_denorm_mode_16_64 3
		.amdhsa_dx10_clamp 1
		.amdhsa_ieee_mode 1
		.amdhsa_fp16_overflow 0
		.amdhsa_exception_fp_ieee_invalid_op 0
		.amdhsa_exception_fp_denorm_src 0
		.amdhsa_exception_fp_ieee_div_zero 0
		.amdhsa_exception_fp_ieee_overflow 0
		.amdhsa_exception_fp_ieee_underflow 0
		.amdhsa_exception_fp_ieee_inexact 0
		.amdhsa_exception_int_div_zero 0
	.end_amdhsa_kernel
	.section	.text._ZN2at6native12compute_modeIiLj2048EEEvPKT_NS_4cuda6detail10TensorInfoIS2_jEENS7_IljEEll,"axG",@progbits,_ZN2at6native12compute_modeIiLj2048EEEvPKT_NS_4cuda6detail10TensorInfoIS2_jEENS7_IljEEll,comdat
.Lfunc_end81:
	.size	_ZN2at6native12compute_modeIiLj2048EEEvPKT_NS_4cuda6detail10TensorInfoIS2_jEENS7_IljEEll, .Lfunc_end81-_ZN2at6native12compute_modeIiLj2048EEEvPKT_NS_4cuda6detail10TensorInfoIS2_jEENS7_IljEEll
                                        ; -- End function
	.set _ZN2at6native12compute_modeIiLj2048EEEvPKT_NS_4cuda6detail10TensorInfoIS2_jEENS7_IljEEll.num_vgpr, 42
	.set _ZN2at6native12compute_modeIiLj2048EEEvPKT_NS_4cuda6detail10TensorInfoIS2_jEENS7_IljEEll.num_agpr, 0
	.set _ZN2at6native12compute_modeIiLj2048EEEvPKT_NS_4cuda6detail10TensorInfoIS2_jEENS7_IljEEll.numbered_sgpr, 22
	.set _ZN2at6native12compute_modeIiLj2048EEEvPKT_NS_4cuda6detail10TensorInfoIS2_jEENS7_IljEEll.num_named_barrier, 0
	.set _ZN2at6native12compute_modeIiLj2048EEEvPKT_NS_4cuda6detail10TensorInfoIS2_jEENS7_IljEEll.private_seg_size, 0
	.set _ZN2at6native12compute_modeIiLj2048EEEvPKT_NS_4cuda6detail10TensorInfoIS2_jEENS7_IljEEll.uses_vcc, 1
	.set _ZN2at6native12compute_modeIiLj2048EEEvPKT_NS_4cuda6detail10TensorInfoIS2_jEENS7_IljEEll.uses_flat_scratch, 0
	.set _ZN2at6native12compute_modeIiLj2048EEEvPKT_NS_4cuda6detail10TensorInfoIS2_jEENS7_IljEEll.has_dyn_sized_stack, 0
	.set _ZN2at6native12compute_modeIiLj2048EEEvPKT_NS_4cuda6detail10TensorInfoIS2_jEENS7_IljEEll.has_recursion, 0
	.set _ZN2at6native12compute_modeIiLj2048EEEvPKT_NS_4cuda6detail10TensorInfoIS2_jEENS7_IljEEll.has_indirect_call, 0
	.section	.AMDGPU.csdata,"",@progbits
; Kernel info:
; codeLenInByte = 15088
; TotalNumSgprs: 26
; NumVgprs: 42
; ScratchSize: 0
; MemoryBound: 0
; FloatMode: 240
; IeeeMode: 1
; LDSByteSize: 4 bytes/workgroup (compile time only)
; SGPRBlocks: 3
; VGPRBlocks: 10
; NumSGPRsForWavesPerEU: 26
; NumVGPRsForWavesPerEU: 42
; Occupancy: 5
; WaveLimiterHint : 1
; COMPUTE_PGM_RSRC2:SCRATCH_EN: 0
; COMPUTE_PGM_RSRC2:USER_SGPR: 6
; COMPUTE_PGM_RSRC2:TRAP_HANDLER: 0
; COMPUTE_PGM_RSRC2:TGID_X_EN: 1
; COMPUTE_PGM_RSRC2:TGID_Y_EN: 1
; COMPUTE_PGM_RSRC2:TGID_Z_EN: 1
; COMPUTE_PGM_RSRC2:TIDIG_COMP_CNT: 0
	.section	.text._ZN2at6native12compute_modeIiLj1024EEEvPKT_NS_4cuda6detail10TensorInfoIS2_jEENS7_IljEEll,"axG",@progbits,_ZN2at6native12compute_modeIiLj1024EEEvPKT_NS_4cuda6detail10TensorInfoIS2_jEENS7_IljEEll,comdat
	.protected	_ZN2at6native12compute_modeIiLj1024EEEvPKT_NS_4cuda6detail10TensorInfoIS2_jEENS7_IljEEll ; -- Begin function _ZN2at6native12compute_modeIiLj1024EEEvPKT_NS_4cuda6detail10TensorInfoIS2_jEENS7_IljEEll
	.globl	_ZN2at6native12compute_modeIiLj1024EEEvPKT_NS_4cuda6detail10TensorInfoIS2_jEENS7_IljEEll
	.p2align	8
	.type	_ZN2at6native12compute_modeIiLj1024EEEvPKT_NS_4cuda6detail10TensorInfoIS2_jEENS7_IljEEll,@function
_ZN2at6native12compute_modeIiLj1024EEEvPKT_NS_4cuda6detail10TensorInfoIS2_jEENS7_IljEEll: ; @_ZN2at6native12compute_modeIiLj1024EEEvPKT_NS_4cuda6detail10TensorInfoIS2_jEENS7_IljEEll
; %bb.0:
	s_load_dwordx2 s[2:3], s[4:5], 0x1c8
	s_load_dwordx4 s[16:19], s[4:5], 0x1b8
	s_add_u32 s0, s4, 0x1c8
	s_addc_u32 s1, s5, 0
	v_mov_b32_e32 v2, 0
	s_waitcnt lgkmcnt(0)
	s_mul_i32 s3, s3, s8
	s_add_i32 s3, s3, s7
	s_mul_i32 s2, s3, s2
	s_add_i32 s20, s2, s6
	v_mov_b32_e32 v1, s20
	v_cmp_le_i64_e32 vcc, s[18:19], v[1:2]
	s_cbranch_vccnz .LBB82_173
; %bb.1:
	s_load_dwordx2 s[14:15], s[4:5], 0x0
	s_load_dword s6, s[0:1], 0xc
	v_mov_b32_e32 v1, v2
	v_cmp_gt_i64_e32 vcc, s[16:17], v[0:1]
	s_mul_i32 s21, s20, s16
	s_and_saveexec_b64 s[2:3], vcc
	s_cbranch_execz .LBB82_3
; %bb.2:
	v_add_u32_e32 v1, s21, v0
	v_lshlrev_b64 v[3:4], 2, v[1:2]
	s_waitcnt lgkmcnt(0)
	v_mov_b32_e32 v1, s15
	v_add_co_u32_e64 v3, s[0:1], s14, v3
	v_addc_co_u32_e64 v4, s[0:1], v1, v4, s[0:1]
	global_load_dword v1, v[3:4], off
	v_lshl_add_u32 v3, v0, 2, 4
	s_waitcnt vmcnt(0)
	ds_write_b32 v3, v1
.LBB82_3:
	s_or_b64 exec, exec, s[2:3]
	s_waitcnt lgkmcnt(0)
	s_and_b32 s18, 0xffff, s6
	v_add_u32_e32 v1, s18, v0
	v_cmp_gt_i64_e64 s[0:1], s[16:17], v[1:2]
	s_and_saveexec_b64 s[6:7], s[0:1]
	s_cbranch_execz .LBB82_5
; %bb.4:
	v_add_u32_e32 v2, s21, v1
	v_mov_b32_e32 v3, 0
	v_lshlrev_b64 v[2:3], 2, v[2:3]
	v_mov_b32_e32 v4, s15
	v_add_co_u32_e64 v2, s[2:3], s14, v2
	v_addc_co_u32_e64 v3, s[2:3], v4, v3, s[2:3]
	global_load_dword v2, v[2:3], off
	v_lshl_add_u32 v1, v1, 2, 4
	s_waitcnt vmcnt(0)
	ds_write_b32 v1, v2
.LBB82_5:
	s_or_b64 exec, exec, s[6:7]
	v_add_u32_e32 v1, 4, v0
	v_mad_u32_u24 v4, v0, 7, v1
	v_cndmask_b32_e64 v2, 0, 1, vcc
	v_mad_i32_i24 v5, v0, -6, v4
	ds_write_b8 v1, v2 offset:4096
	v_add_u32_e32 v2, s18, v1
	v_cndmask_b32_e64 v3, 0, 1, s[0:1]
	v_mad_u32_u24 v6, v0, 6, v5
	ds_write_b8 v2, v3 offset:4096
	s_waitcnt lgkmcnt(0)
	s_barrier
	s_barrier
	ds_read2_b32 v[1:2], v4 offset1:1
	ds_read_u8 v5, v5 offset:4096
	v_mad_i32_i24 v7, v0, -6, v6
	ds_read_u8 v9, v7 offset:4097
	v_and_b32_e32 v3, 1, v0
	s_waitcnt lgkmcnt(2)
	v_cmp_lt_i32_e32 vcc, v1, v2
	s_waitcnt lgkmcnt(1)
	v_and_b32_e32 v7, 1, v5
	v_cmp_eq_u32_e64 s[0:1], 1, v7
	s_waitcnt lgkmcnt(0)
	v_cmp_ne_u16_e64 s[2:3], v9, v3
	v_cndmask_b32_e64 v7, 0, 1, s[2:3]
	s_and_b64 vcc, vcc, s[0:1]
	v_cndmask_b32_e32 v7, v7, v0, vcc
	v_mul_i32_i24_e32 v8, -6, v0
	v_and_b32_e32 v7, 1, v7
	v_cmp_eq_u32_e32 vcc, 1, v7
	v_add_u32_e32 v7, v4, v8
	v_add_u32_e32 v8, v6, v8
	s_and_saveexec_b64 s[0:1], vcc
	s_cbranch_execz .LBB82_7
; %bb.6:
	ds_write_b32 v4, v2
	ds_write_b32 v6, v1 offset:4
	ds_write_b8 v7, v9 offset:4096
	ds_write_b8 v8, v5 offset:4097
.LBB82_7:
	s_or_b64 exec, exec, s[0:1]
	v_lshlrev_b32_e32 v1, 1, v0
	v_sub_u32_e32 v11, v1, v3
	v_add_u32_e32 v9, 4, v11
	v_lshl_add_u32 v10, v11, 2, 4
	v_mad_i32_i24 v3, v11, 3, v9
	s_waitcnt lgkmcnt(0)
	s_barrier
	ds_read_b32 v2, v10
	ds_read_b32 v12, v3 offset:8
	ds_read_u8 v3, v9 offset:4096
	ds_read_u8 v13, v9 offset:4098
	v_bfe_u32 v14, v0, 1, 1
	v_and_b32_e32 v5, 2, v0
	s_waitcnt lgkmcnt(2)
	v_cmp_lt_i32_e64 s[0:1], v2, v12
	s_waitcnt lgkmcnt(1)
	v_and_b32_e32 v15, 1, v3
	v_cmp_eq_u32_e64 s[2:3], 1, v15
	s_waitcnt lgkmcnt(0)
	v_cmp_ne_u16_e64 s[6:7], v13, v14
	v_cndmask_b32_e64 v15, 0, 1, s[6:7]
	s_and_b64 s[0:1], s[0:1], s[2:3]
	v_cndmask_b32_e64 v14, v15, v14, s[0:1]
	v_mul_i32_i24_e32 v11, 3, v11
	v_and_b32_e32 v14, 1, v14
	v_cmp_ne_u32_e32 vcc, 0, v5
	v_cmp_eq_u32_e64 s[0:1], 1, v14
	v_add_u32_e32 v11, v9, v11
	s_and_saveexec_b64 s[2:3], s[0:1]
	s_xor_b64 s[0:1], exec, s[2:3]
	s_cbranch_execz .LBB82_9
; %bb.8:
	ds_write_b32 v10, v12
	ds_write_b32 v11, v2 offset:8
	ds_write_b8 v9, v13 offset:4096
	ds_write_b8 v9, v3 offset:4098
.LBB82_9:
	s_or_b64 exec, exec, s[0:1]
	s_waitcnt lgkmcnt(0)
	s_barrier
	ds_read2_b32 v[2:3], v4 offset1:1
	ds_read_u8 v12, v7 offset:4096
	ds_read_u8 v13, v8 offset:4097
	v_lshrrev_b32_e32 v5, 1, v5
	s_waitcnt lgkmcnt(2)
	v_cmp_lt_i32_e64 s[0:1], v2, v3
	s_waitcnt lgkmcnt(1)
	v_and_b32_e32 v14, 1, v12
	v_cmp_eq_u32_e64 s[2:3], 1, v14
	s_waitcnt lgkmcnt(0)
	v_cmp_ne_u16_e64 s[6:7], v13, v5
	v_cndmask_b32_e64 v5, 0, 1, s[6:7]
	v_cndmask_b32_e64 v14, 0, 1, vcc
	s_and_b64 vcc, s[0:1], s[2:3]
	v_cndmask_b32_e32 v5, v5, v14, vcc
	v_and_b32_e32 v5, 1, v5
	v_cmp_eq_u32_e32 vcc, 1, v5
	s_and_saveexec_b64 s[0:1], vcc
	s_cbranch_execz .LBB82_11
; %bb.10:
	ds_write_b32 v4, v3
	ds_write_b32 v6, v2 offset:4
	ds_write_b8 v7, v13 offset:4096
	ds_write_b8 v8, v12 offset:4097
.LBB82_11:
	s_or_b64 exec, exec, s[0:1]
	v_and_b32_e32 v3, 3, v0
	v_sub_u32_e32 v14, v1, v3
	v_add_u32_e32 v12, 4, v14
	v_lshl_add_u32 v13, v14, 2, 4
	v_mad_i32_i24 v5, v14, 3, v12
	s_waitcnt lgkmcnt(0)
	s_barrier
	ds_read_b32 v3, v13
	ds_read_b32 v15, v5 offset:16
	ds_read_u8 v5, v12 offset:4096
	ds_read_u8 v16, v12 offset:4100
	v_bfe_u32 v17, v0, 2, 1
	v_and_b32_e32 v2, 4, v0
	s_waitcnt lgkmcnt(2)
	v_cmp_lt_i32_e64 s[0:1], v3, v15
	s_waitcnt lgkmcnt(1)
	v_and_b32_e32 v18, 1, v5
	v_cmp_eq_u32_e64 s[2:3], 1, v18
	s_waitcnt lgkmcnt(0)
	v_cmp_ne_u16_e64 s[6:7], v16, v17
	v_cndmask_b32_e64 v18, 0, 1, s[6:7]
	s_and_b64 s[0:1], s[0:1], s[2:3]
	v_cndmask_b32_e64 v17, v18, v17, s[0:1]
	v_mul_i32_i24_e32 v14, 3, v14
	v_and_b32_e32 v17, 1, v17
	v_cmp_ne_u32_e32 vcc, 0, v2
	v_cmp_eq_u32_e64 s[0:1], 1, v17
	v_add_u32_e32 v14, v12, v14
	s_and_saveexec_b64 s[2:3], s[0:1]
	s_cbranch_execz .LBB82_13
; %bb.12:
	ds_write_b32 v13, v15
	ds_write_b32 v14, v3 offset:16
	ds_write_b8 v12, v16 offset:4096
	ds_write_b8 v12, v5 offset:4100
.LBB82_13:
	s_or_b64 exec, exec, s[2:3]
	s_waitcnt lgkmcnt(0)
	s_barrier
	ds_read_b32 v3, v10
	ds_read_b32 v17, v11 offset:8
	ds_read_u8 v16, v9 offset:4096
	ds_read_u8 v18, v9 offset:4098
	v_lshrrev_b32_e32 v5, 2, v2
	v_cndmask_b32_e64 v15, 0, 1, vcc
	s_waitcnt lgkmcnt(2)
	v_cmp_lt_i32_e64 s[0:1], v3, v17
	s_waitcnt lgkmcnt(1)
	v_and_b32_e32 v2, 1, v16
	v_cmp_eq_u32_e64 s[2:3], 1, v2
	s_waitcnt lgkmcnt(0)
	v_cmp_ne_u16_e64 s[6:7], v18, v5
	v_cndmask_b32_e64 v2, 0, 1, s[6:7]
	s_and_b64 vcc, s[0:1], s[2:3]
	v_cndmask_b32_e32 v2, v2, v15, vcc
	v_and_b32_e32 v2, 1, v2
	v_cmp_eq_u32_e32 vcc, 1, v2
	s_and_saveexec_b64 s[0:1], vcc
	s_cbranch_execz .LBB82_15
; %bb.14:
	ds_write_b32 v10, v17
	ds_write_b32 v11, v3 offset:8
	ds_write_b8 v9, v18 offset:4096
	ds_write_b8 v9, v16 offset:4098
.LBB82_15:
	s_or_b64 exec, exec, s[0:1]
	s_waitcnt lgkmcnt(0)
	s_barrier
	ds_read2_b32 v[2:3], v4 offset1:1
	ds_read_u8 v16, v7 offset:4096
	ds_read_u8 v17, v8 offset:4097
	s_waitcnt lgkmcnt(2)
	v_cmp_lt_i32_e32 vcc, v2, v3
	s_waitcnt lgkmcnt(1)
	v_and_b32_e32 v18, 1, v16
	v_cmp_eq_u32_e64 s[0:1], 1, v18
	s_waitcnt lgkmcnt(0)
	v_cmp_ne_u16_e64 s[2:3], v17, v5
	v_cndmask_b32_e64 v5, 0, 1, s[2:3]
	s_and_b64 vcc, vcc, s[0:1]
	v_cndmask_b32_e32 v5, v5, v15, vcc
	v_and_b32_e32 v5, 1, v5
	v_cmp_eq_u32_e32 vcc, 1, v5
	s_and_saveexec_b64 s[0:1], vcc
	s_cbranch_execz .LBB82_17
; %bb.16:
	ds_write_b32 v4, v3
	ds_write_b32 v6, v2 offset:4
	ds_write_b8 v7, v17 offset:4096
	ds_write_b8 v8, v16 offset:4097
.LBB82_17:
	s_or_b64 exec, exec, s[0:1]
	v_and_b32_e32 v3, 7, v0
	v_sub_u32_e32 v17, v1, v3
	v_add_u32_e32 v15, 4, v17
	v_lshl_add_u32 v16, v17, 2, 4
	v_mad_i32_i24 v5, v17, 3, v15
	s_waitcnt lgkmcnt(0)
	s_barrier
	ds_read_b32 v3, v16
	ds_read_b32 v18, v5 offset:32
	ds_read_u8 v5, v15 offset:4096
	ds_read_u8 v19, v15 offset:4104
	v_bfe_u32 v20, v0, 3, 1
	v_and_b32_e32 v2, 8, v0
	s_waitcnt lgkmcnt(2)
	v_cmp_lt_i32_e64 s[0:1], v3, v18
	s_waitcnt lgkmcnt(1)
	v_and_b32_e32 v21, 1, v5
	v_cmp_eq_u32_e64 s[2:3], 1, v21
	s_waitcnt lgkmcnt(0)
	v_cmp_ne_u16_e64 s[6:7], v19, v20
	v_cndmask_b32_e64 v21, 0, 1, s[6:7]
	s_and_b64 s[0:1], s[0:1], s[2:3]
	v_cndmask_b32_e64 v20, v21, v20, s[0:1]
	v_mul_i32_i24_e32 v17, 3, v17
	v_and_b32_e32 v20, 1, v20
	v_cmp_ne_u32_e32 vcc, 0, v2
	v_cmp_eq_u32_e64 s[0:1], 1, v20
	v_add_u32_e32 v17, v15, v17
	s_and_saveexec_b64 s[2:3], s[0:1]
	s_cbranch_execz .LBB82_19
; %bb.18:
	ds_write_b32 v16, v18
	ds_write_b32 v17, v3 offset:32
	ds_write_b8 v15, v19 offset:4096
	ds_write_b8 v15, v5 offset:4104
.LBB82_19:
	s_or_b64 exec, exec, s[2:3]
	s_waitcnt lgkmcnt(0)
	s_barrier
	ds_read_b32 v3, v13
	ds_read_b32 v20, v14 offset:16
	ds_read_u8 v19, v12 offset:4096
	ds_read_u8 v21, v12 offset:4100
	v_lshrrev_b32_e32 v5, 3, v2
	v_cndmask_b32_e64 v18, 0, 1, vcc
	s_waitcnt lgkmcnt(2)
	v_cmp_lt_i32_e64 s[0:1], v3, v20
	s_waitcnt lgkmcnt(1)
	v_and_b32_e32 v2, 1, v19
	v_cmp_eq_u32_e64 s[2:3], 1, v2
	s_waitcnt lgkmcnt(0)
	v_cmp_ne_u16_e64 s[6:7], v21, v5
	v_cndmask_b32_e64 v2, 0, 1, s[6:7]
	s_and_b64 vcc, s[0:1], s[2:3]
	v_cndmask_b32_e32 v2, v2, v18, vcc
	v_and_b32_e32 v2, 1, v2
	v_cmp_eq_u32_e32 vcc, 1, v2
	s_and_saveexec_b64 s[0:1], vcc
	s_cbranch_execz .LBB82_21
; %bb.20:
	ds_write_b32 v13, v20
	ds_write_b32 v14, v3 offset:16
	ds_write_b8 v12, v21 offset:4096
	ds_write_b8 v12, v19 offset:4100
.LBB82_21:
	s_or_b64 exec, exec, s[0:1]
	s_waitcnt lgkmcnt(0)
	s_barrier
	ds_read_b32 v2, v10
	ds_read_b32 v19, v11 offset:8
	ds_read_u8 v3, v9 offset:4096
	ds_read_u8 v20, v9 offset:4098
	s_waitcnt lgkmcnt(2)
	v_cmp_lt_i32_e32 vcc, v2, v19
	s_waitcnt lgkmcnt(1)
	v_and_b32_e32 v21, 1, v3
	v_cmp_eq_u32_e64 s[0:1], 1, v21
	s_waitcnt lgkmcnt(0)
	v_cmp_ne_u16_e64 s[2:3], v20, v5
	v_cndmask_b32_e64 v21, 0, 1, s[2:3]
	s_and_b64 vcc, vcc, s[0:1]
	v_cndmask_b32_e32 v21, v21, v18, vcc
	v_and_b32_e32 v21, 1, v21
	v_cmp_eq_u32_e32 vcc, 1, v21
	s_and_saveexec_b64 s[0:1], vcc
	s_cbranch_execz .LBB82_23
; %bb.22:
	ds_write_b32 v10, v19
	ds_write_b32 v11, v2 offset:8
	ds_write_b8 v9, v20 offset:4096
	ds_write_b8 v9, v3 offset:4098
.LBB82_23:
	s_or_b64 exec, exec, s[0:1]
	s_waitcnt lgkmcnt(0)
	s_barrier
	ds_read2_b32 v[2:3], v4 offset1:1
	ds_read_u8 v19, v7 offset:4096
	ds_read_u8 v20, v8 offset:4097
	s_waitcnt lgkmcnt(2)
	v_cmp_lt_i32_e32 vcc, v2, v3
	s_waitcnt lgkmcnt(1)
	v_and_b32_e32 v21, 1, v19
	v_cmp_eq_u32_e64 s[0:1], 1, v21
	s_waitcnt lgkmcnt(0)
	v_cmp_ne_u16_e64 s[2:3], v20, v5
	v_cndmask_b32_e64 v5, 0, 1, s[2:3]
	s_and_b64 vcc, vcc, s[0:1]
	v_cndmask_b32_e32 v5, v5, v18, vcc
	v_and_b32_e32 v5, 1, v5
	v_cmp_eq_u32_e32 vcc, 1, v5
	s_and_saveexec_b64 s[0:1], vcc
	s_cbranch_execz .LBB82_25
; %bb.24:
	ds_write_b32 v4, v3
	ds_write_b32 v6, v2 offset:4
	ds_write_b8 v7, v20 offset:4096
	ds_write_b8 v8, v19 offset:4097
.LBB82_25:
	s_or_b64 exec, exec, s[0:1]
	v_and_b32_e32 v3, 15, v0
	v_sub_u32_e32 v20, v1, v3
	v_add_u32_e32 v18, 4, v20
	v_lshl_add_u32 v19, v20, 2, 4
	v_mad_i32_i24 v5, v20, 3, v18
	s_waitcnt lgkmcnt(0)
	s_barrier
	ds_read_b32 v3, v19
	ds_read_b32 v21, v5 offset:64
	ds_read_u8 v5, v18 offset:4096
	ds_read_u8 v22, v18 offset:4112
	v_bfe_u32 v23, v0, 4, 1
	v_and_b32_e32 v2, 16, v0
	s_waitcnt lgkmcnt(2)
	v_cmp_lt_i32_e64 s[0:1], v3, v21
	s_waitcnt lgkmcnt(1)
	v_and_b32_e32 v24, 1, v5
	v_cmp_eq_u32_e64 s[2:3], 1, v24
	s_waitcnt lgkmcnt(0)
	v_cmp_ne_u16_e64 s[6:7], v22, v23
	v_cndmask_b32_e64 v24, 0, 1, s[6:7]
	s_and_b64 s[0:1], s[0:1], s[2:3]
	v_cndmask_b32_e64 v23, v24, v23, s[0:1]
	v_mul_i32_i24_e32 v20, 3, v20
	v_and_b32_e32 v23, 1, v23
	v_cmp_ne_u32_e32 vcc, 0, v2
	v_cmp_eq_u32_e64 s[0:1], 1, v23
	v_add_u32_e32 v20, v18, v20
	s_and_saveexec_b64 s[2:3], s[0:1]
	s_cbranch_execz .LBB82_27
; %bb.26:
	ds_write_b32 v19, v21
	ds_write_b32 v20, v3 offset:64
	ds_write_b8 v18, v22 offset:4096
	ds_write_b8 v18, v5 offset:4112
.LBB82_27:
	s_or_b64 exec, exec, s[2:3]
	s_waitcnt lgkmcnt(0)
	s_barrier
	ds_read_b32 v3, v16
	ds_read_b32 v23, v17 offset:32
	ds_read_u8 v22, v15 offset:4096
	ds_read_u8 v24, v15 offset:4104
	v_lshrrev_b32_e32 v5, 4, v2
	v_cndmask_b32_e64 v21, 0, 1, vcc
	s_waitcnt lgkmcnt(2)
	v_cmp_lt_i32_e64 s[0:1], v3, v23
	s_waitcnt lgkmcnt(1)
	v_and_b32_e32 v2, 1, v22
	v_cmp_eq_u32_e64 s[2:3], 1, v2
	s_waitcnt lgkmcnt(0)
	v_cmp_ne_u16_e64 s[6:7], v24, v5
	v_cndmask_b32_e64 v2, 0, 1, s[6:7]
	s_and_b64 vcc, s[0:1], s[2:3]
	v_cndmask_b32_e32 v2, v2, v21, vcc
	v_and_b32_e32 v2, 1, v2
	v_cmp_eq_u32_e32 vcc, 1, v2
	s_and_saveexec_b64 s[0:1], vcc
	s_cbranch_execz .LBB82_29
; %bb.28:
	ds_write_b32 v16, v23
	ds_write_b32 v17, v3 offset:32
	ds_write_b8 v15, v24 offset:4096
	ds_write_b8 v15, v22 offset:4104
.LBB82_29:
	s_or_b64 exec, exec, s[0:1]
	s_waitcnt lgkmcnt(0)
	s_barrier
	ds_read_b32 v2, v13
	ds_read_b32 v22, v14 offset:16
	ds_read_u8 v3, v12 offset:4096
	ds_read_u8 v23, v12 offset:4100
	s_waitcnt lgkmcnt(2)
	v_cmp_lt_i32_e32 vcc, v2, v22
	s_waitcnt lgkmcnt(1)
	v_and_b32_e32 v24, 1, v3
	v_cmp_eq_u32_e64 s[0:1], 1, v24
	s_waitcnt lgkmcnt(0)
	v_cmp_ne_u16_e64 s[2:3], v23, v5
	v_cndmask_b32_e64 v24, 0, 1, s[2:3]
	s_and_b64 vcc, vcc, s[0:1]
	v_cndmask_b32_e32 v24, v24, v21, vcc
	v_and_b32_e32 v24, 1, v24
	v_cmp_eq_u32_e32 vcc, 1, v24
	s_and_saveexec_b64 s[0:1], vcc
	s_cbranch_execz .LBB82_31
; %bb.30:
	ds_write_b32 v13, v22
	ds_write_b32 v14, v2 offset:16
	ds_write_b8 v12, v23 offset:4096
	ds_write_b8 v12, v3 offset:4100
.LBB82_31:
	s_or_b64 exec, exec, s[0:1]
	s_waitcnt lgkmcnt(0)
	s_barrier
	ds_read_b32 v2, v10
	ds_read_b32 v22, v11 offset:8
	ds_read_u8 v3, v9 offset:4096
	ds_read_u8 v23, v9 offset:4098
	s_waitcnt lgkmcnt(2)
	v_cmp_lt_i32_e32 vcc, v2, v22
	s_waitcnt lgkmcnt(1)
	v_and_b32_e32 v24, 1, v3
	v_cmp_eq_u32_e64 s[0:1], 1, v24
	s_waitcnt lgkmcnt(0)
	v_cmp_ne_u16_e64 s[2:3], v23, v5
	v_cndmask_b32_e64 v24, 0, 1, s[2:3]
	s_and_b64 vcc, vcc, s[0:1]
	v_cndmask_b32_e32 v24, v24, v21, vcc
	v_and_b32_e32 v24, 1, v24
	v_cmp_eq_u32_e32 vcc, 1, v24
	s_and_saveexec_b64 s[0:1], vcc
	s_cbranch_execz .LBB82_33
; %bb.32:
	ds_write_b32 v10, v22
	ds_write_b32 v11, v2 offset:8
	ds_write_b8 v9, v23 offset:4096
	ds_write_b8 v9, v3 offset:4098
.LBB82_33:
	s_or_b64 exec, exec, s[0:1]
	s_waitcnt lgkmcnt(0)
	s_barrier
	ds_read2_b32 v[2:3], v4 offset1:1
	ds_read_u8 v22, v7 offset:4096
	ds_read_u8 v23, v8 offset:4097
	s_waitcnt lgkmcnt(2)
	v_cmp_lt_i32_e32 vcc, v2, v3
	s_waitcnt lgkmcnt(1)
	v_and_b32_e32 v24, 1, v22
	v_cmp_eq_u32_e64 s[0:1], 1, v24
	s_waitcnt lgkmcnt(0)
	v_cmp_ne_u16_e64 s[2:3], v23, v5
	v_cndmask_b32_e64 v5, 0, 1, s[2:3]
	s_and_b64 vcc, vcc, s[0:1]
	v_cndmask_b32_e32 v5, v5, v21, vcc
	v_and_b32_e32 v5, 1, v5
	v_cmp_eq_u32_e32 vcc, 1, v5
	s_and_saveexec_b64 s[0:1], vcc
	s_cbranch_execz .LBB82_35
; %bb.34:
	ds_write_b32 v4, v3
	ds_write_b32 v6, v2 offset:4
	ds_write_b8 v7, v23 offset:4096
	ds_write_b8 v8, v22 offset:4097
.LBB82_35:
	s_or_b64 exec, exec, s[0:1]
	v_and_b32_e32 v3, 31, v0
	v_sub_u32_e32 v23, v1, v3
	v_add_u32_e32 v21, 4, v23
	v_lshl_add_u32 v22, v23, 2, 4
	v_mad_i32_i24 v5, v23, 3, v21
	s_waitcnt lgkmcnt(0)
	s_barrier
	ds_read_b32 v3, v22
	ds_read_b32 v24, v5 offset:128
	ds_read_u8 v5, v21 offset:4096
	ds_read_u8 v25, v21 offset:4128
	v_bfe_u32 v26, v0, 5, 1
	v_and_b32_e32 v2, 32, v0
	s_waitcnt lgkmcnt(2)
	v_cmp_lt_i32_e64 s[0:1], v3, v24
	s_waitcnt lgkmcnt(1)
	v_and_b32_e32 v27, 1, v5
	v_cmp_eq_u32_e64 s[2:3], 1, v27
	s_waitcnt lgkmcnt(0)
	v_cmp_ne_u16_e64 s[6:7], v25, v26
	v_cndmask_b32_e64 v27, 0, 1, s[6:7]
	s_and_b64 s[0:1], s[0:1], s[2:3]
	v_cndmask_b32_e64 v26, v27, v26, s[0:1]
	v_mul_i32_i24_e32 v23, 3, v23
	v_and_b32_e32 v26, 1, v26
	v_cmp_ne_u32_e32 vcc, 0, v2
	v_cmp_eq_u32_e64 s[0:1], 1, v26
	v_add_u32_e32 v23, v21, v23
	s_and_saveexec_b64 s[2:3], s[0:1]
	s_cbranch_execz .LBB82_37
; %bb.36:
	ds_write_b32 v22, v24
	ds_write_b32 v23, v3 offset:128
	ds_write_b8 v21, v25 offset:4096
	ds_write_b8 v21, v5 offset:4128
.LBB82_37:
	s_or_b64 exec, exec, s[2:3]
	s_waitcnt lgkmcnt(0)
	s_barrier
	ds_read_b32 v3, v19
	ds_read_b32 v26, v20 offset:64
	ds_read_u8 v25, v18 offset:4096
	ds_read_u8 v27, v18 offset:4112
	v_lshrrev_b32_e32 v5, 5, v2
	v_cndmask_b32_e64 v24, 0, 1, vcc
	s_waitcnt lgkmcnt(2)
	v_cmp_lt_i32_e64 s[0:1], v3, v26
	s_waitcnt lgkmcnt(1)
	v_and_b32_e32 v2, 1, v25
	v_cmp_eq_u32_e64 s[2:3], 1, v2
	s_waitcnt lgkmcnt(0)
	v_cmp_ne_u16_e64 s[6:7], v27, v5
	v_cndmask_b32_e64 v2, 0, 1, s[6:7]
	s_and_b64 vcc, s[0:1], s[2:3]
	v_cndmask_b32_e32 v2, v2, v24, vcc
	v_and_b32_e32 v2, 1, v2
	v_cmp_eq_u32_e32 vcc, 1, v2
	s_and_saveexec_b64 s[0:1], vcc
	s_cbranch_execz .LBB82_39
; %bb.38:
	ds_write_b32 v19, v26
	ds_write_b32 v20, v3 offset:64
	ds_write_b8 v18, v27 offset:4096
	ds_write_b8 v18, v25 offset:4112
.LBB82_39:
	s_or_b64 exec, exec, s[0:1]
	s_waitcnt lgkmcnt(0)
	s_barrier
	ds_read_b32 v2, v16
	ds_read_b32 v25, v17 offset:32
	ds_read_u8 v3, v15 offset:4096
	ds_read_u8 v26, v15 offset:4104
	s_waitcnt lgkmcnt(2)
	v_cmp_lt_i32_e32 vcc, v2, v25
	s_waitcnt lgkmcnt(1)
	v_and_b32_e32 v27, 1, v3
	v_cmp_eq_u32_e64 s[0:1], 1, v27
	s_waitcnt lgkmcnt(0)
	v_cmp_ne_u16_e64 s[2:3], v26, v5
	v_cndmask_b32_e64 v27, 0, 1, s[2:3]
	s_and_b64 vcc, vcc, s[0:1]
	v_cndmask_b32_e32 v27, v27, v24, vcc
	v_and_b32_e32 v27, 1, v27
	v_cmp_eq_u32_e32 vcc, 1, v27
	s_and_saveexec_b64 s[0:1], vcc
	s_cbranch_execz .LBB82_41
; %bb.40:
	ds_write_b32 v16, v25
	ds_write_b32 v17, v2 offset:32
	ds_write_b8 v15, v26 offset:4096
	ds_write_b8 v15, v3 offset:4104
.LBB82_41:
	s_or_b64 exec, exec, s[0:1]
	s_waitcnt lgkmcnt(0)
	s_barrier
	ds_read_b32 v2, v13
	ds_read_b32 v25, v14 offset:16
	ds_read_u8 v3, v12 offset:4096
	ds_read_u8 v26, v12 offset:4100
	s_waitcnt lgkmcnt(2)
	v_cmp_lt_i32_e32 vcc, v2, v25
	s_waitcnt lgkmcnt(1)
	v_and_b32_e32 v27, 1, v3
	v_cmp_eq_u32_e64 s[0:1], 1, v27
	s_waitcnt lgkmcnt(0)
	v_cmp_ne_u16_e64 s[2:3], v26, v5
	v_cndmask_b32_e64 v27, 0, 1, s[2:3]
	s_and_b64 vcc, vcc, s[0:1]
	;; [unrolled: 27-line block ×3, first 2 shown]
	v_cndmask_b32_e32 v27, v27, v24, vcc
	v_and_b32_e32 v27, 1, v27
	v_cmp_eq_u32_e32 vcc, 1, v27
	s_and_saveexec_b64 s[0:1], vcc
	s_cbranch_execz .LBB82_45
; %bb.44:
	ds_write_b32 v10, v25
	ds_write_b32 v11, v2 offset:8
	ds_write_b8 v9, v26 offset:4096
	ds_write_b8 v9, v3 offset:4098
.LBB82_45:
	s_or_b64 exec, exec, s[0:1]
	s_waitcnt lgkmcnt(0)
	s_barrier
	ds_read2_b32 v[2:3], v4 offset1:1
	ds_read_u8 v25, v7 offset:4096
	ds_read_u8 v26, v8 offset:4097
	s_waitcnt lgkmcnt(2)
	v_cmp_lt_i32_e32 vcc, v2, v3
	s_waitcnt lgkmcnt(1)
	v_and_b32_e32 v27, 1, v25
	v_cmp_eq_u32_e64 s[0:1], 1, v27
	s_waitcnt lgkmcnt(0)
	v_cmp_ne_u16_e64 s[2:3], v26, v5
	v_cndmask_b32_e64 v5, 0, 1, s[2:3]
	s_and_b64 vcc, vcc, s[0:1]
	v_cndmask_b32_e32 v5, v5, v24, vcc
	v_and_b32_e32 v5, 1, v5
	v_cmp_eq_u32_e32 vcc, 1, v5
	s_and_saveexec_b64 s[0:1], vcc
	s_cbranch_execz .LBB82_47
; %bb.46:
	ds_write_b32 v4, v3
	ds_write_b32 v6, v2 offset:4
	ds_write_b8 v7, v26 offset:4096
	ds_write_b8 v8, v25 offset:4097
.LBB82_47:
	s_or_b64 exec, exec, s[0:1]
	v_and_b32_e32 v5, 63, v0
	v_sub_u32_e32 v26, v1, v5
	v_add_u32_e32 v24, 4, v26
	v_lshl_add_u32 v25, v26, 2, 4
	v_mad_i32_i24 v27, v26, 3, v24
	s_waitcnt lgkmcnt(0)
	s_barrier
	ds_read_b32 v3, v25
	ds_read_b32 v28, v27 offset:256
	ds_read_u8 v27, v24 offset:4096
	ds_read_u8 v29, v24 offset:4160
	v_bfe_u32 v30, v0, 6, 1
	v_and_b32_e32 v2, 64, v0
	s_waitcnt lgkmcnt(2)
	v_cmp_lt_i32_e64 s[0:1], v3, v28
	s_waitcnt lgkmcnt(1)
	v_and_b32_e32 v31, 1, v27
	v_cmp_eq_u32_e64 s[2:3], 1, v31
	s_waitcnt lgkmcnt(0)
	v_cmp_ne_u16_e64 s[6:7], v29, v30
	v_cndmask_b32_e64 v31, 0, 1, s[6:7]
	s_and_b64 s[0:1], s[0:1], s[2:3]
	v_cndmask_b32_e64 v30, v31, v30, s[0:1]
	v_mul_i32_i24_e32 v26, 3, v26
	v_and_b32_e32 v30, 1, v30
	v_cmp_ne_u32_e32 vcc, 0, v2
	v_cmp_eq_u32_e64 s[0:1], 1, v30
	v_add_u32_e32 v26, v24, v26
	s_and_saveexec_b64 s[2:3], s[0:1]
	s_cbranch_execz .LBB82_49
; %bb.48:
	ds_write_b32 v25, v28
	ds_write_b32 v26, v3 offset:256
	ds_write_b8 v24, v29 offset:4096
	ds_write_b8 v24, v27 offset:4160
.LBB82_49:
	s_or_b64 exec, exec, s[2:3]
	s_waitcnt lgkmcnt(0)
	s_barrier
	ds_read_b32 v3, v22
	ds_read_b32 v30, v23 offset:128
	ds_read_u8 v29, v21 offset:4096
	ds_read_u8 v31, v21 offset:4128
	v_lshrrev_b32_e32 v27, 6, v2
	v_cndmask_b32_e64 v28, 0, 1, vcc
	s_waitcnt lgkmcnt(2)
	v_cmp_lt_i32_e64 s[0:1], v3, v30
	s_waitcnt lgkmcnt(1)
	v_and_b32_e32 v2, 1, v29
	v_cmp_eq_u32_e64 s[2:3], 1, v2
	s_waitcnt lgkmcnt(0)
	v_cmp_ne_u16_e64 s[6:7], v31, v27
	v_cndmask_b32_e64 v2, 0, 1, s[6:7]
	s_and_b64 vcc, s[0:1], s[2:3]
	v_cndmask_b32_e32 v2, v2, v28, vcc
	v_and_b32_e32 v2, 1, v2
	v_cmp_eq_u32_e32 vcc, 1, v2
	s_and_saveexec_b64 s[0:1], vcc
	s_cbranch_execz .LBB82_51
; %bb.50:
	ds_write_b32 v22, v30
	ds_write_b32 v23, v3 offset:128
	ds_write_b8 v21, v31 offset:4096
	ds_write_b8 v21, v29 offset:4128
.LBB82_51:
	s_or_b64 exec, exec, s[0:1]
	s_waitcnt lgkmcnt(0)
	s_barrier
	ds_read_b32 v2, v19
	ds_read_b32 v29, v20 offset:64
	ds_read_u8 v3, v18 offset:4096
	ds_read_u8 v30, v18 offset:4112
	s_waitcnt lgkmcnt(2)
	v_cmp_lt_i32_e32 vcc, v2, v29
	s_waitcnt lgkmcnt(1)
	v_and_b32_e32 v31, 1, v3
	v_cmp_eq_u32_e64 s[0:1], 1, v31
	s_waitcnt lgkmcnt(0)
	v_cmp_ne_u16_e64 s[2:3], v30, v27
	v_cndmask_b32_e64 v31, 0, 1, s[2:3]
	s_and_b64 vcc, vcc, s[0:1]
	v_cndmask_b32_e32 v31, v31, v28, vcc
	v_and_b32_e32 v31, 1, v31
	v_cmp_eq_u32_e32 vcc, 1, v31
	s_and_saveexec_b64 s[0:1], vcc
	s_cbranch_execz .LBB82_53
; %bb.52:
	ds_write_b32 v19, v29
	ds_write_b32 v20, v2 offset:64
	ds_write_b8 v18, v30 offset:4096
	ds_write_b8 v18, v3 offset:4112
.LBB82_53:
	s_or_b64 exec, exec, s[0:1]
	s_waitcnt lgkmcnt(0)
	s_barrier
	ds_read_b32 v2, v16
	ds_read_b32 v29, v17 offset:32
	ds_read_u8 v3, v15 offset:4096
	ds_read_u8 v30, v15 offset:4104
	s_waitcnt lgkmcnt(2)
	v_cmp_lt_i32_e32 vcc, v2, v29
	s_waitcnt lgkmcnt(1)
	v_and_b32_e32 v31, 1, v3
	v_cmp_eq_u32_e64 s[0:1], 1, v31
	s_waitcnt lgkmcnt(0)
	v_cmp_ne_u16_e64 s[2:3], v30, v27
	v_cndmask_b32_e64 v31, 0, 1, s[2:3]
	s_and_b64 vcc, vcc, s[0:1]
	;; [unrolled: 27-line block ×4, first 2 shown]
	v_cndmask_b32_e32 v31, v31, v28, vcc
	v_and_b32_e32 v31, 1, v31
	v_cmp_eq_u32_e32 vcc, 1, v31
	s_and_saveexec_b64 s[0:1], vcc
	s_cbranch_execz .LBB82_59
; %bb.58:
	ds_write_b32 v10, v29
	ds_write_b32 v11, v2 offset:8
	ds_write_b8 v9, v30 offset:4096
	ds_write_b8 v9, v3 offset:4098
.LBB82_59:
	s_or_b64 exec, exec, s[0:1]
	s_waitcnt lgkmcnt(0)
	s_barrier
	ds_read2_b32 v[2:3], v4 offset1:1
	ds_read_u8 v29, v7 offset:4096
	ds_read_u8 v30, v8 offset:4097
	s_waitcnt lgkmcnt(2)
	v_cmp_lt_i32_e32 vcc, v2, v3
	s_waitcnt lgkmcnt(1)
	v_and_b32_e32 v31, 1, v29
	v_cmp_eq_u32_e64 s[0:1], 1, v31
	s_waitcnt lgkmcnt(0)
	v_cmp_ne_u16_e64 s[2:3], v30, v27
	v_cndmask_b32_e64 v27, 0, 1, s[2:3]
	s_and_b64 vcc, vcc, s[0:1]
	v_cndmask_b32_e32 v27, v27, v28, vcc
	v_and_b32_e32 v27, 1, v27
	v_cmp_eq_u32_e32 vcc, 1, v27
	s_and_saveexec_b64 s[0:1], vcc
	s_cbranch_execz .LBB82_61
; %bb.60:
	ds_write_b32 v4, v3
	ds_write_b32 v6, v2 offset:4
	ds_write_b8 v7, v30 offset:4096
	ds_write_b8 v8, v29 offset:4097
.LBB82_61:
	s_or_b64 exec, exec, s[0:1]
	v_and_b32_e32 v2, 0x80, v0
	v_cmp_ne_u32_e32 vcc, 0, v2
	v_and_b32_e32 v2, 0x7f, v0
	v_sub_u32_e32 v33, v1, v2
	v_add_u32_e32 v27, 4, v33
	v_lshl_add_u32 v28, v33, 2, 4
	v_mad_i32_i24 v3, v33, 3, v27
	s_waitcnt lgkmcnt(0)
	s_barrier
	ds_read_b32 v2, v28
	ds_read_b32 v31, v3 offset:512
	ds_read_u8 v3, v27 offset:4096
	ds_read_u8 v32, v27 offset:4224
	v_lshrrev_b32_e32 v29, 7, v0
	v_and_b32_e32 v30, 1, v29
	s_waitcnt lgkmcnt(2)
	v_cmp_lt_i32_e64 s[0:1], v2, v31
	s_waitcnt lgkmcnt(1)
	v_and_b32_e32 v34, 1, v3
	v_cmp_eq_u32_e64 s[2:3], 1, v34
	s_waitcnt lgkmcnt(0)
	v_cmp_ne_u16_e64 s[6:7], v32, v30
	v_cndmask_b32_e64 v34, 0, 1, s[6:7]
	s_and_b64 s[0:1], s[0:1], s[2:3]
	v_cndmask_b32_e64 v29, v34, v29, s[0:1]
	v_mul_i32_i24_e32 v33, 3, v33
	v_and_b32_e32 v29, 1, v29
	v_cmp_eq_u32_e64 s[0:1], 1, v29
	v_add_u32_e32 v29, v27, v33
	s_and_saveexec_b64 s[2:3], s[0:1]
	s_cbranch_execz .LBB82_63
; %bb.62:
	ds_write_b32 v28, v31
	ds_write_b32 v29, v2 offset:512
	ds_write_b8 v27, v32 offset:4096
	ds_write_b8 v27, v3 offset:4224
.LBB82_63:
	s_or_b64 exec, exec, s[2:3]
	s_waitcnt lgkmcnt(0)
	s_barrier
	ds_read_b32 v2, v25
	ds_read_b32 v32, v26 offset:256
	ds_read_u8 v3, v24 offset:4096
	ds_read_u8 v33, v24 offset:4160
	s_waitcnt lgkmcnt(2)
	v_cmp_lt_i32_e64 s[0:1], v2, v32
	s_waitcnt lgkmcnt(1)
	v_and_b32_e32 v31, 1, v3
	v_cmp_eq_u32_e64 s[2:3], 1, v31
	s_waitcnt lgkmcnt(0)
	v_cmp_ne_u16_e64 s[6:7], v33, v30
	v_cndmask_b32_e64 v34, 0, 1, s[6:7]
	v_cndmask_b32_e64 v31, 0, 1, vcc
	s_and_b64 vcc, s[0:1], s[2:3]
	v_cndmask_b32_e32 v34, v34, v31, vcc
	v_and_b32_e32 v34, 1, v34
	v_cmp_eq_u32_e32 vcc, 1, v34
	s_and_saveexec_b64 s[0:1], vcc
	s_cbranch_execz .LBB82_65
; %bb.64:
	ds_write_b32 v25, v32
	ds_write_b32 v26, v2 offset:256
	ds_write_b8 v24, v33 offset:4096
	ds_write_b8 v24, v3 offset:4160
.LBB82_65:
	s_or_b64 exec, exec, s[0:1]
	s_waitcnt lgkmcnt(0)
	s_barrier
	ds_read_b32 v2, v22
	ds_read_b32 v32, v23 offset:128
	ds_read_u8 v3, v21 offset:4096
	ds_read_u8 v33, v21 offset:4128
	s_waitcnt lgkmcnt(2)
	v_cmp_lt_i32_e32 vcc, v2, v32
	s_waitcnt lgkmcnt(1)
	v_and_b32_e32 v34, 1, v3
	v_cmp_eq_u32_e64 s[0:1], 1, v34
	s_waitcnt lgkmcnt(0)
	v_cmp_ne_u16_e64 s[2:3], v33, v30
	v_cndmask_b32_e64 v34, 0, 1, s[2:3]
	s_and_b64 vcc, vcc, s[0:1]
	v_cndmask_b32_e32 v34, v34, v31, vcc
	v_and_b32_e32 v34, 1, v34
	v_cmp_eq_u32_e32 vcc, 1, v34
	s_and_saveexec_b64 s[0:1], vcc
	s_cbranch_execz .LBB82_67
; %bb.66:
	ds_write_b32 v22, v32
	ds_write_b32 v23, v2 offset:128
	ds_write_b8 v21, v33 offset:4096
	ds_write_b8 v21, v3 offset:4128
.LBB82_67:
	s_or_b64 exec, exec, s[0:1]
	s_waitcnt lgkmcnt(0)
	s_barrier
	ds_read_b32 v2, v19
	ds_read_b32 v32, v20 offset:64
	ds_read_u8 v3, v18 offset:4096
	ds_read_u8 v33, v18 offset:4112
	s_waitcnt lgkmcnt(2)
	v_cmp_lt_i32_e32 vcc, v2, v32
	s_waitcnt lgkmcnt(1)
	v_and_b32_e32 v34, 1, v3
	v_cmp_eq_u32_e64 s[0:1], 1, v34
	s_waitcnt lgkmcnt(0)
	v_cmp_ne_u16_e64 s[2:3], v33, v30
	v_cndmask_b32_e64 v34, 0, 1, s[2:3]
	s_and_b64 vcc, vcc, s[0:1]
	;; [unrolled: 27-line block ×5, first 2 shown]
	v_cndmask_b32_e32 v34, v34, v31, vcc
	v_and_b32_e32 v34, 1, v34
	v_cmp_eq_u32_e32 vcc, 1, v34
	s_and_saveexec_b64 s[0:1], vcc
	s_cbranch_execz .LBB82_75
; %bb.74:
	ds_write_b32 v10, v32
	ds_write_b32 v11, v2 offset:8
	ds_write_b8 v9, v33 offset:4096
	ds_write_b8 v9, v3 offset:4098
.LBB82_75:
	s_or_b64 exec, exec, s[0:1]
	s_waitcnt lgkmcnt(0)
	s_barrier
	ds_read2_b32 v[2:3], v4 offset1:1
	ds_read_u8 v32, v7 offset:4096
	ds_read_u8 v33, v8 offset:4097
	s_waitcnt lgkmcnt(2)
	v_cmp_lt_i32_e32 vcc, v2, v3
	s_waitcnt lgkmcnt(1)
	v_and_b32_e32 v34, 1, v32
	v_cmp_eq_u32_e64 s[0:1], 1, v34
	s_waitcnt lgkmcnt(0)
	v_cmp_ne_u16_e64 s[2:3], v33, v30
	v_cndmask_b32_e64 v30, 0, 1, s[2:3]
	s_and_b64 vcc, vcc, s[0:1]
	v_cndmask_b32_e32 v30, v30, v31, vcc
	v_and_b32_e32 v30, 1, v30
	v_cmp_eq_u32_e32 vcc, 1, v30
	s_and_saveexec_b64 s[0:1], vcc
	s_cbranch_execz .LBB82_77
; %bb.76:
	ds_write_b32 v4, v3
	ds_write_b32 v6, v2 offset:4
	ds_write_b8 v7, v33 offset:4096
	ds_write_b8 v8, v32 offset:4097
.LBB82_77:
	s_or_b64 exec, exec, s[0:1]
	v_sub_u32_sdwa v32, v1, v0 dst_sel:DWORD dst_unused:UNUSED_PAD src0_sel:DWORD src1_sel:BYTE_0
	v_add_u32_e32 v30, 4, v32
	v_and_b32_e32 v3, 0x100, v0
	v_lshl_add_u32 v31, v32, 2, 4
	v_mad_i32_i24 v33, v32, 3, v30
	v_cmp_ne_u32_e32 vcc, 0, v3
	s_waitcnt lgkmcnt(0)
	s_barrier
	ds_read_b32 v3, v31
	ds_read_b32 v34, v33 offset:1024
	ds_read_u8 v33, v30 offset:4096
	ds_read_u8 v35, v30 offset:4352
	v_bfe_u32 v36, v0, 8, 1
	v_mul_i32_i24_e32 v32, 3, v32
	s_waitcnt lgkmcnt(2)
	v_cmp_lt_i32_e64 s[0:1], v3, v34
	s_waitcnt lgkmcnt(1)
	v_and_b32_e32 v37, 1, v33
	v_cmp_eq_u32_e64 s[2:3], 1, v37
	s_waitcnt lgkmcnt(0)
	v_cmp_ne_u16_e64 s[6:7], v35, v36
	v_cndmask_b32_e64 v37, 0, 1, s[6:7]
	s_and_b64 s[0:1], s[0:1], s[2:3]
	v_cndmask_b32_e64 v36, v37, v36, s[0:1]
	v_and_b32_e32 v36, 1, v36
	v_and_b32_e32 v2, 0x100, v0
	v_cmp_eq_u32_e64 s[0:1], 1, v36
	v_add_u32_e32 v32, v30, v32
	s_and_saveexec_b64 s[2:3], s[0:1]
	s_cbranch_execz .LBB82_79
; %bb.78:
	ds_write_b32 v31, v34
	ds_write_b32 v32, v3 offset:1024
	ds_write_b8 v30, v35 offset:4096
	ds_write_b8 v30, v33 offset:4352
.LBB82_79:
	s_or_b64 exec, exec, s[2:3]
	s_waitcnt lgkmcnt(0)
	s_barrier
	ds_read_b32 v3, v28
	ds_read_b32 v36, v29 offset:512
	ds_read_u8 v35, v27 offset:4096
	ds_read_u8 v37, v27 offset:4224
	v_lshrrev_b32_e32 v33, 8, v2
	v_cndmask_b32_e64 v34, 0, 1, vcc
	s_waitcnt lgkmcnt(2)
	v_cmp_lt_i32_e64 s[0:1], v3, v36
	s_waitcnt lgkmcnt(1)
	v_and_b32_e32 v2, 1, v35
	v_cmp_eq_u32_e64 s[2:3], 1, v2
	s_waitcnt lgkmcnt(0)
	v_cmp_ne_u16_e64 s[6:7], v37, v33
	v_cndmask_b32_e64 v2, 0, 1, s[6:7]
	s_and_b64 vcc, s[0:1], s[2:3]
	v_cndmask_b32_e32 v2, v2, v34, vcc
	v_and_b32_e32 v2, 1, v2
	v_cmp_eq_u32_e32 vcc, 1, v2
	s_and_saveexec_b64 s[0:1], vcc
	s_cbranch_execz .LBB82_81
; %bb.80:
	ds_write_b32 v28, v36
	ds_write_b32 v29, v3 offset:512
	ds_write_b8 v27, v37 offset:4096
	ds_write_b8 v27, v35 offset:4224
.LBB82_81:
	s_or_b64 exec, exec, s[0:1]
	s_waitcnt lgkmcnt(0)
	s_barrier
	ds_read_b32 v2, v25
	ds_read_b32 v35, v26 offset:256
	ds_read_u8 v3, v24 offset:4096
	ds_read_u8 v36, v24 offset:4160
	s_waitcnt lgkmcnt(2)
	v_cmp_lt_i32_e32 vcc, v2, v35
	s_waitcnt lgkmcnt(1)
	v_and_b32_e32 v37, 1, v3
	v_cmp_eq_u32_e64 s[0:1], 1, v37
	s_waitcnt lgkmcnt(0)
	v_cmp_ne_u16_e64 s[2:3], v36, v33
	v_cndmask_b32_e64 v37, 0, 1, s[2:3]
	s_and_b64 vcc, vcc, s[0:1]
	v_cndmask_b32_e32 v37, v37, v34, vcc
	v_and_b32_e32 v37, 1, v37
	v_cmp_eq_u32_e32 vcc, 1, v37
	s_and_saveexec_b64 s[0:1], vcc
	s_cbranch_execz .LBB82_83
; %bb.82:
	ds_write_b32 v25, v35
	ds_write_b32 v26, v2 offset:256
	ds_write_b8 v24, v36 offset:4096
	ds_write_b8 v24, v3 offset:4160
.LBB82_83:
	s_or_b64 exec, exec, s[0:1]
	s_waitcnt lgkmcnt(0)
	s_barrier
	ds_read_b32 v2, v22
	ds_read_b32 v35, v23 offset:128
	ds_read_u8 v3, v21 offset:4096
	ds_read_u8 v36, v21 offset:4128
	s_waitcnt lgkmcnt(2)
	v_cmp_lt_i32_e32 vcc, v2, v35
	s_waitcnt lgkmcnt(1)
	v_and_b32_e32 v37, 1, v3
	v_cmp_eq_u32_e64 s[0:1], 1, v37
	s_waitcnt lgkmcnt(0)
	v_cmp_ne_u16_e64 s[2:3], v36, v33
	v_cndmask_b32_e64 v37, 0, 1, s[2:3]
	s_and_b64 vcc, vcc, s[0:1]
	;; [unrolled: 27-line block ×6, first 2 shown]
	v_cndmask_b32_e32 v37, v37, v34, vcc
	v_and_b32_e32 v37, 1, v37
	v_cmp_eq_u32_e32 vcc, 1, v37
	s_and_saveexec_b64 s[0:1], vcc
	s_cbranch_execz .LBB82_93
; %bb.92:
	ds_write_b32 v10, v35
	ds_write_b32 v11, v2 offset:8
	ds_write_b8 v9, v36 offset:4096
	ds_write_b8 v9, v3 offset:4098
.LBB82_93:
	s_or_b64 exec, exec, s[0:1]
	s_waitcnt lgkmcnt(0)
	s_barrier
	ds_read2_b32 v[2:3], v4 offset1:1
	ds_read_u8 v35, v7 offset:4096
	ds_read_u8 v36, v8 offset:4097
	s_waitcnt lgkmcnt(2)
	v_cmp_lt_i32_e32 vcc, v2, v3
	s_waitcnt lgkmcnt(1)
	v_and_b32_e32 v37, 1, v35
	v_cmp_eq_u32_e64 s[0:1], 1, v37
	s_waitcnt lgkmcnt(0)
	v_cmp_ne_u16_e64 s[2:3], v36, v33
	v_cndmask_b32_e64 v33, 0, 1, s[2:3]
	s_and_b64 vcc, vcc, s[0:1]
	v_cndmask_b32_e32 v33, v33, v34, vcc
	v_and_b32_e32 v33, 1, v33
	v_cmp_eq_u32_e32 vcc, 1, v33
	s_and_saveexec_b64 s[0:1], vcc
	s_cbranch_execz .LBB82_95
; %bb.94:
	ds_write_b32 v4, v3
	ds_write_b32 v6, v2 offset:4
	ds_write_b8 v7, v36 offset:4096
	ds_write_b8 v8, v35 offset:4097
.LBB82_95:
	s_or_b64 exec, exec, s[0:1]
	v_and_b32_e32 v2, 0x1ff, v0
	v_sub_u32_e32 v34, v1, v2
	v_lshl_add_u32 v33, v34, 2, 4
	v_add_u32_e32 v3, 4, v34
	s_waitcnt lgkmcnt(0)
	s_barrier
	v_mad_i32_i24 v2, v34, 3, v3
	ds_read_b32 v35, v33
	ds_read_b32 v37, v2 offset:2048
	ds_read_u8 v36, v3 offset:4096
	ds_read_u8 v38, v3 offset:4608
	s_waitcnt lgkmcnt(2)
	v_cmp_ge_i32_e32 vcc, v35, v37
	s_waitcnt lgkmcnt(1)
	v_and_b32_e32 v2, 1, v36
	v_cmp_eq_u32_e64 s[0:1], 1, v2
	s_xor_b64 s[0:1], s[0:1], -1
	v_mov_b32_e32 v2, 0
	s_or_b64 s[0:1], vcc, s[0:1]
	s_waitcnt lgkmcnt(0)
	v_cmp_ne_u16_sdwa s[2:3], v38, v2 src0_sel:BYTE_0 src1_sel:DWORD
	s_and_b64 s[2:3], s[0:1], s[2:3]
	s_and_saveexec_b64 s[0:1], s[2:3]
	s_cbranch_execz .LBB82_97
; %bb.96:
	v_mul_i32_i24_e32 v34, 3, v34
	ds_write_b32 v33, v37
	v_add_u32_e32 v33, v3, v34
	ds_write_b32 v33, v35 offset:2048
	v_mov_b32_e32 v33, 1
	ds_write_b8 v3, v33 offset:4096
	ds_write_b8 v3, v36 offset:4608
.LBB82_97:
	s_or_b64 exec, exec, s[0:1]
	s_waitcnt lgkmcnt(0)
	s_barrier
	ds_read_b32 v3, v31
	ds_read_b32 v34, v32 offset:1024
	ds_read_u8 v33, v30 offset:4096
	ds_read_u8 v35, v30 offset:4352
	s_waitcnt lgkmcnt(2)
	v_cmp_ge_i32_e32 vcc, v3, v34
	s_waitcnt lgkmcnt(1)
	v_and_b32_e32 v36, 1, v33
	v_cmp_eq_u32_e64 s[0:1], 1, v36
	s_xor_b64 s[0:1], s[0:1], -1
	s_or_b64 s[0:1], vcc, s[0:1]
	s_waitcnt lgkmcnt(0)
	v_cmp_ne_u16_sdwa s[2:3], v35, v2 src0_sel:BYTE_0 src1_sel:DWORD
	s_and_b64 s[2:3], s[0:1], s[2:3]
	s_and_saveexec_b64 s[0:1], s[2:3]
	s_cbranch_execz .LBB82_99
; %bb.98:
	v_mov_b32_e32 v2, 1
	ds_write_b32 v31, v34
	ds_write_b32 v32, v3 offset:1024
	ds_write_b8 v30, v2 offset:4096
	ds_write_b8 v30, v33 offset:4352
.LBB82_99:
	s_or_b64 exec, exec, s[0:1]
	s_waitcnt lgkmcnt(0)
	s_barrier
	ds_read_b32 v3, v28
	ds_read_b32 v31, v29 offset:512
	ds_read_u8 v30, v27 offset:4096
	ds_read_u8 v32, v27 offset:4224
	s_waitcnt lgkmcnt(2)
	v_cmp_ge_i32_e32 vcc, v3, v31
	s_waitcnt lgkmcnt(1)
	v_and_b32_e32 v2, 1, v30
	v_cmp_eq_u32_e64 s[0:1], 1, v2
	s_xor_b64 s[0:1], s[0:1], -1
	v_mov_b32_e32 v2, 0
	s_or_b64 s[0:1], vcc, s[0:1]
	s_waitcnt lgkmcnt(0)
	v_cmp_ne_u16_sdwa s[2:3], v32, v2 src0_sel:BYTE_0 src1_sel:DWORD
	s_and_b64 s[2:3], s[0:1], s[2:3]
	s_and_saveexec_b64 s[0:1], s[2:3]
	s_cbranch_execz .LBB82_101
; %bb.100:
	ds_write_b32 v28, v31
	ds_write_b32 v29, v3 offset:512
	v_mov_b32_e32 v3, 1
	ds_write_b8 v27, v3 offset:4096
	ds_write_b8 v27, v30 offset:4224
.LBB82_101:
	s_or_b64 exec, exec, s[0:1]
	s_waitcnt lgkmcnt(0)
	s_barrier
	ds_read_b32 v3, v25
	ds_read_b32 v28, v26 offset:256
	ds_read_u8 v27, v24 offset:4096
	ds_read_u8 v29, v24 offset:4160
	s_waitcnt lgkmcnt(2)
	v_cmp_ge_i32_e32 vcc, v3, v28
	s_waitcnt lgkmcnt(1)
	v_and_b32_e32 v30, 1, v27
	v_cmp_eq_u32_e64 s[0:1], 1, v30
	s_xor_b64 s[0:1], s[0:1], -1
	s_or_b64 s[0:1], vcc, s[0:1]
	s_waitcnt lgkmcnt(0)
	v_cmp_ne_u16_sdwa s[2:3], v29, v2 src0_sel:BYTE_0 src1_sel:DWORD
	s_and_b64 s[2:3], s[0:1], s[2:3]
	s_and_saveexec_b64 s[0:1], s[2:3]
	s_cbranch_execz .LBB82_103
; %bb.102:
	v_mov_b32_e32 v2, 1
	ds_write_b32 v25, v28
	ds_write_b32 v26, v3 offset:256
	ds_write_b8 v24, v2 offset:4096
	ds_write_b8 v24, v27 offset:4160
.LBB82_103:
	s_or_b64 exec, exec, s[0:1]
	s_waitcnt lgkmcnt(0)
	s_barrier
	ds_read_b32 v3, v22
	ds_read_b32 v25, v23 offset:128
	ds_read_u8 v24, v21 offset:4096
	ds_read_u8 v26, v21 offset:4128
	s_waitcnt lgkmcnt(2)
	v_cmp_ge_i32_e32 vcc, v3, v25
	s_waitcnt lgkmcnt(1)
	v_and_b32_e32 v2, 1, v24
	v_cmp_eq_u32_e64 s[0:1], 1, v2
	s_xor_b64 s[0:1], s[0:1], -1
	v_mov_b32_e32 v2, 0
	s_or_b64 s[0:1], vcc, s[0:1]
	s_waitcnt lgkmcnt(0)
	v_cmp_ne_u16_sdwa s[2:3], v26, v2 src0_sel:BYTE_0 src1_sel:DWORD
	s_and_b64 s[2:3], s[0:1], s[2:3]
	s_and_saveexec_b64 s[0:1], s[2:3]
	s_cbranch_execz .LBB82_105
; %bb.104:
	ds_write_b32 v22, v25
	ds_write_b32 v23, v3 offset:128
	v_mov_b32_e32 v3, 1
	ds_write_b8 v21, v3 offset:4096
	ds_write_b8 v21, v24 offset:4128
.LBB82_105:
	;; [unrolled: 53-line block ×4, first 2 shown]
	s_or_b64 exec, exec, s[0:1]
	s_waitcnt lgkmcnt(0)
	s_barrier
	ds_read2_b32 v[2:3], v4 offset1:1
	ds_read_u8 v9, v7 offset:4096
	ds_read_u8 v10, v8 offset:4097
	s_waitcnt lgkmcnt(2)
	v_cmp_ge_i32_e32 vcc, v2, v3
	s_waitcnt lgkmcnt(1)
	v_and_b32_e32 v11, 1, v9
	v_cmp_eq_u32_e64 s[0:1], 1, v11
	s_xor_b64 s[0:1], s[0:1], -1
	s_or_b64 s[0:1], vcc, s[0:1]
	s_waitcnt lgkmcnt(0)
	v_cmp_ne_u16_sdwa s[2:3], v10, v12 src0_sel:BYTE_0 src1_sel:DWORD
	s_and_b64 s[2:3], s[0:1], s[2:3]
	s_and_saveexec_b64 s[0:1], s[2:3]
	s_cbranch_execz .LBB82_115
; %bb.114:
	ds_write_b32 v4, v3
	ds_write_b32 v6, v2 offset:4
	v_mov_b32_e32 v2, 1
	ds_write_b8 v7, v2 offset:4096
	ds_write_b8 v8, v9 offset:4097
.LBB82_115:
	s_or_b64 exec, exec, s[0:1]
	v_cmp_eq_u32_e32 vcc, 0, v0
	s_waitcnt lgkmcnt(0)
	s_barrier
	s_barrier
	s_and_saveexec_b64 s[0:1], vcc
	s_cbranch_execz .LBB82_117
; %bb.116:
	v_mov_b32_e32 v2, 1
	v_mov_b32_e32 v3, 4
	ds_write_b8 v3, v2 offset:4100
	v_mov_b32_e32 v2, 0
	ds_write_b32 v3, v2 offset:4096
.LBB82_117:
	s_or_b64 exec, exec, s[0:1]
	ds_read2_b32 v[2:3], v4 offset1:1
	v_lshl_add_u32 v4, v1, 3, 4
	s_waitcnt lgkmcnt(0)
	v_cmp_ne_u32_e64 s[0:1], v2, v3
	v_cndmask_b32_e64 v6, 0, 1, s[0:1]
	v_cmp_eq_u32_e64 s[0:1], v2, v3
	v_cndmask_b32_e64 v2, 0, 1, s[0:1]
	s_movk_i32 s0, 0x1ff
	v_cmp_gt_u32_e64 s[2:3], s0, v0
	ds_write_b8 v4, v6 offset:4108
	ds_write_b32 v4, v2 offset:4104
	s_and_saveexec_b64 s[6:7], s[2:3]
	s_cbranch_execz .LBB82_119
; %bb.118:
	v_lshlrev_b32_e32 v2, 3, v0
	v_sub_u32_e32 v2, v4, v2
	ds_read_b32 v2, v2 offset:8
	s_waitcnt lgkmcnt(0)
	v_cmp_ne_u32_e64 s[0:1], v3, v2
	v_cndmask_b32_e64 v6, 0, 1, s[0:1]
	v_cmp_eq_u32_e64 s[0:1], v3, v2
	v_cndmask_b32_e64 v2, 0, 1, s[0:1]
	ds_write_b8 v4, v6 offset:4116
	ds_write_b32 v4, v2 offset:4112
.LBB82_119:
	s_or_b64 exec, exec, s[6:7]
	s_movk_i32 s0, 0x200
	v_cmp_gt_u32_e64 s[0:1], s0, v0
	s_waitcnt lgkmcnt(0)
	s_barrier
	s_and_saveexec_b64 s[6:7], s[0:1]
	s_cbranch_execz .LBB82_121
; %bb.120:
	ds_read_u8 v6, v4 offset:4108
	v_add_u32_e32 v2, 0x1000, v4
	ds_read2_b32 v[2:3], v2 offset1:2
	ds_read_u8 v7, v4 offset:4100
	v_add_u32_e32 v8, 0x1008, v4
	s_waitcnt lgkmcnt(2)
	v_and_b32_e32 v9, 1, v6
	v_cmp_eq_u32_e64 s[0:1], 1, v9
	s_waitcnt lgkmcnt(1)
	v_cndmask_b32_e64 v2, v2, 0, s[0:1]
	v_add_u32_e32 v2, v2, v3
	s_waitcnt lgkmcnt(0)
	v_or_b32_e32 v3, v7, v6
	v_and_b32_e32 v3, 1, v3
	ds_write2_b32 v8, v2, v3 offset1:1
.LBB82_121:
	s_or_b64 exec, exec, s[6:7]
	v_add_u32_e32 v9, 2, v1
	v_lshlrev_b32_e32 v2, 1, v9
	s_movk_i32 s0, 0x100
	v_cmp_gt_u32_e64 s[0:1], s0, v0
	v_lshl_add_u32 v2, v2, 3, 4
	s_waitcnt lgkmcnt(0)
	s_barrier
	s_and_saveexec_b64 s[6:7], s[0:1]
	s_cbranch_execz .LBB82_123
; %bb.122:
	ds_read_u8 v3, v2 offset:4092
	v_add_u32_e32 v6, 0xc00, v2
	ds_read2_b32 v[6:7], v6 offset0:250 offset1:254
	ds_read_u8 v8, v2 offset:4076
	v_add_u32_e32 v10, 0xff8, v2
	s_waitcnt lgkmcnt(2)
	v_and_b32_e32 v11, 1, v3
	v_cmp_eq_u32_e64 s[0:1], 1, v11
	s_waitcnt lgkmcnt(1)
	v_cndmask_b32_e64 v6, v6, 0, s[0:1]
	s_waitcnt lgkmcnt(0)
	v_or_b32_e32 v3, v8, v3
	v_add_u32_e32 v6, v6, v7
	v_and_b32_e32 v3, 1, v3
	ds_write2_b32 v10, v6, v3 offset1:1
.LBB82_123:
	s_or_b64 exec, exec, s[6:7]
	v_lshlrev_b32_e32 v3, 2, v9
	s_movk_i32 s0, 0x80
	v_cmp_gt_u32_e64 s[0:1], s0, v0
	v_lshl_add_u32 v3, v3, 3, 4
	s_waitcnt lgkmcnt(0)
	s_barrier
	s_and_saveexec_b64 s[6:7], s[0:1]
	s_cbranch_execz .LBB82_125
; %bb.124:
	ds_read_u8 v8, v3 offset:4092
	v_add_u32_e32 v6, 0xc00, v3
	ds_read2_b32 v[6:7], v6 offset0:246 offset1:254
	ds_read_u8 v10, v3 offset:4060
	v_add_u32_e32 v11, 0xff8, v3
	s_waitcnt lgkmcnt(2)
	v_and_b32_e32 v12, 1, v8
	v_cmp_eq_u32_e64 s[0:1], 1, v12
	s_waitcnt lgkmcnt(1)
	v_cndmask_b32_e64 v6, v6, 0, s[0:1]
	v_add_u32_e32 v6, v6, v7
	s_waitcnt lgkmcnt(0)
	v_or_b32_e32 v7, v10, v8
	v_and_b32_e32 v7, 1, v7
	ds_write2_b32 v11, v6, v7 offset1:1
.LBB82_125:
	s_or_b64 exec, exec, s[6:7]
	v_lshlrev_b32_e32 v6, 3, v9
	v_cmp_gt_u32_e64 s[0:1], 64, v0
	v_lshl_add_u32 v6, v6, 3, 4
	s_waitcnt lgkmcnt(0)
	s_barrier
	s_and_saveexec_b64 s[8:9], s[0:1]
	s_cbranch_execz .LBB82_127
; %bb.126:
	ds_read_u8 v10, v6 offset:4092
	ds_read_u8 v12, v6 offset:4028
	v_add_u32_e32 v7, 0xc00, v6
	ds_read2_b32 v[7:8], v7 offset0:238 offset1:254
	v_add_u32_e32 v11, 0xff8, v6
	s_waitcnt lgkmcnt(2)
	v_and_b32_e32 v13, 1, v10
	v_cmp_eq_u32_e64 s[6:7], 1, v13
	s_waitcnt lgkmcnt(0)
	v_cndmask_b32_e64 v7, v7, 0, s[6:7]
	v_add_u32_e32 v7, v7, v8
	v_or_b32_e32 v8, v12, v10
	v_and_b32_e32 v8, 1, v8
	ds_write2_b32 v11, v7, v8 offset1:1
.LBB82_127:
	s_or_b64 exec, exec, s[8:9]
	v_lshlrev_b32_e32 v7, 4, v9
	v_cmp_gt_u32_e64 s[6:7], 32, v0
	v_lshl_add_u32 v7, v7, 3, 4
	s_waitcnt lgkmcnt(0)
	s_barrier
	s_and_saveexec_b64 s[8:9], s[6:7]
	s_cbranch_execz .LBB82_129
; %bb.128:
	ds_read_u8 v8, v7 offset:4092
	ds_read_u8 v13, v7 offset:3964
	v_add_u32_e32 v10, 0xc00, v7
	ds_read2_b32 v[10:11], v10 offset0:222 offset1:254
	v_add_u32_e32 v12, 0xff8, v7
	s_waitcnt lgkmcnt(2)
	v_and_b32_e32 v14, 1, v8
	v_cmp_eq_u32_e64 s[6:7], 1, v14
	s_waitcnt lgkmcnt(1)
	v_or_b32_e32 v8, v13, v8
	s_waitcnt lgkmcnt(0)
	v_cndmask_b32_e64 v10, v10, 0, s[6:7]
	v_add_u32_e32 v10, v10, v11
	v_and_b32_e32 v8, 1, v8
	ds_write2_b32 v12, v10, v8 offset1:1
.LBB82_129:
	s_or_b64 exec, exec, s[8:9]
	v_lshlrev_b32_e32 v8, 5, v9
	v_cmp_gt_u32_e64 s[6:7], 16, v0
	v_lshl_add_u32 v8, v8, 3, 4
	s_waitcnt lgkmcnt(0)
	s_barrier
	s_and_saveexec_b64 s[8:9], s[6:7]
	s_cbranch_execz .LBB82_131
; %bb.130:
	ds_read_u8 v12, v8 offset:4092
	ds_read_u8 v14, v8 offset:3836
	v_add_u32_e32 v10, 0xf8, v8
	ds_read2st64_b32 v[10:11], v10 offset0:14 offset1:15
	v_add_u32_e32 v13, 0xff8, v8
	s_waitcnt lgkmcnt(2)
	v_and_b32_e32 v15, 1, v12
	v_cmp_eq_u32_e64 s[6:7], 1, v15
	s_waitcnt lgkmcnt(0)
	v_cndmask_b32_e64 v10, v10, 0, s[6:7]
	v_add_u32_e32 v10, v10, v11
	v_or_b32_e32 v11, v14, v12
	v_and_b32_e32 v11, 1, v11
	ds_write2_b32 v13, v10, v11 offset1:1
.LBB82_131:
	s_or_b64 exec, exec, s[8:9]
	v_lshlrev_b32_e32 v10, 6, v9
	v_cmp_gt_u32_e64 s[6:7], 8, v0
	v_lshl_add_u32 v10, v10, 3, 4
	s_waitcnt lgkmcnt(0)
	s_barrier
	s_and_saveexec_b64 s[8:9], s[6:7]
	s_cbranch_execz .LBB82_133
; %bb.132:
	ds_read_u8 v13, v10 offset:4092
	ds_read_u8 v15, v10 offset:3580
	v_add_u32_e32 v11, 0xf8, v10
	ds_read2st64_b32 v[11:12], v11 offset0:13 offset1:15
	v_add_u32_e32 v14, 0xff8, v10
	s_waitcnt lgkmcnt(2)
	v_and_b32_e32 v16, 1, v13
	v_cmp_eq_u32_e64 s[6:7], 1, v16
	s_waitcnt lgkmcnt(0)
	v_cndmask_b32_e64 v11, v11, 0, s[6:7]
	v_add_u32_e32 v11, v11, v12
	v_or_b32_e32 v12, v15, v13
	v_and_b32_e32 v12, 1, v12
	ds_write2_b32 v14, v11, v12 offset1:1
.LBB82_133:
	;; [unrolled: 24-line block ×4, first 2 shown]
	s_or_b64 exec, exec, s[8:9]
	s_waitcnt lgkmcnt(0)
	s_barrier
	s_and_saveexec_b64 s[8:9], vcc
	s_cbranch_execz .LBB82_139
; %bb.138:
	v_mov_b32_e32 v12, 4
	ds_read_u8 v13, v12 offset:12284
	ds_read_b32 v14, v12 offset:8184
	ds_read_b32 v15, v12 offset:12280
	ds_read_u8 v12, v12 offset:8188
	s_add_i32 s10, 4, 0x2ff8
	s_waitcnt lgkmcnt(3)
	v_and_b32_e32 v16, 1, v13
	v_cmp_eq_u32_e64 s[6:7], 1, v16
	s_waitcnt lgkmcnt(2)
	v_cndmask_b32_e64 v14, v14, 0, s[6:7]
	s_waitcnt lgkmcnt(0)
	v_or_b32_e32 v12, v12, v13
	v_add_u32_e32 v14, v14, v15
	v_and_b32_e32 v12, 1, v12
	v_mov_b32_e32 v13, s10
	ds_write2_b32 v13, v14, v12 offset1:1
.LBB82_139:
	s_or_b64 exec, exec, s[8:9]
	s_waitcnt lgkmcnt(0)
	s_barrier
	s_and_saveexec_b64 s[8:9], vcc
	s_cbranch_execz .LBB82_141
; %bb.140:
	ds_read_u8 v14, v9 offset:6140
	v_add_u32_e32 v12, 0xf8, v9
	ds_read2st64_b32 v[12:13], v12 offset0:15 offset1:23
	v_add_u32_e32 v15, 0x17f8, v9
	ds_read_u8 v9, v9 offset:4092
	s_waitcnt lgkmcnt(2)
	v_and_b32_e32 v16, 1, v14
	v_cmp_eq_u32_e64 s[6:7], 1, v16
	s_waitcnt lgkmcnt(1)
	v_cndmask_b32_e64 v12, v12, 0, s[6:7]
	v_add_u32_e32 v12, v12, v13
	s_waitcnt lgkmcnt(0)
	v_or_b32_e32 v9, v9, v14
	v_and_b32_e32 v9, 1, v9
	ds_write2_b32 v15, v12, v9 offset1:1
.LBB82_141:
	s_or_b64 exec, exec, s[8:9]
	v_cmp_gt_u32_e64 s[6:7], 3, v0
	s_waitcnt lgkmcnt(0)
	s_barrier
	s_and_saveexec_b64 s[8:9], s[6:7]
	s_cbranch_execz .LBB82_143
; %bb.142:
	ds_read_u8 v9, v11 offset:5116
	v_add_u32_e32 v12, 0xf8, v11
	ds_read2st64_b32 v[12:13], v12 offset0:15 offset1:19
	v_add_u32_e32 v14, 0x13f8, v11
	ds_read_u8 v11, v11 offset:4092
	s_waitcnt lgkmcnt(2)
	v_and_b32_e32 v15, 1, v9
	v_cmp_eq_u32_e64 s[6:7], 1, v15
	s_waitcnt lgkmcnt(1)
	v_cndmask_b32_e64 v12, v12, 0, s[6:7]
	v_add_u32_e32 v12, v12, v13
	s_waitcnt lgkmcnt(0)
	v_or_b32_e32 v9, v11, v9
	v_and_b32_e32 v9, 1, v9
	ds_write2_b32 v14, v12, v9 offset1:1
.LBB82_143:
	s_or_b64 exec, exec, s[8:9]
	v_cmp_gt_u32_e64 s[6:7], 7, v0
	s_waitcnt lgkmcnt(0)
	s_barrier
	s_and_saveexec_b64 s[8:9], s[6:7]
	;; [unrolled: 23-line block ×4, first 2 shown]
	s_cbranch_execz .LBB82_149
; %bb.148:
	ds_read_u8 v10, v7 offset:4220
	v_add_u32_e32 v8, 0xe00, v7
	ds_read2_b32 v[8:9], v8 offset0:126 offset1:158
	v_add_u32_e32 v11, 0x1078, v7
	ds_read_u8 v7, v7 offset:4092
	s_waitcnt lgkmcnt(2)
	v_and_b32_e32 v12, 1, v10
	v_cmp_eq_u32_e64 s[6:7], 1, v12
	s_waitcnt lgkmcnt(1)
	v_cndmask_b32_e64 v8, v8, 0, s[6:7]
	v_add_u32_e32 v8, v8, v9
	s_waitcnt lgkmcnt(0)
	v_or_b32_e32 v7, v7, v10
	v_and_b32_e32 v7, 1, v7
	ds_write2_b32 v11, v8, v7 offset1:1
.LBB82_149:
	s_or_b64 exec, exec, s[8:9]
	v_cmp_gt_u32_e64 s[6:7], 63, v0
	s_waitcnt lgkmcnt(0)
	s_barrier
	s_and_saveexec_b64 s[8:9], s[6:7]
	s_cbranch_execz .LBB82_151
; %bb.150:
	ds_read_u8 v9, v6 offset:4156
	v_add_u32_e32 v7, 0xe00, v6
	ds_read2_b32 v[7:8], v7 offset0:126 offset1:142
	v_add_u32_e32 v10, 0x1038, v6
	ds_read_u8 v6, v6 offset:4092
	s_waitcnt lgkmcnt(2)
	v_and_b32_e32 v11, 1, v9
	v_cmp_eq_u32_e64 s[6:7], 1, v11
	s_waitcnt lgkmcnt(1)
	v_cndmask_b32_e64 v7, v7, 0, s[6:7]
	v_add_u32_e32 v7, v7, v8
	s_waitcnt lgkmcnt(0)
	v_or_b32_e32 v6, v6, v9
	v_and_b32_e32 v6, 1, v6
	ds_write2_b32 v10, v7, v6 offset1:1
.LBB82_151:
	s_or_b64 exec, exec, s[8:9]
	s_movk_i32 s6, 0x7f
	v_cmp_gt_u32_e64 s[6:7], s6, v0
	s_waitcnt lgkmcnt(0)
	s_barrier
	s_and_saveexec_b64 s[8:9], s[6:7]
	s_cbranch_execz .LBB82_153
; %bb.152:
	ds_read_u8 v8, v3 offset:4124
	v_add_u32_e32 v6, 0xe00, v3
	ds_read2_b32 v[6:7], v6 offset0:126 offset1:134
	ds_read_u8 v9, v3 offset:4092
	v_add_u32_e32 v3, 0x1018, v3
	s_waitcnt lgkmcnt(2)
	v_and_b32_e32 v10, 1, v8
	v_cmp_eq_u32_e64 s[6:7], 1, v10
	s_waitcnt lgkmcnt(1)
	v_cndmask_b32_e64 v6, v6, 0, s[6:7]
	v_add_u32_e32 v6, v6, v7
	s_waitcnt lgkmcnt(0)
	v_or_b32_e32 v7, v9, v8
	v_and_b32_e32 v7, 1, v7
	ds_write2_b32 v3, v6, v7 offset1:1
.LBB82_153:
	s_or_b64 exec, exec, s[8:9]
	s_movk_i32 s6, 0xff
	v_cmp_gt_u32_e64 s[6:7], s6, v0
	s_waitcnt lgkmcnt(0)
	s_barrier
	s_and_saveexec_b64 s[8:9], s[6:7]
	s_cbranch_execz .LBB82_155
; %bb.154:
	ds_read_u8 v3, v2 offset:4108
	v_add_u32_e32 v6, 0xe00, v2
	ds_read2_b32 v[6:7], v6 offset0:126 offset1:130
	ds_read_u8 v8, v2 offset:4092
	v_add_u32_e32 v2, 0x1008, v2
	s_waitcnt lgkmcnt(2)
	v_and_b32_e32 v9, 1, v3
	v_cmp_eq_u32_e64 s[6:7], 1, v9
	s_waitcnt lgkmcnt(1)
	v_cndmask_b32_e64 v6, v6, 0, s[6:7]
	s_waitcnt lgkmcnt(0)
	v_or_b32_e32 v3, v8, v3
	v_add_u32_e32 v6, v6, v7
	v_and_b32_e32 v3, 1, v3
	ds_write2_b32 v2, v6, v3 offset1:1
.LBB82_155:
	s_or_b64 exec, exec, s[8:9]
	s_waitcnt lgkmcnt(0)
	s_barrier
	s_and_saveexec_b64 s[6:7], s[2:3]
	s_cbranch_execz .LBB82_157
; %bb.156:
	ds_read_u8 v6, v4 offset:4116
	v_add_u32_e32 v2, 0x1000, v4
	ds_read2_b32 v[2:3], v2 offset0:2 offset1:4
	ds_read_u8 v7, v4 offset:4108
	v_add_u32_e32 v8, 0x1010, v4
	s_waitcnt lgkmcnt(2)
	v_and_b32_e32 v9, 1, v6
	v_cmp_eq_u32_e64 s[2:3], 1, v9
	s_waitcnt lgkmcnt(1)
	v_cndmask_b32_e64 v2, v2, 0, s[2:3]
	v_add_u32_e32 v2, v2, v3
	s_waitcnt lgkmcnt(0)
	v_or_b32_e32 v3, v7, v6
	v_and_b32_e32 v3, 1, v3
	ds_write2_b32 v8, v2, v3 offset1:1
.LBB82_157:
	s_or_b64 exec, exec, s[6:7]
	v_add_u32_e32 v2, 0x1000, v4
	s_waitcnt lgkmcnt(0)
	s_barrier
	ds_read2_b32 v[6:7], v2 offset1:2
	v_or_b32_e32 v3, 1, v1
	v_cmp_gt_u32_e64 s[2:3], s16, v1
	v_cmp_gt_u32_e64 s[6:7], s16, v3
	v_cndmask_b32_e64 v4, 0, v1, s[2:3]
	s_waitcnt lgkmcnt(0)
	v_cndmask_b32_e64 v2, 0, v6, s[2:3]
	v_mbcnt_lo_u32_b32 v6, -1, 0
	v_cndmask_b32_e64 v7, 0, v7, s[6:7]
	v_mbcnt_hi_u32_b32 v11, -1, v6
	v_mov_b32_e32 v6, 0x80
	v_cndmask_b32_e64 v8, 0, v3, s[6:7]
	v_max_u32_e32 v9, v7, v2
	v_lshl_or_b32 v6, v11, 2, v6
	v_cmp_gt_u32_e64 s[8:9], v7, v2
	ds_bpermute_b32 v10, v6, v9
	v_cndmask_b32_e64 v2, v4, v8, s[8:9]
	ds_bpermute_b32 v4, v6, v2
	v_and_b32_e32 v12, 63, v11
	v_cmp_gt_u32_e64 s[8:9], 48, v12
	v_cndmask_b32_e64 v7, 0, 16, s[8:9]
	s_waitcnt lgkmcnt(1)
	v_max_u32_e32 v13, v10, v9
	v_add_lshl_u32 v7, v7, v11, 2
	v_cmp_gt_u32_e64 s[8:9], v10, v9
	ds_bpermute_b32 v14, v7, v13
	s_waitcnt lgkmcnt(1)
	v_cndmask_b32_e64 v2, v2, v4, s[8:9]
	ds_bpermute_b32 v4, v7, v2
	v_cmp_gt_u32_e64 s[8:9], 56, v12
	v_cndmask_b32_e64 v8, 0, 8, s[8:9]
	s_waitcnt lgkmcnt(1)
	v_max_u32_e32 v10, v14, v13
	v_add_lshl_u32 v8, v8, v11, 2
	v_cmp_gt_u32_e64 s[8:9], v14, v13
	ds_bpermute_b32 v15, v8, v10
	s_waitcnt lgkmcnt(1)
	v_cndmask_b32_e64 v2, v2, v4, s[8:9]
	ds_bpermute_b32 v4, v8, v2
	;; [unrolled: 10-line block ×4, first 2 shown]
	s_waitcnt lgkmcnt(0)
	s_barrier
	v_cmp_gt_u32_e64 s[8:9], v16, v15
	v_max_u32_e32 v2, v16, v15
	v_cndmask_b32_e64 v4, v4, v13, s[8:9]
	v_cmp_ne_u32_e64 s[8:9], 63, v12
	v_addc_co_u32_e64 v11, s[8:9], 0, v11, s[8:9]
	v_lshlrev_b32_e32 v11, 2, v11
	ds_bpermute_b32 v12, v11, v4
	ds_bpermute_b32 v13, v11, v2
	v_cmp_eq_u32_e64 s[8:9], 0, v5
	s_waitcnt lgkmcnt(0)
	s_barrier
	s_and_saveexec_b64 s[12:13], s[8:9]
	s_cbranch_execz .LBB82_159
; %bb.158:
	v_lshrrev_b32_e32 v14, 3, v0
	v_add_u32_e32 v14, 4, v14
	v_cmp_gt_u32_e64 s[10:11], v13, v2
	v_add_u32_e32 v14, 0x1000, v14
	v_cndmask_b32_e64 v4, v4, v12, s[10:11]
	v_max_u32_e32 v2, v13, v2
	ds_write2_b32 v14, v2, v4 offset1:1
.LBB82_159:
	s_or_b64 exec, exec, s[12:13]
	s_lshr_b32 s10, s18, 6
	v_cmp_gt_u32_e64 s[10:11], s10, v0
	v_lshl_add_u32 v12, v5, 3, 4
	v_mov_b32_e32 v2, 0
	v_mov_b32_e32 v4, 0
	s_waitcnt lgkmcnt(0)
	s_barrier
	s_and_saveexec_b64 s[12:13], s[10:11]
	s_cbranch_execnz .LBB82_174
; %bb.160:
	s_or_b64 exec, exec, s[12:13]
	s_and_saveexec_b64 s[12:13], s[10:11]
	s_cbranch_execnz .LBB82_175
.LBB82_161:
	s_or_b64 exec, exec, s[12:13]
	s_and_saveexec_b64 s[18:19], s[0:1]
	s_cbranch_execnz .LBB82_176
.LBB82_162:
	s_or_b64 exec, exec, s[18:19]
	s_and_saveexec_b64 s[12:13], vcc
	s_cbranch_execz .LBB82_164
.LBB82_163:
	s_waitcnt lgkmcnt(0)
	v_lshl_add_u32 v2, v2, 2, 4
	ds_read_b32 v2, v2
	v_mov_b32_e32 v4, 0
	s_waitcnt lgkmcnt(0)
	ds_write_b32 v4, v2
.LBB82_164:
	s_or_b64 exec, exec, s[12:13]
	s_waitcnt lgkmcnt(0)
	v_mov_b32_e32 v2, 0
	v_cmp_gt_i64_e64 s[12:13], s[16:17], v[1:2]
	v_mov_b32_e32 v13, 0
	s_barrier
	s_and_saveexec_b64 s[18:19], s[12:13]
	s_cbranch_execz .LBB82_166
; %bb.165:
	v_add_u32_e32 v13, s21, v1
	v_mov_b32_e32 v14, 0
	v_lshlrev_b64 v[15:16], 2, v[13:14]
	v_mov_b32_e32 v4, s15
	v_add_co_u32_e64 v15, s[12:13], s14, v15
	v_addc_co_u32_e64 v16, s[12:13], v4, v16, s[12:13]
	global_load_dword v4, v[15:16], off
	ds_read_b32 v13, v14
	s_waitcnt vmcnt(0) lgkmcnt(0)
	v_cmp_eq_u32_e64 s[12:13], v4, v13
	v_cndmask_b32_e64 v13, 0, v1, s[12:13]
.LBB82_166:
	s_or_b64 exec, exec, s[18:19]
	v_mov_b32_e32 v4, v2
	v_cmp_gt_i64_e64 s[12:13], s[16:17], v[3:4]
	s_and_saveexec_b64 s[16:17], s[12:13]
	s_cbranch_execz .LBB82_168
; %bb.167:
	v_add_u32_e32 v1, s21, v3
	v_mov_b32_e32 v2, 0
	v_lshlrev_b64 v[14:15], 2, v[1:2]
	v_mov_b32_e32 v1, s15
	v_add_co_u32_e64 v14, s[12:13], s14, v14
	v_addc_co_u32_e64 v15, s[12:13], v1, v15, s[12:13]
	global_load_dword v1, v[14:15], off
	ds_read_b32 v2, v2
	s_waitcnt vmcnt(0) lgkmcnt(0)
	v_cmp_eq_u32_e64 s[12:13], v1, v2
	v_cndmask_b32_e64 v2, 0, v3, s[12:13]
.LBB82_168:
	s_or_b64 exec, exec, s[16:17]
	v_cndmask_b32_e64 v1, 0, v13, s[2:3]
	v_max_u32_e32 v2, v2, v1
	v_cndmask_b32_e64 v1, v1, v2, s[6:7]
	ds_bpermute_b32 v2, v6, v1
	s_waitcnt lgkmcnt(0)
	s_barrier
	v_max_u32_e32 v1, v2, v1
	ds_bpermute_b32 v2, v7, v1
	s_waitcnt lgkmcnt(0)
	v_max_u32_e32 v1, v2, v1
	ds_bpermute_b32 v2, v8, v1
	s_waitcnt lgkmcnt(0)
	;; [unrolled: 3-line block ×4, first 2 shown]
	v_max_u32_e32 v1, v2, v1
	ds_bpermute_b32 v2, v11, v1
	s_and_saveexec_b64 s[2:3], s[8:9]
	s_cbranch_execz .LBB82_170
; %bb.169:
	v_lshrrev_b32_e32 v0, 4, v0
	v_add_u32_e32 v0, 4, v0
	s_waitcnt lgkmcnt(0)
	v_max_u32_e32 v1, v2, v1
	ds_write_b32 v0, v1
.LBB82_170:
	s_or_b64 exec, exec, s[2:3]
	v_mov_b32_e32 v0, 0
	s_waitcnt lgkmcnt(0)
	s_barrier
	s_and_saveexec_b64 s[2:3], s[10:11]
	s_cbranch_execnz .LBB82_177
; %bb.171:
	s_or_b64 exec, exec, s[2:3]
	s_and_saveexec_b64 s[2:3], s[0:1]
	s_cbranch_execnz .LBB82_178
.LBB82_172:
	s_or_b64 exec, exec, s[2:3]
	s_and_saveexec_b64 s[0:1], vcc
	s_cbranch_execnz .LBB82_179
.LBB82_173:
	s_endpgm
.LBB82_174:
	ds_read_b32 v4, v12 offset:4096
	s_or_b64 exec, exec, s[12:13]
	s_and_saveexec_b64 s[12:13], s[10:11]
	s_cbranch_execz .LBB82_161
.LBB82_175:
	ds_read_b32 v2, v12 offset:4100
	s_or_b64 exec, exec, s[12:13]
	s_and_saveexec_b64 s[18:19], s[0:1]
	s_cbranch_execz .LBB82_162
.LBB82_176:
	s_waitcnt lgkmcnt(0)
	ds_bpermute_b32 v13, v6, v4
	ds_bpermute_b32 v14, v6, v2
	s_waitcnt lgkmcnt(1)
	v_max_u32_e32 v15, v13, v4
	v_cmp_gt_u32_e64 s[12:13], v13, v4
	ds_bpermute_b32 v16, v7, v15
	s_waitcnt lgkmcnt(1)
	v_cndmask_b32_e64 v2, v2, v14, s[12:13]
	ds_bpermute_b32 v4, v7, v2
	s_waitcnt lgkmcnt(1)
	v_max_u32_e32 v13, v16, v15
	v_cmp_gt_u32_e64 s[12:13], v16, v15
	ds_bpermute_b32 v14, v8, v13
	s_waitcnt lgkmcnt(1)
	v_cndmask_b32_e64 v2, v2, v4, s[12:13]
	;; [unrolled: 7-line block ×4, first 2 shown]
	ds_bpermute_b32 v4, v10, v2
	s_waitcnt lgkmcnt(1)
	v_max_u32_e32 v15, v14, v13
	v_cmp_gt_u32_e64 s[12:13], v14, v13
	s_waitcnt lgkmcnt(0)
	v_cndmask_b32_e64 v2, v2, v4, s[12:13]
	ds_bpermute_b32 v4, v11, v15
	ds_bpermute_b32 v13, v11, v2
	s_waitcnt lgkmcnt(1)
	v_cmp_gt_u32_e64 s[12:13], v4, v15
	s_waitcnt lgkmcnt(0)
	v_cndmask_b32_e64 v2, v2, v13, s[12:13]
	s_or_b64 exec, exec, s[18:19]
	s_and_saveexec_b64 s[12:13], vcc
	s_cbranch_execnz .LBB82_163
	s_branch .LBB82_164
.LBB82_177:
	v_lshlrev_b32_e32 v0, 2, v5
	v_sub_u32_e32 v0, v12, v0
	ds_read_b32 v0, v0
	s_or_b64 exec, exec, s[2:3]
	s_and_saveexec_b64 s[2:3], s[0:1]
	s_cbranch_execz .LBB82_172
.LBB82_178:
	s_waitcnt lgkmcnt(0)
	ds_bpermute_b32 v1, v6, v0
	s_waitcnt lgkmcnt(0)
	v_max_u32_e32 v0, v1, v0
	ds_bpermute_b32 v1, v7, v0
	s_waitcnt lgkmcnt(0)
	v_max_u32_e32 v0, v1, v0
	;; [unrolled: 3-line block ×6, first 2 shown]
	s_or_b64 exec, exec, s[2:3]
	s_and_saveexec_b64 s[0:1], vcc
	s_cbranch_execz .LBB82_173
.LBB82_179:
	s_load_dword s6, s[4:5], 0xd8
	s_load_dwordx2 s[0:1], s[4:5], 0xe0
	s_add_u32 s2, s4, 8
	s_addc_u32 s3, s5, 0
	s_mov_b32 s5, 0
	s_waitcnt lgkmcnt(0)
	s_cmp_lt_i32 s6, 2
	s_cbranch_scc1 .LBB82_182
; %bb.180:
	s_add_i32 s4, s6, -1
	s_add_i32 s8, s6, 1
	s_lshl_b64 s[6:7], s[4:5], 2
	s_add_u32 s4, s2, s6
	s_addc_u32 s7, s3, s7
	s_add_u32 s6, s4, 8
	s_addc_u32 s7, s7, 0
.LBB82_181:                             ; =>This Inner Loop Header: Depth=1
	s_load_dword s4, s[6:7], 0x0
	s_load_dword s10, s[6:7], 0x64
	s_mov_b32 s9, s20
	s_waitcnt lgkmcnt(0)
	v_cvt_f32_u32_e32 v1, s4
	s_sub_i32 s11, 0, s4
	v_rcp_iflag_f32_e32 v1, v1
	v_mul_f32_e32 v1, 0x4f7ffffe, v1
	v_cvt_u32_f32_e32 v1, v1
	v_readfirstlane_b32 s12, v1
	s_mul_i32 s11, s11, s12
	s_mul_hi_u32 s11, s12, s11
	s_add_i32 s12, s12, s11
	s_mul_hi_u32 s11, s20, s12
	s_mul_i32 s12, s11, s4
	s_sub_i32 s12, s20, s12
	s_add_i32 s13, s11, 1
	s_sub_i32 s14, s12, s4
	s_cmp_ge_u32 s12, s4
	s_cselect_b32 s11, s13, s11
	s_cselect_b32 s12, s14, s12
	s_add_i32 s13, s11, 1
	s_cmp_ge_u32 s12, s4
	s_cselect_b32 s20, s13, s11
	s_mul_i32 s4, s20, s4
	s_sub_i32 s4, s9, s4
	s_mul_i32 s4, s10, s4
	s_add_i32 s8, s8, -1
	s_add_i32 s5, s4, s5
	s_add_u32 s6, s6, -4
	s_addc_u32 s7, s7, -1
	s_cmp_gt_u32 s8, 2
	s_cbranch_scc1 .LBB82_181
.LBB82_182:
	s_load_dword s4, s[2:3], 0x6c
	v_mov_b32_e32 v1, 0
	s_load_dwordx2 s[2:3], s[2:3], 0x0
	ds_read_b32 v2, v1
	s_mov_b32 s7, 0
	s_waitcnt lgkmcnt(0)
	s_mul_i32 s4, s4, s20
	s_add_i32 s6, s4, s5
	s_lshl_b64 s[4:5], s[6:7], 2
	s_add_u32 s2, s2, s4
	s_addc_u32 s3, s3, s5
	global_store_dword v1, v2, s[2:3]
	s_lshl_b64 s[2:3], s[6:7], 3
	s_add_u32 s0, s0, s2
	s_addc_u32 s1, s1, s3
	global_store_dwordx2 v1, v[0:1], s[0:1]
	s_endpgm
	.section	.rodata,"a",@progbits
	.p2align	6, 0x0
	.amdhsa_kernel _ZN2at6native12compute_modeIiLj1024EEEvPKT_NS_4cuda6detail10TensorInfoIS2_jEENS7_IljEEll
		.amdhsa_group_segment_fixed_size 4
		.amdhsa_private_segment_fixed_size 0
		.amdhsa_kernarg_size 712
		.amdhsa_user_sgpr_count 6
		.amdhsa_user_sgpr_private_segment_buffer 1
		.amdhsa_user_sgpr_dispatch_ptr 0
		.amdhsa_user_sgpr_queue_ptr 0
		.amdhsa_user_sgpr_kernarg_segment_ptr 1
		.amdhsa_user_sgpr_dispatch_id 0
		.amdhsa_user_sgpr_flat_scratch_init 0
		.amdhsa_user_sgpr_private_segment_size 0
		.amdhsa_uses_dynamic_stack 0
		.amdhsa_system_sgpr_private_segment_wavefront_offset 0
		.amdhsa_system_sgpr_workgroup_id_x 1
		.amdhsa_system_sgpr_workgroup_id_y 1
		.amdhsa_system_sgpr_workgroup_id_z 1
		.amdhsa_system_sgpr_workgroup_info 0
		.amdhsa_system_vgpr_workitem_id 0
		.amdhsa_next_free_vgpr 39
		.amdhsa_next_free_sgpr 22
		.amdhsa_reserve_vcc 1
		.amdhsa_reserve_flat_scratch 0
		.amdhsa_float_round_mode_32 0
		.amdhsa_float_round_mode_16_64 0
		.amdhsa_float_denorm_mode_32 3
		.amdhsa_float_denorm_mode_16_64 3
		.amdhsa_dx10_clamp 1
		.amdhsa_ieee_mode 1
		.amdhsa_fp16_overflow 0
		.amdhsa_exception_fp_ieee_invalid_op 0
		.amdhsa_exception_fp_denorm_src 0
		.amdhsa_exception_fp_ieee_div_zero 0
		.amdhsa_exception_fp_ieee_overflow 0
		.amdhsa_exception_fp_ieee_underflow 0
		.amdhsa_exception_fp_ieee_inexact 0
		.amdhsa_exception_int_div_zero 0
	.end_amdhsa_kernel
	.section	.text._ZN2at6native12compute_modeIiLj1024EEEvPKT_NS_4cuda6detail10TensorInfoIS2_jEENS7_IljEEll,"axG",@progbits,_ZN2at6native12compute_modeIiLj1024EEEvPKT_NS_4cuda6detail10TensorInfoIS2_jEENS7_IljEEll,comdat
.Lfunc_end82:
	.size	_ZN2at6native12compute_modeIiLj1024EEEvPKT_NS_4cuda6detail10TensorInfoIS2_jEENS7_IljEEll, .Lfunc_end82-_ZN2at6native12compute_modeIiLj1024EEEvPKT_NS_4cuda6detail10TensorInfoIS2_jEENS7_IljEEll
                                        ; -- End function
	.set _ZN2at6native12compute_modeIiLj1024EEEvPKT_NS_4cuda6detail10TensorInfoIS2_jEENS7_IljEEll.num_vgpr, 39
	.set _ZN2at6native12compute_modeIiLj1024EEEvPKT_NS_4cuda6detail10TensorInfoIS2_jEENS7_IljEEll.num_agpr, 0
	.set _ZN2at6native12compute_modeIiLj1024EEEvPKT_NS_4cuda6detail10TensorInfoIS2_jEENS7_IljEEll.numbered_sgpr, 22
	.set _ZN2at6native12compute_modeIiLj1024EEEvPKT_NS_4cuda6detail10TensorInfoIS2_jEENS7_IljEEll.num_named_barrier, 0
	.set _ZN2at6native12compute_modeIiLj1024EEEvPKT_NS_4cuda6detail10TensorInfoIS2_jEENS7_IljEEll.private_seg_size, 0
	.set _ZN2at6native12compute_modeIiLj1024EEEvPKT_NS_4cuda6detail10TensorInfoIS2_jEENS7_IljEEll.uses_vcc, 1
	.set _ZN2at6native12compute_modeIiLj1024EEEvPKT_NS_4cuda6detail10TensorInfoIS2_jEENS7_IljEEll.uses_flat_scratch, 0
	.set _ZN2at6native12compute_modeIiLj1024EEEvPKT_NS_4cuda6detail10TensorInfoIS2_jEENS7_IljEEll.has_dyn_sized_stack, 0
	.set _ZN2at6native12compute_modeIiLj1024EEEvPKT_NS_4cuda6detail10TensorInfoIS2_jEENS7_IljEEll.has_recursion, 0
	.set _ZN2at6native12compute_modeIiLj1024EEEvPKT_NS_4cuda6detail10TensorInfoIS2_jEENS7_IljEEll.has_indirect_call, 0
	.section	.AMDGPU.csdata,"",@progbits
; Kernel info:
; codeLenInByte = 13260
; TotalNumSgprs: 26
; NumVgprs: 39
; ScratchSize: 0
; MemoryBound: 0
; FloatMode: 240
; IeeeMode: 1
; LDSByteSize: 4 bytes/workgroup (compile time only)
; SGPRBlocks: 3
; VGPRBlocks: 9
; NumSGPRsForWavesPerEU: 26
; NumVGPRsForWavesPerEU: 39
; Occupancy: 6
; WaveLimiterHint : 1
; COMPUTE_PGM_RSRC2:SCRATCH_EN: 0
; COMPUTE_PGM_RSRC2:USER_SGPR: 6
; COMPUTE_PGM_RSRC2:TRAP_HANDLER: 0
; COMPUTE_PGM_RSRC2:TGID_X_EN: 1
; COMPUTE_PGM_RSRC2:TGID_Y_EN: 1
; COMPUTE_PGM_RSRC2:TGID_Z_EN: 1
; COMPUTE_PGM_RSRC2:TIDIG_COMP_CNT: 0
	.section	.text._ZN2at6native12compute_modeIiLj128EEEvPKT_NS_4cuda6detail10TensorInfoIS2_jEENS7_IljEEll,"axG",@progbits,_ZN2at6native12compute_modeIiLj128EEEvPKT_NS_4cuda6detail10TensorInfoIS2_jEENS7_IljEEll,comdat
	.protected	_ZN2at6native12compute_modeIiLj128EEEvPKT_NS_4cuda6detail10TensorInfoIS2_jEENS7_IljEEll ; -- Begin function _ZN2at6native12compute_modeIiLj128EEEvPKT_NS_4cuda6detail10TensorInfoIS2_jEENS7_IljEEll
	.globl	_ZN2at6native12compute_modeIiLj128EEEvPKT_NS_4cuda6detail10TensorInfoIS2_jEENS7_IljEEll
	.p2align	8
	.type	_ZN2at6native12compute_modeIiLj128EEEvPKT_NS_4cuda6detail10TensorInfoIS2_jEENS7_IljEEll,@function
_ZN2at6native12compute_modeIiLj128EEEvPKT_NS_4cuda6detail10TensorInfoIS2_jEENS7_IljEEll: ; @_ZN2at6native12compute_modeIiLj128EEEvPKT_NS_4cuda6detail10TensorInfoIS2_jEENS7_IljEEll
; %bb.0:
	s_load_dwordx2 s[2:3], s[4:5], 0x1c8
	s_load_dwordx4 s[16:19], s[4:5], 0x1b8
	s_add_u32 s0, s4, 0x1c8
	s_addc_u32 s1, s5, 0
	v_mov_b32_e32 v2, 0
	s_waitcnt lgkmcnt(0)
	s_mul_i32 s3, s3, s8
	s_add_i32 s3, s3, s7
	s_mul_i32 s2, s3, s2
	s_add_i32 s20, s2, s6
	v_mov_b32_e32 v1, s20
	v_cmp_le_i64_e32 vcc, s[18:19], v[1:2]
	s_cbranch_vccnz .LBB83_107
; %bb.1:
	s_load_dwordx2 s[14:15], s[4:5], 0x0
	s_load_dword s6, s[0:1], 0xc
	v_mov_b32_e32 v1, v2
	v_cmp_gt_i64_e32 vcc, s[16:17], v[0:1]
	s_mul_i32 s21, s20, s16
	s_and_saveexec_b64 s[2:3], vcc
	s_cbranch_execz .LBB83_3
; %bb.2:
	v_add_u32_e32 v1, s21, v0
	v_lshlrev_b64 v[3:4], 2, v[1:2]
	s_waitcnt lgkmcnt(0)
	v_mov_b32_e32 v1, s15
	v_add_co_u32_e64 v3, s[0:1], s14, v3
	v_addc_co_u32_e64 v4, s[0:1], v1, v4, s[0:1]
	global_load_dword v1, v[3:4], off
	v_lshl_add_u32 v3, v0, 2, 4
	s_waitcnt vmcnt(0)
	ds_write_b32 v3, v1
.LBB83_3:
	s_or_b64 exec, exec, s[2:3]
	s_waitcnt lgkmcnt(0)
	s_and_b32 s18, 0xffff, s6
	v_add_u32_e32 v1, s18, v0
	v_cmp_gt_i64_e64 s[0:1], s[16:17], v[1:2]
	s_and_saveexec_b64 s[6:7], s[0:1]
	s_cbranch_execz .LBB83_5
; %bb.4:
	v_add_u32_e32 v2, s21, v1
	v_mov_b32_e32 v3, 0
	v_lshlrev_b64 v[2:3], 2, v[2:3]
	v_mov_b32_e32 v4, s15
	v_add_co_u32_e64 v2, s[2:3], s14, v2
	v_addc_co_u32_e64 v3, s[2:3], v4, v3, s[2:3]
	global_load_dword v2, v[2:3], off
	v_lshl_add_u32 v1, v1, 2, 4
	s_waitcnt vmcnt(0)
	ds_write_b32 v1, v2
.LBB83_5:
	s_or_b64 exec, exec, s[6:7]
	v_add_u32_e32 v1, 4, v0
	v_mad_u32_u24 v4, v0, 7, v1
	v_cndmask_b32_e64 v2, 0, 1, vcc
	v_mad_i32_i24 v6, v0, -6, v4
	ds_write_b8 v1, v2 offset:512
	v_add_u32_e32 v2, s18, v1
	v_cndmask_b32_e64 v3, 0, 1, s[0:1]
	v_mad_u32_u24 v7, v0, 6, v6
	ds_write_b8 v2, v3 offset:512
	s_waitcnt lgkmcnt(0)
	s_barrier
	s_barrier
	ds_read2_b32 v[1:2], v4 offset1:1
	ds_read_u8 v8, v6 offset:512
	v_mad_i32_i24 v5, v0, -6, v7
	ds_read_u8 v9, v5 offset:513
	v_and_b32_e32 v3, 1, v0
	s_waitcnt lgkmcnt(2)
	v_cmp_lt_i32_e32 vcc, v1, v2
	s_waitcnt lgkmcnt(1)
	v_and_b32_e32 v10, 1, v8
	v_cmp_eq_u32_e64 s[0:1], 1, v10
	s_waitcnt lgkmcnt(0)
	v_cmp_ne_u16_e64 s[2:3], v9, v3
	v_cndmask_b32_e64 v10, 0, 1, s[2:3]
	s_and_b64 vcc, vcc, s[0:1]
	v_cndmask_b32_e32 v10, v10, v0, vcc
	v_and_b32_e32 v10, 1, v10
	v_cmp_eq_u32_e32 vcc, 1, v10
	s_and_saveexec_b64 s[0:1], vcc
	s_cbranch_execz .LBB83_7
; %bb.6:
	ds_write_b32 v4, v2
	ds_write_b32 v7, v1 offset:4
	ds_write_b8 v6, v9 offset:512
	ds_write_b8 v5, v8 offset:513
.LBB83_7:
	s_or_b64 exec, exec, s[0:1]
	v_lshlrev_b32_e32 v1, 1, v0
	v_sub_u32_e32 v11, v1, v3
	v_add_u32_e32 v9, 4, v11
	v_lshl_add_u32 v10, v11, 2, 4
	v_mad_i32_i24 v3, v11, 3, v9
	s_waitcnt lgkmcnt(0)
	s_barrier
	ds_read_b32 v2, v10
	ds_read_b32 v12, v3 offset:8
	ds_read_u8 v3, v9 offset:512
	ds_read_u8 v13, v9 offset:514
	v_bfe_u32 v14, v0, 1, 1
	v_and_b32_e32 v8, 2, v0
	s_waitcnt lgkmcnt(2)
	v_cmp_lt_i32_e64 s[0:1], v2, v12
	s_waitcnt lgkmcnt(1)
	v_and_b32_e32 v15, 1, v3
	v_cmp_eq_u32_e64 s[2:3], 1, v15
	s_waitcnt lgkmcnt(0)
	v_cmp_ne_u16_e64 s[6:7], v13, v14
	v_cndmask_b32_e64 v15, 0, 1, s[6:7]
	s_and_b64 s[0:1], s[0:1], s[2:3]
	v_cndmask_b32_e64 v14, v15, v14, s[0:1]
	v_mul_i32_i24_e32 v11, 3, v11
	v_and_b32_e32 v14, 1, v14
	v_cmp_ne_u32_e32 vcc, 0, v8
	v_cmp_eq_u32_e64 s[0:1], 1, v14
	v_add_u32_e32 v11, v9, v11
	s_and_saveexec_b64 s[2:3], s[0:1]
	s_xor_b64 s[0:1], exec, s[2:3]
	s_cbranch_execz .LBB83_9
; %bb.8:
	ds_write_b32 v10, v12
	ds_write_b32 v11, v2 offset:8
	ds_write_b8 v9, v13 offset:512
	ds_write_b8 v9, v3 offset:514
.LBB83_9:
	s_or_b64 exec, exec, s[0:1]
	s_waitcnt lgkmcnt(0)
	s_barrier
	ds_read2_b32 v[2:3], v4 offset1:1
	ds_read_u8 v12, v6 offset:512
	ds_read_u8 v13, v5 offset:513
	v_lshrrev_b32_e32 v8, 1, v8
	s_waitcnt lgkmcnt(2)
	v_cmp_lt_i32_e64 s[0:1], v2, v3
	s_waitcnt lgkmcnt(1)
	v_and_b32_e32 v14, 1, v12
	v_cmp_eq_u32_e64 s[2:3], 1, v14
	s_waitcnt lgkmcnt(0)
	v_cmp_ne_u16_e64 s[6:7], v13, v8
	v_cndmask_b32_e64 v8, 0, 1, s[6:7]
	v_cndmask_b32_e64 v14, 0, 1, vcc
	s_and_b64 vcc, s[0:1], s[2:3]
	v_cndmask_b32_e32 v8, v8, v14, vcc
	v_and_b32_e32 v8, 1, v8
	v_cmp_eq_u32_e32 vcc, 1, v8
	s_and_saveexec_b64 s[0:1], vcc
	s_cbranch_execz .LBB83_11
; %bb.10:
	ds_write_b32 v4, v3
	ds_write_b32 v7, v2 offset:4
	ds_write_b8 v6, v13 offset:512
	ds_write_b8 v5, v12 offset:513
.LBB83_11:
	s_or_b64 exec, exec, s[0:1]
	v_and_b32_e32 v3, 3, v0
	v_sub_u32_e32 v14, v1, v3
	v_add_u32_e32 v12, 4, v14
	v_lshl_add_u32 v13, v14, 2, 4
	v_mad_i32_i24 v8, v14, 3, v12
	s_waitcnt lgkmcnt(0)
	s_barrier
	ds_read_b32 v3, v13
	ds_read_b32 v15, v8 offset:16
	ds_read_u8 v8, v12 offset:512
	ds_read_u8 v16, v12 offset:516
	v_bfe_u32 v17, v0, 2, 1
	v_and_b32_e32 v2, 4, v0
	s_waitcnt lgkmcnt(2)
	v_cmp_lt_i32_e64 s[0:1], v3, v15
	s_waitcnt lgkmcnt(1)
	v_and_b32_e32 v18, 1, v8
	v_cmp_eq_u32_e64 s[2:3], 1, v18
	s_waitcnt lgkmcnt(0)
	v_cmp_ne_u16_e64 s[6:7], v16, v17
	v_cndmask_b32_e64 v18, 0, 1, s[6:7]
	s_and_b64 s[0:1], s[0:1], s[2:3]
	v_cndmask_b32_e64 v17, v18, v17, s[0:1]
	v_mul_i32_i24_e32 v14, 3, v14
	v_and_b32_e32 v17, 1, v17
	v_cmp_ne_u32_e32 vcc, 0, v2
	v_cmp_eq_u32_e64 s[0:1], 1, v17
	v_add_u32_e32 v14, v12, v14
	s_and_saveexec_b64 s[2:3], s[0:1]
	s_cbranch_execz .LBB83_13
; %bb.12:
	ds_write_b32 v13, v15
	ds_write_b32 v14, v3 offset:16
	ds_write_b8 v12, v16 offset:512
	ds_write_b8 v12, v8 offset:516
.LBB83_13:
	s_or_b64 exec, exec, s[2:3]
	s_waitcnt lgkmcnt(0)
	s_barrier
	ds_read_b32 v3, v10
	ds_read_b32 v17, v11 offset:8
	ds_read_u8 v16, v9 offset:512
	ds_read_u8 v18, v9 offset:514
	v_lshrrev_b32_e32 v8, 2, v2
	v_cndmask_b32_e64 v15, 0, 1, vcc
	s_waitcnt lgkmcnt(2)
	v_cmp_lt_i32_e64 s[0:1], v3, v17
	s_waitcnt lgkmcnt(1)
	v_and_b32_e32 v2, 1, v16
	v_cmp_eq_u32_e64 s[2:3], 1, v2
	s_waitcnt lgkmcnt(0)
	v_cmp_ne_u16_e64 s[6:7], v18, v8
	v_cndmask_b32_e64 v2, 0, 1, s[6:7]
	s_and_b64 vcc, s[0:1], s[2:3]
	v_cndmask_b32_e32 v2, v2, v15, vcc
	v_and_b32_e32 v2, 1, v2
	v_cmp_eq_u32_e32 vcc, 1, v2
	s_and_saveexec_b64 s[0:1], vcc
	s_cbranch_execz .LBB83_15
; %bb.14:
	ds_write_b32 v10, v17
	ds_write_b32 v11, v3 offset:8
	ds_write_b8 v9, v18 offset:512
	ds_write_b8 v9, v16 offset:514
.LBB83_15:
	s_or_b64 exec, exec, s[0:1]
	s_waitcnt lgkmcnt(0)
	s_barrier
	ds_read2_b32 v[2:3], v4 offset1:1
	ds_read_u8 v16, v6 offset:512
	ds_read_u8 v17, v5 offset:513
	s_waitcnt lgkmcnt(2)
	v_cmp_lt_i32_e32 vcc, v2, v3
	s_waitcnt lgkmcnt(1)
	v_and_b32_e32 v18, 1, v16
	v_cmp_eq_u32_e64 s[0:1], 1, v18
	s_waitcnt lgkmcnt(0)
	v_cmp_ne_u16_e64 s[2:3], v17, v8
	v_cndmask_b32_e64 v8, 0, 1, s[2:3]
	s_and_b64 vcc, vcc, s[0:1]
	v_cndmask_b32_e32 v8, v8, v15, vcc
	v_and_b32_e32 v8, 1, v8
	v_cmp_eq_u32_e32 vcc, 1, v8
	s_and_saveexec_b64 s[0:1], vcc
	s_cbranch_execz .LBB83_17
; %bb.16:
	ds_write_b32 v4, v3
	ds_write_b32 v7, v2 offset:4
	ds_write_b8 v6, v17 offset:512
	ds_write_b8 v5, v16 offset:513
.LBB83_17:
	s_or_b64 exec, exec, s[0:1]
	v_and_b32_e32 v3, 7, v0
	v_sub_u32_e32 v17, v1, v3
	v_add_u32_e32 v15, 4, v17
	v_lshl_add_u32 v16, v17, 2, 4
	v_mad_i32_i24 v8, v17, 3, v15
	s_waitcnt lgkmcnt(0)
	s_barrier
	ds_read_b32 v3, v16
	ds_read_b32 v18, v8 offset:32
	ds_read_u8 v8, v15 offset:512
	ds_read_u8 v19, v15 offset:520
	v_bfe_u32 v20, v0, 3, 1
	v_and_b32_e32 v2, 8, v0
	s_waitcnt lgkmcnt(2)
	v_cmp_lt_i32_e64 s[0:1], v3, v18
	s_waitcnt lgkmcnt(1)
	v_and_b32_e32 v21, 1, v8
	v_cmp_eq_u32_e64 s[2:3], 1, v21
	s_waitcnt lgkmcnt(0)
	v_cmp_ne_u16_e64 s[6:7], v19, v20
	v_cndmask_b32_e64 v21, 0, 1, s[6:7]
	s_and_b64 s[0:1], s[0:1], s[2:3]
	v_cndmask_b32_e64 v20, v21, v20, s[0:1]
	v_mul_i32_i24_e32 v17, 3, v17
	v_and_b32_e32 v20, 1, v20
	v_cmp_ne_u32_e32 vcc, 0, v2
	v_cmp_eq_u32_e64 s[0:1], 1, v20
	v_add_u32_e32 v17, v15, v17
	s_and_saveexec_b64 s[2:3], s[0:1]
	s_cbranch_execz .LBB83_19
; %bb.18:
	ds_write_b32 v16, v18
	ds_write_b32 v17, v3 offset:32
	ds_write_b8 v15, v19 offset:512
	ds_write_b8 v15, v8 offset:520
.LBB83_19:
	s_or_b64 exec, exec, s[2:3]
	s_waitcnt lgkmcnt(0)
	s_barrier
	ds_read_b32 v3, v13
	ds_read_b32 v20, v14 offset:16
	ds_read_u8 v19, v12 offset:512
	ds_read_u8 v21, v12 offset:516
	v_lshrrev_b32_e32 v8, 3, v2
	v_cndmask_b32_e64 v18, 0, 1, vcc
	s_waitcnt lgkmcnt(2)
	v_cmp_lt_i32_e64 s[0:1], v3, v20
	s_waitcnt lgkmcnt(1)
	v_and_b32_e32 v2, 1, v19
	v_cmp_eq_u32_e64 s[2:3], 1, v2
	s_waitcnt lgkmcnt(0)
	v_cmp_ne_u16_e64 s[6:7], v21, v8
	v_cndmask_b32_e64 v2, 0, 1, s[6:7]
	s_and_b64 vcc, s[0:1], s[2:3]
	v_cndmask_b32_e32 v2, v2, v18, vcc
	v_and_b32_e32 v2, 1, v2
	v_cmp_eq_u32_e32 vcc, 1, v2
	s_and_saveexec_b64 s[0:1], vcc
	s_cbranch_execz .LBB83_21
; %bb.20:
	ds_write_b32 v13, v20
	ds_write_b32 v14, v3 offset:16
	ds_write_b8 v12, v21 offset:512
	ds_write_b8 v12, v19 offset:516
.LBB83_21:
	s_or_b64 exec, exec, s[0:1]
	s_waitcnt lgkmcnt(0)
	s_barrier
	ds_read_b32 v2, v10
	ds_read_b32 v19, v11 offset:8
	ds_read_u8 v3, v9 offset:512
	ds_read_u8 v20, v9 offset:514
	s_waitcnt lgkmcnt(2)
	v_cmp_lt_i32_e32 vcc, v2, v19
	s_waitcnt lgkmcnt(1)
	v_and_b32_e32 v21, 1, v3
	v_cmp_eq_u32_e64 s[0:1], 1, v21
	s_waitcnt lgkmcnt(0)
	v_cmp_ne_u16_e64 s[2:3], v20, v8
	v_cndmask_b32_e64 v21, 0, 1, s[2:3]
	s_and_b64 vcc, vcc, s[0:1]
	v_cndmask_b32_e32 v21, v21, v18, vcc
	v_and_b32_e32 v21, 1, v21
	v_cmp_eq_u32_e32 vcc, 1, v21
	s_and_saveexec_b64 s[0:1], vcc
	s_cbranch_execz .LBB83_23
; %bb.22:
	ds_write_b32 v10, v19
	ds_write_b32 v11, v2 offset:8
	ds_write_b8 v9, v20 offset:512
	ds_write_b8 v9, v3 offset:514
.LBB83_23:
	s_or_b64 exec, exec, s[0:1]
	s_waitcnt lgkmcnt(0)
	s_barrier
	ds_read2_b32 v[2:3], v4 offset1:1
	ds_read_u8 v19, v6 offset:512
	ds_read_u8 v20, v5 offset:513
	s_waitcnt lgkmcnt(2)
	v_cmp_lt_i32_e32 vcc, v2, v3
	s_waitcnt lgkmcnt(1)
	v_and_b32_e32 v21, 1, v19
	v_cmp_eq_u32_e64 s[0:1], 1, v21
	s_waitcnt lgkmcnt(0)
	v_cmp_ne_u16_e64 s[2:3], v20, v8
	v_cndmask_b32_e64 v8, 0, 1, s[2:3]
	s_and_b64 vcc, vcc, s[0:1]
	v_cndmask_b32_e32 v8, v8, v18, vcc
	v_and_b32_e32 v8, 1, v8
	v_cmp_eq_u32_e32 vcc, 1, v8
	s_and_saveexec_b64 s[0:1], vcc
	s_cbranch_execz .LBB83_25
; %bb.24:
	ds_write_b32 v4, v3
	ds_write_b32 v7, v2 offset:4
	ds_write_b8 v6, v20 offset:512
	ds_write_b8 v5, v19 offset:513
.LBB83_25:
	s_or_b64 exec, exec, s[0:1]
	v_and_b32_e32 v3, 15, v0
	v_sub_u32_e32 v20, v1, v3
	v_add_u32_e32 v18, 4, v20
	v_lshl_add_u32 v19, v20, 2, 4
	v_mad_i32_i24 v8, v20, 3, v18
	s_waitcnt lgkmcnt(0)
	s_barrier
	ds_read_b32 v3, v19
	ds_read_b32 v21, v8 offset:64
	ds_read_u8 v8, v18 offset:512
	ds_read_u8 v22, v18 offset:528
	v_bfe_u32 v23, v0, 4, 1
	v_and_b32_e32 v2, 16, v0
	s_waitcnt lgkmcnt(2)
	v_cmp_lt_i32_e64 s[0:1], v3, v21
	s_waitcnt lgkmcnt(1)
	v_and_b32_e32 v24, 1, v8
	v_cmp_eq_u32_e64 s[2:3], 1, v24
	s_waitcnt lgkmcnt(0)
	v_cmp_ne_u16_e64 s[6:7], v22, v23
	v_cndmask_b32_e64 v24, 0, 1, s[6:7]
	s_and_b64 s[0:1], s[0:1], s[2:3]
	v_cndmask_b32_e64 v23, v24, v23, s[0:1]
	v_mul_i32_i24_e32 v20, 3, v20
	v_and_b32_e32 v23, 1, v23
	v_cmp_ne_u32_e32 vcc, 0, v2
	v_cmp_eq_u32_e64 s[0:1], 1, v23
	v_add_u32_e32 v20, v18, v20
	s_and_saveexec_b64 s[2:3], s[0:1]
	s_cbranch_execz .LBB83_27
; %bb.26:
	ds_write_b32 v19, v21
	ds_write_b32 v20, v3 offset:64
	ds_write_b8 v18, v22 offset:512
	ds_write_b8 v18, v8 offset:528
.LBB83_27:
	s_or_b64 exec, exec, s[2:3]
	s_waitcnt lgkmcnt(0)
	s_barrier
	ds_read_b32 v3, v16
	ds_read_b32 v23, v17 offset:32
	ds_read_u8 v22, v15 offset:512
	ds_read_u8 v24, v15 offset:520
	v_lshrrev_b32_e32 v8, 4, v2
	v_cndmask_b32_e64 v21, 0, 1, vcc
	s_waitcnt lgkmcnt(2)
	v_cmp_lt_i32_e64 s[0:1], v3, v23
	s_waitcnt lgkmcnt(1)
	v_and_b32_e32 v2, 1, v22
	v_cmp_eq_u32_e64 s[2:3], 1, v2
	s_waitcnt lgkmcnt(0)
	v_cmp_ne_u16_e64 s[6:7], v24, v8
	v_cndmask_b32_e64 v2, 0, 1, s[6:7]
	s_and_b64 vcc, s[0:1], s[2:3]
	v_cndmask_b32_e32 v2, v2, v21, vcc
	v_and_b32_e32 v2, 1, v2
	v_cmp_eq_u32_e32 vcc, 1, v2
	s_and_saveexec_b64 s[0:1], vcc
	s_cbranch_execz .LBB83_29
; %bb.28:
	ds_write_b32 v16, v23
	ds_write_b32 v17, v3 offset:32
	ds_write_b8 v15, v24 offset:512
	ds_write_b8 v15, v22 offset:520
.LBB83_29:
	s_or_b64 exec, exec, s[0:1]
	s_waitcnt lgkmcnt(0)
	s_barrier
	ds_read_b32 v2, v13
	ds_read_b32 v22, v14 offset:16
	ds_read_u8 v3, v12 offset:512
	ds_read_u8 v23, v12 offset:516
	s_waitcnt lgkmcnt(2)
	v_cmp_lt_i32_e32 vcc, v2, v22
	s_waitcnt lgkmcnt(1)
	v_and_b32_e32 v24, 1, v3
	v_cmp_eq_u32_e64 s[0:1], 1, v24
	s_waitcnt lgkmcnt(0)
	v_cmp_ne_u16_e64 s[2:3], v23, v8
	v_cndmask_b32_e64 v24, 0, 1, s[2:3]
	s_and_b64 vcc, vcc, s[0:1]
	v_cndmask_b32_e32 v24, v24, v21, vcc
	v_and_b32_e32 v24, 1, v24
	v_cmp_eq_u32_e32 vcc, 1, v24
	s_and_saveexec_b64 s[0:1], vcc
	s_cbranch_execz .LBB83_31
; %bb.30:
	ds_write_b32 v13, v22
	ds_write_b32 v14, v2 offset:16
	ds_write_b8 v12, v23 offset:512
	ds_write_b8 v12, v3 offset:516
.LBB83_31:
	s_or_b64 exec, exec, s[0:1]
	s_waitcnt lgkmcnt(0)
	s_barrier
	ds_read_b32 v2, v10
	ds_read_b32 v22, v11 offset:8
	ds_read_u8 v3, v9 offset:512
	ds_read_u8 v23, v9 offset:514
	s_waitcnt lgkmcnt(2)
	v_cmp_lt_i32_e32 vcc, v2, v22
	s_waitcnt lgkmcnt(1)
	v_and_b32_e32 v24, 1, v3
	v_cmp_eq_u32_e64 s[0:1], 1, v24
	s_waitcnt lgkmcnt(0)
	v_cmp_ne_u16_e64 s[2:3], v23, v8
	v_cndmask_b32_e64 v24, 0, 1, s[2:3]
	s_and_b64 vcc, vcc, s[0:1]
	v_cndmask_b32_e32 v24, v24, v21, vcc
	v_and_b32_e32 v24, 1, v24
	v_cmp_eq_u32_e32 vcc, 1, v24
	s_and_saveexec_b64 s[0:1], vcc
	s_cbranch_execz .LBB83_33
; %bb.32:
	ds_write_b32 v10, v22
	ds_write_b32 v11, v2 offset:8
	ds_write_b8 v9, v23 offset:512
	ds_write_b8 v9, v3 offset:514
.LBB83_33:
	s_or_b64 exec, exec, s[0:1]
	s_waitcnt lgkmcnt(0)
	s_barrier
	ds_read2_b32 v[2:3], v4 offset1:1
	ds_read_u8 v22, v6 offset:512
	ds_read_u8 v23, v5 offset:513
	s_waitcnt lgkmcnt(2)
	v_cmp_lt_i32_e32 vcc, v2, v3
	s_waitcnt lgkmcnt(1)
	v_and_b32_e32 v24, 1, v22
	v_cmp_eq_u32_e64 s[0:1], 1, v24
	s_waitcnt lgkmcnt(0)
	v_cmp_ne_u16_e64 s[2:3], v23, v8
	v_cndmask_b32_e64 v8, 0, 1, s[2:3]
	s_and_b64 vcc, vcc, s[0:1]
	v_cndmask_b32_e32 v8, v8, v21, vcc
	v_and_b32_e32 v8, 1, v8
	v_cmp_eq_u32_e32 vcc, 1, v8
	s_and_saveexec_b64 s[0:1], vcc
	s_cbranch_execz .LBB83_35
; %bb.34:
	ds_write_b32 v4, v3
	ds_write_b32 v7, v2 offset:4
	ds_write_b8 v6, v23 offset:512
	ds_write_b8 v5, v22 offset:513
.LBB83_35:
	s_or_b64 exec, exec, s[0:1]
	v_and_b32_e32 v3, 31, v0
	v_sub_u32_e32 v23, v1, v3
	v_add_u32_e32 v21, 4, v23
	v_lshl_add_u32 v22, v23, 2, 4
	v_mad_i32_i24 v8, v23, 3, v21
	s_waitcnt lgkmcnt(0)
	s_barrier
	ds_read_b32 v3, v22
	ds_read_b32 v24, v8 offset:128
	ds_read_u8 v8, v21 offset:512
	ds_read_u8 v25, v21 offset:544
	v_bfe_u32 v26, v0, 5, 1
	v_and_b32_e32 v2, 32, v0
	s_waitcnt lgkmcnt(2)
	v_cmp_lt_i32_e64 s[0:1], v3, v24
	s_waitcnt lgkmcnt(1)
	v_and_b32_e32 v27, 1, v8
	v_cmp_eq_u32_e64 s[2:3], 1, v27
	s_waitcnt lgkmcnt(0)
	v_cmp_ne_u16_e64 s[6:7], v25, v26
	v_cndmask_b32_e64 v27, 0, 1, s[6:7]
	s_and_b64 s[0:1], s[0:1], s[2:3]
	v_cndmask_b32_e64 v26, v27, v26, s[0:1]
	v_mul_i32_i24_e32 v23, 3, v23
	v_and_b32_e32 v26, 1, v26
	v_cmp_ne_u32_e32 vcc, 0, v2
	v_cmp_eq_u32_e64 s[0:1], 1, v26
	v_add_u32_e32 v23, v21, v23
	s_and_saveexec_b64 s[2:3], s[0:1]
	s_cbranch_execz .LBB83_37
; %bb.36:
	ds_write_b32 v22, v24
	ds_write_b32 v23, v3 offset:128
	ds_write_b8 v21, v25 offset:512
	ds_write_b8 v21, v8 offset:544
.LBB83_37:
	s_or_b64 exec, exec, s[2:3]
	s_waitcnt lgkmcnt(0)
	s_barrier
	ds_read_b32 v3, v19
	ds_read_b32 v26, v20 offset:64
	ds_read_u8 v25, v18 offset:512
	ds_read_u8 v27, v18 offset:528
	v_lshrrev_b32_e32 v8, 5, v2
	v_cndmask_b32_e64 v24, 0, 1, vcc
	s_waitcnt lgkmcnt(2)
	v_cmp_lt_i32_e64 s[0:1], v3, v26
	s_waitcnt lgkmcnt(1)
	v_and_b32_e32 v2, 1, v25
	v_cmp_eq_u32_e64 s[2:3], 1, v2
	s_waitcnt lgkmcnt(0)
	v_cmp_ne_u16_e64 s[6:7], v27, v8
	v_cndmask_b32_e64 v2, 0, 1, s[6:7]
	s_and_b64 vcc, s[0:1], s[2:3]
	v_cndmask_b32_e32 v2, v2, v24, vcc
	v_and_b32_e32 v2, 1, v2
	v_cmp_eq_u32_e32 vcc, 1, v2
	s_and_saveexec_b64 s[0:1], vcc
	s_cbranch_execz .LBB83_39
; %bb.38:
	ds_write_b32 v19, v26
	ds_write_b32 v20, v3 offset:64
	ds_write_b8 v18, v27 offset:512
	ds_write_b8 v18, v25 offset:528
.LBB83_39:
	s_or_b64 exec, exec, s[0:1]
	s_waitcnt lgkmcnt(0)
	s_barrier
	ds_read_b32 v2, v16
	ds_read_b32 v25, v17 offset:32
	ds_read_u8 v3, v15 offset:512
	ds_read_u8 v26, v15 offset:520
	s_waitcnt lgkmcnt(2)
	v_cmp_lt_i32_e32 vcc, v2, v25
	s_waitcnt lgkmcnt(1)
	v_and_b32_e32 v27, 1, v3
	v_cmp_eq_u32_e64 s[0:1], 1, v27
	s_waitcnt lgkmcnt(0)
	v_cmp_ne_u16_e64 s[2:3], v26, v8
	v_cndmask_b32_e64 v27, 0, 1, s[2:3]
	s_and_b64 vcc, vcc, s[0:1]
	v_cndmask_b32_e32 v27, v27, v24, vcc
	v_and_b32_e32 v27, 1, v27
	v_cmp_eq_u32_e32 vcc, 1, v27
	s_and_saveexec_b64 s[0:1], vcc
	s_cbranch_execz .LBB83_41
; %bb.40:
	ds_write_b32 v16, v25
	ds_write_b32 v17, v2 offset:32
	ds_write_b8 v15, v26 offset:512
	ds_write_b8 v15, v3 offset:520
.LBB83_41:
	s_or_b64 exec, exec, s[0:1]
	s_waitcnt lgkmcnt(0)
	s_barrier
	ds_read_b32 v2, v13
	ds_read_b32 v25, v14 offset:16
	ds_read_u8 v3, v12 offset:512
	ds_read_u8 v26, v12 offset:516
	s_waitcnt lgkmcnt(2)
	v_cmp_lt_i32_e32 vcc, v2, v25
	s_waitcnt lgkmcnt(1)
	v_and_b32_e32 v27, 1, v3
	v_cmp_eq_u32_e64 s[0:1], 1, v27
	s_waitcnt lgkmcnt(0)
	v_cmp_ne_u16_e64 s[2:3], v26, v8
	v_cndmask_b32_e64 v27, 0, 1, s[2:3]
	s_and_b64 vcc, vcc, s[0:1]
	;; [unrolled: 27-line block ×3, first 2 shown]
	v_cndmask_b32_e32 v27, v27, v24, vcc
	v_and_b32_e32 v27, 1, v27
	v_cmp_eq_u32_e32 vcc, 1, v27
	s_and_saveexec_b64 s[0:1], vcc
	s_cbranch_execz .LBB83_45
; %bb.44:
	ds_write_b32 v10, v25
	ds_write_b32 v11, v2 offset:8
	ds_write_b8 v9, v26 offset:512
	ds_write_b8 v9, v3 offset:514
.LBB83_45:
	s_or_b64 exec, exec, s[0:1]
	s_waitcnt lgkmcnt(0)
	s_barrier
	ds_read2_b32 v[2:3], v4 offset1:1
	ds_read_u8 v25, v6 offset:512
	ds_read_u8 v26, v5 offset:513
	s_waitcnt lgkmcnt(2)
	v_cmp_lt_i32_e32 vcc, v2, v3
	s_waitcnt lgkmcnt(1)
	v_and_b32_e32 v27, 1, v25
	v_cmp_eq_u32_e64 s[0:1], 1, v27
	s_waitcnt lgkmcnt(0)
	v_cmp_ne_u16_e64 s[2:3], v26, v8
	v_cndmask_b32_e64 v8, 0, 1, s[2:3]
	s_and_b64 vcc, vcc, s[0:1]
	v_cndmask_b32_e32 v8, v8, v24, vcc
	v_and_b32_e32 v8, 1, v8
	v_cmp_eq_u32_e32 vcc, 1, v8
	s_and_saveexec_b64 s[0:1], vcc
	s_cbranch_execz .LBB83_47
; %bb.46:
	ds_write_b32 v4, v3
	ds_write_b32 v7, v2 offset:4
	ds_write_b8 v6, v26 offset:512
	ds_write_b8 v5, v25 offset:513
.LBB83_47:
	s_or_b64 exec, exec, s[0:1]
	v_and_b32_e32 v8, 63, v0
	v_sub_u32_e32 v25, v1, v8
	v_lshl_add_u32 v24, v25, 2, 4
	v_add_u32_e32 v2, 4, v25
	s_waitcnt lgkmcnt(0)
	s_barrier
	v_mad_i32_i24 v3, v25, 3, v2
	ds_read_b32 v26, v24
	ds_read_b32 v28, v3 offset:256
	ds_read_u8 v27, v2 offset:512
	ds_read_u8 v29, v2 offset:576
	s_waitcnt lgkmcnt(2)
	v_cmp_ge_i32_e32 vcc, v26, v28
	s_waitcnt lgkmcnt(1)
	v_and_b32_e32 v3, 1, v27
	v_cmp_eq_u32_e64 s[0:1], 1, v3
	s_xor_b64 s[0:1], s[0:1], -1
	v_mov_b32_e32 v3, 0
	s_or_b64 s[0:1], vcc, s[0:1]
	s_waitcnt lgkmcnt(0)
	v_cmp_ne_u16_sdwa s[2:3], v29, v3 src0_sel:BYTE_0 src1_sel:DWORD
	s_and_b64 s[2:3], s[0:1], s[2:3]
	s_and_saveexec_b64 s[0:1], s[2:3]
	s_cbranch_execz .LBB83_49
; %bb.48:
	v_mul_i32_i24_e32 v25, 3, v25
	ds_write_b32 v24, v28
	v_add_u32_e32 v24, v2, v25
	ds_write_b32 v24, v26 offset:256
	v_mov_b32_e32 v24, 1
	ds_write_b8 v2, v24 offset:512
	ds_write_b8 v2, v27 offset:576
.LBB83_49:
	s_or_b64 exec, exec, s[0:1]
	s_waitcnt lgkmcnt(0)
	s_barrier
	ds_read_b32 v2, v22
	ds_read_b32 v25, v23 offset:128
	ds_read_u8 v24, v21 offset:512
	ds_read_u8 v26, v21 offset:544
	s_waitcnt lgkmcnt(2)
	v_cmp_ge_i32_e32 vcc, v2, v25
	s_waitcnt lgkmcnt(1)
	v_and_b32_e32 v27, 1, v24
	v_cmp_eq_u32_e64 s[0:1], 1, v27
	s_xor_b64 s[0:1], s[0:1], -1
	s_or_b64 s[0:1], vcc, s[0:1]
	s_waitcnt lgkmcnt(0)
	v_cmp_ne_u16_sdwa s[2:3], v26, v3 src0_sel:BYTE_0 src1_sel:DWORD
	s_and_b64 s[2:3], s[0:1], s[2:3]
	s_and_saveexec_b64 s[0:1], s[2:3]
	s_cbranch_execz .LBB83_51
; %bb.50:
	ds_write_b32 v22, v25
	ds_write_b32 v23, v2 offset:128
	v_mov_b32_e32 v2, 1
	ds_write_b8 v21, v2 offset:512
	ds_write_b8 v21, v24 offset:544
.LBB83_51:
	s_or_b64 exec, exec, s[0:1]
	s_waitcnt lgkmcnt(0)
	s_barrier
	ds_read_b32 v3, v19
	ds_read_b32 v22, v20 offset:64
	ds_read_u8 v21, v18 offset:512
	ds_read_u8 v23, v18 offset:528
	s_waitcnt lgkmcnt(2)
	v_cmp_ge_i32_e32 vcc, v3, v22
	s_waitcnt lgkmcnt(1)
	v_and_b32_e32 v2, 1, v21
	v_cmp_eq_u32_e64 s[0:1], 1, v2
	s_xor_b64 s[0:1], s[0:1], -1
	v_mov_b32_e32 v2, 0
	s_or_b64 s[0:1], vcc, s[0:1]
	s_waitcnt lgkmcnt(0)
	v_cmp_ne_u16_sdwa s[2:3], v23, v2 src0_sel:BYTE_0 src1_sel:DWORD
	s_and_b64 s[2:3], s[0:1], s[2:3]
	s_and_saveexec_b64 s[0:1], s[2:3]
	s_cbranch_execz .LBB83_53
; %bb.52:
	ds_write_b32 v19, v22
	ds_write_b32 v20, v3 offset:64
	v_mov_b32_e32 v3, 1
	ds_write_b8 v18, v3 offset:512
	ds_write_b8 v18, v21 offset:528
.LBB83_53:
	s_or_b64 exec, exec, s[0:1]
	s_waitcnt lgkmcnt(0)
	s_barrier
	ds_read_b32 v3, v16
	ds_read_b32 v19, v17 offset:32
	ds_read_u8 v18, v15 offset:512
	ds_read_u8 v20, v15 offset:520
	s_waitcnt lgkmcnt(2)
	v_cmp_ge_i32_e32 vcc, v3, v19
	s_waitcnt lgkmcnt(1)
	v_and_b32_e32 v21, 1, v18
	v_cmp_eq_u32_e64 s[0:1], 1, v21
	s_xor_b64 s[0:1], s[0:1], -1
	s_or_b64 s[0:1], vcc, s[0:1]
	s_waitcnt lgkmcnt(0)
	v_cmp_ne_u16_sdwa s[2:3], v20, v2 src0_sel:BYTE_0 src1_sel:DWORD
	s_and_b64 s[2:3], s[0:1], s[2:3]
	s_and_saveexec_b64 s[0:1], s[2:3]
	s_cbranch_execz .LBB83_55
; %bb.54:
	v_mov_b32_e32 v2, 1
	ds_write_b32 v16, v19
	ds_write_b32 v17, v3 offset:32
	ds_write_b8 v15, v2 offset:512
	ds_write_b8 v15, v18 offset:520
.LBB83_55:
	s_or_b64 exec, exec, s[0:1]
	s_waitcnt lgkmcnt(0)
	s_barrier
	ds_read_b32 v3, v13
	ds_read_b32 v16, v14 offset:16
	ds_read_u8 v15, v12 offset:512
	ds_read_u8 v17, v12 offset:516
	s_waitcnt lgkmcnt(2)
	v_cmp_ge_i32_e32 vcc, v3, v16
	s_waitcnt lgkmcnt(1)
	v_and_b32_e32 v2, 1, v15
	v_cmp_eq_u32_e64 s[0:1], 1, v2
	s_xor_b64 s[0:1], s[0:1], -1
	v_mov_b32_e32 v2, 0
	s_or_b64 s[0:1], vcc, s[0:1]
	s_waitcnt lgkmcnt(0)
	v_cmp_ne_u16_sdwa s[2:3], v17, v2 src0_sel:BYTE_0 src1_sel:DWORD
	s_and_b64 s[2:3], s[0:1], s[2:3]
	s_and_saveexec_b64 s[0:1], s[2:3]
	s_cbranch_execz .LBB83_57
; %bb.56:
	ds_write_b32 v13, v16
	ds_write_b32 v14, v3 offset:16
	v_mov_b32_e32 v3, 1
	ds_write_b8 v12, v3 offset:512
	ds_write_b8 v12, v15 offset:516
.LBB83_57:
	s_or_b64 exec, exec, s[0:1]
	s_waitcnt lgkmcnt(0)
	s_barrier
	ds_read_b32 v3, v10
	ds_read_b32 v13, v11 offset:8
	ds_read_u8 v12, v9 offset:512
	ds_read_u8 v14, v9 offset:514
	s_waitcnt lgkmcnt(2)
	v_cmp_ge_i32_e32 vcc, v3, v13
	s_waitcnt lgkmcnt(1)
	v_and_b32_e32 v15, 1, v12
	v_cmp_eq_u32_e64 s[0:1], 1, v15
	s_xor_b64 s[0:1], s[0:1], -1
	s_or_b64 s[0:1], vcc, s[0:1]
	s_waitcnt lgkmcnt(0)
	v_cmp_ne_u16_sdwa s[2:3], v14, v2 src0_sel:BYTE_0 src1_sel:DWORD
	s_and_b64 s[2:3], s[0:1], s[2:3]
	s_and_saveexec_b64 s[0:1], s[2:3]
	s_cbranch_execz .LBB83_59
; %bb.58:
	v_mov_b32_e32 v2, 1
	ds_write_b32 v10, v13
	ds_write_b32 v11, v3 offset:8
	ds_write_b8 v9, v2 offset:512
	ds_write_b8 v9, v12 offset:514
.LBB83_59:
	s_or_b64 exec, exec, s[0:1]
	s_waitcnt lgkmcnt(0)
	s_barrier
	ds_read2_b32 v[2:3], v4 offset1:1
	ds_read_u8 v9, v6 offset:512
	ds_read_u8 v10, v5 offset:513
	s_waitcnt lgkmcnt(2)
	v_cmp_ge_i32_e32 vcc, v2, v3
	s_waitcnt lgkmcnt(1)
	v_and_b32_e32 v11, 1, v9
	v_cmp_eq_u32_e64 s[0:1], 1, v11
	s_xor_b64 s[0:1], s[0:1], -1
	v_mov_b32_e32 v11, 0
	s_or_b64 s[0:1], vcc, s[0:1]
	s_waitcnt lgkmcnt(0)
	v_cmp_ne_u16_sdwa s[2:3], v10, v11 src0_sel:BYTE_0 src1_sel:DWORD
	s_and_b64 s[2:3], s[0:1], s[2:3]
	s_and_saveexec_b64 s[0:1], s[2:3]
	s_cbranch_execz .LBB83_61
; %bb.60:
	ds_write_b32 v4, v3
	ds_write_b32 v7, v2 offset:4
	v_mov_b32_e32 v2, 1
	ds_write_b8 v6, v2 offset:512
	ds_write_b8 v5, v9 offset:513
.LBB83_61:
	s_or_b64 exec, exec, s[0:1]
	v_cmp_eq_u32_e32 vcc, 0, v0
	s_waitcnt lgkmcnt(0)
	s_barrier
	s_barrier
	s_and_saveexec_b64 s[0:1], vcc
	s_cbranch_execz .LBB83_63
; %bb.62:
	v_mov_b32_e32 v2, 1
	v_mov_b32_e32 v3, 4
	ds_write_b8 v3, v2 offset:516
	v_mov_b32_e32 v2, 0
	ds_write_b32 v3, v2 offset:512
.LBB83_63:
	s_or_b64 exec, exec, s[0:1]
	ds_read2_b32 v[2:3], v4 offset1:1
	v_mad_u32_u24 v4, v0, 14, v5
	v_cmp_gt_u32_e64 s[2:3], 63, v0
	s_waitcnt lgkmcnt(0)
	v_cmp_ne_u32_e64 s[0:1], v2, v3
	v_cndmask_b32_e64 v5, 0, 1, s[0:1]
	v_cmp_eq_u32_e64 s[0:1], v2, v3
	v_cndmask_b32_e64 v2, 0, 1, s[0:1]
	ds_write_b8 v4, v5 offset:524
	ds_write_b32 v4, v2 offset:520
	s_and_saveexec_b64 s[6:7], s[2:3]
	s_cbranch_execz .LBB83_65
; %bb.64:
	v_lshlrev_b32_e32 v2, 3, v0
	v_sub_u32_e32 v2, v4, v2
	ds_read_b32 v2, v2 offset:8
	s_waitcnt lgkmcnt(0)
	v_cmp_ne_u32_e64 s[0:1], v3, v2
	v_cndmask_b32_e64 v5, 0, 1, s[0:1]
	v_cmp_eq_u32_e64 s[0:1], v3, v2
	v_cndmask_b32_e64 v2, 0, 1, s[0:1]
	ds_write_b8 v4, v5 offset:532
	ds_write_b32 v4, v2 offset:528
.LBB83_65:
	s_or_b64 exec, exec, s[6:7]
	v_cmp_gt_u32_e64 s[0:1], 64, v0
	s_waitcnt lgkmcnt(0)
	s_barrier
	s_and_saveexec_b64 s[8:9], s[0:1]
	s_cbranch_execz .LBB83_67
; %bb.66:
	ds_read_u8 v5, v4 offset:524
	ds_read_u8 v6, v4 offset:516
	ds_read2_b32 v[2:3], v4 offset0:128 offset1:130
	s_waitcnt lgkmcnt(2)
	v_and_b32_e32 v7, 1, v5
	v_cmp_eq_u32_e64 s[6:7], 1, v7
	s_waitcnt lgkmcnt(1)
	v_or_b32_e32 v5, v6, v5
	s_waitcnt lgkmcnt(0)
	v_cndmask_b32_e64 v2, v2, 0, s[6:7]
	v_add_u32_e32 v2, v2, v3
	v_and_b32_e32 v3, 1, v5
	ds_write2_b32 v4, v2, v3 offset0:130 offset1:131
.LBB83_67:
	s_or_b64 exec, exec, s[8:9]
	v_add_u32_e32 v7, 2, v1
	v_lshlrev_b32_e32 v2, 1, v7
	v_cmp_gt_u32_e64 s[6:7], 32, v0
	v_lshl_add_u32 v2, v2, 3, 4
	s_waitcnt lgkmcnt(0)
	s_barrier
	s_and_saveexec_b64 s[8:9], s[6:7]
	s_cbranch_execz .LBB83_69
; %bb.68:
	ds_read_u8 v3, v2 offset:508
	ds_read_u8 v9, v2 offset:492
	ds_read2_b32 v[5:6], v2 offset0:122 offset1:126
	s_waitcnt lgkmcnt(2)
	v_and_b32_e32 v10, 1, v3
	v_cmp_eq_u32_e64 s[6:7], 1, v10
	s_waitcnt lgkmcnt(1)
	v_or_b32_e32 v3, v9, v3
	s_waitcnt lgkmcnt(0)
	v_cndmask_b32_e64 v5, v5, 0, s[6:7]
	v_add_u32_e32 v5, v5, v6
	v_and_b32_e32 v3, 1, v3
	ds_write2_b32 v2, v5, v3 offset0:126 offset1:127
.LBB83_69:
	s_or_b64 exec, exec, s[8:9]
	v_lshlrev_b32_e32 v3, 2, v7
	v_cmp_gt_u32_e64 s[6:7], 16, v0
	v_lshl_add_u32 v3, v3, 3, 4
	s_waitcnt lgkmcnt(0)
	s_barrier
	s_and_saveexec_b64 s[8:9], s[6:7]
	s_cbranch_execz .LBB83_71
; %bb.70:
	ds_read_u8 v9, v3 offset:508
	ds_read_u8 v10, v3 offset:476
	ds_read2_b32 v[5:6], v3 offset0:118 offset1:126
	s_waitcnt lgkmcnt(2)
	v_and_b32_e32 v11, 1, v9
	v_cmp_eq_u32_e64 s[6:7], 1, v11
	s_waitcnt lgkmcnt(1)
	v_or_b32_e32 v9, v10, v9
	s_waitcnt lgkmcnt(0)
	v_cndmask_b32_e64 v5, v5, 0, s[6:7]
	v_add_u32_e32 v5, v5, v6
	v_and_b32_e32 v6, 1, v9
	ds_write2_b32 v3, v5, v6 offset0:126 offset1:127
.LBB83_71:
	s_or_b64 exec, exec, s[8:9]
	;; [unrolled: 23-line block ×5, first 2 shown]
	s_waitcnt lgkmcnt(0)
	s_barrier
	s_and_saveexec_b64 s[8:9], vcc
	s_cbranch_execz .LBB83_79
; %bb.78:
	v_mov_b32_e32 v9, 4
	ds_read_u8 v10, v9 offset:1532
	ds_read_b32 v11, v9 offset:1016
	ds_read_b32 v12, v9 offset:1528
	ds_read_u8 v9, v9 offset:1020
	s_add_i32 s10, 4, 0x5f8
	s_waitcnt lgkmcnt(3)
	v_and_b32_e32 v13, 1, v10
	v_cmp_eq_u32_e64 s[6:7], 1, v13
	s_waitcnt lgkmcnt(2)
	v_cndmask_b32_e64 v11, v11, 0, s[6:7]
	s_waitcnt lgkmcnt(0)
	v_or_b32_e32 v9, v9, v10
	v_add_u32_e32 v11, v11, v12
	v_and_b32_e32 v9, 1, v9
	v_mov_b32_e32 v10, s10
	ds_write2_b32 v10, v11, v9 offset1:1
.LBB83_79:
	s_or_b64 exec, exec, s[8:9]
	s_waitcnt lgkmcnt(0)
	s_barrier
	s_and_saveexec_b64 s[8:9], vcc
	s_cbranch_execz .LBB83_81
; %bb.80:
	ds_read_u8 v11, v7 offset:764
	ds_read_u8 v12, v7 offset:508
	ds_read2_b32 v[9:10], v7 offset0:126 offset1:190
	s_waitcnt lgkmcnt(2)
	v_and_b32_e32 v13, 1, v11
	v_cmp_eq_u32_e64 s[6:7], 1, v13
	s_waitcnt lgkmcnt(1)
	v_or_b32_e32 v11, v12, v11
	s_waitcnt lgkmcnt(0)
	v_cndmask_b32_e64 v9, v9, 0, s[6:7]
	v_add_u32_e32 v9, v9, v10
	v_and_b32_e32 v10, 1, v11
	ds_write2_b32 v7, v9, v10 offset0:190 offset1:191
.LBB83_81:
	s_or_b64 exec, exec, s[8:9]
	v_cmp_gt_u32_e64 s[6:7], 3, v0
	s_waitcnt lgkmcnt(0)
	s_barrier
	s_and_saveexec_b64 s[8:9], s[6:7]
	s_cbranch_execz .LBB83_83
; %bb.82:
	ds_read_u8 v7, v6 offset:636
	ds_read_u8 v11, v6 offset:508
	ds_read2_b32 v[9:10], v6 offset0:126 offset1:158
	s_waitcnt lgkmcnt(2)
	v_and_b32_e32 v12, 1, v7
	v_cmp_eq_u32_e64 s[6:7], 1, v12
	s_waitcnt lgkmcnt(1)
	v_or_b32_e32 v7, v11, v7
	s_waitcnt lgkmcnt(0)
	v_cndmask_b32_e64 v9, v9, 0, s[6:7]
	v_add_u32_e32 v9, v9, v10
	v_and_b32_e32 v7, 1, v7
	ds_write2_b32 v6, v9, v7 offset0:158 offset1:159
.LBB83_83:
	s_or_b64 exec, exec, s[8:9]
	v_cmp_gt_u32_e64 s[6:7], 7, v0
	s_waitcnt lgkmcnt(0)
	s_barrier
	s_and_saveexec_b64 s[8:9], s[6:7]
	;; [unrolled: 21-line block ×4, first 2 shown]
	s_cbranch_execz .LBB83_89
; %bb.88:
	ds_read_u8 v3, v2 offset:524
	ds_read_u8 v7, v2 offset:508
	ds_read2_b32 v[5:6], v2 offset0:126 offset1:130
	s_waitcnt lgkmcnt(2)
	v_and_b32_e32 v9, 1, v3
	v_cmp_eq_u32_e64 s[6:7], 1, v9
	s_waitcnt lgkmcnt(1)
	v_or_b32_e32 v3, v7, v3
	s_waitcnt lgkmcnt(0)
	v_cndmask_b32_e64 v5, v5, 0, s[6:7]
	v_add_u32_e32 v5, v5, v6
	v_and_b32_e32 v3, 1, v3
	ds_write2_b32 v2, v5, v3 offset0:130 offset1:131
.LBB83_89:
	s_or_b64 exec, exec, s[8:9]
	v_lshl_add_u32 v2, v1, 3, 4
	s_waitcnt lgkmcnt(0)
	s_barrier
	s_and_saveexec_b64 s[6:7], s[2:3]
	s_cbranch_execz .LBB83_91
; %bb.90:
	ds_read_u8 v3, v2 offset:532
	ds_read_b32 v5, v4 offset:520
	ds_read_b32 v6, v2 offset:528
	ds_read_u8 v7, v4 offset:524
	s_waitcnt lgkmcnt(3)
	v_and_b32_e32 v9, 1, v3
	v_cmp_eq_u32_e64 s[2:3], 1, v9
	s_waitcnt lgkmcnt(2)
	v_cndmask_b32_e64 v5, v5, 0, s[2:3]
	s_waitcnt lgkmcnt(0)
	v_or_b32_e32 v3, v7, v3
	v_add_u32_e32 v5, v5, v6
	v_and_b32_e32 v3, 1, v3
	ds_write2_b32 v2, v5, v3 offset0:132 offset1:133
.LBB83_91:
	s_or_b64 exec, exec, s[6:7]
	s_waitcnt lgkmcnt(0)
	s_barrier
	ds_read_b32 v2, v2 offset:512
	ds_read_b32 v4, v4 offset:520
	v_or_b32_e32 v3, 1, v1
	v_cmp_gt_u32_e64 s[2:3], s16, v1
	v_cmp_gt_u32_e64 s[6:7], s16, v3
	v_mbcnt_lo_u32_b32 v5, -1, 0
	s_waitcnt lgkmcnt(1)
	v_cndmask_b32_e64 v2, 0, v2, s[2:3]
	s_waitcnt lgkmcnt(0)
	v_cndmask_b32_e64 v4, 0, v4, s[6:7]
	v_mbcnt_hi_u32_b32 v11, -1, v5
	v_mov_b32_e32 v5, 0x80
	v_cndmask_b32_e64 v6, 0, v1, s[2:3]
	v_cndmask_b32_e64 v7, 0, v3, s[6:7]
	v_max_u32_e32 v9, v4, v2
	v_lshl_or_b32 v5, v11, 2, v5
	v_cmp_gt_u32_e64 s[8:9], v4, v2
	ds_bpermute_b32 v10, v5, v9
	v_cndmask_b32_e64 v2, v6, v7, s[8:9]
	ds_bpermute_b32 v4, v5, v2
	v_and_b32_e32 v12, 63, v11
	v_cmp_gt_u32_e64 s[8:9], 48, v12
	v_cndmask_b32_e64 v6, 0, 16, s[8:9]
	s_waitcnt lgkmcnt(1)
	v_max_u32_e32 v13, v10, v9
	v_add_lshl_u32 v6, v6, v11, 2
	v_cmp_gt_u32_e64 s[8:9], v10, v9
	ds_bpermute_b32 v14, v6, v13
	s_waitcnt lgkmcnt(1)
	v_cndmask_b32_e64 v2, v2, v4, s[8:9]
	ds_bpermute_b32 v4, v6, v2
	v_cmp_gt_u32_e64 s[8:9], 56, v12
	v_cndmask_b32_e64 v7, 0, 8, s[8:9]
	s_waitcnt lgkmcnt(1)
	v_max_u32_e32 v10, v14, v13
	v_add_lshl_u32 v7, v7, v11, 2
	v_cmp_gt_u32_e64 s[8:9], v14, v13
	ds_bpermute_b32 v15, v7, v10
	s_waitcnt lgkmcnt(1)
	v_cndmask_b32_e64 v2, v2, v4, s[8:9]
	ds_bpermute_b32 v4, v7, v2
	;; [unrolled: 10-line block ×4, first 2 shown]
	s_waitcnt lgkmcnt(0)
	s_barrier
	v_cmp_gt_u32_e64 s[8:9], v16, v15
	v_max_u32_e32 v2, v16, v15
	v_cndmask_b32_e64 v4, v4, v13, s[8:9]
	v_cmp_ne_u32_e64 s[8:9], 63, v12
	v_addc_co_u32_e64 v11, s[8:9], 0, v11, s[8:9]
	v_lshlrev_b32_e32 v11, 2, v11
	ds_bpermute_b32 v12, v11, v4
	ds_bpermute_b32 v13, v11, v2
	v_cmp_eq_u32_e64 s[8:9], 0, v8
	s_waitcnt lgkmcnt(0)
	s_barrier
	s_and_saveexec_b64 s[12:13], s[8:9]
	s_cbranch_execz .LBB83_93
; %bb.92:
	v_lshrrev_b32_e32 v14, 3, v0
	v_cmp_gt_u32_e64 s[10:11], v13, v2
	v_add_u32_e32 v14, 4, v14
	v_cndmask_b32_e64 v4, v4, v12, s[10:11]
	v_max_u32_e32 v2, v13, v2
	ds_write2_b32 v14, v2, v4 offset0:128 offset1:129
.LBB83_93:
	s_or_b64 exec, exec, s[12:13]
	s_lshr_b32 s10, s18, 6
	v_cmp_gt_u32_e64 s[10:11], s10, v0
	v_lshl_add_u32 v12, v8, 3, 4
	v_mov_b32_e32 v2, 0
	v_mov_b32_e32 v4, 0
	s_waitcnt lgkmcnt(0)
	s_barrier
	s_and_saveexec_b64 s[12:13], s[10:11]
	s_cbranch_execnz .LBB83_108
; %bb.94:
	s_or_b64 exec, exec, s[12:13]
	s_and_saveexec_b64 s[12:13], s[10:11]
	s_cbranch_execnz .LBB83_109
.LBB83_95:
	s_or_b64 exec, exec, s[12:13]
	s_and_saveexec_b64 s[18:19], s[0:1]
	s_cbranch_execnz .LBB83_110
.LBB83_96:
	s_or_b64 exec, exec, s[18:19]
	s_and_saveexec_b64 s[12:13], vcc
	s_cbranch_execz .LBB83_98
.LBB83_97:
	s_waitcnt lgkmcnt(0)
	v_lshl_add_u32 v2, v2, 2, 4
	ds_read_b32 v2, v2
	v_mov_b32_e32 v4, 0
	s_waitcnt lgkmcnt(0)
	ds_write_b32 v4, v2
.LBB83_98:
	s_or_b64 exec, exec, s[12:13]
	s_waitcnt lgkmcnt(0)
	v_mov_b32_e32 v2, 0
	v_cmp_gt_i64_e64 s[12:13], s[16:17], v[1:2]
	v_mov_b32_e32 v13, 0
	s_barrier
	s_and_saveexec_b64 s[18:19], s[12:13]
	s_cbranch_execz .LBB83_100
; %bb.99:
	v_add_u32_e32 v13, s21, v1
	v_mov_b32_e32 v14, 0
	v_lshlrev_b64 v[15:16], 2, v[13:14]
	v_mov_b32_e32 v4, s15
	v_add_co_u32_e64 v15, s[12:13], s14, v15
	v_addc_co_u32_e64 v16, s[12:13], v4, v16, s[12:13]
	global_load_dword v4, v[15:16], off
	ds_read_b32 v13, v14
	s_waitcnt vmcnt(0) lgkmcnt(0)
	v_cmp_eq_u32_e64 s[12:13], v4, v13
	v_cndmask_b32_e64 v13, 0, v1, s[12:13]
.LBB83_100:
	s_or_b64 exec, exec, s[18:19]
	v_mov_b32_e32 v4, v2
	v_cmp_gt_i64_e64 s[12:13], s[16:17], v[3:4]
	s_and_saveexec_b64 s[16:17], s[12:13]
	s_cbranch_execz .LBB83_102
; %bb.101:
	v_add_u32_e32 v1, s21, v3
	v_mov_b32_e32 v2, 0
	v_lshlrev_b64 v[14:15], 2, v[1:2]
	v_mov_b32_e32 v1, s15
	v_add_co_u32_e64 v14, s[12:13], s14, v14
	v_addc_co_u32_e64 v15, s[12:13], v1, v15, s[12:13]
	global_load_dword v1, v[14:15], off
	ds_read_b32 v2, v2
	s_waitcnt vmcnt(0) lgkmcnt(0)
	v_cmp_eq_u32_e64 s[12:13], v1, v2
	v_cndmask_b32_e64 v2, 0, v3, s[12:13]
.LBB83_102:
	s_or_b64 exec, exec, s[16:17]
	v_cndmask_b32_e64 v1, 0, v13, s[2:3]
	v_max_u32_e32 v2, v2, v1
	v_cndmask_b32_e64 v1, v1, v2, s[6:7]
	ds_bpermute_b32 v2, v5, v1
	s_waitcnt lgkmcnt(0)
	s_barrier
	v_max_u32_e32 v1, v2, v1
	ds_bpermute_b32 v2, v6, v1
	s_waitcnt lgkmcnt(0)
	v_max_u32_e32 v1, v2, v1
	ds_bpermute_b32 v2, v7, v1
	s_waitcnt lgkmcnt(0)
	;; [unrolled: 3-line block ×4, first 2 shown]
	v_max_u32_e32 v1, v2, v1
	ds_bpermute_b32 v2, v11, v1
	s_and_saveexec_b64 s[2:3], s[8:9]
	s_cbranch_execz .LBB83_104
; %bb.103:
	v_lshrrev_b32_e32 v0, 4, v0
	v_add_u32_e32 v0, 4, v0
	s_waitcnt lgkmcnt(0)
	v_max_u32_e32 v1, v2, v1
	ds_write_b32 v0, v1
.LBB83_104:
	s_or_b64 exec, exec, s[2:3]
	v_mov_b32_e32 v0, 0
	s_waitcnt lgkmcnt(0)
	s_barrier
	s_and_saveexec_b64 s[2:3], s[10:11]
	s_cbranch_execnz .LBB83_111
; %bb.105:
	s_or_b64 exec, exec, s[2:3]
	s_and_saveexec_b64 s[2:3], s[0:1]
	s_cbranch_execnz .LBB83_112
.LBB83_106:
	s_or_b64 exec, exec, s[2:3]
	s_and_saveexec_b64 s[0:1], vcc
	s_cbranch_execnz .LBB83_113
.LBB83_107:
	s_endpgm
.LBB83_108:
	ds_read_b32 v4, v12 offset:512
	s_or_b64 exec, exec, s[12:13]
	s_and_saveexec_b64 s[12:13], s[10:11]
	s_cbranch_execz .LBB83_95
.LBB83_109:
	ds_read_b32 v2, v12 offset:516
	s_or_b64 exec, exec, s[12:13]
	s_and_saveexec_b64 s[18:19], s[0:1]
	s_cbranch_execz .LBB83_96
.LBB83_110:
	s_waitcnt lgkmcnt(0)
	ds_bpermute_b32 v13, v5, v4
	ds_bpermute_b32 v14, v5, v2
	s_waitcnt lgkmcnt(1)
	v_max_u32_e32 v15, v13, v4
	v_cmp_gt_u32_e64 s[12:13], v13, v4
	ds_bpermute_b32 v16, v6, v15
	s_waitcnt lgkmcnt(1)
	v_cndmask_b32_e64 v2, v2, v14, s[12:13]
	ds_bpermute_b32 v4, v6, v2
	s_waitcnt lgkmcnt(1)
	v_max_u32_e32 v13, v16, v15
	v_cmp_gt_u32_e64 s[12:13], v16, v15
	ds_bpermute_b32 v14, v7, v13
	s_waitcnt lgkmcnt(1)
	v_cndmask_b32_e64 v2, v2, v4, s[12:13]
	;; [unrolled: 7-line block ×4, first 2 shown]
	ds_bpermute_b32 v4, v10, v2
	s_waitcnt lgkmcnt(1)
	v_max_u32_e32 v15, v14, v13
	v_cmp_gt_u32_e64 s[12:13], v14, v13
	s_waitcnt lgkmcnt(0)
	v_cndmask_b32_e64 v2, v2, v4, s[12:13]
	ds_bpermute_b32 v4, v11, v15
	ds_bpermute_b32 v13, v11, v2
	s_waitcnt lgkmcnt(1)
	v_cmp_gt_u32_e64 s[12:13], v4, v15
	s_waitcnt lgkmcnt(0)
	v_cndmask_b32_e64 v2, v2, v13, s[12:13]
	s_or_b64 exec, exec, s[18:19]
	s_and_saveexec_b64 s[12:13], vcc
	s_cbranch_execnz .LBB83_97
	s_branch .LBB83_98
.LBB83_111:
	v_lshlrev_b32_e32 v0, 2, v8
	v_sub_u32_e32 v0, v12, v0
	ds_read_b32 v0, v0
	s_or_b64 exec, exec, s[2:3]
	s_and_saveexec_b64 s[2:3], s[0:1]
	s_cbranch_execz .LBB83_106
.LBB83_112:
	s_waitcnt lgkmcnt(0)
	ds_bpermute_b32 v1, v5, v0
	s_waitcnt lgkmcnt(0)
	v_max_u32_e32 v0, v1, v0
	ds_bpermute_b32 v1, v6, v0
	s_waitcnt lgkmcnt(0)
	v_max_u32_e32 v0, v1, v0
	;; [unrolled: 3-line block ×6, first 2 shown]
	s_or_b64 exec, exec, s[2:3]
	s_and_saveexec_b64 s[0:1], vcc
	s_cbranch_execz .LBB83_107
.LBB83_113:
	s_load_dword s6, s[4:5], 0xd8
	s_load_dwordx2 s[0:1], s[4:5], 0xe0
	s_add_u32 s2, s4, 8
	s_addc_u32 s3, s5, 0
	s_mov_b32 s5, 0
	s_waitcnt lgkmcnt(0)
	s_cmp_lt_i32 s6, 2
	s_cbranch_scc1 .LBB83_116
; %bb.114:
	s_add_i32 s4, s6, -1
	s_add_i32 s8, s6, 1
	s_lshl_b64 s[6:7], s[4:5], 2
	s_add_u32 s4, s2, s6
	s_addc_u32 s7, s3, s7
	s_add_u32 s6, s4, 8
	s_addc_u32 s7, s7, 0
.LBB83_115:                             ; =>This Inner Loop Header: Depth=1
	s_load_dword s4, s[6:7], 0x0
	s_load_dword s10, s[6:7], 0x64
	s_mov_b32 s9, s20
	s_waitcnt lgkmcnt(0)
	v_cvt_f32_u32_e32 v1, s4
	s_sub_i32 s11, 0, s4
	v_rcp_iflag_f32_e32 v1, v1
	v_mul_f32_e32 v1, 0x4f7ffffe, v1
	v_cvt_u32_f32_e32 v1, v1
	v_readfirstlane_b32 s12, v1
	s_mul_i32 s11, s11, s12
	s_mul_hi_u32 s11, s12, s11
	s_add_i32 s12, s12, s11
	s_mul_hi_u32 s11, s20, s12
	s_mul_i32 s12, s11, s4
	s_sub_i32 s12, s20, s12
	s_add_i32 s13, s11, 1
	s_sub_i32 s14, s12, s4
	s_cmp_ge_u32 s12, s4
	s_cselect_b32 s11, s13, s11
	s_cselect_b32 s12, s14, s12
	s_add_i32 s13, s11, 1
	s_cmp_ge_u32 s12, s4
	s_cselect_b32 s20, s13, s11
	s_mul_i32 s4, s20, s4
	s_sub_i32 s4, s9, s4
	s_mul_i32 s4, s10, s4
	s_add_i32 s8, s8, -1
	s_add_i32 s5, s4, s5
	s_add_u32 s6, s6, -4
	s_addc_u32 s7, s7, -1
	s_cmp_gt_u32 s8, 2
	s_cbranch_scc1 .LBB83_115
.LBB83_116:
	s_load_dword s4, s[2:3], 0x6c
	v_mov_b32_e32 v1, 0
	s_load_dwordx2 s[2:3], s[2:3], 0x0
	ds_read_b32 v2, v1
	s_mov_b32 s7, 0
	s_waitcnt lgkmcnt(0)
	s_mul_i32 s4, s4, s20
	s_add_i32 s6, s4, s5
	s_lshl_b64 s[4:5], s[6:7], 2
	s_add_u32 s2, s2, s4
	s_addc_u32 s3, s3, s5
	global_store_dword v1, v2, s[2:3]
	s_lshl_b64 s[2:3], s[6:7], 3
	s_add_u32 s0, s0, s2
	s_addc_u32 s1, s1, s3
	global_store_dwordx2 v1, v[0:1], s[0:1]
	s_endpgm
	.section	.rodata,"a",@progbits
	.p2align	6, 0x0
	.amdhsa_kernel _ZN2at6native12compute_modeIiLj128EEEvPKT_NS_4cuda6detail10TensorInfoIS2_jEENS7_IljEEll
		.amdhsa_group_segment_fixed_size 4
		.amdhsa_private_segment_fixed_size 0
		.amdhsa_kernarg_size 712
		.amdhsa_user_sgpr_count 6
		.amdhsa_user_sgpr_private_segment_buffer 1
		.amdhsa_user_sgpr_dispatch_ptr 0
		.amdhsa_user_sgpr_queue_ptr 0
		.amdhsa_user_sgpr_kernarg_segment_ptr 1
		.amdhsa_user_sgpr_dispatch_id 0
		.amdhsa_user_sgpr_flat_scratch_init 0
		.amdhsa_user_sgpr_private_segment_size 0
		.amdhsa_uses_dynamic_stack 0
		.amdhsa_system_sgpr_private_segment_wavefront_offset 0
		.amdhsa_system_sgpr_workgroup_id_x 1
		.amdhsa_system_sgpr_workgroup_id_y 1
		.amdhsa_system_sgpr_workgroup_id_z 1
		.amdhsa_system_sgpr_workgroup_info 0
		.amdhsa_system_vgpr_workitem_id 0
		.amdhsa_next_free_vgpr 30
		.amdhsa_next_free_sgpr 22
		.amdhsa_reserve_vcc 1
		.amdhsa_reserve_flat_scratch 0
		.amdhsa_float_round_mode_32 0
		.amdhsa_float_round_mode_16_64 0
		.amdhsa_float_denorm_mode_32 3
		.amdhsa_float_denorm_mode_16_64 3
		.amdhsa_dx10_clamp 1
		.amdhsa_ieee_mode 1
		.amdhsa_fp16_overflow 0
		.amdhsa_exception_fp_ieee_invalid_op 0
		.amdhsa_exception_fp_denorm_src 0
		.amdhsa_exception_fp_ieee_div_zero 0
		.amdhsa_exception_fp_ieee_overflow 0
		.amdhsa_exception_fp_ieee_underflow 0
		.amdhsa_exception_fp_ieee_inexact 0
		.amdhsa_exception_int_div_zero 0
	.end_amdhsa_kernel
	.section	.text._ZN2at6native12compute_modeIiLj128EEEvPKT_NS_4cuda6detail10TensorInfoIS2_jEENS7_IljEEll,"axG",@progbits,_ZN2at6native12compute_modeIiLj128EEEvPKT_NS_4cuda6detail10TensorInfoIS2_jEENS7_IljEEll,comdat
.Lfunc_end83:
	.size	_ZN2at6native12compute_modeIiLj128EEEvPKT_NS_4cuda6detail10TensorInfoIS2_jEENS7_IljEEll, .Lfunc_end83-_ZN2at6native12compute_modeIiLj128EEEvPKT_NS_4cuda6detail10TensorInfoIS2_jEENS7_IljEEll
                                        ; -- End function
	.set _ZN2at6native12compute_modeIiLj128EEEvPKT_NS_4cuda6detail10TensorInfoIS2_jEENS7_IljEEll.num_vgpr, 30
	.set _ZN2at6native12compute_modeIiLj128EEEvPKT_NS_4cuda6detail10TensorInfoIS2_jEENS7_IljEEll.num_agpr, 0
	.set _ZN2at6native12compute_modeIiLj128EEEvPKT_NS_4cuda6detail10TensorInfoIS2_jEENS7_IljEEll.numbered_sgpr, 22
	.set _ZN2at6native12compute_modeIiLj128EEEvPKT_NS_4cuda6detail10TensorInfoIS2_jEENS7_IljEEll.num_named_barrier, 0
	.set _ZN2at6native12compute_modeIiLj128EEEvPKT_NS_4cuda6detail10TensorInfoIS2_jEENS7_IljEEll.private_seg_size, 0
	.set _ZN2at6native12compute_modeIiLj128EEEvPKT_NS_4cuda6detail10TensorInfoIS2_jEENS7_IljEEll.uses_vcc, 1
	.set _ZN2at6native12compute_modeIiLj128EEEvPKT_NS_4cuda6detail10TensorInfoIS2_jEENS7_IljEEll.uses_flat_scratch, 0
	.set _ZN2at6native12compute_modeIiLj128EEEvPKT_NS_4cuda6detail10TensorInfoIS2_jEENS7_IljEEll.has_dyn_sized_stack, 0
	.set _ZN2at6native12compute_modeIiLj128EEEvPKT_NS_4cuda6detail10TensorInfoIS2_jEENS7_IljEEll.has_recursion, 0
	.set _ZN2at6native12compute_modeIiLj128EEEvPKT_NS_4cuda6detail10TensorInfoIS2_jEENS7_IljEEll.has_indirect_call, 0
	.section	.AMDGPU.csdata,"",@progbits
; Kernel info:
; codeLenInByte = 8204
; TotalNumSgprs: 26
; NumVgprs: 30
; ScratchSize: 0
; MemoryBound: 0
; FloatMode: 240
; IeeeMode: 1
; LDSByteSize: 4 bytes/workgroup (compile time only)
; SGPRBlocks: 3
; VGPRBlocks: 7
; NumSGPRsForWavesPerEU: 26
; NumVGPRsForWavesPerEU: 30
; Occupancy: 8
; WaveLimiterHint : 1
; COMPUTE_PGM_RSRC2:SCRATCH_EN: 0
; COMPUTE_PGM_RSRC2:USER_SGPR: 6
; COMPUTE_PGM_RSRC2:TRAP_HANDLER: 0
; COMPUTE_PGM_RSRC2:TGID_X_EN: 1
; COMPUTE_PGM_RSRC2:TGID_Y_EN: 1
; COMPUTE_PGM_RSRC2:TGID_Z_EN: 1
; COMPUTE_PGM_RSRC2:TIDIG_COMP_CNT: 0
	.section	.text._ZN2at6native12compute_modeIlLj2048EEEvPKT_NS_4cuda6detail10TensorInfoIS2_jEENS7_IljEEll,"axG",@progbits,_ZN2at6native12compute_modeIlLj2048EEEvPKT_NS_4cuda6detail10TensorInfoIS2_jEENS7_IljEEll,comdat
	.protected	_ZN2at6native12compute_modeIlLj2048EEEvPKT_NS_4cuda6detail10TensorInfoIS2_jEENS7_IljEEll ; -- Begin function _ZN2at6native12compute_modeIlLj2048EEEvPKT_NS_4cuda6detail10TensorInfoIS2_jEENS7_IljEEll
	.globl	_ZN2at6native12compute_modeIlLj2048EEEvPKT_NS_4cuda6detail10TensorInfoIS2_jEENS7_IljEEll
	.p2align	8
	.type	_ZN2at6native12compute_modeIlLj2048EEEvPKT_NS_4cuda6detail10TensorInfoIS2_jEENS7_IljEEll,@function
_ZN2at6native12compute_modeIlLj2048EEEvPKT_NS_4cuda6detail10TensorInfoIS2_jEENS7_IljEEll: ; @_ZN2at6native12compute_modeIlLj2048EEEvPKT_NS_4cuda6detail10TensorInfoIS2_jEENS7_IljEEll
; %bb.0:
	s_load_dwordx2 s[2:3], s[4:5], 0x1c8
	s_load_dwordx4 s[16:19], s[4:5], 0x1b8
	s_add_u32 s0, s4, 0x1c8
	s_addc_u32 s1, s5, 0
	v_mov_b32_e32 v2, 0
	s_waitcnt lgkmcnt(0)
	s_mul_i32 s3, s3, s8
	s_add_i32 s3, s3, s7
	s_mul_i32 s2, s3, s2
	s_add_i32 s20, s2, s6
	v_mov_b32_e32 v1, s20
	v_cmp_le_i64_e32 vcc, s[18:19], v[1:2]
	s_cbranch_vccnz .LBB84_197
; %bb.1:
	s_load_dwordx2 s[14:15], s[4:5], 0x0
	s_load_dword s6, s[0:1], 0xc
	v_mov_b32_e32 v1, v2
	v_cmp_gt_i64_e32 vcc, s[16:17], v[0:1]
	s_mul_i32 s21, s20, s16
	v_lshl_add_u32 v17, v0, 3, 8
	s_and_saveexec_b64 s[2:3], vcc
	s_cbranch_execz .LBB84_3
; %bb.2:
	v_add_u32_e32 v1, s21, v0
	v_lshlrev_b64 v[3:4], 3, v[1:2]
	s_waitcnt lgkmcnt(0)
	v_mov_b32_e32 v1, s15
	v_add_co_u32_e64 v3, s[0:1], s14, v3
	v_addc_co_u32_e64 v4, s[0:1], v1, v4, s[0:1]
	global_load_dwordx2 v[3:4], v[3:4], off
	s_waitcnt vmcnt(0)
	ds_write_b64 v17, v[3:4]
.LBB84_3:
	s_or_b64 exec, exec, s[2:3]
	s_waitcnt lgkmcnt(0)
	s_and_b32 s18, 0xffff, s6
	v_add_u32_e32 v1, s18, v0
	v_cmp_gt_i64_e64 s[0:1], s[16:17], v[1:2]
	s_and_saveexec_b64 s[6:7], s[0:1]
	s_cbranch_execz .LBB84_5
; %bb.4:
	v_add_u32_e32 v2, s21, v1
	v_mov_b32_e32 v3, 0
	v_lshlrev_b64 v[2:3], 3, v[2:3]
	v_mov_b32_e32 v4, s15
	v_add_co_u32_e64 v2, s[2:3], s14, v2
	v_addc_co_u32_e64 v3, s[2:3], v4, v3, s[2:3]
	global_load_dwordx2 v[2:3], v[2:3], off
	v_lshl_add_u32 v1, v1, 3, 8
	s_waitcnt vmcnt(0)
	ds_write_b64 v1, v[2:3]
.LBB84_5:
	s_or_b64 exec, exec, s[6:7]
	v_add_u32_e32 v18, 8, v0
	v_mad_u32_u24 v6, v0, 15, v18
	v_cndmask_b32_e64 v1, 0, 1, vcc
	v_mad_i32_i24 v5, v0, -14, v6
	ds_write_b8 v18, v1 offset:16384
	v_add_u32_e32 v1, s18, v18
	v_cndmask_b32_e64 v2, 0, 1, s[0:1]
	v_mad_u32_u24 v8, v0, 14, v5
	ds_write_b8 v1, v2 offset:16384
	s_waitcnt lgkmcnt(0)
	s_barrier
	s_barrier
	ds_read2_b64 v[1:4], v6 offset1:1
	ds_read_u8 v5, v5 offset:16384
	v_mad_i32_i24 v7, v0, -14, v8
	ds_read_u8 v7, v7 offset:16385
	v_and_b32_e32 v11, 1, v0
	s_waitcnt lgkmcnt(2)
	v_cmp_lt_i64_e32 vcc, v[1:2], v[3:4]
	s_waitcnt lgkmcnt(1)
	v_and_b32_e32 v9, 1, v5
	v_cmp_eq_u32_e64 s[0:1], 1, v9
	s_waitcnt lgkmcnt(0)
	v_cmp_ne_u16_e64 s[2:3], v7, v11
	v_cndmask_b32_e64 v9, 0, 1, s[2:3]
	s_and_b64 vcc, vcc, s[0:1]
	v_cndmask_b32_e32 v9, v9, v0, vcc
	v_mul_i32_i24_e32 v10, -14, v0
	v_and_b32_e32 v9, 1, v9
	v_cmp_eq_u32_e32 vcc, 1, v9
	v_add_u32_e32 v9, v6, v10
	v_add_u32_e32 v10, v8, v10
	s_and_saveexec_b64 s[0:1], vcc
	s_cbranch_execz .LBB84_7
; %bb.6:
	ds_write_b64 v6, v[3:4]
	ds_write_b64 v8, v[1:2] offset:8
	ds_write_b8 v9, v7 offset:16384
	ds_write_b8 v10, v5 offset:16385
.LBB84_7:
	s_or_b64 exec, exec, s[0:1]
	v_lshlrev_b32_e32 v5, 1, v0
	v_sub_u32_e32 v13, v5, v11
	v_add_u32_e32 v11, 8, v13
	v_lshl_add_u32 v12, v13, 3, 8
	v_mad_i32_i24 v3, v13, 7, v11
	s_waitcnt lgkmcnt(0)
	s_barrier
	ds_read_b64 v[1:2], v12
	ds_read_b64 v[3:4], v3 offset:16
	ds_read_u8 v14, v11 offset:16384
	ds_read_u8 v15, v11 offset:16386
	v_bfe_u32 v16, v0, 1, 1
	v_and_b32_e32 v7, 2, v0
	s_waitcnt lgkmcnt(2)
	v_cmp_lt_i64_e64 s[0:1], v[1:2], v[3:4]
	s_waitcnt lgkmcnt(1)
	v_and_b32_e32 v19, 1, v14
	v_cmp_eq_u32_e64 s[2:3], 1, v19
	s_waitcnt lgkmcnt(0)
	v_cmp_ne_u16_e64 s[6:7], v15, v16
	v_cndmask_b32_e64 v19, 0, 1, s[6:7]
	s_and_b64 s[0:1], s[0:1], s[2:3]
	v_cndmask_b32_e64 v16, v19, v16, s[0:1]
	v_mul_i32_i24_e32 v13, 7, v13
	v_and_b32_e32 v16, 1, v16
	v_cmp_ne_u32_e32 vcc, 0, v7
	v_cmp_eq_u32_e64 s[0:1], 1, v16
	v_add_u32_e32 v13, v11, v13
	s_and_saveexec_b64 s[2:3], s[0:1]
	s_xor_b64 s[0:1], exec, s[2:3]
	s_cbranch_execz .LBB84_9
; %bb.8:
	ds_write_b64 v12, v[3:4]
	ds_write_b64 v13, v[1:2] offset:16
	ds_write_b8 v11, v15 offset:16384
	ds_write_b8 v11, v14 offset:16386
.LBB84_9:
	s_or_b64 exec, exec, s[0:1]
	s_waitcnt lgkmcnt(0)
	s_barrier
	ds_read2_b64 v[1:4], v6 offset1:1
	ds_read_u8 v14, v9 offset:16384
	ds_read_u8 v15, v10 offset:16385
	v_lshrrev_b32_e32 v7, 1, v7
	s_waitcnt lgkmcnt(2)
	v_cmp_lt_i64_e64 s[0:1], v[1:2], v[3:4]
	s_waitcnt lgkmcnt(1)
	v_and_b32_e32 v16, 1, v14
	v_cmp_eq_u32_e64 s[2:3], 1, v16
	s_waitcnt lgkmcnt(0)
	v_cmp_ne_u16_e64 s[6:7], v15, v7
	v_cndmask_b32_e64 v7, 0, 1, s[6:7]
	v_cndmask_b32_e64 v16, 0, 1, vcc
	s_and_b64 vcc, s[0:1], s[2:3]
	v_cndmask_b32_e32 v7, v7, v16, vcc
	v_and_b32_e32 v7, 1, v7
	v_cmp_eq_u32_e32 vcc, 1, v7
	s_and_saveexec_b64 s[0:1], vcc
	s_cbranch_execz .LBB84_11
; %bb.10:
	ds_write_b64 v6, v[3:4]
	ds_write_b64 v8, v[1:2] offset:8
	ds_write_b8 v9, v15 offset:16384
	ds_write_b8 v10, v14 offset:16385
.LBB84_11:
	s_or_b64 exec, exec, s[0:1]
	v_and_b32_e32 v1, 3, v0
	v_sub_u32_e32 v16, v5, v1
	v_add_u32_e32 v14, 8, v16
	v_lshl_add_u32 v15, v16, 3, 8
	v_mad_i32_i24 v3, v16, 7, v14
	s_waitcnt lgkmcnt(0)
	s_barrier
	ds_read_b64 v[1:2], v15
	ds_read_b64 v[3:4], v3 offset:32
	ds_read_u8 v19, v14 offset:16384
	ds_read_u8 v20, v14 offset:16388
	v_bfe_u32 v21, v0, 2, 1
	v_and_b32_e32 v7, 4, v0
	s_waitcnt lgkmcnt(2)
	v_cmp_lt_i64_e64 s[0:1], v[1:2], v[3:4]
	s_waitcnt lgkmcnt(1)
	v_and_b32_e32 v22, 1, v19
	v_cmp_eq_u32_e64 s[2:3], 1, v22
	s_waitcnt lgkmcnt(0)
	v_cmp_ne_u16_e64 s[6:7], v20, v21
	v_cndmask_b32_e64 v22, 0, 1, s[6:7]
	s_and_b64 s[0:1], s[0:1], s[2:3]
	v_cndmask_b32_e64 v21, v22, v21, s[0:1]
	v_mul_i32_i24_e32 v16, 7, v16
	v_and_b32_e32 v21, 1, v21
	v_cmp_ne_u32_e32 vcc, 0, v7
	v_cmp_eq_u32_e64 s[0:1], 1, v21
	v_add_u32_e32 v16, v14, v16
	s_and_saveexec_b64 s[2:3], s[0:1]
	s_cbranch_execz .LBB84_13
; %bb.12:
	ds_write_b64 v15, v[3:4]
	ds_write_b64 v16, v[1:2] offset:32
	ds_write_b8 v14, v20 offset:16384
	ds_write_b8 v14, v19 offset:16388
.LBB84_13:
	s_or_b64 exec, exec, s[2:3]
	s_waitcnt lgkmcnt(0)
	s_barrier
	ds_read_b64 v[1:2], v12
	ds_read_b64 v[3:4], v13 offset:16
	ds_read_u8 v20, v11 offset:16384
	ds_read_u8 v21, v11 offset:16386
	v_lshrrev_b32_e32 v7, 2, v7
	s_waitcnt lgkmcnt(2)
	v_cmp_lt_i64_e64 s[0:1], v[1:2], v[3:4]
	s_waitcnt lgkmcnt(1)
	v_and_b32_e32 v19, 1, v20
	v_cmp_eq_u32_e64 s[2:3], 1, v19
	s_waitcnt lgkmcnt(0)
	v_cmp_ne_u16_e64 s[6:7], v21, v7
	v_cndmask_b32_e64 v22, 0, 1, s[6:7]
	v_cndmask_b32_e64 v19, 0, 1, vcc
	s_and_b64 vcc, s[0:1], s[2:3]
	v_cndmask_b32_e32 v22, v22, v19, vcc
	v_and_b32_e32 v22, 1, v22
	v_cmp_eq_u32_e32 vcc, 1, v22
	s_and_saveexec_b64 s[0:1], vcc
	s_cbranch_execz .LBB84_15
; %bb.14:
	ds_write_b64 v12, v[3:4]
	ds_write_b64 v13, v[1:2] offset:16
	ds_write_b8 v11, v21 offset:16384
	ds_write_b8 v11, v20 offset:16386
.LBB84_15:
	s_or_b64 exec, exec, s[0:1]
	s_waitcnt lgkmcnt(0)
	s_barrier
	ds_read2_b64 v[1:4], v6 offset1:1
	ds_read_u8 v20, v9 offset:16384
	ds_read_u8 v21, v10 offset:16385
	s_waitcnt lgkmcnt(2)
	v_cmp_lt_i64_e32 vcc, v[1:2], v[3:4]
	s_waitcnt lgkmcnt(1)
	v_and_b32_e32 v22, 1, v20
	v_cmp_eq_u32_e64 s[0:1], 1, v22
	s_waitcnt lgkmcnt(0)
	v_cmp_ne_u16_e64 s[2:3], v21, v7
	v_cndmask_b32_e64 v7, 0, 1, s[2:3]
	s_and_b64 vcc, vcc, s[0:1]
	v_cndmask_b32_e32 v7, v7, v19, vcc
	v_and_b32_e32 v7, 1, v7
	v_cmp_eq_u32_e32 vcc, 1, v7
	s_and_saveexec_b64 s[0:1], vcc
	s_cbranch_execz .LBB84_17
; %bb.16:
	ds_write_b64 v6, v[3:4]
	ds_write_b64 v8, v[1:2] offset:8
	ds_write_b8 v9, v21 offset:16384
	ds_write_b8 v10, v20 offset:16385
.LBB84_17:
	s_or_b64 exec, exec, s[0:1]
	v_and_b32_e32 v1, 7, v0
	v_sub_u32_e32 v21, v5, v1
	v_add_u32_e32 v19, 8, v21
	v_lshl_add_u32 v20, v21, 3, 8
	v_mad_i32_i24 v3, v21, 7, v19
	s_waitcnt lgkmcnt(0)
	s_barrier
	ds_read_b64 v[1:2], v20
	ds_read_b64 v[3:4], v3 offset:64
	ds_read_u8 v22, v19 offset:16384
	ds_read_u8 v23, v19 offset:16392
	v_bfe_u32 v24, v0, 3, 1
	v_and_b32_e32 v7, 8, v0
	s_waitcnt lgkmcnt(2)
	v_cmp_lt_i64_e64 s[0:1], v[1:2], v[3:4]
	s_waitcnt lgkmcnt(1)
	v_and_b32_e32 v25, 1, v22
	v_cmp_eq_u32_e64 s[2:3], 1, v25
	s_waitcnt lgkmcnt(0)
	v_cmp_ne_u16_e64 s[6:7], v23, v24
	v_cndmask_b32_e64 v25, 0, 1, s[6:7]
	s_and_b64 s[0:1], s[0:1], s[2:3]
	v_cndmask_b32_e64 v24, v25, v24, s[0:1]
	v_mul_i32_i24_e32 v21, 7, v21
	v_and_b32_e32 v24, 1, v24
	v_cmp_ne_u32_e32 vcc, 0, v7
	v_cmp_eq_u32_e64 s[0:1], 1, v24
	v_add_u32_e32 v21, v19, v21
	s_and_saveexec_b64 s[2:3], s[0:1]
	s_cbranch_execz .LBB84_19
; %bb.18:
	ds_write_b64 v20, v[3:4]
	ds_write_b64 v21, v[1:2] offset:64
	ds_write_b8 v19, v23 offset:16384
	ds_write_b8 v19, v22 offset:16392
.LBB84_19:
	s_or_b64 exec, exec, s[2:3]
	s_waitcnt lgkmcnt(0)
	s_barrier
	ds_read_b64 v[1:2], v15
	ds_read_b64 v[3:4], v16 offset:32
	ds_read_u8 v23, v14 offset:16384
	ds_read_u8 v24, v14 offset:16388
	v_lshrrev_b32_e32 v7, 3, v7
	s_waitcnt lgkmcnt(2)
	v_cmp_lt_i64_e64 s[0:1], v[1:2], v[3:4]
	s_waitcnt lgkmcnt(1)
	v_and_b32_e32 v22, 1, v23
	v_cmp_eq_u32_e64 s[2:3], 1, v22
	s_waitcnt lgkmcnt(0)
	v_cmp_ne_u16_e64 s[6:7], v24, v7
	v_cndmask_b32_e64 v25, 0, 1, s[6:7]
	v_cndmask_b32_e64 v22, 0, 1, vcc
	s_and_b64 vcc, s[0:1], s[2:3]
	v_cndmask_b32_e32 v25, v25, v22, vcc
	v_and_b32_e32 v25, 1, v25
	v_cmp_eq_u32_e32 vcc, 1, v25
	s_and_saveexec_b64 s[0:1], vcc
	s_cbranch_execz .LBB84_21
; %bb.20:
	ds_write_b64 v15, v[3:4]
	ds_write_b64 v16, v[1:2] offset:32
	ds_write_b8 v14, v24 offset:16384
	ds_write_b8 v14, v23 offset:16388
.LBB84_21:
	s_or_b64 exec, exec, s[0:1]
	s_waitcnt lgkmcnt(0)
	s_barrier
	ds_read_b64 v[1:2], v12
	ds_read_b64 v[3:4], v13 offset:16
	ds_read_u8 v23, v11 offset:16384
	ds_read_u8 v24, v11 offset:16386
	s_waitcnt lgkmcnt(2)
	v_cmp_lt_i64_e32 vcc, v[1:2], v[3:4]
	s_waitcnt lgkmcnt(1)
	v_and_b32_e32 v25, 1, v23
	v_cmp_eq_u32_e64 s[0:1], 1, v25
	s_waitcnt lgkmcnt(0)
	v_cmp_ne_u16_e64 s[2:3], v24, v7
	v_cndmask_b32_e64 v25, 0, 1, s[2:3]
	s_and_b64 vcc, vcc, s[0:1]
	v_cndmask_b32_e32 v25, v25, v22, vcc
	v_and_b32_e32 v25, 1, v25
	v_cmp_eq_u32_e32 vcc, 1, v25
	s_and_saveexec_b64 s[0:1], vcc
	s_cbranch_execz .LBB84_23
; %bb.22:
	ds_write_b64 v12, v[3:4]
	ds_write_b64 v13, v[1:2] offset:16
	ds_write_b8 v11, v24 offset:16384
	ds_write_b8 v11, v23 offset:16386
.LBB84_23:
	s_or_b64 exec, exec, s[0:1]
	s_waitcnt lgkmcnt(0)
	s_barrier
	ds_read2_b64 v[1:4], v6 offset1:1
	ds_read_u8 v23, v9 offset:16384
	ds_read_u8 v24, v10 offset:16385
	s_waitcnt lgkmcnt(2)
	v_cmp_lt_i64_e32 vcc, v[1:2], v[3:4]
	s_waitcnt lgkmcnt(1)
	v_and_b32_e32 v25, 1, v23
	v_cmp_eq_u32_e64 s[0:1], 1, v25
	s_waitcnt lgkmcnt(0)
	v_cmp_ne_u16_e64 s[2:3], v24, v7
	v_cndmask_b32_e64 v7, 0, 1, s[2:3]
	s_and_b64 vcc, vcc, s[0:1]
	v_cndmask_b32_e32 v7, v7, v22, vcc
	v_and_b32_e32 v7, 1, v7
	v_cmp_eq_u32_e32 vcc, 1, v7
	s_and_saveexec_b64 s[0:1], vcc
	s_cbranch_execz .LBB84_25
; %bb.24:
	ds_write_b64 v6, v[3:4]
	ds_write_b64 v8, v[1:2] offset:8
	ds_write_b8 v9, v24 offset:16384
	ds_write_b8 v10, v23 offset:16385
.LBB84_25:
	s_or_b64 exec, exec, s[0:1]
	v_and_b32_e32 v1, 15, v0
	v_sub_u32_e32 v24, v5, v1
	v_add_u32_e32 v22, 8, v24
	v_lshl_add_u32 v23, v24, 3, 8
	v_mad_i32_i24 v3, v24, 7, v22
	s_waitcnt lgkmcnt(0)
	s_barrier
	ds_read_b64 v[1:2], v23
	ds_read_b64 v[3:4], v3 offset:128
	ds_read_u8 v25, v22 offset:16384
	ds_read_u8 v26, v22 offset:16400
	v_bfe_u32 v27, v0, 4, 1
	v_and_b32_e32 v7, 16, v0
	s_waitcnt lgkmcnt(2)
	v_cmp_lt_i64_e64 s[0:1], v[1:2], v[3:4]
	s_waitcnt lgkmcnt(1)
	v_and_b32_e32 v28, 1, v25
	v_cmp_eq_u32_e64 s[2:3], 1, v28
	s_waitcnt lgkmcnt(0)
	v_cmp_ne_u16_e64 s[6:7], v26, v27
	v_cndmask_b32_e64 v28, 0, 1, s[6:7]
	s_and_b64 s[0:1], s[0:1], s[2:3]
	v_cndmask_b32_e64 v27, v28, v27, s[0:1]
	v_mul_i32_i24_e32 v24, 7, v24
	v_and_b32_e32 v27, 1, v27
	v_cmp_ne_u32_e32 vcc, 0, v7
	v_cmp_eq_u32_e64 s[0:1], 1, v27
	v_add_u32_e32 v24, v22, v24
	s_and_saveexec_b64 s[2:3], s[0:1]
	s_cbranch_execz .LBB84_27
; %bb.26:
	ds_write_b64 v23, v[3:4]
	ds_write_b64 v24, v[1:2] offset:128
	ds_write_b8 v22, v26 offset:16384
	ds_write_b8 v22, v25 offset:16400
.LBB84_27:
	s_or_b64 exec, exec, s[2:3]
	s_waitcnt lgkmcnt(0)
	s_barrier
	ds_read_b64 v[1:2], v20
	ds_read_b64 v[3:4], v21 offset:64
	ds_read_u8 v26, v19 offset:16384
	ds_read_u8 v27, v19 offset:16392
	v_lshrrev_b32_e32 v7, 4, v7
	s_waitcnt lgkmcnt(2)
	v_cmp_lt_i64_e64 s[0:1], v[1:2], v[3:4]
	s_waitcnt lgkmcnt(1)
	v_and_b32_e32 v25, 1, v26
	v_cmp_eq_u32_e64 s[2:3], 1, v25
	s_waitcnt lgkmcnt(0)
	v_cmp_ne_u16_e64 s[6:7], v27, v7
	v_cndmask_b32_e64 v28, 0, 1, s[6:7]
	v_cndmask_b32_e64 v25, 0, 1, vcc
	s_and_b64 vcc, s[0:1], s[2:3]
	v_cndmask_b32_e32 v28, v28, v25, vcc
	v_and_b32_e32 v28, 1, v28
	v_cmp_eq_u32_e32 vcc, 1, v28
	s_and_saveexec_b64 s[0:1], vcc
	s_cbranch_execz .LBB84_29
; %bb.28:
	ds_write_b64 v20, v[3:4]
	ds_write_b64 v21, v[1:2] offset:64
	ds_write_b8 v19, v27 offset:16384
	ds_write_b8 v19, v26 offset:16392
.LBB84_29:
	s_or_b64 exec, exec, s[0:1]
	s_waitcnt lgkmcnt(0)
	s_barrier
	ds_read_b64 v[1:2], v15
	ds_read_b64 v[3:4], v16 offset:32
	ds_read_u8 v26, v14 offset:16384
	ds_read_u8 v27, v14 offset:16388
	s_waitcnt lgkmcnt(2)
	v_cmp_lt_i64_e32 vcc, v[1:2], v[3:4]
	s_waitcnt lgkmcnt(1)
	v_and_b32_e32 v28, 1, v26
	v_cmp_eq_u32_e64 s[0:1], 1, v28
	s_waitcnt lgkmcnt(0)
	v_cmp_ne_u16_e64 s[2:3], v27, v7
	v_cndmask_b32_e64 v28, 0, 1, s[2:3]
	s_and_b64 vcc, vcc, s[0:1]
	v_cndmask_b32_e32 v28, v28, v25, vcc
	v_and_b32_e32 v28, 1, v28
	v_cmp_eq_u32_e32 vcc, 1, v28
	s_and_saveexec_b64 s[0:1], vcc
	s_cbranch_execz .LBB84_31
; %bb.30:
	ds_write_b64 v15, v[3:4]
	ds_write_b64 v16, v[1:2] offset:32
	ds_write_b8 v14, v27 offset:16384
	ds_write_b8 v14, v26 offset:16388
.LBB84_31:
	s_or_b64 exec, exec, s[0:1]
	s_waitcnt lgkmcnt(0)
	s_barrier
	ds_read_b64 v[1:2], v12
	ds_read_b64 v[3:4], v13 offset:16
	ds_read_u8 v26, v11 offset:16384
	ds_read_u8 v27, v11 offset:16386
	s_waitcnt lgkmcnt(2)
	v_cmp_lt_i64_e32 vcc, v[1:2], v[3:4]
	s_waitcnt lgkmcnt(1)
	v_and_b32_e32 v28, 1, v26
	v_cmp_eq_u32_e64 s[0:1], 1, v28
	s_waitcnt lgkmcnt(0)
	v_cmp_ne_u16_e64 s[2:3], v27, v7
	v_cndmask_b32_e64 v28, 0, 1, s[2:3]
	s_and_b64 vcc, vcc, s[0:1]
	v_cndmask_b32_e32 v28, v28, v25, vcc
	v_and_b32_e32 v28, 1, v28
	v_cmp_eq_u32_e32 vcc, 1, v28
	s_and_saveexec_b64 s[0:1], vcc
	s_cbranch_execz .LBB84_33
; %bb.32:
	ds_write_b64 v12, v[3:4]
	ds_write_b64 v13, v[1:2] offset:16
	ds_write_b8 v11, v27 offset:16384
	ds_write_b8 v11, v26 offset:16386
.LBB84_33:
	s_or_b64 exec, exec, s[0:1]
	s_waitcnt lgkmcnt(0)
	s_barrier
	ds_read2_b64 v[1:4], v6 offset1:1
	ds_read_u8 v26, v9 offset:16384
	ds_read_u8 v27, v10 offset:16385
	s_waitcnt lgkmcnt(2)
	v_cmp_lt_i64_e32 vcc, v[1:2], v[3:4]
	s_waitcnt lgkmcnt(1)
	v_and_b32_e32 v28, 1, v26
	v_cmp_eq_u32_e64 s[0:1], 1, v28
	s_waitcnt lgkmcnt(0)
	v_cmp_ne_u16_e64 s[2:3], v27, v7
	v_cndmask_b32_e64 v7, 0, 1, s[2:3]
	s_and_b64 vcc, vcc, s[0:1]
	v_cndmask_b32_e32 v7, v7, v25, vcc
	v_and_b32_e32 v7, 1, v7
	v_cmp_eq_u32_e32 vcc, 1, v7
	s_and_saveexec_b64 s[0:1], vcc
	s_cbranch_execz .LBB84_35
; %bb.34:
	ds_write_b64 v6, v[3:4]
	ds_write_b64 v8, v[1:2] offset:8
	ds_write_b8 v9, v27 offset:16384
	ds_write_b8 v10, v26 offset:16385
.LBB84_35:
	s_or_b64 exec, exec, s[0:1]
	v_and_b32_e32 v1, 31, v0
	v_sub_u32_e32 v27, v5, v1
	v_add_u32_e32 v25, 8, v27
	v_lshl_add_u32 v26, v27, 3, 8
	v_mad_i32_i24 v3, v27, 7, v25
	s_waitcnt lgkmcnt(0)
	s_barrier
	ds_read_b64 v[1:2], v26
	ds_read_b64 v[3:4], v3 offset:256
	ds_read_u8 v28, v25 offset:16384
	ds_read_u8 v29, v25 offset:16416
	v_bfe_u32 v30, v0, 5, 1
	v_and_b32_e32 v7, 32, v0
	s_waitcnt lgkmcnt(2)
	v_cmp_lt_i64_e64 s[0:1], v[1:2], v[3:4]
	s_waitcnt lgkmcnt(1)
	v_and_b32_e32 v31, 1, v28
	v_cmp_eq_u32_e64 s[2:3], 1, v31
	s_waitcnt lgkmcnt(0)
	v_cmp_ne_u16_e64 s[6:7], v29, v30
	v_cndmask_b32_e64 v31, 0, 1, s[6:7]
	s_and_b64 s[0:1], s[0:1], s[2:3]
	v_cndmask_b32_e64 v30, v31, v30, s[0:1]
	v_mul_i32_i24_e32 v27, 7, v27
	v_and_b32_e32 v30, 1, v30
	v_cmp_ne_u32_e32 vcc, 0, v7
	v_cmp_eq_u32_e64 s[0:1], 1, v30
	v_add_u32_e32 v27, v25, v27
	s_and_saveexec_b64 s[2:3], s[0:1]
	s_cbranch_execz .LBB84_37
; %bb.36:
	ds_write_b64 v26, v[3:4]
	ds_write_b64 v27, v[1:2] offset:256
	ds_write_b8 v25, v29 offset:16384
	ds_write_b8 v25, v28 offset:16416
.LBB84_37:
	s_or_b64 exec, exec, s[2:3]
	s_waitcnt lgkmcnt(0)
	s_barrier
	ds_read_b64 v[1:2], v23
	ds_read_b64 v[3:4], v24 offset:128
	ds_read_u8 v29, v22 offset:16384
	ds_read_u8 v30, v22 offset:16400
	v_lshrrev_b32_e32 v7, 5, v7
	s_waitcnt lgkmcnt(2)
	v_cmp_lt_i64_e64 s[0:1], v[1:2], v[3:4]
	s_waitcnt lgkmcnt(1)
	v_and_b32_e32 v28, 1, v29
	v_cmp_eq_u32_e64 s[2:3], 1, v28
	s_waitcnt lgkmcnt(0)
	v_cmp_ne_u16_e64 s[6:7], v30, v7
	v_cndmask_b32_e64 v31, 0, 1, s[6:7]
	v_cndmask_b32_e64 v28, 0, 1, vcc
	s_and_b64 vcc, s[0:1], s[2:3]
	v_cndmask_b32_e32 v31, v31, v28, vcc
	v_and_b32_e32 v31, 1, v31
	v_cmp_eq_u32_e32 vcc, 1, v31
	s_and_saveexec_b64 s[0:1], vcc
	s_cbranch_execz .LBB84_39
; %bb.38:
	ds_write_b64 v23, v[3:4]
	ds_write_b64 v24, v[1:2] offset:128
	ds_write_b8 v22, v30 offset:16384
	ds_write_b8 v22, v29 offset:16400
.LBB84_39:
	s_or_b64 exec, exec, s[0:1]
	s_waitcnt lgkmcnt(0)
	s_barrier
	ds_read_b64 v[1:2], v20
	ds_read_b64 v[3:4], v21 offset:64
	ds_read_u8 v29, v19 offset:16384
	ds_read_u8 v30, v19 offset:16392
	s_waitcnt lgkmcnt(2)
	v_cmp_lt_i64_e32 vcc, v[1:2], v[3:4]
	s_waitcnt lgkmcnt(1)
	v_and_b32_e32 v31, 1, v29
	v_cmp_eq_u32_e64 s[0:1], 1, v31
	s_waitcnt lgkmcnt(0)
	v_cmp_ne_u16_e64 s[2:3], v30, v7
	v_cndmask_b32_e64 v31, 0, 1, s[2:3]
	s_and_b64 vcc, vcc, s[0:1]
	v_cndmask_b32_e32 v31, v31, v28, vcc
	v_and_b32_e32 v31, 1, v31
	v_cmp_eq_u32_e32 vcc, 1, v31
	s_and_saveexec_b64 s[0:1], vcc
	s_cbranch_execz .LBB84_41
; %bb.40:
	ds_write_b64 v20, v[3:4]
	ds_write_b64 v21, v[1:2] offset:64
	ds_write_b8 v19, v30 offset:16384
	ds_write_b8 v19, v29 offset:16392
.LBB84_41:
	s_or_b64 exec, exec, s[0:1]
	s_waitcnt lgkmcnt(0)
	s_barrier
	ds_read_b64 v[1:2], v15
	ds_read_b64 v[3:4], v16 offset:32
	ds_read_u8 v29, v14 offset:16384
	ds_read_u8 v30, v14 offset:16388
	s_waitcnt lgkmcnt(2)
	v_cmp_lt_i64_e32 vcc, v[1:2], v[3:4]
	s_waitcnt lgkmcnt(1)
	v_and_b32_e32 v31, 1, v29
	v_cmp_eq_u32_e64 s[0:1], 1, v31
	s_waitcnt lgkmcnt(0)
	v_cmp_ne_u16_e64 s[2:3], v30, v7
	v_cndmask_b32_e64 v31, 0, 1, s[2:3]
	s_and_b64 vcc, vcc, s[0:1]
	;; [unrolled: 27-line block ×3, first 2 shown]
	v_cndmask_b32_e32 v31, v31, v28, vcc
	v_and_b32_e32 v31, 1, v31
	v_cmp_eq_u32_e32 vcc, 1, v31
	s_and_saveexec_b64 s[0:1], vcc
	s_cbranch_execz .LBB84_45
; %bb.44:
	ds_write_b64 v12, v[3:4]
	ds_write_b64 v13, v[1:2] offset:16
	ds_write_b8 v11, v30 offset:16384
	ds_write_b8 v11, v29 offset:16386
.LBB84_45:
	s_or_b64 exec, exec, s[0:1]
	s_waitcnt lgkmcnt(0)
	s_barrier
	ds_read2_b64 v[1:4], v6 offset1:1
	ds_read_u8 v29, v9 offset:16384
	ds_read_u8 v30, v10 offset:16385
	s_waitcnt lgkmcnt(2)
	v_cmp_lt_i64_e32 vcc, v[1:2], v[3:4]
	s_waitcnt lgkmcnt(1)
	v_and_b32_e32 v31, 1, v29
	v_cmp_eq_u32_e64 s[0:1], 1, v31
	s_waitcnt lgkmcnt(0)
	v_cmp_ne_u16_e64 s[2:3], v30, v7
	v_cndmask_b32_e64 v7, 0, 1, s[2:3]
	s_and_b64 vcc, vcc, s[0:1]
	v_cndmask_b32_e32 v7, v7, v28, vcc
	v_and_b32_e32 v7, 1, v7
	v_cmp_eq_u32_e32 vcc, 1, v7
	s_and_saveexec_b64 s[0:1], vcc
	s_cbranch_execz .LBB84_47
; %bb.46:
	ds_write_b64 v6, v[3:4]
	ds_write_b64 v8, v[1:2] offset:8
	ds_write_b8 v9, v30 offset:16384
	ds_write_b8 v10, v29 offset:16385
.LBB84_47:
	s_or_b64 exec, exec, s[0:1]
	v_and_b32_e32 v7, 63, v0
	v_sub_u32_e32 v30, v5, v7
	v_add_u32_e32 v28, 8, v30
	v_lshl_add_u32 v29, v30, 3, 8
	v_mad_i32_i24 v3, v30, 7, v28
	s_waitcnt lgkmcnt(0)
	s_barrier
	ds_read_b64 v[1:2], v29
	ds_read_b64 v[3:4], v3 offset:512
	ds_read_u8 v32, v28 offset:16384
	ds_read_u8 v33, v28 offset:16448
	v_bfe_u32 v34, v0, 6, 1
	v_and_b32_e32 v31, 64, v0
	s_waitcnt lgkmcnt(2)
	v_cmp_lt_i64_e64 s[0:1], v[1:2], v[3:4]
	s_waitcnt lgkmcnt(1)
	v_and_b32_e32 v35, 1, v32
	v_cmp_eq_u32_e64 s[2:3], 1, v35
	s_waitcnt lgkmcnt(0)
	v_cmp_ne_u16_e64 s[6:7], v33, v34
	v_cndmask_b32_e64 v35, 0, 1, s[6:7]
	s_and_b64 s[0:1], s[0:1], s[2:3]
	v_cndmask_b32_e64 v34, v35, v34, s[0:1]
	v_mul_i32_i24_e32 v30, 7, v30
	v_and_b32_e32 v34, 1, v34
	v_cmp_ne_u32_e32 vcc, 0, v31
	v_cmp_eq_u32_e64 s[0:1], 1, v34
	v_add_u32_e32 v30, v28, v30
	s_and_saveexec_b64 s[2:3], s[0:1]
	s_cbranch_execz .LBB84_49
; %bb.48:
	ds_write_b64 v29, v[3:4]
	ds_write_b64 v30, v[1:2] offset:512
	ds_write_b8 v28, v33 offset:16384
	ds_write_b8 v28, v32 offset:16448
.LBB84_49:
	s_or_b64 exec, exec, s[2:3]
	s_waitcnt lgkmcnt(0)
	s_barrier
	ds_read_b64 v[1:2], v26
	ds_read_b64 v[3:4], v27 offset:256
	ds_read_u8 v33, v25 offset:16384
	ds_read_u8 v34, v25 offset:16416
	v_lshrrev_b32_e32 v31, 6, v31
	s_waitcnt lgkmcnt(2)
	v_cmp_lt_i64_e64 s[0:1], v[1:2], v[3:4]
	s_waitcnt lgkmcnt(1)
	v_and_b32_e32 v32, 1, v33
	v_cmp_eq_u32_e64 s[2:3], 1, v32
	s_waitcnt lgkmcnt(0)
	v_cmp_ne_u16_e64 s[6:7], v34, v31
	v_cndmask_b32_e64 v35, 0, 1, s[6:7]
	v_cndmask_b32_e64 v32, 0, 1, vcc
	s_and_b64 vcc, s[0:1], s[2:3]
	v_cndmask_b32_e32 v35, v35, v32, vcc
	v_and_b32_e32 v35, 1, v35
	v_cmp_eq_u32_e32 vcc, 1, v35
	s_and_saveexec_b64 s[0:1], vcc
	s_cbranch_execz .LBB84_51
; %bb.50:
	ds_write_b64 v26, v[3:4]
	ds_write_b64 v27, v[1:2] offset:256
	ds_write_b8 v25, v34 offset:16384
	ds_write_b8 v25, v33 offset:16416
.LBB84_51:
	s_or_b64 exec, exec, s[0:1]
	s_waitcnt lgkmcnt(0)
	s_barrier
	ds_read_b64 v[1:2], v23
	ds_read_b64 v[3:4], v24 offset:128
	ds_read_u8 v33, v22 offset:16384
	ds_read_u8 v34, v22 offset:16400
	s_waitcnt lgkmcnt(2)
	v_cmp_lt_i64_e32 vcc, v[1:2], v[3:4]
	s_waitcnt lgkmcnt(1)
	v_and_b32_e32 v35, 1, v33
	v_cmp_eq_u32_e64 s[0:1], 1, v35
	s_waitcnt lgkmcnt(0)
	v_cmp_ne_u16_e64 s[2:3], v34, v31
	v_cndmask_b32_e64 v35, 0, 1, s[2:3]
	s_and_b64 vcc, vcc, s[0:1]
	v_cndmask_b32_e32 v35, v35, v32, vcc
	v_and_b32_e32 v35, 1, v35
	v_cmp_eq_u32_e32 vcc, 1, v35
	s_and_saveexec_b64 s[0:1], vcc
	s_cbranch_execz .LBB84_53
; %bb.52:
	ds_write_b64 v23, v[3:4]
	ds_write_b64 v24, v[1:2] offset:128
	ds_write_b8 v22, v34 offset:16384
	ds_write_b8 v22, v33 offset:16400
.LBB84_53:
	s_or_b64 exec, exec, s[0:1]
	s_waitcnt lgkmcnt(0)
	s_barrier
	ds_read_b64 v[1:2], v20
	ds_read_b64 v[3:4], v21 offset:64
	ds_read_u8 v33, v19 offset:16384
	ds_read_u8 v34, v19 offset:16392
	s_waitcnt lgkmcnt(2)
	v_cmp_lt_i64_e32 vcc, v[1:2], v[3:4]
	s_waitcnt lgkmcnt(1)
	v_and_b32_e32 v35, 1, v33
	v_cmp_eq_u32_e64 s[0:1], 1, v35
	s_waitcnt lgkmcnt(0)
	v_cmp_ne_u16_e64 s[2:3], v34, v31
	v_cndmask_b32_e64 v35, 0, 1, s[2:3]
	s_and_b64 vcc, vcc, s[0:1]
	v_cndmask_b32_e32 v35, v35, v32, vcc
	v_and_b32_e32 v35, 1, v35
	v_cmp_eq_u32_e32 vcc, 1, v35
	s_and_saveexec_b64 s[0:1], vcc
	s_cbranch_execz .LBB84_55
; %bb.54:
	ds_write_b64 v20, v[3:4]
	ds_write_b64 v21, v[1:2] offset:64
	ds_write_b8 v19, v34 offset:16384
	ds_write_b8 v19, v33 offset:16392
.LBB84_55:
	s_or_b64 exec, exec, s[0:1]
	s_waitcnt lgkmcnt(0)
	s_barrier
	ds_read_b64 v[1:2], v15
	ds_read_b64 v[3:4], v16 offset:32
	ds_read_u8 v33, v14 offset:16384
	ds_read_u8 v34, v14 offset:16388
	s_waitcnt lgkmcnt(2)
	v_cmp_lt_i64_e32 vcc, v[1:2], v[3:4]
	s_waitcnt lgkmcnt(1)
	v_and_b32_e32 v35, 1, v33
	v_cmp_eq_u32_e64 s[0:1], 1, v35
	s_waitcnt lgkmcnt(0)
	v_cmp_ne_u16_e64 s[2:3], v34, v31
	v_cndmask_b32_e64 v35, 0, 1, s[2:3]
	s_and_b64 vcc, vcc, s[0:1]
	v_cndmask_b32_e32 v35, v35, v32, vcc
	v_and_b32_e32 v35, 1, v35
	v_cmp_eq_u32_e32 vcc, 1, v35
	s_and_saveexec_b64 s[0:1], vcc
	s_cbranch_execz .LBB84_57
; %bb.56:
	ds_write_b64 v15, v[3:4]
	ds_write_b64 v16, v[1:2] offset:32
	ds_write_b8 v14, v34 offset:16384
	ds_write_b8 v14, v33 offset:16388
.LBB84_57:
	s_or_b64 exec, exec, s[0:1]
	s_waitcnt lgkmcnt(0)
	s_barrier
	ds_read_b64 v[1:2], v12
	ds_read_b64 v[3:4], v13 offset:16
	ds_read_u8 v33, v11 offset:16384
	ds_read_u8 v34, v11 offset:16386
	s_waitcnt lgkmcnt(2)
	v_cmp_lt_i64_e32 vcc, v[1:2], v[3:4]
	s_waitcnt lgkmcnt(1)
	v_and_b32_e32 v35, 1, v33
	v_cmp_eq_u32_e64 s[0:1], 1, v35
	s_waitcnt lgkmcnt(0)
	v_cmp_ne_u16_e64 s[2:3], v34, v31
	v_cndmask_b32_e64 v35, 0, 1, s[2:3]
	s_and_b64 vcc, vcc, s[0:1]
	v_cndmask_b32_e32 v35, v35, v32, vcc
	v_and_b32_e32 v35, 1, v35
	v_cmp_eq_u32_e32 vcc, 1, v35
	s_and_saveexec_b64 s[0:1], vcc
	s_cbranch_execz .LBB84_59
; %bb.58:
	ds_write_b64 v12, v[3:4]
	ds_write_b64 v13, v[1:2] offset:16
	ds_write_b8 v11, v34 offset:16384
	ds_write_b8 v11, v33 offset:16386
.LBB84_59:
	s_or_b64 exec, exec, s[0:1]
	s_waitcnt lgkmcnt(0)
	s_barrier
	ds_read2_b64 v[1:4], v6 offset1:1
	ds_read_u8 v33, v9 offset:16384
	ds_read_u8 v34, v10 offset:16385
	s_waitcnt lgkmcnt(2)
	v_cmp_lt_i64_e32 vcc, v[1:2], v[3:4]
	s_waitcnt lgkmcnt(1)
	v_and_b32_e32 v35, 1, v33
	v_cmp_eq_u32_e64 s[0:1], 1, v35
	s_waitcnt lgkmcnt(0)
	v_cmp_ne_u16_e64 s[2:3], v34, v31
	v_cndmask_b32_e64 v31, 0, 1, s[2:3]
	s_and_b64 vcc, vcc, s[0:1]
	v_cndmask_b32_e32 v31, v31, v32, vcc
	v_and_b32_e32 v31, 1, v31
	v_cmp_eq_u32_e32 vcc, 1, v31
	s_and_saveexec_b64 s[0:1], vcc
	s_cbranch_execz .LBB84_61
; %bb.60:
	ds_write_b64 v6, v[3:4]
	ds_write_b64 v8, v[1:2] offset:8
	ds_write_b8 v9, v34 offset:16384
	ds_write_b8 v10, v33 offset:16385
.LBB84_61:
	s_or_b64 exec, exec, s[0:1]
	v_and_b32_e32 v1, 0x80, v0
	v_cmp_ne_u32_e32 vcc, 0, v1
	v_and_b32_e32 v1, 0x7f, v0
	v_sub_u32_e32 v37, v5, v1
	v_add_u32_e32 v31, 8, v37
	v_lshl_add_u32 v32, v37, 3, 8
	v_mad_i32_i24 v3, v37, 7, v31
	s_waitcnt lgkmcnt(0)
	s_barrier
	ds_read_b64 v[1:2], v32
	ds_read_b64 v[3:4], v3 offset:1024
	ds_read_u8 v35, v31 offset:16384
	ds_read_u8 v36, v31 offset:16512
	v_lshrrev_b32_e32 v33, 7, v0
	v_and_b32_e32 v34, 1, v33
	s_waitcnt lgkmcnt(2)
	v_cmp_lt_i64_e64 s[0:1], v[1:2], v[3:4]
	s_waitcnt lgkmcnt(1)
	v_and_b32_e32 v38, 1, v35
	v_cmp_eq_u32_e64 s[2:3], 1, v38
	s_waitcnt lgkmcnt(0)
	v_cmp_ne_u16_e64 s[6:7], v36, v34
	v_cndmask_b32_e64 v38, 0, 1, s[6:7]
	s_and_b64 s[0:1], s[0:1], s[2:3]
	v_cndmask_b32_e64 v33, v38, v33, s[0:1]
	v_mul_i32_i24_e32 v37, 7, v37
	v_and_b32_e32 v33, 1, v33
	v_cmp_eq_u32_e64 s[0:1], 1, v33
	v_add_u32_e32 v33, v31, v37
	s_and_saveexec_b64 s[2:3], s[0:1]
	s_cbranch_execz .LBB84_63
; %bb.62:
	ds_write_b64 v32, v[3:4]
	ds_write_b64 v33, v[1:2] offset:1024
	ds_write_b8 v31, v36 offset:16384
	ds_write_b8 v31, v35 offset:16512
.LBB84_63:
	s_or_b64 exec, exec, s[2:3]
	s_waitcnt lgkmcnt(0)
	s_barrier
	ds_read_b64 v[1:2], v29
	ds_read_b64 v[3:4], v30 offset:512
	ds_read_u8 v36, v28 offset:16384
	ds_read_u8 v37, v28 offset:16448
	s_waitcnt lgkmcnt(2)
	v_cmp_lt_i64_e64 s[0:1], v[1:2], v[3:4]
	s_waitcnt lgkmcnt(1)
	v_and_b32_e32 v35, 1, v36
	v_cmp_eq_u32_e64 s[2:3], 1, v35
	s_waitcnt lgkmcnt(0)
	v_cmp_ne_u16_e64 s[6:7], v37, v34
	v_cndmask_b32_e64 v38, 0, 1, s[6:7]
	v_cndmask_b32_e64 v35, 0, 1, vcc
	s_and_b64 vcc, s[0:1], s[2:3]
	v_cndmask_b32_e32 v38, v38, v35, vcc
	v_and_b32_e32 v38, 1, v38
	v_cmp_eq_u32_e32 vcc, 1, v38
	s_and_saveexec_b64 s[0:1], vcc
	s_cbranch_execz .LBB84_65
; %bb.64:
	ds_write_b64 v29, v[3:4]
	ds_write_b64 v30, v[1:2] offset:512
	ds_write_b8 v28, v37 offset:16384
	ds_write_b8 v28, v36 offset:16448
.LBB84_65:
	s_or_b64 exec, exec, s[0:1]
	s_waitcnt lgkmcnt(0)
	s_barrier
	ds_read_b64 v[1:2], v26
	ds_read_b64 v[3:4], v27 offset:256
	ds_read_u8 v36, v25 offset:16384
	ds_read_u8 v37, v25 offset:16416
	s_waitcnt lgkmcnt(2)
	v_cmp_lt_i64_e32 vcc, v[1:2], v[3:4]
	s_waitcnt lgkmcnt(1)
	v_and_b32_e32 v38, 1, v36
	v_cmp_eq_u32_e64 s[0:1], 1, v38
	s_waitcnt lgkmcnt(0)
	v_cmp_ne_u16_e64 s[2:3], v37, v34
	v_cndmask_b32_e64 v38, 0, 1, s[2:3]
	s_and_b64 vcc, vcc, s[0:1]
	v_cndmask_b32_e32 v38, v38, v35, vcc
	v_and_b32_e32 v38, 1, v38
	v_cmp_eq_u32_e32 vcc, 1, v38
	s_and_saveexec_b64 s[0:1], vcc
	s_cbranch_execz .LBB84_67
; %bb.66:
	ds_write_b64 v26, v[3:4]
	ds_write_b64 v27, v[1:2] offset:256
	ds_write_b8 v25, v37 offset:16384
	ds_write_b8 v25, v36 offset:16416
.LBB84_67:
	s_or_b64 exec, exec, s[0:1]
	s_waitcnt lgkmcnt(0)
	s_barrier
	ds_read_b64 v[1:2], v23
	ds_read_b64 v[3:4], v24 offset:128
	ds_read_u8 v36, v22 offset:16384
	ds_read_u8 v37, v22 offset:16400
	s_waitcnt lgkmcnt(2)
	v_cmp_lt_i64_e32 vcc, v[1:2], v[3:4]
	s_waitcnt lgkmcnt(1)
	v_and_b32_e32 v38, 1, v36
	v_cmp_eq_u32_e64 s[0:1], 1, v38
	s_waitcnt lgkmcnt(0)
	v_cmp_ne_u16_e64 s[2:3], v37, v34
	v_cndmask_b32_e64 v38, 0, 1, s[2:3]
	s_and_b64 vcc, vcc, s[0:1]
	;; [unrolled: 27-line block ×5, first 2 shown]
	v_cndmask_b32_e32 v38, v38, v35, vcc
	v_and_b32_e32 v38, 1, v38
	v_cmp_eq_u32_e32 vcc, 1, v38
	s_and_saveexec_b64 s[0:1], vcc
	s_cbranch_execz .LBB84_75
; %bb.74:
	ds_write_b64 v12, v[3:4]
	ds_write_b64 v13, v[1:2] offset:16
	ds_write_b8 v11, v37 offset:16384
	ds_write_b8 v11, v36 offset:16386
.LBB84_75:
	s_or_b64 exec, exec, s[0:1]
	s_waitcnt lgkmcnt(0)
	s_barrier
	ds_read2_b64 v[1:4], v6 offset1:1
	ds_read_u8 v36, v9 offset:16384
	ds_read_u8 v37, v10 offset:16385
	s_waitcnt lgkmcnt(2)
	v_cmp_lt_i64_e32 vcc, v[1:2], v[3:4]
	s_waitcnt lgkmcnt(1)
	v_and_b32_e32 v38, 1, v36
	v_cmp_eq_u32_e64 s[0:1], 1, v38
	s_waitcnt lgkmcnt(0)
	v_cmp_ne_u16_e64 s[2:3], v37, v34
	v_cndmask_b32_e64 v34, 0, 1, s[2:3]
	s_and_b64 vcc, vcc, s[0:1]
	v_cndmask_b32_e32 v34, v34, v35, vcc
	v_and_b32_e32 v34, 1, v34
	v_cmp_eq_u32_e32 vcc, 1, v34
	s_and_saveexec_b64 s[0:1], vcc
	s_cbranch_execz .LBB84_77
; %bb.76:
	ds_write_b64 v6, v[3:4]
	ds_write_b64 v8, v[1:2] offset:8
	ds_write_b8 v9, v37 offset:16384
	ds_write_b8 v10, v36 offset:16385
.LBB84_77:
	s_or_b64 exec, exec, s[0:1]
	v_sub_u32_sdwa v36, v5, v0 dst_sel:DWORD dst_unused:UNUSED_PAD src0_sel:DWORD src1_sel:BYTE_0
	v_add_u32_e32 v34, 8, v36
	v_and_b32_e32 v1, 0x100, v0
	v_lshl_add_u32 v35, v36, 3, 8
	v_mad_i32_i24 v3, v36, 7, v34
	v_cmp_ne_u32_e32 vcc, 0, v1
	s_waitcnt lgkmcnt(0)
	s_barrier
	ds_read_b64 v[1:2], v35
	ds_read_b64 v[3:4], v3 offset:2048
	ds_read_u8 v38, v34 offset:16384
	ds_read_u8 v39, v34 offset:16640
	v_bfe_u32 v40, v0, 8, 1
	v_mul_i32_i24_e32 v36, 7, v36
	s_waitcnt lgkmcnt(2)
	v_cmp_lt_i64_e64 s[0:1], v[1:2], v[3:4]
	s_waitcnt lgkmcnt(1)
	v_and_b32_e32 v41, 1, v38
	v_cmp_eq_u32_e64 s[2:3], 1, v41
	s_waitcnt lgkmcnt(0)
	v_cmp_ne_u16_e64 s[6:7], v39, v40
	v_cndmask_b32_e64 v41, 0, 1, s[6:7]
	s_and_b64 s[0:1], s[0:1], s[2:3]
	v_cndmask_b32_e64 v40, v41, v40, s[0:1]
	v_and_b32_e32 v40, 1, v40
	v_and_b32_e32 v37, 0x100, v0
	v_cmp_eq_u32_e64 s[0:1], 1, v40
	v_add_u32_e32 v36, v34, v36
	s_and_saveexec_b64 s[2:3], s[0:1]
	s_cbranch_execz .LBB84_79
; %bb.78:
	ds_write_b64 v35, v[3:4]
	ds_write_b64 v36, v[1:2] offset:2048
	ds_write_b8 v34, v39 offset:16384
	ds_write_b8 v34, v38 offset:16640
.LBB84_79:
	s_or_b64 exec, exec, s[2:3]
	s_waitcnt lgkmcnt(0)
	s_barrier
	ds_read_b64 v[1:2], v32
	ds_read_b64 v[3:4], v33 offset:1024
	ds_read_u8 v39, v31 offset:16384
	ds_read_u8 v40, v31 offset:16512
	v_lshrrev_b32_e32 v37, 8, v37
	s_waitcnt lgkmcnt(2)
	v_cmp_lt_i64_e64 s[0:1], v[1:2], v[3:4]
	s_waitcnt lgkmcnt(1)
	v_and_b32_e32 v38, 1, v39
	v_cmp_eq_u32_e64 s[2:3], 1, v38
	s_waitcnt lgkmcnt(0)
	v_cmp_ne_u16_e64 s[6:7], v40, v37
	v_cndmask_b32_e64 v41, 0, 1, s[6:7]
	v_cndmask_b32_e64 v38, 0, 1, vcc
	s_and_b64 vcc, s[0:1], s[2:3]
	v_cndmask_b32_e32 v41, v41, v38, vcc
	v_and_b32_e32 v41, 1, v41
	v_cmp_eq_u32_e32 vcc, 1, v41
	s_and_saveexec_b64 s[0:1], vcc
	s_cbranch_execz .LBB84_81
; %bb.80:
	ds_write_b64 v32, v[3:4]
	ds_write_b64 v33, v[1:2] offset:1024
	ds_write_b8 v31, v40 offset:16384
	ds_write_b8 v31, v39 offset:16512
.LBB84_81:
	s_or_b64 exec, exec, s[0:1]
	s_waitcnt lgkmcnt(0)
	s_barrier
	ds_read_b64 v[1:2], v29
	ds_read_b64 v[3:4], v30 offset:512
	ds_read_u8 v39, v28 offset:16384
	ds_read_u8 v40, v28 offset:16448
	s_waitcnt lgkmcnt(2)
	v_cmp_lt_i64_e32 vcc, v[1:2], v[3:4]
	s_waitcnt lgkmcnt(1)
	v_and_b32_e32 v41, 1, v39
	v_cmp_eq_u32_e64 s[0:1], 1, v41
	s_waitcnt lgkmcnt(0)
	v_cmp_ne_u16_e64 s[2:3], v40, v37
	v_cndmask_b32_e64 v41, 0, 1, s[2:3]
	s_and_b64 vcc, vcc, s[0:1]
	v_cndmask_b32_e32 v41, v41, v38, vcc
	v_and_b32_e32 v41, 1, v41
	v_cmp_eq_u32_e32 vcc, 1, v41
	s_and_saveexec_b64 s[0:1], vcc
	s_cbranch_execz .LBB84_83
; %bb.82:
	ds_write_b64 v29, v[3:4]
	ds_write_b64 v30, v[1:2] offset:512
	ds_write_b8 v28, v40 offset:16384
	ds_write_b8 v28, v39 offset:16448
.LBB84_83:
	s_or_b64 exec, exec, s[0:1]
	s_waitcnt lgkmcnt(0)
	s_barrier
	ds_read_b64 v[1:2], v26
	ds_read_b64 v[3:4], v27 offset:256
	ds_read_u8 v39, v25 offset:16384
	ds_read_u8 v40, v25 offset:16416
	s_waitcnt lgkmcnt(2)
	v_cmp_lt_i64_e32 vcc, v[1:2], v[3:4]
	s_waitcnt lgkmcnt(1)
	v_and_b32_e32 v41, 1, v39
	v_cmp_eq_u32_e64 s[0:1], 1, v41
	s_waitcnt lgkmcnt(0)
	v_cmp_ne_u16_e64 s[2:3], v40, v37
	v_cndmask_b32_e64 v41, 0, 1, s[2:3]
	s_and_b64 vcc, vcc, s[0:1]
	;; [unrolled: 27-line block ×6, first 2 shown]
	v_cndmask_b32_e32 v41, v41, v38, vcc
	v_and_b32_e32 v41, 1, v41
	v_cmp_eq_u32_e32 vcc, 1, v41
	s_and_saveexec_b64 s[0:1], vcc
	s_cbranch_execz .LBB84_93
; %bb.92:
	ds_write_b64 v12, v[3:4]
	ds_write_b64 v13, v[1:2] offset:16
	ds_write_b8 v11, v40 offset:16384
	ds_write_b8 v11, v39 offset:16386
.LBB84_93:
	s_or_b64 exec, exec, s[0:1]
	s_waitcnt lgkmcnt(0)
	s_barrier
	ds_read2_b64 v[1:4], v6 offset1:1
	ds_read_u8 v39, v9 offset:16384
	ds_read_u8 v40, v10 offset:16385
	s_waitcnt lgkmcnt(2)
	v_cmp_lt_i64_e32 vcc, v[1:2], v[3:4]
	s_waitcnt lgkmcnt(1)
	v_and_b32_e32 v41, 1, v39
	v_cmp_eq_u32_e64 s[0:1], 1, v41
	s_waitcnt lgkmcnt(0)
	v_cmp_ne_u16_e64 s[2:3], v40, v37
	v_cndmask_b32_e64 v37, 0, 1, s[2:3]
	s_and_b64 vcc, vcc, s[0:1]
	v_cndmask_b32_e32 v37, v37, v38, vcc
	v_and_b32_e32 v37, 1, v37
	v_cmp_eq_u32_e32 vcc, 1, v37
	s_and_saveexec_b64 s[0:1], vcc
	s_cbranch_execz .LBB84_95
; %bb.94:
	ds_write_b64 v6, v[3:4]
	ds_write_b64 v8, v[1:2] offset:8
	ds_write_b8 v9, v40 offset:16384
	ds_write_b8 v10, v39 offset:16385
.LBB84_95:
	s_or_b64 exec, exec, s[0:1]
	v_and_b32_e32 v1, 0x1ff, v0
	v_sub_u32_e32 v39, v5, v1
	v_add_u32_e32 v37, 8, v39
	v_lshl_add_u32 v38, v39, 3, 8
	v_mad_i32_i24 v3, v39, 7, v37
	s_waitcnt lgkmcnt(0)
	s_barrier
	ds_read_b64 v[1:2], v38
	ds_read_b64 v[3:4], v3 offset:4096
	ds_read_u8 v41, v37 offset:16384
	ds_read_u8 v42, v37 offset:16896
	s_movk_i32 s0, 0x1ff
	v_cmp_lt_u32_e32 vcc, s0, v0
	v_cndmask_b32_e64 v40, 0, 1, vcc
	s_waitcnt lgkmcnt(2)
	v_cmp_lt_i64_e32 vcc, v[1:2], v[3:4]
	s_waitcnt lgkmcnt(1)
	v_and_b32_e32 v43, 1, v41
	v_cmp_eq_u32_e64 s[0:1], 1, v43
	s_waitcnt lgkmcnt(0)
	v_cmp_ne_u16_e64 s[2:3], v42, v40
	v_cndmask_b32_e64 v43, 0, 1, s[2:3]
	s_and_b64 vcc, vcc, s[0:1]
	v_cndmask_b32_e32 v43, v43, v40, vcc
	v_mul_i32_i24_e32 v39, 7, v39
	v_and_b32_e32 v43, 1, v43
	v_cmp_eq_u32_e32 vcc, 1, v43
	v_add_u32_e32 v39, v37, v39
	s_and_saveexec_b64 s[0:1], vcc
	s_cbranch_execz .LBB84_97
; %bb.96:
	ds_write_b64 v38, v[3:4]
	ds_write_b64 v39, v[1:2] offset:4096
	ds_write_b8 v37, v42 offset:16384
	ds_write_b8 v37, v41 offset:16896
.LBB84_97:
	s_or_b64 exec, exec, s[0:1]
	s_waitcnt lgkmcnt(0)
	s_barrier
	ds_read_b64 v[1:2], v35
	ds_read_b64 v[3:4], v36 offset:2048
	ds_read_u8 v41, v34 offset:16384
	ds_read_u8 v42, v34 offset:16640
	s_waitcnt lgkmcnt(2)
	v_cmp_lt_i64_e32 vcc, v[1:2], v[3:4]
	s_waitcnt lgkmcnt(1)
	v_and_b32_e32 v43, 1, v41
	v_cmp_eq_u32_e64 s[0:1], 1, v43
	s_waitcnt lgkmcnt(0)
	v_cmp_ne_u16_e64 s[2:3], v42, v40
	v_cndmask_b32_e64 v43, 0, 1, s[2:3]
	s_and_b64 vcc, vcc, s[0:1]
	v_cndmask_b32_e32 v43, v43, v40, vcc
	v_and_b32_e32 v43, 1, v43
	v_cmp_eq_u32_e32 vcc, 1, v43
	s_and_saveexec_b64 s[0:1], vcc
	s_cbranch_execz .LBB84_99
; %bb.98:
	ds_write_b64 v35, v[3:4]
	ds_write_b64 v36, v[1:2] offset:2048
	ds_write_b8 v34, v42 offset:16384
	ds_write_b8 v34, v41 offset:16640
.LBB84_99:
	s_or_b64 exec, exec, s[0:1]
	s_waitcnt lgkmcnt(0)
	s_barrier
	ds_read_b64 v[1:2], v32
	ds_read_b64 v[3:4], v33 offset:1024
	ds_read_u8 v41, v31 offset:16384
	ds_read_u8 v42, v31 offset:16512
	s_waitcnt lgkmcnt(2)
	v_cmp_lt_i64_e32 vcc, v[1:2], v[3:4]
	s_waitcnt lgkmcnt(1)
	v_and_b32_e32 v43, 1, v41
	v_cmp_eq_u32_e64 s[0:1], 1, v43
	s_waitcnt lgkmcnt(0)
	v_cmp_ne_u16_e64 s[2:3], v42, v40
	v_cndmask_b32_e64 v43, 0, 1, s[2:3]
	s_and_b64 vcc, vcc, s[0:1]
	v_cndmask_b32_e32 v43, v43, v40, vcc
	v_and_b32_e32 v43, 1, v43
	v_cmp_eq_u32_e32 vcc, 1, v43
	;; [unrolled: 27-line block ×8, first 2 shown]
	s_and_saveexec_b64 s[0:1], vcc
	s_cbranch_execz .LBB84_113
; %bb.112:
	ds_write_b64 v12, v[3:4]
	ds_write_b64 v13, v[1:2] offset:16
	ds_write_b8 v11, v42 offset:16384
	ds_write_b8 v11, v41 offset:16386
.LBB84_113:
	s_or_b64 exec, exec, s[0:1]
	s_waitcnt lgkmcnt(0)
	s_barrier
	ds_read2_b64 v[1:4], v6 offset1:1
	ds_read_u8 v41, v9 offset:16384
	ds_read_u8 v42, v10 offset:16385
	s_waitcnt lgkmcnt(2)
	v_cmp_lt_i64_e32 vcc, v[1:2], v[3:4]
	s_waitcnt lgkmcnt(1)
	v_and_b32_e32 v43, 1, v41
	v_cmp_eq_u32_e64 s[0:1], 1, v43
	s_waitcnt lgkmcnt(0)
	v_cmp_ne_u16_e64 s[2:3], v42, v40
	v_cndmask_b32_e64 v43, 0, 1, s[2:3]
	s_and_b64 vcc, vcc, s[0:1]
	v_cndmask_b32_e32 v40, v43, v40, vcc
	v_and_b32_e32 v40, 1, v40
	v_cmp_eq_u32_e32 vcc, 1, v40
	s_and_saveexec_b64 s[0:1], vcc
	s_cbranch_execz .LBB84_115
; %bb.114:
	ds_write_b64 v6, v[3:4]
	ds_write_b64 v8, v[1:2] offset:8
	ds_write_b8 v9, v42 offset:16384
	ds_write_b8 v10, v41 offset:16385
.LBB84_115:
	s_or_b64 exec, exec, s[0:1]
	s_waitcnt lgkmcnt(0)
	s_barrier
	ds_read2st64_b64 v[1:4], v17 offset1:16
	ds_read_u8 v41, v18 offset:16384
	ds_read_u8 v42, v18 offset:17408
	s_waitcnt lgkmcnt(2)
	v_cmp_ge_i64_e32 vcc, v[1:2], v[3:4]
	s_waitcnt lgkmcnt(1)
	v_and_b32_e32 v40, 1, v41
	v_cmp_eq_u32_e64 s[0:1], 1, v40
	s_xor_b64 s[0:1], s[0:1], -1
	v_mov_b32_e32 v40, 0
	s_or_b64 s[0:1], vcc, s[0:1]
	s_waitcnt lgkmcnt(0)
	v_cmp_ne_u16_sdwa s[2:3], v42, v40 src0_sel:BYTE_0 src1_sel:DWORD
	s_and_b64 s[2:3], s[0:1], s[2:3]
	s_and_saveexec_b64 s[0:1], s[2:3]
	s_cbranch_execz .LBB84_117
; %bb.116:
	ds_write2st64_b64 v17, v[3:4], v[1:2] offset1:16
	v_mov_b32_e32 v1, 1
	ds_write_b8 v18, v1 offset:16384
	ds_write_b8 v18, v41 offset:17408
.LBB84_117:
	s_or_b64 exec, exec, s[0:1]
	s_waitcnt lgkmcnt(0)
	s_barrier
	ds_read_b64 v[1:2], v38
	ds_read_b64 v[3:4], v39 offset:4096
	ds_read_u8 v17, v37 offset:16384
	ds_read_u8 v18, v37 offset:16896
	s_waitcnt lgkmcnt(2)
	v_cmp_ge_i64_e32 vcc, v[1:2], v[3:4]
	s_waitcnt lgkmcnt(1)
	v_and_b32_e32 v41, 1, v17
	v_cmp_eq_u32_e64 s[0:1], 1, v41
	s_xor_b64 s[0:1], s[0:1], -1
	s_or_b64 s[0:1], vcc, s[0:1]
	s_waitcnt lgkmcnt(0)
	v_cmp_ne_u16_sdwa s[2:3], v18, v40 src0_sel:BYTE_0 src1_sel:DWORD
	s_and_b64 s[2:3], s[0:1], s[2:3]
	s_and_saveexec_b64 s[0:1], s[2:3]
	s_cbranch_execz .LBB84_119
; %bb.118:
	ds_write_b64 v38, v[3:4]
	ds_write_b64 v39, v[1:2] offset:4096
	v_mov_b32_e32 v1, 1
	ds_write_b8 v37, v1 offset:16384
	ds_write_b8 v37, v17 offset:16896
.LBB84_119:
	s_or_b64 exec, exec, s[0:1]
	s_waitcnt lgkmcnt(0)
	s_barrier
	ds_read_b64 v[1:2], v35
	ds_read_b64 v[3:4], v36 offset:2048
	ds_read_u8 v18, v34 offset:16384
	ds_read_u8 v37, v34 offset:16640
	s_waitcnt lgkmcnt(2)
	v_cmp_ge_i64_e32 vcc, v[1:2], v[3:4]
	s_waitcnt lgkmcnt(1)
	v_and_b32_e32 v17, 1, v18
	v_cmp_eq_u32_e64 s[0:1], 1, v17
	s_xor_b64 s[0:1], s[0:1], -1
	v_mov_b32_e32 v17, 0
	s_or_b64 s[0:1], vcc, s[0:1]
	s_waitcnt lgkmcnt(0)
	v_cmp_ne_u16_sdwa s[2:3], v37, v17 src0_sel:BYTE_0 src1_sel:DWORD
	s_and_b64 s[2:3], s[0:1], s[2:3]
	s_and_saveexec_b64 s[0:1], s[2:3]
	s_cbranch_execz .LBB84_121
; %bb.120:
	ds_write_b64 v35, v[3:4]
	ds_write_b64 v36, v[1:2] offset:2048
	v_mov_b32_e32 v1, 1
	ds_write_b8 v34, v1 offset:16384
	ds_write_b8 v34, v18 offset:16640
.LBB84_121:
	s_or_b64 exec, exec, s[0:1]
	s_waitcnt lgkmcnt(0)
	s_barrier
	ds_read_b64 v[1:2], v32
	ds_read_b64 v[3:4], v33 offset:1024
	ds_read_u8 v18, v31 offset:16384
	ds_read_u8 v34, v31 offset:16512
	s_waitcnt lgkmcnt(2)
	v_cmp_ge_i64_e32 vcc, v[1:2], v[3:4]
	s_waitcnt lgkmcnt(1)
	v_and_b32_e32 v35, 1, v18
	v_cmp_eq_u32_e64 s[0:1], 1, v35
	s_xor_b64 s[0:1], s[0:1], -1
	s_or_b64 s[0:1], vcc, s[0:1]
	s_waitcnt lgkmcnt(0)
	v_cmp_ne_u16_sdwa s[2:3], v34, v17 src0_sel:BYTE_0 src1_sel:DWORD
	s_and_b64 s[2:3], s[0:1], s[2:3]
	s_and_saveexec_b64 s[0:1], s[2:3]
	s_cbranch_execz .LBB84_123
; %bb.122:
	ds_write_b64 v32, v[3:4]
	ds_write_b64 v33, v[1:2] offset:1024
	v_mov_b32_e32 v1, 1
	ds_write_b8 v31, v1 offset:16384
	ds_write_b8 v31, v18 offset:16512
.LBB84_123:
	s_or_b64 exec, exec, s[0:1]
	s_waitcnt lgkmcnt(0)
	s_barrier
	ds_read_b64 v[1:2], v29
	ds_read_b64 v[3:4], v30 offset:512
	ds_read_u8 v18, v28 offset:16384
	ds_read_u8 v31, v28 offset:16448
	s_waitcnt lgkmcnt(2)
	v_cmp_ge_i64_e32 vcc, v[1:2], v[3:4]
	s_waitcnt lgkmcnt(1)
	v_and_b32_e32 v17, 1, v18
	v_cmp_eq_u32_e64 s[0:1], 1, v17
	s_xor_b64 s[0:1], s[0:1], -1
	v_mov_b32_e32 v17, 0
	s_or_b64 s[0:1], vcc, s[0:1]
	s_waitcnt lgkmcnt(0)
	v_cmp_ne_u16_sdwa s[2:3], v31, v17 src0_sel:BYTE_0 src1_sel:DWORD
	s_and_b64 s[2:3], s[0:1], s[2:3]
	s_and_saveexec_b64 s[0:1], s[2:3]
	s_cbranch_execz .LBB84_125
; %bb.124:
	ds_write_b64 v29, v[3:4]
	ds_write_b64 v30, v[1:2] offset:512
	v_mov_b32_e32 v1, 1
	ds_write_b8 v28, v1 offset:16384
	ds_write_b8 v28, v18 offset:16448
.LBB84_125:
	;; [unrolled: 53-line block ×4, first 2 shown]
	s_or_b64 exec, exec, s[0:1]
	s_waitcnt lgkmcnt(0)
	s_barrier
	ds_read_b64 v[1:2], v12
	ds_read_b64 v[3:4], v13 offset:16
	ds_read_u8 v14, v11 offset:16384
	ds_read_u8 v15, v11 offset:16386
	s_waitcnt lgkmcnt(2)
	v_cmp_ge_i64_e32 vcc, v[1:2], v[3:4]
	s_waitcnt lgkmcnt(1)
	v_and_b32_e32 v16, 1, v14
	v_cmp_eq_u32_e64 s[0:1], 1, v16
	s_xor_b64 s[0:1], s[0:1], -1
	s_or_b64 s[0:1], vcc, s[0:1]
	s_waitcnt lgkmcnt(0)
	v_cmp_ne_u16_sdwa s[2:3], v15, v17 src0_sel:BYTE_0 src1_sel:DWORD
	s_and_b64 s[2:3], s[0:1], s[2:3]
	s_and_saveexec_b64 s[0:1], s[2:3]
	s_cbranch_execz .LBB84_135
; %bb.134:
	ds_write_b64 v12, v[3:4]
	ds_write_b64 v13, v[1:2] offset:16
	v_mov_b32_e32 v1, 1
	ds_write_b8 v11, v1 offset:16384
	ds_write_b8 v11, v14 offset:16386
.LBB84_135:
	s_or_b64 exec, exec, s[0:1]
	s_waitcnt lgkmcnt(0)
	s_barrier
	ds_read2_b64 v[1:4], v6 offset1:1
	ds_read_u8 v11, v9 offset:16384
	ds_read_u8 v12, v10 offset:16385
	s_waitcnt lgkmcnt(2)
	v_cmp_ge_i64_e32 vcc, v[1:2], v[3:4]
	s_waitcnt lgkmcnt(1)
	v_and_b32_e32 v13, 1, v11
	v_cmp_eq_u32_e64 s[0:1], 1, v13
	s_xor_b64 s[0:1], s[0:1], -1
	v_mov_b32_e32 v13, 0
	s_or_b64 s[0:1], vcc, s[0:1]
	s_waitcnt lgkmcnt(0)
	v_cmp_ne_u16_sdwa s[2:3], v12, v13 src0_sel:BYTE_0 src1_sel:DWORD
	s_and_b64 s[2:3], s[0:1], s[2:3]
	s_and_saveexec_b64 s[0:1], s[2:3]
	s_cbranch_execz .LBB84_137
; %bb.136:
	ds_write_b64 v6, v[3:4]
	ds_write_b64 v8, v[1:2] offset:8
	v_mov_b32_e32 v1, 1
	ds_write_b8 v9, v1 offset:16384
	ds_write_b8 v10, v11 offset:16385
.LBB84_137:
	s_or_b64 exec, exec, s[0:1]
	v_cmp_eq_u32_e32 vcc, 0, v0
	s_waitcnt lgkmcnt(0)
	s_barrier
	s_barrier
	s_and_saveexec_b64 s[0:1], vcc
	s_cbranch_execz .LBB84_139
; %bb.138:
	v_mov_b32_e32 v1, 1
	v_mov_b32_e32 v2, 8
	ds_write_b8 v2, v1 offset:16388
	v_mov_b32_e32 v1, 0
	ds_write_b32 v2, v1 offset:16384
.LBB84_139:
	s_or_b64 exec, exec, s[0:1]
	ds_read2_b64 v[1:4], v6 offset1:1
	s_waitcnt lgkmcnt(0)
	v_cmp_ne_u64_e64 s[0:1], v[1:2], v[3:4]
	v_cndmask_b32_e64 v8, 0, 1, s[0:1]
	v_cmp_eq_u64_e64 s[0:1], v[1:2], v[3:4]
	v_cndmask_b32_e64 v1, 0, 1, s[0:1]
	s_movk_i32 s0, 0x3ff
	ds_write_b8 v6, v8 offset:16396
	ds_write_b32 v6, v1 offset:16392
	v_cmp_ne_u32_e64 s[2:3], s0, v0
	v_mov_b32_e32 v1, 0x800
	s_and_saveexec_b64 s[6:7], s[2:3]
	s_cbranch_execz .LBB84_141
; %bb.140:
	v_lshl_add_u32 v2, v5, 3, 8
	ds_read_b64 v[8:9], v2 offset:16
	v_add_u32_e32 v1, 2, v5
	s_waitcnt lgkmcnt(0)
	v_cmp_ne_u64_e64 s[0:1], v[3:4], v[8:9]
	v_cndmask_b32_e64 v10, 0, 1, s[0:1]
	v_cmp_eq_u64_e64 s[0:1], v[3:4], v[8:9]
	v_cndmask_b32_e64 v3, 0, 1, s[0:1]
	ds_write_b8 v2, v10 offset:16404
	ds_write_b32 v2, v3 offset:16400
.LBB84_141:
	s_or_b64 exec, exec, s[6:7]
	s_waitcnt lgkmcnt(0)
	s_barrier
	ds_read_u8 v4, v6 offset:16396
	v_add_u32_e32 v2, 0x4000, v6
	ds_read2_b32 v[2:3], v2 offset1:2
	ds_read_u8 v8, v6 offset:16388
	v_add_u32_e32 v9, 0x4008, v6
	s_waitcnt lgkmcnt(2)
	v_and_b32_e32 v10, 1, v4
	v_cmp_eq_u32_e64 s[0:1], 1, v10
	s_waitcnt lgkmcnt(1)
	v_cndmask_b32_e64 v2, v2, 0, s[0:1]
	v_add_u32_e32 v2, v2, v3
	s_waitcnt lgkmcnt(0)
	v_or_b32_e32 v3, v8, v4
	v_and_b32_e32 v3, 1, v3
	ds_write2_b32 v9, v2, v3 offset1:1
	v_lshlrev_b32_e32 v2, 1, v1
	s_movk_i32 s0, 0x200
	v_cmp_gt_u32_e64 s[0:1], s0, v0
	v_lshl_add_u32 v2, v2, 3, 8
	s_waitcnt lgkmcnt(0)
	s_barrier
	s_and_saveexec_b64 s[6:7], s[0:1]
	s_cbranch_execz .LBB84_143
; %bb.142:
	ds_read_u8 v8, v2 offset:16380
	v_add_u32_e32 v3, 0x3c00, v2
	ds_read2_b32 v[3:4], v3 offset0:250 offset1:254
	ds_read_u8 v9, v2 offset:16364
	v_add_u32_e32 v10, 0x3ff8, v2
	s_waitcnt lgkmcnt(2)
	v_and_b32_e32 v11, 1, v8
	v_cmp_eq_u32_e64 s[0:1], 1, v11
	s_waitcnt lgkmcnt(1)
	v_cndmask_b32_e64 v3, v3, 0, s[0:1]
	v_add_u32_e32 v3, v3, v4
	s_waitcnt lgkmcnt(0)
	v_or_b32_e32 v4, v9, v8
	v_and_b32_e32 v4, 1, v4
	ds_write2_b32 v10, v3, v4 offset1:1
.LBB84_143:
	s_or_b64 exec, exec, s[6:7]
	v_lshlrev_b32_e32 v3, 2, v1
	s_movk_i32 s0, 0x100
	v_cmp_gt_u32_e64 s[0:1], s0, v0
	v_lshl_add_u32 v3, v3, 3, 8
	s_waitcnt lgkmcnt(0)
	s_barrier
	s_and_saveexec_b64 s[6:7], s[0:1]
	s_cbranch_execz .LBB84_145
; %bb.144:
	ds_read_u8 v4, v3 offset:16380
	v_add_u32_e32 v8, 0x3c00, v3
	ds_read2_b32 v[8:9], v8 offset0:246 offset1:254
	ds_read_u8 v10, v3 offset:16348
	v_add_u32_e32 v11, 0x3ff8, v3
	s_waitcnt lgkmcnt(2)
	v_and_b32_e32 v12, 1, v4
	v_cmp_eq_u32_e64 s[0:1], 1, v12
	s_waitcnt lgkmcnt(1)
	v_cndmask_b32_e64 v8, v8, 0, s[0:1]
	s_waitcnt lgkmcnt(0)
	v_or_b32_e32 v4, v10, v4
	v_add_u32_e32 v8, v8, v9
	v_and_b32_e32 v4, 1, v4
	ds_write2_b32 v11, v8, v4 offset1:1
.LBB84_145:
	s_or_b64 exec, exec, s[6:7]
	v_lshlrev_b32_e32 v4, 3, v1
	s_movk_i32 s0, 0x80
	v_cmp_gt_u32_e64 s[0:1], s0, v0
	v_lshl_add_u32 v4, v4, 3, 8
	s_waitcnt lgkmcnt(0)
	s_barrier
	s_and_saveexec_b64 s[6:7], s[0:1]
	s_cbranch_execz .LBB84_147
; %bb.146:
	ds_read_u8 v10, v4 offset:16380
	ds_read_u8 v12, v4 offset:16316
	v_add_u32_e32 v8, 0x3c00, v4
	ds_read2_b32 v[8:9], v8 offset0:238 offset1:254
	v_add_u32_e32 v11, 0x3ff8, v4
	s_waitcnt lgkmcnt(2)
	v_and_b32_e32 v13, 1, v10
	v_cmp_eq_u32_e64 s[0:1], 1, v13
	s_waitcnt lgkmcnt(0)
	v_cndmask_b32_e64 v8, v8, 0, s[0:1]
	v_add_u32_e32 v8, v8, v9
	v_or_b32_e32 v9, v12, v10
	v_and_b32_e32 v9, 1, v9
	ds_write2_b32 v11, v8, v9 offset1:1
.LBB84_147:
	s_or_b64 exec, exec, s[6:7]
	v_lshlrev_b32_e32 v8, 4, v1
	v_cmp_gt_u32_e64 s[0:1], 64, v0
	v_lshl_add_u32 v8, v8, 3, 8
	s_waitcnt lgkmcnt(0)
	s_barrier
	s_and_saveexec_b64 s[8:9], s[0:1]
	s_cbranch_execz .LBB84_149
; %bb.148:
	ds_read_u8 v11, v8 offset:16380
	ds_read_u8 v13, v8 offset:16252
	v_add_u32_e32 v9, 0x3c00, v8
	ds_read2_b32 v[9:10], v9 offset0:222 offset1:254
	v_add_u32_e32 v12, 0x3ff8, v8
	s_waitcnt lgkmcnt(2)
	v_and_b32_e32 v14, 1, v11
	v_cmp_eq_u32_e64 s[6:7], 1, v14
	s_waitcnt lgkmcnt(0)
	v_cndmask_b32_e64 v9, v9, 0, s[6:7]
	v_add_u32_e32 v9, v9, v10
	v_or_b32_e32 v10, v13, v11
	v_and_b32_e32 v10, 1, v10
	ds_write2_b32 v12, v9, v10 offset1:1
.LBB84_149:
	s_or_b64 exec, exec, s[8:9]
	v_lshlrev_b32_e32 v9, 5, v1
	v_cmp_gt_u32_e64 s[6:7], 32, v0
	v_lshl_add_u32 v9, v9, 3, 8
	s_waitcnt lgkmcnt(0)
	s_barrier
	s_and_saveexec_b64 s[8:9], s[6:7]
	s_cbranch_execz .LBB84_151
; %bb.150:
	ds_read_u8 v12, v9 offset:16380
	ds_read_u8 v14, v9 offset:16124
	v_add_u32_e32 v10, 0xf8, v9
	ds_read2st64_b32 v[10:11], v10 offset0:62 offset1:63
	v_add_u32_e32 v13, 0x3ff8, v9
	s_waitcnt lgkmcnt(2)
	v_and_b32_e32 v15, 1, v12
	v_cmp_eq_u32_e64 s[6:7], 1, v15
	s_waitcnt lgkmcnt(0)
	v_cndmask_b32_e64 v10, v10, 0, s[6:7]
	v_add_u32_e32 v10, v10, v11
	v_or_b32_e32 v11, v14, v12
	v_and_b32_e32 v11, 1, v11
	ds_write2_b32 v13, v10, v11 offset1:1
.LBB84_151:
	s_or_b64 exec, exec, s[8:9]
	v_lshlrev_b32_e32 v10, 6, v1
	v_cmp_gt_u32_e64 s[6:7], 16, v0
	v_lshl_add_u32 v10, v10, 3, 8
	s_waitcnt lgkmcnt(0)
	s_barrier
	s_and_saveexec_b64 s[8:9], s[6:7]
	s_cbranch_execz .LBB84_153
; %bb.152:
	ds_read_u8 v13, v10 offset:16380
	ds_read_u8 v15, v10 offset:15868
	v_add_u32_e32 v11, 0xf8, v10
	ds_read2st64_b32 v[11:12], v11 offset0:61 offset1:63
	v_add_u32_e32 v14, 0x3ff8, v10
	s_waitcnt lgkmcnt(2)
	v_and_b32_e32 v16, 1, v13
	v_cmp_eq_u32_e64 s[6:7], 1, v16
	s_waitcnt lgkmcnt(0)
	v_cndmask_b32_e64 v11, v11, 0, s[6:7]
	v_add_u32_e32 v11, v11, v12
	v_or_b32_e32 v12, v15, v13
	v_and_b32_e32 v12, 1, v12
	ds_write2_b32 v14, v11, v12 offset1:1
.LBB84_153:
	;; [unrolled: 24-line block ×5, first 2 shown]
	s_or_b64 exec, exec, s[8:9]
	s_waitcnt lgkmcnt(0)
	s_barrier
	s_and_saveexec_b64 s[8:9], vcc
	s_cbranch_execz .LBB84_161
; %bb.160:
	v_mov_b32_e32 v14, 8
	ds_read_u8 v15, v14 offset:32764
	ds_read_b32 v16, v14 offset:24568
	ds_read_b32 v17, v14 offset:32760
	ds_read_u8 v14, v14 offset:24572
	s_add_i32 s10, 8, 0x7ff8
	s_waitcnt lgkmcnt(3)
	v_and_b32_e32 v18, 1, v15
	v_cmp_eq_u32_e64 s[6:7], 1, v18
	s_waitcnt lgkmcnt(2)
	v_cndmask_b32_e64 v16, v16, 0, s[6:7]
	s_waitcnt lgkmcnt(0)
	v_or_b32_e32 v14, v14, v15
	v_add_u32_e32 v16, v16, v17
	v_and_b32_e32 v14, 1, v14
	v_mov_b32_e32 v15, s10
	ds_write2_b32 v15, v16, v14 offset1:1
.LBB84_161:
	s_or_b64 exec, exec, s[8:9]
	s_waitcnt lgkmcnt(0)
	s_barrier
	s_and_saveexec_b64 s[8:9], vcc
	s_cbranch_execz .LBB84_163
; %bb.162:
	ds_read_u8 v16, v13 offset:20476
	v_add_u32_e32 v14, 0xf8, v13
	ds_read2st64_b32 v[14:15], v14 offset0:63 offset1:79
	v_add_u32_e32 v17, 0x4ff8, v13
	ds_read_u8 v13, v13 offset:16380
	s_waitcnt lgkmcnt(2)
	v_and_b32_e32 v18, 1, v16
	v_cmp_eq_u32_e64 s[6:7], 1, v18
	s_waitcnt lgkmcnt(1)
	v_cndmask_b32_e64 v14, v14, 0, s[6:7]
	v_add_u32_e32 v14, v14, v15
	s_waitcnt lgkmcnt(0)
	v_or_b32_e32 v13, v13, v16
	v_and_b32_e32 v13, 1, v13
	ds_write2_b32 v17, v14, v13 offset1:1
.LBB84_163:
	s_or_b64 exec, exec, s[8:9]
	v_cmp_gt_u32_e64 s[6:7], 3, v0
	s_waitcnt lgkmcnt(0)
	s_barrier
	s_and_saveexec_b64 s[8:9], s[6:7]
	s_cbranch_execz .LBB84_165
; %bb.164:
	ds_read_u8 v15, v12 offset:18428
	v_add_u32_e32 v13, 0xf8, v12
	ds_read2st64_b32 v[13:14], v13 offset0:63 offset1:71
	v_add_u32_e32 v16, 0x47f8, v12
	ds_read_u8 v12, v12 offset:16380
	s_waitcnt lgkmcnt(2)
	v_and_b32_e32 v17, 1, v15
	v_cmp_eq_u32_e64 s[6:7], 1, v17
	s_waitcnt lgkmcnt(1)
	v_cndmask_b32_e64 v13, v13, 0, s[6:7]
	v_add_u32_e32 v13, v13, v14
	s_waitcnt lgkmcnt(0)
	v_or_b32_e32 v12, v12, v15
	v_and_b32_e32 v12, 1, v12
	ds_write2_b32 v16, v13, v12 offset1:1
.LBB84_165:
	s_or_b64 exec, exec, s[8:9]
	v_cmp_gt_u32_e64 s[6:7], 7, v0
	s_waitcnt lgkmcnt(0)
	s_barrier
	s_and_saveexec_b64 s[8:9], s[6:7]
	s_cbranch_execz .LBB84_167
; %bb.166:
	ds_read_u8 v14, v11 offset:17404
	v_add_u32_e32 v12, 0xf8, v11
	ds_read2st64_b32 v[12:13], v12 offset0:63 offset1:67
	v_add_u32_e32 v15, 0x43f8, v11
	ds_read_u8 v11, v11 offset:16380
	s_waitcnt lgkmcnt(2)
	v_and_b32_e32 v16, 1, v14
	v_cmp_eq_u32_e64 s[6:7], 1, v16
	s_waitcnt lgkmcnt(1)
	v_cndmask_b32_e64 v12, v12, 0, s[6:7]
	v_add_u32_e32 v12, v12, v13
	s_waitcnt lgkmcnt(0)
	v_or_b32_e32 v11, v11, v14
	v_and_b32_e32 v11, 1, v11
	ds_write2_b32 v15, v12, v11 offset1:1
.LBB84_167:
	s_or_b64 exec, exec, s[8:9]
	v_cmp_gt_u32_e64 s[6:7], 15, v0
	s_waitcnt lgkmcnt(0)
	s_barrier
	s_and_saveexec_b64 s[8:9], s[6:7]
	s_cbranch_execz .LBB84_169
; %bb.168:
	ds_read_u8 v13, v10 offset:16892
	v_add_u32_e32 v11, 0xf8, v10
	ds_read2st64_b32 v[11:12], v11 offset0:63 offset1:65
	v_add_u32_e32 v14, 0x41f8, v10
	ds_read_u8 v10, v10 offset:16380
	s_waitcnt lgkmcnt(2)
	v_and_b32_e32 v15, 1, v13
	v_cmp_eq_u32_e64 s[6:7], 1, v15
	s_waitcnt lgkmcnt(1)
	v_cndmask_b32_e64 v11, v11, 0, s[6:7]
	v_add_u32_e32 v11, v11, v12
	s_waitcnt lgkmcnt(0)
	v_or_b32_e32 v10, v10, v13
	v_and_b32_e32 v10, 1, v10
	ds_write2_b32 v14, v11, v10 offset1:1
.LBB84_169:
	s_or_b64 exec, exec, s[8:9]
	v_cmp_gt_u32_e64 s[6:7], 31, v0
	s_waitcnt lgkmcnt(0)
	s_barrier
	s_and_saveexec_b64 s[8:9], s[6:7]
	s_cbranch_execz .LBB84_171
; %bb.170:
	ds_read_u8 v12, v9 offset:16636
	v_add_u32_e32 v10, 0xf8, v9
	ds_read2st64_b32 v[10:11], v10 offset0:63 offset1:64
	v_add_u32_e32 v13, 0x40f8, v9
	ds_read_u8 v9, v9 offset:16380
	s_waitcnt lgkmcnt(2)
	v_and_b32_e32 v14, 1, v12
	v_cmp_eq_u32_e64 s[6:7], 1, v14
	s_waitcnt lgkmcnt(1)
	v_cndmask_b32_e64 v10, v10, 0, s[6:7]
	v_add_u32_e32 v10, v10, v11
	s_waitcnt lgkmcnt(0)
	v_or_b32_e32 v9, v9, v12
	v_and_b32_e32 v9, 1, v9
	ds_write2_b32 v13, v10, v9 offset1:1
.LBB84_171:
	s_or_b64 exec, exec, s[8:9]
	v_cmp_gt_u32_e64 s[6:7], 63, v0
	s_waitcnt lgkmcnt(0)
	s_barrier
	s_and_saveexec_b64 s[8:9], s[6:7]
	s_cbranch_execz .LBB84_173
; %bb.172:
	ds_read_u8 v11, v8 offset:16508
	v_add_u32_e32 v9, 0x3e00, v8
	ds_read2_b32 v[9:10], v9 offset0:126 offset1:158
	v_add_u32_e32 v12, 0x4078, v8
	ds_read_u8 v8, v8 offset:16380
	s_waitcnt lgkmcnt(2)
	v_and_b32_e32 v13, 1, v11
	v_cmp_eq_u32_e64 s[6:7], 1, v13
	s_waitcnt lgkmcnt(1)
	v_cndmask_b32_e64 v9, v9, 0, s[6:7]
	v_add_u32_e32 v9, v9, v10
	s_waitcnt lgkmcnt(0)
	v_or_b32_e32 v8, v8, v11
	v_and_b32_e32 v8, 1, v8
	ds_write2_b32 v12, v9, v8 offset1:1
.LBB84_173:
	s_or_b64 exec, exec, s[8:9]
	s_movk_i32 s6, 0x7f
	v_cmp_gt_u32_e64 s[6:7], s6, v0
	s_waitcnt lgkmcnt(0)
	s_barrier
	s_and_saveexec_b64 s[8:9], s[6:7]
	s_cbranch_execz .LBB84_175
; %bb.174:
	ds_read_u8 v10, v4 offset:16444
	v_add_u32_e32 v8, 0x3e00, v4
	ds_read2_b32 v[8:9], v8 offset0:126 offset1:142
	v_add_u32_e32 v11, 0x4038, v4
	ds_read_u8 v4, v4 offset:16380
	s_waitcnt lgkmcnt(2)
	v_and_b32_e32 v12, 1, v10
	v_cmp_eq_u32_e64 s[6:7], 1, v12
	s_waitcnt lgkmcnt(1)
	v_cndmask_b32_e64 v8, v8, 0, s[6:7]
	v_add_u32_e32 v8, v8, v9
	s_waitcnt lgkmcnt(0)
	v_or_b32_e32 v4, v4, v10
	v_and_b32_e32 v4, 1, v4
	ds_write2_b32 v11, v8, v4 offset1:1
.LBB84_175:
	s_or_b64 exec, exec, s[8:9]
	s_movk_i32 s6, 0xff
	v_cmp_gt_u32_e64 s[6:7], s6, v0
	s_waitcnt lgkmcnt(0)
	s_barrier
	s_and_saveexec_b64 s[8:9], s[6:7]
	s_cbranch_execz .LBB84_177
; %bb.176:
	ds_read_u8 v4, v3 offset:16412
	v_add_u32_e32 v8, 0x3e00, v3
	ds_read2_b32 v[8:9], v8 offset0:126 offset1:134
	ds_read_u8 v10, v3 offset:16380
	v_add_u32_e32 v3, 0x4018, v3
	s_waitcnt lgkmcnt(2)
	v_and_b32_e32 v11, 1, v4
	v_cmp_eq_u32_e64 s[6:7], 1, v11
	s_waitcnt lgkmcnt(1)
	v_cndmask_b32_e64 v8, v8, 0, s[6:7]
	s_waitcnt lgkmcnt(0)
	v_or_b32_e32 v4, v10, v4
	v_add_u32_e32 v8, v8, v9
	v_and_b32_e32 v4, 1, v4
	ds_write2_b32 v3, v8, v4 offset1:1
.LBB84_177:
	s_or_b64 exec, exec, s[8:9]
	s_movk_i32 s6, 0x1ff
	v_cmp_gt_u32_e64 s[6:7], s6, v0
	s_waitcnt lgkmcnt(0)
	s_barrier
	s_and_saveexec_b64 s[8:9], s[6:7]
	s_cbranch_execz .LBB84_179
; %bb.178:
	ds_read_u8 v8, v2 offset:16396
	v_add_u32_e32 v3, 0x3e00, v2
	ds_read2_b32 v[3:4], v3 offset0:126 offset1:130
	ds_read_u8 v9, v2 offset:16380
	v_add_u32_e32 v2, 0x4008, v2
	s_waitcnt lgkmcnt(2)
	v_and_b32_e32 v10, 1, v8
	v_cmp_eq_u32_e64 s[6:7], 1, v10
	s_waitcnt lgkmcnt(1)
	v_cndmask_b32_e64 v3, v3, 0, s[6:7]
	v_add_u32_e32 v3, v3, v4
	s_waitcnt lgkmcnt(0)
	v_or_b32_e32 v4, v9, v8
	v_and_b32_e32 v4, 1, v4
	ds_write2_b32 v2, v3, v4 offset1:1
.LBB84_179:
	s_or_b64 exec, exec, s[8:9]
	s_waitcnt lgkmcnt(0)
	s_barrier
	s_and_saveexec_b64 s[6:7], s[2:3]
	s_cbranch_execz .LBB84_181
; %bb.180:
	v_lshl_add_u32 v1, v1, 3, 8
	ds_read_u8 v2, v1 offset:16388
	v_add_u32_e32 v3, 0x4000, v1
	ds_read_b32 v4, v6 offset:16392
	ds_read_b32 v1, v1 offset:16384
	ds_read_u8 v8, v6 offset:16396
	s_waitcnt lgkmcnt(3)
	v_and_b32_e32 v9, 1, v2
	v_cmp_eq_u32_e64 s[2:3], 1, v9
	s_waitcnt lgkmcnt(2)
	v_cndmask_b32_e64 v4, v4, 0, s[2:3]
	s_waitcnt lgkmcnt(0)
	v_or_b32_e32 v2, v8, v2
	v_add_u32_e32 v1, v4, v1
	v_and_b32_e32 v2, 1, v2
	ds_write2_b32 v3, v1, v2 offset1:1
.LBB84_181:
	s_or_b64 exec, exec, s[6:7]
	v_add_u32_e32 v1, 0x4000, v6
	s_waitcnt lgkmcnt(0)
	s_barrier
	ds_read2_b32 v[2:3], v1 offset1:2
	v_or_b32_e32 v1, 1, v5
	v_cmp_gt_u32_e64 s[6:7], s16, v1
	v_cmp_gt_u32_e64 s[2:3], s16, v5
	v_cndmask_b32_e64 v4, 0, v5, s[2:3]
	s_waitcnt lgkmcnt(0)
	v_cndmask_b32_e64 v6, 0, v3, s[6:7]
	v_mbcnt_lo_u32_b32 v3, -1, 0
	v_cndmask_b32_e64 v2, 0, v2, s[2:3]
	v_mbcnt_hi_u32_b32 v11, -1, v3
	v_mov_b32_e32 v3, 0x80
	v_cndmask_b32_e64 v8, 0, v1, s[6:7]
	v_max_u32_e32 v9, v6, v2
	v_lshl_or_b32 v3, v11, 2, v3
	v_cmp_gt_u32_e64 s[8:9], v6, v2
	ds_bpermute_b32 v10, v3, v9
	v_cndmask_b32_e64 v2, v4, v8, s[8:9]
	ds_bpermute_b32 v6, v3, v2
	v_and_b32_e32 v12, 63, v11
	v_cmp_gt_u32_e64 s[8:9], 48, v12
	v_cndmask_b32_e64 v4, 0, 16, s[8:9]
	s_waitcnt lgkmcnt(1)
	v_max_u32_e32 v13, v10, v9
	v_add_lshl_u32 v4, v4, v11, 2
	v_cmp_gt_u32_e64 s[8:9], v10, v9
	ds_bpermute_b32 v14, v4, v13
	s_waitcnt lgkmcnt(1)
	v_cndmask_b32_e64 v2, v2, v6, s[8:9]
	ds_bpermute_b32 v6, v4, v2
	v_cmp_gt_u32_e64 s[8:9], 56, v12
	v_cndmask_b32_e64 v8, 0, 8, s[8:9]
	s_waitcnt lgkmcnt(1)
	v_max_u32_e32 v10, v14, v13
	v_add_lshl_u32 v8, v8, v11, 2
	v_cmp_gt_u32_e64 s[8:9], v14, v13
	ds_bpermute_b32 v15, v8, v10
	s_waitcnt lgkmcnt(1)
	v_cndmask_b32_e64 v2, v2, v6, s[8:9]
	ds_bpermute_b32 v6, v8, v2
	;; [unrolled: 10-line block ×4, first 2 shown]
	s_waitcnt lgkmcnt(0)
	s_barrier
	v_cmp_gt_u32_e64 s[8:9], v16, v15
	v_max_u32_e32 v2, v16, v15
	v_cndmask_b32_e64 v6, v6, v13, s[8:9]
	v_cmp_ne_u32_e64 s[8:9], 63, v12
	v_addc_co_u32_e64 v11, s[8:9], 0, v11, s[8:9]
	v_lshlrev_b32_e32 v11, 2, v11
	ds_bpermute_b32 v12, v11, v6
	ds_bpermute_b32 v13, v11, v2
	v_cmp_eq_u32_e64 s[8:9], 0, v7
	s_waitcnt lgkmcnt(0)
	s_barrier
	s_and_saveexec_b64 s[12:13], s[8:9]
	s_cbranch_execz .LBB84_183
; %bb.182:
	v_lshrrev_b32_e32 v14, 3, v0
	v_add_u32_e32 v14, 8, v14
	v_cmp_gt_u32_e64 s[10:11], v13, v2
	v_add_u32_e32 v14, 0x4000, v14
	v_cndmask_b32_e64 v6, v6, v12, s[10:11]
	v_max_u32_e32 v2, v13, v2
	ds_write2_b32 v14, v2, v6 offset1:1
.LBB84_183:
	s_or_b64 exec, exec, s[12:13]
	s_lshr_b32 s10, s18, 6
	v_cmp_gt_u32_e64 s[10:11], s10, v0
	v_lshl_add_u32 v12, v7, 3, 8
	v_mov_b32_e32 v2, 0
	v_mov_b32_e32 v6, 0
	s_waitcnt lgkmcnt(0)
	s_barrier
	s_and_saveexec_b64 s[12:13], s[10:11]
	s_cbranch_execnz .LBB84_198
; %bb.184:
	s_or_b64 exec, exec, s[12:13]
	s_and_saveexec_b64 s[12:13], s[10:11]
	s_cbranch_execnz .LBB84_199
.LBB84_185:
	s_or_b64 exec, exec, s[12:13]
	s_and_saveexec_b64 s[18:19], s[0:1]
	s_cbranch_execnz .LBB84_200
.LBB84_186:
	s_or_b64 exec, exec, s[18:19]
	s_and_saveexec_b64 s[12:13], vcc
	s_cbranch_execz .LBB84_188
.LBB84_187:
	s_waitcnt lgkmcnt(0)
	v_lshl_add_u32 v2, v2, 3, 8
	ds_read_b64 v[13:14], v2
	v_mov_b32_e32 v2, 0
	s_waitcnt lgkmcnt(0)
	ds_write_b64 v2, v[13:14]
.LBB84_188:
	s_or_b64 exec, exec, s[12:13]
	s_waitcnt lgkmcnt(0)
	v_mov_b32_e32 v6, 0
	v_cmp_gt_i64_e64 s[12:13], s[16:17], v[5:6]
	v_mov_b32_e32 v13, 0
	s_barrier
	s_and_saveexec_b64 s[18:19], s[12:13]
	s_cbranch_execz .LBB84_190
; %bb.189:
	v_add_u32_e32 v13, s21, v5
	v_mov_b32_e32 v14, 0
	v_lshlrev_b64 v[15:16], 3, v[13:14]
	v_mov_b32_e32 v2, s15
	v_add_co_u32_e64 v15, s[12:13], s14, v15
	v_addc_co_u32_e64 v16, s[12:13], v2, v16, s[12:13]
	global_load_dwordx2 v[15:16], v[15:16], off
	ds_read_b64 v[13:14], v14
	s_waitcnt vmcnt(0) lgkmcnt(0)
	v_cmp_eq_u64_e64 s[12:13], v[15:16], v[13:14]
	v_cndmask_b32_e64 v13, 0, v5, s[12:13]
.LBB84_190:
	s_or_b64 exec, exec, s[18:19]
	v_mov_b32_e32 v2, v6
	v_cmp_gt_i64_e64 s[12:13], s[16:17], v[1:2]
	s_and_saveexec_b64 s[16:17], s[12:13]
	s_cbranch_execz .LBB84_192
; %bb.191:
	v_add_u32_e32 v5, s21, v1
	v_mov_b32_e32 v6, 0
	v_lshlrev_b64 v[14:15], 3, v[5:6]
	v_mov_b32_e32 v2, s15
	v_add_co_u32_e64 v14, s[12:13], s14, v14
	v_addc_co_u32_e64 v15, s[12:13], v2, v15, s[12:13]
	global_load_dwordx2 v[14:15], v[14:15], off
	ds_read_b64 v[5:6], v6
	s_waitcnt vmcnt(0) lgkmcnt(0)
	v_cmp_eq_u64_e64 s[12:13], v[14:15], v[5:6]
	v_cndmask_b32_e64 v6, 0, v1, s[12:13]
.LBB84_192:
	s_or_b64 exec, exec, s[16:17]
	v_cndmask_b32_e64 v1, 0, v13, s[2:3]
	v_max_u32_e32 v2, v6, v1
	v_cndmask_b32_e64 v1, v1, v2, s[6:7]
	ds_bpermute_b32 v2, v3, v1
	s_waitcnt lgkmcnt(0)
	s_barrier
	v_max_u32_e32 v1, v2, v1
	ds_bpermute_b32 v2, v4, v1
	s_waitcnt lgkmcnt(0)
	v_max_u32_e32 v1, v2, v1
	ds_bpermute_b32 v2, v8, v1
	s_waitcnt lgkmcnt(0)
	;; [unrolled: 3-line block ×4, first 2 shown]
	v_max_u32_e32 v1, v2, v1
	ds_bpermute_b32 v2, v11, v1
	s_and_saveexec_b64 s[2:3], s[8:9]
	s_cbranch_execz .LBB84_194
; %bb.193:
	v_lshrrev_b32_e32 v0, 4, v0
	v_add_u32_e32 v0, 8, v0
	s_waitcnt lgkmcnt(0)
	v_max_u32_e32 v1, v2, v1
	ds_write_b32 v0, v1
.LBB84_194:
	s_or_b64 exec, exec, s[2:3]
	v_mov_b32_e32 v0, 0
	s_waitcnt lgkmcnt(0)
	s_barrier
	s_and_saveexec_b64 s[2:3], s[10:11]
	s_cbranch_execnz .LBB84_201
; %bb.195:
	s_or_b64 exec, exec, s[2:3]
	s_and_saveexec_b64 s[2:3], s[0:1]
	s_cbranch_execnz .LBB84_202
.LBB84_196:
	s_or_b64 exec, exec, s[2:3]
	s_and_saveexec_b64 s[0:1], vcc
	s_cbranch_execnz .LBB84_203
.LBB84_197:
	s_endpgm
.LBB84_198:
	ds_read_b32 v6, v12 offset:16384
	s_or_b64 exec, exec, s[12:13]
	s_and_saveexec_b64 s[12:13], s[10:11]
	s_cbranch_execz .LBB84_185
.LBB84_199:
	ds_read_b32 v2, v12 offset:16388
	s_or_b64 exec, exec, s[12:13]
	s_and_saveexec_b64 s[18:19], s[0:1]
	s_cbranch_execz .LBB84_186
.LBB84_200:
	s_waitcnt lgkmcnt(0)
	ds_bpermute_b32 v13, v3, v6
	ds_bpermute_b32 v14, v3, v2
	s_waitcnt lgkmcnt(1)
	v_max_u32_e32 v15, v13, v6
	v_cmp_gt_u32_e64 s[12:13], v13, v6
	ds_bpermute_b32 v16, v4, v15
	s_waitcnt lgkmcnt(1)
	v_cndmask_b32_e64 v2, v2, v14, s[12:13]
	ds_bpermute_b32 v6, v4, v2
	s_waitcnt lgkmcnt(1)
	v_max_u32_e32 v13, v16, v15
	v_cmp_gt_u32_e64 s[12:13], v16, v15
	ds_bpermute_b32 v14, v8, v13
	s_waitcnt lgkmcnt(1)
	v_cndmask_b32_e64 v2, v2, v6, s[12:13]
	;; [unrolled: 7-line block ×4, first 2 shown]
	ds_bpermute_b32 v6, v10, v2
	s_waitcnt lgkmcnt(1)
	v_max_u32_e32 v15, v14, v13
	v_cmp_gt_u32_e64 s[12:13], v14, v13
	s_waitcnt lgkmcnt(0)
	v_cndmask_b32_e64 v2, v2, v6, s[12:13]
	ds_bpermute_b32 v6, v11, v15
	ds_bpermute_b32 v13, v11, v2
	s_waitcnt lgkmcnt(1)
	v_cmp_gt_u32_e64 s[12:13], v6, v15
	s_waitcnt lgkmcnt(0)
	v_cndmask_b32_e64 v2, v2, v13, s[12:13]
	s_or_b64 exec, exec, s[18:19]
	s_and_saveexec_b64 s[12:13], vcc
	s_cbranch_execnz .LBB84_187
	s_branch .LBB84_188
.LBB84_201:
	v_lshlrev_b32_e32 v0, 2, v7
	v_sub_u32_e32 v0, v12, v0
	ds_read_b32 v0, v0
	s_or_b64 exec, exec, s[2:3]
	s_and_saveexec_b64 s[2:3], s[0:1]
	s_cbranch_execz .LBB84_196
.LBB84_202:
	s_waitcnt lgkmcnt(0)
	ds_bpermute_b32 v1, v3, v0
	s_waitcnt lgkmcnt(0)
	v_max_u32_e32 v0, v1, v0
	ds_bpermute_b32 v1, v4, v0
	s_waitcnt lgkmcnt(0)
	v_max_u32_e32 v0, v1, v0
	ds_bpermute_b32 v1, v8, v0
	s_waitcnt lgkmcnt(0)
	v_max_u32_e32 v0, v1, v0
	ds_bpermute_b32 v1, v9, v0
	s_waitcnt lgkmcnt(0)
	v_max_u32_e32 v0, v1, v0
	ds_bpermute_b32 v1, v10, v0
	s_waitcnt lgkmcnt(0)
	v_max_u32_e32 v0, v1, v0
	ds_bpermute_b32 v1, v11, v0
	s_waitcnt lgkmcnt(0)
	v_max_u32_e32 v0, v1, v0
	s_or_b64 exec, exec, s[2:3]
	s_and_saveexec_b64 s[0:1], vcc
	s_cbranch_execz .LBB84_197
.LBB84_203:
	s_load_dword s6, s[4:5], 0xd8
	s_load_dwordx2 s[0:1], s[4:5], 0xe0
	s_add_u32 s2, s4, 8
	s_addc_u32 s3, s5, 0
	s_mov_b32 s5, 0
	s_waitcnt lgkmcnt(0)
	s_cmp_lt_i32 s6, 2
	s_cbranch_scc1 .LBB84_206
; %bb.204:
	s_add_i32 s4, s6, -1
	s_add_i32 s8, s6, 1
	s_lshl_b64 s[6:7], s[4:5], 2
	s_add_u32 s4, s2, s6
	s_addc_u32 s7, s3, s7
	s_add_u32 s6, s4, 8
	s_addc_u32 s7, s7, 0
.LBB84_205:                             ; =>This Inner Loop Header: Depth=1
	s_load_dword s4, s[6:7], 0x0
	s_load_dword s10, s[6:7], 0x64
	s_mov_b32 s9, s20
	s_waitcnt lgkmcnt(0)
	v_cvt_f32_u32_e32 v1, s4
	s_sub_i32 s11, 0, s4
	v_rcp_iflag_f32_e32 v1, v1
	v_mul_f32_e32 v1, 0x4f7ffffe, v1
	v_cvt_u32_f32_e32 v1, v1
	v_readfirstlane_b32 s12, v1
	s_mul_i32 s11, s11, s12
	s_mul_hi_u32 s11, s12, s11
	s_add_i32 s12, s12, s11
	s_mul_hi_u32 s11, s20, s12
	s_mul_i32 s12, s11, s4
	s_sub_i32 s12, s20, s12
	s_add_i32 s13, s11, 1
	s_sub_i32 s14, s12, s4
	s_cmp_ge_u32 s12, s4
	s_cselect_b32 s11, s13, s11
	s_cselect_b32 s12, s14, s12
	s_add_i32 s13, s11, 1
	s_cmp_ge_u32 s12, s4
	s_cselect_b32 s20, s13, s11
	s_mul_i32 s4, s20, s4
	s_sub_i32 s4, s9, s4
	s_mul_i32 s4, s10, s4
	s_add_i32 s8, s8, -1
	s_add_i32 s5, s4, s5
	s_add_u32 s6, s6, -4
	s_addc_u32 s7, s7, -1
	s_cmp_gt_u32 s8, 2
	s_cbranch_scc1 .LBB84_205
.LBB84_206:
	s_load_dword s4, s[2:3], 0x6c
	s_mov_b32 s7, 0
	s_load_dwordx2 s[2:3], s[2:3], 0x0
	v_mov_b32_e32 v1, 0
	ds_read_b64 v[2:3], v1
	s_waitcnt lgkmcnt(0)
	s_mul_i32 s4, s4, s20
	s_add_i32 s6, s4, s5
	s_lshl_b64 s[4:5], s[6:7], 3
	s_add_u32 s2, s2, s4
	s_addc_u32 s3, s3, s5
	s_add_u32 s0, s0, s4
	s_addc_u32 s1, s1, s5
	global_store_dwordx2 v1, v[2:3], s[2:3]
	global_store_dwordx2 v1, v[0:1], s[0:1]
	s_endpgm
	.section	.rodata,"a",@progbits
	.p2align	6, 0x0
	.amdhsa_kernel _ZN2at6native12compute_modeIlLj2048EEEvPKT_NS_4cuda6detail10TensorInfoIS2_jEENS7_IljEEll
		.amdhsa_group_segment_fixed_size 8
		.amdhsa_private_segment_fixed_size 0
		.amdhsa_kernarg_size 712
		.amdhsa_user_sgpr_count 6
		.amdhsa_user_sgpr_private_segment_buffer 1
		.amdhsa_user_sgpr_dispatch_ptr 0
		.amdhsa_user_sgpr_queue_ptr 0
		.amdhsa_user_sgpr_kernarg_segment_ptr 1
		.amdhsa_user_sgpr_dispatch_id 0
		.amdhsa_user_sgpr_flat_scratch_init 0
		.amdhsa_user_sgpr_private_segment_size 0
		.amdhsa_uses_dynamic_stack 0
		.amdhsa_system_sgpr_private_segment_wavefront_offset 0
		.amdhsa_system_sgpr_workgroup_id_x 1
		.amdhsa_system_sgpr_workgroup_id_y 1
		.amdhsa_system_sgpr_workgroup_id_z 1
		.amdhsa_system_sgpr_workgroup_info 0
		.amdhsa_system_vgpr_workitem_id 0
		.amdhsa_next_free_vgpr 44
		.amdhsa_next_free_sgpr 22
		.amdhsa_reserve_vcc 1
		.amdhsa_reserve_flat_scratch 0
		.amdhsa_float_round_mode_32 0
		.amdhsa_float_round_mode_16_64 0
		.amdhsa_float_denorm_mode_32 3
		.amdhsa_float_denorm_mode_16_64 3
		.amdhsa_dx10_clamp 1
		.amdhsa_ieee_mode 1
		.amdhsa_fp16_overflow 0
		.amdhsa_exception_fp_ieee_invalid_op 0
		.amdhsa_exception_fp_denorm_src 0
		.amdhsa_exception_fp_ieee_div_zero 0
		.amdhsa_exception_fp_ieee_overflow 0
		.amdhsa_exception_fp_ieee_underflow 0
		.amdhsa_exception_fp_ieee_inexact 0
		.amdhsa_exception_int_div_zero 0
	.end_amdhsa_kernel
	.section	.text._ZN2at6native12compute_modeIlLj2048EEEvPKT_NS_4cuda6detail10TensorInfoIS2_jEENS7_IljEEll,"axG",@progbits,_ZN2at6native12compute_modeIlLj2048EEEvPKT_NS_4cuda6detail10TensorInfoIS2_jEENS7_IljEEll,comdat
.Lfunc_end84:
	.size	_ZN2at6native12compute_modeIlLj2048EEEvPKT_NS_4cuda6detail10TensorInfoIS2_jEENS7_IljEEll, .Lfunc_end84-_ZN2at6native12compute_modeIlLj2048EEEvPKT_NS_4cuda6detail10TensorInfoIS2_jEENS7_IljEEll
                                        ; -- End function
	.set _ZN2at6native12compute_modeIlLj2048EEEvPKT_NS_4cuda6detail10TensorInfoIS2_jEENS7_IljEEll.num_vgpr, 44
	.set _ZN2at6native12compute_modeIlLj2048EEEvPKT_NS_4cuda6detail10TensorInfoIS2_jEENS7_IljEEll.num_agpr, 0
	.set _ZN2at6native12compute_modeIlLj2048EEEvPKT_NS_4cuda6detail10TensorInfoIS2_jEENS7_IljEEll.numbered_sgpr, 22
	.set _ZN2at6native12compute_modeIlLj2048EEEvPKT_NS_4cuda6detail10TensorInfoIS2_jEENS7_IljEEll.num_named_barrier, 0
	.set _ZN2at6native12compute_modeIlLj2048EEEvPKT_NS_4cuda6detail10TensorInfoIS2_jEENS7_IljEEll.private_seg_size, 0
	.set _ZN2at6native12compute_modeIlLj2048EEEvPKT_NS_4cuda6detail10TensorInfoIS2_jEENS7_IljEEll.uses_vcc, 1
	.set _ZN2at6native12compute_modeIlLj2048EEEvPKT_NS_4cuda6detail10TensorInfoIS2_jEENS7_IljEEll.uses_flat_scratch, 0
	.set _ZN2at6native12compute_modeIlLj2048EEEvPKT_NS_4cuda6detail10TensorInfoIS2_jEENS7_IljEEll.has_dyn_sized_stack, 0
	.set _ZN2at6native12compute_modeIlLj2048EEEvPKT_NS_4cuda6detail10TensorInfoIS2_jEENS7_IljEEll.has_recursion, 0
	.set _ZN2at6native12compute_modeIlLj2048EEEvPKT_NS_4cuda6detail10TensorInfoIS2_jEENS7_IljEEll.has_indirect_call, 0
	.section	.AMDGPU.csdata,"",@progbits
; Kernel info:
; codeLenInByte = 15064
; TotalNumSgprs: 26
; NumVgprs: 44
; ScratchSize: 0
; MemoryBound: 0
; FloatMode: 240
; IeeeMode: 1
; LDSByteSize: 8 bytes/workgroup (compile time only)
; SGPRBlocks: 3
; VGPRBlocks: 10
; NumSGPRsForWavesPerEU: 26
; NumVGPRsForWavesPerEU: 44
; Occupancy: 5
; WaveLimiterHint : 1
; COMPUTE_PGM_RSRC2:SCRATCH_EN: 0
; COMPUTE_PGM_RSRC2:USER_SGPR: 6
; COMPUTE_PGM_RSRC2:TRAP_HANDLER: 0
; COMPUTE_PGM_RSRC2:TGID_X_EN: 1
; COMPUTE_PGM_RSRC2:TGID_Y_EN: 1
; COMPUTE_PGM_RSRC2:TGID_Z_EN: 1
; COMPUTE_PGM_RSRC2:TIDIG_COMP_CNT: 0
	.section	.text._ZN2at6native12compute_modeIlLj1024EEEvPKT_NS_4cuda6detail10TensorInfoIS2_jEENS7_IljEEll,"axG",@progbits,_ZN2at6native12compute_modeIlLj1024EEEvPKT_NS_4cuda6detail10TensorInfoIS2_jEENS7_IljEEll,comdat
	.protected	_ZN2at6native12compute_modeIlLj1024EEEvPKT_NS_4cuda6detail10TensorInfoIS2_jEENS7_IljEEll ; -- Begin function _ZN2at6native12compute_modeIlLj1024EEEvPKT_NS_4cuda6detail10TensorInfoIS2_jEENS7_IljEEll
	.globl	_ZN2at6native12compute_modeIlLj1024EEEvPKT_NS_4cuda6detail10TensorInfoIS2_jEENS7_IljEEll
	.p2align	8
	.type	_ZN2at6native12compute_modeIlLj1024EEEvPKT_NS_4cuda6detail10TensorInfoIS2_jEENS7_IljEEll,@function
_ZN2at6native12compute_modeIlLj1024EEEvPKT_NS_4cuda6detail10TensorInfoIS2_jEENS7_IljEEll: ; @_ZN2at6native12compute_modeIlLj1024EEEvPKT_NS_4cuda6detail10TensorInfoIS2_jEENS7_IljEEll
; %bb.0:
	s_load_dwordx2 s[2:3], s[4:5], 0x1c8
	s_load_dwordx4 s[16:19], s[4:5], 0x1b8
	s_add_u32 s0, s4, 0x1c8
	s_addc_u32 s1, s5, 0
	v_mov_b32_e32 v2, 0
	s_waitcnt lgkmcnt(0)
	s_mul_i32 s3, s3, s8
	s_add_i32 s3, s3, s7
	s_mul_i32 s2, s3, s2
	s_add_i32 s20, s2, s6
	v_mov_b32_e32 v1, s20
	v_cmp_le_i64_e32 vcc, s[18:19], v[1:2]
	s_cbranch_vccnz .LBB85_173
; %bb.1:
	s_load_dwordx2 s[14:15], s[4:5], 0x0
	s_load_dword s6, s[0:1], 0xc
	v_mov_b32_e32 v1, v2
	v_cmp_gt_i64_e32 vcc, s[16:17], v[0:1]
	s_mul_i32 s21, s20, s16
	s_and_saveexec_b64 s[2:3], vcc
	s_cbranch_execz .LBB85_3
; %bb.2:
	v_add_u32_e32 v1, s21, v0
	v_lshlrev_b64 v[3:4], 3, v[1:2]
	s_waitcnt lgkmcnt(0)
	v_mov_b32_e32 v1, s15
	v_add_co_u32_e64 v3, s[0:1], s14, v3
	v_addc_co_u32_e64 v4, s[0:1], v1, v4, s[0:1]
	global_load_dwordx2 v[3:4], v[3:4], off
	v_lshl_add_u32 v1, v0, 3, 8
	s_waitcnt vmcnt(0)
	ds_write_b64 v1, v[3:4]
.LBB85_3:
	s_or_b64 exec, exec, s[2:3]
	s_waitcnt lgkmcnt(0)
	s_and_b32 s18, 0xffff, s6
	v_add_u32_e32 v1, s18, v0
	v_cmp_gt_i64_e64 s[0:1], s[16:17], v[1:2]
	s_and_saveexec_b64 s[6:7], s[0:1]
	s_cbranch_execz .LBB85_5
; %bb.4:
	v_add_u32_e32 v2, s21, v1
	v_mov_b32_e32 v3, 0
	v_lshlrev_b64 v[2:3], 3, v[2:3]
	v_mov_b32_e32 v4, s15
	v_add_co_u32_e64 v2, s[2:3], s14, v2
	v_addc_co_u32_e64 v3, s[2:3], v4, v3, s[2:3]
	global_load_dwordx2 v[2:3], v[2:3], off
	v_lshl_add_u32 v1, v1, 3, 8
	s_waitcnt vmcnt(0)
	ds_write_b64 v1, v[2:3]
.LBB85_5:
	s_or_b64 exec, exec, s[6:7]
	v_add_u32_e32 v1, 8, v0
	v_mad_u32_u24 v6, v0, 15, v1
	v_cndmask_b32_e64 v2, 0, 1, vcc
	v_mad_i32_i24 v5, v0, -14, v6
	ds_write_b8 v1, v2 offset:8192
	v_add_u32_e32 v2, s18, v1
	v_cndmask_b32_e64 v3, 0, 1, s[0:1]
	v_mad_u32_u24 v8, v0, 14, v5
	ds_write_b8 v2, v3 offset:8192
	s_waitcnt lgkmcnt(0)
	s_barrier
	s_barrier
	ds_read2_b64 v[1:4], v6 offset1:1
	ds_read_u8 v5, v5 offset:8192
	v_mad_i32_i24 v7, v0, -14, v8
	ds_read_u8 v7, v7 offset:8193
	v_and_b32_e32 v11, 1, v0
	s_waitcnt lgkmcnt(2)
	v_cmp_lt_i64_e32 vcc, v[1:2], v[3:4]
	s_waitcnt lgkmcnt(1)
	v_and_b32_e32 v9, 1, v5
	v_cmp_eq_u32_e64 s[0:1], 1, v9
	s_waitcnt lgkmcnt(0)
	v_cmp_ne_u16_e64 s[2:3], v7, v11
	v_cndmask_b32_e64 v9, 0, 1, s[2:3]
	s_and_b64 vcc, vcc, s[0:1]
	v_cndmask_b32_e32 v9, v9, v0, vcc
	v_mul_i32_i24_e32 v10, -14, v0
	v_and_b32_e32 v9, 1, v9
	v_cmp_eq_u32_e32 vcc, 1, v9
	v_add_u32_e32 v9, v6, v10
	v_add_u32_e32 v10, v8, v10
	s_and_saveexec_b64 s[0:1], vcc
	s_cbranch_execz .LBB85_7
; %bb.6:
	ds_write_b64 v6, v[3:4]
	ds_write_b64 v8, v[1:2] offset:8
	ds_write_b8 v9, v7 offset:8192
	ds_write_b8 v10, v5 offset:8193
.LBB85_7:
	s_or_b64 exec, exec, s[0:1]
	v_lshlrev_b32_e32 v5, 1, v0
	v_sub_u32_e32 v13, v5, v11
	v_add_u32_e32 v11, 8, v13
	v_lshl_add_u32 v12, v13, 3, 8
	v_mad_i32_i24 v3, v13, 7, v11
	s_waitcnt lgkmcnt(0)
	s_barrier
	ds_read_b64 v[1:2], v12
	ds_read_b64 v[3:4], v3 offset:16
	ds_read_u8 v14, v11 offset:8192
	ds_read_u8 v15, v11 offset:8194
	v_bfe_u32 v16, v0, 1, 1
	v_and_b32_e32 v7, 2, v0
	s_waitcnt lgkmcnt(2)
	v_cmp_lt_i64_e64 s[0:1], v[1:2], v[3:4]
	s_waitcnt lgkmcnt(1)
	v_and_b32_e32 v17, 1, v14
	v_cmp_eq_u32_e64 s[2:3], 1, v17
	s_waitcnt lgkmcnt(0)
	v_cmp_ne_u16_e64 s[6:7], v15, v16
	v_cndmask_b32_e64 v17, 0, 1, s[6:7]
	s_and_b64 s[0:1], s[0:1], s[2:3]
	v_cndmask_b32_e64 v16, v17, v16, s[0:1]
	v_mul_i32_i24_e32 v13, 7, v13
	v_and_b32_e32 v16, 1, v16
	v_cmp_ne_u32_e32 vcc, 0, v7
	v_cmp_eq_u32_e64 s[0:1], 1, v16
	v_add_u32_e32 v13, v11, v13
	s_and_saveexec_b64 s[2:3], s[0:1]
	s_xor_b64 s[0:1], exec, s[2:3]
	s_cbranch_execz .LBB85_9
; %bb.8:
	ds_write_b64 v12, v[3:4]
	ds_write_b64 v13, v[1:2] offset:16
	ds_write_b8 v11, v15 offset:8192
	ds_write_b8 v11, v14 offset:8194
.LBB85_9:
	s_or_b64 exec, exec, s[0:1]
	s_waitcnt lgkmcnt(0)
	s_barrier
	ds_read2_b64 v[1:4], v6 offset1:1
	ds_read_u8 v14, v9 offset:8192
	ds_read_u8 v15, v10 offset:8193
	v_lshrrev_b32_e32 v7, 1, v7
	s_waitcnt lgkmcnt(2)
	v_cmp_lt_i64_e64 s[0:1], v[1:2], v[3:4]
	s_waitcnt lgkmcnt(1)
	v_and_b32_e32 v16, 1, v14
	v_cmp_eq_u32_e64 s[2:3], 1, v16
	s_waitcnt lgkmcnt(0)
	v_cmp_ne_u16_e64 s[6:7], v15, v7
	v_cndmask_b32_e64 v7, 0, 1, s[6:7]
	v_cndmask_b32_e64 v16, 0, 1, vcc
	s_and_b64 vcc, s[0:1], s[2:3]
	v_cndmask_b32_e32 v7, v7, v16, vcc
	v_and_b32_e32 v7, 1, v7
	v_cmp_eq_u32_e32 vcc, 1, v7
	s_and_saveexec_b64 s[0:1], vcc
	s_cbranch_execz .LBB85_11
; %bb.10:
	ds_write_b64 v6, v[3:4]
	ds_write_b64 v8, v[1:2] offset:8
	ds_write_b8 v9, v15 offset:8192
	ds_write_b8 v10, v14 offset:8193
.LBB85_11:
	s_or_b64 exec, exec, s[0:1]
	v_and_b32_e32 v1, 3, v0
	v_sub_u32_e32 v16, v5, v1
	v_add_u32_e32 v14, 8, v16
	v_lshl_add_u32 v15, v16, 3, 8
	v_mad_i32_i24 v3, v16, 7, v14
	s_waitcnt lgkmcnt(0)
	s_barrier
	ds_read_b64 v[1:2], v15
	ds_read_b64 v[3:4], v3 offset:32
	ds_read_u8 v17, v14 offset:8192
	ds_read_u8 v18, v14 offset:8196
	v_bfe_u32 v19, v0, 2, 1
	v_and_b32_e32 v7, 4, v0
	s_waitcnt lgkmcnt(2)
	v_cmp_lt_i64_e64 s[0:1], v[1:2], v[3:4]
	s_waitcnt lgkmcnt(1)
	v_and_b32_e32 v20, 1, v17
	v_cmp_eq_u32_e64 s[2:3], 1, v20
	s_waitcnt lgkmcnt(0)
	v_cmp_ne_u16_e64 s[6:7], v18, v19
	v_cndmask_b32_e64 v20, 0, 1, s[6:7]
	s_and_b64 s[0:1], s[0:1], s[2:3]
	v_cndmask_b32_e64 v19, v20, v19, s[0:1]
	v_mul_i32_i24_e32 v16, 7, v16
	v_and_b32_e32 v19, 1, v19
	v_cmp_ne_u32_e32 vcc, 0, v7
	v_cmp_eq_u32_e64 s[0:1], 1, v19
	v_add_u32_e32 v16, v14, v16
	s_and_saveexec_b64 s[2:3], s[0:1]
	s_cbranch_execz .LBB85_13
; %bb.12:
	ds_write_b64 v15, v[3:4]
	ds_write_b64 v16, v[1:2] offset:32
	ds_write_b8 v14, v18 offset:8192
	ds_write_b8 v14, v17 offset:8196
.LBB85_13:
	s_or_b64 exec, exec, s[2:3]
	s_waitcnt lgkmcnt(0)
	s_barrier
	ds_read_b64 v[1:2], v12
	ds_read_b64 v[3:4], v13 offset:16
	ds_read_u8 v18, v11 offset:8192
	ds_read_u8 v19, v11 offset:8194
	v_lshrrev_b32_e32 v7, 2, v7
	s_waitcnt lgkmcnt(2)
	v_cmp_lt_i64_e64 s[0:1], v[1:2], v[3:4]
	s_waitcnt lgkmcnt(1)
	v_and_b32_e32 v17, 1, v18
	v_cmp_eq_u32_e64 s[2:3], 1, v17
	s_waitcnt lgkmcnt(0)
	v_cmp_ne_u16_e64 s[6:7], v19, v7
	v_cndmask_b32_e64 v20, 0, 1, s[6:7]
	v_cndmask_b32_e64 v17, 0, 1, vcc
	s_and_b64 vcc, s[0:1], s[2:3]
	v_cndmask_b32_e32 v20, v20, v17, vcc
	v_and_b32_e32 v20, 1, v20
	v_cmp_eq_u32_e32 vcc, 1, v20
	s_and_saveexec_b64 s[0:1], vcc
	s_cbranch_execz .LBB85_15
; %bb.14:
	ds_write_b64 v12, v[3:4]
	ds_write_b64 v13, v[1:2] offset:16
	ds_write_b8 v11, v19 offset:8192
	ds_write_b8 v11, v18 offset:8194
.LBB85_15:
	s_or_b64 exec, exec, s[0:1]
	s_waitcnt lgkmcnt(0)
	s_barrier
	ds_read2_b64 v[1:4], v6 offset1:1
	ds_read_u8 v18, v9 offset:8192
	ds_read_u8 v19, v10 offset:8193
	s_waitcnt lgkmcnt(2)
	v_cmp_lt_i64_e32 vcc, v[1:2], v[3:4]
	s_waitcnt lgkmcnt(1)
	v_and_b32_e32 v20, 1, v18
	v_cmp_eq_u32_e64 s[0:1], 1, v20
	s_waitcnt lgkmcnt(0)
	v_cmp_ne_u16_e64 s[2:3], v19, v7
	v_cndmask_b32_e64 v7, 0, 1, s[2:3]
	s_and_b64 vcc, vcc, s[0:1]
	v_cndmask_b32_e32 v7, v7, v17, vcc
	v_and_b32_e32 v7, 1, v7
	v_cmp_eq_u32_e32 vcc, 1, v7
	s_and_saveexec_b64 s[0:1], vcc
	s_cbranch_execz .LBB85_17
; %bb.16:
	ds_write_b64 v6, v[3:4]
	ds_write_b64 v8, v[1:2] offset:8
	ds_write_b8 v9, v19 offset:8192
	ds_write_b8 v10, v18 offset:8193
.LBB85_17:
	s_or_b64 exec, exec, s[0:1]
	v_and_b32_e32 v1, 7, v0
	v_sub_u32_e32 v19, v5, v1
	v_add_u32_e32 v17, 8, v19
	v_lshl_add_u32 v18, v19, 3, 8
	v_mad_i32_i24 v3, v19, 7, v17
	s_waitcnt lgkmcnt(0)
	s_barrier
	ds_read_b64 v[1:2], v18
	ds_read_b64 v[3:4], v3 offset:64
	ds_read_u8 v20, v17 offset:8192
	ds_read_u8 v21, v17 offset:8200
	v_bfe_u32 v22, v0, 3, 1
	v_and_b32_e32 v7, 8, v0
	s_waitcnt lgkmcnt(2)
	v_cmp_lt_i64_e64 s[0:1], v[1:2], v[3:4]
	s_waitcnt lgkmcnt(1)
	v_and_b32_e32 v23, 1, v20
	v_cmp_eq_u32_e64 s[2:3], 1, v23
	s_waitcnt lgkmcnt(0)
	v_cmp_ne_u16_e64 s[6:7], v21, v22
	v_cndmask_b32_e64 v23, 0, 1, s[6:7]
	s_and_b64 s[0:1], s[0:1], s[2:3]
	v_cndmask_b32_e64 v22, v23, v22, s[0:1]
	v_mul_i32_i24_e32 v19, 7, v19
	v_and_b32_e32 v22, 1, v22
	v_cmp_ne_u32_e32 vcc, 0, v7
	v_cmp_eq_u32_e64 s[0:1], 1, v22
	v_add_u32_e32 v19, v17, v19
	s_and_saveexec_b64 s[2:3], s[0:1]
	s_cbranch_execz .LBB85_19
; %bb.18:
	ds_write_b64 v18, v[3:4]
	ds_write_b64 v19, v[1:2] offset:64
	ds_write_b8 v17, v21 offset:8192
	ds_write_b8 v17, v20 offset:8200
.LBB85_19:
	s_or_b64 exec, exec, s[2:3]
	s_waitcnt lgkmcnt(0)
	s_barrier
	ds_read_b64 v[1:2], v15
	ds_read_b64 v[3:4], v16 offset:32
	ds_read_u8 v21, v14 offset:8192
	ds_read_u8 v22, v14 offset:8196
	v_lshrrev_b32_e32 v7, 3, v7
	s_waitcnt lgkmcnt(2)
	v_cmp_lt_i64_e64 s[0:1], v[1:2], v[3:4]
	s_waitcnt lgkmcnt(1)
	v_and_b32_e32 v20, 1, v21
	v_cmp_eq_u32_e64 s[2:3], 1, v20
	s_waitcnt lgkmcnt(0)
	v_cmp_ne_u16_e64 s[6:7], v22, v7
	v_cndmask_b32_e64 v23, 0, 1, s[6:7]
	v_cndmask_b32_e64 v20, 0, 1, vcc
	s_and_b64 vcc, s[0:1], s[2:3]
	v_cndmask_b32_e32 v23, v23, v20, vcc
	v_and_b32_e32 v23, 1, v23
	v_cmp_eq_u32_e32 vcc, 1, v23
	s_and_saveexec_b64 s[0:1], vcc
	s_cbranch_execz .LBB85_21
; %bb.20:
	ds_write_b64 v15, v[3:4]
	ds_write_b64 v16, v[1:2] offset:32
	ds_write_b8 v14, v22 offset:8192
	ds_write_b8 v14, v21 offset:8196
.LBB85_21:
	s_or_b64 exec, exec, s[0:1]
	s_waitcnt lgkmcnt(0)
	s_barrier
	ds_read_b64 v[1:2], v12
	ds_read_b64 v[3:4], v13 offset:16
	ds_read_u8 v21, v11 offset:8192
	ds_read_u8 v22, v11 offset:8194
	s_waitcnt lgkmcnt(2)
	v_cmp_lt_i64_e32 vcc, v[1:2], v[3:4]
	s_waitcnt lgkmcnt(1)
	v_and_b32_e32 v23, 1, v21
	v_cmp_eq_u32_e64 s[0:1], 1, v23
	s_waitcnt lgkmcnt(0)
	v_cmp_ne_u16_e64 s[2:3], v22, v7
	v_cndmask_b32_e64 v23, 0, 1, s[2:3]
	s_and_b64 vcc, vcc, s[0:1]
	v_cndmask_b32_e32 v23, v23, v20, vcc
	v_and_b32_e32 v23, 1, v23
	v_cmp_eq_u32_e32 vcc, 1, v23
	s_and_saveexec_b64 s[0:1], vcc
	s_cbranch_execz .LBB85_23
; %bb.22:
	ds_write_b64 v12, v[3:4]
	ds_write_b64 v13, v[1:2] offset:16
	ds_write_b8 v11, v22 offset:8192
	ds_write_b8 v11, v21 offset:8194
.LBB85_23:
	s_or_b64 exec, exec, s[0:1]
	s_waitcnt lgkmcnt(0)
	s_barrier
	ds_read2_b64 v[1:4], v6 offset1:1
	ds_read_u8 v21, v9 offset:8192
	ds_read_u8 v22, v10 offset:8193
	s_waitcnt lgkmcnt(2)
	v_cmp_lt_i64_e32 vcc, v[1:2], v[3:4]
	s_waitcnt lgkmcnt(1)
	v_and_b32_e32 v23, 1, v21
	v_cmp_eq_u32_e64 s[0:1], 1, v23
	s_waitcnt lgkmcnt(0)
	v_cmp_ne_u16_e64 s[2:3], v22, v7
	v_cndmask_b32_e64 v7, 0, 1, s[2:3]
	s_and_b64 vcc, vcc, s[0:1]
	v_cndmask_b32_e32 v7, v7, v20, vcc
	v_and_b32_e32 v7, 1, v7
	v_cmp_eq_u32_e32 vcc, 1, v7
	s_and_saveexec_b64 s[0:1], vcc
	s_cbranch_execz .LBB85_25
; %bb.24:
	ds_write_b64 v6, v[3:4]
	ds_write_b64 v8, v[1:2] offset:8
	ds_write_b8 v9, v22 offset:8192
	ds_write_b8 v10, v21 offset:8193
.LBB85_25:
	s_or_b64 exec, exec, s[0:1]
	v_and_b32_e32 v1, 15, v0
	v_sub_u32_e32 v22, v5, v1
	v_add_u32_e32 v20, 8, v22
	v_lshl_add_u32 v21, v22, 3, 8
	v_mad_i32_i24 v3, v22, 7, v20
	s_waitcnt lgkmcnt(0)
	s_barrier
	ds_read_b64 v[1:2], v21
	ds_read_b64 v[3:4], v3 offset:128
	ds_read_u8 v23, v20 offset:8192
	ds_read_u8 v24, v20 offset:8208
	v_bfe_u32 v25, v0, 4, 1
	v_and_b32_e32 v7, 16, v0
	s_waitcnt lgkmcnt(2)
	v_cmp_lt_i64_e64 s[0:1], v[1:2], v[3:4]
	s_waitcnt lgkmcnt(1)
	v_and_b32_e32 v26, 1, v23
	v_cmp_eq_u32_e64 s[2:3], 1, v26
	s_waitcnt lgkmcnt(0)
	v_cmp_ne_u16_e64 s[6:7], v24, v25
	v_cndmask_b32_e64 v26, 0, 1, s[6:7]
	s_and_b64 s[0:1], s[0:1], s[2:3]
	v_cndmask_b32_e64 v25, v26, v25, s[0:1]
	v_mul_i32_i24_e32 v22, 7, v22
	v_and_b32_e32 v25, 1, v25
	v_cmp_ne_u32_e32 vcc, 0, v7
	v_cmp_eq_u32_e64 s[0:1], 1, v25
	v_add_u32_e32 v22, v20, v22
	s_and_saveexec_b64 s[2:3], s[0:1]
	s_cbranch_execz .LBB85_27
; %bb.26:
	ds_write_b64 v21, v[3:4]
	ds_write_b64 v22, v[1:2] offset:128
	ds_write_b8 v20, v24 offset:8192
	ds_write_b8 v20, v23 offset:8208
.LBB85_27:
	s_or_b64 exec, exec, s[2:3]
	s_waitcnt lgkmcnt(0)
	s_barrier
	ds_read_b64 v[1:2], v18
	ds_read_b64 v[3:4], v19 offset:64
	ds_read_u8 v24, v17 offset:8192
	ds_read_u8 v25, v17 offset:8200
	v_lshrrev_b32_e32 v7, 4, v7
	s_waitcnt lgkmcnt(2)
	v_cmp_lt_i64_e64 s[0:1], v[1:2], v[3:4]
	s_waitcnt lgkmcnt(1)
	v_and_b32_e32 v23, 1, v24
	v_cmp_eq_u32_e64 s[2:3], 1, v23
	s_waitcnt lgkmcnt(0)
	v_cmp_ne_u16_e64 s[6:7], v25, v7
	v_cndmask_b32_e64 v26, 0, 1, s[6:7]
	v_cndmask_b32_e64 v23, 0, 1, vcc
	s_and_b64 vcc, s[0:1], s[2:3]
	v_cndmask_b32_e32 v26, v26, v23, vcc
	v_and_b32_e32 v26, 1, v26
	v_cmp_eq_u32_e32 vcc, 1, v26
	s_and_saveexec_b64 s[0:1], vcc
	s_cbranch_execz .LBB85_29
; %bb.28:
	ds_write_b64 v18, v[3:4]
	ds_write_b64 v19, v[1:2] offset:64
	ds_write_b8 v17, v25 offset:8192
	ds_write_b8 v17, v24 offset:8200
.LBB85_29:
	s_or_b64 exec, exec, s[0:1]
	s_waitcnt lgkmcnt(0)
	s_barrier
	ds_read_b64 v[1:2], v15
	ds_read_b64 v[3:4], v16 offset:32
	ds_read_u8 v24, v14 offset:8192
	ds_read_u8 v25, v14 offset:8196
	s_waitcnt lgkmcnt(2)
	v_cmp_lt_i64_e32 vcc, v[1:2], v[3:4]
	s_waitcnt lgkmcnt(1)
	v_and_b32_e32 v26, 1, v24
	v_cmp_eq_u32_e64 s[0:1], 1, v26
	s_waitcnt lgkmcnt(0)
	v_cmp_ne_u16_e64 s[2:3], v25, v7
	v_cndmask_b32_e64 v26, 0, 1, s[2:3]
	s_and_b64 vcc, vcc, s[0:1]
	v_cndmask_b32_e32 v26, v26, v23, vcc
	v_and_b32_e32 v26, 1, v26
	v_cmp_eq_u32_e32 vcc, 1, v26
	s_and_saveexec_b64 s[0:1], vcc
	s_cbranch_execz .LBB85_31
; %bb.30:
	ds_write_b64 v15, v[3:4]
	ds_write_b64 v16, v[1:2] offset:32
	ds_write_b8 v14, v25 offset:8192
	ds_write_b8 v14, v24 offset:8196
.LBB85_31:
	s_or_b64 exec, exec, s[0:1]
	s_waitcnt lgkmcnt(0)
	s_barrier
	ds_read_b64 v[1:2], v12
	ds_read_b64 v[3:4], v13 offset:16
	ds_read_u8 v24, v11 offset:8192
	ds_read_u8 v25, v11 offset:8194
	s_waitcnt lgkmcnt(2)
	v_cmp_lt_i64_e32 vcc, v[1:2], v[3:4]
	s_waitcnt lgkmcnt(1)
	v_and_b32_e32 v26, 1, v24
	v_cmp_eq_u32_e64 s[0:1], 1, v26
	s_waitcnt lgkmcnt(0)
	v_cmp_ne_u16_e64 s[2:3], v25, v7
	v_cndmask_b32_e64 v26, 0, 1, s[2:3]
	s_and_b64 vcc, vcc, s[0:1]
	v_cndmask_b32_e32 v26, v26, v23, vcc
	v_and_b32_e32 v26, 1, v26
	v_cmp_eq_u32_e32 vcc, 1, v26
	s_and_saveexec_b64 s[0:1], vcc
	s_cbranch_execz .LBB85_33
; %bb.32:
	ds_write_b64 v12, v[3:4]
	ds_write_b64 v13, v[1:2] offset:16
	ds_write_b8 v11, v25 offset:8192
	ds_write_b8 v11, v24 offset:8194
.LBB85_33:
	s_or_b64 exec, exec, s[0:1]
	s_waitcnt lgkmcnt(0)
	s_barrier
	ds_read2_b64 v[1:4], v6 offset1:1
	ds_read_u8 v24, v9 offset:8192
	ds_read_u8 v25, v10 offset:8193
	s_waitcnt lgkmcnt(2)
	v_cmp_lt_i64_e32 vcc, v[1:2], v[3:4]
	s_waitcnt lgkmcnt(1)
	v_and_b32_e32 v26, 1, v24
	v_cmp_eq_u32_e64 s[0:1], 1, v26
	s_waitcnt lgkmcnt(0)
	v_cmp_ne_u16_e64 s[2:3], v25, v7
	v_cndmask_b32_e64 v7, 0, 1, s[2:3]
	s_and_b64 vcc, vcc, s[0:1]
	v_cndmask_b32_e32 v7, v7, v23, vcc
	v_and_b32_e32 v7, 1, v7
	v_cmp_eq_u32_e32 vcc, 1, v7
	s_and_saveexec_b64 s[0:1], vcc
	s_cbranch_execz .LBB85_35
; %bb.34:
	ds_write_b64 v6, v[3:4]
	ds_write_b64 v8, v[1:2] offset:8
	ds_write_b8 v9, v25 offset:8192
	ds_write_b8 v10, v24 offset:8193
.LBB85_35:
	s_or_b64 exec, exec, s[0:1]
	v_and_b32_e32 v1, 31, v0
	v_sub_u32_e32 v25, v5, v1
	v_add_u32_e32 v23, 8, v25
	v_lshl_add_u32 v24, v25, 3, 8
	v_mad_i32_i24 v3, v25, 7, v23
	s_waitcnt lgkmcnt(0)
	s_barrier
	ds_read_b64 v[1:2], v24
	ds_read_b64 v[3:4], v3 offset:256
	ds_read_u8 v26, v23 offset:8192
	ds_read_u8 v27, v23 offset:8224
	v_bfe_u32 v28, v0, 5, 1
	v_and_b32_e32 v7, 32, v0
	s_waitcnt lgkmcnt(2)
	v_cmp_lt_i64_e64 s[0:1], v[1:2], v[3:4]
	s_waitcnt lgkmcnt(1)
	v_and_b32_e32 v29, 1, v26
	v_cmp_eq_u32_e64 s[2:3], 1, v29
	s_waitcnt lgkmcnt(0)
	v_cmp_ne_u16_e64 s[6:7], v27, v28
	v_cndmask_b32_e64 v29, 0, 1, s[6:7]
	s_and_b64 s[0:1], s[0:1], s[2:3]
	v_cndmask_b32_e64 v28, v29, v28, s[0:1]
	v_mul_i32_i24_e32 v25, 7, v25
	v_and_b32_e32 v28, 1, v28
	v_cmp_ne_u32_e32 vcc, 0, v7
	v_cmp_eq_u32_e64 s[0:1], 1, v28
	v_add_u32_e32 v25, v23, v25
	s_and_saveexec_b64 s[2:3], s[0:1]
	s_cbranch_execz .LBB85_37
; %bb.36:
	ds_write_b64 v24, v[3:4]
	ds_write_b64 v25, v[1:2] offset:256
	ds_write_b8 v23, v27 offset:8192
	ds_write_b8 v23, v26 offset:8224
.LBB85_37:
	s_or_b64 exec, exec, s[2:3]
	s_waitcnt lgkmcnt(0)
	s_barrier
	ds_read_b64 v[1:2], v21
	ds_read_b64 v[3:4], v22 offset:128
	ds_read_u8 v27, v20 offset:8192
	ds_read_u8 v28, v20 offset:8208
	v_lshrrev_b32_e32 v7, 5, v7
	s_waitcnt lgkmcnt(2)
	v_cmp_lt_i64_e64 s[0:1], v[1:2], v[3:4]
	s_waitcnt lgkmcnt(1)
	v_and_b32_e32 v26, 1, v27
	v_cmp_eq_u32_e64 s[2:3], 1, v26
	s_waitcnt lgkmcnt(0)
	v_cmp_ne_u16_e64 s[6:7], v28, v7
	v_cndmask_b32_e64 v29, 0, 1, s[6:7]
	v_cndmask_b32_e64 v26, 0, 1, vcc
	s_and_b64 vcc, s[0:1], s[2:3]
	v_cndmask_b32_e32 v29, v29, v26, vcc
	v_and_b32_e32 v29, 1, v29
	v_cmp_eq_u32_e32 vcc, 1, v29
	s_and_saveexec_b64 s[0:1], vcc
	s_cbranch_execz .LBB85_39
; %bb.38:
	ds_write_b64 v21, v[3:4]
	ds_write_b64 v22, v[1:2] offset:128
	ds_write_b8 v20, v28 offset:8192
	ds_write_b8 v20, v27 offset:8208
.LBB85_39:
	s_or_b64 exec, exec, s[0:1]
	s_waitcnt lgkmcnt(0)
	s_barrier
	ds_read_b64 v[1:2], v18
	ds_read_b64 v[3:4], v19 offset:64
	ds_read_u8 v27, v17 offset:8192
	ds_read_u8 v28, v17 offset:8200
	s_waitcnt lgkmcnt(2)
	v_cmp_lt_i64_e32 vcc, v[1:2], v[3:4]
	s_waitcnt lgkmcnt(1)
	v_and_b32_e32 v29, 1, v27
	v_cmp_eq_u32_e64 s[0:1], 1, v29
	s_waitcnt lgkmcnt(0)
	v_cmp_ne_u16_e64 s[2:3], v28, v7
	v_cndmask_b32_e64 v29, 0, 1, s[2:3]
	s_and_b64 vcc, vcc, s[0:1]
	v_cndmask_b32_e32 v29, v29, v26, vcc
	v_and_b32_e32 v29, 1, v29
	v_cmp_eq_u32_e32 vcc, 1, v29
	s_and_saveexec_b64 s[0:1], vcc
	s_cbranch_execz .LBB85_41
; %bb.40:
	ds_write_b64 v18, v[3:4]
	ds_write_b64 v19, v[1:2] offset:64
	ds_write_b8 v17, v28 offset:8192
	ds_write_b8 v17, v27 offset:8200
.LBB85_41:
	s_or_b64 exec, exec, s[0:1]
	s_waitcnt lgkmcnt(0)
	s_barrier
	ds_read_b64 v[1:2], v15
	ds_read_b64 v[3:4], v16 offset:32
	ds_read_u8 v27, v14 offset:8192
	ds_read_u8 v28, v14 offset:8196
	s_waitcnt lgkmcnt(2)
	v_cmp_lt_i64_e32 vcc, v[1:2], v[3:4]
	s_waitcnt lgkmcnt(1)
	v_and_b32_e32 v29, 1, v27
	v_cmp_eq_u32_e64 s[0:1], 1, v29
	s_waitcnt lgkmcnt(0)
	v_cmp_ne_u16_e64 s[2:3], v28, v7
	v_cndmask_b32_e64 v29, 0, 1, s[2:3]
	s_and_b64 vcc, vcc, s[0:1]
	;; [unrolled: 27-line block ×3, first 2 shown]
	v_cndmask_b32_e32 v29, v29, v26, vcc
	v_and_b32_e32 v29, 1, v29
	v_cmp_eq_u32_e32 vcc, 1, v29
	s_and_saveexec_b64 s[0:1], vcc
	s_cbranch_execz .LBB85_45
; %bb.44:
	ds_write_b64 v12, v[3:4]
	ds_write_b64 v13, v[1:2] offset:16
	ds_write_b8 v11, v28 offset:8192
	ds_write_b8 v11, v27 offset:8194
.LBB85_45:
	s_or_b64 exec, exec, s[0:1]
	s_waitcnt lgkmcnt(0)
	s_barrier
	ds_read2_b64 v[1:4], v6 offset1:1
	ds_read_u8 v27, v9 offset:8192
	ds_read_u8 v28, v10 offset:8193
	s_waitcnt lgkmcnt(2)
	v_cmp_lt_i64_e32 vcc, v[1:2], v[3:4]
	s_waitcnt lgkmcnt(1)
	v_and_b32_e32 v29, 1, v27
	v_cmp_eq_u32_e64 s[0:1], 1, v29
	s_waitcnt lgkmcnt(0)
	v_cmp_ne_u16_e64 s[2:3], v28, v7
	v_cndmask_b32_e64 v7, 0, 1, s[2:3]
	s_and_b64 vcc, vcc, s[0:1]
	v_cndmask_b32_e32 v7, v7, v26, vcc
	v_and_b32_e32 v7, 1, v7
	v_cmp_eq_u32_e32 vcc, 1, v7
	s_and_saveexec_b64 s[0:1], vcc
	s_cbranch_execz .LBB85_47
; %bb.46:
	ds_write_b64 v6, v[3:4]
	ds_write_b64 v8, v[1:2] offset:8
	ds_write_b8 v9, v28 offset:8192
	ds_write_b8 v10, v27 offset:8193
.LBB85_47:
	s_or_b64 exec, exec, s[0:1]
	v_and_b32_e32 v7, 63, v0
	v_sub_u32_e32 v28, v5, v7
	v_add_u32_e32 v26, 8, v28
	v_lshl_add_u32 v27, v28, 3, 8
	v_mad_i32_i24 v3, v28, 7, v26
	s_waitcnt lgkmcnt(0)
	s_barrier
	ds_read_b64 v[1:2], v27
	ds_read_b64 v[3:4], v3 offset:512
	ds_read_u8 v30, v26 offset:8192
	ds_read_u8 v31, v26 offset:8256
	v_bfe_u32 v32, v0, 6, 1
	v_and_b32_e32 v29, 64, v0
	s_waitcnt lgkmcnt(2)
	v_cmp_lt_i64_e64 s[0:1], v[1:2], v[3:4]
	s_waitcnt lgkmcnt(1)
	v_and_b32_e32 v33, 1, v30
	v_cmp_eq_u32_e64 s[2:3], 1, v33
	s_waitcnt lgkmcnt(0)
	v_cmp_ne_u16_e64 s[6:7], v31, v32
	v_cndmask_b32_e64 v33, 0, 1, s[6:7]
	s_and_b64 s[0:1], s[0:1], s[2:3]
	v_cndmask_b32_e64 v32, v33, v32, s[0:1]
	v_mul_i32_i24_e32 v28, 7, v28
	v_and_b32_e32 v32, 1, v32
	v_cmp_ne_u32_e32 vcc, 0, v29
	v_cmp_eq_u32_e64 s[0:1], 1, v32
	v_add_u32_e32 v28, v26, v28
	s_and_saveexec_b64 s[2:3], s[0:1]
	s_cbranch_execz .LBB85_49
; %bb.48:
	ds_write_b64 v27, v[3:4]
	ds_write_b64 v28, v[1:2] offset:512
	ds_write_b8 v26, v31 offset:8192
	ds_write_b8 v26, v30 offset:8256
.LBB85_49:
	s_or_b64 exec, exec, s[2:3]
	s_waitcnt lgkmcnt(0)
	s_barrier
	ds_read_b64 v[1:2], v24
	ds_read_b64 v[3:4], v25 offset:256
	ds_read_u8 v31, v23 offset:8192
	ds_read_u8 v32, v23 offset:8224
	v_lshrrev_b32_e32 v29, 6, v29
	s_waitcnt lgkmcnt(2)
	v_cmp_lt_i64_e64 s[0:1], v[1:2], v[3:4]
	s_waitcnt lgkmcnt(1)
	v_and_b32_e32 v30, 1, v31
	v_cmp_eq_u32_e64 s[2:3], 1, v30
	s_waitcnt lgkmcnt(0)
	v_cmp_ne_u16_e64 s[6:7], v32, v29
	v_cndmask_b32_e64 v33, 0, 1, s[6:7]
	v_cndmask_b32_e64 v30, 0, 1, vcc
	s_and_b64 vcc, s[0:1], s[2:3]
	v_cndmask_b32_e32 v33, v33, v30, vcc
	v_and_b32_e32 v33, 1, v33
	v_cmp_eq_u32_e32 vcc, 1, v33
	s_and_saveexec_b64 s[0:1], vcc
	s_cbranch_execz .LBB85_51
; %bb.50:
	ds_write_b64 v24, v[3:4]
	ds_write_b64 v25, v[1:2] offset:256
	ds_write_b8 v23, v32 offset:8192
	ds_write_b8 v23, v31 offset:8224
.LBB85_51:
	s_or_b64 exec, exec, s[0:1]
	s_waitcnt lgkmcnt(0)
	s_barrier
	ds_read_b64 v[1:2], v21
	ds_read_b64 v[3:4], v22 offset:128
	ds_read_u8 v31, v20 offset:8192
	ds_read_u8 v32, v20 offset:8208
	s_waitcnt lgkmcnt(2)
	v_cmp_lt_i64_e32 vcc, v[1:2], v[3:4]
	s_waitcnt lgkmcnt(1)
	v_and_b32_e32 v33, 1, v31
	v_cmp_eq_u32_e64 s[0:1], 1, v33
	s_waitcnt lgkmcnt(0)
	v_cmp_ne_u16_e64 s[2:3], v32, v29
	v_cndmask_b32_e64 v33, 0, 1, s[2:3]
	s_and_b64 vcc, vcc, s[0:1]
	v_cndmask_b32_e32 v33, v33, v30, vcc
	v_and_b32_e32 v33, 1, v33
	v_cmp_eq_u32_e32 vcc, 1, v33
	s_and_saveexec_b64 s[0:1], vcc
	s_cbranch_execz .LBB85_53
; %bb.52:
	ds_write_b64 v21, v[3:4]
	ds_write_b64 v22, v[1:2] offset:128
	ds_write_b8 v20, v32 offset:8192
	ds_write_b8 v20, v31 offset:8208
.LBB85_53:
	s_or_b64 exec, exec, s[0:1]
	s_waitcnt lgkmcnt(0)
	s_barrier
	ds_read_b64 v[1:2], v18
	ds_read_b64 v[3:4], v19 offset:64
	ds_read_u8 v31, v17 offset:8192
	ds_read_u8 v32, v17 offset:8200
	s_waitcnt lgkmcnt(2)
	v_cmp_lt_i64_e32 vcc, v[1:2], v[3:4]
	s_waitcnt lgkmcnt(1)
	v_and_b32_e32 v33, 1, v31
	v_cmp_eq_u32_e64 s[0:1], 1, v33
	s_waitcnt lgkmcnt(0)
	v_cmp_ne_u16_e64 s[2:3], v32, v29
	v_cndmask_b32_e64 v33, 0, 1, s[2:3]
	s_and_b64 vcc, vcc, s[0:1]
	;; [unrolled: 27-line block ×4, first 2 shown]
	v_cndmask_b32_e32 v33, v33, v30, vcc
	v_and_b32_e32 v33, 1, v33
	v_cmp_eq_u32_e32 vcc, 1, v33
	s_and_saveexec_b64 s[0:1], vcc
	s_cbranch_execz .LBB85_59
; %bb.58:
	ds_write_b64 v12, v[3:4]
	ds_write_b64 v13, v[1:2] offset:16
	ds_write_b8 v11, v32 offset:8192
	ds_write_b8 v11, v31 offset:8194
.LBB85_59:
	s_or_b64 exec, exec, s[0:1]
	s_waitcnt lgkmcnt(0)
	s_barrier
	ds_read2_b64 v[1:4], v6 offset1:1
	ds_read_u8 v31, v9 offset:8192
	ds_read_u8 v32, v10 offset:8193
	s_waitcnt lgkmcnt(2)
	v_cmp_lt_i64_e32 vcc, v[1:2], v[3:4]
	s_waitcnt lgkmcnt(1)
	v_and_b32_e32 v33, 1, v31
	v_cmp_eq_u32_e64 s[0:1], 1, v33
	s_waitcnt lgkmcnt(0)
	v_cmp_ne_u16_e64 s[2:3], v32, v29
	v_cndmask_b32_e64 v29, 0, 1, s[2:3]
	s_and_b64 vcc, vcc, s[0:1]
	v_cndmask_b32_e32 v29, v29, v30, vcc
	v_and_b32_e32 v29, 1, v29
	v_cmp_eq_u32_e32 vcc, 1, v29
	s_and_saveexec_b64 s[0:1], vcc
	s_cbranch_execz .LBB85_61
; %bb.60:
	ds_write_b64 v6, v[3:4]
	ds_write_b64 v8, v[1:2] offset:8
	ds_write_b8 v9, v32 offset:8192
	ds_write_b8 v10, v31 offset:8193
.LBB85_61:
	s_or_b64 exec, exec, s[0:1]
	v_and_b32_e32 v1, 0x80, v0
	v_cmp_ne_u32_e32 vcc, 0, v1
	v_and_b32_e32 v1, 0x7f, v0
	v_sub_u32_e32 v35, v5, v1
	v_add_u32_e32 v29, 8, v35
	v_lshl_add_u32 v30, v35, 3, 8
	v_mad_i32_i24 v3, v35, 7, v29
	s_waitcnt lgkmcnt(0)
	s_barrier
	ds_read_b64 v[1:2], v30
	ds_read_b64 v[3:4], v3 offset:1024
	ds_read_u8 v33, v29 offset:8192
	ds_read_u8 v34, v29 offset:8320
	v_lshrrev_b32_e32 v31, 7, v0
	v_and_b32_e32 v32, 1, v31
	s_waitcnt lgkmcnt(2)
	v_cmp_lt_i64_e64 s[0:1], v[1:2], v[3:4]
	s_waitcnt lgkmcnt(1)
	v_and_b32_e32 v36, 1, v33
	v_cmp_eq_u32_e64 s[2:3], 1, v36
	s_waitcnt lgkmcnt(0)
	v_cmp_ne_u16_e64 s[6:7], v34, v32
	v_cndmask_b32_e64 v36, 0, 1, s[6:7]
	s_and_b64 s[0:1], s[0:1], s[2:3]
	v_cndmask_b32_e64 v31, v36, v31, s[0:1]
	v_mul_i32_i24_e32 v35, 7, v35
	v_and_b32_e32 v31, 1, v31
	v_cmp_eq_u32_e64 s[0:1], 1, v31
	v_add_u32_e32 v31, v29, v35
	s_and_saveexec_b64 s[2:3], s[0:1]
	s_cbranch_execz .LBB85_63
; %bb.62:
	ds_write_b64 v30, v[3:4]
	ds_write_b64 v31, v[1:2] offset:1024
	ds_write_b8 v29, v34 offset:8192
	ds_write_b8 v29, v33 offset:8320
.LBB85_63:
	s_or_b64 exec, exec, s[2:3]
	s_waitcnt lgkmcnt(0)
	s_barrier
	ds_read_b64 v[1:2], v27
	ds_read_b64 v[3:4], v28 offset:512
	ds_read_u8 v34, v26 offset:8192
	ds_read_u8 v35, v26 offset:8256
	s_waitcnt lgkmcnt(2)
	v_cmp_lt_i64_e64 s[0:1], v[1:2], v[3:4]
	s_waitcnt lgkmcnt(1)
	v_and_b32_e32 v33, 1, v34
	v_cmp_eq_u32_e64 s[2:3], 1, v33
	s_waitcnt lgkmcnt(0)
	v_cmp_ne_u16_e64 s[6:7], v35, v32
	v_cndmask_b32_e64 v36, 0, 1, s[6:7]
	v_cndmask_b32_e64 v33, 0, 1, vcc
	s_and_b64 vcc, s[0:1], s[2:3]
	v_cndmask_b32_e32 v36, v36, v33, vcc
	v_and_b32_e32 v36, 1, v36
	v_cmp_eq_u32_e32 vcc, 1, v36
	s_and_saveexec_b64 s[0:1], vcc
	s_cbranch_execz .LBB85_65
; %bb.64:
	ds_write_b64 v27, v[3:4]
	ds_write_b64 v28, v[1:2] offset:512
	ds_write_b8 v26, v35 offset:8192
	ds_write_b8 v26, v34 offset:8256
.LBB85_65:
	s_or_b64 exec, exec, s[0:1]
	s_waitcnt lgkmcnt(0)
	s_barrier
	ds_read_b64 v[1:2], v24
	ds_read_b64 v[3:4], v25 offset:256
	ds_read_u8 v34, v23 offset:8192
	ds_read_u8 v35, v23 offset:8224
	s_waitcnt lgkmcnt(2)
	v_cmp_lt_i64_e32 vcc, v[1:2], v[3:4]
	s_waitcnt lgkmcnt(1)
	v_and_b32_e32 v36, 1, v34
	v_cmp_eq_u32_e64 s[0:1], 1, v36
	s_waitcnt lgkmcnt(0)
	v_cmp_ne_u16_e64 s[2:3], v35, v32
	v_cndmask_b32_e64 v36, 0, 1, s[2:3]
	s_and_b64 vcc, vcc, s[0:1]
	v_cndmask_b32_e32 v36, v36, v33, vcc
	v_and_b32_e32 v36, 1, v36
	v_cmp_eq_u32_e32 vcc, 1, v36
	s_and_saveexec_b64 s[0:1], vcc
	s_cbranch_execz .LBB85_67
; %bb.66:
	ds_write_b64 v24, v[3:4]
	ds_write_b64 v25, v[1:2] offset:256
	ds_write_b8 v23, v35 offset:8192
	ds_write_b8 v23, v34 offset:8224
.LBB85_67:
	s_or_b64 exec, exec, s[0:1]
	s_waitcnt lgkmcnt(0)
	s_barrier
	ds_read_b64 v[1:2], v21
	ds_read_b64 v[3:4], v22 offset:128
	ds_read_u8 v34, v20 offset:8192
	ds_read_u8 v35, v20 offset:8208
	s_waitcnt lgkmcnt(2)
	v_cmp_lt_i64_e32 vcc, v[1:2], v[3:4]
	s_waitcnt lgkmcnt(1)
	v_and_b32_e32 v36, 1, v34
	v_cmp_eq_u32_e64 s[0:1], 1, v36
	s_waitcnt lgkmcnt(0)
	v_cmp_ne_u16_e64 s[2:3], v35, v32
	v_cndmask_b32_e64 v36, 0, 1, s[2:3]
	s_and_b64 vcc, vcc, s[0:1]
	;; [unrolled: 27-line block ×5, first 2 shown]
	v_cndmask_b32_e32 v36, v36, v33, vcc
	v_and_b32_e32 v36, 1, v36
	v_cmp_eq_u32_e32 vcc, 1, v36
	s_and_saveexec_b64 s[0:1], vcc
	s_cbranch_execz .LBB85_75
; %bb.74:
	ds_write_b64 v12, v[3:4]
	ds_write_b64 v13, v[1:2] offset:16
	ds_write_b8 v11, v35 offset:8192
	ds_write_b8 v11, v34 offset:8194
.LBB85_75:
	s_or_b64 exec, exec, s[0:1]
	s_waitcnt lgkmcnt(0)
	s_barrier
	ds_read2_b64 v[1:4], v6 offset1:1
	ds_read_u8 v34, v9 offset:8192
	ds_read_u8 v35, v10 offset:8193
	s_waitcnt lgkmcnt(2)
	v_cmp_lt_i64_e32 vcc, v[1:2], v[3:4]
	s_waitcnt lgkmcnt(1)
	v_and_b32_e32 v36, 1, v34
	v_cmp_eq_u32_e64 s[0:1], 1, v36
	s_waitcnt lgkmcnt(0)
	v_cmp_ne_u16_e64 s[2:3], v35, v32
	v_cndmask_b32_e64 v32, 0, 1, s[2:3]
	s_and_b64 vcc, vcc, s[0:1]
	v_cndmask_b32_e32 v32, v32, v33, vcc
	v_and_b32_e32 v32, 1, v32
	v_cmp_eq_u32_e32 vcc, 1, v32
	s_and_saveexec_b64 s[0:1], vcc
	s_cbranch_execz .LBB85_77
; %bb.76:
	ds_write_b64 v6, v[3:4]
	ds_write_b64 v8, v[1:2] offset:8
	ds_write_b8 v9, v35 offset:8192
	ds_write_b8 v10, v34 offset:8193
.LBB85_77:
	s_or_b64 exec, exec, s[0:1]
	v_sub_u32_sdwa v34, v5, v0 dst_sel:DWORD dst_unused:UNUSED_PAD src0_sel:DWORD src1_sel:BYTE_0
	v_add_u32_e32 v32, 8, v34
	v_and_b32_e32 v1, 0x100, v0
	v_lshl_add_u32 v33, v34, 3, 8
	v_mad_i32_i24 v3, v34, 7, v32
	v_cmp_ne_u32_e32 vcc, 0, v1
	s_waitcnt lgkmcnt(0)
	s_barrier
	ds_read_b64 v[1:2], v33
	ds_read_b64 v[3:4], v3 offset:2048
	ds_read_u8 v36, v32 offset:8192
	ds_read_u8 v37, v32 offset:8448
	v_bfe_u32 v38, v0, 8, 1
	v_mul_i32_i24_e32 v34, 7, v34
	s_waitcnt lgkmcnt(2)
	v_cmp_lt_i64_e64 s[0:1], v[1:2], v[3:4]
	s_waitcnt lgkmcnt(1)
	v_and_b32_e32 v39, 1, v36
	v_cmp_eq_u32_e64 s[2:3], 1, v39
	s_waitcnt lgkmcnt(0)
	v_cmp_ne_u16_e64 s[6:7], v37, v38
	v_cndmask_b32_e64 v39, 0, 1, s[6:7]
	s_and_b64 s[0:1], s[0:1], s[2:3]
	v_cndmask_b32_e64 v38, v39, v38, s[0:1]
	v_and_b32_e32 v38, 1, v38
	v_and_b32_e32 v35, 0x100, v0
	v_cmp_eq_u32_e64 s[0:1], 1, v38
	v_add_u32_e32 v34, v32, v34
	s_and_saveexec_b64 s[2:3], s[0:1]
	s_cbranch_execz .LBB85_79
; %bb.78:
	ds_write_b64 v33, v[3:4]
	ds_write_b64 v34, v[1:2] offset:2048
	ds_write_b8 v32, v37 offset:8192
	ds_write_b8 v32, v36 offset:8448
.LBB85_79:
	s_or_b64 exec, exec, s[2:3]
	s_waitcnt lgkmcnt(0)
	s_barrier
	ds_read_b64 v[1:2], v30
	ds_read_b64 v[3:4], v31 offset:1024
	ds_read_u8 v37, v29 offset:8192
	ds_read_u8 v38, v29 offset:8320
	v_lshrrev_b32_e32 v35, 8, v35
	s_waitcnt lgkmcnt(2)
	v_cmp_lt_i64_e64 s[0:1], v[1:2], v[3:4]
	s_waitcnt lgkmcnt(1)
	v_and_b32_e32 v36, 1, v37
	v_cmp_eq_u32_e64 s[2:3], 1, v36
	s_waitcnt lgkmcnt(0)
	v_cmp_ne_u16_e64 s[6:7], v38, v35
	v_cndmask_b32_e64 v39, 0, 1, s[6:7]
	v_cndmask_b32_e64 v36, 0, 1, vcc
	s_and_b64 vcc, s[0:1], s[2:3]
	v_cndmask_b32_e32 v39, v39, v36, vcc
	v_and_b32_e32 v39, 1, v39
	v_cmp_eq_u32_e32 vcc, 1, v39
	s_and_saveexec_b64 s[0:1], vcc
	s_cbranch_execz .LBB85_81
; %bb.80:
	ds_write_b64 v30, v[3:4]
	ds_write_b64 v31, v[1:2] offset:1024
	ds_write_b8 v29, v38 offset:8192
	ds_write_b8 v29, v37 offset:8320
.LBB85_81:
	s_or_b64 exec, exec, s[0:1]
	s_waitcnt lgkmcnt(0)
	s_barrier
	ds_read_b64 v[1:2], v27
	ds_read_b64 v[3:4], v28 offset:512
	ds_read_u8 v37, v26 offset:8192
	ds_read_u8 v38, v26 offset:8256
	s_waitcnt lgkmcnt(2)
	v_cmp_lt_i64_e32 vcc, v[1:2], v[3:4]
	s_waitcnt lgkmcnt(1)
	v_and_b32_e32 v39, 1, v37
	v_cmp_eq_u32_e64 s[0:1], 1, v39
	s_waitcnt lgkmcnt(0)
	v_cmp_ne_u16_e64 s[2:3], v38, v35
	v_cndmask_b32_e64 v39, 0, 1, s[2:3]
	s_and_b64 vcc, vcc, s[0:1]
	v_cndmask_b32_e32 v39, v39, v36, vcc
	v_and_b32_e32 v39, 1, v39
	v_cmp_eq_u32_e32 vcc, 1, v39
	s_and_saveexec_b64 s[0:1], vcc
	s_cbranch_execz .LBB85_83
; %bb.82:
	ds_write_b64 v27, v[3:4]
	ds_write_b64 v28, v[1:2] offset:512
	ds_write_b8 v26, v38 offset:8192
	ds_write_b8 v26, v37 offset:8256
.LBB85_83:
	s_or_b64 exec, exec, s[0:1]
	s_waitcnt lgkmcnt(0)
	s_barrier
	ds_read_b64 v[1:2], v24
	ds_read_b64 v[3:4], v25 offset:256
	ds_read_u8 v37, v23 offset:8192
	ds_read_u8 v38, v23 offset:8224
	s_waitcnt lgkmcnt(2)
	v_cmp_lt_i64_e32 vcc, v[1:2], v[3:4]
	s_waitcnt lgkmcnt(1)
	v_and_b32_e32 v39, 1, v37
	v_cmp_eq_u32_e64 s[0:1], 1, v39
	s_waitcnt lgkmcnt(0)
	v_cmp_ne_u16_e64 s[2:3], v38, v35
	v_cndmask_b32_e64 v39, 0, 1, s[2:3]
	s_and_b64 vcc, vcc, s[0:1]
	;; [unrolled: 27-line block ×6, first 2 shown]
	v_cndmask_b32_e32 v39, v39, v36, vcc
	v_and_b32_e32 v39, 1, v39
	v_cmp_eq_u32_e32 vcc, 1, v39
	s_and_saveexec_b64 s[0:1], vcc
	s_cbranch_execz .LBB85_93
; %bb.92:
	ds_write_b64 v12, v[3:4]
	ds_write_b64 v13, v[1:2] offset:16
	ds_write_b8 v11, v38 offset:8192
	ds_write_b8 v11, v37 offset:8194
.LBB85_93:
	s_or_b64 exec, exec, s[0:1]
	s_waitcnt lgkmcnt(0)
	s_barrier
	ds_read2_b64 v[1:4], v6 offset1:1
	ds_read_u8 v37, v9 offset:8192
	ds_read_u8 v38, v10 offset:8193
	s_waitcnt lgkmcnt(2)
	v_cmp_lt_i64_e32 vcc, v[1:2], v[3:4]
	s_waitcnt lgkmcnt(1)
	v_and_b32_e32 v39, 1, v37
	v_cmp_eq_u32_e64 s[0:1], 1, v39
	s_waitcnt lgkmcnt(0)
	v_cmp_ne_u16_e64 s[2:3], v38, v35
	v_cndmask_b32_e64 v35, 0, 1, s[2:3]
	s_and_b64 vcc, vcc, s[0:1]
	v_cndmask_b32_e32 v35, v35, v36, vcc
	v_and_b32_e32 v35, 1, v35
	v_cmp_eq_u32_e32 vcc, 1, v35
	s_and_saveexec_b64 s[0:1], vcc
	s_cbranch_execz .LBB85_95
; %bb.94:
	ds_write_b64 v6, v[3:4]
	ds_write_b64 v8, v[1:2] offset:8
	ds_write_b8 v9, v38 offset:8192
	ds_write_b8 v10, v37 offset:8193
.LBB85_95:
	s_or_b64 exec, exec, s[0:1]
	v_and_b32_e32 v1, 0x1ff, v0
	v_sub_u32_e32 v38, v5, v1
	v_add_u32_e32 v36, 8, v38
	v_lshl_add_u32 v37, v38, 3, 8
	v_mad_i32_i24 v3, v38, 7, v36
	s_waitcnt lgkmcnt(0)
	s_barrier
	ds_read_b64 v[1:2], v37
	ds_read_b64 v[3:4], v3 offset:4096
	ds_read_u8 v39, v36 offset:8192
	ds_read_u8 v40, v36 offset:8704
	s_waitcnt lgkmcnt(2)
	v_cmp_ge_i64_e32 vcc, v[1:2], v[3:4]
	s_waitcnt lgkmcnt(1)
	v_and_b32_e32 v35, 1, v39
	v_cmp_eq_u32_e64 s[0:1], 1, v35
	s_xor_b64 s[0:1], s[0:1], -1
	v_mov_b32_e32 v35, 0
	s_or_b64 s[0:1], vcc, s[0:1]
	s_waitcnt lgkmcnt(0)
	v_cmp_ne_u16_sdwa s[2:3], v40, v35 src0_sel:BYTE_0 src1_sel:DWORD
	s_and_b64 s[2:3], s[0:1], s[2:3]
	s_and_saveexec_b64 s[0:1], s[2:3]
	s_cbranch_execz .LBB85_97
; %bb.96:
	v_mul_i32_i24_e32 v38, 7, v38
	ds_write_b64 v37, v[3:4]
	v_add_u32_e32 v3, v36, v38
	ds_write_b64 v3, v[1:2] offset:4096
	v_mov_b32_e32 v1, 1
	ds_write_b8 v36, v1 offset:8192
	ds_write_b8 v36, v39 offset:8704
.LBB85_97:
	s_or_b64 exec, exec, s[0:1]
	s_waitcnt lgkmcnt(0)
	s_barrier
	ds_read_b64 v[1:2], v33
	ds_read_b64 v[3:4], v34 offset:2048
	ds_read_u8 v36, v32 offset:8192
	ds_read_u8 v37, v32 offset:8448
	s_waitcnt lgkmcnt(2)
	v_cmp_ge_i64_e32 vcc, v[1:2], v[3:4]
	s_waitcnt lgkmcnt(1)
	v_and_b32_e32 v38, 1, v36
	v_cmp_eq_u32_e64 s[0:1], 1, v38
	s_xor_b64 s[0:1], s[0:1], -1
	s_or_b64 s[0:1], vcc, s[0:1]
	s_waitcnt lgkmcnt(0)
	v_cmp_ne_u16_sdwa s[2:3], v37, v35 src0_sel:BYTE_0 src1_sel:DWORD
	s_and_b64 s[2:3], s[0:1], s[2:3]
	s_and_saveexec_b64 s[0:1], s[2:3]
	s_cbranch_execz .LBB85_99
; %bb.98:
	ds_write_b64 v33, v[3:4]
	ds_write_b64 v34, v[1:2] offset:2048
	v_mov_b32_e32 v1, 1
	ds_write_b8 v32, v1 offset:8192
	ds_write_b8 v32, v36 offset:8448
.LBB85_99:
	s_or_b64 exec, exec, s[0:1]
	s_waitcnt lgkmcnt(0)
	s_barrier
	ds_read_b64 v[1:2], v30
	ds_read_b64 v[3:4], v31 offset:1024
	ds_read_u8 v33, v29 offset:8192
	ds_read_u8 v34, v29 offset:8320
	s_waitcnt lgkmcnt(2)
	v_cmp_ge_i64_e32 vcc, v[1:2], v[3:4]
	s_waitcnt lgkmcnt(1)
	v_and_b32_e32 v32, 1, v33
	v_cmp_eq_u32_e64 s[0:1], 1, v32
	s_xor_b64 s[0:1], s[0:1], -1
	v_mov_b32_e32 v32, 0
	s_or_b64 s[0:1], vcc, s[0:1]
	s_waitcnt lgkmcnt(0)
	v_cmp_ne_u16_sdwa s[2:3], v34, v32 src0_sel:BYTE_0 src1_sel:DWORD
	s_and_b64 s[2:3], s[0:1], s[2:3]
	s_and_saveexec_b64 s[0:1], s[2:3]
	s_cbranch_execz .LBB85_101
; %bb.100:
	ds_write_b64 v30, v[3:4]
	ds_write_b64 v31, v[1:2] offset:1024
	v_mov_b32_e32 v1, 1
	ds_write_b8 v29, v1 offset:8192
	ds_write_b8 v29, v33 offset:8320
.LBB85_101:
	s_or_b64 exec, exec, s[0:1]
	s_waitcnt lgkmcnt(0)
	s_barrier
	ds_read_b64 v[1:2], v27
	ds_read_b64 v[3:4], v28 offset:512
	ds_read_u8 v29, v26 offset:8192
	ds_read_u8 v30, v26 offset:8256
	s_waitcnt lgkmcnt(2)
	v_cmp_ge_i64_e32 vcc, v[1:2], v[3:4]
	s_waitcnt lgkmcnt(1)
	v_and_b32_e32 v31, 1, v29
	v_cmp_eq_u32_e64 s[0:1], 1, v31
	s_xor_b64 s[0:1], s[0:1], -1
	s_or_b64 s[0:1], vcc, s[0:1]
	s_waitcnt lgkmcnt(0)
	v_cmp_ne_u16_sdwa s[2:3], v30, v32 src0_sel:BYTE_0 src1_sel:DWORD
	s_and_b64 s[2:3], s[0:1], s[2:3]
	s_and_saveexec_b64 s[0:1], s[2:3]
	s_cbranch_execz .LBB85_103
; %bb.102:
	ds_write_b64 v27, v[3:4]
	ds_write_b64 v28, v[1:2] offset:512
	v_mov_b32_e32 v1, 1
	ds_write_b8 v26, v1 offset:8192
	ds_write_b8 v26, v29 offset:8256
.LBB85_103:
	s_or_b64 exec, exec, s[0:1]
	s_waitcnt lgkmcnt(0)
	s_barrier
	ds_read_b64 v[1:2], v24
	ds_read_b64 v[3:4], v25 offset:256
	ds_read_u8 v27, v23 offset:8192
	ds_read_u8 v28, v23 offset:8224
	s_waitcnt lgkmcnt(2)
	v_cmp_ge_i64_e32 vcc, v[1:2], v[3:4]
	s_waitcnt lgkmcnt(1)
	v_and_b32_e32 v26, 1, v27
	v_cmp_eq_u32_e64 s[0:1], 1, v26
	s_xor_b64 s[0:1], s[0:1], -1
	v_mov_b32_e32 v26, 0
	s_or_b64 s[0:1], vcc, s[0:1]
	s_waitcnt lgkmcnt(0)
	v_cmp_ne_u16_sdwa s[2:3], v28, v26 src0_sel:BYTE_0 src1_sel:DWORD
	s_and_b64 s[2:3], s[0:1], s[2:3]
	s_and_saveexec_b64 s[0:1], s[2:3]
	s_cbranch_execz .LBB85_105
; %bb.104:
	ds_write_b64 v24, v[3:4]
	ds_write_b64 v25, v[1:2] offset:256
	v_mov_b32_e32 v1, 1
	ds_write_b8 v23, v1 offset:8192
	ds_write_b8 v23, v27 offset:8224
.LBB85_105:
	;; [unrolled: 53-line block ×4, first 2 shown]
	s_or_b64 exec, exec, s[0:1]
	s_waitcnt lgkmcnt(0)
	s_barrier
	ds_read2_b64 v[1:4], v6 offset1:1
	ds_read_u8 v11, v9 offset:8192
	ds_read_u8 v12, v10 offset:8193
	s_waitcnt lgkmcnt(2)
	v_cmp_ge_i64_e32 vcc, v[1:2], v[3:4]
	s_waitcnt lgkmcnt(1)
	v_and_b32_e32 v13, 1, v11
	v_cmp_eq_u32_e64 s[0:1], 1, v13
	s_xor_b64 s[0:1], s[0:1], -1
	s_or_b64 s[0:1], vcc, s[0:1]
	s_waitcnt lgkmcnt(0)
	v_cmp_ne_u16_sdwa s[2:3], v12, v14 src0_sel:BYTE_0 src1_sel:DWORD
	s_and_b64 s[2:3], s[0:1], s[2:3]
	s_and_saveexec_b64 s[0:1], s[2:3]
	s_cbranch_execz .LBB85_115
; %bb.114:
	ds_write_b64 v6, v[3:4]
	ds_write_b64 v8, v[1:2] offset:8
	v_mov_b32_e32 v1, 1
	ds_write_b8 v9, v1 offset:8192
	ds_write_b8 v10, v11 offset:8193
.LBB85_115:
	s_or_b64 exec, exec, s[0:1]
	v_cmp_eq_u32_e32 vcc, 0, v0
	s_waitcnt lgkmcnt(0)
	s_barrier
	s_barrier
	s_and_saveexec_b64 s[0:1], vcc
	s_cbranch_execz .LBB85_117
; %bb.116:
	v_mov_b32_e32 v1, 1
	v_mov_b32_e32 v2, 8
	ds_write_b8 v2, v1 offset:8196
	v_mov_b32_e32 v1, 0
	ds_write_b32 v2, v1 offset:8192
.LBB85_117:
	s_or_b64 exec, exec, s[0:1]
	ds_read2_b64 v[1:4], v6 offset1:1
	v_lshl_add_u32 v6, v5, 3, 8
	s_waitcnt lgkmcnt(0)
	v_cmp_ne_u64_e64 s[0:1], v[1:2], v[3:4]
	v_cndmask_b32_e64 v8, 0, 1, s[0:1]
	v_cmp_eq_u64_e64 s[0:1], v[1:2], v[3:4]
	v_cndmask_b32_e64 v1, 0, 1, s[0:1]
	s_movk_i32 s0, 0x1ff
	v_cmp_gt_u32_e64 s[2:3], s0, v0
	ds_write_b8 v6, v8 offset:8204
	ds_write_b32 v6, v1 offset:8200
	s_and_saveexec_b64 s[6:7], s[2:3]
	s_cbranch_execz .LBB85_119
; %bb.118:
	ds_read_b64 v[1:2], v6 offset:16
	s_waitcnt lgkmcnt(0)
	v_cmp_ne_u64_e64 s[0:1], v[3:4], v[1:2]
	v_cndmask_b32_e64 v8, 0, 1, s[0:1]
	v_cmp_eq_u64_e64 s[0:1], v[3:4], v[1:2]
	v_cndmask_b32_e64 v1, 0, 1, s[0:1]
	ds_write_b8 v6, v8 offset:8212
	ds_write_b32 v6, v1 offset:8208
.LBB85_119:
	s_or_b64 exec, exec, s[6:7]
	s_movk_i32 s0, 0x200
	v_cmp_gt_u32_e64 s[0:1], s0, v0
	s_waitcnt lgkmcnt(0)
	s_barrier
	s_and_saveexec_b64 s[6:7], s[0:1]
	s_cbranch_execz .LBB85_121
; %bb.120:
	ds_read_u8 v3, v6 offset:8204
	v_add_u32_e32 v1, 0x2000, v6
	ds_read2_b32 v[1:2], v1 offset1:2
	ds_read_u8 v4, v6 offset:8196
	v_add_u32_e32 v8, 0x2008, v6
	s_waitcnt lgkmcnt(2)
	v_and_b32_e32 v9, 1, v3
	v_cmp_eq_u32_e64 s[0:1], 1, v9
	s_waitcnt lgkmcnt(1)
	v_cndmask_b32_e64 v1, v1, 0, s[0:1]
	v_add_u32_e32 v1, v1, v2
	s_waitcnt lgkmcnt(0)
	v_or_b32_e32 v2, v4, v3
	v_and_b32_e32 v2, 1, v2
	ds_write2_b32 v8, v1, v2 offset1:1
.LBB85_121:
	s_or_b64 exec, exec, s[6:7]
	v_add_u32_e32 v9, 2, v5
	v_lshlrev_b32_e32 v1, 1, v9
	s_movk_i32 s0, 0x100
	v_cmp_gt_u32_e64 s[0:1], s0, v0
	v_lshl_add_u32 v1, v1, 3, 8
	s_waitcnt lgkmcnt(0)
	s_barrier
	s_and_saveexec_b64 s[6:7], s[0:1]
	s_cbranch_execz .LBB85_123
; %bb.122:
	ds_read_u8 v4, v1 offset:8188
	v_add_u32_e32 v2, 0x1c00, v1
	ds_read2_b32 v[2:3], v2 offset0:250 offset1:254
	ds_read_u8 v8, v1 offset:8172
	v_add_u32_e32 v10, 0x1ff8, v1
	s_waitcnt lgkmcnt(2)
	v_and_b32_e32 v11, 1, v4
	v_cmp_eq_u32_e64 s[0:1], 1, v11
	s_waitcnt lgkmcnt(1)
	v_cndmask_b32_e64 v2, v2, 0, s[0:1]
	v_add_u32_e32 v2, v2, v3
	s_waitcnt lgkmcnt(0)
	v_or_b32_e32 v3, v8, v4
	v_and_b32_e32 v3, 1, v3
	ds_write2_b32 v10, v2, v3 offset1:1
.LBB85_123:
	s_or_b64 exec, exec, s[6:7]
	v_lshlrev_b32_e32 v2, 2, v9
	s_movk_i32 s0, 0x80
	v_cmp_gt_u32_e64 s[0:1], s0, v0
	v_lshl_add_u32 v2, v2, 3, 8
	s_waitcnt lgkmcnt(0)
	s_barrier
	s_and_saveexec_b64 s[6:7], s[0:1]
	s_cbranch_execz .LBB85_125
; %bb.124:
	ds_read_u8 v8, v2 offset:8188
	v_add_u32_e32 v3, 0x1c00, v2
	ds_read2_b32 v[3:4], v3 offset0:246 offset1:254
	ds_read_u8 v10, v2 offset:8156
	v_add_u32_e32 v11, 0x1ff8, v2
	s_waitcnt lgkmcnt(2)
	v_and_b32_e32 v12, 1, v8
	v_cmp_eq_u32_e64 s[0:1], 1, v12
	s_waitcnt lgkmcnt(1)
	v_cndmask_b32_e64 v3, v3, 0, s[0:1]
	v_add_u32_e32 v3, v3, v4
	s_waitcnt lgkmcnt(0)
	v_or_b32_e32 v4, v10, v8
	v_and_b32_e32 v4, 1, v4
	ds_write2_b32 v11, v3, v4 offset1:1
.LBB85_125:
	s_or_b64 exec, exec, s[6:7]
	v_lshlrev_b32_e32 v3, 3, v9
	v_cmp_gt_u32_e64 s[0:1], 64, v0
	v_lshl_add_u32 v3, v3, 3, 8
	s_waitcnt lgkmcnt(0)
	s_barrier
	s_and_saveexec_b64 s[8:9], s[0:1]
	s_cbranch_execz .LBB85_127
; %bb.126:
	ds_read_u8 v4, v3 offset:8188
	ds_read_u8 v12, v3 offset:8124
	v_add_u32_e32 v8, 0x1c00, v3
	ds_read2_b32 v[10:11], v8 offset0:238 offset1:254
	v_add_u32_e32 v8, 0x1ff8, v3
	s_waitcnt lgkmcnt(2)
	v_and_b32_e32 v13, 1, v4
	v_cmp_eq_u32_e64 s[6:7], 1, v13
	s_waitcnt lgkmcnt(1)
	v_or_b32_e32 v4, v12, v4
	s_waitcnt lgkmcnt(0)
	v_cndmask_b32_e64 v10, v10, 0, s[6:7]
	v_add_u32_e32 v10, v10, v11
	v_and_b32_e32 v4, 1, v4
	ds_write2_b32 v8, v10, v4 offset1:1
.LBB85_127:
	s_or_b64 exec, exec, s[8:9]
	v_lshlrev_b32_e32 v4, 4, v9
	v_cmp_gt_u32_e64 s[6:7], 32, v0
	v_lshl_add_u32 v4, v4, 3, 8
	s_waitcnt lgkmcnt(0)
	s_barrier
	s_and_saveexec_b64 s[8:9], s[6:7]
	s_cbranch_execz .LBB85_129
; %bb.128:
	ds_read_u8 v8, v4 offset:8188
	ds_read_u8 v13, v4 offset:8060
	v_add_u32_e32 v10, 0x1c00, v4
	ds_read2_b32 v[10:11], v10 offset0:222 offset1:254
	v_add_u32_e32 v12, 0x1ff8, v4
	s_waitcnt lgkmcnt(2)
	v_and_b32_e32 v14, 1, v8
	v_cmp_eq_u32_e64 s[6:7], 1, v14
	s_waitcnt lgkmcnt(1)
	v_or_b32_e32 v8, v13, v8
	s_waitcnt lgkmcnt(0)
	v_cndmask_b32_e64 v10, v10, 0, s[6:7]
	v_add_u32_e32 v10, v10, v11
	v_and_b32_e32 v8, 1, v8
	ds_write2_b32 v12, v10, v8 offset1:1
.LBB85_129:
	s_or_b64 exec, exec, s[8:9]
	v_lshlrev_b32_e32 v8, 5, v9
	v_cmp_gt_u32_e64 s[6:7], 16, v0
	v_lshl_add_u32 v8, v8, 3, 8
	s_waitcnt lgkmcnt(0)
	s_barrier
	s_and_saveexec_b64 s[8:9], s[6:7]
	s_cbranch_execz .LBB85_131
; %bb.130:
	ds_read_u8 v12, v8 offset:8188
	ds_read_u8 v14, v8 offset:7932
	v_add_u32_e32 v10, 0xf8, v8
	ds_read2st64_b32 v[10:11], v10 offset0:30 offset1:31
	v_add_u32_e32 v13, 0x1ff8, v8
	s_waitcnt lgkmcnt(2)
	v_and_b32_e32 v15, 1, v12
	v_cmp_eq_u32_e64 s[6:7], 1, v15
	s_waitcnt lgkmcnt(0)
	v_cndmask_b32_e64 v10, v10, 0, s[6:7]
	v_add_u32_e32 v10, v10, v11
	v_or_b32_e32 v11, v14, v12
	v_and_b32_e32 v11, 1, v11
	ds_write2_b32 v13, v10, v11 offset1:1
.LBB85_131:
	s_or_b64 exec, exec, s[8:9]
	v_lshlrev_b32_e32 v10, 6, v9
	v_cmp_gt_u32_e64 s[6:7], 8, v0
	v_lshl_add_u32 v10, v10, 3, 8
	s_waitcnt lgkmcnt(0)
	s_barrier
	s_and_saveexec_b64 s[8:9], s[6:7]
	s_cbranch_execz .LBB85_133
; %bb.132:
	ds_read_u8 v13, v10 offset:8188
	ds_read_u8 v15, v10 offset:7676
	v_add_u32_e32 v11, 0xf8, v10
	ds_read2st64_b32 v[11:12], v11 offset0:29 offset1:31
	v_add_u32_e32 v14, 0x1ff8, v10
	s_waitcnt lgkmcnt(2)
	v_and_b32_e32 v16, 1, v13
	v_cmp_eq_u32_e64 s[6:7], 1, v16
	s_waitcnt lgkmcnt(0)
	v_cndmask_b32_e64 v11, v11, 0, s[6:7]
	v_add_u32_e32 v11, v11, v12
	v_or_b32_e32 v12, v15, v13
	v_and_b32_e32 v12, 1, v12
	ds_write2_b32 v14, v11, v12 offset1:1
.LBB85_133:
	s_or_b64 exec, exec, s[8:9]
	v_lshlrev_b32_e32 v11, 7, v9
	v_cmp_gt_u32_e64 s[6:7], 4, v0
	v_lshl_add_u32 v11, v11, 3, 8
	s_waitcnt lgkmcnt(0)
	s_barrier
	s_and_saveexec_b64 s[8:9], s[6:7]
	s_cbranch_execz .LBB85_135
; %bb.134:
	ds_read_u8 v14, v11 offset:8188
	ds_read_u8 v16, v11 offset:7164
	v_add_u32_e32 v12, 0xf8, v11
	ds_read2st64_b32 v[12:13], v12 offset0:27 offset1:31
	v_add_u32_e32 v15, 0x1ff8, v11
	s_waitcnt lgkmcnt(2)
	v_and_b32_e32 v17, 1, v14
	v_cmp_eq_u32_e64 s[6:7], 1, v17
	s_waitcnt lgkmcnt(0)
	v_cndmask_b32_e64 v12, v12, 0, s[6:7]
	v_add_u32_e32 v12, v12, v13
	v_or_b32_e32 v13, v16, v14
	v_and_b32_e32 v13, 1, v13
	ds_write2_b32 v15, v12, v13 offset1:1
.LBB85_135:
	s_or_b64 exec, exec, s[8:9]
	v_lshlrev_b32_e32 v9, 8, v9
	v_cmp_gt_u32_e64 s[6:7], 2, v0
	v_lshl_add_u32 v9, v9, 3, 8
	s_waitcnt lgkmcnt(0)
	s_barrier
	s_and_saveexec_b64 s[8:9], s[6:7]
	s_cbranch_execz .LBB85_137
; %bb.136:
	ds_read_u8 v14, v9 offset:8188
	ds_read_u8 v16, v9 offset:6140
	v_add_u32_e32 v12, 0xf8, v9
	ds_read2st64_b32 v[12:13], v12 offset0:23 offset1:31
	v_add_u32_e32 v15, 0x1ff8, v9
	s_waitcnt lgkmcnt(2)
	v_and_b32_e32 v17, 1, v14
	v_cmp_eq_u32_e64 s[6:7], 1, v17
	s_waitcnt lgkmcnt(0)
	v_cndmask_b32_e64 v12, v12, 0, s[6:7]
	v_add_u32_e32 v12, v12, v13
	v_or_b32_e32 v13, v16, v14
	v_and_b32_e32 v13, 1, v13
	ds_write2_b32 v15, v12, v13 offset1:1
.LBB85_137:
	s_or_b64 exec, exec, s[8:9]
	s_waitcnt lgkmcnt(0)
	s_barrier
	s_and_saveexec_b64 s[8:9], vcc
	s_cbranch_execz .LBB85_139
; %bb.138:
	v_mov_b32_e32 v12, 8
	ds_read_u8 v13, v12 offset:16380
	ds_read_b32 v14, v12 offset:12280
	ds_read_b32 v15, v12 offset:16376
	ds_read_u8 v12, v12 offset:12284
	s_add_i32 s10, 8, 0x3ff8
	s_waitcnt lgkmcnt(3)
	v_and_b32_e32 v16, 1, v13
	v_cmp_eq_u32_e64 s[6:7], 1, v16
	s_waitcnt lgkmcnt(2)
	v_cndmask_b32_e64 v14, v14, 0, s[6:7]
	s_waitcnt lgkmcnt(0)
	v_or_b32_e32 v12, v12, v13
	v_add_u32_e32 v14, v14, v15
	v_and_b32_e32 v12, 1, v12
	v_mov_b32_e32 v13, s10
	ds_write2_b32 v13, v14, v12 offset1:1
.LBB85_139:
	s_or_b64 exec, exec, s[8:9]
	s_waitcnt lgkmcnt(0)
	s_barrier
	s_and_saveexec_b64 s[8:9], vcc
	s_cbranch_execz .LBB85_141
; %bb.140:
	ds_read_u8 v14, v9 offset:10236
	v_add_u32_e32 v12, 0xf8, v9
	ds_read2st64_b32 v[12:13], v12 offset0:31 offset1:39
	v_add_u32_e32 v15, 0x27f8, v9
	ds_read_u8 v9, v9 offset:8188
	s_waitcnt lgkmcnt(2)
	v_and_b32_e32 v16, 1, v14
	v_cmp_eq_u32_e64 s[6:7], 1, v16
	s_waitcnt lgkmcnt(1)
	v_cndmask_b32_e64 v12, v12, 0, s[6:7]
	v_add_u32_e32 v12, v12, v13
	s_waitcnt lgkmcnt(0)
	v_or_b32_e32 v9, v9, v14
	v_and_b32_e32 v9, 1, v9
	ds_write2_b32 v15, v12, v9 offset1:1
.LBB85_141:
	s_or_b64 exec, exec, s[8:9]
	v_cmp_gt_u32_e64 s[6:7], 3, v0
	s_waitcnt lgkmcnt(0)
	s_barrier
	s_and_saveexec_b64 s[8:9], s[6:7]
	s_cbranch_execz .LBB85_143
; %bb.142:
	ds_read_u8 v9, v11 offset:9212
	v_add_u32_e32 v12, 0xf8, v11
	ds_read2st64_b32 v[12:13], v12 offset0:31 offset1:35
	v_add_u32_e32 v14, 0x23f8, v11
	ds_read_u8 v11, v11 offset:8188
	s_waitcnt lgkmcnt(2)
	v_and_b32_e32 v15, 1, v9
	v_cmp_eq_u32_e64 s[6:7], 1, v15
	s_waitcnt lgkmcnt(1)
	v_cndmask_b32_e64 v12, v12, 0, s[6:7]
	v_add_u32_e32 v12, v12, v13
	s_waitcnt lgkmcnt(0)
	v_or_b32_e32 v9, v11, v9
	v_and_b32_e32 v9, 1, v9
	ds_write2_b32 v14, v12, v9 offset1:1
.LBB85_143:
	s_or_b64 exec, exec, s[8:9]
	v_cmp_gt_u32_e64 s[6:7], 7, v0
	s_waitcnt lgkmcnt(0)
	s_barrier
	s_and_saveexec_b64 s[8:9], s[6:7]
	s_cbranch_execz .LBB85_145
; %bb.144:
	ds_read_u8 v9, v10 offset:8700
	v_add_u32_e32 v11, 0xf8, v10
	ds_read2st64_b32 v[11:12], v11 offset0:31 offset1:33
	v_add_u32_e32 v13, 0x21f8, v10
	ds_read_u8 v10, v10 offset:8188
	s_waitcnt lgkmcnt(2)
	v_and_b32_e32 v14, 1, v9
	v_cmp_eq_u32_e64 s[6:7], 1, v14
	s_waitcnt lgkmcnt(1)
	v_cndmask_b32_e64 v11, v11, 0, s[6:7]
	v_add_u32_e32 v11, v11, v12
	s_waitcnt lgkmcnt(0)
	v_or_b32_e32 v9, v10, v9
	v_and_b32_e32 v9, 1, v9
	ds_write2_b32 v13, v11, v9 offset1:1
.LBB85_145:
	s_or_b64 exec, exec, s[8:9]
	v_cmp_gt_u32_e64 s[6:7], 15, v0
	s_waitcnt lgkmcnt(0)
	s_barrier
	s_and_saveexec_b64 s[8:9], s[6:7]
	s_cbranch_execz .LBB85_147
; %bb.146:
	ds_read_u8 v11, v8 offset:8444
	v_add_u32_e32 v9, 0xf8, v8
	ds_read2st64_b32 v[9:10], v9 offset0:31 offset1:32
	v_add_u32_e32 v12, 0x20f8, v8
	ds_read_u8 v8, v8 offset:8188
	s_waitcnt lgkmcnt(2)
	v_and_b32_e32 v13, 1, v11
	v_cmp_eq_u32_e64 s[6:7], 1, v13
	s_waitcnt lgkmcnt(1)
	v_cndmask_b32_e64 v9, v9, 0, s[6:7]
	v_add_u32_e32 v9, v9, v10
	s_waitcnt lgkmcnt(0)
	v_or_b32_e32 v8, v8, v11
	v_and_b32_e32 v8, 1, v8
	ds_write2_b32 v12, v9, v8 offset1:1
.LBB85_147:
	s_or_b64 exec, exec, s[8:9]
	v_cmp_gt_u32_e64 s[6:7], 31, v0
	s_waitcnt lgkmcnt(0)
	s_barrier
	s_and_saveexec_b64 s[8:9], s[6:7]
	s_cbranch_execz .LBB85_149
; %bb.148:
	ds_read_u8 v10, v4 offset:8316
	v_add_u32_e32 v8, 0x1e00, v4
	ds_read2_b32 v[8:9], v8 offset0:126 offset1:158
	v_add_u32_e32 v11, 0x2078, v4
	ds_read_u8 v4, v4 offset:8188
	s_waitcnt lgkmcnt(2)
	v_and_b32_e32 v12, 1, v10
	v_cmp_eq_u32_e64 s[6:7], 1, v12
	s_waitcnt lgkmcnt(1)
	v_cndmask_b32_e64 v8, v8, 0, s[6:7]
	v_add_u32_e32 v8, v8, v9
	s_waitcnt lgkmcnt(0)
	v_or_b32_e32 v4, v4, v10
	v_and_b32_e32 v4, 1, v4
	ds_write2_b32 v11, v8, v4 offset1:1
.LBB85_149:
	s_or_b64 exec, exec, s[8:9]
	v_cmp_gt_u32_e64 s[6:7], 63, v0
	s_waitcnt lgkmcnt(0)
	s_barrier
	s_and_saveexec_b64 s[8:9], s[6:7]
	s_cbranch_execz .LBB85_151
; %bb.150:
	ds_read_u8 v4, v3 offset:8252
	v_add_u32_e32 v8, 0x1e00, v3
	ds_read2_b32 v[8:9], v8 offset0:126 offset1:142
	v_add_u32_e32 v10, 0x2038, v3
	ds_read_u8 v3, v3 offset:8188
	s_waitcnt lgkmcnt(2)
	v_and_b32_e32 v11, 1, v4
	v_cmp_eq_u32_e64 s[6:7], 1, v11
	s_waitcnt lgkmcnt(1)
	v_cndmask_b32_e64 v8, v8, 0, s[6:7]
	v_add_u32_e32 v8, v8, v9
	s_waitcnt lgkmcnt(0)
	v_or_b32_e32 v3, v3, v4
	v_and_b32_e32 v3, 1, v3
	ds_write2_b32 v10, v8, v3 offset1:1
.LBB85_151:
	s_or_b64 exec, exec, s[8:9]
	s_movk_i32 s6, 0x7f
	v_cmp_gt_u32_e64 s[6:7], s6, v0
	s_waitcnt lgkmcnt(0)
	s_barrier
	s_and_saveexec_b64 s[8:9], s[6:7]
	s_cbranch_execz .LBB85_153
; %bb.152:
	ds_read_u8 v8, v2 offset:8220
	v_add_u32_e32 v3, 0x1e00, v2
	ds_read2_b32 v[3:4], v3 offset0:126 offset1:134
	ds_read_u8 v9, v2 offset:8188
	v_add_u32_e32 v2, 0x2018, v2
	s_waitcnt lgkmcnt(2)
	v_and_b32_e32 v10, 1, v8
	v_cmp_eq_u32_e64 s[6:7], 1, v10
	s_waitcnt lgkmcnt(1)
	v_cndmask_b32_e64 v3, v3, 0, s[6:7]
	v_add_u32_e32 v3, v3, v4
	s_waitcnt lgkmcnt(0)
	v_or_b32_e32 v4, v9, v8
	v_and_b32_e32 v4, 1, v4
	ds_write2_b32 v2, v3, v4 offset1:1
.LBB85_153:
	s_or_b64 exec, exec, s[8:9]
	s_movk_i32 s6, 0xff
	v_cmp_gt_u32_e64 s[6:7], s6, v0
	s_waitcnt lgkmcnt(0)
	s_barrier
	s_and_saveexec_b64 s[8:9], s[6:7]
	s_cbranch_execz .LBB85_155
; %bb.154:
	ds_read_u8 v4, v1 offset:8204
	v_add_u32_e32 v2, 0x1e00, v1
	ds_read2_b32 v[2:3], v2 offset0:126 offset1:130
	ds_read_u8 v8, v1 offset:8188
	v_add_u32_e32 v1, 0x2008, v1
	s_waitcnt lgkmcnt(2)
	v_and_b32_e32 v9, 1, v4
	v_cmp_eq_u32_e64 s[6:7], 1, v9
	s_waitcnt lgkmcnt(1)
	v_cndmask_b32_e64 v2, v2, 0, s[6:7]
	v_add_u32_e32 v2, v2, v3
	s_waitcnt lgkmcnt(0)
	v_or_b32_e32 v3, v8, v4
	v_and_b32_e32 v3, 1, v3
	ds_write2_b32 v1, v2, v3 offset1:1
.LBB85_155:
	s_or_b64 exec, exec, s[8:9]
	s_waitcnt lgkmcnt(0)
	s_barrier
	s_and_saveexec_b64 s[6:7], s[2:3]
	s_cbranch_execz .LBB85_157
; %bb.156:
	ds_read_u8 v3, v6 offset:8212
	v_add_u32_e32 v1, 0x2000, v6
	ds_read2_b32 v[1:2], v1 offset0:2 offset1:4
	ds_read_u8 v4, v6 offset:8204
	v_add_u32_e32 v8, 0x2010, v6
	s_waitcnt lgkmcnt(2)
	v_and_b32_e32 v9, 1, v3
	v_cmp_eq_u32_e64 s[2:3], 1, v9
	s_waitcnt lgkmcnt(1)
	v_cndmask_b32_e64 v1, v1, 0, s[2:3]
	v_add_u32_e32 v1, v1, v2
	s_waitcnt lgkmcnt(0)
	v_or_b32_e32 v2, v4, v3
	v_and_b32_e32 v2, 1, v2
	ds_write2_b32 v8, v1, v2 offset1:1
.LBB85_157:
	s_or_b64 exec, exec, s[6:7]
	v_add_u32_e32 v1, 0x2000, v6
	s_waitcnt lgkmcnt(0)
	s_barrier
	ds_read2_b32 v[2:3], v1 offset1:2
	v_or_b32_e32 v1, 1, v5
	v_cmp_gt_u32_e64 s[6:7], s16, v1
	v_cmp_gt_u32_e64 s[2:3], s16, v5
	v_cndmask_b32_e64 v4, 0, v5, s[2:3]
	s_waitcnt lgkmcnt(0)
	v_cndmask_b32_e64 v6, 0, v3, s[6:7]
	v_mbcnt_lo_u32_b32 v3, -1, 0
	v_cndmask_b32_e64 v2, 0, v2, s[2:3]
	v_mbcnt_hi_u32_b32 v11, -1, v3
	v_mov_b32_e32 v3, 0x80
	v_cndmask_b32_e64 v8, 0, v1, s[6:7]
	v_max_u32_e32 v9, v6, v2
	v_lshl_or_b32 v3, v11, 2, v3
	v_cmp_gt_u32_e64 s[8:9], v6, v2
	ds_bpermute_b32 v10, v3, v9
	v_cndmask_b32_e64 v2, v4, v8, s[8:9]
	ds_bpermute_b32 v6, v3, v2
	v_and_b32_e32 v12, 63, v11
	v_cmp_gt_u32_e64 s[8:9], 48, v12
	v_cndmask_b32_e64 v4, 0, 16, s[8:9]
	s_waitcnt lgkmcnt(1)
	v_max_u32_e32 v13, v10, v9
	v_add_lshl_u32 v4, v4, v11, 2
	v_cmp_gt_u32_e64 s[8:9], v10, v9
	ds_bpermute_b32 v14, v4, v13
	s_waitcnt lgkmcnt(1)
	v_cndmask_b32_e64 v2, v2, v6, s[8:9]
	ds_bpermute_b32 v6, v4, v2
	v_cmp_gt_u32_e64 s[8:9], 56, v12
	v_cndmask_b32_e64 v8, 0, 8, s[8:9]
	s_waitcnt lgkmcnt(1)
	v_max_u32_e32 v10, v14, v13
	v_add_lshl_u32 v8, v8, v11, 2
	v_cmp_gt_u32_e64 s[8:9], v14, v13
	ds_bpermute_b32 v15, v8, v10
	s_waitcnt lgkmcnt(1)
	v_cndmask_b32_e64 v2, v2, v6, s[8:9]
	ds_bpermute_b32 v6, v8, v2
	;; [unrolled: 10-line block ×4, first 2 shown]
	s_waitcnt lgkmcnt(0)
	s_barrier
	v_cmp_gt_u32_e64 s[8:9], v16, v15
	v_max_u32_e32 v2, v16, v15
	v_cndmask_b32_e64 v6, v6, v13, s[8:9]
	v_cmp_ne_u32_e64 s[8:9], 63, v12
	v_addc_co_u32_e64 v11, s[8:9], 0, v11, s[8:9]
	v_lshlrev_b32_e32 v11, 2, v11
	ds_bpermute_b32 v12, v11, v6
	ds_bpermute_b32 v13, v11, v2
	v_cmp_eq_u32_e64 s[8:9], 0, v7
	s_waitcnt lgkmcnt(0)
	s_barrier
	s_and_saveexec_b64 s[12:13], s[8:9]
	s_cbranch_execz .LBB85_159
; %bb.158:
	v_lshrrev_b32_e32 v14, 3, v0
	v_add_u32_e32 v14, 8, v14
	v_cmp_gt_u32_e64 s[10:11], v13, v2
	v_add_u32_e32 v14, 0x2000, v14
	v_cndmask_b32_e64 v6, v6, v12, s[10:11]
	v_max_u32_e32 v2, v13, v2
	ds_write2_b32 v14, v2, v6 offset1:1
.LBB85_159:
	s_or_b64 exec, exec, s[12:13]
	s_lshr_b32 s10, s18, 6
	v_cmp_gt_u32_e64 s[10:11], s10, v0
	v_lshl_add_u32 v12, v7, 3, 8
	v_mov_b32_e32 v2, 0
	v_mov_b32_e32 v6, 0
	s_waitcnt lgkmcnt(0)
	s_barrier
	s_and_saveexec_b64 s[12:13], s[10:11]
	s_cbranch_execnz .LBB85_174
; %bb.160:
	s_or_b64 exec, exec, s[12:13]
	s_and_saveexec_b64 s[12:13], s[10:11]
	s_cbranch_execnz .LBB85_175
.LBB85_161:
	s_or_b64 exec, exec, s[12:13]
	s_and_saveexec_b64 s[18:19], s[0:1]
	s_cbranch_execnz .LBB85_176
.LBB85_162:
	s_or_b64 exec, exec, s[18:19]
	s_and_saveexec_b64 s[12:13], vcc
	s_cbranch_execz .LBB85_164
.LBB85_163:
	s_waitcnt lgkmcnt(0)
	v_lshl_add_u32 v2, v2, 3, 8
	ds_read_b64 v[13:14], v2
	v_mov_b32_e32 v2, 0
	s_waitcnt lgkmcnt(0)
	ds_write_b64 v2, v[13:14]
.LBB85_164:
	s_or_b64 exec, exec, s[12:13]
	s_waitcnt lgkmcnt(0)
	v_mov_b32_e32 v6, 0
	v_cmp_gt_i64_e64 s[12:13], s[16:17], v[5:6]
	v_mov_b32_e32 v13, 0
	s_barrier
	s_and_saveexec_b64 s[18:19], s[12:13]
	s_cbranch_execz .LBB85_166
; %bb.165:
	v_add_u32_e32 v13, s21, v5
	v_mov_b32_e32 v14, 0
	v_lshlrev_b64 v[15:16], 3, v[13:14]
	v_mov_b32_e32 v2, s15
	v_add_co_u32_e64 v15, s[12:13], s14, v15
	v_addc_co_u32_e64 v16, s[12:13], v2, v16, s[12:13]
	global_load_dwordx2 v[15:16], v[15:16], off
	ds_read_b64 v[13:14], v14
	s_waitcnt vmcnt(0) lgkmcnt(0)
	v_cmp_eq_u64_e64 s[12:13], v[15:16], v[13:14]
	v_cndmask_b32_e64 v13, 0, v5, s[12:13]
.LBB85_166:
	s_or_b64 exec, exec, s[18:19]
	v_mov_b32_e32 v2, v6
	v_cmp_gt_i64_e64 s[12:13], s[16:17], v[1:2]
	s_and_saveexec_b64 s[16:17], s[12:13]
	s_cbranch_execz .LBB85_168
; %bb.167:
	v_add_u32_e32 v5, s21, v1
	v_mov_b32_e32 v6, 0
	v_lshlrev_b64 v[14:15], 3, v[5:6]
	v_mov_b32_e32 v2, s15
	v_add_co_u32_e64 v14, s[12:13], s14, v14
	v_addc_co_u32_e64 v15, s[12:13], v2, v15, s[12:13]
	global_load_dwordx2 v[14:15], v[14:15], off
	ds_read_b64 v[5:6], v6
	s_waitcnt vmcnt(0) lgkmcnt(0)
	v_cmp_eq_u64_e64 s[12:13], v[14:15], v[5:6]
	v_cndmask_b32_e64 v6, 0, v1, s[12:13]
.LBB85_168:
	s_or_b64 exec, exec, s[16:17]
	v_cndmask_b32_e64 v1, 0, v13, s[2:3]
	v_max_u32_e32 v2, v6, v1
	v_cndmask_b32_e64 v1, v1, v2, s[6:7]
	ds_bpermute_b32 v2, v3, v1
	s_waitcnt lgkmcnt(0)
	s_barrier
	v_max_u32_e32 v1, v2, v1
	ds_bpermute_b32 v2, v4, v1
	s_waitcnt lgkmcnt(0)
	v_max_u32_e32 v1, v2, v1
	ds_bpermute_b32 v2, v8, v1
	s_waitcnt lgkmcnt(0)
	;; [unrolled: 3-line block ×4, first 2 shown]
	v_max_u32_e32 v1, v2, v1
	ds_bpermute_b32 v2, v11, v1
	s_and_saveexec_b64 s[2:3], s[8:9]
	s_cbranch_execz .LBB85_170
; %bb.169:
	v_lshrrev_b32_e32 v0, 4, v0
	v_add_u32_e32 v0, 8, v0
	s_waitcnt lgkmcnt(0)
	v_max_u32_e32 v1, v2, v1
	ds_write_b32 v0, v1
.LBB85_170:
	s_or_b64 exec, exec, s[2:3]
	v_mov_b32_e32 v0, 0
	s_waitcnt lgkmcnt(0)
	s_barrier
	s_and_saveexec_b64 s[2:3], s[10:11]
	s_cbranch_execnz .LBB85_177
; %bb.171:
	s_or_b64 exec, exec, s[2:3]
	s_and_saveexec_b64 s[2:3], s[0:1]
	s_cbranch_execnz .LBB85_178
.LBB85_172:
	s_or_b64 exec, exec, s[2:3]
	s_and_saveexec_b64 s[0:1], vcc
	s_cbranch_execnz .LBB85_179
.LBB85_173:
	s_endpgm
.LBB85_174:
	ds_read_b32 v6, v12 offset:8192
	s_or_b64 exec, exec, s[12:13]
	s_and_saveexec_b64 s[12:13], s[10:11]
	s_cbranch_execz .LBB85_161
.LBB85_175:
	ds_read_b32 v2, v12 offset:8196
	s_or_b64 exec, exec, s[12:13]
	s_and_saveexec_b64 s[18:19], s[0:1]
	s_cbranch_execz .LBB85_162
.LBB85_176:
	s_waitcnt lgkmcnt(0)
	ds_bpermute_b32 v13, v3, v6
	ds_bpermute_b32 v14, v3, v2
	s_waitcnt lgkmcnt(1)
	v_max_u32_e32 v15, v13, v6
	v_cmp_gt_u32_e64 s[12:13], v13, v6
	ds_bpermute_b32 v16, v4, v15
	s_waitcnt lgkmcnt(1)
	v_cndmask_b32_e64 v2, v2, v14, s[12:13]
	ds_bpermute_b32 v6, v4, v2
	s_waitcnt lgkmcnt(1)
	v_max_u32_e32 v13, v16, v15
	v_cmp_gt_u32_e64 s[12:13], v16, v15
	ds_bpermute_b32 v14, v8, v13
	s_waitcnt lgkmcnt(1)
	v_cndmask_b32_e64 v2, v2, v6, s[12:13]
	;; [unrolled: 7-line block ×4, first 2 shown]
	ds_bpermute_b32 v6, v10, v2
	s_waitcnt lgkmcnt(1)
	v_max_u32_e32 v15, v14, v13
	v_cmp_gt_u32_e64 s[12:13], v14, v13
	s_waitcnt lgkmcnt(0)
	v_cndmask_b32_e64 v2, v2, v6, s[12:13]
	ds_bpermute_b32 v6, v11, v15
	ds_bpermute_b32 v13, v11, v2
	s_waitcnt lgkmcnt(1)
	v_cmp_gt_u32_e64 s[12:13], v6, v15
	s_waitcnt lgkmcnt(0)
	v_cndmask_b32_e64 v2, v2, v13, s[12:13]
	s_or_b64 exec, exec, s[18:19]
	s_and_saveexec_b64 s[12:13], vcc
	s_cbranch_execnz .LBB85_163
	s_branch .LBB85_164
.LBB85_177:
	v_lshlrev_b32_e32 v0, 2, v7
	v_sub_u32_e32 v0, v12, v0
	ds_read_b32 v0, v0
	s_or_b64 exec, exec, s[2:3]
	s_and_saveexec_b64 s[2:3], s[0:1]
	s_cbranch_execz .LBB85_172
.LBB85_178:
	s_waitcnt lgkmcnt(0)
	ds_bpermute_b32 v1, v3, v0
	s_waitcnt lgkmcnt(0)
	v_max_u32_e32 v0, v1, v0
	ds_bpermute_b32 v1, v4, v0
	s_waitcnt lgkmcnt(0)
	v_max_u32_e32 v0, v1, v0
	;; [unrolled: 3-line block ×6, first 2 shown]
	s_or_b64 exec, exec, s[2:3]
	s_and_saveexec_b64 s[0:1], vcc
	s_cbranch_execz .LBB85_173
.LBB85_179:
	s_load_dword s6, s[4:5], 0xd8
	s_load_dwordx2 s[0:1], s[4:5], 0xe0
	s_add_u32 s2, s4, 8
	s_addc_u32 s3, s5, 0
	s_mov_b32 s5, 0
	s_waitcnt lgkmcnt(0)
	s_cmp_lt_i32 s6, 2
	s_cbranch_scc1 .LBB85_182
; %bb.180:
	s_add_i32 s4, s6, -1
	s_add_i32 s8, s6, 1
	s_lshl_b64 s[6:7], s[4:5], 2
	s_add_u32 s4, s2, s6
	s_addc_u32 s7, s3, s7
	s_add_u32 s6, s4, 8
	s_addc_u32 s7, s7, 0
.LBB85_181:                             ; =>This Inner Loop Header: Depth=1
	s_load_dword s4, s[6:7], 0x0
	s_load_dword s10, s[6:7], 0x64
	s_mov_b32 s9, s20
	s_waitcnt lgkmcnt(0)
	v_cvt_f32_u32_e32 v1, s4
	s_sub_i32 s11, 0, s4
	v_rcp_iflag_f32_e32 v1, v1
	v_mul_f32_e32 v1, 0x4f7ffffe, v1
	v_cvt_u32_f32_e32 v1, v1
	v_readfirstlane_b32 s12, v1
	s_mul_i32 s11, s11, s12
	s_mul_hi_u32 s11, s12, s11
	s_add_i32 s12, s12, s11
	s_mul_hi_u32 s11, s20, s12
	s_mul_i32 s12, s11, s4
	s_sub_i32 s12, s20, s12
	s_add_i32 s13, s11, 1
	s_sub_i32 s14, s12, s4
	s_cmp_ge_u32 s12, s4
	s_cselect_b32 s11, s13, s11
	s_cselect_b32 s12, s14, s12
	s_add_i32 s13, s11, 1
	s_cmp_ge_u32 s12, s4
	s_cselect_b32 s20, s13, s11
	s_mul_i32 s4, s20, s4
	s_sub_i32 s4, s9, s4
	s_mul_i32 s4, s10, s4
	s_add_i32 s8, s8, -1
	s_add_i32 s5, s4, s5
	s_add_u32 s6, s6, -4
	s_addc_u32 s7, s7, -1
	s_cmp_gt_u32 s8, 2
	s_cbranch_scc1 .LBB85_181
.LBB85_182:
	s_load_dword s4, s[2:3], 0x6c
	s_mov_b32 s7, 0
	s_load_dwordx2 s[2:3], s[2:3], 0x0
	v_mov_b32_e32 v1, 0
	ds_read_b64 v[2:3], v1
	s_waitcnt lgkmcnt(0)
	s_mul_i32 s4, s4, s20
	s_add_i32 s6, s4, s5
	s_lshl_b64 s[4:5], s[6:7], 3
	s_add_u32 s2, s2, s4
	s_addc_u32 s3, s3, s5
	s_add_u32 s0, s0, s4
	s_addc_u32 s1, s1, s5
	global_store_dwordx2 v1, v[2:3], s[2:3]
	global_store_dwordx2 v1, v[0:1], s[0:1]
	s_endpgm
	.section	.rodata,"a",@progbits
	.p2align	6, 0x0
	.amdhsa_kernel _ZN2at6native12compute_modeIlLj1024EEEvPKT_NS_4cuda6detail10TensorInfoIS2_jEENS7_IljEEll
		.amdhsa_group_segment_fixed_size 8
		.amdhsa_private_segment_fixed_size 0
		.amdhsa_kernarg_size 712
		.amdhsa_user_sgpr_count 6
		.amdhsa_user_sgpr_private_segment_buffer 1
		.amdhsa_user_sgpr_dispatch_ptr 0
		.amdhsa_user_sgpr_queue_ptr 0
		.amdhsa_user_sgpr_kernarg_segment_ptr 1
		.amdhsa_user_sgpr_dispatch_id 0
		.amdhsa_user_sgpr_flat_scratch_init 0
		.amdhsa_user_sgpr_private_segment_size 0
		.amdhsa_uses_dynamic_stack 0
		.amdhsa_system_sgpr_private_segment_wavefront_offset 0
		.amdhsa_system_sgpr_workgroup_id_x 1
		.amdhsa_system_sgpr_workgroup_id_y 1
		.amdhsa_system_sgpr_workgroup_id_z 1
		.amdhsa_system_sgpr_workgroup_info 0
		.amdhsa_system_vgpr_workitem_id 0
		.amdhsa_next_free_vgpr 41
		.amdhsa_next_free_sgpr 22
		.amdhsa_reserve_vcc 1
		.amdhsa_reserve_flat_scratch 0
		.amdhsa_float_round_mode_32 0
		.amdhsa_float_round_mode_16_64 0
		.amdhsa_float_denorm_mode_32 3
		.amdhsa_float_denorm_mode_16_64 3
		.amdhsa_dx10_clamp 1
		.amdhsa_ieee_mode 1
		.amdhsa_fp16_overflow 0
		.amdhsa_exception_fp_ieee_invalid_op 0
		.amdhsa_exception_fp_denorm_src 0
		.amdhsa_exception_fp_ieee_div_zero 0
		.amdhsa_exception_fp_ieee_overflow 0
		.amdhsa_exception_fp_ieee_underflow 0
		.amdhsa_exception_fp_ieee_inexact 0
		.amdhsa_exception_int_div_zero 0
	.end_amdhsa_kernel
	.section	.text._ZN2at6native12compute_modeIlLj1024EEEvPKT_NS_4cuda6detail10TensorInfoIS2_jEENS7_IljEEll,"axG",@progbits,_ZN2at6native12compute_modeIlLj1024EEEvPKT_NS_4cuda6detail10TensorInfoIS2_jEENS7_IljEEll,comdat
.Lfunc_end85:
	.size	_ZN2at6native12compute_modeIlLj1024EEEvPKT_NS_4cuda6detail10TensorInfoIS2_jEENS7_IljEEll, .Lfunc_end85-_ZN2at6native12compute_modeIlLj1024EEEvPKT_NS_4cuda6detail10TensorInfoIS2_jEENS7_IljEEll
                                        ; -- End function
	.set _ZN2at6native12compute_modeIlLj1024EEEvPKT_NS_4cuda6detail10TensorInfoIS2_jEENS7_IljEEll.num_vgpr, 41
	.set _ZN2at6native12compute_modeIlLj1024EEEvPKT_NS_4cuda6detail10TensorInfoIS2_jEENS7_IljEEll.num_agpr, 0
	.set _ZN2at6native12compute_modeIlLj1024EEEvPKT_NS_4cuda6detail10TensorInfoIS2_jEENS7_IljEEll.numbered_sgpr, 22
	.set _ZN2at6native12compute_modeIlLj1024EEEvPKT_NS_4cuda6detail10TensorInfoIS2_jEENS7_IljEEll.num_named_barrier, 0
	.set _ZN2at6native12compute_modeIlLj1024EEEvPKT_NS_4cuda6detail10TensorInfoIS2_jEENS7_IljEEll.private_seg_size, 0
	.set _ZN2at6native12compute_modeIlLj1024EEEvPKT_NS_4cuda6detail10TensorInfoIS2_jEENS7_IljEEll.uses_vcc, 1
	.set _ZN2at6native12compute_modeIlLj1024EEEvPKT_NS_4cuda6detail10TensorInfoIS2_jEENS7_IljEEll.uses_flat_scratch, 0
	.set _ZN2at6native12compute_modeIlLj1024EEEvPKT_NS_4cuda6detail10TensorInfoIS2_jEENS7_IljEEll.has_dyn_sized_stack, 0
	.set _ZN2at6native12compute_modeIlLj1024EEEvPKT_NS_4cuda6detail10TensorInfoIS2_jEENS7_IljEEll.has_recursion, 0
	.set _ZN2at6native12compute_modeIlLj1024EEEvPKT_NS_4cuda6detail10TensorInfoIS2_jEENS7_IljEEll.has_indirect_call, 0
	.section	.AMDGPU.csdata,"",@progbits
; Kernel info:
; codeLenInByte = 13252
; TotalNumSgprs: 26
; NumVgprs: 41
; ScratchSize: 0
; MemoryBound: 0
; FloatMode: 240
; IeeeMode: 1
; LDSByteSize: 8 bytes/workgroup (compile time only)
; SGPRBlocks: 3
; VGPRBlocks: 10
; NumSGPRsForWavesPerEU: 26
; NumVGPRsForWavesPerEU: 41
; Occupancy: 5
; WaveLimiterHint : 1
; COMPUTE_PGM_RSRC2:SCRATCH_EN: 0
; COMPUTE_PGM_RSRC2:USER_SGPR: 6
; COMPUTE_PGM_RSRC2:TRAP_HANDLER: 0
; COMPUTE_PGM_RSRC2:TGID_X_EN: 1
; COMPUTE_PGM_RSRC2:TGID_Y_EN: 1
; COMPUTE_PGM_RSRC2:TGID_Z_EN: 1
; COMPUTE_PGM_RSRC2:TIDIG_COMP_CNT: 0
	.section	.text._ZN2at6native12compute_modeIlLj128EEEvPKT_NS_4cuda6detail10TensorInfoIS2_jEENS7_IljEEll,"axG",@progbits,_ZN2at6native12compute_modeIlLj128EEEvPKT_NS_4cuda6detail10TensorInfoIS2_jEENS7_IljEEll,comdat
	.protected	_ZN2at6native12compute_modeIlLj128EEEvPKT_NS_4cuda6detail10TensorInfoIS2_jEENS7_IljEEll ; -- Begin function _ZN2at6native12compute_modeIlLj128EEEvPKT_NS_4cuda6detail10TensorInfoIS2_jEENS7_IljEEll
	.globl	_ZN2at6native12compute_modeIlLj128EEEvPKT_NS_4cuda6detail10TensorInfoIS2_jEENS7_IljEEll
	.p2align	8
	.type	_ZN2at6native12compute_modeIlLj128EEEvPKT_NS_4cuda6detail10TensorInfoIS2_jEENS7_IljEEll,@function
_ZN2at6native12compute_modeIlLj128EEEvPKT_NS_4cuda6detail10TensorInfoIS2_jEENS7_IljEEll: ; @_ZN2at6native12compute_modeIlLj128EEEvPKT_NS_4cuda6detail10TensorInfoIS2_jEENS7_IljEEll
; %bb.0:
	s_load_dwordx2 s[2:3], s[4:5], 0x1c8
	s_load_dwordx4 s[16:19], s[4:5], 0x1b8
	s_add_u32 s0, s4, 0x1c8
	s_addc_u32 s1, s5, 0
	v_mov_b32_e32 v2, 0
	s_waitcnt lgkmcnt(0)
	s_mul_i32 s3, s3, s8
	s_add_i32 s3, s3, s7
	s_mul_i32 s2, s3, s2
	s_add_i32 s20, s2, s6
	v_mov_b32_e32 v1, s20
	v_cmp_le_i64_e32 vcc, s[18:19], v[1:2]
	s_cbranch_vccnz .LBB86_107
; %bb.1:
	s_load_dwordx2 s[14:15], s[4:5], 0x0
	s_load_dword s6, s[0:1], 0xc
	v_mov_b32_e32 v1, v2
	v_cmp_gt_i64_e32 vcc, s[16:17], v[0:1]
	s_mul_i32 s21, s20, s16
	s_and_saveexec_b64 s[2:3], vcc
	s_cbranch_execz .LBB86_3
; %bb.2:
	v_add_u32_e32 v1, s21, v0
	v_lshlrev_b64 v[3:4], 3, v[1:2]
	s_waitcnt lgkmcnt(0)
	v_mov_b32_e32 v1, s15
	v_add_co_u32_e64 v3, s[0:1], s14, v3
	v_addc_co_u32_e64 v4, s[0:1], v1, v4, s[0:1]
	global_load_dwordx2 v[3:4], v[3:4], off
	v_lshl_add_u32 v1, v0, 3, 8
	s_waitcnt vmcnt(0)
	ds_write_b64 v1, v[3:4]
.LBB86_3:
	s_or_b64 exec, exec, s[2:3]
	s_waitcnt lgkmcnt(0)
	s_and_b32 s18, 0xffff, s6
	v_add_u32_e32 v1, s18, v0
	v_cmp_gt_i64_e64 s[0:1], s[16:17], v[1:2]
	s_and_saveexec_b64 s[6:7], s[0:1]
	s_cbranch_execz .LBB86_5
; %bb.4:
	v_add_u32_e32 v2, s21, v1
	v_mov_b32_e32 v3, 0
	v_lshlrev_b64 v[2:3], 3, v[2:3]
	v_mov_b32_e32 v4, s15
	v_add_co_u32_e64 v2, s[2:3], s14, v2
	v_addc_co_u32_e64 v3, s[2:3], v4, v3, s[2:3]
	global_load_dwordx2 v[2:3], v[2:3], off
	v_lshl_add_u32 v1, v1, 3, 8
	s_waitcnt vmcnt(0)
	ds_write_b64 v1, v[2:3]
.LBB86_5:
	s_or_b64 exec, exec, s[6:7]
	v_add_u32_e32 v1, 8, v0
	v_mad_u32_u24 v6, v0, 15, v1
	v_cndmask_b32_e64 v2, 0, 1, vcc
	v_mad_i32_i24 v8, v0, -14, v6
	ds_write_b8 v1, v2 offset:1024
	v_add_u32_e32 v2, s18, v1
	v_cndmask_b32_e64 v3, 0, 1, s[0:1]
	v_mad_u32_u24 v9, v0, 14, v8
	ds_write_b8 v2, v3 offset:1024
	s_waitcnt lgkmcnt(0)
	s_barrier
	s_barrier
	ds_read2_b64 v[1:4], v6 offset1:1
	ds_read_u8 v5, v8 offset:1024
	v_mad_i32_i24 v7, v0, -14, v9
	ds_read_u8 v10, v7 offset:1025
	v_and_b32_e32 v11, 1, v0
	s_waitcnt lgkmcnt(2)
	v_cmp_lt_i64_e32 vcc, v[1:2], v[3:4]
	s_waitcnt lgkmcnt(1)
	v_and_b32_e32 v12, 1, v5
	v_cmp_eq_u32_e64 s[0:1], 1, v12
	s_waitcnt lgkmcnt(0)
	v_cmp_ne_u16_e64 s[2:3], v10, v11
	v_cndmask_b32_e64 v12, 0, 1, s[2:3]
	s_and_b64 vcc, vcc, s[0:1]
	v_cndmask_b32_e32 v12, v12, v0, vcc
	v_and_b32_e32 v12, 1, v12
	v_cmp_eq_u32_e32 vcc, 1, v12
	s_and_saveexec_b64 s[0:1], vcc
	s_cbranch_execz .LBB86_7
; %bb.6:
	ds_write_b64 v6, v[3:4]
	ds_write_b64 v9, v[1:2] offset:8
	ds_write_b8 v8, v10 offset:1024
	ds_write_b8 v7, v5 offset:1025
.LBB86_7:
	s_or_b64 exec, exec, s[0:1]
	v_lshlrev_b32_e32 v5, 1, v0
	v_sub_u32_e32 v13, v5, v11
	v_add_u32_e32 v11, 8, v13
	v_lshl_add_u32 v12, v13, 3, 8
	v_mad_i32_i24 v3, v13, 7, v11
	s_waitcnt lgkmcnt(0)
	s_barrier
	ds_read_b64 v[1:2], v12
	ds_read_b64 v[3:4], v3 offset:16
	ds_read_u8 v14, v11 offset:1024
	ds_read_u8 v15, v11 offset:1026
	v_bfe_u32 v16, v0, 1, 1
	v_and_b32_e32 v10, 2, v0
	s_waitcnt lgkmcnt(2)
	v_cmp_lt_i64_e64 s[0:1], v[1:2], v[3:4]
	s_waitcnt lgkmcnt(1)
	v_and_b32_e32 v17, 1, v14
	v_cmp_eq_u32_e64 s[2:3], 1, v17
	s_waitcnt lgkmcnt(0)
	v_cmp_ne_u16_e64 s[6:7], v15, v16
	v_cndmask_b32_e64 v17, 0, 1, s[6:7]
	s_and_b64 s[0:1], s[0:1], s[2:3]
	v_cndmask_b32_e64 v16, v17, v16, s[0:1]
	v_mul_i32_i24_e32 v13, 7, v13
	v_and_b32_e32 v16, 1, v16
	v_cmp_ne_u32_e32 vcc, 0, v10
	v_cmp_eq_u32_e64 s[0:1], 1, v16
	v_add_u32_e32 v13, v11, v13
	s_and_saveexec_b64 s[2:3], s[0:1]
	s_xor_b64 s[0:1], exec, s[2:3]
	s_cbranch_execz .LBB86_9
; %bb.8:
	ds_write_b64 v12, v[3:4]
	ds_write_b64 v13, v[1:2] offset:16
	ds_write_b8 v11, v15 offset:1024
	ds_write_b8 v11, v14 offset:1026
.LBB86_9:
	s_or_b64 exec, exec, s[0:1]
	s_waitcnt lgkmcnt(0)
	s_barrier
	ds_read2_b64 v[1:4], v6 offset1:1
	ds_read_u8 v14, v8 offset:1024
	ds_read_u8 v15, v7 offset:1025
	v_lshrrev_b32_e32 v10, 1, v10
	s_waitcnt lgkmcnt(2)
	v_cmp_lt_i64_e64 s[0:1], v[1:2], v[3:4]
	s_waitcnt lgkmcnt(1)
	v_and_b32_e32 v16, 1, v14
	v_cmp_eq_u32_e64 s[2:3], 1, v16
	s_waitcnt lgkmcnt(0)
	v_cmp_ne_u16_e64 s[6:7], v15, v10
	v_cndmask_b32_e64 v10, 0, 1, s[6:7]
	v_cndmask_b32_e64 v16, 0, 1, vcc
	s_and_b64 vcc, s[0:1], s[2:3]
	v_cndmask_b32_e32 v10, v10, v16, vcc
	v_and_b32_e32 v10, 1, v10
	v_cmp_eq_u32_e32 vcc, 1, v10
	s_and_saveexec_b64 s[0:1], vcc
	s_cbranch_execz .LBB86_11
; %bb.10:
	ds_write_b64 v6, v[3:4]
	ds_write_b64 v9, v[1:2] offset:8
	ds_write_b8 v8, v15 offset:1024
	ds_write_b8 v7, v14 offset:1025
.LBB86_11:
	s_or_b64 exec, exec, s[0:1]
	v_and_b32_e32 v1, 3, v0
	v_sub_u32_e32 v16, v5, v1
	v_add_u32_e32 v14, 8, v16
	v_lshl_add_u32 v15, v16, 3, 8
	v_mad_i32_i24 v3, v16, 7, v14
	s_waitcnt lgkmcnt(0)
	s_barrier
	ds_read_b64 v[1:2], v15
	ds_read_b64 v[3:4], v3 offset:32
	ds_read_u8 v17, v14 offset:1024
	ds_read_u8 v18, v14 offset:1028
	v_bfe_u32 v19, v0, 2, 1
	v_and_b32_e32 v10, 4, v0
	s_waitcnt lgkmcnt(2)
	v_cmp_lt_i64_e64 s[0:1], v[1:2], v[3:4]
	s_waitcnt lgkmcnt(1)
	v_and_b32_e32 v20, 1, v17
	v_cmp_eq_u32_e64 s[2:3], 1, v20
	s_waitcnt lgkmcnt(0)
	v_cmp_ne_u16_e64 s[6:7], v18, v19
	v_cndmask_b32_e64 v20, 0, 1, s[6:7]
	s_and_b64 s[0:1], s[0:1], s[2:3]
	v_cndmask_b32_e64 v19, v20, v19, s[0:1]
	v_mul_i32_i24_e32 v16, 7, v16
	v_and_b32_e32 v19, 1, v19
	v_cmp_ne_u32_e32 vcc, 0, v10
	v_cmp_eq_u32_e64 s[0:1], 1, v19
	v_add_u32_e32 v16, v14, v16
	s_and_saveexec_b64 s[2:3], s[0:1]
	s_cbranch_execz .LBB86_13
; %bb.12:
	ds_write_b64 v15, v[3:4]
	ds_write_b64 v16, v[1:2] offset:32
	ds_write_b8 v14, v18 offset:1024
	ds_write_b8 v14, v17 offset:1028
.LBB86_13:
	s_or_b64 exec, exec, s[2:3]
	s_waitcnt lgkmcnt(0)
	s_barrier
	ds_read_b64 v[1:2], v12
	ds_read_b64 v[3:4], v13 offset:16
	ds_read_u8 v18, v11 offset:1024
	ds_read_u8 v19, v11 offset:1026
	v_lshrrev_b32_e32 v10, 2, v10
	s_waitcnt lgkmcnt(2)
	v_cmp_lt_i64_e64 s[0:1], v[1:2], v[3:4]
	s_waitcnt lgkmcnt(1)
	v_and_b32_e32 v17, 1, v18
	v_cmp_eq_u32_e64 s[2:3], 1, v17
	s_waitcnt lgkmcnt(0)
	v_cmp_ne_u16_e64 s[6:7], v19, v10
	v_cndmask_b32_e64 v20, 0, 1, s[6:7]
	v_cndmask_b32_e64 v17, 0, 1, vcc
	s_and_b64 vcc, s[0:1], s[2:3]
	v_cndmask_b32_e32 v20, v20, v17, vcc
	v_and_b32_e32 v20, 1, v20
	v_cmp_eq_u32_e32 vcc, 1, v20
	s_and_saveexec_b64 s[0:1], vcc
	s_cbranch_execz .LBB86_15
; %bb.14:
	ds_write_b64 v12, v[3:4]
	ds_write_b64 v13, v[1:2] offset:16
	ds_write_b8 v11, v19 offset:1024
	ds_write_b8 v11, v18 offset:1026
.LBB86_15:
	s_or_b64 exec, exec, s[0:1]
	s_waitcnt lgkmcnt(0)
	s_barrier
	ds_read2_b64 v[1:4], v6 offset1:1
	ds_read_u8 v18, v8 offset:1024
	ds_read_u8 v19, v7 offset:1025
	s_waitcnt lgkmcnt(2)
	v_cmp_lt_i64_e32 vcc, v[1:2], v[3:4]
	s_waitcnt lgkmcnt(1)
	v_and_b32_e32 v20, 1, v18
	v_cmp_eq_u32_e64 s[0:1], 1, v20
	s_waitcnt lgkmcnt(0)
	v_cmp_ne_u16_e64 s[2:3], v19, v10
	v_cndmask_b32_e64 v10, 0, 1, s[2:3]
	s_and_b64 vcc, vcc, s[0:1]
	v_cndmask_b32_e32 v10, v10, v17, vcc
	v_and_b32_e32 v10, 1, v10
	v_cmp_eq_u32_e32 vcc, 1, v10
	s_and_saveexec_b64 s[0:1], vcc
	s_cbranch_execz .LBB86_17
; %bb.16:
	ds_write_b64 v6, v[3:4]
	ds_write_b64 v9, v[1:2] offset:8
	ds_write_b8 v8, v19 offset:1024
	ds_write_b8 v7, v18 offset:1025
.LBB86_17:
	s_or_b64 exec, exec, s[0:1]
	v_and_b32_e32 v1, 7, v0
	v_sub_u32_e32 v19, v5, v1
	v_add_u32_e32 v17, 8, v19
	v_lshl_add_u32 v18, v19, 3, 8
	v_mad_i32_i24 v3, v19, 7, v17
	s_waitcnt lgkmcnt(0)
	s_barrier
	ds_read_b64 v[1:2], v18
	ds_read_b64 v[3:4], v3 offset:64
	ds_read_u8 v20, v17 offset:1024
	ds_read_u8 v21, v17 offset:1032
	v_bfe_u32 v22, v0, 3, 1
	v_and_b32_e32 v10, 8, v0
	s_waitcnt lgkmcnt(2)
	v_cmp_lt_i64_e64 s[0:1], v[1:2], v[3:4]
	s_waitcnt lgkmcnt(1)
	v_and_b32_e32 v23, 1, v20
	v_cmp_eq_u32_e64 s[2:3], 1, v23
	s_waitcnt lgkmcnt(0)
	v_cmp_ne_u16_e64 s[6:7], v21, v22
	v_cndmask_b32_e64 v23, 0, 1, s[6:7]
	s_and_b64 s[0:1], s[0:1], s[2:3]
	v_cndmask_b32_e64 v22, v23, v22, s[0:1]
	v_mul_i32_i24_e32 v19, 7, v19
	v_and_b32_e32 v22, 1, v22
	v_cmp_ne_u32_e32 vcc, 0, v10
	v_cmp_eq_u32_e64 s[0:1], 1, v22
	v_add_u32_e32 v19, v17, v19
	s_and_saveexec_b64 s[2:3], s[0:1]
	s_cbranch_execz .LBB86_19
; %bb.18:
	ds_write_b64 v18, v[3:4]
	ds_write_b64 v19, v[1:2] offset:64
	ds_write_b8 v17, v21 offset:1024
	ds_write_b8 v17, v20 offset:1032
.LBB86_19:
	s_or_b64 exec, exec, s[2:3]
	s_waitcnt lgkmcnt(0)
	s_barrier
	ds_read_b64 v[1:2], v15
	ds_read_b64 v[3:4], v16 offset:32
	ds_read_u8 v21, v14 offset:1024
	ds_read_u8 v22, v14 offset:1028
	v_lshrrev_b32_e32 v10, 3, v10
	s_waitcnt lgkmcnt(2)
	v_cmp_lt_i64_e64 s[0:1], v[1:2], v[3:4]
	s_waitcnt lgkmcnt(1)
	v_and_b32_e32 v20, 1, v21
	v_cmp_eq_u32_e64 s[2:3], 1, v20
	s_waitcnt lgkmcnt(0)
	v_cmp_ne_u16_e64 s[6:7], v22, v10
	v_cndmask_b32_e64 v23, 0, 1, s[6:7]
	v_cndmask_b32_e64 v20, 0, 1, vcc
	s_and_b64 vcc, s[0:1], s[2:3]
	v_cndmask_b32_e32 v23, v23, v20, vcc
	v_and_b32_e32 v23, 1, v23
	v_cmp_eq_u32_e32 vcc, 1, v23
	s_and_saveexec_b64 s[0:1], vcc
	s_cbranch_execz .LBB86_21
; %bb.20:
	ds_write_b64 v15, v[3:4]
	ds_write_b64 v16, v[1:2] offset:32
	ds_write_b8 v14, v22 offset:1024
	ds_write_b8 v14, v21 offset:1028
.LBB86_21:
	s_or_b64 exec, exec, s[0:1]
	s_waitcnt lgkmcnt(0)
	s_barrier
	ds_read_b64 v[1:2], v12
	ds_read_b64 v[3:4], v13 offset:16
	ds_read_u8 v21, v11 offset:1024
	ds_read_u8 v22, v11 offset:1026
	s_waitcnt lgkmcnt(2)
	v_cmp_lt_i64_e32 vcc, v[1:2], v[3:4]
	s_waitcnt lgkmcnt(1)
	v_and_b32_e32 v23, 1, v21
	v_cmp_eq_u32_e64 s[0:1], 1, v23
	s_waitcnt lgkmcnt(0)
	v_cmp_ne_u16_e64 s[2:3], v22, v10
	v_cndmask_b32_e64 v23, 0, 1, s[2:3]
	s_and_b64 vcc, vcc, s[0:1]
	v_cndmask_b32_e32 v23, v23, v20, vcc
	v_and_b32_e32 v23, 1, v23
	v_cmp_eq_u32_e32 vcc, 1, v23
	s_and_saveexec_b64 s[0:1], vcc
	s_cbranch_execz .LBB86_23
; %bb.22:
	ds_write_b64 v12, v[3:4]
	ds_write_b64 v13, v[1:2] offset:16
	ds_write_b8 v11, v22 offset:1024
	ds_write_b8 v11, v21 offset:1026
.LBB86_23:
	s_or_b64 exec, exec, s[0:1]
	s_waitcnt lgkmcnt(0)
	s_barrier
	ds_read2_b64 v[1:4], v6 offset1:1
	ds_read_u8 v21, v8 offset:1024
	ds_read_u8 v22, v7 offset:1025
	s_waitcnt lgkmcnt(2)
	v_cmp_lt_i64_e32 vcc, v[1:2], v[3:4]
	s_waitcnt lgkmcnt(1)
	v_and_b32_e32 v23, 1, v21
	v_cmp_eq_u32_e64 s[0:1], 1, v23
	s_waitcnt lgkmcnt(0)
	v_cmp_ne_u16_e64 s[2:3], v22, v10
	v_cndmask_b32_e64 v10, 0, 1, s[2:3]
	s_and_b64 vcc, vcc, s[0:1]
	v_cndmask_b32_e32 v10, v10, v20, vcc
	v_and_b32_e32 v10, 1, v10
	v_cmp_eq_u32_e32 vcc, 1, v10
	s_and_saveexec_b64 s[0:1], vcc
	s_cbranch_execz .LBB86_25
; %bb.24:
	ds_write_b64 v6, v[3:4]
	ds_write_b64 v9, v[1:2] offset:8
	ds_write_b8 v8, v22 offset:1024
	ds_write_b8 v7, v21 offset:1025
.LBB86_25:
	s_or_b64 exec, exec, s[0:1]
	v_and_b32_e32 v1, 15, v0
	v_sub_u32_e32 v22, v5, v1
	v_add_u32_e32 v20, 8, v22
	v_lshl_add_u32 v21, v22, 3, 8
	v_mad_i32_i24 v3, v22, 7, v20
	s_waitcnt lgkmcnt(0)
	s_barrier
	ds_read_b64 v[1:2], v21
	ds_read_b64 v[3:4], v3 offset:128
	ds_read_u8 v23, v20 offset:1024
	ds_read_u8 v24, v20 offset:1040
	v_bfe_u32 v25, v0, 4, 1
	v_and_b32_e32 v10, 16, v0
	s_waitcnt lgkmcnt(2)
	v_cmp_lt_i64_e64 s[0:1], v[1:2], v[3:4]
	s_waitcnt lgkmcnt(1)
	v_and_b32_e32 v26, 1, v23
	v_cmp_eq_u32_e64 s[2:3], 1, v26
	s_waitcnt lgkmcnt(0)
	v_cmp_ne_u16_e64 s[6:7], v24, v25
	v_cndmask_b32_e64 v26, 0, 1, s[6:7]
	s_and_b64 s[0:1], s[0:1], s[2:3]
	v_cndmask_b32_e64 v25, v26, v25, s[0:1]
	v_mul_i32_i24_e32 v22, 7, v22
	v_and_b32_e32 v25, 1, v25
	v_cmp_ne_u32_e32 vcc, 0, v10
	v_cmp_eq_u32_e64 s[0:1], 1, v25
	v_add_u32_e32 v22, v20, v22
	s_and_saveexec_b64 s[2:3], s[0:1]
	s_cbranch_execz .LBB86_27
; %bb.26:
	ds_write_b64 v21, v[3:4]
	ds_write_b64 v22, v[1:2] offset:128
	ds_write_b8 v20, v24 offset:1024
	ds_write_b8 v20, v23 offset:1040
.LBB86_27:
	s_or_b64 exec, exec, s[2:3]
	s_waitcnt lgkmcnt(0)
	s_barrier
	ds_read_b64 v[1:2], v18
	ds_read_b64 v[3:4], v19 offset:64
	ds_read_u8 v24, v17 offset:1024
	ds_read_u8 v25, v17 offset:1032
	v_lshrrev_b32_e32 v10, 4, v10
	s_waitcnt lgkmcnt(2)
	v_cmp_lt_i64_e64 s[0:1], v[1:2], v[3:4]
	s_waitcnt lgkmcnt(1)
	v_and_b32_e32 v23, 1, v24
	v_cmp_eq_u32_e64 s[2:3], 1, v23
	s_waitcnt lgkmcnt(0)
	v_cmp_ne_u16_e64 s[6:7], v25, v10
	v_cndmask_b32_e64 v26, 0, 1, s[6:7]
	v_cndmask_b32_e64 v23, 0, 1, vcc
	s_and_b64 vcc, s[0:1], s[2:3]
	v_cndmask_b32_e32 v26, v26, v23, vcc
	v_and_b32_e32 v26, 1, v26
	v_cmp_eq_u32_e32 vcc, 1, v26
	s_and_saveexec_b64 s[0:1], vcc
	s_cbranch_execz .LBB86_29
; %bb.28:
	ds_write_b64 v18, v[3:4]
	ds_write_b64 v19, v[1:2] offset:64
	ds_write_b8 v17, v25 offset:1024
	ds_write_b8 v17, v24 offset:1032
.LBB86_29:
	s_or_b64 exec, exec, s[0:1]
	s_waitcnt lgkmcnt(0)
	s_barrier
	ds_read_b64 v[1:2], v15
	ds_read_b64 v[3:4], v16 offset:32
	ds_read_u8 v24, v14 offset:1024
	ds_read_u8 v25, v14 offset:1028
	s_waitcnt lgkmcnt(2)
	v_cmp_lt_i64_e32 vcc, v[1:2], v[3:4]
	s_waitcnt lgkmcnt(1)
	v_and_b32_e32 v26, 1, v24
	v_cmp_eq_u32_e64 s[0:1], 1, v26
	s_waitcnt lgkmcnt(0)
	v_cmp_ne_u16_e64 s[2:3], v25, v10
	v_cndmask_b32_e64 v26, 0, 1, s[2:3]
	s_and_b64 vcc, vcc, s[0:1]
	v_cndmask_b32_e32 v26, v26, v23, vcc
	v_and_b32_e32 v26, 1, v26
	v_cmp_eq_u32_e32 vcc, 1, v26
	s_and_saveexec_b64 s[0:1], vcc
	s_cbranch_execz .LBB86_31
; %bb.30:
	ds_write_b64 v15, v[3:4]
	ds_write_b64 v16, v[1:2] offset:32
	ds_write_b8 v14, v25 offset:1024
	ds_write_b8 v14, v24 offset:1028
.LBB86_31:
	s_or_b64 exec, exec, s[0:1]
	s_waitcnt lgkmcnt(0)
	s_barrier
	ds_read_b64 v[1:2], v12
	ds_read_b64 v[3:4], v13 offset:16
	ds_read_u8 v24, v11 offset:1024
	ds_read_u8 v25, v11 offset:1026
	s_waitcnt lgkmcnt(2)
	v_cmp_lt_i64_e32 vcc, v[1:2], v[3:4]
	s_waitcnt lgkmcnt(1)
	v_and_b32_e32 v26, 1, v24
	v_cmp_eq_u32_e64 s[0:1], 1, v26
	s_waitcnt lgkmcnt(0)
	v_cmp_ne_u16_e64 s[2:3], v25, v10
	v_cndmask_b32_e64 v26, 0, 1, s[2:3]
	s_and_b64 vcc, vcc, s[0:1]
	v_cndmask_b32_e32 v26, v26, v23, vcc
	v_and_b32_e32 v26, 1, v26
	v_cmp_eq_u32_e32 vcc, 1, v26
	s_and_saveexec_b64 s[0:1], vcc
	s_cbranch_execz .LBB86_33
; %bb.32:
	ds_write_b64 v12, v[3:4]
	ds_write_b64 v13, v[1:2] offset:16
	ds_write_b8 v11, v25 offset:1024
	ds_write_b8 v11, v24 offset:1026
.LBB86_33:
	s_or_b64 exec, exec, s[0:1]
	s_waitcnt lgkmcnt(0)
	s_barrier
	ds_read2_b64 v[1:4], v6 offset1:1
	ds_read_u8 v24, v8 offset:1024
	ds_read_u8 v25, v7 offset:1025
	s_waitcnt lgkmcnt(2)
	v_cmp_lt_i64_e32 vcc, v[1:2], v[3:4]
	s_waitcnt lgkmcnt(1)
	v_and_b32_e32 v26, 1, v24
	v_cmp_eq_u32_e64 s[0:1], 1, v26
	s_waitcnt lgkmcnt(0)
	v_cmp_ne_u16_e64 s[2:3], v25, v10
	v_cndmask_b32_e64 v10, 0, 1, s[2:3]
	s_and_b64 vcc, vcc, s[0:1]
	v_cndmask_b32_e32 v10, v10, v23, vcc
	v_and_b32_e32 v10, 1, v10
	v_cmp_eq_u32_e32 vcc, 1, v10
	s_and_saveexec_b64 s[0:1], vcc
	s_cbranch_execz .LBB86_35
; %bb.34:
	ds_write_b64 v6, v[3:4]
	ds_write_b64 v9, v[1:2] offset:8
	ds_write_b8 v8, v25 offset:1024
	ds_write_b8 v7, v24 offset:1025
.LBB86_35:
	s_or_b64 exec, exec, s[0:1]
	v_and_b32_e32 v1, 31, v0
	v_sub_u32_e32 v25, v5, v1
	v_add_u32_e32 v23, 8, v25
	v_lshl_add_u32 v24, v25, 3, 8
	v_mad_i32_i24 v3, v25, 7, v23
	s_waitcnt lgkmcnt(0)
	s_barrier
	ds_read_b64 v[1:2], v24
	ds_read_b64 v[3:4], v3 offset:256
	ds_read_u8 v26, v23 offset:1024
	ds_read_u8 v27, v23 offset:1056
	v_bfe_u32 v28, v0, 5, 1
	v_and_b32_e32 v10, 32, v0
	s_waitcnt lgkmcnt(2)
	v_cmp_lt_i64_e64 s[0:1], v[1:2], v[3:4]
	s_waitcnt lgkmcnt(1)
	v_and_b32_e32 v29, 1, v26
	v_cmp_eq_u32_e64 s[2:3], 1, v29
	s_waitcnt lgkmcnt(0)
	v_cmp_ne_u16_e64 s[6:7], v27, v28
	v_cndmask_b32_e64 v29, 0, 1, s[6:7]
	s_and_b64 s[0:1], s[0:1], s[2:3]
	v_cndmask_b32_e64 v28, v29, v28, s[0:1]
	v_mul_i32_i24_e32 v25, 7, v25
	v_and_b32_e32 v28, 1, v28
	v_cmp_ne_u32_e32 vcc, 0, v10
	v_cmp_eq_u32_e64 s[0:1], 1, v28
	v_add_u32_e32 v25, v23, v25
	s_and_saveexec_b64 s[2:3], s[0:1]
	s_cbranch_execz .LBB86_37
; %bb.36:
	ds_write_b64 v24, v[3:4]
	ds_write_b64 v25, v[1:2] offset:256
	ds_write_b8 v23, v27 offset:1024
	ds_write_b8 v23, v26 offset:1056
.LBB86_37:
	s_or_b64 exec, exec, s[2:3]
	s_waitcnt lgkmcnt(0)
	s_barrier
	ds_read_b64 v[1:2], v21
	ds_read_b64 v[3:4], v22 offset:128
	ds_read_u8 v27, v20 offset:1024
	ds_read_u8 v28, v20 offset:1040
	v_lshrrev_b32_e32 v10, 5, v10
	s_waitcnt lgkmcnt(2)
	v_cmp_lt_i64_e64 s[0:1], v[1:2], v[3:4]
	s_waitcnt lgkmcnt(1)
	v_and_b32_e32 v26, 1, v27
	v_cmp_eq_u32_e64 s[2:3], 1, v26
	s_waitcnt lgkmcnt(0)
	v_cmp_ne_u16_e64 s[6:7], v28, v10
	v_cndmask_b32_e64 v29, 0, 1, s[6:7]
	v_cndmask_b32_e64 v26, 0, 1, vcc
	s_and_b64 vcc, s[0:1], s[2:3]
	v_cndmask_b32_e32 v29, v29, v26, vcc
	v_and_b32_e32 v29, 1, v29
	v_cmp_eq_u32_e32 vcc, 1, v29
	s_and_saveexec_b64 s[0:1], vcc
	s_cbranch_execz .LBB86_39
; %bb.38:
	ds_write_b64 v21, v[3:4]
	ds_write_b64 v22, v[1:2] offset:128
	ds_write_b8 v20, v28 offset:1024
	ds_write_b8 v20, v27 offset:1040
.LBB86_39:
	s_or_b64 exec, exec, s[0:1]
	s_waitcnt lgkmcnt(0)
	s_barrier
	ds_read_b64 v[1:2], v18
	ds_read_b64 v[3:4], v19 offset:64
	ds_read_u8 v27, v17 offset:1024
	ds_read_u8 v28, v17 offset:1032
	s_waitcnt lgkmcnt(2)
	v_cmp_lt_i64_e32 vcc, v[1:2], v[3:4]
	s_waitcnt lgkmcnt(1)
	v_and_b32_e32 v29, 1, v27
	v_cmp_eq_u32_e64 s[0:1], 1, v29
	s_waitcnt lgkmcnt(0)
	v_cmp_ne_u16_e64 s[2:3], v28, v10
	v_cndmask_b32_e64 v29, 0, 1, s[2:3]
	s_and_b64 vcc, vcc, s[0:1]
	v_cndmask_b32_e32 v29, v29, v26, vcc
	v_and_b32_e32 v29, 1, v29
	v_cmp_eq_u32_e32 vcc, 1, v29
	s_and_saveexec_b64 s[0:1], vcc
	s_cbranch_execz .LBB86_41
; %bb.40:
	ds_write_b64 v18, v[3:4]
	ds_write_b64 v19, v[1:2] offset:64
	ds_write_b8 v17, v28 offset:1024
	ds_write_b8 v17, v27 offset:1032
.LBB86_41:
	s_or_b64 exec, exec, s[0:1]
	s_waitcnt lgkmcnt(0)
	s_barrier
	ds_read_b64 v[1:2], v15
	ds_read_b64 v[3:4], v16 offset:32
	ds_read_u8 v27, v14 offset:1024
	ds_read_u8 v28, v14 offset:1028
	s_waitcnt lgkmcnt(2)
	v_cmp_lt_i64_e32 vcc, v[1:2], v[3:4]
	s_waitcnt lgkmcnt(1)
	v_and_b32_e32 v29, 1, v27
	v_cmp_eq_u32_e64 s[0:1], 1, v29
	s_waitcnt lgkmcnt(0)
	v_cmp_ne_u16_e64 s[2:3], v28, v10
	v_cndmask_b32_e64 v29, 0, 1, s[2:3]
	s_and_b64 vcc, vcc, s[0:1]
	;; [unrolled: 27-line block ×3, first 2 shown]
	v_cndmask_b32_e32 v29, v29, v26, vcc
	v_and_b32_e32 v29, 1, v29
	v_cmp_eq_u32_e32 vcc, 1, v29
	s_and_saveexec_b64 s[0:1], vcc
	s_cbranch_execz .LBB86_45
; %bb.44:
	ds_write_b64 v12, v[3:4]
	ds_write_b64 v13, v[1:2] offset:16
	ds_write_b8 v11, v28 offset:1024
	ds_write_b8 v11, v27 offset:1026
.LBB86_45:
	s_or_b64 exec, exec, s[0:1]
	s_waitcnt lgkmcnt(0)
	s_barrier
	ds_read2_b64 v[1:4], v6 offset1:1
	ds_read_u8 v27, v8 offset:1024
	ds_read_u8 v28, v7 offset:1025
	s_waitcnt lgkmcnt(2)
	v_cmp_lt_i64_e32 vcc, v[1:2], v[3:4]
	s_waitcnt lgkmcnt(1)
	v_and_b32_e32 v29, 1, v27
	v_cmp_eq_u32_e64 s[0:1], 1, v29
	s_waitcnt lgkmcnt(0)
	v_cmp_ne_u16_e64 s[2:3], v28, v10
	v_cndmask_b32_e64 v10, 0, 1, s[2:3]
	s_and_b64 vcc, vcc, s[0:1]
	v_cndmask_b32_e32 v10, v10, v26, vcc
	v_and_b32_e32 v10, 1, v10
	v_cmp_eq_u32_e32 vcc, 1, v10
	s_and_saveexec_b64 s[0:1], vcc
	s_cbranch_execz .LBB86_47
; %bb.46:
	ds_write_b64 v6, v[3:4]
	ds_write_b64 v9, v[1:2] offset:8
	ds_write_b8 v8, v28 offset:1024
	ds_write_b8 v7, v27 offset:1025
.LBB86_47:
	s_or_b64 exec, exec, s[0:1]
	v_and_b32_e32 v10, 63, v0
	v_sub_u32_e32 v29, v5, v10
	v_add_u32_e32 v26, 8, v29
	v_lshl_add_u32 v28, v29, 3, 8
	v_mad_i32_i24 v3, v29, 7, v26
	s_waitcnt lgkmcnt(0)
	s_barrier
	ds_read_b64 v[1:2], v28
	ds_read_b64 v[3:4], v3 offset:512
	ds_read_u8 v30, v26 offset:1024
	ds_read_u8 v31, v26 offset:1088
	s_waitcnt lgkmcnt(2)
	v_cmp_ge_i64_e32 vcc, v[1:2], v[3:4]
	s_waitcnt lgkmcnt(1)
	v_and_b32_e32 v27, 1, v30
	v_cmp_eq_u32_e64 s[0:1], 1, v27
	s_xor_b64 s[0:1], s[0:1], -1
	v_mov_b32_e32 v27, 0
	s_or_b64 s[0:1], vcc, s[0:1]
	s_waitcnt lgkmcnt(0)
	v_cmp_ne_u16_sdwa s[2:3], v31, v27 src0_sel:BYTE_0 src1_sel:DWORD
	s_and_b64 s[2:3], s[0:1], s[2:3]
	s_and_saveexec_b64 s[0:1], s[2:3]
	s_cbranch_execz .LBB86_49
; %bb.48:
	v_mul_i32_i24_e32 v29, 7, v29
	ds_write_b64 v28, v[3:4]
	v_add_u32_e32 v3, v26, v29
	ds_write_b64 v3, v[1:2] offset:512
	v_mov_b32_e32 v1, 1
	ds_write_b8 v26, v1 offset:1024
	ds_write_b8 v26, v30 offset:1088
.LBB86_49:
	s_or_b64 exec, exec, s[0:1]
	s_waitcnt lgkmcnt(0)
	s_barrier
	ds_read_b64 v[1:2], v24
	ds_read_b64 v[3:4], v25 offset:256
	ds_read_u8 v26, v23 offset:1024
	ds_read_u8 v28, v23 offset:1056
	s_waitcnt lgkmcnt(2)
	v_cmp_ge_i64_e32 vcc, v[1:2], v[3:4]
	s_waitcnt lgkmcnt(1)
	v_and_b32_e32 v29, 1, v26
	v_cmp_eq_u32_e64 s[0:1], 1, v29
	s_xor_b64 s[0:1], s[0:1], -1
	s_or_b64 s[0:1], vcc, s[0:1]
	s_waitcnt lgkmcnt(0)
	v_cmp_ne_u16_sdwa s[2:3], v28, v27 src0_sel:BYTE_0 src1_sel:DWORD
	s_and_b64 s[2:3], s[0:1], s[2:3]
	s_and_saveexec_b64 s[0:1], s[2:3]
	s_cbranch_execz .LBB86_51
; %bb.50:
	ds_write_b64 v24, v[3:4]
	ds_write_b64 v25, v[1:2] offset:256
	v_mov_b32_e32 v1, 1
	ds_write_b8 v23, v1 offset:1024
	ds_write_b8 v23, v26 offset:1056
.LBB86_51:
	s_or_b64 exec, exec, s[0:1]
	s_waitcnt lgkmcnt(0)
	s_barrier
	ds_read_b64 v[1:2], v21
	ds_read_b64 v[3:4], v22 offset:128
	ds_read_u8 v24, v20 offset:1024
	ds_read_u8 v25, v20 offset:1040
	s_waitcnt lgkmcnt(2)
	v_cmp_ge_i64_e32 vcc, v[1:2], v[3:4]
	s_waitcnt lgkmcnt(1)
	v_and_b32_e32 v23, 1, v24
	v_cmp_eq_u32_e64 s[0:1], 1, v23
	s_xor_b64 s[0:1], s[0:1], -1
	v_mov_b32_e32 v23, 0
	s_or_b64 s[0:1], vcc, s[0:1]
	s_waitcnt lgkmcnt(0)
	v_cmp_ne_u16_sdwa s[2:3], v25, v23 src0_sel:BYTE_0 src1_sel:DWORD
	s_and_b64 s[2:3], s[0:1], s[2:3]
	s_and_saveexec_b64 s[0:1], s[2:3]
	s_cbranch_execz .LBB86_53
; %bb.52:
	ds_write_b64 v21, v[3:4]
	ds_write_b64 v22, v[1:2] offset:128
	v_mov_b32_e32 v1, 1
	ds_write_b8 v20, v1 offset:1024
	ds_write_b8 v20, v24 offset:1040
.LBB86_53:
	s_or_b64 exec, exec, s[0:1]
	s_waitcnt lgkmcnt(0)
	s_barrier
	ds_read_b64 v[1:2], v18
	ds_read_b64 v[3:4], v19 offset:64
	ds_read_u8 v20, v17 offset:1024
	ds_read_u8 v21, v17 offset:1032
	s_waitcnt lgkmcnt(2)
	v_cmp_ge_i64_e32 vcc, v[1:2], v[3:4]
	s_waitcnt lgkmcnt(1)
	v_and_b32_e32 v22, 1, v20
	v_cmp_eq_u32_e64 s[0:1], 1, v22
	s_xor_b64 s[0:1], s[0:1], -1
	s_or_b64 s[0:1], vcc, s[0:1]
	s_waitcnt lgkmcnt(0)
	v_cmp_ne_u16_sdwa s[2:3], v21, v23 src0_sel:BYTE_0 src1_sel:DWORD
	s_and_b64 s[2:3], s[0:1], s[2:3]
	s_and_saveexec_b64 s[0:1], s[2:3]
	s_cbranch_execz .LBB86_55
; %bb.54:
	ds_write_b64 v18, v[3:4]
	ds_write_b64 v19, v[1:2] offset:64
	v_mov_b32_e32 v1, 1
	ds_write_b8 v17, v1 offset:1024
	ds_write_b8 v17, v20 offset:1032
.LBB86_55:
	s_or_b64 exec, exec, s[0:1]
	s_waitcnt lgkmcnt(0)
	s_barrier
	ds_read_b64 v[1:2], v15
	ds_read_b64 v[3:4], v16 offset:32
	ds_read_u8 v18, v14 offset:1024
	ds_read_u8 v19, v14 offset:1028
	s_waitcnt lgkmcnt(2)
	v_cmp_ge_i64_e32 vcc, v[1:2], v[3:4]
	s_waitcnt lgkmcnt(1)
	v_and_b32_e32 v17, 1, v18
	v_cmp_eq_u32_e64 s[0:1], 1, v17
	s_xor_b64 s[0:1], s[0:1], -1
	v_mov_b32_e32 v17, 0
	s_or_b64 s[0:1], vcc, s[0:1]
	s_waitcnt lgkmcnt(0)
	v_cmp_ne_u16_sdwa s[2:3], v19, v17 src0_sel:BYTE_0 src1_sel:DWORD
	s_and_b64 s[2:3], s[0:1], s[2:3]
	s_and_saveexec_b64 s[0:1], s[2:3]
	s_cbranch_execz .LBB86_57
; %bb.56:
	ds_write_b64 v15, v[3:4]
	ds_write_b64 v16, v[1:2] offset:32
	v_mov_b32_e32 v1, 1
	ds_write_b8 v14, v1 offset:1024
	ds_write_b8 v14, v18 offset:1028
.LBB86_57:
	s_or_b64 exec, exec, s[0:1]
	s_waitcnt lgkmcnt(0)
	s_barrier
	ds_read_b64 v[1:2], v12
	ds_read_b64 v[3:4], v13 offset:16
	ds_read_u8 v14, v11 offset:1024
	ds_read_u8 v15, v11 offset:1026
	s_waitcnt lgkmcnt(2)
	v_cmp_ge_i64_e32 vcc, v[1:2], v[3:4]
	s_waitcnt lgkmcnt(1)
	v_and_b32_e32 v16, 1, v14
	v_cmp_eq_u32_e64 s[0:1], 1, v16
	s_xor_b64 s[0:1], s[0:1], -1
	s_or_b64 s[0:1], vcc, s[0:1]
	s_waitcnt lgkmcnt(0)
	v_cmp_ne_u16_sdwa s[2:3], v15, v17 src0_sel:BYTE_0 src1_sel:DWORD
	s_and_b64 s[2:3], s[0:1], s[2:3]
	s_and_saveexec_b64 s[0:1], s[2:3]
	s_cbranch_execz .LBB86_59
; %bb.58:
	ds_write_b64 v12, v[3:4]
	ds_write_b64 v13, v[1:2] offset:16
	v_mov_b32_e32 v1, 1
	ds_write_b8 v11, v1 offset:1024
	ds_write_b8 v11, v14 offset:1026
.LBB86_59:
	s_or_b64 exec, exec, s[0:1]
	s_waitcnt lgkmcnt(0)
	s_barrier
	ds_read2_b64 v[1:4], v6 offset1:1
	ds_read_u8 v11, v8 offset:1024
	ds_read_u8 v12, v7 offset:1025
	s_waitcnt lgkmcnt(2)
	v_cmp_ge_i64_e32 vcc, v[1:2], v[3:4]
	s_waitcnt lgkmcnt(1)
	v_and_b32_e32 v13, 1, v11
	v_cmp_eq_u32_e64 s[0:1], 1, v13
	s_xor_b64 s[0:1], s[0:1], -1
	v_mov_b32_e32 v13, 0
	s_or_b64 s[0:1], vcc, s[0:1]
	s_waitcnt lgkmcnt(0)
	v_cmp_ne_u16_sdwa s[2:3], v12, v13 src0_sel:BYTE_0 src1_sel:DWORD
	s_and_b64 s[2:3], s[0:1], s[2:3]
	s_and_saveexec_b64 s[0:1], s[2:3]
	s_cbranch_execz .LBB86_61
; %bb.60:
	ds_write_b64 v6, v[3:4]
	ds_write_b64 v9, v[1:2] offset:8
	v_mov_b32_e32 v1, 1
	ds_write_b8 v8, v1 offset:1024
	ds_write_b8 v7, v11 offset:1025
.LBB86_61:
	s_or_b64 exec, exec, s[0:1]
	v_mul_u32_u24_e32 v8, 14, v0
	v_cmp_eq_u32_e32 vcc, 0, v0
	s_waitcnt lgkmcnt(0)
	s_barrier
	s_barrier
	s_and_saveexec_b64 s[0:1], vcc
	s_cbranch_execz .LBB86_63
; %bb.62:
	v_mov_b32_e32 v1, 1
	v_mov_b32_e32 v2, 8
	ds_write_b8 v2, v1 offset:1028
	v_mov_b32_e32 v1, 0
	ds_write_b32 v2, v1 offset:1024
.LBB86_63:
	s_or_b64 exec, exec, s[0:1]
	ds_read2_b64 v[1:4], v6 offset1:1
	v_add_u32_e32 v6, v7, v8
	v_cmp_gt_u32_e64 s[2:3], 63, v0
	s_waitcnt lgkmcnt(0)
	v_cmp_ne_u64_e64 s[0:1], v[1:2], v[3:4]
	v_cndmask_b32_e64 v7, 0, 1, s[0:1]
	v_cmp_eq_u64_e64 s[0:1], v[1:2], v[3:4]
	v_cndmask_b32_e64 v1, 0, 1, s[0:1]
	ds_write_b8 v6, v7 offset:1036
	ds_write_b32 v6, v1 offset:1032
	s_and_saveexec_b64 s[6:7], s[2:3]
	s_cbranch_execz .LBB86_65
; %bb.64:
	ds_read_b64 v[1:2], v6 offset:16
	s_waitcnt lgkmcnt(0)
	v_cmp_ne_u64_e64 s[0:1], v[3:4], v[1:2]
	v_cndmask_b32_e64 v7, 0, 1, s[0:1]
	v_cmp_eq_u64_e64 s[0:1], v[3:4], v[1:2]
	v_cndmask_b32_e64 v1, 0, 1, s[0:1]
	ds_write_b8 v6, v7 offset:1044
	ds_write_b32 v6, v1 offset:1040
.LBB86_65:
	s_or_b64 exec, exec, s[6:7]
	v_cmp_gt_u32_e64 s[0:1], 64, v0
	s_waitcnt lgkmcnt(0)
	s_barrier
	s_and_saveexec_b64 s[8:9], s[0:1]
	s_cbranch_execz .LBB86_67
; %bb.66:
	ds_read_u8 v3, v6 offset:1036
	v_add_u32_e32 v1, 0x400, v6
	ds_read2_b32 v[1:2], v1 offset1:2
	ds_read_u8 v4, v6 offset:1028
	v_add_u32_e32 v7, 0x408, v6
	s_waitcnt lgkmcnt(2)
	v_and_b32_e32 v8, 1, v3
	v_cmp_eq_u32_e64 s[6:7], 1, v8
	s_waitcnt lgkmcnt(1)
	v_cndmask_b32_e64 v1, v1, 0, s[6:7]
	v_add_u32_e32 v1, v1, v2
	s_waitcnt lgkmcnt(0)
	v_or_b32_e32 v2, v4, v3
	v_and_b32_e32 v2, 1, v2
	ds_write2_b32 v7, v1, v2 offset1:1
.LBB86_67:
	s_or_b64 exec, exec, s[8:9]
	v_add_u32_e32 v7, 2, v5
	v_lshlrev_b32_e32 v1, 1, v7
	v_cmp_gt_u32_e64 s[6:7], 32, v0
	v_lshl_add_u32 v1, v1, 3, 8
	s_waitcnt lgkmcnt(0)
	s_barrier
	s_and_saveexec_b64 s[8:9], s[6:7]
	s_cbranch_execz .LBB86_69
; %bb.68:
	ds_read_u8 v4, v1 offset:1020
	ds_read_u8 v8, v1 offset:1004
	ds_read2_b32 v[2:3], v1 offset0:250 offset1:254
	s_waitcnt lgkmcnt(2)
	v_and_b32_e32 v9, 1, v4
	v_cmp_eq_u32_e64 s[6:7], 1, v9
	s_waitcnt lgkmcnt(1)
	v_or_b32_e32 v4, v8, v4
	s_waitcnt lgkmcnt(0)
	v_cndmask_b32_e64 v2, v2, 0, s[6:7]
	v_add_u32_e32 v2, v2, v3
	v_and_b32_e32 v3, 1, v4
	ds_write2_b32 v1, v2, v3 offset0:254 offset1:255
.LBB86_69:
	s_or_b64 exec, exec, s[8:9]
	v_lshlrev_b32_e32 v2, 2, v7
	v_cmp_gt_u32_e64 s[6:7], 16, v0
	v_lshl_add_u32 v2, v2, 3, 8
	s_waitcnt lgkmcnt(0)
	s_barrier
	s_and_saveexec_b64 s[8:9], s[6:7]
	s_cbranch_execz .LBB86_71
; %bb.70:
	ds_read_u8 v8, v2 offset:1020
	ds_read_u8 v9, v2 offset:988
	ds_read2_b32 v[3:4], v2 offset0:246 offset1:254
	s_waitcnt lgkmcnt(2)
	v_and_b32_e32 v11, 1, v8
	v_cmp_eq_u32_e64 s[6:7], 1, v11
	s_waitcnt lgkmcnt(1)
	v_or_b32_e32 v8, v9, v8
	s_waitcnt lgkmcnt(0)
	v_cndmask_b32_e64 v3, v3, 0, s[6:7]
	v_add_u32_e32 v3, v3, v4
	v_and_b32_e32 v4, 1, v8
	ds_write2_b32 v2, v3, v4 offset0:254 offset1:255
.LBB86_71:
	s_or_b64 exec, exec, s[8:9]
	v_lshlrev_b32_e32 v3, 3, v7
	v_cmp_gt_u32_e64 s[6:7], 8, v0
	v_lshl_add_u32 v3, v3, 3, 8
	s_waitcnt lgkmcnt(0)
	s_barrier
	s_and_saveexec_b64 s[8:9], s[6:7]
	s_cbranch_execz .LBB86_73
; %bb.72:
	ds_read_u8 v4, v3 offset:1020
	ds_read_u8 v11, v3 offset:956
	ds_read2_b32 v[8:9], v3 offset0:238 offset1:254
	s_waitcnt lgkmcnt(2)
	v_and_b32_e32 v12, 1, v4
	v_cmp_eq_u32_e64 s[6:7], 1, v12
	s_waitcnt lgkmcnt(1)
	v_or_b32_e32 v4, v11, v4
	s_waitcnt lgkmcnt(0)
	v_cndmask_b32_e64 v8, v8, 0, s[6:7]
	v_add_u32_e32 v8, v8, v9
	v_and_b32_e32 v4, 1, v4
	ds_write2_b32 v3, v8, v4 offset0:254 offset1:255
.LBB86_73:
	s_or_b64 exec, exec, s[8:9]
	v_lshlrev_b32_e32 v4, 4, v7
	v_cmp_gt_u32_e64 s[6:7], 4, v0
	v_lshl_add_u32 v4, v4, 3, 8
	s_waitcnt lgkmcnt(0)
	s_barrier
	s_and_saveexec_b64 s[8:9], s[6:7]
	s_cbranch_execz .LBB86_75
; %bb.74:
	ds_read_u8 v11, v4 offset:1020
	ds_read_u8 v12, v4 offset:892
	ds_read2_b32 v[8:9], v4 offset0:222 offset1:254
	s_waitcnt lgkmcnt(2)
	v_and_b32_e32 v13, 1, v11
	v_cmp_eq_u32_e64 s[6:7], 1, v13
	s_waitcnt lgkmcnt(1)
	v_or_b32_e32 v11, v12, v11
	s_waitcnt lgkmcnt(0)
	v_cndmask_b32_e64 v8, v8, 0, s[6:7]
	v_add_u32_e32 v8, v8, v9
	v_and_b32_e32 v9, 1, v11
	ds_write2_b32 v4, v8, v9 offset0:254 offset1:255
.LBB86_75:
	s_or_b64 exec, exec, s[8:9]
	v_lshlrev_b32_e32 v7, 5, v7
	v_cmp_gt_u32_e64 s[6:7], 2, v0
	v_lshl_add_u32 v7, v7, 3, 8
	s_waitcnt lgkmcnt(0)
	s_barrier
	s_and_saveexec_b64 s[8:9], s[6:7]
	s_cbranch_execz .LBB86_77
; %bb.76:
	ds_read_u8 v11, v7 offset:1020
	ds_read_u8 v12, v7 offset:764
	ds_read2_b32 v[8:9], v7 offset0:190 offset1:254
	s_waitcnt lgkmcnt(2)
	v_and_b32_e32 v13, 1, v11
	v_cmp_eq_u32_e64 s[6:7], 1, v13
	s_waitcnt lgkmcnt(1)
	v_or_b32_e32 v11, v12, v11
	s_waitcnt lgkmcnt(0)
	v_cndmask_b32_e64 v8, v8, 0, s[6:7]
	v_add_u32_e32 v8, v8, v9
	v_and_b32_e32 v9, 1, v11
	ds_write2_b32 v7, v8, v9 offset0:254 offset1:255
.LBB86_77:
	s_or_b64 exec, exec, s[8:9]
	s_waitcnt lgkmcnt(0)
	s_barrier
	s_and_saveexec_b64 s[8:9], vcc
	s_cbranch_execz .LBB86_79
; %bb.78:
	v_mov_b32_e32 v8, 8
	ds_read_u8 v9, v8 offset:2044
	ds_read_b32 v11, v8 offset:1528
	ds_read_b32 v12, v8 offset:2040
	ds_read_u8 v8, v8 offset:1532
	s_add_i32 s10, 8, 0x7f8
	s_waitcnt lgkmcnt(3)
	v_and_b32_e32 v13, 1, v9
	v_cmp_eq_u32_e64 s[6:7], 1, v13
	s_waitcnt lgkmcnt(2)
	v_cndmask_b32_e64 v11, v11, 0, s[6:7]
	s_waitcnt lgkmcnt(0)
	v_or_b32_e32 v8, v8, v9
	v_add_u32_e32 v11, v11, v12
	v_and_b32_e32 v8, 1, v8
	v_mov_b32_e32 v9, s10
	ds_write2_b32 v9, v11, v8 offset1:1
.LBB86_79:
	s_or_b64 exec, exec, s[8:9]
	s_waitcnt lgkmcnt(0)
	s_barrier
	s_and_saveexec_b64 s[8:9], vcc
	s_cbranch_execz .LBB86_81
; %bb.80:
	ds_read_u8 v11, v7 offset:1276
	v_add_u32_e32 v8, 0xf8, v7
	ds_read2st64_b32 v[8:9], v8 offset0:3 offset1:4
	v_add_u32_e32 v12, 0x4f8, v7
	ds_read_u8 v7, v7 offset:1020
	s_waitcnt lgkmcnt(2)
	v_and_b32_e32 v13, 1, v11
	v_cmp_eq_u32_e64 s[6:7], 1, v13
	s_waitcnt lgkmcnt(1)
	v_cndmask_b32_e64 v8, v8, 0, s[6:7]
	v_add_u32_e32 v8, v8, v9
	s_waitcnt lgkmcnt(0)
	v_or_b32_e32 v7, v7, v11
	v_and_b32_e32 v7, 1, v7
	ds_write2_b32 v12, v8, v7 offset1:1
.LBB86_81:
	s_or_b64 exec, exec, s[8:9]
	v_cmp_gt_u32_e64 s[6:7], 3, v0
	s_waitcnt lgkmcnt(0)
	s_barrier
	s_and_saveexec_b64 s[8:9], s[6:7]
	s_cbranch_execz .LBB86_83
; %bb.82:
	ds_read_u8 v9, v4 offset:1148
	v_add_u32_e32 v7, 0x200, v4
	ds_read2_b32 v[7:8], v7 offset0:126 offset1:158
	v_add_u32_e32 v11, 0x478, v4
	ds_read_u8 v4, v4 offset:1020
	s_waitcnt lgkmcnt(2)
	v_and_b32_e32 v12, 1, v9
	v_cmp_eq_u32_e64 s[6:7], 1, v12
	s_waitcnt lgkmcnt(1)
	v_cndmask_b32_e64 v7, v7, 0, s[6:7]
	v_add_u32_e32 v7, v7, v8
	s_waitcnt lgkmcnt(0)
	v_or_b32_e32 v4, v4, v9
	v_and_b32_e32 v4, 1, v4
	ds_write2_b32 v11, v7, v4 offset1:1
.LBB86_83:
	s_or_b64 exec, exec, s[8:9]
	v_cmp_gt_u32_e64 s[6:7], 7, v0
	s_waitcnt lgkmcnt(0)
	s_barrier
	s_and_saveexec_b64 s[8:9], s[6:7]
	s_cbranch_execz .LBB86_85
; %bb.84:
	ds_read_u8 v4, v3 offset:1084
	v_add_u32_e32 v7, 0x200, v3
	ds_read2_b32 v[7:8], v7 offset0:126 offset1:142
	v_add_u32_e32 v9, 0x438, v3
	ds_read_u8 v3, v3 offset:1020
	s_waitcnt lgkmcnt(2)
	v_and_b32_e32 v11, 1, v4
	v_cmp_eq_u32_e64 s[6:7], 1, v11
	s_waitcnt lgkmcnt(1)
	v_cndmask_b32_e64 v7, v7, 0, s[6:7]
	v_add_u32_e32 v7, v7, v8
	s_waitcnt lgkmcnt(0)
	v_or_b32_e32 v3, v3, v4
	v_and_b32_e32 v3, 1, v3
	ds_write2_b32 v9, v7, v3 offset1:1
.LBB86_85:
	s_or_b64 exec, exec, s[8:9]
	v_cmp_gt_u32_e64 s[6:7], 15, v0
	s_waitcnt lgkmcnt(0)
	s_barrier
	s_and_saveexec_b64 s[8:9], s[6:7]
	s_cbranch_execz .LBB86_87
; %bb.86:
	ds_read_u8 v7, v2 offset:1052
	v_add_u32_e32 v3, 0x200, v2
	ds_read2_b32 v[3:4], v3 offset0:126 offset1:134
	ds_read_u8 v8, v2 offset:1020
	v_add_u32_e32 v2, 0x418, v2
	s_waitcnt lgkmcnt(2)
	v_and_b32_e32 v9, 1, v7
	v_cmp_eq_u32_e64 s[6:7], 1, v9
	s_waitcnt lgkmcnt(1)
	v_cndmask_b32_e64 v3, v3, 0, s[6:7]
	v_add_u32_e32 v3, v3, v4
	s_waitcnt lgkmcnt(0)
	v_or_b32_e32 v4, v8, v7
	v_and_b32_e32 v4, 1, v4
	ds_write2_b32 v2, v3, v4 offset1:1
.LBB86_87:
	s_or_b64 exec, exec, s[8:9]
	v_cmp_gt_u32_e64 s[6:7], 31, v0
	s_waitcnt lgkmcnt(0)
	s_barrier
	s_and_saveexec_b64 s[8:9], s[6:7]
	s_cbranch_execz .LBB86_89
; %bb.88:
	ds_read_u8 v4, v1 offset:1036
	v_add_u32_e32 v2, 0x200, v1
	ds_read2_b32 v[2:3], v2 offset0:126 offset1:130
	ds_read_u8 v7, v1 offset:1020
	v_add_u32_e32 v1, 0x408, v1
	s_waitcnt lgkmcnt(2)
	v_and_b32_e32 v8, 1, v4
	v_cmp_eq_u32_e64 s[6:7], 1, v8
	s_waitcnt lgkmcnt(1)
	v_cndmask_b32_e64 v2, v2, 0, s[6:7]
	v_add_u32_e32 v2, v2, v3
	s_waitcnt lgkmcnt(0)
	v_or_b32_e32 v3, v7, v4
	v_and_b32_e32 v3, 1, v3
	ds_write2_b32 v1, v2, v3 offset1:1
.LBB86_89:
	s_or_b64 exec, exec, s[8:9]
	v_lshl_add_u32 v1, v5, 3, 8
	s_waitcnt lgkmcnt(0)
	s_barrier
	s_and_saveexec_b64 s[6:7], s[2:3]
	s_cbranch_execz .LBB86_91
; %bb.90:
	ds_read_u8 v2, v1 offset:1044
	ds_read_b32 v4, v6 offset:1032
	ds_read_b32 v7, v1 offset:1040
	ds_read_u8 v8, v6 offset:1036
	v_add_u32_e32 v3, 0x410, v1
	s_waitcnt lgkmcnt(3)
	v_and_b32_e32 v9, 1, v2
	v_cmp_eq_u32_e64 s[2:3], 1, v9
	s_waitcnt lgkmcnt(2)
	v_cndmask_b32_e64 v4, v4, 0, s[2:3]
	s_waitcnt lgkmcnt(0)
	v_or_b32_e32 v2, v8, v2
	v_add_u32_e32 v4, v4, v7
	v_and_b32_e32 v2, 1, v2
	ds_write2_b32 v3, v4, v2 offset1:1
.LBB86_91:
	s_or_b64 exec, exec, s[6:7]
	s_waitcnt lgkmcnt(0)
	s_barrier
	ds_read_b32 v2, v1 offset:1024
	ds_read_b32 v3, v6 offset:1032
	v_or_b32_e32 v1, 1, v5
	v_cmp_gt_u32_e64 s[6:7], s16, v1
	v_cmp_gt_u32_e64 s[2:3], s16, v5
	s_waitcnt lgkmcnt(1)
	v_cndmask_b32_e64 v2, 0, v2, s[2:3]
	s_waitcnt lgkmcnt(0)
	v_cndmask_b32_e64 v6, 0, v3, s[6:7]
	v_mbcnt_lo_u32_b32 v3, -1, 0
	v_mbcnt_hi_u32_b32 v11, -1, v3
	v_mov_b32_e32 v3, 0x80
	v_cndmask_b32_e64 v4, 0, v5, s[2:3]
	v_cndmask_b32_e64 v7, 0, v1, s[6:7]
	v_max_u32_e32 v8, v6, v2
	v_lshl_or_b32 v3, v11, 2, v3
	v_cmp_gt_u32_e64 s[8:9], v6, v2
	ds_bpermute_b32 v9, v3, v8
	v_cndmask_b32_e64 v2, v4, v7, s[8:9]
	ds_bpermute_b32 v6, v3, v2
	v_and_b32_e32 v12, 63, v11
	v_cmp_gt_u32_e64 s[8:9], 48, v12
	v_cndmask_b32_e64 v4, 0, 16, s[8:9]
	s_waitcnt lgkmcnt(1)
	v_max_u32_e32 v13, v9, v8
	v_add_lshl_u32 v4, v4, v11, 2
	v_cmp_gt_u32_e64 s[8:9], v9, v8
	ds_bpermute_b32 v14, v4, v13
	s_waitcnt lgkmcnt(1)
	v_cndmask_b32_e64 v2, v2, v6, s[8:9]
	ds_bpermute_b32 v6, v4, v2
	v_cmp_gt_u32_e64 s[8:9], 56, v12
	v_cndmask_b32_e64 v7, 0, 8, s[8:9]
	s_waitcnt lgkmcnt(1)
	v_max_u32_e32 v9, v14, v13
	v_add_lshl_u32 v7, v7, v11, 2
	v_cmp_gt_u32_e64 s[8:9], v14, v13
	ds_bpermute_b32 v15, v7, v9
	s_waitcnt lgkmcnt(1)
	v_cndmask_b32_e64 v2, v2, v6, s[8:9]
	ds_bpermute_b32 v6, v7, v2
	;; [unrolled: 10-line block ×4, first 2 shown]
	s_waitcnt lgkmcnt(0)
	s_barrier
	v_cmp_gt_u32_e64 s[8:9], v16, v15
	v_max_u32_e32 v2, v16, v15
	v_cndmask_b32_e64 v6, v6, v13, s[8:9]
	v_cmp_ne_u32_e64 s[8:9], 63, v12
	v_addc_co_u32_e64 v11, s[8:9], 0, v11, s[8:9]
	v_lshlrev_b32_e32 v11, 2, v11
	ds_bpermute_b32 v12, v11, v6
	ds_bpermute_b32 v13, v11, v2
	v_cmp_eq_u32_e64 s[8:9], 0, v10
	s_waitcnt lgkmcnt(0)
	s_barrier
	s_and_saveexec_b64 s[12:13], s[8:9]
	s_cbranch_execz .LBB86_93
; %bb.92:
	v_lshrrev_b32_e32 v14, 3, v0
	v_add_u32_e32 v14, 8, v14
	v_cmp_gt_u32_e64 s[10:11], v13, v2
	v_add_u32_e32 v14, 0x400, v14
	v_cndmask_b32_e64 v6, v6, v12, s[10:11]
	v_max_u32_e32 v2, v13, v2
	ds_write2_b32 v14, v2, v6 offset1:1
.LBB86_93:
	s_or_b64 exec, exec, s[12:13]
	s_lshr_b32 s10, s18, 6
	v_cmp_gt_u32_e64 s[10:11], s10, v0
	v_lshl_add_u32 v12, v10, 3, 8
	v_mov_b32_e32 v2, 0
	v_mov_b32_e32 v6, 0
	s_waitcnt lgkmcnt(0)
	s_barrier
	s_and_saveexec_b64 s[12:13], s[10:11]
	s_cbranch_execnz .LBB86_108
; %bb.94:
	s_or_b64 exec, exec, s[12:13]
	s_and_saveexec_b64 s[12:13], s[10:11]
	s_cbranch_execnz .LBB86_109
.LBB86_95:
	s_or_b64 exec, exec, s[12:13]
	s_and_saveexec_b64 s[18:19], s[0:1]
	s_cbranch_execnz .LBB86_110
.LBB86_96:
	s_or_b64 exec, exec, s[18:19]
	s_and_saveexec_b64 s[12:13], vcc
	s_cbranch_execz .LBB86_98
.LBB86_97:
	s_waitcnt lgkmcnt(0)
	v_lshl_add_u32 v2, v2, 3, 8
	ds_read_b64 v[13:14], v2
	v_mov_b32_e32 v2, 0
	s_waitcnt lgkmcnt(0)
	ds_write_b64 v2, v[13:14]
.LBB86_98:
	s_or_b64 exec, exec, s[12:13]
	s_waitcnt lgkmcnt(0)
	v_mov_b32_e32 v6, 0
	v_cmp_gt_i64_e64 s[12:13], s[16:17], v[5:6]
	v_mov_b32_e32 v13, 0
	s_barrier
	s_and_saveexec_b64 s[18:19], s[12:13]
	s_cbranch_execz .LBB86_100
; %bb.99:
	v_add_u32_e32 v13, s21, v5
	v_mov_b32_e32 v14, 0
	v_lshlrev_b64 v[15:16], 3, v[13:14]
	v_mov_b32_e32 v2, s15
	v_add_co_u32_e64 v15, s[12:13], s14, v15
	v_addc_co_u32_e64 v16, s[12:13], v2, v16, s[12:13]
	global_load_dwordx2 v[15:16], v[15:16], off
	ds_read_b64 v[13:14], v14
	s_waitcnt vmcnt(0) lgkmcnt(0)
	v_cmp_eq_u64_e64 s[12:13], v[15:16], v[13:14]
	v_cndmask_b32_e64 v13, 0, v5, s[12:13]
.LBB86_100:
	s_or_b64 exec, exec, s[18:19]
	v_mov_b32_e32 v2, v6
	v_cmp_gt_i64_e64 s[12:13], s[16:17], v[1:2]
	s_and_saveexec_b64 s[16:17], s[12:13]
	s_cbranch_execz .LBB86_102
; %bb.101:
	v_add_u32_e32 v5, s21, v1
	v_mov_b32_e32 v6, 0
	v_lshlrev_b64 v[14:15], 3, v[5:6]
	v_mov_b32_e32 v2, s15
	v_add_co_u32_e64 v14, s[12:13], s14, v14
	v_addc_co_u32_e64 v15, s[12:13], v2, v15, s[12:13]
	global_load_dwordx2 v[14:15], v[14:15], off
	ds_read_b64 v[5:6], v6
	s_waitcnt vmcnt(0) lgkmcnt(0)
	v_cmp_eq_u64_e64 s[12:13], v[14:15], v[5:6]
	v_cndmask_b32_e64 v6, 0, v1, s[12:13]
.LBB86_102:
	s_or_b64 exec, exec, s[16:17]
	v_cndmask_b32_e64 v1, 0, v13, s[2:3]
	v_max_u32_e32 v2, v6, v1
	v_cndmask_b32_e64 v1, v1, v2, s[6:7]
	ds_bpermute_b32 v2, v3, v1
	s_waitcnt lgkmcnt(0)
	s_barrier
	v_max_u32_e32 v1, v2, v1
	ds_bpermute_b32 v2, v4, v1
	s_waitcnt lgkmcnt(0)
	v_max_u32_e32 v1, v2, v1
	ds_bpermute_b32 v2, v7, v1
	s_waitcnt lgkmcnt(0)
	;; [unrolled: 3-line block ×4, first 2 shown]
	v_max_u32_e32 v1, v2, v1
	ds_bpermute_b32 v2, v11, v1
	s_and_saveexec_b64 s[2:3], s[8:9]
	s_cbranch_execz .LBB86_104
; %bb.103:
	v_lshrrev_b32_e32 v0, 4, v0
	v_add_u32_e32 v0, 8, v0
	s_waitcnt lgkmcnt(0)
	v_max_u32_e32 v1, v2, v1
	ds_write_b32 v0, v1
.LBB86_104:
	s_or_b64 exec, exec, s[2:3]
	v_mov_b32_e32 v0, 0
	s_waitcnt lgkmcnt(0)
	s_barrier
	s_and_saveexec_b64 s[2:3], s[10:11]
	s_cbranch_execnz .LBB86_111
; %bb.105:
	s_or_b64 exec, exec, s[2:3]
	s_and_saveexec_b64 s[2:3], s[0:1]
	s_cbranch_execnz .LBB86_112
.LBB86_106:
	s_or_b64 exec, exec, s[2:3]
	s_and_saveexec_b64 s[0:1], vcc
	s_cbranch_execnz .LBB86_113
.LBB86_107:
	s_endpgm
.LBB86_108:
	ds_read_b32 v6, v12 offset:1024
	s_or_b64 exec, exec, s[12:13]
	s_and_saveexec_b64 s[12:13], s[10:11]
	s_cbranch_execz .LBB86_95
.LBB86_109:
	ds_read_b32 v2, v12 offset:1028
	s_or_b64 exec, exec, s[12:13]
	s_and_saveexec_b64 s[18:19], s[0:1]
	s_cbranch_execz .LBB86_96
.LBB86_110:
	s_waitcnt lgkmcnt(0)
	ds_bpermute_b32 v13, v3, v6
	ds_bpermute_b32 v14, v3, v2
	s_waitcnt lgkmcnt(1)
	v_max_u32_e32 v15, v13, v6
	v_cmp_gt_u32_e64 s[12:13], v13, v6
	ds_bpermute_b32 v16, v4, v15
	s_waitcnt lgkmcnt(1)
	v_cndmask_b32_e64 v2, v2, v14, s[12:13]
	ds_bpermute_b32 v6, v4, v2
	s_waitcnt lgkmcnt(1)
	v_max_u32_e32 v13, v16, v15
	v_cmp_gt_u32_e64 s[12:13], v16, v15
	ds_bpermute_b32 v14, v7, v13
	s_waitcnt lgkmcnt(1)
	v_cndmask_b32_e64 v2, v2, v6, s[12:13]
	;; [unrolled: 7-line block ×4, first 2 shown]
	ds_bpermute_b32 v6, v9, v2
	s_waitcnt lgkmcnt(1)
	v_max_u32_e32 v15, v14, v13
	v_cmp_gt_u32_e64 s[12:13], v14, v13
	s_waitcnt lgkmcnt(0)
	v_cndmask_b32_e64 v2, v2, v6, s[12:13]
	ds_bpermute_b32 v6, v11, v15
	ds_bpermute_b32 v13, v11, v2
	s_waitcnt lgkmcnt(1)
	v_cmp_gt_u32_e64 s[12:13], v6, v15
	s_waitcnt lgkmcnt(0)
	v_cndmask_b32_e64 v2, v2, v13, s[12:13]
	s_or_b64 exec, exec, s[18:19]
	s_and_saveexec_b64 s[12:13], vcc
	s_cbranch_execnz .LBB86_97
	s_branch .LBB86_98
.LBB86_111:
	v_lshlrev_b32_e32 v0, 2, v10
	v_sub_u32_e32 v0, v12, v0
	ds_read_b32 v0, v0
	s_or_b64 exec, exec, s[2:3]
	s_and_saveexec_b64 s[2:3], s[0:1]
	s_cbranch_execz .LBB86_106
.LBB86_112:
	s_waitcnt lgkmcnt(0)
	ds_bpermute_b32 v1, v3, v0
	s_waitcnt lgkmcnt(0)
	v_max_u32_e32 v0, v1, v0
	ds_bpermute_b32 v1, v4, v0
	s_waitcnt lgkmcnt(0)
	v_max_u32_e32 v0, v1, v0
	;; [unrolled: 3-line block ×6, first 2 shown]
	s_or_b64 exec, exec, s[2:3]
	s_and_saveexec_b64 s[0:1], vcc
	s_cbranch_execz .LBB86_107
.LBB86_113:
	s_load_dword s6, s[4:5], 0xd8
	s_load_dwordx2 s[0:1], s[4:5], 0xe0
	s_add_u32 s2, s4, 8
	s_addc_u32 s3, s5, 0
	s_mov_b32 s5, 0
	s_waitcnt lgkmcnt(0)
	s_cmp_lt_i32 s6, 2
	s_cbranch_scc1 .LBB86_116
; %bb.114:
	s_add_i32 s4, s6, -1
	s_add_i32 s8, s6, 1
	s_lshl_b64 s[6:7], s[4:5], 2
	s_add_u32 s4, s2, s6
	s_addc_u32 s7, s3, s7
	s_add_u32 s6, s4, 8
	s_addc_u32 s7, s7, 0
.LBB86_115:                             ; =>This Inner Loop Header: Depth=1
	s_load_dword s4, s[6:7], 0x0
	s_load_dword s10, s[6:7], 0x64
	s_mov_b32 s9, s20
	s_waitcnt lgkmcnt(0)
	v_cvt_f32_u32_e32 v1, s4
	s_sub_i32 s11, 0, s4
	v_rcp_iflag_f32_e32 v1, v1
	v_mul_f32_e32 v1, 0x4f7ffffe, v1
	v_cvt_u32_f32_e32 v1, v1
	v_readfirstlane_b32 s12, v1
	s_mul_i32 s11, s11, s12
	s_mul_hi_u32 s11, s12, s11
	s_add_i32 s12, s12, s11
	s_mul_hi_u32 s11, s20, s12
	s_mul_i32 s12, s11, s4
	s_sub_i32 s12, s20, s12
	s_add_i32 s13, s11, 1
	s_sub_i32 s14, s12, s4
	s_cmp_ge_u32 s12, s4
	s_cselect_b32 s11, s13, s11
	s_cselect_b32 s12, s14, s12
	s_add_i32 s13, s11, 1
	s_cmp_ge_u32 s12, s4
	s_cselect_b32 s20, s13, s11
	s_mul_i32 s4, s20, s4
	s_sub_i32 s4, s9, s4
	s_mul_i32 s4, s10, s4
	s_add_i32 s8, s8, -1
	s_add_i32 s5, s4, s5
	s_add_u32 s6, s6, -4
	s_addc_u32 s7, s7, -1
	s_cmp_gt_u32 s8, 2
	s_cbranch_scc1 .LBB86_115
.LBB86_116:
	s_load_dword s4, s[2:3], 0x6c
	s_mov_b32 s7, 0
	s_load_dwordx2 s[2:3], s[2:3], 0x0
	v_mov_b32_e32 v1, 0
	ds_read_b64 v[2:3], v1
	s_waitcnt lgkmcnt(0)
	s_mul_i32 s4, s4, s20
	s_add_i32 s6, s4, s5
	s_lshl_b64 s[4:5], s[6:7], 3
	s_add_u32 s2, s2, s4
	s_addc_u32 s3, s3, s5
	s_add_u32 s0, s0, s4
	s_addc_u32 s1, s1, s5
	global_store_dwordx2 v1, v[2:3], s[2:3]
	global_store_dwordx2 v1, v[0:1], s[0:1]
	s_endpgm
	.section	.rodata,"a",@progbits
	.p2align	6, 0x0
	.amdhsa_kernel _ZN2at6native12compute_modeIlLj128EEEvPKT_NS_4cuda6detail10TensorInfoIS2_jEENS7_IljEEll
		.amdhsa_group_segment_fixed_size 8
		.amdhsa_private_segment_fixed_size 0
		.amdhsa_kernarg_size 712
		.amdhsa_user_sgpr_count 6
		.amdhsa_user_sgpr_private_segment_buffer 1
		.amdhsa_user_sgpr_dispatch_ptr 0
		.amdhsa_user_sgpr_queue_ptr 0
		.amdhsa_user_sgpr_kernarg_segment_ptr 1
		.amdhsa_user_sgpr_dispatch_id 0
		.amdhsa_user_sgpr_flat_scratch_init 0
		.amdhsa_user_sgpr_private_segment_size 0
		.amdhsa_uses_dynamic_stack 0
		.amdhsa_system_sgpr_private_segment_wavefront_offset 0
		.amdhsa_system_sgpr_workgroup_id_x 1
		.amdhsa_system_sgpr_workgroup_id_y 1
		.amdhsa_system_sgpr_workgroup_id_z 1
		.amdhsa_system_sgpr_workgroup_info 0
		.amdhsa_system_vgpr_workitem_id 0
		.amdhsa_next_free_vgpr 32
		.amdhsa_next_free_sgpr 22
		.amdhsa_reserve_vcc 1
		.amdhsa_reserve_flat_scratch 0
		.amdhsa_float_round_mode_32 0
		.amdhsa_float_round_mode_16_64 0
		.amdhsa_float_denorm_mode_32 3
		.amdhsa_float_denorm_mode_16_64 3
		.amdhsa_dx10_clamp 1
		.amdhsa_ieee_mode 1
		.amdhsa_fp16_overflow 0
		.amdhsa_exception_fp_ieee_invalid_op 0
		.amdhsa_exception_fp_denorm_src 0
		.amdhsa_exception_fp_ieee_div_zero 0
		.amdhsa_exception_fp_ieee_overflow 0
		.amdhsa_exception_fp_ieee_underflow 0
		.amdhsa_exception_fp_ieee_inexact 0
		.amdhsa_exception_int_div_zero 0
	.end_amdhsa_kernel
	.section	.text._ZN2at6native12compute_modeIlLj128EEEvPKT_NS_4cuda6detail10TensorInfoIS2_jEENS7_IljEEll,"axG",@progbits,_ZN2at6native12compute_modeIlLj128EEEvPKT_NS_4cuda6detail10TensorInfoIS2_jEENS7_IljEEll,comdat
.Lfunc_end86:
	.size	_ZN2at6native12compute_modeIlLj128EEEvPKT_NS_4cuda6detail10TensorInfoIS2_jEENS7_IljEEll, .Lfunc_end86-_ZN2at6native12compute_modeIlLj128EEEvPKT_NS_4cuda6detail10TensorInfoIS2_jEENS7_IljEEll
                                        ; -- End function
	.set _ZN2at6native12compute_modeIlLj128EEEvPKT_NS_4cuda6detail10TensorInfoIS2_jEENS7_IljEEll.num_vgpr, 32
	.set _ZN2at6native12compute_modeIlLj128EEEvPKT_NS_4cuda6detail10TensorInfoIS2_jEENS7_IljEEll.num_agpr, 0
	.set _ZN2at6native12compute_modeIlLj128EEEvPKT_NS_4cuda6detail10TensorInfoIS2_jEENS7_IljEEll.numbered_sgpr, 22
	.set _ZN2at6native12compute_modeIlLj128EEEvPKT_NS_4cuda6detail10TensorInfoIS2_jEENS7_IljEEll.num_named_barrier, 0
	.set _ZN2at6native12compute_modeIlLj128EEEvPKT_NS_4cuda6detail10TensorInfoIS2_jEENS7_IljEEll.private_seg_size, 0
	.set _ZN2at6native12compute_modeIlLj128EEEvPKT_NS_4cuda6detail10TensorInfoIS2_jEENS7_IljEEll.uses_vcc, 1
	.set _ZN2at6native12compute_modeIlLj128EEEvPKT_NS_4cuda6detail10TensorInfoIS2_jEENS7_IljEEll.uses_flat_scratch, 0
	.set _ZN2at6native12compute_modeIlLj128EEEvPKT_NS_4cuda6detail10TensorInfoIS2_jEENS7_IljEEll.has_dyn_sized_stack, 0
	.set _ZN2at6native12compute_modeIlLj128EEEvPKT_NS_4cuda6detail10TensorInfoIS2_jEENS7_IljEEll.has_recursion, 0
	.set _ZN2at6native12compute_modeIlLj128EEEvPKT_NS_4cuda6detail10TensorInfoIS2_jEENS7_IljEEll.has_indirect_call, 0
	.section	.AMDGPU.csdata,"",@progbits
; Kernel info:
; codeLenInByte = 8304
; TotalNumSgprs: 26
; NumVgprs: 32
; ScratchSize: 0
; MemoryBound: 0
; FloatMode: 240
; IeeeMode: 1
; LDSByteSize: 8 bytes/workgroup (compile time only)
; SGPRBlocks: 3
; VGPRBlocks: 7
; NumSGPRsForWavesPerEU: 26
; NumVGPRsForWavesPerEU: 32
; Occupancy: 8
; WaveLimiterHint : 1
; COMPUTE_PGM_RSRC2:SCRATCH_EN: 0
; COMPUTE_PGM_RSRC2:USER_SGPR: 6
; COMPUTE_PGM_RSRC2:TRAP_HANDLER: 0
; COMPUTE_PGM_RSRC2:TGID_X_EN: 1
; COMPUTE_PGM_RSRC2:TGID_Y_EN: 1
; COMPUTE_PGM_RSRC2:TGID_Z_EN: 1
; COMPUTE_PGM_RSRC2:TIDIG_COMP_CNT: 0
	.section	.text._ZN2at6native12compute_modeIsLj2048EEEvPKT_NS_4cuda6detail10TensorInfoIS2_jEENS7_IljEEll,"axG",@progbits,_ZN2at6native12compute_modeIsLj2048EEEvPKT_NS_4cuda6detail10TensorInfoIS2_jEENS7_IljEEll,comdat
	.protected	_ZN2at6native12compute_modeIsLj2048EEEvPKT_NS_4cuda6detail10TensorInfoIS2_jEENS7_IljEEll ; -- Begin function _ZN2at6native12compute_modeIsLj2048EEEvPKT_NS_4cuda6detail10TensorInfoIS2_jEENS7_IljEEll
	.globl	_ZN2at6native12compute_modeIsLj2048EEEvPKT_NS_4cuda6detail10TensorInfoIS2_jEENS7_IljEEll
	.p2align	8
	.type	_ZN2at6native12compute_modeIsLj2048EEEvPKT_NS_4cuda6detail10TensorInfoIS2_jEENS7_IljEEll,@function
_ZN2at6native12compute_modeIsLj2048EEEvPKT_NS_4cuda6detail10TensorInfoIS2_jEENS7_IljEEll: ; @_ZN2at6native12compute_modeIsLj2048EEEvPKT_NS_4cuda6detail10TensorInfoIS2_jEENS7_IljEEll
; %bb.0:
	s_load_dwordx2 s[2:3], s[4:5], 0x1c8
	s_load_dwordx4 s[16:19], s[4:5], 0x1b8
	s_add_u32 s0, s4, 0x1c8
	s_addc_u32 s1, s5, 0
	v_mov_b32_e32 v2, 0
	s_waitcnt lgkmcnt(0)
	s_mul_i32 s3, s3, s8
	s_add_i32 s3, s3, s7
	s_mul_i32 s2, s3, s2
	s_add_i32 s20, s2, s6
	v_mov_b32_e32 v1, s20
	v_cmp_le_i64_e32 vcc, s[18:19], v[1:2]
	s_cbranch_vccnz .LBB87_197
; %bb.1:
	s_load_dwordx2 s[14:15], s[4:5], 0x0
	s_load_dword s6, s[0:1], 0xc
	v_mov_b32_e32 v1, v2
	v_cmp_gt_i64_e32 vcc, s[16:17], v[0:1]
	s_mul_i32 s21, s20, s16
	v_lshl_add_u32 v12, v0, 1, 2
	s_and_saveexec_b64 s[2:3], vcc
	s_cbranch_execz .LBB87_3
; %bb.2:
	v_add_u32_e32 v1, s21, v0
	v_lshlrev_b64 v[3:4], 1, v[1:2]
	s_waitcnt lgkmcnt(0)
	v_mov_b32_e32 v1, s15
	v_add_co_u32_e64 v3, s[0:1], s14, v3
	v_addc_co_u32_e64 v4, s[0:1], v1, v4, s[0:1]
	global_load_ushort v1, v[3:4], off
	s_waitcnt vmcnt(0)
	ds_write_b16 v12, v1
.LBB87_3:
	s_or_b64 exec, exec, s[2:3]
	s_waitcnt lgkmcnt(0)
	s_and_b32 s18, 0xffff, s6
	v_add_u32_e32 v1, s18, v0
	v_cmp_gt_i64_e64 s[0:1], s[16:17], v[1:2]
	s_and_saveexec_b64 s[6:7], s[0:1]
	s_cbranch_execz .LBB87_5
; %bb.4:
	v_add_u32_e32 v2, s21, v1
	v_mov_b32_e32 v3, 0
	v_lshlrev_b64 v[2:3], 1, v[2:3]
	v_mov_b32_e32 v4, s15
	v_add_co_u32_e64 v2, s[2:3], s14, v2
	v_addc_co_u32_e64 v3, s[2:3], v4, v3, s[2:3]
	global_load_ushort v2, v[2:3], off
	v_lshl_add_u32 v1, v1, 1, 2
	s_waitcnt vmcnt(0)
	ds_write_b16 v1, v2
.LBB87_5:
	s_or_b64 exec, exec, s[6:7]
	v_add_u32_e32 v2, 2, v0
	v_cndmask_b32_e64 v1, 0, 1, vcc
	ds_write_b8 v2, v1 offset:4096
	v_add_u32_e32 v1, s18, v2
	v_cndmask_b32_e64 v3, 0, 1, s[0:1]
	ds_write_b8 v1, v3 offset:4096
	v_lshlrev_b32_e32 v1, 1, v0
	v_mad_u32_u24 v3, v0, 3, v2
	s_waitcnt lgkmcnt(0)
	s_barrier
	s_barrier
	v_sub_u32_e32 v4, v3, v1
	ds_read_b32 v7, v3
	ds_read_u8 v5, v4 offset:4096
	ds_read_u8 v8, v4 offset:4097
	v_and_b32_e32 v6, 1, v0
	v_sub_u32_e32 v4, 0, v1
	s_waitcnt lgkmcnt(2)
	v_cmp_lt_i16_sdwa s[2:3], v7, v7 src0_sel:DWORD src1_sel:WORD_1
	s_waitcnt lgkmcnt(1)
	v_and_b32_e32 v9, 1, v5
	v_cmp_eq_u32_e32 vcc, 1, v9
	s_waitcnt lgkmcnt(0)
	v_cmp_ne_u16_e64 s[0:1], v8, v6
	v_cndmask_b32_e64 v9, 0, 1, s[0:1]
	s_and_b64 vcc, s[2:3], vcc
	v_cndmask_b32_e32 v9, v9, v0, vcc
	v_and_b32_e32 v9, 1, v9
	v_cmp_eq_u32_e32 vcc, 1, v9
	v_add_u32_e32 v4, v3, v4
	s_and_saveexec_b64 s[0:1], vcc
	s_cbranch_execz .LBB87_7
; %bb.6:
	v_alignbit_b32 v7, v7, v7, 16
	ds_write_b32 v3, v7
	ds_write_b8 v4, v8 offset:4096
	ds_write_b8 v4, v5 offset:4097
.LBB87_7:
	s_or_b64 exec, exec, s[0:1]
	v_sub_u32_e32 v8, v1, v6
	v_lshl_add_u32 v7, v8, 1, 2
	v_add_u32_e32 v6, 2, v8
	s_waitcnt lgkmcnt(0)
	s_barrier
	v_add_u32_e32 v8, v6, v8
	ds_read_u16 v9, v7
	ds_read_u16 v11, v8 offset:4
	ds_read_u8 v10, v6 offset:4096
	ds_read_u8 v13, v6 offset:4098
	v_bfe_u32 v14, v0, 1, 1
	v_and_b32_e32 v5, 2, v0
	s_waitcnt lgkmcnt(2)
	v_cmp_lt_i16_e64 s[0:1], v9, v11
	s_waitcnt lgkmcnt(1)
	v_and_b32_e32 v15, 1, v10
	v_cmp_eq_u32_e64 s[2:3], 1, v15
	s_waitcnt lgkmcnt(0)
	v_cmp_ne_u16_e64 s[6:7], v13, v14
	v_cndmask_b32_e64 v15, 0, 1, s[6:7]
	s_and_b64 s[0:1], s[0:1], s[2:3]
	v_cndmask_b32_e64 v14, v15, v14, s[0:1]
	v_and_b32_e32 v14, 1, v14
	v_cmp_ne_u32_e32 vcc, 0, v5
	v_cmp_eq_u32_e64 s[0:1], 1, v14
	s_and_saveexec_b64 s[2:3], s[0:1]
	s_xor_b64 s[0:1], exec, s[2:3]
	s_cbranch_execz .LBB87_9
; %bb.8:
	ds_write_b16 v7, v11
	ds_write_b16 v8, v9 offset:4
	ds_write_b8 v6, v13 offset:4096
	ds_write_b8 v6, v10 offset:4098
.LBB87_9:
	s_or_b64 exec, exec, s[0:1]
	s_waitcnt lgkmcnt(0)
	s_barrier
	ds_read_b32 v10, v3
	ds_read_u8 v9, v4 offset:4096
	ds_read_u8 v11, v4 offset:4097
	v_lshrrev_b32_e32 v5, 1, v5
	s_waitcnt lgkmcnt(2)
	v_cmp_lt_i16_sdwa s[6:7], v10, v10 src0_sel:DWORD src1_sel:WORD_1
	s_waitcnt lgkmcnt(1)
	v_and_b32_e32 v13, 1, v9
	v_cmp_eq_u32_e64 s[0:1], 1, v13
	s_waitcnt lgkmcnt(0)
	v_cmp_ne_u16_e64 s[2:3], v11, v5
	v_cndmask_b32_e64 v5, 0, 1, s[2:3]
	v_cndmask_b32_e64 v13, 0, 1, vcc
	s_and_b64 vcc, s[6:7], s[0:1]
	v_cndmask_b32_e32 v5, v5, v13, vcc
	v_and_b32_e32 v5, 1, v5
	v_cmp_eq_u32_e32 vcc, 1, v5
	s_and_saveexec_b64 s[0:1], vcc
	s_cbranch_execz .LBB87_11
; %bb.10:
	v_alignbit_b32 v5, v10, v10, 16
	ds_write_b32 v3, v5
	ds_write_b8 v4, v11 offset:4096
	ds_write_b8 v4, v9 offset:4097
.LBB87_11:
	s_or_b64 exec, exec, s[0:1]
	v_and_b32_e32 v9, 3, v0
	v_sub_u32_e32 v11, v1, v9
	v_lshl_add_u32 v10, v11, 1, 2
	v_add_u32_e32 v9, 2, v11
	s_waitcnt lgkmcnt(0)
	s_barrier
	v_add_u32_e32 v11, v9, v11
	ds_read_u16 v13, v10
	ds_read_u16 v15, v11 offset:8
	ds_read_u8 v14, v9 offset:4096
	ds_read_u8 v16, v9 offset:4100
	v_bfe_u32 v17, v0, 2, 1
	v_and_b32_e32 v5, 4, v0
	s_waitcnt lgkmcnt(2)
	v_cmp_lt_i16_e64 s[0:1], v13, v15
	s_waitcnt lgkmcnt(1)
	v_and_b32_e32 v18, 1, v14
	v_cmp_eq_u32_e64 s[2:3], 1, v18
	s_waitcnt lgkmcnt(0)
	v_cmp_ne_u16_e64 s[6:7], v16, v17
	v_cndmask_b32_e64 v18, 0, 1, s[6:7]
	s_and_b64 s[0:1], s[0:1], s[2:3]
	v_cndmask_b32_e64 v17, v18, v17, s[0:1]
	v_and_b32_e32 v17, 1, v17
	v_cmp_ne_u32_e32 vcc, 0, v5
	v_cmp_eq_u32_e64 s[0:1], 1, v17
	s_and_saveexec_b64 s[2:3], s[0:1]
	s_cbranch_execz .LBB87_13
; %bb.12:
	ds_write_b16 v10, v15
	ds_write_b16 v11, v13 offset:8
	ds_write_b8 v9, v16 offset:4096
	ds_write_b8 v9, v14 offset:4100
.LBB87_13:
	s_or_b64 exec, exec, s[2:3]
	s_waitcnt lgkmcnt(0)
	s_barrier
	ds_read_u16 v14, v7
	ds_read_u16 v16, v8 offset:4
	ds_read_u8 v15, v6 offset:4096
	ds_read_u8 v17, v6 offset:4098
	v_lshrrev_b32_e32 v5, 2, v5
	s_waitcnt lgkmcnt(2)
	v_cmp_lt_i16_e64 s[0:1], v14, v16
	s_waitcnt lgkmcnt(1)
	v_and_b32_e32 v13, 1, v15
	v_cmp_eq_u32_e64 s[2:3], 1, v13
	s_waitcnt lgkmcnt(0)
	v_cmp_ne_u16_e64 s[6:7], v17, v5
	v_cndmask_b32_e64 v18, 0, 1, s[6:7]
	v_cndmask_b32_e64 v13, 0, 1, vcc
	s_and_b64 vcc, s[0:1], s[2:3]
	v_cndmask_b32_e32 v18, v18, v13, vcc
	v_and_b32_e32 v18, 1, v18
	v_cmp_eq_u32_e32 vcc, 1, v18
	s_and_saveexec_b64 s[0:1], vcc
	s_cbranch_execz .LBB87_15
; %bb.14:
	ds_write_b16 v7, v16
	ds_write_b16 v8, v14 offset:4
	ds_write_b8 v6, v17 offset:4096
	ds_write_b8 v6, v15 offset:4098
.LBB87_15:
	s_or_b64 exec, exec, s[0:1]
	s_waitcnt lgkmcnt(0)
	s_barrier
	ds_read_b32 v15, v3
	ds_read_u8 v14, v4 offset:4096
	ds_read_u8 v16, v4 offset:4097
	s_waitcnt lgkmcnt(2)
	v_cmp_lt_i16_sdwa s[2:3], v15, v15 src0_sel:DWORD src1_sel:WORD_1
	s_waitcnt lgkmcnt(1)
	v_and_b32_e32 v17, 1, v14
	v_cmp_eq_u32_e32 vcc, 1, v17
	s_waitcnt lgkmcnt(0)
	v_cmp_ne_u16_e64 s[0:1], v16, v5
	v_cndmask_b32_e64 v5, 0, 1, s[0:1]
	s_and_b64 vcc, s[2:3], vcc
	v_cndmask_b32_e32 v5, v5, v13, vcc
	v_and_b32_e32 v5, 1, v5
	v_cmp_eq_u32_e32 vcc, 1, v5
	s_and_saveexec_b64 s[0:1], vcc
	s_cbranch_execz .LBB87_17
; %bb.16:
	v_alignbit_b32 v5, v15, v15, 16
	ds_write_b32 v3, v5
	ds_write_b8 v4, v16 offset:4096
	ds_write_b8 v4, v14 offset:4097
.LBB87_17:
	s_or_b64 exec, exec, s[0:1]
	v_and_b32_e32 v13, 7, v0
	v_sub_u32_e32 v15, v1, v13
	v_lshl_add_u32 v14, v15, 1, 2
	v_add_u32_e32 v13, 2, v15
	s_waitcnt lgkmcnt(0)
	s_barrier
	v_add_u32_e32 v15, v13, v15
	ds_read_u16 v16, v14
	ds_read_u16 v18, v15 offset:16
	ds_read_u8 v17, v13 offset:4096
	ds_read_u8 v19, v13 offset:4104
	v_bfe_u32 v20, v0, 3, 1
	v_and_b32_e32 v5, 8, v0
	s_waitcnt lgkmcnt(2)
	v_cmp_lt_i16_e64 s[0:1], v16, v18
	s_waitcnt lgkmcnt(1)
	v_and_b32_e32 v21, 1, v17
	v_cmp_eq_u32_e64 s[2:3], 1, v21
	s_waitcnt lgkmcnt(0)
	v_cmp_ne_u16_e64 s[6:7], v19, v20
	v_cndmask_b32_e64 v21, 0, 1, s[6:7]
	s_and_b64 s[0:1], s[0:1], s[2:3]
	v_cndmask_b32_e64 v20, v21, v20, s[0:1]
	v_and_b32_e32 v20, 1, v20
	v_cmp_ne_u32_e32 vcc, 0, v5
	v_cmp_eq_u32_e64 s[0:1], 1, v20
	s_and_saveexec_b64 s[2:3], s[0:1]
	s_cbranch_execz .LBB87_19
; %bb.18:
	ds_write_b16 v14, v18
	ds_write_b16 v15, v16 offset:16
	ds_write_b8 v13, v19 offset:4096
	ds_write_b8 v13, v17 offset:4104
.LBB87_19:
	s_or_b64 exec, exec, s[2:3]
	s_waitcnt lgkmcnt(0)
	s_barrier
	ds_read_u16 v17, v10
	ds_read_u16 v19, v11 offset:8
	ds_read_u8 v18, v9 offset:4096
	ds_read_u8 v20, v9 offset:4100
	v_lshrrev_b32_e32 v5, 3, v5
	s_waitcnt lgkmcnt(2)
	v_cmp_lt_i16_e64 s[0:1], v17, v19
	s_waitcnt lgkmcnt(1)
	v_and_b32_e32 v16, 1, v18
	v_cmp_eq_u32_e64 s[2:3], 1, v16
	s_waitcnt lgkmcnt(0)
	v_cmp_ne_u16_e64 s[6:7], v20, v5
	v_cndmask_b32_e64 v21, 0, 1, s[6:7]
	v_cndmask_b32_e64 v16, 0, 1, vcc
	s_and_b64 vcc, s[0:1], s[2:3]
	v_cndmask_b32_e32 v21, v21, v16, vcc
	v_and_b32_e32 v21, 1, v21
	v_cmp_eq_u32_e32 vcc, 1, v21
	s_and_saveexec_b64 s[0:1], vcc
	s_cbranch_execz .LBB87_21
; %bb.20:
	ds_write_b16 v10, v19
	ds_write_b16 v11, v17 offset:8
	ds_write_b8 v9, v20 offset:4096
	ds_write_b8 v9, v18 offset:4100
.LBB87_21:
	s_or_b64 exec, exec, s[0:1]
	s_waitcnt lgkmcnt(0)
	s_barrier
	ds_read_u16 v17, v7
	ds_read_u16 v19, v8 offset:4
	ds_read_u8 v18, v6 offset:4096
	ds_read_u8 v20, v6 offset:4098
	s_waitcnt lgkmcnt(2)
	v_cmp_lt_i16_e32 vcc, v17, v19
	s_waitcnt lgkmcnt(1)
	v_and_b32_e32 v21, 1, v18
	v_cmp_eq_u32_e64 s[0:1], 1, v21
	s_waitcnt lgkmcnt(0)
	v_cmp_ne_u16_e64 s[2:3], v20, v5
	v_cndmask_b32_e64 v21, 0, 1, s[2:3]
	s_and_b64 vcc, vcc, s[0:1]
	v_cndmask_b32_e32 v21, v21, v16, vcc
	v_and_b32_e32 v21, 1, v21
	v_cmp_eq_u32_e32 vcc, 1, v21
	s_and_saveexec_b64 s[0:1], vcc
	s_cbranch_execz .LBB87_23
; %bb.22:
	ds_write_b16 v7, v19
	ds_write_b16 v8, v17 offset:4
	ds_write_b8 v6, v20 offset:4096
	ds_write_b8 v6, v18 offset:4098
.LBB87_23:
	s_or_b64 exec, exec, s[0:1]
	s_waitcnt lgkmcnt(0)
	s_barrier
	ds_read_b32 v18, v3
	ds_read_u8 v17, v4 offset:4096
	ds_read_u8 v19, v4 offset:4097
	s_waitcnt lgkmcnt(2)
	v_cmp_lt_i16_sdwa s[2:3], v18, v18 src0_sel:DWORD src1_sel:WORD_1
	s_waitcnt lgkmcnt(1)
	v_and_b32_e32 v20, 1, v17
	v_cmp_eq_u32_e32 vcc, 1, v20
	s_waitcnt lgkmcnt(0)
	v_cmp_ne_u16_e64 s[0:1], v19, v5
	v_cndmask_b32_e64 v5, 0, 1, s[0:1]
	s_and_b64 vcc, s[2:3], vcc
	v_cndmask_b32_e32 v5, v5, v16, vcc
	v_and_b32_e32 v5, 1, v5
	v_cmp_eq_u32_e32 vcc, 1, v5
	s_and_saveexec_b64 s[0:1], vcc
	s_cbranch_execz .LBB87_25
; %bb.24:
	v_alignbit_b32 v5, v18, v18, 16
	ds_write_b32 v3, v5
	ds_write_b8 v4, v19 offset:4096
	ds_write_b8 v4, v17 offset:4097
.LBB87_25:
	s_or_b64 exec, exec, s[0:1]
	v_and_b32_e32 v16, 15, v0
	v_sub_u32_e32 v18, v1, v16
	v_lshl_add_u32 v17, v18, 1, 2
	v_add_u32_e32 v16, 2, v18
	s_waitcnt lgkmcnt(0)
	s_barrier
	v_add_u32_e32 v18, v16, v18
	ds_read_u16 v19, v17
	ds_read_u16 v21, v18 offset:32
	ds_read_u8 v20, v16 offset:4096
	ds_read_u8 v22, v16 offset:4112
	v_bfe_u32 v23, v0, 4, 1
	v_and_b32_e32 v5, 16, v0
	s_waitcnt lgkmcnt(2)
	v_cmp_lt_i16_e64 s[0:1], v19, v21
	s_waitcnt lgkmcnt(1)
	v_and_b32_e32 v24, 1, v20
	v_cmp_eq_u32_e64 s[2:3], 1, v24
	s_waitcnt lgkmcnt(0)
	v_cmp_ne_u16_e64 s[6:7], v22, v23
	v_cndmask_b32_e64 v24, 0, 1, s[6:7]
	s_and_b64 s[0:1], s[0:1], s[2:3]
	v_cndmask_b32_e64 v23, v24, v23, s[0:1]
	v_and_b32_e32 v23, 1, v23
	v_cmp_ne_u32_e32 vcc, 0, v5
	v_cmp_eq_u32_e64 s[0:1], 1, v23
	s_and_saveexec_b64 s[2:3], s[0:1]
	s_cbranch_execz .LBB87_27
; %bb.26:
	ds_write_b16 v17, v21
	ds_write_b16 v18, v19 offset:32
	ds_write_b8 v16, v22 offset:4096
	ds_write_b8 v16, v20 offset:4112
.LBB87_27:
	s_or_b64 exec, exec, s[2:3]
	s_waitcnt lgkmcnt(0)
	s_barrier
	ds_read_u16 v20, v14
	ds_read_u16 v22, v15 offset:16
	ds_read_u8 v21, v13 offset:4096
	ds_read_u8 v23, v13 offset:4104
	v_lshrrev_b32_e32 v5, 4, v5
	s_waitcnt lgkmcnt(2)
	v_cmp_lt_i16_e64 s[0:1], v20, v22
	s_waitcnt lgkmcnt(1)
	v_and_b32_e32 v19, 1, v21
	v_cmp_eq_u32_e64 s[2:3], 1, v19
	s_waitcnt lgkmcnt(0)
	v_cmp_ne_u16_e64 s[6:7], v23, v5
	v_cndmask_b32_e64 v24, 0, 1, s[6:7]
	v_cndmask_b32_e64 v19, 0, 1, vcc
	s_and_b64 vcc, s[0:1], s[2:3]
	v_cndmask_b32_e32 v24, v24, v19, vcc
	v_and_b32_e32 v24, 1, v24
	v_cmp_eq_u32_e32 vcc, 1, v24
	s_and_saveexec_b64 s[0:1], vcc
	s_cbranch_execz .LBB87_29
; %bb.28:
	ds_write_b16 v14, v22
	ds_write_b16 v15, v20 offset:16
	ds_write_b8 v13, v23 offset:4096
	ds_write_b8 v13, v21 offset:4104
.LBB87_29:
	s_or_b64 exec, exec, s[0:1]
	s_waitcnt lgkmcnt(0)
	s_barrier
	ds_read_u16 v20, v10
	ds_read_u16 v22, v11 offset:8
	ds_read_u8 v21, v9 offset:4096
	ds_read_u8 v23, v9 offset:4100
	s_waitcnt lgkmcnt(2)
	v_cmp_lt_i16_e32 vcc, v20, v22
	s_waitcnt lgkmcnt(1)
	v_and_b32_e32 v24, 1, v21
	v_cmp_eq_u32_e64 s[0:1], 1, v24
	s_waitcnt lgkmcnt(0)
	v_cmp_ne_u16_e64 s[2:3], v23, v5
	v_cndmask_b32_e64 v24, 0, 1, s[2:3]
	s_and_b64 vcc, vcc, s[0:1]
	v_cndmask_b32_e32 v24, v24, v19, vcc
	v_and_b32_e32 v24, 1, v24
	v_cmp_eq_u32_e32 vcc, 1, v24
	s_and_saveexec_b64 s[0:1], vcc
	s_cbranch_execz .LBB87_31
; %bb.30:
	ds_write_b16 v10, v22
	ds_write_b16 v11, v20 offset:8
	ds_write_b8 v9, v23 offset:4096
	ds_write_b8 v9, v21 offset:4100
.LBB87_31:
	s_or_b64 exec, exec, s[0:1]
	s_waitcnt lgkmcnt(0)
	s_barrier
	ds_read_u16 v20, v7
	ds_read_u16 v22, v8 offset:4
	ds_read_u8 v21, v6 offset:4096
	ds_read_u8 v23, v6 offset:4098
	s_waitcnt lgkmcnt(2)
	v_cmp_lt_i16_e32 vcc, v20, v22
	s_waitcnt lgkmcnt(1)
	v_and_b32_e32 v24, 1, v21
	v_cmp_eq_u32_e64 s[0:1], 1, v24
	s_waitcnt lgkmcnt(0)
	v_cmp_ne_u16_e64 s[2:3], v23, v5
	v_cndmask_b32_e64 v24, 0, 1, s[2:3]
	s_and_b64 vcc, vcc, s[0:1]
	v_cndmask_b32_e32 v24, v24, v19, vcc
	v_and_b32_e32 v24, 1, v24
	v_cmp_eq_u32_e32 vcc, 1, v24
	s_and_saveexec_b64 s[0:1], vcc
	s_cbranch_execz .LBB87_33
; %bb.32:
	ds_write_b16 v7, v22
	ds_write_b16 v8, v20 offset:4
	ds_write_b8 v6, v23 offset:4096
	ds_write_b8 v6, v21 offset:4098
.LBB87_33:
	s_or_b64 exec, exec, s[0:1]
	s_waitcnt lgkmcnt(0)
	s_barrier
	ds_read_b32 v21, v3
	ds_read_u8 v20, v4 offset:4096
	ds_read_u8 v22, v4 offset:4097
	s_waitcnt lgkmcnt(2)
	v_cmp_lt_i16_sdwa s[2:3], v21, v21 src0_sel:DWORD src1_sel:WORD_1
	s_waitcnt lgkmcnt(1)
	v_and_b32_e32 v23, 1, v20
	v_cmp_eq_u32_e32 vcc, 1, v23
	s_waitcnt lgkmcnt(0)
	v_cmp_ne_u16_e64 s[0:1], v22, v5
	v_cndmask_b32_e64 v5, 0, 1, s[0:1]
	s_and_b64 vcc, s[2:3], vcc
	v_cndmask_b32_e32 v5, v5, v19, vcc
	v_and_b32_e32 v5, 1, v5
	v_cmp_eq_u32_e32 vcc, 1, v5
	s_and_saveexec_b64 s[0:1], vcc
	s_cbranch_execz .LBB87_35
; %bb.34:
	v_alignbit_b32 v5, v21, v21, 16
	ds_write_b32 v3, v5
	ds_write_b8 v4, v22 offset:4096
	ds_write_b8 v4, v20 offset:4097
.LBB87_35:
	s_or_b64 exec, exec, s[0:1]
	v_and_b32_e32 v19, 31, v0
	v_sub_u32_e32 v21, v1, v19
	v_lshl_add_u32 v20, v21, 1, 2
	v_add_u32_e32 v19, 2, v21
	s_waitcnt lgkmcnt(0)
	s_barrier
	v_add_u32_e32 v21, v19, v21
	ds_read_u16 v22, v20
	ds_read_u16 v24, v21 offset:64
	ds_read_u8 v23, v19 offset:4096
	ds_read_u8 v25, v19 offset:4128
	v_bfe_u32 v26, v0, 5, 1
	v_and_b32_e32 v5, 32, v0
	s_waitcnt lgkmcnt(2)
	v_cmp_lt_i16_e64 s[0:1], v22, v24
	s_waitcnt lgkmcnt(1)
	v_and_b32_e32 v27, 1, v23
	v_cmp_eq_u32_e64 s[2:3], 1, v27
	s_waitcnt lgkmcnt(0)
	v_cmp_ne_u16_e64 s[6:7], v25, v26
	v_cndmask_b32_e64 v27, 0, 1, s[6:7]
	s_and_b64 s[0:1], s[0:1], s[2:3]
	v_cndmask_b32_e64 v26, v27, v26, s[0:1]
	v_and_b32_e32 v26, 1, v26
	v_cmp_ne_u32_e32 vcc, 0, v5
	v_cmp_eq_u32_e64 s[0:1], 1, v26
	s_and_saveexec_b64 s[2:3], s[0:1]
	s_cbranch_execz .LBB87_37
; %bb.36:
	ds_write_b16 v20, v24
	ds_write_b16 v21, v22 offset:64
	ds_write_b8 v19, v25 offset:4096
	ds_write_b8 v19, v23 offset:4128
.LBB87_37:
	s_or_b64 exec, exec, s[2:3]
	s_waitcnt lgkmcnt(0)
	s_barrier
	ds_read_u16 v23, v17
	ds_read_u16 v25, v18 offset:32
	ds_read_u8 v24, v16 offset:4096
	ds_read_u8 v26, v16 offset:4112
	v_lshrrev_b32_e32 v5, 5, v5
	s_waitcnt lgkmcnt(2)
	v_cmp_lt_i16_e64 s[0:1], v23, v25
	s_waitcnt lgkmcnt(1)
	v_and_b32_e32 v22, 1, v24
	v_cmp_eq_u32_e64 s[2:3], 1, v22
	s_waitcnt lgkmcnt(0)
	v_cmp_ne_u16_e64 s[6:7], v26, v5
	v_cndmask_b32_e64 v27, 0, 1, s[6:7]
	v_cndmask_b32_e64 v22, 0, 1, vcc
	s_and_b64 vcc, s[0:1], s[2:3]
	v_cndmask_b32_e32 v27, v27, v22, vcc
	v_and_b32_e32 v27, 1, v27
	v_cmp_eq_u32_e32 vcc, 1, v27
	s_and_saveexec_b64 s[0:1], vcc
	s_cbranch_execz .LBB87_39
; %bb.38:
	ds_write_b16 v17, v25
	ds_write_b16 v18, v23 offset:32
	ds_write_b8 v16, v26 offset:4096
	ds_write_b8 v16, v24 offset:4112
.LBB87_39:
	s_or_b64 exec, exec, s[0:1]
	s_waitcnt lgkmcnt(0)
	s_barrier
	ds_read_u16 v23, v14
	ds_read_u16 v25, v15 offset:16
	ds_read_u8 v24, v13 offset:4096
	ds_read_u8 v26, v13 offset:4104
	s_waitcnt lgkmcnt(2)
	v_cmp_lt_i16_e32 vcc, v23, v25
	s_waitcnt lgkmcnt(1)
	v_and_b32_e32 v27, 1, v24
	v_cmp_eq_u32_e64 s[0:1], 1, v27
	s_waitcnt lgkmcnt(0)
	v_cmp_ne_u16_e64 s[2:3], v26, v5
	v_cndmask_b32_e64 v27, 0, 1, s[2:3]
	s_and_b64 vcc, vcc, s[0:1]
	v_cndmask_b32_e32 v27, v27, v22, vcc
	v_and_b32_e32 v27, 1, v27
	v_cmp_eq_u32_e32 vcc, 1, v27
	s_and_saveexec_b64 s[0:1], vcc
	s_cbranch_execz .LBB87_41
; %bb.40:
	ds_write_b16 v14, v25
	ds_write_b16 v15, v23 offset:16
	ds_write_b8 v13, v26 offset:4096
	ds_write_b8 v13, v24 offset:4104
.LBB87_41:
	s_or_b64 exec, exec, s[0:1]
	s_waitcnt lgkmcnt(0)
	s_barrier
	ds_read_u16 v23, v10
	ds_read_u16 v25, v11 offset:8
	ds_read_u8 v24, v9 offset:4096
	ds_read_u8 v26, v9 offset:4100
	s_waitcnt lgkmcnt(2)
	v_cmp_lt_i16_e32 vcc, v23, v25
	s_waitcnt lgkmcnt(1)
	v_and_b32_e32 v27, 1, v24
	v_cmp_eq_u32_e64 s[0:1], 1, v27
	s_waitcnt lgkmcnt(0)
	v_cmp_ne_u16_e64 s[2:3], v26, v5
	v_cndmask_b32_e64 v27, 0, 1, s[2:3]
	s_and_b64 vcc, vcc, s[0:1]
	;; [unrolled: 27-line block ×3, first 2 shown]
	v_cndmask_b32_e32 v27, v27, v22, vcc
	v_and_b32_e32 v27, 1, v27
	v_cmp_eq_u32_e32 vcc, 1, v27
	s_and_saveexec_b64 s[0:1], vcc
	s_cbranch_execz .LBB87_45
; %bb.44:
	ds_write_b16 v7, v25
	ds_write_b16 v8, v23 offset:4
	ds_write_b8 v6, v26 offset:4096
	ds_write_b8 v6, v24 offset:4098
.LBB87_45:
	s_or_b64 exec, exec, s[0:1]
	s_waitcnt lgkmcnt(0)
	s_barrier
	ds_read_b32 v24, v3
	ds_read_u8 v23, v4 offset:4096
	ds_read_u8 v25, v4 offset:4097
	s_waitcnt lgkmcnt(2)
	v_cmp_lt_i16_sdwa s[2:3], v24, v24 src0_sel:DWORD src1_sel:WORD_1
	s_waitcnt lgkmcnt(1)
	v_and_b32_e32 v26, 1, v23
	v_cmp_eq_u32_e32 vcc, 1, v26
	s_waitcnt lgkmcnt(0)
	v_cmp_ne_u16_e64 s[0:1], v25, v5
	v_cndmask_b32_e64 v5, 0, 1, s[0:1]
	s_and_b64 vcc, s[2:3], vcc
	v_cndmask_b32_e32 v5, v5, v22, vcc
	v_and_b32_e32 v5, 1, v5
	v_cmp_eq_u32_e32 vcc, 1, v5
	s_and_saveexec_b64 s[0:1], vcc
	s_cbranch_execz .LBB87_47
; %bb.46:
	v_alignbit_b32 v5, v24, v24, 16
	ds_write_b32 v3, v5
	ds_write_b8 v4, v25 offset:4096
	ds_write_b8 v4, v23 offset:4097
.LBB87_47:
	s_or_b64 exec, exec, s[0:1]
	v_and_b32_e32 v5, 63, v0
	v_sub_u32_e32 v24, v1, v5
	v_lshl_add_u32 v23, v24, 1, 2
	v_add_u32_e32 v22, 2, v24
	s_waitcnt lgkmcnt(0)
	s_barrier
	v_add_u32_e32 v24, v22, v24
	ds_read_u16 v26, v23
	ds_read_u16 v28, v24 offset:128
	ds_read_u8 v27, v22 offset:4096
	ds_read_u8 v29, v22 offset:4160
	v_bfe_u32 v30, v0, 6, 1
	v_and_b32_e32 v25, 64, v0
	s_waitcnt lgkmcnt(2)
	v_cmp_lt_i16_e64 s[0:1], v26, v28
	s_waitcnt lgkmcnt(1)
	v_and_b32_e32 v31, 1, v27
	v_cmp_eq_u32_e64 s[2:3], 1, v31
	s_waitcnt lgkmcnt(0)
	v_cmp_ne_u16_e64 s[6:7], v29, v30
	v_cndmask_b32_e64 v31, 0, 1, s[6:7]
	s_and_b64 s[0:1], s[0:1], s[2:3]
	v_cndmask_b32_e64 v30, v31, v30, s[0:1]
	v_and_b32_e32 v30, 1, v30
	v_cmp_ne_u32_e32 vcc, 0, v25
	v_cmp_eq_u32_e64 s[0:1], 1, v30
	s_and_saveexec_b64 s[2:3], s[0:1]
	s_cbranch_execz .LBB87_49
; %bb.48:
	ds_write_b16 v23, v28
	ds_write_b16 v24, v26 offset:128
	ds_write_b8 v22, v29 offset:4096
	ds_write_b8 v22, v27 offset:4160
.LBB87_49:
	s_or_b64 exec, exec, s[2:3]
	s_waitcnt lgkmcnt(0)
	s_barrier
	ds_read_u16 v27, v20
	ds_read_u16 v29, v21 offset:64
	ds_read_u8 v28, v19 offset:4096
	ds_read_u8 v30, v19 offset:4128
	v_lshrrev_b32_e32 v25, 6, v25
	s_waitcnt lgkmcnt(2)
	v_cmp_lt_i16_e64 s[0:1], v27, v29
	s_waitcnt lgkmcnt(1)
	v_and_b32_e32 v26, 1, v28
	v_cmp_eq_u32_e64 s[2:3], 1, v26
	s_waitcnt lgkmcnt(0)
	v_cmp_ne_u16_e64 s[6:7], v30, v25
	v_cndmask_b32_e64 v31, 0, 1, s[6:7]
	v_cndmask_b32_e64 v26, 0, 1, vcc
	s_and_b64 vcc, s[0:1], s[2:3]
	v_cndmask_b32_e32 v31, v31, v26, vcc
	v_and_b32_e32 v31, 1, v31
	v_cmp_eq_u32_e32 vcc, 1, v31
	s_and_saveexec_b64 s[0:1], vcc
	s_cbranch_execz .LBB87_51
; %bb.50:
	ds_write_b16 v20, v29
	ds_write_b16 v21, v27 offset:64
	ds_write_b8 v19, v30 offset:4096
	ds_write_b8 v19, v28 offset:4128
.LBB87_51:
	s_or_b64 exec, exec, s[0:1]
	s_waitcnt lgkmcnt(0)
	s_barrier
	ds_read_u16 v27, v17
	ds_read_u16 v29, v18 offset:32
	ds_read_u8 v28, v16 offset:4096
	ds_read_u8 v30, v16 offset:4112
	s_waitcnt lgkmcnt(2)
	v_cmp_lt_i16_e32 vcc, v27, v29
	s_waitcnt lgkmcnt(1)
	v_and_b32_e32 v31, 1, v28
	v_cmp_eq_u32_e64 s[0:1], 1, v31
	s_waitcnt lgkmcnt(0)
	v_cmp_ne_u16_e64 s[2:3], v30, v25
	v_cndmask_b32_e64 v31, 0, 1, s[2:3]
	s_and_b64 vcc, vcc, s[0:1]
	v_cndmask_b32_e32 v31, v31, v26, vcc
	v_and_b32_e32 v31, 1, v31
	v_cmp_eq_u32_e32 vcc, 1, v31
	s_and_saveexec_b64 s[0:1], vcc
	s_cbranch_execz .LBB87_53
; %bb.52:
	ds_write_b16 v17, v29
	ds_write_b16 v18, v27 offset:32
	ds_write_b8 v16, v30 offset:4096
	ds_write_b8 v16, v28 offset:4112
.LBB87_53:
	s_or_b64 exec, exec, s[0:1]
	s_waitcnt lgkmcnt(0)
	s_barrier
	ds_read_u16 v27, v14
	ds_read_u16 v29, v15 offset:16
	ds_read_u8 v28, v13 offset:4096
	ds_read_u8 v30, v13 offset:4104
	s_waitcnt lgkmcnt(2)
	v_cmp_lt_i16_e32 vcc, v27, v29
	s_waitcnt lgkmcnt(1)
	v_and_b32_e32 v31, 1, v28
	v_cmp_eq_u32_e64 s[0:1], 1, v31
	s_waitcnt lgkmcnt(0)
	v_cmp_ne_u16_e64 s[2:3], v30, v25
	v_cndmask_b32_e64 v31, 0, 1, s[2:3]
	s_and_b64 vcc, vcc, s[0:1]
	;; [unrolled: 27-line block ×4, first 2 shown]
	v_cndmask_b32_e32 v31, v31, v26, vcc
	v_and_b32_e32 v31, 1, v31
	v_cmp_eq_u32_e32 vcc, 1, v31
	s_and_saveexec_b64 s[0:1], vcc
	s_cbranch_execz .LBB87_59
; %bb.58:
	ds_write_b16 v7, v29
	ds_write_b16 v8, v27 offset:4
	ds_write_b8 v6, v30 offset:4096
	ds_write_b8 v6, v28 offset:4098
.LBB87_59:
	s_or_b64 exec, exec, s[0:1]
	s_waitcnt lgkmcnt(0)
	s_barrier
	ds_read_b32 v28, v3
	ds_read_u8 v27, v4 offset:4096
	ds_read_u8 v29, v4 offset:4097
	s_waitcnt lgkmcnt(2)
	v_cmp_lt_i16_sdwa s[2:3], v28, v28 src0_sel:DWORD src1_sel:WORD_1
	s_waitcnt lgkmcnt(1)
	v_and_b32_e32 v30, 1, v27
	v_cmp_eq_u32_e32 vcc, 1, v30
	s_waitcnt lgkmcnt(0)
	v_cmp_ne_u16_e64 s[0:1], v29, v25
	v_cndmask_b32_e64 v25, 0, 1, s[0:1]
	s_and_b64 vcc, s[2:3], vcc
	v_cndmask_b32_e32 v25, v25, v26, vcc
	v_and_b32_e32 v25, 1, v25
	v_cmp_eq_u32_e32 vcc, 1, v25
	s_and_saveexec_b64 s[0:1], vcc
	s_cbranch_execz .LBB87_61
; %bb.60:
	v_alignbit_b32 v25, v28, v28, 16
	ds_write_b32 v3, v25
	ds_write_b8 v4, v29 offset:4096
	ds_write_b8 v4, v27 offset:4097
.LBB87_61:
	s_or_b64 exec, exec, s[0:1]
	v_and_b32_e32 v25, 0x7f, v0
	v_sub_u32_e32 v27, v1, v25
	v_lshl_add_u32 v26, v27, 1, 2
	v_add_u32_e32 v25, 2, v27
	s_waitcnt lgkmcnt(0)
	s_barrier
	v_add_u32_e32 v27, v25, v27
	ds_read_u16 v29, v26
	ds_read_u16 v31, v27 offset:256
	ds_read_u8 v30, v25 offset:4096
	ds_read_u8 v32, v25 offset:4224
	v_lshrrev_b32_e32 v33, 7, v0
	v_and_b32_e32 v28, 0x80, v0
	v_cmp_ne_u32_e32 vcc, 0, v28
	v_and_b32_e32 v28, 1, v33
	s_waitcnt lgkmcnt(1)
	v_and_b32_e32 v34, 1, v30
	v_cmp_lt_i16_e64 s[0:1], v29, v31
	v_cmp_eq_u32_e64 s[2:3], 1, v34
	s_waitcnt lgkmcnt(0)
	v_cmp_ne_u16_e64 s[6:7], v32, v28
	v_cndmask_b32_e64 v34, 0, 1, s[6:7]
	s_and_b64 s[0:1], s[0:1], s[2:3]
	v_cndmask_b32_e64 v33, v34, v33, s[0:1]
	v_and_b32_e32 v33, 1, v33
	v_cmp_eq_u32_e64 s[0:1], 1, v33
	s_and_saveexec_b64 s[2:3], s[0:1]
	s_cbranch_execz .LBB87_63
; %bb.62:
	ds_write_b16 v26, v31
	ds_write_b16 v27, v29 offset:256
	ds_write_b8 v25, v32 offset:4096
	ds_write_b8 v25, v30 offset:4224
.LBB87_63:
	s_or_b64 exec, exec, s[2:3]
	s_waitcnt lgkmcnt(0)
	s_barrier
	ds_read_u16 v30, v23
	ds_read_u16 v32, v24 offset:128
	ds_read_u8 v31, v22 offset:4096
	ds_read_u8 v33, v22 offset:4160
	s_waitcnt lgkmcnt(2)
	v_cmp_lt_i16_e64 s[0:1], v30, v32
	s_waitcnt lgkmcnt(1)
	v_and_b32_e32 v29, 1, v31
	v_cmp_eq_u32_e64 s[2:3], 1, v29
	s_waitcnt lgkmcnt(0)
	v_cmp_ne_u16_e64 s[6:7], v33, v28
	v_cndmask_b32_e64 v34, 0, 1, s[6:7]
	v_cndmask_b32_e64 v29, 0, 1, vcc
	s_and_b64 vcc, s[0:1], s[2:3]
	v_cndmask_b32_e32 v34, v34, v29, vcc
	v_and_b32_e32 v34, 1, v34
	v_cmp_eq_u32_e32 vcc, 1, v34
	s_and_saveexec_b64 s[0:1], vcc
	s_cbranch_execz .LBB87_65
; %bb.64:
	ds_write_b16 v23, v32
	ds_write_b16 v24, v30 offset:128
	ds_write_b8 v22, v33 offset:4096
	ds_write_b8 v22, v31 offset:4160
.LBB87_65:
	s_or_b64 exec, exec, s[0:1]
	s_waitcnt lgkmcnt(0)
	s_barrier
	ds_read_u16 v30, v20
	ds_read_u16 v32, v21 offset:64
	ds_read_u8 v31, v19 offset:4096
	ds_read_u8 v33, v19 offset:4128
	s_waitcnt lgkmcnt(2)
	v_cmp_lt_i16_e32 vcc, v30, v32
	s_waitcnt lgkmcnt(1)
	v_and_b32_e32 v34, 1, v31
	v_cmp_eq_u32_e64 s[0:1], 1, v34
	s_waitcnt lgkmcnt(0)
	v_cmp_ne_u16_e64 s[2:3], v33, v28
	v_cndmask_b32_e64 v34, 0, 1, s[2:3]
	s_and_b64 vcc, vcc, s[0:1]
	v_cndmask_b32_e32 v34, v34, v29, vcc
	v_and_b32_e32 v34, 1, v34
	v_cmp_eq_u32_e32 vcc, 1, v34
	s_and_saveexec_b64 s[0:1], vcc
	s_cbranch_execz .LBB87_67
; %bb.66:
	ds_write_b16 v20, v32
	ds_write_b16 v21, v30 offset:64
	ds_write_b8 v19, v33 offset:4096
	ds_write_b8 v19, v31 offset:4128
.LBB87_67:
	s_or_b64 exec, exec, s[0:1]
	s_waitcnt lgkmcnt(0)
	s_barrier
	ds_read_u16 v30, v17
	ds_read_u16 v32, v18 offset:32
	ds_read_u8 v31, v16 offset:4096
	ds_read_u8 v33, v16 offset:4112
	s_waitcnt lgkmcnt(2)
	v_cmp_lt_i16_e32 vcc, v30, v32
	s_waitcnt lgkmcnt(1)
	v_and_b32_e32 v34, 1, v31
	v_cmp_eq_u32_e64 s[0:1], 1, v34
	s_waitcnt lgkmcnt(0)
	v_cmp_ne_u16_e64 s[2:3], v33, v28
	v_cndmask_b32_e64 v34, 0, 1, s[2:3]
	s_and_b64 vcc, vcc, s[0:1]
	;; [unrolled: 27-line block ×5, first 2 shown]
	v_cndmask_b32_e32 v34, v34, v29, vcc
	v_and_b32_e32 v34, 1, v34
	v_cmp_eq_u32_e32 vcc, 1, v34
	s_and_saveexec_b64 s[0:1], vcc
	s_cbranch_execz .LBB87_75
; %bb.74:
	ds_write_b16 v7, v32
	ds_write_b16 v8, v30 offset:4
	ds_write_b8 v6, v33 offset:4096
	ds_write_b8 v6, v31 offset:4098
.LBB87_75:
	s_or_b64 exec, exec, s[0:1]
	s_waitcnt lgkmcnt(0)
	s_barrier
	ds_read_b32 v31, v3
	ds_read_u8 v30, v4 offset:4096
	ds_read_u8 v32, v4 offset:4097
	s_waitcnt lgkmcnt(2)
	v_cmp_lt_i16_sdwa s[2:3], v31, v31 src0_sel:DWORD src1_sel:WORD_1
	s_waitcnt lgkmcnt(1)
	v_and_b32_e32 v33, 1, v30
	v_cmp_eq_u32_e32 vcc, 1, v33
	s_waitcnt lgkmcnt(0)
	v_cmp_ne_u16_e64 s[0:1], v32, v28
	v_cndmask_b32_e64 v28, 0, 1, s[0:1]
	s_and_b64 vcc, s[2:3], vcc
	v_cndmask_b32_e32 v28, v28, v29, vcc
	v_and_b32_e32 v28, 1, v28
	v_cmp_eq_u32_e32 vcc, 1, v28
	s_and_saveexec_b64 s[0:1], vcc
	s_cbranch_execz .LBB87_77
; %bb.76:
	v_alignbit_b32 v28, v31, v31, 16
	ds_write_b32 v3, v28
	ds_write_b8 v4, v32 offset:4096
	ds_write_b8 v4, v30 offset:4097
.LBB87_77:
	s_or_b64 exec, exec, s[0:1]
	v_sub_u32_sdwa v30, v1, v0 dst_sel:DWORD dst_unused:UNUSED_PAD src0_sel:DWORD src1_sel:BYTE_0
	v_lshl_add_u32 v29, v30, 1, 2
	v_add_u32_e32 v28, 2, v30
	v_and_b32_e32 v35, 0x100, v0
	s_waitcnt lgkmcnt(0)
	s_barrier
	v_add_u32_e32 v30, v28, v30
	ds_read_u16 v32, v29
	ds_read_u16 v34, v30 offset:512
	ds_read_u8 v33, v28 offset:4096
	v_cmp_ne_u32_e32 vcc, 0, v35
	ds_read_u8 v35, v28 offset:4352
	v_bfe_u32 v36, v0, 8, 1
	s_waitcnt lgkmcnt(2)
	v_cmp_lt_i16_e64 s[0:1], v32, v34
	s_waitcnt lgkmcnt(1)
	v_and_b32_e32 v37, 1, v33
	v_cmp_eq_u32_e64 s[2:3], 1, v37
	s_waitcnt lgkmcnt(0)
	v_cmp_ne_u16_e64 s[6:7], v35, v36
	v_cndmask_b32_e64 v37, 0, 1, s[6:7]
	s_and_b64 s[0:1], s[0:1], s[2:3]
	v_cndmask_b32_e64 v36, v37, v36, s[0:1]
	v_and_b32_e32 v36, 1, v36
	v_and_b32_e32 v31, 0x100, v0
	v_cmp_eq_u32_e64 s[0:1], 1, v36
	s_and_saveexec_b64 s[2:3], s[0:1]
	s_cbranch_execz .LBB87_79
; %bb.78:
	ds_write_b16 v29, v34
	ds_write_b16 v30, v32 offset:512
	ds_write_b8 v28, v35 offset:4096
	ds_write_b8 v28, v33 offset:4352
.LBB87_79:
	s_or_b64 exec, exec, s[2:3]
	s_waitcnt lgkmcnt(0)
	s_barrier
	ds_read_u16 v33, v26
	ds_read_u16 v35, v27 offset:256
	ds_read_u8 v34, v25 offset:4096
	ds_read_u8 v36, v25 offset:4224
	v_lshrrev_b32_e32 v31, 8, v31
	s_waitcnt lgkmcnt(2)
	v_cmp_lt_i16_e64 s[0:1], v33, v35
	s_waitcnt lgkmcnt(1)
	v_and_b32_e32 v32, 1, v34
	v_cmp_eq_u32_e64 s[2:3], 1, v32
	s_waitcnt lgkmcnt(0)
	v_cmp_ne_u16_e64 s[6:7], v36, v31
	v_cndmask_b32_e64 v37, 0, 1, s[6:7]
	v_cndmask_b32_e64 v32, 0, 1, vcc
	s_and_b64 vcc, s[0:1], s[2:3]
	v_cndmask_b32_e32 v37, v37, v32, vcc
	v_and_b32_e32 v37, 1, v37
	v_cmp_eq_u32_e32 vcc, 1, v37
	s_and_saveexec_b64 s[0:1], vcc
	s_cbranch_execz .LBB87_81
; %bb.80:
	ds_write_b16 v26, v35
	ds_write_b16 v27, v33 offset:256
	ds_write_b8 v25, v36 offset:4096
	ds_write_b8 v25, v34 offset:4224
.LBB87_81:
	s_or_b64 exec, exec, s[0:1]
	s_waitcnt lgkmcnt(0)
	s_barrier
	ds_read_u16 v33, v23
	ds_read_u16 v35, v24 offset:128
	ds_read_u8 v34, v22 offset:4096
	ds_read_u8 v36, v22 offset:4160
	s_waitcnt lgkmcnt(2)
	v_cmp_lt_i16_e32 vcc, v33, v35
	s_waitcnt lgkmcnt(1)
	v_and_b32_e32 v37, 1, v34
	v_cmp_eq_u32_e64 s[0:1], 1, v37
	s_waitcnt lgkmcnt(0)
	v_cmp_ne_u16_e64 s[2:3], v36, v31
	v_cndmask_b32_e64 v37, 0, 1, s[2:3]
	s_and_b64 vcc, vcc, s[0:1]
	v_cndmask_b32_e32 v37, v37, v32, vcc
	v_and_b32_e32 v37, 1, v37
	v_cmp_eq_u32_e32 vcc, 1, v37
	s_and_saveexec_b64 s[0:1], vcc
	s_cbranch_execz .LBB87_83
; %bb.82:
	ds_write_b16 v23, v35
	ds_write_b16 v24, v33 offset:128
	ds_write_b8 v22, v36 offset:4096
	ds_write_b8 v22, v34 offset:4160
.LBB87_83:
	s_or_b64 exec, exec, s[0:1]
	s_waitcnt lgkmcnt(0)
	s_barrier
	ds_read_u16 v33, v20
	ds_read_u16 v35, v21 offset:64
	ds_read_u8 v34, v19 offset:4096
	ds_read_u8 v36, v19 offset:4128
	s_waitcnt lgkmcnt(2)
	v_cmp_lt_i16_e32 vcc, v33, v35
	s_waitcnt lgkmcnt(1)
	v_and_b32_e32 v37, 1, v34
	v_cmp_eq_u32_e64 s[0:1], 1, v37
	s_waitcnt lgkmcnt(0)
	v_cmp_ne_u16_e64 s[2:3], v36, v31
	v_cndmask_b32_e64 v37, 0, 1, s[2:3]
	s_and_b64 vcc, vcc, s[0:1]
	;; [unrolled: 27-line block ×6, first 2 shown]
	v_cndmask_b32_e32 v37, v37, v32, vcc
	v_and_b32_e32 v37, 1, v37
	v_cmp_eq_u32_e32 vcc, 1, v37
	s_and_saveexec_b64 s[0:1], vcc
	s_cbranch_execz .LBB87_93
; %bb.92:
	ds_write_b16 v7, v35
	ds_write_b16 v8, v33 offset:4
	ds_write_b8 v6, v36 offset:4096
	ds_write_b8 v6, v34 offset:4098
.LBB87_93:
	s_or_b64 exec, exec, s[0:1]
	s_waitcnt lgkmcnt(0)
	s_barrier
	ds_read_b32 v34, v3
	ds_read_u8 v33, v4 offset:4096
	ds_read_u8 v35, v4 offset:4097
	s_waitcnt lgkmcnt(2)
	v_cmp_lt_i16_sdwa s[2:3], v34, v34 src0_sel:DWORD src1_sel:WORD_1
	s_waitcnt lgkmcnt(1)
	v_and_b32_e32 v36, 1, v33
	v_cmp_eq_u32_e32 vcc, 1, v36
	s_waitcnt lgkmcnt(0)
	v_cmp_ne_u16_e64 s[0:1], v35, v31
	v_cndmask_b32_e64 v31, 0, 1, s[0:1]
	s_and_b64 vcc, s[2:3], vcc
	v_cndmask_b32_e32 v31, v31, v32, vcc
	v_and_b32_e32 v31, 1, v31
	v_cmp_eq_u32_e32 vcc, 1, v31
	s_and_saveexec_b64 s[0:1], vcc
	s_cbranch_execz .LBB87_95
; %bb.94:
	v_alignbit_b32 v31, v34, v34, 16
	ds_write_b32 v3, v31
	ds_write_b8 v4, v35 offset:4096
	ds_write_b8 v4, v33 offset:4097
.LBB87_95:
	s_or_b64 exec, exec, s[0:1]
	v_and_b32_e32 v31, 0x1ff, v0
	v_sub_u32_e32 v33, v1, v31
	v_lshl_add_u32 v32, v33, 1, 2
	v_add_u32_e32 v31, 2, v33
	s_waitcnt lgkmcnt(0)
	s_barrier
	v_add_u32_e32 v33, v31, v33
	ds_read_u16 v35, v32
	ds_read_u16 v37, v33 offset:1024
	ds_read_u8 v36, v31 offset:4096
	ds_read_u8 v38, v31 offset:4608
	s_movk_i32 s0, 0x1ff
	v_cmp_lt_u32_e32 vcc, s0, v0
	v_cndmask_b32_e64 v34, 0, 1, vcc
	s_waitcnt lgkmcnt(1)
	v_and_b32_e32 v39, 1, v36
	v_cmp_lt_i16_e32 vcc, v35, v37
	v_cmp_eq_u32_e64 s[0:1], 1, v39
	s_waitcnt lgkmcnt(0)
	v_cmp_ne_u16_e64 s[2:3], v38, v34
	v_cndmask_b32_e64 v39, 0, 1, s[2:3]
	s_and_b64 vcc, vcc, s[0:1]
	v_cndmask_b32_e32 v39, v39, v34, vcc
	v_and_b32_e32 v39, 1, v39
	v_cmp_eq_u32_e32 vcc, 1, v39
	s_and_saveexec_b64 s[0:1], vcc
	s_cbranch_execz .LBB87_97
; %bb.96:
	ds_write_b16 v32, v37
	ds_write_b16 v33, v35 offset:1024
	ds_write_b8 v31, v38 offset:4096
	ds_write_b8 v31, v36 offset:4608
.LBB87_97:
	s_or_b64 exec, exec, s[0:1]
	s_waitcnt lgkmcnt(0)
	s_barrier
	ds_read_u16 v35, v29
	ds_read_u16 v37, v30 offset:512
	ds_read_u8 v36, v28 offset:4096
	ds_read_u8 v38, v28 offset:4352
	s_waitcnt lgkmcnt(2)
	v_cmp_lt_i16_e32 vcc, v35, v37
	s_waitcnt lgkmcnt(1)
	v_and_b32_e32 v39, 1, v36
	v_cmp_eq_u32_e64 s[0:1], 1, v39
	s_waitcnt lgkmcnt(0)
	v_cmp_ne_u16_e64 s[2:3], v38, v34
	v_cndmask_b32_e64 v39, 0, 1, s[2:3]
	s_and_b64 vcc, vcc, s[0:1]
	v_cndmask_b32_e32 v39, v39, v34, vcc
	v_and_b32_e32 v39, 1, v39
	v_cmp_eq_u32_e32 vcc, 1, v39
	s_and_saveexec_b64 s[0:1], vcc
	s_cbranch_execz .LBB87_99
; %bb.98:
	ds_write_b16 v29, v37
	ds_write_b16 v30, v35 offset:512
	ds_write_b8 v28, v38 offset:4096
	ds_write_b8 v28, v36 offset:4352
.LBB87_99:
	s_or_b64 exec, exec, s[0:1]
	s_waitcnt lgkmcnt(0)
	s_barrier
	ds_read_u16 v35, v26
	ds_read_u16 v37, v27 offset:256
	ds_read_u8 v36, v25 offset:4096
	ds_read_u8 v38, v25 offset:4224
	s_waitcnt lgkmcnt(2)
	v_cmp_lt_i16_e32 vcc, v35, v37
	s_waitcnt lgkmcnt(1)
	v_and_b32_e32 v39, 1, v36
	;; [unrolled: 27-line block ×8, first 2 shown]
	v_cmp_eq_u32_e64 s[0:1], 1, v39
	s_waitcnt lgkmcnt(0)
	v_cmp_ne_u16_e64 s[2:3], v38, v34
	v_cndmask_b32_e64 v39, 0, 1, s[2:3]
	s_and_b64 vcc, vcc, s[0:1]
	v_cndmask_b32_e32 v39, v39, v34, vcc
	v_and_b32_e32 v39, 1, v39
	v_cmp_eq_u32_e32 vcc, 1, v39
	s_and_saveexec_b64 s[0:1], vcc
	s_cbranch_execz .LBB87_113
; %bb.112:
	ds_write_b16 v7, v37
	ds_write_b16 v8, v35 offset:4
	ds_write_b8 v6, v38 offset:4096
	ds_write_b8 v6, v36 offset:4098
.LBB87_113:
	s_or_b64 exec, exec, s[0:1]
	s_waitcnt lgkmcnt(0)
	s_barrier
	ds_read_b32 v36, v3
	ds_read_u8 v35, v4 offset:4096
	ds_read_u8 v37, v4 offset:4097
	s_waitcnt lgkmcnt(2)
	v_cmp_lt_i16_sdwa s[2:3], v36, v36 src0_sel:DWORD src1_sel:WORD_1
	s_waitcnt lgkmcnt(1)
	v_and_b32_e32 v38, 1, v35
	v_cmp_eq_u32_e32 vcc, 1, v38
	s_waitcnt lgkmcnt(0)
	v_cmp_ne_u16_e64 s[0:1], v37, v34
	v_cndmask_b32_e64 v38, 0, 1, s[0:1]
	s_and_b64 vcc, s[2:3], vcc
	v_cndmask_b32_e32 v34, v38, v34, vcc
	v_and_b32_e32 v34, 1, v34
	v_cmp_eq_u32_e32 vcc, 1, v34
	s_and_saveexec_b64 s[0:1], vcc
	s_cbranch_execz .LBB87_115
; %bb.114:
	v_alignbit_b32 v34, v36, v36, 16
	ds_write_b32 v3, v34
	ds_write_b8 v4, v37 offset:4096
	ds_write_b8 v4, v35 offset:4097
.LBB87_115:
	s_or_b64 exec, exec, s[0:1]
	s_waitcnt lgkmcnt(0)
	s_barrier
	ds_read_u16 v35, v12
	ds_read_u16 v37, v12 offset:2048
	ds_read_u8 v36, v2 offset:4096
	ds_read_u8 v38, v2 offset:5120
	s_waitcnt lgkmcnt(2)
	v_cmp_ge_i16_e32 vcc, v35, v37
	s_waitcnt lgkmcnt(1)
	v_and_b32_e32 v34, 1, v36
	v_cmp_eq_u32_e64 s[0:1], 1, v34
	s_xor_b64 s[0:1], s[0:1], -1
	v_mov_b32_e32 v34, 0
	s_or_b64 s[0:1], vcc, s[0:1]
	s_waitcnt lgkmcnt(0)
	v_cmp_ne_u16_sdwa s[2:3], v38, v34 src0_sel:BYTE_0 src1_sel:DWORD
	s_and_b64 s[2:3], s[0:1], s[2:3]
	s_and_saveexec_b64 s[0:1], s[2:3]
	s_cbranch_execz .LBB87_117
; %bb.116:
	ds_write_b16 v12, v37
	ds_write_b16 v12, v35 offset:2048
	v_mov_b32_e32 v12, 1
	ds_write_b8 v2, v12 offset:4096
	ds_write_b8 v2, v36 offset:5120
.LBB87_117:
	s_or_b64 exec, exec, s[0:1]
	s_waitcnt lgkmcnt(0)
	s_barrier
	ds_read_u16 v12, v32
	ds_read_u16 v36, v33 offset:1024
	ds_read_u8 v35, v31 offset:4096
	ds_read_u8 v37, v31 offset:4608
	s_waitcnt lgkmcnt(2)
	v_cmp_ge_i16_e32 vcc, v12, v36
	s_waitcnt lgkmcnt(1)
	v_and_b32_e32 v38, 1, v35
	v_cmp_eq_u32_e64 s[0:1], 1, v38
	s_xor_b64 s[0:1], s[0:1], -1
	s_or_b64 s[0:1], vcc, s[0:1]
	s_waitcnt lgkmcnt(0)
	v_cmp_ne_u16_sdwa s[2:3], v37, v34 src0_sel:BYTE_0 src1_sel:DWORD
	s_and_b64 s[2:3], s[0:1], s[2:3]
	s_and_saveexec_b64 s[0:1], s[2:3]
	s_cbranch_execz .LBB87_119
; %bb.118:
	ds_write_b16 v32, v36
	ds_write_b16 v33, v12 offset:1024
	v_mov_b32_e32 v12, 1
	ds_write_b8 v31, v12 offset:4096
	ds_write_b8 v31, v35 offset:4608
.LBB87_119:
	s_or_b64 exec, exec, s[0:1]
	s_waitcnt lgkmcnt(0)
	s_barrier
	ds_read_u16 v31, v29
	ds_read_u16 v33, v30 offset:512
	ds_read_u8 v32, v28 offset:4096
	ds_read_u8 v34, v28 offset:4352
	s_waitcnt lgkmcnt(2)
	v_cmp_ge_i16_e32 vcc, v31, v33
	s_waitcnt lgkmcnt(1)
	v_and_b32_e32 v12, 1, v32
	v_cmp_eq_u32_e64 s[0:1], 1, v12
	s_xor_b64 s[0:1], s[0:1], -1
	v_mov_b32_e32 v12, 0
	s_or_b64 s[0:1], vcc, s[0:1]
	s_waitcnt lgkmcnt(0)
	v_cmp_ne_u16_sdwa s[2:3], v34, v12 src0_sel:BYTE_0 src1_sel:DWORD
	s_and_b64 s[2:3], s[0:1], s[2:3]
	s_and_saveexec_b64 s[0:1], s[2:3]
	s_cbranch_execz .LBB87_121
; %bb.120:
	ds_write_b16 v29, v33
	ds_write_b16 v30, v31 offset:512
	v_mov_b32_e32 v29, 1
	ds_write_b8 v28, v29 offset:4096
	ds_write_b8 v28, v32 offset:4352
.LBB87_121:
	s_or_b64 exec, exec, s[0:1]
	s_waitcnt lgkmcnt(0)
	s_barrier
	ds_read_u16 v28, v26
	ds_read_u16 v30, v27 offset:256
	ds_read_u8 v29, v25 offset:4096
	ds_read_u8 v31, v25 offset:4224
	s_waitcnt lgkmcnt(2)
	v_cmp_ge_i16_e32 vcc, v28, v30
	s_waitcnt lgkmcnt(1)
	v_and_b32_e32 v32, 1, v29
	v_cmp_eq_u32_e64 s[0:1], 1, v32
	s_xor_b64 s[0:1], s[0:1], -1
	s_or_b64 s[0:1], vcc, s[0:1]
	s_waitcnt lgkmcnt(0)
	v_cmp_ne_u16_sdwa s[2:3], v31, v12 src0_sel:BYTE_0 src1_sel:DWORD
	s_and_b64 s[2:3], s[0:1], s[2:3]
	s_and_saveexec_b64 s[0:1], s[2:3]
	s_cbranch_execz .LBB87_123
; %bb.122:
	v_mov_b32_e32 v12, 1
	ds_write_b16 v26, v30
	ds_write_b16 v27, v28 offset:256
	ds_write_b8 v25, v12 offset:4096
	ds_write_b8 v25, v29 offset:4224
.LBB87_123:
	s_or_b64 exec, exec, s[0:1]
	s_waitcnt lgkmcnt(0)
	s_barrier
	ds_read_u16 v25, v23
	ds_read_u16 v27, v24 offset:128
	ds_read_u8 v26, v22 offset:4096
	ds_read_u8 v28, v22 offset:4160
	s_waitcnt lgkmcnt(2)
	v_cmp_ge_i16_e32 vcc, v25, v27
	s_waitcnt lgkmcnt(1)
	v_and_b32_e32 v12, 1, v26
	v_cmp_eq_u32_e64 s[0:1], 1, v12
	s_xor_b64 s[0:1], s[0:1], -1
	v_mov_b32_e32 v12, 0
	s_or_b64 s[0:1], vcc, s[0:1]
	s_waitcnt lgkmcnt(0)
	v_cmp_ne_u16_sdwa s[2:3], v28, v12 src0_sel:BYTE_0 src1_sel:DWORD
	s_and_b64 s[2:3], s[0:1], s[2:3]
	s_and_saveexec_b64 s[0:1], s[2:3]
	s_cbranch_execz .LBB87_125
; %bb.124:
	ds_write_b16 v23, v27
	ds_write_b16 v24, v25 offset:128
	v_mov_b32_e32 v23, 1
	ds_write_b8 v22, v23 offset:4096
	ds_write_b8 v22, v26 offset:4160
.LBB87_125:
	s_or_b64 exec, exec, s[0:1]
	s_waitcnt lgkmcnt(0)
	s_barrier
	ds_read_u16 v22, v20
	ds_read_u16 v24, v21 offset:64
	ds_read_u8 v23, v19 offset:4096
	ds_read_u8 v25, v19 offset:4128
	s_waitcnt lgkmcnt(2)
	v_cmp_ge_i16_e32 vcc, v22, v24
	s_waitcnt lgkmcnt(1)
	v_and_b32_e32 v26, 1, v23
	v_cmp_eq_u32_e64 s[0:1], 1, v26
	s_xor_b64 s[0:1], s[0:1], -1
	s_or_b64 s[0:1], vcc, s[0:1]
	s_waitcnt lgkmcnt(0)
	v_cmp_ne_u16_sdwa s[2:3], v25, v12 src0_sel:BYTE_0 src1_sel:DWORD
	s_and_b64 s[2:3], s[0:1], s[2:3]
	s_and_saveexec_b64 s[0:1], s[2:3]
	s_cbranch_execz .LBB87_127
; %bb.126:
	v_mov_b32_e32 v12, 1
	ds_write_b16 v20, v24
	ds_write_b16 v21, v22 offset:64
	ds_write_b8 v19, v12 offset:4096
	ds_write_b8 v19, v23 offset:4128
.LBB87_127:
	;; [unrolled: 53-line block ×3, first 2 shown]
	s_or_b64 exec, exec, s[0:1]
	s_waitcnt lgkmcnt(0)
	s_barrier
	ds_read_u16 v13, v10
	ds_read_u16 v15, v11 offset:8
	ds_read_u8 v14, v9 offset:4096
	ds_read_u8 v16, v9 offset:4100
	s_waitcnt lgkmcnt(2)
	v_cmp_ge_i16_e32 vcc, v13, v15
	s_waitcnt lgkmcnt(1)
	v_and_b32_e32 v12, 1, v14
	v_cmp_eq_u32_e64 s[0:1], 1, v12
	s_xor_b64 s[0:1], s[0:1], -1
	v_mov_b32_e32 v12, 0
	s_or_b64 s[0:1], vcc, s[0:1]
	s_waitcnt lgkmcnt(0)
	v_cmp_ne_u16_sdwa s[2:3], v16, v12 src0_sel:BYTE_0 src1_sel:DWORD
	s_and_b64 s[2:3], s[0:1], s[2:3]
	s_and_saveexec_b64 s[0:1], s[2:3]
	s_cbranch_execz .LBB87_133
; %bb.132:
	ds_write_b16 v10, v15
	ds_write_b16 v11, v13 offset:8
	v_mov_b32_e32 v10, 1
	ds_write_b8 v9, v10 offset:4096
	ds_write_b8 v9, v14 offset:4100
.LBB87_133:
	s_or_b64 exec, exec, s[0:1]
	s_waitcnt lgkmcnt(0)
	s_barrier
	ds_read_u16 v9, v7
	ds_read_u16 v11, v8 offset:4
	ds_read_u8 v10, v6 offset:4096
	ds_read_u8 v13, v6 offset:4098
	s_waitcnt lgkmcnt(2)
	v_cmp_ge_i16_e32 vcc, v9, v11
	s_waitcnt lgkmcnt(1)
	v_and_b32_e32 v14, 1, v10
	v_cmp_eq_u32_e64 s[0:1], 1, v14
	s_xor_b64 s[0:1], s[0:1], -1
	s_or_b64 s[0:1], vcc, s[0:1]
	s_waitcnt lgkmcnt(0)
	v_cmp_ne_u16_sdwa s[2:3], v13, v12 src0_sel:BYTE_0 src1_sel:DWORD
	s_and_b64 s[2:3], s[0:1], s[2:3]
	s_and_saveexec_b64 s[0:1], s[2:3]
	s_cbranch_execz .LBB87_135
; %bb.134:
	ds_write_b16 v7, v11
	ds_write_b16 v8, v9 offset:4
	v_mov_b32_e32 v7, 1
	ds_write_b8 v6, v7 offset:4096
	ds_write_b8 v6, v10 offset:4098
.LBB87_135:
	s_or_b64 exec, exec, s[0:1]
	s_waitcnt lgkmcnt(0)
	s_barrier
	ds_read_b32 v7, v3
	ds_read_u8 v6, v4 offset:4096
	ds_read_u8 v8, v4 offset:4097
	s_waitcnt lgkmcnt(2)
	v_cmp_ge_i16_sdwa s[0:1], v7, v7 src0_sel:DWORD src1_sel:WORD_1
	s_waitcnt lgkmcnt(1)
	v_and_b32_e32 v9, 1, v6
	v_cmp_eq_u32_e32 vcc, 1, v9
	s_xor_b64 s[2:3], vcc, -1
	v_mov_b32_e32 v9, 0
	s_or_b64 s[0:1], s[0:1], s[2:3]
	s_waitcnt lgkmcnt(0)
	v_cmp_ne_u16_sdwa s[2:3], v8, v9 src0_sel:BYTE_0 src1_sel:DWORD
	s_and_b64 s[2:3], s[0:1], s[2:3]
	s_and_saveexec_b64 s[0:1], s[2:3]
	s_cbranch_execz .LBB87_137
; %bb.136:
	v_alignbit_b32 v7, v7, v7, 16
	ds_write_b32 v3, v7
	v_mov_b32_e32 v7, 1
	ds_write_b8 v4, v7 offset:4096
	ds_write_b8 v4, v6 offset:4097
.LBB87_137:
	s_or_b64 exec, exec, s[0:1]
	v_cmp_eq_u32_e32 vcc, 0, v0
	s_waitcnt lgkmcnt(0)
	s_barrier
	s_barrier
	s_and_saveexec_b64 s[0:1], vcc
	s_cbranch_execz .LBB87_139
; %bb.138:
	v_mov_b32_e32 v4, 1
	v_mov_b32_e32 v6, 2
	ds_write_b8 v6, v4 offset:4100
	v_mov_b32_e32 v4, 0
	ds_write_b32 v6, v4 offset:4096
.LBB87_139:
	s_or_b64 exec, exec, s[0:1]
	ds_read_u16 v7, v3
	ds_read_u16 v6, v3 offset:2
	v_mad_u32_u24 v3, v0, 15, v2
	v_mul_u32_u24_e32 v4, 15, v0
	s_waitcnt lgkmcnt(0)
	v_cmp_ne_u16_e64 s[0:1], v7, v6
	v_cndmask_b32_e64 v8, 0, 1, s[0:1]
	v_cmp_eq_u16_e64 s[0:1], v7, v6
	v_cndmask_b32_e64 v7, 0, 1, s[0:1]
	s_movk_i32 s0, 0x3ff
	ds_write_b8 v3, v8 offset:4108
	ds_write_b32 v3, v7 offset:4104
	v_cmp_ne_u32_e64 s[2:3], s0, v0
	v_mov_b32_e32 v3, 0x800
	s_and_saveexec_b64 s[6:7], s[2:3]
	s_cbranch_execz .LBB87_141
; %bb.140:
	v_lshl_add_u32 v7, v1, 1, 2
	ds_read_u16 v8, v7 offset:4
	v_add_u32_e32 v3, 2, v1
	v_mad_u32_u24 v7, v0, 12, v7
	s_waitcnt lgkmcnt(0)
	v_cmp_ne_u16_e64 s[0:1], v6, v8
	v_cndmask_b32_e64 v9, 0, 1, s[0:1]
	v_cmp_eq_u16_e64 s[0:1], v6, v8
	v_cndmask_b32_e64 v6, 0, 1, s[0:1]
	ds_write_b8 v7, v9 offset:4116
	ds_write_b32 v7, v6 offset:4112
.LBB87_141:
	s_or_b64 exec, exec, s[6:7]
	v_add_u32_e32 v2, v2, v4
	s_waitcnt lgkmcnt(0)
	s_barrier
	ds_read_u8 v4, v2 offset:4108
	v_add_u32_e32 v6, 0x1000, v2
	ds_read2_b32 v[6:7], v6 offset1:2
	ds_read_u8 v8, v2 offset:4100
	v_add_u32_e32 v9, 0x1008, v2
	s_waitcnt lgkmcnt(2)
	v_and_b32_e32 v10, 1, v4
	v_cmp_eq_u32_e64 s[0:1], 1, v10
	s_waitcnt lgkmcnt(1)
	v_cndmask_b32_e64 v6, v6, 0, s[0:1]
	s_waitcnt lgkmcnt(0)
	v_or_b32_e32 v4, v8, v4
	v_add_u32_e32 v6, v6, v7
	v_and_b32_e32 v4, 1, v4
	ds_write2_b32 v9, v6, v4 offset1:1
	v_lshlrev_b32_e32 v4, 1, v3
	s_movk_i32 s0, 0x200
	v_cmp_gt_u32_e64 s[0:1], s0, v0
	v_lshl_add_u32 v4, v4, 3, 2
	s_waitcnt lgkmcnt(0)
	s_barrier
	s_and_saveexec_b64 s[6:7], s[0:1]
	s_cbranch_execz .LBB87_143
; %bb.142:
	ds_read_u8 v8, v4 offset:4092
	v_add_u32_e32 v6, 0xc00, v4
	ds_read2_b32 v[6:7], v6 offset0:250 offset1:254
	ds_read_u8 v9, v4 offset:4076
	v_add_u32_e32 v10, 0xff8, v4
	s_waitcnt lgkmcnt(2)
	v_and_b32_e32 v11, 1, v8
	v_cmp_eq_u32_e64 s[0:1], 1, v11
	s_waitcnt lgkmcnt(1)
	v_cndmask_b32_e64 v6, v6, 0, s[0:1]
	v_add_u32_e32 v6, v6, v7
	s_waitcnt lgkmcnt(0)
	v_or_b32_e32 v7, v9, v8
	v_and_b32_e32 v7, 1, v7
	ds_write2_b32 v10, v6, v7 offset1:1
.LBB87_143:
	s_or_b64 exec, exec, s[6:7]
	v_lshlrev_b32_e32 v6, 2, v3
	s_movk_i32 s0, 0x100
	v_cmp_gt_u32_e64 s[0:1], s0, v0
	v_lshl_add_u32 v6, v6, 3, 2
	s_waitcnt lgkmcnt(0)
	s_barrier
	s_and_saveexec_b64 s[6:7], s[0:1]
	s_cbranch_execz .LBB87_145
; %bb.144:
	ds_read_u8 v9, v6 offset:4092
	v_add_u32_e32 v7, 0xc00, v6
	ds_read2_b32 v[7:8], v7 offset0:246 offset1:254
	ds_read_u8 v10, v6 offset:4060
	v_add_u32_e32 v11, 0xff8, v6
	s_waitcnt lgkmcnt(2)
	v_and_b32_e32 v12, 1, v9
	v_cmp_eq_u32_e64 s[0:1], 1, v12
	s_waitcnt lgkmcnt(1)
	v_cndmask_b32_e64 v7, v7, 0, s[0:1]
	v_add_u32_e32 v7, v7, v8
	s_waitcnt lgkmcnt(0)
	v_or_b32_e32 v8, v10, v9
	v_and_b32_e32 v8, 1, v8
	ds_write2_b32 v11, v7, v8 offset1:1
.LBB87_145:
	s_or_b64 exec, exec, s[6:7]
	v_lshlrev_b32_e32 v7, 3, v3
	s_movk_i32 s0, 0x80
	v_cmp_gt_u32_e64 s[0:1], s0, v0
	v_lshl_add_u32 v7, v7, 3, 2
	s_waitcnt lgkmcnt(0)
	s_barrier
	s_and_saveexec_b64 s[6:7], s[0:1]
	s_cbranch_execz .LBB87_147
; %bb.146:
	ds_read_u8 v10, v7 offset:4092
	ds_read_u8 v12, v7 offset:4028
	v_add_u32_e32 v8, 0xc00, v7
	ds_read2_b32 v[8:9], v8 offset0:238 offset1:254
	v_add_u32_e32 v11, 0xff8, v7
	s_waitcnt lgkmcnt(2)
	v_and_b32_e32 v13, 1, v10
	v_cmp_eq_u32_e64 s[0:1], 1, v13
	s_waitcnt lgkmcnt(0)
	v_cndmask_b32_e64 v8, v8, 0, s[0:1]
	v_add_u32_e32 v8, v8, v9
	v_or_b32_e32 v9, v12, v10
	v_and_b32_e32 v9, 1, v9
	ds_write2_b32 v11, v8, v9 offset1:1
.LBB87_147:
	s_or_b64 exec, exec, s[6:7]
	v_lshlrev_b32_e32 v8, 4, v3
	v_cmp_gt_u32_e64 s[0:1], 64, v0
	v_lshl_add_u32 v8, v8, 3, 2
	s_waitcnt lgkmcnt(0)
	s_barrier
	s_and_saveexec_b64 s[8:9], s[0:1]
	s_cbranch_execz .LBB87_149
; %bb.148:
	ds_read_u8 v11, v8 offset:4092
	ds_read_u8 v13, v8 offset:3964
	v_add_u32_e32 v9, 0xc00, v8
	ds_read2_b32 v[9:10], v9 offset0:222 offset1:254
	v_add_u32_e32 v12, 0xff8, v8
	s_waitcnt lgkmcnt(2)
	v_and_b32_e32 v14, 1, v11
	v_cmp_eq_u32_e64 s[6:7], 1, v14
	s_waitcnt lgkmcnt(0)
	v_cndmask_b32_e64 v9, v9, 0, s[6:7]
	v_add_u32_e32 v9, v9, v10
	v_or_b32_e32 v10, v13, v11
	v_and_b32_e32 v10, 1, v10
	ds_write2_b32 v12, v9, v10 offset1:1
.LBB87_149:
	s_or_b64 exec, exec, s[8:9]
	v_lshlrev_b32_e32 v9, 5, v3
	v_cmp_gt_u32_e64 s[6:7], 32, v0
	v_lshl_add_u32 v9, v9, 3, 2
	s_waitcnt lgkmcnt(0)
	s_barrier
	s_and_saveexec_b64 s[8:9], s[6:7]
	s_cbranch_execz .LBB87_151
; %bb.150:
	ds_read_u8 v12, v9 offset:4092
	ds_read_u8 v14, v9 offset:3836
	v_add_u32_e32 v10, 0xf8, v9
	ds_read2st64_b32 v[10:11], v10 offset0:14 offset1:15
	v_add_u32_e32 v13, 0xff8, v9
	s_waitcnt lgkmcnt(2)
	v_and_b32_e32 v15, 1, v12
	v_cmp_eq_u32_e64 s[6:7], 1, v15
	s_waitcnt lgkmcnt(0)
	v_cndmask_b32_e64 v10, v10, 0, s[6:7]
	v_add_u32_e32 v10, v10, v11
	v_or_b32_e32 v11, v14, v12
	v_and_b32_e32 v11, 1, v11
	ds_write2_b32 v13, v10, v11 offset1:1
.LBB87_151:
	s_or_b64 exec, exec, s[8:9]
	v_lshlrev_b32_e32 v10, 6, v3
	v_cmp_gt_u32_e64 s[6:7], 16, v0
	v_lshl_add_u32 v10, v10, 3, 2
	s_waitcnt lgkmcnt(0)
	s_barrier
	s_and_saveexec_b64 s[8:9], s[6:7]
	s_cbranch_execz .LBB87_153
; %bb.152:
	ds_read_u8 v13, v10 offset:4092
	ds_read_u8 v15, v10 offset:3580
	v_add_u32_e32 v11, 0xf8, v10
	ds_read2st64_b32 v[11:12], v11 offset0:13 offset1:15
	v_add_u32_e32 v14, 0xff8, v10
	s_waitcnt lgkmcnt(2)
	v_and_b32_e32 v16, 1, v13
	v_cmp_eq_u32_e64 s[6:7], 1, v16
	s_waitcnt lgkmcnt(0)
	v_cndmask_b32_e64 v11, v11, 0, s[6:7]
	v_add_u32_e32 v11, v11, v12
	v_or_b32_e32 v12, v15, v13
	v_and_b32_e32 v12, 1, v12
	ds_write2_b32 v14, v11, v12 offset1:1
.LBB87_153:
	;; [unrolled: 24-line block ×4, first 2 shown]
	s_or_b64 exec, exec, s[8:9]
	v_lshlrev_b32_e32 v13, 9, v3
	v_cmp_gt_u32_e64 s[6:7], 2, v0
	v_lshl_add_u32 v13, v13, 3, 2
	s_waitcnt lgkmcnt(0)
	s_barrier
	s_and_saveexec_b64 s[8:9], s[6:7]
	s_cbranch_execz .LBB87_159
; %bb.158:
	ds_read_u8 v16, v13 offset:4092
	v_add_u32_e32 v15, -8, v13
	v_add_u32_e32 v17, -4, v13
	ds_read_b32 v15, v15
	ds_read_b32 v18, v13 offset:4088
	ds_read_u8 v17, v17
	v_add_u32_e32 v14, 0xff8, v13
	s_waitcnt lgkmcnt(3)
	v_and_b32_e32 v19, 1, v16
	v_cmp_eq_u32_e64 s[6:7], 1, v19
	s_waitcnt lgkmcnt(2)
	v_cndmask_b32_e64 v15, v15, 0, s[6:7]
	s_waitcnt lgkmcnt(0)
	v_or_b32_e32 v16, v17, v16
	v_add_u32_e32 v15, v15, v18
	v_and_b32_e32 v16, 1, v16
	ds_write2_b32 v14, v15, v16 offset1:1
.LBB87_159:
	s_or_b64 exec, exec, s[8:9]
	s_waitcnt lgkmcnt(0)
	s_barrier
	s_and_saveexec_b64 s[8:9], vcc
	s_cbranch_execz .LBB87_161
; %bb.160:
	v_mov_b32_e32 v14, 2
	ds_read_u8 v15, v14 offset:20476
	ds_read_b32 v16, v14 offset:12280
	ds_read_b32 v17, v14 offset:20472
	ds_read_u8 v14, v14 offset:12284
	s_add_i32 s10, 2, 0x4ff8
	s_waitcnt lgkmcnt(3)
	v_and_b32_e32 v18, 1, v15
	v_cmp_eq_u32_e64 s[6:7], 1, v18
	s_waitcnt lgkmcnt(2)
	v_cndmask_b32_e64 v16, v16, 0, s[6:7]
	s_waitcnt lgkmcnt(0)
	v_or_b32_e32 v14, v14, v15
	v_add_u32_e32 v16, v16, v17
	v_and_b32_e32 v14, 1, v14
	v_mov_b32_e32 v15, s10
	ds_write2_b32 v15, v16, v14 offset1:1
.LBB87_161:
	s_or_b64 exec, exec, s[8:9]
	s_waitcnt lgkmcnt(0)
	s_barrier
	s_and_saveexec_b64 s[8:9], vcc
	s_cbranch_execz .LBB87_163
; %bb.162:
	ds_read_u8 v16, v13 offset:8188
	v_add_u32_e32 v14, 0xf8, v13
	ds_read2st64_b32 v[14:15], v14 offset0:15 offset1:31
	v_add_u32_e32 v17, 0x1ff8, v13
	ds_read_u8 v13, v13 offset:4092
	s_waitcnt lgkmcnt(2)
	v_and_b32_e32 v18, 1, v16
	v_cmp_eq_u32_e64 s[6:7], 1, v18
	s_waitcnt lgkmcnt(1)
	v_cndmask_b32_e64 v14, v14, 0, s[6:7]
	v_add_u32_e32 v14, v14, v15
	s_waitcnt lgkmcnt(0)
	v_or_b32_e32 v13, v13, v16
	v_and_b32_e32 v13, 1, v13
	ds_write2_b32 v17, v14, v13 offset1:1
.LBB87_163:
	s_or_b64 exec, exec, s[8:9]
	v_cmp_gt_u32_e64 s[6:7], 3, v0
	s_waitcnt lgkmcnt(0)
	s_barrier
	s_and_saveexec_b64 s[8:9], s[6:7]
	s_cbranch_execz .LBB87_165
; %bb.164:
	ds_read_u8 v15, v12 offset:6140
	v_add_u32_e32 v13, 0xf8, v12
	ds_read2st64_b32 v[13:14], v13 offset0:15 offset1:23
	v_add_u32_e32 v16, 0x17f8, v12
	ds_read_u8 v12, v12 offset:4092
	s_waitcnt lgkmcnt(2)
	v_and_b32_e32 v17, 1, v15
	v_cmp_eq_u32_e64 s[6:7], 1, v17
	s_waitcnt lgkmcnt(1)
	v_cndmask_b32_e64 v13, v13, 0, s[6:7]
	v_add_u32_e32 v13, v13, v14
	s_waitcnt lgkmcnt(0)
	v_or_b32_e32 v12, v12, v15
	v_and_b32_e32 v12, 1, v12
	ds_write2_b32 v16, v13, v12 offset1:1
.LBB87_165:
	s_or_b64 exec, exec, s[8:9]
	v_cmp_gt_u32_e64 s[6:7], 7, v0
	s_waitcnt lgkmcnt(0)
	s_barrier
	s_and_saveexec_b64 s[8:9], s[6:7]
	;; [unrolled: 23-line block ×5, first 2 shown]
	s_cbranch_execz .LBB87_173
; %bb.172:
	ds_read_u8 v11, v8 offset:4220
	v_add_u32_e32 v9, 0xe00, v8
	ds_read2_b32 v[9:10], v9 offset0:126 offset1:158
	v_add_u32_e32 v12, 0x1078, v8
	ds_read_u8 v8, v8 offset:4092
	s_waitcnt lgkmcnt(2)
	v_and_b32_e32 v13, 1, v11
	v_cmp_eq_u32_e64 s[6:7], 1, v13
	s_waitcnt lgkmcnt(1)
	v_cndmask_b32_e64 v9, v9, 0, s[6:7]
	v_add_u32_e32 v9, v9, v10
	s_waitcnt lgkmcnt(0)
	v_or_b32_e32 v8, v8, v11
	v_and_b32_e32 v8, 1, v8
	ds_write2_b32 v12, v9, v8 offset1:1
.LBB87_173:
	s_or_b64 exec, exec, s[8:9]
	s_movk_i32 s6, 0x7f
	v_cmp_gt_u32_e64 s[6:7], s6, v0
	s_waitcnt lgkmcnt(0)
	s_barrier
	s_and_saveexec_b64 s[8:9], s[6:7]
	s_cbranch_execz .LBB87_175
; %bb.174:
	ds_read_u8 v10, v7 offset:4156
	v_add_u32_e32 v8, 0xe00, v7
	ds_read2_b32 v[8:9], v8 offset0:126 offset1:142
	v_add_u32_e32 v11, 0x1038, v7
	ds_read_u8 v7, v7 offset:4092
	s_waitcnt lgkmcnt(2)
	v_and_b32_e32 v12, 1, v10
	v_cmp_eq_u32_e64 s[6:7], 1, v12
	s_waitcnt lgkmcnt(1)
	v_cndmask_b32_e64 v8, v8, 0, s[6:7]
	v_add_u32_e32 v8, v8, v9
	s_waitcnt lgkmcnt(0)
	v_or_b32_e32 v7, v7, v10
	v_and_b32_e32 v7, 1, v7
	ds_write2_b32 v11, v8, v7 offset1:1
.LBB87_175:
	s_or_b64 exec, exec, s[8:9]
	s_movk_i32 s6, 0xff
	v_cmp_gt_u32_e64 s[6:7], s6, v0
	s_waitcnt lgkmcnt(0)
	s_barrier
	s_and_saveexec_b64 s[8:9], s[6:7]
	s_cbranch_execz .LBB87_177
; %bb.176:
	ds_read_u8 v9, v6 offset:4124
	v_add_u32_e32 v7, 0xe00, v6
	ds_read2_b32 v[7:8], v7 offset0:126 offset1:134
	ds_read_u8 v10, v6 offset:4092
	v_add_u32_e32 v6, 0x1018, v6
	s_waitcnt lgkmcnt(2)
	v_and_b32_e32 v11, 1, v9
	v_cmp_eq_u32_e64 s[6:7], 1, v11
	s_waitcnt lgkmcnt(1)
	v_cndmask_b32_e64 v7, v7, 0, s[6:7]
	v_add_u32_e32 v7, v7, v8
	s_waitcnt lgkmcnt(0)
	v_or_b32_e32 v8, v10, v9
	v_and_b32_e32 v8, 1, v8
	ds_write2_b32 v6, v7, v8 offset1:1
.LBB87_177:
	s_or_b64 exec, exec, s[8:9]
	s_movk_i32 s6, 0x1ff
	v_cmp_gt_u32_e64 s[6:7], s6, v0
	s_waitcnt lgkmcnt(0)
	s_barrier
	s_and_saveexec_b64 s[8:9], s[6:7]
	s_cbranch_execz .LBB87_179
; %bb.178:
	ds_read_u8 v8, v4 offset:4108
	v_add_u32_e32 v6, 0xe00, v4
	ds_read2_b32 v[6:7], v6 offset0:126 offset1:130
	ds_read_u8 v9, v4 offset:4092
	v_add_u32_e32 v4, 0x1008, v4
	s_waitcnt lgkmcnt(2)
	v_and_b32_e32 v10, 1, v8
	v_cmp_eq_u32_e64 s[6:7], 1, v10
	s_waitcnt lgkmcnt(1)
	v_cndmask_b32_e64 v6, v6, 0, s[6:7]
	v_add_u32_e32 v6, v6, v7
	s_waitcnt lgkmcnt(0)
	v_or_b32_e32 v7, v9, v8
	v_and_b32_e32 v7, 1, v7
	ds_write2_b32 v4, v6, v7 offset1:1
.LBB87_179:
	s_or_b64 exec, exec, s[8:9]
	s_waitcnt lgkmcnt(0)
	s_barrier
	s_and_saveexec_b64 s[6:7], s[2:3]
	s_cbranch_execz .LBB87_181
; %bb.180:
	v_lshl_add_u32 v3, v3, 3, 2
	ds_read_u8 v4, v3 offset:4100
	v_add_u32_e32 v6, 0x1000, v3
	ds_read_b32 v7, v2 offset:4104
	ds_read_b32 v3, v3 offset:4096
	ds_read_u8 v8, v2 offset:4108
	s_waitcnt lgkmcnt(3)
	v_and_b32_e32 v9, 1, v4
	v_cmp_eq_u32_e64 s[2:3], 1, v9
	s_waitcnt lgkmcnt(2)
	v_cndmask_b32_e64 v7, v7, 0, s[2:3]
	s_waitcnt lgkmcnt(0)
	v_or_b32_e32 v4, v8, v4
	v_add_u32_e32 v3, v7, v3
	v_and_b32_e32 v4, 1, v4
	ds_write2_b32 v6, v3, v4 offset1:1
.LBB87_181:
	s_or_b64 exec, exec, s[6:7]
	v_add_u32_e32 v2, 0x1000, v2
	s_waitcnt lgkmcnt(0)
	s_barrier
	ds_read2_b32 v[6:7], v2 offset1:2
	v_or_b32_e32 v3, 1, v1
	v_cmp_gt_u32_e64 s[2:3], s16, v1
	v_cmp_gt_u32_e64 s[6:7], s16, v3
	v_cndmask_b32_e64 v4, 0, v1, s[2:3]
	s_waitcnt lgkmcnt(0)
	v_cndmask_b32_e64 v2, 0, v6, s[2:3]
	v_mbcnt_lo_u32_b32 v6, -1, 0
	v_cndmask_b32_e64 v7, 0, v7, s[6:7]
	v_mbcnt_hi_u32_b32 v11, -1, v6
	v_mov_b32_e32 v6, 0x80
	v_cndmask_b32_e64 v8, 0, v3, s[6:7]
	v_max_u32_e32 v9, v7, v2
	v_lshl_or_b32 v6, v11, 2, v6
	v_cmp_gt_u32_e64 s[8:9], v7, v2
	ds_bpermute_b32 v10, v6, v9
	v_cndmask_b32_e64 v2, v4, v8, s[8:9]
	ds_bpermute_b32 v4, v6, v2
	v_and_b32_e32 v12, 63, v11
	v_cmp_gt_u32_e64 s[8:9], 48, v12
	v_cndmask_b32_e64 v7, 0, 16, s[8:9]
	s_waitcnt lgkmcnt(1)
	v_max_u32_e32 v13, v10, v9
	v_add_lshl_u32 v7, v7, v11, 2
	v_cmp_gt_u32_e64 s[8:9], v10, v9
	ds_bpermute_b32 v14, v7, v13
	s_waitcnt lgkmcnt(1)
	v_cndmask_b32_e64 v2, v2, v4, s[8:9]
	ds_bpermute_b32 v4, v7, v2
	v_cmp_gt_u32_e64 s[8:9], 56, v12
	v_cndmask_b32_e64 v8, 0, 8, s[8:9]
	s_waitcnt lgkmcnt(1)
	v_max_u32_e32 v10, v14, v13
	v_add_lshl_u32 v8, v8, v11, 2
	v_cmp_gt_u32_e64 s[8:9], v14, v13
	ds_bpermute_b32 v15, v8, v10
	s_waitcnt lgkmcnt(1)
	v_cndmask_b32_e64 v2, v2, v4, s[8:9]
	ds_bpermute_b32 v4, v8, v2
	;; [unrolled: 10-line block ×4, first 2 shown]
	s_waitcnt lgkmcnt(0)
	s_barrier
	v_cmp_gt_u32_e64 s[8:9], v16, v15
	v_max_u32_e32 v2, v16, v15
	v_cndmask_b32_e64 v4, v4, v13, s[8:9]
	v_cmp_ne_u32_e64 s[8:9], 63, v12
	v_addc_co_u32_e64 v11, s[8:9], 0, v11, s[8:9]
	v_lshlrev_b32_e32 v11, 2, v11
	ds_bpermute_b32 v12, v11, v4
	ds_bpermute_b32 v13, v11, v2
	v_cmp_eq_u32_e64 s[8:9], 0, v5
	s_waitcnt lgkmcnt(0)
	s_barrier
	s_and_saveexec_b64 s[12:13], s[8:9]
	s_cbranch_execz .LBB87_183
; %bb.182:
	v_lshrrev_b32_e32 v14, 3, v0
	v_add_u32_e32 v14, 2, v14
	v_cmp_gt_u32_e64 s[10:11], v13, v2
	v_add_u32_e32 v14, 0x1000, v14
	v_cndmask_b32_e64 v4, v4, v12, s[10:11]
	v_max_u32_e32 v2, v13, v2
	ds_write2_b32 v14, v2, v4 offset1:1
.LBB87_183:
	s_or_b64 exec, exec, s[12:13]
	s_lshr_b32 s10, s18, 6
	v_cmp_gt_u32_e64 s[10:11], s10, v0
	v_lshl_add_u32 v12, v5, 3, 2
	v_mov_b32_e32 v2, 0
	v_mov_b32_e32 v4, 0
	s_waitcnt lgkmcnt(0)
	s_barrier
	s_and_saveexec_b64 s[12:13], s[10:11]
	s_cbranch_execnz .LBB87_198
; %bb.184:
	s_or_b64 exec, exec, s[12:13]
	s_and_saveexec_b64 s[12:13], s[10:11]
	s_cbranch_execnz .LBB87_199
.LBB87_185:
	s_or_b64 exec, exec, s[12:13]
	s_and_saveexec_b64 s[18:19], s[0:1]
	s_cbranch_execnz .LBB87_200
.LBB87_186:
	s_or_b64 exec, exec, s[18:19]
	s_and_saveexec_b64 s[12:13], vcc
	s_cbranch_execz .LBB87_188
.LBB87_187:
	s_waitcnt lgkmcnt(0)
	v_lshl_add_u32 v2, v2, 1, 2
	ds_read_u16 v2, v2
	v_mov_b32_e32 v4, 0
	s_waitcnt lgkmcnt(0)
	ds_write_b16 v4, v2
.LBB87_188:
	s_or_b64 exec, exec, s[12:13]
	s_waitcnt lgkmcnt(0)
	v_mov_b32_e32 v2, 0
	v_cmp_gt_i64_e64 s[12:13], s[16:17], v[1:2]
	v_mov_b32_e32 v13, 0
	s_barrier
	s_and_saveexec_b64 s[18:19], s[12:13]
	s_cbranch_execz .LBB87_190
; %bb.189:
	v_add_u32_e32 v13, s21, v1
	v_mov_b32_e32 v14, 0
	v_lshlrev_b64 v[15:16], 1, v[13:14]
	v_mov_b32_e32 v4, s15
	v_add_co_u32_e64 v15, s[12:13], s14, v15
	v_addc_co_u32_e64 v16, s[12:13], v4, v16, s[12:13]
	global_load_ushort v4, v[15:16], off
	ds_read_u16 v13, v14
	s_waitcnt vmcnt(0) lgkmcnt(0)
	v_cmp_eq_u16_e64 s[12:13], v4, v13
	v_cndmask_b32_e64 v13, 0, v1, s[12:13]
.LBB87_190:
	s_or_b64 exec, exec, s[18:19]
	v_mov_b32_e32 v4, v2
	v_cmp_gt_i64_e64 s[12:13], s[16:17], v[3:4]
	s_and_saveexec_b64 s[16:17], s[12:13]
	s_cbranch_execz .LBB87_192
; %bb.191:
	v_add_u32_e32 v1, s21, v3
	v_mov_b32_e32 v2, 0
	v_lshlrev_b64 v[14:15], 1, v[1:2]
	v_mov_b32_e32 v1, s15
	v_add_co_u32_e64 v14, s[12:13], s14, v14
	v_addc_co_u32_e64 v15, s[12:13], v1, v15, s[12:13]
	global_load_ushort v1, v[14:15], off
	ds_read_u16 v2, v2
	s_waitcnt vmcnt(0) lgkmcnt(0)
	v_cmp_eq_u16_e64 s[12:13], v1, v2
	v_cndmask_b32_e64 v2, 0, v3, s[12:13]
.LBB87_192:
	s_or_b64 exec, exec, s[16:17]
	v_cndmask_b32_e64 v1, 0, v13, s[2:3]
	v_max_u32_e32 v2, v2, v1
	v_cndmask_b32_e64 v1, v1, v2, s[6:7]
	ds_bpermute_b32 v2, v6, v1
	s_waitcnt lgkmcnt(0)
	s_barrier
	v_max_u32_e32 v1, v2, v1
	ds_bpermute_b32 v2, v7, v1
	s_waitcnt lgkmcnt(0)
	v_max_u32_e32 v1, v2, v1
	ds_bpermute_b32 v2, v8, v1
	s_waitcnt lgkmcnt(0)
	;; [unrolled: 3-line block ×4, first 2 shown]
	v_max_u32_e32 v1, v2, v1
	ds_bpermute_b32 v2, v11, v1
	s_and_saveexec_b64 s[2:3], s[8:9]
	s_cbranch_execz .LBB87_194
; %bb.193:
	v_lshrrev_b32_e32 v0, 4, v0
	v_add_u32_e32 v0, 2, v0
	s_waitcnt lgkmcnt(0)
	v_max_u32_e32 v1, v2, v1
	ds_write_b32 v0, v1
.LBB87_194:
	s_or_b64 exec, exec, s[2:3]
	v_mov_b32_e32 v0, 0
	s_waitcnt lgkmcnt(0)
	s_barrier
	s_and_saveexec_b64 s[2:3], s[10:11]
	s_cbranch_execnz .LBB87_201
; %bb.195:
	s_or_b64 exec, exec, s[2:3]
	s_and_saveexec_b64 s[2:3], s[0:1]
	s_cbranch_execnz .LBB87_202
.LBB87_196:
	s_or_b64 exec, exec, s[2:3]
	s_and_saveexec_b64 s[0:1], vcc
	s_cbranch_execnz .LBB87_203
.LBB87_197:
	s_endpgm
.LBB87_198:
	ds_read_b32 v4, v12 offset:4096
	s_or_b64 exec, exec, s[12:13]
	s_and_saveexec_b64 s[12:13], s[10:11]
	s_cbranch_execz .LBB87_185
.LBB87_199:
	ds_read_b32 v2, v12 offset:4100
	s_or_b64 exec, exec, s[12:13]
	s_and_saveexec_b64 s[18:19], s[0:1]
	s_cbranch_execz .LBB87_186
.LBB87_200:
	s_waitcnt lgkmcnt(0)
	ds_bpermute_b32 v13, v6, v4
	ds_bpermute_b32 v14, v6, v2
	s_waitcnt lgkmcnt(1)
	v_max_u32_e32 v15, v13, v4
	v_cmp_gt_u32_e64 s[12:13], v13, v4
	ds_bpermute_b32 v16, v7, v15
	s_waitcnt lgkmcnt(1)
	v_cndmask_b32_e64 v2, v2, v14, s[12:13]
	ds_bpermute_b32 v4, v7, v2
	s_waitcnt lgkmcnt(1)
	v_max_u32_e32 v13, v16, v15
	v_cmp_gt_u32_e64 s[12:13], v16, v15
	ds_bpermute_b32 v14, v8, v13
	s_waitcnt lgkmcnt(1)
	v_cndmask_b32_e64 v2, v2, v4, s[12:13]
	;; [unrolled: 7-line block ×4, first 2 shown]
	ds_bpermute_b32 v4, v10, v2
	s_waitcnt lgkmcnt(1)
	v_max_u32_e32 v15, v14, v13
	v_cmp_gt_u32_e64 s[12:13], v14, v13
	s_waitcnt lgkmcnt(0)
	v_cndmask_b32_e64 v2, v2, v4, s[12:13]
	ds_bpermute_b32 v4, v11, v15
	ds_bpermute_b32 v13, v11, v2
	s_waitcnt lgkmcnt(1)
	v_cmp_gt_u32_e64 s[12:13], v4, v15
	s_waitcnt lgkmcnt(0)
	v_cndmask_b32_e64 v2, v2, v13, s[12:13]
	s_or_b64 exec, exec, s[18:19]
	s_and_saveexec_b64 s[12:13], vcc
	s_cbranch_execnz .LBB87_187
	s_branch .LBB87_188
.LBB87_201:
	v_lshlrev_b32_e32 v0, 2, v5
	v_sub_u32_e32 v0, v12, v0
	ds_read_b32 v0, v0
	s_or_b64 exec, exec, s[2:3]
	s_and_saveexec_b64 s[2:3], s[0:1]
	s_cbranch_execz .LBB87_196
.LBB87_202:
	s_waitcnt lgkmcnt(0)
	ds_bpermute_b32 v1, v6, v0
	s_waitcnt lgkmcnt(0)
	v_max_u32_e32 v0, v1, v0
	ds_bpermute_b32 v1, v7, v0
	s_waitcnt lgkmcnt(0)
	v_max_u32_e32 v0, v1, v0
	;; [unrolled: 3-line block ×6, first 2 shown]
	s_or_b64 exec, exec, s[2:3]
	s_and_saveexec_b64 s[0:1], vcc
	s_cbranch_execz .LBB87_197
.LBB87_203:
	s_load_dword s6, s[4:5], 0xd8
	s_load_dwordx2 s[0:1], s[4:5], 0xe0
	s_add_u32 s2, s4, 8
	s_addc_u32 s3, s5, 0
	s_mov_b32 s5, 0
	s_waitcnt lgkmcnt(0)
	s_cmp_lt_i32 s6, 2
	s_cbranch_scc1 .LBB87_206
; %bb.204:
	s_add_i32 s4, s6, -1
	s_add_i32 s8, s6, 1
	s_lshl_b64 s[6:7], s[4:5], 2
	s_add_u32 s4, s2, s6
	s_addc_u32 s7, s3, s7
	s_add_u32 s6, s4, 8
	s_addc_u32 s7, s7, 0
.LBB87_205:                             ; =>This Inner Loop Header: Depth=1
	s_load_dword s4, s[6:7], 0x0
	s_load_dword s10, s[6:7], 0x64
	s_mov_b32 s9, s20
	s_waitcnt lgkmcnt(0)
	v_cvt_f32_u32_e32 v1, s4
	s_sub_i32 s11, 0, s4
	v_rcp_iflag_f32_e32 v1, v1
	v_mul_f32_e32 v1, 0x4f7ffffe, v1
	v_cvt_u32_f32_e32 v1, v1
	v_readfirstlane_b32 s12, v1
	s_mul_i32 s11, s11, s12
	s_mul_hi_u32 s11, s12, s11
	s_add_i32 s12, s12, s11
	s_mul_hi_u32 s11, s20, s12
	s_mul_i32 s12, s11, s4
	s_sub_i32 s12, s20, s12
	s_add_i32 s13, s11, 1
	s_sub_i32 s14, s12, s4
	s_cmp_ge_u32 s12, s4
	s_cselect_b32 s11, s13, s11
	s_cselect_b32 s12, s14, s12
	s_add_i32 s13, s11, 1
	s_cmp_ge_u32 s12, s4
	s_cselect_b32 s20, s13, s11
	s_mul_i32 s4, s20, s4
	s_sub_i32 s4, s9, s4
	s_mul_i32 s4, s10, s4
	s_add_i32 s8, s8, -1
	s_add_i32 s5, s4, s5
	s_add_u32 s6, s6, -4
	s_addc_u32 s7, s7, -1
	s_cmp_gt_u32 s8, 2
	s_cbranch_scc1 .LBB87_205
.LBB87_206:
	s_load_dword s4, s[2:3], 0x6c
	v_mov_b32_e32 v1, 0
	s_load_dwordx2 s[2:3], s[2:3], 0x0
	ds_read_u16 v2, v1
	s_mov_b32 s7, 0
	s_waitcnt lgkmcnt(0)
	s_mul_i32 s4, s4, s20
	s_add_i32 s6, s4, s5
	s_lshl_b64 s[4:5], s[6:7], 1
	s_add_u32 s2, s2, s4
	s_addc_u32 s3, s3, s5
	global_store_short v1, v2, s[2:3]
	s_lshl_b64 s[2:3], s[6:7], 3
	s_add_u32 s0, s0, s2
	s_addc_u32 s1, s1, s3
	global_store_dwordx2 v1, v[0:1], s[0:1]
	s_endpgm
	.section	.rodata,"a",@progbits
	.p2align	6, 0x0
	.amdhsa_kernel _ZN2at6native12compute_modeIsLj2048EEEvPKT_NS_4cuda6detail10TensorInfoIS2_jEENS7_IljEEll
		.amdhsa_group_segment_fixed_size 2
		.amdhsa_private_segment_fixed_size 0
		.amdhsa_kernarg_size 712
		.amdhsa_user_sgpr_count 6
		.amdhsa_user_sgpr_private_segment_buffer 1
		.amdhsa_user_sgpr_dispatch_ptr 0
		.amdhsa_user_sgpr_queue_ptr 0
		.amdhsa_user_sgpr_kernarg_segment_ptr 1
		.amdhsa_user_sgpr_dispatch_id 0
		.amdhsa_user_sgpr_flat_scratch_init 0
		.amdhsa_user_sgpr_private_segment_size 0
		.amdhsa_uses_dynamic_stack 0
		.amdhsa_system_sgpr_private_segment_wavefront_offset 0
		.amdhsa_system_sgpr_workgroup_id_x 1
		.amdhsa_system_sgpr_workgroup_id_y 1
		.amdhsa_system_sgpr_workgroup_id_z 1
		.amdhsa_system_sgpr_workgroup_info 0
		.amdhsa_system_vgpr_workitem_id 0
		.amdhsa_next_free_vgpr 40
		.amdhsa_next_free_sgpr 22
		.amdhsa_reserve_vcc 1
		.amdhsa_reserve_flat_scratch 0
		.amdhsa_float_round_mode_32 0
		.amdhsa_float_round_mode_16_64 0
		.amdhsa_float_denorm_mode_32 3
		.amdhsa_float_denorm_mode_16_64 3
		.amdhsa_dx10_clamp 1
		.amdhsa_ieee_mode 1
		.amdhsa_fp16_overflow 0
		.amdhsa_exception_fp_ieee_invalid_op 0
		.amdhsa_exception_fp_denorm_src 0
		.amdhsa_exception_fp_ieee_div_zero 0
		.amdhsa_exception_fp_ieee_overflow 0
		.amdhsa_exception_fp_ieee_underflow 0
		.amdhsa_exception_fp_ieee_inexact 0
		.amdhsa_exception_int_div_zero 0
	.end_amdhsa_kernel
	.section	.text._ZN2at6native12compute_modeIsLj2048EEEvPKT_NS_4cuda6detail10TensorInfoIS2_jEENS7_IljEEll,"axG",@progbits,_ZN2at6native12compute_modeIsLj2048EEEvPKT_NS_4cuda6detail10TensorInfoIS2_jEENS7_IljEEll,comdat
.Lfunc_end87:
	.size	_ZN2at6native12compute_modeIsLj2048EEEvPKT_NS_4cuda6detail10TensorInfoIS2_jEENS7_IljEEll, .Lfunc_end87-_ZN2at6native12compute_modeIsLj2048EEEvPKT_NS_4cuda6detail10TensorInfoIS2_jEENS7_IljEEll
                                        ; -- End function
	.set _ZN2at6native12compute_modeIsLj2048EEEvPKT_NS_4cuda6detail10TensorInfoIS2_jEENS7_IljEEll.num_vgpr, 40
	.set _ZN2at6native12compute_modeIsLj2048EEEvPKT_NS_4cuda6detail10TensorInfoIS2_jEENS7_IljEEll.num_agpr, 0
	.set _ZN2at6native12compute_modeIsLj2048EEEvPKT_NS_4cuda6detail10TensorInfoIS2_jEENS7_IljEEll.numbered_sgpr, 22
	.set _ZN2at6native12compute_modeIsLj2048EEEvPKT_NS_4cuda6detail10TensorInfoIS2_jEENS7_IljEEll.num_named_barrier, 0
	.set _ZN2at6native12compute_modeIsLj2048EEEvPKT_NS_4cuda6detail10TensorInfoIS2_jEENS7_IljEEll.private_seg_size, 0
	.set _ZN2at6native12compute_modeIsLj2048EEEvPKT_NS_4cuda6detail10TensorInfoIS2_jEENS7_IljEEll.uses_vcc, 1
	.set _ZN2at6native12compute_modeIsLj2048EEEvPKT_NS_4cuda6detail10TensorInfoIS2_jEENS7_IljEEll.uses_flat_scratch, 0
	.set _ZN2at6native12compute_modeIsLj2048EEEvPKT_NS_4cuda6detail10TensorInfoIS2_jEENS7_IljEEll.has_dyn_sized_stack, 0
	.set _ZN2at6native12compute_modeIsLj2048EEEvPKT_NS_4cuda6detail10TensorInfoIS2_jEENS7_IljEEll.has_recursion, 0
	.set _ZN2at6native12compute_modeIsLj2048EEEvPKT_NS_4cuda6detail10TensorInfoIS2_jEENS7_IljEEll.has_indirect_call, 0
	.section	.AMDGPU.csdata,"",@progbits
; Kernel info:
; codeLenInByte = 14988
; TotalNumSgprs: 26
; NumVgprs: 40
; ScratchSize: 0
; MemoryBound: 0
; FloatMode: 240
; IeeeMode: 1
; LDSByteSize: 2 bytes/workgroup (compile time only)
; SGPRBlocks: 3
; VGPRBlocks: 9
; NumSGPRsForWavesPerEU: 26
; NumVGPRsForWavesPerEU: 40
; Occupancy: 6
; WaveLimiterHint : 1
; COMPUTE_PGM_RSRC2:SCRATCH_EN: 0
; COMPUTE_PGM_RSRC2:USER_SGPR: 6
; COMPUTE_PGM_RSRC2:TRAP_HANDLER: 0
; COMPUTE_PGM_RSRC2:TGID_X_EN: 1
; COMPUTE_PGM_RSRC2:TGID_Y_EN: 1
; COMPUTE_PGM_RSRC2:TGID_Z_EN: 1
; COMPUTE_PGM_RSRC2:TIDIG_COMP_CNT: 0
	.section	.text._ZN2at6native12compute_modeIsLj1024EEEvPKT_NS_4cuda6detail10TensorInfoIS2_jEENS7_IljEEll,"axG",@progbits,_ZN2at6native12compute_modeIsLj1024EEEvPKT_NS_4cuda6detail10TensorInfoIS2_jEENS7_IljEEll,comdat
	.protected	_ZN2at6native12compute_modeIsLj1024EEEvPKT_NS_4cuda6detail10TensorInfoIS2_jEENS7_IljEEll ; -- Begin function _ZN2at6native12compute_modeIsLj1024EEEvPKT_NS_4cuda6detail10TensorInfoIS2_jEENS7_IljEEll
	.globl	_ZN2at6native12compute_modeIsLj1024EEEvPKT_NS_4cuda6detail10TensorInfoIS2_jEENS7_IljEEll
	.p2align	8
	.type	_ZN2at6native12compute_modeIsLj1024EEEvPKT_NS_4cuda6detail10TensorInfoIS2_jEENS7_IljEEll,@function
_ZN2at6native12compute_modeIsLj1024EEEvPKT_NS_4cuda6detail10TensorInfoIS2_jEENS7_IljEEll: ; @_ZN2at6native12compute_modeIsLj1024EEEvPKT_NS_4cuda6detail10TensorInfoIS2_jEENS7_IljEEll
; %bb.0:
	s_load_dwordx2 s[2:3], s[4:5], 0x1c8
	s_load_dwordx4 s[16:19], s[4:5], 0x1b8
	s_add_u32 s0, s4, 0x1c8
	s_addc_u32 s1, s5, 0
	v_mov_b32_e32 v2, 0
	s_waitcnt lgkmcnt(0)
	s_mul_i32 s3, s3, s8
	s_add_i32 s3, s3, s7
	s_mul_i32 s2, s3, s2
	s_add_i32 s20, s2, s6
	v_mov_b32_e32 v1, s20
	v_cmp_le_i64_e32 vcc, s[18:19], v[1:2]
	s_cbranch_vccnz .LBB88_173
; %bb.1:
	s_load_dwordx2 s[14:15], s[4:5], 0x0
	s_load_dword s6, s[0:1], 0xc
	v_mov_b32_e32 v1, v2
	v_cmp_gt_i64_e32 vcc, s[16:17], v[0:1]
	s_mul_i32 s21, s20, s16
	s_and_saveexec_b64 s[2:3], vcc
	s_cbranch_execz .LBB88_3
; %bb.2:
	v_add_u32_e32 v1, s21, v0
	v_lshlrev_b64 v[3:4], 1, v[1:2]
	s_waitcnt lgkmcnt(0)
	v_mov_b32_e32 v1, s15
	v_add_co_u32_e64 v3, s[0:1], s14, v3
	v_addc_co_u32_e64 v4, s[0:1], v1, v4, s[0:1]
	global_load_ushort v1, v[3:4], off
	v_lshl_add_u32 v3, v0, 1, 2
	s_waitcnt vmcnt(0)
	ds_write_b16 v3, v1
.LBB88_3:
	s_or_b64 exec, exec, s[2:3]
	s_waitcnt lgkmcnt(0)
	s_and_b32 s18, 0xffff, s6
	v_add_u32_e32 v1, s18, v0
	v_cmp_gt_i64_e64 s[0:1], s[16:17], v[1:2]
	s_and_saveexec_b64 s[6:7], s[0:1]
	s_cbranch_execz .LBB88_5
; %bb.4:
	v_add_u32_e32 v2, s21, v1
	v_mov_b32_e32 v3, 0
	v_lshlrev_b64 v[2:3], 1, v[2:3]
	v_mov_b32_e32 v4, s15
	v_add_co_u32_e64 v2, s[2:3], s14, v2
	v_addc_co_u32_e64 v3, s[2:3], v4, v3, s[2:3]
	global_load_ushort v2, v[2:3], off
	v_lshl_add_u32 v1, v1, 1, 2
	s_waitcnt vmcnt(0)
	ds_write_b16 v1, v2
.LBB88_5:
	s_or_b64 exec, exec, s[6:7]
	v_add_u32_e32 v2, 2, v0
	v_cndmask_b32_e64 v1, 0, 1, vcc
	ds_write_b8 v2, v1 offset:2048
	v_add_u32_e32 v1, s18, v2
	v_cndmask_b32_e64 v3, 0, 1, s[0:1]
	ds_write_b8 v1, v3 offset:2048
	v_lshlrev_b32_e32 v1, 1, v0
	v_mad_u32_u24 v2, v0, 3, v2
	s_waitcnt lgkmcnt(0)
	s_barrier
	s_barrier
	v_sub_u32_e32 v3, v2, v1
	ds_read_b32 v6, v2
	ds_read_u8 v5, v3 offset:2048
	ds_read_u8 v7, v3 offset:2049
	v_and_b32_e32 v4, 1, v0
	v_sub_u32_e32 v3, 0, v1
	s_waitcnt lgkmcnt(2)
	v_cmp_lt_i16_sdwa s[2:3], v6, v6 src0_sel:DWORD src1_sel:WORD_1
	s_waitcnt lgkmcnt(1)
	v_and_b32_e32 v8, 1, v5
	v_cmp_eq_u32_e32 vcc, 1, v8
	s_waitcnt lgkmcnt(0)
	v_cmp_ne_u16_e64 s[0:1], v7, v4
	v_cndmask_b32_e64 v8, 0, 1, s[0:1]
	s_and_b64 vcc, s[2:3], vcc
	v_cndmask_b32_e32 v8, v8, v0, vcc
	v_and_b32_e32 v8, 1, v8
	v_cmp_eq_u32_e32 vcc, 1, v8
	v_add_u32_e32 v3, v2, v3
	s_and_saveexec_b64 s[0:1], vcc
	s_cbranch_execz .LBB88_7
; %bb.6:
	v_alignbit_b32 v6, v6, v6, 16
	ds_write_b32 v2, v6
	ds_write_b8 v3, v7 offset:2048
	ds_write_b8 v3, v5 offset:2049
.LBB88_7:
	s_or_b64 exec, exec, s[0:1]
	v_sub_u32_e32 v7, v1, v4
	v_lshl_add_u32 v6, v7, 1, 2
	v_add_u32_e32 v4, 2, v7
	s_waitcnt lgkmcnt(0)
	s_barrier
	v_add_u32_e32 v7, v4, v7
	ds_read_u16 v8, v6
	ds_read_u16 v10, v7 offset:4
	ds_read_u8 v9, v4 offset:2048
	ds_read_u8 v11, v4 offset:2050
	v_bfe_u32 v12, v0, 1, 1
	v_and_b32_e32 v5, 2, v0
	s_waitcnt lgkmcnt(2)
	v_cmp_lt_i16_e64 s[0:1], v8, v10
	s_waitcnt lgkmcnt(1)
	v_and_b32_e32 v13, 1, v9
	v_cmp_eq_u32_e64 s[2:3], 1, v13
	s_waitcnt lgkmcnt(0)
	v_cmp_ne_u16_e64 s[6:7], v11, v12
	v_cndmask_b32_e64 v13, 0, 1, s[6:7]
	s_and_b64 s[0:1], s[0:1], s[2:3]
	v_cndmask_b32_e64 v12, v13, v12, s[0:1]
	v_and_b32_e32 v12, 1, v12
	v_cmp_ne_u32_e32 vcc, 0, v5
	v_cmp_eq_u32_e64 s[0:1], 1, v12
	s_and_saveexec_b64 s[2:3], s[0:1]
	s_xor_b64 s[0:1], exec, s[2:3]
	s_cbranch_execz .LBB88_9
; %bb.8:
	ds_write_b16 v6, v10
	ds_write_b16 v7, v8 offset:4
	ds_write_b8 v4, v11 offset:2048
	ds_write_b8 v4, v9 offset:2050
.LBB88_9:
	s_or_b64 exec, exec, s[0:1]
	s_waitcnt lgkmcnt(0)
	s_barrier
	ds_read_b32 v9, v2
	ds_read_u8 v8, v3 offset:2048
	ds_read_u8 v10, v3 offset:2049
	v_lshrrev_b32_e32 v5, 1, v5
	s_waitcnt lgkmcnt(2)
	v_cmp_lt_i16_sdwa s[6:7], v9, v9 src0_sel:DWORD src1_sel:WORD_1
	s_waitcnt lgkmcnt(1)
	v_and_b32_e32 v11, 1, v8
	v_cmp_eq_u32_e64 s[0:1], 1, v11
	s_waitcnt lgkmcnt(0)
	v_cmp_ne_u16_e64 s[2:3], v10, v5
	v_cndmask_b32_e64 v5, 0, 1, s[2:3]
	v_cndmask_b32_e64 v11, 0, 1, vcc
	s_and_b64 vcc, s[6:7], s[0:1]
	v_cndmask_b32_e32 v5, v5, v11, vcc
	v_and_b32_e32 v5, 1, v5
	v_cmp_eq_u32_e32 vcc, 1, v5
	s_and_saveexec_b64 s[0:1], vcc
	s_cbranch_execz .LBB88_11
; %bb.10:
	v_alignbit_b32 v5, v9, v9, 16
	ds_write_b32 v2, v5
	ds_write_b8 v3, v10 offset:2048
	ds_write_b8 v3, v8 offset:2049
.LBB88_11:
	s_or_b64 exec, exec, s[0:1]
	v_and_b32_e32 v8, 3, v0
	v_sub_u32_e32 v10, v1, v8
	v_lshl_add_u32 v9, v10, 1, 2
	v_add_u32_e32 v8, 2, v10
	s_waitcnt lgkmcnt(0)
	s_barrier
	v_add_u32_e32 v10, v8, v10
	ds_read_u16 v11, v9
	ds_read_u16 v13, v10 offset:8
	ds_read_u8 v12, v8 offset:2048
	ds_read_u8 v14, v8 offset:2052
	v_bfe_u32 v15, v0, 2, 1
	v_and_b32_e32 v5, 4, v0
	s_waitcnt lgkmcnt(2)
	v_cmp_lt_i16_e64 s[0:1], v11, v13
	s_waitcnt lgkmcnt(1)
	v_and_b32_e32 v16, 1, v12
	v_cmp_eq_u32_e64 s[2:3], 1, v16
	s_waitcnt lgkmcnt(0)
	v_cmp_ne_u16_e64 s[6:7], v14, v15
	v_cndmask_b32_e64 v16, 0, 1, s[6:7]
	s_and_b64 s[0:1], s[0:1], s[2:3]
	v_cndmask_b32_e64 v15, v16, v15, s[0:1]
	v_and_b32_e32 v15, 1, v15
	v_cmp_ne_u32_e32 vcc, 0, v5
	v_cmp_eq_u32_e64 s[0:1], 1, v15
	s_and_saveexec_b64 s[2:3], s[0:1]
	s_cbranch_execz .LBB88_13
; %bb.12:
	ds_write_b16 v9, v13
	ds_write_b16 v10, v11 offset:8
	ds_write_b8 v8, v14 offset:2048
	ds_write_b8 v8, v12 offset:2052
.LBB88_13:
	s_or_b64 exec, exec, s[2:3]
	s_waitcnt lgkmcnt(0)
	s_barrier
	ds_read_u16 v12, v6
	ds_read_u16 v14, v7 offset:4
	ds_read_u8 v13, v4 offset:2048
	ds_read_u8 v15, v4 offset:2050
	v_lshrrev_b32_e32 v5, 2, v5
	s_waitcnt lgkmcnt(2)
	v_cmp_lt_i16_e64 s[0:1], v12, v14
	s_waitcnt lgkmcnt(1)
	v_and_b32_e32 v11, 1, v13
	v_cmp_eq_u32_e64 s[2:3], 1, v11
	s_waitcnt lgkmcnt(0)
	v_cmp_ne_u16_e64 s[6:7], v15, v5
	v_cndmask_b32_e64 v16, 0, 1, s[6:7]
	v_cndmask_b32_e64 v11, 0, 1, vcc
	s_and_b64 vcc, s[0:1], s[2:3]
	v_cndmask_b32_e32 v16, v16, v11, vcc
	v_and_b32_e32 v16, 1, v16
	v_cmp_eq_u32_e32 vcc, 1, v16
	s_and_saveexec_b64 s[0:1], vcc
	s_cbranch_execz .LBB88_15
; %bb.14:
	ds_write_b16 v6, v14
	ds_write_b16 v7, v12 offset:4
	ds_write_b8 v4, v15 offset:2048
	ds_write_b8 v4, v13 offset:2050
.LBB88_15:
	s_or_b64 exec, exec, s[0:1]
	s_waitcnt lgkmcnt(0)
	s_barrier
	ds_read_b32 v13, v2
	ds_read_u8 v12, v3 offset:2048
	ds_read_u8 v14, v3 offset:2049
	s_waitcnt lgkmcnt(2)
	v_cmp_lt_i16_sdwa s[2:3], v13, v13 src0_sel:DWORD src1_sel:WORD_1
	s_waitcnt lgkmcnt(1)
	v_and_b32_e32 v15, 1, v12
	v_cmp_eq_u32_e32 vcc, 1, v15
	s_waitcnt lgkmcnt(0)
	v_cmp_ne_u16_e64 s[0:1], v14, v5
	v_cndmask_b32_e64 v5, 0, 1, s[0:1]
	s_and_b64 vcc, s[2:3], vcc
	v_cndmask_b32_e32 v5, v5, v11, vcc
	v_and_b32_e32 v5, 1, v5
	v_cmp_eq_u32_e32 vcc, 1, v5
	s_and_saveexec_b64 s[0:1], vcc
	s_cbranch_execz .LBB88_17
; %bb.16:
	v_alignbit_b32 v5, v13, v13, 16
	ds_write_b32 v2, v5
	ds_write_b8 v3, v14 offset:2048
	ds_write_b8 v3, v12 offset:2049
.LBB88_17:
	s_or_b64 exec, exec, s[0:1]
	v_and_b32_e32 v11, 7, v0
	v_sub_u32_e32 v13, v1, v11
	v_lshl_add_u32 v12, v13, 1, 2
	v_add_u32_e32 v11, 2, v13
	s_waitcnt lgkmcnt(0)
	s_barrier
	v_add_u32_e32 v13, v11, v13
	ds_read_u16 v14, v12
	ds_read_u16 v16, v13 offset:16
	ds_read_u8 v15, v11 offset:2048
	ds_read_u8 v17, v11 offset:2056
	v_bfe_u32 v18, v0, 3, 1
	v_and_b32_e32 v5, 8, v0
	s_waitcnt lgkmcnt(2)
	v_cmp_lt_i16_e64 s[0:1], v14, v16
	s_waitcnt lgkmcnt(1)
	v_and_b32_e32 v19, 1, v15
	v_cmp_eq_u32_e64 s[2:3], 1, v19
	s_waitcnt lgkmcnt(0)
	v_cmp_ne_u16_e64 s[6:7], v17, v18
	v_cndmask_b32_e64 v19, 0, 1, s[6:7]
	s_and_b64 s[0:1], s[0:1], s[2:3]
	v_cndmask_b32_e64 v18, v19, v18, s[0:1]
	v_and_b32_e32 v18, 1, v18
	v_cmp_ne_u32_e32 vcc, 0, v5
	v_cmp_eq_u32_e64 s[0:1], 1, v18
	s_and_saveexec_b64 s[2:3], s[0:1]
	s_cbranch_execz .LBB88_19
; %bb.18:
	ds_write_b16 v12, v16
	ds_write_b16 v13, v14 offset:16
	ds_write_b8 v11, v17 offset:2048
	ds_write_b8 v11, v15 offset:2056
.LBB88_19:
	s_or_b64 exec, exec, s[2:3]
	s_waitcnt lgkmcnt(0)
	s_barrier
	ds_read_u16 v15, v9
	ds_read_u16 v17, v10 offset:8
	ds_read_u8 v16, v8 offset:2048
	ds_read_u8 v18, v8 offset:2052
	v_lshrrev_b32_e32 v5, 3, v5
	s_waitcnt lgkmcnt(2)
	v_cmp_lt_i16_e64 s[0:1], v15, v17
	s_waitcnt lgkmcnt(1)
	v_and_b32_e32 v14, 1, v16
	v_cmp_eq_u32_e64 s[2:3], 1, v14
	s_waitcnt lgkmcnt(0)
	v_cmp_ne_u16_e64 s[6:7], v18, v5
	v_cndmask_b32_e64 v19, 0, 1, s[6:7]
	v_cndmask_b32_e64 v14, 0, 1, vcc
	s_and_b64 vcc, s[0:1], s[2:3]
	v_cndmask_b32_e32 v19, v19, v14, vcc
	v_and_b32_e32 v19, 1, v19
	v_cmp_eq_u32_e32 vcc, 1, v19
	s_and_saveexec_b64 s[0:1], vcc
	s_cbranch_execz .LBB88_21
; %bb.20:
	ds_write_b16 v9, v17
	ds_write_b16 v10, v15 offset:8
	ds_write_b8 v8, v18 offset:2048
	ds_write_b8 v8, v16 offset:2052
.LBB88_21:
	s_or_b64 exec, exec, s[0:1]
	s_waitcnt lgkmcnt(0)
	s_barrier
	ds_read_u16 v15, v6
	ds_read_u16 v17, v7 offset:4
	ds_read_u8 v16, v4 offset:2048
	ds_read_u8 v18, v4 offset:2050
	s_waitcnt lgkmcnt(2)
	v_cmp_lt_i16_e32 vcc, v15, v17
	s_waitcnt lgkmcnt(1)
	v_and_b32_e32 v19, 1, v16
	v_cmp_eq_u32_e64 s[0:1], 1, v19
	s_waitcnt lgkmcnt(0)
	v_cmp_ne_u16_e64 s[2:3], v18, v5
	v_cndmask_b32_e64 v19, 0, 1, s[2:3]
	s_and_b64 vcc, vcc, s[0:1]
	v_cndmask_b32_e32 v19, v19, v14, vcc
	v_and_b32_e32 v19, 1, v19
	v_cmp_eq_u32_e32 vcc, 1, v19
	s_and_saveexec_b64 s[0:1], vcc
	s_cbranch_execz .LBB88_23
; %bb.22:
	ds_write_b16 v6, v17
	ds_write_b16 v7, v15 offset:4
	ds_write_b8 v4, v18 offset:2048
	ds_write_b8 v4, v16 offset:2050
.LBB88_23:
	s_or_b64 exec, exec, s[0:1]
	s_waitcnt lgkmcnt(0)
	s_barrier
	ds_read_b32 v16, v2
	ds_read_u8 v15, v3 offset:2048
	ds_read_u8 v17, v3 offset:2049
	s_waitcnt lgkmcnt(2)
	v_cmp_lt_i16_sdwa s[2:3], v16, v16 src0_sel:DWORD src1_sel:WORD_1
	s_waitcnt lgkmcnt(1)
	v_and_b32_e32 v18, 1, v15
	v_cmp_eq_u32_e32 vcc, 1, v18
	s_waitcnt lgkmcnt(0)
	v_cmp_ne_u16_e64 s[0:1], v17, v5
	v_cndmask_b32_e64 v5, 0, 1, s[0:1]
	s_and_b64 vcc, s[2:3], vcc
	v_cndmask_b32_e32 v5, v5, v14, vcc
	v_and_b32_e32 v5, 1, v5
	v_cmp_eq_u32_e32 vcc, 1, v5
	s_and_saveexec_b64 s[0:1], vcc
	s_cbranch_execz .LBB88_25
; %bb.24:
	v_alignbit_b32 v5, v16, v16, 16
	ds_write_b32 v2, v5
	ds_write_b8 v3, v17 offset:2048
	ds_write_b8 v3, v15 offset:2049
.LBB88_25:
	s_or_b64 exec, exec, s[0:1]
	v_and_b32_e32 v14, 15, v0
	v_sub_u32_e32 v16, v1, v14
	v_lshl_add_u32 v15, v16, 1, 2
	v_add_u32_e32 v14, 2, v16
	s_waitcnt lgkmcnt(0)
	s_barrier
	v_add_u32_e32 v16, v14, v16
	ds_read_u16 v17, v15
	ds_read_u16 v19, v16 offset:32
	ds_read_u8 v18, v14 offset:2048
	ds_read_u8 v20, v14 offset:2064
	v_bfe_u32 v21, v0, 4, 1
	v_and_b32_e32 v5, 16, v0
	s_waitcnt lgkmcnt(2)
	v_cmp_lt_i16_e64 s[0:1], v17, v19
	s_waitcnt lgkmcnt(1)
	v_and_b32_e32 v22, 1, v18
	v_cmp_eq_u32_e64 s[2:3], 1, v22
	s_waitcnt lgkmcnt(0)
	v_cmp_ne_u16_e64 s[6:7], v20, v21
	v_cndmask_b32_e64 v22, 0, 1, s[6:7]
	s_and_b64 s[0:1], s[0:1], s[2:3]
	v_cndmask_b32_e64 v21, v22, v21, s[0:1]
	v_and_b32_e32 v21, 1, v21
	v_cmp_ne_u32_e32 vcc, 0, v5
	v_cmp_eq_u32_e64 s[0:1], 1, v21
	s_and_saveexec_b64 s[2:3], s[0:1]
	s_cbranch_execz .LBB88_27
; %bb.26:
	ds_write_b16 v15, v19
	ds_write_b16 v16, v17 offset:32
	ds_write_b8 v14, v20 offset:2048
	ds_write_b8 v14, v18 offset:2064
.LBB88_27:
	s_or_b64 exec, exec, s[2:3]
	s_waitcnt lgkmcnt(0)
	s_barrier
	ds_read_u16 v18, v12
	ds_read_u16 v20, v13 offset:16
	ds_read_u8 v19, v11 offset:2048
	ds_read_u8 v21, v11 offset:2056
	v_lshrrev_b32_e32 v5, 4, v5
	s_waitcnt lgkmcnt(2)
	v_cmp_lt_i16_e64 s[0:1], v18, v20
	s_waitcnt lgkmcnt(1)
	v_and_b32_e32 v17, 1, v19
	v_cmp_eq_u32_e64 s[2:3], 1, v17
	s_waitcnt lgkmcnt(0)
	v_cmp_ne_u16_e64 s[6:7], v21, v5
	v_cndmask_b32_e64 v22, 0, 1, s[6:7]
	v_cndmask_b32_e64 v17, 0, 1, vcc
	s_and_b64 vcc, s[0:1], s[2:3]
	v_cndmask_b32_e32 v22, v22, v17, vcc
	v_and_b32_e32 v22, 1, v22
	v_cmp_eq_u32_e32 vcc, 1, v22
	s_and_saveexec_b64 s[0:1], vcc
	s_cbranch_execz .LBB88_29
; %bb.28:
	ds_write_b16 v12, v20
	ds_write_b16 v13, v18 offset:16
	ds_write_b8 v11, v21 offset:2048
	ds_write_b8 v11, v19 offset:2056
.LBB88_29:
	s_or_b64 exec, exec, s[0:1]
	s_waitcnt lgkmcnt(0)
	s_barrier
	ds_read_u16 v18, v9
	ds_read_u16 v20, v10 offset:8
	ds_read_u8 v19, v8 offset:2048
	ds_read_u8 v21, v8 offset:2052
	s_waitcnt lgkmcnt(2)
	v_cmp_lt_i16_e32 vcc, v18, v20
	s_waitcnt lgkmcnt(1)
	v_and_b32_e32 v22, 1, v19
	v_cmp_eq_u32_e64 s[0:1], 1, v22
	s_waitcnt lgkmcnt(0)
	v_cmp_ne_u16_e64 s[2:3], v21, v5
	v_cndmask_b32_e64 v22, 0, 1, s[2:3]
	s_and_b64 vcc, vcc, s[0:1]
	v_cndmask_b32_e32 v22, v22, v17, vcc
	v_and_b32_e32 v22, 1, v22
	v_cmp_eq_u32_e32 vcc, 1, v22
	s_and_saveexec_b64 s[0:1], vcc
	s_cbranch_execz .LBB88_31
; %bb.30:
	ds_write_b16 v9, v20
	ds_write_b16 v10, v18 offset:8
	ds_write_b8 v8, v21 offset:2048
	ds_write_b8 v8, v19 offset:2052
.LBB88_31:
	s_or_b64 exec, exec, s[0:1]
	s_waitcnt lgkmcnt(0)
	s_barrier
	ds_read_u16 v18, v6
	ds_read_u16 v20, v7 offset:4
	ds_read_u8 v19, v4 offset:2048
	ds_read_u8 v21, v4 offset:2050
	s_waitcnt lgkmcnt(2)
	v_cmp_lt_i16_e32 vcc, v18, v20
	s_waitcnt lgkmcnt(1)
	v_and_b32_e32 v22, 1, v19
	v_cmp_eq_u32_e64 s[0:1], 1, v22
	s_waitcnt lgkmcnt(0)
	v_cmp_ne_u16_e64 s[2:3], v21, v5
	v_cndmask_b32_e64 v22, 0, 1, s[2:3]
	s_and_b64 vcc, vcc, s[0:1]
	v_cndmask_b32_e32 v22, v22, v17, vcc
	v_and_b32_e32 v22, 1, v22
	v_cmp_eq_u32_e32 vcc, 1, v22
	s_and_saveexec_b64 s[0:1], vcc
	s_cbranch_execz .LBB88_33
; %bb.32:
	ds_write_b16 v6, v20
	ds_write_b16 v7, v18 offset:4
	ds_write_b8 v4, v21 offset:2048
	ds_write_b8 v4, v19 offset:2050
.LBB88_33:
	s_or_b64 exec, exec, s[0:1]
	s_waitcnt lgkmcnt(0)
	s_barrier
	ds_read_b32 v19, v2
	ds_read_u8 v18, v3 offset:2048
	ds_read_u8 v20, v3 offset:2049
	s_waitcnt lgkmcnt(2)
	v_cmp_lt_i16_sdwa s[2:3], v19, v19 src0_sel:DWORD src1_sel:WORD_1
	s_waitcnt lgkmcnt(1)
	v_and_b32_e32 v21, 1, v18
	v_cmp_eq_u32_e32 vcc, 1, v21
	s_waitcnt lgkmcnt(0)
	v_cmp_ne_u16_e64 s[0:1], v20, v5
	v_cndmask_b32_e64 v5, 0, 1, s[0:1]
	s_and_b64 vcc, s[2:3], vcc
	v_cndmask_b32_e32 v5, v5, v17, vcc
	v_and_b32_e32 v5, 1, v5
	v_cmp_eq_u32_e32 vcc, 1, v5
	s_and_saveexec_b64 s[0:1], vcc
	s_cbranch_execz .LBB88_35
; %bb.34:
	v_alignbit_b32 v5, v19, v19, 16
	ds_write_b32 v2, v5
	ds_write_b8 v3, v20 offset:2048
	ds_write_b8 v3, v18 offset:2049
.LBB88_35:
	s_or_b64 exec, exec, s[0:1]
	v_and_b32_e32 v17, 31, v0
	v_sub_u32_e32 v19, v1, v17
	v_lshl_add_u32 v18, v19, 1, 2
	v_add_u32_e32 v17, 2, v19
	s_waitcnt lgkmcnt(0)
	s_barrier
	v_add_u32_e32 v19, v17, v19
	ds_read_u16 v20, v18
	ds_read_u16 v22, v19 offset:64
	ds_read_u8 v21, v17 offset:2048
	ds_read_u8 v23, v17 offset:2080
	v_bfe_u32 v24, v0, 5, 1
	v_and_b32_e32 v5, 32, v0
	s_waitcnt lgkmcnt(2)
	v_cmp_lt_i16_e64 s[0:1], v20, v22
	s_waitcnt lgkmcnt(1)
	v_and_b32_e32 v25, 1, v21
	v_cmp_eq_u32_e64 s[2:3], 1, v25
	s_waitcnt lgkmcnt(0)
	v_cmp_ne_u16_e64 s[6:7], v23, v24
	v_cndmask_b32_e64 v25, 0, 1, s[6:7]
	s_and_b64 s[0:1], s[0:1], s[2:3]
	v_cndmask_b32_e64 v24, v25, v24, s[0:1]
	v_and_b32_e32 v24, 1, v24
	v_cmp_ne_u32_e32 vcc, 0, v5
	v_cmp_eq_u32_e64 s[0:1], 1, v24
	s_and_saveexec_b64 s[2:3], s[0:1]
	s_cbranch_execz .LBB88_37
; %bb.36:
	ds_write_b16 v18, v22
	ds_write_b16 v19, v20 offset:64
	ds_write_b8 v17, v23 offset:2048
	ds_write_b8 v17, v21 offset:2080
.LBB88_37:
	s_or_b64 exec, exec, s[2:3]
	s_waitcnt lgkmcnt(0)
	s_barrier
	ds_read_u16 v21, v15
	ds_read_u16 v23, v16 offset:32
	ds_read_u8 v22, v14 offset:2048
	ds_read_u8 v24, v14 offset:2064
	v_lshrrev_b32_e32 v5, 5, v5
	s_waitcnt lgkmcnt(2)
	v_cmp_lt_i16_e64 s[0:1], v21, v23
	s_waitcnt lgkmcnt(1)
	v_and_b32_e32 v20, 1, v22
	v_cmp_eq_u32_e64 s[2:3], 1, v20
	s_waitcnt lgkmcnt(0)
	v_cmp_ne_u16_e64 s[6:7], v24, v5
	v_cndmask_b32_e64 v25, 0, 1, s[6:7]
	v_cndmask_b32_e64 v20, 0, 1, vcc
	s_and_b64 vcc, s[0:1], s[2:3]
	v_cndmask_b32_e32 v25, v25, v20, vcc
	v_and_b32_e32 v25, 1, v25
	v_cmp_eq_u32_e32 vcc, 1, v25
	s_and_saveexec_b64 s[0:1], vcc
	s_cbranch_execz .LBB88_39
; %bb.38:
	ds_write_b16 v15, v23
	ds_write_b16 v16, v21 offset:32
	ds_write_b8 v14, v24 offset:2048
	ds_write_b8 v14, v22 offset:2064
.LBB88_39:
	s_or_b64 exec, exec, s[0:1]
	s_waitcnt lgkmcnt(0)
	s_barrier
	ds_read_u16 v21, v12
	ds_read_u16 v23, v13 offset:16
	ds_read_u8 v22, v11 offset:2048
	ds_read_u8 v24, v11 offset:2056
	s_waitcnt lgkmcnt(2)
	v_cmp_lt_i16_e32 vcc, v21, v23
	s_waitcnt lgkmcnt(1)
	v_and_b32_e32 v25, 1, v22
	v_cmp_eq_u32_e64 s[0:1], 1, v25
	s_waitcnt lgkmcnt(0)
	v_cmp_ne_u16_e64 s[2:3], v24, v5
	v_cndmask_b32_e64 v25, 0, 1, s[2:3]
	s_and_b64 vcc, vcc, s[0:1]
	v_cndmask_b32_e32 v25, v25, v20, vcc
	v_and_b32_e32 v25, 1, v25
	v_cmp_eq_u32_e32 vcc, 1, v25
	s_and_saveexec_b64 s[0:1], vcc
	s_cbranch_execz .LBB88_41
; %bb.40:
	ds_write_b16 v12, v23
	ds_write_b16 v13, v21 offset:16
	ds_write_b8 v11, v24 offset:2048
	ds_write_b8 v11, v22 offset:2056
.LBB88_41:
	s_or_b64 exec, exec, s[0:1]
	s_waitcnt lgkmcnt(0)
	s_barrier
	ds_read_u16 v21, v9
	ds_read_u16 v23, v10 offset:8
	ds_read_u8 v22, v8 offset:2048
	ds_read_u8 v24, v8 offset:2052
	s_waitcnt lgkmcnt(2)
	v_cmp_lt_i16_e32 vcc, v21, v23
	s_waitcnt lgkmcnt(1)
	v_and_b32_e32 v25, 1, v22
	v_cmp_eq_u32_e64 s[0:1], 1, v25
	s_waitcnt lgkmcnt(0)
	v_cmp_ne_u16_e64 s[2:3], v24, v5
	v_cndmask_b32_e64 v25, 0, 1, s[2:3]
	s_and_b64 vcc, vcc, s[0:1]
	;; [unrolled: 27-line block ×3, first 2 shown]
	v_cndmask_b32_e32 v25, v25, v20, vcc
	v_and_b32_e32 v25, 1, v25
	v_cmp_eq_u32_e32 vcc, 1, v25
	s_and_saveexec_b64 s[0:1], vcc
	s_cbranch_execz .LBB88_45
; %bb.44:
	ds_write_b16 v6, v23
	ds_write_b16 v7, v21 offset:4
	ds_write_b8 v4, v24 offset:2048
	ds_write_b8 v4, v22 offset:2050
.LBB88_45:
	s_or_b64 exec, exec, s[0:1]
	s_waitcnt lgkmcnt(0)
	s_barrier
	ds_read_b32 v22, v2
	ds_read_u8 v21, v3 offset:2048
	ds_read_u8 v23, v3 offset:2049
	s_waitcnt lgkmcnt(2)
	v_cmp_lt_i16_sdwa s[2:3], v22, v22 src0_sel:DWORD src1_sel:WORD_1
	s_waitcnt lgkmcnt(1)
	v_and_b32_e32 v24, 1, v21
	v_cmp_eq_u32_e32 vcc, 1, v24
	s_waitcnt lgkmcnt(0)
	v_cmp_ne_u16_e64 s[0:1], v23, v5
	v_cndmask_b32_e64 v5, 0, 1, s[0:1]
	s_and_b64 vcc, s[2:3], vcc
	v_cndmask_b32_e32 v5, v5, v20, vcc
	v_and_b32_e32 v5, 1, v5
	v_cmp_eq_u32_e32 vcc, 1, v5
	s_and_saveexec_b64 s[0:1], vcc
	s_cbranch_execz .LBB88_47
; %bb.46:
	v_alignbit_b32 v5, v22, v22, 16
	ds_write_b32 v2, v5
	ds_write_b8 v3, v23 offset:2048
	ds_write_b8 v3, v21 offset:2049
.LBB88_47:
	s_or_b64 exec, exec, s[0:1]
	v_and_b32_e32 v5, 63, v0
	v_sub_u32_e32 v22, v1, v5
	v_lshl_add_u32 v21, v22, 1, 2
	v_add_u32_e32 v20, 2, v22
	s_waitcnt lgkmcnt(0)
	s_barrier
	v_add_u32_e32 v22, v20, v22
	ds_read_u16 v24, v21
	ds_read_u16 v26, v22 offset:128
	ds_read_u8 v25, v20 offset:2048
	ds_read_u8 v27, v20 offset:2112
	v_bfe_u32 v28, v0, 6, 1
	v_and_b32_e32 v23, 64, v0
	s_waitcnt lgkmcnt(2)
	v_cmp_lt_i16_e64 s[0:1], v24, v26
	s_waitcnt lgkmcnt(1)
	v_and_b32_e32 v29, 1, v25
	v_cmp_eq_u32_e64 s[2:3], 1, v29
	s_waitcnt lgkmcnt(0)
	v_cmp_ne_u16_e64 s[6:7], v27, v28
	v_cndmask_b32_e64 v29, 0, 1, s[6:7]
	s_and_b64 s[0:1], s[0:1], s[2:3]
	v_cndmask_b32_e64 v28, v29, v28, s[0:1]
	v_and_b32_e32 v28, 1, v28
	v_cmp_ne_u32_e32 vcc, 0, v23
	v_cmp_eq_u32_e64 s[0:1], 1, v28
	s_and_saveexec_b64 s[2:3], s[0:1]
	s_cbranch_execz .LBB88_49
; %bb.48:
	ds_write_b16 v21, v26
	ds_write_b16 v22, v24 offset:128
	ds_write_b8 v20, v27 offset:2048
	ds_write_b8 v20, v25 offset:2112
.LBB88_49:
	s_or_b64 exec, exec, s[2:3]
	s_waitcnt lgkmcnt(0)
	s_barrier
	ds_read_u16 v25, v18
	ds_read_u16 v27, v19 offset:64
	ds_read_u8 v26, v17 offset:2048
	ds_read_u8 v28, v17 offset:2080
	v_lshrrev_b32_e32 v23, 6, v23
	s_waitcnt lgkmcnt(2)
	v_cmp_lt_i16_e64 s[0:1], v25, v27
	s_waitcnt lgkmcnt(1)
	v_and_b32_e32 v24, 1, v26
	v_cmp_eq_u32_e64 s[2:3], 1, v24
	s_waitcnt lgkmcnt(0)
	v_cmp_ne_u16_e64 s[6:7], v28, v23
	v_cndmask_b32_e64 v29, 0, 1, s[6:7]
	v_cndmask_b32_e64 v24, 0, 1, vcc
	s_and_b64 vcc, s[0:1], s[2:3]
	v_cndmask_b32_e32 v29, v29, v24, vcc
	v_and_b32_e32 v29, 1, v29
	v_cmp_eq_u32_e32 vcc, 1, v29
	s_and_saveexec_b64 s[0:1], vcc
	s_cbranch_execz .LBB88_51
; %bb.50:
	ds_write_b16 v18, v27
	ds_write_b16 v19, v25 offset:64
	ds_write_b8 v17, v28 offset:2048
	ds_write_b8 v17, v26 offset:2080
.LBB88_51:
	s_or_b64 exec, exec, s[0:1]
	s_waitcnt lgkmcnt(0)
	s_barrier
	ds_read_u16 v25, v15
	ds_read_u16 v27, v16 offset:32
	ds_read_u8 v26, v14 offset:2048
	ds_read_u8 v28, v14 offset:2064
	s_waitcnt lgkmcnt(2)
	v_cmp_lt_i16_e32 vcc, v25, v27
	s_waitcnt lgkmcnt(1)
	v_and_b32_e32 v29, 1, v26
	v_cmp_eq_u32_e64 s[0:1], 1, v29
	s_waitcnt lgkmcnt(0)
	v_cmp_ne_u16_e64 s[2:3], v28, v23
	v_cndmask_b32_e64 v29, 0, 1, s[2:3]
	s_and_b64 vcc, vcc, s[0:1]
	v_cndmask_b32_e32 v29, v29, v24, vcc
	v_and_b32_e32 v29, 1, v29
	v_cmp_eq_u32_e32 vcc, 1, v29
	s_and_saveexec_b64 s[0:1], vcc
	s_cbranch_execz .LBB88_53
; %bb.52:
	ds_write_b16 v15, v27
	ds_write_b16 v16, v25 offset:32
	ds_write_b8 v14, v28 offset:2048
	ds_write_b8 v14, v26 offset:2064
.LBB88_53:
	s_or_b64 exec, exec, s[0:1]
	s_waitcnt lgkmcnt(0)
	s_barrier
	ds_read_u16 v25, v12
	ds_read_u16 v27, v13 offset:16
	ds_read_u8 v26, v11 offset:2048
	ds_read_u8 v28, v11 offset:2056
	s_waitcnt lgkmcnt(2)
	v_cmp_lt_i16_e32 vcc, v25, v27
	s_waitcnt lgkmcnt(1)
	v_and_b32_e32 v29, 1, v26
	v_cmp_eq_u32_e64 s[0:1], 1, v29
	s_waitcnt lgkmcnt(0)
	v_cmp_ne_u16_e64 s[2:3], v28, v23
	v_cndmask_b32_e64 v29, 0, 1, s[2:3]
	s_and_b64 vcc, vcc, s[0:1]
	;; [unrolled: 27-line block ×4, first 2 shown]
	v_cndmask_b32_e32 v29, v29, v24, vcc
	v_and_b32_e32 v29, 1, v29
	v_cmp_eq_u32_e32 vcc, 1, v29
	s_and_saveexec_b64 s[0:1], vcc
	s_cbranch_execz .LBB88_59
; %bb.58:
	ds_write_b16 v6, v27
	ds_write_b16 v7, v25 offset:4
	ds_write_b8 v4, v28 offset:2048
	ds_write_b8 v4, v26 offset:2050
.LBB88_59:
	s_or_b64 exec, exec, s[0:1]
	s_waitcnt lgkmcnt(0)
	s_barrier
	ds_read_b32 v26, v2
	ds_read_u8 v25, v3 offset:2048
	ds_read_u8 v27, v3 offset:2049
	s_waitcnt lgkmcnt(2)
	v_cmp_lt_i16_sdwa s[2:3], v26, v26 src0_sel:DWORD src1_sel:WORD_1
	s_waitcnt lgkmcnt(1)
	v_and_b32_e32 v28, 1, v25
	v_cmp_eq_u32_e32 vcc, 1, v28
	s_waitcnt lgkmcnt(0)
	v_cmp_ne_u16_e64 s[0:1], v27, v23
	v_cndmask_b32_e64 v23, 0, 1, s[0:1]
	s_and_b64 vcc, s[2:3], vcc
	v_cndmask_b32_e32 v23, v23, v24, vcc
	v_and_b32_e32 v23, 1, v23
	v_cmp_eq_u32_e32 vcc, 1, v23
	s_and_saveexec_b64 s[0:1], vcc
	s_cbranch_execz .LBB88_61
; %bb.60:
	v_alignbit_b32 v23, v26, v26, 16
	ds_write_b32 v2, v23
	ds_write_b8 v3, v27 offset:2048
	ds_write_b8 v3, v25 offset:2049
.LBB88_61:
	s_or_b64 exec, exec, s[0:1]
	v_and_b32_e32 v23, 0x7f, v0
	v_sub_u32_e32 v25, v1, v23
	v_lshl_add_u32 v24, v25, 1, 2
	v_add_u32_e32 v23, 2, v25
	s_waitcnt lgkmcnt(0)
	s_barrier
	v_add_u32_e32 v25, v23, v25
	ds_read_u16 v27, v24
	ds_read_u16 v29, v25 offset:256
	ds_read_u8 v28, v23 offset:2048
	ds_read_u8 v30, v23 offset:2176
	v_lshrrev_b32_e32 v31, 7, v0
	v_and_b32_e32 v26, 0x80, v0
	v_cmp_ne_u32_e32 vcc, 0, v26
	v_and_b32_e32 v26, 1, v31
	s_waitcnt lgkmcnt(1)
	v_and_b32_e32 v32, 1, v28
	v_cmp_lt_i16_e64 s[0:1], v27, v29
	v_cmp_eq_u32_e64 s[2:3], 1, v32
	s_waitcnt lgkmcnt(0)
	v_cmp_ne_u16_e64 s[6:7], v30, v26
	v_cndmask_b32_e64 v32, 0, 1, s[6:7]
	s_and_b64 s[0:1], s[0:1], s[2:3]
	v_cndmask_b32_e64 v31, v32, v31, s[0:1]
	v_and_b32_e32 v31, 1, v31
	v_cmp_eq_u32_e64 s[0:1], 1, v31
	s_and_saveexec_b64 s[2:3], s[0:1]
	s_cbranch_execz .LBB88_63
; %bb.62:
	ds_write_b16 v24, v29
	ds_write_b16 v25, v27 offset:256
	ds_write_b8 v23, v30 offset:2048
	ds_write_b8 v23, v28 offset:2176
.LBB88_63:
	s_or_b64 exec, exec, s[2:3]
	s_waitcnt lgkmcnt(0)
	s_barrier
	ds_read_u16 v28, v21
	ds_read_u16 v30, v22 offset:128
	ds_read_u8 v29, v20 offset:2048
	ds_read_u8 v31, v20 offset:2112
	s_waitcnt lgkmcnt(2)
	v_cmp_lt_i16_e64 s[0:1], v28, v30
	s_waitcnt lgkmcnt(1)
	v_and_b32_e32 v27, 1, v29
	v_cmp_eq_u32_e64 s[2:3], 1, v27
	s_waitcnt lgkmcnt(0)
	v_cmp_ne_u16_e64 s[6:7], v31, v26
	v_cndmask_b32_e64 v32, 0, 1, s[6:7]
	v_cndmask_b32_e64 v27, 0, 1, vcc
	s_and_b64 vcc, s[0:1], s[2:3]
	v_cndmask_b32_e32 v32, v32, v27, vcc
	v_and_b32_e32 v32, 1, v32
	v_cmp_eq_u32_e32 vcc, 1, v32
	s_and_saveexec_b64 s[0:1], vcc
	s_cbranch_execz .LBB88_65
; %bb.64:
	ds_write_b16 v21, v30
	ds_write_b16 v22, v28 offset:128
	ds_write_b8 v20, v31 offset:2048
	ds_write_b8 v20, v29 offset:2112
.LBB88_65:
	s_or_b64 exec, exec, s[0:1]
	s_waitcnt lgkmcnt(0)
	s_barrier
	ds_read_u16 v28, v18
	ds_read_u16 v30, v19 offset:64
	ds_read_u8 v29, v17 offset:2048
	ds_read_u8 v31, v17 offset:2080
	s_waitcnt lgkmcnt(2)
	v_cmp_lt_i16_e32 vcc, v28, v30
	s_waitcnt lgkmcnt(1)
	v_and_b32_e32 v32, 1, v29
	v_cmp_eq_u32_e64 s[0:1], 1, v32
	s_waitcnt lgkmcnt(0)
	v_cmp_ne_u16_e64 s[2:3], v31, v26
	v_cndmask_b32_e64 v32, 0, 1, s[2:3]
	s_and_b64 vcc, vcc, s[0:1]
	v_cndmask_b32_e32 v32, v32, v27, vcc
	v_and_b32_e32 v32, 1, v32
	v_cmp_eq_u32_e32 vcc, 1, v32
	s_and_saveexec_b64 s[0:1], vcc
	s_cbranch_execz .LBB88_67
; %bb.66:
	ds_write_b16 v18, v30
	ds_write_b16 v19, v28 offset:64
	ds_write_b8 v17, v31 offset:2048
	ds_write_b8 v17, v29 offset:2080
.LBB88_67:
	s_or_b64 exec, exec, s[0:1]
	s_waitcnt lgkmcnt(0)
	s_barrier
	ds_read_u16 v28, v15
	ds_read_u16 v30, v16 offset:32
	ds_read_u8 v29, v14 offset:2048
	ds_read_u8 v31, v14 offset:2064
	s_waitcnt lgkmcnt(2)
	v_cmp_lt_i16_e32 vcc, v28, v30
	s_waitcnt lgkmcnt(1)
	v_and_b32_e32 v32, 1, v29
	v_cmp_eq_u32_e64 s[0:1], 1, v32
	s_waitcnt lgkmcnt(0)
	v_cmp_ne_u16_e64 s[2:3], v31, v26
	v_cndmask_b32_e64 v32, 0, 1, s[2:3]
	s_and_b64 vcc, vcc, s[0:1]
	;; [unrolled: 27-line block ×5, first 2 shown]
	v_cndmask_b32_e32 v32, v32, v27, vcc
	v_and_b32_e32 v32, 1, v32
	v_cmp_eq_u32_e32 vcc, 1, v32
	s_and_saveexec_b64 s[0:1], vcc
	s_cbranch_execz .LBB88_75
; %bb.74:
	ds_write_b16 v6, v30
	ds_write_b16 v7, v28 offset:4
	ds_write_b8 v4, v31 offset:2048
	ds_write_b8 v4, v29 offset:2050
.LBB88_75:
	s_or_b64 exec, exec, s[0:1]
	s_waitcnt lgkmcnt(0)
	s_barrier
	ds_read_b32 v29, v2
	ds_read_u8 v28, v3 offset:2048
	ds_read_u8 v30, v3 offset:2049
	s_waitcnt lgkmcnt(2)
	v_cmp_lt_i16_sdwa s[2:3], v29, v29 src0_sel:DWORD src1_sel:WORD_1
	s_waitcnt lgkmcnt(1)
	v_and_b32_e32 v31, 1, v28
	v_cmp_eq_u32_e32 vcc, 1, v31
	s_waitcnt lgkmcnt(0)
	v_cmp_ne_u16_e64 s[0:1], v30, v26
	v_cndmask_b32_e64 v26, 0, 1, s[0:1]
	s_and_b64 vcc, s[2:3], vcc
	v_cndmask_b32_e32 v26, v26, v27, vcc
	v_and_b32_e32 v26, 1, v26
	v_cmp_eq_u32_e32 vcc, 1, v26
	s_and_saveexec_b64 s[0:1], vcc
	s_cbranch_execz .LBB88_77
; %bb.76:
	v_alignbit_b32 v26, v29, v29, 16
	ds_write_b32 v2, v26
	ds_write_b8 v3, v30 offset:2048
	ds_write_b8 v3, v28 offset:2049
.LBB88_77:
	s_or_b64 exec, exec, s[0:1]
	v_sub_u32_sdwa v28, v1, v0 dst_sel:DWORD dst_unused:UNUSED_PAD src0_sel:DWORD src1_sel:BYTE_0
	v_lshl_add_u32 v27, v28, 1, 2
	v_add_u32_e32 v26, 2, v28
	v_and_b32_e32 v33, 0x100, v0
	s_waitcnt lgkmcnt(0)
	s_barrier
	v_add_u32_e32 v28, v26, v28
	ds_read_u16 v30, v27
	ds_read_u16 v32, v28 offset:512
	ds_read_u8 v31, v26 offset:2048
	v_cmp_ne_u32_e32 vcc, 0, v33
	ds_read_u8 v33, v26 offset:2304
	v_bfe_u32 v34, v0, 8, 1
	s_waitcnt lgkmcnt(2)
	v_cmp_lt_i16_e64 s[0:1], v30, v32
	s_waitcnt lgkmcnt(1)
	v_and_b32_e32 v35, 1, v31
	v_cmp_eq_u32_e64 s[2:3], 1, v35
	s_waitcnt lgkmcnt(0)
	v_cmp_ne_u16_e64 s[6:7], v33, v34
	v_cndmask_b32_e64 v35, 0, 1, s[6:7]
	s_and_b64 s[0:1], s[0:1], s[2:3]
	v_cndmask_b32_e64 v34, v35, v34, s[0:1]
	v_and_b32_e32 v34, 1, v34
	v_and_b32_e32 v29, 0x100, v0
	v_cmp_eq_u32_e64 s[0:1], 1, v34
	s_and_saveexec_b64 s[2:3], s[0:1]
	s_cbranch_execz .LBB88_79
; %bb.78:
	ds_write_b16 v27, v32
	ds_write_b16 v28, v30 offset:512
	ds_write_b8 v26, v33 offset:2048
	ds_write_b8 v26, v31 offset:2304
.LBB88_79:
	s_or_b64 exec, exec, s[2:3]
	s_waitcnt lgkmcnt(0)
	s_barrier
	ds_read_u16 v31, v24
	ds_read_u16 v33, v25 offset:256
	ds_read_u8 v32, v23 offset:2048
	ds_read_u8 v34, v23 offset:2176
	v_lshrrev_b32_e32 v29, 8, v29
	s_waitcnt lgkmcnt(2)
	v_cmp_lt_i16_e64 s[0:1], v31, v33
	s_waitcnt lgkmcnt(1)
	v_and_b32_e32 v30, 1, v32
	v_cmp_eq_u32_e64 s[2:3], 1, v30
	s_waitcnt lgkmcnt(0)
	v_cmp_ne_u16_e64 s[6:7], v34, v29
	v_cndmask_b32_e64 v35, 0, 1, s[6:7]
	v_cndmask_b32_e64 v30, 0, 1, vcc
	s_and_b64 vcc, s[0:1], s[2:3]
	v_cndmask_b32_e32 v35, v35, v30, vcc
	v_and_b32_e32 v35, 1, v35
	v_cmp_eq_u32_e32 vcc, 1, v35
	s_and_saveexec_b64 s[0:1], vcc
	s_cbranch_execz .LBB88_81
; %bb.80:
	ds_write_b16 v24, v33
	ds_write_b16 v25, v31 offset:256
	ds_write_b8 v23, v34 offset:2048
	ds_write_b8 v23, v32 offset:2176
.LBB88_81:
	s_or_b64 exec, exec, s[0:1]
	s_waitcnt lgkmcnt(0)
	s_barrier
	ds_read_u16 v31, v21
	ds_read_u16 v33, v22 offset:128
	ds_read_u8 v32, v20 offset:2048
	ds_read_u8 v34, v20 offset:2112
	s_waitcnt lgkmcnt(2)
	v_cmp_lt_i16_e32 vcc, v31, v33
	s_waitcnt lgkmcnt(1)
	v_and_b32_e32 v35, 1, v32
	v_cmp_eq_u32_e64 s[0:1], 1, v35
	s_waitcnt lgkmcnt(0)
	v_cmp_ne_u16_e64 s[2:3], v34, v29
	v_cndmask_b32_e64 v35, 0, 1, s[2:3]
	s_and_b64 vcc, vcc, s[0:1]
	v_cndmask_b32_e32 v35, v35, v30, vcc
	v_and_b32_e32 v35, 1, v35
	v_cmp_eq_u32_e32 vcc, 1, v35
	s_and_saveexec_b64 s[0:1], vcc
	s_cbranch_execz .LBB88_83
; %bb.82:
	ds_write_b16 v21, v33
	ds_write_b16 v22, v31 offset:128
	ds_write_b8 v20, v34 offset:2048
	ds_write_b8 v20, v32 offset:2112
.LBB88_83:
	s_or_b64 exec, exec, s[0:1]
	s_waitcnt lgkmcnt(0)
	s_barrier
	ds_read_u16 v31, v18
	ds_read_u16 v33, v19 offset:64
	ds_read_u8 v32, v17 offset:2048
	ds_read_u8 v34, v17 offset:2080
	s_waitcnt lgkmcnt(2)
	v_cmp_lt_i16_e32 vcc, v31, v33
	s_waitcnt lgkmcnt(1)
	v_and_b32_e32 v35, 1, v32
	v_cmp_eq_u32_e64 s[0:1], 1, v35
	s_waitcnt lgkmcnt(0)
	v_cmp_ne_u16_e64 s[2:3], v34, v29
	v_cndmask_b32_e64 v35, 0, 1, s[2:3]
	s_and_b64 vcc, vcc, s[0:1]
	;; [unrolled: 27-line block ×6, first 2 shown]
	v_cndmask_b32_e32 v35, v35, v30, vcc
	v_and_b32_e32 v35, 1, v35
	v_cmp_eq_u32_e32 vcc, 1, v35
	s_and_saveexec_b64 s[0:1], vcc
	s_cbranch_execz .LBB88_93
; %bb.92:
	ds_write_b16 v6, v33
	ds_write_b16 v7, v31 offset:4
	ds_write_b8 v4, v34 offset:2048
	ds_write_b8 v4, v32 offset:2050
.LBB88_93:
	s_or_b64 exec, exec, s[0:1]
	s_waitcnt lgkmcnt(0)
	s_barrier
	ds_read_b32 v32, v2
	ds_read_u8 v31, v3 offset:2048
	ds_read_u8 v33, v3 offset:2049
	s_waitcnt lgkmcnt(2)
	v_cmp_lt_i16_sdwa s[2:3], v32, v32 src0_sel:DWORD src1_sel:WORD_1
	s_waitcnt lgkmcnt(1)
	v_and_b32_e32 v34, 1, v31
	v_cmp_eq_u32_e32 vcc, 1, v34
	s_waitcnt lgkmcnt(0)
	v_cmp_ne_u16_e64 s[0:1], v33, v29
	v_cndmask_b32_e64 v29, 0, 1, s[0:1]
	s_and_b64 vcc, s[2:3], vcc
	v_cndmask_b32_e32 v29, v29, v30, vcc
	v_and_b32_e32 v29, 1, v29
	v_cmp_eq_u32_e32 vcc, 1, v29
	s_and_saveexec_b64 s[0:1], vcc
	s_cbranch_execz .LBB88_95
; %bb.94:
	v_alignbit_b32 v29, v32, v32, 16
	ds_write_b32 v2, v29
	ds_write_b8 v3, v33 offset:2048
	ds_write_b8 v3, v31 offset:2049
.LBB88_95:
	s_or_b64 exec, exec, s[0:1]
	v_and_b32_e32 v29, 0x1ff, v0
	v_sub_u32_e32 v29, v1, v29
	v_lshl_add_u32 v31, v29, 1, 2
	v_add_u32_e32 v30, 2, v29
	s_waitcnt lgkmcnt(0)
	s_barrier
	v_add_u32_e32 v32, v30, v29
	ds_read_u16 v33, v31
	ds_read_u16 v35, v32 offset:1024
	ds_read_u8 v34, v30 offset:2048
	ds_read_u8 v36, v30 offset:2560
	s_waitcnt lgkmcnt(2)
	v_cmp_ge_i16_e32 vcc, v33, v35
	s_waitcnt lgkmcnt(1)
	v_and_b32_e32 v29, 1, v34
	v_cmp_eq_u32_e64 s[0:1], 1, v29
	s_xor_b64 s[0:1], s[0:1], -1
	v_mov_b32_e32 v29, 0
	s_or_b64 s[0:1], vcc, s[0:1]
	s_waitcnt lgkmcnt(0)
	v_cmp_ne_u16_sdwa s[2:3], v36, v29 src0_sel:BYTE_0 src1_sel:DWORD
	s_and_b64 s[2:3], s[0:1], s[2:3]
	s_and_saveexec_b64 s[0:1], s[2:3]
	s_cbranch_execz .LBB88_97
; %bb.96:
	ds_write_b16 v31, v35
	ds_write_b16 v32, v33 offset:1024
	v_mov_b32_e32 v31, 1
	ds_write_b8 v30, v31 offset:2048
	ds_write_b8 v30, v34 offset:2560
.LBB88_97:
	s_or_b64 exec, exec, s[0:1]
	s_waitcnt lgkmcnt(0)
	s_barrier
	ds_read_u16 v30, v27
	ds_read_u16 v32, v28 offset:512
	ds_read_u8 v31, v26 offset:2048
	ds_read_u8 v33, v26 offset:2304
	s_waitcnt lgkmcnt(2)
	v_cmp_ge_i16_e32 vcc, v30, v32
	s_waitcnt lgkmcnt(1)
	v_and_b32_e32 v34, 1, v31
	v_cmp_eq_u32_e64 s[0:1], 1, v34
	s_xor_b64 s[0:1], s[0:1], -1
	s_or_b64 s[0:1], vcc, s[0:1]
	s_waitcnt lgkmcnt(0)
	v_cmp_ne_u16_sdwa s[2:3], v33, v29 src0_sel:BYTE_0 src1_sel:DWORD
	s_and_b64 s[2:3], s[0:1], s[2:3]
	s_and_saveexec_b64 s[0:1], s[2:3]
	s_cbranch_execz .LBB88_99
; %bb.98:
	ds_write_b16 v27, v32
	ds_write_b16 v28, v30 offset:512
	v_mov_b32_e32 v27, 1
	ds_write_b8 v26, v27 offset:2048
	ds_write_b8 v26, v31 offset:2304
.LBB88_99:
	s_or_b64 exec, exec, s[0:1]
	s_waitcnt lgkmcnt(0)
	s_barrier
	ds_read_u16 v27, v24
	ds_read_u16 v29, v25 offset:256
	ds_read_u8 v28, v23 offset:2048
	ds_read_u8 v30, v23 offset:2176
	s_waitcnt lgkmcnt(2)
	v_cmp_ge_i16_e32 vcc, v27, v29
	s_waitcnt lgkmcnt(1)
	v_and_b32_e32 v26, 1, v28
	v_cmp_eq_u32_e64 s[0:1], 1, v26
	s_xor_b64 s[0:1], s[0:1], -1
	v_mov_b32_e32 v26, 0
	s_or_b64 s[0:1], vcc, s[0:1]
	s_waitcnt lgkmcnt(0)
	v_cmp_ne_u16_sdwa s[2:3], v30, v26 src0_sel:BYTE_0 src1_sel:DWORD
	s_and_b64 s[2:3], s[0:1], s[2:3]
	s_and_saveexec_b64 s[0:1], s[2:3]
	s_cbranch_execz .LBB88_101
; %bb.100:
	ds_write_b16 v24, v29
	ds_write_b16 v25, v27 offset:256
	v_mov_b32_e32 v24, 1
	ds_write_b8 v23, v24 offset:2048
	ds_write_b8 v23, v28 offset:2176
.LBB88_101:
	s_or_b64 exec, exec, s[0:1]
	s_waitcnt lgkmcnt(0)
	s_barrier
	ds_read_u16 v23, v21
	ds_read_u16 v25, v22 offset:128
	ds_read_u8 v24, v20 offset:2048
	ds_read_u8 v27, v20 offset:2112
	s_waitcnt lgkmcnt(2)
	v_cmp_ge_i16_e32 vcc, v23, v25
	s_waitcnt lgkmcnt(1)
	v_and_b32_e32 v28, 1, v24
	v_cmp_eq_u32_e64 s[0:1], 1, v28
	s_xor_b64 s[0:1], s[0:1], -1
	s_or_b64 s[0:1], vcc, s[0:1]
	s_waitcnt lgkmcnt(0)
	v_cmp_ne_u16_sdwa s[2:3], v27, v26 src0_sel:BYTE_0 src1_sel:DWORD
	s_and_b64 s[2:3], s[0:1], s[2:3]
	s_and_saveexec_b64 s[0:1], s[2:3]
	s_cbranch_execz .LBB88_103
; %bb.102:
	ds_write_b16 v21, v25
	ds_write_b16 v22, v23 offset:128
	v_mov_b32_e32 v21, 1
	ds_write_b8 v20, v21 offset:2048
	ds_write_b8 v20, v24 offset:2112
.LBB88_103:
	s_or_b64 exec, exec, s[0:1]
	s_waitcnt lgkmcnt(0)
	s_barrier
	;; [unrolled: 53-line block ×4, first 2 shown]
	ds_read_u16 v9, v6
	ds_read_u16 v11, v7 offset:4
	ds_read_u8 v10, v4 offset:2048
	ds_read_u8 v12, v4 offset:2050
	s_waitcnt lgkmcnt(2)
	v_cmp_ge_i16_e32 vcc, v9, v11
	s_waitcnt lgkmcnt(1)
	v_and_b32_e32 v8, 1, v10
	v_cmp_eq_u32_e64 s[0:1], 1, v8
	s_xor_b64 s[0:1], s[0:1], -1
	v_mov_b32_e32 v8, 0
	s_or_b64 s[0:1], vcc, s[0:1]
	s_waitcnt lgkmcnt(0)
	v_cmp_ne_u16_sdwa s[2:3], v12, v8 src0_sel:BYTE_0 src1_sel:DWORD
	s_and_b64 s[2:3], s[0:1], s[2:3]
	s_and_saveexec_b64 s[0:1], s[2:3]
	s_cbranch_execz .LBB88_113
; %bb.112:
	ds_write_b16 v6, v11
	ds_write_b16 v7, v9 offset:4
	v_mov_b32_e32 v6, 1
	ds_write_b8 v4, v6 offset:2048
	ds_write_b8 v4, v10 offset:2050
.LBB88_113:
	s_or_b64 exec, exec, s[0:1]
	s_waitcnt lgkmcnt(0)
	s_barrier
	ds_read_b32 v6, v2
	ds_read_u8 v4, v3 offset:2048
	ds_read_u8 v7, v3 offset:2049
	s_waitcnt lgkmcnt(2)
	v_cmp_ge_i16_sdwa s[0:1], v6, v6 src0_sel:DWORD src1_sel:WORD_1
	s_waitcnt lgkmcnt(1)
	v_and_b32_e32 v9, 1, v4
	v_cmp_eq_u32_e32 vcc, 1, v9
	s_xor_b64 s[2:3], vcc, -1
	s_or_b64 s[0:1], s[0:1], s[2:3]
	s_waitcnt lgkmcnt(0)
	v_cmp_ne_u16_sdwa s[2:3], v7, v8 src0_sel:BYTE_0 src1_sel:DWORD
	s_and_b64 s[2:3], s[0:1], s[2:3]
	s_and_saveexec_b64 s[0:1], s[2:3]
	s_cbranch_execz .LBB88_115
; %bb.114:
	v_alignbit_b32 v6, v6, v6, 16
	ds_write_b32 v2, v6
	v_mov_b32_e32 v6, 1
	ds_write_b8 v3, v6 offset:2048
	ds_write_b8 v3, v4 offset:2049
.LBB88_115:
	s_or_b64 exec, exec, s[0:1]
	v_cmp_eq_u32_e32 vcc, 0, v0
	s_waitcnt lgkmcnt(0)
	s_barrier
	s_barrier
	s_and_saveexec_b64 s[0:1], vcc
	s_cbranch_execz .LBB88_117
; %bb.116:
	v_mov_b32_e32 v3, 1
	v_mov_b32_e32 v4, 2
	ds_write_b8 v4, v3 offset:2052
	v_mov_b32_e32 v3, 0
	ds_write_b32 v4, v3 offset:2048
.LBB88_117:
	s_or_b64 exec, exec, s[0:1]
	ds_read_u16 v4, v2
	ds_read_u16 v3, v2 offset:2
	v_lshl_add_u32 v2, v1, 3, 2
	s_waitcnt lgkmcnt(0)
	v_cmp_ne_u16_e64 s[0:1], v4, v3
	v_cndmask_b32_e64 v6, 0, 1, s[0:1]
	v_cmp_eq_u16_e64 s[0:1], v4, v3
	v_cndmask_b32_e64 v4, 0, 1, s[0:1]
	s_movk_i32 s0, 0x1ff
	v_cmp_gt_u32_e64 s[2:3], s0, v0
	ds_write_b8 v2, v6 offset:2060
	ds_write_b32 v2, v4 offset:2056
	s_and_saveexec_b64 s[6:7], s[2:3]
	s_cbranch_execz .LBB88_119
; %bb.118:
	v_mad_i32_i24 v4, v0, -12, v2
	ds_read_u16 v6, v4 offset:4
	v_mad_u32_u24 v4, v0, 12, v4
	s_waitcnt lgkmcnt(0)
	v_cmp_ne_u16_e64 s[0:1], v3, v6
	v_cndmask_b32_e64 v7, 0, 1, s[0:1]
	v_cmp_eq_u16_e64 s[0:1], v3, v6
	v_cndmask_b32_e64 v3, 0, 1, s[0:1]
	ds_write_b8 v4, v7 offset:2068
	ds_write_b32 v4, v3 offset:2064
.LBB88_119:
	s_or_b64 exec, exec, s[6:7]
	s_movk_i32 s0, 0x200
	v_cmp_gt_u32_e64 s[0:1], s0, v0
	s_waitcnt lgkmcnt(0)
	s_barrier
	s_and_saveexec_b64 s[6:7], s[0:1]
	s_cbranch_execz .LBB88_121
; %bb.120:
	ds_read_u8 v6, v2 offset:2060
	v_add_u32_e32 v3, 0x800, v2
	ds_read2_b32 v[3:4], v3 offset1:2
	ds_read_u8 v7, v2 offset:2052
	v_add_u32_e32 v8, 0x808, v2
	s_waitcnt lgkmcnt(2)
	v_and_b32_e32 v9, 1, v6
	v_cmp_eq_u32_e64 s[0:1], 1, v9
	s_waitcnt lgkmcnt(1)
	v_cndmask_b32_e64 v3, v3, 0, s[0:1]
	v_add_u32_e32 v3, v3, v4
	s_waitcnt lgkmcnt(0)
	v_or_b32_e32 v4, v7, v6
	v_and_b32_e32 v4, 1, v4
	ds_write2_b32 v8, v3, v4 offset1:1
.LBB88_121:
	s_or_b64 exec, exec, s[6:7]
	v_add_u32_e32 v9, 2, v1
	v_lshlrev_b32_e32 v3, 1, v9
	s_movk_i32 s0, 0x100
	v_cmp_gt_u32_e64 s[0:1], s0, v0
	v_lshl_add_u32 v3, v3, 3, 2
	s_waitcnt lgkmcnt(0)
	s_barrier
	s_and_saveexec_b64 s[6:7], s[0:1]
	s_cbranch_execz .LBB88_123
; %bb.122:
	ds_read_u8 v4, v3 offset:2044
	v_add_u32_e32 v6, 0x400, v3
	ds_read2_b32 v[6:7], v6 offset0:250 offset1:254
	ds_read_u8 v8, v3 offset:2028
	v_add_u32_e32 v10, 0x7f8, v3
	s_waitcnt lgkmcnt(2)
	v_and_b32_e32 v11, 1, v4
	v_cmp_eq_u32_e64 s[0:1], 1, v11
	s_waitcnt lgkmcnt(1)
	v_cndmask_b32_e64 v6, v6, 0, s[0:1]
	s_waitcnt lgkmcnt(0)
	v_or_b32_e32 v4, v8, v4
	v_add_u32_e32 v6, v6, v7
	v_and_b32_e32 v4, 1, v4
	ds_write2_b32 v10, v6, v4 offset1:1
.LBB88_123:
	s_or_b64 exec, exec, s[6:7]
	v_lshlrev_b32_e32 v4, 2, v9
	s_movk_i32 s0, 0x80
	v_cmp_gt_u32_e64 s[0:1], s0, v0
	v_lshl_add_u32 v4, v4, 3, 2
	s_waitcnt lgkmcnt(0)
	s_barrier
	s_and_saveexec_b64 s[6:7], s[0:1]
	s_cbranch_execz .LBB88_125
; %bb.124:
	ds_read_u8 v8, v4 offset:2044
	v_add_u32_e32 v6, 0x400, v4
	ds_read2_b32 v[6:7], v6 offset0:246 offset1:254
	ds_read_u8 v10, v4 offset:2012
	v_add_u32_e32 v11, 0x7f8, v4
	s_waitcnt lgkmcnt(2)
	v_and_b32_e32 v12, 1, v8
	v_cmp_eq_u32_e64 s[0:1], 1, v12
	s_waitcnt lgkmcnt(1)
	v_cndmask_b32_e64 v6, v6, 0, s[0:1]
	v_add_u32_e32 v6, v6, v7
	s_waitcnt lgkmcnt(0)
	v_or_b32_e32 v7, v10, v8
	v_and_b32_e32 v7, 1, v7
	ds_write2_b32 v11, v6, v7 offset1:1
.LBB88_125:
	s_or_b64 exec, exec, s[6:7]
	v_lshlrev_b32_e32 v6, 3, v9
	v_cmp_gt_u32_e64 s[0:1], 64, v0
	v_lshl_add_u32 v6, v6, 3, 2
	s_waitcnt lgkmcnt(0)
	s_barrier
	s_and_saveexec_b64 s[8:9], s[0:1]
	s_cbranch_execz .LBB88_127
; %bb.126:
	ds_read_u8 v10, v6 offset:2044
	ds_read_u8 v12, v6 offset:1980
	v_add_u32_e32 v7, 0x400, v6
	ds_read2_b32 v[7:8], v7 offset0:238 offset1:254
	v_add_u32_e32 v11, 0x7f8, v6
	s_waitcnt lgkmcnt(2)
	v_and_b32_e32 v13, 1, v10
	v_cmp_eq_u32_e64 s[6:7], 1, v13
	s_waitcnt lgkmcnt(0)
	v_cndmask_b32_e64 v7, v7, 0, s[6:7]
	v_add_u32_e32 v7, v7, v8
	v_or_b32_e32 v8, v12, v10
	v_and_b32_e32 v8, 1, v8
	ds_write2_b32 v11, v7, v8 offset1:1
.LBB88_127:
	s_or_b64 exec, exec, s[8:9]
	v_lshlrev_b32_e32 v7, 4, v9
	v_cmp_gt_u32_e64 s[6:7], 32, v0
	v_lshl_add_u32 v7, v7, 3, 2
	s_waitcnt lgkmcnt(0)
	s_barrier
	s_and_saveexec_b64 s[8:9], s[6:7]
	s_cbranch_execz .LBB88_129
; %bb.128:
	ds_read_u8 v8, v7 offset:2044
	ds_read_u8 v13, v7 offset:1916
	v_add_u32_e32 v10, 0x400, v7
	ds_read2_b32 v[10:11], v10 offset0:222 offset1:254
	v_add_u32_e32 v12, 0x7f8, v7
	s_waitcnt lgkmcnt(2)
	v_and_b32_e32 v14, 1, v8
	v_cmp_eq_u32_e64 s[6:7], 1, v14
	s_waitcnt lgkmcnt(1)
	v_or_b32_e32 v8, v13, v8
	s_waitcnt lgkmcnt(0)
	v_cndmask_b32_e64 v10, v10, 0, s[6:7]
	v_add_u32_e32 v10, v10, v11
	v_and_b32_e32 v8, 1, v8
	ds_write2_b32 v12, v10, v8 offset1:1
.LBB88_129:
	s_or_b64 exec, exec, s[8:9]
	v_lshlrev_b32_e32 v8, 5, v9
	v_cmp_gt_u32_e64 s[6:7], 16, v0
	v_lshl_add_u32 v8, v8, 3, 2
	s_waitcnt lgkmcnt(0)
	s_barrier
	s_and_saveexec_b64 s[8:9], s[6:7]
	s_cbranch_execz .LBB88_131
; %bb.130:
	ds_read_u8 v12, v8 offset:2044
	ds_read_u8 v14, v8 offset:1788
	v_add_u32_e32 v10, 0xf8, v8
	ds_read2st64_b32 v[10:11], v10 offset0:6 offset1:7
	v_add_u32_e32 v13, 0x7f8, v8
	s_waitcnt lgkmcnt(2)
	v_and_b32_e32 v15, 1, v12
	v_cmp_eq_u32_e64 s[6:7], 1, v15
	s_waitcnt lgkmcnt(0)
	v_cndmask_b32_e64 v10, v10, 0, s[6:7]
	v_add_u32_e32 v10, v10, v11
	v_or_b32_e32 v11, v14, v12
	v_and_b32_e32 v11, 1, v11
	ds_write2_b32 v13, v10, v11 offset1:1
.LBB88_131:
	s_or_b64 exec, exec, s[8:9]
	v_lshlrev_b32_e32 v10, 6, v9
	v_cmp_gt_u32_e64 s[6:7], 8, v0
	v_lshl_add_u32 v10, v10, 3, 2
	s_waitcnt lgkmcnt(0)
	s_barrier
	s_and_saveexec_b64 s[8:9], s[6:7]
	s_cbranch_execz .LBB88_133
; %bb.132:
	ds_read_u8 v13, v10 offset:2044
	ds_read_u8 v15, v10 offset:1532
	v_add_u32_e32 v11, 0xf8, v10
	ds_read2st64_b32 v[11:12], v11 offset0:5 offset1:7
	v_add_u32_e32 v14, 0x7f8, v10
	s_waitcnt lgkmcnt(2)
	v_and_b32_e32 v16, 1, v13
	v_cmp_eq_u32_e64 s[6:7], 1, v16
	s_waitcnt lgkmcnt(0)
	v_cndmask_b32_e64 v11, v11, 0, s[6:7]
	v_add_u32_e32 v11, v11, v12
	v_or_b32_e32 v12, v15, v13
	v_and_b32_e32 v12, 1, v12
	ds_write2_b32 v14, v11, v12 offset1:1
.LBB88_133:
	;; [unrolled: 24-line block ×3, first 2 shown]
	s_or_b64 exec, exec, s[8:9]
	v_lshlrev_b32_e32 v9, 8, v9
	v_cmp_gt_u32_e64 s[6:7], 2, v0
	v_lshl_add_u32 v9, v9, 3, 2
	s_waitcnt lgkmcnt(0)
	s_barrier
	s_and_saveexec_b64 s[8:9], s[6:7]
	s_cbranch_execz .LBB88_137
; %bb.136:
	ds_read_u8 v14, v9 offset:2044
	v_add_u32_e32 v13, -8, v9
	v_add_u32_e32 v15, -4, v9
	ds_read_b32 v13, v13
	ds_read_b32 v16, v9 offset:2040
	ds_read_u8 v15, v15
	v_add_u32_e32 v12, 0x7f8, v9
	s_waitcnt lgkmcnt(3)
	v_and_b32_e32 v17, 1, v14
	v_cmp_eq_u32_e64 s[6:7], 1, v17
	s_waitcnt lgkmcnt(2)
	v_cndmask_b32_e64 v13, v13, 0, s[6:7]
	s_waitcnt lgkmcnt(0)
	v_or_b32_e32 v14, v15, v14
	v_add_u32_e32 v13, v13, v16
	v_and_b32_e32 v14, 1, v14
	ds_write2_b32 v12, v13, v14 offset1:1
.LBB88_137:
	s_or_b64 exec, exec, s[8:9]
	s_waitcnt lgkmcnt(0)
	s_barrier
	s_and_saveexec_b64 s[8:9], vcc
	s_cbranch_execz .LBB88_139
; %bb.138:
	v_mov_b32_e32 v12, 2
	ds_read_u8 v13, v12 offset:10236
	ds_read_b32 v14, v12 offset:6136
	ds_read_b32 v15, v12 offset:10232
	ds_read_u8 v12, v12 offset:6140
	s_add_i32 s10, 2, 0x27f8
	s_waitcnt lgkmcnt(3)
	v_and_b32_e32 v16, 1, v13
	v_cmp_eq_u32_e64 s[6:7], 1, v16
	s_waitcnt lgkmcnt(2)
	v_cndmask_b32_e64 v14, v14, 0, s[6:7]
	s_waitcnt lgkmcnt(0)
	v_or_b32_e32 v12, v12, v13
	v_add_u32_e32 v14, v14, v15
	v_and_b32_e32 v12, 1, v12
	v_mov_b32_e32 v13, s10
	ds_write2_b32 v13, v14, v12 offset1:1
.LBB88_139:
	s_or_b64 exec, exec, s[8:9]
	s_waitcnt lgkmcnt(0)
	s_barrier
	s_and_saveexec_b64 s[8:9], vcc
	s_cbranch_execz .LBB88_141
; %bb.140:
	ds_read_u8 v14, v9 offset:4092
	v_add_u32_e32 v12, 0xf8, v9
	ds_read2st64_b32 v[12:13], v12 offset0:7 offset1:15
	v_add_u32_e32 v15, 0xff8, v9
	ds_read_u8 v9, v9 offset:2044
	s_waitcnt lgkmcnt(2)
	v_and_b32_e32 v16, 1, v14
	v_cmp_eq_u32_e64 s[6:7], 1, v16
	s_waitcnt lgkmcnt(1)
	v_cndmask_b32_e64 v12, v12, 0, s[6:7]
	v_add_u32_e32 v12, v12, v13
	s_waitcnt lgkmcnt(0)
	v_or_b32_e32 v9, v9, v14
	v_and_b32_e32 v9, 1, v9
	ds_write2_b32 v15, v12, v9 offset1:1
.LBB88_141:
	s_or_b64 exec, exec, s[8:9]
	v_cmp_gt_u32_e64 s[6:7], 3, v0
	s_waitcnt lgkmcnt(0)
	s_barrier
	s_and_saveexec_b64 s[8:9], s[6:7]
	s_cbranch_execz .LBB88_143
; %bb.142:
	ds_read_u8 v9, v11 offset:3068
	v_add_u32_e32 v12, 0xf8, v11
	ds_read2st64_b32 v[12:13], v12 offset0:7 offset1:11
	v_add_u32_e32 v14, 0xbf8, v11
	ds_read_u8 v11, v11 offset:2044
	s_waitcnt lgkmcnt(2)
	v_and_b32_e32 v15, 1, v9
	v_cmp_eq_u32_e64 s[6:7], 1, v15
	s_waitcnt lgkmcnt(1)
	v_cndmask_b32_e64 v12, v12, 0, s[6:7]
	v_add_u32_e32 v12, v12, v13
	s_waitcnt lgkmcnt(0)
	v_or_b32_e32 v9, v11, v9
	v_and_b32_e32 v9, 1, v9
	ds_write2_b32 v14, v12, v9 offset1:1
.LBB88_143:
	s_or_b64 exec, exec, s[8:9]
	v_cmp_gt_u32_e64 s[6:7], 7, v0
	s_waitcnt lgkmcnt(0)
	s_barrier
	s_and_saveexec_b64 s[8:9], s[6:7]
	s_cbranch_execz .LBB88_145
; %bb.144:
	ds_read_u8 v9, v10 offset:2556
	v_add_u32_e32 v11, 0xf8, v10
	ds_read2st64_b32 v[11:12], v11 offset0:7 offset1:9
	v_add_u32_e32 v13, 0x9f8, v10
	ds_read_u8 v10, v10 offset:2044
	s_waitcnt lgkmcnt(2)
	v_and_b32_e32 v14, 1, v9
	v_cmp_eq_u32_e64 s[6:7], 1, v14
	s_waitcnt lgkmcnt(1)
	v_cndmask_b32_e64 v11, v11, 0, s[6:7]
	v_add_u32_e32 v11, v11, v12
	s_waitcnt lgkmcnt(0)
	v_or_b32_e32 v9, v10, v9
	v_and_b32_e32 v9, 1, v9
	ds_write2_b32 v13, v11, v9 offset1:1
.LBB88_145:
	s_or_b64 exec, exec, s[8:9]
	v_cmp_gt_u32_e64 s[6:7], 15, v0
	s_waitcnt lgkmcnt(0)
	s_barrier
	s_and_saveexec_b64 s[8:9], s[6:7]
	s_cbranch_execz .LBB88_147
; %bb.146:
	ds_read_u8 v11, v8 offset:2300
	v_add_u32_e32 v9, 0xf8, v8
	ds_read2st64_b32 v[9:10], v9 offset0:7 offset1:8
	v_add_u32_e32 v12, 0x8f8, v8
	ds_read_u8 v8, v8 offset:2044
	s_waitcnt lgkmcnt(2)
	v_and_b32_e32 v13, 1, v11
	v_cmp_eq_u32_e64 s[6:7], 1, v13
	s_waitcnt lgkmcnt(1)
	v_cndmask_b32_e64 v9, v9, 0, s[6:7]
	v_add_u32_e32 v9, v9, v10
	s_waitcnt lgkmcnt(0)
	v_or_b32_e32 v8, v8, v11
	v_and_b32_e32 v8, 1, v8
	ds_write2_b32 v12, v9, v8 offset1:1
.LBB88_147:
	s_or_b64 exec, exec, s[8:9]
	v_cmp_gt_u32_e64 s[6:7], 31, v0
	s_waitcnt lgkmcnt(0)
	s_barrier
	s_and_saveexec_b64 s[8:9], s[6:7]
	s_cbranch_execz .LBB88_149
; %bb.148:
	ds_read_u8 v10, v7 offset:2172
	v_add_u32_e32 v8, 0x600, v7
	ds_read2_b32 v[8:9], v8 offset0:126 offset1:158
	v_add_u32_e32 v11, 0x878, v7
	ds_read_u8 v7, v7 offset:2044
	s_waitcnt lgkmcnt(2)
	v_and_b32_e32 v12, 1, v10
	v_cmp_eq_u32_e64 s[6:7], 1, v12
	s_waitcnt lgkmcnt(1)
	v_cndmask_b32_e64 v8, v8, 0, s[6:7]
	v_add_u32_e32 v8, v8, v9
	s_waitcnt lgkmcnt(0)
	v_or_b32_e32 v7, v7, v10
	v_and_b32_e32 v7, 1, v7
	ds_write2_b32 v11, v8, v7 offset1:1
.LBB88_149:
	s_or_b64 exec, exec, s[8:9]
	v_cmp_gt_u32_e64 s[6:7], 63, v0
	s_waitcnt lgkmcnt(0)
	s_barrier
	s_and_saveexec_b64 s[8:9], s[6:7]
	s_cbranch_execz .LBB88_151
; %bb.150:
	ds_read_u8 v9, v6 offset:2108
	v_add_u32_e32 v7, 0x600, v6
	ds_read2_b32 v[7:8], v7 offset0:126 offset1:142
	v_add_u32_e32 v10, 0x838, v6
	ds_read_u8 v6, v6 offset:2044
	s_waitcnt lgkmcnt(2)
	v_and_b32_e32 v11, 1, v9
	v_cmp_eq_u32_e64 s[6:7], 1, v11
	s_waitcnt lgkmcnt(1)
	v_cndmask_b32_e64 v7, v7, 0, s[6:7]
	v_add_u32_e32 v7, v7, v8
	s_waitcnt lgkmcnt(0)
	v_or_b32_e32 v6, v6, v9
	v_and_b32_e32 v6, 1, v6
	ds_write2_b32 v10, v7, v6 offset1:1
.LBB88_151:
	s_or_b64 exec, exec, s[8:9]
	s_movk_i32 s6, 0x7f
	v_cmp_gt_u32_e64 s[6:7], s6, v0
	s_waitcnt lgkmcnt(0)
	s_barrier
	s_and_saveexec_b64 s[8:9], s[6:7]
	s_cbranch_execz .LBB88_153
; %bb.152:
	ds_read_u8 v8, v4 offset:2076
	v_add_u32_e32 v6, 0x600, v4
	ds_read2_b32 v[6:7], v6 offset0:126 offset1:134
	ds_read_u8 v9, v4 offset:2044
	v_add_u32_e32 v4, 0x818, v4
	s_waitcnt lgkmcnt(2)
	v_and_b32_e32 v10, 1, v8
	v_cmp_eq_u32_e64 s[6:7], 1, v10
	s_waitcnt lgkmcnt(1)
	v_cndmask_b32_e64 v6, v6, 0, s[6:7]
	v_add_u32_e32 v6, v6, v7
	s_waitcnt lgkmcnt(0)
	v_or_b32_e32 v7, v9, v8
	v_and_b32_e32 v7, 1, v7
	ds_write2_b32 v4, v6, v7 offset1:1
.LBB88_153:
	s_or_b64 exec, exec, s[8:9]
	s_movk_i32 s6, 0xff
	v_cmp_gt_u32_e64 s[6:7], s6, v0
	s_waitcnt lgkmcnt(0)
	s_barrier
	s_and_saveexec_b64 s[8:9], s[6:7]
	s_cbranch_execz .LBB88_155
; %bb.154:
	ds_read_u8 v4, v3 offset:2060
	v_add_u32_e32 v6, 0x600, v3
	ds_read2_b32 v[6:7], v6 offset0:126 offset1:130
	ds_read_u8 v8, v3 offset:2044
	v_add_u32_e32 v3, 0x808, v3
	s_waitcnt lgkmcnt(2)
	v_and_b32_e32 v9, 1, v4
	v_cmp_eq_u32_e64 s[6:7], 1, v9
	s_waitcnt lgkmcnt(1)
	v_cndmask_b32_e64 v6, v6, 0, s[6:7]
	s_waitcnt lgkmcnt(0)
	v_or_b32_e32 v4, v8, v4
	v_add_u32_e32 v6, v6, v7
	v_and_b32_e32 v4, 1, v4
	ds_write2_b32 v3, v6, v4 offset1:1
.LBB88_155:
	s_or_b64 exec, exec, s[8:9]
	s_waitcnt lgkmcnt(0)
	s_barrier
	s_and_saveexec_b64 s[6:7], s[2:3]
	s_cbranch_execz .LBB88_157
; %bb.156:
	ds_read_u8 v6, v2 offset:2068
	v_add_u32_e32 v3, 0x800, v2
	ds_read2_b32 v[3:4], v3 offset0:2 offset1:4
	ds_read_u8 v7, v2 offset:2060
	v_add_u32_e32 v8, 0x810, v2
	s_waitcnt lgkmcnt(2)
	v_and_b32_e32 v9, 1, v6
	v_cmp_eq_u32_e64 s[2:3], 1, v9
	s_waitcnt lgkmcnt(1)
	v_cndmask_b32_e64 v3, v3, 0, s[2:3]
	v_add_u32_e32 v3, v3, v4
	s_waitcnt lgkmcnt(0)
	v_or_b32_e32 v4, v7, v6
	v_and_b32_e32 v4, 1, v4
	ds_write2_b32 v8, v3, v4 offset1:1
.LBB88_157:
	s_or_b64 exec, exec, s[6:7]
	v_add_u32_e32 v2, 0x800, v2
	s_waitcnt lgkmcnt(0)
	s_barrier
	ds_read2_b32 v[6:7], v2 offset1:2
	v_or_b32_e32 v3, 1, v1
	v_cmp_gt_u32_e64 s[2:3], s16, v1
	v_cmp_gt_u32_e64 s[6:7], s16, v3
	v_cndmask_b32_e64 v4, 0, v1, s[2:3]
	s_waitcnt lgkmcnt(0)
	v_cndmask_b32_e64 v2, 0, v6, s[2:3]
	v_mbcnt_lo_u32_b32 v6, -1, 0
	v_cndmask_b32_e64 v7, 0, v7, s[6:7]
	v_mbcnt_hi_u32_b32 v11, -1, v6
	v_mov_b32_e32 v6, 0x80
	v_cndmask_b32_e64 v8, 0, v3, s[6:7]
	v_max_u32_e32 v9, v7, v2
	v_lshl_or_b32 v6, v11, 2, v6
	v_cmp_gt_u32_e64 s[8:9], v7, v2
	ds_bpermute_b32 v10, v6, v9
	v_cndmask_b32_e64 v2, v4, v8, s[8:9]
	ds_bpermute_b32 v4, v6, v2
	v_and_b32_e32 v12, 63, v11
	v_cmp_gt_u32_e64 s[8:9], 48, v12
	v_cndmask_b32_e64 v7, 0, 16, s[8:9]
	s_waitcnt lgkmcnt(1)
	v_max_u32_e32 v13, v10, v9
	v_add_lshl_u32 v7, v7, v11, 2
	v_cmp_gt_u32_e64 s[8:9], v10, v9
	ds_bpermute_b32 v14, v7, v13
	s_waitcnt lgkmcnt(1)
	v_cndmask_b32_e64 v2, v2, v4, s[8:9]
	ds_bpermute_b32 v4, v7, v2
	v_cmp_gt_u32_e64 s[8:9], 56, v12
	v_cndmask_b32_e64 v8, 0, 8, s[8:9]
	s_waitcnt lgkmcnt(1)
	v_max_u32_e32 v10, v14, v13
	v_add_lshl_u32 v8, v8, v11, 2
	v_cmp_gt_u32_e64 s[8:9], v14, v13
	ds_bpermute_b32 v15, v8, v10
	s_waitcnt lgkmcnt(1)
	v_cndmask_b32_e64 v2, v2, v4, s[8:9]
	ds_bpermute_b32 v4, v8, v2
	;; [unrolled: 10-line block ×4, first 2 shown]
	s_waitcnt lgkmcnt(0)
	s_barrier
	v_cmp_gt_u32_e64 s[8:9], v16, v15
	v_max_u32_e32 v2, v16, v15
	v_cndmask_b32_e64 v4, v4, v13, s[8:9]
	v_cmp_ne_u32_e64 s[8:9], 63, v12
	v_addc_co_u32_e64 v11, s[8:9], 0, v11, s[8:9]
	v_lshlrev_b32_e32 v11, 2, v11
	ds_bpermute_b32 v12, v11, v4
	ds_bpermute_b32 v13, v11, v2
	v_cmp_eq_u32_e64 s[8:9], 0, v5
	s_waitcnt lgkmcnt(0)
	s_barrier
	s_and_saveexec_b64 s[12:13], s[8:9]
	s_cbranch_execz .LBB88_159
; %bb.158:
	v_lshrrev_b32_e32 v14, 3, v0
	v_add_u32_e32 v14, 2, v14
	v_cmp_gt_u32_e64 s[10:11], v13, v2
	v_add_u32_e32 v14, 0x800, v14
	v_cndmask_b32_e64 v4, v4, v12, s[10:11]
	v_max_u32_e32 v2, v13, v2
	ds_write2_b32 v14, v2, v4 offset1:1
.LBB88_159:
	s_or_b64 exec, exec, s[12:13]
	s_lshr_b32 s10, s18, 6
	v_cmp_gt_u32_e64 s[10:11], s10, v0
	v_lshl_add_u32 v12, v5, 3, 2
	v_mov_b32_e32 v2, 0
	v_mov_b32_e32 v4, 0
	s_waitcnt lgkmcnt(0)
	s_barrier
	s_and_saveexec_b64 s[12:13], s[10:11]
	s_cbranch_execnz .LBB88_174
; %bb.160:
	s_or_b64 exec, exec, s[12:13]
	s_and_saveexec_b64 s[12:13], s[10:11]
	s_cbranch_execnz .LBB88_175
.LBB88_161:
	s_or_b64 exec, exec, s[12:13]
	s_and_saveexec_b64 s[18:19], s[0:1]
	s_cbranch_execnz .LBB88_176
.LBB88_162:
	s_or_b64 exec, exec, s[18:19]
	s_and_saveexec_b64 s[12:13], vcc
	s_cbranch_execz .LBB88_164
.LBB88_163:
	s_waitcnt lgkmcnt(0)
	v_lshl_add_u32 v2, v2, 1, 2
	ds_read_u16 v2, v2
	v_mov_b32_e32 v4, 0
	s_waitcnt lgkmcnt(0)
	ds_write_b16 v4, v2
.LBB88_164:
	s_or_b64 exec, exec, s[12:13]
	s_waitcnt lgkmcnt(0)
	v_mov_b32_e32 v2, 0
	v_cmp_gt_i64_e64 s[12:13], s[16:17], v[1:2]
	v_mov_b32_e32 v13, 0
	s_barrier
	s_and_saveexec_b64 s[18:19], s[12:13]
	s_cbranch_execz .LBB88_166
; %bb.165:
	v_add_u32_e32 v13, s21, v1
	v_mov_b32_e32 v14, 0
	v_lshlrev_b64 v[15:16], 1, v[13:14]
	v_mov_b32_e32 v4, s15
	v_add_co_u32_e64 v15, s[12:13], s14, v15
	v_addc_co_u32_e64 v16, s[12:13], v4, v16, s[12:13]
	global_load_ushort v4, v[15:16], off
	ds_read_u16 v13, v14
	s_waitcnt vmcnt(0) lgkmcnt(0)
	v_cmp_eq_u16_e64 s[12:13], v4, v13
	v_cndmask_b32_e64 v13, 0, v1, s[12:13]
.LBB88_166:
	s_or_b64 exec, exec, s[18:19]
	v_mov_b32_e32 v4, v2
	v_cmp_gt_i64_e64 s[12:13], s[16:17], v[3:4]
	s_and_saveexec_b64 s[16:17], s[12:13]
	s_cbranch_execz .LBB88_168
; %bb.167:
	v_add_u32_e32 v1, s21, v3
	v_mov_b32_e32 v2, 0
	v_lshlrev_b64 v[14:15], 1, v[1:2]
	v_mov_b32_e32 v1, s15
	v_add_co_u32_e64 v14, s[12:13], s14, v14
	v_addc_co_u32_e64 v15, s[12:13], v1, v15, s[12:13]
	global_load_ushort v1, v[14:15], off
	ds_read_u16 v2, v2
	s_waitcnt vmcnt(0) lgkmcnt(0)
	v_cmp_eq_u16_e64 s[12:13], v1, v2
	v_cndmask_b32_e64 v2, 0, v3, s[12:13]
.LBB88_168:
	s_or_b64 exec, exec, s[16:17]
	v_cndmask_b32_e64 v1, 0, v13, s[2:3]
	v_max_u32_e32 v2, v2, v1
	v_cndmask_b32_e64 v1, v1, v2, s[6:7]
	ds_bpermute_b32 v2, v6, v1
	s_waitcnt lgkmcnt(0)
	s_barrier
	v_max_u32_e32 v1, v2, v1
	ds_bpermute_b32 v2, v7, v1
	s_waitcnt lgkmcnt(0)
	v_max_u32_e32 v1, v2, v1
	ds_bpermute_b32 v2, v8, v1
	s_waitcnt lgkmcnt(0)
	;; [unrolled: 3-line block ×4, first 2 shown]
	v_max_u32_e32 v1, v2, v1
	ds_bpermute_b32 v2, v11, v1
	s_and_saveexec_b64 s[2:3], s[8:9]
	s_cbranch_execz .LBB88_170
; %bb.169:
	v_lshrrev_b32_e32 v0, 4, v0
	v_add_u32_e32 v0, 2, v0
	s_waitcnt lgkmcnt(0)
	v_max_u32_e32 v1, v2, v1
	ds_write_b32 v0, v1
.LBB88_170:
	s_or_b64 exec, exec, s[2:3]
	v_mov_b32_e32 v0, 0
	s_waitcnt lgkmcnt(0)
	s_barrier
	s_and_saveexec_b64 s[2:3], s[10:11]
	s_cbranch_execnz .LBB88_177
; %bb.171:
	s_or_b64 exec, exec, s[2:3]
	s_and_saveexec_b64 s[2:3], s[0:1]
	s_cbranch_execnz .LBB88_178
.LBB88_172:
	s_or_b64 exec, exec, s[2:3]
	s_and_saveexec_b64 s[0:1], vcc
	s_cbranch_execnz .LBB88_179
.LBB88_173:
	s_endpgm
.LBB88_174:
	ds_read_b32 v4, v12 offset:2048
	s_or_b64 exec, exec, s[12:13]
	s_and_saveexec_b64 s[12:13], s[10:11]
	s_cbranch_execz .LBB88_161
.LBB88_175:
	ds_read_b32 v2, v12 offset:2052
	s_or_b64 exec, exec, s[12:13]
	s_and_saveexec_b64 s[18:19], s[0:1]
	s_cbranch_execz .LBB88_162
.LBB88_176:
	s_waitcnt lgkmcnt(0)
	ds_bpermute_b32 v13, v6, v4
	ds_bpermute_b32 v14, v6, v2
	s_waitcnt lgkmcnt(1)
	v_max_u32_e32 v15, v13, v4
	v_cmp_gt_u32_e64 s[12:13], v13, v4
	ds_bpermute_b32 v16, v7, v15
	s_waitcnt lgkmcnt(1)
	v_cndmask_b32_e64 v2, v2, v14, s[12:13]
	ds_bpermute_b32 v4, v7, v2
	s_waitcnt lgkmcnt(1)
	v_max_u32_e32 v13, v16, v15
	v_cmp_gt_u32_e64 s[12:13], v16, v15
	ds_bpermute_b32 v14, v8, v13
	s_waitcnt lgkmcnt(1)
	v_cndmask_b32_e64 v2, v2, v4, s[12:13]
	;; [unrolled: 7-line block ×4, first 2 shown]
	ds_bpermute_b32 v4, v10, v2
	s_waitcnt lgkmcnt(1)
	v_max_u32_e32 v15, v14, v13
	v_cmp_gt_u32_e64 s[12:13], v14, v13
	s_waitcnt lgkmcnt(0)
	v_cndmask_b32_e64 v2, v2, v4, s[12:13]
	ds_bpermute_b32 v4, v11, v15
	ds_bpermute_b32 v13, v11, v2
	s_waitcnt lgkmcnt(1)
	v_cmp_gt_u32_e64 s[12:13], v4, v15
	s_waitcnt lgkmcnt(0)
	v_cndmask_b32_e64 v2, v2, v13, s[12:13]
	s_or_b64 exec, exec, s[18:19]
	s_and_saveexec_b64 s[12:13], vcc
	s_cbranch_execnz .LBB88_163
	s_branch .LBB88_164
.LBB88_177:
	v_lshlrev_b32_e32 v0, 2, v5
	v_sub_u32_e32 v0, v12, v0
	ds_read_b32 v0, v0
	s_or_b64 exec, exec, s[2:3]
	s_and_saveexec_b64 s[2:3], s[0:1]
	s_cbranch_execz .LBB88_172
.LBB88_178:
	s_waitcnt lgkmcnt(0)
	ds_bpermute_b32 v1, v6, v0
	s_waitcnt lgkmcnt(0)
	v_max_u32_e32 v0, v1, v0
	ds_bpermute_b32 v1, v7, v0
	s_waitcnt lgkmcnt(0)
	v_max_u32_e32 v0, v1, v0
	;; [unrolled: 3-line block ×6, first 2 shown]
	s_or_b64 exec, exec, s[2:3]
	s_and_saveexec_b64 s[0:1], vcc
	s_cbranch_execz .LBB88_173
.LBB88_179:
	s_load_dword s6, s[4:5], 0xd8
	s_load_dwordx2 s[0:1], s[4:5], 0xe0
	s_add_u32 s2, s4, 8
	s_addc_u32 s3, s5, 0
	s_mov_b32 s5, 0
	s_waitcnt lgkmcnt(0)
	s_cmp_lt_i32 s6, 2
	s_cbranch_scc1 .LBB88_182
; %bb.180:
	s_add_i32 s4, s6, -1
	s_add_i32 s8, s6, 1
	s_lshl_b64 s[6:7], s[4:5], 2
	s_add_u32 s4, s2, s6
	s_addc_u32 s7, s3, s7
	s_add_u32 s6, s4, 8
	s_addc_u32 s7, s7, 0
.LBB88_181:                             ; =>This Inner Loop Header: Depth=1
	s_load_dword s4, s[6:7], 0x0
	s_load_dword s10, s[6:7], 0x64
	s_mov_b32 s9, s20
	s_waitcnt lgkmcnt(0)
	v_cvt_f32_u32_e32 v1, s4
	s_sub_i32 s11, 0, s4
	v_rcp_iflag_f32_e32 v1, v1
	v_mul_f32_e32 v1, 0x4f7ffffe, v1
	v_cvt_u32_f32_e32 v1, v1
	v_readfirstlane_b32 s12, v1
	s_mul_i32 s11, s11, s12
	s_mul_hi_u32 s11, s12, s11
	s_add_i32 s12, s12, s11
	s_mul_hi_u32 s11, s20, s12
	s_mul_i32 s12, s11, s4
	s_sub_i32 s12, s20, s12
	s_add_i32 s13, s11, 1
	s_sub_i32 s14, s12, s4
	s_cmp_ge_u32 s12, s4
	s_cselect_b32 s11, s13, s11
	s_cselect_b32 s12, s14, s12
	s_add_i32 s13, s11, 1
	s_cmp_ge_u32 s12, s4
	s_cselect_b32 s20, s13, s11
	s_mul_i32 s4, s20, s4
	s_sub_i32 s4, s9, s4
	s_mul_i32 s4, s10, s4
	s_add_i32 s8, s8, -1
	s_add_i32 s5, s4, s5
	s_add_u32 s6, s6, -4
	s_addc_u32 s7, s7, -1
	s_cmp_gt_u32 s8, 2
	s_cbranch_scc1 .LBB88_181
.LBB88_182:
	s_load_dword s4, s[2:3], 0x6c
	v_mov_b32_e32 v1, 0
	s_load_dwordx2 s[2:3], s[2:3], 0x0
	ds_read_u16 v2, v1
	s_mov_b32 s7, 0
	s_waitcnt lgkmcnt(0)
	s_mul_i32 s4, s4, s20
	s_add_i32 s6, s4, s5
	s_lshl_b64 s[4:5], s[6:7], 1
	s_add_u32 s2, s2, s4
	s_addc_u32 s3, s3, s5
	global_store_short v1, v2, s[2:3]
	s_lshl_b64 s[2:3], s[6:7], 3
	s_add_u32 s0, s0, s2
	s_addc_u32 s1, s1, s3
	global_store_dwordx2 v1, v[0:1], s[0:1]
	s_endpgm
	.section	.rodata,"a",@progbits
	.p2align	6, 0x0
	.amdhsa_kernel _ZN2at6native12compute_modeIsLj1024EEEvPKT_NS_4cuda6detail10TensorInfoIS2_jEENS7_IljEEll
		.amdhsa_group_segment_fixed_size 2
		.amdhsa_private_segment_fixed_size 0
		.amdhsa_kernarg_size 712
		.amdhsa_user_sgpr_count 6
		.amdhsa_user_sgpr_private_segment_buffer 1
		.amdhsa_user_sgpr_dispatch_ptr 0
		.amdhsa_user_sgpr_queue_ptr 0
		.amdhsa_user_sgpr_kernarg_segment_ptr 1
		.amdhsa_user_sgpr_dispatch_id 0
		.amdhsa_user_sgpr_flat_scratch_init 0
		.amdhsa_user_sgpr_private_segment_size 0
		.amdhsa_uses_dynamic_stack 0
		.amdhsa_system_sgpr_private_segment_wavefront_offset 0
		.amdhsa_system_sgpr_workgroup_id_x 1
		.amdhsa_system_sgpr_workgroup_id_y 1
		.amdhsa_system_sgpr_workgroup_id_z 1
		.amdhsa_system_sgpr_workgroup_info 0
		.amdhsa_system_vgpr_workitem_id 0
		.amdhsa_next_free_vgpr 37
		.amdhsa_next_free_sgpr 22
		.amdhsa_reserve_vcc 1
		.amdhsa_reserve_flat_scratch 0
		.amdhsa_float_round_mode_32 0
		.amdhsa_float_round_mode_16_64 0
		.amdhsa_float_denorm_mode_32 3
		.amdhsa_float_denorm_mode_16_64 3
		.amdhsa_dx10_clamp 1
		.amdhsa_ieee_mode 1
		.amdhsa_fp16_overflow 0
		.amdhsa_exception_fp_ieee_invalid_op 0
		.amdhsa_exception_fp_denorm_src 0
		.amdhsa_exception_fp_ieee_div_zero 0
		.amdhsa_exception_fp_ieee_overflow 0
		.amdhsa_exception_fp_ieee_underflow 0
		.amdhsa_exception_fp_ieee_inexact 0
		.amdhsa_exception_int_div_zero 0
	.end_amdhsa_kernel
	.section	.text._ZN2at6native12compute_modeIsLj1024EEEvPKT_NS_4cuda6detail10TensorInfoIS2_jEENS7_IljEEll,"axG",@progbits,_ZN2at6native12compute_modeIsLj1024EEEvPKT_NS_4cuda6detail10TensorInfoIS2_jEENS7_IljEEll,comdat
.Lfunc_end88:
	.size	_ZN2at6native12compute_modeIsLj1024EEEvPKT_NS_4cuda6detail10TensorInfoIS2_jEENS7_IljEEll, .Lfunc_end88-_ZN2at6native12compute_modeIsLj1024EEEvPKT_NS_4cuda6detail10TensorInfoIS2_jEENS7_IljEEll
                                        ; -- End function
	.set _ZN2at6native12compute_modeIsLj1024EEEvPKT_NS_4cuda6detail10TensorInfoIS2_jEENS7_IljEEll.num_vgpr, 37
	.set _ZN2at6native12compute_modeIsLj1024EEEvPKT_NS_4cuda6detail10TensorInfoIS2_jEENS7_IljEEll.num_agpr, 0
	.set _ZN2at6native12compute_modeIsLj1024EEEvPKT_NS_4cuda6detail10TensorInfoIS2_jEENS7_IljEEll.numbered_sgpr, 22
	.set _ZN2at6native12compute_modeIsLj1024EEEvPKT_NS_4cuda6detail10TensorInfoIS2_jEENS7_IljEEll.num_named_barrier, 0
	.set _ZN2at6native12compute_modeIsLj1024EEEvPKT_NS_4cuda6detail10TensorInfoIS2_jEENS7_IljEEll.private_seg_size, 0
	.set _ZN2at6native12compute_modeIsLj1024EEEvPKT_NS_4cuda6detail10TensorInfoIS2_jEENS7_IljEEll.uses_vcc, 1
	.set _ZN2at6native12compute_modeIsLj1024EEEvPKT_NS_4cuda6detail10TensorInfoIS2_jEENS7_IljEEll.uses_flat_scratch, 0
	.set _ZN2at6native12compute_modeIsLj1024EEEvPKT_NS_4cuda6detail10TensorInfoIS2_jEENS7_IljEEll.has_dyn_sized_stack, 0
	.set _ZN2at6native12compute_modeIsLj1024EEEvPKT_NS_4cuda6detail10TensorInfoIS2_jEENS7_IljEEll.has_recursion, 0
	.set _ZN2at6native12compute_modeIsLj1024EEEvPKT_NS_4cuda6detail10TensorInfoIS2_jEENS7_IljEEll.has_indirect_call, 0
	.section	.AMDGPU.csdata,"",@progbits
; Kernel info:
; codeLenInByte = 13152
; TotalNumSgprs: 26
; NumVgprs: 37
; ScratchSize: 0
; MemoryBound: 0
; FloatMode: 240
; IeeeMode: 1
; LDSByteSize: 2 bytes/workgroup (compile time only)
; SGPRBlocks: 3
; VGPRBlocks: 9
; NumSGPRsForWavesPerEU: 26
; NumVGPRsForWavesPerEU: 37
; Occupancy: 6
; WaveLimiterHint : 1
; COMPUTE_PGM_RSRC2:SCRATCH_EN: 0
; COMPUTE_PGM_RSRC2:USER_SGPR: 6
; COMPUTE_PGM_RSRC2:TRAP_HANDLER: 0
; COMPUTE_PGM_RSRC2:TGID_X_EN: 1
; COMPUTE_PGM_RSRC2:TGID_Y_EN: 1
; COMPUTE_PGM_RSRC2:TGID_Z_EN: 1
; COMPUTE_PGM_RSRC2:TIDIG_COMP_CNT: 0
	.section	.text._ZN2at6native12compute_modeIsLj128EEEvPKT_NS_4cuda6detail10TensorInfoIS2_jEENS7_IljEEll,"axG",@progbits,_ZN2at6native12compute_modeIsLj128EEEvPKT_NS_4cuda6detail10TensorInfoIS2_jEENS7_IljEEll,comdat
	.protected	_ZN2at6native12compute_modeIsLj128EEEvPKT_NS_4cuda6detail10TensorInfoIS2_jEENS7_IljEEll ; -- Begin function _ZN2at6native12compute_modeIsLj128EEEvPKT_NS_4cuda6detail10TensorInfoIS2_jEENS7_IljEEll
	.globl	_ZN2at6native12compute_modeIsLj128EEEvPKT_NS_4cuda6detail10TensorInfoIS2_jEENS7_IljEEll
	.p2align	8
	.type	_ZN2at6native12compute_modeIsLj128EEEvPKT_NS_4cuda6detail10TensorInfoIS2_jEENS7_IljEEll,@function
_ZN2at6native12compute_modeIsLj128EEEvPKT_NS_4cuda6detail10TensorInfoIS2_jEENS7_IljEEll: ; @_ZN2at6native12compute_modeIsLj128EEEvPKT_NS_4cuda6detail10TensorInfoIS2_jEENS7_IljEEll
; %bb.0:
	s_load_dwordx2 s[2:3], s[4:5], 0x1c8
	s_load_dwordx4 s[16:19], s[4:5], 0x1b8
	s_add_u32 s0, s4, 0x1c8
	s_addc_u32 s1, s5, 0
	v_mov_b32_e32 v2, 0
	s_waitcnt lgkmcnt(0)
	s_mul_i32 s3, s3, s8
	s_add_i32 s3, s3, s7
	s_mul_i32 s2, s3, s2
	s_add_i32 s20, s2, s6
	v_mov_b32_e32 v1, s20
	v_cmp_le_i64_e32 vcc, s[18:19], v[1:2]
	s_cbranch_vccnz .LBB89_107
; %bb.1:
	s_load_dwordx2 s[14:15], s[4:5], 0x0
	s_load_dword s6, s[0:1], 0xc
	v_mov_b32_e32 v1, v2
	v_cmp_gt_i64_e32 vcc, s[16:17], v[0:1]
	s_mul_i32 s21, s20, s16
	s_and_saveexec_b64 s[2:3], vcc
	s_cbranch_execz .LBB89_3
; %bb.2:
	v_add_u32_e32 v1, s21, v0
	v_lshlrev_b64 v[3:4], 1, v[1:2]
	s_waitcnt lgkmcnt(0)
	v_mov_b32_e32 v1, s15
	v_add_co_u32_e64 v3, s[0:1], s14, v3
	v_addc_co_u32_e64 v4, s[0:1], v1, v4, s[0:1]
	global_load_ushort v1, v[3:4], off
	v_lshl_add_u32 v3, v0, 1, 2
	s_waitcnt vmcnt(0)
	ds_write_b16 v3, v1
.LBB89_3:
	s_or_b64 exec, exec, s[2:3]
	s_waitcnt lgkmcnt(0)
	s_and_b32 s18, 0xffff, s6
	v_add_u32_e32 v1, s18, v0
	v_cmp_gt_i64_e64 s[0:1], s[16:17], v[1:2]
	s_and_saveexec_b64 s[6:7], s[0:1]
	s_cbranch_execz .LBB89_5
; %bb.4:
	v_add_u32_e32 v2, s21, v1
	v_mov_b32_e32 v3, 0
	v_lshlrev_b64 v[2:3], 1, v[2:3]
	v_mov_b32_e32 v4, s15
	v_add_co_u32_e64 v2, s[2:3], s14, v2
	v_addc_co_u32_e64 v3, s[2:3], v4, v3, s[2:3]
	global_load_ushort v2, v[2:3], off
	v_lshl_add_u32 v1, v1, 1, 2
	s_waitcnt vmcnt(0)
	ds_write_b16 v1, v2
.LBB89_5:
	s_or_b64 exec, exec, s[6:7]
	v_add_u32_e32 v2, 2, v0
	v_cndmask_b32_e64 v1, 0, 1, vcc
	ds_write_b8 v2, v1 offset:256
	v_add_u32_e32 v1, s18, v2
	v_cndmask_b32_e64 v3, 0, 1, s[0:1]
	ds_write_b8 v1, v3 offset:256
	v_lshlrev_b32_e32 v1, 1, v0
	v_mad_u32_u24 v3, v0, 3, v2
	s_waitcnt lgkmcnt(0)
	s_barrier
	s_barrier
	v_sub_u32_e32 v2, v3, v1
	ds_read_b32 v6, v3
	ds_read_u8 v5, v2 offset:256
	ds_read_u8 v7, v2 offset:257
	v_and_b32_e32 v4, 1, v0
	s_waitcnt lgkmcnt(2)
	v_cmp_lt_i16_sdwa s[2:3], v6, v6 src0_sel:DWORD src1_sel:WORD_1
	s_waitcnt lgkmcnt(1)
	v_and_b32_e32 v8, 1, v5
	v_cmp_eq_u32_e32 vcc, 1, v8
	s_waitcnt lgkmcnt(0)
	v_cmp_ne_u16_e64 s[0:1], v7, v4
	v_cndmask_b32_e64 v8, 0, 1, s[0:1]
	s_and_b64 vcc, s[2:3], vcc
	v_cndmask_b32_e32 v8, v8, v0, vcc
	v_and_b32_e32 v8, 1, v8
	v_cmp_eq_u32_e32 vcc, 1, v8
	s_and_saveexec_b64 s[0:1], vcc
	s_cbranch_execz .LBB89_7
; %bb.6:
	v_alignbit_b32 v6, v6, v6, 16
	ds_write_b32 v3, v6
	ds_write_b8 v2, v7 offset:256
	ds_write_b8 v2, v5 offset:257
.LBB89_7:
	s_or_b64 exec, exec, s[0:1]
	v_sub_u32_e32 v7, v1, v4
	v_lshl_add_u32 v6, v7, 1, 2
	v_add_u32_e32 v4, 2, v7
	s_waitcnt lgkmcnt(0)
	s_barrier
	v_add_u32_e32 v7, v4, v7
	ds_read_u16 v8, v6
	ds_read_u16 v10, v7 offset:4
	ds_read_u8 v9, v4 offset:256
	ds_read_u8 v11, v4 offset:258
	v_bfe_u32 v12, v0, 1, 1
	v_and_b32_e32 v5, 2, v0
	s_waitcnt lgkmcnt(2)
	v_cmp_lt_i16_e64 s[0:1], v8, v10
	s_waitcnt lgkmcnt(1)
	v_and_b32_e32 v13, 1, v9
	v_cmp_eq_u32_e64 s[2:3], 1, v13
	s_waitcnt lgkmcnt(0)
	v_cmp_ne_u16_e64 s[6:7], v11, v12
	v_cndmask_b32_e64 v13, 0, 1, s[6:7]
	s_and_b64 s[0:1], s[0:1], s[2:3]
	v_cndmask_b32_e64 v12, v13, v12, s[0:1]
	v_and_b32_e32 v12, 1, v12
	v_cmp_ne_u32_e32 vcc, 0, v5
	v_cmp_eq_u32_e64 s[0:1], 1, v12
	s_and_saveexec_b64 s[2:3], s[0:1]
	s_xor_b64 s[0:1], exec, s[2:3]
	s_cbranch_execz .LBB89_9
; %bb.8:
	ds_write_b16 v6, v10
	ds_write_b16 v7, v8 offset:4
	ds_write_b8 v4, v11 offset:256
	ds_write_b8 v4, v9 offset:258
.LBB89_9:
	s_or_b64 exec, exec, s[0:1]
	s_waitcnt lgkmcnt(0)
	s_barrier
	ds_read_b32 v9, v3
	ds_read_u8 v8, v2 offset:256
	ds_read_u8 v10, v2 offset:257
	v_lshrrev_b32_e32 v5, 1, v5
	s_waitcnt lgkmcnt(2)
	v_cmp_lt_i16_sdwa s[6:7], v9, v9 src0_sel:DWORD src1_sel:WORD_1
	s_waitcnt lgkmcnt(1)
	v_and_b32_e32 v11, 1, v8
	v_cmp_eq_u32_e64 s[0:1], 1, v11
	s_waitcnt lgkmcnt(0)
	v_cmp_ne_u16_e64 s[2:3], v10, v5
	v_cndmask_b32_e64 v5, 0, 1, s[2:3]
	v_cndmask_b32_e64 v11, 0, 1, vcc
	s_and_b64 vcc, s[6:7], s[0:1]
	v_cndmask_b32_e32 v5, v5, v11, vcc
	v_and_b32_e32 v5, 1, v5
	v_cmp_eq_u32_e32 vcc, 1, v5
	s_and_saveexec_b64 s[0:1], vcc
	s_cbranch_execz .LBB89_11
; %bb.10:
	v_alignbit_b32 v5, v9, v9, 16
	ds_write_b32 v3, v5
	ds_write_b8 v2, v10 offset:256
	ds_write_b8 v2, v8 offset:257
.LBB89_11:
	s_or_b64 exec, exec, s[0:1]
	v_and_b32_e32 v8, 3, v0
	v_sub_u32_e32 v10, v1, v8
	v_lshl_add_u32 v9, v10, 1, 2
	v_add_u32_e32 v8, 2, v10
	s_waitcnt lgkmcnt(0)
	s_barrier
	v_add_u32_e32 v10, v8, v10
	ds_read_u16 v11, v9
	ds_read_u16 v13, v10 offset:8
	ds_read_u8 v12, v8 offset:256
	ds_read_u8 v14, v8 offset:260
	v_bfe_u32 v15, v0, 2, 1
	v_and_b32_e32 v5, 4, v0
	s_waitcnt lgkmcnt(2)
	v_cmp_lt_i16_e64 s[0:1], v11, v13
	s_waitcnt lgkmcnt(1)
	v_and_b32_e32 v16, 1, v12
	v_cmp_eq_u32_e64 s[2:3], 1, v16
	s_waitcnt lgkmcnt(0)
	v_cmp_ne_u16_e64 s[6:7], v14, v15
	v_cndmask_b32_e64 v16, 0, 1, s[6:7]
	s_and_b64 s[0:1], s[0:1], s[2:3]
	v_cndmask_b32_e64 v15, v16, v15, s[0:1]
	v_and_b32_e32 v15, 1, v15
	v_cmp_ne_u32_e32 vcc, 0, v5
	v_cmp_eq_u32_e64 s[0:1], 1, v15
	s_and_saveexec_b64 s[2:3], s[0:1]
	s_cbranch_execz .LBB89_13
; %bb.12:
	ds_write_b16 v9, v13
	ds_write_b16 v10, v11 offset:8
	ds_write_b8 v8, v14 offset:256
	ds_write_b8 v8, v12 offset:260
.LBB89_13:
	s_or_b64 exec, exec, s[2:3]
	s_waitcnt lgkmcnt(0)
	s_barrier
	ds_read_u16 v12, v6
	ds_read_u16 v14, v7 offset:4
	ds_read_u8 v13, v4 offset:256
	ds_read_u8 v15, v4 offset:258
	v_lshrrev_b32_e32 v5, 2, v5
	s_waitcnt lgkmcnt(2)
	v_cmp_lt_i16_e64 s[0:1], v12, v14
	s_waitcnt lgkmcnt(1)
	v_and_b32_e32 v11, 1, v13
	v_cmp_eq_u32_e64 s[2:3], 1, v11
	s_waitcnt lgkmcnt(0)
	v_cmp_ne_u16_e64 s[6:7], v15, v5
	v_cndmask_b32_e64 v16, 0, 1, s[6:7]
	v_cndmask_b32_e64 v11, 0, 1, vcc
	s_and_b64 vcc, s[0:1], s[2:3]
	v_cndmask_b32_e32 v16, v16, v11, vcc
	v_and_b32_e32 v16, 1, v16
	v_cmp_eq_u32_e32 vcc, 1, v16
	s_and_saveexec_b64 s[0:1], vcc
	s_cbranch_execz .LBB89_15
; %bb.14:
	ds_write_b16 v6, v14
	ds_write_b16 v7, v12 offset:4
	ds_write_b8 v4, v15 offset:256
	ds_write_b8 v4, v13 offset:258
.LBB89_15:
	s_or_b64 exec, exec, s[0:1]
	s_waitcnt lgkmcnt(0)
	s_barrier
	ds_read_b32 v13, v3
	ds_read_u8 v12, v2 offset:256
	ds_read_u8 v14, v2 offset:257
	s_waitcnt lgkmcnt(2)
	v_cmp_lt_i16_sdwa s[2:3], v13, v13 src0_sel:DWORD src1_sel:WORD_1
	s_waitcnt lgkmcnt(1)
	v_and_b32_e32 v15, 1, v12
	v_cmp_eq_u32_e32 vcc, 1, v15
	s_waitcnt lgkmcnt(0)
	v_cmp_ne_u16_e64 s[0:1], v14, v5
	v_cndmask_b32_e64 v5, 0, 1, s[0:1]
	s_and_b64 vcc, s[2:3], vcc
	v_cndmask_b32_e32 v5, v5, v11, vcc
	v_and_b32_e32 v5, 1, v5
	v_cmp_eq_u32_e32 vcc, 1, v5
	s_and_saveexec_b64 s[0:1], vcc
	s_cbranch_execz .LBB89_17
; %bb.16:
	v_alignbit_b32 v5, v13, v13, 16
	ds_write_b32 v3, v5
	ds_write_b8 v2, v14 offset:256
	ds_write_b8 v2, v12 offset:257
.LBB89_17:
	s_or_b64 exec, exec, s[0:1]
	v_and_b32_e32 v11, 7, v0
	v_sub_u32_e32 v13, v1, v11
	v_lshl_add_u32 v12, v13, 1, 2
	v_add_u32_e32 v11, 2, v13
	s_waitcnt lgkmcnt(0)
	s_barrier
	v_add_u32_e32 v13, v11, v13
	ds_read_u16 v14, v12
	ds_read_u16 v16, v13 offset:16
	ds_read_u8 v15, v11 offset:256
	ds_read_u8 v17, v11 offset:264
	v_bfe_u32 v18, v0, 3, 1
	v_and_b32_e32 v5, 8, v0
	s_waitcnt lgkmcnt(2)
	v_cmp_lt_i16_e64 s[0:1], v14, v16
	s_waitcnt lgkmcnt(1)
	v_and_b32_e32 v19, 1, v15
	v_cmp_eq_u32_e64 s[2:3], 1, v19
	s_waitcnt lgkmcnt(0)
	v_cmp_ne_u16_e64 s[6:7], v17, v18
	v_cndmask_b32_e64 v19, 0, 1, s[6:7]
	s_and_b64 s[0:1], s[0:1], s[2:3]
	v_cndmask_b32_e64 v18, v19, v18, s[0:1]
	v_and_b32_e32 v18, 1, v18
	v_cmp_ne_u32_e32 vcc, 0, v5
	v_cmp_eq_u32_e64 s[0:1], 1, v18
	s_and_saveexec_b64 s[2:3], s[0:1]
	s_cbranch_execz .LBB89_19
; %bb.18:
	ds_write_b16 v12, v16
	ds_write_b16 v13, v14 offset:16
	ds_write_b8 v11, v17 offset:256
	ds_write_b8 v11, v15 offset:264
.LBB89_19:
	s_or_b64 exec, exec, s[2:3]
	s_waitcnt lgkmcnt(0)
	s_barrier
	ds_read_u16 v15, v9
	ds_read_u16 v17, v10 offset:8
	ds_read_u8 v16, v8 offset:256
	ds_read_u8 v18, v8 offset:260
	v_lshrrev_b32_e32 v5, 3, v5
	s_waitcnt lgkmcnt(2)
	v_cmp_lt_i16_e64 s[0:1], v15, v17
	s_waitcnt lgkmcnt(1)
	v_and_b32_e32 v14, 1, v16
	v_cmp_eq_u32_e64 s[2:3], 1, v14
	s_waitcnt lgkmcnt(0)
	v_cmp_ne_u16_e64 s[6:7], v18, v5
	v_cndmask_b32_e64 v19, 0, 1, s[6:7]
	v_cndmask_b32_e64 v14, 0, 1, vcc
	s_and_b64 vcc, s[0:1], s[2:3]
	v_cndmask_b32_e32 v19, v19, v14, vcc
	v_and_b32_e32 v19, 1, v19
	v_cmp_eq_u32_e32 vcc, 1, v19
	s_and_saveexec_b64 s[0:1], vcc
	s_cbranch_execz .LBB89_21
; %bb.20:
	ds_write_b16 v9, v17
	ds_write_b16 v10, v15 offset:8
	ds_write_b8 v8, v18 offset:256
	ds_write_b8 v8, v16 offset:260
.LBB89_21:
	s_or_b64 exec, exec, s[0:1]
	s_waitcnt lgkmcnt(0)
	s_barrier
	ds_read_u16 v15, v6
	ds_read_u16 v17, v7 offset:4
	ds_read_u8 v16, v4 offset:256
	ds_read_u8 v18, v4 offset:258
	s_waitcnt lgkmcnt(2)
	v_cmp_lt_i16_e32 vcc, v15, v17
	s_waitcnt lgkmcnt(1)
	v_and_b32_e32 v19, 1, v16
	v_cmp_eq_u32_e64 s[0:1], 1, v19
	s_waitcnt lgkmcnt(0)
	v_cmp_ne_u16_e64 s[2:3], v18, v5
	v_cndmask_b32_e64 v19, 0, 1, s[2:3]
	s_and_b64 vcc, vcc, s[0:1]
	v_cndmask_b32_e32 v19, v19, v14, vcc
	v_and_b32_e32 v19, 1, v19
	v_cmp_eq_u32_e32 vcc, 1, v19
	s_and_saveexec_b64 s[0:1], vcc
	s_cbranch_execz .LBB89_23
; %bb.22:
	ds_write_b16 v6, v17
	ds_write_b16 v7, v15 offset:4
	ds_write_b8 v4, v18 offset:256
	ds_write_b8 v4, v16 offset:258
.LBB89_23:
	s_or_b64 exec, exec, s[0:1]
	s_waitcnt lgkmcnt(0)
	s_barrier
	ds_read_b32 v16, v3
	ds_read_u8 v15, v2 offset:256
	ds_read_u8 v17, v2 offset:257
	s_waitcnt lgkmcnt(2)
	v_cmp_lt_i16_sdwa s[2:3], v16, v16 src0_sel:DWORD src1_sel:WORD_1
	s_waitcnt lgkmcnt(1)
	v_and_b32_e32 v18, 1, v15
	v_cmp_eq_u32_e32 vcc, 1, v18
	s_waitcnt lgkmcnt(0)
	v_cmp_ne_u16_e64 s[0:1], v17, v5
	v_cndmask_b32_e64 v5, 0, 1, s[0:1]
	s_and_b64 vcc, s[2:3], vcc
	v_cndmask_b32_e32 v5, v5, v14, vcc
	v_and_b32_e32 v5, 1, v5
	v_cmp_eq_u32_e32 vcc, 1, v5
	s_and_saveexec_b64 s[0:1], vcc
	s_cbranch_execz .LBB89_25
; %bb.24:
	v_alignbit_b32 v5, v16, v16, 16
	ds_write_b32 v3, v5
	ds_write_b8 v2, v17 offset:256
	ds_write_b8 v2, v15 offset:257
.LBB89_25:
	s_or_b64 exec, exec, s[0:1]
	v_and_b32_e32 v14, 15, v0
	v_sub_u32_e32 v16, v1, v14
	v_lshl_add_u32 v15, v16, 1, 2
	v_add_u32_e32 v14, 2, v16
	s_waitcnt lgkmcnt(0)
	s_barrier
	v_add_u32_e32 v16, v14, v16
	ds_read_u16 v17, v15
	ds_read_u16 v19, v16 offset:32
	ds_read_u8 v18, v14 offset:256
	ds_read_u8 v20, v14 offset:272
	v_bfe_u32 v21, v0, 4, 1
	v_and_b32_e32 v5, 16, v0
	s_waitcnt lgkmcnt(2)
	v_cmp_lt_i16_e64 s[0:1], v17, v19
	s_waitcnt lgkmcnt(1)
	v_and_b32_e32 v22, 1, v18
	v_cmp_eq_u32_e64 s[2:3], 1, v22
	s_waitcnt lgkmcnt(0)
	v_cmp_ne_u16_e64 s[6:7], v20, v21
	v_cndmask_b32_e64 v22, 0, 1, s[6:7]
	s_and_b64 s[0:1], s[0:1], s[2:3]
	v_cndmask_b32_e64 v21, v22, v21, s[0:1]
	v_and_b32_e32 v21, 1, v21
	v_cmp_ne_u32_e32 vcc, 0, v5
	v_cmp_eq_u32_e64 s[0:1], 1, v21
	s_and_saveexec_b64 s[2:3], s[0:1]
	s_cbranch_execz .LBB89_27
; %bb.26:
	ds_write_b16 v15, v19
	ds_write_b16 v16, v17 offset:32
	ds_write_b8 v14, v20 offset:256
	ds_write_b8 v14, v18 offset:272
.LBB89_27:
	s_or_b64 exec, exec, s[2:3]
	s_waitcnt lgkmcnt(0)
	s_barrier
	ds_read_u16 v18, v12
	ds_read_u16 v20, v13 offset:16
	ds_read_u8 v19, v11 offset:256
	ds_read_u8 v21, v11 offset:264
	v_lshrrev_b32_e32 v5, 4, v5
	s_waitcnt lgkmcnt(2)
	v_cmp_lt_i16_e64 s[0:1], v18, v20
	s_waitcnt lgkmcnt(1)
	v_and_b32_e32 v17, 1, v19
	v_cmp_eq_u32_e64 s[2:3], 1, v17
	s_waitcnt lgkmcnt(0)
	v_cmp_ne_u16_e64 s[6:7], v21, v5
	v_cndmask_b32_e64 v22, 0, 1, s[6:7]
	v_cndmask_b32_e64 v17, 0, 1, vcc
	s_and_b64 vcc, s[0:1], s[2:3]
	v_cndmask_b32_e32 v22, v22, v17, vcc
	v_and_b32_e32 v22, 1, v22
	v_cmp_eq_u32_e32 vcc, 1, v22
	s_and_saveexec_b64 s[0:1], vcc
	s_cbranch_execz .LBB89_29
; %bb.28:
	ds_write_b16 v12, v20
	ds_write_b16 v13, v18 offset:16
	ds_write_b8 v11, v21 offset:256
	ds_write_b8 v11, v19 offset:264
.LBB89_29:
	s_or_b64 exec, exec, s[0:1]
	s_waitcnt lgkmcnt(0)
	s_barrier
	ds_read_u16 v18, v9
	ds_read_u16 v20, v10 offset:8
	ds_read_u8 v19, v8 offset:256
	ds_read_u8 v21, v8 offset:260
	s_waitcnt lgkmcnt(2)
	v_cmp_lt_i16_e32 vcc, v18, v20
	s_waitcnt lgkmcnt(1)
	v_and_b32_e32 v22, 1, v19
	v_cmp_eq_u32_e64 s[0:1], 1, v22
	s_waitcnt lgkmcnt(0)
	v_cmp_ne_u16_e64 s[2:3], v21, v5
	v_cndmask_b32_e64 v22, 0, 1, s[2:3]
	s_and_b64 vcc, vcc, s[0:1]
	v_cndmask_b32_e32 v22, v22, v17, vcc
	v_and_b32_e32 v22, 1, v22
	v_cmp_eq_u32_e32 vcc, 1, v22
	s_and_saveexec_b64 s[0:1], vcc
	s_cbranch_execz .LBB89_31
; %bb.30:
	ds_write_b16 v9, v20
	ds_write_b16 v10, v18 offset:8
	ds_write_b8 v8, v21 offset:256
	ds_write_b8 v8, v19 offset:260
.LBB89_31:
	s_or_b64 exec, exec, s[0:1]
	s_waitcnt lgkmcnt(0)
	s_barrier
	ds_read_u16 v18, v6
	ds_read_u16 v20, v7 offset:4
	ds_read_u8 v19, v4 offset:256
	ds_read_u8 v21, v4 offset:258
	s_waitcnt lgkmcnt(2)
	v_cmp_lt_i16_e32 vcc, v18, v20
	s_waitcnt lgkmcnt(1)
	v_and_b32_e32 v22, 1, v19
	v_cmp_eq_u32_e64 s[0:1], 1, v22
	s_waitcnt lgkmcnt(0)
	v_cmp_ne_u16_e64 s[2:3], v21, v5
	v_cndmask_b32_e64 v22, 0, 1, s[2:3]
	s_and_b64 vcc, vcc, s[0:1]
	v_cndmask_b32_e32 v22, v22, v17, vcc
	v_and_b32_e32 v22, 1, v22
	v_cmp_eq_u32_e32 vcc, 1, v22
	s_and_saveexec_b64 s[0:1], vcc
	s_cbranch_execz .LBB89_33
; %bb.32:
	ds_write_b16 v6, v20
	ds_write_b16 v7, v18 offset:4
	ds_write_b8 v4, v21 offset:256
	ds_write_b8 v4, v19 offset:258
.LBB89_33:
	s_or_b64 exec, exec, s[0:1]
	s_waitcnt lgkmcnt(0)
	s_barrier
	ds_read_b32 v19, v3
	ds_read_u8 v18, v2 offset:256
	ds_read_u8 v20, v2 offset:257
	s_waitcnt lgkmcnt(2)
	v_cmp_lt_i16_sdwa s[2:3], v19, v19 src0_sel:DWORD src1_sel:WORD_1
	s_waitcnt lgkmcnt(1)
	v_and_b32_e32 v21, 1, v18
	v_cmp_eq_u32_e32 vcc, 1, v21
	s_waitcnt lgkmcnt(0)
	v_cmp_ne_u16_e64 s[0:1], v20, v5
	v_cndmask_b32_e64 v5, 0, 1, s[0:1]
	s_and_b64 vcc, s[2:3], vcc
	v_cndmask_b32_e32 v5, v5, v17, vcc
	v_and_b32_e32 v5, 1, v5
	v_cmp_eq_u32_e32 vcc, 1, v5
	s_and_saveexec_b64 s[0:1], vcc
	s_cbranch_execz .LBB89_35
; %bb.34:
	v_alignbit_b32 v5, v19, v19, 16
	ds_write_b32 v3, v5
	ds_write_b8 v2, v20 offset:256
	ds_write_b8 v2, v18 offset:257
.LBB89_35:
	s_or_b64 exec, exec, s[0:1]
	v_and_b32_e32 v17, 31, v0
	v_sub_u32_e32 v19, v1, v17
	v_lshl_add_u32 v18, v19, 1, 2
	v_add_u32_e32 v17, 2, v19
	s_waitcnt lgkmcnt(0)
	s_barrier
	v_add_u32_e32 v19, v17, v19
	ds_read_u16 v20, v18
	ds_read_u16 v22, v19 offset:64
	ds_read_u8 v21, v17 offset:256
	ds_read_u8 v23, v17 offset:288
	v_bfe_u32 v24, v0, 5, 1
	v_and_b32_e32 v5, 32, v0
	s_waitcnt lgkmcnt(2)
	v_cmp_lt_i16_e64 s[0:1], v20, v22
	s_waitcnt lgkmcnt(1)
	v_and_b32_e32 v25, 1, v21
	v_cmp_eq_u32_e64 s[2:3], 1, v25
	s_waitcnt lgkmcnt(0)
	v_cmp_ne_u16_e64 s[6:7], v23, v24
	v_cndmask_b32_e64 v25, 0, 1, s[6:7]
	s_and_b64 s[0:1], s[0:1], s[2:3]
	v_cndmask_b32_e64 v24, v25, v24, s[0:1]
	v_and_b32_e32 v24, 1, v24
	v_cmp_ne_u32_e32 vcc, 0, v5
	v_cmp_eq_u32_e64 s[0:1], 1, v24
	s_and_saveexec_b64 s[2:3], s[0:1]
	s_cbranch_execz .LBB89_37
; %bb.36:
	ds_write_b16 v18, v22
	ds_write_b16 v19, v20 offset:64
	ds_write_b8 v17, v23 offset:256
	ds_write_b8 v17, v21 offset:288
.LBB89_37:
	s_or_b64 exec, exec, s[2:3]
	s_waitcnt lgkmcnt(0)
	s_barrier
	ds_read_u16 v21, v15
	ds_read_u16 v23, v16 offset:32
	ds_read_u8 v22, v14 offset:256
	ds_read_u8 v24, v14 offset:272
	v_lshrrev_b32_e32 v5, 5, v5
	s_waitcnt lgkmcnt(2)
	v_cmp_lt_i16_e64 s[0:1], v21, v23
	s_waitcnt lgkmcnt(1)
	v_and_b32_e32 v20, 1, v22
	v_cmp_eq_u32_e64 s[2:3], 1, v20
	s_waitcnt lgkmcnt(0)
	v_cmp_ne_u16_e64 s[6:7], v24, v5
	v_cndmask_b32_e64 v25, 0, 1, s[6:7]
	v_cndmask_b32_e64 v20, 0, 1, vcc
	s_and_b64 vcc, s[0:1], s[2:3]
	v_cndmask_b32_e32 v25, v25, v20, vcc
	v_and_b32_e32 v25, 1, v25
	v_cmp_eq_u32_e32 vcc, 1, v25
	s_and_saveexec_b64 s[0:1], vcc
	s_cbranch_execz .LBB89_39
; %bb.38:
	ds_write_b16 v15, v23
	ds_write_b16 v16, v21 offset:32
	ds_write_b8 v14, v24 offset:256
	ds_write_b8 v14, v22 offset:272
.LBB89_39:
	s_or_b64 exec, exec, s[0:1]
	s_waitcnt lgkmcnt(0)
	s_barrier
	ds_read_u16 v21, v12
	ds_read_u16 v23, v13 offset:16
	ds_read_u8 v22, v11 offset:256
	ds_read_u8 v24, v11 offset:264
	s_waitcnt lgkmcnt(2)
	v_cmp_lt_i16_e32 vcc, v21, v23
	s_waitcnt lgkmcnt(1)
	v_and_b32_e32 v25, 1, v22
	v_cmp_eq_u32_e64 s[0:1], 1, v25
	s_waitcnt lgkmcnt(0)
	v_cmp_ne_u16_e64 s[2:3], v24, v5
	v_cndmask_b32_e64 v25, 0, 1, s[2:3]
	s_and_b64 vcc, vcc, s[0:1]
	v_cndmask_b32_e32 v25, v25, v20, vcc
	v_and_b32_e32 v25, 1, v25
	v_cmp_eq_u32_e32 vcc, 1, v25
	s_and_saveexec_b64 s[0:1], vcc
	s_cbranch_execz .LBB89_41
; %bb.40:
	ds_write_b16 v12, v23
	ds_write_b16 v13, v21 offset:16
	ds_write_b8 v11, v24 offset:256
	ds_write_b8 v11, v22 offset:264
.LBB89_41:
	s_or_b64 exec, exec, s[0:1]
	s_waitcnt lgkmcnt(0)
	s_barrier
	ds_read_u16 v21, v9
	ds_read_u16 v23, v10 offset:8
	ds_read_u8 v22, v8 offset:256
	ds_read_u8 v24, v8 offset:260
	s_waitcnt lgkmcnt(2)
	v_cmp_lt_i16_e32 vcc, v21, v23
	s_waitcnt lgkmcnt(1)
	v_and_b32_e32 v25, 1, v22
	v_cmp_eq_u32_e64 s[0:1], 1, v25
	s_waitcnt lgkmcnt(0)
	v_cmp_ne_u16_e64 s[2:3], v24, v5
	v_cndmask_b32_e64 v25, 0, 1, s[2:3]
	s_and_b64 vcc, vcc, s[0:1]
	v_cndmask_b32_e32 v25, v25, v20, vcc
	v_and_b32_e32 v25, 1, v25
	v_cmp_eq_u32_e32 vcc, 1, v25
	s_and_saveexec_b64 s[0:1], vcc
	s_cbranch_execz .LBB89_43
; %bb.42:
	ds_write_b16 v9, v23
	ds_write_b16 v10, v21 offset:8
	ds_write_b8 v8, v24 offset:256
	ds_write_b8 v8, v22 offset:260
.LBB89_43:
	s_or_b64 exec, exec, s[0:1]
	s_waitcnt lgkmcnt(0)
	s_barrier
	ds_read_u16 v21, v6
	ds_read_u16 v23, v7 offset:4
	ds_read_u8 v22, v4 offset:256
	ds_read_u8 v24, v4 offset:258
	s_waitcnt lgkmcnt(2)
	v_cmp_lt_i16_e32 vcc, v21, v23
	s_waitcnt lgkmcnt(1)
	v_and_b32_e32 v25, 1, v22
	v_cmp_eq_u32_e64 s[0:1], 1, v25
	s_waitcnt lgkmcnt(0)
	v_cmp_ne_u16_e64 s[2:3], v24, v5
	v_cndmask_b32_e64 v25, 0, 1, s[2:3]
	s_and_b64 vcc, vcc, s[0:1]
	v_cndmask_b32_e32 v25, v25, v20, vcc
	v_and_b32_e32 v25, 1, v25
	v_cmp_eq_u32_e32 vcc, 1, v25
	s_and_saveexec_b64 s[0:1], vcc
	s_cbranch_execz .LBB89_45
; %bb.44:
	ds_write_b16 v6, v23
	ds_write_b16 v7, v21 offset:4
	ds_write_b8 v4, v24 offset:256
	ds_write_b8 v4, v22 offset:258
.LBB89_45:
	s_or_b64 exec, exec, s[0:1]
	s_waitcnt lgkmcnt(0)
	s_barrier
	ds_read_b32 v22, v3
	ds_read_u8 v21, v2 offset:256
	ds_read_u8 v23, v2 offset:257
	s_waitcnt lgkmcnt(2)
	v_cmp_lt_i16_sdwa s[2:3], v22, v22 src0_sel:DWORD src1_sel:WORD_1
	s_waitcnt lgkmcnt(1)
	v_and_b32_e32 v24, 1, v21
	v_cmp_eq_u32_e32 vcc, 1, v24
	s_waitcnt lgkmcnt(0)
	v_cmp_ne_u16_e64 s[0:1], v23, v5
	v_cndmask_b32_e64 v5, 0, 1, s[0:1]
	s_and_b64 vcc, s[2:3], vcc
	v_cndmask_b32_e32 v5, v5, v20, vcc
	v_and_b32_e32 v5, 1, v5
	v_cmp_eq_u32_e32 vcc, 1, v5
	s_and_saveexec_b64 s[0:1], vcc
	s_cbranch_execz .LBB89_47
; %bb.46:
	v_alignbit_b32 v5, v22, v22, 16
	ds_write_b32 v3, v5
	ds_write_b8 v2, v23 offset:256
	ds_write_b8 v2, v21 offset:257
.LBB89_47:
	s_or_b64 exec, exec, s[0:1]
	v_and_b32_e32 v5, 63, v0
	v_sub_u32_e32 v21, v1, v5
	v_lshl_add_u32 v22, v21, 1, 2
	v_add_u32_e32 v20, 2, v21
	s_waitcnt lgkmcnt(0)
	s_barrier
	v_add_u32_e32 v23, v20, v21
	ds_read_u16 v24, v22
	ds_read_u16 v26, v23 offset:128
	ds_read_u8 v25, v20 offset:256
	ds_read_u8 v27, v20 offset:320
	s_waitcnt lgkmcnt(2)
	v_cmp_ge_i16_e32 vcc, v24, v26
	s_waitcnt lgkmcnt(1)
	v_and_b32_e32 v21, 1, v25
	v_cmp_eq_u32_e64 s[0:1], 1, v21
	s_xor_b64 s[0:1], s[0:1], -1
	v_mov_b32_e32 v21, 0
	s_or_b64 s[0:1], vcc, s[0:1]
	s_waitcnt lgkmcnt(0)
	v_cmp_ne_u16_sdwa s[2:3], v27, v21 src0_sel:BYTE_0 src1_sel:DWORD
	s_and_b64 s[2:3], s[0:1], s[2:3]
	s_and_saveexec_b64 s[0:1], s[2:3]
	s_cbranch_execz .LBB89_49
; %bb.48:
	ds_write_b16 v22, v26
	ds_write_b16 v23, v24 offset:128
	v_mov_b32_e32 v22, 1
	ds_write_b8 v20, v22 offset:256
	ds_write_b8 v20, v25 offset:320
.LBB89_49:
	s_or_b64 exec, exec, s[0:1]
	s_waitcnt lgkmcnt(0)
	s_barrier
	ds_read_u16 v20, v18
	ds_read_u16 v23, v19 offset:64
	ds_read_u8 v22, v17 offset:256
	ds_read_u8 v24, v17 offset:288
	s_waitcnt lgkmcnt(2)
	v_cmp_ge_i16_e32 vcc, v20, v23
	s_waitcnt lgkmcnt(1)
	v_and_b32_e32 v25, 1, v22
	v_cmp_eq_u32_e64 s[0:1], 1, v25
	s_xor_b64 s[0:1], s[0:1], -1
	s_or_b64 s[0:1], vcc, s[0:1]
	s_waitcnt lgkmcnt(0)
	v_cmp_ne_u16_sdwa s[2:3], v24, v21 src0_sel:BYTE_0 src1_sel:DWORD
	s_and_b64 s[2:3], s[0:1], s[2:3]
	s_and_saveexec_b64 s[0:1], s[2:3]
	s_cbranch_execz .LBB89_51
; %bb.50:
	ds_write_b16 v18, v23
	ds_write_b16 v19, v20 offset:64
	v_mov_b32_e32 v18, 1
	ds_write_b8 v17, v18 offset:256
	ds_write_b8 v17, v22 offset:288
.LBB89_51:
	s_or_b64 exec, exec, s[0:1]
	s_waitcnt lgkmcnt(0)
	s_barrier
	ds_read_u16 v18, v15
	ds_read_u16 v20, v16 offset:32
	ds_read_u8 v19, v14 offset:256
	ds_read_u8 v21, v14 offset:272
	s_waitcnt lgkmcnt(2)
	v_cmp_ge_i16_e32 vcc, v18, v20
	s_waitcnt lgkmcnt(1)
	v_and_b32_e32 v17, 1, v19
	v_cmp_eq_u32_e64 s[0:1], 1, v17
	s_xor_b64 s[0:1], s[0:1], -1
	v_mov_b32_e32 v17, 0
	s_or_b64 s[0:1], vcc, s[0:1]
	s_waitcnt lgkmcnt(0)
	v_cmp_ne_u16_sdwa s[2:3], v21, v17 src0_sel:BYTE_0 src1_sel:DWORD
	s_and_b64 s[2:3], s[0:1], s[2:3]
	s_and_saveexec_b64 s[0:1], s[2:3]
	s_cbranch_execz .LBB89_53
; %bb.52:
	ds_write_b16 v15, v20
	ds_write_b16 v16, v18 offset:32
	v_mov_b32_e32 v15, 1
	ds_write_b8 v14, v15 offset:256
	ds_write_b8 v14, v19 offset:272
.LBB89_53:
	s_or_b64 exec, exec, s[0:1]
	s_waitcnt lgkmcnt(0)
	s_barrier
	ds_read_u16 v14, v12
	ds_read_u16 v16, v13 offset:16
	ds_read_u8 v15, v11 offset:256
	ds_read_u8 v18, v11 offset:264
	s_waitcnt lgkmcnt(2)
	v_cmp_ge_i16_e32 vcc, v14, v16
	s_waitcnt lgkmcnt(1)
	v_and_b32_e32 v19, 1, v15
	v_cmp_eq_u32_e64 s[0:1], 1, v19
	s_xor_b64 s[0:1], s[0:1], -1
	s_or_b64 s[0:1], vcc, s[0:1]
	s_waitcnt lgkmcnt(0)
	v_cmp_ne_u16_sdwa s[2:3], v18, v17 src0_sel:BYTE_0 src1_sel:DWORD
	s_and_b64 s[2:3], s[0:1], s[2:3]
	s_and_saveexec_b64 s[0:1], s[2:3]
	s_cbranch_execz .LBB89_55
; %bb.54:
	ds_write_b16 v12, v16
	ds_write_b16 v13, v14 offset:16
	v_mov_b32_e32 v12, 1
	ds_write_b8 v11, v12 offset:256
	ds_write_b8 v11, v15 offset:264
.LBB89_55:
	s_or_b64 exec, exec, s[0:1]
	s_waitcnt lgkmcnt(0)
	s_barrier
	;; [unrolled: 53-line block ×3, first 2 shown]
	ds_read_b32 v6, v3
	ds_read_u8 v4, v2 offset:256
	ds_read_u8 v7, v2 offset:257
	s_waitcnt lgkmcnt(2)
	v_cmp_ge_i16_sdwa s[0:1], v6, v6 src0_sel:DWORD src1_sel:WORD_1
	s_waitcnt lgkmcnt(1)
	v_and_b32_e32 v8, 1, v4
	v_cmp_eq_u32_e32 vcc, 1, v8
	s_xor_b64 s[2:3], vcc, -1
	v_mov_b32_e32 v8, 0
	s_or_b64 s[0:1], s[0:1], s[2:3]
	s_waitcnt lgkmcnt(0)
	v_cmp_ne_u16_sdwa s[2:3], v7, v8 src0_sel:BYTE_0 src1_sel:DWORD
	s_and_b64 s[2:3], s[0:1], s[2:3]
	s_and_saveexec_b64 s[0:1], s[2:3]
	s_cbranch_execz .LBB89_61
; %bb.60:
	v_alignbit_b32 v6, v6, v6, 16
	ds_write_b32 v3, v6
	v_mov_b32_e32 v6, 1
	ds_write_b8 v2, v6 offset:256
	ds_write_b8 v2, v4 offset:257
.LBB89_61:
	s_or_b64 exec, exec, s[0:1]
	v_cmp_eq_u32_e32 vcc, 0, v0
	s_waitcnt lgkmcnt(0)
	s_barrier
	s_barrier
	s_and_saveexec_b64 s[0:1], vcc
	s_cbranch_execz .LBB89_63
; %bb.62:
	v_mov_b32_e32 v4, 1
	v_mov_b32_e32 v6, 2
	ds_write_b8 v6, v4 offset:260
	v_mov_b32_e32 v4, 0
	ds_write_b32 v6, v4 offset:256
.LBB89_63:
	s_or_b64 exec, exec, s[0:1]
	ds_read_u16 v4, v3
	ds_read_u16 v3, v3 offset:2
	v_mad_u32_u24 v2, v0, 14, v2
	v_cmp_gt_u32_e64 s[2:3], 63, v0
	s_waitcnt lgkmcnt(0)
	v_cmp_ne_u16_e64 s[0:1], v4, v3
	v_cndmask_b32_e64 v6, 0, 1, s[0:1]
	v_cmp_eq_u16_e64 s[0:1], v4, v3
	v_cndmask_b32_e64 v4, 0, 1, s[0:1]
	ds_write_b8 v2, v6 offset:268
	ds_write_b32 v2, v4 offset:264
	s_and_saveexec_b64 s[6:7], s[2:3]
	s_cbranch_execz .LBB89_65
; %bb.64:
	v_mad_i32_i24 v4, v0, -12, v2
	ds_read_u16 v6, v4 offset:4
	v_mad_u32_u24 v4, v0, 12, v4
	s_waitcnt lgkmcnt(0)
	v_cmp_ne_u16_e64 s[0:1], v3, v6
	v_cndmask_b32_e64 v7, 0, 1, s[0:1]
	v_cmp_eq_u16_e64 s[0:1], v3, v6
	v_cndmask_b32_e64 v3, 0, 1, s[0:1]
	ds_write_b8 v4, v7 offset:276
	ds_write_b32 v4, v3 offset:272
.LBB89_65:
	s_or_b64 exec, exec, s[6:7]
	v_cmp_gt_u32_e64 s[0:1], 64, v0
	s_waitcnt lgkmcnt(0)
	s_barrier
	s_and_saveexec_b64 s[8:9], s[0:1]
	s_cbranch_execz .LBB89_67
; %bb.66:
	ds_read_u8 v6, v2 offset:268
	ds_read_u8 v7, v2 offset:260
	ds_read2_b32 v[3:4], v2 offset0:64 offset1:66
	s_waitcnt lgkmcnt(2)
	v_and_b32_e32 v8, 1, v6
	v_cmp_eq_u32_e64 s[6:7], 1, v8
	s_waitcnt lgkmcnt(1)
	v_or_b32_e32 v6, v7, v6
	s_waitcnt lgkmcnt(0)
	v_cndmask_b32_e64 v3, v3, 0, s[6:7]
	v_add_u32_e32 v3, v3, v4
	v_and_b32_e32 v4, 1, v6
	ds_write2_b32 v2, v3, v4 offset0:66 offset1:67
.LBB89_67:
	s_or_b64 exec, exec, s[8:9]
	v_add_u32_e32 v8, 2, v1
	v_lshlrev_b32_e32 v3, 1, v8
	v_cmp_gt_u32_e64 s[6:7], 32, v0
	v_lshl_add_u32 v3, v3, 3, 2
	s_waitcnt lgkmcnt(0)
	s_barrier
	s_and_saveexec_b64 s[8:9], s[6:7]
	s_cbranch_execz .LBB89_69
; %bb.68:
	ds_read_u8 v4, v3 offset:252
	ds_read_u8 v9, v3 offset:236
	ds_read2_b32 v[6:7], v3 offset0:58 offset1:62
	s_waitcnt lgkmcnt(2)
	v_and_b32_e32 v10, 1, v4
	v_cmp_eq_u32_e64 s[6:7], 1, v10
	s_waitcnt lgkmcnt(1)
	v_or_b32_e32 v4, v9, v4
	s_waitcnt lgkmcnt(0)
	v_cndmask_b32_e64 v6, v6, 0, s[6:7]
	v_add_u32_e32 v6, v6, v7
	v_and_b32_e32 v4, 1, v4
	ds_write2_b32 v3, v6, v4 offset0:62 offset1:63
.LBB89_69:
	s_or_b64 exec, exec, s[8:9]
	v_lshlrev_b32_e32 v4, 2, v8
	v_cmp_gt_u32_e64 s[6:7], 16, v0
	v_lshl_add_u32 v4, v4, 3, 2
	s_waitcnt lgkmcnt(0)
	s_barrier
	s_and_saveexec_b64 s[8:9], s[6:7]
	s_cbranch_execz .LBB89_71
; %bb.70:
	ds_read_u8 v9, v4 offset:252
	ds_read_u8 v10, v4 offset:220
	ds_read2_b32 v[6:7], v4 offset0:54 offset1:62
	s_waitcnt lgkmcnt(2)
	v_and_b32_e32 v11, 1, v9
	v_cmp_eq_u32_e64 s[6:7], 1, v11
	s_waitcnt lgkmcnt(1)
	v_or_b32_e32 v9, v10, v9
	s_waitcnt lgkmcnt(0)
	v_cndmask_b32_e64 v6, v6, 0, s[6:7]
	v_add_u32_e32 v6, v6, v7
	v_and_b32_e32 v7, 1, v9
	ds_write2_b32 v4, v6, v7 offset0:62 offset1:63
.LBB89_71:
	s_or_b64 exec, exec, s[8:9]
	;; [unrolled: 23-line block ×4, first 2 shown]
	v_lshlrev_b32_e32 v8, 5, v8
	v_cmp_gt_u32_e64 s[6:7], 2, v0
	v_lshl_add_u32 v8, v8, 3, 2
	s_waitcnt lgkmcnt(0)
	s_barrier
	s_and_saveexec_b64 s[8:9], s[6:7]
	s_cbranch_execz .LBB89_77
; %bb.76:
	ds_read_u8 v10, v8 offset:252
	v_add_u32_e32 v9, -8, v8
	v_add_u32_e32 v11, -4, v8
	ds_read_b32 v9, v9
	ds_read_b32 v12, v8 offset:248
	ds_read_u8 v11, v11
	s_waitcnt lgkmcnt(3)
	v_and_b32_e32 v13, 1, v10
	v_cmp_eq_u32_e64 s[6:7], 1, v13
	s_waitcnt lgkmcnt(2)
	v_cndmask_b32_e64 v9, v9, 0, s[6:7]
	s_waitcnt lgkmcnt(0)
	v_or_b32_e32 v10, v11, v10
	v_add_u32_e32 v9, v9, v12
	v_and_b32_e32 v10, 1, v10
	ds_write2_b32 v8, v9, v10 offset0:62 offset1:63
.LBB89_77:
	s_or_b64 exec, exec, s[8:9]
	s_waitcnt lgkmcnt(0)
	s_barrier
	s_and_saveexec_b64 s[8:9], vcc
	s_cbranch_execz .LBB89_79
; %bb.78:
	v_mov_b32_e32 v9, 2
	ds_read_u8 v10, v9 offset:1276
	ds_read_b32 v11, v9 offset:760
	ds_read_b32 v12, v9 offset:1272
	ds_read_u8 v9, v9 offset:764
	s_add_i32 s10, 2, 0x4f8
	s_waitcnt lgkmcnt(3)
	v_and_b32_e32 v13, 1, v10
	v_cmp_eq_u32_e64 s[6:7], 1, v13
	s_waitcnt lgkmcnt(2)
	v_cndmask_b32_e64 v11, v11, 0, s[6:7]
	s_waitcnt lgkmcnt(0)
	v_or_b32_e32 v9, v9, v10
	v_add_u32_e32 v11, v11, v12
	v_and_b32_e32 v9, 1, v9
	v_mov_b32_e32 v10, s10
	ds_write2_b32 v10, v11, v9 offset1:1
.LBB89_79:
	s_or_b64 exec, exec, s[8:9]
	s_waitcnt lgkmcnt(0)
	s_barrier
	s_and_saveexec_b64 s[8:9], vcc
	s_cbranch_execz .LBB89_81
; %bb.80:
	ds_read_u8 v11, v8 offset:508
	ds_read_u8 v12, v8 offset:252
	ds_read2_b32 v[9:10], v8 offset0:62 offset1:126
	s_waitcnt lgkmcnt(2)
	v_and_b32_e32 v13, 1, v11
	v_cmp_eq_u32_e64 s[6:7], 1, v13
	s_waitcnt lgkmcnt(1)
	v_or_b32_e32 v11, v12, v11
	s_waitcnt lgkmcnt(0)
	v_cndmask_b32_e64 v9, v9, 0, s[6:7]
	v_add_u32_e32 v9, v9, v10
	v_and_b32_e32 v10, 1, v11
	ds_write2_b32 v8, v9, v10 offset0:126 offset1:127
.LBB89_81:
	s_or_b64 exec, exec, s[8:9]
	v_cmp_gt_u32_e64 s[6:7], 3, v0
	s_waitcnt lgkmcnt(0)
	s_barrier
	s_and_saveexec_b64 s[8:9], s[6:7]
	s_cbranch_execz .LBB89_83
; %bb.82:
	ds_read_u8 v10, v7 offset:380
	ds_read_u8 v11, v7 offset:252
	ds_read2_b32 v[8:9], v7 offset0:62 offset1:94
	s_waitcnt lgkmcnt(2)
	v_and_b32_e32 v12, 1, v10
	v_cmp_eq_u32_e64 s[6:7], 1, v12
	s_waitcnt lgkmcnt(1)
	v_or_b32_e32 v10, v11, v10
	s_waitcnt lgkmcnt(0)
	v_cndmask_b32_e64 v8, v8, 0, s[6:7]
	v_add_u32_e32 v8, v8, v9
	v_and_b32_e32 v9, 1, v10
	ds_write2_b32 v7, v8, v9 offset0:94 offset1:95
.LBB89_83:
	s_or_b64 exec, exec, s[8:9]
	v_cmp_gt_u32_e64 s[6:7], 7, v0
	s_waitcnt lgkmcnt(0)
	s_barrier
	s_and_saveexec_b64 s[8:9], s[6:7]
	;; [unrolled: 21-line block ×4, first 2 shown]
	s_cbranch_execz .LBB89_89
; %bb.88:
	ds_read_u8 v4, v3 offset:268
	ds_read_u8 v8, v3 offset:252
	ds_read2_b32 v[6:7], v3 offset0:62 offset1:66
	s_waitcnt lgkmcnt(2)
	v_and_b32_e32 v9, 1, v4
	v_cmp_eq_u32_e64 s[6:7], 1, v9
	s_waitcnt lgkmcnt(1)
	v_or_b32_e32 v4, v8, v4
	s_waitcnt lgkmcnt(0)
	v_cndmask_b32_e64 v6, v6, 0, s[6:7]
	v_add_u32_e32 v6, v6, v7
	v_and_b32_e32 v4, 1, v4
	ds_write2_b32 v3, v6, v4 offset0:66 offset1:67
.LBB89_89:
	s_or_b64 exec, exec, s[8:9]
	v_lshl_add_u32 v3, v1, 3, 2
	s_waitcnt lgkmcnt(0)
	s_barrier
	s_and_saveexec_b64 s[6:7], s[2:3]
	s_cbranch_execz .LBB89_91
; %bb.90:
	ds_read_u8 v4, v3 offset:276
	ds_read_b32 v6, v2 offset:264
	ds_read_b32 v7, v3 offset:272
	ds_read_u8 v8, v2 offset:268
	s_waitcnt lgkmcnt(3)
	v_and_b32_e32 v9, 1, v4
	v_cmp_eq_u32_e64 s[2:3], 1, v9
	s_waitcnt lgkmcnt(2)
	v_cndmask_b32_e64 v6, v6, 0, s[2:3]
	s_waitcnt lgkmcnt(0)
	v_or_b32_e32 v4, v8, v4
	v_add_u32_e32 v6, v6, v7
	v_and_b32_e32 v4, 1, v4
	ds_write2_b32 v3, v6, v4 offset0:68 offset1:69
.LBB89_91:
	s_or_b64 exec, exec, s[6:7]
	s_waitcnt lgkmcnt(0)
	s_barrier
	ds_read_b32 v4, v3 offset:256
	ds_read_b32 v2, v2 offset:264
	v_or_b32_e32 v3, 1, v1
	v_cmp_gt_u32_e64 s[2:3], s16, v1
	v_cmp_gt_u32_e64 s[6:7], s16, v3
	v_mbcnt_lo_u32_b32 v6, -1, 0
	s_waitcnt lgkmcnt(1)
	v_cndmask_b32_e64 v4, 0, v4, s[2:3]
	s_waitcnt lgkmcnt(0)
	v_cndmask_b32_e64 v2, 0, v2, s[6:7]
	v_mbcnt_hi_u32_b32 v11, -1, v6
	v_mov_b32_e32 v6, 0x80
	v_cndmask_b32_e64 v7, 0, v1, s[2:3]
	v_cndmask_b32_e64 v8, 0, v3, s[6:7]
	v_max_u32_e32 v9, v2, v4
	v_lshl_or_b32 v6, v11, 2, v6
	v_cmp_gt_u32_e64 s[8:9], v2, v4
	ds_bpermute_b32 v10, v6, v9
	v_cndmask_b32_e64 v2, v7, v8, s[8:9]
	ds_bpermute_b32 v4, v6, v2
	v_and_b32_e32 v12, 63, v11
	v_cmp_gt_u32_e64 s[8:9], 48, v12
	v_cndmask_b32_e64 v7, 0, 16, s[8:9]
	s_waitcnt lgkmcnt(1)
	v_max_u32_e32 v13, v10, v9
	v_add_lshl_u32 v7, v7, v11, 2
	v_cmp_gt_u32_e64 s[8:9], v10, v9
	ds_bpermute_b32 v14, v7, v13
	s_waitcnt lgkmcnt(1)
	v_cndmask_b32_e64 v2, v2, v4, s[8:9]
	ds_bpermute_b32 v4, v7, v2
	v_cmp_gt_u32_e64 s[8:9], 56, v12
	v_cndmask_b32_e64 v8, 0, 8, s[8:9]
	s_waitcnt lgkmcnt(1)
	v_max_u32_e32 v10, v14, v13
	v_add_lshl_u32 v8, v8, v11, 2
	v_cmp_gt_u32_e64 s[8:9], v14, v13
	ds_bpermute_b32 v15, v8, v10
	s_waitcnt lgkmcnt(1)
	v_cndmask_b32_e64 v2, v2, v4, s[8:9]
	ds_bpermute_b32 v4, v8, v2
	;; [unrolled: 10-line block ×4, first 2 shown]
	s_waitcnt lgkmcnt(0)
	s_barrier
	v_cmp_gt_u32_e64 s[8:9], v16, v15
	v_max_u32_e32 v2, v16, v15
	v_cndmask_b32_e64 v4, v4, v13, s[8:9]
	v_cmp_ne_u32_e64 s[8:9], 63, v12
	v_addc_co_u32_e64 v11, s[8:9], 0, v11, s[8:9]
	v_lshlrev_b32_e32 v11, 2, v11
	ds_bpermute_b32 v12, v11, v4
	ds_bpermute_b32 v13, v11, v2
	v_cmp_eq_u32_e64 s[8:9], 0, v5
	s_waitcnt lgkmcnt(0)
	s_barrier
	s_and_saveexec_b64 s[12:13], s[8:9]
	s_cbranch_execz .LBB89_93
; %bb.92:
	v_lshrrev_b32_e32 v14, 3, v0
	v_cmp_gt_u32_e64 s[10:11], v13, v2
	v_add_u32_e32 v14, 2, v14
	v_cndmask_b32_e64 v4, v4, v12, s[10:11]
	v_max_u32_e32 v2, v13, v2
	ds_write2_b32 v14, v2, v4 offset0:64 offset1:65
.LBB89_93:
	s_or_b64 exec, exec, s[12:13]
	s_lshr_b32 s10, s18, 6
	v_cmp_gt_u32_e64 s[10:11], s10, v0
	v_lshl_add_u32 v12, v5, 3, 2
	v_mov_b32_e32 v2, 0
	v_mov_b32_e32 v4, 0
	s_waitcnt lgkmcnt(0)
	s_barrier
	s_and_saveexec_b64 s[12:13], s[10:11]
	s_cbranch_execnz .LBB89_108
; %bb.94:
	s_or_b64 exec, exec, s[12:13]
	s_and_saveexec_b64 s[12:13], s[10:11]
	s_cbranch_execnz .LBB89_109
.LBB89_95:
	s_or_b64 exec, exec, s[12:13]
	s_and_saveexec_b64 s[18:19], s[0:1]
	s_cbranch_execnz .LBB89_110
.LBB89_96:
	s_or_b64 exec, exec, s[18:19]
	s_and_saveexec_b64 s[12:13], vcc
	s_cbranch_execz .LBB89_98
.LBB89_97:
	s_waitcnt lgkmcnt(0)
	v_lshl_add_u32 v2, v2, 1, 2
	ds_read_u16 v2, v2
	v_mov_b32_e32 v4, 0
	s_waitcnt lgkmcnt(0)
	ds_write_b16 v4, v2
.LBB89_98:
	s_or_b64 exec, exec, s[12:13]
	s_waitcnt lgkmcnt(0)
	v_mov_b32_e32 v2, 0
	v_cmp_gt_i64_e64 s[12:13], s[16:17], v[1:2]
	v_mov_b32_e32 v13, 0
	s_barrier
	s_and_saveexec_b64 s[18:19], s[12:13]
	s_cbranch_execz .LBB89_100
; %bb.99:
	v_add_u32_e32 v13, s21, v1
	v_mov_b32_e32 v14, 0
	v_lshlrev_b64 v[15:16], 1, v[13:14]
	v_mov_b32_e32 v4, s15
	v_add_co_u32_e64 v15, s[12:13], s14, v15
	v_addc_co_u32_e64 v16, s[12:13], v4, v16, s[12:13]
	global_load_ushort v4, v[15:16], off
	ds_read_u16 v13, v14
	s_waitcnt vmcnt(0) lgkmcnt(0)
	v_cmp_eq_u16_e64 s[12:13], v4, v13
	v_cndmask_b32_e64 v13, 0, v1, s[12:13]
.LBB89_100:
	s_or_b64 exec, exec, s[18:19]
	v_mov_b32_e32 v4, v2
	v_cmp_gt_i64_e64 s[12:13], s[16:17], v[3:4]
	s_and_saveexec_b64 s[16:17], s[12:13]
	s_cbranch_execz .LBB89_102
; %bb.101:
	v_add_u32_e32 v1, s21, v3
	v_mov_b32_e32 v2, 0
	v_lshlrev_b64 v[14:15], 1, v[1:2]
	v_mov_b32_e32 v1, s15
	v_add_co_u32_e64 v14, s[12:13], s14, v14
	v_addc_co_u32_e64 v15, s[12:13], v1, v15, s[12:13]
	global_load_ushort v1, v[14:15], off
	ds_read_u16 v2, v2
	s_waitcnt vmcnt(0) lgkmcnt(0)
	v_cmp_eq_u16_e64 s[12:13], v1, v2
	v_cndmask_b32_e64 v2, 0, v3, s[12:13]
.LBB89_102:
	s_or_b64 exec, exec, s[16:17]
	v_cndmask_b32_e64 v1, 0, v13, s[2:3]
	v_max_u32_e32 v2, v2, v1
	v_cndmask_b32_e64 v1, v1, v2, s[6:7]
	ds_bpermute_b32 v2, v6, v1
	s_waitcnt lgkmcnt(0)
	s_barrier
	v_max_u32_e32 v1, v2, v1
	ds_bpermute_b32 v2, v7, v1
	s_waitcnt lgkmcnt(0)
	v_max_u32_e32 v1, v2, v1
	ds_bpermute_b32 v2, v8, v1
	s_waitcnt lgkmcnt(0)
	;; [unrolled: 3-line block ×4, first 2 shown]
	v_max_u32_e32 v1, v2, v1
	ds_bpermute_b32 v2, v11, v1
	s_and_saveexec_b64 s[2:3], s[8:9]
	s_cbranch_execz .LBB89_104
; %bb.103:
	v_lshrrev_b32_e32 v0, 4, v0
	v_add_u32_e32 v0, 2, v0
	s_waitcnt lgkmcnt(0)
	v_max_u32_e32 v1, v2, v1
	ds_write_b32 v0, v1
.LBB89_104:
	s_or_b64 exec, exec, s[2:3]
	v_mov_b32_e32 v0, 0
	s_waitcnt lgkmcnt(0)
	s_barrier
	s_and_saveexec_b64 s[2:3], s[10:11]
	s_cbranch_execnz .LBB89_111
; %bb.105:
	s_or_b64 exec, exec, s[2:3]
	s_and_saveexec_b64 s[2:3], s[0:1]
	s_cbranch_execnz .LBB89_112
.LBB89_106:
	s_or_b64 exec, exec, s[2:3]
	s_and_saveexec_b64 s[0:1], vcc
	s_cbranch_execnz .LBB89_113
.LBB89_107:
	s_endpgm
.LBB89_108:
	ds_read_b32 v4, v12 offset:256
	s_or_b64 exec, exec, s[12:13]
	s_and_saveexec_b64 s[12:13], s[10:11]
	s_cbranch_execz .LBB89_95
.LBB89_109:
	ds_read_b32 v2, v12 offset:260
	s_or_b64 exec, exec, s[12:13]
	s_and_saveexec_b64 s[18:19], s[0:1]
	s_cbranch_execz .LBB89_96
.LBB89_110:
	s_waitcnt lgkmcnt(0)
	ds_bpermute_b32 v13, v6, v4
	ds_bpermute_b32 v14, v6, v2
	s_waitcnt lgkmcnt(1)
	v_max_u32_e32 v15, v13, v4
	v_cmp_gt_u32_e64 s[12:13], v13, v4
	ds_bpermute_b32 v16, v7, v15
	s_waitcnt lgkmcnt(1)
	v_cndmask_b32_e64 v2, v2, v14, s[12:13]
	ds_bpermute_b32 v4, v7, v2
	s_waitcnt lgkmcnt(1)
	v_max_u32_e32 v13, v16, v15
	v_cmp_gt_u32_e64 s[12:13], v16, v15
	ds_bpermute_b32 v14, v8, v13
	s_waitcnt lgkmcnt(1)
	v_cndmask_b32_e64 v2, v2, v4, s[12:13]
	;; [unrolled: 7-line block ×4, first 2 shown]
	ds_bpermute_b32 v4, v10, v2
	s_waitcnt lgkmcnt(1)
	v_max_u32_e32 v15, v14, v13
	v_cmp_gt_u32_e64 s[12:13], v14, v13
	s_waitcnt lgkmcnt(0)
	v_cndmask_b32_e64 v2, v2, v4, s[12:13]
	ds_bpermute_b32 v4, v11, v15
	ds_bpermute_b32 v13, v11, v2
	s_waitcnt lgkmcnt(1)
	v_cmp_gt_u32_e64 s[12:13], v4, v15
	s_waitcnt lgkmcnt(0)
	v_cndmask_b32_e64 v2, v2, v13, s[12:13]
	s_or_b64 exec, exec, s[18:19]
	s_and_saveexec_b64 s[12:13], vcc
	s_cbranch_execnz .LBB89_97
	s_branch .LBB89_98
.LBB89_111:
	v_lshlrev_b32_e32 v0, 2, v5
	v_sub_u32_e32 v0, v12, v0
	ds_read_b32 v0, v0
	s_or_b64 exec, exec, s[2:3]
	s_and_saveexec_b64 s[2:3], s[0:1]
	s_cbranch_execz .LBB89_106
.LBB89_112:
	s_waitcnt lgkmcnt(0)
	ds_bpermute_b32 v1, v6, v0
	s_waitcnt lgkmcnt(0)
	v_max_u32_e32 v0, v1, v0
	ds_bpermute_b32 v1, v7, v0
	s_waitcnt lgkmcnt(0)
	v_max_u32_e32 v0, v1, v0
	;; [unrolled: 3-line block ×6, first 2 shown]
	s_or_b64 exec, exec, s[2:3]
	s_and_saveexec_b64 s[0:1], vcc
	s_cbranch_execz .LBB89_107
.LBB89_113:
	s_load_dword s6, s[4:5], 0xd8
	s_load_dwordx2 s[0:1], s[4:5], 0xe0
	s_add_u32 s2, s4, 8
	s_addc_u32 s3, s5, 0
	s_mov_b32 s5, 0
	s_waitcnt lgkmcnt(0)
	s_cmp_lt_i32 s6, 2
	s_cbranch_scc1 .LBB89_116
; %bb.114:
	s_add_i32 s4, s6, -1
	s_add_i32 s8, s6, 1
	s_lshl_b64 s[6:7], s[4:5], 2
	s_add_u32 s4, s2, s6
	s_addc_u32 s7, s3, s7
	s_add_u32 s6, s4, 8
	s_addc_u32 s7, s7, 0
.LBB89_115:                             ; =>This Inner Loop Header: Depth=1
	s_load_dword s4, s[6:7], 0x0
	s_load_dword s10, s[6:7], 0x64
	s_mov_b32 s9, s20
	s_waitcnt lgkmcnt(0)
	v_cvt_f32_u32_e32 v1, s4
	s_sub_i32 s11, 0, s4
	v_rcp_iflag_f32_e32 v1, v1
	v_mul_f32_e32 v1, 0x4f7ffffe, v1
	v_cvt_u32_f32_e32 v1, v1
	v_readfirstlane_b32 s12, v1
	s_mul_i32 s11, s11, s12
	s_mul_hi_u32 s11, s12, s11
	s_add_i32 s12, s12, s11
	s_mul_hi_u32 s11, s20, s12
	s_mul_i32 s12, s11, s4
	s_sub_i32 s12, s20, s12
	s_add_i32 s13, s11, 1
	s_sub_i32 s14, s12, s4
	s_cmp_ge_u32 s12, s4
	s_cselect_b32 s11, s13, s11
	s_cselect_b32 s12, s14, s12
	s_add_i32 s13, s11, 1
	s_cmp_ge_u32 s12, s4
	s_cselect_b32 s20, s13, s11
	s_mul_i32 s4, s20, s4
	s_sub_i32 s4, s9, s4
	s_mul_i32 s4, s10, s4
	s_add_i32 s8, s8, -1
	s_add_i32 s5, s4, s5
	s_add_u32 s6, s6, -4
	s_addc_u32 s7, s7, -1
	s_cmp_gt_u32 s8, 2
	s_cbranch_scc1 .LBB89_115
.LBB89_116:
	s_load_dword s4, s[2:3], 0x6c
	v_mov_b32_e32 v1, 0
	s_load_dwordx2 s[2:3], s[2:3], 0x0
	ds_read_u16 v2, v1
	s_mov_b32 s7, 0
	s_waitcnt lgkmcnt(0)
	s_mul_i32 s4, s4, s20
	s_add_i32 s6, s4, s5
	s_lshl_b64 s[4:5], s[6:7], 1
	s_add_u32 s2, s2, s4
	s_addc_u32 s3, s3, s5
	global_store_short v1, v2, s[2:3]
	s_lshl_b64 s[2:3], s[6:7], 3
	s_add_u32 s0, s0, s2
	s_addc_u32 s1, s1, s3
	global_store_dwordx2 v1, v[0:1], s[0:1]
	s_endpgm
	.section	.rodata,"a",@progbits
	.p2align	6, 0x0
	.amdhsa_kernel _ZN2at6native12compute_modeIsLj128EEEvPKT_NS_4cuda6detail10TensorInfoIS2_jEENS7_IljEEll
		.amdhsa_group_segment_fixed_size 2
		.amdhsa_private_segment_fixed_size 0
		.amdhsa_kernarg_size 712
		.amdhsa_user_sgpr_count 6
		.amdhsa_user_sgpr_private_segment_buffer 1
		.amdhsa_user_sgpr_dispatch_ptr 0
		.amdhsa_user_sgpr_queue_ptr 0
		.amdhsa_user_sgpr_kernarg_segment_ptr 1
		.amdhsa_user_sgpr_dispatch_id 0
		.amdhsa_user_sgpr_flat_scratch_init 0
		.amdhsa_user_sgpr_private_segment_size 0
		.amdhsa_uses_dynamic_stack 0
		.amdhsa_system_sgpr_private_segment_wavefront_offset 0
		.amdhsa_system_sgpr_workgroup_id_x 1
		.amdhsa_system_sgpr_workgroup_id_y 1
		.amdhsa_system_sgpr_workgroup_id_z 1
		.amdhsa_system_sgpr_workgroup_info 0
		.amdhsa_system_vgpr_workitem_id 0
		.amdhsa_next_free_vgpr 28
		.amdhsa_next_free_sgpr 22
		.amdhsa_reserve_vcc 1
		.amdhsa_reserve_flat_scratch 0
		.amdhsa_float_round_mode_32 0
		.amdhsa_float_round_mode_16_64 0
		.amdhsa_float_denorm_mode_32 3
		.amdhsa_float_denorm_mode_16_64 3
		.amdhsa_dx10_clamp 1
		.amdhsa_ieee_mode 1
		.amdhsa_fp16_overflow 0
		.amdhsa_exception_fp_ieee_invalid_op 0
		.amdhsa_exception_fp_denorm_src 0
		.amdhsa_exception_fp_ieee_div_zero 0
		.amdhsa_exception_fp_ieee_overflow 0
		.amdhsa_exception_fp_ieee_underflow 0
		.amdhsa_exception_fp_ieee_inexact 0
		.amdhsa_exception_int_div_zero 0
	.end_amdhsa_kernel
	.section	.text._ZN2at6native12compute_modeIsLj128EEEvPKT_NS_4cuda6detail10TensorInfoIS2_jEENS7_IljEEll,"axG",@progbits,_ZN2at6native12compute_modeIsLj128EEEvPKT_NS_4cuda6detail10TensorInfoIS2_jEENS7_IljEEll,comdat
.Lfunc_end89:
	.size	_ZN2at6native12compute_modeIsLj128EEEvPKT_NS_4cuda6detail10TensorInfoIS2_jEENS7_IljEEll, .Lfunc_end89-_ZN2at6native12compute_modeIsLj128EEEvPKT_NS_4cuda6detail10TensorInfoIS2_jEENS7_IljEEll
                                        ; -- End function
	.set _ZN2at6native12compute_modeIsLj128EEEvPKT_NS_4cuda6detail10TensorInfoIS2_jEENS7_IljEEll.num_vgpr, 28
	.set _ZN2at6native12compute_modeIsLj128EEEvPKT_NS_4cuda6detail10TensorInfoIS2_jEENS7_IljEEll.num_agpr, 0
	.set _ZN2at6native12compute_modeIsLj128EEEvPKT_NS_4cuda6detail10TensorInfoIS2_jEENS7_IljEEll.numbered_sgpr, 22
	.set _ZN2at6native12compute_modeIsLj128EEEvPKT_NS_4cuda6detail10TensorInfoIS2_jEENS7_IljEEll.num_named_barrier, 0
	.set _ZN2at6native12compute_modeIsLj128EEEvPKT_NS_4cuda6detail10TensorInfoIS2_jEENS7_IljEEll.private_seg_size, 0
	.set _ZN2at6native12compute_modeIsLj128EEEvPKT_NS_4cuda6detail10TensorInfoIS2_jEENS7_IljEEll.uses_vcc, 1
	.set _ZN2at6native12compute_modeIsLj128EEEvPKT_NS_4cuda6detail10TensorInfoIS2_jEENS7_IljEEll.uses_flat_scratch, 0
	.set _ZN2at6native12compute_modeIsLj128EEEvPKT_NS_4cuda6detail10TensorInfoIS2_jEENS7_IljEEll.has_dyn_sized_stack, 0
	.set _ZN2at6native12compute_modeIsLj128EEEvPKT_NS_4cuda6detail10TensorInfoIS2_jEENS7_IljEEll.has_recursion, 0
	.set _ZN2at6native12compute_modeIsLj128EEEvPKT_NS_4cuda6detail10TensorInfoIS2_jEENS7_IljEEll.has_indirect_call, 0
	.section	.AMDGPU.csdata,"",@progbits
; Kernel info:
; codeLenInByte = 8144
; TotalNumSgprs: 26
; NumVgprs: 28
; ScratchSize: 0
; MemoryBound: 0
; FloatMode: 240
; IeeeMode: 1
; LDSByteSize: 2 bytes/workgroup (compile time only)
; SGPRBlocks: 3
; VGPRBlocks: 6
; NumSGPRsForWavesPerEU: 26
; NumVGPRsForWavesPerEU: 28
; Occupancy: 9
; WaveLimiterHint : 1
; COMPUTE_PGM_RSRC2:SCRATCH_EN: 0
; COMPUTE_PGM_RSRC2:USER_SGPR: 6
; COMPUTE_PGM_RSRC2:TRAP_HANDLER: 0
; COMPUTE_PGM_RSRC2:TGID_X_EN: 1
; COMPUTE_PGM_RSRC2:TGID_Y_EN: 1
; COMPUTE_PGM_RSRC2:TGID_Z_EN: 1
; COMPUTE_PGM_RSRC2:TIDIG_COMP_CNT: 0
	.section	.text._ZN2at6native12compute_modeIdLj2048EEEvPKT_NS_4cuda6detail10TensorInfoIS2_jEENS7_IljEEll,"axG",@progbits,_ZN2at6native12compute_modeIdLj2048EEEvPKT_NS_4cuda6detail10TensorInfoIS2_jEENS7_IljEEll,comdat
	.protected	_ZN2at6native12compute_modeIdLj2048EEEvPKT_NS_4cuda6detail10TensorInfoIS2_jEENS7_IljEEll ; -- Begin function _ZN2at6native12compute_modeIdLj2048EEEvPKT_NS_4cuda6detail10TensorInfoIS2_jEENS7_IljEEll
	.globl	_ZN2at6native12compute_modeIdLj2048EEEvPKT_NS_4cuda6detail10TensorInfoIS2_jEENS7_IljEEll
	.p2align	8
	.type	_ZN2at6native12compute_modeIdLj2048EEEvPKT_NS_4cuda6detail10TensorInfoIS2_jEENS7_IljEEll,@function
_ZN2at6native12compute_modeIdLj2048EEEvPKT_NS_4cuda6detail10TensorInfoIS2_jEENS7_IljEEll: ; @_ZN2at6native12compute_modeIdLj2048EEEvPKT_NS_4cuda6detail10TensorInfoIS2_jEENS7_IljEEll
; %bb.0:
	s_load_dwordx2 s[2:3], s[4:5], 0x1c8
	s_load_dwordx4 s[16:19], s[4:5], 0x1b8
	s_add_u32 s0, s4, 0x1c8
	s_addc_u32 s1, s5, 0
	v_mov_b32_e32 v2, 0
	s_waitcnt lgkmcnt(0)
	s_mul_i32 s3, s3, s8
	s_add_i32 s3, s3, s7
	s_mul_i32 s2, s3, s2
	s_add_i32 s20, s2, s6
	v_mov_b32_e32 v1, s20
	v_cmp_le_i64_e32 vcc, s[18:19], v[1:2]
	s_cbranch_vccnz .LBB90_197
; %bb.1:
	s_load_dwordx2 s[14:15], s[4:5], 0x0
	s_load_dword s6, s[0:1], 0xc
	v_mov_b32_e32 v1, v2
	v_cmp_gt_i64_e32 vcc, s[16:17], v[0:1]
	s_mul_i32 s21, s20, s16
	v_lshl_add_u32 v17, v0, 3, 8
	s_and_saveexec_b64 s[2:3], vcc
	s_cbranch_execz .LBB90_3
; %bb.2:
	v_add_u32_e32 v1, s21, v0
	v_lshlrev_b64 v[3:4], 3, v[1:2]
	s_waitcnt lgkmcnt(0)
	v_mov_b32_e32 v1, s15
	v_add_co_u32_e64 v3, s[0:1], s14, v3
	v_addc_co_u32_e64 v4, s[0:1], v1, v4, s[0:1]
	global_load_dwordx2 v[3:4], v[3:4], off
	s_waitcnt vmcnt(0)
	ds_write_b64 v17, v[3:4]
.LBB90_3:
	s_or_b64 exec, exec, s[2:3]
	s_waitcnt lgkmcnt(0)
	s_and_b32 s18, 0xffff, s6
	v_add_u32_e32 v1, s18, v0
	v_cmp_gt_i64_e64 s[0:1], s[16:17], v[1:2]
	s_and_saveexec_b64 s[6:7], s[0:1]
	s_cbranch_execz .LBB90_5
; %bb.4:
	v_add_u32_e32 v2, s21, v1
	v_mov_b32_e32 v3, 0
	v_lshlrev_b64 v[2:3], 3, v[2:3]
	v_mov_b32_e32 v4, s15
	v_add_co_u32_e64 v2, s[2:3], s14, v2
	v_addc_co_u32_e64 v3, s[2:3], v4, v3, s[2:3]
	global_load_dwordx2 v[2:3], v[2:3], off
	v_lshl_add_u32 v1, v1, 3, 8
	s_waitcnt vmcnt(0)
	ds_write_b64 v1, v[2:3]
.LBB90_5:
	s_or_b64 exec, exec, s[6:7]
	v_add_u32_e32 v18, 8, v0
	v_cndmask_b32_e64 v1, 0, 1, vcc
	ds_write_b8 v18, v1 offset:16384
	v_add_u32_e32 v1, s18, v18
	v_cndmask_b32_e64 v2, 0, 1, s[0:1]
	v_mad_u32_u24 v6, v0, 15, v18
	ds_write_b8 v1, v2 offset:16384
	s_waitcnt lgkmcnt(0)
	s_barrier
	s_barrier
	ds_read2_b64 v[1:4], v6 offset1:1
	v_mad_i32_i24 v5, v0, -14, v6
	v_mad_u32_u24 v8, v0, 14, v5
	v_mad_i32_i24 v7, v0, -14, v8
	ds_read_u8 v5, v5 offset:16384
	ds_read_u8 v11, v7 offset:16385
	s_waitcnt lgkmcnt(2)
	v_cmp_lt_f64_e32 vcc, v[1:2], v[3:4]
	v_and_b32_e32 v7, 1, v0
	v_mul_i32_i24_e32 v10, -14, v0
	s_waitcnt lgkmcnt(1)
	v_and_b32_e32 v9, 1, v5
	v_cmp_eq_u32_e64 s[0:1], 1, v9
	s_waitcnt lgkmcnt(0)
	v_cmp_ne_u16_e64 s[2:3], v11, v7
	v_cndmask_b32_e64 v9, 0, 1, s[2:3]
	s_and_b64 vcc, vcc, s[0:1]
	v_cndmask_b32_e32 v9, v9, v0, vcc
	v_and_b32_e32 v9, 1, v9
	v_cmp_eq_u32_e32 vcc, 1, v9
	v_add_u32_e32 v9, v6, v10
	v_add_u32_e32 v10, v8, v10
	s_and_saveexec_b64 s[0:1], vcc
	s_cbranch_execz .LBB90_7
; %bb.6:
	ds_write_b64 v6, v[3:4]
	ds_write_b64 v8, v[1:2] offset:8
	ds_write_b8 v9, v11 offset:16384
	ds_write_b8 v10, v5 offset:16385
.LBB90_7:
	s_or_b64 exec, exec, s[0:1]
	v_lshlrev_b32_e32 v5, 1, v0
	v_sub_u32_e32 v13, v5, v7
	v_add_u32_e32 v11, 8, v13
	v_lshl_add_u32 v12, v13, 3, 8
	v_mad_i32_i24 v3, v13, 7, v11
	s_waitcnt lgkmcnt(0)
	s_barrier
	ds_read_b64 v[1:2], v12
	ds_read_b64 v[3:4], v3 offset:16
	ds_read_u8 v14, v11 offset:16384
	ds_read_u8 v15, v11 offset:16386
	v_bfe_u32 v16, v0, 1, 1
	v_and_b32_e32 v7, 2, v0
	v_mul_i32_i24_e32 v13, 7, v13
	s_waitcnt lgkmcnt(2)
	v_cmp_lt_f64_e64 s[0:1], v[1:2], v[3:4]
	s_waitcnt lgkmcnt(1)
	v_and_b32_e32 v19, 1, v14
	v_cmp_eq_u32_e64 s[2:3], 1, v19
	s_waitcnt lgkmcnt(0)
	v_cmp_ne_u16_e64 s[6:7], v15, v16
	v_cndmask_b32_e64 v19, 0, 1, s[6:7]
	v_cmp_ne_u32_e32 vcc, 0, v7
	v_add_u32_e32 v13, v11, v13
	s_and_b64 s[0:1], s[0:1], s[2:3]
	v_cndmask_b32_e64 v16, v19, v16, s[0:1]
	v_and_b32_e32 v16, 1, v16
	v_cmp_eq_u32_e64 s[0:1], 1, v16
	s_and_saveexec_b64 s[2:3], s[0:1]
	s_xor_b64 s[0:1], exec, s[2:3]
	s_cbranch_execz .LBB90_9
; %bb.8:
	ds_write_b64 v12, v[3:4]
	ds_write_b64 v13, v[1:2] offset:16
	ds_write_b8 v11, v15 offset:16384
	ds_write_b8 v11, v14 offset:16386
.LBB90_9:
	s_or_b64 exec, exec, s[0:1]
	s_waitcnt lgkmcnt(0)
	s_barrier
	ds_read2_b64 v[1:4], v6 offset1:1
	ds_read_u8 v14, v9 offset:16384
	ds_read_u8 v15, v10 offset:16385
	v_lshrrev_b32_e32 v7, 1, v7
	v_cndmask_b32_e64 v16, 0, 1, vcc
	s_waitcnt lgkmcnt(2)
	v_cmp_lt_f64_e64 s[0:1], v[1:2], v[3:4]
	s_waitcnt lgkmcnt(1)
	v_and_b32_e32 v19, 1, v14
	s_waitcnt lgkmcnt(0)
	v_cmp_ne_u16_e32 vcc, v15, v7
	v_cndmask_b32_e64 v7, 0, 1, vcc
	v_cmp_eq_u32_e32 vcc, 1, v19
	s_and_b64 vcc, s[0:1], vcc
	v_cndmask_b32_e32 v7, v7, v16, vcc
	v_and_b32_e32 v7, 1, v7
	v_cmp_eq_u32_e32 vcc, 1, v7
	s_and_saveexec_b64 s[0:1], vcc
	s_cbranch_execz .LBB90_11
; %bb.10:
	ds_write_b64 v6, v[3:4]
	ds_write_b64 v8, v[1:2] offset:8
	ds_write_b8 v9, v15 offset:16384
	ds_write_b8 v10, v14 offset:16385
.LBB90_11:
	s_or_b64 exec, exec, s[0:1]
	v_and_b32_e32 v1, 3, v0
	v_sub_u32_e32 v16, v5, v1
	v_add_u32_e32 v14, 8, v16
	v_lshl_add_u32 v15, v16, 3, 8
	v_mad_i32_i24 v3, v16, 7, v14
	s_waitcnt lgkmcnt(0)
	s_barrier
	ds_read_b64 v[1:2], v15
	ds_read_b64 v[3:4], v3 offset:32
	ds_read_u8 v19, v14 offset:16384
	ds_read_u8 v20, v14 offset:16388
	v_bfe_u32 v21, v0, 2, 1
	v_and_b32_e32 v7, 4, v0
	v_mul_i32_i24_e32 v16, 7, v16
	s_waitcnt lgkmcnt(2)
	v_cmp_lt_f64_e64 s[0:1], v[1:2], v[3:4]
	s_waitcnt lgkmcnt(1)
	v_and_b32_e32 v22, 1, v19
	v_cmp_eq_u32_e64 s[2:3], 1, v22
	s_waitcnt lgkmcnt(0)
	v_cmp_ne_u16_e64 s[6:7], v20, v21
	v_cndmask_b32_e64 v22, 0, 1, s[6:7]
	v_cmp_ne_u32_e32 vcc, 0, v7
	v_add_u32_e32 v16, v14, v16
	s_and_b64 s[0:1], s[0:1], s[2:3]
	v_cndmask_b32_e64 v21, v22, v21, s[0:1]
	v_and_b32_e32 v21, 1, v21
	v_cmp_eq_u32_e64 s[0:1], 1, v21
	s_and_saveexec_b64 s[2:3], s[0:1]
	s_cbranch_execz .LBB90_13
; %bb.12:
	ds_write_b64 v15, v[3:4]
	ds_write_b64 v16, v[1:2] offset:32
	ds_write_b8 v14, v20 offset:16384
	ds_write_b8 v14, v19 offset:16388
.LBB90_13:
	s_or_b64 exec, exec, s[2:3]
	s_waitcnt lgkmcnt(0)
	s_barrier
	ds_read_b64 v[1:2], v12
	ds_read_b64 v[3:4], v13 offset:16
	ds_read_u8 v20, v11 offset:16384
	ds_read_u8 v21, v11 offset:16386
	v_lshrrev_b32_e32 v7, 2, v7
	s_waitcnt lgkmcnt(2)
	v_cmp_lt_f64_e64 s[0:1], v[1:2], v[3:4]
	s_waitcnt lgkmcnt(1)
	v_and_b32_e32 v19, 1, v20
	v_cmp_eq_u32_e64 s[2:3], 1, v19
	s_waitcnt lgkmcnt(0)
	v_cmp_ne_u16_e64 s[6:7], v21, v7
	v_cndmask_b32_e64 v22, 0, 1, s[6:7]
	v_cndmask_b32_e64 v19, 0, 1, vcc
	s_and_b64 vcc, s[0:1], s[2:3]
	v_cndmask_b32_e32 v22, v22, v19, vcc
	v_and_b32_e32 v22, 1, v22
	v_cmp_eq_u32_e32 vcc, 1, v22
	s_and_saveexec_b64 s[0:1], vcc
	s_cbranch_execz .LBB90_15
; %bb.14:
	ds_write_b64 v12, v[3:4]
	ds_write_b64 v13, v[1:2] offset:16
	ds_write_b8 v11, v21 offset:16384
	ds_write_b8 v11, v20 offset:16386
.LBB90_15:
	s_or_b64 exec, exec, s[0:1]
	s_waitcnt lgkmcnt(0)
	s_barrier
	ds_read2_b64 v[1:4], v6 offset1:1
	ds_read_u8 v20, v9 offset:16384
	ds_read_u8 v21, v10 offset:16385
	s_waitcnt lgkmcnt(2)
	v_cmp_lt_f64_e32 vcc, v[1:2], v[3:4]
	s_waitcnt lgkmcnt(1)
	v_and_b32_e32 v22, 1, v20
	s_waitcnt lgkmcnt(0)
	v_cmp_ne_u16_e64 s[0:1], v21, v7
	v_cndmask_b32_e64 v7, 0, 1, s[0:1]
	v_cmp_eq_u32_e64 s[0:1], 1, v22
	s_and_b64 vcc, vcc, s[0:1]
	v_cndmask_b32_e32 v7, v7, v19, vcc
	v_and_b32_e32 v7, 1, v7
	v_cmp_eq_u32_e32 vcc, 1, v7
	s_and_saveexec_b64 s[0:1], vcc
	s_cbranch_execz .LBB90_17
; %bb.16:
	ds_write_b64 v6, v[3:4]
	ds_write_b64 v8, v[1:2] offset:8
	ds_write_b8 v9, v21 offset:16384
	ds_write_b8 v10, v20 offset:16385
.LBB90_17:
	s_or_b64 exec, exec, s[0:1]
	v_and_b32_e32 v1, 7, v0
	v_sub_u32_e32 v21, v5, v1
	v_add_u32_e32 v19, 8, v21
	v_lshl_add_u32 v20, v21, 3, 8
	v_mad_i32_i24 v3, v21, 7, v19
	s_waitcnt lgkmcnt(0)
	s_barrier
	ds_read_b64 v[1:2], v20
	ds_read_b64 v[3:4], v3 offset:64
	ds_read_u8 v22, v19 offset:16384
	ds_read_u8 v23, v19 offset:16392
	v_bfe_u32 v24, v0, 3, 1
	v_and_b32_e32 v7, 8, v0
	v_mul_i32_i24_e32 v21, 7, v21
	s_waitcnt lgkmcnt(2)
	v_cmp_lt_f64_e64 s[0:1], v[1:2], v[3:4]
	s_waitcnt lgkmcnt(1)
	v_and_b32_e32 v25, 1, v22
	v_cmp_eq_u32_e64 s[2:3], 1, v25
	s_waitcnt lgkmcnt(0)
	v_cmp_ne_u16_e64 s[6:7], v23, v24
	v_cndmask_b32_e64 v25, 0, 1, s[6:7]
	v_cmp_ne_u32_e32 vcc, 0, v7
	v_add_u32_e32 v21, v19, v21
	s_and_b64 s[0:1], s[0:1], s[2:3]
	v_cndmask_b32_e64 v24, v25, v24, s[0:1]
	v_and_b32_e32 v24, 1, v24
	v_cmp_eq_u32_e64 s[0:1], 1, v24
	s_and_saveexec_b64 s[2:3], s[0:1]
	s_cbranch_execz .LBB90_19
; %bb.18:
	ds_write_b64 v20, v[3:4]
	ds_write_b64 v21, v[1:2] offset:64
	ds_write_b8 v19, v23 offset:16384
	ds_write_b8 v19, v22 offset:16392
.LBB90_19:
	s_or_b64 exec, exec, s[2:3]
	s_waitcnt lgkmcnt(0)
	s_barrier
	ds_read_b64 v[1:2], v15
	ds_read_b64 v[3:4], v16 offset:32
	ds_read_u8 v23, v14 offset:16384
	ds_read_u8 v24, v14 offset:16388
	v_lshrrev_b32_e32 v7, 3, v7
	s_waitcnt lgkmcnt(2)
	v_cmp_lt_f64_e64 s[0:1], v[1:2], v[3:4]
	s_waitcnt lgkmcnt(1)
	v_and_b32_e32 v22, 1, v23
	v_cmp_eq_u32_e64 s[2:3], 1, v22
	s_waitcnt lgkmcnt(0)
	v_cmp_ne_u16_e64 s[6:7], v24, v7
	v_cndmask_b32_e64 v25, 0, 1, s[6:7]
	v_cndmask_b32_e64 v22, 0, 1, vcc
	s_and_b64 vcc, s[0:1], s[2:3]
	v_cndmask_b32_e32 v25, v25, v22, vcc
	v_and_b32_e32 v25, 1, v25
	v_cmp_eq_u32_e32 vcc, 1, v25
	s_and_saveexec_b64 s[0:1], vcc
	s_cbranch_execz .LBB90_21
; %bb.20:
	ds_write_b64 v15, v[3:4]
	ds_write_b64 v16, v[1:2] offset:32
	ds_write_b8 v14, v24 offset:16384
	ds_write_b8 v14, v23 offset:16388
.LBB90_21:
	s_or_b64 exec, exec, s[0:1]
	s_waitcnt lgkmcnt(0)
	s_barrier
	ds_read_b64 v[1:2], v12
	ds_read_b64 v[3:4], v13 offset:16
	ds_read_u8 v23, v11 offset:16384
	ds_read_u8 v24, v11 offset:16386
	s_waitcnt lgkmcnt(2)
	v_cmp_lt_f64_e32 vcc, v[1:2], v[3:4]
	s_waitcnt lgkmcnt(1)
	v_and_b32_e32 v25, 1, v23
	s_waitcnt lgkmcnt(0)
	v_cmp_ne_u16_e64 s[0:1], v24, v7
	v_cndmask_b32_e64 v26, 0, 1, s[0:1]
	v_cmp_eq_u32_e64 s[0:1], 1, v25
	s_and_b64 vcc, vcc, s[0:1]
	v_cndmask_b32_e32 v25, v26, v22, vcc
	v_and_b32_e32 v25, 1, v25
	v_cmp_eq_u32_e32 vcc, 1, v25
	s_and_saveexec_b64 s[0:1], vcc
	s_cbranch_execz .LBB90_23
; %bb.22:
	ds_write_b64 v12, v[3:4]
	ds_write_b64 v13, v[1:2] offset:16
	ds_write_b8 v11, v24 offset:16384
	ds_write_b8 v11, v23 offset:16386
.LBB90_23:
	s_or_b64 exec, exec, s[0:1]
	s_waitcnt lgkmcnt(0)
	s_barrier
	ds_read2_b64 v[1:4], v6 offset1:1
	ds_read_u8 v23, v9 offset:16384
	ds_read_u8 v24, v10 offset:16385
	s_waitcnt lgkmcnt(2)
	v_cmp_lt_f64_e32 vcc, v[1:2], v[3:4]
	s_waitcnt lgkmcnt(1)
	v_and_b32_e32 v25, 1, v23
	s_waitcnt lgkmcnt(0)
	v_cmp_ne_u16_e64 s[0:1], v24, v7
	v_cndmask_b32_e64 v7, 0, 1, s[0:1]
	v_cmp_eq_u32_e64 s[0:1], 1, v25
	s_and_b64 vcc, vcc, s[0:1]
	v_cndmask_b32_e32 v7, v7, v22, vcc
	v_and_b32_e32 v7, 1, v7
	v_cmp_eq_u32_e32 vcc, 1, v7
	s_and_saveexec_b64 s[0:1], vcc
	s_cbranch_execz .LBB90_25
; %bb.24:
	ds_write_b64 v6, v[3:4]
	ds_write_b64 v8, v[1:2] offset:8
	ds_write_b8 v9, v24 offset:16384
	ds_write_b8 v10, v23 offset:16385
.LBB90_25:
	s_or_b64 exec, exec, s[0:1]
	v_and_b32_e32 v1, 15, v0
	v_sub_u32_e32 v24, v5, v1
	v_add_u32_e32 v22, 8, v24
	v_lshl_add_u32 v23, v24, 3, 8
	v_mad_i32_i24 v3, v24, 7, v22
	s_waitcnt lgkmcnt(0)
	s_barrier
	ds_read_b64 v[1:2], v23
	ds_read_b64 v[3:4], v3 offset:128
	ds_read_u8 v25, v22 offset:16384
	ds_read_u8 v26, v22 offset:16400
	v_bfe_u32 v27, v0, 4, 1
	v_and_b32_e32 v7, 16, v0
	v_mul_i32_i24_e32 v24, 7, v24
	s_waitcnt lgkmcnt(2)
	v_cmp_lt_f64_e64 s[0:1], v[1:2], v[3:4]
	s_waitcnt lgkmcnt(1)
	v_and_b32_e32 v28, 1, v25
	v_cmp_eq_u32_e64 s[2:3], 1, v28
	s_waitcnt lgkmcnt(0)
	v_cmp_ne_u16_e64 s[6:7], v26, v27
	v_cndmask_b32_e64 v28, 0, 1, s[6:7]
	v_cmp_ne_u32_e32 vcc, 0, v7
	v_add_u32_e32 v24, v22, v24
	s_and_b64 s[0:1], s[0:1], s[2:3]
	v_cndmask_b32_e64 v27, v28, v27, s[0:1]
	v_and_b32_e32 v27, 1, v27
	v_cmp_eq_u32_e64 s[0:1], 1, v27
	s_and_saveexec_b64 s[2:3], s[0:1]
	s_cbranch_execz .LBB90_27
; %bb.26:
	ds_write_b64 v23, v[3:4]
	ds_write_b64 v24, v[1:2] offset:128
	ds_write_b8 v22, v26 offset:16384
	ds_write_b8 v22, v25 offset:16400
.LBB90_27:
	s_or_b64 exec, exec, s[2:3]
	s_waitcnt lgkmcnt(0)
	s_barrier
	ds_read_b64 v[1:2], v20
	ds_read_b64 v[3:4], v21 offset:64
	ds_read_u8 v26, v19 offset:16384
	ds_read_u8 v27, v19 offset:16392
	v_lshrrev_b32_e32 v7, 4, v7
	s_waitcnt lgkmcnt(2)
	v_cmp_lt_f64_e64 s[0:1], v[1:2], v[3:4]
	s_waitcnt lgkmcnt(1)
	v_and_b32_e32 v25, 1, v26
	v_cmp_eq_u32_e64 s[2:3], 1, v25
	s_waitcnt lgkmcnt(0)
	v_cmp_ne_u16_e64 s[6:7], v27, v7
	v_cndmask_b32_e64 v28, 0, 1, s[6:7]
	v_cndmask_b32_e64 v25, 0, 1, vcc
	s_and_b64 vcc, s[0:1], s[2:3]
	v_cndmask_b32_e32 v28, v28, v25, vcc
	v_and_b32_e32 v28, 1, v28
	v_cmp_eq_u32_e32 vcc, 1, v28
	s_and_saveexec_b64 s[0:1], vcc
	s_cbranch_execz .LBB90_29
; %bb.28:
	ds_write_b64 v20, v[3:4]
	ds_write_b64 v21, v[1:2] offset:64
	ds_write_b8 v19, v27 offset:16384
	ds_write_b8 v19, v26 offset:16392
.LBB90_29:
	s_or_b64 exec, exec, s[0:1]
	s_waitcnt lgkmcnt(0)
	s_barrier
	ds_read_b64 v[1:2], v15
	ds_read_b64 v[3:4], v16 offset:32
	ds_read_u8 v26, v14 offset:16384
	ds_read_u8 v27, v14 offset:16388
	s_waitcnt lgkmcnt(2)
	v_cmp_lt_f64_e32 vcc, v[1:2], v[3:4]
	s_waitcnt lgkmcnt(1)
	v_and_b32_e32 v28, 1, v26
	s_waitcnt lgkmcnt(0)
	v_cmp_ne_u16_e64 s[0:1], v27, v7
	v_cndmask_b32_e64 v29, 0, 1, s[0:1]
	v_cmp_eq_u32_e64 s[0:1], 1, v28
	s_and_b64 vcc, vcc, s[0:1]
	v_cndmask_b32_e32 v28, v29, v25, vcc
	v_and_b32_e32 v28, 1, v28
	v_cmp_eq_u32_e32 vcc, 1, v28
	s_and_saveexec_b64 s[0:1], vcc
	s_cbranch_execz .LBB90_31
; %bb.30:
	ds_write_b64 v15, v[3:4]
	ds_write_b64 v16, v[1:2] offset:32
	ds_write_b8 v14, v27 offset:16384
	ds_write_b8 v14, v26 offset:16388
.LBB90_31:
	s_or_b64 exec, exec, s[0:1]
	s_waitcnt lgkmcnt(0)
	s_barrier
	ds_read_b64 v[1:2], v12
	ds_read_b64 v[3:4], v13 offset:16
	ds_read_u8 v26, v11 offset:16384
	ds_read_u8 v27, v11 offset:16386
	s_waitcnt lgkmcnt(2)
	v_cmp_lt_f64_e32 vcc, v[1:2], v[3:4]
	s_waitcnt lgkmcnt(1)
	v_and_b32_e32 v28, 1, v26
	s_waitcnt lgkmcnt(0)
	v_cmp_ne_u16_e64 s[0:1], v27, v7
	v_cndmask_b32_e64 v29, 0, 1, s[0:1]
	v_cmp_eq_u32_e64 s[0:1], 1, v28
	s_and_b64 vcc, vcc, s[0:1]
	v_cndmask_b32_e32 v28, v29, v25, vcc
	v_and_b32_e32 v28, 1, v28
	v_cmp_eq_u32_e32 vcc, 1, v28
	s_and_saveexec_b64 s[0:1], vcc
	s_cbranch_execz .LBB90_33
; %bb.32:
	ds_write_b64 v12, v[3:4]
	ds_write_b64 v13, v[1:2] offset:16
	ds_write_b8 v11, v27 offset:16384
	ds_write_b8 v11, v26 offset:16386
.LBB90_33:
	s_or_b64 exec, exec, s[0:1]
	s_waitcnt lgkmcnt(0)
	s_barrier
	ds_read2_b64 v[1:4], v6 offset1:1
	ds_read_u8 v26, v9 offset:16384
	ds_read_u8 v27, v10 offset:16385
	s_waitcnt lgkmcnt(2)
	v_cmp_lt_f64_e32 vcc, v[1:2], v[3:4]
	s_waitcnt lgkmcnt(1)
	v_and_b32_e32 v28, 1, v26
	s_waitcnt lgkmcnt(0)
	v_cmp_ne_u16_e64 s[0:1], v27, v7
	v_cndmask_b32_e64 v7, 0, 1, s[0:1]
	v_cmp_eq_u32_e64 s[0:1], 1, v28
	s_and_b64 vcc, vcc, s[0:1]
	v_cndmask_b32_e32 v7, v7, v25, vcc
	v_and_b32_e32 v7, 1, v7
	v_cmp_eq_u32_e32 vcc, 1, v7
	s_and_saveexec_b64 s[0:1], vcc
	s_cbranch_execz .LBB90_35
; %bb.34:
	ds_write_b64 v6, v[3:4]
	ds_write_b64 v8, v[1:2] offset:8
	ds_write_b8 v9, v27 offset:16384
	ds_write_b8 v10, v26 offset:16385
.LBB90_35:
	s_or_b64 exec, exec, s[0:1]
	v_and_b32_e32 v1, 31, v0
	v_sub_u32_e32 v27, v5, v1
	v_add_u32_e32 v25, 8, v27
	v_lshl_add_u32 v26, v27, 3, 8
	v_mad_i32_i24 v3, v27, 7, v25
	s_waitcnt lgkmcnt(0)
	s_barrier
	ds_read_b64 v[1:2], v26
	ds_read_b64 v[3:4], v3 offset:256
	ds_read_u8 v28, v25 offset:16384
	ds_read_u8 v29, v25 offset:16416
	v_bfe_u32 v30, v0, 5, 1
	v_and_b32_e32 v7, 32, v0
	v_mul_i32_i24_e32 v27, 7, v27
	s_waitcnt lgkmcnt(2)
	v_cmp_lt_f64_e64 s[0:1], v[1:2], v[3:4]
	s_waitcnt lgkmcnt(1)
	v_and_b32_e32 v31, 1, v28
	v_cmp_eq_u32_e64 s[2:3], 1, v31
	s_waitcnt lgkmcnt(0)
	v_cmp_ne_u16_e64 s[6:7], v29, v30
	v_cndmask_b32_e64 v31, 0, 1, s[6:7]
	v_cmp_ne_u32_e32 vcc, 0, v7
	v_add_u32_e32 v27, v25, v27
	s_and_b64 s[0:1], s[0:1], s[2:3]
	v_cndmask_b32_e64 v30, v31, v30, s[0:1]
	v_and_b32_e32 v30, 1, v30
	v_cmp_eq_u32_e64 s[0:1], 1, v30
	s_and_saveexec_b64 s[2:3], s[0:1]
	s_cbranch_execz .LBB90_37
; %bb.36:
	ds_write_b64 v26, v[3:4]
	ds_write_b64 v27, v[1:2] offset:256
	ds_write_b8 v25, v29 offset:16384
	ds_write_b8 v25, v28 offset:16416
.LBB90_37:
	s_or_b64 exec, exec, s[2:3]
	s_waitcnt lgkmcnt(0)
	s_barrier
	ds_read_b64 v[1:2], v23
	ds_read_b64 v[3:4], v24 offset:128
	ds_read_u8 v29, v22 offset:16384
	ds_read_u8 v30, v22 offset:16400
	v_lshrrev_b32_e32 v7, 5, v7
	s_waitcnt lgkmcnt(2)
	v_cmp_lt_f64_e64 s[0:1], v[1:2], v[3:4]
	s_waitcnt lgkmcnt(1)
	v_and_b32_e32 v28, 1, v29
	v_cmp_eq_u32_e64 s[2:3], 1, v28
	s_waitcnt lgkmcnt(0)
	v_cmp_ne_u16_e64 s[6:7], v30, v7
	v_cndmask_b32_e64 v31, 0, 1, s[6:7]
	v_cndmask_b32_e64 v28, 0, 1, vcc
	s_and_b64 vcc, s[0:1], s[2:3]
	v_cndmask_b32_e32 v31, v31, v28, vcc
	v_and_b32_e32 v31, 1, v31
	v_cmp_eq_u32_e32 vcc, 1, v31
	s_and_saveexec_b64 s[0:1], vcc
	s_cbranch_execz .LBB90_39
; %bb.38:
	ds_write_b64 v23, v[3:4]
	ds_write_b64 v24, v[1:2] offset:128
	ds_write_b8 v22, v30 offset:16384
	ds_write_b8 v22, v29 offset:16400
.LBB90_39:
	s_or_b64 exec, exec, s[0:1]
	s_waitcnt lgkmcnt(0)
	s_barrier
	ds_read_b64 v[1:2], v20
	ds_read_b64 v[3:4], v21 offset:64
	ds_read_u8 v29, v19 offset:16384
	ds_read_u8 v30, v19 offset:16392
	s_waitcnt lgkmcnt(2)
	v_cmp_lt_f64_e32 vcc, v[1:2], v[3:4]
	s_waitcnt lgkmcnt(1)
	v_and_b32_e32 v31, 1, v29
	s_waitcnt lgkmcnt(0)
	v_cmp_ne_u16_e64 s[0:1], v30, v7
	v_cndmask_b32_e64 v32, 0, 1, s[0:1]
	v_cmp_eq_u32_e64 s[0:1], 1, v31
	s_and_b64 vcc, vcc, s[0:1]
	v_cndmask_b32_e32 v31, v32, v28, vcc
	v_and_b32_e32 v31, 1, v31
	v_cmp_eq_u32_e32 vcc, 1, v31
	s_and_saveexec_b64 s[0:1], vcc
	s_cbranch_execz .LBB90_41
; %bb.40:
	ds_write_b64 v20, v[3:4]
	ds_write_b64 v21, v[1:2] offset:64
	ds_write_b8 v19, v30 offset:16384
	ds_write_b8 v19, v29 offset:16392
.LBB90_41:
	s_or_b64 exec, exec, s[0:1]
	s_waitcnt lgkmcnt(0)
	s_barrier
	ds_read_b64 v[1:2], v15
	ds_read_b64 v[3:4], v16 offset:32
	ds_read_u8 v29, v14 offset:16384
	ds_read_u8 v30, v14 offset:16388
	s_waitcnt lgkmcnt(2)
	v_cmp_lt_f64_e32 vcc, v[1:2], v[3:4]
	s_waitcnt lgkmcnt(1)
	v_and_b32_e32 v31, 1, v29
	s_waitcnt lgkmcnt(0)
	v_cmp_ne_u16_e64 s[0:1], v30, v7
	v_cndmask_b32_e64 v32, 0, 1, s[0:1]
	v_cmp_eq_u32_e64 s[0:1], 1, v31
	s_and_b64 vcc, vcc, s[0:1]
	;; [unrolled: 27-line block ×3, first 2 shown]
	v_cndmask_b32_e32 v31, v32, v28, vcc
	v_and_b32_e32 v31, 1, v31
	v_cmp_eq_u32_e32 vcc, 1, v31
	s_and_saveexec_b64 s[0:1], vcc
	s_cbranch_execz .LBB90_45
; %bb.44:
	ds_write_b64 v12, v[3:4]
	ds_write_b64 v13, v[1:2] offset:16
	ds_write_b8 v11, v30 offset:16384
	ds_write_b8 v11, v29 offset:16386
.LBB90_45:
	s_or_b64 exec, exec, s[0:1]
	s_waitcnt lgkmcnt(0)
	s_barrier
	ds_read2_b64 v[1:4], v6 offset1:1
	ds_read_u8 v29, v9 offset:16384
	ds_read_u8 v30, v10 offset:16385
	s_waitcnt lgkmcnt(2)
	v_cmp_lt_f64_e32 vcc, v[1:2], v[3:4]
	s_waitcnt lgkmcnt(1)
	v_and_b32_e32 v31, 1, v29
	s_waitcnt lgkmcnt(0)
	v_cmp_ne_u16_e64 s[0:1], v30, v7
	v_cndmask_b32_e64 v7, 0, 1, s[0:1]
	v_cmp_eq_u32_e64 s[0:1], 1, v31
	s_and_b64 vcc, vcc, s[0:1]
	v_cndmask_b32_e32 v7, v7, v28, vcc
	v_and_b32_e32 v7, 1, v7
	v_cmp_eq_u32_e32 vcc, 1, v7
	s_and_saveexec_b64 s[0:1], vcc
	s_cbranch_execz .LBB90_47
; %bb.46:
	ds_write_b64 v6, v[3:4]
	ds_write_b64 v8, v[1:2] offset:8
	ds_write_b8 v9, v30 offset:16384
	ds_write_b8 v10, v29 offset:16385
.LBB90_47:
	s_or_b64 exec, exec, s[0:1]
	v_and_b32_e32 v7, 63, v0
	v_sub_u32_e32 v30, v5, v7
	v_add_u32_e32 v28, 8, v30
	v_lshl_add_u32 v29, v30, 3, 8
	v_mad_i32_i24 v3, v30, 7, v28
	s_waitcnt lgkmcnt(0)
	s_barrier
	ds_read_b64 v[1:2], v29
	ds_read_b64 v[3:4], v3 offset:512
	ds_read_u8 v32, v28 offset:16384
	ds_read_u8 v33, v28 offset:16448
	v_bfe_u32 v34, v0, 6, 1
	v_and_b32_e32 v31, 64, v0
	v_mul_i32_i24_e32 v30, 7, v30
	s_waitcnt lgkmcnt(2)
	v_cmp_lt_f64_e64 s[0:1], v[1:2], v[3:4]
	s_waitcnt lgkmcnt(1)
	v_and_b32_e32 v35, 1, v32
	v_cmp_eq_u32_e64 s[2:3], 1, v35
	s_waitcnt lgkmcnt(0)
	v_cmp_ne_u16_e64 s[6:7], v33, v34
	v_cndmask_b32_e64 v35, 0, 1, s[6:7]
	v_cmp_ne_u32_e32 vcc, 0, v31
	v_add_u32_e32 v30, v28, v30
	s_and_b64 s[0:1], s[0:1], s[2:3]
	v_cndmask_b32_e64 v34, v35, v34, s[0:1]
	v_and_b32_e32 v34, 1, v34
	v_cmp_eq_u32_e64 s[0:1], 1, v34
	s_and_saveexec_b64 s[2:3], s[0:1]
	s_cbranch_execz .LBB90_49
; %bb.48:
	ds_write_b64 v29, v[3:4]
	ds_write_b64 v30, v[1:2] offset:512
	ds_write_b8 v28, v33 offset:16384
	ds_write_b8 v28, v32 offset:16448
.LBB90_49:
	s_or_b64 exec, exec, s[2:3]
	s_waitcnt lgkmcnt(0)
	s_barrier
	ds_read_b64 v[1:2], v26
	ds_read_b64 v[3:4], v27 offset:256
	ds_read_u8 v33, v25 offset:16384
	ds_read_u8 v34, v25 offset:16416
	v_lshrrev_b32_e32 v31, 6, v31
	s_waitcnt lgkmcnt(2)
	v_cmp_lt_f64_e64 s[0:1], v[1:2], v[3:4]
	s_waitcnt lgkmcnt(1)
	v_and_b32_e32 v32, 1, v33
	v_cmp_eq_u32_e64 s[2:3], 1, v32
	s_waitcnt lgkmcnt(0)
	v_cmp_ne_u16_e64 s[6:7], v34, v31
	v_cndmask_b32_e64 v35, 0, 1, s[6:7]
	v_cndmask_b32_e64 v32, 0, 1, vcc
	s_and_b64 vcc, s[0:1], s[2:3]
	v_cndmask_b32_e32 v35, v35, v32, vcc
	v_and_b32_e32 v35, 1, v35
	v_cmp_eq_u32_e32 vcc, 1, v35
	s_and_saveexec_b64 s[0:1], vcc
	s_cbranch_execz .LBB90_51
; %bb.50:
	ds_write_b64 v26, v[3:4]
	ds_write_b64 v27, v[1:2] offset:256
	ds_write_b8 v25, v34 offset:16384
	ds_write_b8 v25, v33 offset:16416
.LBB90_51:
	s_or_b64 exec, exec, s[0:1]
	s_waitcnt lgkmcnt(0)
	s_barrier
	ds_read_b64 v[1:2], v23
	ds_read_b64 v[3:4], v24 offset:128
	ds_read_u8 v33, v22 offset:16384
	ds_read_u8 v34, v22 offset:16400
	s_waitcnt lgkmcnt(2)
	v_cmp_lt_f64_e32 vcc, v[1:2], v[3:4]
	s_waitcnt lgkmcnt(1)
	v_and_b32_e32 v35, 1, v33
	s_waitcnt lgkmcnt(0)
	v_cmp_ne_u16_e64 s[0:1], v34, v31
	v_cndmask_b32_e64 v36, 0, 1, s[0:1]
	v_cmp_eq_u32_e64 s[0:1], 1, v35
	s_and_b64 vcc, vcc, s[0:1]
	v_cndmask_b32_e32 v35, v36, v32, vcc
	v_and_b32_e32 v35, 1, v35
	v_cmp_eq_u32_e32 vcc, 1, v35
	s_and_saveexec_b64 s[0:1], vcc
	s_cbranch_execz .LBB90_53
; %bb.52:
	ds_write_b64 v23, v[3:4]
	ds_write_b64 v24, v[1:2] offset:128
	ds_write_b8 v22, v34 offset:16384
	ds_write_b8 v22, v33 offset:16400
.LBB90_53:
	s_or_b64 exec, exec, s[0:1]
	s_waitcnt lgkmcnt(0)
	s_barrier
	ds_read_b64 v[1:2], v20
	ds_read_b64 v[3:4], v21 offset:64
	ds_read_u8 v33, v19 offset:16384
	ds_read_u8 v34, v19 offset:16392
	s_waitcnt lgkmcnt(2)
	v_cmp_lt_f64_e32 vcc, v[1:2], v[3:4]
	s_waitcnt lgkmcnt(1)
	v_and_b32_e32 v35, 1, v33
	s_waitcnt lgkmcnt(0)
	v_cmp_ne_u16_e64 s[0:1], v34, v31
	v_cndmask_b32_e64 v36, 0, 1, s[0:1]
	v_cmp_eq_u32_e64 s[0:1], 1, v35
	s_and_b64 vcc, vcc, s[0:1]
	;; [unrolled: 27-line block ×4, first 2 shown]
	v_cndmask_b32_e32 v35, v36, v32, vcc
	v_and_b32_e32 v35, 1, v35
	v_cmp_eq_u32_e32 vcc, 1, v35
	s_and_saveexec_b64 s[0:1], vcc
	s_cbranch_execz .LBB90_59
; %bb.58:
	ds_write_b64 v12, v[3:4]
	ds_write_b64 v13, v[1:2] offset:16
	ds_write_b8 v11, v34 offset:16384
	ds_write_b8 v11, v33 offset:16386
.LBB90_59:
	s_or_b64 exec, exec, s[0:1]
	s_waitcnt lgkmcnt(0)
	s_barrier
	ds_read2_b64 v[1:4], v6 offset1:1
	ds_read_u8 v33, v9 offset:16384
	ds_read_u8 v34, v10 offset:16385
	s_waitcnt lgkmcnt(2)
	v_cmp_lt_f64_e32 vcc, v[1:2], v[3:4]
	s_waitcnt lgkmcnt(1)
	v_and_b32_e32 v35, 1, v33
	s_waitcnt lgkmcnt(0)
	v_cmp_ne_u16_e64 s[0:1], v34, v31
	v_cndmask_b32_e64 v31, 0, 1, s[0:1]
	v_cmp_eq_u32_e64 s[0:1], 1, v35
	s_and_b64 vcc, vcc, s[0:1]
	v_cndmask_b32_e32 v31, v31, v32, vcc
	v_and_b32_e32 v31, 1, v31
	v_cmp_eq_u32_e32 vcc, 1, v31
	s_and_saveexec_b64 s[0:1], vcc
	s_cbranch_execz .LBB90_61
; %bb.60:
	ds_write_b64 v6, v[3:4]
	ds_write_b64 v8, v[1:2] offset:8
	ds_write_b8 v9, v34 offset:16384
	ds_write_b8 v10, v33 offset:16385
.LBB90_61:
	s_or_b64 exec, exec, s[0:1]
	v_and_b32_e32 v1, 0x7f, v0
	v_sub_u32_e32 v33, v5, v1
	v_add_u32_e32 v31, 8, v33
	v_lshl_add_u32 v32, v33, 3, 8
	v_mad_i32_i24 v3, v33, 7, v31
	s_waitcnt lgkmcnt(0)
	s_barrier
	ds_read_b64 v[1:2], v32
	ds_read_b64 v[3:4], v3 offset:1024
	ds_read_u8 v35, v31 offset:16384
	ds_read_u8 v36, v31 offset:16512
	v_lshrrev_b32_e32 v37, 7, v0
	v_and_b32_e32 v34, 0x80, v0
	v_cmp_ne_u32_e32 vcc, 0, v34
	s_waitcnt lgkmcnt(2)
	v_cmp_lt_f64_e64 s[0:1], v[1:2], v[3:4]
	v_and_b32_e32 v34, 1, v37
	s_waitcnt lgkmcnt(1)
	v_and_b32_e32 v38, 1, v35
	v_cmp_eq_u32_e64 s[2:3], 1, v38
	s_waitcnt lgkmcnt(0)
	v_cmp_ne_u16_e64 s[6:7], v36, v34
	v_cndmask_b32_e64 v38, 0, 1, s[6:7]
	v_mul_i32_i24_e32 v33, 7, v33
	v_add_u32_e32 v33, v31, v33
	s_and_b64 s[0:1], s[0:1], s[2:3]
	v_cndmask_b32_e64 v37, v38, v37, s[0:1]
	v_and_b32_e32 v37, 1, v37
	v_cmp_eq_u32_e64 s[0:1], 1, v37
	s_and_saveexec_b64 s[2:3], s[0:1]
	s_cbranch_execz .LBB90_63
; %bb.62:
	ds_write_b64 v32, v[3:4]
	ds_write_b64 v33, v[1:2] offset:1024
	ds_write_b8 v31, v36 offset:16384
	ds_write_b8 v31, v35 offset:16512
.LBB90_63:
	s_or_b64 exec, exec, s[2:3]
	s_waitcnt lgkmcnt(0)
	s_barrier
	ds_read_b64 v[1:2], v29
	ds_read_b64 v[3:4], v30 offset:512
	ds_read_u8 v36, v28 offset:16384
	ds_read_u8 v37, v28 offset:16448
	v_cndmask_b32_e64 v35, 0, 1, vcc
	s_waitcnt lgkmcnt(2)
	v_cmp_lt_f64_e64 s[0:1], v[1:2], v[3:4]
	s_waitcnt lgkmcnt(1)
	v_and_b32_e32 v38, 1, v36
	s_waitcnt lgkmcnt(0)
	v_cmp_ne_u16_e32 vcc, v37, v34
	v_cndmask_b32_e64 v39, 0, 1, vcc
	v_cmp_eq_u32_e32 vcc, 1, v38
	s_and_b64 vcc, s[0:1], vcc
	v_cndmask_b32_e32 v38, v39, v35, vcc
	v_and_b32_e32 v38, 1, v38
	v_cmp_eq_u32_e32 vcc, 1, v38
	s_and_saveexec_b64 s[0:1], vcc
	s_cbranch_execz .LBB90_65
; %bb.64:
	ds_write_b64 v29, v[3:4]
	ds_write_b64 v30, v[1:2] offset:512
	ds_write_b8 v28, v37 offset:16384
	ds_write_b8 v28, v36 offset:16448
.LBB90_65:
	s_or_b64 exec, exec, s[0:1]
	s_waitcnt lgkmcnt(0)
	s_barrier
	ds_read_b64 v[1:2], v26
	ds_read_b64 v[3:4], v27 offset:256
	ds_read_u8 v36, v25 offset:16384
	ds_read_u8 v37, v25 offset:16416
	s_waitcnt lgkmcnt(2)
	v_cmp_lt_f64_e32 vcc, v[1:2], v[3:4]
	s_waitcnt lgkmcnt(1)
	v_and_b32_e32 v38, 1, v36
	s_waitcnt lgkmcnt(0)
	v_cmp_ne_u16_e64 s[0:1], v37, v34
	v_cndmask_b32_e64 v39, 0, 1, s[0:1]
	v_cmp_eq_u32_e64 s[0:1], 1, v38
	s_and_b64 vcc, vcc, s[0:1]
	v_cndmask_b32_e32 v38, v39, v35, vcc
	v_and_b32_e32 v38, 1, v38
	v_cmp_eq_u32_e32 vcc, 1, v38
	s_and_saveexec_b64 s[0:1], vcc
	s_cbranch_execz .LBB90_67
; %bb.66:
	ds_write_b64 v26, v[3:4]
	ds_write_b64 v27, v[1:2] offset:256
	ds_write_b8 v25, v37 offset:16384
	ds_write_b8 v25, v36 offset:16416
.LBB90_67:
	s_or_b64 exec, exec, s[0:1]
	s_waitcnt lgkmcnt(0)
	s_barrier
	ds_read_b64 v[1:2], v23
	ds_read_b64 v[3:4], v24 offset:128
	ds_read_u8 v36, v22 offset:16384
	ds_read_u8 v37, v22 offset:16400
	s_waitcnt lgkmcnt(2)
	v_cmp_lt_f64_e32 vcc, v[1:2], v[3:4]
	s_waitcnt lgkmcnt(1)
	v_and_b32_e32 v38, 1, v36
	s_waitcnt lgkmcnt(0)
	v_cmp_ne_u16_e64 s[0:1], v37, v34
	v_cndmask_b32_e64 v39, 0, 1, s[0:1]
	v_cmp_eq_u32_e64 s[0:1], 1, v38
	s_and_b64 vcc, vcc, s[0:1]
	;; [unrolled: 27-line block ×5, first 2 shown]
	v_cndmask_b32_e32 v38, v39, v35, vcc
	v_and_b32_e32 v38, 1, v38
	v_cmp_eq_u32_e32 vcc, 1, v38
	s_and_saveexec_b64 s[0:1], vcc
	s_cbranch_execz .LBB90_75
; %bb.74:
	ds_write_b64 v12, v[3:4]
	ds_write_b64 v13, v[1:2] offset:16
	ds_write_b8 v11, v37 offset:16384
	ds_write_b8 v11, v36 offset:16386
.LBB90_75:
	s_or_b64 exec, exec, s[0:1]
	s_waitcnt lgkmcnt(0)
	s_barrier
	ds_read2_b64 v[1:4], v6 offset1:1
	ds_read_u8 v36, v9 offset:16384
	ds_read_u8 v37, v10 offset:16385
	s_waitcnt lgkmcnt(2)
	v_cmp_lt_f64_e32 vcc, v[1:2], v[3:4]
	s_waitcnt lgkmcnt(1)
	v_and_b32_e32 v38, 1, v36
	s_waitcnt lgkmcnt(0)
	v_cmp_ne_u16_e64 s[0:1], v37, v34
	v_cndmask_b32_e64 v34, 0, 1, s[0:1]
	v_cmp_eq_u32_e64 s[0:1], 1, v38
	s_and_b64 vcc, vcc, s[0:1]
	v_cndmask_b32_e32 v34, v34, v35, vcc
	v_and_b32_e32 v34, 1, v34
	v_cmp_eq_u32_e32 vcc, 1, v34
	s_and_saveexec_b64 s[0:1], vcc
	s_cbranch_execz .LBB90_77
; %bb.76:
	ds_write_b64 v6, v[3:4]
	ds_write_b64 v8, v[1:2] offset:8
	ds_write_b8 v9, v37 offset:16384
	ds_write_b8 v10, v36 offset:16385
.LBB90_77:
	s_or_b64 exec, exec, s[0:1]
	v_sub_u32_sdwa v36, v5, v0 dst_sel:DWORD dst_unused:UNUSED_PAD src0_sel:DWORD src1_sel:BYTE_0
	v_add_u32_e32 v34, 8, v36
	v_lshl_add_u32 v35, v36, 3, 8
	v_mad_i32_i24 v3, v36, 7, v34
	s_waitcnt lgkmcnt(0)
	s_barrier
	ds_read_b64 v[1:2], v35
	ds_read_b64 v[3:4], v3 offset:2048
	ds_read_u8 v38, v34 offset:16384
	ds_read_u8 v39, v34 offset:16640
	v_and_b32_e32 v40, 0x100, v0
	v_cmp_ne_u32_e32 vcc, 0, v40
	v_bfe_u32 v40, v0, 8, 1
	s_waitcnt lgkmcnt(2)
	v_cmp_lt_f64_e64 s[0:1], v[1:2], v[3:4]
	s_waitcnt lgkmcnt(1)
	v_and_b32_e32 v41, 1, v38
	v_cmp_eq_u32_e64 s[2:3], 1, v41
	s_waitcnt lgkmcnt(0)
	v_cmp_ne_u16_e64 s[6:7], v39, v40
	v_cndmask_b32_e64 v41, 0, 1, s[6:7]
	v_mul_i32_i24_e32 v36, 7, v36
	v_and_b32_e32 v37, 0x100, v0
	v_add_u32_e32 v36, v34, v36
	s_and_b64 s[0:1], s[0:1], s[2:3]
	v_cndmask_b32_e64 v40, v41, v40, s[0:1]
	v_and_b32_e32 v40, 1, v40
	v_cmp_eq_u32_e64 s[0:1], 1, v40
	s_and_saveexec_b64 s[2:3], s[0:1]
	s_cbranch_execz .LBB90_79
; %bb.78:
	ds_write_b64 v35, v[3:4]
	ds_write_b64 v36, v[1:2] offset:2048
	ds_write_b8 v34, v39 offset:16384
	ds_write_b8 v34, v38 offset:16640
.LBB90_79:
	s_or_b64 exec, exec, s[2:3]
	s_waitcnt lgkmcnt(0)
	s_barrier
	ds_read_b64 v[1:2], v32
	ds_read_b64 v[3:4], v33 offset:1024
	ds_read_u8 v39, v31 offset:16384
	ds_read_u8 v40, v31 offset:16512
	v_lshrrev_b32_e32 v37, 8, v37
	s_waitcnt lgkmcnt(2)
	v_cmp_lt_f64_e64 s[0:1], v[1:2], v[3:4]
	s_waitcnt lgkmcnt(1)
	v_and_b32_e32 v38, 1, v39
	v_cmp_eq_u32_e64 s[2:3], 1, v38
	s_waitcnt lgkmcnt(0)
	v_cmp_ne_u16_e64 s[6:7], v40, v37
	v_cndmask_b32_e64 v41, 0, 1, s[6:7]
	v_cndmask_b32_e64 v38, 0, 1, vcc
	s_and_b64 vcc, s[0:1], s[2:3]
	v_cndmask_b32_e32 v41, v41, v38, vcc
	v_and_b32_e32 v41, 1, v41
	v_cmp_eq_u32_e32 vcc, 1, v41
	s_and_saveexec_b64 s[0:1], vcc
	s_cbranch_execz .LBB90_81
; %bb.80:
	ds_write_b64 v32, v[3:4]
	ds_write_b64 v33, v[1:2] offset:1024
	ds_write_b8 v31, v40 offset:16384
	ds_write_b8 v31, v39 offset:16512
.LBB90_81:
	s_or_b64 exec, exec, s[0:1]
	s_waitcnt lgkmcnt(0)
	s_barrier
	ds_read_b64 v[1:2], v29
	ds_read_b64 v[3:4], v30 offset:512
	ds_read_u8 v39, v28 offset:16384
	ds_read_u8 v40, v28 offset:16448
	s_waitcnt lgkmcnt(2)
	v_cmp_lt_f64_e32 vcc, v[1:2], v[3:4]
	s_waitcnt lgkmcnt(1)
	v_and_b32_e32 v41, 1, v39
	s_waitcnt lgkmcnt(0)
	v_cmp_ne_u16_e64 s[0:1], v40, v37
	v_cndmask_b32_e64 v42, 0, 1, s[0:1]
	v_cmp_eq_u32_e64 s[0:1], 1, v41
	s_and_b64 vcc, vcc, s[0:1]
	v_cndmask_b32_e32 v41, v42, v38, vcc
	v_and_b32_e32 v41, 1, v41
	v_cmp_eq_u32_e32 vcc, 1, v41
	s_and_saveexec_b64 s[0:1], vcc
	s_cbranch_execz .LBB90_83
; %bb.82:
	ds_write_b64 v29, v[3:4]
	ds_write_b64 v30, v[1:2] offset:512
	ds_write_b8 v28, v40 offset:16384
	ds_write_b8 v28, v39 offset:16448
.LBB90_83:
	s_or_b64 exec, exec, s[0:1]
	s_waitcnt lgkmcnt(0)
	s_barrier
	ds_read_b64 v[1:2], v26
	ds_read_b64 v[3:4], v27 offset:256
	ds_read_u8 v39, v25 offset:16384
	ds_read_u8 v40, v25 offset:16416
	s_waitcnt lgkmcnt(2)
	v_cmp_lt_f64_e32 vcc, v[1:2], v[3:4]
	s_waitcnt lgkmcnt(1)
	v_and_b32_e32 v41, 1, v39
	s_waitcnt lgkmcnt(0)
	v_cmp_ne_u16_e64 s[0:1], v40, v37
	v_cndmask_b32_e64 v42, 0, 1, s[0:1]
	v_cmp_eq_u32_e64 s[0:1], 1, v41
	s_and_b64 vcc, vcc, s[0:1]
	;; [unrolled: 27-line block ×6, first 2 shown]
	v_cndmask_b32_e32 v41, v42, v38, vcc
	v_and_b32_e32 v41, 1, v41
	v_cmp_eq_u32_e32 vcc, 1, v41
	s_and_saveexec_b64 s[0:1], vcc
	s_cbranch_execz .LBB90_93
; %bb.92:
	ds_write_b64 v12, v[3:4]
	ds_write_b64 v13, v[1:2] offset:16
	ds_write_b8 v11, v40 offset:16384
	ds_write_b8 v11, v39 offset:16386
.LBB90_93:
	s_or_b64 exec, exec, s[0:1]
	s_waitcnt lgkmcnt(0)
	s_barrier
	ds_read2_b64 v[1:4], v6 offset1:1
	ds_read_u8 v39, v9 offset:16384
	ds_read_u8 v40, v10 offset:16385
	s_waitcnt lgkmcnt(2)
	v_cmp_lt_f64_e32 vcc, v[1:2], v[3:4]
	s_waitcnt lgkmcnt(1)
	v_and_b32_e32 v41, 1, v39
	s_waitcnt lgkmcnt(0)
	v_cmp_ne_u16_e64 s[0:1], v40, v37
	v_cndmask_b32_e64 v37, 0, 1, s[0:1]
	v_cmp_eq_u32_e64 s[0:1], 1, v41
	s_and_b64 vcc, vcc, s[0:1]
	v_cndmask_b32_e32 v37, v37, v38, vcc
	v_and_b32_e32 v37, 1, v37
	v_cmp_eq_u32_e32 vcc, 1, v37
	s_and_saveexec_b64 s[0:1], vcc
	s_cbranch_execz .LBB90_95
; %bb.94:
	ds_write_b64 v6, v[3:4]
	ds_write_b64 v8, v[1:2] offset:8
	ds_write_b8 v9, v40 offset:16384
	ds_write_b8 v10, v39 offset:16385
.LBB90_95:
	s_or_b64 exec, exec, s[0:1]
	v_and_b32_e32 v1, 0x1ff, v0
	v_sub_u32_e32 v39, v5, v1
	v_add_u32_e32 v37, 8, v39
	v_lshl_add_u32 v38, v39, 3, 8
	v_mad_i32_i24 v3, v39, 7, v37
	s_waitcnt lgkmcnt(0)
	s_barrier
	ds_read_b64 v[1:2], v38
	ds_read_b64 v[3:4], v3 offset:4096
	ds_read_u8 v41, v37 offset:16384
	ds_read_u8 v42, v37 offset:16896
	s_movk_i32 s0, 0x1ff
	v_cmp_lt_u32_e64 s[0:1], s0, v0
	v_cndmask_b32_e64 v40, 0, 1, s[0:1]
	s_waitcnt lgkmcnt(2)
	v_cmp_lt_f64_e32 vcc, v[1:2], v[3:4]
	s_waitcnt lgkmcnt(1)
	v_and_b32_e32 v43, 1, v41
	v_cmp_eq_u32_e64 s[0:1], 1, v43
	s_waitcnt lgkmcnt(0)
	v_cmp_ne_u16_e64 s[2:3], v42, v40
	v_cndmask_b32_e64 v43, 0, 1, s[2:3]
	v_mul_i32_i24_e32 v39, 7, v39
	v_add_u32_e32 v39, v37, v39
	s_and_b64 vcc, vcc, s[0:1]
	v_cndmask_b32_e32 v43, v43, v40, vcc
	v_and_b32_e32 v43, 1, v43
	v_cmp_eq_u32_e32 vcc, 1, v43
	s_and_saveexec_b64 s[0:1], vcc
	s_cbranch_execz .LBB90_97
; %bb.96:
	ds_write_b64 v38, v[3:4]
	ds_write_b64 v39, v[1:2] offset:4096
	ds_write_b8 v37, v42 offset:16384
	ds_write_b8 v37, v41 offset:16896
.LBB90_97:
	s_or_b64 exec, exec, s[0:1]
	s_waitcnt lgkmcnt(0)
	s_barrier
	ds_read_b64 v[1:2], v35
	ds_read_b64 v[3:4], v36 offset:2048
	ds_read_u8 v41, v34 offset:16384
	ds_read_u8 v42, v34 offset:16640
	s_waitcnt lgkmcnt(2)
	v_cmp_lt_f64_e32 vcc, v[1:2], v[3:4]
	s_waitcnt lgkmcnt(1)
	v_and_b32_e32 v43, 1, v41
	s_waitcnt lgkmcnt(0)
	v_cmp_ne_u16_e64 s[0:1], v42, v40
	v_cndmask_b32_e64 v44, 0, 1, s[0:1]
	v_cmp_eq_u32_e64 s[0:1], 1, v43
	s_and_b64 vcc, vcc, s[0:1]
	v_cndmask_b32_e32 v43, v44, v40, vcc
	v_and_b32_e32 v43, 1, v43
	v_cmp_eq_u32_e32 vcc, 1, v43
	s_and_saveexec_b64 s[0:1], vcc
	s_cbranch_execz .LBB90_99
; %bb.98:
	ds_write_b64 v35, v[3:4]
	ds_write_b64 v36, v[1:2] offset:2048
	ds_write_b8 v34, v42 offset:16384
	ds_write_b8 v34, v41 offset:16640
.LBB90_99:
	s_or_b64 exec, exec, s[0:1]
	s_waitcnt lgkmcnt(0)
	s_barrier
	ds_read_b64 v[1:2], v32
	ds_read_b64 v[3:4], v33 offset:1024
	ds_read_u8 v41, v31 offset:16384
	ds_read_u8 v42, v31 offset:16512
	s_waitcnt lgkmcnt(2)
	v_cmp_lt_f64_e32 vcc, v[1:2], v[3:4]
	s_waitcnt lgkmcnt(1)
	v_and_b32_e32 v43, 1, v41
	s_waitcnt lgkmcnt(0)
	v_cmp_ne_u16_e64 s[0:1], v42, v40
	v_cndmask_b32_e64 v44, 0, 1, s[0:1]
	v_cmp_eq_u32_e64 s[0:1], 1, v43
	;; [unrolled: 27-line block ×8, first 2 shown]
	s_and_b64 vcc, vcc, s[0:1]
	v_cndmask_b32_e32 v43, v44, v40, vcc
	v_and_b32_e32 v43, 1, v43
	v_cmp_eq_u32_e32 vcc, 1, v43
	s_and_saveexec_b64 s[0:1], vcc
	s_cbranch_execz .LBB90_113
; %bb.112:
	ds_write_b64 v12, v[3:4]
	ds_write_b64 v13, v[1:2] offset:16
	ds_write_b8 v11, v42 offset:16384
	ds_write_b8 v11, v41 offset:16386
.LBB90_113:
	s_or_b64 exec, exec, s[0:1]
	s_waitcnt lgkmcnt(0)
	s_barrier
	ds_read2_b64 v[1:4], v6 offset1:1
	ds_read_u8 v41, v9 offset:16384
	ds_read_u8 v42, v10 offset:16385
	s_waitcnt lgkmcnt(2)
	v_cmp_lt_f64_e32 vcc, v[1:2], v[3:4]
	s_waitcnt lgkmcnt(1)
	v_and_b32_e32 v43, 1, v41
	s_waitcnt lgkmcnt(0)
	v_cmp_ne_u16_e64 s[0:1], v42, v40
	v_cndmask_b32_e64 v44, 0, 1, s[0:1]
	v_cmp_eq_u32_e64 s[0:1], 1, v43
	s_and_b64 vcc, vcc, s[0:1]
	v_cndmask_b32_e32 v40, v44, v40, vcc
	v_and_b32_e32 v40, 1, v40
	v_cmp_eq_u32_e32 vcc, 1, v40
	s_and_saveexec_b64 s[0:1], vcc
	s_cbranch_execz .LBB90_115
; %bb.114:
	ds_write_b64 v6, v[3:4]
	ds_write_b64 v8, v[1:2] offset:8
	ds_write_b8 v9, v42 offset:16384
	ds_write_b8 v10, v41 offset:16385
.LBB90_115:
	s_or_b64 exec, exec, s[0:1]
	s_waitcnt lgkmcnt(0)
	s_barrier
	ds_read2st64_b64 v[1:4], v17 offset1:16
	ds_read_u8 v41, v18 offset:16384
	ds_read_u8 v42, v18 offset:17408
	v_mov_b32_e32 v40, 0
	s_waitcnt lgkmcnt(2)
	v_cmp_nlt_f64_e32 vcc, v[1:2], v[3:4]
	s_waitcnt lgkmcnt(1)
	v_and_b32_e32 v43, 1, v41
	v_cmp_eq_u32_e64 s[0:1], 1, v43
	s_xor_b64 s[0:1], s[0:1], -1
	s_waitcnt lgkmcnt(0)
	v_cmp_ne_u16_sdwa s[2:3], v42, v40 src0_sel:BYTE_0 src1_sel:DWORD
	s_or_b64 s[0:1], vcc, s[0:1]
	s_and_b64 s[2:3], s[0:1], s[2:3]
	s_and_saveexec_b64 s[0:1], s[2:3]
	s_cbranch_execz .LBB90_117
; %bb.116:
	ds_write2st64_b64 v17, v[3:4], v[1:2] offset1:16
	v_mov_b32_e32 v1, 1
	ds_write_b8 v18, v1 offset:16384
	ds_write_b8 v18, v41 offset:17408
.LBB90_117:
	s_or_b64 exec, exec, s[0:1]
	s_waitcnt lgkmcnt(0)
	s_barrier
	ds_read_b64 v[1:2], v38
	ds_read_b64 v[3:4], v39 offset:4096
	ds_read_u8 v17, v37 offset:16384
	ds_read_u8 v18, v37 offset:16896
	s_waitcnt lgkmcnt(2)
	v_cmp_nlt_f64_e32 vcc, v[1:2], v[3:4]
	s_waitcnt lgkmcnt(1)
	v_and_b32_e32 v41, 1, v17
	v_cmp_eq_u32_e64 s[0:1], 1, v41
	s_xor_b64 s[0:1], s[0:1], -1
	s_waitcnt lgkmcnt(0)
	v_cmp_ne_u16_sdwa s[2:3], v18, v40 src0_sel:BYTE_0 src1_sel:DWORD
	s_or_b64 s[0:1], vcc, s[0:1]
	s_and_b64 s[2:3], s[0:1], s[2:3]
	s_and_saveexec_b64 s[0:1], s[2:3]
	s_cbranch_execz .LBB90_119
; %bb.118:
	ds_write_b64 v38, v[3:4]
	ds_write_b64 v39, v[1:2] offset:4096
	v_mov_b32_e32 v1, 1
	ds_write_b8 v37, v1 offset:16384
	ds_write_b8 v37, v17 offset:16896
.LBB90_119:
	s_or_b64 exec, exec, s[0:1]
	s_waitcnt lgkmcnt(0)
	s_barrier
	ds_read_b64 v[1:2], v35
	ds_read_b64 v[3:4], v36 offset:2048
	ds_read_u8 v18, v34 offset:16384
	ds_read_u8 v37, v34 offset:16640
	v_mov_b32_e32 v17, 0
	s_waitcnt lgkmcnt(2)
	v_cmp_nlt_f64_e32 vcc, v[1:2], v[3:4]
	s_waitcnt lgkmcnt(1)
	v_and_b32_e32 v38, 1, v18
	v_cmp_eq_u32_e64 s[0:1], 1, v38
	s_xor_b64 s[0:1], s[0:1], -1
	s_waitcnt lgkmcnt(0)
	v_cmp_ne_u16_sdwa s[2:3], v37, v17 src0_sel:BYTE_0 src1_sel:DWORD
	s_or_b64 s[0:1], vcc, s[0:1]
	s_and_b64 s[2:3], s[0:1], s[2:3]
	s_and_saveexec_b64 s[0:1], s[2:3]
	s_cbranch_execz .LBB90_121
; %bb.120:
	ds_write_b64 v35, v[3:4]
	ds_write_b64 v36, v[1:2] offset:2048
	v_mov_b32_e32 v1, 1
	ds_write_b8 v34, v1 offset:16384
	ds_write_b8 v34, v18 offset:16640
.LBB90_121:
	s_or_b64 exec, exec, s[0:1]
	s_waitcnt lgkmcnt(0)
	s_barrier
	ds_read_b64 v[1:2], v32
	ds_read_b64 v[3:4], v33 offset:1024
	ds_read_u8 v18, v31 offset:16384
	ds_read_u8 v34, v31 offset:16512
	s_waitcnt lgkmcnt(2)
	v_cmp_nlt_f64_e32 vcc, v[1:2], v[3:4]
	s_waitcnt lgkmcnt(1)
	v_and_b32_e32 v35, 1, v18
	v_cmp_eq_u32_e64 s[0:1], 1, v35
	s_xor_b64 s[0:1], s[0:1], -1
	s_waitcnt lgkmcnt(0)
	v_cmp_ne_u16_sdwa s[2:3], v34, v17 src0_sel:BYTE_0 src1_sel:DWORD
	s_or_b64 s[0:1], vcc, s[0:1]
	s_and_b64 s[2:3], s[0:1], s[2:3]
	s_and_saveexec_b64 s[0:1], s[2:3]
	s_cbranch_execz .LBB90_123
; %bb.122:
	ds_write_b64 v32, v[3:4]
	ds_write_b64 v33, v[1:2] offset:1024
	v_mov_b32_e32 v1, 1
	ds_write_b8 v31, v1 offset:16384
	ds_write_b8 v31, v18 offset:16512
.LBB90_123:
	s_or_b64 exec, exec, s[0:1]
	s_waitcnt lgkmcnt(0)
	s_barrier
	ds_read_b64 v[1:2], v29
	ds_read_b64 v[3:4], v30 offset:512
	ds_read_u8 v18, v28 offset:16384
	ds_read_u8 v31, v28 offset:16448
	v_mov_b32_e32 v17, 0
	s_waitcnt lgkmcnt(2)
	v_cmp_nlt_f64_e32 vcc, v[1:2], v[3:4]
	s_waitcnt lgkmcnt(1)
	v_and_b32_e32 v32, 1, v18
	v_cmp_eq_u32_e64 s[0:1], 1, v32
	s_xor_b64 s[0:1], s[0:1], -1
	s_waitcnt lgkmcnt(0)
	v_cmp_ne_u16_sdwa s[2:3], v31, v17 src0_sel:BYTE_0 src1_sel:DWORD
	s_or_b64 s[0:1], vcc, s[0:1]
	s_and_b64 s[2:3], s[0:1], s[2:3]
	s_and_saveexec_b64 s[0:1], s[2:3]
	s_cbranch_execz .LBB90_125
; %bb.124:
	ds_write_b64 v29, v[3:4]
	ds_write_b64 v30, v[1:2] offset:512
	v_mov_b32_e32 v1, 1
	ds_write_b8 v28, v1 offset:16384
	ds_write_b8 v28, v18 offset:16448
.LBB90_125:
	;; [unrolled: 53-line block ×4, first 2 shown]
	s_or_b64 exec, exec, s[0:1]
	s_waitcnt lgkmcnt(0)
	s_barrier
	ds_read_b64 v[1:2], v12
	ds_read_b64 v[3:4], v13 offset:16
	ds_read_u8 v14, v11 offset:16384
	ds_read_u8 v15, v11 offset:16386
	s_waitcnt lgkmcnt(2)
	v_cmp_nlt_f64_e32 vcc, v[1:2], v[3:4]
	s_waitcnt lgkmcnt(1)
	v_and_b32_e32 v16, 1, v14
	v_cmp_eq_u32_e64 s[0:1], 1, v16
	s_xor_b64 s[0:1], s[0:1], -1
	s_waitcnt lgkmcnt(0)
	v_cmp_ne_u16_sdwa s[2:3], v15, v17 src0_sel:BYTE_0 src1_sel:DWORD
	s_or_b64 s[0:1], vcc, s[0:1]
	s_and_b64 s[2:3], s[0:1], s[2:3]
	s_and_saveexec_b64 s[0:1], s[2:3]
	s_cbranch_execz .LBB90_135
; %bb.134:
	ds_write_b64 v12, v[3:4]
	ds_write_b64 v13, v[1:2] offset:16
	v_mov_b32_e32 v1, 1
	ds_write_b8 v11, v1 offset:16384
	ds_write_b8 v11, v14 offset:16386
.LBB90_135:
	s_or_b64 exec, exec, s[0:1]
	s_waitcnt lgkmcnt(0)
	s_barrier
	ds_read2_b64 v[1:4], v6 offset1:1
	ds_read_u8 v11, v9 offset:16384
	ds_read_u8 v12, v10 offset:16385
	v_mov_b32_e32 v13, 0
	s_waitcnt lgkmcnt(2)
	v_cmp_nlt_f64_e32 vcc, v[1:2], v[3:4]
	s_waitcnt lgkmcnt(1)
	v_and_b32_e32 v14, 1, v11
	v_cmp_eq_u32_e64 s[0:1], 1, v14
	s_xor_b64 s[0:1], s[0:1], -1
	s_waitcnt lgkmcnt(0)
	v_cmp_ne_u16_sdwa s[2:3], v12, v13 src0_sel:BYTE_0 src1_sel:DWORD
	s_or_b64 s[0:1], vcc, s[0:1]
	s_and_b64 s[2:3], s[0:1], s[2:3]
	s_and_saveexec_b64 s[0:1], s[2:3]
	s_cbranch_execz .LBB90_137
; %bb.136:
	ds_write_b64 v6, v[3:4]
	ds_write_b64 v8, v[1:2] offset:8
	v_mov_b32_e32 v1, 1
	ds_write_b8 v9, v1 offset:16384
	ds_write_b8 v10, v11 offset:16385
.LBB90_137:
	s_or_b64 exec, exec, s[0:1]
	v_cmp_eq_u32_e32 vcc, 0, v0
	s_waitcnt lgkmcnt(0)
	s_barrier
	s_barrier
	s_and_saveexec_b64 s[0:1], vcc
	s_cbranch_execz .LBB90_139
; %bb.138:
	v_mov_b32_e32 v1, 1
	v_mov_b32_e32 v2, 8
	ds_write_b8 v2, v1 offset:16388
	v_mov_b32_e32 v1, 0
	ds_write_b32 v2, v1 offset:16384
.LBB90_139:
	s_or_b64 exec, exec, s[0:1]
	ds_read2_b64 v[1:4], v6 offset1:1
	s_waitcnt lgkmcnt(0)
	v_cmp_neq_f64_e64 s[0:1], v[1:2], v[3:4]
	v_cndmask_b32_e64 v8, 0, 1, s[0:1]
	v_cmp_eq_f64_e64 s[0:1], v[1:2], v[3:4]
	v_cndmask_b32_e64 v1, 0, 1, s[0:1]
	s_movk_i32 s0, 0x3ff
	ds_write_b8 v6, v8 offset:16396
	ds_write_b32 v6, v1 offset:16392
	v_cmp_ne_u32_e64 s[2:3], s0, v0
	v_mov_b32_e32 v1, 0x800
	s_and_saveexec_b64 s[6:7], s[2:3]
	s_cbranch_execz .LBB90_141
; %bb.140:
	v_lshl_add_u32 v2, v5, 3, 8
	ds_read_b64 v[8:9], v2 offset:16
	v_add_u32_e32 v1, 2, v5
	s_waitcnt lgkmcnt(0)
	v_cmp_neq_f64_e64 s[0:1], v[3:4], v[8:9]
	v_cndmask_b32_e64 v10, 0, 1, s[0:1]
	v_cmp_eq_f64_e64 s[0:1], v[3:4], v[8:9]
	v_cndmask_b32_e64 v3, 0, 1, s[0:1]
	ds_write_b8 v2, v10 offset:16404
	ds_write_b32 v2, v3 offset:16400
.LBB90_141:
	s_or_b64 exec, exec, s[6:7]
	s_waitcnt lgkmcnt(0)
	s_barrier
	ds_read_u8 v4, v6 offset:16396
	v_add_u32_e32 v2, 0x4000, v6
	ds_read2_b32 v[2:3], v2 offset1:2
	ds_read_u8 v8, v6 offset:16388
	v_add_u32_e32 v9, 0x4008, v6
	s_waitcnt lgkmcnt(2)
	v_and_b32_e32 v10, 1, v4
	v_cmp_eq_u32_e64 s[0:1], 1, v10
	s_waitcnt lgkmcnt(1)
	v_cndmask_b32_e64 v2, v2, 0, s[0:1]
	v_add_u32_e32 v2, v2, v3
	s_waitcnt lgkmcnt(0)
	v_or_b32_e32 v3, v8, v4
	v_and_b32_e32 v3, 1, v3
	ds_write2_b32 v9, v2, v3 offset1:1
	v_lshlrev_b32_e32 v2, 1, v1
	s_movk_i32 s0, 0x200
	v_cmp_gt_u32_e64 s[0:1], s0, v0
	v_lshl_add_u32 v2, v2, 3, 8
	s_waitcnt lgkmcnt(0)
	s_barrier
	s_and_saveexec_b64 s[6:7], s[0:1]
	s_cbranch_execz .LBB90_143
; %bb.142:
	ds_read_u8 v8, v2 offset:16380
	v_add_u32_e32 v3, 0x3c00, v2
	ds_read2_b32 v[3:4], v3 offset0:250 offset1:254
	ds_read_u8 v9, v2 offset:16364
	v_add_u32_e32 v10, 0x3ff8, v2
	s_waitcnt lgkmcnt(2)
	v_and_b32_e32 v11, 1, v8
	v_cmp_eq_u32_e64 s[0:1], 1, v11
	s_waitcnt lgkmcnt(1)
	v_cndmask_b32_e64 v3, v3, 0, s[0:1]
	v_add_u32_e32 v3, v3, v4
	s_waitcnt lgkmcnt(0)
	v_or_b32_e32 v4, v9, v8
	v_and_b32_e32 v4, 1, v4
	ds_write2_b32 v10, v3, v4 offset1:1
.LBB90_143:
	s_or_b64 exec, exec, s[6:7]
	v_lshlrev_b32_e32 v3, 2, v1
	s_movk_i32 s0, 0x100
	v_cmp_gt_u32_e64 s[0:1], s0, v0
	v_lshl_add_u32 v3, v3, 3, 8
	s_waitcnt lgkmcnt(0)
	s_barrier
	s_and_saveexec_b64 s[6:7], s[0:1]
	s_cbranch_execz .LBB90_145
; %bb.144:
	ds_read_u8 v4, v3 offset:16380
	v_add_u32_e32 v8, 0x3c00, v3
	ds_read2_b32 v[8:9], v8 offset0:246 offset1:254
	ds_read_u8 v10, v3 offset:16348
	v_add_u32_e32 v11, 0x3ff8, v3
	s_waitcnt lgkmcnt(2)
	v_and_b32_e32 v12, 1, v4
	v_cmp_eq_u32_e64 s[0:1], 1, v12
	s_waitcnt lgkmcnt(1)
	v_cndmask_b32_e64 v8, v8, 0, s[0:1]
	s_waitcnt lgkmcnt(0)
	v_or_b32_e32 v4, v10, v4
	v_add_u32_e32 v8, v8, v9
	v_and_b32_e32 v4, 1, v4
	ds_write2_b32 v11, v8, v4 offset1:1
.LBB90_145:
	s_or_b64 exec, exec, s[6:7]
	v_lshlrev_b32_e32 v4, 3, v1
	s_movk_i32 s0, 0x80
	v_cmp_gt_u32_e64 s[0:1], s0, v0
	v_lshl_add_u32 v4, v4, 3, 8
	s_waitcnt lgkmcnt(0)
	s_barrier
	s_and_saveexec_b64 s[6:7], s[0:1]
	s_cbranch_execz .LBB90_147
; %bb.146:
	ds_read_u8 v10, v4 offset:16380
	ds_read_u8 v12, v4 offset:16316
	v_add_u32_e32 v8, 0x3c00, v4
	ds_read2_b32 v[8:9], v8 offset0:238 offset1:254
	v_add_u32_e32 v11, 0x3ff8, v4
	s_waitcnt lgkmcnt(2)
	v_and_b32_e32 v13, 1, v10
	v_cmp_eq_u32_e64 s[0:1], 1, v13
	s_waitcnt lgkmcnt(0)
	v_cndmask_b32_e64 v8, v8, 0, s[0:1]
	v_add_u32_e32 v8, v8, v9
	v_or_b32_e32 v9, v12, v10
	v_and_b32_e32 v9, 1, v9
	ds_write2_b32 v11, v8, v9 offset1:1
.LBB90_147:
	s_or_b64 exec, exec, s[6:7]
	v_lshlrev_b32_e32 v8, 4, v1
	v_cmp_gt_u32_e64 s[0:1], 64, v0
	v_lshl_add_u32 v8, v8, 3, 8
	s_waitcnt lgkmcnt(0)
	s_barrier
	s_and_saveexec_b64 s[8:9], s[0:1]
	s_cbranch_execz .LBB90_149
; %bb.148:
	ds_read_u8 v11, v8 offset:16380
	ds_read_u8 v13, v8 offset:16252
	v_add_u32_e32 v9, 0x3c00, v8
	ds_read2_b32 v[9:10], v9 offset0:222 offset1:254
	v_add_u32_e32 v12, 0x3ff8, v8
	s_waitcnt lgkmcnt(2)
	v_and_b32_e32 v14, 1, v11
	v_cmp_eq_u32_e64 s[6:7], 1, v14
	s_waitcnt lgkmcnt(0)
	v_cndmask_b32_e64 v9, v9, 0, s[6:7]
	v_add_u32_e32 v9, v9, v10
	v_or_b32_e32 v10, v13, v11
	v_and_b32_e32 v10, 1, v10
	ds_write2_b32 v12, v9, v10 offset1:1
.LBB90_149:
	s_or_b64 exec, exec, s[8:9]
	v_lshlrev_b32_e32 v9, 5, v1
	v_cmp_gt_u32_e64 s[6:7], 32, v0
	v_lshl_add_u32 v9, v9, 3, 8
	s_waitcnt lgkmcnt(0)
	s_barrier
	s_and_saveexec_b64 s[8:9], s[6:7]
	s_cbranch_execz .LBB90_151
; %bb.150:
	ds_read_u8 v12, v9 offset:16380
	ds_read_u8 v14, v9 offset:16124
	v_add_u32_e32 v10, 0xf8, v9
	ds_read2st64_b32 v[10:11], v10 offset0:62 offset1:63
	v_add_u32_e32 v13, 0x3ff8, v9
	s_waitcnt lgkmcnt(2)
	v_and_b32_e32 v15, 1, v12
	v_cmp_eq_u32_e64 s[6:7], 1, v15
	s_waitcnt lgkmcnt(0)
	v_cndmask_b32_e64 v10, v10, 0, s[6:7]
	v_add_u32_e32 v10, v10, v11
	v_or_b32_e32 v11, v14, v12
	v_and_b32_e32 v11, 1, v11
	ds_write2_b32 v13, v10, v11 offset1:1
.LBB90_151:
	s_or_b64 exec, exec, s[8:9]
	v_lshlrev_b32_e32 v10, 6, v1
	v_cmp_gt_u32_e64 s[6:7], 16, v0
	v_lshl_add_u32 v10, v10, 3, 8
	s_waitcnt lgkmcnt(0)
	s_barrier
	s_and_saveexec_b64 s[8:9], s[6:7]
	s_cbranch_execz .LBB90_153
; %bb.152:
	ds_read_u8 v13, v10 offset:16380
	ds_read_u8 v15, v10 offset:15868
	v_add_u32_e32 v11, 0xf8, v10
	ds_read2st64_b32 v[11:12], v11 offset0:61 offset1:63
	v_add_u32_e32 v14, 0x3ff8, v10
	s_waitcnt lgkmcnt(2)
	v_and_b32_e32 v16, 1, v13
	v_cmp_eq_u32_e64 s[6:7], 1, v16
	s_waitcnt lgkmcnt(0)
	v_cndmask_b32_e64 v11, v11, 0, s[6:7]
	v_add_u32_e32 v11, v11, v12
	v_or_b32_e32 v12, v15, v13
	v_and_b32_e32 v12, 1, v12
	ds_write2_b32 v14, v11, v12 offset1:1
.LBB90_153:
	;; [unrolled: 24-line block ×5, first 2 shown]
	s_or_b64 exec, exec, s[8:9]
	s_waitcnt lgkmcnt(0)
	s_barrier
	s_and_saveexec_b64 s[8:9], vcc
	s_cbranch_execz .LBB90_161
; %bb.160:
	v_mov_b32_e32 v14, 8
	ds_read_u8 v15, v14 offset:32764
	ds_read_b32 v16, v14 offset:24568
	ds_read_b32 v17, v14 offset:32760
	ds_read_u8 v14, v14 offset:24572
	s_add_i32 s10, 8, 0x7ff8
	s_waitcnt lgkmcnt(3)
	v_and_b32_e32 v18, 1, v15
	v_cmp_eq_u32_e64 s[6:7], 1, v18
	s_waitcnt lgkmcnt(2)
	v_cndmask_b32_e64 v16, v16, 0, s[6:7]
	s_waitcnt lgkmcnt(0)
	v_or_b32_e32 v14, v14, v15
	v_add_u32_e32 v16, v16, v17
	v_and_b32_e32 v14, 1, v14
	v_mov_b32_e32 v15, s10
	ds_write2_b32 v15, v16, v14 offset1:1
.LBB90_161:
	s_or_b64 exec, exec, s[8:9]
	s_waitcnt lgkmcnt(0)
	s_barrier
	s_and_saveexec_b64 s[8:9], vcc
	s_cbranch_execz .LBB90_163
; %bb.162:
	ds_read_u8 v16, v13 offset:20476
	v_add_u32_e32 v14, 0xf8, v13
	ds_read2st64_b32 v[14:15], v14 offset0:63 offset1:79
	v_add_u32_e32 v17, 0x4ff8, v13
	ds_read_u8 v13, v13 offset:16380
	s_waitcnt lgkmcnt(2)
	v_and_b32_e32 v18, 1, v16
	v_cmp_eq_u32_e64 s[6:7], 1, v18
	s_waitcnt lgkmcnt(1)
	v_cndmask_b32_e64 v14, v14, 0, s[6:7]
	v_add_u32_e32 v14, v14, v15
	s_waitcnt lgkmcnt(0)
	v_or_b32_e32 v13, v13, v16
	v_and_b32_e32 v13, 1, v13
	ds_write2_b32 v17, v14, v13 offset1:1
.LBB90_163:
	s_or_b64 exec, exec, s[8:9]
	v_cmp_gt_u32_e64 s[6:7], 3, v0
	s_waitcnt lgkmcnt(0)
	s_barrier
	s_and_saveexec_b64 s[8:9], s[6:7]
	s_cbranch_execz .LBB90_165
; %bb.164:
	ds_read_u8 v15, v12 offset:18428
	v_add_u32_e32 v13, 0xf8, v12
	ds_read2st64_b32 v[13:14], v13 offset0:63 offset1:71
	v_add_u32_e32 v16, 0x47f8, v12
	ds_read_u8 v12, v12 offset:16380
	s_waitcnt lgkmcnt(2)
	v_and_b32_e32 v17, 1, v15
	v_cmp_eq_u32_e64 s[6:7], 1, v17
	s_waitcnt lgkmcnt(1)
	v_cndmask_b32_e64 v13, v13, 0, s[6:7]
	v_add_u32_e32 v13, v13, v14
	s_waitcnt lgkmcnt(0)
	v_or_b32_e32 v12, v12, v15
	v_and_b32_e32 v12, 1, v12
	ds_write2_b32 v16, v13, v12 offset1:1
.LBB90_165:
	s_or_b64 exec, exec, s[8:9]
	v_cmp_gt_u32_e64 s[6:7], 7, v0
	s_waitcnt lgkmcnt(0)
	s_barrier
	s_and_saveexec_b64 s[8:9], s[6:7]
	;; [unrolled: 23-line block ×5, first 2 shown]
	s_cbranch_execz .LBB90_173
; %bb.172:
	ds_read_u8 v11, v8 offset:16508
	v_add_u32_e32 v9, 0x3e00, v8
	ds_read2_b32 v[9:10], v9 offset0:126 offset1:158
	v_add_u32_e32 v12, 0x4078, v8
	ds_read_u8 v8, v8 offset:16380
	s_waitcnt lgkmcnt(2)
	v_and_b32_e32 v13, 1, v11
	v_cmp_eq_u32_e64 s[6:7], 1, v13
	s_waitcnt lgkmcnt(1)
	v_cndmask_b32_e64 v9, v9, 0, s[6:7]
	v_add_u32_e32 v9, v9, v10
	s_waitcnt lgkmcnt(0)
	v_or_b32_e32 v8, v8, v11
	v_and_b32_e32 v8, 1, v8
	ds_write2_b32 v12, v9, v8 offset1:1
.LBB90_173:
	s_or_b64 exec, exec, s[8:9]
	s_movk_i32 s6, 0x7f
	v_cmp_gt_u32_e64 s[6:7], s6, v0
	s_waitcnt lgkmcnt(0)
	s_barrier
	s_and_saveexec_b64 s[8:9], s[6:7]
	s_cbranch_execz .LBB90_175
; %bb.174:
	ds_read_u8 v10, v4 offset:16444
	v_add_u32_e32 v8, 0x3e00, v4
	ds_read2_b32 v[8:9], v8 offset0:126 offset1:142
	v_add_u32_e32 v11, 0x4038, v4
	ds_read_u8 v4, v4 offset:16380
	s_waitcnt lgkmcnt(2)
	v_and_b32_e32 v12, 1, v10
	v_cmp_eq_u32_e64 s[6:7], 1, v12
	s_waitcnt lgkmcnt(1)
	v_cndmask_b32_e64 v8, v8, 0, s[6:7]
	v_add_u32_e32 v8, v8, v9
	s_waitcnt lgkmcnt(0)
	v_or_b32_e32 v4, v4, v10
	v_and_b32_e32 v4, 1, v4
	ds_write2_b32 v11, v8, v4 offset1:1
.LBB90_175:
	s_or_b64 exec, exec, s[8:9]
	s_movk_i32 s6, 0xff
	v_cmp_gt_u32_e64 s[6:7], s6, v0
	s_waitcnt lgkmcnt(0)
	s_barrier
	s_and_saveexec_b64 s[8:9], s[6:7]
	s_cbranch_execz .LBB90_177
; %bb.176:
	ds_read_u8 v4, v3 offset:16412
	v_add_u32_e32 v8, 0x3e00, v3
	ds_read2_b32 v[8:9], v8 offset0:126 offset1:134
	ds_read_u8 v10, v3 offset:16380
	v_add_u32_e32 v3, 0x4018, v3
	s_waitcnt lgkmcnt(2)
	v_and_b32_e32 v11, 1, v4
	v_cmp_eq_u32_e64 s[6:7], 1, v11
	s_waitcnt lgkmcnt(1)
	v_cndmask_b32_e64 v8, v8, 0, s[6:7]
	s_waitcnt lgkmcnt(0)
	v_or_b32_e32 v4, v10, v4
	v_add_u32_e32 v8, v8, v9
	v_and_b32_e32 v4, 1, v4
	ds_write2_b32 v3, v8, v4 offset1:1
.LBB90_177:
	s_or_b64 exec, exec, s[8:9]
	s_movk_i32 s6, 0x1ff
	v_cmp_gt_u32_e64 s[6:7], s6, v0
	s_waitcnt lgkmcnt(0)
	s_barrier
	s_and_saveexec_b64 s[8:9], s[6:7]
	s_cbranch_execz .LBB90_179
; %bb.178:
	ds_read_u8 v8, v2 offset:16396
	v_add_u32_e32 v3, 0x3e00, v2
	ds_read2_b32 v[3:4], v3 offset0:126 offset1:130
	ds_read_u8 v9, v2 offset:16380
	v_add_u32_e32 v2, 0x4008, v2
	s_waitcnt lgkmcnt(2)
	v_and_b32_e32 v10, 1, v8
	v_cmp_eq_u32_e64 s[6:7], 1, v10
	s_waitcnt lgkmcnt(1)
	v_cndmask_b32_e64 v3, v3, 0, s[6:7]
	v_add_u32_e32 v3, v3, v4
	s_waitcnt lgkmcnt(0)
	v_or_b32_e32 v4, v9, v8
	v_and_b32_e32 v4, 1, v4
	ds_write2_b32 v2, v3, v4 offset1:1
.LBB90_179:
	s_or_b64 exec, exec, s[8:9]
	s_waitcnt lgkmcnt(0)
	s_barrier
	s_and_saveexec_b64 s[6:7], s[2:3]
	s_cbranch_execz .LBB90_181
; %bb.180:
	v_lshl_add_u32 v1, v1, 3, 8
	ds_read_u8 v2, v1 offset:16388
	v_add_u32_e32 v3, 0x4000, v1
	ds_read_b32 v4, v6 offset:16392
	ds_read_b32 v1, v1 offset:16384
	ds_read_u8 v8, v6 offset:16396
	s_waitcnt lgkmcnt(3)
	v_and_b32_e32 v9, 1, v2
	v_cmp_eq_u32_e64 s[2:3], 1, v9
	s_waitcnt lgkmcnt(2)
	v_cndmask_b32_e64 v4, v4, 0, s[2:3]
	s_waitcnt lgkmcnt(0)
	v_or_b32_e32 v2, v8, v2
	v_add_u32_e32 v1, v4, v1
	v_and_b32_e32 v2, 1, v2
	ds_write2_b32 v3, v1, v2 offset1:1
.LBB90_181:
	s_or_b64 exec, exec, s[6:7]
	v_add_u32_e32 v1, 0x4000, v6
	s_waitcnt lgkmcnt(0)
	s_barrier
	ds_read2_b32 v[2:3], v1 offset1:2
	v_or_b32_e32 v1, 1, v5
	v_cmp_gt_u32_e64 s[6:7], s16, v1
	v_cmp_gt_u32_e64 s[2:3], s16, v5
	v_cndmask_b32_e64 v4, 0, v5, s[2:3]
	s_waitcnt lgkmcnt(0)
	v_cndmask_b32_e64 v6, 0, v3, s[6:7]
	v_mbcnt_lo_u32_b32 v3, -1, 0
	v_cndmask_b32_e64 v2, 0, v2, s[2:3]
	v_mbcnt_hi_u32_b32 v11, -1, v3
	v_mov_b32_e32 v3, 0x80
	v_cndmask_b32_e64 v8, 0, v1, s[6:7]
	v_max_u32_e32 v9, v6, v2
	v_lshl_or_b32 v3, v11, 2, v3
	v_cmp_gt_u32_e64 s[8:9], v6, v2
	ds_bpermute_b32 v10, v3, v9
	v_cndmask_b32_e64 v2, v4, v8, s[8:9]
	ds_bpermute_b32 v6, v3, v2
	v_and_b32_e32 v12, 63, v11
	v_cmp_gt_u32_e64 s[8:9], 48, v12
	v_cndmask_b32_e64 v4, 0, 16, s[8:9]
	s_waitcnt lgkmcnt(1)
	v_max_u32_e32 v13, v10, v9
	v_add_lshl_u32 v4, v4, v11, 2
	v_cmp_gt_u32_e64 s[8:9], v10, v9
	ds_bpermute_b32 v14, v4, v13
	s_waitcnt lgkmcnt(1)
	v_cndmask_b32_e64 v2, v2, v6, s[8:9]
	ds_bpermute_b32 v6, v4, v2
	v_cmp_gt_u32_e64 s[8:9], 56, v12
	v_cndmask_b32_e64 v8, 0, 8, s[8:9]
	s_waitcnt lgkmcnt(1)
	v_max_u32_e32 v10, v14, v13
	v_add_lshl_u32 v8, v8, v11, 2
	v_cmp_gt_u32_e64 s[8:9], v14, v13
	ds_bpermute_b32 v15, v8, v10
	s_waitcnt lgkmcnt(1)
	v_cndmask_b32_e64 v2, v2, v6, s[8:9]
	ds_bpermute_b32 v6, v8, v2
	;; [unrolled: 10-line block ×4, first 2 shown]
	s_waitcnt lgkmcnt(0)
	s_barrier
	v_cmp_gt_u32_e64 s[8:9], v16, v15
	v_max_u32_e32 v2, v16, v15
	v_cndmask_b32_e64 v6, v6, v13, s[8:9]
	v_cmp_ne_u32_e64 s[8:9], 63, v12
	v_addc_co_u32_e64 v11, s[8:9], 0, v11, s[8:9]
	v_lshlrev_b32_e32 v11, 2, v11
	ds_bpermute_b32 v12, v11, v6
	ds_bpermute_b32 v13, v11, v2
	v_cmp_eq_u32_e64 s[8:9], 0, v7
	s_waitcnt lgkmcnt(0)
	s_barrier
	s_and_saveexec_b64 s[12:13], s[8:9]
	s_cbranch_execz .LBB90_183
; %bb.182:
	v_lshrrev_b32_e32 v14, 3, v0
	v_add_u32_e32 v14, 8, v14
	v_cmp_gt_u32_e64 s[10:11], v13, v2
	v_add_u32_e32 v14, 0x4000, v14
	v_cndmask_b32_e64 v6, v6, v12, s[10:11]
	v_max_u32_e32 v2, v13, v2
	ds_write2_b32 v14, v2, v6 offset1:1
.LBB90_183:
	s_or_b64 exec, exec, s[12:13]
	s_lshr_b32 s10, s18, 6
	v_cmp_gt_u32_e64 s[10:11], s10, v0
	v_lshl_add_u32 v12, v7, 3, 8
	v_mov_b32_e32 v2, 0
	v_mov_b32_e32 v6, 0
	s_waitcnt lgkmcnt(0)
	s_barrier
	s_and_saveexec_b64 s[12:13], s[10:11]
	s_cbranch_execnz .LBB90_198
; %bb.184:
	s_or_b64 exec, exec, s[12:13]
	s_and_saveexec_b64 s[12:13], s[10:11]
	s_cbranch_execnz .LBB90_199
.LBB90_185:
	s_or_b64 exec, exec, s[12:13]
	s_and_saveexec_b64 s[18:19], s[0:1]
	s_cbranch_execnz .LBB90_200
.LBB90_186:
	s_or_b64 exec, exec, s[18:19]
	s_and_saveexec_b64 s[12:13], vcc
	s_cbranch_execz .LBB90_188
.LBB90_187:
	s_waitcnt lgkmcnt(0)
	v_lshl_add_u32 v2, v2, 3, 8
	ds_read_b64 v[13:14], v2
	v_mov_b32_e32 v2, 0
	s_waitcnt lgkmcnt(0)
	ds_write_b64 v2, v[13:14]
.LBB90_188:
	s_or_b64 exec, exec, s[12:13]
	s_waitcnt lgkmcnt(0)
	v_mov_b32_e32 v6, 0
	v_cmp_gt_i64_e64 s[12:13], s[16:17], v[5:6]
	v_mov_b32_e32 v13, 0
	s_barrier
	s_and_saveexec_b64 s[18:19], s[12:13]
	s_cbranch_execz .LBB90_190
; %bb.189:
	v_add_u32_e32 v13, s21, v5
	v_mov_b32_e32 v14, 0
	v_lshlrev_b64 v[15:16], 3, v[13:14]
	v_mov_b32_e32 v2, s15
	v_add_co_u32_e64 v15, s[12:13], s14, v15
	v_addc_co_u32_e64 v16, s[12:13], v2, v16, s[12:13]
	global_load_dwordx2 v[15:16], v[15:16], off
	ds_read_b64 v[13:14], v14
	s_waitcnt vmcnt(0) lgkmcnt(0)
	v_cmp_eq_f64_e64 s[12:13], v[15:16], v[13:14]
	v_cndmask_b32_e64 v13, 0, v5, s[12:13]
.LBB90_190:
	s_or_b64 exec, exec, s[18:19]
	v_mov_b32_e32 v2, v6
	v_cmp_gt_i64_e64 s[12:13], s[16:17], v[1:2]
	s_and_saveexec_b64 s[16:17], s[12:13]
	s_cbranch_execz .LBB90_192
; %bb.191:
	v_add_u32_e32 v5, s21, v1
	v_mov_b32_e32 v6, 0
	v_lshlrev_b64 v[14:15], 3, v[5:6]
	v_mov_b32_e32 v2, s15
	v_add_co_u32_e64 v14, s[12:13], s14, v14
	v_addc_co_u32_e64 v15, s[12:13], v2, v15, s[12:13]
	global_load_dwordx2 v[14:15], v[14:15], off
	ds_read_b64 v[5:6], v6
	s_waitcnt vmcnt(0) lgkmcnt(0)
	v_cmp_eq_f64_e64 s[12:13], v[14:15], v[5:6]
	v_cndmask_b32_e64 v6, 0, v1, s[12:13]
.LBB90_192:
	s_or_b64 exec, exec, s[16:17]
	v_cndmask_b32_e64 v1, 0, v13, s[2:3]
	v_max_u32_e32 v2, v6, v1
	v_cndmask_b32_e64 v1, v1, v2, s[6:7]
	ds_bpermute_b32 v2, v3, v1
	s_waitcnt lgkmcnt(0)
	s_barrier
	v_max_u32_e32 v1, v2, v1
	ds_bpermute_b32 v2, v4, v1
	s_waitcnt lgkmcnt(0)
	v_max_u32_e32 v1, v2, v1
	ds_bpermute_b32 v2, v8, v1
	s_waitcnt lgkmcnt(0)
	;; [unrolled: 3-line block ×4, first 2 shown]
	v_max_u32_e32 v1, v2, v1
	ds_bpermute_b32 v2, v11, v1
	s_and_saveexec_b64 s[2:3], s[8:9]
	s_cbranch_execz .LBB90_194
; %bb.193:
	v_lshrrev_b32_e32 v0, 4, v0
	v_add_u32_e32 v0, 8, v0
	s_waitcnt lgkmcnt(0)
	v_max_u32_e32 v1, v2, v1
	ds_write_b32 v0, v1
.LBB90_194:
	s_or_b64 exec, exec, s[2:3]
	v_mov_b32_e32 v0, 0
	s_waitcnt lgkmcnt(0)
	s_barrier
	s_and_saveexec_b64 s[2:3], s[10:11]
	s_cbranch_execnz .LBB90_201
; %bb.195:
	s_or_b64 exec, exec, s[2:3]
	s_and_saveexec_b64 s[2:3], s[0:1]
	s_cbranch_execnz .LBB90_202
.LBB90_196:
	s_or_b64 exec, exec, s[2:3]
	s_and_saveexec_b64 s[0:1], vcc
	s_cbranch_execnz .LBB90_203
.LBB90_197:
	s_endpgm
.LBB90_198:
	ds_read_b32 v6, v12 offset:16384
	s_or_b64 exec, exec, s[12:13]
	s_and_saveexec_b64 s[12:13], s[10:11]
	s_cbranch_execz .LBB90_185
.LBB90_199:
	ds_read_b32 v2, v12 offset:16388
	s_or_b64 exec, exec, s[12:13]
	s_and_saveexec_b64 s[18:19], s[0:1]
	s_cbranch_execz .LBB90_186
.LBB90_200:
	s_waitcnt lgkmcnt(0)
	ds_bpermute_b32 v13, v3, v6
	ds_bpermute_b32 v14, v3, v2
	s_waitcnt lgkmcnt(1)
	v_max_u32_e32 v15, v13, v6
	v_cmp_gt_u32_e64 s[12:13], v13, v6
	ds_bpermute_b32 v16, v4, v15
	s_waitcnt lgkmcnt(1)
	v_cndmask_b32_e64 v2, v2, v14, s[12:13]
	ds_bpermute_b32 v6, v4, v2
	s_waitcnt lgkmcnt(1)
	v_max_u32_e32 v13, v16, v15
	v_cmp_gt_u32_e64 s[12:13], v16, v15
	ds_bpermute_b32 v14, v8, v13
	s_waitcnt lgkmcnt(1)
	v_cndmask_b32_e64 v2, v2, v6, s[12:13]
	;; [unrolled: 7-line block ×4, first 2 shown]
	ds_bpermute_b32 v6, v10, v2
	s_waitcnt lgkmcnt(1)
	v_max_u32_e32 v15, v14, v13
	v_cmp_gt_u32_e64 s[12:13], v14, v13
	s_waitcnt lgkmcnt(0)
	v_cndmask_b32_e64 v2, v2, v6, s[12:13]
	ds_bpermute_b32 v6, v11, v15
	ds_bpermute_b32 v13, v11, v2
	s_waitcnt lgkmcnt(1)
	v_cmp_gt_u32_e64 s[12:13], v6, v15
	s_waitcnt lgkmcnt(0)
	v_cndmask_b32_e64 v2, v2, v13, s[12:13]
	s_or_b64 exec, exec, s[18:19]
	s_and_saveexec_b64 s[12:13], vcc
	s_cbranch_execnz .LBB90_187
	s_branch .LBB90_188
.LBB90_201:
	v_lshlrev_b32_e32 v0, 2, v7
	v_sub_u32_e32 v0, v12, v0
	ds_read_b32 v0, v0
	s_or_b64 exec, exec, s[2:3]
	s_and_saveexec_b64 s[2:3], s[0:1]
	s_cbranch_execz .LBB90_196
.LBB90_202:
	s_waitcnt lgkmcnt(0)
	ds_bpermute_b32 v1, v3, v0
	s_waitcnt lgkmcnt(0)
	v_max_u32_e32 v0, v1, v0
	ds_bpermute_b32 v1, v4, v0
	s_waitcnt lgkmcnt(0)
	v_max_u32_e32 v0, v1, v0
	;; [unrolled: 3-line block ×6, first 2 shown]
	s_or_b64 exec, exec, s[2:3]
	s_and_saveexec_b64 s[0:1], vcc
	s_cbranch_execz .LBB90_197
.LBB90_203:
	s_load_dword s6, s[4:5], 0xd8
	s_load_dwordx2 s[0:1], s[4:5], 0xe0
	s_add_u32 s2, s4, 8
	s_addc_u32 s3, s5, 0
	s_mov_b32 s5, 0
	s_waitcnt lgkmcnt(0)
	s_cmp_lt_i32 s6, 2
	s_cbranch_scc1 .LBB90_206
; %bb.204:
	s_add_i32 s4, s6, -1
	s_add_i32 s8, s6, 1
	s_lshl_b64 s[6:7], s[4:5], 2
	s_add_u32 s4, s2, s6
	s_addc_u32 s7, s3, s7
	s_add_u32 s6, s4, 8
	s_addc_u32 s7, s7, 0
.LBB90_205:                             ; =>This Inner Loop Header: Depth=1
	s_load_dword s4, s[6:7], 0x0
	s_load_dword s10, s[6:7], 0x64
	s_mov_b32 s9, s20
	s_waitcnt lgkmcnt(0)
	v_cvt_f32_u32_e32 v1, s4
	s_sub_i32 s11, 0, s4
	v_rcp_iflag_f32_e32 v1, v1
	v_mul_f32_e32 v1, 0x4f7ffffe, v1
	v_cvt_u32_f32_e32 v1, v1
	v_readfirstlane_b32 s12, v1
	s_mul_i32 s11, s11, s12
	s_mul_hi_u32 s11, s12, s11
	s_add_i32 s12, s12, s11
	s_mul_hi_u32 s11, s20, s12
	s_mul_i32 s12, s11, s4
	s_sub_i32 s12, s20, s12
	s_add_i32 s13, s11, 1
	s_sub_i32 s14, s12, s4
	s_cmp_ge_u32 s12, s4
	s_cselect_b32 s11, s13, s11
	s_cselect_b32 s12, s14, s12
	s_add_i32 s13, s11, 1
	s_cmp_ge_u32 s12, s4
	s_cselect_b32 s20, s13, s11
	s_mul_i32 s4, s20, s4
	s_sub_i32 s4, s9, s4
	s_mul_i32 s4, s10, s4
	s_add_i32 s8, s8, -1
	s_add_i32 s5, s4, s5
	s_add_u32 s6, s6, -4
	s_addc_u32 s7, s7, -1
	s_cmp_gt_u32 s8, 2
	s_cbranch_scc1 .LBB90_205
.LBB90_206:
	s_load_dword s4, s[2:3], 0x6c
	s_mov_b32 s7, 0
	s_load_dwordx2 s[2:3], s[2:3], 0x0
	v_mov_b32_e32 v1, 0
	ds_read_b64 v[2:3], v1
	s_waitcnt lgkmcnt(0)
	s_mul_i32 s4, s4, s20
	s_add_i32 s6, s4, s5
	s_lshl_b64 s[4:5], s[6:7], 3
	s_add_u32 s2, s2, s4
	s_addc_u32 s3, s3, s5
	s_add_u32 s0, s0, s4
	s_addc_u32 s1, s1, s5
	global_store_dwordx2 v1, v[2:3], s[2:3]
	global_store_dwordx2 v1, v[0:1], s[0:1]
	s_endpgm
	.section	.rodata,"a",@progbits
	.p2align	6, 0x0
	.amdhsa_kernel _ZN2at6native12compute_modeIdLj2048EEEvPKT_NS_4cuda6detail10TensorInfoIS2_jEENS7_IljEEll
		.amdhsa_group_segment_fixed_size 8
		.amdhsa_private_segment_fixed_size 0
		.amdhsa_kernarg_size 712
		.amdhsa_user_sgpr_count 6
		.amdhsa_user_sgpr_private_segment_buffer 1
		.amdhsa_user_sgpr_dispatch_ptr 0
		.amdhsa_user_sgpr_queue_ptr 0
		.amdhsa_user_sgpr_kernarg_segment_ptr 1
		.amdhsa_user_sgpr_dispatch_id 0
		.amdhsa_user_sgpr_flat_scratch_init 0
		.amdhsa_user_sgpr_private_segment_size 0
		.amdhsa_uses_dynamic_stack 0
		.amdhsa_system_sgpr_private_segment_wavefront_offset 0
		.amdhsa_system_sgpr_workgroup_id_x 1
		.amdhsa_system_sgpr_workgroup_id_y 1
		.amdhsa_system_sgpr_workgroup_id_z 1
		.amdhsa_system_sgpr_workgroup_info 0
		.amdhsa_system_vgpr_workitem_id 0
		.amdhsa_next_free_vgpr 45
		.amdhsa_next_free_sgpr 22
		.amdhsa_reserve_vcc 1
		.amdhsa_reserve_flat_scratch 0
		.amdhsa_float_round_mode_32 0
		.amdhsa_float_round_mode_16_64 0
		.amdhsa_float_denorm_mode_32 3
		.amdhsa_float_denorm_mode_16_64 3
		.amdhsa_dx10_clamp 1
		.amdhsa_ieee_mode 1
		.amdhsa_fp16_overflow 0
		.amdhsa_exception_fp_ieee_invalid_op 0
		.amdhsa_exception_fp_denorm_src 0
		.amdhsa_exception_fp_ieee_div_zero 0
		.amdhsa_exception_fp_ieee_overflow 0
		.amdhsa_exception_fp_ieee_underflow 0
		.amdhsa_exception_fp_ieee_inexact 0
		.amdhsa_exception_int_div_zero 0
	.end_amdhsa_kernel
	.section	.text._ZN2at6native12compute_modeIdLj2048EEEvPKT_NS_4cuda6detail10TensorInfoIS2_jEENS7_IljEEll,"axG",@progbits,_ZN2at6native12compute_modeIdLj2048EEEvPKT_NS_4cuda6detail10TensorInfoIS2_jEENS7_IljEEll,comdat
.Lfunc_end90:
	.size	_ZN2at6native12compute_modeIdLj2048EEEvPKT_NS_4cuda6detail10TensorInfoIS2_jEENS7_IljEEll, .Lfunc_end90-_ZN2at6native12compute_modeIdLj2048EEEvPKT_NS_4cuda6detail10TensorInfoIS2_jEENS7_IljEEll
                                        ; -- End function
	.set _ZN2at6native12compute_modeIdLj2048EEEvPKT_NS_4cuda6detail10TensorInfoIS2_jEENS7_IljEEll.num_vgpr, 45
	.set _ZN2at6native12compute_modeIdLj2048EEEvPKT_NS_4cuda6detail10TensorInfoIS2_jEENS7_IljEEll.num_agpr, 0
	.set _ZN2at6native12compute_modeIdLj2048EEEvPKT_NS_4cuda6detail10TensorInfoIS2_jEENS7_IljEEll.numbered_sgpr, 22
	.set _ZN2at6native12compute_modeIdLj2048EEEvPKT_NS_4cuda6detail10TensorInfoIS2_jEENS7_IljEEll.num_named_barrier, 0
	.set _ZN2at6native12compute_modeIdLj2048EEEvPKT_NS_4cuda6detail10TensorInfoIS2_jEENS7_IljEEll.private_seg_size, 0
	.set _ZN2at6native12compute_modeIdLj2048EEEvPKT_NS_4cuda6detail10TensorInfoIS2_jEENS7_IljEEll.uses_vcc, 1
	.set _ZN2at6native12compute_modeIdLj2048EEEvPKT_NS_4cuda6detail10TensorInfoIS2_jEENS7_IljEEll.uses_flat_scratch, 0
	.set _ZN2at6native12compute_modeIdLj2048EEEvPKT_NS_4cuda6detail10TensorInfoIS2_jEENS7_IljEEll.has_dyn_sized_stack, 0
	.set _ZN2at6native12compute_modeIdLj2048EEEvPKT_NS_4cuda6detail10TensorInfoIS2_jEENS7_IljEEll.has_recursion, 0
	.set _ZN2at6native12compute_modeIdLj2048EEEvPKT_NS_4cuda6detail10TensorInfoIS2_jEENS7_IljEEll.has_indirect_call, 0
	.section	.AMDGPU.csdata,"",@progbits
; Kernel info:
; codeLenInByte = 15052
; TotalNumSgprs: 26
; NumVgprs: 45
; ScratchSize: 0
; MemoryBound: 0
; FloatMode: 240
; IeeeMode: 1
; LDSByteSize: 8 bytes/workgroup (compile time only)
; SGPRBlocks: 3
; VGPRBlocks: 11
; NumSGPRsForWavesPerEU: 26
; NumVGPRsForWavesPerEU: 45
; Occupancy: 5
; WaveLimiterHint : 1
; COMPUTE_PGM_RSRC2:SCRATCH_EN: 0
; COMPUTE_PGM_RSRC2:USER_SGPR: 6
; COMPUTE_PGM_RSRC2:TRAP_HANDLER: 0
; COMPUTE_PGM_RSRC2:TGID_X_EN: 1
; COMPUTE_PGM_RSRC2:TGID_Y_EN: 1
; COMPUTE_PGM_RSRC2:TGID_Z_EN: 1
; COMPUTE_PGM_RSRC2:TIDIG_COMP_CNT: 0
	.section	.text._ZN2at6native12compute_modeIdLj1024EEEvPKT_NS_4cuda6detail10TensorInfoIS2_jEENS7_IljEEll,"axG",@progbits,_ZN2at6native12compute_modeIdLj1024EEEvPKT_NS_4cuda6detail10TensorInfoIS2_jEENS7_IljEEll,comdat
	.protected	_ZN2at6native12compute_modeIdLj1024EEEvPKT_NS_4cuda6detail10TensorInfoIS2_jEENS7_IljEEll ; -- Begin function _ZN2at6native12compute_modeIdLj1024EEEvPKT_NS_4cuda6detail10TensorInfoIS2_jEENS7_IljEEll
	.globl	_ZN2at6native12compute_modeIdLj1024EEEvPKT_NS_4cuda6detail10TensorInfoIS2_jEENS7_IljEEll
	.p2align	8
	.type	_ZN2at6native12compute_modeIdLj1024EEEvPKT_NS_4cuda6detail10TensorInfoIS2_jEENS7_IljEEll,@function
_ZN2at6native12compute_modeIdLj1024EEEvPKT_NS_4cuda6detail10TensorInfoIS2_jEENS7_IljEEll: ; @_ZN2at6native12compute_modeIdLj1024EEEvPKT_NS_4cuda6detail10TensorInfoIS2_jEENS7_IljEEll
; %bb.0:
	s_load_dwordx2 s[2:3], s[4:5], 0x1c8
	s_load_dwordx4 s[16:19], s[4:5], 0x1b8
	s_add_u32 s0, s4, 0x1c8
	s_addc_u32 s1, s5, 0
	v_mov_b32_e32 v2, 0
	s_waitcnt lgkmcnt(0)
	s_mul_i32 s3, s3, s8
	s_add_i32 s3, s3, s7
	s_mul_i32 s2, s3, s2
	s_add_i32 s20, s2, s6
	v_mov_b32_e32 v1, s20
	v_cmp_le_i64_e32 vcc, s[18:19], v[1:2]
	s_cbranch_vccnz .LBB91_173
; %bb.1:
	s_load_dwordx2 s[14:15], s[4:5], 0x0
	s_load_dword s6, s[0:1], 0xc
	v_mov_b32_e32 v1, v2
	v_cmp_gt_i64_e32 vcc, s[16:17], v[0:1]
	s_mul_i32 s21, s20, s16
	s_and_saveexec_b64 s[2:3], vcc
	s_cbranch_execz .LBB91_3
; %bb.2:
	v_add_u32_e32 v1, s21, v0
	v_lshlrev_b64 v[3:4], 3, v[1:2]
	s_waitcnt lgkmcnt(0)
	v_mov_b32_e32 v1, s15
	v_add_co_u32_e64 v3, s[0:1], s14, v3
	v_addc_co_u32_e64 v4, s[0:1], v1, v4, s[0:1]
	global_load_dwordx2 v[3:4], v[3:4], off
	v_lshl_add_u32 v1, v0, 3, 8
	s_waitcnt vmcnt(0)
	ds_write_b64 v1, v[3:4]
.LBB91_3:
	s_or_b64 exec, exec, s[2:3]
	s_waitcnt lgkmcnt(0)
	s_and_b32 s18, 0xffff, s6
	v_add_u32_e32 v1, s18, v0
	v_cmp_gt_i64_e64 s[0:1], s[16:17], v[1:2]
	s_and_saveexec_b64 s[6:7], s[0:1]
	s_cbranch_execz .LBB91_5
; %bb.4:
	v_add_u32_e32 v2, s21, v1
	v_mov_b32_e32 v3, 0
	v_lshlrev_b64 v[2:3], 3, v[2:3]
	v_mov_b32_e32 v4, s15
	v_add_co_u32_e64 v2, s[2:3], s14, v2
	v_addc_co_u32_e64 v3, s[2:3], v4, v3, s[2:3]
	global_load_dwordx2 v[2:3], v[2:3], off
	v_lshl_add_u32 v1, v1, 3, 8
	s_waitcnt vmcnt(0)
	ds_write_b64 v1, v[2:3]
.LBB91_5:
	s_or_b64 exec, exec, s[6:7]
	v_add_u32_e32 v1, 8, v0
	v_cndmask_b32_e64 v2, 0, 1, vcc
	ds_write_b8 v1, v2 offset:8192
	v_add_u32_e32 v2, s18, v1
	v_cndmask_b32_e64 v3, 0, 1, s[0:1]
	v_mad_u32_u24 v6, v0, 15, v1
	ds_write_b8 v2, v3 offset:8192
	s_waitcnt lgkmcnt(0)
	s_barrier
	s_barrier
	ds_read2_b64 v[1:4], v6 offset1:1
	v_mad_i32_i24 v5, v0, -14, v6
	v_mad_u32_u24 v8, v0, 14, v5
	v_mad_i32_i24 v7, v0, -14, v8
	ds_read_u8 v5, v5 offset:8192
	ds_read_u8 v11, v7 offset:8193
	s_waitcnt lgkmcnt(2)
	v_cmp_lt_f64_e32 vcc, v[1:2], v[3:4]
	v_and_b32_e32 v7, 1, v0
	v_mul_i32_i24_e32 v10, -14, v0
	s_waitcnt lgkmcnt(1)
	v_and_b32_e32 v9, 1, v5
	v_cmp_eq_u32_e64 s[0:1], 1, v9
	s_waitcnt lgkmcnt(0)
	v_cmp_ne_u16_e64 s[2:3], v11, v7
	v_cndmask_b32_e64 v9, 0, 1, s[2:3]
	s_and_b64 vcc, vcc, s[0:1]
	v_cndmask_b32_e32 v9, v9, v0, vcc
	v_and_b32_e32 v9, 1, v9
	v_cmp_eq_u32_e32 vcc, 1, v9
	v_add_u32_e32 v9, v6, v10
	v_add_u32_e32 v10, v8, v10
	s_and_saveexec_b64 s[0:1], vcc
	s_cbranch_execz .LBB91_7
; %bb.6:
	ds_write_b64 v6, v[3:4]
	ds_write_b64 v8, v[1:2] offset:8
	ds_write_b8 v9, v11 offset:8192
	ds_write_b8 v10, v5 offset:8193
.LBB91_7:
	s_or_b64 exec, exec, s[0:1]
	v_lshlrev_b32_e32 v5, 1, v0
	v_sub_u32_e32 v13, v5, v7
	v_add_u32_e32 v11, 8, v13
	v_lshl_add_u32 v12, v13, 3, 8
	v_mad_i32_i24 v3, v13, 7, v11
	s_waitcnt lgkmcnt(0)
	s_barrier
	ds_read_b64 v[1:2], v12
	ds_read_b64 v[3:4], v3 offset:16
	ds_read_u8 v14, v11 offset:8192
	ds_read_u8 v15, v11 offset:8194
	v_bfe_u32 v16, v0, 1, 1
	v_and_b32_e32 v7, 2, v0
	v_mul_i32_i24_e32 v13, 7, v13
	s_waitcnt lgkmcnt(2)
	v_cmp_lt_f64_e64 s[0:1], v[1:2], v[3:4]
	s_waitcnt lgkmcnt(1)
	v_and_b32_e32 v17, 1, v14
	v_cmp_eq_u32_e64 s[2:3], 1, v17
	s_waitcnt lgkmcnt(0)
	v_cmp_ne_u16_e64 s[6:7], v15, v16
	v_cndmask_b32_e64 v17, 0, 1, s[6:7]
	v_cmp_ne_u32_e32 vcc, 0, v7
	v_add_u32_e32 v13, v11, v13
	s_and_b64 s[0:1], s[0:1], s[2:3]
	v_cndmask_b32_e64 v16, v17, v16, s[0:1]
	v_and_b32_e32 v16, 1, v16
	v_cmp_eq_u32_e64 s[0:1], 1, v16
	s_and_saveexec_b64 s[2:3], s[0:1]
	s_xor_b64 s[0:1], exec, s[2:3]
	s_cbranch_execz .LBB91_9
; %bb.8:
	ds_write_b64 v12, v[3:4]
	ds_write_b64 v13, v[1:2] offset:16
	ds_write_b8 v11, v15 offset:8192
	ds_write_b8 v11, v14 offset:8194
.LBB91_9:
	s_or_b64 exec, exec, s[0:1]
	s_waitcnt lgkmcnt(0)
	s_barrier
	ds_read2_b64 v[1:4], v6 offset1:1
	ds_read_u8 v14, v9 offset:8192
	ds_read_u8 v15, v10 offset:8193
	v_lshrrev_b32_e32 v7, 1, v7
	v_cndmask_b32_e64 v16, 0, 1, vcc
	s_waitcnt lgkmcnt(2)
	v_cmp_lt_f64_e64 s[0:1], v[1:2], v[3:4]
	s_waitcnt lgkmcnt(1)
	v_and_b32_e32 v17, 1, v14
	s_waitcnt lgkmcnt(0)
	v_cmp_ne_u16_e32 vcc, v15, v7
	v_cndmask_b32_e64 v7, 0, 1, vcc
	v_cmp_eq_u32_e32 vcc, 1, v17
	s_and_b64 vcc, s[0:1], vcc
	v_cndmask_b32_e32 v7, v7, v16, vcc
	v_and_b32_e32 v7, 1, v7
	v_cmp_eq_u32_e32 vcc, 1, v7
	s_and_saveexec_b64 s[0:1], vcc
	s_cbranch_execz .LBB91_11
; %bb.10:
	ds_write_b64 v6, v[3:4]
	ds_write_b64 v8, v[1:2] offset:8
	ds_write_b8 v9, v15 offset:8192
	ds_write_b8 v10, v14 offset:8193
.LBB91_11:
	s_or_b64 exec, exec, s[0:1]
	v_and_b32_e32 v1, 3, v0
	v_sub_u32_e32 v16, v5, v1
	v_add_u32_e32 v14, 8, v16
	v_lshl_add_u32 v15, v16, 3, 8
	v_mad_i32_i24 v3, v16, 7, v14
	s_waitcnt lgkmcnt(0)
	s_barrier
	ds_read_b64 v[1:2], v15
	ds_read_b64 v[3:4], v3 offset:32
	ds_read_u8 v17, v14 offset:8192
	ds_read_u8 v18, v14 offset:8196
	v_bfe_u32 v19, v0, 2, 1
	v_and_b32_e32 v7, 4, v0
	v_mul_i32_i24_e32 v16, 7, v16
	s_waitcnt lgkmcnt(2)
	v_cmp_lt_f64_e64 s[0:1], v[1:2], v[3:4]
	s_waitcnt lgkmcnt(1)
	v_and_b32_e32 v20, 1, v17
	v_cmp_eq_u32_e64 s[2:3], 1, v20
	s_waitcnt lgkmcnt(0)
	v_cmp_ne_u16_e64 s[6:7], v18, v19
	v_cndmask_b32_e64 v20, 0, 1, s[6:7]
	v_cmp_ne_u32_e32 vcc, 0, v7
	v_add_u32_e32 v16, v14, v16
	s_and_b64 s[0:1], s[0:1], s[2:3]
	v_cndmask_b32_e64 v19, v20, v19, s[0:1]
	v_and_b32_e32 v19, 1, v19
	v_cmp_eq_u32_e64 s[0:1], 1, v19
	s_and_saveexec_b64 s[2:3], s[0:1]
	s_cbranch_execz .LBB91_13
; %bb.12:
	ds_write_b64 v15, v[3:4]
	ds_write_b64 v16, v[1:2] offset:32
	ds_write_b8 v14, v18 offset:8192
	ds_write_b8 v14, v17 offset:8196
.LBB91_13:
	s_or_b64 exec, exec, s[2:3]
	s_waitcnt lgkmcnt(0)
	s_barrier
	ds_read_b64 v[1:2], v12
	ds_read_b64 v[3:4], v13 offset:16
	ds_read_u8 v18, v11 offset:8192
	ds_read_u8 v19, v11 offset:8194
	v_lshrrev_b32_e32 v7, 2, v7
	s_waitcnt lgkmcnt(2)
	v_cmp_lt_f64_e64 s[0:1], v[1:2], v[3:4]
	s_waitcnt lgkmcnt(1)
	v_and_b32_e32 v17, 1, v18
	v_cmp_eq_u32_e64 s[2:3], 1, v17
	s_waitcnt lgkmcnt(0)
	v_cmp_ne_u16_e64 s[6:7], v19, v7
	v_cndmask_b32_e64 v20, 0, 1, s[6:7]
	v_cndmask_b32_e64 v17, 0, 1, vcc
	s_and_b64 vcc, s[0:1], s[2:3]
	v_cndmask_b32_e32 v20, v20, v17, vcc
	v_and_b32_e32 v20, 1, v20
	v_cmp_eq_u32_e32 vcc, 1, v20
	s_and_saveexec_b64 s[0:1], vcc
	s_cbranch_execz .LBB91_15
; %bb.14:
	ds_write_b64 v12, v[3:4]
	ds_write_b64 v13, v[1:2] offset:16
	ds_write_b8 v11, v19 offset:8192
	ds_write_b8 v11, v18 offset:8194
.LBB91_15:
	s_or_b64 exec, exec, s[0:1]
	s_waitcnt lgkmcnt(0)
	s_barrier
	ds_read2_b64 v[1:4], v6 offset1:1
	ds_read_u8 v18, v9 offset:8192
	ds_read_u8 v19, v10 offset:8193
	s_waitcnt lgkmcnt(2)
	v_cmp_lt_f64_e32 vcc, v[1:2], v[3:4]
	s_waitcnt lgkmcnt(1)
	v_and_b32_e32 v20, 1, v18
	s_waitcnt lgkmcnt(0)
	v_cmp_ne_u16_e64 s[0:1], v19, v7
	v_cndmask_b32_e64 v7, 0, 1, s[0:1]
	v_cmp_eq_u32_e64 s[0:1], 1, v20
	s_and_b64 vcc, vcc, s[0:1]
	v_cndmask_b32_e32 v7, v7, v17, vcc
	v_and_b32_e32 v7, 1, v7
	v_cmp_eq_u32_e32 vcc, 1, v7
	s_and_saveexec_b64 s[0:1], vcc
	s_cbranch_execz .LBB91_17
; %bb.16:
	ds_write_b64 v6, v[3:4]
	ds_write_b64 v8, v[1:2] offset:8
	ds_write_b8 v9, v19 offset:8192
	ds_write_b8 v10, v18 offset:8193
.LBB91_17:
	s_or_b64 exec, exec, s[0:1]
	v_and_b32_e32 v1, 7, v0
	v_sub_u32_e32 v19, v5, v1
	v_add_u32_e32 v17, 8, v19
	v_lshl_add_u32 v18, v19, 3, 8
	v_mad_i32_i24 v3, v19, 7, v17
	s_waitcnt lgkmcnt(0)
	s_barrier
	ds_read_b64 v[1:2], v18
	ds_read_b64 v[3:4], v3 offset:64
	ds_read_u8 v20, v17 offset:8192
	ds_read_u8 v21, v17 offset:8200
	v_bfe_u32 v22, v0, 3, 1
	v_and_b32_e32 v7, 8, v0
	v_mul_i32_i24_e32 v19, 7, v19
	s_waitcnt lgkmcnt(2)
	v_cmp_lt_f64_e64 s[0:1], v[1:2], v[3:4]
	s_waitcnt lgkmcnt(1)
	v_and_b32_e32 v23, 1, v20
	v_cmp_eq_u32_e64 s[2:3], 1, v23
	s_waitcnt lgkmcnt(0)
	v_cmp_ne_u16_e64 s[6:7], v21, v22
	v_cndmask_b32_e64 v23, 0, 1, s[6:7]
	v_cmp_ne_u32_e32 vcc, 0, v7
	v_add_u32_e32 v19, v17, v19
	s_and_b64 s[0:1], s[0:1], s[2:3]
	v_cndmask_b32_e64 v22, v23, v22, s[0:1]
	v_and_b32_e32 v22, 1, v22
	v_cmp_eq_u32_e64 s[0:1], 1, v22
	s_and_saveexec_b64 s[2:3], s[0:1]
	s_cbranch_execz .LBB91_19
; %bb.18:
	ds_write_b64 v18, v[3:4]
	ds_write_b64 v19, v[1:2] offset:64
	ds_write_b8 v17, v21 offset:8192
	ds_write_b8 v17, v20 offset:8200
.LBB91_19:
	s_or_b64 exec, exec, s[2:3]
	s_waitcnt lgkmcnt(0)
	s_barrier
	ds_read_b64 v[1:2], v15
	ds_read_b64 v[3:4], v16 offset:32
	ds_read_u8 v21, v14 offset:8192
	ds_read_u8 v22, v14 offset:8196
	v_lshrrev_b32_e32 v7, 3, v7
	s_waitcnt lgkmcnt(2)
	v_cmp_lt_f64_e64 s[0:1], v[1:2], v[3:4]
	s_waitcnt lgkmcnt(1)
	v_and_b32_e32 v20, 1, v21
	v_cmp_eq_u32_e64 s[2:3], 1, v20
	s_waitcnt lgkmcnt(0)
	v_cmp_ne_u16_e64 s[6:7], v22, v7
	v_cndmask_b32_e64 v23, 0, 1, s[6:7]
	v_cndmask_b32_e64 v20, 0, 1, vcc
	s_and_b64 vcc, s[0:1], s[2:3]
	v_cndmask_b32_e32 v23, v23, v20, vcc
	v_and_b32_e32 v23, 1, v23
	v_cmp_eq_u32_e32 vcc, 1, v23
	s_and_saveexec_b64 s[0:1], vcc
	s_cbranch_execz .LBB91_21
; %bb.20:
	ds_write_b64 v15, v[3:4]
	ds_write_b64 v16, v[1:2] offset:32
	ds_write_b8 v14, v22 offset:8192
	ds_write_b8 v14, v21 offset:8196
.LBB91_21:
	s_or_b64 exec, exec, s[0:1]
	s_waitcnt lgkmcnt(0)
	s_barrier
	ds_read_b64 v[1:2], v12
	ds_read_b64 v[3:4], v13 offset:16
	ds_read_u8 v21, v11 offset:8192
	ds_read_u8 v22, v11 offset:8194
	s_waitcnt lgkmcnt(2)
	v_cmp_lt_f64_e32 vcc, v[1:2], v[3:4]
	s_waitcnt lgkmcnt(1)
	v_and_b32_e32 v23, 1, v21
	s_waitcnt lgkmcnt(0)
	v_cmp_ne_u16_e64 s[0:1], v22, v7
	v_cndmask_b32_e64 v24, 0, 1, s[0:1]
	v_cmp_eq_u32_e64 s[0:1], 1, v23
	s_and_b64 vcc, vcc, s[0:1]
	v_cndmask_b32_e32 v23, v24, v20, vcc
	v_and_b32_e32 v23, 1, v23
	v_cmp_eq_u32_e32 vcc, 1, v23
	s_and_saveexec_b64 s[0:1], vcc
	s_cbranch_execz .LBB91_23
; %bb.22:
	ds_write_b64 v12, v[3:4]
	ds_write_b64 v13, v[1:2] offset:16
	ds_write_b8 v11, v22 offset:8192
	ds_write_b8 v11, v21 offset:8194
.LBB91_23:
	s_or_b64 exec, exec, s[0:1]
	s_waitcnt lgkmcnt(0)
	s_barrier
	ds_read2_b64 v[1:4], v6 offset1:1
	ds_read_u8 v21, v9 offset:8192
	ds_read_u8 v22, v10 offset:8193
	s_waitcnt lgkmcnt(2)
	v_cmp_lt_f64_e32 vcc, v[1:2], v[3:4]
	s_waitcnt lgkmcnt(1)
	v_and_b32_e32 v23, 1, v21
	s_waitcnt lgkmcnt(0)
	v_cmp_ne_u16_e64 s[0:1], v22, v7
	v_cndmask_b32_e64 v7, 0, 1, s[0:1]
	v_cmp_eq_u32_e64 s[0:1], 1, v23
	s_and_b64 vcc, vcc, s[0:1]
	v_cndmask_b32_e32 v7, v7, v20, vcc
	v_and_b32_e32 v7, 1, v7
	v_cmp_eq_u32_e32 vcc, 1, v7
	s_and_saveexec_b64 s[0:1], vcc
	s_cbranch_execz .LBB91_25
; %bb.24:
	ds_write_b64 v6, v[3:4]
	ds_write_b64 v8, v[1:2] offset:8
	ds_write_b8 v9, v22 offset:8192
	ds_write_b8 v10, v21 offset:8193
.LBB91_25:
	s_or_b64 exec, exec, s[0:1]
	v_and_b32_e32 v1, 15, v0
	v_sub_u32_e32 v22, v5, v1
	v_add_u32_e32 v20, 8, v22
	v_lshl_add_u32 v21, v22, 3, 8
	v_mad_i32_i24 v3, v22, 7, v20
	s_waitcnt lgkmcnt(0)
	s_barrier
	ds_read_b64 v[1:2], v21
	ds_read_b64 v[3:4], v3 offset:128
	ds_read_u8 v23, v20 offset:8192
	ds_read_u8 v24, v20 offset:8208
	v_bfe_u32 v25, v0, 4, 1
	v_and_b32_e32 v7, 16, v0
	v_mul_i32_i24_e32 v22, 7, v22
	s_waitcnt lgkmcnt(2)
	v_cmp_lt_f64_e64 s[0:1], v[1:2], v[3:4]
	s_waitcnt lgkmcnt(1)
	v_and_b32_e32 v26, 1, v23
	v_cmp_eq_u32_e64 s[2:3], 1, v26
	s_waitcnt lgkmcnt(0)
	v_cmp_ne_u16_e64 s[6:7], v24, v25
	v_cndmask_b32_e64 v26, 0, 1, s[6:7]
	v_cmp_ne_u32_e32 vcc, 0, v7
	v_add_u32_e32 v22, v20, v22
	s_and_b64 s[0:1], s[0:1], s[2:3]
	v_cndmask_b32_e64 v25, v26, v25, s[0:1]
	v_and_b32_e32 v25, 1, v25
	v_cmp_eq_u32_e64 s[0:1], 1, v25
	s_and_saveexec_b64 s[2:3], s[0:1]
	s_cbranch_execz .LBB91_27
; %bb.26:
	ds_write_b64 v21, v[3:4]
	ds_write_b64 v22, v[1:2] offset:128
	ds_write_b8 v20, v24 offset:8192
	ds_write_b8 v20, v23 offset:8208
.LBB91_27:
	s_or_b64 exec, exec, s[2:3]
	s_waitcnt lgkmcnt(0)
	s_barrier
	ds_read_b64 v[1:2], v18
	ds_read_b64 v[3:4], v19 offset:64
	ds_read_u8 v24, v17 offset:8192
	ds_read_u8 v25, v17 offset:8200
	v_lshrrev_b32_e32 v7, 4, v7
	s_waitcnt lgkmcnt(2)
	v_cmp_lt_f64_e64 s[0:1], v[1:2], v[3:4]
	s_waitcnt lgkmcnt(1)
	v_and_b32_e32 v23, 1, v24
	v_cmp_eq_u32_e64 s[2:3], 1, v23
	s_waitcnt lgkmcnt(0)
	v_cmp_ne_u16_e64 s[6:7], v25, v7
	v_cndmask_b32_e64 v26, 0, 1, s[6:7]
	v_cndmask_b32_e64 v23, 0, 1, vcc
	s_and_b64 vcc, s[0:1], s[2:3]
	v_cndmask_b32_e32 v26, v26, v23, vcc
	v_and_b32_e32 v26, 1, v26
	v_cmp_eq_u32_e32 vcc, 1, v26
	s_and_saveexec_b64 s[0:1], vcc
	s_cbranch_execz .LBB91_29
; %bb.28:
	ds_write_b64 v18, v[3:4]
	ds_write_b64 v19, v[1:2] offset:64
	ds_write_b8 v17, v25 offset:8192
	ds_write_b8 v17, v24 offset:8200
.LBB91_29:
	s_or_b64 exec, exec, s[0:1]
	s_waitcnt lgkmcnt(0)
	s_barrier
	ds_read_b64 v[1:2], v15
	ds_read_b64 v[3:4], v16 offset:32
	ds_read_u8 v24, v14 offset:8192
	ds_read_u8 v25, v14 offset:8196
	s_waitcnt lgkmcnt(2)
	v_cmp_lt_f64_e32 vcc, v[1:2], v[3:4]
	s_waitcnt lgkmcnt(1)
	v_and_b32_e32 v26, 1, v24
	s_waitcnt lgkmcnt(0)
	v_cmp_ne_u16_e64 s[0:1], v25, v7
	v_cndmask_b32_e64 v27, 0, 1, s[0:1]
	v_cmp_eq_u32_e64 s[0:1], 1, v26
	s_and_b64 vcc, vcc, s[0:1]
	v_cndmask_b32_e32 v26, v27, v23, vcc
	v_and_b32_e32 v26, 1, v26
	v_cmp_eq_u32_e32 vcc, 1, v26
	s_and_saveexec_b64 s[0:1], vcc
	s_cbranch_execz .LBB91_31
; %bb.30:
	ds_write_b64 v15, v[3:4]
	ds_write_b64 v16, v[1:2] offset:32
	ds_write_b8 v14, v25 offset:8192
	ds_write_b8 v14, v24 offset:8196
.LBB91_31:
	s_or_b64 exec, exec, s[0:1]
	s_waitcnt lgkmcnt(0)
	s_barrier
	ds_read_b64 v[1:2], v12
	ds_read_b64 v[3:4], v13 offset:16
	ds_read_u8 v24, v11 offset:8192
	ds_read_u8 v25, v11 offset:8194
	s_waitcnt lgkmcnt(2)
	v_cmp_lt_f64_e32 vcc, v[1:2], v[3:4]
	s_waitcnt lgkmcnt(1)
	v_and_b32_e32 v26, 1, v24
	s_waitcnt lgkmcnt(0)
	v_cmp_ne_u16_e64 s[0:1], v25, v7
	v_cndmask_b32_e64 v27, 0, 1, s[0:1]
	v_cmp_eq_u32_e64 s[0:1], 1, v26
	s_and_b64 vcc, vcc, s[0:1]
	v_cndmask_b32_e32 v26, v27, v23, vcc
	v_and_b32_e32 v26, 1, v26
	v_cmp_eq_u32_e32 vcc, 1, v26
	s_and_saveexec_b64 s[0:1], vcc
	s_cbranch_execz .LBB91_33
; %bb.32:
	ds_write_b64 v12, v[3:4]
	ds_write_b64 v13, v[1:2] offset:16
	ds_write_b8 v11, v25 offset:8192
	ds_write_b8 v11, v24 offset:8194
.LBB91_33:
	s_or_b64 exec, exec, s[0:1]
	s_waitcnt lgkmcnt(0)
	s_barrier
	ds_read2_b64 v[1:4], v6 offset1:1
	ds_read_u8 v24, v9 offset:8192
	ds_read_u8 v25, v10 offset:8193
	s_waitcnt lgkmcnt(2)
	v_cmp_lt_f64_e32 vcc, v[1:2], v[3:4]
	s_waitcnt lgkmcnt(1)
	v_and_b32_e32 v26, 1, v24
	s_waitcnt lgkmcnt(0)
	v_cmp_ne_u16_e64 s[0:1], v25, v7
	v_cndmask_b32_e64 v7, 0, 1, s[0:1]
	v_cmp_eq_u32_e64 s[0:1], 1, v26
	s_and_b64 vcc, vcc, s[0:1]
	v_cndmask_b32_e32 v7, v7, v23, vcc
	v_and_b32_e32 v7, 1, v7
	v_cmp_eq_u32_e32 vcc, 1, v7
	s_and_saveexec_b64 s[0:1], vcc
	s_cbranch_execz .LBB91_35
; %bb.34:
	ds_write_b64 v6, v[3:4]
	ds_write_b64 v8, v[1:2] offset:8
	ds_write_b8 v9, v25 offset:8192
	ds_write_b8 v10, v24 offset:8193
.LBB91_35:
	s_or_b64 exec, exec, s[0:1]
	v_and_b32_e32 v1, 31, v0
	v_sub_u32_e32 v25, v5, v1
	v_add_u32_e32 v23, 8, v25
	v_lshl_add_u32 v24, v25, 3, 8
	v_mad_i32_i24 v3, v25, 7, v23
	s_waitcnt lgkmcnt(0)
	s_barrier
	ds_read_b64 v[1:2], v24
	ds_read_b64 v[3:4], v3 offset:256
	ds_read_u8 v26, v23 offset:8192
	ds_read_u8 v27, v23 offset:8224
	v_bfe_u32 v28, v0, 5, 1
	v_and_b32_e32 v7, 32, v0
	v_mul_i32_i24_e32 v25, 7, v25
	s_waitcnt lgkmcnt(2)
	v_cmp_lt_f64_e64 s[0:1], v[1:2], v[3:4]
	s_waitcnt lgkmcnt(1)
	v_and_b32_e32 v29, 1, v26
	v_cmp_eq_u32_e64 s[2:3], 1, v29
	s_waitcnt lgkmcnt(0)
	v_cmp_ne_u16_e64 s[6:7], v27, v28
	v_cndmask_b32_e64 v29, 0, 1, s[6:7]
	v_cmp_ne_u32_e32 vcc, 0, v7
	v_add_u32_e32 v25, v23, v25
	s_and_b64 s[0:1], s[0:1], s[2:3]
	v_cndmask_b32_e64 v28, v29, v28, s[0:1]
	v_and_b32_e32 v28, 1, v28
	v_cmp_eq_u32_e64 s[0:1], 1, v28
	s_and_saveexec_b64 s[2:3], s[0:1]
	s_cbranch_execz .LBB91_37
; %bb.36:
	ds_write_b64 v24, v[3:4]
	ds_write_b64 v25, v[1:2] offset:256
	ds_write_b8 v23, v27 offset:8192
	ds_write_b8 v23, v26 offset:8224
.LBB91_37:
	s_or_b64 exec, exec, s[2:3]
	s_waitcnt lgkmcnt(0)
	s_barrier
	ds_read_b64 v[1:2], v21
	ds_read_b64 v[3:4], v22 offset:128
	ds_read_u8 v27, v20 offset:8192
	ds_read_u8 v28, v20 offset:8208
	v_lshrrev_b32_e32 v7, 5, v7
	s_waitcnt lgkmcnt(2)
	v_cmp_lt_f64_e64 s[0:1], v[1:2], v[3:4]
	s_waitcnt lgkmcnt(1)
	v_and_b32_e32 v26, 1, v27
	v_cmp_eq_u32_e64 s[2:3], 1, v26
	s_waitcnt lgkmcnt(0)
	v_cmp_ne_u16_e64 s[6:7], v28, v7
	v_cndmask_b32_e64 v29, 0, 1, s[6:7]
	v_cndmask_b32_e64 v26, 0, 1, vcc
	s_and_b64 vcc, s[0:1], s[2:3]
	v_cndmask_b32_e32 v29, v29, v26, vcc
	v_and_b32_e32 v29, 1, v29
	v_cmp_eq_u32_e32 vcc, 1, v29
	s_and_saveexec_b64 s[0:1], vcc
	s_cbranch_execz .LBB91_39
; %bb.38:
	ds_write_b64 v21, v[3:4]
	ds_write_b64 v22, v[1:2] offset:128
	ds_write_b8 v20, v28 offset:8192
	ds_write_b8 v20, v27 offset:8208
.LBB91_39:
	s_or_b64 exec, exec, s[0:1]
	s_waitcnt lgkmcnt(0)
	s_barrier
	ds_read_b64 v[1:2], v18
	ds_read_b64 v[3:4], v19 offset:64
	ds_read_u8 v27, v17 offset:8192
	ds_read_u8 v28, v17 offset:8200
	s_waitcnt lgkmcnt(2)
	v_cmp_lt_f64_e32 vcc, v[1:2], v[3:4]
	s_waitcnt lgkmcnt(1)
	v_and_b32_e32 v29, 1, v27
	s_waitcnt lgkmcnt(0)
	v_cmp_ne_u16_e64 s[0:1], v28, v7
	v_cndmask_b32_e64 v30, 0, 1, s[0:1]
	v_cmp_eq_u32_e64 s[0:1], 1, v29
	s_and_b64 vcc, vcc, s[0:1]
	v_cndmask_b32_e32 v29, v30, v26, vcc
	v_and_b32_e32 v29, 1, v29
	v_cmp_eq_u32_e32 vcc, 1, v29
	s_and_saveexec_b64 s[0:1], vcc
	s_cbranch_execz .LBB91_41
; %bb.40:
	ds_write_b64 v18, v[3:4]
	ds_write_b64 v19, v[1:2] offset:64
	ds_write_b8 v17, v28 offset:8192
	ds_write_b8 v17, v27 offset:8200
.LBB91_41:
	s_or_b64 exec, exec, s[0:1]
	s_waitcnt lgkmcnt(0)
	s_barrier
	ds_read_b64 v[1:2], v15
	ds_read_b64 v[3:4], v16 offset:32
	ds_read_u8 v27, v14 offset:8192
	ds_read_u8 v28, v14 offset:8196
	s_waitcnt lgkmcnt(2)
	v_cmp_lt_f64_e32 vcc, v[1:2], v[3:4]
	s_waitcnt lgkmcnt(1)
	v_and_b32_e32 v29, 1, v27
	s_waitcnt lgkmcnt(0)
	v_cmp_ne_u16_e64 s[0:1], v28, v7
	v_cndmask_b32_e64 v30, 0, 1, s[0:1]
	v_cmp_eq_u32_e64 s[0:1], 1, v29
	s_and_b64 vcc, vcc, s[0:1]
	;; [unrolled: 27-line block ×3, first 2 shown]
	v_cndmask_b32_e32 v29, v30, v26, vcc
	v_and_b32_e32 v29, 1, v29
	v_cmp_eq_u32_e32 vcc, 1, v29
	s_and_saveexec_b64 s[0:1], vcc
	s_cbranch_execz .LBB91_45
; %bb.44:
	ds_write_b64 v12, v[3:4]
	ds_write_b64 v13, v[1:2] offset:16
	ds_write_b8 v11, v28 offset:8192
	ds_write_b8 v11, v27 offset:8194
.LBB91_45:
	s_or_b64 exec, exec, s[0:1]
	s_waitcnt lgkmcnt(0)
	s_barrier
	ds_read2_b64 v[1:4], v6 offset1:1
	ds_read_u8 v27, v9 offset:8192
	ds_read_u8 v28, v10 offset:8193
	s_waitcnt lgkmcnt(2)
	v_cmp_lt_f64_e32 vcc, v[1:2], v[3:4]
	s_waitcnt lgkmcnt(1)
	v_and_b32_e32 v29, 1, v27
	s_waitcnt lgkmcnt(0)
	v_cmp_ne_u16_e64 s[0:1], v28, v7
	v_cndmask_b32_e64 v7, 0, 1, s[0:1]
	v_cmp_eq_u32_e64 s[0:1], 1, v29
	s_and_b64 vcc, vcc, s[0:1]
	v_cndmask_b32_e32 v7, v7, v26, vcc
	v_and_b32_e32 v7, 1, v7
	v_cmp_eq_u32_e32 vcc, 1, v7
	s_and_saveexec_b64 s[0:1], vcc
	s_cbranch_execz .LBB91_47
; %bb.46:
	ds_write_b64 v6, v[3:4]
	ds_write_b64 v8, v[1:2] offset:8
	ds_write_b8 v9, v28 offset:8192
	ds_write_b8 v10, v27 offset:8193
.LBB91_47:
	s_or_b64 exec, exec, s[0:1]
	v_and_b32_e32 v7, 63, v0
	v_sub_u32_e32 v28, v5, v7
	v_add_u32_e32 v26, 8, v28
	v_lshl_add_u32 v27, v28, 3, 8
	v_mad_i32_i24 v3, v28, 7, v26
	s_waitcnt lgkmcnt(0)
	s_barrier
	ds_read_b64 v[1:2], v27
	ds_read_b64 v[3:4], v3 offset:512
	ds_read_u8 v30, v26 offset:8192
	ds_read_u8 v31, v26 offset:8256
	v_bfe_u32 v32, v0, 6, 1
	v_and_b32_e32 v29, 64, v0
	v_mul_i32_i24_e32 v28, 7, v28
	s_waitcnt lgkmcnt(2)
	v_cmp_lt_f64_e64 s[0:1], v[1:2], v[3:4]
	s_waitcnt lgkmcnt(1)
	v_and_b32_e32 v33, 1, v30
	v_cmp_eq_u32_e64 s[2:3], 1, v33
	s_waitcnt lgkmcnt(0)
	v_cmp_ne_u16_e64 s[6:7], v31, v32
	v_cndmask_b32_e64 v33, 0, 1, s[6:7]
	v_cmp_ne_u32_e32 vcc, 0, v29
	v_add_u32_e32 v28, v26, v28
	s_and_b64 s[0:1], s[0:1], s[2:3]
	v_cndmask_b32_e64 v32, v33, v32, s[0:1]
	v_and_b32_e32 v32, 1, v32
	v_cmp_eq_u32_e64 s[0:1], 1, v32
	s_and_saveexec_b64 s[2:3], s[0:1]
	s_cbranch_execz .LBB91_49
; %bb.48:
	ds_write_b64 v27, v[3:4]
	ds_write_b64 v28, v[1:2] offset:512
	ds_write_b8 v26, v31 offset:8192
	ds_write_b8 v26, v30 offset:8256
.LBB91_49:
	s_or_b64 exec, exec, s[2:3]
	s_waitcnt lgkmcnt(0)
	s_barrier
	ds_read_b64 v[1:2], v24
	ds_read_b64 v[3:4], v25 offset:256
	ds_read_u8 v31, v23 offset:8192
	ds_read_u8 v32, v23 offset:8224
	v_lshrrev_b32_e32 v29, 6, v29
	s_waitcnt lgkmcnt(2)
	v_cmp_lt_f64_e64 s[0:1], v[1:2], v[3:4]
	s_waitcnt lgkmcnt(1)
	v_and_b32_e32 v30, 1, v31
	v_cmp_eq_u32_e64 s[2:3], 1, v30
	s_waitcnt lgkmcnt(0)
	v_cmp_ne_u16_e64 s[6:7], v32, v29
	v_cndmask_b32_e64 v33, 0, 1, s[6:7]
	v_cndmask_b32_e64 v30, 0, 1, vcc
	s_and_b64 vcc, s[0:1], s[2:3]
	v_cndmask_b32_e32 v33, v33, v30, vcc
	v_and_b32_e32 v33, 1, v33
	v_cmp_eq_u32_e32 vcc, 1, v33
	s_and_saveexec_b64 s[0:1], vcc
	s_cbranch_execz .LBB91_51
; %bb.50:
	ds_write_b64 v24, v[3:4]
	ds_write_b64 v25, v[1:2] offset:256
	ds_write_b8 v23, v32 offset:8192
	ds_write_b8 v23, v31 offset:8224
.LBB91_51:
	s_or_b64 exec, exec, s[0:1]
	s_waitcnt lgkmcnt(0)
	s_barrier
	ds_read_b64 v[1:2], v21
	ds_read_b64 v[3:4], v22 offset:128
	ds_read_u8 v31, v20 offset:8192
	ds_read_u8 v32, v20 offset:8208
	s_waitcnt lgkmcnt(2)
	v_cmp_lt_f64_e32 vcc, v[1:2], v[3:4]
	s_waitcnt lgkmcnt(1)
	v_and_b32_e32 v33, 1, v31
	s_waitcnt lgkmcnt(0)
	v_cmp_ne_u16_e64 s[0:1], v32, v29
	v_cndmask_b32_e64 v34, 0, 1, s[0:1]
	v_cmp_eq_u32_e64 s[0:1], 1, v33
	s_and_b64 vcc, vcc, s[0:1]
	v_cndmask_b32_e32 v33, v34, v30, vcc
	v_and_b32_e32 v33, 1, v33
	v_cmp_eq_u32_e32 vcc, 1, v33
	s_and_saveexec_b64 s[0:1], vcc
	s_cbranch_execz .LBB91_53
; %bb.52:
	ds_write_b64 v21, v[3:4]
	ds_write_b64 v22, v[1:2] offset:128
	ds_write_b8 v20, v32 offset:8192
	ds_write_b8 v20, v31 offset:8208
.LBB91_53:
	s_or_b64 exec, exec, s[0:1]
	s_waitcnt lgkmcnt(0)
	s_barrier
	ds_read_b64 v[1:2], v18
	ds_read_b64 v[3:4], v19 offset:64
	ds_read_u8 v31, v17 offset:8192
	ds_read_u8 v32, v17 offset:8200
	s_waitcnt lgkmcnt(2)
	v_cmp_lt_f64_e32 vcc, v[1:2], v[3:4]
	s_waitcnt lgkmcnt(1)
	v_and_b32_e32 v33, 1, v31
	s_waitcnt lgkmcnt(0)
	v_cmp_ne_u16_e64 s[0:1], v32, v29
	v_cndmask_b32_e64 v34, 0, 1, s[0:1]
	v_cmp_eq_u32_e64 s[0:1], 1, v33
	s_and_b64 vcc, vcc, s[0:1]
	v_cndmask_b32_e32 v33, v34, v30, vcc
	v_and_b32_e32 v33, 1, v33
	v_cmp_eq_u32_e32 vcc, 1, v33
	s_and_saveexec_b64 s[0:1], vcc
	s_cbranch_execz .LBB91_55
; %bb.54:
	ds_write_b64 v18, v[3:4]
	ds_write_b64 v19, v[1:2] offset:64
	ds_write_b8 v17, v32 offset:8192
	ds_write_b8 v17, v31 offset:8200
.LBB91_55:
	s_or_b64 exec, exec, s[0:1]
	s_waitcnt lgkmcnt(0)
	s_barrier
	ds_read_b64 v[1:2], v15
	ds_read_b64 v[3:4], v16 offset:32
	ds_read_u8 v31, v14 offset:8192
	ds_read_u8 v32, v14 offset:8196
	s_waitcnt lgkmcnt(2)
	v_cmp_lt_f64_e32 vcc, v[1:2], v[3:4]
	s_waitcnt lgkmcnt(1)
	v_and_b32_e32 v33, 1, v31
	s_waitcnt lgkmcnt(0)
	v_cmp_ne_u16_e64 s[0:1], v32, v29
	v_cndmask_b32_e64 v34, 0, 1, s[0:1]
	v_cmp_eq_u32_e64 s[0:1], 1, v33
	s_and_b64 vcc, vcc, s[0:1]
	v_cndmask_b32_e32 v33, v34, v30, vcc
	v_and_b32_e32 v33, 1, v33
	v_cmp_eq_u32_e32 vcc, 1, v33
	s_and_saveexec_b64 s[0:1], vcc
	s_cbranch_execz .LBB91_57
; %bb.56:
	ds_write_b64 v15, v[3:4]
	ds_write_b64 v16, v[1:2] offset:32
	ds_write_b8 v14, v32 offset:8192
	ds_write_b8 v14, v31 offset:8196
.LBB91_57:
	s_or_b64 exec, exec, s[0:1]
	s_waitcnt lgkmcnt(0)
	s_barrier
	ds_read_b64 v[1:2], v12
	ds_read_b64 v[3:4], v13 offset:16
	ds_read_u8 v31, v11 offset:8192
	ds_read_u8 v32, v11 offset:8194
	s_waitcnt lgkmcnt(2)
	v_cmp_lt_f64_e32 vcc, v[1:2], v[3:4]
	s_waitcnt lgkmcnt(1)
	v_and_b32_e32 v33, 1, v31
	s_waitcnt lgkmcnt(0)
	v_cmp_ne_u16_e64 s[0:1], v32, v29
	v_cndmask_b32_e64 v34, 0, 1, s[0:1]
	v_cmp_eq_u32_e64 s[0:1], 1, v33
	s_and_b64 vcc, vcc, s[0:1]
	v_cndmask_b32_e32 v33, v34, v30, vcc
	v_and_b32_e32 v33, 1, v33
	v_cmp_eq_u32_e32 vcc, 1, v33
	s_and_saveexec_b64 s[0:1], vcc
	s_cbranch_execz .LBB91_59
; %bb.58:
	ds_write_b64 v12, v[3:4]
	ds_write_b64 v13, v[1:2] offset:16
	ds_write_b8 v11, v32 offset:8192
	ds_write_b8 v11, v31 offset:8194
.LBB91_59:
	s_or_b64 exec, exec, s[0:1]
	s_waitcnt lgkmcnt(0)
	s_barrier
	ds_read2_b64 v[1:4], v6 offset1:1
	ds_read_u8 v31, v9 offset:8192
	ds_read_u8 v32, v10 offset:8193
	s_waitcnt lgkmcnt(2)
	v_cmp_lt_f64_e32 vcc, v[1:2], v[3:4]
	s_waitcnt lgkmcnt(1)
	v_and_b32_e32 v33, 1, v31
	s_waitcnt lgkmcnt(0)
	v_cmp_ne_u16_e64 s[0:1], v32, v29
	v_cndmask_b32_e64 v29, 0, 1, s[0:1]
	v_cmp_eq_u32_e64 s[0:1], 1, v33
	s_and_b64 vcc, vcc, s[0:1]
	v_cndmask_b32_e32 v29, v29, v30, vcc
	v_and_b32_e32 v29, 1, v29
	v_cmp_eq_u32_e32 vcc, 1, v29
	s_and_saveexec_b64 s[0:1], vcc
	s_cbranch_execz .LBB91_61
; %bb.60:
	ds_write_b64 v6, v[3:4]
	ds_write_b64 v8, v[1:2] offset:8
	ds_write_b8 v9, v32 offset:8192
	ds_write_b8 v10, v31 offset:8193
.LBB91_61:
	s_or_b64 exec, exec, s[0:1]
	v_and_b32_e32 v1, 0x7f, v0
	v_sub_u32_e32 v31, v5, v1
	v_add_u32_e32 v29, 8, v31
	v_lshl_add_u32 v30, v31, 3, 8
	v_mad_i32_i24 v3, v31, 7, v29
	s_waitcnt lgkmcnt(0)
	s_barrier
	ds_read_b64 v[1:2], v30
	ds_read_b64 v[3:4], v3 offset:1024
	ds_read_u8 v33, v29 offset:8192
	ds_read_u8 v34, v29 offset:8320
	v_lshrrev_b32_e32 v35, 7, v0
	v_and_b32_e32 v32, 0x80, v0
	v_cmp_ne_u32_e32 vcc, 0, v32
	s_waitcnt lgkmcnt(2)
	v_cmp_lt_f64_e64 s[0:1], v[1:2], v[3:4]
	v_and_b32_e32 v32, 1, v35
	s_waitcnt lgkmcnt(1)
	v_and_b32_e32 v36, 1, v33
	v_cmp_eq_u32_e64 s[2:3], 1, v36
	s_waitcnt lgkmcnt(0)
	v_cmp_ne_u16_e64 s[6:7], v34, v32
	v_cndmask_b32_e64 v36, 0, 1, s[6:7]
	v_mul_i32_i24_e32 v31, 7, v31
	v_add_u32_e32 v31, v29, v31
	s_and_b64 s[0:1], s[0:1], s[2:3]
	v_cndmask_b32_e64 v35, v36, v35, s[0:1]
	v_and_b32_e32 v35, 1, v35
	v_cmp_eq_u32_e64 s[0:1], 1, v35
	s_and_saveexec_b64 s[2:3], s[0:1]
	s_cbranch_execz .LBB91_63
; %bb.62:
	ds_write_b64 v30, v[3:4]
	ds_write_b64 v31, v[1:2] offset:1024
	ds_write_b8 v29, v34 offset:8192
	ds_write_b8 v29, v33 offset:8320
.LBB91_63:
	s_or_b64 exec, exec, s[2:3]
	s_waitcnt lgkmcnt(0)
	s_barrier
	ds_read_b64 v[1:2], v27
	ds_read_b64 v[3:4], v28 offset:512
	ds_read_u8 v34, v26 offset:8192
	ds_read_u8 v35, v26 offset:8256
	v_cndmask_b32_e64 v33, 0, 1, vcc
	s_waitcnt lgkmcnt(2)
	v_cmp_lt_f64_e64 s[0:1], v[1:2], v[3:4]
	s_waitcnt lgkmcnt(1)
	v_and_b32_e32 v36, 1, v34
	s_waitcnt lgkmcnt(0)
	v_cmp_ne_u16_e32 vcc, v35, v32
	v_cndmask_b32_e64 v37, 0, 1, vcc
	v_cmp_eq_u32_e32 vcc, 1, v36
	s_and_b64 vcc, s[0:1], vcc
	v_cndmask_b32_e32 v36, v37, v33, vcc
	v_and_b32_e32 v36, 1, v36
	v_cmp_eq_u32_e32 vcc, 1, v36
	s_and_saveexec_b64 s[0:1], vcc
	s_cbranch_execz .LBB91_65
; %bb.64:
	ds_write_b64 v27, v[3:4]
	ds_write_b64 v28, v[1:2] offset:512
	ds_write_b8 v26, v35 offset:8192
	ds_write_b8 v26, v34 offset:8256
.LBB91_65:
	s_or_b64 exec, exec, s[0:1]
	s_waitcnt lgkmcnt(0)
	s_barrier
	ds_read_b64 v[1:2], v24
	ds_read_b64 v[3:4], v25 offset:256
	ds_read_u8 v34, v23 offset:8192
	ds_read_u8 v35, v23 offset:8224
	s_waitcnt lgkmcnt(2)
	v_cmp_lt_f64_e32 vcc, v[1:2], v[3:4]
	s_waitcnt lgkmcnt(1)
	v_and_b32_e32 v36, 1, v34
	s_waitcnt lgkmcnt(0)
	v_cmp_ne_u16_e64 s[0:1], v35, v32
	v_cndmask_b32_e64 v37, 0, 1, s[0:1]
	v_cmp_eq_u32_e64 s[0:1], 1, v36
	s_and_b64 vcc, vcc, s[0:1]
	v_cndmask_b32_e32 v36, v37, v33, vcc
	v_and_b32_e32 v36, 1, v36
	v_cmp_eq_u32_e32 vcc, 1, v36
	s_and_saveexec_b64 s[0:1], vcc
	s_cbranch_execz .LBB91_67
; %bb.66:
	ds_write_b64 v24, v[3:4]
	ds_write_b64 v25, v[1:2] offset:256
	ds_write_b8 v23, v35 offset:8192
	ds_write_b8 v23, v34 offset:8224
.LBB91_67:
	s_or_b64 exec, exec, s[0:1]
	s_waitcnt lgkmcnt(0)
	s_barrier
	ds_read_b64 v[1:2], v21
	ds_read_b64 v[3:4], v22 offset:128
	ds_read_u8 v34, v20 offset:8192
	ds_read_u8 v35, v20 offset:8208
	s_waitcnt lgkmcnt(2)
	v_cmp_lt_f64_e32 vcc, v[1:2], v[3:4]
	s_waitcnt lgkmcnt(1)
	v_and_b32_e32 v36, 1, v34
	s_waitcnt lgkmcnt(0)
	v_cmp_ne_u16_e64 s[0:1], v35, v32
	v_cndmask_b32_e64 v37, 0, 1, s[0:1]
	v_cmp_eq_u32_e64 s[0:1], 1, v36
	s_and_b64 vcc, vcc, s[0:1]
	;; [unrolled: 27-line block ×5, first 2 shown]
	v_cndmask_b32_e32 v36, v37, v33, vcc
	v_and_b32_e32 v36, 1, v36
	v_cmp_eq_u32_e32 vcc, 1, v36
	s_and_saveexec_b64 s[0:1], vcc
	s_cbranch_execz .LBB91_75
; %bb.74:
	ds_write_b64 v12, v[3:4]
	ds_write_b64 v13, v[1:2] offset:16
	ds_write_b8 v11, v35 offset:8192
	ds_write_b8 v11, v34 offset:8194
.LBB91_75:
	s_or_b64 exec, exec, s[0:1]
	s_waitcnt lgkmcnt(0)
	s_barrier
	ds_read2_b64 v[1:4], v6 offset1:1
	ds_read_u8 v34, v9 offset:8192
	ds_read_u8 v35, v10 offset:8193
	s_waitcnt lgkmcnt(2)
	v_cmp_lt_f64_e32 vcc, v[1:2], v[3:4]
	s_waitcnt lgkmcnt(1)
	v_and_b32_e32 v36, 1, v34
	s_waitcnt lgkmcnt(0)
	v_cmp_ne_u16_e64 s[0:1], v35, v32
	v_cndmask_b32_e64 v32, 0, 1, s[0:1]
	v_cmp_eq_u32_e64 s[0:1], 1, v36
	s_and_b64 vcc, vcc, s[0:1]
	v_cndmask_b32_e32 v32, v32, v33, vcc
	v_and_b32_e32 v32, 1, v32
	v_cmp_eq_u32_e32 vcc, 1, v32
	s_and_saveexec_b64 s[0:1], vcc
	s_cbranch_execz .LBB91_77
; %bb.76:
	ds_write_b64 v6, v[3:4]
	ds_write_b64 v8, v[1:2] offset:8
	ds_write_b8 v9, v35 offset:8192
	ds_write_b8 v10, v34 offset:8193
.LBB91_77:
	s_or_b64 exec, exec, s[0:1]
	v_sub_u32_sdwa v34, v5, v0 dst_sel:DWORD dst_unused:UNUSED_PAD src0_sel:DWORD src1_sel:BYTE_0
	v_add_u32_e32 v32, 8, v34
	v_lshl_add_u32 v33, v34, 3, 8
	v_mad_i32_i24 v3, v34, 7, v32
	s_waitcnt lgkmcnt(0)
	s_barrier
	ds_read_b64 v[1:2], v33
	ds_read_b64 v[3:4], v3 offset:2048
	ds_read_u8 v36, v32 offset:8192
	ds_read_u8 v37, v32 offset:8448
	v_and_b32_e32 v38, 0x100, v0
	v_cmp_ne_u32_e32 vcc, 0, v38
	v_bfe_u32 v38, v0, 8, 1
	s_waitcnt lgkmcnt(2)
	v_cmp_lt_f64_e64 s[0:1], v[1:2], v[3:4]
	s_waitcnt lgkmcnt(1)
	v_and_b32_e32 v39, 1, v36
	v_cmp_eq_u32_e64 s[2:3], 1, v39
	s_waitcnt lgkmcnt(0)
	v_cmp_ne_u16_e64 s[6:7], v37, v38
	v_cndmask_b32_e64 v39, 0, 1, s[6:7]
	v_mul_i32_i24_e32 v34, 7, v34
	v_and_b32_e32 v35, 0x100, v0
	v_add_u32_e32 v34, v32, v34
	s_and_b64 s[0:1], s[0:1], s[2:3]
	v_cndmask_b32_e64 v38, v39, v38, s[0:1]
	v_and_b32_e32 v38, 1, v38
	v_cmp_eq_u32_e64 s[0:1], 1, v38
	s_and_saveexec_b64 s[2:3], s[0:1]
	s_cbranch_execz .LBB91_79
; %bb.78:
	ds_write_b64 v33, v[3:4]
	ds_write_b64 v34, v[1:2] offset:2048
	ds_write_b8 v32, v37 offset:8192
	ds_write_b8 v32, v36 offset:8448
.LBB91_79:
	s_or_b64 exec, exec, s[2:3]
	s_waitcnt lgkmcnt(0)
	s_barrier
	ds_read_b64 v[1:2], v30
	ds_read_b64 v[3:4], v31 offset:1024
	ds_read_u8 v37, v29 offset:8192
	ds_read_u8 v38, v29 offset:8320
	v_lshrrev_b32_e32 v35, 8, v35
	s_waitcnt lgkmcnt(2)
	v_cmp_lt_f64_e64 s[0:1], v[1:2], v[3:4]
	s_waitcnt lgkmcnt(1)
	v_and_b32_e32 v36, 1, v37
	v_cmp_eq_u32_e64 s[2:3], 1, v36
	s_waitcnt lgkmcnt(0)
	v_cmp_ne_u16_e64 s[6:7], v38, v35
	v_cndmask_b32_e64 v39, 0, 1, s[6:7]
	v_cndmask_b32_e64 v36, 0, 1, vcc
	s_and_b64 vcc, s[0:1], s[2:3]
	v_cndmask_b32_e32 v39, v39, v36, vcc
	v_and_b32_e32 v39, 1, v39
	v_cmp_eq_u32_e32 vcc, 1, v39
	s_and_saveexec_b64 s[0:1], vcc
	s_cbranch_execz .LBB91_81
; %bb.80:
	ds_write_b64 v30, v[3:4]
	ds_write_b64 v31, v[1:2] offset:1024
	ds_write_b8 v29, v38 offset:8192
	ds_write_b8 v29, v37 offset:8320
.LBB91_81:
	s_or_b64 exec, exec, s[0:1]
	s_waitcnt lgkmcnt(0)
	s_barrier
	ds_read_b64 v[1:2], v27
	ds_read_b64 v[3:4], v28 offset:512
	ds_read_u8 v37, v26 offset:8192
	ds_read_u8 v38, v26 offset:8256
	s_waitcnt lgkmcnt(2)
	v_cmp_lt_f64_e32 vcc, v[1:2], v[3:4]
	s_waitcnt lgkmcnt(1)
	v_and_b32_e32 v39, 1, v37
	s_waitcnt lgkmcnt(0)
	v_cmp_ne_u16_e64 s[0:1], v38, v35
	v_cndmask_b32_e64 v40, 0, 1, s[0:1]
	v_cmp_eq_u32_e64 s[0:1], 1, v39
	s_and_b64 vcc, vcc, s[0:1]
	v_cndmask_b32_e32 v39, v40, v36, vcc
	v_and_b32_e32 v39, 1, v39
	v_cmp_eq_u32_e32 vcc, 1, v39
	s_and_saveexec_b64 s[0:1], vcc
	s_cbranch_execz .LBB91_83
; %bb.82:
	ds_write_b64 v27, v[3:4]
	ds_write_b64 v28, v[1:2] offset:512
	ds_write_b8 v26, v38 offset:8192
	ds_write_b8 v26, v37 offset:8256
.LBB91_83:
	s_or_b64 exec, exec, s[0:1]
	s_waitcnt lgkmcnt(0)
	s_barrier
	ds_read_b64 v[1:2], v24
	ds_read_b64 v[3:4], v25 offset:256
	ds_read_u8 v37, v23 offset:8192
	ds_read_u8 v38, v23 offset:8224
	s_waitcnt lgkmcnt(2)
	v_cmp_lt_f64_e32 vcc, v[1:2], v[3:4]
	s_waitcnt lgkmcnt(1)
	v_and_b32_e32 v39, 1, v37
	s_waitcnt lgkmcnt(0)
	v_cmp_ne_u16_e64 s[0:1], v38, v35
	v_cndmask_b32_e64 v40, 0, 1, s[0:1]
	v_cmp_eq_u32_e64 s[0:1], 1, v39
	s_and_b64 vcc, vcc, s[0:1]
	;; [unrolled: 27-line block ×6, first 2 shown]
	v_cndmask_b32_e32 v39, v40, v36, vcc
	v_and_b32_e32 v39, 1, v39
	v_cmp_eq_u32_e32 vcc, 1, v39
	s_and_saveexec_b64 s[0:1], vcc
	s_cbranch_execz .LBB91_93
; %bb.92:
	ds_write_b64 v12, v[3:4]
	ds_write_b64 v13, v[1:2] offset:16
	ds_write_b8 v11, v38 offset:8192
	ds_write_b8 v11, v37 offset:8194
.LBB91_93:
	s_or_b64 exec, exec, s[0:1]
	s_waitcnt lgkmcnt(0)
	s_barrier
	ds_read2_b64 v[1:4], v6 offset1:1
	ds_read_u8 v37, v9 offset:8192
	ds_read_u8 v38, v10 offset:8193
	s_waitcnt lgkmcnt(2)
	v_cmp_lt_f64_e32 vcc, v[1:2], v[3:4]
	s_waitcnt lgkmcnt(1)
	v_and_b32_e32 v39, 1, v37
	s_waitcnt lgkmcnt(0)
	v_cmp_ne_u16_e64 s[0:1], v38, v35
	v_cndmask_b32_e64 v35, 0, 1, s[0:1]
	v_cmp_eq_u32_e64 s[0:1], 1, v39
	s_and_b64 vcc, vcc, s[0:1]
	v_cndmask_b32_e32 v35, v35, v36, vcc
	v_and_b32_e32 v35, 1, v35
	v_cmp_eq_u32_e32 vcc, 1, v35
	s_and_saveexec_b64 s[0:1], vcc
	s_cbranch_execz .LBB91_95
; %bb.94:
	ds_write_b64 v6, v[3:4]
	ds_write_b64 v8, v[1:2] offset:8
	ds_write_b8 v9, v38 offset:8192
	ds_write_b8 v10, v37 offset:8193
.LBB91_95:
	s_or_b64 exec, exec, s[0:1]
	v_and_b32_e32 v1, 0x1ff, v0
	v_sub_u32_e32 v38, v5, v1
	v_add_u32_e32 v36, 8, v38
	v_lshl_add_u32 v37, v38, 3, 8
	v_mad_i32_i24 v3, v38, 7, v36
	s_waitcnt lgkmcnt(0)
	s_barrier
	ds_read_b64 v[1:2], v37
	ds_read_b64 v[3:4], v3 offset:4096
	ds_read_u8 v39, v36 offset:8192
	ds_read_u8 v40, v36 offset:8704
	v_mov_b32_e32 v35, 0
	s_waitcnt lgkmcnt(2)
	v_cmp_nlt_f64_e32 vcc, v[1:2], v[3:4]
	s_waitcnt lgkmcnt(1)
	v_and_b32_e32 v41, 1, v39
	v_cmp_eq_u32_e64 s[0:1], 1, v41
	s_xor_b64 s[0:1], s[0:1], -1
	s_waitcnt lgkmcnt(0)
	v_cmp_ne_u16_sdwa s[2:3], v40, v35 src0_sel:BYTE_0 src1_sel:DWORD
	s_or_b64 s[0:1], vcc, s[0:1]
	s_and_b64 s[2:3], s[0:1], s[2:3]
	s_and_saveexec_b64 s[0:1], s[2:3]
	s_cbranch_execz .LBB91_97
; %bb.96:
	v_mul_i32_i24_e32 v38, 7, v38
	ds_write_b64 v37, v[3:4]
	v_add_u32_e32 v3, v36, v38
	ds_write_b64 v3, v[1:2] offset:4096
	v_mov_b32_e32 v1, 1
	ds_write_b8 v36, v1 offset:8192
	ds_write_b8 v36, v39 offset:8704
.LBB91_97:
	s_or_b64 exec, exec, s[0:1]
	s_waitcnt lgkmcnt(0)
	s_barrier
	ds_read_b64 v[1:2], v33
	ds_read_b64 v[3:4], v34 offset:2048
	ds_read_u8 v36, v32 offset:8192
	ds_read_u8 v37, v32 offset:8448
	s_waitcnt lgkmcnt(2)
	v_cmp_nlt_f64_e32 vcc, v[1:2], v[3:4]
	s_waitcnt lgkmcnt(1)
	v_and_b32_e32 v38, 1, v36
	v_cmp_eq_u32_e64 s[0:1], 1, v38
	s_xor_b64 s[0:1], s[0:1], -1
	s_waitcnt lgkmcnt(0)
	v_cmp_ne_u16_sdwa s[2:3], v37, v35 src0_sel:BYTE_0 src1_sel:DWORD
	s_or_b64 s[0:1], vcc, s[0:1]
	s_and_b64 s[2:3], s[0:1], s[2:3]
	s_and_saveexec_b64 s[0:1], s[2:3]
	s_cbranch_execz .LBB91_99
; %bb.98:
	ds_write_b64 v33, v[3:4]
	ds_write_b64 v34, v[1:2] offset:2048
	v_mov_b32_e32 v1, 1
	ds_write_b8 v32, v1 offset:8192
	ds_write_b8 v32, v36 offset:8448
.LBB91_99:
	s_or_b64 exec, exec, s[0:1]
	s_waitcnt lgkmcnt(0)
	s_barrier
	ds_read_b64 v[1:2], v30
	ds_read_b64 v[3:4], v31 offset:1024
	ds_read_u8 v33, v29 offset:8192
	ds_read_u8 v34, v29 offset:8320
	v_mov_b32_e32 v32, 0
	s_waitcnt lgkmcnt(2)
	v_cmp_nlt_f64_e32 vcc, v[1:2], v[3:4]
	s_waitcnt lgkmcnt(1)
	v_and_b32_e32 v35, 1, v33
	v_cmp_eq_u32_e64 s[0:1], 1, v35
	s_xor_b64 s[0:1], s[0:1], -1
	s_waitcnt lgkmcnt(0)
	v_cmp_ne_u16_sdwa s[2:3], v34, v32 src0_sel:BYTE_0 src1_sel:DWORD
	s_or_b64 s[0:1], vcc, s[0:1]
	s_and_b64 s[2:3], s[0:1], s[2:3]
	s_and_saveexec_b64 s[0:1], s[2:3]
	s_cbranch_execz .LBB91_101
; %bb.100:
	ds_write_b64 v30, v[3:4]
	ds_write_b64 v31, v[1:2] offset:1024
	v_mov_b32_e32 v1, 1
	ds_write_b8 v29, v1 offset:8192
	ds_write_b8 v29, v33 offset:8320
.LBB91_101:
	s_or_b64 exec, exec, s[0:1]
	s_waitcnt lgkmcnt(0)
	s_barrier
	ds_read_b64 v[1:2], v27
	ds_read_b64 v[3:4], v28 offset:512
	ds_read_u8 v29, v26 offset:8192
	ds_read_u8 v30, v26 offset:8256
	s_waitcnt lgkmcnt(2)
	v_cmp_nlt_f64_e32 vcc, v[1:2], v[3:4]
	s_waitcnt lgkmcnt(1)
	v_and_b32_e32 v31, 1, v29
	v_cmp_eq_u32_e64 s[0:1], 1, v31
	s_xor_b64 s[0:1], s[0:1], -1
	s_waitcnt lgkmcnt(0)
	v_cmp_ne_u16_sdwa s[2:3], v30, v32 src0_sel:BYTE_0 src1_sel:DWORD
	s_or_b64 s[0:1], vcc, s[0:1]
	s_and_b64 s[2:3], s[0:1], s[2:3]
	s_and_saveexec_b64 s[0:1], s[2:3]
	s_cbranch_execz .LBB91_103
; %bb.102:
	ds_write_b64 v27, v[3:4]
	ds_write_b64 v28, v[1:2] offset:512
	v_mov_b32_e32 v1, 1
	ds_write_b8 v26, v1 offset:8192
	ds_write_b8 v26, v29 offset:8256
.LBB91_103:
	s_or_b64 exec, exec, s[0:1]
	s_waitcnt lgkmcnt(0)
	s_barrier
	ds_read_b64 v[1:2], v24
	ds_read_b64 v[3:4], v25 offset:256
	ds_read_u8 v27, v23 offset:8192
	ds_read_u8 v28, v23 offset:8224
	v_mov_b32_e32 v26, 0
	s_waitcnt lgkmcnt(2)
	v_cmp_nlt_f64_e32 vcc, v[1:2], v[3:4]
	s_waitcnt lgkmcnt(1)
	v_and_b32_e32 v29, 1, v27
	v_cmp_eq_u32_e64 s[0:1], 1, v29
	s_xor_b64 s[0:1], s[0:1], -1
	s_waitcnt lgkmcnt(0)
	v_cmp_ne_u16_sdwa s[2:3], v28, v26 src0_sel:BYTE_0 src1_sel:DWORD
	s_or_b64 s[0:1], vcc, s[0:1]
	s_and_b64 s[2:3], s[0:1], s[2:3]
	s_and_saveexec_b64 s[0:1], s[2:3]
	s_cbranch_execz .LBB91_105
; %bb.104:
	ds_write_b64 v24, v[3:4]
	ds_write_b64 v25, v[1:2] offset:256
	v_mov_b32_e32 v1, 1
	ds_write_b8 v23, v1 offset:8192
	ds_write_b8 v23, v27 offset:8224
.LBB91_105:
	;; [unrolled: 53-line block ×4, first 2 shown]
	s_or_b64 exec, exec, s[0:1]
	s_waitcnt lgkmcnt(0)
	s_barrier
	ds_read2_b64 v[1:4], v6 offset1:1
	ds_read_u8 v11, v9 offset:8192
	ds_read_u8 v12, v10 offset:8193
	s_waitcnt lgkmcnt(2)
	v_cmp_nlt_f64_e32 vcc, v[1:2], v[3:4]
	s_waitcnt lgkmcnt(1)
	v_and_b32_e32 v13, 1, v11
	v_cmp_eq_u32_e64 s[0:1], 1, v13
	s_xor_b64 s[0:1], s[0:1], -1
	s_waitcnt lgkmcnt(0)
	v_cmp_ne_u16_sdwa s[2:3], v12, v14 src0_sel:BYTE_0 src1_sel:DWORD
	s_or_b64 s[0:1], vcc, s[0:1]
	s_and_b64 s[2:3], s[0:1], s[2:3]
	s_and_saveexec_b64 s[0:1], s[2:3]
	s_cbranch_execz .LBB91_115
; %bb.114:
	ds_write_b64 v6, v[3:4]
	ds_write_b64 v8, v[1:2] offset:8
	v_mov_b32_e32 v1, 1
	ds_write_b8 v9, v1 offset:8192
	ds_write_b8 v10, v11 offset:8193
.LBB91_115:
	s_or_b64 exec, exec, s[0:1]
	v_cmp_eq_u32_e32 vcc, 0, v0
	s_waitcnt lgkmcnt(0)
	s_barrier
	s_barrier
	s_and_saveexec_b64 s[0:1], vcc
	s_cbranch_execz .LBB91_117
; %bb.116:
	v_mov_b32_e32 v1, 1
	v_mov_b32_e32 v2, 8
	ds_write_b8 v2, v1 offset:8196
	v_mov_b32_e32 v1, 0
	ds_write_b32 v2, v1 offset:8192
.LBB91_117:
	s_or_b64 exec, exec, s[0:1]
	ds_read2_b64 v[1:4], v6 offset1:1
	v_lshl_add_u32 v6, v5, 3, 8
	s_waitcnt lgkmcnt(0)
	v_cmp_neq_f64_e64 s[0:1], v[1:2], v[3:4]
	v_cndmask_b32_e64 v8, 0, 1, s[0:1]
	v_cmp_eq_f64_e64 s[0:1], v[1:2], v[3:4]
	v_cndmask_b32_e64 v1, 0, 1, s[0:1]
	s_movk_i32 s0, 0x1ff
	v_cmp_gt_u32_e64 s[2:3], s0, v0
	ds_write_b8 v6, v8 offset:8204
	ds_write_b32 v6, v1 offset:8200
	s_and_saveexec_b64 s[6:7], s[2:3]
	s_cbranch_execz .LBB91_119
; %bb.118:
	ds_read_b64 v[1:2], v6 offset:16
	s_waitcnt lgkmcnt(0)
	v_cmp_neq_f64_e64 s[0:1], v[3:4], v[1:2]
	v_cndmask_b32_e64 v8, 0, 1, s[0:1]
	v_cmp_eq_f64_e64 s[0:1], v[3:4], v[1:2]
	v_cndmask_b32_e64 v1, 0, 1, s[0:1]
	ds_write_b8 v6, v8 offset:8212
	ds_write_b32 v6, v1 offset:8208
.LBB91_119:
	s_or_b64 exec, exec, s[6:7]
	s_movk_i32 s0, 0x200
	v_cmp_gt_u32_e64 s[0:1], s0, v0
	s_waitcnt lgkmcnt(0)
	s_barrier
	s_and_saveexec_b64 s[6:7], s[0:1]
	s_cbranch_execz .LBB91_121
; %bb.120:
	ds_read_u8 v3, v6 offset:8204
	v_add_u32_e32 v1, 0x2000, v6
	ds_read2_b32 v[1:2], v1 offset1:2
	ds_read_u8 v4, v6 offset:8196
	v_add_u32_e32 v8, 0x2008, v6
	s_waitcnt lgkmcnt(2)
	v_and_b32_e32 v9, 1, v3
	v_cmp_eq_u32_e64 s[0:1], 1, v9
	s_waitcnt lgkmcnt(1)
	v_cndmask_b32_e64 v1, v1, 0, s[0:1]
	v_add_u32_e32 v1, v1, v2
	s_waitcnt lgkmcnt(0)
	v_or_b32_e32 v2, v4, v3
	v_and_b32_e32 v2, 1, v2
	ds_write2_b32 v8, v1, v2 offset1:1
.LBB91_121:
	s_or_b64 exec, exec, s[6:7]
	v_add_u32_e32 v9, 2, v5
	v_lshlrev_b32_e32 v1, 1, v9
	s_movk_i32 s0, 0x100
	v_cmp_gt_u32_e64 s[0:1], s0, v0
	v_lshl_add_u32 v1, v1, 3, 8
	s_waitcnt lgkmcnt(0)
	s_barrier
	s_and_saveexec_b64 s[6:7], s[0:1]
	s_cbranch_execz .LBB91_123
; %bb.122:
	ds_read_u8 v4, v1 offset:8188
	v_add_u32_e32 v2, 0x1c00, v1
	ds_read2_b32 v[2:3], v2 offset0:250 offset1:254
	ds_read_u8 v8, v1 offset:8172
	v_add_u32_e32 v10, 0x1ff8, v1
	s_waitcnt lgkmcnt(2)
	v_and_b32_e32 v11, 1, v4
	v_cmp_eq_u32_e64 s[0:1], 1, v11
	s_waitcnt lgkmcnt(1)
	v_cndmask_b32_e64 v2, v2, 0, s[0:1]
	v_add_u32_e32 v2, v2, v3
	s_waitcnt lgkmcnt(0)
	v_or_b32_e32 v3, v8, v4
	v_and_b32_e32 v3, 1, v3
	ds_write2_b32 v10, v2, v3 offset1:1
.LBB91_123:
	s_or_b64 exec, exec, s[6:7]
	v_lshlrev_b32_e32 v2, 2, v9
	s_movk_i32 s0, 0x80
	v_cmp_gt_u32_e64 s[0:1], s0, v0
	v_lshl_add_u32 v2, v2, 3, 8
	s_waitcnt lgkmcnt(0)
	s_barrier
	s_and_saveexec_b64 s[6:7], s[0:1]
	s_cbranch_execz .LBB91_125
; %bb.124:
	ds_read_u8 v8, v2 offset:8188
	v_add_u32_e32 v3, 0x1c00, v2
	ds_read2_b32 v[3:4], v3 offset0:246 offset1:254
	ds_read_u8 v10, v2 offset:8156
	v_add_u32_e32 v11, 0x1ff8, v2
	s_waitcnt lgkmcnt(2)
	v_and_b32_e32 v12, 1, v8
	v_cmp_eq_u32_e64 s[0:1], 1, v12
	s_waitcnt lgkmcnt(1)
	v_cndmask_b32_e64 v3, v3, 0, s[0:1]
	v_add_u32_e32 v3, v3, v4
	s_waitcnt lgkmcnt(0)
	v_or_b32_e32 v4, v10, v8
	v_and_b32_e32 v4, 1, v4
	ds_write2_b32 v11, v3, v4 offset1:1
.LBB91_125:
	s_or_b64 exec, exec, s[6:7]
	v_lshlrev_b32_e32 v3, 3, v9
	v_cmp_gt_u32_e64 s[0:1], 64, v0
	v_lshl_add_u32 v3, v3, 3, 8
	s_waitcnt lgkmcnt(0)
	s_barrier
	s_and_saveexec_b64 s[8:9], s[0:1]
	s_cbranch_execz .LBB91_127
; %bb.126:
	ds_read_u8 v4, v3 offset:8188
	ds_read_u8 v12, v3 offset:8124
	v_add_u32_e32 v8, 0x1c00, v3
	ds_read2_b32 v[10:11], v8 offset0:238 offset1:254
	v_add_u32_e32 v8, 0x1ff8, v3
	s_waitcnt lgkmcnt(2)
	v_and_b32_e32 v13, 1, v4
	v_cmp_eq_u32_e64 s[6:7], 1, v13
	s_waitcnt lgkmcnt(1)
	v_or_b32_e32 v4, v12, v4
	s_waitcnt lgkmcnt(0)
	v_cndmask_b32_e64 v10, v10, 0, s[6:7]
	v_add_u32_e32 v10, v10, v11
	v_and_b32_e32 v4, 1, v4
	ds_write2_b32 v8, v10, v4 offset1:1
.LBB91_127:
	s_or_b64 exec, exec, s[8:9]
	v_lshlrev_b32_e32 v4, 4, v9
	v_cmp_gt_u32_e64 s[6:7], 32, v0
	v_lshl_add_u32 v4, v4, 3, 8
	s_waitcnt lgkmcnt(0)
	s_barrier
	s_and_saveexec_b64 s[8:9], s[6:7]
	s_cbranch_execz .LBB91_129
; %bb.128:
	ds_read_u8 v8, v4 offset:8188
	ds_read_u8 v13, v4 offset:8060
	v_add_u32_e32 v10, 0x1c00, v4
	ds_read2_b32 v[10:11], v10 offset0:222 offset1:254
	v_add_u32_e32 v12, 0x1ff8, v4
	s_waitcnt lgkmcnt(2)
	v_and_b32_e32 v14, 1, v8
	v_cmp_eq_u32_e64 s[6:7], 1, v14
	s_waitcnt lgkmcnt(1)
	v_or_b32_e32 v8, v13, v8
	s_waitcnt lgkmcnt(0)
	v_cndmask_b32_e64 v10, v10, 0, s[6:7]
	v_add_u32_e32 v10, v10, v11
	v_and_b32_e32 v8, 1, v8
	ds_write2_b32 v12, v10, v8 offset1:1
.LBB91_129:
	s_or_b64 exec, exec, s[8:9]
	v_lshlrev_b32_e32 v8, 5, v9
	v_cmp_gt_u32_e64 s[6:7], 16, v0
	v_lshl_add_u32 v8, v8, 3, 8
	s_waitcnt lgkmcnt(0)
	s_barrier
	s_and_saveexec_b64 s[8:9], s[6:7]
	s_cbranch_execz .LBB91_131
; %bb.130:
	ds_read_u8 v12, v8 offset:8188
	ds_read_u8 v14, v8 offset:7932
	v_add_u32_e32 v10, 0xf8, v8
	ds_read2st64_b32 v[10:11], v10 offset0:30 offset1:31
	v_add_u32_e32 v13, 0x1ff8, v8
	s_waitcnt lgkmcnt(2)
	v_and_b32_e32 v15, 1, v12
	v_cmp_eq_u32_e64 s[6:7], 1, v15
	s_waitcnt lgkmcnt(0)
	v_cndmask_b32_e64 v10, v10, 0, s[6:7]
	v_add_u32_e32 v10, v10, v11
	v_or_b32_e32 v11, v14, v12
	v_and_b32_e32 v11, 1, v11
	ds_write2_b32 v13, v10, v11 offset1:1
.LBB91_131:
	s_or_b64 exec, exec, s[8:9]
	v_lshlrev_b32_e32 v10, 6, v9
	v_cmp_gt_u32_e64 s[6:7], 8, v0
	v_lshl_add_u32 v10, v10, 3, 8
	s_waitcnt lgkmcnt(0)
	s_barrier
	s_and_saveexec_b64 s[8:9], s[6:7]
	s_cbranch_execz .LBB91_133
; %bb.132:
	ds_read_u8 v13, v10 offset:8188
	ds_read_u8 v15, v10 offset:7676
	v_add_u32_e32 v11, 0xf8, v10
	ds_read2st64_b32 v[11:12], v11 offset0:29 offset1:31
	v_add_u32_e32 v14, 0x1ff8, v10
	s_waitcnt lgkmcnt(2)
	v_and_b32_e32 v16, 1, v13
	v_cmp_eq_u32_e64 s[6:7], 1, v16
	s_waitcnt lgkmcnt(0)
	v_cndmask_b32_e64 v11, v11, 0, s[6:7]
	v_add_u32_e32 v11, v11, v12
	v_or_b32_e32 v12, v15, v13
	v_and_b32_e32 v12, 1, v12
	ds_write2_b32 v14, v11, v12 offset1:1
.LBB91_133:
	;; [unrolled: 24-line block ×4, first 2 shown]
	s_or_b64 exec, exec, s[8:9]
	s_waitcnt lgkmcnt(0)
	s_barrier
	s_and_saveexec_b64 s[8:9], vcc
	s_cbranch_execz .LBB91_139
; %bb.138:
	v_mov_b32_e32 v12, 8
	ds_read_u8 v13, v12 offset:16380
	ds_read_b32 v14, v12 offset:12280
	ds_read_b32 v15, v12 offset:16376
	ds_read_u8 v12, v12 offset:12284
	s_add_i32 s10, 8, 0x3ff8
	s_waitcnt lgkmcnt(3)
	v_and_b32_e32 v16, 1, v13
	v_cmp_eq_u32_e64 s[6:7], 1, v16
	s_waitcnt lgkmcnt(2)
	v_cndmask_b32_e64 v14, v14, 0, s[6:7]
	s_waitcnt lgkmcnt(0)
	v_or_b32_e32 v12, v12, v13
	v_add_u32_e32 v14, v14, v15
	v_and_b32_e32 v12, 1, v12
	v_mov_b32_e32 v13, s10
	ds_write2_b32 v13, v14, v12 offset1:1
.LBB91_139:
	s_or_b64 exec, exec, s[8:9]
	s_waitcnt lgkmcnt(0)
	s_barrier
	s_and_saveexec_b64 s[8:9], vcc
	s_cbranch_execz .LBB91_141
; %bb.140:
	ds_read_u8 v14, v9 offset:10236
	v_add_u32_e32 v12, 0xf8, v9
	ds_read2st64_b32 v[12:13], v12 offset0:31 offset1:39
	v_add_u32_e32 v15, 0x27f8, v9
	ds_read_u8 v9, v9 offset:8188
	s_waitcnt lgkmcnt(2)
	v_and_b32_e32 v16, 1, v14
	v_cmp_eq_u32_e64 s[6:7], 1, v16
	s_waitcnt lgkmcnt(1)
	v_cndmask_b32_e64 v12, v12, 0, s[6:7]
	v_add_u32_e32 v12, v12, v13
	s_waitcnt lgkmcnt(0)
	v_or_b32_e32 v9, v9, v14
	v_and_b32_e32 v9, 1, v9
	ds_write2_b32 v15, v12, v9 offset1:1
.LBB91_141:
	s_or_b64 exec, exec, s[8:9]
	v_cmp_gt_u32_e64 s[6:7], 3, v0
	s_waitcnt lgkmcnt(0)
	s_barrier
	s_and_saveexec_b64 s[8:9], s[6:7]
	s_cbranch_execz .LBB91_143
; %bb.142:
	ds_read_u8 v9, v11 offset:9212
	v_add_u32_e32 v12, 0xf8, v11
	ds_read2st64_b32 v[12:13], v12 offset0:31 offset1:35
	v_add_u32_e32 v14, 0x23f8, v11
	ds_read_u8 v11, v11 offset:8188
	s_waitcnt lgkmcnt(2)
	v_and_b32_e32 v15, 1, v9
	v_cmp_eq_u32_e64 s[6:7], 1, v15
	s_waitcnt lgkmcnt(1)
	v_cndmask_b32_e64 v12, v12, 0, s[6:7]
	v_add_u32_e32 v12, v12, v13
	s_waitcnt lgkmcnt(0)
	v_or_b32_e32 v9, v11, v9
	v_and_b32_e32 v9, 1, v9
	ds_write2_b32 v14, v12, v9 offset1:1
.LBB91_143:
	s_or_b64 exec, exec, s[8:9]
	v_cmp_gt_u32_e64 s[6:7], 7, v0
	s_waitcnt lgkmcnt(0)
	s_barrier
	s_and_saveexec_b64 s[8:9], s[6:7]
	;; [unrolled: 23-line block ×4, first 2 shown]
	s_cbranch_execz .LBB91_149
; %bb.148:
	ds_read_u8 v10, v4 offset:8316
	v_add_u32_e32 v8, 0x1e00, v4
	ds_read2_b32 v[8:9], v8 offset0:126 offset1:158
	v_add_u32_e32 v11, 0x2078, v4
	ds_read_u8 v4, v4 offset:8188
	s_waitcnt lgkmcnt(2)
	v_and_b32_e32 v12, 1, v10
	v_cmp_eq_u32_e64 s[6:7], 1, v12
	s_waitcnt lgkmcnt(1)
	v_cndmask_b32_e64 v8, v8, 0, s[6:7]
	v_add_u32_e32 v8, v8, v9
	s_waitcnt lgkmcnt(0)
	v_or_b32_e32 v4, v4, v10
	v_and_b32_e32 v4, 1, v4
	ds_write2_b32 v11, v8, v4 offset1:1
.LBB91_149:
	s_or_b64 exec, exec, s[8:9]
	v_cmp_gt_u32_e64 s[6:7], 63, v0
	s_waitcnt lgkmcnt(0)
	s_barrier
	s_and_saveexec_b64 s[8:9], s[6:7]
	s_cbranch_execz .LBB91_151
; %bb.150:
	ds_read_u8 v4, v3 offset:8252
	v_add_u32_e32 v8, 0x1e00, v3
	ds_read2_b32 v[8:9], v8 offset0:126 offset1:142
	v_add_u32_e32 v10, 0x2038, v3
	ds_read_u8 v3, v3 offset:8188
	s_waitcnt lgkmcnt(2)
	v_and_b32_e32 v11, 1, v4
	v_cmp_eq_u32_e64 s[6:7], 1, v11
	s_waitcnt lgkmcnt(1)
	v_cndmask_b32_e64 v8, v8, 0, s[6:7]
	v_add_u32_e32 v8, v8, v9
	s_waitcnt lgkmcnt(0)
	v_or_b32_e32 v3, v3, v4
	v_and_b32_e32 v3, 1, v3
	ds_write2_b32 v10, v8, v3 offset1:1
.LBB91_151:
	s_or_b64 exec, exec, s[8:9]
	s_movk_i32 s6, 0x7f
	v_cmp_gt_u32_e64 s[6:7], s6, v0
	s_waitcnt lgkmcnt(0)
	s_barrier
	s_and_saveexec_b64 s[8:9], s[6:7]
	s_cbranch_execz .LBB91_153
; %bb.152:
	ds_read_u8 v8, v2 offset:8220
	v_add_u32_e32 v3, 0x1e00, v2
	ds_read2_b32 v[3:4], v3 offset0:126 offset1:134
	ds_read_u8 v9, v2 offset:8188
	v_add_u32_e32 v2, 0x2018, v2
	s_waitcnt lgkmcnt(2)
	v_and_b32_e32 v10, 1, v8
	v_cmp_eq_u32_e64 s[6:7], 1, v10
	s_waitcnt lgkmcnt(1)
	v_cndmask_b32_e64 v3, v3, 0, s[6:7]
	v_add_u32_e32 v3, v3, v4
	s_waitcnt lgkmcnt(0)
	v_or_b32_e32 v4, v9, v8
	v_and_b32_e32 v4, 1, v4
	ds_write2_b32 v2, v3, v4 offset1:1
.LBB91_153:
	s_or_b64 exec, exec, s[8:9]
	s_movk_i32 s6, 0xff
	v_cmp_gt_u32_e64 s[6:7], s6, v0
	s_waitcnt lgkmcnt(0)
	s_barrier
	s_and_saveexec_b64 s[8:9], s[6:7]
	s_cbranch_execz .LBB91_155
; %bb.154:
	ds_read_u8 v4, v1 offset:8204
	v_add_u32_e32 v2, 0x1e00, v1
	ds_read2_b32 v[2:3], v2 offset0:126 offset1:130
	ds_read_u8 v8, v1 offset:8188
	v_add_u32_e32 v1, 0x2008, v1
	s_waitcnt lgkmcnt(2)
	v_and_b32_e32 v9, 1, v4
	v_cmp_eq_u32_e64 s[6:7], 1, v9
	s_waitcnt lgkmcnt(1)
	v_cndmask_b32_e64 v2, v2, 0, s[6:7]
	v_add_u32_e32 v2, v2, v3
	s_waitcnt lgkmcnt(0)
	v_or_b32_e32 v3, v8, v4
	v_and_b32_e32 v3, 1, v3
	ds_write2_b32 v1, v2, v3 offset1:1
.LBB91_155:
	s_or_b64 exec, exec, s[8:9]
	s_waitcnt lgkmcnt(0)
	s_barrier
	s_and_saveexec_b64 s[6:7], s[2:3]
	s_cbranch_execz .LBB91_157
; %bb.156:
	ds_read_u8 v3, v6 offset:8212
	v_add_u32_e32 v1, 0x2000, v6
	ds_read2_b32 v[1:2], v1 offset0:2 offset1:4
	ds_read_u8 v4, v6 offset:8204
	v_add_u32_e32 v8, 0x2010, v6
	s_waitcnt lgkmcnt(2)
	v_and_b32_e32 v9, 1, v3
	v_cmp_eq_u32_e64 s[2:3], 1, v9
	s_waitcnt lgkmcnt(1)
	v_cndmask_b32_e64 v1, v1, 0, s[2:3]
	v_add_u32_e32 v1, v1, v2
	s_waitcnt lgkmcnt(0)
	v_or_b32_e32 v2, v4, v3
	v_and_b32_e32 v2, 1, v2
	ds_write2_b32 v8, v1, v2 offset1:1
.LBB91_157:
	s_or_b64 exec, exec, s[6:7]
	v_add_u32_e32 v1, 0x2000, v6
	s_waitcnt lgkmcnt(0)
	s_barrier
	ds_read2_b32 v[2:3], v1 offset1:2
	v_or_b32_e32 v1, 1, v5
	v_cmp_gt_u32_e64 s[6:7], s16, v1
	v_cmp_gt_u32_e64 s[2:3], s16, v5
	v_cndmask_b32_e64 v4, 0, v5, s[2:3]
	s_waitcnt lgkmcnt(0)
	v_cndmask_b32_e64 v6, 0, v3, s[6:7]
	v_mbcnt_lo_u32_b32 v3, -1, 0
	v_cndmask_b32_e64 v2, 0, v2, s[2:3]
	v_mbcnt_hi_u32_b32 v11, -1, v3
	v_mov_b32_e32 v3, 0x80
	v_cndmask_b32_e64 v8, 0, v1, s[6:7]
	v_max_u32_e32 v9, v6, v2
	v_lshl_or_b32 v3, v11, 2, v3
	v_cmp_gt_u32_e64 s[8:9], v6, v2
	ds_bpermute_b32 v10, v3, v9
	v_cndmask_b32_e64 v2, v4, v8, s[8:9]
	ds_bpermute_b32 v6, v3, v2
	v_and_b32_e32 v12, 63, v11
	v_cmp_gt_u32_e64 s[8:9], 48, v12
	v_cndmask_b32_e64 v4, 0, 16, s[8:9]
	s_waitcnt lgkmcnt(1)
	v_max_u32_e32 v13, v10, v9
	v_add_lshl_u32 v4, v4, v11, 2
	v_cmp_gt_u32_e64 s[8:9], v10, v9
	ds_bpermute_b32 v14, v4, v13
	s_waitcnt lgkmcnt(1)
	v_cndmask_b32_e64 v2, v2, v6, s[8:9]
	ds_bpermute_b32 v6, v4, v2
	v_cmp_gt_u32_e64 s[8:9], 56, v12
	v_cndmask_b32_e64 v8, 0, 8, s[8:9]
	s_waitcnt lgkmcnt(1)
	v_max_u32_e32 v10, v14, v13
	v_add_lshl_u32 v8, v8, v11, 2
	v_cmp_gt_u32_e64 s[8:9], v14, v13
	ds_bpermute_b32 v15, v8, v10
	s_waitcnt lgkmcnt(1)
	v_cndmask_b32_e64 v2, v2, v6, s[8:9]
	ds_bpermute_b32 v6, v8, v2
	;; [unrolled: 10-line block ×4, first 2 shown]
	s_waitcnt lgkmcnt(0)
	s_barrier
	v_cmp_gt_u32_e64 s[8:9], v16, v15
	v_max_u32_e32 v2, v16, v15
	v_cndmask_b32_e64 v6, v6, v13, s[8:9]
	v_cmp_ne_u32_e64 s[8:9], 63, v12
	v_addc_co_u32_e64 v11, s[8:9], 0, v11, s[8:9]
	v_lshlrev_b32_e32 v11, 2, v11
	ds_bpermute_b32 v12, v11, v6
	ds_bpermute_b32 v13, v11, v2
	v_cmp_eq_u32_e64 s[8:9], 0, v7
	s_waitcnt lgkmcnt(0)
	s_barrier
	s_and_saveexec_b64 s[12:13], s[8:9]
	s_cbranch_execz .LBB91_159
; %bb.158:
	v_lshrrev_b32_e32 v14, 3, v0
	v_add_u32_e32 v14, 8, v14
	v_cmp_gt_u32_e64 s[10:11], v13, v2
	v_add_u32_e32 v14, 0x2000, v14
	v_cndmask_b32_e64 v6, v6, v12, s[10:11]
	v_max_u32_e32 v2, v13, v2
	ds_write2_b32 v14, v2, v6 offset1:1
.LBB91_159:
	s_or_b64 exec, exec, s[12:13]
	s_lshr_b32 s10, s18, 6
	v_cmp_gt_u32_e64 s[10:11], s10, v0
	v_lshl_add_u32 v12, v7, 3, 8
	v_mov_b32_e32 v2, 0
	v_mov_b32_e32 v6, 0
	s_waitcnt lgkmcnt(0)
	s_barrier
	s_and_saveexec_b64 s[12:13], s[10:11]
	s_cbranch_execnz .LBB91_174
; %bb.160:
	s_or_b64 exec, exec, s[12:13]
	s_and_saveexec_b64 s[12:13], s[10:11]
	s_cbranch_execnz .LBB91_175
.LBB91_161:
	s_or_b64 exec, exec, s[12:13]
	s_and_saveexec_b64 s[18:19], s[0:1]
	s_cbranch_execnz .LBB91_176
.LBB91_162:
	s_or_b64 exec, exec, s[18:19]
	s_and_saveexec_b64 s[12:13], vcc
	s_cbranch_execz .LBB91_164
.LBB91_163:
	s_waitcnt lgkmcnt(0)
	v_lshl_add_u32 v2, v2, 3, 8
	ds_read_b64 v[13:14], v2
	v_mov_b32_e32 v2, 0
	s_waitcnt lgkmcnt(0)
	ds_write_b64 v2, v[13:14]
.LBB91_164:
	s_or_b64 exec, exec, s[12:13]
	s_waitcnt lgkmcnt(0)
	v_mov_b32_e32 v6, 0
	v_cmp_gt_i64_e64 s[12:13], s[16:17], v[5:6]
	v_mov_b32_e32 v13, 0
	s_barrier
	s_and_saveexec_b64 s[18:19], s[12:13]
	s_cbranch_execz .LBB91_166
; %bb.165:
	v_add_u32_e32 v13, s21, v5
	v_mov_b32_e32 v14, 0
	v_lshlrev_b64 v[15:16], 3, v[13:14]
	v_mov_b32_e32 v2, s15
	v_add_co_u32_e64 v15, s[12:13], s14, v15
	v_addc_co_u32_e64 v16, s[12:13], v2, v16, s[12:13]
	global_load_dwordx2 v[15:16], v[15:16], off
	ds_read_b64 v[13:14], v14
	s_waitcnt vmcnt(0) lgkmcnt(0)
	v_cmp_eq_f64_e64 s[12:13], v[15:16], v[13:14]
	v_cndmask_b32_e64 v13, 0, v5, s[12:13]
.LBB91_166:
	s_or_b64 exec, exec, s[18:19]
	v_mov_b32_e32 v2, v6
	v_cmp_gt_i64_e64 s[12:13], s[16:17], v[1:2]
	s_and_saveexec_b64 s[16:17], s[12:13]
	s_cbranch_execz .LBB91_168
; %bb.167:
	v_add_u32_e32 v5, s21, v1
	v_mov_b32_e32 v6, 0
	v_lshlrev_b64 v[14:15], 3, v[5:6]
	v_mov_b32_e32 v2, s15
	v_add_co_u32_e64 v14, s[12:13], s14, v14
	v_addc_co_u32_e64 v15, s[12:13], v2, v15, s[12:13]
	global_load_dwordx2 v[14:15], v[14:15], off
	ds_read_b64 v[5:6], v6
	s_waitcnt vmcnt(0) lgkmcnt(0)
	v_cmp_eq_f64_e64 s[12:13], v[14:15], v[5:6]
	v_cndmask_b32_e64 v6, 0, v1, s[12:13]
.LBB91_168:
	s_or_b64 exec, exec, s[16:17]
	v_cndmask_b32_e64 v1, 0, v13, s[2:3]
	v_max_u32_e32 v2, v6, v1
	v_cndmask_b32_e64 v1, v1, v2, s[6:7]
	ds_bpermute_b32 v2, v3, v1
	s_waitcnt lgkmcnt(0)
	s_barrier
	v_max_u32_e32 v1, v2, v1
	ds_bpermute_b32 v2, v4, v1
	s_waitcnt lgkmcnt(0)
	v_max_u32_e32 v1, v2, v1
	ds_bpermute_b32 v2, v8, v1
	s_waitcnt lgkmcnt(0)
	;; [unrolled: 3-line block ×4, first 2 shown]
	v_max_u32_e32 v1, v2, v1
	ds_bpermute_b32 v2, v11, v1
	s_and_saveexec_b64 s[2:3], s[8:9]
	s_cbranch_execz .LBB91_170
; %bb.169:
	v_lshrrev_b32_e32 v0, 4, v0
	v_add_u32_e32 v0, 8, v0
	s_waitcnt lgkmcnt(0)
	v_max_u32_e32 v1, v2, v1
	ds_write_b32 v0, v1
.LBB91_170:
	s_or_b64 exec, exec, s[2:3]
	v_mov_b32_e32 v0, 0
	s_waitcnt lgkmcnt(0)
	s_barrier
	s_and_saveexec_b64 s[2:3], s[10:11]
	s_cbranch_execnz .LBB91_177
; %bb.171:
	s_or_b64 exec, exec, s[2:3]
	s_and_saveexec_b64 s[2:3], s[0:1]
	s_cbranch_execnz .LBB91_178
.LBB91_172:
	s_or_b64 exec, exec, s[2:3]
	s_and_saveexec_b64 s[0:1], vcc
	s_cbranch_execnz .LBB91_179
.LBB91_173:
	s_endpgm
.LBB91_174:
	ds_read_b32 v6, v12 offset:8192
	s_or_b64 exec, exec, s[12:13]
	s_and_saveexec_b64 s[12:13], s[10:11]
	s_cbranch_execz .LBB91_161
.LBB91_175:
	ds_read_b32 v2, v12 offset:8196
	s_or_b64 exec, exec, s[12:13]
	s_and_saveexec_b64 s[18:19], s[0:1]
	s_cbranch_execz .LBB91_162
.LBB91_176:
	s_waitcnt lgkmcnt(0)
	ds_bpermute_b32 v13, v3, v6
	ds_bpermute_b32 v14, v3, v2
	s_waitcnt lgkmcnt(1)
	v_max_u32_e32 v15, v13, v6
	v_cmp_gt_u32_e64 s[12:13], v13, v6
	ds_bpermute_b32 v16, v4, v15
	s_waitcnt lgkmcnt(1)
	v_cndmask_b32_e64 v2, v2, v14, s[12:13]
	ds_bpermute_b32 v6, v4, v2
	s_waitcnt lgkmcnt(1)
	v_max_u32_e32 v13, v16, v15
	v_cmp_gt_u32_e64 s[12:13], v16, v15
	ds_bpermute_b32 v14, v8, v13
	s_waitcnt lgkmcnt(1)
	v_cndmask_b32_e64 v2, v2, v6, s[12:13]
	;; [unrolled: 7-line block ×4, first 2 shown]
	ds_bpermute_b32 v6, v10, v2
	s_waitcnt lgkmcnt(1)
	v_max_u32_e32 v15, v14, v13
	v_cmp_gt_u32_e64 s[12:13], v14, v13
	s_waitcnt lgkmcnt(0)
	v_cndmask_b32_e64 v2, v2, v6, s[12:13]
	ds_bpermute_b32 v6, v11, v15
	ds_bpermute_b32 v13, v11, v2
	s_waitcnt lgkmcnt(1)
	v_cmp_gt_u32_e64 s[12:13], v6, v15
	s_waitcnt lgkmcnt(0)
	v_cndmask_b32_e64 v2, v2, v13, s[12:13]
	s_or_b64 exec, exec, s[18:19]
	s_and_saveexec_b64 s[12:13], vcc
	s_cbranch_execnz .LBB91_163
	s_branch .LBB91_164
.LBB91_177:
	v_lshlrev_b32_e32 v0, 2, v7
	v_sub_u32_e32 v0, v12, v0
	ds_read_b32 v0, v0
	s_or_b64 exec, exec, s[2:3]
	s_and_saveexec_b64 s[2:3], s[0:1]
	s_cbranch_execz .LBB91_172
.LBB91_178:
	s_waitcnt lgkmcnt(0)
	ds_bpermute_b32 v1, v3, v0
	s_waitcnt lgkmcnt(0)
	v_max_u32_e32 v0, v1, v0
	ds_bpermute_b32 v1, v4, v0
	s_waitcnt lgkmcnt(0)
	v_max_u32_e32 v0, v1, v0
	;; [unrolled: 3-line block ×6, first 2 shown]
	s_or_b64 exec, exec, s[2:3]
	s_and_saveexec_b64 s[0:1], vcc
	s_cbranch_execz .LBB91_173
.LBB91_179:
	s_load_dword s6, s[4:5], 0xd8
	s_load_dwordx2 s[0:1], s[4:5], 0xe0
	s_add_u32 s2, s4, 8
	s_addc_u32 s3, s5, 0
	s_mov_b32 s5, 0
	s_waitcnt lgkmcnt(0)
	s_cmp_lt_i32 s6, 2
	s_cbranch_scc1 .LBB91_182
; %bb.180:
	s_add_i32 s4, s6, -1
	s_add_i32 s8, s6, 1
	s_lshl_b64 s[6:7], s[4:5], 2
	s_add_u32 s4, s2, s6
	s_addc_u32 s7, s3, s7
	s_add_u32 s6, s4, 8
	s_addc_u32 s7, s7, 0
.LBB91_181:                             ; =>This Inner Loop Header: Depth=1
	s_load_dword s4, s[6:7], 0x0
	s_load_dword s10, s[6:7], 0x64
	s_mov_b32 s9, s20
	s_waitcnt lgkmcnt(0)
	v_cvt_f32_u32_e32 v1, s4
	s_sub_i32 s11, 0, s4
	v_rcp_iflag_f32_e32 v1, v1
	v_mul_f32_e32 v1, 0x4f7ffffe, v1
	v_cvt_u32_f32_e32 v1, v1
	v_readfirstlane_b32 s12, v1
	s_mul_i32 s11, s11, s12
	s_mul_hi_u32 s11, s12, s11
	s_add_i32 s12, s12, s11
	s_mul_hi_u32 s11, s20, s12
	s_mul_i32 s12, s11, s4
	s_sub_i32 s12, s20, s12
	s_add_i32 s13, s11, 1
	s_sub_i32 s14, s12, s4
	s_cmp_ge_u32 s12, s4
	s_cselect_b32 s11, s13, s11
	s_cselect_b32 s12, s14, s12
	s_add_i32 s13, s11, 1
	s_cmp_ge_u32 s12, s4
	s_cselect_b32 s20, s13, s11
	s_mul_i32 s4, s20, s4
	s_sub_i32 s4, s9, s4
	s_mul_i32 s4, s10, s4
	s_add_i32 s8, s8, -1
	s_add_i32 s5, s4, s5
	s_add_u32 s6, s6, -4
	s_addc_u32 s7, s7, -1
	s_cmp_gt_u32 s8, 2
	s_cbranch_scc1 .LBB91_181
.LBB91_182:
	s_load_dword s4, s[2:3], 0x6c
	s_mov_b32 s7, 0
	s_load_dwordx2 s[2:3], s[2:3], 0x0
	v_mov_b32_e32 v1, 0
	ds_read_b64 v[2:3], v1
	s_waitcnt lgkmcnt(0)
	s_mul_i32 s4, s4, s20
	s_add_i32 s6, s4, s5
	s_lshl_b64 s[4:5], s[6:7], 3
	s_add_u32 s2, s2, s4
	s_addc_u32 s3, s3, s5
	s_add_u32 s0, s0, s4
	s_addc_u32 s1, s1, s5
	global_store_dwordx2 v1, v[2:3], s[2:3]
	global_store_dwordx2 v1, v[0:1], s[0:1]
	s_endpgm
	.section	.rodata,"a",@progbits
	.p2align	6, 0x0
	.amdhsa_kernel _ZN2at6native12compute_modeIdLj1024EEEvPKT_NS_4cuda6detail10TensorInfoIS2_jEENS7_IljEEll
		.amdhsa_group_segment_fixed_size 8
		.amdhsa_private_segment_fixed_size 0
		.amdhsa_kernarg_size 712
		.amdhsa_user_sgpr_count 6
		.amdhsa_user_sgpr_private_segment_buffer 1
		.amdhsa_user_sgpr_dispatch_ptr 0
		.amdhsa_user_sgpr_queue_ptr 0
		.amdhsa_user_sgpr_kernarg_segment_ptr 1
		.amdhsa_user_sgpr_dispatch_id 0
		.amdhsa_user_sgpr_flat_scratch_init 0
		.amdhsa_user_sgpr_private_segment_size 0
		.amdhsa_uses_dynamic_stack 0
		.amdhsa_system_sgpr_private_segment_wavefront_offset 0
		.amdhsa_system_sgpr_workgroup_id_x 1
		.amdhsa_system_sgpr_workgroup_id_y 1
		.amdhsa_system_sgpr_workgroup_id_z 1
		.amdhsa_system_sgpr_workgroup_info 0
		.amdhsa_system_vgpr_workitem_id 0
		.amdhsa_next_free_vgpr 42
		.amdhsa_next_free_sgpr 22
		.amdhsa_reserve_vcc 1
		.amdhsa_reserve_flat_scratch 0
		.amdhsa_float_round_mode_32 0
		.amdhsa_float_round_mode_16_64 0
		.amdhsa_float_denorm_mode_32 3
		.amdhsa_float_denorm_mode_16_64 3
		.amdhsa_dx10_clamp 1
		.amdhsa_ieee_mode 1
		.amdhsa_fp16_overflow 0
		.amdhsa_exception_fp_ieee_invalid_op 0
		.amdhsa_exception_fp_denorm_src 0
		.amdhsa_exception_fp_ieee_div_zero 0
		.amdhsa_exception_fp_ieee_overflow 0
		.amdhsa_exception_fp_ieee_underflow 0
		.amdhsa_exception_fp_ieee_inexact 0
		.amdhsa_exception_int_div_zero 0
	.end_amdhsa_kernel
	.section	.text._ZN2at6native12compute_modeIdLj1024EEEvPKT_NS_4cuda6detail10TensorInfoIS2_jEENS7_IljEEll,"axG",@progbits,_ZN2at6native12compute_modeIdLj1024EEEvPKT_NS_4cuda6detail10TensorInfoIS2_jEENS7_IljEEll,comdat
.Lfunc_end91:
	.size	_ZN2at6native12compute_modeIdLj1024EEEvPKT_NS_4cuda6detail10TensorInfoIS2_jEENS7_IljEEll, .Lfunc_end91-_ZN2at6native12compute_modeIdLj1024EEEvPKT_NS_4cuda6detail10TensorInfoIS2_jEENS7_IljEEll
                                        ; -- End function
	.set _ZN2at6native12compute_modeIdLj1024EEEvPKT_NS_4cuda6detail10TensorInfoIS2_jEENS7_IljEEll.num_vgpr, 42
	.set _ZN2at6native12compute_modeIdLj1024EEEvPKT_NS_4cuda6detail10TensorInfoIS2_jEENS7_IljEEll.num_agpr, 0
	.set _ZN2at6native12compute_modeIdLj1024EEEvPKT_NS_4cuda6detail10TensorInfoIS2_jEENS7_IljEEll.numbered_sgpr, 22
	.set _ZN2at6native12compute_modeIdLj1024EEEvPKT_NS_4cuda6detail10TensorInfoIS2_jEENS7_IljEEll.num_named_barrier, 0
	.set _ZN2at6native12compute_modeIdLj1024EEEvPKT_NS_4cuda6detail10TensorInfoIS2_jEENS7_IljEEll.private_seg_size, 0
	.set _ZN2at6native12compute_modeIdLj1024EEEvPKT_NS_4cuda6detail10TensorInfoIS2_jEENS7_IljEEll.uses_vcc, 1
	.set _ZN2at6native12compute_modeIdLj1024EEEvPKT_NS_4cuda6detail10TensorInfoIS2_jEENS7_IljEEll.uses_flat_scratch, 0
	.set _ZN2at6native12compute_modeIdLj1024EEEvPKT_NS_4cuda6detail10TensorInfoIS2_jEENS7_IljEEll.has_dyn_sized_stack, 0
	.set _ZN2at6native12compute_modeIdLj1024EEEvPKT_NS_4cuda6detail10TensorInfoIS2_jEENS7_IljEEll.has_recursion, 0
	.set _ZN2at6native12compute_modeIdLj1024EEEvPKT_NS_4cuda6detail10TensorInfoIS2_jEENS7_IljEEll.has_indirect_call, 0
	.section	.AMDGPU.csdata,"",@progbits
; Kernel info:
; codeLenInByte = 13236
; TotalNumSgprs: 26
; NumVgprs: 42
; ScratchSize: 0
; MemoryBound: 0
; FloatMode: 240
; IeeeMode: 1
; LDSByteSize: 8 bytes/workgroup (compile time only)
; SGPRBlocks: 3
; VGPRBlocks: 10
; NumSGPRsForWavesPerEU: 26
; NumVGPRsForWavesPerEU: 42
; Occupancy: 5
; WaveLimiterHint : 1
; COMPUTE_PGM_RSRC2:SCRATCH_EN: 0
; COMPUTE_PGM_RSRC2:USER_SGPR: 6
; COMPUTE_PGM_RSRC2:TRAP_HANDLER: 0
; COMPUTE_PGM_RSRC2:TGID_X_EN: 1
; COMPUTE_PGM_RSRC2:TGID_Y_EN: 1
; COMPUTE_PGM_RSRC2:TGID_Z_EN: 1
; COMPUTE_PGM_RSRC2:TIDIG_COMP_CNT: 0
	.section	.text._ZN2at6native12compute_modeIdLj128EEEvPKT_NS_4cuda6detail10TensorInfoIS2_jEENS7_IljEEll,"axG",@progbits,_ZN2at6native12compute_modeIdLj128EEEvPKT_NS_4cuda6detail10TensorInfoIS2_jEENS7_IljEEll,comdat
	.protected	_ZN2at6native12compute_modeIdLj128EEEvPKT_NS_4cuda6detail10TensorInfoIS2_jEENS7_IljEEll ; -- Begin function _ZN2at6native12compute_modeIdLj128EEEvPKT_NS_4cuda6detail10TensorInfoIS2_jEENS7_IljEEll
	.globl	_ZN2at6native12compute_modeIdLj128EEEvPKT_NS_4cuda6detail10TensorInfoIS2_jEENS7_IljEEll
	.p2align	8
	.type	_ZN2at6native12compute_modeIdLj128EEEvPKT_NS_4cuda6detail10TensorInfoIS2_jEENS7_IljEEll,@function
_ZN2at6native12compute_modeIdLj128EEEvPKT_NS_4cuda6detail10TensorInfoIS2_jEENS7_IljEEll: ; @_ZN2at6native12compute_modeIdLj128EEEvPKT_NS_4cuda6detail10TensorInfoIS2_jEENS7_IljEEll
; %bb.0:
	s_load_dwordx2 s[2:3], s[4:5], 0x1c8
	s_load_dwordx4 s[16:19], s[4:5], 0x1b8
	s_add_u32 s0, s4, 0x1c8
	s_addc_u32 s1, s5, 0
	v_mov_b32_e32 v2, 0
	s_waitcnt lgkmcnt(0)
	s_mul_i32 s3, s3, s8
	s_add_i32 s3, s3, s7
	s_mul_i32 s2, s3, s2
	s_add_i32 s20, s2, s6
	v_mov_b32_e32 v1, s20
	v_cmp_le_i64_e32 vcc, s[18:19], v[1:2]
	s_cbranch_vccnz .LBB92_107
; %bb.1:
	s_load_dwordx2 s[14:15], s[4:5], 0x0
	s_load_dword s6, s[0:1], 0xc
	v_mov_b32_e32 v1, v2
	v_cmp_gt_i64_e32 vcc, s[16:17], v[0:1]
	s_mul_i32 s21, s20, s16
	s_and_saveexec_b64 s[2:3], vcc
	s_cbranch_execz .LBB92_3
; %bb.2:
	v_add_u32_e32 v1, s21, v0
	v_lshlrev_b64 v[3:4], 3, v[1:2]
	s_waitcnt lgkmcnt(0)
	v_mov_b32_e32 v1, s15
	v_add_co_u32_e64 v3, s[0:1], s14, v3
	v_addc_co_u32_e64 v4, s[0:1], v1, v4, s[0:1]
	global_load_dwordx2 v[3:4], v[3:4], off
	v_lshl_add_u32 v1, v0, 3, 8
	s_waitcnt vmcnt(0)
	ds_write_b64 v1, v[3:4]
.LBB92_3:
	s_or_b64 exec, exec, s[2:3]
	s_waitcnt lgkmcnt(0)
	s_and_b32 s18, 0xffff, s6
	v_add_u32_e32 v1, s18, v0
	v_cmp_gt_i64_e64 s[0:1], s[16:17], v[1:2]
	s_and_saveexec_b64 s[6:7], s[0:1]
	s_cbranch_execz .LBB92_5
; %bb.4:
	v_add_u32_e32 v2, s21, v1
	v_mov_b32_e32 v3, 0
	v_lshlrev_b64 v[2:3], 3, v[2:3]
	v_mov_b32_e32 v4, s15
	v_add_co_u32_e64 v2, s[2:3], s14, v2
	v_addc_co_u32_e64 v3, s[2:3], v4, v3, s[2:3]
	global_load_dwordx2 v[2:3], v[2:3], off
	v_lshl_add_u32 v1, v1, 3, 8
	s_waitcnt vmcnt(0)
	ds_write_b64 v1, v[2:3]
.LBB92_5:
	s_or_b64 exec, exec, s[6:7]
	v_add_u32_e32 v1, 8, v0
	v_cndmask_b32_e64 v2, 0, 1, vcc
	ds_write_b8 v1, v2 offset:1024
	v_add_u32_e32 v2, s18, v1
	v_cndmask_b32_e64 v3, 0, 1, s[0:1]
	v_mad_u32_u24 v7, v0, 15, v1
	ds_write_b8 v2, v3 offset:1024
	s_waitcnt lgkmcnt(0)
	s_barrier
	s_barrier
	ds_read2_b64 v[1:4], v7 offset1:1
	v_mad_i32_i24 v8, v0, -14, v7
	v_mad_u32_u24 v9, v0, 14, v8
	v_mad_i32_i24 v6, v0, -14, v9
	ds_read_u8 v5, v8 offset:1024
	ds_read_u8 v11, v6 offset:1025
	s_waitcnt lgkmcnt(2)
	v_cmp_lt_f64_e32 vcc, v[1:2], v[3:4]
	v_and_b32_e32 v10, 1, v0
	s_waitcnt lgkmcnt(1)
	v_and_b32_e32 v12, 1, v5
	v_cmp_eq_u32_e64 s[0:1], 1, v12
	s_waitcnt lgkmcnt(0)
	v_cmp_ne_u16_e64 s[2:3], v11, v10
	v_cndmask_b32_e64 v12, 0, 1, s[2:3]
	s_and_b64 vcc, vcc, s[0:1]
	v_cndmask_b32_e32 v12, v12, v0, vcc
	v_and_b32_e32 v12, 1, v12
	v_cmp_eq_u32_e32 vcc, 1, v12
	s_and_saveexec_b64 s[0:1], vcc
	s_cbranch_execz .LBB92_7
; %bb.6:
	ds_write_b64 v7, v[3:4]
	ds_write_b64 v9, v[1:2] offset:8
	ds_write_b8 v8, v11 offset:1024
	ds_write_b8 v6, v5 offset:1025
.LBB92_7:
	s_or_b64 exec, exec, s[0:1]
	v_lshlrev_b32_e32 v5, 1, v0
	v_sub_u32_e32 v13, v5, v10
	v_add_u32_e32 v11, 8, v13
	v_lshl_add_u32 v12, v13, 3, 8
	v_mad_i32_i24 v3, v13, 7, v11
	s_waitcnt lgkmcnt(0)
	s_barrier
	ds_read_b64 v[1:2], v12
	ds_read_b64 v[3:4], v3 offset:16
	ds_read_u8 v14, v11 offset:1024
	ds_read_u8 v15, v11 offset:1026
	v_bfe_u32 v16, v0, 1, 1
	v_and_b32_e32 v10, 2, v0
	v_mul_i32_i24_e32 v13, 7, v13
	s_waitcnt lgkmcnt(2)
	v_cmp_lt_f64_e64 s[0:1], v[1:2], v[3:4]
	s_waitcnt lgkmcnt(1)
	v_and_b32_e32 v17, 1, v14
	v_cmp_eq_u32_e64 s[2:3], 1, v17
	s_waitcnt lgkmcnt(0)
	v_cmp_ne_u16_e64 s[6:7], v15, v16
	v_cndmask_b32_e64 v17, 0, 1, s[6:7]
	v_cmp_ne_u32_e32 vcc, 0, v10
	v_add_u32_e32 v13, v11, v13
	s_and_b64 s[0:1], s[0:1], s[2:3]
	v_cndmask_b32_e64 v16, v17, v16, s[0:1]
	v_and_b32_e32 v16, 1, v16
	v_cmp_eq_u32_e64 s[0:1], 1, v16
	s_and_saveexec_b64 s[2:3], s[0:1]
	s_xor_b64 s[0:1], exec, s[2:3]
	s_cbranch_execz .LBB92_9
; %bb.8:
	ds_write_b64 v12, v[3:4]
	ds_write_b64 v13, v[1:2] offset:16
	ds_write_b8 v11, v15 offset:1024
	ds_write_b8 v11, v14 offset:1026
.LBB92_9:
	s_or_b64 exec, exec, s[0:1]
	s_waitcnt lgkmcnt(0)
	s_barrier
	ds_read2_b64 v[1:4], v7 offset1:1
	ds_read_u8 v14, v8 offset:1024
	ds_read_u8 v15, v6 offset:1025
	v_lshrrev_b32_e32 v10, 1, v10
	v_cndmask_b32_e64 v16, 0, 1, vcc
	s_waitcnt lgkmcnt(2)
	v_cmp_lt_f64_e64 s[0:1], v[1:2], v[3:4]
	s_waitcnt lgkmcnt(1)
	v_and_b32_e32 v17, 1, v14
	s_waitcnt lgkmcnt(0)
	v_cmp_ne_u16_e32 vcc, v15, v10
	v_cndmask_b32_e64 v10, 0, 1, vcc
	v_cmp_eq_u32_e32 vcc, 1, v17
	s_and_b64 vcc, s[0:1], vcc
	v_cndmask_b32_e32 v10, v10, v16, vcc
	v_and_b32_e32 v10, 1, v10
	v_cmp_eq_u32_e32 vcc, 1, v10
	s_and_saveexec_b64 s[0:1], vcc
	s_cbranch_execz .LBB92_11
; %bb.10:
	ds_write_b64 v7, v[3:4]
	ds_write_b64 v9, v[1:2] offset:8
	ds_write_b8 v8, v15 offset:1024
	ds_write_b8 v6, v14 offset:1025
.LBB92_11:
	s_or_b64 exec, exec, s[0:1]
	v_and_b32_e32 v1, 3, v0
	v_sub_u32_e32 v16, v5, v1
	v_add_u32_e32 v14, 8, v16
	v_lshl_add_u32 v15, v16, 3, 8
	v_mad_i32_i24 v3, v16, 7, v14
	s_waitcnt lgkmcnt(0)
	s_barrier
	ds_read_b64 v[1:2], v15
	ds_read_b64 v[3:4], v3 offset:32
	ds_read_u8 v17, v14 offset:1024
	ds_read_u8 v18, v14 offset:1028
	v_bfe_u32 v19, v0, 2, 1
	v_and_b32_e32 v10, 4, v0
	v_mul_i32_i24_e32 v16, 7, v16
	s_waitcnt lgkmcnt(2)
	v_cmp_lt_f64_e64 s[0:1], v[1:2], v[3:4]
	s_waitcnt lgkmcnt(1)
	v_and_b32_e32 v20, 1, v17
	v_cmp_eq_u32_e64 s[2:3], 1, v20
	s_waitcnt lgkmcnt(0)
	v_cmp_ne_u16_e64 s[6:7], v18, v19
	v_cndmask_b32_e64 v20, 0, 1, s[6:7]
	v_cmp_ne_u32_e32 vcc, 0, v10
	v_add_u32_e32 v16, v14, v16
	s_and_b64 s[0:1], s[0:1], s[2:3]
	v_cndmask_b32_e64 v19, v20, v19, s[0:1]
	v_and_b32_e32 v19, 1, v19
	v_cmp_eq_u32_e64 s[0:1], 1, v19
	s_and_saveexec_b64 s[2:3], s[0:1]
	s_cbranch_execz .LBB92_13
; %bb.12:
	ds_write_b64 v15, v[3:4]
	ds_write_b64 v16, v[1:2] offset:32
	ds_write_b8 v14, v18 offset:1024
	ds_write_b8 v14, v17 offset:1028
.LBB92_13:
	s_or_b64 exec, exec, s[2:3]
	s_waitcnt lgkmcnt(0)
	s_barrier
	ds_read_b64 v[1:2], v12
	ds_read_b64 v[3:4], v13 offset:16
	ds_read_u8 v18, v11 offset:1024
	ds_read_u8 v19, v11 offset:1026
	v_lshrrev_b32_e32 v10, 2, v10
	s_waitcnt lgkmcnt(2)
	v_cmp_lt_f64_e64 s[0:1], v[1:2], v[3:4]
	s_waitcnt lgkmcnt(1)
	v_and_b32_e32 v17, 1, v18
	v_cmp_eq_u32_e64 s[2:3], 1, v17
	s_waitcnt lgkmcnt(0)
	v_cmp_ne_u16_e64 s[6:7], v19, v10
	v_cndmask_b32_e64 v20, 0, 1, s[6:7]
	v_cndmask_b32_e64 v17, 0, 1, vcc
	s_and_b64 vcc, s[0:1], s[2:3]
	v_cndmask_b32_e32 v20, v20, v17, vcc
	v_and_b32_e32 v20, 1, v20
	v_cmp_eq_u32_e32 vcc, 1, v20
	s_and_saveexec_b64 s[0:1], vcc
	s_cbranch_execz .LBB92_15
; %bb.14:
	ds_write_b64 v12, v[3:4]
	ds_write_b64 v13, v[1:2] offset:16
	ds_write_b8 v11, v19 offset:1024
	ds_write_b8 v11, v18 offset:1026
.LBB92_15:
	s_or_b64 exec, exec, s[0:1]
	s_waitcnt lgkmcnt(0)
	s_barrier
	ds_read2_b64 v[1:4], v7 offset1:1
	ds_read_u8 v18, v8 offset:1024
	ds_read_u8 v19, v6 offset:1025
	s_waitcnt lgkmcnt(2)
	v_cmp_lt_f64_e32 vcc, v[1:2], v[3:4]
	s_waitcnt lgkmcnt(1)
	v_and_b32_e32 v20, 1, v18
	s_waitcnt lgkmcnt(0)
	v_cmp_ne_u16_e64 s[0:1], v19, v10
	v_cndmask_b32_e64 v10, 0, 1, s[0:1]
	v_cmp_eq_u32_e64 s[0:1], 1, v20
	s_and_b64 vcc, vcc, s[0:1]
	v_cndmask_b32_e32 v10, v10, v17, vcc
	v_and_b32_e32 v10, 1, v10
	v_cmp_eq_u32_e32 vcc, 1, v10
	s_and_saveexec_b64 s[0:1], vcc
	s_cbranch_execz .LBB92_17
; %bb.16:
	ds_write_b64 v7, v[3:4]
	ds_write_b64 v9, v[1:2] offset:8
	ds_write_b8 v8, v19 offset:1024
	ds_write_b8 v6, v18 offset:1025
.LBB92_17:
	s_or_b64 exec, exec, s[0:1]
	v_and_b32_e32 v1, 7, v0
	v_sub_u32_e32 v19, v5, v1
	v_add_u32_e32 v17, 8, v19
	v_lshl_add_u32 v18, v19, 3, 8
	v_mad_i32_i24 v3, v19, 7, v17
	s_waitcnt lgkmcnt(0)
	s_barrier
	ds_read_b64 v[1:2], v18
	ds_read_b64 v[3:4], v3 offset:64
	ds_read_u8 v20, v17 offset:1024
	ds_read_u8 v21, v17 offset:1032
	v_bfe_u32 v22, v0, 3, 1
	v_and_b32_e32 v10, 8, v0
	v_mul_i32_i24_e32 v19, 7, v19
	s_waitcnt lgkmcnt(2)
	v_cmp_lt_f64_e64 s[0:1], v[1:2], v[3:4]
	s_waitcnt lgkmcnt(1)
	v_and_b32_e32 v23, 1, v20
	v_cmp_eq_u32_e64 s[2:3], 1, v23
	s_waitcnt lgkmcnt(0)
	v_cmp_ne_u16_e64 s[6:7], v21, v22
	v_cndmask_b32_e64 v23, 0, 1, s[6:7]
	v_cmp_ne_u32_e32 vcc, 0, v10
	v_add_u32_e32 v19, v17, v19
	s_and_b64 s[0:1], s[0:1], s[2:3]
	v_cndmask_b32_e64 v22, v23, v22, s[0:1]
	v_and_b32_e32 v22, 1, v22
	v_cmp_eq_u32_e64 s[0:1], 1, v22
	s_and_saveexec_b64 s[2:3], s[0:1]
	s_cbranch_execz .LBB92_19
; %bb.18:
	ds_write_b64 v18, v[3:4]
	ds_write_b64 v19, v[1:2] offset:64
	ds_write_b8 v17, v21 offset:1024
	ds_write_b8 v17, v20 offset:1032
.LBB92_19:
	s_or_b64 exec, exec, s[2:3]
	s_waitcnt lgkmcnt(0)
	s_barrier
	ds_read_b64 v[1:2], v15
	ds_read_b64 v[3:4], v16 offset:32
	ds_read_u8 v21, v14 offset:1024
	ds_read_u8 v22, v14 offset:1028
	v_lshrrev_b32_e32 v10, 3, v10
	s_waitcnt lgkmcnt(2)
	v_cmp_lt_f64_e64 s[0:1], v[1:2], v[3:4]
	s_waitcnt lgkmcnt(1)
	v_and_b32_e32 v20, 1, v21
	v_cmp_eq_u32_e64 s[2:3], 1, v20
	s_waitcnt lgkmcnt(0)
	v_cmp_ne_u16_e64 s[6:7], v22, v10
	v_cndmask_b32_e64 v23, 0, 1, s[6:7]
	v_cndmask_b32_e64 v20, 0, 1, vcc
	s_and_b64 vcc, s[0:1], s[2:3]
	v_cndmask_b32_e32 v23, v23, v20, vcc
	v_and_b32_e32 v23, 1, v23
	v_cmp_eq_u32_e32 vcc, 1, v23
	s_and_saveexec_b64 s[0:1], vcc
	s_cbranch_execz .LBB92_21
; %bb.20:
	ds_write_b64 v15, v[3:4]
	ds_write_b64 v16, v[1:2] offset:32
	ds_write_b8 v14, v22 offset:1024
	ds_write_b8 v14, v21 offset:1028
.LBB92_21:
	s_or_b64 exec, exec, s[0:1]
	s_waitcnt lgkmcnt(0)
	s_barrier
	ds_read_b64 v[1:2], v12
	ds_read_b64 v[3:4], v13 offset:16
	ds_read_u8 v21, v11 offset:1024
	ds_read_u8 v22, v11 offset:1026
	s_waitcnt lgkmcnt(2)
	v_cmp_lt_f64_e32 vcc, v[1:2], v[3:4]
	s_waitcnt lgkmcnt(1)
	v_and_b32_e32 v23, 1, v21
	s_waitcnt lgkmcnt(0)
	v_cmp_ne_u16_e64 s[0:1], v22, v10
	v_cndmask_b32_e64 v24, 0, 1, s[0:1]
	v_cmp_eq_u32_e64 s[0:1], 1, v23
	s_and_b64 vcc, vcc, s[0:1]
	v_cndmask_b32_e32 v23, v24, v20, vcc
	v_and_b32_e32 v23, 1, v23
	v_cmp_eq_u32_e32 vcc, 1, v23
	s_and_saveexec_b64 s[0:1], vcc
	s_cbranch_execz .LBB92_23
; %bb.22:
	ds_write_b64 v12, v[3:4]
	ds_write_b64 v13, v[1:2] offset:16
	ds_write_b8 v11, v22 offset:1024
	ds_write_b8 v11, v21 offset:1026
.LBB92_23:
	s_or_b64 exec, exec, s[0:1]
	s_waitcnt lgkmcnt(0)
	s_barrier
	ds_read2_b64 v[1:4], v7 offset1:1
	ds_read_u8 v21, v8 offset:1024
	ds_read_u8 v22, v6 offset:1025
	s_waitcnt lgkmcnt(2)
	v_cmp_lt_f64_e32 vcc, v[1:2], v[3:4]
	s_waitcnt lgkmcnt(1)
	v_and_b32_e32 v23, 1, v21
	s_waitcnt lgkmcnt(0)
	v_cmp_ne_u16_e64 s[0:1], v22, v10
	v_cndmask_b32_e64 v10, 0, 1, s[0:1]
	v_cmp_eq_u32_e64 s[0:1], 1, v23
	s_and_b64 vcc, vcc, s[0:1]
	v_cndmask_b32_e32 v10, v10, v20, vcc
	v_and_b32_e32 v10, 1, v10
	v_cmp_eq_u32_e32 vcc, 1, v10
	s_and_saveexec_b64 s[0:1], vcc
	s_cbranch_execz .LBB92_25
; %bb.24:
	ds_write_b64 v7, v[3:4]
	ds_write_b64 v9, v[1:2] offset:8
	ds_write_b8 v8, v22 offset:1024
	ds_write_b8 v6, v21 offset:1025
.LBB92_25:
	s_or_b64 exec, exec, s[0:1]
	v_and_b32_e32 v1, 15, v0
	v_sub_u32_e32 v22, v5, v1
	v_add_u32_e32 v20, 8, v22
	v_lshl_add_u32 v21, v22, 3, 8
	v_mad_i32_i24 v3, v22, 7, v20
	s_waitcnt lgkmcnt(0)
	s_barrier
	ds_read_b64 v[1:2], v21
	ds_read_b64 v[3:4], v3 offset:128
	ds_read_u8 v23, v20 offset:1024
	ds_read_u8 v24, v20 offset:1040
	v_bfe_u32 v25, v0, 4, 1
	v_and_b32_e32 v10, 16, v0
	v_mul_i32_i24_e32 v22, 7, v22
	s_waitcnt lgkmcnt(2)
	v_cmp_lt_f64_e64 s[0:1], v[1:2], v[3:4]
	s_waitcnt lgkmcnt(1)
	v_and_b32_e32 v26, 1, v23
	v_cmp_eq_u32_e64 s[2:3], 1, v26
	s_waitcnt lgkmcnt(0)
	v_cmp_ne_u16_e64 s[6:7], v24, v25
	v_cndmask_b32_e64 v26, 0, 1, s[6:7]
	v_cmp_ne_u32_e32 vcc, 0, v10
	v_add_u32_e32 v22, v20, v22
	s_and_b64 s[0:1], s[0:1], s[2:3]
	v_cndmask_b32_e64 v25, v26, v25, s[0:1]
	v_and_b32_e32 v25, 1, v25
	v_cmp_eq_u32_e64 s[0:1], 1, v25
	s_and_saveexec_b64 s[2:3], s[0:1]
	s_cbranch_execz .LBB92_27
; %bb.26:
	ds_write_b64 v21, v[3:4]
	ds_write_b64 v22, v[1:2] offset:128
	ds_write_b8 v20, v24 offset:1024
	ds_write_b8 v20, v23 offset:1040
.LBB92_27:
	s_or_b64 exec, exec, s[2:3]
	s_waitcnt lgkmcnt(0)
	s_barrier
	ds_read_b64 v[1:2], v18
	ds_read_b64 v[3:4], v19 offset:64
	ds_read_u8 v24, v17 offset:1024
	ds_read_u8 v25, v17 offset:1032
	v_lshrrev_b32_e32 v10, 4, v10
	s_waitcnt lgkmcnt(2)
	v_cmp_lt_f64_e64 s[0:1], v[1:2], v[3:4]
	s_waitcnt lgkmcnt(1)
	v_and_b32_e32 v23, 1, v24
	v_cmp_eq_u32_e64 s[2:3], 1, v23
	s_waitcnt lgkmcnt(0)
	v_cmp_ne_u16_e64 s[6:7], v25, v10
	v_cndmask_b32_e64 v26, 0, 1, s[6:7]
	v_cndmask_b32_e64 v23, 0, 1, vcc
	s_and_b64 vcc, s[0:1], s[2:3]
	v_cndmask_b32_e32 v26, v26, v23, vcc
	v_and_b32_e32 v26, 1, v26
	v_cmp_eq_u32_e32 vcc, 1, v26
	s_and_saveexec_b64 s[0:1], vcc
	s_cbranch_execz .LBB92_29
; %bb.28:
	ds_write_b64 v18, v[3:4]
	ds_write_b64 v19, v[1:2] offset:64
	ds_write_b8 v17, v25 offset:1024
	ds_write_b8 v17, v24 offset:1032
.LBB92_29:
	s_or_b64 exec, exec, s[0:1]
	s_waitcnt lgkmcnt(0)
	s_barrier
	ds_read_b64 v[1:2], v15
	ds_read_b64 v[3:4], v16 offset:32
	ds_read_u8 v24, v14 offset:1024
	ds_read_u8 v25, v14 offset:1028
	s_waitcnt lgkmcnt(2)
	v_cmp_lt_f64_e32 vcc, v[1:2], v[3:4]
	s_waitcnt lgkmcnt(1)
	v_and_b32_e32 v26, 1, v24
	s_waitcnt lgkmcnt(0)
	v_cmp_ne_u16_e64 s[0:1], v25, v10
	v_cndmask_b32_e64 v27, 0, 1, s[0:1]
	v_cmp_eq_u32_e64 s[0:1], 1, v26
	s_and_b64 vcc, vcc, s[0:1]
	v_cndmask_b32_e32 v26, v27, v23, vcc
	v_and_b32_e32 v26, 1, v26
	v_cmp_eq_u32_e32 vcc, 1, v26
	s_and_saveexec_b64 s[0:1], vcc
	s_cbranch_execz .LBB92_31
; %bb.30:
	ds_write_b64 v15, v[3:4]
	ds_write_b64 v16, v[1:2] offset:32
	ds_write_b8 v14, v25 offset:1024
	ds_write_b8 v14, v24 offset:1028
.LBB92_31:
	s_or_b64 exec, exec, s[0:1]
	s_waitcnt lgkmcnt(0)
	s_barrier
	ds_read_b64 v[1:2], v12
	ds_read_b64 v[3:4], v13 offset:16
	ds_read_u8 v24, v11 offset:1024
	ds_read_u8 v25, v11 offset:1026
	s_waitcnt lgkmcnt(2)
	v_cmp_lt_f64_e32 vcc, v[1:2], v[3:4]
	s_waitcnt lgkmcnt(1)
	v_and_b32_e32 v26, 1, v24
	s_waitcnt lgkmcnt(0)
	v_cmp_ne_u16_e64 s[0:1], v25, v10
	v_cndmask_b32_e64 v27, 0, 1, s[0:1]
	v_cmp_eq_u32_e64 s[0:1], 1, v26
	s_and_b64 vcc, vcc, s[0:1]
	v_cndmask_b32_e32 v26, v27, v23, vcc
	v_and_b32_e32 v26, 1, v26
	v_cmp_eq_u32_e32 vcc, 1, v26
	s_and_saveexec_b64 s[0:1], vcc
	s_cbranch_execz .LBB92_33
; %bb.32:
	ds_write_b64 v12, v[3:4]
	ds_write_b64 v13, v[1:2] offset:16
	ds_write_b8 v11, v25 offset:1024
	ds_write_b8 v11, v24 offset:1026
.LBB92_33:
	s_or_b64 exec, exec, s[0:1]
	s_waitcnt lgkmcnt(0)
	s_barrier
	ds_read2_b64 v[1:4], v7 offset1:1
	ds_read_u8 v24, v8 offset:1024
	ds_read_u8 v25, v6 offset:1025
	s_waitcnt lgkmcnt(2)
	v_cmp_lt_f64_e32 vcc, v[1:2], v[3:4]
	s_waitcnt lgkmcnt(1)
	v_and_b32_e32 v26, 1, v24
	s_waitcnt lgkmcnt(0)
	v_cmp_ne_u16_e64 s[0:1], v25, v10
	v_cndmask_b32_e64 v10, 0, 1, s[0:1]
	v_cmp_eq_u32_e64 s[0:1], 1, v26
	s_and_b64 vcc, vcc, s[0:1]
	v_cndmask_b32_e32 v10, v10, v23, vcc
	v_and_b32_e32 v10, 1, v10
	v_cmp_eq_u32_e32 vcc, 1, v10
	s_and_saveexec_b64 s[0:1], vcc
	s_cbranch_execz .LBB92_35
; %bb.34:
	ds_write_b64 v7, v[3:4]
	ds_write_b64 v9, v[1:2] offset:8
	ds_write_b8 v8, v25 offset:1024
	ds_write_b8 v6, v24 offset:1025
.LBB92_35:
	s_or_b64 exec, exec, s[0:1]
	v_and_b32_e32 v1, 31, v0
	v_sub_u32_e32 v25, v5, v1
	v_add_u32_e32 v23, 8, v25
	v_lshl_add_u32 v24, v25, 3, 8
	v_mad_i32_i24 v3, v25, 7, v23
	s_waitcnt lgkmcnt(0)
	s_barrier
	ds_read_b64 v[1:2], v24
	ds_read_b64 v[3:4], v3 offset:256
	ds_read_u8 v26, v23 offset:1024
	ds_read_u8 v27, v23 offset:1056
	v_bfe_u32 v28, v0, 5, 1
	v_and_b32_e32 v10, 32, v0
	v_mul_i32_i24_e32 v25, 7, v25
	s_waitcnt lgkmcnt(2)
	v_cmp_lt_f64_e64 s[0:1], v[1:2], v[3:4]
	s_waitcnt lgkmcnt(1)
	v_and_b32_e32 v29, 1, v26
	v_cmp_eq_u32_e64 s[2:3], 1, v29
	s_waitcnt lgkmcnt(0)
	v_cmp_ne_u16_e64 s[6:7], v27, v28
	v_cndmask_b32_e64 v29, 0, 1, s[6:7]
	v_cmp_ne_u32_e32 vcc, 0, v10
	v_add_u32_e32 v25, v23, v25
	s_and_b64 s[0:1], s[0:1], s[2:3]
	v_cndmask_b32_e64 v28, v29, v28, s[0:1]
	v_and_b32_e32 v28, 1, v28
	v_cmp_eq_u32_e64 s[0:1], 1, v28
	s_and_saveexec_b64 s[2:3], s[0:1]
	s_cbranch_execz .LBB92_37
; %bb.36:
	ds_write_b64 v24, v[3:4]
	ds_write_b64 v25, v[1:2] offset:256
	ds_write_b8 v23, v27 offset:1024
	ds_write_b8 v23, v26 offset:1056
.LBB92_37:
	s_or_b64 exec, exec, s[2:3]
	s_waitcnt lgkmcnt(0)
	s_barrier
	ds_read_b64 v[1:2], v21
	ds_read_b64 v[3:4], v22 offset:128
	ds_read_u8 v27, v20 offset:1024
	ds_read_u8 v28, v20 offset:1040
	v_lshrrev_b32_e32 v10, 5, v10
	s_waitcnt lgkmcnt(2)
	v_cmp_lt_f64_e64 s[0:1], v[1:2], v[3:4]
	s_waitcnt lgkmcnt(1)
	v_and_b32_e32 v26, 1, v27
	v_cmp_eq_u32_e64 s[2:3], 1, v26
	s_waitcnt lgkmcnt(0)
	v_cmp_ne_u16_e64 s[6:7], v28, v10
	v_cndmask_b32_e64 v29, 0, 1, s[6:7]
	v_cndmask_b32_e64 v26, 0, 1, vcc
	s_and_b64 vcc, s[0:1], s[2:3]
	v_cndmask_b32_e32 v29, v29, v26, vcc
	v_and_b32_e32 v29, 1, v29
	v_cmp_eq_u32_e32 vcc, 1, v29
	s_and_saveexec_b64 s[0:1], vcc
	s_cbranch_execz .LBB92_39
; %bb.38:
	ds_write_b64 v21, v[3:4]
	ds_write_b64 v22, v[1:2] offset:128
	ds_write_b8 v20, v28 offset:1024
	ds_write_b8 v20, v27 offset:1040
.LBB92_39:
	s_or_b64 exec, exec, s[0:1]
	s_waitcnt lgkmcnt(0)
	s_barrier
	ds_read_b64 v[1:2], v18
	ds_read_b64 v[3:4], v19 offset:64
	ds_read_u8 v27, v17 offset:1024
	ds_read_u8 v28, v17 offset:1032
	s_waitcnt lgkmcnt(2)
	v_cmp_lt_f64_e32 vcc, v[1:2], v[3:4]
	s_waitcnt lgkmcnt(1)
	v_and_b32_e32 v29, 1, v27
	s_waitcnt lgkmcnt(0)
	v_cmp_ne_u16_e64 s[0:1], v28, v10
	v_cndmask_b32_e64 v30, 0, 1, s[0:1]
	v_cmp_eq_u32_e64 s[0:1], 1, v29
	s_and_b64 vcc, vcc, s[0:1]
	v_cndmask_b32_e32 v29, v30, v26, vcc
	v_and_b32_e32 v29, 1, v29
	v_cmp_eq_u32_e32 vcc, 1, v29
	s_and_saveexec_b64 s[0:1], vcc
	s_cbranch_execz .LBB92_41
; %bb.40:
	ds_write_b64 v18, v[3:4]
	ds_write_b64 v19, v[1:2] offset:64
	ds_write_b8 v17, v28 offset:1024
	ds_write_b8 v17, v27 offset:1032
.LBB92_41:
	s_or_b64 exec, exec, s[0:1]
	s_waitcnt lgkmcnt(0)
	s_barrier
	ds_read_b64 v[1:2], v15
	ds_read_b64 v[3:4], v16 offset:32
	ds_read_u8 v27, v14 offset:1024
	ds_read_u8 v28, v14 offset:1028
	s_waitcnt lgkmcnt(2)
	v_cmp_lt_f64_e32 vcc, v[1:2], v[3:4]
	s_waitcnt lgkmcnt(1)
	v_and_b32_e32 v29, 1, v27
	s_waitcnt lgkmcnt(0)
	v_cmp_ne_u16_e64 s[0:1], v28, v10
	v_cndmask_b32_e64 v30, 0, 1, s[0:1]
	v_cmp_eq_u32_e64 s[0:1], 1, v29
	s_and_b64 vcc, vcc, s[0:1]
	;; [unrolled: 27-line block ×3, first 2 shown]
	v_cndmask_b32_e32 v29, v30, v26, vcc
	v_and_b32_e32 v29, 1, v29
	v_cmp_eq_u32_e32 vcc, 1, v29
	s_and_saveexec_b64 s[0:1], vcc
	s_cbranch_execz .LBB92_45
; %bb.44:
	ds_write_b64 v12, v[3:4]
	ds_write_b64 v13, v[1:2] offset:16
	ds_write_b8 v11, v28 offset:1024
	ds_write_b8 v11, v27 offset:1026
.LBB92_45:
	s_or_b64 exec, exec, s[0:1]
	s_waitcnt lgkmcnt(0)
	s_barrier
	ds_read2_b64 v[1:4], v7 offset1:1
	ds_read_u8 v27, v8 offset:1024
	ds_read_u8 v28, v6 offset:1025
	s_waitcnt lgkmcnt(2)
	v_cmp_lt_f64_e32 vcc, v[1:2], v[3:4]
	s_waitcnt lgkmcnt(1)
	v_and_b32_e32 v29, 1, v27
	s_waitcnt lgkmcnt(0)
	v_cmp_ne_u16_e64 s[0:1], v28, v10
	v_cndmask_b32_e64 v10, 0, 1, s[0:1]
	v_cmp_eq_u32_e64 s[0:1], 1, v29
	s_and_b64 vcc, vcc, s[0:1]
	v_cndmask_b32_e32 v10, v10, v26, vcc
	v_and_b32_e32 v10, 1, v10
	v_cmp_eq_u32_e32 vcc, 1, v10
	s_and_saveexec_b64 s[0:1], vcc
	s_cbranch_execz .LBB92_47
; %bb.46:
	ds_write_b64 v7, v[3:4]
	ds_write_b64 v9, v[1:2] offset:8
	ds_write_b8 v8, v28 offset:1024
	ds_write_b8 v6, v27 offset:1025
.LBB92_47:
	s_or_b64 exec, exec, s[0:1]
	v_and_b32_e32 v10, 63, v0
	v_sub_u32_e32 v29, v5, v10
	v_add_u32_e32 v27, 8, v29
	v_lshl_add_u32 v28, v29, 3, 8
	v_mad_i32_i24 v3, v29, 7, v27
	s_waitcnt lgkmcnt(0)
	s_barrier
	ds_read_b64 v[1:2], v28
	ds_read_b64 v[3:4], v3 offset:512
	ds_read_u8 v30, v27 offset:1024
	ds_read_u8 v31, v27 offset:1088
	v_mov_b32_e32 v26, 0
	s_waitcnt lgkmcnt(2)
	v_cmp_nlt_f64_e32 vcc, v[1:2], v[3:4]
	s_waitcnt lgkmcnt(1)
	v_and_b32_e32 v32, 1, v30
	v_cmp_eq_u32_e64 s[0:1], 1, v32
	s_xor_b64 s[0:1], s[0:1], -1
	s_waitcnt lgkmcnt(0)
	v_cmp_ne_u16_sdwa s[2:3], v31, v26 src0_sel:BYTE_0 src1_sel:DWORD
	s_or_b64 s[0:1], vcc, s[0:1]
	s_and_b64 s[2:3], s[0:1], s[2:3]
	s_and_saveexec_b64 s[0:1], s[2:3]
	s_cbranch_execz .LBB92_49
; %bb.48:
	v_mul_i32_i24_e32 v29, 7, v29
	ds_write_b64 v28, v[3:4]
	v_add_u32_e32 v3, v27, v29
	ds_write_b64 v3, v[1:2] offset:512
	v_mov_b32_e32 v1, 1
	ds_write_b8 v27, v1 offset:1024
	ds_write_b8 v27, v30 offset:1088
.LBB92_49:
	s_or_b64 exec, exec, s[0:1]
	s_waitcnt lgkmcnt(0)
	s_barrier
	ds_read_b64 v[1:2], v24
	ds_read_b64 v[3:4], v25 offset:256
	ds_read_u8 v27, v23 offset:1024
	ds_read_u8 v28, v23 offset:1056
	s_waitcnt lgkmcnt(2)
	v_cmp_nlt_f64_e32 vcc, v[1:2], v[3:4]
	s_waitcnt lgkmcnt(1)
	v_and_b32_e32 v29, 1, v27
	v_cmp_eq_u32_e64 s[0:1], 1, v29
	s_xor_b64 s[0:1], s[0:1], -1
	s_waitcnt lgkmcnt(0)
	v_cmp_ne_u16_sdwa s[2:3], v28, v26 src0_sel:BYTE_0 src1_sel:DWORD
	s_or_b64 s[0:1], vcc, s[0:1]
	s_and_b64 s[2:3], s[0:1], s[2:3]
	s_and_saveexec_b64 s[0:1], s[2:3]
	s_cbranch_execz .LBB92_51
; %bb.50:
	ds_write_b64 v24, v[3:4]
	ds_write_b64 v25, v[1:2] offset:256
	v_mov_b32_e32 v1, 1
	ds_write_b8 v23, v1 offset:1024
	ds_write_b8 v23, v27 offset:1056
.LBB92_51:
	s_or_b64 exec, exec, s[0:1]
	s_waitcnt lgkmcnt(0)
	s_barrier
	ds_read_b64 v[1:2], v21
	ds_read_b64 v[3:4], v22 offset:128
	ds_read_u8 v24, v20 offset:1024
	ds_read_u8 v25, v20 offset:1040
	v_mov_b32_e32 v23, 0
	s_waitcnt lgkmcnt(2)
	v_cmp_nlt_f64_e32 vcc, v[1:2], v[3:4]
	s_waitcnt lgkmcnt(1)
	v_and_b32_e32 v26, 1, v24
	v_cmp_eq_u32_e64 s[0:1], 1, v26
	s_xor_b64 s[0:1], s[0:1], -1
	s_waitcnt lgkmcnt(0)
	v_cmp_ne_u16_sdwa s[2:3], v25, v23 src0_sel:BYTE_0 src1_sel:DWORD
	s_or_b64 s[0:1], vcc, s[0:1]
	s_and_b64 s[2:3], s[0:1], s[2:3]
	s_and_saveexec_b64 s[0:1], s[2:3]
	s_cbranch_execz .LBB92_53
; %bb.52:
	ds_write_b64 v21, v[3:4]
	ds_write_b64 v22, v[1:2] offset:128
	v_mov_b32_e32 v1, 1
	ds_write_b8 v20, v1 offset:1024
	ds_write_b8 v20, v24 offset:1040
.LBB92_53:
	s_or_b64 exec, exec, s[0:1]
	s_waitcnt lgkmcnt(0)
	s_barrier
	ds_read_b64 v[1:2], v18
	ds_read_b64 v[3:4], v19 offset:64
	ds_read_u8 v20, v17 offset:1024
	ds_read_u8 v21, v17 offset:1032
	s_waitcnt lgkmcnt(2)
	v_cmp_nlt_f64_e32 vcc, v[1:2], v[3:4]
	s_waitcnt lgkmcnt(1)
	v_and_b32_e32 v22, 1, v20
	v_cmp_eq_u32_e64 s[0:1], 1, v22
	s_xor_b64 s[0:1], s[0:1], -1
	s_waitcnt lgkmcnt(0)
	v_cmp_ne_u16_sdwa s[2:3], v21, v23 src0_sel:BYTE_0 src1_sel:DWORD
	s_or_b64 s[0:1], vcc, s[0:1]
	s_and_b64 s[2:3], s[0:1], s[2:3]
	s_and_saveexec_b64 s[0:1], s[2:3]
	s_cbranch_execz .LBB92_55
; %bb.54:
	ds_write_b64 v18, v[3:4]
	ds_write_b64 v19, v[1:2] offset:64
	v_mov_b32_e32 v1, 1
	ds_write_b8 v17, v1 offset:1024
	ds_write_b8 v17, v20 offset:1032
.LBB92_55:
	s_or_b64 exec, exec, s[0:1]
	s_waitcnt lgkmcnt(0)
	s_barrier
	ds_read_b64 v[1:2], v15
	ds_read_b64 v[3:4], v16 offset:32
	ds_read_u8 v18, v14 offset:1024
	ds_read_u8 v19, v14 offset:1028
	v_mov_b32_e32 v17, 0
	s_waitcnt lgkmcnt(2)
	v_cmp_nlt_f64_e32 vcc, v[1:2], v[3:4]
	s_waitcnt lgkmcnt(1)
	v_and_b32_e32 v20, 1, v18
	v_cmp_eq_u32_e64 s[0:1], 1, v20
	s_xor_b64 s[0:1], s[0:1], -1
	s_waitcnt lgkmcnt(0)
	v_cmp_ne_u16_sdwa s[2:3], v19, v17 src0_sel:BYTE_0 src1_sel:DWORD
	s_or_b64 s[0:1], vcc, s[0:1]
	s_and_b64 s[2:3], s[0:1], s[2:3]
	s_and_saveexec_b64 s[0:1], s[2:3]
	s_cbranch_execz .LBB92_57
; %bb.56:
	ds_write_b64 v15, v[3:4]
	ds_write_b64 v16, v[1:2] offset:32
	v_mov_b32_e32 v1, 1
	ds_write_b8 v14, v1 offset:1024
	ds_write_b8 v14, v18 offset:1028
.LBB92_57:
	s_or_b64 exec, exec, s[0:1]
	s_waitcnt lgkmcnt(0)
	s_barrier
	ds_read_b64 v[1:2], v12
	ds_read_b64 v[3:4], v13 offset:16
	ds_read_u8 v14, v11 offset:1024
	ds_read_u8 v15, v11 offset:1026
	s_waitcnt lgkmcnt(2)
	v_cmp_nlt_f64_e32 vcc, v[1:2], v[3:4]
	s_waitcnt lgkmcnt(1)
	v_and_b32_e32 v16, 1, v14
	v_cmp_eq_u32_e64 s[0:1], 1, v16
	s_xor_b64 s[0:1], s[0:1], -1
	s_waitcnt lgkmcnt(0)
	v_cmp_ne_u16_sdwa s[2:3], v15, v17 src0_sel:BYTE_0 src1_sel:DWORD
	s_or_b64 s[0:1], vcc, s[0:1]
	s_and_b64 s[2:3], s[0:1], s[2:3]
	s_and_saveexec_b64 s[0:1], s[2:3]
	s_cbranch_execz .LBB92_59
; %bb.58:
	ds_write_b64 v12, v[3:4]
	ds_write_b64 v13, v[1:2] offset:16
	v_mov_b32_e32 v1, 1
	ds_write_b8 v11, v1 offset:1024
	ds_write_b8 v11, v14 offset:1026
.LBB92_59:
	s_or_b64 exec, exec, s[0:1]
	s_waitcnt lgkmcnt(0)
	s_barrier
	ds_read2_b64 v[1:4], v7 offset1:1
	ds_read_u8 v11, v8 offset:1024
	ds_read_u8 v12, v6 offset:1025
	v_mov_b32_e32 v13, 0
	s_waitcnt lgkmcnt(2)
	v_cmp_nlt_f64_e32 vcc, v[1:2], v[3:4]
	s_waitcnt lgkmcnt(1)
	v_and_b32_e32 v14, 1, v11
	v_cmp_eq_u32_e64 s[0:1], 1, v14
	s_xor_b64 s[0:1], s[0:1], -1
	s_waitcnt lgkmcnt(0)
	v_cmp_ne_u16_sdwa s[2:3], v12, v13 src0_sel:BYTE_0 src1_sel:DWORD
	s_or_b64 s[0:1], vcc, s[0:1]
	s_and_b64 s[2:3], s[0:1], s[2:3]
	s_and_saveexec_b64 s[0:1], s[2:3]
	s_cbranch_execz .LBB92_61
; %bb.60:
	ds_write_b64 v7, v[3:4]
	ds_write_b64 v9, v[1:2] offset:8
	v_mov_b32_e32 v1, 1
	ds_write_b8 v8, v1 offset:1024
	ds_write_b8 v6, v11 offset:1025
.LBB92_61:
	s_or_b64 exec, exec, s[0:1]
	v_mul_u32_u24_e32 v8, 14, v0
	v_cmp_eq_u32_e32 vcc, 0, v0
	s_waitcnt lgkmcnt(0)
	s_barrier
	s_barrier
	s_and_saveexec_b64 s[0:1], vcc
	s_cbranch_execz .LBB92_63
; %bb.62:
	v_mov_b32_e32 v1, 1
	v_mov_b32_e32 v2, 8
	ds_write_b8 v2, v1 offset:1028
	v_mov_b32_e32 v1, 0
	ds_write_b32 v2, v1 offset:1024
.LBB92_63:
	s_or_b64 exec, exec, s[0:1]
	ds_read2_b64 v[1:4], v7 offset1:1
	v_add_u32_e32 v6, v6, v8
	v_cmp_gt_u32_e64 s[2:3], 63, v0
	s_waitcnt lgkmcnt(0)
	v_cmp_neq_f64_e64 s[0:1], v[1:2], v[3:4]
	v_cndmask_b32_e64 v7, 0, 1, s[0:1]
	v_cmp_eq_f64_e64 s[0:1], v[1:2], v[3:4]
	v_cndmask_b32_e64 v1, 0, 1, s[0:1]
	ds_write_b8 v6, v7 offset:1036
	ds_write_b32 v6, v1 offset:1032
	s_and_saveexec_b64 s[6:7], s[2:3]
	s_cbranch_execz .LBB92_65
; %bb.64:
	ds_read_b64 v[1:2], v6 offset:16
	s_waitcnt lgkmcnt(0)
	v_cmp_neq_f64_e64 s[0:1], v[3:4], v[1:2]
	v_cndmask_b32_e64 v7, 0, 1, s[0:1]
	v_cmp_eq_f64_e64 s[0:1], v[3:4], v[1:2]
	v_cndmask_b32_e64 v1, 0, 1, s[0:1]
	ds_write_b8 v6, v7 offset:1044
	ds_write_b32 v6, v1 offset:1040
.LBB92_65:
	s_or_b64 exec, exec, s[6:7]
	v_cmp_gt_u32_e64 s[0:1], 64, v0
	s_waitcnt lgkmcnt(0)
	s_barrier
	s_and_saveexec_b64 s[8:9], s[0:1]
	s_cbranch_execz .LBB92_67
; %bb.66:
	ds_read_u8 v3, v6 offset:1036
	v_add_u32_e32 v1, 0x400, v6
	ds_read2_b32 v[1:2], v1 offset1:2
	ds_read_u8 v4, v6 offset:1028
	v_add_u32_e32 v7, 0x408, v6
	s_waitcnt lgkmcnt(2)
	v_and_b32_e32 v8, 1, v3
	v_cmp_eq_u32_e64 s[6:7], 1, v8
	s_waitcnt lgkmcnt(1)
	v_cndmask_b32_e64 v1, v1, 0, s[6:7]
	v_add_u32_e32 v1, v1, v2
	s_waitcnt lgkmcnt(0)
	v_or_b32_e32 v2, v4, v3
	v_and_b32_e32 v2, 1, v2
	ds_write2_b32 v7, v1, v2 offset1:1
.LBB92_67:
	s_or_b64 exec, exec, s[8:9]
	v_add_u32_e32 v7, 2, v5
	v_lshlrev_b32_e32 v1, 1, v7
	v_cmp_gt_u32_e64 s[6:7], 32, v0
	v_lshl_add_u32 v1, v1, 3, 8
	s_waitcnt lgkmcnt(0)
	s_barrier
	s_and_saveexec_b64 s[8:9], s[6:7]
	s_cbranch_execz .LBB92_69
; %bb.68:
	ds_read_u8 v4, v1 offset:1020
	ds_read_u8 v8, v1 offset:1004
	ds_read2_b32 v[2:3], v1 offset0:250 offset1:254
	s_waitcnt lgkmcnt(2)
	v_and_b32_e32 v9, 1, v4
	v_cmp_eq_u32_e64 s[6:7], 1, v9
	s_waitcnt lgkmcnt(1)
	v_or_b32_e32 v4, v8, v4
	s_waitcnt lgkmcnt(0)
	v_cndmask_b32_e64 v2, v2, 0, s[6:7]
	v_add_u32_e32 v2, v2, v3
	v_and_b32_e32 v3, 1, v4
	ds_write2_b32 v1, v2, v3 offset0:254 offset1:255
.LBB92_69:
	s_or_b64 exec, exec, s[8:9]
	v_lshlrev_b32_e32 v2, 2, v7
	v_cmp_gt_u32_e64 s[6:7], 16, v0
	v_lshl_add_u32 v2, v2, 3, 8
	s_waitcnt lgkmcnt(0)
	s_barrier
	s_and_saveexec_b64 s[8:9], s[6:7]
	s_cbranch_execz .LBB92_71
; %bb.70:
	ds_read_u8 v8, v2 offset:1020
	ds_read_u8 v9, v2 offset:988
	ds_read2_b32 v[3:4], v2 offset0:246 offset1:254
	s_waitcnt lgkmcnt(2)
	v_and_b32_e32 v11, 1, v8
	v_cmp_eq_u32_e64 s[6:7], 1, v11
	s_waitcnt lgkmcnt(1)
	v_or_b32_e32 v8, v9, v8
	s_waitcnt lgkmcnt(0)
	v_cndmask_b32_e64 v3, v3, 0, s[6:7]
	v_add_u32_e32 v3, v3, v4
	v_and_b32_e32 v4, 1, v8
	ds_write2_b32 v2, v3, v4 offset0:254 offset1:255
.LBB92_71:
	s_or_b64 exec, exec, s[8:9]
	;; [unrolled: 23-line block ×5, first 2 shown]
	s_waitcnt lgkmcnt(0)
	s_barrier
	s_and_saveexec_b64 s[8:9], vcc
	s_cbranch_execz .LBB92_79
; %bb.78:
	v_mov_b32_e32 v8, 8
	ds_read_u8 v9, v8 offset:2044
	ds_read_b32 v11, v8 offset:1528
	ds_read_b32 v12, v8 offset:2040
	ds_read_u8 v8, v8 offset:1532
	s_add_i32 s10, 8, 0x7f8
	s_waitcnt lgkmcnt(3)
	v_and_b32_e32 v13, 1, v9
	v_cmp_eq_u32_e64 s[6:7], 1, v13
	s_waitcnt lgkmcnt(2)
	v_cndmask_b32_e64 v11, v11, 0, s[6:7]
	s_waitcnt lgkmcnt(0)
	v_or_b32_e32 v8, v8, v9
	v_add_u32_e32 v11, v11, v12
	v_and_b32_e32 v8, 1, v8
	v_mov_b32_e32 v9, s10
	ds_write2_b32 v9, v11, v8 offset1:1
.LBB92_79:
	s_or_b64 exec, exec, s[8:9]
	s_waitcnt lgkmcnt(0)
	s_barrier
	s_and_saveexec_b64 s[8:9], vcc
	s_cbranch_execz .LBB92_81
; %bb.80:
	ds_read_u8 v11, v7 offset:1276
	v_add_u32_e32 v8, 0xf8, v7
	ds_read2st64_b32 v[8:9], v8 offset0:3 offset1:4
	v_add_u32_e32 v12, 0x4f8, v7
	ds_read_u8 v7, v7 offset:1020
	s_waitcnt lgkmcnt(2)
	v_and_b32_e32 v13, 1, v11
	v_cmp_eq_u32_e64 s[6:7], 1, v13
	s_waitcnt lgkmcnt(1)
	v_cndmask_b32_e64 v8, v8, 0, s[6:7]
	v_add_u32_e32 v8, v8, v9
	s_waitcnt lgkmcnt(0)
	v_or_b32_e32 v7, v7, v11
	v_and_b32_e32 v7, 1, v7
	ds_write2_b32 v12, v8, v7 offset1:1
.LBB92_81:
	s_or_b64 exec, exec, s[8:9]
	v_cmp_gt_u32_e64 s[6:7], 3, v0
	s_waitcnt lgkmcnt(0)
	s_barrier
	s_and_saveexec_b64 s[8:9], s[6:7]
	s_cbranch_execz .LBB92_83
; %bb.82:
	ds_read_u8 v9, v4 offset:1148
	v_add_u32_e32 v7, 0x200, v4
	ds_read2_b32 v[7:8], v7 offset0:126 offset1:158
	v_add_u32_e32 v11, 0x478, v4
	ds_read_u8 v4, v4 offset:1020
	s_waitcnt lgkmcnt(2)
	v_and_b32_e32 v12, 1, v9
	v_cmp_eq_u32_e64 s[6:7], 1, v12
	s_waitcnt lgkmcnt(1)
	v_cndmask_b32_e64 v7, v7, 0, s[6:7]
	v_add_u32_e32 v7, v7, v8
	s_waitcnt lgkmcnt(0)
	v_or_b32_e32 v4, v4, v9
	v_and_b32_e32 v4, 1, v4
	ds_write2_b32 v11, v7, v4 offset1:1
.LBB92_83:
	s_or_b64 exec, exec, s[8:9]
	v_cmp_gt_u32_e64 s[6:7], 7, v0
	s_waitcnt lgkmcnt(0)
	s_barrier
	s_and_saveexec_b64 s[8:9], s[6:7]
	s_cbranch_execz .LBB92_85
; %bb.84:
	ds_read_u8 v4, v3 offset:1084
	v_add_u32_e32 v7, 0x200, v3
	ds_read2_b32 v[7:8], v7 offset0:126 offset1:142
	v_add_u32_e32 v9, 0x438, v3
	ds_read_u8 v3, v3 offset:1020
	s_waitcnt lgkmcnt(2)
	v_and_b32_e32 v11, 1, v4
	v_cmp_eq_u32_e64 s[6:7], 1, v11
	s_waitcnt lgkmcnt(1)
	v_cndmask_b32_e64 v7, v7, 0, s[6:7]
	v_add_u32_e32 v7, v7, v8
	s_waitcnt lgkmcnt(0)
	v_or_b32_e32 v3, v3, v4
	v_and_b32_e32 v3, 1, v3
	ds_write2_b32 v9, v7, v3 offset1:1
.LBB92_85:
	s_or_b64 exec, exec, s[8:9]
	v_cmp_gt_u32_e64 s[6:7], 15, v0
	s_waitcnt lgkmcnt(0)
	s_barrier
	s_and_saveexec_b64 s[8:9], s[6:7]
	s_cbranch_execz .LBB92_87
; %bb.86:
	ds_read_u8 v7, v2 offset:1052
	v_add_u32_e32 v3, 0x200, v2
	ds_read2_b32 v[3:4], v3 offset0:126 offset1:134
	ds_read_u8 v8, v2 offset:1020
	v_add_u32_e32 v2, 0x418, v2
	s_waitcnt lgkmcnt(2)
	v_and_b32_e32 v9, 1, v7
	v_cmp_eq_u32_e64 s[6:7], 1, v9
	s_waitcnt lgkmcnt(1)
	v_cndmask_b32_e64 v3, v3, 0, s[6:7]
	v_add_u32_e32 v3, v3, v4
	s_waitcnt lgkmcnt(0)
	v_or_b32_e32 v4, v8, v7
	v_and_b32_e32 v4, 1, v4
	ds_write2_b32 v2, v3, v4 offset1:1
.LBB92_87:
	s_or_b64 exec, exec, s[8:9]
	v_cmp_gt_u32_e64 s[6:7], 31, v0
	s_waitcnt lgkmcnt(0)
	s_barrier
	s_and_saveexec_b64 s[8:9], s[6:7]
	s_cbranch_execz .LBB92_89
; %bb.88:
	ds_read_u8 v4, v1 offset:1036
	v_add_u32_e32 v2, 0x200, v1
	ds_read2_b32 v[2:3], v2 offset0:126 offset1:130
	ds_read_u8 v7, v1 offset:1020
	v_add_u32_e32 v1, 0x408, v1
	s_waitcnt lgkmcnt(2)
	v_and_b32_e32 v8, 1, v4
	v_cmp_eq_u32_e64 s[6:7], 1, v8
	s_waitcnt lgkmcnt(1)
	v_cndmask_b32_e64 v2, v2, 0, s[6:7]
	v_add_u32_e32 v2, v2, v3
	s_waitcnt lgkmcnt(0)
	v_or_b32_e32 v3, v7, v4
	v_and_b32_e32 v3, 1, v3
	ds_write2_b32 v1, v2, v3 offset1:1
.LBB92_89:
	s_or_b64 exec, exec, s[8:9]
	v_lshl_add_u32 v1, v5, 3, 8
	s_waitcnt lgkmcnt(0)
	s_barrier
	s_and_saveexec_b64 s[6:7], s[2:3]
	s_cbranch_execz .LBB92_91
; %bb.90:
	ds_read_u8 v2, v1 offset:1044
	ds_read_b32 v4, v6 offset:1032
	ds_read_b32 v7, v1 offset:1040
	ds_read_u8 v8, v6 offset:1036
	v_add_u32_e32 v3, 0x410, v1
	s_waitcnt lgkmcnt(3)
	v_and_b32_e32 v9, 1, v2
	v_cmp_eq_u32_e64 s[2:3], 1, v9
	s_waitcnt lgkmcnt(2)
	v_cndmask_b32_e64 v4, v4, 0, s[2:3]
	s_waitcnt lgkmcnt(0)
	v_or_b32_e32 v2, v8, v2
	v_add_u32_e32 v4, v4, v7
	v_and_b32_e32 v2, 1, v2
	ds_write2_b32 v3, v4, v2 offset1:1
.LBB92_91:
	s_or_b64 exec, exec, s[6:7]
	s_waitcnt lgkmcnt(0)
	s_barrier
	ds_read_b32 v2, v1 offset:1024
	ds_read_b32 v3, v6 offset:1032
	v_or_b32_e32 v1, 1, v5
	v_cmp_gt_u32_e64 s[6:7], s16, v1
	v_cmp_gt_u32_e64 s[2:3], s16, v5
	s_waitcnt lgkmcnt(1)
	v_cndmask_b32_e64 v2, 0, v2, s[2:3]
	s_waitcnt lgkmcnt(0)
	v_cndmask_b32_e64 v6, 0, v3, s[6:7]
	v_mbcnt_lo_u32_b32 v3, -1, 0
	v_mbcnt_hi_u32_b32 v11, -1, v3
	v_mov_b32_e32 v3, 0x80
	v_cndmask_b32_e64 v4, 0, v5, s[2:3]
	v_cndmask_b32_e64 v7, 0, v1, s[6:7]
	v_max_u32_e32 v8, v6, v2
	v_lshl_or_b32 v3, v11, 2, v3
	v_cmp_gt_u32_e64 s[8:9], v6, v2
	ds_bpermute_b32 v9, v3, v8
	v_cndmask_b32_e64 v2, v4, v7, s[8:9]
	ds_bpermute_b32 v6, v3, v2
	v_and_b32_e32 v12, 63, v11
	v_cmp_gt_u32_e64 s[8:9], 48, v12
	v_cndmask_b32_e64 v4, 0, 16, s[8:9]
	s_waitcnt lgkmcnt(1)
	v_max_u32_e32 v13, v9, v8
	v_add_lshl_u32 v4, v4, v11, 2
	v_cmp_gt_u32_e64 s[8:9], v9, v8
	ds_bpermute_b32 v14, v4, v13
	s_waitcnt lgkmcnt(1)
	v_cndmask_b32_e64 v2, v2, v6, s[8:9]
	ds_bpermute_b32 v6, v4, v2
	v_cmp_gt_u32_e64 s[8:9], 56, v12
	v_cndmask_b32_e64 v7, 0, 8, s[8:9]
	s_waitcnt lgkmcnt(1)
	v_max_u32_e32 v9, v14, v13
	v_add_lshl_u32 v7, v7, v11, 2
	v_cmp_gt_u32_e64 s[8:9], v14, v13
	ds_bpermute_b32 v15, v7, v9
	s_waitcnt lgkmcnt(1)
	v_cndmask_b32_e64 v2, v2, v6, s[8:9]
	ds_bpermute_b32 v6, v7, v2
	;; [unrolled: 10-line block ×4, first 2 shown]
	s_waitcnt lgkmcnt(0)
	s_barrier
	v_cmp_gt_u32_e64 s[8:9], v16, v15
	v_max_u32_e32 v2, v16, v15
	v_cndmask_b32_e64 v6, v6, v13, s[8:9]
	v_cmp_ne_u32_e64 s[8:9], 63, v12
	v_addc_co_u32_e64 v11, s[8:9], 0, v11, s[8:9]
	v_lshlrev_b32_e32 v11, 2, v11
	ds_bpermute_b32 v12, v11, v6
	ds_bpermute_b32 v13, v11, v2
	v_cmp_eq_u32_e64 s[8:9], 0, v10
	s_waitcnt lgkmcnt(0)
	s_barrier
	s_and_saveexec_b64 s[12:13], s[8:9]
	s_cbranch_execz .LBB92_93
; %bb.92:
	v_lshrrev_b32_e32 v14, 3, v0
	v_add_u32_e32 v14, 8, v14
	v_cmp_gt_u32_e64 s[10:11], v13, v2
	v_add_u32_e32 v14, 0x400, v14
	v_cndmask_b32_e64 v6, v6, v12, s[10:11]
	v_max_u32_e32 v2, v13, v2
	ds_write2_b32 v14, v2, v6 offset1:1
.LBB92_93:
	s_or_b64 exec, exec, s[12:13]
	s_lshr_b32 s10, s18, 6
	v_cmp_gt_u32_e64 s[10:11], s10, v0
	v_lshl_add_u32 v12, v10, 3, 8
	v_mov_b32_e32 v2, 0
	v_mov_b32_e32 v6, 0
	s_waitcnt lgkmcnt(0)
	s_barrier
	s_and_saveexec_b64 s[12:13], s[10:11]
	s_cbranch_execnz .LBB92_108
; %bb.94:
	s_or_b64 exec, exec, s[12:13]
	s_and_saveexec_b64 s[12:13], s[10:11]
	s_cbranch_execnz .LBB92_109
.LBB92_95:
	s_or_b64 exec, exec, s[12:13]
	s_and_saveexec_b64 s[18:19], s[0:1]
	s_cbranch_execnz .LBB92_110
.LBB92_96:
	s_or_b64 exec, exec, s[18:19]
	s_and_saveexec_b64 s[12:13], vcc
	s_cbranch_execz .LBB92_98
.LBB92_97:
	s_waitcnt lgkmcnt(0)
	v_lshl_add_u32 v2, v2, 3, 8
	ds_read_b64 v[13:14], v2
	v_mov_b32_e32 v2, 0
	s_waitcnt lgkmcnt(0)
	ds_write_b64 v2, v[13:14]
.LBB92_98:
	s_or_b64 exec, exec, s[12:13]
	s_waitcnt lgkmcnt(0)
	v_mov_b32_e32 v6, 0
	v_cmp_gt_i64_e64 s[12:13], s[16:17], v[5:6]
	v_mov_b32_e32 v13, 0
	s_barrier
	s_and_saveexec_b64 s[18:19], s[12:13]
	s_cbranch_execz .LBB92_100
; %bb.99:
	v_add_u32_e32 v13, s21, v5
	v_mov_b32_e32 v14, 0
	v_lshlrev_b64 v[15:16], 3, v[13:14]
	v_mov_b32_e32 v2, s15
	v_add_co_u32_e64 v15, s[12:13], s14, v15
	v_addc_co_u32_e64 v16, s[12:13], v2, v16, s[12:13]
	global_load_dwordx2 v[15:16], v[15:16], off
	ds_read_b64 v[13:14], v14
	s_waitcnt vmcnt(0) lgkmcnt(0)
	v_cmp_eq_f64_e64 s[12:13], v[15:16], v[13:14]
	v_cndmask_b32_e64 v13, 0, v5, s[12:13]
.LBB92_100:
	s_or_b64 exec, exec, s[18:19]
	v_mov_b32_e32 v2, v6
	v_cmp_gt_i64_e64 s[12:13], s[16:17], v[1:2]
	s_and_saveexec_b64 s[16:17], s[12:13]
	s_cbranch_execz .LBB92_102
; %bb.101:
	v_add_u32_e32 v5, s21, v1
	v_mov_b32_e32 v6, 0
	v_lshlrev_b64 v[14:15], 3, v[5:6]
	v_mov_b32_e32 v2, s15
	v_add_co_u32_e64 v14, s[12:13], s14, v14
	v_addc_co_u32_e64 v15, s[12:13], v2, v15, s[12:13]
	global_load_dwordx2 v[14:15], v[14:15], off
	ds_read_b64 v[5:6], v6
	s_waitcnt vmcnt(0) lgkmcnt(0)
	v_cmp_eq_f64_e64 s[12:13], v[14:15], v[5:6]
	v_cndmask_b32_e64 v6, 0, v1, s[12:13]
.LBB92_102:
	s_or_b64 exec, exec, s[16:17]
	v_cndmask_b32_e64 v1, 0, v13, s[2:3]
	v_max_u32_e32 v2, v6, v1
	v_cndmask_b32_e64 v1, v1, v2, s[6:7]
	ds_bpermute_b32 v2, v3, v1
	s_waitcnt lgkmcnt(0)
	s_barrier
	v_max_u32_e32 v1, v2, v1
	ds_bpermute_b32 v2, v4, v1
	s_waitcnt lgkmcnt(0)
	v_max_u32_e32 v1, v2, v1
	ds_bpermute_b32 v2, v7, v1
	s_waitcnt lgkmcnt(0)
	;; [unrolled: 3-line block ×4, first 2 shown]
	v_max_u32_e32 v1, v2, v1
	ds_bpermute_b32 v2, v11, v1
	s_and_saveexec_b64 s[2:3], s[8:9]
	s_cbranch_execz .LBB92_104
; %bb.103:
	v_lshrrev_b32_e32 v0, 4, v0
	v_add_u32_e32 v0, 8, v0
	s_waitcnt lgkmcnt(0)
	v_max_u32_e32 v1, v2, v1
	ds_write_b32 v0, v1
.LBB92_104:
	s_or_b64 exec, exec, s[2:3]
	v_mov_b32_e32 v0, 0
	s_waitcnt lgkmcnt(0)
	s_barrier
	s_and_saveexec_b64 s[2:3], s[10:11]
	s_cbranch_execnz .LBB92_111
; %bb.105:
	s_or_b64 exec, exec, s[2:3]
	s_and_saveexec_b64 s[2:3], s[0:1]
	s_cbranch_execnz .LBB92_112
.LBB92_106:
	s_or_b64 exec, exec, s[2:3]
	s_and_saveexec_b64 s[0:1], vcc
	s_cbranch_execnz .LBB92_113
.LBB92_107:
	s_endpgm
.LBB92_108:
	ds_read_b32 v6, v12 offset:1024
	s_or_b64 exec, exec, s[12:13]
	s_and_saveexec_b64 s[12:13], s[10:11]
	s_cbranch_execz .LBB92_95
.LBB92_109:
	ds_read_b32 v2, v12 offset:1028
	s_or_b64 exec, exec, s[12:13]
	s_and_saveexec_b64 s[18:19], s[0:1]
	s_cbranch_execz .LBB92_96
.LBB92_110:
	s_waitcnt lgkmcnt(0)
	ds_bpermute_b32 v13, v3, v6
	ds_bpermute_b32 v14, v3, v2
	s_waitcnt lgkmcnt(1)
	v_max_u32_e32 v15, v13, v6
	v_cmp_gt_u32_e64 s[12:13], v13, v6
	ds_bpermute_b32 v16, v4, v15
	s_waitcnt lgkmcnt(1)
	v_cndmask_b32_e64 v2, v2, v14, s[12:13]
	ds_bpermute_b32 v6, v4, v2
	s_waitcnt lgkmcnt(1)
	v_max_u32_e32 v13, v16, v15
	v_cmp_gt_u32_e64 s[12:13], v16, v15
	ds_bpermute_b32 v14, v7, v13
	s_waitcnt lgkmcnt(1)
	v_cndmask_b32_e64 v2, v2, v6, s[12:13]
	;; [unrolled: 7-line block ×4, first 2 shown]
	ds_bpermute_b32 v6, v9, v2
	s_waitcnt lgkmcnt(1)
	v_max_u32_e32 v15, v14, v13
	v_cmp_gt_u32_e64 s[12:13], v14, v13
	s_waitcnt lgkmcnt(0)
	v_cndmask_b32_e64 v2, v2, v6, s[12:13]
	ds_bpermute_b32 v6, v11, v15
	ds_bpermute_b32 v13, v11, v2
	s_waitcnt lgkmcnt(1)
	v_cmp_gt_u32_e64 s[12:13], v6, v15
	s_waitcnt lgkmcnt(0)
	v_cndmask_b32_e64 v2, v2, v13, s[12:13]
	s_or_b64 exec, exec, s[18:19]
	s_and_saveexec_b64 s[12:13], vcc
	s_cbranch_execnz .LBB92_97
	s_branch .LBB92_98
.LBB92_111:
	v_lshlrev_b32_e32 v0, 2, v10
	v_sub_u32_e32 v0, v12, v0
	ds_read_b32 v0, v0
	s_or_b64 exec, exec, s[2:3]
	s_and_saveexec_b64 s[2:3], s[0:1]
	s_cbranch_execz .LBB92_106
.LBB92_112:
	s_waitcnt lgkmcnt(0)
	ds_bpermute_b32 v1, v3, v0
	s_waitcnt lgkmcnt(0)
	v_max_u32_e32 v0, v1, v0
	ds_bpermute_b32 v1, v4, v0
	s_waitcnt lgkmcnt(0)
	v_max_u32_e32 v0, v1, v0
	;; [unrolled: 3-line block ×6, first 2 shown]
	s_or_b64 exec, exec, s[2:3]
	s_and_saveexec_b64 s[0:1], vcc
	s_cbranch_execz .LBB92_107
.LBB92_113:
	s_load_dword s6, s[4:5], 0xd8
	s_load_dwordx2 s[0:1], s[4:5], 0xe0
	s_add_u32 s2, s4, 8
	s_addc_u32 s3, s5, 0
	s_mov_b32 s5, 0
	s_waitcnt lgkmcnt(0)
	s_cmp_lt_i32 s6, 2
	s_cbranch_scc1 .LBB92_116
; %bb.114:
	s_add_i32 s4, s6, -1
	s_add_i32 s8, s6, 1
	s_lshl_b64 s[6:7], s[4:5], 2
	s_add_u32 s4, s2, s6
	s_addc_u32 s7, s3, s7
	s_add_u32 s6, s4, 8
	s_addc_u32 s7, s7, 0
.LBB92_115:                             ; =>This Inner Loop Header: Depth=1
	s_load_dword s4, s[6:7], 0x0
	s_load_dword s10, s[6:7], 0x64
	s_mov_b32 s9, s20
	s_waitcnt lgkmcnt(0)
	v_cvt_f32_u32_e32 v1, s4
	s_sub_i32 s11, 0, s4
	v_rcp_iflag_f32_e32 v1, v1
	v_mul_f32_e32 v1, 0x4f7ffffe, v1
	v_cvt_u32_f32_e32 v1, v1
	v_readfirstlane_b32 s12, v1
	s_mul_i32 s11, s11, s12
	s_mul_hi_u32 s11, s12, s11
	s_add_i32 s12, s12, s11
	s_mul_hi_u32 s11, s20, s12
	s_mul_i32 s12, s11, s4
	s_sub_i32 s12, s20, s12
	s_add_i32 s13, s11, 1
	s_sub_i32 s14, s12, s4
	s_cmp_ge_u32 s12, s4
	s_cselect_b32 s11, s13, s11
	s_cselect_b32 s12, s14, s12
	s_add_i32 s13, s11, 1
	s_cmp_ge_u32 s12, s4
	s_cselect_b32 s20, s13, s11
	s_mul_i32 s4, s20, s4
	s_sub_i32 s4, s9, s4
	s_mul_i32 s4, s10, s4
	s_add_i32 s8, s8, -1
	s_add_i32 s5, s4, s5
	s_add_u32 s6, s6, -4
	s_addc_u32 s7, s7, -1
	s_cmp_gt_u32 s8, 2
	s_cbranch_scc1 .LBB92_115
.LBB92_116:
	s_load_dword s4, s[2:3], 0x6c
	s_mov_b32 s7, 0
	s_load_dwordx2 s[2:3], s[2:3], 0x0
	v_mov_b32_e32 v1, 0
	ds_read_b64 v[2:3], v1
	s_waitcnt lgkmcnt(0)
	s_mul_i32 s4, s4, s20
	s_add_i32 s6, s4, s5
	s_lshl_b64 s[4:5], s[6:7], 3
	s_add_u32 s2, s2, s4
	s_addc_u32 s3, s3, s5
	s_add_u32 s0, s0, s4
	s_addc_u32 s1, s1, s5
	global_store_dwordx2 v1, v[2:3], s[2:3]
	global_store_dwordx2 v1, v[0:1], s[0:1]
	s_endpgm
	.section	.rodata,"a",@progbits
	.p2align	6, 0x0
	.amdhsa_kernel _ZN2at6native12compute_modeIdLj128EEEvPKT_NS_4cuda6detail10TensorInfoIS2_jEENS7_IljEEll
		.amdhsa_group_segment_fixed_size 8
		.amdhsa_private_segment_fixed_size 0
		.amdhsa_kernarg_size 712
		.amdhsa_user_sgpr_count 6
		.amdhsa_user_sgpr_private_segment_buffer 1
		.amdhsa_user_sgpr_dispatch_ptr 0
		.amdhsa_user_sgpr_queue_ptr 0
		.amdhsa_user_sgpr_kernarg_segment_ptr 1
		.amdhsa_user_sgpr_dispatch_id 0
		.amdhsa_user_sgpr_flat_scratch_init 0
		.amdhsa_user_sgpr_private_segment_size 0
		.amdhsa_uses_dynamic_stack 0
		.amdhsa_system_sgpr_private_segment_wavefront_offset 0
		.amdhsa_system_sgpr_workgroup_id_x 1
		.amdhsa_system_sgpr_workgroup_id_y 1
		.amdhsa_system_sgpr_workgroup_id_z 1
		.amdhsa_system_sgpr_workgroup_info 0
		.amdhsa_system_vgpr_workitem_id 0
		.amdhsa_next_free_vgpr 33
		.amdhsa_next_free_sgpr 22
		.amdhsa_reserve_vcc 1
		.amdhsa_reserve_flat_scratch 0
		.amdhsa_float_round_mode_32 0
		.amdhsa_float_round_mode_16_64 0
		.amdhsa_float_denorm_mode_32 3
		.amdhsa_float_denorm_mode_16_64 3
		.amdhsa_dx10_clamp 1
		.amdhsa_ieee_mode 1
		.amdhsa_fp16_overflow 0
		.amdhsa_exception_fp_ieee_invalid_op 0
		.amdhsa_exception_fp_denorm_src 0
		.amdhsa_exception_fp_ieee_div_zero 0
		.amdhsa_exception_fp_ieee_overflow 0
		.amdhsa_exception_fp_ieee_underflow 0
		.amdhsa_exception_fp_ieee_inexact 0
		.amdhsa_exception_int_div_zero 0
	.end_amdhsa_kernel
	.section	.text._ZN2at6native12compute_modeIdLj128EEEvPKT_NS_4cuda6detail10TensorInfoIS2_jEENS7_IljEEll,"axG",@progbits,_ZN2at6native12compute_modeIdLj128EEEvPKT_NS_4cuda6detail10TensorInfoIS2_jEENS7_IljEEll,comdat
.Lfunc_end92:
	.size	_ZN2at6native12compute_modeIdLj128EEEvPKT_NS_4cuda6detail10TensorInfoIS2_jEENS7_IljEEll, .Lfunc_end92-_ZN2at6native12compute_modeIdLj128EEEvPKT_NS_4cuda6detail10TensorInfoIS2_jEENS7_IljEEll
                                        ; -- End function
	.set _ZN2at6native12compute_modeIdLj128EEEvPKT_NS_4cuda6detail10TensorInfoIS2_jEENS7_IljEEll.num_vgpr, 33
	.set _ZN2at6native12compute_modeIdLj128EEEvPKT_NS_4cuda6detail10TensorInfoIS2_jEENS7_IljEEll.num_agpr, 0
	.set _ZN2at6native12compute_modeIdLj128EEEvPKT_NS_4cuda6detail10TensorInfoIS2_jEENS7_IljEEll.numbered_sgpr, 22
	.set _ZN2at6native12compute_modeIdLj128EEEvPKT_NS_4cuda6detail10TensorInfoIS2_jEENS7_IljEEll.num_named_barrier, 0
	.set _ZN2at6native12compute_modeIdLj128EEEvPKT_NS_4cuda6detail10TensorInfoIS2_jEENS7_IljEEll.private_seg_size, 0
	.set _ZN2at6native12compute_modeIdLj128EEEvPKT_NS_4cuda6detail10TensorInfoIS2_jEENS7_IljEEll.uses_vcc, 1
	.set _ZN2at6native12compute_modeIdLj128EEEvPKT_NS_4cuda6detail10TensorInfoIS2_jEENS7_IljEEll.uses_flat_scratch, 0
	.set _ZN2at6native12compute_modeIdLj128EEEvPKT_NS_4cuda6detail10TensorInfoIS2_jEENS7_IljEEll.has_dyn_sized_stack, 0
	.set _ZN2at6native12compute_modeIdLj128EEEvPKT_NS_4cuda6detail10TensorInfoIS2_jEENS7_IljEEll.has_recursion, 0
	.set _ZN2at6native12compute_modeIdLj128EEEvPKT_NS_4cuda6detail10TensorInfoIS2_jEENS7_IljEEll.has_indirect_call, 0
	.section	.AMDGPU.csdata,"",@progbits
; Kernel info:
; codeLenInByte = 8296
; TotalNumSgprs: 26
; NumVgprs: 33
; ScratchSize: 0
; MemoryBound: 0
; FloatMode: 240
; IeeeMode: 1
; LDSByteSize: 8 bytes/workgroup (compile time only)
; SGPRBlocks: 3
; VGPRBlocks: 8
; NumSGPRsForWavesPerEU: 26
; NumVGPRsForWavesPerEU: 33
; Occupancy: 7
; WaveLimiterHint : 1
; COMPUTE_PGM_RSRC2:SCRATCH_EN: 0
; COMPUTE_PGM_RSRC2:USER_SGPR: 6
; COMPUTE_PGM_RSRC2:TRAP_HANDLER: 0
; COMPUTE_PGM_RSRC2:TGID_X_EN: 1
; COMPUTE_PGM_RSRC2:TGID_Y_EN: 1
; COMPUTE_PGM_RSRC2:TGID_Z_EN: 1
; COMPUTE_PGM_RSRC2:TIDIG_COMP_CNT: 0
	.section	.text._ZN2at6native12compute_modeIfLj2048EEEvPKT_NS_4cuda6detail10TensorInfoIS2_jEENS7_IljEEll,"axG",@progbits,_ZN2at6native12compute_modeIfLj2048EEEvPKT_NS_4cuda6detail10TensorInfoIS2_jEENS7_IljEEll,comdat
	.protected	_ZN2at6native12compute_modeIfLj2048EEEvPKT_NS_4cuda6detail10TensorInfoIS2_jEENS7_IljEEll ; -- Begin function _ZN2at6native12compute_modeIfLj2048EEEvPKT_NS_4cuda6detail10TensorInfoIS2_jEENS7_IljEEll
	.globl	_ZN2at6native12compute_modeIfLj2048EEEvPKT_NS_4cuda6detail10TensorInfoIS2_jEENS7_IljEEll
	.p2align	8
	.type	_ZN2at6native12compute_modeIfLj2048EEEvPKT_NS_4cuda6detail10TensorInfoIS2_jEENS7_IljEEll,@function
_ZN2at6native12compute_modeIfLj2048EEEvPKT_NS_4cuda6detail10TensorInfoIS2_jEENS7_IljEEll: ; @_ZN2at6native12compute_modeIfLj2048EEEvPKT_NS_4cuda6detail10TensorInfoIS2_jEENS7_IljEEll
; %bb.0:
	s_load_dwordx2 s[2:3], s[4:5], 0x1c8
	s_load_dwordx4 s[16:19], s[4:5], 0x1b8
	s_add_u32 s0, s4, 0x1c8
	s_addc_u32 s1, s5, 0
	v_mov_b32_e32 v2, 0
	s_waitcnt lgkmcnt(0)
	s_mul_i32 s3, s3, s8
	s_add_i32 s3, s3, s7
	s_mul_i32 s2, s3, s2
	s_add_i32 s20, s2, s6
	v_mov_b32_e32 v1, s20
	v_cmp_le_i64_e32 vcc, s[18:19], v[1:2]
	s_cbranch_vccnz .LBB93_197
; %bb.1:
	s_load_dwordx2 s[14:15], s[4:5], 0x0
	s_load_dword s6, s[0:1], 0xc
	v_mov_b32_e32 v1, v2
	v_cmp_gt_i64_e32 vcc, s[16:17], v[0:1]
	s_mul_i32 s21, s20, s16
	v_lshl_add_u32 v16, v0, 2, 4
	s_and_saveexec_b64 s[2:3], vcc
	s_cbranch_execz .LBB93_3
; %bb.2:
	v_add_u32_e32 v1, s21, v0
	v_lshlrev_b64 v[3:4], 2, v[1:2]
	s_waitcnt lgkmcnt(0)
	v_mov_b32_e32 v1, s15
	v_add_co_u32_e64 v3, s[0:1], s14, v3
	v_addc_co_u32_e64 v4, s[0:1], v1, v4, s[0:1]
	global_load_dword v1, v[3:4], off
	s_waitcnt vmcnt(0)
	ds_write_b32 v16, v1
.LBB93_3:
	s_or_b64 exec, exec, s[2:3]
	s_waitcnt lgkmcnt(0)
	s_and_b32 s18, 0xffff, s6
	v_add_u32_e32 v1, s18, v0
	v_cmp_gt_i64_e64 s[0:1], s[16:17], v[1:2]
	s_and_saveexec_b64 s[6:7], s[0:1]
	s_cbranch_execz .LBB93_5
; %bb.4:
	v_add_u32_e32 v2, s21, v1
	v_mov_b32_e32 v3, 0
	v_lshlrev_b64 v[2:3], 2, v[2:3]
	v_mov_b32_e32 v4, s15
	v_add_co_u32_e64 v2, s[2:3], s14, v2
	v_addc_co_u32_e64 v3, s[2:3], v4, v3, s[2:3]
	global_load_dword v2, v[2:3], off
	v_lshl_add_u32 v1, v1, 2, 4
	s_waitcnt vmcnt(0)
	ds_write_b32 v1, v2
.LBB93_5:
	s_or_b64 exec, exec, s[6:7]
	v_add_u32_e32 v4, 4, v0
	v_mad_u32_u24 v6, v0, 7, v4
	v_cndmask_b32_e64 v1, 0, 1, vcc
	v_mad_i32_i24 v5, v0, -6, v6
	ds_write_b8 v4, v1 offset:8192
	v_add_u32_e32 v1, s18, v4
	v_cndmask_b32_e64 v2, 0, 1, s[0:1]
	v_mad_u32_u24 v7, v0, 6, v5
	ds_write_b8 v1, v2 offset:8192
	s_waitcnt lgkmcnt(0)
	s_barrier
	s_barrier
	ds_read2_b32 v[1:2], v6 offset1:1
	ds_read_u8 v5, v5 offset:8192
	v_mad_i32_i24 v8, v0, -6, v7
	ds_read_u8 v10, v8 offset:8193
	v_and_b32_e32 v3, 1, v0
	s_waitcnt lgkmcnt(2)
	v_cmp_lt_f32_e32 vcc, v1, v2
	s_waitcnt lgkmcnt(1)
	v_and_b32_e32 v8, 1, v5
	v_cmp_eq_u32_e64 s[0:1], 1, v8
	s_waitcnt lgkmcnt(0)
	v_cmp_ne_u16_e64 s[2:3], v10, v3
	v_cndmask_b32_e64 v8, 0, 1, s[2:3]
	s_and_b64 vcc, vcc, s[0:1]
	v_cndmask_b32_e32 v8, v8, v0, vcc
	v_mul_i32_i24_e32 v9, -6, v0
	v_and_b32_e32 v8, 1, v8
	v_cmp_eq_u32_e32 vcc, 1, v8
	v_add_u32_e32 v8, v6, v9
	v_add_u32_e32 v9, v7, v9
	s_and_saveexec_b64 s[0:1], vcc
	s_cbranch_execz .LBB93_7
; %bb.6:
	ds_write_b32 v6, v2
	ds_write_b32 v7, v1 offset:4
	ds_write_b8 v8, v10 offset:8192
	ds_write_b8 v9, v5 offset:8193
.LBB93_7:
	s_or_b64 exec, exec, s[0:1]
	v_lshlrev_b32_e32 v1, 1, v0
	v_sub_u32_e32 v12, v1, v3
	v_add_u32_e32 v10, 4, v12
	v_lshl_add_u32 v11, v12, 2, 4
	v_mad_i32_i24 v3, v12, 3, v10
	s_waitcnt lgkmcnt(0)
	s_barrier
	ds_read_b32 v2, v11
	ds_read_b32 v13, v3 offset:8
	ds_read_u8 v3, v10 offset:8192
	ds_read_u8 v14, v10 offset:8194
	v_bfe_u32 v15, v0, 1, 1
	v_and_b32_e32 v5, 2, v0
	s_waitcnt lgkmcnt(2)
	v_cmp_lt_f32_e64 s[0:1], v2, v13
	s_waitcnt lgkmcnt(1)
	v_and_b32_e32 v17, 1, v3
	v_cmp_eq_u32_e64 s[2:3], 1, v17
	s_waitcnt lgkmcnt(0)
	v_cmp_ne_u16_e64 s[6:7], v14, v15
	v_cndmask_b32_e64 v17, 0, 1, s[6:7]
	s_and_b64 s[0:1], s[0:1], s[2:3]
	v_cndmask_b32_e64 v15, v17, v15, s[0:1]
	v_mul_i32_i24_e32 v12, 3, v12
	v_and_b32_e32 v15, 1, v15
	v_cmp_ne_u32_e32 vcc, 0, v5
	v_cmp_eq_u32_e64 s[0:1], 1, v15
	v_add_u32_e32 v12, v10, v12
	s_and_saveexec_b64 s[2:3], s[0:1]
	s_xor_b64 s[0:1], exec, s[2:3]
	s_cbranch_execz .LBB93_9
; %bb.8:
	ds_write_b32 v11, v13
	ds_write_b32 v12, v2 offset:8
	ds_write_b8 v10, v14 offset:8192
	ds_write_b8 v10, v3 offset:8194
.LBB93_9:
	s_or_b64 exec, exec, s[0:1]
	s_waitcnt lgkmcnt(0)
	s_barrier
	ds_read2_b32 v[2:3], v6 offset1:1
	ds_read_u8 v13, v8 offset:8192
	ds_read_u8 v14, v9 offset:8193
	v_lshrrev_b32_e32 v5, 1, v5
	s_waitcnt lgkmcnt(2)
	v_cmp_lt_f32_e64 s[0:1], v2, v3
	s_waitcnt lgkmcnt(1)
	v_and_b32_e32 v15, 1, v13
	v_cmp_eq_u32_e64 s[2:3], 1, v15
	s_waitcnt lgkmcnt(0)
	v_cmp_ne_u16_e64 s[6:7], v14, v5
	v_cndmask_b32_e64 v5, 0, 1, s[6:7]
	v_cndmask_b32_e64 v15, 0, 1, vcc
	s_and_b64 vcc, s[0:1], s[2:3]
	v_cndmask_b32_e32 v5, v5, v15, vcc
	v_and_b32_e32 v5, 1, v5
	v_cmp_eq_u32_e32 vcc, 1, v5
	s_and_saveexec_b64 s[0:1], vcc
	s_cbranch_execz .LBB93_11
; %bb.10:
	ds_write_b32 v6, v3
	ds_write_b32 v7, v2 offset:4
	ds_write_b8 v8, v14 offset:8192
	ds_write_b8 v9, v13 offset:8193
.LBB93_11:
	s_or_b64 exec, exec, s[0:1]
	v_and_b32_e32 v3, 3, v0
	v_sub_u32_e32 v15, v1, v3
	v_add_u32_e32 v13, 4, v15
	v_lshl_add_u32 v14, v15, 2, 4
	v_mad_i32_i24 v5, v15, 3, v13
	s_waitcnt lgkmcnt(0)
	s_barrier
	ds_read_b32 v3, v14
	ds_read_b32 v17, v5 offset:16
	ds_read_u8 v5, v13 offset:8192
	ds_read_u8 v18, v13 offset:8196
	v_bfe_u32 v19, v0, 2, 1
	v_and_b32_e32 v2, 4, v0
	s_waitcnt lgkmcnt(2)
	v_cmp_lt_f32_e64 s[0:1], v3, v17
	s_waitcnt lgkmcnt(1)
	v_and_b32_e32 v20, 1, v5
	v_cmp_eq_u32_e64 s[2:3], 1, v20
	s_waitcnt lgkmcnt(0)
	v_cmp_ne_u16_e64 s[6:7], v18, v19
	v_cndmask_b32_e64 v20, 0, 1, s[6:7]
	s_and_b64 s[0:1], s[0:1], s[2:3]
	v_cndmask_b32_e64 v19, v20, v19, s[0:1]
	v_mul_i32_i24_e32 v15, 3, v15
	v_and_b32_e32 v19, 1, v19
	v_cmp_ne_u32_e32 vcc, 0, v2
	v_cmp_eq_u32_e64 s[0:1], 1, v19
	v_add_u32_e32 v15, v13, v15
	s_and_saveexec_b64 s[2:3], s[0:1]
	s_cbranch_execz .LBB93_13
; %bb.12:
	ds_write_b32 v14, v17
	ds_write_b32 v15, v3 offset:16
	ds_write_b8 v13, v18 offset:8192
	ds_write_b8 v13, v5 offset:8196
.LBB93_13:
	s_or_b64 exec, exec, s[2:3]
	s_waitcnt lgkmcnt(0)
	s_barrier
	ds_read_b32 v3, v11
	ds_read_b32 v19, v12 offset:8
	ds_read_u8 v18, v10 offset:8192
	ds_read_u8 v20, v10 offset:8194
	v_lshrrev_b32_e32 v5, 2, v2
	v_cndmask_b32_e64 v17, 0, 1, vcc
	s_waitcnt lgkmcnt(2)
	v_cmp_lt_f32_e64 s[0:1], v3, v19
	s_waitcnt lgkmcnt(1)
	v_and_b32_e32 v2, 1, v18
	v_cmp_eq_u32_e64 s[2:3], 1, v2
	s_waitcnt lgkmcnt(0)
	v_cmp_ne_u16_e64 s[6:7], v20, v5
	v_cndmask_b32_e64 v2, 0, 1, s[6:7]
	s_and_b64 vcc, s[0:1], s[2:3]
	v_cndmask_b32_e32 v2, v2, v17, vcc
	v_and_b32_e32 v2, 1, v2
	v_cmp_eq_u32_e32 vcc, 1, v2
	s_and_saveexec_b64 s[0:1], vcc
	s_cbranch_execz .LBB93_15
; %bb.14:
	ds_write_b32 v11, v19
	ds_write_b32 v12, v3 offset:8
	ds_write_b8 v10, v20 offset:8192
	ds_write_b8 v10, v18 offset:8194
.LBB93_15:
	s_or_b64 exec, exec, s[0:1]
	s_waitcnt lgkmcnt(0)
	s_barrier
	ds_read2_b32 v[2:3], v6 offset1:1
	ds_read_u8 v18, v8 offset:8192
	ds_read_u8 v19, v9 offset:8193
	s_waitcnt lgkmcnt(2)
	v_cmp_lt_f32_e32 vcc, v2, v3
	s_waitcnt lgkmcnt(1)
	v_and_b32_e32 v20, 1, v18
	v_cmp_eq_u32_e64 s[0:1], 1, v20
	s_waitcnt lgkmcnt(0)
	v_cmp_ne_u16_e64 s[2:3], v19, v5
	v_cndmask_b32_e64 v5, 0, 1, s[2:3]
	s_and_b64 vcc, vcc, s[0:1]
	v_cndmask_b32_e32 v5, v5, v17, vcc
	v_and_b32_e32 v5, 1, v5
	v_cmp_eq_u32_e32 vcc, 1, v5
	s_and_saveexec_b64 s[0:1], vcc
	s_cbranch_execz .LBB93_17
; %bb.16:
	ds_write_b32 v6, v3
	ds_write_b32 v7, v2 offset:4
	ds_write_b8 v8, v19 offset:8192
	ds_write_b8 v9, v18 offset:8193
.LBB93_17:
	s_or_b64 exec, exec, s[0:1]
	v_and_b32_e32 v3, 7, v0
	v_sub_u32_e32 v19, v1, v3
	v_add_u32_e32 v17, 4, v19
	v_lshl_add_u32 v18, v19, 2, 4
	v_mad_i32_i24 v5, v19, 3, v17
	s_waitcnt lgkmcnt(0)
	s_barrier
	ds_read_b32 v3, v18
	ds_read_b32 v20, v5 offset:32
	ds_read_u8 v5, v17 offset:8192
	ds_read_u8 v21, v17 offset:8200
	v_bfe_u32 v22, v0, 3, 1
	v_and_b32_e32 v2, 8, v0
	s_waitcnt lgkmcnt(2)
	v_cmp_lt_f32_e64 s[0:1], v3, v20
	s_waitcnt lgkmcnt(1)
	v_and_b32_e32 v23, 1, v5
	v_cmp_eq_u32_e64 s[2:3], 1, v23
	s_waitcnt lgkmcnt(0)
	v_cmp_ne_u16_e64 s[6:7], v21, v22
	v_cndmask_b32_e64 v23, 0, 1, s[6:7]
	s_and_b64 s[0:1], s[0:1], s[2:3]
	v_cndmask_b32_e64 v22, v23, v22, s[0:1]
	v_mul_i32_i24_e32 v19, 3, v19
	v_and_b32_e32 v22, 1, v22
	v_cmp_ne_u32_e32 vcc, 0, v2
	v_cmp_eq_u32_e64 s[0:1], 1, v22
	v_add_u32_e32 v19, v17, v19
	s_and_saveexec_b64 s[2:3], s[0:1]
	s_cbranch_execz .LBB93_19
; %bb.18:
	ds_write_b32 v18, v20
	ds_write_b32 v19, v3 offset:32
	ds_write_b8 v17, v21 offset:8192
	ds_write_b8 v17, v5 offset:8200
.LBB93_19:
	s_or_b64 exec, exec, s[2:3]
	s_waitcnt lgkmcnt(0)
	s_barrier
	ds_read_b32 v3, v14
	ds_read_b32 v22, v15 offset:16
	ds_read_u8 v21, v13 offset:8192
	ds_read_u8 v23, v13 offset:8196
	v_lshrrev_b32_e32 v5, 3, v2
	v_cndmask_b32_e64 v20, 0, 1, vcc
	s_waitcnt lgkmcnt(2)
	v_cmp_lt_f32_e64 s[0:1], v3, v22
	s_waitcnt lgkmcnt(1)
	v_and_b32_e32 v2, 1, v21
	v_cmp_eq_u32_e64 s[2:3], 1, v2
	s_waitcnt lgkmcnt(0)
	v_cmp_ne_u16_e64 s[6:7], v23, v5
	v_cndmask_b32_e64 v2, 0, 1, s[6:7]
	s_and_b64 vcc, s[0:1], s[2:3]
	v_cndmask_b32_e32 v2, v2, v20, vcc
	v_and_b32_e32 v2, 1, v2
	v_cmp_eq_u32_e32 vcc, 1, v2
	s_and_saveexec_b64 s[0:1], vcc
	s_cbranch_execz .LBB93_21
; %bb.20:
	ds_write_b32 v14, v22
	ds_write_b32 v15, v3 offset:16
	ds_write_b8 v13, v23 offset:8192
	ds_write_b8 v13, v21 offset:8196
.LBB93_21:
	s_or_b64 exec, exec, s[0:1]
	s_waitcnt lgkmcnt(0)
	s_barrier
	ds_read_b32 v2, v11
	ds_read_b32 v21, v12 offset:8
	ds_read_u8 v3, v10 offset:8192
	ds_read_u8 v22, v10 offset:8194
	s_waitcnt lgkmcnt(2)
	v_cmp_lt_f32_e32 vcc, v2, v21
	s_waitcnt lgkmcnt(1)
	v_and_b32_e32 v23, 1, v3
	v_cmp_eq_u32_e64 s[0:1], 1, v23
	s_waitcnt lgkmcnt(0)
	v_cmp_ne_u16_e64 s[2:3], v22, v5
	v_cndmask_b32_e64 v23, 0, 1, s[2:3]
	s_and_b64 vcc, vcc, s[0:1]
	v_cndmask_b32_e32 v23, v23, v20, vcc
	v_and_b32_e32 v23, 1, v23
	v_cmp_eq_u32_e32 vcc, 1, v23
	s_and_saveexec_b64 s[0:1], vcc
	s_cbranch_execz .LBB93_23
; %bb.22:
	ds_write_b32 v11, v21
	ds_write_b32 v12, v2 offset:8
	ds_write_b8 v10, v22 offset:8192
	ds_write_b8 v10, v3 offset:8194
.LBB93_23:
	s_or_b64 exec, exec, s[0:1]
	s_waitcnt lgkmcnt(0)
	s_barrier
	ds_read2_b32 v[2:3], v6 offset1:1
	ds_read_u8 v21, v8 offset:8192
	ds_read_u8 v22, v9 offset:8193
	s_waitcnt lgkmcnt(2)
	v_cmp_lt_f32_e32 vcc, v2, v3
	s_waitcnt lgkmcnt(1)
	v_and_b32_e32 v23, 1, v21
	v_cmp_eq_u32_e64 s[0:1], 1, v23
	s_waitcnt lgkmcnt(0)
	v_cmp_ne_u16_e64 s[2:3], v22, v5
	v_cndmask_b32_e64 v5, 0, 1, s[2:3]
	s_and_b64 vcc, vcc, s[0:1]
	v_cndmask_b32_e32 v5, v5, v20, vcc
	v_and_b32_e32 v5, 1, v5
	v_cmp_eq_u32_e32 vcc, 1, v5
	s_and_saveexec_b64 s[0:1], vcc
	s_cbranch_execz .LBB93_25
; %bb.24:
	ds_write_b32 v6, v3
	ds_write_b32 v7, v2 offset:4
	ds_write_b8 v8, v22 offset:8192
	ds_write_b8 v9, v21 offset:8193
.LBB93_25:
	s_or_b64 exec, exec, s[0:1]
	v_and_b32_e32 v3, 15, v0
	v_sub_u32_e32 v22, v1, v3
	v_add_u32_e32 v20, 4, v22
	v_lshl_add_u32 v21, v22, 2, 4
	v_mad_i32_i24 v5, v22, 3, v20
	s_waitcnt lgkmcnt(0)
	s_barrier
	ds_read_b32 v3, v21
	ds_read_b32 v23, v5 offset:64
	ds_read_u8 v5, v20 offset:8192
	ds_read_u8 v24, v20 offset:8208
	v_bfe_u32 v25, v0, 4, 1
	v_and_b32_e32 v2, 16, v0
	s_waitcnt lgkmcnt(2)
	v_cmp_lt_f32_e64 s[0:1], v3, v23
	s_waitcnt lgkmcnt(1)
	v_and_b32_e32 v26, 1, v5
	v_cmp_eq_u32_e64 s[2:3], 1, v26
	s_waitcnt lgkmcnt(0)
	v_cmp_ne_u16_e64 s[6:7], v24, v25
	v_cndmask_b32_e64 v26, 0, 1, s[6:7]
	s_and_b64 s[0:1], s[0:1], s[2:3]
	v_cndmask_b32_e64 v25, v26, v25, s[0:1]
	v_mul_i32_i24_e32 v22, 3, v22
	v_and_b32_e32 v25, 1, v25
	v_cmp_ne_u32_e32 vcc, 0, v2
	v_cmp_eq_u32_e64 s[0:1], 1, v25
	v_add_u32_e32 v22, v20, v22
	s_and_saveexec_b64 s[2:3], s[0:1]
	s_cbranch_execz .LBB93_27
; %bb.26:
	ds_write_b32 v21, v23
	ds_write_b32 v22, v3 offset:64
	ds_write_b8 v20, v24 offset:8192
	ds_write_b8 v20, v5 offset:8208
.LBB93_27:
	s_or_b64 exec, exec, s[2:3]
	s_waitcnt lgkmcnt(0)
	s_barrier
	ds_read_b32 v3, v18
	ds_read_b32 v25, v19 offset:32
	ds_read_u8 v24, v17 offset:8192
	ds_read_u8 v26, v17 offset:8200
	v_lshrrev_b32_e32 v5, 4, v2
	v_cndmask_b32_e64 v23, 0, 1, vcc
	s_waitcnt lgkmcnt(2)
	v_cmp_lt_f32_e64 s[0:1], v3, v25
	s_waitcnt lgkmcnt(1)
	v_and_b32_e32 v2, 1, v24
	v_cmp_eq_u32_e64 s[2:3], 1, v2
	s_waitcnt lgkmcnt(0)
	v_cmp_ne_u16_e64 s[6:7], v26, v5
	v_cndmask_b32_e64 v2, 0, 1, s[6:7]
	s_and_b64 vcc, s[0:1], s[2:3]
	v_cndmask_b32_e32 v2, v2, v23, vcc
	v_and_b32_e32 v2, 1, v2
	v_cmp_eq_u32_e32 vcc, 1, v2
	s_and_saveexec_b64 s[0:1], vcc
	s_cbranch_execz .LBB93_29
; %bb.28:
	ds_write_b32 v18, v25
	ds_write_b32 v19, v3 offset:32
	ds_write_b8 v17, v26 offset:8192
	ds_write_b8 v17, v24 offset:8200
.LBB93_29:
	s_or_b64 exec, exec, s[0:1]
	s_waitcnt lgkmcnt(0)
	s_barrier
	ds_read_b32 v2, v14
	ds_read_b32 v24, v15 offset:16
	ds_read_u8 v3, v13 offset:8192
	ds_read_u8 v25, v13 offset:8196
	s_waitcnt lgkmcnt(2)
	v_cmp_lt_f32_e32 vcc, v2, v24
	s_waitcnt lgkmcnt(1)
	v_and_b32_e32 v26, 1, v3
	v_cmp_eq_u32_e64 s[0:1], 1, v26
	s_waitcnt lgkmcnt(0)
	v_cmp_ne_u16_e64 s[2:3], v25, v5
	v_cndmask_b32_e64 v26, 0, 1, s[2:3]
	s_and_b64 vcc, vcc, s[0:1]
	v_cndmask_b32_e32 v26, v26, v23, vcc
	v_and_b32_e32 v26, 1, v26
	v_cmp_eq_u32_e32 vcc, 1, v26
	s_and_saveexec_b64 s[0:1], vcc
	s_cbranch_execz .LBB93_31
; %bb.30:
	ds_write_b32 v14, v24
	ds_write_b32 v15, v2 offset:16
	ds_write_b8 v13, v25 offset:8192
	ds_write_b8 v13, v3 offset:8196
.LBB93_31:
	s_or_b64 exec, exec, s[0:1]
	s_waitcnt lgkmcnt(0)
	s_barrier
	ds_read_b32 v2, v11
	ds_read_b32 v24, v12 offset:8
	ds_read_u8 v3, v10 offset:8192
	ds_read_u8 v25, v10 offset:8194
	s_waitcnt lgkmcnt(2)
	v_cmp_lt_f32_e32 vcc, v2, v24
	s_waitcnt lgkmcnt(1)
	v_and_b32_e32 v26, 1, v3
	v_cmp_eq_u32_e64 s[0:1], 1, v26
	s_waitcnt lgkmcnt(0)
	v_cmp_ne_u16_e64 s[2:3], v25, v5
	v_cndmask_b32_e64 v26, 0, 1, s[2:3]
	s_and_b64 vcc, vcc, s[0:1]
	v_cndmask_b32_e32 v26, v26, v23, vcc
	v_and_b32_e32 v26, 1, v26
	v_cmp_eq_u32_e32 vcc, 1, v26
	s_and_saveexec_b64 s[0:1], vcc
	s_cbranch_execz .LBB93_33
; %bb.32:
	ds_write_b32 v11, v24
	ds_write_b32 v12, v2 offset:8
	ds_write_b8 v10, v25 offset:8192
	ds_write_b8 v10, v3 offset:8194
.LBB93_33:
	s_or_b64 exec, exec, s[0:1]
	s_waitcnt lgkmcnt(0)
	s_barrier
	ds_read2_b32 v[2:3], v6 offset1:1
	ds_read_u8 v24, v8 offset:8192
	ds_read_u8 v25, v9 offset:8193
	s_waitcnt lgkmcnt(2)
	v_cmp_lt_f32_e32 vcc, v2, v3
	s_waitcnt lgkmcnt(1)
	v_and_b32_e32 v26, 1, v24
	v_cmp_eq_u32_e64 s[0:1], 1, v26
	s_waitcnt lgkmcnt(0)
	v_cmp_ne_u16_e64 s[2:3], v25, v5
	v_cndmask_b32_e64 v5, 0, 1, s[2:3]
	s_and_b64 vcc, vcc, s[0:1]
	v_cndmask_b32_e32 v5, v5, v23, vcc
	v_and_b32_e32 v5, 1, v5
	v_cmp_eq_u32_e32 vcc, 1, v5
	s_and_saveexec_b64 s[0:1], vcc
	s_cbranch_execz .LBB93_35
; %bb.34:
	ds_write_b32 v6, v3
	ds_write_b32 v7, v2 offset:4
	ds_write_b8 v8, v25 offset:8192
	ds_write_b8 v9, v24 offset:8193
.LBB93_35:
	s_or_b64 exec, exec, s[0:1]
	v_and_b32_e32 v3, 31, v0
	v_sub_u32_e32 v25, v1, v3
	v_add_u32_e32 v23, 4, v25
	v_lshl_add_u32 v24, v25, 2, 4
	v_mad_i32_i24 v5, v25, 3, v23
	s_waitcnt lgkmcnt(0)
	s_barrier
	ds_read_b32 v3, v24
	ds_read_b32 v26, v5 offset:128
	ds_read_u8 v5, v23 offset:8192
	ds_read_u8 v27, v23 offset:8224
	v_bfe_u32 v28, v0, 5, 1
	v_and_b32_e32 v2, 32, v0
	s_waitcnt lgkmcnt(2)
	v_cmp_lt_f32_e64 s[0:1], v3, v26
	s_waitcnt lgkmcnt(1)
	v_and_b32_e32 v29, 1, v5
	v_cmp_eq_u32_e64 s[2:3], 1, v29
	s_waitcnt lgkmcnt(0)
	v_cmp_ne_u16_e64 s[6:7], v27, v28
	v_cndmask_b32_e64 v29, 0, 1, s[6:7]
	s_and_b64 s[0:1], s[0:1], s[2:3]
	v_cndmask_b32_e64 v28, v29, v28, s[0:1]
	v_mul_i32_i24_e32 v25, 3, v25
	v_and_b32_e32 v28, 1, v28
	v_cmp_ne_u32_e32 vcc, 0, v2
	v_cmp_eq_u32_e64 s[0:1], 1, v28
	v_add_u32_e32 v25, v23, v25
	s_and_saveexec_b64 s[2:3], s[0:1]
	s_cbranch_execz .LBB93_37
; %bb.36:
	ds_write_b32 v24, v26
	ds_write_b32 v25, v3 offset:128
	ds_write_b8 v23, v27 offset:8192
	ds_write_b8 v23, v5 offset:8224
.LBB93_37:
	s_or_b64 exec, exec, s[2:3]
	s_waitcnt lgkmcnt(0)
	s_barrier
	ds_read_b32 v3, v21
	ds_read_b32 v28, v22 offset:64
	ds_read_u8 v27, v20 offset:8192
	ds_read_u8 v29, v20 offset:8208
	v_lshrrev_b32_e32 v5, 5, v2
	v_cndmask_b32_e64 v26, 0, 1, vcc
	s_waitcnt lgkmcnt(2)
	v_cmp_lt_f32_e64 s[0:1], v3, v28
	s_waitcnt lgkmcnt(1)
	v_and_b32_e32 v2, 1, v27
	v_cmp_eq_u32_e64 s[2:3], 1, v2
	s_waitcnt lgkmcnt(0)
	v_cmp_ne_u16_e64 s[6:7], v29, v5
	v_cndmask_b32_e64 v2, 0, 1, s[6:7]
	s_and_b64 vcc, s[0:1], s[2:3]
	v_cndmask_b32_e32 v2, v2, v26, vcc
	v_and_b32_e32 v2, 1, v2
	v_cmp_eq_u32_e32 vcc, 1, v2
	s_and_saveexec_b64 s[0:1], vcc
	s_cbranch_execz .LBB93_39
; %bb.38:
	ds_write_b32 v21, v28
	ds_write_b32 v22, v3 offset:64
	ds_write_b8 v20, v29 offset:8192
	ds_write_b8 v20, v27 offset:8208
.LBB93_39:
	s_or_b64 exec, exec, s[0:1]
	s_waitcnt lgkmcnt(0)
	s_barrier
	ds_read_b32 v2, v18
	ds_read_b32 v27, v19 offset:32
	ds_read_u8 v3, v17 offset:8192
	ds_read_u8 v28, v17 offset:8200
	s_waitcnt lgkmcnt(2)
	v_cmp_lt_f32_e32 vcc, v2, v27
	s_waitcnt lgkmcnt(1)
	v_and_b32_e32 v29, 1, v3
	v_cmp_eq_u32_e64 s[0:1], 1, v29
	s_waitcnt lgkmcnt(0)
	v_cmp_ne_u16_e64 s[2:3], v28, v5
	v_cndmask_b32_e64 v29, 0, 1, s[2:3]
	s_and_b64 vcc, vcc, s[0:1]
	v_cndmask_b32_e32 v29, v29, v26, vcc
	v_and_b32_e32 v29, 1, v29
	v_cmp_eq_u32_e32 vcc, 1, v29
	s_and_saveexec_b64 s[0:1], vcc
	s_cbranch_execz .LBB93_41
; %bb.40:
	ds_write_b32 v18, v27
	ds_write_b32 v19, v2 offset:32
	ds_write_b8 v17, v28 offset:8192
	ds_write_b8 v17, v3 offset:8200
.LBB93_41:
	s_or_b64 exec, exec, s[0:1]
	s_waitcnt lgkmcnt(0)
	s_barrier
	ds_read_b32 v2, v14
	ds_read_b32 v27, v15 offset:16
	ds_read_u8 v3, v13 offset:8192
	ds_read_u8 v28, v13 offset:8196
	s_waitcnt lgkmcnt(2)
	v_cmp_lt_f32_e32 vcc, v2, v27
	s_waitcnt lgkmcnt(1)
	v_and_b32_e32 v29, 1, v3
	v_cmp_eq_u32_e64 s[0:1], 1, v29
	s_waitcnt lgkmcnt(0)
	v_cmp_ne_u16_e64 s[2:3], v28, v5
	v_cndmask_b32_e64 v29, 0, 1, s[2:3]
	s_and_b64 vcc, vcc, s[0:1]
	;; [unrolled: 27-line block ×3, first 2 shown]
	v_cndmask_b32_e32 v29, v29, v26, vcc
	v_and_b32_e32 v29, 1, v29
	v_cmp_eq_u32_e32 vcc, 1, v29
	s_and_saveexec_b64 s[0:1], vcc
	s_cbranch_execz .LBB93_45
; %bb.44:
	ds_write_b32 v11, v27
	ds_write_b32 v12, v2 offset:8
	ds_write_b8 v10, v28 offset:8192
	ds_write_b8 v10, v3 offset:8194
.LBB93_45:
	s_or_b64 exec, exec, s[0:1]
	s_waitcnt lgkmcnt(0)
	s_barrier
	ds_read2_b32 v[2:3], v6 offset1:1
	ds_read_u8 v27, v8 offset:8192
	ds_read_u8 v28, v9 offset:8193
	s_waitcnt lgkmcnt(2)
	v_cmp_lt_f32_e32 vcc, v2, v3
	s_waitcnt lgkmcnt(1)
	v_and_b32_e32 v29, 1, v27
	v_cmp_eq_u32_e64 s[0:1], 1, v29
	s_waitcnt lgkmcnt(0)
	v_cmp_ne_u16_e64 s[2:3], v28, v5
	v_cndmask_b32_e64 v5, 0, 1, s[2:3]
	s_and_b64 vcc, vcc, s[0:1]
	v_cndmask_b32_e32 v5, v5, v26, vcc
	v_and_b32_e32 v5, 1, v5
	v_cmp_eq_u32_e32 vcc, 1, v5
	s_and_saveexec_b64 s[0:1], vcc
	s_cbranch_execz .LBB93_47
; %bb.46:
	ds_write_b32 v6, v3
	ds_write_b32 v7, v2 offset:4
	ds_write_b8 v8, v28 offset:8192
	ds_write_b8 v9, v27 offset:8193
.LBB93_47:
	s_or_b64 exec, exec, s[0:1]
	v_and_b32_e32 v5, 63, v0
	v_sub_u32_e32 v28, v1, v5
	v_add_u32_e32 v26, 4, v28
	v_lshl_add_u32 v27, v28, 2, 4
	v_mad_i32_i24 v29, v28, 3, v26
	s_waitcnt lgkmcnt(0)
	s_barrier
	ds_read_b32 v3, v27
	ds_read_b32 v30, v29 offset:256
	ds_read_u8 v29, v26 offset:8192
	ds_read_u8 v31, v26 offset:8256
	v_bfe_u32 v32, v0, 6, 1
	v_and_b32_e32 v2, 64, v0
	s_waitcnt lgkmcnt(2)
	v_cmp_lt_f32_e64 s[0:1], v3, v30
	s_waitcnt lgkmcnt(1)
	v_and_b32_e32 v33, 1, v29
	v_cmp_eq_u32_e64 s[2:3], 1, v33
	s_waitcnt lgkmcnt(0)
	v_cmp_ne_u16_e64 s[6:7], v31, v32
	v_cndmask_b32_e64 v33, 0, 1, s[6:7]
	s_and_b64 s[0:1], s[0:1], s[2:3]
	v_cndmask_b32_e64 v32, v33, v32, s[0:1]
	v_mul_i32_i24_e32 v28, 3, v28
	v_and_b32_e32 v32, 1, v32
	v_cmp_ne_u32_e32 vcc, 0, v2
	v_cmp_eq_u32_e64 s[0:1], 1, v32
	v_add_u32_e32 v28, v26, v28
	s_and_saveexec_b64 s[2:3], s[0:1]
	s_cbranch_execz .LBB93_49
; %bb.48:
	ds_write_b32 v27, v30
	ds_write_b32 v28, v3 offset:256
	ds_write_b8 v26, v31 offset:8192
	ds_write_b8 v26, v29 offset:8256
.LBB93_49:
	s_or_b64 exec, exec, s[2:3]
	s_waitcnt lgkmcnt(0)
	s_barrier
	ds_read_b32 v3, v24
	ds_read_b32 v32, v25 offset:128
	ds_read_u8 v31, v23 offset:8192
	ds_read_u8 v33, v23 offset:8224
	v_lshrrev_b32_e32 v29, 6, v2
	v_cndmask_b32_e64 v30, 0, 1, vcc
	s_waitcnt lgkmcnt(2)
	v_cmp_lt_f32_e64 s[0:1], v3, v32
	s_waitcnt lgkmcnt(1)
	v_and_b32_e32 v2, 1, v31
	v_cmp_eq_u32_e64 s[2:3], 1, v2
	s_waitcnt lgkmcnt(0)
	v_cmp_ne_u16_e64 s[6:7], v33, v29
	v_cndmask_b32_e64 v2, 0, 1, s[6:7]
	s_and_b64 vcc, s[0:1], s[2:3]
	v_cndmask_b32_e32 v2, v2, v30, vcc
	v_and_b32_e32 v2, 1, v2
	v_cmp_eq_u32_e32 vcc, 1, v2
	s_and_saveexec_b64 s[0:1], vcc
	s_cbranch_execz .LBB93_51
; %bb.50:
	ds_write_b32 v24, v32
	ds_write_b32 v25, v3 offset:128
	ds_write_b8 v23, v33 offset:8192
	ds_write_b8 v23, v31 offset:8224
.LBB93_51:
	s_or_b64 exec, exec, s[0:1]
	s_waitcnt lgkmcnt(0)
	s_barrier
	ds_read_b32 v2, v21
	ds_read_b32 v31, v22 offset:64
	ds_read_u8 v3, v20 offset:8192
	ds_read_u8 v32, v20 offset:8208
	s_waitcnt lgkmcnt(2)
	v_cmp_lt_f32_e32 vcc, v2, v31
	s_waitcnt lgkmcnt(1)
	v_and_b32_e32 v33, 1, v3
	v_cmp_eq_u32_e64 s[0:1], 1, v33
	s_waitcnt lgkmcnt(0)
	v_cmp_ne_u16_e64 s[2:3], v32, v29
	v_cndmask_b32_e64 v33, 0, 1, s[2:3]
	s_and_b64 vcc, vcc, s[0:1]
	v_cndmask_b32_e32 v33, v33, v30, vcc
	v_and_b32_e32 v33, 1, v33
	v_cmp_eq_u32_e32 vcc, 1, v33
	s_and_saveexec_b64 s[0:1], vcc
	s_cbranch_execz .LBB93_53
; %bb.52:
	ds_write_b32 v21, v31
	ds_write_b32 v22, v2 offset:64
	ds_write_b8 v20, v32 offset:8192
	ds_write_b8 v20, v3 offset:8208
.LBB93_53:
	s_or_b64 exec, exec, s[0:1]
	s_waitcnt lgkmcnt(0)
	s_barrier
	ds_read_b32 v2, v18
	ds_read_b32 v31, v19 offset:32
	ds_read_u8 v3, v17 offset:8192
	ds_read_u8 v32, v17 offset:8200
	s_waitcnt lgkmcnt(2)
	v_cmp_lt_f32_e32 vcc, v2, v31
	s_waitcnt lgkmcnt(1)
	v_and_b32_e32 v33, 1, v3
	v_cmp_eq_u32_e64 s[0:1], 1, v33
	s_waitcnt lgkmcnt(0)
	v_cmp_ne_u16_e64 s[2:3], v32, v29
	v_cndmask_b32_e64 v33, 0, 1, s[2:3]
	s_and_b64 vcc, vcc, s[0:1]
	;; [unrolled: 27-line block ×4, first 2 shown]
	v_cndmask_b32_e32 v33, v33, v30, vcc
	v_and_b32_e32 v33, 1, v33
	v_cmp_eq_u32_e32 vcc, 1, v33
	s_and_saveexec_b64 s[0:1], vcc
	s_cbranch_execz .LBB93_59
; %bb.58:
	ds_write_b32 v11, v31
	ds_write_b32 v12, v2 offset:8
	ds_write_b8 v10, v32 offset:8192
	ds_write_b8 v10, v3 offset:8194
.LBB93_59:
	s_or_b64 exec, exec, s[0:1]
	s_waitcnt lgkmcnt(0)
	s_barrier
	ds_read2_b32 v[2:3], v6 offset1:1
	ds_read_u8 v31, v8 offset:8192
	ds_read_u8 v32, v9 offset:8193
	s_waitcnt lgkmcnt(2)
	v_cmp_lt_f32_e32 vcc, v2, v3
	s_waitcnt lgkmcnt(1)
	v_and_b32_e32 v33, 1, v31
	v_cmp_eq_u32_e64 s[0:1], 1, v33
	s_waitcnt lgkmcnt(0)
	v_cmp_ne_u16_e64 s[2:3], v32, v29
	v_cndmask_b32_e64 v29, 0, 1, s[2:3]
	s_and_b64 vcc, vcc, s[0:1]
	v_cndmask_b32_e32 v29, v29, v30, vcc
	v_and_b32_e32 v29, 1, v29
	v_cmp_eq_u32_e32 vcc, 1, v29
	s_and_saveexec_b64 s[0:1], vcc
	s_cbranch_execz .LBB93_61
; %bb.60:
	ds_write_b32 v6, v3
	ds_write_b32 v7, v2 offset:4
	ds_write_b8 v8, v32 offset:8192
	ds_write_b8 v9, v31 offset:8193
.LBB93_61:
	s_or_b64 exec, exec, s[0:1]
	v_and_b32_e32 v2, 0x80, v0
	v_cmp_ne_u32_e32 vcc, 0, v2
	v_and_b32_e32 v2, 0x7f, v0
	v_sub_u32_e32 v35, v1, v2
	v_add_u32_e32 v29, 4, v35
	v_lshl_add_u32 v30, v35, 2, 4
	v_mad_i32_i24 v3, v35, 3, v29
	s_waitcnt lgkmcnt(0)
	s_barrier
	ds_read_b32 v2, v30
	ds_read_b32 v33, v3 offset:512
	ds_read_u8 v3, v29 offset:8192
	ds_read_u8 v34, v29 offset:8320
	v_lshrrev_b32_e32 v31, 7, v0
	v_and_b32_e32 v32, 1, v31
	s_waitcnt lgkmcnt(2)
	v_cmp_lt_f32_e64 s[0:1], v2, v33
	s_waitcnt lgkmcnt(1)
	v_and_b32_e32 v36, 1, v3
	v_cmp_eq_u32_e64 s[2:3], 1, v36
	s_waitcnt lgkmcnt(0)
	v_cmp_ne_u16_e64 s[6:7], v34, v32
	v_cndmask_b32_e64 v36, 0, 1, s[6:7]
	s_and_b64 s[0:1], s[0:1], s[2:3]
	v_cndmask_b32_e64 v31, v36, v31, s[0:1]
	v_mul_i32_i24_e32 v35, 3, v35
	v_and_b32_e32 v31, 1, v31
	v_cmp_eq_u32_e64 s[0:1], 1, v31
	v_add_u32_e32 v31, v29, v35
	s_and_saveexec_b64 s[2:3], s[0:1]
	s_cbranch_execz .LBB93_63
; %bb.62:
	ds_write_b32 v30, v33
	ds_write_b32 v31, v2 offset:512
	ds_write_b8 v29, v34 offset:8192
	ds_write_b8 v29, v3 offset:8320
.LBB93_63:
	s_or_b64 exec, exec, s[2:3]
	s_waitcnt lgkmcnt(0)
	s_barrier
	ds_read_b32 v2, v27
	ds_read_b32 v34, v28 offset:256
	ds_read_u8 v3, v26 offset:8192
	ds_read_u8 v35, v26 offset:8256
	s_waitcnt lgkmcnt(2)
	v_cmp_lt_f32_e64 s[0:1], v2, v34
	s_waitcnt lgkmcnt(1)
	v_and_b32_e32 v33, 1, v3
	v_cmp_eq_u32_e64 s[2:3], 1, v33
	s_waitcnt lgkmcnt(0)
	v_cmp_ne_u16_e64 s[6:7], v35, v32
	v_cndmask_b32_e64 v36, 0, 1, s[6:7]
	v_cndmask_b32_e64 v33, 0, 1, vcc
	s_and_b64 vcc, s[0:1], s[2:3]
	v_cndmask_b32_e32 v36, v36, v33, vcc
	v_and_b32_e32 v36, 1, v36
	v_cmp_eq_u32_e32 vcc, 1, v36
	s_and_saveexec_b64 s[0:1], vcc
	s_cbranch_execz .LBB93_65
; %bb.64:
	ds_write_b32 v27, v34
	ds_write_b32 v28, v2 offset:256
	ds_write_b8 v26, v35 offset:8192
	ds_write_b8 v26, v3 offset:8256
.LBB93_65:
	s_or_b64 exec, exec, s[0:1]
	s_waitcnt lgkmcnt(0)
	s_barrier
	ds_read_b32 v2, v24
	ds_read_b32 v34, v25 offset:128
	ds_read_u8 v3, v23 offset:8192
	ds_read_u8 v35, v23 offset:8224
	s_waitcnt lgkmcnt(2)
	v_cmp_lt_f32_e32 vcc, v2, v34
	s_waitcnt lgkmcnt(1)
	v_and_b32_e32 v36, 1, v3
	v_cmp_eq_u32_e64 s[0:1], 1, v36
	s_waitcnt lgkmcnt(0)
	v_cmp_ne_u16_e64 s[2:3], v35, v32
	v_cndmask_b32_e64 v36, 0, 1, s[2:3]
	s_and_b64 vcc, vcc, s[0:1]
	v_cndmask_b32_e32 v36, v36, v33, vcc
	v_and_b32_e32 v36, 1, v36
	v_cmp_eq_u32_e32 vcc, 1, v36
	s_and_saveexec_b64 s[0:1], vcc
	s_cbranch_execz .LBB93_67
; %bb.66:
	ds_write_b32 v24, v34
	ds_write_b32 v25, v2 offset:128
	ds_write_b8 v23, v35 offset:8192
	ds_write_b8 v23, v3 offset:8224
.LBB93_67:
	s_or_b64 exec, exec, s[0:1]
	s_waitcnt lgkmcnt(0)
	s_barrier
	ds_read_b32 v2, v21
	ds_read_b32 v34, v22 offset:64
	ds_read_u8 v3, v20 offset:8192
	ds_read_u8 v35, v20 offset:8208
	s_waitcnt lgkmcnt(2)
	v_cmp_lt_f32_e32 vcc, v2, v34
	s_waitcnt lgkmcnt(1)
	v_and_b32_e32 v36, 1, v3
	v_cmp_eq_u32_e64 s[0:1], 1, v36
	s_waitcnt lgkmcnt(0)
	v_cmp_ne_u16_e64 s[2:3], v35, v32
	v_cndmask_b32_e64 v36, 0, 1, s[2:3]
	s_and_b64 vcc, vcc, s[0:1]
	;; [unrolled: 27-line block ×5, first 2 shown]
	v_cndmask_b32_e32 v36, v36, v33, vcc
	v_and_b32_e32 v36, 1, v36
	v_cmp_eq_u32_e32 vcc, 1, v36
	s_and_saveexec_b64 s[0:1], vcc
	s_cbranch_execz .LBB93_75
; %bb.74:
	ds_write_b32 v11, v34
	ds_write_b32 v12, v2 offset:8
	ds_write_b8 v10, v35 offset:8192
	ds_write_b8 v10, v3 offset:8194
.LBB93_75:
	s_or_b64 exec, exec, s[0:1]
	s_waitcnt lgkmcnt(0)
	s_barrier
	ds_read2_b32 v[2:3], v6 offset1:1
	ds_read_u8 v34, v8 offset:8192
	ds_read_u8 v35, v9 offset:8193
	s_waitcnt lgkmcnt(2)
	v_cmp_lt_f32_e32 vcc, v2, v3
	s_waitcnt lgkmcnt(1)
	v_and_b32_e32 v36, 1, v34
	v_cmp_eq_u32_e64 s[0:1], 1, v36
	s_waitcnt lgkmcnt(0)
	v_cmp_ne_u16_e64 s[2:3], v35, v32
	v_cndmask_b32_e64 v32, 0, 1, s[2:3]
	s_and_b64 vcc, vcc, s[0:1]
	v_cndmask_b32_e32 v32, v32, v33, vcc
	v_and_b32_e32 v32, 1, v32
	v_cmp_eq_u32_e32 vcc, 1, v32
	s_and_saveexec_b64 s[0:1], vcc
	s_cbranch_execz .LBB93_77
; %bb.76:
	ds_write_b32 v6, v3
	ds_write_b32 v7, v2 offset:4
	ds_write_b8 v8, v35 offset:8192
	ds_write_b8 v9, v34 offset:8193
.LBB93_77:
	s_or_b64 exec, exec, s[0:1]
	v_sub_u32_sdwa v34, v1, v0 dst_sel:DWORD dst_unused:UNUSED_PAD src0_sel:DWORD src1_sel:BYTE_0
	v_add_u32_e32 v32, 4, v34
	v_and_b32_e32 v3, 0x100, v0
	v_lshl_add_u32 v33, v34, 2, 4
	v_mad_i32_i24 v35, v34, 3, v32
	v_cmp_ne_u32_e32 vcc, 0, v3
	s_waitcnt lgkmcnt(0)
	s_barrier
	ds_read_b32 v3, v33
	ds_read_b32 v36, v35 offset:1024
	ds_read_u8 v35, v32 offset:8192
	ds_read_u8 v37, v32 offset:8448
	v_bfe_u32 v38, v0, 8, 1
	v_mul_i32_i24_e32 v34, 3, v34
	s_waitcnt lgkmcnt(2)
	v_cmp_lt_f32_e64 s[0:1], v3, v36
	s_waitcnt lgkmcnt(1)
	v_and_b32_e32 v39, 1, v35
	v_cmp_eq_u32_e64 s[2:3], 1, v39
	s_waitcnt lgkmcnt(0)
	v_cmp_ne_u16_e64 s[6:7], v37, v38
	v_cndmask_b32_e64 v39, 0, 1, s[6:7]
	s_and_b64 s[0:1], s[0:1], s[2:3]
	v_cndmask_b32_e64 v38, v39, v38, s[0:1]
	v_and_b32_e32 v38, 1, v38
	v_and_b32_e32 v2, 0x100, v0
	v_cmp_eq_u32_e64 s[0:1], 1, v38
	v_add_u32_e32 v34, v32, v34
	s_and_saveexec_b64 s[2:3], s[0:1]
	s_cbranch_execz .LBB93_79
; %bb.78:
	ds_write_b32 v33, v36
	ds_write_b32 v34, v3 offset:1024
	ds_write_b8 v32, v37 offset:8192
	ds_write_b8 v32, v35 offset:8448
.LBB93_79:
	s_or_b64 exec, exec, s[2:3]
	s_waitcnt lgkmcnt(0)
	s_barrier
	ds_read_b32 v3, v30
	ds_read_b32 v38, v31 offset:512
	ds_read_u8 v37, v29 offset:8192
	ds_read_u8 v39, v29 offset:8320
	v_lshrrev_b32_e32 v35, 8, v2
	v_cndmask_b32_e64 v36, 0, 1, vcc
	s_waitcnt lgkmcnt(2)
	v_cmp_lt_f32_e64 s[0:1], v3, v38
	s_waitcnt lgkmcnt(1)
	v_and_b32_e32 v2, 1, v37
	v_cmp_eq_u32_e64 s[2:3], 1, v2
	s_waitcnt lgkmcnt(0)
	v_cmp_ne_u16_e64 s[6:7], v39, v35
	v_cndmask_b32_e64 v2, 0, 1, s[6:7]
	s_and_b64 vcc, s[0:1], s[2:3]
	v_cndmask_b32_e32 v2, v2, v36, vcc
	v_and_b32_e32 v2, 1, v2
	v_cmp_eq_u32_e32 vcc, 1, v2
	s_and_saveexec_b64 s[0:1], vcc
	s_cbranch_execz .LBB93_81
; %bb.80:
	ds_write_b32 v30, v38
	ds_write_b32 v31, v3 offset:512
	ds_write_b8 v29, v39 offset:8192
	ds_write_b8 v29, v37 offset:8320
.LBB93_81:
	s_or_b64 exec, exec, s[0:1]
	s_waitcnt lgkmcnt(0)
	s_barrier
	ds_read_b32 v2, v27
	ds_read_b32 v37, v28 offset:256
	ds_read_u8 v3, v26 offset:8192
	ds_read_u8 v38, v26 offset:8256
	s_waitcnt lgkmcnt(2)
	v_cmp_lt_f32_e32 vcc, v2, v37
	s_waitcnt lgkmcnt(1)
	v_and_b32_e32 v39, 1, v3
	v_cmp_eq_u32_e64 s[0:1], 1, v39
	s_waitcnt lgkmcnt(0)
	v_cmp_ne_u16_e64 s[2:3], v38, v35
	v_cndmask_b32_e64 v39, 0, 1, s[2:3]
	s_and_b64 vcc, vcc, s[0:1]
	v_cndmask_b32_e32 v39, v39, v36, vcc
	v_and_b32_e32 v39, 1, v39
	v_cmp_eq_u32_e32 vcc, 1, v39
	s_and_saveexec_b64 s[0:1], vcc
	s_cbranch_execz .LBB93_83
; %bb.82:
	ds_write_b32 v27, v37
	ds_write_b32 v28, v2 offset:256
	ds_write_b8 v26, v38 offset:8192
	ds_write_b8 v26, v3 offset:8256
.LBB93_83:
	s_or_b64 exec, exec, s[0:1]
	s_waitcnt lgkmcnt(0)
	s_barrier
	ds_read_b32 v2, v24
	ds_read_b32 v37, v25 offset:128
	ds_read_u8 v3, v23 offset:8192
	ds_read_u8 v38, v23 offset:8224
	s_waitcnt lgkmcnt(2)
	v_cmp_lt_f32_e32 vcc, v2, v37
	s_waitcnt lgkmcnt(1)
	v_and_b32_e32 v39, 1, v3
	v_cmp_eq_u32_e64 s[0:1], 1, v39
	s_waitcnt lgkmcnt(0)
	v_cmp_ne_u16_e64 s[2:3], v38, v35
	v_cndmask_b32_e64 v39, 0, 1, s[2:3]
	s_and_b64 vcc, vcc, s[0:1]
	;; [unrolled: 27-line block ×6, first 2 shown]
	v_cndmask_b32_e32 v39, v39, v36, vcc
	v_and_b32_e32 v39, 1, v39
	v_cmp_eq_u32_e32 vcc, 1, v39
	s_and_saveexec_b64 s[0:1], vcc
	s_cbranch_execz .LBB93_93
; %bb.92:
	ds_write_b32 v11, v37
	ds_write_b32 v12, v2 offset:8
	ds_write_b8 v10, v38 offset:8192
	ds_write_b8 v10, v3 offset:8194
.LBB93_93:
	s_or_b64 exec, exec, s[0:1]
	s_waitcnt lgkmcnt(0)
	s_barrier
	ds_read2_b32 v[2:3], v6 offset1:1
	ds_read_u8 v37, v8 offset:8192
	ds_read_u8 v38, v9 offset:8193
	s_waitcnt lgkmcnt(2)
	v_cmp_lt_f32_e32 vcc, v2, v3
	s_waitcnt lgkmcnt(1)
	v_and_b32_e32 v39, 1, v37
	v_cmp_eq_u32_e64 s[0:1], 1, v39
	s_waitcnt lgkmcnt(0)
	v_cmp_ne_u16_e64 s[2:3], v38, v35
	v_cndmask_b32_e64 v35, 0, 1, s[2:3]
	s_and_b64 vcc, vcc, s[0:1]
	v_cndmask_b32_e32 v35, v35, v36, vcc
	v_and_b32_e32 v35, 1, v35
	v_cmp_eq_u32_e32 vcc, 1, v35
	s_and_saveexec_b64 s[0:1], vcc
	s_cbranch_execz .LBB93_95
; %bb.94:
	ds_write_b32 v6, v3
	ds_write_b32 v7, v2 offset:4
	ds_write_b8 v8, v38 offset:8192
	ds_write_b8 v9, v37 offset:8193
.LBB93_95:
	s_or_b64 exec, exec, s[0:1]
	v_and_b32_e32 v2, 0x1ff, v0
	v_sub_u32_e32 v37, v1, v2
	v_add_u32_e32 v35, 4, v37
	v_lshl_add_u32 v36, v37, 2, 4
	v_mad_i32_i24 v3, v37, 3, v35
	s_waitcnt lgkmcnt(0)
	s_barrier
	ds_read_b32 v2, v36
	ds_read_b32 v39, v3 offset:2048
	ds_read_u8 v3, v35 offset:8192
	ds_read_u8 v40, v35 offset:8704
	s_movk_i32 s0, 0x1ff
	v_cmp_lt_u32_e32 vcc, s0, v0
	v_cndmask_b32_e64 v38, 0, 1, vcc
	s_waitcnt lgkmcnt(1)
	v_and_b32_e32 v41, 1, v3
	v_cmp_lt_f32_e32 vcc, v2, v39
	v_cmp_eq_u32_e64 s[0:1], 1, v41
	s_waitcnt lgkmcnt(0)
	v_cmp_ne_u16_e64 s[2:3], v40, v38
	v_cndmask_b32_e64 v41, 0, 1, s[2:3]
	s_and_b64 vcc, vcc, s[0:1]
	v_cndmask_b32_e32 v41, v41, v38, vcc
	v_mul_i32_i24_e32 v37, 3, v37
	v_and_b32_e32 v41, 1, v41
	v_cmp_eq_u32_e32 vcc, 1, v41
	v_add_u32_e32 v37, v35, v37
	s_and_saveexec_b64 s[0:1], vcc
	s_cbranch_execz .LBB93_97
; %bb.96:
	ds_write_b32 v36, v39
	ds_write_b32 v37, v2 offset:2048
	ds_write_b8 v35, v40 offset:8192
	ds_write_b8 v35, v3 offset:8704
.LBB93_97:
	s_or_b64 exec, exec, s[0:1]
	s_waitcnt lgkmcnt(0)
	s_barrier
	ds_read_b32 v2, v33
	ds_read_b32 v39, v34 offset:1024
	ds_read_u8 v3, v32 offset:8192
	ds_read_u8 v40, v32 offset:8448
	s_waitcnt lgkmcnt(2)
	v_cmp_lt_f32_e32 vcc, v2, v39
	s_waitcnt lgkmcnt(1)
	v_and_b32_e32 v41, 1, v3
	v_cmp_eq_u32_e64 s[0:1], 1, v41
	s_waitcnt lgkmcnt(0)
	v_cmp_ne_u16_e64 s[2:3], v40, v38
	v_cndmask_b32_e64 v41, 0, 1, s[2:3]
	s_and_b64 vcc, vcc, s[0:1]
	v_cndmask_b32_e32 v41, v41, v38, vcc
	v_and_b32_e32 v41, 1, v41
	v_cmp_eq_u32_e32 vcc, 1, v41
	s_and_saveexec_b64 s[0:1], vcc
	s_cbranch_execz .LBB93_99
; %bb.98:
	ds_write_b32 v33, v39
	ds_write_b32 v34, v2 offset:1024
	ds_write_b8 v32, v40 offset:8192
	ds_write_b8 v32, v3 offset:8448
.LBB93_99:
	s_or_b64 exec, exec, s[0:1]
	s_waitcnt lgkmcnt(0)
	s_barrier
	ds_read_b32 v2, v30
	ds_read_b32 v39, v31 offset:512
	ds_read_u8 v3, v29 offset:8192
	ds_read_u8 v40, v29 offset:8320
	s_waitcnt lgkmcnt(2)
	v_cmp_lt_f32_e32 vcc, v2, v39
	s_waitcnt lgkmcnt(1)
	v_and_b32_e32 v41, 1, v3
	v_cmp_eq_u32_e64 s[0:1], 1, v41
	s_waitcnt lgkmcnt(0)
	v_cmp_ne_u16_e64 s[2:3], v40, v38
	v_cndmask_b32_e64 v41, 0, 1, s[2:3]
	s_and_b64 vcc, vcc, s[0:1]
	v_cndmask_b32_e32 v41, v41, v38, vcc
	v_and_b32_e32 v41, 1, v41
	v_cmp_eq_u32_e32 vcc, 1, v41
	;; [unrolled: 27-line block ×8, first 2 shown]
	s_and_saveexec_b64 s[0:1], vcc
	s_cbranch_execz .LBB93_113
; %bb.112:
	ds_write_b32 v11, v39
	ds_write_b32 v12, v2 offset:8
	ds_write_b8 v10, v40 offset:8192
	ds_write_b8 v10, v3 offset:8194
.LBB93_113:
	s_or_b64 exec, exec, s[0:1]
	s_waitcnt lgkmcnt(0)
	s_barrier
	ds_read2_b32 v[2:3], v6 offset1:1
	ds_read_u8 v39, v8 offset:8192
	ds_read_u8 v40, v9 offset:8193
	s_waitcnt lgkmcnt(2)
	v_cmp_lt_f32_e32 vcc, v2, v3
	s_waitcnt lgkmcnt(1)
	v_and_b32_e32 v41, 1, v39
	v_cmp_eq_u32_e64 s[0:1], 1, v41
	s_waitcnt lgkmcnt(0)
	v_cmp_ne_u16_e64 s[2:3], v40, v38
	v_cndmask_b32_e64 v41, 0, 1, s[2:3]
	s_and_b64 vcc, vcc, s[0:1]
	v_cndmask_b32_e32 v38, v41, v38, vcc
	v_and_b32_e32 v38, 1, v38
	v_cmp_eq_u32_e32 vcc, 1, v38
	s_and_saveexec_b64 s[0:1], vcc
	s_cbranch_execz .LBB93_115
; %bb.114:
	ds_write_b32 v6, v3
	ds_write_b32 v7, v2 offset:4
	ds_write_b8 v8, v40 offset:8192
	ds_write_b8 v9, v39 offset:8193
.LBB93_115:
	s_or_b64 exec, exec, s[0:1]
	s_waitcnt lgkmcnt(0)
	s_barrier
	ds_read2st64_b32 v[2:3], v16 offset1:16
	ds_read_u8 v39, v4 offset:8192
	ds_read_u8 v40, v4 offset:9216
	s_waitcnt lgkmcnt(2)
	v_cmp_nlt_f32_e32 vcc, v2, v3
	s_waitcnt lgkmcnt(1)
	v_and_b32_e32 v38, 1, v39
	v_cmp_eq_u32_e64 s[0:1], 1, v38
	s_xor_b64 s[0:1], s[0:1], -1
	v_mov_b32_e32 v38, 0
	s_or_b64 s[0:1], vcc, s[0:1]
	s_waitcnt lgkmcnt(0)
	v_cmp_ne_u16_sdwa s[2:3], v40, v38 src0_sel:BYTE_0 src1_sel:DWORD
	s_and_b64 s[2:3], s[0:1], s[2:3]
	s_and_saveexec_b64 s[0:1], s[2:3]
	s_cbranch_execz .LBB93_117
; %bb.116:
	ds_write2st64_b32 v16, v3, v2 offset1:16
	v_mov_b32_e32 v2, 1
	ds_write_b8 v4, v2 offset:8192
	ds_write_b8 v4, v39 offset:9216
.LBB93_117:
	s_or_b64 exec, exec, s[0:1]
	s_waitcnt lgkmcnt(0)
	s_barrier
	ds_read_b32 v2, v36
	ds_read_b32 v16, v37 offset:2048
	ds_read_u8 v3, v35 offset:8192
	ds_read_u8 v39, v35 offset:8704
	s_waitcnt lgkmcnt(2)
	v_cmp_nlt_f32_e32 vcc, v2, v16
	s_waitcnt lgkmcnt(1)
	v_and_b32_e32 v40, 1, v3
	v_cmp_eq_u32_e64 s[0:1], 1, v40
	s_xor_b64 s[0:1], s[0:1], -1
	s_or_b64 s[0:1], vcc, s[0:1]
	s_waitcnt lgkmcnt(0)
	v_cmp_ne_u16_sdwa s[2:3], v39, v38 src0_sel:BYTE_0 src1_sel:DWORD
	s_and_b64 s[2:3], s[0:1], s[2:3]
	s_and_saveexec_b64 s[0:1], s[2:3]
	s_cbranch_execz .LBB93_119
; %bb.118:
	ds_write_b32 v36, v16
	ds_write_b32 v37, v2 offset:2048
	v_mov_b32_e32 v2, 1
	ds_write_b8 v35, v2 offset:8192
	ds_write_b8 v35, v3 offset:8704
.LBB93_119:
	s_or_b64 exec, exec, s[0:1]
	s_waitcnt lgkmcnt(0)
	s_barrier
	ds_read_b32 v3, v33
	ds_read_b32 v35, v34 offset:1024
	ds_read_u8 v16, v32 offset:8192
	ds_read_u8 v36, v32 offset:8448
	s_waitcnt lgkmcnt(2)
	v_cmp_nlt_f32_e32 vcc, v3, v35
	s_waitcnt lgkmcnt(1)
	v_and_b32_e32 v2, 1, v16
	v_cmp_eq_u32_e64 s[0:1], 1, v2
	s_xor_b64 s[0:1], s[0:1], -1
	v_mov_b32_e32 v2, 0
	s_or_b64 s[0:1], vcc, s[0:1]
	s_waitcnt lgkmcnt(0)
	v_cmp_ne_u16_sdwa s[2:3], v36, v2 src0_sel:BYTE_0 src1_sel:DWORD
	s_and_b64 s[2:3], s[0:1], s[2:3]
	s_and_saveexec_b64 s[0:1], s[2:3]
	s_cbranch_execz .LBB93_121
; %bb.120:
	ds_write_b32 v33, v35
	ds_write_b32 v34, v3 offset:1024
	v_mov_b32_e32 v3, 1
	ds_write_b8 v32, v3 offset:8192
	ds_write_b8 v32, v16 offset:8448
.LBB93_121:
	s_or_b64 exec, exec, s[0:1]
	s_waitcnt lgkmcnt(0)
	s_barrier
	ds_read_b32 v3, v30
	ds_read_b32 v32, v31 offset:512
	ds_read_u8 v16, v29 offset:8192
	ds_read_u8 v33, v29 offset:8320
	s_waitcnt lgkmcnt(2)
	v_cmp_nlt_f32_e32 vcc, v3, v32
	s_waitcnt lgkmcnt(1)
	v_and_b32_e32 v34, 1, v16
	v_cmp_eq_u32_e64 s[0:1], 1, v34
	s_xor_b64 s[0:1], s[0:1], -1
	s_or_b64 s[0:1], vcc, s[0:1]
	s_waitcnt lgkmcnt(0)
	v_cmp_ne_u16_sdwa s[2:3], v33, v2 src0_sel:BYTE_0 src1_sel:DWORD
	s_and_b64 s[2:3], s[0:1], s[2:3]
	s_and_saveexec_b64 s[0:1], s[2:3]
	s_cbranch_execz .LBB93_123
; %bb.122:
	v_mov_b32_e32 v2, 1
	ds_write_b32 v30, v32
	ds_write_b32 v31, v3 offset:512
	ds_write_b8 v29, v2 offset:8192
	ds_write_b8 v29, v16 offset:8320
.LBB93_123:
	s_or_b64 exec, exec, s[0:1]
	s_waitcnt lgkmcnt(0)
	s_barrier
	ds_read_b32 v3, v27
	ds_read_b32 v29, v28 offset:256
	ds_read_u8 v16, v26 offset:8192
	ds_read_u8 v30, v26 offset:8256
	s_waitcnt lgkmcnt(2)
	v_cmp_nlt_f32_e32 vcc, v3, v29
	s_waitcnt lgkmcnt(1)
	v_and_b32_e32 v2, 1, v16
	v_cmp_eq_u32_e64 s[0:1], 1, v2
	s_xor_b64 s[0:1], s[0:1], -1
	v_mov_b32_e32 v2, 0
	s_or_b64 s[0:1], vcc, s[0:1]
	s_waitcnt lgkmcnt(0)
	v_cmp_ne_u16_sdwa s[2:3], v30, v2 src0_sel:BYTE_0 src1_sel:DWORD
	s_and_b64 s[2:3], s[0:1], s[2:3]
	s_and_saveexec_b64 s[0:1], s[2:3]
	s_cbranch_execz .LBB93_125
; %bb.124:
	ds_write_b32 v27, v29
	ds_write_b32 v28, v3 offset:256
	v_mov_b32_e32 v3, 1
	ds_write_b8 v26, v3 offset:8192
	ds_write_b8 v26, v16 offset:8256
.LBB93_125:
	s_or_b64 exec, exec, s[0:1]
	s_waitcnt lgkmcnt(0)
	s_barrier
	ds_read_b32 v3, v24
	ds_read_b32 v26, v25 offset:128
	ds_read_u8 v16, v23 offset:8192
	ds_read_u8 v27, v23 offset:8224
	s_waitcnt lgkmcnt(2)
	v_cmp_nlt_f32_e32 vcc, v3, v26
	s_waitcnt lgkmcnt(1)
	v_and_b32_e32 v28, 1, v16
	v_cmp_eq_u32_e64 s[0:1], 1, v28
	s_xor_b64 s[0:1], s[0:1], -1
	s_or_b64 s[0:1], vcc, s[0:1]
	s_waitcnt lgkmcnt(0)
	v_cmp_ne_u16_sdwa s[2:3], v27, v2 src0_sel:BYTE_0 src1_sel:DWORD
	s_and_b64 s[2:3], s[0:1], s[2:3]
	s_and_saveexec_b64 s[0:1], s[2:3]
	s_cbranch_execz .LBB93_127
; %bb.126:
	v_mov_b32_e32 v2, 1
	ds_write_b32 v24, v26
	ds_write_b32 v25, v3 offset:128
	ds_write_b8 v23, v2 offset:8192
	ds_write_b8 v23, v16 offset:8224
.LBB93_127:
	;; [unrolled: 53-line block ×4, first 2 shown]
	s_or_b64 exec, exec, s[0:1]
	s_waitcnt lgkmcnt(0)
	s_barrier
	ds_read2_b32 v[2:3], v6 offset1:1
	ds_read_u8 v10, v8 offset:8192
	ds_read_u8 v11, v9 offset:8193
	s_waitcnt lgkmcnt(2)
	v_cmp_nlt_f32_e32 vcc, v2, v3
	s_waitcnt lgkmcnt(1)
	v_and_b32_e32 v12, 1, v10
	v_cmp_eq_u32_e64 s[0:1], 1, v12
	s_xor_b64 s[0:1], s[0:1], -1
	v_mov_b32_e32 v12, 0
	s_or_b64 s[0:1], vcc, s[0:1]
	s_waitcnt lgkmcnt(0)
	v_cmp_ne_u16_sdwa s[2:3], v11, v12 src0_sel:BYTE_0 src1_sel:DWORD
	s_and_b64 s[2:3], s[0:1], s[2:3]
	s_and_saveexec_b64 s[0:1], s[2:3]
	s_cbranch_execz .LBB93_137
; %bb.136:
	ds_write_b32 v6, v3
	ds_write_b32 v7, v2 offset:4
	v_mov_b32_e32 v2, 1
	ds_write_b8 v8, v2 offset:8192
	ds_write_b8 v9, v10 offset:8193
.LBB93_137:
	s_or_b64 exec, exec, s[0:1]
	v_cmp_eq_u32_e32 vcc, 0, v0
	s_waitcnt lgkmcnt(0)
	s_barrier
	s_barrier
	s_and_saveexec_b64 s[0:1], vcc
	s_cbranch_execz .LBB93_139
; %bb.138:
	v_mov_b32_e32 v2, 1
	v_mov_b32_e32 v3, 4
	ds_write_b8 v3, v2 offset:8196
	v_mov_b32_e32 v2, 0
	ds_write_b32 v3, v2 offset:8192
.LBB93_139:
	s_or_b64 exec, exec, s[0:1]
	ds_read2_b32 v[2:3], v6 offset1:1
	v_mad_u32_u24 v7, v0, 15, v4
	v_mul_u32_u24_e32 v6, 15, v0
	s_waitcnt lgkmcnt(0)
	v_cmp_neq_f32_e64 s[0:1], v2, v3
	v_cndmask_b32_e64 v8, 0, 1, s[0:1]
	v_cmp_eq_f32_e64 s[0:1], v2, v3
	v_cndmask_b32_e64 v2, 0, 1, s[0:1]
	s_movk_i32 s0, 0x3ff
	ds_write_b32 v7, v2 offset:8200
	v_cmp_ne_u32_e64 s[2:3], s0, v0
	v_mov_b32_e32 v2, 0x800
	ds_write_b8 v7, v8 offset:8204
	s_and_saveexec_b64 s[6:7], s[2:3]
	s_cbranch_execz .LBB93_141
; %bb.140:
	v_lshl_add_u32 v7, v1, 2, 4
	ds_read_b32 v8, v7 offset:8
	v_add_u32_e32 v2, 2, v1
	v_lshl_add_u32 v7, v0, 3, v7
	s_waitcnt lgkmcnt(0)
	v_cmp_neq_f32_e64 s[0:1], v3, v8
	v_cndmask_b32_e64 v9, 0, 1, s[0:1]
	v_cmp_eq_f32_e64 s[0:1], v3, v8
	v_cndmask_b32_e64 v3, 0, 1, s[0:1]
	ds_write_b8 v7, v9 offset:8212
	ds_write_b32 v7, v3 offset:8208
.LBB93_141:
	s_or_b64 exec, exec, s[6:7]
	v_add_u32_e32 v3, v4, v6
	s_waitcnt lgkmcnt(0)
	s_barrier
	ds_read_u8 v4, v3 offset:8204
	v_add_u32_e32 v6, 0x2000, v3
	ds_read2_b32 v[6:7], v6 offset1:2
	ds_read_u8 v8, v3 offset:8196
	v_add_u32_e32 v9, 0x2008, v3
	s_waitcnt lgkmcnt(2)
	v_and_b32_e32 v10, 1, v4
	v_cmp_eq_u32_e64 s[0:1], 1, v10
	s_waitcnt lgkmcnt(1)
	v_cndmask_b32_e64 v6, v6, 0, s[0:1]
	s_waitcnt lgkmcnt(0)
	v_or_b32_e32 v4, v8, v4
	v_add_u32_e32 v6, v6, v7
	v_and_b32_e32 v4, 1, v4
	ds_write2_b32 v9, v6, v4 offset1:1
	v_lshlrev_b32_e32 v4, 1, v2
	s_movk_i32 s0, 0x200
	v_cmp_gt_u32_e64 s[0:1], s0, v0
	v_lshl_add_u32 v4, v4, 3, 4
	s_waitcnt lgkmcnt(0)
	s_barrier
	s_and_saveexec_b64 s[6:7], s[0:1]
	s_cbranch_execz .LBB93_143
; %bb.142:
	ds_read_u8 v8, v4 offset:8188
	v_add_u32_e32 v6, 0x1c00, v4
	ds_read2_b32 v[6:7], v6 offset0:250 offset1:254
	ds_read_u8 v9, v4 offset:8172
	v_add_u32_e32 v10, 0x1ff8, v4
	s_waitcnt lgkmcnt(2)
	v_and_b32_e32 v11, 1, v8
	v_cmp_eq_u32_e64 s[0:1], 1, v11
	s_waitcnt lgkmcnt(1)
	v_cndmask_b32_e64 v6, v6, 0, s[0:1]
	v_add_u32_e32 v6, v6, v7
	s_waitcnt lgkmcnt(0)
	v_or_b32_e32 v7, v9, v8
	v_and_b32_e32 v7, 1, v7
	ds_write2_b32 v10, v6, v7 offset1:1
.LBB93_143:
	s_or_b64 exec, exec, s[6:7]
	v_lshlrev_b32_e32 v6, 2, v2
	s_movk_i32 s0, 0x100
	v_cmp_gt_u32_e64 s[0:1], s0, v0
	v_lshl_add_u32 v6, v6, 3, 4
	s_waitcnt lgkmcnt(0)
	s_barrier
	s_and_saveexec_b64 s[6:7], s[0:1]
	s_cbranch_execz .LBB93_145
; %bb.144:
	ds_read_u8 v9, v6 offset:8188
	v_add_u32_e32 v7, 0x1c00, v6
	ds_read2_b32 v[7:8], v7 offset0:246 offset1:254
	ds_read_u8 v10, v6 offset:8156
	v_add_u32_e32 v11, 0x1ff8, v6
	s_waitcnt lgkmcnt(2)
	v_and_b32_e32 v12, 1, v9
	v_cmp_eq_u32_e64 s[0:1], 1, v12
	s_waitcnt lgkmcnt(1)
	v_cndmask_b32_e64 v7, v7, 0, s[0:1]
	v_add_u32_e32 v7, v7, v8
	s_waitcnt lgkmcnt(0)
	v_or_b32_e32 v8, v10, v9
	v_and_b32_e32 v8, 1, v8
	ds_write2_b32 v11, v7, v8 offset1:1
.LBB93_145:
	s_or_b64 exec, exec, s[6:7]
	v_lshlrev_b32_e32 v7, 3, v2
	s_movk_i32 s0, 0x80
	v_cmp_gt_u32_e64 s[0:1], s0, v0
	v_lshl_add_u32 v7, v7, 3, 4
	s_waitcnt lgkmcnt(0)
	s_barrier
	s_and_saveexec_b64 s[6:7], s[0:1]
	s_cbranch_execz .LBB93_147
; %bb.146:
	ds_read_u8 v10, v7 offset:8188
	ds_read_u8 v12, v7 offset:8124
	v_add_u32_e32 v8, 0x1c00, v7
	ds_read2_b32 v[8:9], v8 offset0:238 offset1:254
	v_add_u32_e32 v11, 0x1ff8, v7
	s_waitcnt lgkmcnt(2)
	v_and_b32_e32 v13, 1, v10
	v_cmp_eq_u32_e64 s[0:1], 1, v13
	s_waitcnt lgkmcnt(0)
	v_cndmask_b32_e64 v8, v8, 0, s[0:1]
	v_add_u32_e32 v8, v8, v9
	v_or_b32_e32 v9, v12, v10
	v_and_b32_e32 v9, 1, v9
	ds_write2_b32 v11, v8, v9 offset1:1
.LBB93_147:
	s_or_b64 exec, exec, s[6:7]
	v_lshlrev_b32_e32 v8, 4, v2
	v_cmp_gt_u32_e64 s[0:1], 64, v0
	v_lshl_add_u32 v8, v8, 3, 4
	s_waitcnt lgkmcnt(0)
	s_barrier
	s_and_saveexec_b64 s[8:9], s[0:1]
	s_cbranch_execz .LBB93_149
; %bb.148:
	ds_read_u8 v11, v8 offset:8188
	ds_read_u8 v13, v8 offset:8060
	v_add_u32_e32 v9, 0x1c00, v8
	ds_read2_b32 v[9:10], v9 offset0:222 offset1:254
	v_add_u32_e32 v12, 0x1ff8, v8
	s_waitcnt lgkmcnt(2)
	v_and_b32_e32 v14, 1, v11
	v_cmp_eq_u32_e64 s[6:7], 1, v14
	s_waitcnt lgkmcnt(0)
	v_cndmask_b32_e64 v9, v9, 0, s[6:7]
	v_add_u32_e32 v9, v9, v10
	v_or_b32_e32 v10, v13, v11
	v_and_b32_e32 v10, 1, v10
	ds_write2_b32 v12, v9, v10 offset1:1
.LBB93_149:
	s_or_b64 exec, exec, s[8:9]
	v_lshlrev_b32_e32 v9, 5, v2
	v_cmp_gt_u32_e64 s[6:7], 32, v0
	v_lshl_add_u32 v9, v9, 3, 4
	s_waitcnt lgkmcnt(0)
	s_barrier
	s_and_saveexec_b64 s[8:9], s[6:7]
	s_cbranch_execz .LBB93_151
; %bb.150:
	ds_read_u8 v12, v9 offset:8188
	ds_read_u8 v14, v9 offset:7932
	v_add_u32_e32 v10, 0xf8, v9
	ds_read2st64_b32 v[10:11], v10 offset0:30 offset1:31
	v_add_u32_e32 v13, 0x1ff8, v9
	s_waitcnt lgkmcnt(2)
	v_and_b32_e32 v15, 1, v12
	v_cmp_eq_u32_e64 s[6:7], 1, v15
	s_waitcnt lgkmcnt(0)
	v_cndmask_b32_e64 v10, v10, 0, s[6:7]
	v_add_u32_e32 v10, v10, v11
	v_or_b32_e32 v11, v14, v12
	v_and_b32_e32 v11, 1, v11
	ds_write2_b32 v13, v10, v11 offset1:1
.LBB93_151:
	s_or_b64 exec, exec, s[8:9]
	v_lshlrev_b32_e32 v10, 6, v2
	v_cmp_gt_u32_e64 s[6:7], 16, v0
	v_lshl_add_u32 v10, v10, 3, 4
	s_waitcnt lgkmcnt(0)
	s_barrier
	s_and_saveexec_b64 s[8:9], s[6:7]
	s_cbranch_execz .LBB93_153
; %bb.152:
	ds_read_u8 v13, v10 offset:8188
	ds_read_u8 v15, v10 offset:7676
	v_add_u32_e32 v11, 0xf8, v10
	ds_read2st64_b32 v[11:12], v11 offset0:29 offset1:31
	v_add_u32_e32 v14, 0x1ff8, v10
	s_waitcnt lgkmcnt(2)
	v_and_b32_e32 v16, 1, v13
	v_cmp_eq_u32_e64 s[6:7], 1, v16
	s_waitcnt lgkmcnt(0)
	v_cndmask_b32_e64 v11, v11, 0, s[6:7]
	v_add_u32_e32 v11, v11, v12
	v_or_b32_e32 v12, v15, v13
	v_and_b32_e32 v12, 1, v12
	ds_write2_b32 v14, v11, v12 offset1:1
.LBB93_153:
	;; [unrolled: 24-line block ×5, first 2 shown]
	s_or_b64 exec, exec, s[8:9]
	s_waitcnt lgkmcnt(0)
	s_barrier
	s_and_saveexec_b64 s[8:9], vcc
	s_cbranch_execz .LBB93_161
; %bb.160:
	v_mov_b32_e32 v14, 4
	ds_read_u8 v15, v14 offset:24572
	ds_read_b32 v16, v14 offset:16376
	ds_read_b32 v17, v14 offset:24568
	ds_read_u8 v14, v14 offset:16380
	s_add_i32 s10, 4, 0x5ff8
	s_waitcnt lgkmcnt(3)
	v_and_b32_e32 v18, 1, v15
	v_cmp_eq_u32_e64 s[6:7], 1, v18
	s_waitcnt lgkmcnt(2)
	v_cndmask_b32_e64 v16, v16, 0, s[6:7]
	s_waitcnt lgkmcnt(0)
	v_or_b32_e32 v14, v14, v15
	v_add_u32_e32 v16, v16, v17
	v_and_b32_e32 v14, 1, v14
	v_mov_b32_e32 v15, s10
	ds_write2_b32 v15, v16, v14 offset1:1
.LBB93_161:
	s_or_b64 exec, exec, s[8:9]
	s_waitcnt lgkmcnt(0)
	s_barrier
	s_and_saveexec_b64 s[8:9], vcc
	s_cbranch_execz .LBB93_163
; %bb.162:
	ds_read_u8 v16, v13 offset:12284
	v_add_u32_e32 v14, 0xf8, v13
	ds_read2st64_b32 v[14:15], v14 offset0:31 offset1:47
	v_add_u32_e32 v17, 0x2ff8, v13
	ds_read_u8 v13, v13 offset:8188
	s_waitcnt lgkmcnt(2)
	v_and_b32_e32 v18, 1, v16
	v_cmp_eq_u32_e64 s[6:7], 1, v18
	s_waitcnt lgkmcnt(1)
	v_cndmask_b32_e64 v14, v14, 0, s[6:7]
	v_add_u32_e32 v14, v14, v15
	s_waitcnt lgkmcnt(0)
	v_or_b32_e32 v13, v13, v16
	v_and_b32_e32 v13, 1, v13
	ds_write2_b32 v17, v14, v13 offset1:1
.LBB93_163:
	s_or_b64 exec, exec, s[8:9]
	v_cmp_gt_u32_e64 s[6:7], 3, v0
	s_waitcnt lgkmcnt(0)
	s_barrier
	s_and_saveexec_b64 s[8:9], s[6:7]
	s_cbranch_execz .LBB93_165
; %bb.164:
	ds_read_u8 v15, v12 offset:10236
	v_add_u32_e32 v13, 0xf8, v12
	ds_read2st64_b32 v[13:14], v13 offset0:31 offset1:39
	v_add_u32_e32 v16, 0x27f8, v12
	ds_read_u8 v12, v12 offset:8188
	s_waitcnt lgkmcnt(2)
	v_and_b32_e32 v17, 1, v15
	v_cmp_eq_u32_e64 s[6:7], 1, v17
	s_waitcnt lgkmcnt(1)
	v_cndmask_b32_e64 v13, v13, 0, s[6:7]
	v_add_u32_e32 v13, v13, v14
	s_waitcnt lgkmcnt(0)
	v_or_b32_e32 v12, v12, v15
	v_and_b32_e32 v12, 1, v12
	ds_write2_b32 v16, v13, v12 offset1:1
.LBB93_165:
	s_or_b64 exec, exec, s[8:9]
	v_cmp_gt_u32_e64 s[6:7], 7, v0
	s_waitcnt lgkmcnt(0)
	s_barrier
	s_and_saveexec_b64 s[8:9], s[6:7]
	;; [unrolled: 23-line block ×5, first 2 shown]
	s_cbranch_execz .LBB93_173
; %bb.172:
	ds_read_u8 v11, v8 offset:8316
	v_add_u32_e32 v9, 0x1e00, v8
	ds_read2_b32 v[9:10], v9 offset0:126 offset1:158
	v_add_u32_e32 v12, 0x2078, v8
	ds_read_u8 v8, v8 offset:8188
	s_waitcnt lgkmcnt(2)
	v_and_b32_e32 v13, 1, v11
	v_cmp_eq_u32_e64 s[6:7], 1, v13
	s_waitcnt lgkmcnt(1)
	v_cndmask_b32_e64 v9, v9, 0, s[6:7]
	v_add_u32_e32 v9, v9, v10
	s_waitcnt lgkmcnt(0)
	v_or_b32_e32 v8, v8, v11
	v_and_b32_e32 v8, 1, v8
	ds_write2_b32 v12, v9, v8 offset1:1
.LBB93_173:
	s_or_b64 exec, exec, s[8:9]
	s_movk_i32 s6, 0x7f
	v_cmp_gt_u32_e64 s[6:7], s6, v0
	s_waitcnt lgkmcnt(0)
	s_barrier
	s_and_saveexec_b64 s[8:9], s[6:7]
	s_cbranch_execz .LBB93_175
; %bb.174:
	ds_read_u8 v10, v7 offset:8252
	v_add_u32_e32 v8, 0x1e00, v7
	ds_read2_b32 v[8:9], v8 offset0:126 offset1:142
	v_add_u32_e32 v11, 0x2038, v7
	ds_read_u8 v7, v7 offset:8188
	s_waitcnt lgkmcnt(2)
	v_and_b32_e32 v12, 1, v10
	v_cmp_eq_u32_e64 s[6:7], 1, v12
	s_waitcnt lgkmcnt(1)
	v_cndmask_b32_e64 v8, v8, 0, s[6:7]
	v_add_u32_e32 v8, v8, v9
	s_waitcnt lgkmcnt(0)
	v_or_b32_e32 v7, v7, v10
	v_and_b32_e32 v7, 1, v7
	ds_write2_b32 v11, v8, v7 offset1:1
.LBB93_175:
	s_or_b64 exec, exec, s[8:9]
	s_movk_i32 s6, 0xff
	v_cmp_gt_u32_e64 s[6:7], s6, v0
	s_waitcnt lgkmcnt(0)
	s_barrier
	s_and_saveexec_b64 s[8:9], s[6:7]
	s_cbranch_execz .LBB93_177
; %bb.176:
	ds_read_u8 v9, v6 offset:8220
	v_add_u32_e32 v7, 0x1e00, v6
	ds_read2_b32 v[7:8], v7 offset0:126 offset1:134
	ds_read_u8 v10, v6 offset:8188
	v_add_u32_e32 v6, 0x2018, v6
	s_waitcnt lgkmcnt(2)
	v_and_b32_e32 v11, 1, v9
	v_cmp_eq_u32_e64 s[6:7], 1, v11
	s_waitcnt lgkmcnt(1)
	v_cndmask_b32_e64 v7, v7, 0, s[6:7]
	v_add_u32_e32 v7, v7, v8
	s_waitcnt lgkmcnt(0)
	v_or_b32_e32 v8, v10, v9
	v_and_b32_e32 v8, 1, v8
	ds_write2_b32 v6, v7, v8 offset1:1
.LBB93_177:
	s_or_b64 exec, exec, s[8:9]
	s_movk_i32 s6, 0x1ff
	v_cmp_gt_u32_e64 s[6:7], s6, v0
	s_waitcnt lgkmcnt(0)
	s_barrier
	s_and_saveexec_b64 s[8:9], s[6:7]
	s_cbranch_execz .LBB93_179
; %bb.178:
	ds_read_u8 v8, v4 offset:8204
	v_add_u32_e32 v6, 0x1e00, v4
	ds_read2_b32 v[6:7], v6 offset0:126 offset1:130
	ds_read_u8 v9, v4 offset:8188
	v_add_u32_e32 v4, 0x2008, v4
	s_waitcnt lgkmcnt(2)
	v_and_b32_e32 v10, 1, v8
	v_cmp_eq_u32_e64 s[6:7], 1, v10
	s_waitcnt lgkmcnt(1)
	v_cndmask_b32_e64 v6, v6, 0, s[6:7]
	v_add_u32_e32 v6, v6, v7
	s_waitcnt lgkmcnt(0)
	v_or_b32_e32 v7, v9, v8
	v_and_b32_e32 v7, 1, v7
	ds_write2_b32 v4, v6, v7 offset1:1
.LBB93_179:
	s_or_b64 exec, exec, s[8:9]
	s_waitcnt lgkmcnt(0)
	s_barrier
	s_and_saveexec_b64 s[6:7], s[2:3]
	s_cbranch_execz .LBB93_181
; %bb.180:
	v_lshl_add_u32 v2, v2, 3, 4
	ds_read_u8 v4, v2 offset:8196
	v_add_u32_e32 v6, 0x2000, v2
	ds_read_b32 v7, v3 offset:8200
	ds_read_b32 v2, v2 offset:8192
	ds_read_u8 v8, v3 offset:8204
	s_waitcnt lgkmcnt(3)
	v_and_b32_e32 v9, 1, v4
	v_cmp_eq_u32_e64 s[2:3], 1, v9
	s_waitcnt lgkmcnt(2)
	v_cndmask_b32_e64 v7, v7, 0, s[2:3]
	s_waitcnt lgkmcnt(0)
	v_or_b32_e32 v4, v8, v4
	v_add_u32_e32 v2, v7, v2
	v_and_b32_e32 v4, 1, v4
	ds_write2_b32 v6, v2, v4 offset1:1
.LBB93_181:
	s_or_b64 exec, exec, s[6:7]
	v_add_u32_e32 v2, 0x2000, v3
	s_waitcnt lgkmcnt(0)
	s_barrier
	ds_read2_b32 v[6:7], v2 offset1:2
	v_or_b32_e32 v3, 1, v1
	v_cmp_gt_u32_e64 s[2:3], s16, v1
	v_cmp_gt_u32_e64 s[6:7], s16, v3
	v_cndmask_b32_e64 v4, 0, v1, s[2:3]
	s_waitcnt lgkmcnt(0)
	v_cndmask_b32_e64 v2, 0, v6, s[2:3]
	v_mbcnt_lo_u32_b32 v6, -1, 0
	v_cndmask_b32_e64 v7, 0, v7, s[6:7]
	v_mbcnt_hi_u32_b32 v11, -1, v6
	v_mov_b32_e32 v6, 0x80
	v_cndmask_b32_e64 v8, 0, v3, s[6:7]
	v_max_u32_e32 v9, v7, v2
	v_lshl_or_b32 v6, v11, 2, v6
	v_cmp_gt_u32_e64 s[8:9], v7, v2
	ds_bpermute_b32 v10, v6, v9
	v_cndmask_b32_e64 v2, v4, v8, s[8:9]
	ds_bpermute_b32 v4, v6, v2
	v_and_b32_e32 v12, 63, v11
	v_cmp_gt_u32_e64 s[8:9], 48, v12
	v_cndmask_b32_e64 v7, 0, 16, s[8:9]
	s_waitcnt lgkmcnt(1)
	v_max_u32_e32 v13, v10, v9
	v_add_lshl_u32 v7, v7, v11, 2
	v_cmp_gt_u32_e64 s[8:9], v10, v9
	ds_bpermute_b32 v14, v7, v13
	s_waitcnt lgkmcnt(1)
	v_cndmask_b32_e64 v2, v2, v4, s[8:9]
	ds_bpermute_b32 v4, v7, v2
	v_cmp_gt_u32_e64 s[8:9], 56, v12
	v_cndmask_b32_e64 v8, 0, 8, s[8:9]
	s_waitcnt lgkmcnt(1)
	v_max_u32_e32 v10, v14, v13
	v_add_lshl_u32 v8, v8, v11, 2
	v_cmp_gt_u32_e64 s[8:9], v14, v13
	ds_bpermute_b32 v15, v8, v10
	s_waitcnt lgkmcnt(1)
	v_cndmask_b32_e64 v2, v2, v4, s[8:9]
	ds_bpermute_b32 v4, v8, v2
	;; [unrolled: 10-line block ×4, first 2 shown]
	s_waitcnt lgkmcnt(0)
	s_barrier
	v_cmp_gt_u32_e64 s[8:9], v16, v15
	v_max_u32_e32 v2, v16, v15
	v_cndmask_b32_e64 v4, v4, v13, s[8:9]
	v_cmp_ne_u32_e64 s[8:9], 63, v12
	v_addc_co_u32_e64 v11, s[8:9], 0, v11, s[8:9]
	v_lshlrev_b32_e32 v11, 2, v11
	ds_bpermute_b32 v12, v11, v4
	ds_bpermute_b32 v13, v11, v2
	v_cmp_eq_u32_e64 s[8:9], 0, v5
	s_waitcnt lgkmcnt(0)
	s_barrier
	s_and_saveexec_b64 s[12:13], s[8:9]
	s_cbranch_execz .LBB93_183
; %bb.182:
	v_lshrrev_b32_e32 v14, 3, v0
	v_add_u32_e32 v14, 4, v14
	v_cmp_gt_u32_e64 s[10:11], v13, v2
	v_add_u32_e32 v14, 0x2000, v14
	v_cndmask_b32_e64 v4, v4, v12, s[10:11]
	v_max_u32_e32 v2, v13, v2
	ds_write2_b32 v14, v2, v4 offset1:1
.LBB93_183:
	s_or_b64 exec, exec, s[12:13]
	s_lshr_b32 s10, s18, 6
	v_cmp_gt_u32_e64 s[10:11], s10, v0
	v_lshl_add_u32 v12, v5, 3, 4
	v_mov_b32_e32 v2, 0
	v_mov_b32_e32 v4, 0
	s_waitcnt lgkmcnt(0)
	s_barrier
	s_and_saveexec_b64 s[12:13], s[10:11]
	s_cbranch_execnz .LBB93_198
; %bb.184:
	s_or_b64 exec, exec, s[12:13]
	s_and_saveexec_b64 s[12:13], s[10:11]
	s_cbranch_execnz .LBB93_199
.LBB93_185:
	s_or_b64 exec, exec, s[12:13]
	s_and_saveexec_b64 s[18:19], s[0:1]
	s_cbranch_execnz .LBB93_200
.LBB93_186:
	s_or_b64 exec, exec, s[18:19]
	s_and_saveexec_b64 s[12:13], vcc
	s_cbranch_execz .LBB93_188
.LBB93_187:
	s_waitcnt lgkmcnt(0)
	v_lshl_add_u32 v2, v2, 2, 4
	ds_read_b32 v2, v2
	v_mov_b32_e32 v4, 0
	s_waitcnt lgkmcnt(0)
	ds_write_b32 v4, v2
.LBB93_188:
	s_or_b64 exec, exec, s[12:13]
	s_waitcnt lgkmcnt(0)
	v_mov_b32_e32 v2, 0
	v_cmp_gt_i64_e64 s[12:13], s[16:17], v[1:2]
	v_mov_b32_e32 v13, 0
	s_barrier
	s_and_saveexec_b64 s[18:19], s[12:13]
	s_cbranch_execz .LBB93_190
; %bb.189:
	v_add_u32_e32 v13, s21, v1
	v_mov_b32_e32 v14, 0
	v_lshlrev_b64 v[15:16], 2, v[13:14]
	v_mov_b32_e32 v4, s15
	v_add_co_u32_e64 v15, s[12:13], s14, v15
	v_addc_co_u32_e64 v16, s[12:13], v4, v16, s[12:13]
	global_load_dword v4, v[15:16], off
	ds_read_b32 v13, v14
	s_waitcnt vmcnt(0) lgkmcnt(0)
	v_cmp_eq_f32_e64 s[12:13], v4, v13
	v_cndmask_b32_e64 v13, 0, v1, s[12:13]
.LBB93_190:
	s_or_b64 exec, exec, s[18:19]
	v_mov_b32_e32 v4, v2
	v_cmp_gt_i64_e64 s[12:13], s[16:17], v[3:4]
	s_and_saveexec_b64 s[16:17], s[12:13]
	s_cbranch_execz .LBB93_192
; %bb.191:
	v_add_u32_e32 v1, s21, v3
	v_mov_b32_e32 v2, 0
	v_lshlrev_b64 v[14:15], 2, v[1:2]
	v_mov_b32_e32 v1, s15
	v_add_co_u32_e64 v14, s[12:13], s14, v14
	v_addc_co_u32_e64 v15, s[12:13], v1, v15, s[12:13]
	global_load_dword v1, v[14:15], off
	ds_read_b32 v2, v2
	s_waitcnt vmcnt(0) lgkmcnt(0)
	v_cmp_eq_f32_e64 s[12:13], v1, v2
	v_cndmask_b32_e64 v2, 0, v3, s[12:13]
.LBB93_192:
	s_or_b64 exec, exec, s[16:17]
	v_cndmask_b32_e64 v1, 0, v13, s[2:3]
	v_max_u32_e32 v2, v2, v1
	v_cndmask_b32_e64 v1, v1, v2, s[6:7]
	ds_bpermute_b32 v2, v6, v1
	s_waitcnt lgkmcnt(0)
	s_barrier
	v_max_u32_e32 v1, v2, v1
	ds_bpermute_b32 v2, v7, v1
	s_waitcnt lgkmcnt(0)
	v_max_u32_e32 v1, v2, v1
	ds_bpermute_b32 v2, v8, v1
	s_waitcnt lgkmcnt(0)
	v_max_u32_e32 v1, v2, v1
	ds_bpermute_b32 v2, v9, v1
	s_waitcnt lgkmcnt(0)
	v_max_u32_e32 v1, v2, v1
	ds_bpermute_b32 v2, v10, v1
	s_waitcnt lgkmcnt(0)
	v_max_u32_e32 v1, v2, v1
	ds_bpermute_b32 v2, v11, v1
	s_and_saveexec_b64 s[2:3], s[8:9]
	s_cbranch_execz .LBB93_194
; %bb.193:
	v_lshrrev_b32_e32 v0, 4, v0
	v_add_u32_e32 v0, 4, v0
	s_waitcnt lgkmcnt(0)
	v_max_u32_e32 v1, v2, v1
	ds_write_b32 v0, v1
.LBB93_194:
	s_or_b64 exec, exec, s[2:3]
	v_mov_b32_e32 v0, 0
	s_waitcnt lgkmcnt(0)
	s_barrier
	s_and_saveexec_b64 s[2:3], s[10:11]
	s_cbranch_execnz .LBB93_201
; %bb.195:
	s_or_b64 exec, exec, s[2:3]
	s_and_saveexec_b64 s[2:3], s[0:1]
	s_cbranch_execnz .LBB93_202
.LBB93_196:
	s_or_b64 exec, exec, s[2:3]
	s_and_saveexec_b64 s[0:1], vcc
	s_cbranch_execnz .LBB93_203
.LBB93_197:
	s_endpgm
.LBB93_198:
	ds_read_b32 v4, v12 offset:8192
	s_or_b64 exec, exec, s[12:13]
	s_and_saveexec_b64 s[12:13], s[10:11]
	s_cbranch_execz .LBB93_185
.LBB93_199:
	ds_read_b32 v2, v12 offset:8196
	s_or_b64 exec, exec, s[12:13]
	s_and_saveexec_b64 s[18:19], s[0:1]
	s_cbranch_execz .LBB93_186
.LBB93_200:
	s_waitcnt lgkmcnt(0)
	ds_bpermute_b32 v13, v6, v4
	ds_bpermute_b32 v14, v6, v2
	s_waitcnt lgkmcnt(1)
	v_max_u32_e32 v15, v13, v4
	v_cmp_gt_u32_e64 s[12:13], v13, v4
	ds_bpermute_b32 v16, v7, v15
	s_waitcnt lgkmcnt(1)
	v_cndmask_b32_e64 v2, v2, v14, s[12:13]
	ds_bpermute_b32 v4, v7, v2
	s_waitcnt lgkmcnt(1)
	v_max_u32_e32 v13, v16, v15
	v_cmp_gt_u32_e64 s[12:13], v16, v15
	ds_bpermute_b32 v14, v8, v13
	s_waitcnt lgkmcnt(1)
	v_cndmask_b32_e64 v2, v2, v4, s[12:13]
	;; [unrolled: 7-line block ×4, first 2 shown]
	ds_bpermute_b32 v4, v10, v2
	s_waitcnt lgkmcnt(1)
	v_max_u32_e32 v15, v14, v13
	v_cmp_gt_u32_e64 s[12:13], v14, v13
	s_waitcnt lgkmcnt(0)
	v_cndmask_b32_e64 v2, v2, v4, s[12:13]
	ds_bpermute_b32 v4, v11, v15
	ds_bpermute_b32 v13, v11, v2
	s_waitcnt lgkmcnt(1)
	v_cmp_gt_u32_e64 s[12:13], v4, v15
	s_waitcnt lgkmcnt(0)
	v_cndmask_b32_e64 v2, v2, v13, s[12:13]
	s_or_b64 exec, exec, s[18:19]
	s_and_saveexec_b64 s[12:13], vcc
	s_cbranch_execnz .LBB93_187
	s_branch .LBB93_188
.LBB93_201:
	v_lshlrev_b32_e32 v0, 2, v5
	v_sub_u32_e32 v0, v12, v0
	ds_read_b32 v0, v0
	s_or_b64 exec, exec, s[2:3]
	s_and_saveexec_b64 s[2:3], s[0:1]
	s_cbranch_execz .LBB93_196
.LBB93_202:
	s_waitcnt lgkmcnt(0)
	ds_bpermute_b32 v1, v6, v0
	s_waitcnt lgkmcnt(0)
	v_max_u32_e32 v0, v1, v0
	ds_bpermute_b32 v1, v7, v0
	s_waitcnt lgkmcnt(0)
	v_max_u32_e32 v0, v1, v0
	;; [unrolled: 3-line block ×6, first 2 shown]
	s_or_b64 exec, exec, s[2:3]
	s_and_saveexec_b64 s[0:1], vcc
	s_cbranch_execz .LBB93_197
.LBB93_203:
	s_load_dword s6, s[4:5], 0xd8
	s_load_dwordx2 s[0:1], s[4:5], 0xe0
	s_add_u32 s2, s4, 8
	s_addc_u32 s3, s5, 0
	s_mov_b32 s5, 0
	s_waitcnt lgkmcnt(0)
	s_cmp_lt_i32 s6, 2
	s_cbranch_scc1 .LBB93_206
; %bb.204:
	s_add_i32 s4, s6, -1
	s_add_i32 s8, s6, 1
	s_lshl_b64 s[6:7], s[4:5], 2
	s_add_u32 s4, s2, s6
	s_addc_u32 s7, s3, s7
	s_add_u32 s6, s4, 8
	s_addc_u32 s7, s7, 0
.LBB93_205:                             ; =>This Inner Loop Header: Depth=1
	s_load_dword s4, s[6:7], 0x0
	s_load_dword s10, s[6:7], 0x64
	s_mov_b32 s9, s20
	s_waitcnt lgkmcnt(0)
	v_cvt_f32_u32_e32 v1, s4
	s_sub_i32 s11, 0, s4
	v_rcp_iflag_f32_e32 v1, v1
	v_mul_f32_e32 v1, 0x4f7ffffe, v1
	v_cvt_u32_f32_e32 v1, v1
	v_readfirstlane_b32 s12, v1
	s_mul_i32 s11, s11, s12
	s_mul_hi_u32 s11, s12, s11
	s_add_i32 s12, s12, s11
	s_mul_hi_u32 s11, s20, s12
	s_mul_i32 s12, s11, s4
	s_sub_i32 s12, s20, s12
	s_add_i32 s13, s11, 1
	s_sub_i32 s14, s12, s4
	s_cmp_ge_u32 s12, s4
	s_cselect_b32 s11, s13, s11
	s_cselect_b32 s12, s14, s12
	s_add_i32 s13, s11, 1
	s_cmp_ge_u32 s12, s4
	s_cselect_b32 s20, s13, s11
	s_mul_i32 s4, s20, s4
	s_sub_i32 s4, s9, s4
	s_mul_i32 s4, s10, s4
	s_add_i32 s8, s8, -1
	s_add_i32 s5, s4, s5
	s_add_u32 s6, s6, -4
	s_addc_u32 s7, s7, -1
	s_cmp_gt_u32 s8, 2
	s_cbranch_scc1 .LBB93_205
.LBB93_206:
	s_load_dword s4, s[2:3], 0x6c
	v_mov_b32_e32 v1, 0
	s_load_dwordx2 s[2:3], s[2:3], 0x0
	ds_read_b32 v2, v1
	s_mov_b32 s7, 0
	s_waitcnt lgkmcnt(0)
	s_mul_i32 s4, s4, s20
	s_add_i32 s6, s4, s5
	s_lshl_b64 s[4:5], s[6:7], 2
	s_add_u32 s2, s2, s4
	s_addc_u32 s3, s3, s5
	global_store_dword v1, v2, s[2:3]
	s_lshl_b64 s[2:3], s[6:7], 3
	s_add_u32 s0, s0, s2
	s_addc_u32 s1, s1, s3
	global_store_dwordx2 v1, v[0:1], s[0:1]
	s_endpgm
	.section	.rodata,"a",@progbits
	.p2align	6, 0x0
	.amdhsa_kernel _ZN2at6native12compute_modeIfLj2048EEEvPKT_NS_4cuda6detail10TensorInfoIS2_jEENS7_IljEEll
		.amdhsa_group_segment_fixed_size 4
		.amdhsa_private_segment_fixed_size 0
		.amdhsa_kernarg_size 712
		.amdhsa_user_sgpr_count 6
		.amdhsa_user_sgpr_private_segment_buffer 1
		.amdhsa_user_sgpr_dispatch_ptr 0
		.amdhsa_user_sgpr_queue_ptr 0
		.amdhsa_user_sgpr_kernarg_segment_ptr 1
		.amdhsa_user_sgpr_dispatch_id 0
		.amdhsa_user_sgpr_flat_scratch_init 0
		.amdhsa_user_sgpr_private_segment_size 0
		.amdhsa_uses_dynamic_stack 0
		.amdhsa_system_sgpr_private_segment_wavefront_offset 0
		.amdhsa_system_sgpr_workgroup_id_x 1
		.amdhsa_system_sgpr_workgroup_id_y 1
		.amdhsa_system_sgpr_workgroup_id_z 1
		.amdhsa_system_sgpr_workgroup_info 0
		.amdhsa_system_vgpr_workitem_id 0
		.amdhsa_next_free_vgpr 42
		.amdhsa_next_free_sgpr 22
		.amdhsa_reserve_vcc 1
		.amdhsa_reserve_flat_scratch 0
		.amdhsa_float_round_mode_32 0
		.amdhsa_float_round_mode_16_64 0
		.amdhsa_float_denorm_mode_32 3
		.amdhsa_float_denorm_mode_16_64 3
		.amdhsa_dx10_clamp 1
		.amdhsa_ieee_mode 1
		.amdhsa_fp16_overflow 0
		.amdhsa_exception_fp_ieee_invalid_op 0
		.amdhsa_exception_fp_denorm_src 0
		.amdhsa_exception_fp_ieee_div_zero 0
		.amdhsa_exception_fp_ieee_overflow 0
		.amdhsa_exception_fp_ieee_underflow 0
		.amdhsa_exception_fp_ieee_inexact 0
		.amdhsa_exception_int_div_zero 0
	.end_amdhsa_kernel
	.section	.text._ZN2at6native12compute_modeIfLj2048EEEvPKT_NS_4cuda6detail10TensorInfoIS2_jEENS7_IljEEll,"axG",@progbits,_ZN2at6native12compute_modeIfLj2048EEEvPKT_NS_4cuda6detail10TensorInfoIS2_jEENS7_IljEEll,comdat
.Lfunc_end93:
	.size	_ZN2at6native12compute_modeIfLj2048EEEvPKT_NS_4cuda6detail10TensorInfoIS2_jEENS7_IljEEll, .Lfunc_end93-_ZN2at6native12compute_modeIfLj2048EEEvPKT_NS_4cuda6detail10TensorInfoIS2_jEENS7_IljEEll
                                        ; -- End function
	.set _ZN2at6native12compute_modeIfLj2048EEEvPKT_NS_4cuda6detail10TensorInfoIS2_jEENS7_IljEEll.num_vgpr, 42
	.set _ZN2at6native12compute_modeIfLj2048EEEvPKT_NS_4cuda6detail10TensorInfoIS2_jEENS7_IljEEll.num_agpr, 0
	.set _ZN2at6native12compute_modeIfLj2048EEEvPKT_NS_4cuda6detail10TensorInfoIS2_jEENS7_IljEEll.numbered_sgpr, 22
	.set _ZN2at6native12compute_modeIfLj2048EEEvPKT_NS_4cuda6detail10TensorInfoIS2_jEENS7_IljEEll.num_named_barrier, 0
	.set _ZN2at6native12compute_modeIfLj2048EEEvPKT_NS_4cuda6detail10TensorInfoIS2_jEENS7_IljEEll.private_seg_size, 0
	.set _ZN2at6native12compute_modeIfLj2048EEEvPKT_NS_4cuda6detail10TensorInfoIS2_jEENS7_IljEEll.uses_vcc, 1
	.set _ZN2at6native12compute_modeIfLj2048EEEvPKT_NS_4cuda6detail10TensorInfoIS2_jEENS7_IljEEll.uses_flat_scratch, 0
	.set _ZN2at6native12compute_modeIfLj2048EEEvPKT_NS_4cuda6detail10TensorInfoIS2_jEENS7_IljEEll.has_dyn_sized_stack, 0
	.set _ZN2at6native12compute_modeIfLj2048EEEvPKT_NS_4cuda6detail10TensorInfoIS2_jEENS7_IljEEll.has_recursion, 0
	.set _ZN2at6native12compute_modeIfLj2048EEEvPKT_NS_4cuda6detail10TensorInfoIS2_jEENS7_IljEEll.has_indirect_call, 0
	.section	.AMDGPU.csdata,"",@progbits
; Kernel info:
; codeLenInByte = 15088
; TotalNumSgprs: 26
; NumVgprs: 42
; ScratchSize: 0
; MemoryBound: 0
; FloatMode: 240
; IeeeMode: 1
; LDSByteSize: 4 bytes/workgroup (compile time only)
; SGPRBlocks: 3
; VGPRBlocks: 10
; NumSGPRsForWavesPerEU: 26
; NumVGPRsForWavesPerEU: 42
; Occupancy: 5
; WaveLimiterHint : 1
; COMPUTE_PGM_RSRC2:SCRATCH_EN: 0
; COMPUTE_PGM_RSRC2:USER_SGPR: 6
; COMPUTE_PGM_RSRC2:TRAP_HANDLER: 0
; COMPUTE_PGM_RSRC2:TGID_X_EN: 1
; COMPUTE_PGM_RSRC2:TGID_Y_EN: 1
; COMPUTE_PGM_RSRC2:TGID_Z_EN: 1
; COMPUTE_PGM_RSRC2:TIDIG_COMP_CNT: 0
	.section	.text._ZN2at6native12compute_modeIfLj1024EEEvPKT_NS_4cuda6detail10TensorInfoIS2_jEENS7_IljEEll,"axG",@progbits,_ZN2at6native12compute_modeIfLj1024EEEvPKT_NS_4cuda6detail10TensorInfoIS2_jEENS7_IljEEll,comdat
	.protected	_ZN2at6native12compute_modeIfLj1024EEEvPKT_NS_4cuda6detail10TensorInfoIS2_jEENS7_IljEEll ; -- Begin function _ZN2at6native12compute_modeIfLj1024EEEvPKT_NS_4cuda6detail10TensorInfoIS2_jEENS7_IljEEll
	.globl	_ZN2at6native12compute_modeIfLj1024EEEvPKT_NS_4cuda6detail10TensorInfoIS2_jEENS7_IljEEll
	.p2align	8
	.type	_ZN2at6native12compute_modeIfLj1024EEEvPKT_NS_4cuda6detail10TensorInfoIS2_jEENS7_IljEEll,@function
_ZN2at6native12compute_modeIfLj1024EEEvPKT_NS_4cuda6detail10TensorInfoIS2_jEENS7_IljEEll: ; @_ZN2at6native12compute_modeIfLj1024EEEvPKT_NS_4cuda6detail10TensorInfoIS2_jEENS7_IljEEll
; %bb.0:
	s_load_dwordx2 s[2:3], s[4:5], 0x1c8
	s_load_dwordx4 s[16:19], s[4:5], 0x1b8
	s_add_u32 s0, s4, 0x1c8
	s_addc_u32 s1, s5, 0
	v_mov_b32_e32 v2, 0
	s_waitcnt lgkmcnt(0)
	s_mul_i32 s3, s3, s8
	s_add_i32 s3, s3, s7
	s_mul_i32 s2, s3, s2
	s_add_i32 s20, s2, s6
	v_mov_b32_e32 v1, s20
	v_cmp_le_i64_e32 vcc, s[18:19], v[1:2]
	s_cbranch_vccnz .LBB94_173
; %bb.1:
	s_load_dwordx2 s[14:15], s[4:5], 0x0
	s_load_dword s6, s[0:1], 0xc
	v_mov_b32_e32 v1, v2
	v_cmp_gt_i64_e32 vcc, s[16:17], v[0:1]
	s_mul_i32 s21, s20, s16
	s_and_saveexec_b64 s[2:3], vcc
	s_cbranch_execz .LBB94_3
; %bb.2:
	v_add_u32_e32 v1, s21, v0
	v_lshlrev_b64 v[3:4], 2, v[1:2]
	s_waitcnt lgkmcnt(0)
	v_mov_b32_e32 v1, s15
	v_add_co_u32_e64 v3, s[0:1], s14, v3
	v_addc_co_u32_e64 v4, s[0:1], v1, v4, s[0:1]
	global_load_dword v1, v[3:4], off
	v_lshl_add_u32 v3, v0, 2, 4
	s_waitcnt vmcnt(0)
	ds_write_b32 v3, v1
.LBB94_3:
	s_or_b64 exec, exec, s[2:3]
	s_waitcnt lgkmcnt(0)
	s_and_b32 s18, 0xffff, s6
	v_add_u32_e32 v1, s18, v0
	v_cmp_gt_i64_e64 s[0:1], s[16:17], v[1:2]
	s_and_saveexec_b64 s[6:7], s[0:1]
	s_cbranch_execz .LBB94_5
; %bb.4:
	v_add_u32_e32 v2, s21, v1
	v_mov_b32_e32 v3, 0
	v_lshlrev_b64 v[2:3], 2, v[2:3]
	v_mov_b32_e32 v4, s15
	v_add_co_u32_e64 v2, s[2:3], s14, v2
	v_addc_co_u32_e64 v3, s[2:3], v4, v3, s[2:3]
	global_load_dword v2, v[2:3], off
	v_lshl_add_u32 v1, v1, 2, 4
	s_waitcnt vmcnt(0)
	ds_write_b32 v1, v2
.LBB94_5:
	s_or_b64 exec, exec, s[6:7]
	v_add_u32_e32 v1, 4, v0
	v_mad_u32_u24 v4, v0, 7, v1
	v_cndmask_b32_e64 v2, 0, 1, vcc
	v_mad_i32_i24 v5, v0, -6, v4
	ds_write_b8 v1, v2 offset:4096
	v_add_u32_e32 v2, s18, v1
	v_cndmask_b32_e64 v3, 0, 1, s[0:1]
	v_mad_u32_u24 v6, v0, 6, v5
	ds_write_b8 v2, v3 offset:4096
	s_waitcnt lgkmcnt(0)
	s_barrier
	s_barrier
	ds_read2_b32 v[1:2], v4 offset1:1
	ds_read_u8 v5, v5 offset:4096
	v_mad_i32_i24 v7, v0, -6, v6
	ds_read_u8 v9, v7 offset:4097
	v_and_b32_e32 v3, 1, v0
	s_waitcnt lgkmcnt(2)
	v_cmp_lt_f32_e32 vcc, v1, v2
	s_waitcnt lgkmcnt(1)
	v_and_b32_e32 v7, 1, v5
	v_cmp_eq_u32_e64 s[0:1], 1, v7
	s_waitcnt lgkmcnt(0)
	v_cmp_ne_u16_e64 s[2:3], v9, v3
	v_cndmask_b32_e64 v7, 0, 1, s[2:3]
	s_and_b64 vcc, vcc, s[0:1]
	v_cndmask_b32_e32 v7, v7, v0, vcc
	v_mul_i32_i24_e32 v8, -6, v0
	v_and_b32_e32 v7, 1, v7
	v_cmp_eq_u32_e32 vcc, 1, v7
	v_add_u32_e32 v7, v4, v8
	v_add_u32_e32 v8, v6, v8
	s_and_saveexec_b64 s[0:1], vcc
	s_cbranch_execz .LBB94_7
; %bb.6:
	ds_write_b32 v4, v2
	ds_write_b32 v6, v1 offset:4
	ds_write_b8 v7, v9 offset:4096
	ds_write_b8 v8, v5 offset:4097
.LBB94_7:
	s_or_b64 exec, exec, s[0:1]
	v_lshlrev_b32_e32 v1, 1, v0
	v_sub_u32_e32 v11, v1, v3
	v_add_u32_e32 v9, 4, v11
	v_lshl_add_u32 v10, v11, 2, 4
	v_mad_i32_i24 v3, v11, 3, v9
	s_waitcnt lgkmcnt(0)
	s_barrier
	ds_read_b32 v2, v10
	ds_read_b32 v12, v3 offset:8
	ds_read_u8 v3, v9 offset:4096
	ds_read_u8 v13, v9 offset:4098
	v_bfe_u32 v14, v0, 1, 1
	v_and_b32_e32 v5, 2, v0
	s_waitcnt lgkmcnt(2)
	v_cmp_lt_f32_e64 s[0:1], v2, v12
	s_waitcnt lgkmcnt(1)
	v_and_b32_e32 v15, 1, v3
	v_cmp_eq_u32_e64 s[2:3], 1, v15
	s_waitcnt lgkmcnt(0)
	v_cmp_ne_u16_e64 s[6:7], v13, v14
	v_cndmask_b32_e64 v15, 0, 1, s[6:7]
	s_and_b64 s[0:1], s[0:1], s[2:3]
	v_cndmask_b32_e64 v14, v15, v14, s[0:1]
	v_mul_i32_i24_e32 v11, 3, v11
	v_and_b32_e32 v14, 1, v14
	v_cmp_ne_u32_e32 vcc, 0, v5
	v_cmp_eq_u32_e64 s[0:1], 1, v14
	v_add_u32_e32 v11, v9, v11
	s_and_saveexec_b64 s[2:3], s[0:1]
	s_xor_b64 s[0:1], exec, s[2:3]
	s_cbranch_execz .LBB94_9
; %bb.8:
	ds_write_b32 v10, v12
	ds_write_b32 v11, v2 offset:8
	ds_write_b8 v9, v13 offset:4096
	ds_write_b8 v9, v3 offset:4098
.LBB94_9:
	s_or_b64 exec, exec, s[0:1]
	s_waitcnt lgkmcnt(0)
	s_barrier
	ds_read2_b32 v[2:3], v4 offset1:1
	ds_read_u8 v12, v7 offset:4096
	ds_read_u8 v13, v8 offset:4097
	v_lshrrev_b32_e32 v5, 1, v5
	s_waitcnt lgkmcnt(2)
	v_cmp_lt_f32_e64 s[0:1], v2, v3
	s_waitcnt lgkmcnt(1)
	v_and_b32_e32 v14, 1, v12
	v_cmp_eq_u32_e64 s[2:3], 1, v14
	s_waitcnt lgkmcnt(0)
	v_cmp_ne_u16_e64 s[6:7], v13, v5
	v_cndmask_b32_e64 v5, 0, 1, s[6:7]
	v_cndmask_b32_e64 v14, 0, 1, vcc
	s_and_b64 vcc, s[0:1], s[2:3]
	v_cndmask_b32_e32 v5, v5, v14, vcc
	v_and_b32_e32 v5, 1, v5
	v_cmp_eq_u32_e32 vcc, 1, v5
	s_and_saveexec_b64 s[0:1], vcc
	s_cbranch_execz .LBB94_11
; %bb.10:
	ds_write_b32 v4, v3
	ds_write_b32 v6, v2 offset:4
	ds_write_b8 v7, v13 offset:4096
	ds_write_b8 v8, v12 offset:4097
.LBB94_11:
	s_or_b64 exec, exec, s[0:1]
	v_and_b32_e32 v3, 3, v0
	v_sub_u32_e32 v14, v1, v3
	v_add_u32_e32 v12, 4, v14
	v_lshl_add_u32 v13, v14, 2, 4
	v_mad_i32_i24 v5, v14, 3, v12
	s_waitcnt lgkmcnt(0)
	s_barrier
	ds_read_b32 v3, v13
	ds_read_b32 v15, v5 offset:16
	ds_read_u8 v5, v12 offset:4096
	ds_read_u8 v16, v12 offset:4100
	v_bfe_u32 v17, v0, 2, 1
	v_and_b32_e32 v2, 4, v0
	s_waitcnt lgkmcnt(2)
	v_cmp_lt_f32_e64 s[0:1], v3, v15
	s_waitcnt lgkmcnt(1)
	v_and_b32_e32 v18, 1, v5
	v_cmp_eq_u32_e64 s[2:3], 1, v18
	s_waitcnt lgkmcnt(0)
	v_cmp_ne_u16_e64 s[6:7], v16, v17
	v_cndmask_b32_e64 v18, 0, 1, s[6:7]
	s_and_b64 s[0:1], s[0:1], s[2:3]
	v_cndmask_b32_e64 v17, v18, v17, s[0:1]
	v_mul_i32_i24_e32 v14, 3, v14
	v_and_b32_e32 v17, 1, v17
	v_cmp_ne_u32_e32 vcc, 0, v2
	v_cmp_eq_u32_e64 s[0:1], 1, v17
	v_add_u32_e32 v14, v12, v14
	s_and_saveexec_b64 s[2:3], s[0:1]
	s_cbranch_execz .LBB94_13
; %bb.12:
	ds_write_b32 v13, v15
	ds_write_b32 v14, v3 offset:16
	ds_write_b8 v12, v16 offset:4096
	ds_write_b8 v12, v5 offset:4100
.LBB94_13:
	s_or_b64 exec, exec, s[2:3]
	s_waitcnt lgkmcnt(0)
	s_barrier
	ds_read_b32 v3, v10
	ds_read_b32 v17, v11 offset:8
	ds_read_u8 v16, v9 offset:4096
	ds_read_u8 v18, v9 offset:4098
	v_lshrrev_b32_e32 v5, 2, v2
	v_cndmask_b32_e64 v15, 0, 1, vcc
	s_waitcnt lgkmcnt(2)
	v_cmp_lt_f32_e64 s[0:1], v3, v17
	s_waitcnt lgkmcnt(1)
	v_and_b32_e32 v2, 1, v16
	v_cmp_eq_u32_e64 s[2:3], 1, v2
	s_waitcnt lgkmcnt(0)
	v_cmp_ne_u16_e64 s[6:7], v18, v5
	v_cndmask_b32_e64 v2, 0, 1, s[6:7]
	s_and_b64 vcc, s[0:1], s[2:3]
	v_cndmask_b32_e32 v2, v2, v15, vcc
	v_and_b32_e32 v2, 1, v2
	v_cmp_eq_u32_e32 vcc, 1, v2
	s_and_saveexec_b64 s[0:1], vcc
	s_cbranch_execz .LBB94_15
; %bb.14:
	ds_write_b32 v10, v17
	ds_write_b32 v11, v3 offset:8
	ds_write_b8 v9, v18 offset:4096
	ds_write_b8 v9, v16 offset:4098
.LBB94_15:
	s_or_b64 exec, exec, s[0:1]
	s_waitcnt lgkmcnt(0)
	s_barrier
	ds_read2_b32 v[2:3], v4 offset1:1
	ds_read_u8 v16, v7 offset:4096
	ds_read_u8 v17, v8 offset:4097
	s_waitcnt lgkmcnt(2)
	v_cmp_lt_f32_e32 vcc, v2, v3
	s_waitcnt lgkmcnt(1)
	v_and_b32_e32 v18, 1, v16
	v_cmp_eq_u32_e64 s[0:1], 1, v18
	s_waitcnt lgkmcnt(0)
	v_cmp_ne_u16_e64 s[2:3], v17, v5
	v_cndmask_b32_e64 v5, 0, 1, s[2:3]
	s_and_b64 vcc, vcc, s[0:1]
	v_cndmask_b32_e32 v5, v5, v15, vcc
	v_and_b32_e32 v5, 1, v5
	v_cmp_eq_u32_e32 vcc, 1, v5
	s_and_saveexec_b64 s[0:1], vcc
	s_cbranch_execz .LBB94_17
; %bb.16:
	ds_write_b32 v4, v3
	ds_write_b32 v6, v2 offset:4
	ds_write_b8 v7, v17 offset:4096
	ds_write_b8 v8, v16 offset:4097
.LBB94_17:
	s_or_b64 exec, exec, s[0:1]
	v_and_b32_e32 v3, 7, v0
	v_sub_u32_e32 v17, v1, v3
	v_add_u32_e32 v15, 4, v17
	v_lshl_add_u32 v16, v17, 2, 4
	v_mad_i32_i24 v5, v17, 3, v15
	s_waitcnt lgkmcnt(0)
	s_barrier
	ds_read_b32 v3, v16
	ds_read_b32 v18, v5 offset:32
	ds_read_u8 v5, v15 offset:4096
	ds_read_u8 v19, v15 offset:4104
	v_bfe_u32 v20, v0, 3, 1
	v_and_b32_e32 v2, 8, v0
	s_waitcnt lgkmcnt(2)
	v_cmp_lt_f32_e64 s[0:1], v3, v18
	s_waitcnt lgkmcnt(1)
	v_and_b32_e32 v21, 1, v5
	v_cmp_eq_u32_e64 s[2:3], 1, v21
	s_waitcnt lgkmcnt(0)
	v_cmp_ne_u16_e64 s[6:7], v19, v20
	v_cndmask_b32_e64 v21, 0, 1, s[6:7]
	s_and_b64 s[0:1], s[0:1], s[2:3]
	v_cndmask_b32_e64 v20, v21, v20, s[0:1]
	v_mul_i32_i24_e32 v17, 3, v17
	v_and_b32_e32 v20, 1, v20
	v_cmp_ne_u32_e32 vcc, 0, v2
	v_cmp_eq_u32_e64 s[0:1], 1, v20
	v_add_u32_e32 v17, v15, v17
	s_and_saveexec_b64 s[2:3], s[0:1]
	s_cbranch_execz .LBB94_19
; %bb.18:
	ds_write_b32 v16, v18
	ds_write_b32 v17, v3 offset:32
	ds_write_b8 v15, v19 offset:4096
	ds_write_b8 v15, v5 offset:4104
.LBB94_19:
	s_or_b64 exec, exec, s[2:3]
	s_waitcnt lgkmcnt(0)
	s_barrier
	ds_read_b32 v3, v13
	ds_read_b32 v20, v14 offset:16
	ds_read_u8 v19, v12 offset:4096
	ds_read_u8 v21, v12 offset:4100
	v_lshrrev_b32_e32 v5, 3, v2
	v_cndmask_b32_e64 v18, 0, 1, vcc
	s_waitcnt lgkmcnt(2)
	v_cmp_lt_f32_e64 s[0:1], v3, v20
	s_waitcnt lgkmcnt(1)
	v_and_b32_e32 v2, 1, v19
	v_cmp_eq_u32_e64 s[2:3], 1, v2
	s_waitcnt lgkmcnt(0)
	v_cmp_ne_u16_e64 s[6:7], v21, v5
	v_cndmask_b32_e64 v2, 0, 1, s[6:7]
	s_and_b64 vcc, s[0:1], s[2:3]
	v_cndmask_b32_e32 v2, v2, v18, vcc
	v_and_b32_e32 v2, 1, v2
	v_cmp_eq_u32_e32 vcc, 1, v2
	s_and_saveexec_b64 s[0:1], vcc
	s_cbranch_execz .LBB94_21
; %bb.20:
	ds_write_b32 v13, v20
	ds_write_b32 v14, v3 offset:16
	ds_write_b8 v12, v21 offset:4096
	ds_write_b8 v12, v19 offset:4100
.LBB94_21:
	s_or_b64 exec, exec, s[0:1]
	s_waitcnt lgkmcnt(0)
	s_barrier
	ds_read_b32 v2, v10
	ds_read_b32 v19, v11 offset:8
	ds_read_u8 v3, v9 offset:4096
	ds_read_u8 v20, v9 offset:4098
	s_waitcnt lgkmcnt(2)
	v_cmp_lt_f32_e32 vcc, v2, v19
	s_waitcnt lgkmcnt(1)
	v_and_b32_e32 v21, 1, v3
	v_cmp_eq_u32_e64 s[0:1], 1, v21
	s_waitcnt lgkmcnt(0)
	v_cmp_ne_u16_e64 s[2:3], v20, v5
	v_cndmask_b32_e64 v21, 0, 1, s[2:3]
	s_and_b64 vcc, vcc, s[0:1]
	v_cndmask_b32_e32 v21, v21, v18, vcc
	v_and_b32_e32 v21, 1, v21
	v_cmp_eq_u32_e32 vcc, 1, v21
	s_and_saveexec_b64 s[0:1], vcc
	s_cbranch_execz .LBB94_23
; %bb.22:
	ds_write_b32 v10, v19
	ds_write_b32 v11, v2 offset:8
	ds_write_b8 v9, v20 offset:4096
	ds_write_b8 v9, v3 offset:4098
.LBB94_23:
	s_or_b64 exec, exec, s[0:1]
	s_waitcnt lgkmcnt(0)
	s_barrier
	ds_read2_b32 v[2:3], v4 offset1:1
	ds_read_u8 v19, v7 offset:4096
	ds_read_u8 v20, v8 offset:4097
	s_waitcnt lgkmcnt(2)
	v_cmp_lt_f32_e32 vcc, v2, v3
	s_waitcnt lgkmcnt(1)
	v_and_b32_e32 v21, 1, v19
	v_cmp_eq_u32_e64 s[0:1], 1, v21
	s_waitcnt lgkmcnt(0)
	v_cmp_ne_u16_e64 s[2:3], v20, v5
	v_cndmask_b32_e64 v5, 0, 1, s[2:3]
	s_and_b64 vcc, vcc, s[0:1]
	v_cndmask_b32_e32 v5, v5, v18, vcc
	v_and_b32_e32 v5, 1, v5
	v_cmp_eq_u32_e32 vcc, 1, v5
	s_and_saveexec_b64 s[0:1], vcc
	s_cbranch_execz .LBB94_25
; %bb.24:
	ds_write_b32 v4, v3
	ds_write_b32 v6, v2 offset:4
	ds_write_b8 v7, v20 offset:4096
	ds_write_b8 v8, v19 offset:4097
.LBB94_25:
	s_or_b64 exec, exec, s[0:1]
	v_and_b32_e32 v3, 15, v0
	v_sub_u32_e32 v20, v1, v3
	v_add_u32_e32 v18, 4, v20
	v_lshl_add_u32 v19, v20, 2, 4
	v_mad_i32_i24 v5, v20, 3, v18
	s_waitcnt lgkmcnt(0)
	s_barrier
	ds_read_b32 v3, v19
	ds_read_b32 v21, v5 offset:64
	ds_read_u8 v5, v18 offset:4096
	ds_read_u8 v22, v18 offset:4112
	v_bfe_u32 v23, v0, 4, 1
	v_and_b32_e32 v2, 16, v0
	s_waitcnt lgkmcnt(2)
	v_cmp_lt_f32_e64 s[0:1], v3, v21
	s_waitcnt lgkmcnt(1)
	v_and_b32_e32 v24, 1, v5
	v_cmp_eq_u32_e64 s[2:3], 1, v24
	s_waitcnt lgkmcnt(0)
	v_cmp_ne_u16_e64 s[6:7], v22, v23
	v_cndmask_b32_e64 v24, 0, 1, s[6:7]
	s_and_b64 s[0:1], s[0:1], s[2:3]
	v_cndmask_b32_e64 v23, v24, v23, s[0:1]
	v_mul_i32_i24_e32 v20, 3, v20
	v_and_b32_e32 v23, 1, v23
	v_cmp_ne_u32_e32 vcc, 0, v2
	v_cmp_eq_u32_e64 s[0:1], 1, v23
	v_add_u32_e32 v20, v18, v20
	s_and_saveexec_b64 s[2:3], s[0:1]
	s_cbranch_execz .LBB94_27
; %bb.26:
	ds_write_b32 v19, v21
	ds_write_b32 v20, v3 offset:64
	ds_write_b8 v18, v22 offset:4096
	ds_write_b8 v18, v5 offset:4112
.LBB94_27:
	s_or_b64 exec, exec, s[2:3]
	s_waitcnt lgkmcnt(0)
	s_barrier
	ds_read_b32 v3, v16
	ds_read_b32 v23, v17 offset:32
	ds_read_u8 v22, v15 offset:4096
	ds_read_u8 v24, v15 offset:4104
	v_lshrrev_b32_e32 v5, 4, v2
	v_cndmask_b32_e64 v21, 0, 1, vcc
	s_waitcnt lgkmcnt(2)
	v_cmp_lt_f32_e64 s[0:1], v3, v23
	s_waitcnt lgkmcnt(1)
	v_and_b32_e32 v2, 1, v22
	v_cmp_eq_u32_e64 s[2:3], 1, v2
	s_waitcnt lgkmcnt(0)
	v_cmp_ne_u16_e64 s[6:7], v24, v5
	v_cndmask_b32_e64 v2, 0, 1, s[6:7]
	s_and_b64 vcc, s[0:1], s[2:3]
	v_cndmask_b32_e32 v2, v2, v21, vcc
	v_and_b32_e32 v2, 1, v2
	v_cmp_eq_u32_e32 vcc, 1, v2
	s_and_saveexec_b64 s[0:1], vcc
	s_cbranch_execz .LBB94_29
; %bb.28:
	ds_write_b32 v16, v23
	ds_write_b32 v17, v3 offset:32
	ds_write_b8 v15, v24 offset:4096
	ds_write_b8 v15, v22 offset:4104
.LBB94_29:
	s_or_b64 exec, exec, s[0:1]
	s_waitcnt lgkmcnt(0)
	s_barrier
	ds_read_b32 v2, v13
	ds_read_b32 v22, v14 offset:16
	ds_read_u8 v3, v12 offset:4096
	ds_read_u8 v23, v12 offset:4100
	s_waitcnt lgkmcnt(2)
	v_cmp_lt_f32_e32 vcc, v2, v22
	s_waitcnt lgkmcnt(1)
	v_and_b32_e32 v24, 1, v3
	v_cmp_eq_u32_e64 s[0:1], 1, v24
	s_waitcnt lgkmcnt(0)
	v_cmp_ne_u16_e64 s[2:3], v23, v5
	v_cndmask_b32_e64 v24, 0, 1, s[2:3]
	s_and_b64 vcc, vcc, s[0:1]
	v_cndmask_b32_e32 v24, v24, v21, vcc
	v_and_b32_e32 v24, 1, v24
	v_cmp_eq_u32_e32 vcc, 1, v24
	s_and_saveexec_b64 s[0:1], vcc
	s_cbranch_execz .LBB94_31
; %bb.30:
	ds_write_b32 v13, v22
	ds_write_b32 v14, v2 offset:16
	ds_write_b8 v12, v23 offset:4096
	ds_write_b8 v12, v3 offset:4100
.LBB94_31:
	s_or_b64 exec, exec, s[0:1]
	s_waitcnt lgkmcnt(0)
	s_barrier
	ds_read_b32 v2, v10
	ds_read_b32 v22, v11 offset:8
	ds_read_u8 v3, v9 offset:4096
	ds_read_u8 v23, v9 offset:4098
	s_waitcnt lgkmcnt(2)
	v_cmp_lt_f32_e32 vcc, v2, v22
	s_waitcnt lgkmcnt(1)
	v_and_b32_e32 v24, 1, v3
	v_cmp_eq_u32_e64 s[0:1], 1, v24
	s_waitcnt lgkmcnt(0)
	v_cmp_ne_u16_e64 s[2:3], v23, v5
	v_cndmask_b32_e64 v24, 0, 1, s[2:3]
	s_and_b64 vcc, vcc, s[0:1]
	v_cndmask_b32_e32 v24, v24, v21, vcc
	v_and_b32_e32 v24, 1, v24
	v_cmp_eq_u32_e32 vcc, 1, v24
	s_and_saveexec_b64 s[0:1], vcc
	s_cbranch_execz .LBB94_33
; %bb.32:
	ds_write_b32 v10, v22
	ds_write_b32 v11, v2 offset:8
	ds_write_b8 v9, v23 offset:4096
	ds_write_b8 v9, v3 offset:4098
.LBB94_33:
	s_or_b64 exec, exec, s[0:1]
	s_waitcnt lgkmcnt(0)
	s_barrier
	ds_read2_b32 v[2:3], v4 offset1:1
	ds_read_u8 v22, v7 offset:4096
	ds_read_u8 v23, v8 offset:4097
	s_waitcnt lgkmcnt(2)
	v_cmp_lt_f32_e32 vcc, v2, v3
	s_waitcnt lgkmcnt(1)
	v_and_b32_e32 v24, 1, v22
	v_cmp_eq_u32_e64 s[0:1], 1, v24
	s_waitcnt lgkmcnt(0)
	v_cmp_ne_u16_e64 s[2:3], v23, v5
	v_cndmask_b32_e64 v5, 0, 1, s[2:3]
	s_and_b64 vcc, vcc, s[0:1]
	v_cndmask_b32_e32 v5, v5, v21, vcc
	v_and_b32_e32 v5, 1, v5
	v_cmp_eq_u32_e32 vcc, 1, v5
	s_and_saveexec_b64 s[0:1], vcc
	s_cbranch_execz .LBB94_35
; %bb.34:
	ds_write_b32 v4, v3
	ds_write_b32 v6, v2 offset:4
	ds_write_b8 v7, v23 offset:4096
	ds_write_b8 v8, v22 offset:4097
.LBB94_35:
	s_or_b64 exec, exec, s[0:1]
	v_and_b32_e32 v3, 31, v0
	v_sub_u32_e32 v23, v1, v3
	v_add_u32_e32 v21, 4, v23
	v_lshl_add_u32 v22, v23, 2, 4
	v_mad_i32_i24 v5, v23, 3, v21
	s_waitcnt lgkmcnt(0)
	s_barrier
	ds_read_b32 v3, v22
	ds_read_b32 v24, v5 offset:128
	ds_read_u8 v5, v21 offset:4096
	ds_read_u8 v25, v21 offset:4128
	v_bfe_u32 v26, v0, 5, 1
	v_and_b32_e32 v2, 32, v0
	s_waitcnt lgkmcnt(2)
	v_cmp_lt_f32_e64 s[0:1], v3, v24
	s_waitcnt lgkmcnt(1)
	v_and_b32_e32 v27, 1, v5
	v_cmp_eq_u32_e64 s[2:3], 1, v27
	s_waitcnt lgkmcnt(0)
	v_cmp_ne_u16_e64 s[6:7], v25, v26
	v_cndmask_b32_e64 v27, 0, 1, s[6:7]
	s_and_b64 s[0:1], s[0:1], s[2:3]
	v_cndmask_b32_e64 v26, v27, v26, s[0:1]
	v_mul_i32_i24_e32 v23, 3, v23
	v_and_b32_e32 v26, 1, v26
	v_cmp_ne_u32_e32 vcc, 0, v2
	v_cmp_eq_u32_e64 s[0:1], 1, v26
	v_add_u32_e32 v23, v21, v23
	s_and_saveexec_b64 s[2:3], s[0:1]
	s_cbranch_execz .LBB94_37
; %bb.36:
	ds_write_b32 v22, v24
	ds_write_b32 v23, v3 offset:128
	ds_write_b8 v21, v25 offset:4096
	ds_write_b8 v21, v5 offset:4128
.LBB94_37:
	s_or_b64 exec, exec, s[2:3]
	s_waitcnt lgkmcnt(0)
	s_barrier
	ds_read_b32 v3, v19
	ds_read_b32 v26, v20 offset:64
	ds_read_u8 v25, v18 offset:4096
	ds_read_u8 v27, v18 offset:4112
	v_lshrrev_b32_e32 v5, 5, v2
	v_cndmask_b32_e64 v24, 0, 1, vcc
	s_waitcnt lgkmcnt(2)
	v_cmp_lt_f32_e64 s[0:1], v3, v26
	s_waitcnt lgkmcnt(1)
	v_and_b32_e32 v2, 1, v25
	v_cmp_eq_u32_e64 s[2:3], 1, v2
	s_waitcnt lgkmcnt(0)
	v_cmp_ne_u16_e64 s[6:7], v27, v5
	v_cndmask_b32_e64 v2, 0, 1, s[6:7]
	s_and_b64 vcc, s[0:1], s[2:3]
	v_cndmask_b32_e32 v2, v2, v24, vcc
	v_and_b32_e32 v2, 1, v2
	v_cmp_eq_u32_e32 vcc, 1, v2
	s_and_saveexec_b64 s[0:1], vcc
	s_cbranch_execz .LBB94_39
; %bb.38:
	ds_write_b32 v19, v26
	ds_write_b32 v20, v3 offset:64
	ds_write_b8 v18, v27 offset:4096
	ds_write_b8 v18, v25 offset:4112
.LBB94_39:
	s_or_b64 exec, exec, s[0:1]
	s_waitcnt lgkmcnt(0)
	s_barrier
	ds_read_b32 v2, v16
	ds_read_b32 v25, v17 offset:32
	ds_read_u8 v3, v15 offset:4096
	ds_read_u8 v26, v15 offset:4104
	s_waitcnt lgkmcnt(2)
	v_cmp_lt_f32_e32 vcc, v2, v25
	s_waitcnt lgkmcnt(1)
	v_and_b32_e32 v27, 1, v3
	v_cmp_eq_u32_e64 s[0:1], 1, v27
	s_waitcnt lgkmcnt(0)
	v_cmp_ne_u16_e64 s[2:3], v26, v5
	v_cndmask_b32_e64 v27, 0, 1, s[2:3]
	s_and_b64 vcc, vcc, s[0:1]
	v_cndmask_b32_e32 v27, v27, v24, vcc
	v_and_b32_e32 v27, 1, v27
	v_cmp_eq_u32_e32 vcc, 1, v27
	s_and_saveexec_b64 s[0:1], vcc
	s_cbranch_execz .LBB94_41
; %bb.40:
	ds_write_b32 v16, v25
	ds_write_b32 v17, v2 offset:32
	ds_write_b8 v15, v26 offset:4096
	ds_write_b8 v15, v3 offset:4104
.LBB94_41:
	s_or_b64 exec, exec, s[0:1]
	s_waitcnt lgkmcnt(0)
	s_barrier
	ds_read_b32 v2, v13
	ds_read_b32 v25, v14 offset:16
	ds_read_u8 v3, v12 offset:4096
	ds_read_u8 v26, v12 offset:4100
	s_waitcnt lgkmcnt(2)
	v_cmp_lt_f32_e32 vcc, v2, v25
	s_waitcnt lgkmcnt(1)
	v_and_b32_e32 v27, 1, v3
	v_cmp_eq_u32_e64 s[0:1], 1, v27
	s_waitcnt lgkmcnt(0)
	v_cmp_ne_u16_e64 s[2:3], v26, v5
	v_cndmask_b32_e64 v27, 0, 1, s[2:3]
	s_and_b64 vcc, vcc, s[0:1]
	;; [unrolled: 27-line block ×3, first 2 shown]
	v_cndmask_b32_e32 v27, v27, v24, vcc
	v_and_b32_e32 v27, 1, v27
	v_cmp_eq_u32_e32 vcc, 1, v27
	s_and_saveexec_b64 s[0:1], vcc
	s_cbranch_execz .LBB94_45
; %bb.44:
	ds_write_b32 v10, v25
	ds_write_b32 v11, v2 offset:8
	ds_write_b8 v9, v26 offset:4096
	ds_write_b8 v9, v3 offset:4098
.LBB94_45:
	s_or_b64 exec, exec, s[0:1]
	s_waitcnt lgkmcnt(0)
	s_barrier
	ds_read2_b32 v[2:3], v4 offset1:1
	ds_read_u8 v25, v7 offset:4096
	ds_read_u8 v26, v8 offset:4097
	s_waitcnt lgkmcnt(2)
	v_cmp_lt_f32_e32 vcc, v2, v3
	s_waitcnt lgkmcnt(1)
	v_and_b32_e32 v27, 1, v25
	v_cmp_eq_u32_e64 s[0:1], 1, v27
	s_waitcnt lgkmcnt(0)
	v_cmp_ne_u16_e64 s[2:3], v26, v5
	v_cndmask_b32_e64 v5, 0, 1, s[2:3]
	s_and_b64 vcc, vcc, s[0:1]
	v_cndmask_b32_e32 v5, v5, v24, vcc
	v_and_b32_e32 v5, 1, v5
	v_cmp_eq_u32_e32 vcc, 1, v5
	s_and_saveexec_b64 s[0:1], vcc
	s_cbranch_execz .LBB94_47
; %bb.46:
	ds_write_b32 v4, v3
	ds_write_b32 v6, v2 offset:4
	ds_write_b8 v7, v26 offset:4096
	ds_write_b8 v8, v25 offset:4097
.LBB94_47:
	s_or_b64 exec, exec, s[0:1]
	v_and_b32_e32 v5, 63, v0
	v_sub_u32_e32 v26, v1, v5
	v_add_u32_e32 v24, 4, v26
	v_lshl_add_u32 v25, v26, 2, 4
	v_mad_i32_i24 v27, v26, 3, v24
	s_waitcnt lgkmcnt(0)
	s_barrier
	ds_read_b32 v3, v25
	ds_read_b32 v28, v27 offset:256
	ds_read_u8 v27, v24 offset:4096
	ds_read_u8 v29, v24 offset:4160
	v_bfe_u32 v30, v0, 6, 1
	v_and_b32_e32 v2, 64, v0
	s_waitcnt lgkmcnt(2)
	v_cmp_lt_f32_e64 s[0:1], v3, v28
	s_waitcnt lgkmcnt(1)
	v_and_b32_e32 v31, 1, v27
	v_cmp_eq_u32_e64 s[2:3], 1, v31
	s_waitcnt lgkmcnt(0)
	v_cmp_ne_u16_e64 s[6:7], v29, v30
	v_cndmask_b32_e64 v31, 0, 1, s[6:7]
	s_and_b64 s[0:1], s[0:1], s[2:3]
	v_cndmask_b32_e64 v30, v31, v30, s[0:1]
	v_mul_i32_i24_e32 v26, 3, v26
	v_and_b32_e32 v30, 1, v30
	v_cmp_ne_u32_e32 vcc, 0, v2
	v_cmp_eq_u32_e64 s[0:1], 1, v30
	v_add_u32_e32 v26, v24, v26
	s_and_saveexec_b64 s[2:3], s[0:1]
	s_cbranch_execz .LBB94_49
; %bb.48:
	ds_write_b32 v25, v28
	ds_write_b32 v26, v3 offset:256
	ds_write_b8 v24, v29 offset:4096
	ds_write_b8 v24, v27 offset:4160
.LBB94_49:
	s_or_b64 exec, exec, s[2:3]
	s_waitcnt lgkmcnt(0)
	s_barrier
	ds_read_b32 v3, v22
	ds_read_b32 v30, v23 offset:128
	ds_read_u8 v29, v21 offset:4096
	ds_read_u8 v31, v21 offset:4128
	v_lshrrev_b32_e32 v27, 6, v2
	v_cndmask_b32_e64 v28, 0, 1, vcc
	s_waitcnt lgkmcnt(2)
	v_cmp_lt_f32_e64 s[0:1], v3, v30
	s_waitcnt lgkmcnt(1)
	v_and_b32_e32 v2, 1, v29
	v_cmp_eq_u32_e64 s[2:3], 1, v2
	s_waitcnt lgkmcnt(0)
	v_cmp_ne_u16_e64 s[6:7], v31, v27
	v_cndmask_b32_e64 v2, 0, 1, s[6:7]
	s_and_b64 vcc, s[0:1], s[2:3]
	v_cndmask_b32_e32 v2, v2, v28, vcc
	v_and_b32_e32 v2, 1, v2
	v_cmp_eq_u32_e32 vcc, 1, v2
	s_and_saveexec_b64 s[0:1], vcc
	s_cbranch_execz .LBB94_51
; %bb.50:
	ds_write_b32 v22, v30
	ds_write_b32 v23, v3 offset:128
	ds_write_b8 v21, v31 offset:4096
	ds_write_b8 v21, v29 offset:4128
.LBB94_51:
	s_or_b64 exec, exec, s[0:1]
	s_waitcnt lgkmcnt(0)
	s_barrier
	ds_read_b32 v2, v19
	ds_read_b32 v29, v20 offset:64
	ds_read_u8 v3, v18 offset:4096
	ds_read_u8 v30, v18 offset:4112
	s_waitcnt lgkmcnt(2)
	v_cmp_lt_f32_e32 vcc, v2, v29
	s_waitcnt lgkmcnt(1)
	v_and_b32_e32 v31, 1, v3
	v_cmp_eq_u32_e64 s[0:1], 1, v31
	s_waitcnt lgkmcnt(0)
	v_cmp_ne_u16_e64 s[2:3], v30, v27
	v_cndmask_b32_e64 v31, 0, 1, s[2:3]
	s_and_b64 vcc, vcc, s[0:1]
	v_cndmask_b32_e32 v31, v31, v28, vcc
	v_and_b32_e32 v31, 1, v31
	v_cmp_eq_u32_e32 vcc, 1, v31
	s_and_saveexec_b64 s[0:1], vcc
	s_cbranch_execz .LBB94_53
; %bb.52:
	ds_write_b32 v19, v29
	ds_write_b32 v20, v2 offset:64
	ds_write_b8 v18, v30 offset:4096
	ds_write_b8 v18, v3 offset:4112
.LBB94_53:
	s_or_b64 exec, exec, s[0:1]
	s_waitcnt lgkmcnt(0)
	s_barrier
	ds_read_b32 v2, v16
	ds_read_b32 v29, v17 offset:32
	ds_read_u8 v3, v15 offset:4096
	ds_read_u8 v30, v15 offset:4104
	s_waitcnt lgkmcnt(2)
	v_cmp_lt_f32_e32 vcc, v2, v29
	s_waitcnt lgkmcnt(1)
	v_and_b32_e32 v31, 1, v3
	v_cmp_eq_u32_e64 s[0:1], 1, v31
	s_waitcnt lgkmcnt(0)
	v_cmp_ne_u16_e64 s[2:3], v30, v27
	v_cndmask_b32_e64 v31, 0, 1, s[2:3]
	s_and_b64 vcc, vcc, s[0:1]
	;; [unrolled: 27-line block ×4, first 2 shown]
	v_cndmask_b32_e32 v31, v31, v28, vcc
	v_and_b32_e32 v31, 1, v31
	v_cmp_eq_u32_e32 vcc, 1, v31
	s_and_saveexec_b64 s[0:1], vcc
	s_cbranch_execz .LBB94_59
; %bb.58:
	ds_write_b32 v10, v29
	ds_write_b32 v11, v2 offset:8
	ds_write_b8 v9, v30 offset:4096
	ds_write_b8 v9, v3 offset:4098
.LBB94_59:
	s_or_b64 exec, exec, s[0:1]
	s_waitcnt lgkmcnt(0)
	s_barrier
	ds_read2_b32 v[2:3], v4 offset1:1
	ds_read_u8 v29, v7 offset:4096
	ds_read_u8 v30, v8 offset:4097
	s_waitcnt lgkmcnt(2)
	v_cmp_lt_f32_e32 vcc, v2, v3
	s_waitcnt lgkmcnt(1)
	v_and_b32_e32 v31, 1, v29
	v_cmp_eq_u32_e64 s[0:1], 1, v31
	s_waitcnt lgkmcnt(0)
	v_cmp_ne_u16_e64 s[2:3], v30, v27
	v_cndmask_b32_e64 v27, 0, 1, s[2:3]
	s_and_b64 vcc, vcc, s[0:1]
	v_cndmask_b32_e32 v27, v27, v28, vcc
	v_and_b32_e32 v27, 1, v27
	v_cmp_eq_u32_e32 vcc, 1, v27
	s_and_saveexec_b64 s[0:1], vcc
	s_cbranch_execz .LBB94_61
; %bb.60:
	ds_write_b32 v4, v3
	ds_write_b32 v6, v2 offset:4
	ds_write_b8 v7, v30 offset:4096
	ds_write_b8 v8, v29 offset:4097
.LBB94_61:
	s_or_b64 exec, exec, s[0:1]
	v_and_b32_e32 v2, 0x80, v0
	v_cmp_ne_u32_e32 vcc, 0, v2
	v_and_b32_e32 v2, 0x7f, v0
	v_sub_u32_e32 v33, v1, v2
	v_add_u32_e32 v27, 4, v33
	v_lshl_add_u32 v28, v33, 2, 4
	v_mad_i32_i24 v3, v33, 3, v27
	s_waitcnt lgkmcnt(0)
	s_barrier
	ds_read_b32 v2, v28
	ds_read_b32 v31, v3 offset:512
	ds_read_u8 v3, v27 offset:4096
	ds_read_u8 v32, v27 offset:4224
	v_lshrrev_b32_e32 v29, 7, v0
	v_and_b32_e32 v30, 1, v29
	s_waitcnt lgkmcnt(2)
	v_cmp_lt_f32_e64 s[0:1], v2, v31
	s_waitcnt lgkmcnt(1)
	v_and_b32_e32 v34, 1, v3
	v_cmp_eq_u32_e64 s[2:3], 1, v34
	s_waitcnt lgkmcnt(0)
	v_cmp_ne_u16_e64 s[6:7], v32, v30
	v_cndmask_b32_e64 v34, 0, 1, s[6:7]
	s_and_b64 s[0:1], s[0:1], s[2:3]
	v_cndmask_b32_e64 v29, v34, v29, s[0:1]
	v_mul_i32_i24_e32 v33, 3, v33
	v_and_b32_e32 v29, 1, v29
	v_cmp_eq_u32_e64 s[0:1], 1, v29
	v_add_u32_e32 v29, v27, v33
	s_and_saveexec_b64 s[2:3], s[0:1]
	s_cbranch_execz .LBB94_63
; %bb.62:
	ds_write_b32 v28, v31
	ds_write_b32 v29, v2 offset:512
	ds_write_b8 v27, v32 offset:4096
	ds_write_b8 v27, v3 offset:4224
.LBB94_63:
	s_or_b64 exec, exec, s[2:3]
	s_waitcnt lgkmcnt(0)
	s_barrier
	ds_read_b32 v2, v25
	ds_read_b32 v32, v26 offset:256
	ds_read_u8 v3, v24 offset:4096
	ds_read_u8 v33, v24 offset:4160
	s_waitcnt lgkmcnt(2)
	v_cmp_lt_f32_e64 s[0:1], v2, v32
	s_waitcnt lgkmcnt(1)
	v_and_b32_e32 v31, 1, v3
	v_cmp_eq_u32_e64 s[2:3], 1, v31
	s_waitcnt lgkmcnt(0)
	v_cmp_ne_u16_e64 s[6:7], v33, v30
	v_cndmask_b32_e64 v34, 0, 1, s[6:7]
	v_cndmask_b32_e64 v31, 0, 1, vcc
	s_and_b64 vcc, s[0:1], s[2:3]
	v_cndmask_b32_e32 v34, v34, v31, vcc
	v_and_b32_e32 v34, 1, v34
	v_cmp_eq_u32_e32 vcc, 1, v34
	s_and_saveexec_b64 s[0:1], vcc
	s_cbranch_execz .LBB94_65
; %bb.64:
	ds_write_b32 v25, v32
	ds_write_b32 v26, v2 offset:256
	ds_write_b8 v24, v33 offset:4096
	ds_write_b8 v24, v3 offset:4160
.LBB94_65:
	s_or_b64 exec, exec, s[0:1]
	s_waitcnt lgkmcnt(0)
	s_barrier
	ds_read_b32 v2, v22
	ds_read_b32 v32, v23 offset:128
	ds_read_u8 v3, v21 offset:4096
	ds_read_u8 v33, v21 offset:4128
	s_waitcnt lgkmcnt(2)
	v_cmp_lt_f32_e32 vcc, v2, v32
	s_waitcnt lgkmcnt(1)
	v_and_b32_e32 v34, 1, v3
	v_cmp_eq_u32_e64 s[0:1], 1, v34
	s_waitcnt lgkmcnt(0)
	v_cmp_ne_u16_e64 s[2:3], v33, v30
	v_cndmask_b32_e64 v34, 0, 1, s[2:3]
	s_and_b64 vcc, vcc, s[0:1]
	v_cndmask_b32_e32 v34, v34, v31, vcc
	v_and_b32_e32 v34, 1, v34
	v_cmp_eq_u32_e32 vcc, 1, v34
	s_and_saveexec_b64 s[0:1], vcc
	s_cbranch_execz .LBB94_67
; %bb.66:
	ds_write_b32 v22, v32
	ds_write_b32 v23, v2 offset:128
	ds_write_b8 v21, v33 offset:4096
	ds_write_b8 v21, v3 offset:4128
.LBB94_67:
	s_or_b64 exec, exec, s[0:1]
	s_waitcnt lgkmcnt(0)
	s_barrier
	ds_read_b32 v2, v19
	ds_read_b32 v32, v20 offset:64
	ds_read_u8 v3, v18 offset:4096
	ds_read_u8 v33, v18 offset:4112
	s_waitcnt lgkmcnt(2)
	v_cmp_lt_f32_e32 vcc, v2, v32
	s_waitcnt lgkmcnt(1)
	v_and_b32_e32 v34, 1, v3
	v_cmp_eq_u32_e64 s[0:1], 1, v34
	s_waitcnt lgkmcnt(0)
	v_cmp_ne_u16_e64 s[2:3], v33, v30
	v_cndmask_b32_e64 v34, 0, 1, s[2:3]
	s_and_b64 vcc, vcc, s[0:1]
	;; [unrolled: 27-line block ×5, first 2 shown]
	v_cndmask_b32_e32 v34, v34, v31, vcc
	v_and_b32_e32 v34, 1, v34
	v_cmp_eq_u32_e32 vcc, 1, v34
	s_and_saveexec_b64 s[0:1], vcc
	s_cbranch_execz .LBB94_75
; %bb.74:
	ds_write_b32 v10, v32
	ds_write_b32 v11, v2 offset:8
	ds_write_b8 v9, v33 offset:4096
	ds_write_b8 v9, v3 offset:4098
.LBB94_75:
	s_or_b64 exec, exec, s[0:1]
	s_waitcnt lgkmcnt(0)
	s_barrier
	ds_read2_b32 v[2:3], v4 offset1:1
	ds_read_u8 v32, v7 offset:4096
	ds_read_u8 v33, v8 offset:4097
	s_waitcnt lgkmcnt(2)
	v_cmp_lt_f32_e32 vcc, v2, v3
	s_waitcnt lgkmcnt(1)
	v_and_b32_e32 v34, 1, v32
	v_cmp_eq_u32_e64 s[0:1], 1, v34
	s_waitcnt lgkmcnt(0)
	v_cmp_ne_u16_e64 s[2:3], v33, v30
	v_cndmask_b32_e64 v30, 0, 1, s[2:3]
	s_and_b64 vcc, vcc, s[0:1]
	v_cndmask_b32_e32 v30, v30, v31, vcc
	v_and_b32_e32 v30, 1, v30
	v_cmp_eq_u32_e32 vcc, 1, v30
	s_and_saveexec_b64 s[0:1], vcc
	s_cbranch_execz .LBB94_77
; %bb.76:
	ds_write_b32 v4, v3
	ds_write_b32 v6, v2 offset:4
	ds_write_b8 v7, v33 offset:4096
	ds_write_b8 v8, v32 offset:4097
.LBB94_77:
	s_or_b64 exec, exec, s[0:1]
	v_sub_u32_sdwa v32, v1, v0 dst_sel:DWORD dst_unused:UNUSED_PAD src0_sel:DWORD src1_sel:BYTE_0
	v_add_u32_e32 v30, 4, v32
	v_and_b32_e32 v3, 0x100, v0
	v_lshl_add_u32 v31, v32, 2, 4
	v_mad_i32_i24 v33, v32, 3, v30
	v_cmp_ne_u32_e32 vcc, 0, v3
	s_waitcnt lgkmcnt(0)
	s_barrier
	ds_read_b32 v3, v31
	ds_read_b32 v34, v33 offset:1024
	ds_read_u8 v33, v30 offset:4096
	ds_read_u8 v35, v30 offset:4352
	v_bfe_u32 v36, v0, 8, 1
	v_mul_i32_i24_e32 v32, 3, v32
	s_waitcnt lgkmcnt(2)
	v_cmp_lt_f32_e64 s[0:1], v3, v34
	s_waitcnt lgkmcnt(1)
	v_and_b32_e32 v37, 1, v33
	v_cmp_eq_u32_e64 s[2:3], 1, v37
	s_waitcnt lgkmcnt(0)
	v_cmp_ne_u16_e64 s[6:7], v35, v36
	v_cndmask_b32_e64 v37, 0, 1, s[6:7]
	s_and_b64 s[0:1], s[0:1], s[2:3]
	v_cndmask_b32_e64 v36, v37, v36, s[0:1]
	v_and_b32_e32 v36, 1, v36
	v_and_b32_e32 v2, 0x100, v0
	v_cmp_eq_u32_e64 s[0:1], 1, v36
	v_add_u32_e32 v32, v30, v32
	s_and_saveexec_b64 s[2:3], s[0:1]
	s_cbranch_execz .LBB94_79
; %bb.78:
	ds_write_b32 v31, v34
	ds_write_b32 v32, v3 offset:1024
	ds_write_b8 v30, v35 offset:4096
	ds_write_b8 v30, v33 offset:4352
.LBB94_79:
	s_or_b64 exec, exec, s[2:3]
	s_waitcnt lgkmcnt(0)
	s_barrier
	ds_read_b32 v3, v28
	ds_read_b32 v36, v29 offset:512
	ds_read_u8 v35, v27 offset:4096
	ds_read_u8 v37, v27 offset:4224
	v_lshrrev_b32_e32 v33, 8, v2
	v_cndmask_b32_e64 v34, 0, 1, vcc
	s_waitcnt lgkmcnt(2)
	v_cmp_lt_f32_e64 s[0:1], v3, v36
	s_waitcnt lgkmcnt(1)
	v_and_b32_e32 v2, 1, v35
	v_cmp_eq_u32_e64 s[2:3], 1, v2
	s_waitcnt lgkmcnt(0)
	v_cmp_ne_u16_e64 s[6:7], v37, v33
	v_cndmask_b32_e64 v2, 0, 1, s[6:7]
	s_and_b64 vcc, s[0:1], s[2:3]
	v_cndmask_b32_e32 v2, v2, v34, vcc
	v_and_b32_e32 v2, 1, v2
	v_cmp_eq_u32_e32 vcc, 1, v2
	s_and_saveexec_b64 s[0:1], vcc
	s_cbranch_execz .LBB94_81
; %bb.80:
	ds_write_b32 v28, v36
	ds_write_b32 v29, v3 offset:512
	ds_write_b8 v27, v37 offset:4096
	ds_write_b8 v27, v35 offset:4224
.LBB94_81:
	s_or_b64 exec, exec, s[0:1]
	s_waitcnt lgkmcnt(0)
	s_barrier
	ds_read_b32 v2, v25
	ds_read_b32 v35, v26 offset:256
	ds_read_u8 v3, v24 offset:4096
	ds_read_u8 v36, v24 offset:4160
	s_waitcnt lgkmcnt(2)
	v_cmp_lt_f32_e32 vcc, v2, v35
	s_waitcnt lgkmcnt(1)
	v_and_b32_e32 v37, 1, v3
	v_cmp_eq_u32_e64 s[0:1], 1, v37
	s_waitcnt lgkmcnt(0)
	v_cmp_ne_u16_e64 s[2:3], v36, v33
	v_cndmask_b32_e64 v37, 0, 1, s[2:3]
	s_and_b64 vcc, vcc, s[0:1]
	v_cndmask_b32_e32 v37, v37, v34, vcc
	v_and_b32_e32 v37, 1, v37
	v_cmp_eq_u32_e32 vcc, 1, v37
	s_and_saveexec_b64 s[0:1], vcc
	s_cbranch_execz .LBB94_83
; %bb.82:
	ds_write_b32 v25, v35
	ds_write_b32 v26, v2 offset:256
	ds_write_b8 v24, v36 offset:4096
	ds_write_b8 v24, v3 offset:4160
.LBB94_83:
	s_or_b64 exec, exec, s[0:1]
	s_waitcnt lgkmcnt(0)
	s_barrier
	ds_read_b32 v2, v22
	ds_read_b32 v35, v23 offset:128
	ds_read_u8 v3, v21 offset:4096
	ds_read_u8 v36, v21 offset:4128
	s_waitcnt lgkmcnt(2)
	v_cmp_lt_f32_e32 vcc, v2, v35
	s_waitcnt lgkmcnt(1)
	v_and_b32_e32 v37, 1, v3
	v_cmp_eq_u32_e64 s[0:1], 1, v37
	s_waitcnt lgkmcnt(0)
	v_cmp_ne_u16_e64 s[2:3], v36, v33
	v_cndmask_b32_e64 v37, 0, 1, s[2:3]
	s_and_b64 vcc, vcc, s[0:1]
	;; [unrolled: 27-line block ×6, first 2 shown]
	v_cndmask_b32_e32 v37, v37, v34, vcc
	v_and_b32_e32 v37, 1, v37
	v_cmp_eq_u32_e32 vcc, 1, v37
	s_and_saveexec_b64 s[0:1], vcc
	s_cbranch_execz .LBB94_93
; %bb.92:
	ds_write_b32 v10, v35
	ds_write_b32 v11, v2 offset:8
	ds_write_b8 v9, v36 offset:4096
	ds_write_b8 v9, v3 offset:4098
.LBB94_93:
	s_or_b64 exec, exec, s[0:1]
	s_waitcnt lgkmcnt(0)
	s_barrier
	ds_read2_b32 v[2:3], v4 offset1:1
	ds_read_u8 v35, v7 offset:4096
	ds_read_u8 v36, v8 offset:4097
	s_waitcnt lgkmcnt(2)
	v_cmp_lt_f32_e32 vcc, v2, v3
	s_waitcnt lgkmcnt(1)
	v_and_b32_e32 v37, 1, v35
	v_cmp_eq_u32_e64 s[0:1], 1, v37
	s_waitcnt lgkmcnt(0)
	v_cmp_ne_u16_e64 s[2:3], v36, v33
	v_cndmask_b32_e64 v33, 0, 1, s[2:3]
	s_and_b64 vcc, vcc, s[0:1]
	v_cndmask_b32_e32 v33, v33, v34, vcc
	v_and_b32_e32 v33, 1, v33
	v_cmp_eq_u32_e32 vcc, 1, v33
	s_and_saveexec_b64 s[0:1], vcc
	s_cbranch_execz .LBB94_95
; %bb.94:
	ds_write_b32 v4, v3
	ds_write_b32 v6, v2 offset:4
	ds_write_b8 v7, v36 offset:4096
	ds_write_b8 v8, v35 offset:4097
.LBB94_95:
	s_or_b64 exec, exec, s[0:1]
	v_and_b32_e32 v2, 0x1ff, v0
	v_sub_u32_e32 v34, v1, v2
	v_lshl_add_u32 v33, v34, 2, 4
	v_add_u32_e32 v3, 4, v34
	s_waitcnt lgkmcnt(0)
	s_barrier
	v_mad_i32_i24 v2, v34, 3, v3
	ds_read_b32 v35, v33
	ds_read_b32 v37, v2 offset:2048
	ds_read_u8 v36, v3 offset:4096
	ds_read_u8 v38, v3 offset:4608
	s_waitcnt lgkmcnt(2)
	v_cmp_nlt_f32_e32 vcc, v35, v37
	s_waitcnt lgkmcnt(1)
	v_and_b32_e32 v2, 1, v36
	v_cmp_eq_u32_e64 s[0:1], 1, v2
	s_xor_b64 s[0:1], s[0:1], -1
	v_mov_b32_e32 v2, 0
	s_or_b64 s[0:1], vcc, s[0:1]
	s_waitcnt lgkmcnt(0)
	v_cmp_ne_u16_sdwa s[2:3], v38, v2 src0_sel:BYTE_0 src1_sel:DWORD
	s_and_b64 s[2:3], s[0:1], s[2:3]
	s_and_saveexec_b64 s[0:1], s[2:3]
	s_cbranch_execz .LBB94_97
; %bb.96:
	v_mul_i32_i24_e32 v34, 3, v34
	ds_write_b32 v33, v37
	v_add_u32_e32 v33, v3, v34
	ds_write_b32 v33, v35 offset:2048
	v_mov_b32_e32 v33, 1
	ds_write_b8 v3, v33 offset:4096
	ds_write_b8 v3, v36 offset:4608
.LBB94_97:
	s_or_b64 exec, exec, s[0:1]
	s_waitcnt lgkmcnt(0)
	s_barrier
	ds_read_b32 v3, v31
	ds_read_b32 v34, v32 offset:1024
	ds_read_u8 v33, v30 offset:4096
	ds_read_u8 v35, v30 offset:4352
	s_waitcnt lgkmcnt(2)
	v_cmp_nlt_f32_e32 vcc, v3, v34
	s_waitcnt lgkmcnt(1)
	v_and_b32_e32 v36, 1, v33
	v_cmp_eq_u32_e64 s[0:1], 1, v36
	s_xor_b64 s[0:1], s[0:1], -1
	s_or_b64 s[0:1], vcc, s[0:1]
	s_waitcnt lgkmcnt(0)
	v_cmp_ne_u16_sdwa s[2:3], v35, v2 src0_sel:BYTE_0 src1_sel:DWORD
	s_and_b64 s[2:3], s[0:1], s[2:3]
	s_and_saveexec_b64 s[0:1], s[2:3]
	s_cbranch_execz .LBB94_99
; %bb.98:
	v_mov_b32_e32 v2, 1
	ds_write_b32 v31, v34
	ds_write_b32 v32, v3 offset:1024
	ds_write_b8 v30, v2 offset:4096
	ds_write_b8 v30, v33 offset:4352
.LBB94_99:
	s_or_b64 exec, exec, s[0:1]
	s_waitcnt lgkmcnt(0)
	s_barrier
	ds_read_b32 v3, v28
	ds_read_b32 v31, v29 offset:512
	ds_read_u8 v30, v27 offset:4096
	ds_read_u8 v32, v27 offset:4224
	s_waitcnt lgkmcnt(2)
	v_cmp_nlt_f32_e32 vcc, v3, v31
	s_waitcnt lgkmcnt(1)
	v_and_b32_e32 v2, 1, v30
	v_cmp_eq_u32_e64 s[0:1], 1, v2
	s_xor_b64 s[0:1], s[0:1], -1
	v_mov_b32_e32 v2, 0
	s_or_b64 s[0:1], vcc, s[0:1]
	s_waitcnt lgkmcnt(0)
	v_cmp_ne_u16_sdwa s[2:3], v32, v2 src0_sel:BYTE_0 src1_sel:DWORD
	s_and_b64 s[2:3], s[0:1], s[2:3]
	s_and_saveexec_b64 s[0:1], s[2:3]
	s_cbranch_execz .LBB94_101
; %bb.100:
	ds_write_b32 v28, v31
	ds_write_b32 v29, v3 offset:512
	v_mov_b32_e32 v3, 1
	ds_write_b8 v27, v3 offset:4096
	ds_write_b8 v27, v30 offset:4224
.LBB94_101:
	s_or_b64 exec, exec, s[0:1]
	s_waitcnt lgkmcnt(0)
	s_barrier
	ds_read_b32 v3, v25
	ds_read_b32 v28, v26 offset:256
	ds_read_u8 v27, v24 offset:4096
	ds_read_u8 v29, v24 offset:4160
	s_waitcnt lgkmcnt(2)
	v_cmp_nlt_f32_e32 vcc, v3, v28
	s_waitcnt lgkmcnt(1)
	v_and_b32_e32 v30, 1, v27
	v_cmp_eq_u32_e64 s[0:1], 1, v30
	s_xor_b64 s[0:1], s[0:1], -1
	s_or_b64 s[0:1], vcc, s[0:1]
	s_waitcnt lgkmcnt(0)
	v_cmp_ne_u16_sdwa s[2:3], v29, v2 src0_sel:BYTE_0 src1_sel:DWORD
	s_and_b64 s[2:3], s[0:1], s[2:3]
	s_and_saveexec_b64 s[0:1], s[2:3]
	s_cbranch_execz .LBB94_103
; %bb.102:
	v_mov_b32_e32 v2, 1
	ds_write_b32 v25, v28
	ds_write_b32 v26, v3 offset:256
	ds_write_b8 v24, v2 offset:4096
	ds_write_b8 v24, v27 offset:4160
.LBB94_103:
	s_or_b64 exec, exec, s[0:1]
	s_waitcnt lgkmcnt(0)
	s_barrier
	ds_read_b32 v3, v22
	ds_read_b32 v25, v23 offset:128
	ds_read_u8 v24, v21 offset:4096
	ds_read_u8 v26, v21 offset:4128
	s_waitcnt lgkmcnt(2)
	v_cmp_nlt_f32_e32 vcc, v3, v25
	s_waitcnt lgkmcnt(1)
	v_and_b32_e32 v2, 1, v24
	v_cmp_eq_u32_e64 s[0:1], 1, v2
	s_xor_b64 s[0:1], s[0:1], -1
	v_mov_b32_e32 v2, 0
	s_or_b64 s[0:1], vcc, s[0:1]
	s_waitcnt lgkmcnt(0)
	v_cmp_ne_u16_sdwa s[2:3], v26, v2 src0_sel:BYTE_0 src1_sel:DWORD
	s_and_b64 s[2:3], s[0:1], s[2:3]
	s_and_saveexec_b64 s[0:1], s[2:3]
	s_cbranch_execz .LBB94_105
; %bb.104:
	ds_write_b32 v22, v25
	ds_write_b32 v23, v3 offset:128
	v_mov_b32_e32 v3, 1
	ds_write_b8 v21, v3 offset:4096
	ds_write_b8 v21, v24 offset:4128
.LBB94_105:
	;; [unrolled: 53-line block ×4, first 2 shown]
	s_or_b64 exec, exec, s[0:1]
	s_waitcnt lgkmcnt(0)
	s_barrier
	ds_read2_b32 v[2:3], v4 offset1:1
	ds_read_u8 v9, v7 offset:4096
	ds_read_u8 v10, v8 offset:4097
	s_waitcnt lgkmcnt(2)
	v_cmp_nlt_f32_e32 vcc, v2, v3
	s_waitcnt lgkmcnt(1)
	v_and_b32_e32 v11, 1, v9
	v_cmp_eq_u32_e64 s[0:1], 1, v11
	s_xor_b64 s[0:1], s[0:1], -1
	s_or_b64 s[0:1], vcc, s[0:1]
	s_waitcnt lgkmcnt(0)
	v_cmp_ne_u16_sdwa s[2:3], v10, v12 src0_sel:BYTE_0 src1_sel:DWORD
	s_and_b64 s[2:3], s[0:1], s[2:3]
	s_and_saveexec_b64 s[0:1], s[2:3]
	s_cbranch_execz .LBB94_115
; %bb.114:
	ds_write_b32 v4, v3
	ds_write_b32 v6, v2 offset:4
	v_mov_b32_e32 v2, 1
	ds_write_b8 v7, v2 offset:4096
	ds_write_b8 v8, v9 offset:4097
.LBB94_115:
	s_or_b64 exec, exec, s[0:1]
	v_cmp_eq_u32_e32 vcc, 0, v0
	s_waitcnt lgkmcnt(0)
	s_barrier
	s_barrier
	s_and_saveexec_b64 s[0:1], vcc
	s_cbranch_execz .LBB94_117
; %bb.116:
	v_mov_b32_e32 v2, 1
	v_mov_b32_e32 v3, 4
	ds_write_b8 v3, v2 offset:4100
	v_mov_b32_e32 v2, 0
	ds_write_b32 v3, v2 offset:4096
.LBB94_117:
	s_or_b64 exec, exec, s[0:1]
	ds_read2_b32 v[2:3], v4 offset1:1
	v_lshl_add_u32 v4, v1, 3, 4
	s_waitcnt lgkmcnt(0)
	v_cmp_neq_f32_e64 s[0:1], v2, v3
	v_cndmask_b32_e64 v6, 0, 1, s[0:1]
	v_cmp_eq_f32_e64 s[0:1], v2, v3
	v_cndmask_b32_e64 v2, 0, 1, s[0:1]
	s_movk_i32 s0, 0x1ff
	v_cmp_gt_u32_e64 s[2:3], s0, v0
	ds_write_b8 v4, v6 offset:4108
	ds_write_b32 v4, v2 offset:4104
	s_and_saveexec_b64 s[6:7], s[2:3]
	s_cbranch_execz .LBB94_119
; %bb.118:
	v_lshlrev_b32_e32 v2, 3, v0
	v_sub_u32_e32 v2, v4, v2
	ds_read_b32 v2, v2 offset:8
	s_waitcnt lgkmcnt(0)
	v_cmp_neq_f32_e64 s[0:1], v3, v2
	v_cndmask_b32_e64 v6, 0, 1, s[0:1]
	v_cmp_eq_f32_e64 s[0:1], v3, v2
	v_cndmask_b32_e64 v2, 0, 1, s[0:1]
	ds_write_b8 v4, v6 offset:4116
	ds_write_b32 v4, v2 offset:4112
.LBB94_119:
	s_or_b64 exec, exec, s[6:7]
	s_movk_i32 s0, 0x200
	v_cmp_gt_u32_e64 s[0:1], s0, v0
	s_waitcnt lgkmcnt(0)
	s_barrier
	s_and_saveexec_b64 s[6:7], s[0:1]
	s_cbranch_execz .LBB94_121
; %bb.120:
	ds_read_u8 v6, v4 offset:4108
	v_add_u32_e32 v2, 0x1000, v4
	ds_read2_b32 v[2:3], v2 offset1:2
	ds_read_u8 v7, v4 offset:4100
	v_add_u32_e32 v8, 0x1008, v4
	s_waitcnt lgkmcnt(2)
	v_and_b32_e32 v9, 1, v6
	v_cmp_eq_u32_e64 s[0:1], 1, v9
	s_waitcnt lgkmcnt(1)
	v_cndmask_b32_e64 v2, v2, 0, s[0:1]
	v_add_u32_e32 v2, v2, v3
	s_waitcnt lgkmcnt(0)
	v_or_b32_e32 v3, v7, v6
	v_and_b32_e32 v3, 1, v3
	ds_write2_b32 v8, v2, v3 offset1:1
.LBB94_121:
	s_or_b64 exec, exec, s[6:7]
	v_add_u32_e32 v9, 2, v1
	v_lshlrev_b32_e32 v2, 1, v9
	s_movk_i32 s0, 0x100
	v_cmp_gt_u32_e64 s[0:1], s0, v0
	v_lshl_add_u32 v2, v2, 3, 4
	s_waitcnt lgkmcnt(0)
	s_barrier
	s_and_saveexec_b64 s[6:7], s[0:1]
	s_cbranch_execz .LBB94_123
; %bb.122:
	ds_read_u8 v3, v2 offset:4092
	v_add_u32_e32 v6, 0xc00, v2
	ds_read2_b32 v[6:7], v6 offset0:250 offset1:254
	ds_read_u8 v8, v2 offset:4076
	v_add_u32_e32 v10, 0xff8, v2
	s_waitcnt lgkmcnt(2)
	v_and_b32_e32 v11, 1, v3
	v_cmp_eq_u32_e64 s[0:1], 1, v11
	s_waitcnt lgkmcnt(1)
	v_cndmask_b32_e64 v6, v6, 0, s[0:1]
	s_waitcnt lgkmcnt(0)
	v_or_b32_e32 v3, v8, v3
	v_add_u32_e32 v6, v6, v7
	v_and_b32_e32 v3, 1, v3
	ds_write2_b32 v10, v6, v3 offset1:1
.LBB94_123:
	s_or_b64 exec, exec, s[6:7]
	v_lshlrev_b32_e32 v3, 2, v9
	s_movk_i32 s0, 0x80
	v_cmp_gt_u32_e64 s[0:1], s0, v0
	v_lshl_add_u32 v3, v3, 3, 4
	s_waitcnt lgkmcnt(0)
	s_barrier
	s_and_saveexec_b64 s[6:7], s[0:1]
	s_cbranch_execz .LBB94_125
; %bb.124:
	ds_read_u8 v8, v3 offset:4092
	v_add_u32_e32 v6, 0xc00, v3
	ds_read2_b32 v[6:7], v6 offset0:246 offset1:254
	ds_read_u8 v10, v3 offset:4060
	v_add_u32_e32 v11, 0xff8, v3
	s_waitcnt lgkmcnt(2)
	v_and_b32_e32 v12, 1, v8
	v_cmp_eq_u32_e64 s[0:1], 1, v12
	s_waitcnt lgkmcnt(1)
	v_cndmask_b32_e64 v6, v6, 0, s[0:1]
	v_add_u32_e32 v6, v6, v7
	s_waitcnt lgkmcnt(0)
	v_or_b32_e32 v7, v10, v8
	v_and_b32_e32 v7, 1, v7
	ds_write2_b32 v11, v6, v7 offset1:1
.LBB94_125:
	s_or_b64 exec, exec, s[6:7]
	v_lshlrev_b32_e32 v6, 3, v9
	v_cmp_gt_u32_e64 s[0:1], 64, v0
	v_lshl_add_u32 v6, v6, 3, 4
	s_waitcnt lgkmcnt(0)
	s_barrier
	s_and_saveexec_b64 s[8:9], s[0:1]
	s_cbranch_execz .LBB94_127
; %bb.126:
	ds_read_u8 v10, v6 offset:4092
	ds_read_u8 v12, v6 offset:4028
	v_add_u32_e32 v7, 0xc00, v6
	ds_read2_b32 v[7:8], v7 offset0:238 offset1:254
	v_add_u32_e32 v11, 0xff8, v6
	s_waitcnt lgkmcnt(2)
	v_and_b32_e32 v13, 1, v10
	v_cmp_eq_u32_e64 s[6:7], 1, v13
	s_waitcnt lgkmcnt(0)
	v_cndmask_b32_e64 v7, v7, 0, s[6:7]
	v_add_u32_e32 v7, v7, v8
	v_or_b32_e32 v8, v12, v10
	v_and_b32_e32 v8, 1, v8
	ds_write2_b32 v11, v7, v8 offset1:1
.LBB94_127:
	s_or_b64 exec, exec, s[8:9]
	v_lshlrev_b32_e32 v7, 4, v9
	v_cmp_gt_u32_e64 s[6:7], 32, v0
	v_lshl_add_u32 v7, v7, 3, 4
	s_waitcnt lgkmcnt(0)
	s_barrier
	s_and_saveexec_b64 s[8:9], s[6:7]
	s_cbranch_execz .LBB94_129
; %bb.128:
	ds_read_u8 v8, v7 offset:4092
	ds_read_u8 v13, v7 offset:3964
	v_add_u32_e32 v10, 0xc00, v7
	ds_read2_b32 v[10:11], v10 offset0:222 offset1:254
	v_add_u32_e32 v12, 0xff8, v7
	s_waitcnt lgkmcnt(2)
	v_and_b32_e32 v14, 1, v8
	v_cmp_eq_u32_e64 s[6:7], 1, v14
	s_waitcnt lgkmcnt(1)
	v_or_b32_e32 v8, v13, v8
	s_waitcnt lgkmcnt(0)
	v_cndmask_b32_e64 v10, v10, 0, s[6:7]
	v_add_u32_e32 v10, v10, v11
	v_and_b32_e32 v8, 1, v8
	ds_write2_b32 v12, v10, v8 offset1:1
.LBB94_129:
	s_or_b64 exec, exec, s[8:9]
	v_lshlrev_b32_e32 v8, 5, v9
	v_cmp_gt_u32_e64 s[6:7], 16, v0
	v_lshl_add_u32 v8, v8, 3, 4
	s_waitcnt lgkmcnt(0)
	s_barrier
	s_and_saveexec_b64 s[8:9], s[6:7]
	s_cbranch_execz .LBB94_131
; %bb.130:
	ds_read_u8 v12, v8 offset:4092
	ds_read_u8 v14, v8 offset:3836
	v_add_u32_e32 v10, 0xf8, v8
	ds_read2st64_b32 v[10:11], v10 offset0:14 offset1:15
	v_add_u32_e32 v13, 0xff8, v8
	s_waitcnt lgkmcnt(2)
	v_and_b32_e32 v15, 1, v12
	v_cmp_eq_u32_e64 s[6:7], 1, v15
	s_waitcnt lgkmcnt(0)
	v_cndmask_b32_e64 v10, v10, 0, s[6:7]
	v_add_u32_e32 v10, v10, v11
	v_or_b32_e32 v11, v14, v12
	v_and_b32_e32 v11, 1, v11
	ds_write2_b32 v13, v10, v11 offset1:1
.LBB94_131:
	s_or_b64 exec, exec, s[8:9]
	v_lshlrev_b32_e32 v10, 6, v9
	v_cmp_gt_u32_e64 s[6:7], 8, v0
	v_lshl_add_u32 v10, v10, 3, 4
	s_waitcnt lgkmcnt(0)
	s_barrier
	s_and_saveexec_b64 s[8:9], s[6:7]
	s_cbranch_execz .LBB94_133
; %bb.132:
	ds_read_u8 v13, v10 offset:4092
	ds_read_u8 v15, v10 offset:3580
	v_add_u32_e32 v11, 0xf8, v10
	ds_read2st64_b32 v[11:12], v11 offset0:13 offset1:15
	v_add_u32_e32 v14, 0xff8, v10
	s_waitcnt lgkmcnt(2)
	v_and_b32_e32 v16, 1, v13
	v_cmp_eq_u32_e64 s[6:7], 1, v16
	s_waitcnt lgkmcnt(0)
	v_cndmask_b32_e64 v11, v11, 0, s[6:7]
	v_add_u32_e32 v11, v11, v12
	v_or_b32_e32 v12, v15, v13
	v_and_b32_e32 v12, 1, v12
	ds_write2_b32 v14, v11, v12 offset1:1
.LBB94_133:
	;; [unrolled: 24-line block ×4, first 2 shown]
	s_or_b64 exec, exec, s[8:9]
	s_waitcnt lgkmcnt(0)
	s_barrier
	s_and_saveexec_b64 s[8:9], vcc
	s_cbranch_execz .LBB94_139
; %bb.138:
	v_mov_b32_e32 v12, 4
	ds_read_u8 v13, v12 offset:12284
	ds_read_b32 v14, v12 offset:8184
	ds_read_b32 v15, v12 offset:12280
	ds_read_u8 v12, v12 offset:8188
	s_add_i32 s10, 4, 0x2ff8
	s_waitcnt lgkmcnt(3)
	v_and_b32_e32 v16, 1, v13
	v_cmp_eq_u32_e64 s[6:7], 1, v16
	s_waitcnt lgkmcnt(2)
	v_cndmask_b32_e64 v14, v14, 0, s[6:7]
	s_waitcnt lgkmcnt(0)
	v_or_b32_e32 v12, v12, v13
	v_add_u32_e32 v14, v14, v15
	v_and_b32_e32 v12, 1, v12
	v_mov_b32_e32 v13, s10
	ds_write2_b32 v13, v14, v12 offset1:1
.LBB94_139:
	s_or_b64 exec, exec, s[8:9]
	s_waitcnt lgkmcnt(0)
	s_barrier
	s_and_saveexec_b64 s[8:9], vcc
	s_cbranch_execz .LBB94_141
; %bb.140:
	ds_read_u8 v14, v9 offset:6140
	v_add_u32_e32 v12, 0xf8, v9
	ds_read2st64_b32 v[12:13], v12 offset0:15 offset1:23
	v_add_u32_e32 v15, 0x17f8, v9
	ds_read_u8 v9, v9 offset:4092
	s_waitcnt lgkmcnt(2)
	v_and_b32_e32 v16, 1, v14
	v_cmp_eq_u32_e64 s[6:7], 1, v16
	s_waitcnt lgkmcnt(1)
	v_cndmask_b32_e64 v12, v12, 0, s[6:7]
	v_add_u32_e32 v12, v12, v13
	s_waitcnt lgkmcnt(0)
	v_or_b32_e32 v9, v9, v14
	v_and_b32_e32 v9, 1, v9
	ds_write2_b32 v15, v12, v9 offset1:1
.LBB94_141:
	s_or_b64 exec, exec, s[8:9]
	v_cmp_gt_u32_e64 s[6:7], 3, v0
	s_waitcnt lgkmcnt(0)
	s_barrier
	s_and_saveexec_b64 s[8:9], s[6:7]
	s_cbranch_execz .LBB94_143
; %bb.142:
	ds_read_u8 v9, v11 offset:5116
	v_add_u32_e32 v12, 0xf8, v11
	ds_read2st64_b32 v[12:13], v12 offset0:15 offset1:19
	v_add_u32_e32 v14, 0x13f8, v11
	ds_read_u8 v11, v11 offset:4092
	s_waitcnt lgkmcnt(2)
	v_and_b32_e32 v15, 1, v9
	v_cmp_eq_u32_e64 s[6:7], 1, v15
	s_waitcnt lgkmcnt(1)
	v_cndmask_b32_e64 v12, v12, 0, s[6:7]
	v_add_u32_e32 v12, v12, v13
	s_waitcnt lgkmcnt(0)
	v_or_b32_e32 v9, v11, v9
	v_and_b32_e32 v9, 1, v9
	ds_write2_b32 v14, v12, v9 offset1:1
.LBB94_143:
	s_or_b64 exec, exec, s[8:9]
	v_cmp_gt_u32_e64 s[6:7], 7, v0
	s_waitcnt lgkmcnt(0)
	s_barrier
	s_and_saveexec_b64 s[8:9], s[6:7]
	;; [unrolled: 23-line block ×4, first 2 shown]
	s_cbranch_execz .LBB94_149
; %bb.148:
	ds_read_u8 v10, v7 offset:4220
	v_add_u32_e32 v8, 0xe00, v7
	ds_read2_b32 v[8:9], v8 offset0:126 offset1:158
	v_add_u32_e32 v11, 0x1078, v7
	ds_read_u8 v7, v7 offset:4092
	s_waitcnt lgkmcnt(2)
	v_and_b32_e32 v12, 1, v10
	v_cmp_eq_u32_e64 s[6:7], 1, v12
	s_waitcnt lgkmcnt(1)
	v_cndmask_b32_e64 v8, v8, 0, s[6:7]
	v_add_u32_e32 v8, v8, v9
	s_waitcnt lgkmcnt(0)
	v_or_b32_e32 v7, v7, v10
	v_and_b32_e32 v7, 1, v7
	ds_write2_b32 v11, v8, v7 offset1:1
.LBB94_149:
	s_or_b64 exec, exec, s[8:9]
	v_cmp_gt_u32_e64 s[6:7], 63, v0
	s_waitcnt lgkmcnt(0)
	s_barrier
	s_and_saveexec_b64 s[8:9], s[6:7]
	s_cbranch_execz .LBB94_151
; %bb.150:
	ds_read_u8 v9, v6 offset:4156
	v_add_u32_e32 v7, 0xe00, v6
	ds_read2_b32 v[7:8], v7 offset0:126 offset1:142
	v_add_u32_e32 v10, 0x1038, v6
	ds_read_u8 v6, v6 offset:4092
	s_waitcnt lgkmcnt(2)
	v_and_b32_e32 v11, 1, v9
	v_cmp_eq_u32_e64 s[6:7], 1, v11
	s_waitcnt lgkmcnt(1)
	v_cndmask_b32_e64 v7, v7, 0, s[6:7]
	v_add_u32_e32 v7, v7, v8
	s_waitcnt lgkmcnt(0)
	v_or_b32_e32 v6, v6, v9
	v_and_b32_e32 v6, 1, v6
	ds_write2_b32 v10, v7, v6 offset1:1
.LBB94_151:
	s_or_b64 exec, exec, s[8:9]
	s_movk_i32 s6, 0x7f
	v_cmp_gt_u32_e64 s[6:7], s6, v0
	s_waitcnt lgkmcnt(0)
	s_barrier
	s_and_saveexec_b64 s[8:9], s[6:7]
	s_cbranch_execz .LBB94_153
; %bb.152:
	ds_read_u8 v8, v3 offset:4124
	v_add_u32_e32 v6, 0xe00, v3
	ds_read2_b32 v[6:7], v6 offset0:126 offset1:134
	ds_read_u8 v9, v3 offset:4092
	v_add_u32_e32 v3, 0x1018, v3
	s_waitcnt lgkmcnt(2)
	v_and_b32_e32 v10, 1, v8
	v_cmp_eq_u32_e64 s[6:7], 1, v10
	s_waitcnt lgkmcnt(1)
	v_cndmask_b32_e64 v6, v6, 0, s[6:7]
	v_add_u32_e32 v6, v6, v7
	s_waitcnt lgkmcnt(0)
	v_or_b32_e32 v7, v9, v8
	v_and_b32_e32 v7, 1, v7
	ds_write2_b32 v3, v6, v7 offset1:1
.LBB94_153:
	s_or_b64 exec, exec, s[8:9]
	s_movk_i32 s6, 0xff
	v_cmp_gt_u32_e64 s[6:7], s6, v0
	s_waitcnt lgkmcnt(0)
	s_barrier
	s_and_saveexec_b64 s[8:9], s[6:7]
	s_cbranch_execz .LBB94_155
; %bb.154:
	ds_read_u8 v3, v2 offset:4108
	v_add_u32_e32 v6, 0xe00, v2
	ds_read2_b32 v[6:7], v6 offset0:126 offset1:130
	ds_read_u8 v8, v2 offset:4092
	v_add_u32_e32 v2, 0x1008, v2
	s_waitcnt lgkmcnt(2)
	v_and_b32_e32 v9, 1, v3
	v_cmp_eq_u32_e64 s[6:7], 1, v9
	s_waitcnt lgkmcnt(1)
	v_cndmask_b32_e64 v6, v6, 0, s[6:7]
	s_waitcnt lgkmcnt(0)
	v_or_b32_e32 v3, v8, v3
	v_add_u32_e32 v6, v6, v7
	v_and_b32_e32 v3, 1, v3
	ds_write2_b32 v2, v6, v3 offset1:1
.LBB94_155:
	s_or_b64 exec, exec, s[8:9]
	s_waitcnt lgkmcnt(0)
	s_barrier
	s_and_saveexec_b64 s[6:7], s[2:3]
	s_cbranch_execz .LBB94_157
; %bb.156:
	ds_read_u8 v6, v4 offset:4116
	v_add_u32_e32 v2, 0x1000, v4
	ds_read2_b32 v[2:3], v2 offset0:2 offset1:4
	ds_read_u8 v7, v4 offset:4108
	v_add_u32_e32 v8, 0x1010, v4
	s_waitcnt lgkmcnt(2)
	v_and_b32_e32 v9, 1, v6
	v_cmp_eq_u32_e64 s[2:3], 1, v9
	s_waitcnt lgkmcnt(1)
	v_cndmask_b32_e64 v2, v2, 0, s[2:3]
	v_add_u32_e32 v2, v2, v3
	s_waitcnt lgkmcnt(0)
	v_or_b32_e32 v3, v7, v6
	v_and_b32_e32 v3, 1, v3
	ds_write2_b32 v8, v2, v3 offset1:1
.LBB94_157:
	s_or_b64 exec, exec, s[6:7]
	v_add_u32_e32 v2, 0x1000, v4
	s_waitcnt lgkmcnt(0)
	s_barrier
	ds_read2_b32 v[6:7], v2 offset1:2
	v_or_b32_e32 v3, 1, v1
	v_cmp_gt_u32_e64 s[2:3], s16, v1
	v_cmp_gt_u32_e64 s[6:7], s16, v3
	v_cndmask_b32_e64 v4, 0, v1, s[2:3]
	s_waitcnt lgkmcnt(0)
	v_cndmask_b32_e64 v2, 0, v6, s[2:3]
	v_mbcnt_lo_u32_b32 v6, -1, 0
	v_cndmask_b32_e64 v7, 0, v7, s[6:7]
	v_mbcnt_hi_u32_b32 v11, -1, v6
	v_mov_b32_e32 v6, 0x80
	v_cndmask_b32_e64 v8, 0, v3, s[6:7]
	v_max_u32_e32 v9, v7, v2
	v_lshl_or_b32 v6, v11, 2, v6
	v_cmp_gt_u32_e64 s[8:9], v7, v2
	ds_bpermute_b32 v10, v6, v9
	v_cndmask_b32_e64 v2, v4, v8, s[8:9]
	ds_bpermute_b32 v4, v6, v2
	v_and_b32_e32 v12, 63, v11
	v_cmp_gt_u32_e64 s[8:9], 48, v12
	v_cndmask_b32_e64 v7, 0, 16, s[8:9]
	s_waitcnt lgkmcnt(1)
	v_max_u32_e32 v13, v10, v9
	v_add_lshl_u32 v7, v7, v11, 2
	v_cmp_gt_u32_e64 s[8:9], v10, v9
	ds_bpermute_b32 v14, v7, v13
	s_waitcnt lgkmcnt(1)
	v_cndmask_b32_e64 v2, v2, v4, s[8:9]
	ds_bpermute_b32 v4, v7, v2
	v_cmp_gt_u32_e64 s[8:9], 56, v12
	v_cndmask_b32_e64 v8, 0, 8, s[8:9]
	s_waitcnt lgkmcnt(1)
	v_max_u32_e32 v10, v14, v13
	v_add_lshl_u32 v8, v8, v11, 2
	v_cmp_gt_u32_e64 s[8:9], v14, v13
	ds_bpermute_b32 v15, v8, v10
	s_waitcnt lgkmcnt(1)
	v_cndmask_b32_e64 v2, v2, v4, s[8:9]
	ds_bpermute_b32 v4, v8, v2
	;; [unrolled: 10-line block ×4, first 2 shown]
	s_waitcnt lgkmcnt(0)
	s_barrier
	v_cmp_gt_u32_e64 s[8:9], v16, v15
	v_max_u32_e32 v2, v16, v15
	v_cndmask_b32_e64 v4, v4, v13, s[8:9]
	v_cmp_ne_u32_e64 s[8:9], 63, v12
	v_addc_co_u32_e64 v11, s[8:9], 0, v11, s[8:9]
	v_lshlrev_b32_e32 v11, 2, v11
	ds_bpermute_b32 v12, v11, v4
	ds_bpermute_b32 v13, v11, v2
	v_cmp_eq_u32_e64 s[8:9], 0, v5
	s_waitcnt lgkmcnt(0)
	s_barrier
	s_and_saveexec_b64 s[12:13], s[8:9]
	s_cbranch_execz .LBB94_159
; %bb.158:
	v_lshrrev_b32_e32 v14, 3, v0
	v_add_u32_e32 v14, 4, v14
	v_cmp_gt_u32_e64 s[10:11], v13, v2
	v_add_u32_e32 v14, 0x1000, v14
	v_cndmask_b32_e64 v4, v4, v12, s[10:11]
	v_max_u32_e32 v2, v13, v2
	ds_write2_b32 v14, v2, v4 offset1:1
.LBB94_159:
	s_or_b64 exec, exec, s[12:13]
	s_lshr_b32 s10, s18, 6
	v_cmp_gt_u32_e64 s[10:11], s10, v0
	v_lshl_add_u32 v12, v5, 3, 4
	v_mov_b32_e32 v2, 0
	v_mov_b32_e32 v4, 0
	s_waitcnt lgkmcnt(0)
	s_barrier
	s_and_saveexec_b64 s[12:13], s[10:11]
	s_cbranch_execnz .LBB94_174
; %bb.160:
	s_or_b64 exec, exec, s[12:13]
	s_and_saveexec_b64 s[12:13], s[10:11]
	s_cbranch_execnz .LBB94_175
.LBB94_161:
	s_or_b64 exec, exec, s[12:13]
	s_and_saveexec_b64 s[18:19], s[0:1]
	s_cbranch_execnz .LBB94_176
.LBB94_162:
	s_or_b64 exec, exec, s[18:19]
	s_and_saveexec_b64 s[12:13], vcc
	s_cbranch_execz .LBB94_164
.LBB94_163:
	s_waitcnt lgkmcnt(0)
	v_lshl_add_u32 v2, v2, 2, 4
	ds_read_b32 v2, v2
	v_mov_b32_e32 v4, 0
	s_waitcnt lgkmcnt(0)
	ds_write_b32 v4, v2
.LBB94_164:
	s_or_b64 exec, exec, s[12:13]
	s_waitcnt lgkmcnt(0)
	v_mov_b32_e32 v2, 0
	v_cmp_gt_i64_e64 s[12:13], s[16:17], v[1:2]
	v_mov_b32_e32 v13, 0
	s_barrier
	s_and_saveexec_b64 s[18:19], s[12:13]
	s_cbranch_execz .LBB94_166
; %bb.165:
	v_add_u32_e32 v13, s21, v1
	v_mov_b32_e32 v14, 0
	v_lshlrev_b64 v[15:16], 2, v[13:14]
	v_mov_b32_e32 v4, s15
	v_add_co_u32_e64 v15, s[12:13], s14, v15
	v_addc_co_u32_e64 v16, s[12:13], v4, v16, s[12:13]
	global_load_dword v4, v[15:16], off
	ds_read_b32 v13, v14
	s_waitcnt vmcnt(0) lgkmcnt(0)
	v_cmp_eq_f32_e64 s[12:13], v4, v13
	v_cndmask_b32_e64 v13, 0, v1, s[12:13]
.LBB94_166:
	s_or_b64 exec, exec, s[18:19]
	v_mov_b32_e32 v4, v2
	v_cmp_gt_i64_e64 s[12:13], s[16:17], v[3:4]
	s_and_saveexec_b64 s[16:17], s[12:13]
	s_cbranch_execz .LBB94_168
; %bb.167:
	v_add_u32_e32 v1, s21, v3
	v_mov_b32_e32 v2, 0
	v_lshlrev_b64 v[14:15], 2, v[1:2]
	v_mov_b32_e32 v1, s15
	v_add_co_u32_e64 v14, s[12:13], s14, v14
	v_addc_co_u32_e64 v15, s[12:13], v1, v15, s[12:13]
	global_load_dword v1, v[14:15], off
	ds_read_b32 v2, v2
	s_waitcnt vmcnt(0) lgkmcnt(0)
	v_cmp_eq_f32_e64 s[12:13], v1, v2
	v_cndmask_b32_e64 v2, 0, v3, s[12:13]
.LBB94_168:
	s_or_b64 exec, exec, s[16:17]
	v_cndmask_b32_e64 v1, 0, v13, s[2:3]
	v_max_u32_e32 v2, v2, v1
	v_cndmask_b32_e64 v1, v1, v2, s[6:7]
	ds_bpermute_b32 v2, v6, v1
	s_waitcnt lgkmcnt(0)
	s_barrier
	v_max_u32_e32 v1, v2, v1
	ds_bpermute_b32 v2, v7, v1
	s_waitcnt lgkmcnt(0)
	v_max_u32_e32 v1, v2, v1
	ds_bpermute_b32 v2, v8, v1
	s_waitcnt lgkmcnt(0)
	;; [unrolled: 3-line block ×4, first 2 shown]
	v_max_u32_e32 v1, v2, v1
	ds_bpermute_b32 v2, v11, v1
	s_and_saveexec_b64 s[2:3], s[8:9]
	s_cbranch_execz .LBB94_170
; %bb.169:
	v_lshrrev_b32_e32 v0, 4, v0
	v_add_u32_e32 v0, 4, v0
	s_waitcnt lgkmcnt(0)
	v_max_u32_e32 v1, v2, v1
	ds_write_b32 v0, v1
.LBB94_170:
	s_or_b64 exec, exec, s[2:3]
	v_mov_b32_e32 v0, 0
	s_waitcnt lgkmcnt(0)
	s_barrier
	s_and_saveexec_b64 s[2:3], s[10:11]
	s_cbranch_execnz .LBB94_177
; %bb.171:
	s_or_b64 exec, exec, s[2:3]
	s_and_saveexec_b64 s[2:3], s[0:1]
	s_cbranch_execnz .LBB94_178
.LBB94_172:
	s_or_b64 exec, exec, s[2:3]
	s_and_saveexec_b64 s[0:1], vcc
	s_cbranch_execnz .LBB94_179
.LBB94_173:
	s_endpgm
.LBB94_174:
	ds_read_b32 v4, v12 offset:4096
	s_or_b64 exec, exec, s[12:13]
	s_and_saveexec_b64 s[12:13], s[10:11]
	s_cbranch_execz .LBB94_161
.LBB94_175:
	ds_read_b32 v2, v12 offset:4100
	s_or_b64 exec, exec, s[12:13]
	s_and_saveexec_b64 s[18:19], s[0:1]
	s_cbranch_execz .LBB94_162
.LBB94_176:
	s_waitcnt lgkmcnt(0)
	ds_bpermute_b32 v13, v6, v4
	ds_bpermute_b32 v14, v6, v2
	s_waitcnt lgkmcnt(1)
	v_max_u32_e32 v15, v13, v4
	v_cmp_gt_u32_e64 s[12:13], v13, v4
	ds_bpermute_b32 v16, v7, v15
	s_waitcnt lgkmcnt(1)
	v_cndmask_b32_e64 v2, v2, v14, s[12:13]
	ds_bpermute_b32 v4, v7, v2
	s_waitcnt lgkmcnt(1)
	v_max_u32_e32 v13, v16, v15
	v_cmp_gt_u32_e64 s[12:13], v16, v15
	ds_bpermute_b32 v14, v8, v13
	s_waitcnt lgkmcnt(1)
	v_cndmask_b32_e64 v2, v2, v4, s[12:13]
	;; [unrolled: 7-line block ×4, first 2 shown]
	ds_bpermute_b32 v4, v10, v2
	s_waitcnt lgkmcnt(1)
	v_max_u32_e32 v15, v14, v13
	v_cmp_gt_u32_e64 s[12:13], v14, v13
	s_waitcnt lgkmcnt(0)
	v_cndmask_b32_e64 v2, v2, v4, s[12:13]
	ds_bpermute_b32 v4, v11, v15
	ds_bpermute_b32 v13, v11, v2
	s_waitcnt lgkmcnt(1)
	v_cmp_gt_u32_e64 s[12:13], v4, v15
	s_waitcnt lgkmcnt(0)
	v_cndmask_b32_e64 v2, v2, v13, s[12:13]
	s_or_b64 exec, exec, s[18:19]
	s_and_saveexec_b64 s[12:13], vcc
	s_cbranch_execnz .LBB94_163
	s_branch .LBB94_164
.LBB94_177:
	v_lshlrev_b32_e32 v0, 2, v5
	v_sub_u32_e32 v0, v12, v0
	ds_read_b32 v0, v0
	s_or_b64 exec, exec, s[2:3]
	s_and_saveexec_b64 s[2:3], s[0:1]
	s_cbranch_execz .LBB94_172
.LBB94_178:
	s_waitcnt lgkmcnt(0)
	ds_bpermute_b32 v1, v6, v0
	s_waitcnt lgkmcnt(0)
	v_max_u32_e32 v0, v1, v0
	ds_bpermute_b32 v1, v7, v0
	s_waitcnt lgkmcnt(0)
	v_max_u32_e32 v0, v1, v0
	;; [unrolled: 3-line block ×6, first 2 shown]
	s_or_b64 exec, exec, s[2:3]
	s_and_saveexec_b64 s[0:1], vcc
	s_cbranch_execz .LBB94_173
.LBB94_179:
	s_load_dword s6, s[4:5], 0xd8
	s_load_dwordx2 s[0:1], s[4:5], 0xe0
	s_add_u32 s2, s4, 8
	s_addc_u32 s3, s5, 0
	s_mov_b32 s5, 0
	s_waitcnt lgkmcnt(0)
	s_cmp_lt_i32 s6, 2
	s_cbranch_scc1 .LBB94_182
; %bb.180:
	s_add_i32 s4, s6, -1
	s_add_i32 s8, s6, 1
	s_lshl_b64 s[6:7], s[4:5], 2
	s_add_u32 s4, s2, s6
	s_addc_u32 s7, s3, s7
	s_add_u32 s6, s4, 8
	s_addc_u32 s7, s7, 0
.LBB94_181:                             ; =>This Inner Loop Header: Depth=1
	s_load_dword s4, s[6:7], 0x0
	s_load_dword s10, s[6:7], 0x64
	s_mov_b32 s9, s20
	s_waitcnt lgkmcnt(0)
	v_cvt_f32_u32_e32 v1, s4
	s_sub_i32 s11, 0, s4
	v_rcp_iflag_f32_e32 v1, v1
	v_mul_f32_e32 v1, 0x4f7ffffe, v1
	v_cvt_u32_f32_e32 v1, v1
	v_readfirstlane_b32 s12, v1
	s_mul_i32 s11, s11, s12
	s_mul_hi_u32 s11, s12, s11
	s_add_i32 s12, s12, s11
	s_mul_hi_u32 s11, s20, s12
	s_mul_i32 s12, s11, s4
	s_sub_i32 s12, s20, s12
	s_add_i32 s13, s11, 1
	s_sub_i32 s14, s12, s4
	s_cmp_ge_u32 s12, s4
	s_cselect_b32 s11, s13, s11
	s_cselect_b32 s12, s14, s12
	s_add_i32 s13, s11, 1
	s_cmp_ge_u32 s12, s4
	s_cselect_b32 s20, s13, s11
	s_mul_i32 s4, s20, s4
	s_sub_i32 s4, s9, s4
	s_mul_i32 s4, s10, s4
	s_add_i32 s8, s8, -1
	s_add_i32 s5, s4, s5
	s_add_u32 s6, s6, -4
	s_addc_u32 s7, s7, -1
	s_cmp_gt_u32 s8, 2
	s_cbranch_scc1 .LBB94_181
.LBB94_182:
	s_load_dword s4, s[2:3], 0x6c
	v_mov_b32_e32 v1, 0
	s_load_dwordx2 s[2:3], s[2:3], 0x0
	ds_read_b32 v2, v1
	s_mov_b32 s7, 0
	s_waitcnt lgkmcnt(0)
	s_mul_i32 s4, s4, s20
	s_add_i32 s6, s4, s5
	s_lshl_b64 s[4:5], s[6:7], 2
	s_add_u32 s2, s2, s4
	s_addc_u32 s3, s3, s5
	global_store_dword v1, v2, s[2:3]
	s_lshl_b64 s[2:3], s[6:7], 3
	s_add_u32 s0, s0, s2
	s_addc_u32 s1, s1, s3
	global_store_dwordx2 v1, v[0:1], s[0:1]
	s_endpgm
	.section	.rodata,"a",@progbits
	.p2align	6, 0x0
	.amdhsa_kernel _ZN2at6native12compute_modeIfLj1024EEEvPKT_NS_4cuda6detail10TensorInfoIS2_jEENS7_IljEEll
		.amdhsa_group_segment_fixed_size 4
		.amdhsa_private_segment_fixed_size 0
		.amdhsa_kernarg_size 712
		.amdhsa_user_sgpr_count 6
		.amdhsa_user_sgpr_private_segment_buffer 1
		.amdhsa_user_sgpr_dispatch_ptr 0
		.amdhsa_user_sgpr_queue_ptr 0
		.amdhsa_user_sgpr_kernarg_segment_ptr 1
		.amdhsa_user_sgpr_dispatch_id 0
		.amdhsa_user_sgpr_flat_scratch_init 0
		.amdhsa_user_sgpr_private_segment_size 0
		.amdhsa_uses_dynamic_stack 0
		.amdhsa_system_sgpr_private_segment_wavefront_offset 0
		.amdhsa_system_sgpr_workgroup_id_x 1
		.amdhsa_system_sgpr_workgroup_id_y 1
		.amdhsa_system_sgpr_workgroup_id_z 1
		.amdhsa_system_sgpr_workgroup_info 0
		.amdhsa_system_vgpr_workitem_id 0
		.amdhsa_next_free_vgpr 39
		.amdhsa_next_free_sgpr 22
		.amdhsa_reserve_vcc 1
		.amdhsa_reserve_flat_scratch 0
		.amdhsa_float_round_mode_32 0
		.amdhsa_float_round_mode_16_64 0
		.amdhsa_float_denorm_mode_32 3
		.amdhsa_float_denorm_mode_16_64 3
		.amdhsa_dx10_clamp 1
		.amdhsa_ieee_mode 1
		.amdhsa_fp16_overflow 0
		.amdhsa_exception_fp_ieee_invalid_op 0
		.amdhsa_exception_fp_denorm_src 0
		.amdhsa_exception_fp_ieee_div_zero 0
		.amdhsa_exception_fp_ieee_overflow 0
		.amdhsa_exception_fp_ieee_underflow 0
		.amdhsa_exception_fp_ieee_inexact 0
		.amdhsa_exception_int_div_zero 0
	.end_amdhsa_kernel
	.section	.text._ZN2at6native12compute_modeIfLj1024EEEvPKT_NS_4cuda6detail10TensorInfoIS2_jEENS7_IljEEll,"axG",@progbits,_ZN2at6native12compute_modeIfLj1024EEEvPKT_NS_4cuda6detail10TensorInfoIS2_jEENS7_IljEEll,comdat
.Lfunc_end94:
	.size	_ZN2at6native12compute_modeIfLj1024EEEvPKT_NS_4cuda6detail10TensorInfoIS2_jEENS7_IljEEll, .Lfunc_end94-_ZN2at6native12compute_modeIfLj1024EEEvPKT_NS_4cuda6detail10TensorInfoIS2_jEENS7_IljEEll
                                        ; -- End function
	.set _ZN2at6native12compute_modeIfLj1024EEEvPKT_NS_4cuda6detail10TensorInfoIS2_jEENS7_IljEEll.num_vgpr, 39
	.set _ZN2at6native12compute_modeIfLj1024EEEvPKT_NS_4cuda6detail10TensorInfoIS2_jEENS7_IljEEll.num_agpr, 0
	.set _ZN2at6native12compute_modeIfLj1024EEEvPKT_NS_4cuda6detail10TensorInfoIS2_jEENS7_IljEEll.numbered_sgpr, 22
	.set _ZN2at6native12compute_modeIfLj1024EEEvPKT_NS_4cuda6detail10TensorInfoIS2_jEENS7_IljEEll.num_named_barrier, 0
	.set _ZN2at6native12compute_modeIfLj1024EEEvPKT_NS_4cuda6detail10TensorInfoIS2_jEENS7_IljEEll.private_seg_size, 0
	.set _ZN2at6native12compute_modeIfLj1024EEEvPKT_NS_4cuda6detail10TensorInfoIS2_jEENS7_IljEEll.uses_vcc, 1
	.set _ZN2at6native12compute_modeIfLj1024EEEvPKT_NS_4cuda6detail10TensorInfoIS2_jEENS7_IljEEll.uses_flat_scratch, 0
	.set _ZN2at6native12compute_modeIfLj1024EEEvPKT_NS_4cuda6detail10TensorInfoIS2_jEENS7_IljEEll.has_dyn_sized_stack, 0
	.set _ZN2at6native12compute_modeIfLj1024EEEvPKT_NS_4cuda6detail10TensorInfoIS2_jEENS7_IljEEll.has_recursion, 0
	.set _ZN2at6native12compute_modeIfLj1024EEEvPKT_NS_4cuda6detail10TensorInfoIS2_jEENS7_IljEEll.has_indirect_call, 0
	.section	.AMDGPU.csdata,"",@progbits
; Kernel info:
; codeLenInByte = 13260
; TotalNumSgprs: 26
; NumVgprs: 39
; ScratchSize: 0
; MemoryBound: 0
; FloatMode: 240
; IeeeMode: 1
; LDSByteSize: 4 bytes/workgroup (compile time only)
; SGPRBlocks: 3
; VGPRBlocks: 9
; NumSGPRsForWavesPerEU: 26
; NumVGPRsForWavesPerEU: 39
; Occupancy: 6
; WaveLimiterHint : 1
; COMPUTE_PGM_RSRC2:SCRATCH_EN: 0
; COMPUTE_PGM_RSRC2:USER_SGPR: 6
; COMPUTE_PGM_RSRC2:TRAP_HANDLER: 0
; COMPUTE_PGM_RSRC2:TGID_X_EN: 1
; COMPUTE_PGM_RSRC2:TGID_Y_EN: 1
; COMPUTE_PGM_RSRC2:TGID_Z_EN: 1
; COMPUTE_PGM_RSRC2:TIDIG_COMP_CNT: 0
	.section	.text._ZN2at6native12compute_modeIfLj128EEEvPKT_NS_4cuda6detail10TensorInfoIS2_jEENS7_IljEEll,"axG",@progbits,_ZN2at6native12compute_modeIfLj128EEEvPKT_NS_4cuda6detail10TensorInfoIS2_jEENS7_IljEEll,comdat
	.protected	_ZN2at6native12compute_modeIfLj128EEEvPKT_NS_4cuda6detail10TensorInfoIS2_jEENS7_IljEEll ; -- Begin function _ZN2at6native12compute_modeIfLj128EEEvPKT_NS_4cuda6detail10TensorInfoIS2_jEENS7_IljEEll
	.globl	_ZN2at6native12compute_modeIfLj128EEEvPKT_NS_4cuda6detail10TensorInfoIS2_jEENS7_IljEEll
	.p2align	8
	.type	_ZN2at6native12compute_modeIfLj128EEEvPKT_NS_4cuda6detail10TensorInfoIS2_jEENS7_IljEEll,@function
_ZN2at6native12compute_modeIfLj128EEEvPKT_NS_4cuda6detail10TensorInfoIS2_jEENS7_IljEEll: ; @_ZN2at6native12compute_modeIfLj128EEEvPKT_NS_4cuda6detail10TensorInfoIS2_jEENS7_IljEEll
; %bb.0:
	s_load_dwordx2 s[2:3], s[4:5], 0x1c8
	s_load_dwordx4 s[16:19], s[4:5], 0x1b8
	s_add_u32 s0, s4, 0x1c8
	s_addc_u32 s1, s5, 0
	v_mov_b32_e32 v2, 0
	s_waitcnt lgkmcnt(0)
	s_mul_i32 s3, s3, s8
	s_add_i32 s3, s3, s7
	s_mul_i32 s2, s3, s2
	s_add_i32 s20, s2, s6
	v_mov_b32_e32 v1, s20
	v_cmp_le_i64_e32 vcc, s[18:19], v[1:2]
	s_cbranch_vccnz .LBB95_107
; %bb.1:
	s_load_dwordx2 s[14:15], s[4:5], 0x0
	s_load_dword s6, s[0:1], 0xc
	v_mov_b32_e32 v1, v2
	v_cmp_gt_i64_e32 vcc, s[16:17], v[0:1]
	s_mul_i32 s21, s20, s16
	s_and_saveexec_b64 s[2:3], vcc
	s_cbranch_execz .LBB95_3
; %bb.2:
	v_add_u32_e32 v1, s21, v0
	v_lshlrev_b64 v[3:4], 2, v[1:2]
	s_waitcnt lgkmcnt(0)
	v_mov_b32_e32 v1, s15
	v_add_co_u32_e64 v3, s[0:1], s14, v3
	v_addc_co_u32_e64 v4, s[0:1], v1, v4, s[0:1]
	global_load_dword v1, v[3:4], off
	v_lshl_add_u32 v3, v0, 2, 4
	s_waitcnt vmcnt(0)
	ds_write_b32 v3, v1
.LBB95_3:
	s_or_b64 exec, exec, s[2:3]
	s_waitcnt lgkmcnt(0)
	s_and_b32 s18, 0xffff, s6
	v_add_u32_e32 v1, s18, v0
	v_cmp_gt_i64_e64 s[0:1], s[16:17], v[1:2]
	s_and_saveexec_b64 s[6:7], s[0:1]
	s_cbranch_execz .LBB95_5
; %bb.4:
	v_add_u32_e32 v2, s21, v1
	v_mov_b32_e32 v3, 0
	v_lshlrev_b64 v[2:3], 2, v[2:3]
	v_mov_b32_e32 v4, s15
	v_add_co_u32_e64 v2, s[2:3], s14, v2
	v_addc_co_u32_e64 v3, s[2:3], v4, v3, s[2:3]
	global_load_dword v2, v[2:3], off
	v_lshl_add_u32 v1, v1, 2, 4
	s_waitcnt vmcnt(0)
	ds_write_b32 v1, v2
.LBB95_5:
	s_or_b64 exec, exec, s[6:7]
	v_add_u32_e32 v1, 4, v0
	v_mad_u32_u24 v4, v0, 7, v1
	v_cndmask_b32_e64 v2, 0, 1, vcc
	v_mad_i32_i24 v6, v0, -6, v4
	ds_write_b8 v1, v2 offset:512
	v_add_u32_e32 v2, s18, v1
	v_cndmask_b32_e64 v3, 0, 1, s[0:1]
	v_mad_u32_u24 v7, v0, 6, v6
	ds_write_b8 v2, v3 offset:512
	s_waitcnt lgkmcnt(0)
	s_barrier
	s_barrier
	ds_read2_b32 v[1:2], v4 offset1:1
	ds_read_u8 v8, v6 offset:512
	v_mad_i32_i24 v5, v0, -6, v7
	ds_read_u8 v9, v5 offset:513
	v_and_b32_e32 v3, 1, v0
	s_waitcnt lgkmcnt(2)
	v_cmp_lt_f32_e32 vcc, v1, v2
	s_waitcnt lgkmcnt(1)
	v_and_b32_e32 v10, 1, v8
	v_cmp_eq_u32_e64 s[0:1], 1, v10
	s_waitcnt lgkmcnt(0)
	v_cmp_ne_u16_e64 s[2:3], v9, v3
	v_cndmask_b32_e64 v10, 0, 1, s[2:3]
	s_and_b64 vcc, vcc, s[0:1]
	v_cndmask_b32_e32 v10, v10, v0, vcc
	v_and_b32_e32 v10, 1, v10
	v_cmp_eq_u32_e32 vcc, 1, v10
	s_and_saveexec_b64 s[0:1], vcc
	s_cbranch_execz .LBB95_7
; %bb.6:
	ds_write_b32 v4, v2
	ds_write_b32 v7, v1 offset:4
	ds_write_b8 v6, v9 offset:512
	ds_write_b8 v5, v8 offset:513
.LBB95_7:
	s_or_b64 exec, exec, s[0:1]
	v_lshlrev_b32_e32 v1, 1, v0
	v_sub_u32_e32 v11, v1, v3
	v_add_u32_e32 v9, 4, v11
	v_lshl_add_u32 v10, v11, 2, 4
	v_mad_i32_i24 v3, v11, 3, v9
	s_waitcnt lgkmcnt(0)
	s_barrier
	ds_read_b32 v2, v10
	ds_read_b32 v12, v3 offset:8
	ds_read_u8 v3, v9 offset:512
	ds_read_u8 v13, v9 offset:514
	v_bfe_u32 v14, v0, 1, 1
	v_and_b32_e32 v8, 2, v0
	s_waitcnt lgkmcnt(2)
	v_cmp_lt_f32_e64 s[0:1], v2, v12
	s_waitcnt lgkmcnt(1)
	v_and_b32_e32 v15, 1, v3
	v_cmp_eq_u32_e64 s[2:3], 1, v15
	s_waitcnt lgkmcnt(0)
	v_cmp_ne_u16_e64 s[6:7], v13, v14
	v_cndmask_b32_e64 v15, 0, 1, s[6:7]
	s_and_b64 s[0:1], s[0:1], s[2:3]
	v_cndmask_b32_e64 v14, v15, v14, s[0:1]
	v_mul_i32_i24_e32 v11, 3, v11
	v_and_b32_e32 v14, 1, v14
	v_cmp_ne_u32_e32 vcc, 0, v8
	v_cmp_eq_u32_e64 s[0:1], 1, v14
	v_add_u32_e32 v11, v9, v11
	s_and_saveexec_b64 s[2:3], s[0:1]
	s_xor_b64 s[0:1], exec, s[2:3]
	s_cbranch_execz .LBB95_9
; %bb.8:
	ds_write_b32 v10, v12
	ds_write_b32 v11, v2 offset:8
	ds_write_b8 v9, v13 offset:512
	ds_write_b8 v9, v3 offset:514
.LBB95_9:
	s_or_b64 exec, exec, s[0:1]
	s_waitcnt lgkmcnt(0)
	s_barrier
	ds_read2_b32 v[2:3], v4 offset1:1
	ds_read_u8 v12, v6 offset:512
	ds_read_u8 v13, v5 offset:513
	v_lshrrev_b32_e32 v8, 1, v8
	s_waitcnt lgkmcnt(2)
	v_cmp_lt_f32_e64 s[0:1], v2, v3
	s_waitcnt lgkmcnt(1)
	v_and_b32_e32 v14, 1, v12
	v_cmp_eq_u32_e64 s[2:3], 1, v14
	s_waitcnt lgkmcnt(0)
	v_cmp_ne_u16_e64 s[6:7], v13, v8
	v_cndmask_b32_e64 v8, 0, 1, s[6:7]
	v_cndmask_b32_e64 v14, 0, 1, vcc
	s_and_b64 vcc, s[0:1], s[2:3]
	v_cndmask_b32_e32 v8, v8, v14, vcc
	v_and_b32_e32 v8, 1, v8
	v_cmp_eq_u32_e32 vcc, 1, v8
	s_and_saveexec_b64 s[0:1], vcc
	s_cbranch_execz .LBB95_11
; %bb.10:
	ds_write_b32 v4, v3
	ds_write_b32 v7, v2 offset:4
	ds_write_b8 v6, v13 offset:512
	ds_write_b8 v5, v12 offset:513
.LBB95_11:
	s_or_b64 exec, exec, s[0:1]
	v_and_b32_e32 v3, 3, v0
	v_sub_u32_e32 v14, v1, v3
	v_add_u32_e32 v12, 4, v14
	v_lshl_add_u32 v13, v14, 2, 4
	v_mad_i32_i24 v8, v14, 3, v12
	s_waitcnt lgkmcnt(0)
	s_barrier
	ds_read_b32 v3, v13
	ds_read_b32 v15, v8 offset:16
	ds_read_u8 v8, v12 offset:512
	ds_read_u8 v16, v12 offset:516
	v_bfe_u32 v17, v0, 2, 1
	v_and_b32_e32 v2, 4, v0
	s_waitcnt lgkmcnt(2)
	v_cmp_lt_f32_e64 s[0:1], v3, v15
	s_waitcnt lgkmcnt(1)
	v_and_b32_e32 v18, 1, v8
	v_cmp_eq_u32_e64 s[2:3], 1, v18
	s_waitcnt lgkmcnt(0)
	v_cmp_ne_u16_e64 s[6:7], v16, v17
	v_cndmask_b32_e64 v18, 0, 1, s[6:7]
	s_and_b64 s[0:1], s[0:1], s[2:3]
	v_cndmask_b32_e64 v17, v18, v17, s[0:1]
	v_mul_i32_i24_e32 v14, 3, v14
	v_and_b32_e32 v17, 1, v17
	v_cmp_ne_u32_e32 vcc, 0, v2
	v_cmp_eq_u32_e64 s[0:1], 1, v17
	v_add_u32_e32 v14, v12, v14
	s_and_saveexec_b64 s[2:3], s[0:1]
	s_cbranch_execz .LBB95_13
; %bb.12:
	ds_write_b32 v13, v15
	ds_write_b32 v14, v3 offset:16
	ds_write_b8 v12, v16 offset:512
	ds_write_b8 v12, v8 offset:516
.LBB95_13:
	s_or_b64 exec, exec, s[2:3]
	s_waitcnt lgkmcnt(0)
	s_barrier
	ds_read_b32 v3, v10
	ds_read_b32 v17, v11 offset:8
	ds_read_u8 v16, v9 offset:512
	ds_read_u8 v18, v9 offset:514
	v_lshrrev_b32_e32 v8, 2, v2
	v_cndmask_b32_e64 v15, 0, 1, vcc
	s_waitcnt lgkmcnt(2)
	v_cmp_lt_f32_e64 s[0:1], v3, v17
	s_waitcnt lgkmcnt(1)
	v_and_b32_e32 v2, 1, v16
	v_cmp_eq_u32_e64 s[2:3], 1, v2
	s_waitcnt lgkmcnt(0)
	v_cmp_ne_u16_e64 s[6:7], v18, v8
	v_cndmask_b32_e64 v2, 0, 1, s[6:7]
	s_and_b64 vcc, s[0:1], s[2:3]
	v_cndmask_b32_e32 v2, v2, v15, vcc
	v_and_b32_e32 v2, 1, v2
	v_cmp_eq_u32_e32 vcc, 1, v2
	s_and_saveexec_b64 s[0:1], vcc
	s_cbranch_execz .LBB95_15
; %bb.14:
	ds_write_b32 v10, v17
	ds_write_b32 v11, v3 offset:8
	ds_write_b8 v9, v18 offset:512
	ds_write_b8 v9, v16 offset:514
.LBB95_15:
	s_or_b64 exec, exec, s[0:1]
	s_waitcnt lgkmcnt(0)
	s_barrier
	ds_read2_b32 v[2:3], v4 offset1:1
	ds_read_u8 v16, v6 offset:512
	ds_read_u8 v17, v5 offset:513
	s_waitcnt lgkmcnt(2)
	v_cmp_lt_f32_e32 vcc, v2, v3
	s_waitcnt lgkmcnt(1)
	v_and_b32_e32 v18, 1, v16
	v_cmp_eq_u32_e64 s[0:1], 1, v18
	s_waitcnt lgkmcnt(0)
	v_cmp_ne_u16_e64 s[2:3], v17, v8
	v_cndmask_b32_e64 v8, 0, 1, s[2:3]
	s_and_b64 vcc, vcc, s[0:1]
	v_cndmask_b32_e32 v8, v8, v15, vcc
	v_and_b32_e32 v8, 1, v8
	v_cmp_eq_u32_e32 vcc, 1, v8
	s_and_saveexec_b64 s[0:1], vcc
	s_cbranch_execz .LBB95_17
; %bb.16:
	ds_write_b32 v4, v3
	ds_write_b32 v7, v2 offset:4
	ds_write_b8 v6, v17 offset:512
	ds_write_b8 v5, v16 offset:513
.LBB95_17:
	s_or_b64 exec, exec, s[0:1]
	v_and_b32_e32 v3, 7, v0
	v_sub_u32_e32 v17, v1, v3
	v_add_u32_e32 v15, 4, v17
	v_lshl_add_u32 v16, v17, 2, 4
	v_mad_i32_i24 v8, v17, 3, v15
	s_waitcnt lgkmcnt(0)
	s_barrier
	ds_read_b32 v3, v16
	ds_read_b32 v18, v8 offset:32
	ds_read_u8 v8, v15 offset:512
	ds_read_u8 v19, v15 offset:520
	v_bfe_u32 v20, v0, 3, 1
	v_and_b32_e32 v2, 8, v0
	s_waitcnt lgkmcnt(2)
	v_cmp_lt_f32_e64 s[0:1], v3, v18
	s_waitcnt lgkmcnt(1)
	v_and_b32_e32 v21, 1, v8
	v_cmp_eq_u32_e64 s[2:3], 1, v21
	s_waitcnt lgkmcnt(0)
	v_cmp_ne_u16_e64 s[6:7], v19, v20
	v_cndmask_b32_e64 v21, 0, 1, s[6:7]
	s_and_b64 s[0:1], s[0:1], s[2:3]
	v_cndmask_b32_e64 v20, v21, v20, s[0:1]
	v_mul_i32_i24_e32 v17, 3, v17
	v_and_b32_e32 v20, 1, v20
	v_cmp_ne_u32_e32 vcc, 0, v2
	v_cmp_eq_u32_e64 s[0:1], 1, v20
	v_add_u32_e32 v17, v15, v17
	s_and_saveexec_b64 s[2:3], s[0:1]
	s_cbranch_execz .LBB95_19
; %bb.18:
	ds_write_b32 v16, v18
	ds_write_b32 v17, v3 offset:32
	ds_write_b8 v15, v19 offset:512
	ds_write_b8 v15, v8 offset:520
.LBB95_19:
	s_or_b64 exec, exec, s[2:3]
	s_waitcnt lgkmcnt(0)
	s_barrier
	ds_read_b32 v3, v13
	ds_read_b32 v20, v14 offset:16
	ds_read_u8 v19, v12 offset:512
	ds_read_u8 v21, v12 offset:516
	v_lshrrev_b32_e32 v8, 3, v2
	v_cndmask_b32_e64 v18, 0, 1, vcc
	s_waitcnt lgkmcnt(2)
	v_cmp_lt_f32_e64 s[0:1], v3, v20
	s_waitcnt lgkmcnt(1)
	v_and_b32_e32 v2, 1, v19
	v_cmp_eq_u32_e64 s[2:3], 1, v2
	s_waitcnt lgkmcnt(0)
	v_cmp_ne_u16_e64 s[6:7], v21, v8
	v_cndmask_b32_e64 v2, 0, 1, s[6:7]
	s_and_b64 vcc, s[0:1], s[2:3]
	v_cndmask_b32_e32 v2, v2, v18, vcc
	v_and_b32_e32 v2, 1, v2
	v_cmp_eq_u32_e32 vcc, 1, v2
	s_and_saveexec_b64 s[0:1], vcc
	s_cbranch_execz .LBB95_21
; %bb.20:
	ds_write_b32 v13, v20
	ds_write_b32 v14, v3 offset:16
	ds_write_b8 v12, v21 offset:512
	ds_write_b8 v12, v19 offset:516
.LBB95_21:
	s_or_b64 exec, exec, s[0:1]
	s_waitcnt lgkmcnt(0)
	s_barrier
	ds_read_b32 v2, v10
	ds_read_b32 v19, v11 offset:8
	ds_read_u8 v3, v9 offset:512
	ds_read_u8 v20, v9 offset:514
	s_waitcnt lgkmcnt(2)
	v_cmp_lt_f32_e32 vcc, v2, v19
	s_waitcnt lgkmcnt(1)
	v_and_b32_e32 v21, 1, v3
	v_cmp_eq_u32_e64 s[0:1], 1, v21
	s_waitcnt lgkmcnt(0)
	v_cmp_ne_u16_e64 s[2:3], v20, v8
	v_cndmask_b32_e64 v21, 0, 1, s[2:3]
	s_and_b64 vcc, vcc, s[0:1]
	v_cndmask_b32_e32 v21, v21, v18, vcc
	v_and_b32_e32 v21, 1, v21
	v_cmp_eq_u32_e32 vcc, 1, v21
	s_and_saveexec_b64 s[0:1], vcc
	s_cbranch_execz .LBB95_23
; %bb.22:
	ds_write_b32 v10, v19
	ds_write_b32 v11, v2 offset:8
	ds_write_b8 v9, v20 offset:512
	ds_write_b8 v9, v3 offset:514
.LBB95_23:
	s_or_b64 exec, exec, s[0:1]
	s_waitcnt lgkmcnt(0)
	s_barrier
	ds_read2_b32 v[2:3], v4 offset1:1
	ds_read_u8 v19, v6 offset:512
	ds_read_u8 v20, v5 offset:513
	s_waitcnt lgkmcnt(2)
	v_cmp_lt_f32_e32 vcc, v2, v3
	s_waitcnt lgkmcnt(1)
	v_and_b32_e32 v21, 1, v19
	v_cmp_eq_u32_e64 s[0:1], 1, v21
	s_waitcnt lgkmcnt(0)
	v_cmp_ne_u16_e64 s[2:3], v20, v8
	v_cndmask_b32_e64 v8, 0, 1, s[2:3]
	s_and_b64 vcc, vcc, s[0:1]
	v_cndmask_b32_e32 v8, v8, v18, vcc
	v_and_b32_e32 v8, 1, v8
	v_cmp_eq_u32_e32 vcc, 1, v8
	s_and_saveexec_b64 s[0:1], vcc
	s_cbranch_execz .LBB95_25
; %bb.24:
	ds_write_b32 v4, v3
	ds_write_b32 v7, v2 offset:4
	ds_write_b8 v6, v20 offset:512
	ds_write_b8 v5, v19 offset:513
.LBB95_25:
	s_or_b64 exec, exec, s[0:1]
	v_and_b32_e32 v3, 15, v0
	v_sub_u32_e32 v20, v1, v3
	v_add_u32_e32 v18, 4, v20
	v_lshl_add_u32 v19, v20, 2, 4
	v_mad_i32_i24 v8, v20, 3, v18
	s_waitcnt lgkmcnt(0)
	s_barrier
	ds_read_b32 v3, v19
	ds_read_b32 v21, v8 offset:64
	ds_read_u8 v8, v18 offset:512
	ds_read_u8 v22, v18 offset:528
	v_bfe_u32 v23, v0, 4, 1
	v_and_b32_e32 v2, 16, v0
	s_waitcnt lgkmcnt(2)
	v_cmp_lt_f32_e64 s[0:1], v3, v21
	s_waitcnt lgkmcnt(1)
	v_and_b32_e32 v24, 1, v8
	v_cmp_eq_u32_e64 s[2:3], 1, v24
	s_waitcnt lgkmcnt(0)
	v_cmp_ne_u16_e64 s[6:7], v22, v23
	v_cndmask_b32_e64 v24, 0, 1, s[6:7]
	s_and_b64 s[0:1], s[0:1], s[2:3]
	v_cndmask_b32_e64 v23, v24, v23, s[0:1]
	v_mul_i32_i24_e32 v20, 3, v20
	v_and_b32_e32 v23, 1, v23
	v_cmp_ne_u32_e32 vcc, 0, v2
	v_cmp_eq_u32_e64 s[0:1], 1, v23
	v_add_u32_e32 v20, v18, v20
	s_and_saveexec_b64 s[2:3], s[0:1]
	s_cbranch_execz .LBB95_27
; %bb.26:
	ds_write_b32 v19, v21
	ds_write_b32 v20, v3 offset:64
	ds_write_b8 v18, v22 offset:512
	ds_write_b8 v18, v8 offset:528
.LBB95_27:
	s_or_b64 exec, exec, s[2:3]
	s_waitcnt lgkmcnt(0)
	s_barrier
	ds_read_b32 v3, v16
	ds_read_b32 v23, v17 offset:32
	ds_read_u8 v22, v15 offset:512
	ds_read_u8 v24, v15 offset:520
	v_lshrrev_b32_e32 v8, 4, v2
	v_cndmask_b32_e64 v21, 0, 1, vcc
	s_waitcnt lgkmcnt(2)
	v_cmp_lt_f32_e64 s[0:1], v3, v23
	s_waitcnt lgkmcnt(1)
	v_and_b32_e32 v2, 1, v22
	v_cmp_eq_u32_e64 s[2:3], 1, v2
	s_waitcnt lgkmcnt(0)
	v_cmp_ne_u16_e64 s[6:7], v24, v8
	v_cndmask_b32_e64 v2, 0, 1, s[6:7]
	s_and_b64 vcc, s[0:1], s[2:3]
	v_cndmask_b32_e32 v2, v2, v21, vcc
	v_and_b32_e32 v2, 1, v2
	v_cmp_eq_u32_e32 vcc, 1, v2
	s_and_saveexec_b64 s[0:1], vcc
	s_cbranch_execz .LBB95_29
; %bb.28:
	ds_write_b32 v16, v23
	ds_write_b32 v17, v3 offset:32
	ds_write_b8 v15, v24 offset:512
	ds_write_b8 v15, v22 offset:520
.LBB95_29:
	s_or_b64 exec, exec, s[0:1]
	s_waitcnt lgkmcnt(0)
	s_barrier
	ds_read_b32 v2, v13
	ds_read_b32 v22, v14 offset:16
	ds_read_u8 v3, v12 offset:512
	ds_read_u8 v23, v12 offset:516
	s_waitcnt lgkmcnt(2)
	v_cmp_lt_f32_e32 vcc, v2, v22
	s_waitcnt lgkmcnt(1)
	v_and_b32_e32 v24, 1, v3
	v_cmp_eq_u32_e64 s[0:1], 1, v24
	s_waitcnt lgkmcnt(0)
	v_cmp_ne_u16_e64 s[2:3], v23, v8
	v_cndmask_b32_e64 v24, 0, 1, s[2:3]
	s_and_b64 vcc, vcc, s[0:1]
	v_cndmask_b32_e32 v24, v24, v21, vcc
	v_and_b32_e32 v24, 1, v24
	v_cmp_eq_u32_e32 vcc, 1, v24
	s_and_saveexec_b64 s[0:1], vcc
	s_cbranch_execz .LBB95_31
; %bb.30:
	ds_write_b32 v13, v22
	ds_write_b32 v14, v2 offset:16
	ds_write_b8 v12, v23 offset:512
	ds_write_b8 v12, v3 offset:516
.LBB95_31:
	s_or_b64 exec, exec, s[0:1]
	s_waitcnt lgkmcnt(0)
	s_barrier
	ds_read_b32 v2, v10
	ds_read_b32 v22, v11 offset:8
	ds_read_u8 v3, v9 offset:512
	ds_read_u8 v23, v9 offset:514
	s_waitcnt lgkmcnt(2)
	v_cmp_lt_f32_e32 vcc, v2, v22
	s_waitcnt lgkmcnt(1)
	v_and_b32_e32 v24, 1, v3
	v_cmp_eq_u32_e64 s[0:1], 1, v24
	s_waitcnt lgkmcnt(0)
	v_cmp_ne_u16_e64 s[2:3], v23, v8
	v_cndmask_b32_e64 v24, 0, 1, s[2:3]
	s_and_b64 vcc, vcc, s[0:1]
	v_cndmask_b32_e32 v24, v24, v21, vcc
	v_and_b32_e32 v24, 1, v24
	v_cmp_eq_u32_e32 vcc, 1, v24
	s_and_saveexec_b64 s[0:1], vcc
	s_cbranch_execz .LBB95_33
; %bb.32:
	ds_write_b32 v10, v22
	ds_write_b32 v11, v2 offset:8
	ds_write_b8 v9, v23 offset:512
	ds_write_b8 v9, v3 offset:514
.LBB95_33:
	s_or_b64 exec, exec, s[0:1]
	s_waitcnt lgkmcnt(0)
	s_barrier
	ds_read2_b32 v[2:3], v4 offset1:1
	ds_read_u8 v22, v6 offset:512
	ds_read_u8 v23, v5 offset:513
	s_waitcnt lgkmcnt(2)
	v_cmp_lt_f32_e32 vcc, v2, v3
	s_waitcnt lgkmcnt(1)
	v_and_b32_e32 v24, 1, v22
	v_cmp_eq_u32_e64 s[0:1], 1, v24
	s_waitcnt lgkmcnt(0)
	v_cmp_ne_u16_e64 s[2:3], v23, v8
	v_cndmask_b32_e64 v8, 0, 1, s[2:3]
	s_and_b64 vcc, vcc, s[0:1]
	v_cndmask_b32_e32 v8, v8, v21, vcc
	v_and_b32_e32 v8, 1, v8
	v_cmp_eq_u32_e32 vcc, 1, v8
	s_and_saveexec_b64 s[0:1], vcc
	s_cbranch_execz .LBB95_35
; %bb.34:
	ds_write_b32 v4, v3
	ds_write_b32 v7, v2 offset:4
	ds_write_b8 v6, v23 offset:512
	ds_write_b8 v5, v22 offset:513
.LBB95_35:
	s_or_b64 exec, exec, s[0:1]
	v_and_b32_e32 v3, 31, v0
	v_sub_u32_e32 v23, v1, v3
	v_add_u32_e32 v21, 4, v23
	v_lshl_add_u32 v22, v23, 2, 4
	v_mad_i32_i24 v8, v23, 3, v21
	s_waitcnt lgkmcnt(0)
	s_barrier
	ds_read_b32 v3, v22
	ds_read_b32 v24, v8 offset:128
	ds_read_u8 v8, v21 offset:512
	ds_read_u8 v25, v21 offset:544
	v_bfe_u32 v26, v0, 5, 1
	v_and_b32_e32 v2, 32, v0
	s_waitcnt lgkmcnt(2)
	v_cmp_lt_f32_e64 s[0:1], v3, v24
	s_waitcnt lgkmcnt(1)
	v_and_b32_e32 v27, 1, v8
	v_cmp_eq_u32_e64 s[2:3], 1, v27
	s_waitcnt lgkmcnt(0)
	v_cmp_ne_u16_e64 s[6:7], v25, v26
	v_cndmask_b32_e64 v27, 0, 1, s[6:7]
	s_and_b64 s[0:1], s[0:1], s[2:3]
	v_cndmask_b32_e64 v26, v27, v26, s[0:1]
	v_mul_i32_i24_e32 v23, 3, v23
	v_and_b32_e32 v26, 1, v26
	v_cmp_ne_u32_e32 vcc, 0, v2
	v_cmp_eq_u32_e64 s[0:1], 1, v26
	v_add_u32_e32 v23, v21, v23
	s_and_saveexec_b64 s[2:3], s[0:1]
	s_cbranch_execz .LBB95_37
; %bb.36:
	ds_write_b32 v22, v24
	ds_write_b32 v23, v3 offset:128
	ds_write_b8 v21, v25 offset:512
	ds_write_b8 v21, v8 offset:544
.LBB95_37:
	s_or_b64 exec, exec, s[2:3]
	s_waitcnt lgkmcnt(0)
	s_barrier
	ds_read_b32 v3, v19
	ds_read_b32 v26, v20 offset:64
	ds_read_u8 v25, v18 offset:512
	ds_read_u8 v27, v18 offset:528
	v_lshrrev_b32_e32 v8, 5, v2
	v_cndmask_b32_e64 v24, 0, 1, vcc
	s_waitcnt lgkmcnt(2)
	v_cmp_lt_f32_e64 s[0:1], v3, v26
	s_waitcnt lgkmcnt(1)
	v_and_b32_e32 v2, 1, v25
	v_cmp_eq_u32_e64 s[2:3], 1, v2
	s_waitcnt lgkmcnt(0)
	v_cmp_ne_u16_e64 s[6:7], v27, v8
	v_cndmask_b32_e64 v2, 0, 1, s[6:7]
	s_and_b64 vcc, s[0:1], s[2:3]
	v_cndmask_b32_e32 v2, v2, v24, vcc
	v_and_b32_e32 v2, 1, v2
	v_cmp_eq_u32_e32 vcc, 1, v2
	s_and_saveexec_b64 s[0:1], vcc
	s_cbranch_execz .LBB95_39
; %bb.38:
	ds_write_b32 v19, v26
	ds_write_b32 v20, v3 offset:64
	ds_write_b8 v18, v27 offset:512
	ds_write_b8 v18, v25 offset:528
.LBB95_39:
	s_or_b64 exec, exec, s[0:1]
	s_waitcnt lgkmcnt(0)
	s_barrier
	ds_read_b32 v2, v16
	ds_read_b32 v25, v17 offset:32
	ds_read_u8 v3, v15 offset:512
	ds_read_u8 v26, v15 offset:520
	s_waitcnt lgkmcnt(2)
	v_cmp_lt_f32_e32 vcc, v2, v25
	s_waitcnt lgkmcnt(1)
	v_and_b32_e32 v27, 1, v3
	v_cmp_eq_u32_e64 s[0:1], 1, v27
	s_waitcnt lgkmcnt(0)
	v_cmp_ne_u16_e64 s[2:3], v26, v8
	v_cndmask_b32_e64 v27, 0, 1, s[2:3]
	s_and_b64 vcc, vcc, s[0:1]
	v_cndmask_b32_e32 v27, v27, v24, vcc
	v_and_b32_e32 v27, 1, v27
	v_cmp_eq_u32_e32 vcc, 1, v27
	s_and_saveexec_b64 s[0:1], vcc
	s_cbranch_execz .LBB95_41
; %bb.40:
	ds_write_b32 v16, v25
	ds_write_b32 v17, v2 offset:32
	ds_write_b8 v15, v26 offset:512
	ds_write_b8 v15, v3 offset:520
.LBB95_41:
	s_or_b64 exec, exec, s[0:1]
	s_waitcnt lgkmcnt(0)
	s_barrier
	ds_read_b32 v2, v13
	ds_read_b32 v25, v14 offset:16
	ds_read_u8 v3, v12 offset:512
	ds_read_u8 v26, v12 offset:516
	s_waitcnt lgkmcnt(2)
	v_cmp_lt_f32_e32 vcc, v2, v25
	s_waitcnt lgkmcnt(1)
	v_and_b32_e32 v27, 1, v3
	v_cmp_eq_u32_e64 s[0:1], 1, v27
	s_waitcnt lgkmcnt(0)
	v_cmp_ne_u16_e64 s[2:3], v26, v8
	v_cndmask_b32_e64 v27, 0, 1, s[2:3]
	s_and_b64 vcc, vcc, s[0:1]
	;; [unrolled: 27-line block ×3, first 2 shown]
	v_cndmask_b32_e32 v27, v27, v24, vcc
	v_and_b32_e32 v27, 1, v27
	v_cmp_eq_u32_e32 vcc, 1, v27
	s_and_saveexec_b64 s[0:1], vcc
	s_cbranch_execz .LBB95_45
; %bb.44:
	ds_write_b32 v10, v25
	ds_write_b32 v11, v2 offset:8
	ds_write_b8 v9, v26 offset:512
	ds_write_b8 v9, v3 offset:514
.LBB95_45:
	s_or_b64 exec, exec, s[0:1]
	s_waitcnt lgkmcnt(0)
	s_barrier
	ds_read2_b32 v[2:3], v4 offset1:1
	ds_read_u8 v25, v6 offset:512
	ds_read_u8 v26, v5 offset:513
	s_waitcnt lgkmcnt(2)
	v_cmp_lt_f32_e32 vcc, v2, v3
	s_waitcnt lgkmcnt(1)
	v_and_b32_e32 v27, 1, v25
	v_cmp_eq_u32_e64 s[0:1], 1, v27
	s_waitcnt lgkmcnt(0)
	v_cmp_ne_u16_e64 s[2:3], v26, v8
	v_cndmask_b32_e64 v8, 0, 1, s[2:3]
	s_and_b64 vcc, vcc, s[0:1]
	v_cndmask_b32_e32 v8, v8, v24, vcc
	v_and_b32_e32 v8, 1, v8
	v_cmp_eq_u32_e32 vcc, 1, v8
	s_and_saveexec_b64 s[0:1], vcc
	s_cbranch_execz .LBB95_47
; %bb.46:
	ds_write_b32 v4, v3
	ds_write_b32 v7, v2 offset:4
	ds_write_b8 v6, v26 offset:512
	ds_write_b8 v5, v25 offset:513
.LBB95_47:
	s_or_b64 exec, exec, s[0:1]
	v_and_b32_e32 v8, 63, v0
	v_sub_u32_e32 v25, v1, v8
	v_lshl_add_u32 v24, v25, 2, 4
	v_add_u32_e32 v2, 4, v25
	s_waitcnt lgkmcnt(0)
	s_barrier
	v_mad_i32_i24 v3, v25, 3, v2
	ds_read_b32 v26, v24
	ds_read_b32 v28, v3 offset:256
	ds_read_u8 v27, v2 offset:512
	ds_read_u8 v29, v2 offset:576
	s_waitcnt lgkmcnt(2)
	v_cmp_nlt_f32_e32 vcc, v26, v28
	s_waitcnt lgkmcnt(1)
	v_and_b32_e32 v3, 1, v27
	v_cmp_eq_u32_e64 s[0:1], 1, v3
	s_xor_b64 s[0:1], s[0:1], -1
	v_mov_b32_e32 v3, 0
	s_or_b64 s[0:1], vcc, s[0:1]
	s_waitcnt lgkmcnt(0)
	v_cmp_ne_u16_sdwa s[2:3], v29, v3 src0_sel:BYTE_0 src1_sel:DWORD
	s_and_b64 s[2:3], s[0:1], s[2:3]
	s_and_saveexec_b64 s[0:1], s[2:3]
	s_cbranch_execz .LBB95_49
; %bb.48:
	v_mul_i32_i24_e32 v25, 3, v25
	ds_write_b32 v24, v28
	v_add_u32_e32 v24, v2, v25
	ds_write_b32 v24, v26 offset:256
	v_mov_b32_e32 v24, 1
	ds_write_b8 v2, v24 offset:512
	ds_write_b8 v2, v27 offset:576
.LBB95_49:
	s_or_b64 exec, exec, s[0:1]
	s_waitcnt lgkmcnt(0)
	s_barrier
	ds_read_b32 v2, v22
	ds_read_b32 v25, v23 offset:128
	ds_read_u8 v24, v21 offset:512
	ds_read_u8 v26, v21 offset:544
	s_waitcnt lgkmcnt(2)
	v_cmp_nlt_f32_e32 vcc, v2, v25
	s_waitcnt lgkmcnt(1)
	v_and_b32_e32 v27, 1, v24
	v_cmp_eq_u32_e64 s[0:1], 1, v27
	s_xor_b64 s[0:1], s[0:1], -1
	s_or_b64 s[0:1], vcc, s[0:1]
	s_waitcnt lgkmcnt(0)
	v_cmp_ne_u16_sdwa s[2:3], v26, v3 src0_sel:BYTE_0 src1_sel:DWORD
	s_and_b64 s[2:3], s[0:1], s[2:3]
	s_and_saveexec_b64 s[0:1], s[2:3]
	s_cbranch_execz .LBB95_51
; %bb.50:
	ds_write_b32 v22, v25
	ds_write_b32 v23, v2 offset:128
	v_mov_b32_e32 v2, 1
	ds_write_b8 v21, v2 offset:512
	ds_write_b8 v21, v24 offset:544
.LBB95_51:
	s_or_b64 exec, exec, s[0:1]
	s_waitcnt lgkmcnt(0)
	s_barrier
	ds_read_b32 v3, v19
	ds_read_b32 v22, v20 offset:64
	ds_read_u8 v21, v18 offset:512
	ds_read_u8 v23, v18 offset:528
	s_waitcnt lgkmcnt(2)
	v_cmp_nlt_f32_e32 vcc, v3, v22
	s_waitcnt lgkmcnt(1)
	v_and_b32_e32 v2, 1, v21
	v_cmp_eq_u32_e64 s[0:1], 1, v2
	s_xor_b64 s[0:1], s[0:1], -1
	v_mov_b32_e32 v2, 0
	s_or_b64 s[0:1], vcc, s[0:1]
	s_waitcnt lgkmcnt(0)
	v_cmp_ne_u16_sdwa s[2:3], v23, v2 src0_sel:BYTE_0 src1_sel:DWORD
	s_and_b64 s[2:3], s[0:1], s[2:3]
	s_and_saveexec_b64 s[0:1], s[2:3]
	s_cbranch_execz .LBB95_53
; %bb.52:
	ds_write_b32 v19, v22
	ds_write_b32 v20, v3 offset:64
	v_mov_b32_e32 v3, 1
	ds_write_b8 v18, v3 offset:512
	ds_write_b8 v18, v21 offset:528
.LBB95_53:
	s_or_b64 exec, exec, s[0:1]
	s_waitcnt lgkmcnt(0)
	s_barrier
	ds_read_b32 v3, v16
	ds_read_b32 v19, v17 offset:32
	ds_read_u8 v18, v15 offset:512
	ds_read_u8 v20, v15 offset:520
	s_waitcnt lgkmcnt(2)
	v_cmp_nlt_f32_e32 vcc, v3, v19
	s_waitcnt lgkmcnt(1)
	v_and_b32_e32 v21, 1, v18
	v_cmp_eq_u32_e64 s[0:1], 1, v21
	s_xor_b64 s[0:1], s[0:1], -1
	s_or_b64 s[0:1], vcc, s[0:1]
	s_waitcnt lgkmcnt(0)
	v_cmp_ne_u16_sdwa s[2:3], v20, v2 src0_sel:BYTE_0 src1_sel:DWORD
	s_and_b64 s[2:3], s[0:1], s[2:3]
	s_and_saveexec_b64 s[0:1], s[2:3]
	s_cbranch_execz .LBB95_55
; %bb.54:
	v_mov_b32_e32 v2, 1
	ds_write_b32 v16, v19
	ds_write_b32 v17, v3 offset:32
	ds_write_b8 v15, v2 offset:512
	ds_write_b8 v15, v18 offset:520
.LBB95_55:
	s_or_b64 exec, exec, s[0:1]
	s_waitcnt lgkmcnt(0)
	s_barrier
	ds_read_b32 v3, v13
	ds_read_b32 v16, v14 offset:16
	ds_read_u8 v15, v12 offset:512
	ds_read_u8 v17, v12 offset:516
	s_waitcnt lgkmcnt(2)
	v_cmp_nlt_f32_e32 vcc, v3, v16
	s_waitcnt lgkmcnt(1)
	v_and_b32_e32 v2, 1, v15
	v_cmp_eq_u32_e64 s[0:1], 1, v2
	s_xor_b64 s[0:1], s[0:1], -1
	v_mov_b32_e32 v2, 0
	s_or_b64 s[0:1], vcc, s[0:1]
	s_waitcnt lgkmcnt(0)
	v_cmp_ne_u16_sdwa s[2:3], v17, v2 src0_sel:BYTE_0 src1_sel:DWORD
	s_and_b64 s[2:3], s[0:1], s[2:3]
	s_and_saveexec_b64 s[0:1], s[2:3]
	s_cbranch_execz .LBB95_57
; %bb.56:
	ds_write_b32 v13, v16
	ds_write_b32 v14, v3 offset:16
	v_mov_b32_e32 v3, 1
	ds_write_b8 v12, v3 offset:512
	ds_write_b8 v12, v15 offset:516
.LBB95_57:
	s_or_b64 exec, exec, s[0:1]
	s_waitcnt lgkmcnt(0)
	s_barrier
	ds_read_b32 v3, v10
	ds_read_b32 v13, v11 offset:8
	ds_read_u8 v12, v9 offset:512
	ds_read_u8 v14, v9 offset:514
	s_waitcnt lgkmcnt(2)
	v_cmp_nlt_f32_e32 vcc, v3, v13
	s_waitcnt lgkmcnt(1)
	v_and_b32_e32 v15, 1, v12
	v_cmp_eq_u32_e64 s[0:1], 1, v15
	s_xor_b64 s[0:1], s[0:1], -1
	s_or_b64 s[0:1], vcc, s[0:1]
	s_waitcnt lgkmcnt(0)
	v_cmp_ne_u16_sdwa s[2:3], v14, v2 src0_sel:BYTE_0 src1_sel:DWORD
	s_and_b64 s[2:3], s[0:1], s[2:3]
	s_and_saveexec_b64 s[0:1], s[2:3]
	s_cbranch_execz .LBB95_59
; %bb.58:
	v_mov_b32_e32 v2, 1
	ds_write_b32 v10, v13
	ds_write_b32 v11, v3 offset:8
	ds_write_b8 v9, v2 offset:512
	ds_write_b8 v9, v12 offset:514
.LBB95_59:
	s_or_b64 exec, exec, s[0:1]
	s_waitcnt lgkmcnt(0)
	s_barrier
	ds_read2_b32 v[2:3], v4 offset1:1
	ds_read_u8 v9, v6 offset:512
	ds_read_u8 v10, v5 offset:513
	s_waitcnt lgkmcnt(2)
	v_cmp_nlt_f32_e32 vcc, v2, v3
	s_waitcnt lgkmcnt(1)
	v_and_b32_e32 v11, 1, v9
	v_cmp_eq_u32_e64 s[0:1], 1, v11
	s_xor_b64 s[0:1], s[0:1], -1
	v_mov_b32_e32 v11, 0
	s_or_b64 s[0:1], vcc, s[0:1]
	s_waitcnt lgkmcnt(0)
	v_cmp_ne_u16_sdwa s[2:3], v10, v11 src0_sel:BYTE_0 src1_sel:DWORD
	s_and_b64 s[2:3], s[0:1], s[2:3]
	s_and_saveexec_b64 s[0:1], s[2:3]
	s_cbranch_execz .LBB95_61
; %bb.60:
	ds_write_b32 v4, v3
	ds_write_b32 v7, v2 offset:4
	v_mov_b32_e32 v2, 1
	ds_write_b8 v6, v2 offset:512
	ds_write_b8 v5, v9 offset:513
.LBB95_61:
	s_or_b64 exec, exec, s[0:1]
	v_cmp_eq_u32_e32 vcc, 0, v0
	s_waitcnt lgkmcnt(0)
	s_barrier
	s_barrier
	s_and_saveexec_b64 s[0:1], vcc
	s_cbranch_execz .LBB95_63
; %bb.62:
	v_mov_b32_e32 v2, 1
	v_mov_b32_e32 v3, 4
	ds_write_b8 v3, v2 offset:516
	v_mov_b32_e32 v2, 0
	ds_write_b32 v3, v2 offset:512
.LBB95_63:
	s_or_b64 exec, exec, s[0:1]
	ds_read2_b32 v[2:3], v4 offset1:1
	v_mad_u32_u24 v4, v0, 14, v5
	v_cmp_gt_u32_e64 s[2:3], 63, v0
	s_waitcnt lgkmcnt(0)
	v_cmp_neq_f32_e64 s[0:1], v2, v3
	v_cndmask_b32_e64 v5, 0, 1, s[0:1]
	v_cmp_eq_f32_e64 s[0:1], v2, v3
	v_cndmask_b32_e64 v2, 0, 1, s[0:1]
	ds_write_b8 v4, v5 offset:524
	ds_write_b32 v4, v2 offset:520
	s_and_saveexec_b64 s[6:7], s[2:3]
	s_cbranch_execz .LBB95_65
; %bb.64:
	v_lshlrev_b32_e32 v2, 3, v0
	v_sub_u32_e32 v2, v4, v2
	ds_read_b32 v2, v2 offset:8
	s_waitcnt lgkmcnt(0)
	v_cmp_neq_f32_e64 s[0:1], v3, v2
	v_cndmask_b32_e64 v5, 0, 1, s[0:1]
	v_cmp_eq_f32_e64 s[0:1], v3, v2
	v_cndmask_b32_e64 v2, 0, 1, s[0:1]
	ds_write_b8 v4, v5 offset:532
	ds_write_b32 v4, v2 offset:528
.LBB95_65:
	s_or_b64 exec, exec, s[6:7]
	v_cmp_gt_u32_e64 s[0:1], 64, v0
	s_waitcnt lgkmcnt(0)
	s_barrier
	s_and_saveexec_b64 s[8:9], s[0:1]
	s_cbranch_execz .LBB95_67
; %bb.66:
	ds_read_u8 v5, v4 offset:524
	ds_read_u8 v6, v4 offset:516
	ds_read2_b32 v[2:3], v4 offset0:128 offset1:130
	s_waitcnt lgkmcnt(2)
	v_and_b32_e32 v7, 1, v5
	v_cmp_eq_u32_e64 s[6:7], 1, v7
	s_waitcnt lgkmcnt(1)
	v_or_b32_e32 v5, v6, v5
	s_waitcnt lgkmcnt(0)
	v_cndmask_b32_e64 v2, v2, 0, s[6:7]
	v_add_u32_e32 v2, v2, v3
	v_and_b32_e32 v3, 1, v5
	ds_write2_b32 v4, v2, v3 offset0:130 offset1:131
.LBB95_67:
	s_or_b64 exec, exec, s[8:9]
	v_add_u32_e32 v7, 2, v1
	v_lshlrev_b32_e32 v2, 1, v7
	v_cmp_gt_u32_e64 s[6:7], 32, v0
	v_lshl_add_u32 v2, v2, 3, 4
	s_waitcnt lgkmcnt(0)
	s_barrier
	s_and_saveexec_b64 s[8:9], s[6:7]
	s_cbranch_execz .LBB95_69
; %bb.68:
	ds_read_u8 v3, v2 offset:508
	ds_read_u8 v9, v2 offset:492
	ds_read2_b32 v[5:6], v2 offset0:122 offset1:126
	s_waitcnt lgkmcnt(2)
	v_and_b32_e32 v10, 1, v3
	v_cmp_eq_u32_e64 s[6:7], 1, v10
	s_waitcnt lgkmcnt(1)
	v_or_b32_e32 v3, v9, v3
	s_waitcnt lgkmcnt(0)
	v_cndmask_b32_e64 v5, v5, 0, s[6:7]
	v_add_u32_e32 v5, v5, v6
	v_and_b32_e32 v3, 1, v3
	ds_write2_b32 v2, v5, v3 offset0:126 offset1:127
.LBB95_69:
	s_or_b64 exec, exec, s[8:9]
	v_lshlrev_b32_e32 v3, 2, v7
	v_cmp_gt_u32_e64 s[6:7], 16, v0
	v_lshl_add_u32 v3, v3, 3, 4
	s_waitcnt lgkmcnt(0)
	s_barrier
	s_and_saveexec_b64 s[8:9], s[6:7]
	s_cbranch_execz .LBB95_71
; %bb.70:
	ds_read_u8 v9, v3 offset:508
	ds_read_u8 v10, v3 offset:476
	ds_read2_b32 v[5:6], v3 offset0:118 offset1:126
	s_waitcnt lgkmcnt(2)
	v_and_b32_e32 v11, 1, v9
	v_cmp_eq_u32_e64 s[6:7], 1, v11
	s_waitcnt lgkmcnt(1)
	v_or_b32_e32 v9, v10, v9
	s_waitcnt lgkmcnt(0)
	v_cndmask_b32_e64 v5, v5, 0, s[6:7]
	v_add_u32_e32 v5, v5, v6
	v_and_b32_e32 v6, 1, v9
	ds_write2_b32 v3, v5, v6 offset0:126 offset1:127
.LBB95_71:
	s_or_b64 exec, exec, s[8:9]
	;; [unrolled: 23-line block ×5, first 2 shown]
	s_waitcnt lgkmcnt(0)
	s_barrier
	s_and_saveexec_b64 s[8:9], vcc
	s_cbranch_execz .LBB95_79
; %bb.78:
	v_mov_b32_e32 v9, 4
	ds_read_u8 v10, v9 offset:1532
	ds_read_b32 v11, v9 offset:1016
	ds_read_b32 v12, v9 offset:1528
	ds_read_u8 v9, v9 offset:1020
	s_add_i32 s10, 4, 0x5f8
	s_waitcnt lgkmcnt(3)
	v_and_b32_e32 v13, 1, v10
	v_cmp_eq_u32_e64 s[6:7], 1, v13
	s_waitcnt lgkmcnt(2)
	v_cndmask_b32_e64 v11, v11, 0, s[6:7]
	s_waitcnt lgkmcnt(0)
	v_or_b32_e32 v9, v9, v10
	v_add_u32_e32 v11, v11, v12
	v_and_b32_e32 v9, 1, v9
	v_mov_b32_e32 v10, s10
	ds_write2_b32 v10, v11, v9 offset1:1
.LBB95_79:
	s_or_b64 exec, exec, s[8:9]
	s_waitcnt lgkmcnt(0)
	s_barrier
	s_and_saveexec_b64 s[8:9], vcc
	s_cbranch_execz .LBB95_81
; %bb.80:
	ds_read_u8 v11, v7 offset:764
	ds_read_u8 v12, v7 offset:508
	ds_read2_b32 v[9:10], v7 offset0:126 offset1:190
	s_waitcnt lgkmcnt(2)
	v_and_b32_e32 v13, 1, v11
	v_cmp_eq_u32_e64 s[6:7], 1, v13
	s_waitcnt lgkmcnt(1)
	v_or_b32_e32 v11, v12, v11
	s_waitcnt lgkmcnt(0)
	v_cndmask_b32_e64 v9, v9, 0, s[6:7]
	v_add_u32_e32 v9, v9, v10
	v_and_b32_e32 v10, 1, v11
	ds_write2_b32 v7, v9, v10 offset0:190 offset1:191
.LBB95_81:
	s_or_b64 exec, exec, s[8:9]
	v_cmp_gt_u32_e64 s[6:7], 3, v0
	s_waitcnt lgkmcnt(0)
	s_barrier
	s_and_saveexec_b64 s[8:9], s[6:7]
	s_cbranch_execz .LBB95_83
; %bb.82:
	ds_read_u8 v7, v6 offset:636
	ds_read_u8 v11, v6 offset:508
	ds_read2_b32 v[9:10], v6 offset0:126 offset1:158
	s_waitcnt lgkmcnt(2)
	v_and_b32_e32 v12, 1, v7
	v_cmp_eq_u32_e64 s[6:7], 1, v12
	s_waitcnt lgkmcnt(1)
	v_or_b32_e32 v7, v11, v7
	s_waitcnt lgkmcnt(0)
	v_cndmask_b32_e64 v9, v9, 0, s[6:7]
	v_add_u32_e32 v9, v9, v10
	v_and_b32_e32 v7, 1, v7
	ds_write2_b32 v6, v9, v7 offset0:158 offset1:159
.LBB95_83:
	s_or_b64 exec, exec, s[8:9]
	v_cmp_gt_u32_e64 s[6:7], 7, v0
	s_waitcnt lgkmcnt(0)
	s_barrier
	s_and_saveexec_b64 s[8:9], s[6:7]
	;; [unrolled: 21-line block ×4, first 2 shown]
	s_cbranch_execz .LBB95_89
; %bb.88:
	ds_read_u8 v3, v2 offset:524
	ds_read_u8 v7, v2 offset:508
	ds_read2_b32 v[5:6], v2 offset0:126 offset1:130
	s_waitcnt lgkmcnt(2)
	v_and_b32_e32 v9, 1, v3
	v_cmp_eq_u32_e64 s[6:7], 1, v9
	s_waitcnt lgkmcnt(1)
	v_or_b32_e32 v3, v7, v3
	s_waitcnt lgkmcnt(0)
	v_cndmask_b32_e64 v5, v5, 0, s[6:7]
	v_add_u32_e32 v5, v5, v6
	v_and_b32_e32 v3, 1, v3
	ds_write2_b32 v2, v5, v3 offset0:130 offset1:131
.LBB95_89:
	s_or_b64 exec, exec, s[8:9]
	v_lshl_add_u32 v2, v1, 3, 4
	s_waitcnt lgkmcnt(0)
	s_barrier
	s_and_saveexec_b64 s[6:7], s[2:3]
	s_cbranch_execz .LBB95_91
; %bb.90:
	ds_read_u8 v3, v2 offset:532
	ds_read_b32 v5, v4 offset:520
	ds_read_b32 v6, v2 offset:528
	ds_read_u8 v7, v4 offset:524
	s_waitcnt lgkmcnt(3)
	v_and_b32_e32 v9, 1, v3
	v_cmp_eq_u32_e64 s[2:3], 1, v9
	s_waitcnt lgkmcnt(2)
	v_cndmask_b32_e64 v5, v5, 0, s[2:3]
	s_waitcnt lgkmcnt(0)
	v_or_b32_e32 v3, v7, v3
	v_add_u32_e32 v5, v5, v6
	v_and_b32_e32 v3, 1, v3
	ds_write2_b32 v2, v5, v3 offset0:132 offset1:133
.LBB95_91:
	s_or_b64 exec, exec, s[6:7]
	s_waitcnt lgkmcnt(0)
	s_barrier
	ds_read_b32 v2, v2 offset:512
	ds_read_b32 v4, v4 offset:520
	v_or_b32_e32 v3, 1, v1
	v_cmp_gt_u32_e64 s[2:3], s16, v1
	v_cmp_gt_u32_e64 s[6:7], s16, v3
	v_mbcnt_lo_u32_b32 v5, -1, 0
	s_waitcnt lgkmcnt(1)
	v_cndmask_b32_e64 v2, 0, v2, s[2:3]
	s_waitcnt lgkmcnt(0)
	v_cndmask_b32_e64 v4, 0, v4, s[6:7]
	v_mbcnt_hi_u32_b32 v11, -1, v5
	v_mov_b32_e32 v5, 0x80
	v_cndmask_b32_e64 v6, 0, v1, s[2:3]
	v_cndmask_b32_e64 v7, 0, v3, s[6:7]
	v_max_u32_e32 v9, v4, v2
	v_lshl_or_b32 v5, v11, 2, v5
	v_cmp_gt_u32_e64 s[8:9], v4, v2
	ds_bpermute_b32 v10, v5, v9
	v_cndmask_b32_e64 v2, v6, v7, s[8:9]
	ds_bpermute_b32 v4, v5, v2
	v_and_b32_e32 v12, 63, v11
	v_cmp_gt_u32_e64 s[8:9], 48, v12
	v_cndmask_b32_e64 v6, 0, 16, s[8:9]
	s_waitcnt lgkmcnt(1)
	v_max_u32_e32 v13, v10, v9
	v_add_lshl_u32 v6, v6, v11, 2
	v_cmp_gt_u32_e64 s[8:9], v10, v9
	ds_bpermute_b32 v14, v6, v13
	s_waitcnt lgkmcnt(1)
	v_cndmask_b32_e64 v2, v2, v4, s[8:9]
	ds_bpermute_b32 v4, v6, v2
	v_cmp_gt_u32_e64 s[8:9], 56, v12
	v_cndmask_b32_e64 v7, 0, 8, s[8:9]
	s_waitcnt lgkmcnt(1)
	v_max_u32_e32 v10, v14, v13
	v_add_lshl_u32 v7, v7, v11, 2
	v_cmp_gt_u32_e64 s[8:9], v14, v13
	ds_bpermute_b32 v15, v7, v10
	s_waitcnt lgkmcnt(1)
	v_cndmask_b32_e64 v2, v2, v4, s[8:9]
	ds_bpermute_b32 v4, v7, v2
	;; [unrolled: 10-line block ×4, first 2 shown]
	s_waitcnt lgkmcnt(0)
	s_barrier
	v_cmp_gt_u32_e64 s[8:9], v16, v15
	v_max_u32_e32 v2, v16, v15
	v_cndmask_b32_e64 v4, v4, v13, s[8:9]
	v_cmp_ne_u32_e64 s[8:9], 63, v12
	v_addc_co_u32_e64 v11, s[8:9], 0, v11, s[8:9]
	v_lshlrev_b32_e32 v11, 2, v11
	ds_bpermute_b32 v12, v11, v4
	ds_bpermute_b32 v13, v11, v2
	v_cmp_eq_u32_e64 s[8:9], 0, v8
	s_waitcnt lgkmcnt(0)
	s_barrier
	s_and_saveexec_b64 s[12:13], s[8:9]
	s_cbranch_execz .LBB95_93
; %bb.92:
	v_lshrrev_b32_e32 v14, 3, v0
	v_cmp_gt_u32_e64 s[10:11], v13, v2
	v_add_u32_e32 v14, 4, v14
	v_cndmask_b32_e64 v4, v4, v12, s[10:11]
	v_max_u32_e32 v2, v13, v2
	ds_write2_b32 v14, v2, v4 offset0:128 offset1:129
.LBB95_93:
	s_or_b64 exec, exec, s[12:13]
	s_lshr_b32 s10, s18, 6
	v_cmp_gt_u32_e64 s[10:11], s10, v0
	v_lshl_add_u32 v12, v8, 3, 4
	v_mov_b32_e32 v2, 0
	v_mov_b32_e32 v4, 0
	s_waitcnt lgkmcnt(0)
	s_barrier
	s_and_saveexec_b64 s[12:13], s[10:11]
	s_cbranch_execnz .LBB95_108
; %bb.94:
	s_or_b64 exec, exec, s[12:13]
	s_and_saveexec_b64 s[12:13], s[10:11]
	s_cbranch_execnz .LBB95_109
.LBB95_95:
	s_or_b64 exec, exec, s[12:13]
	s_and_saveexec_b64 s[18:19], s[0:1]
	s_cbranch_execnz .LBB95_110
.LBB95_96:
	s_or_b64 exec, exec, s[18:19]
	s_and_saveexec_b64 s[12:13], vcc
	s_cbranch_execz .LBB95_98
.LBB95_97:
	s_waitcnt lgkmcnt(0)
	v_lshl_add_u32 v2, v2, 2, 4
	ds_read_b32 v2, v2
	v_mov_b32_e32 v4, 0
	s_waitcnt lgkmcnt(0)
	ds_write_b32 v4, v2
.LBB95_98:
	s_or_b64 exec, exec, s[12:13]
	s_waitcnt lgkmcnt(0)
	v_mov_b32_e32 v2, 0
	v_cmp_gt_i64_e64 s[12:13], s[16:17], v[1:2]
	v_mov_b32_e32 v13, 0
	s_barrier
	s_and_saveexec_b64 s[18:19], s[12:13]
	s_cbranch_execz .LBB95_100
; %bb.99:
	v_add_u32_e32 v13, s21, v1
	v_mov_b32_e32 v14, 0
	v_lshlrev_b64 v[15:16], 2, v[13:14]
	v_mov_b32_e32 v4, s15
	v_add_co_u32_e64 v15, s[12:13], s14, v15
	v_addc_co_u32_e64 v16, s[12:13], v4, v16, s[12:13]
	global_load_dword v4, v[15:16], off
	ds_read_b32 v13, v14
	s_waitcnt vmcnt(0) lgkmcnt(0)
	v_cmp_eq_f32_e64 s[12:13], v4, v13
	v_cndmask_b32_e64 v13, 0, v1, s[12:13]
.LBB95_100:
	s_or_b64 exec, exec, s[18:19]
	v_mov_b32_e32 v4, v2
	v_cmp_gt_i64_e64 s[12:13], s[16:17], v[3:4]
	s_and_saveexec_b64 s[16:17], s[12:13]
	s_cbranch_execz .LBB95_102
; %bb.101:
	v_add_u32_e32 v1, s21, v3
	v_mov_b32_e32 v2, 0
	v_lshlrev_b64 v[14:15], 2, v[1:2]
	v_mov_b32_e32 v1, s15
	v_add_co_u32_e64 v14, s[12:13], s14, v14
	v_addc_co_u32_e64 v15, s[12:13], v1, v15, s[12:13]
	global_load_dword v1, v[14:15], off
	ds_read_b32 v2, v2
	s_waitcnt vmcnt(0) lgkmcnt(0)
	v_cmp_eq_f32_e64 s[12:13], v1, v2
	v_cndmask_b32_e64 v2, 0, v3, s[12:13]
.LBB95_102:
	s_or_b64 exec, exec, s[16:17]
	v_cndmask_b32_e64 v1, 0, v13, s[2:3]
	v_max_u32_e32 v2, v2, v1
	v_cndmask_b32_e64 v1, v1, v2, s[6:7]
	ds_bpermute_b32 v2, v5, v1
	s_waitcnt lgkmcnt(0)
	s_barrier
	v_max_u32_e32 v1, v2, v1
	ds_bpermute_b32 v2, v6, v1
	s_waitcnt lgkmcnt(0)
	v_max_u32_e32 v1, v2, v1
	ds_bpermute_b32 v2, v7, v1
	s_waitcnt lgkmcnt(0)
	;; [unrolled: 3-line block ×4, first 2 shown]
	v_max_u32_e32 v1, v2, v1
	ds_bpermute_b32 v2, v11, v1
	s_and_saveexec_b64 s[2:3], s[8:9]
	s_cbranch_execz .LBB95_104
; %bb.103:
	v_lshrrev_b32_e32 v0, 4, v0
	v_add_u32_e32 v0, 4, v0
	s_waitcnt lgkmcnt(0)
	v_max_u32_e32 v1, v2, v1
	ds_write_b32 v0, v1
.LBB95_104:
	s_or_b64 exec, exec, s[2:3]
	v_mov_b32_e32 v0, 0
	s_waitcnt lgkmcnt(0)
	s_barrier
	s_and_saveexec_b64 s[2:3], s[10:11]
	s_cbranch_execnz .LBB95_111
; %bb.105:
	s_or_b64 exec, exec, s[2:3]
	s_and_saveexec_b64 s[2:3], s[0:1]
	s_cbranch_execnz .LBB95_112
.LBB95_106:
	s_or_b64 exec, exec, s[2:3]
	s_and_saveexec_b64 s[0:1], vcc
	s_cbranch_execnz .LBB95_113
.LBB95_107:
	s_endpgm
.LBB95_108:
	ds_read_b32 v4, v12 offset:512
	s_or_b64 exec, exec, s[12:13]
	s_and_saveexec_b64 s[12:13], s[10:11]
	s_cbranch_execz .LBB95_95
.LBB95_109:
	ds_read_b32 v2, v12 offset:516
	s_or_b64 exec, exec, s[12:13]
	s_and_saveexec_b64 s[18:19], s[0:1]
	s_cbranch_execz .LBB95_96
.LBB95_110:
	s_waitcnt lgkmcnt(0)
	ds_bpermute_b32 v13, v5, v4
	ds_bpermute_b32 v14, v5, v2
	s_waitcnt lgkmcnt(1)
	v_max_u32_e32 v15, v13, v4
	v_cmp_gt_u32_e64 s[12:13], v13, v4
	ds_bpermute_b32 v16, v6, v15
	s_waitcnt lgkmcnt(1)
	v_cndmask_b32_e64 v2, v2, v14, s[12:13]
	ds_bpermute_b32 v4, v6, v2
	s_waitcnt lgkmcnt(1)
	v_max_u32_e32 v13, v16, v15
	v_cmp_gt_u32_e64 s[12:13], v16, v15
	ds_bpermute_b32 v14, v7, v13
	s_waitcnt lgkmcnt(1)
	v_cndmask_b32_e64 v2, v2, v4, s[12:13]
	;; [unrolled: 7-line block ×4, first 2 shown]
	ds_bpermute_b32 v4, v10, v2
	s_waitcnt lgkmcnt(1)
	v_max_u32_e32 v15, v14, v13
	v_cmp_gt_u32_e64 s[12:13], v14, v13
	s_waitcnt lgkmcnt(0)
	v_cndmask_b32_e64 v2, v2, v4, s[12:13]
	ds_bpermute_b32 v4, v11, v15
	ds_bpermute_b32 v13, v11, v2
	s_waitcnt lgkmcnt(1)
	v_cmp_gt_u32_e64 s[12:13], v4, v15
	s_waitcnt lgkmcnt(0)
	v_cndmask_b32_e64 v2, v2, v13, s[12:13]
	s_or_b64 exec, exec, s[18:19]
	s_and_saveexec_b64 s[12:13], vcc
	s_cbranch_execnz .LBB95_97
	s_branch .LBB95_98
.LBB95_111:
	v_lshlrev_b32_e32 v0, 2, v8
	v_sub_u32_e32 v0, v12, v0
	ds_read_b32 v0, v0
	s_or_b64 exec, exec, s[2:3]
	s_and_saveexec_b64 s[2:3], s[0:1]
	s_cbranch_execz .LBB95_106
.LBB95_112:
	s_waitcnt lgkmcnt(0)
	ds_bpermute_b32 v1, v5, v0
	s_waitcnt lgkmcnt(0)
	v_max_u32_e32 v0, v1, v0
	ds_bpermute_b32 v1, v6, v0
	s_waitcnt lgkmcnt(0)
	v_max_u32_e32 v0, v1, v0
	;; [unrolled: 3-line block ×6, first 2 shown]
	s_or_b64 exec, exec, s[2:3]
	s_and_saveexec_b64 s[0:1], vcc
	s_cbranch_execz .LBB95_107
.LBB95_113:
	s_load_dword s6, s[4:5], 0xd8
	s_load_dwordx2 s[0:1], s[4:5], 0xe0
	s_add_u32 s2, s4, 8
	s_addc_u32 s3, s5, 0
	s_mov_b32 s5, 0
	s_waitcnt lgkmcnt(0)
	s_cmp_lt_i32 s6, 2
	s_cbranch_scc1 .LBB95_116
; %bb.114:
	s_add_i32 s4, s6, -1
	s_add_i32 s8, s6, 1
	s_lshl_b64 s[6:7], s[4:5], 2
	s_add_u32 s4, s2, s6
	s_addc_u32 s7, s3, s7
	s_add_u32 s6, s4, 8
	s_addc_u32 s7, s7, 0
.LBB95_115:                             ; =>This Inner Loop Header: Depth=1
	s_load_dword s4, s[6:7], 0x0
	s_load_dword s10, s[6:7], 0x64
	s_mov_b32 s9, s20
	s_waitcnt lgkmcnt(0)
	v_cvt_f32_u32_e32 v1, s4
	s_sub_i32 s11, 0, s4
	v_rcp_iflag_f32_e32 v1, v1
	v_mul_f32_e32 v1, 0x4f7ffffe, v1
	v_cvt_u32_f32_e32 v1, v1
	v_readfirstlane_b32 s12, v1
	s_mul_i32 s11, s11, s12
	s_mul_hi_u32 s11, s12, s11
	s_add_i32 s12, s12, s11
	s_mul_hi_u32 s11, s20, s12
	s_mul_i32 s12, s11, s4
	s_sub_i32 s12, s20, s12
	s_add_i32 s13, s11, 1
	s_sub_i32 s14, s12, s4
	s_cmp_ge_u32 s12, s4
	s_cselect_b32 s11, s13, s11
	s_cselect_b32 s12, s14, s12
	s_add_i32 s13, s11, 1
	s_cmp_ge_u32 s12, s4
	s_cselect_b32 s20, s13, s11
	s_mul_i32 s4, s20, s4
	s_sub_i32 s4, s9, s4
	s_mul_i32 s4, s10, s4
	s_add_i32 s8, s8, -1
	s_add_i32 s5, s4, s5
	s_add_u32 s6, s6, -4
	s_addc_u32 s7, s7, -1
	s_cmp_gt_u32 s8, 2
	s_cbranch_scc1 .LBB95_115
.LBB95_116:
	s_load_dword s4, s[2:3], 0x6c
	v_mov_b32_e32 v1, 0
	s_load_dwordx2 s[2:3], s[2:3], 0x0
	ds_read_b32 v2, v1
	s_mov_b32 s7, 0
	s_waitcnt lgkmcnt(0)
	s_mul_i32 s4, s4, s20
	s_add_i32 s6, s4, s5
	s_lshl_b64 s[4:5], s[6:7], 2
	s_add_u32 s2, s2, s4
	s_addc_u32 s3, s3, s5
	global_store_dword v1, v2, s[2:3]
	s_lshl_b64 s[2:3], s[6:7], 3
	s_add_u32 s0, s0, s2
	s_addc_u32 s1, s1, s3
	global_store_dwordx2 v1, v[0:1], s[0:1]
	s_endpgm
	.section	.rodata,"a",@progbits
	.p2align	6, 0x0
	.amdhsa_kernel _ZN2at6native12compute_modeIfLj128EEEvPKT_NS_4cuda6detail10TensorInfoIS2_jEENS7_IljEEll
		.amdhsa_group_segment_fixed_size 4
		.amdhsa_private_segment_fixed_size 0
		.amdhsa_kernarg_size 712
		.amdhsa_user_sgpr_count 6
		.amdhsa_user_sgpr_private_segment_buffer 1
		.amdhsa_user_sgpr_dispatch_ptr 0
		.amdhsa_user_sgpr_queue_ptr 0
		.amdhsa_user_sgpr_kernarg_segment_ptr 1
		.amdhsa_user_sgpr_dispatch_id 0
		.amdhsa_user_sgpr_flat_scratch_init 0
		.amdhsa_user_sgpr_private_segment_size 0
		.amdhsa_uses_dynamic_stack 0
		.amdhsa_system_sgpr_private_segment_wavefront_offset 0
		.amdhsa_system_sgpr_workgroup_id_x 1
		.amdhsa_system_sgpr_workgroup_id_y 1
		.amdhsa_system_sgpr_workgroup_id_z 1
		.amdhsa_system_sgpr_workgroup_info 0
		.amdhsa_system_vgpr_workitem_id 0
		.amdhsa_next_free_vgpr 30
		.amdhsa_next_free_sgpr 22
		.amdhsa_reserve_vcc 1
		.amdhsa_reserve_flat_scratch 0
		.amdhsa_float_round_mode_32 0
		.amdhsa_float_round_mode_16_64 0
		.amdhsa_float_denorm_mode_32 3
		.amdhsa_float_denorm_mode_16_64 3
		.amdhsa_dx10_clamp 1
		.amdhsa_ieee_mode 1
		.amdhsa_fp16_overflow 0
		.amdhsa_exception_fp_ieee_invalid_op 0
		.amdhsa_exception_fp_denorm_src 0
		.amdhsa_exception_fp_ieee_div_zero 0
		.amdhsa_exception_fp_ieee_overflow 0
		.amdhsa_exception_fp_ieee_underflow 0
		.amdhsa_exception_fp_ieee_inexact 0
		.amdhsa_exception_int_div_zero 0
	.end_amdhsa_kernel
	.section	.text._ZN2at6native12compute_modeIfLj128EEEvPKT_NS_4cuda6detail10TensorInfoIS2_jEENS7_IljEEll,"axG",@progbits,_ZN2at6native12compute_modeIfLj128EEEvPKT_NS_4cuda6detail10TensorInfoIS2_jEENS7_IljEEll,comdat
.Lfunc_end95:
	.size	_ZN2at6native12compute_modeIfLj128EEEvPKT_NS_4cuda6detail10TensorInfoIS2_jEENS7_IljEEll, .Lfunc_end95-_ZN2at6native12compute_modeIfLj128EEEvPKT_NS_4cuda6detail10TensorInfoIS2_jEENS7_IljEEll
                                        ; -- End function
	.set _ZN2at6native12compute_modeIfLj128EEEvPKT_NS_4cuda6detail10TensorInfoIS2_jEENS7_IljEEll.num_vgpr, 30
	.set _ZN2at6native12compute_modeIfLj128EEEvPKT_NS_4cuda6detail10TensorInfoIS2_jEENS7_IljEEll.num_agpr, 0
	.set _ZN2at6native12compute_modeIfLj128EEEvPKT_NS_4cuda6detail10TensorInfoIS2_jEENS7_IljEEll.numbered_sgpr, 22
	.set _ZN2at6native12compute_modeIfLj128EEEvPKT_NS_4cuda6detail10TensorInfoIS2_jEENS7_IljEEll.num_named_barrier, 0
	.set _ZN2at6native12compute_modeIfLj128EEEvPKT_NS_4cuda6detail10TensorInfoIS2_jEENS7_IljEEll.private_seg_size, 0
	.set _ZN2at6native12compute_modeIfLj128EEEvPKT_NS_4cuda6detail10TensorInfoIS2_jEENS7_IljEEll.uses_vcc, 1
	.set _ZN2at6native12compute_modeIfLj128EEEvPKT_NS_4cuda6detail10TensorInfoIS2_jEENS7_IljEEll.uses_flat_scratch, 0
	.set _ZN2at6native12compute_modeIfLj128EEEvPKT_NS_4cuda6detail10TensorInfoIS2_jEENS7_IljEEll.has_dyn_sized_stack, 0
	.set _ZN2at6native12compute_modeIfLj128EEEvPKT_NS_4cuda6detail10TensorInfoIS2_jEENS7_IljEEll.has_recursion, 0
	.set _ZN2at6native12compute_modeIfLj128EEEvPKT_NS_4cuda6detail10TensorInfoIS2_jEENS7_IljEEll.has_indirect_call, 0
	.section	.AMDGPU.csdata,"",@progbits
; Kernel info:
; codeLenInByte = 8204
; TotalNumSgprs: 26
; NumVgprs: 30
; ScratchSize: 0
; MemoryBound: 0
; FloatMode: 240
; IeeeMode: 1
; LDSByteSize: 4 bytes/workgroup (compile time only)
; SGPRBlocks: 3
; VGPRBlocks: 7
; NumSGPRsForWavesPerEU: 26
; NumVGPRsForWavesPerEU: 30
; Occupancy: 8
; WaveLimiterHint : 1
; COMPUTE_PGM_RSRC2:SCRATCH_EN: 0
; COMPUTE_PGM_RSRC2:USER_SGPR: 6
; COMPUTE_PGM_RSRC2:TRAP_HANDLER: 0
; COMPUTE_PGM_RSRC2:TGID_X_EN: 1
; COMPUTE_PGM_RSRC2:TGID_Y_EN: 1
; COMPUTE_PGM_RSRC2:TGID_Z_EN: 1
; COMPUTE_PGM_RSRC2:TIDIG_COMP_CNT: 0
	.section	.text._ZN2at6native12compute_modeIbLj2048EEEvPKT_NS_4cuda6detail10TensorInfoIS2_jEENS7_IljEEll,"axG",@progbits,_ZN2at6native12compute_modeIbLj2048EEEvPKT_NS_4cuda6detail10TensorInfoIS2_jEENS7_IljEEll,comdat
	.protected	_ZN2at6native12compute_modeIbLj2048EEEvPKT_NS_4cuda6detail10TensorInfoIS2_jEENS7_IljEEll ; -- Begin function _ZN2at6native12compute_modeIbLj2048EEEvPKT_NS_4cuda6detail10TensorInfoIS2_jEENS7_IljEEll
	.globl	_ZN2at6native12compute_modeIbLj2048EEEvPKT_NS_4cuda6detail10TensorInfoIS2_jEENS7_IljEEll
	.p2align	8
	.type	_ZN2at6native12compute_modeIbLj2048EEEvPKT_NS_4cuda6detail10TensorInfoIS2_jEENS7_IljEEll,@function
_ZN2at6native12compute_modeIbLj2048EEEvPKT_NS_4cuda6detail10TensorInfoIS2_jEENS7_IljEEll: ; @_ZN2at6native12compute_modeIbLj2048EEEvPKT_NS_4cuda6detail10TensorInfoIS2_jEENS7_IljEEll
; %bb.0:
	s_load_dwordx2 s[2:3], s[4:5], 0x1c8
	s_load_dwordx4 s[16:19], s[4:5], 0x1b8
	s_add_u32 s0, s4, 0x1c8
	s_addc_u32 s1, s5, 0
	v_mov_b32_e32 v2, 0
	s_waitcnt lgkmcnt(0)
	s_mul_i32 s3, s3, s8
	s_add_i32 s3, s3, s7
	s_mul_i32 s2, s3, s2
	s_add_i32 s20, s2, s6
	v_mov_b32_e32 v1, s20
	v_cmp_le_i64_e32 vcc, s[18:19], v[1:2]
	s_cbranch_vccnz .LBB96_197
; %bb.1:
	s_load_dwordx2 s[14:15], s[4:5], 0x0
	s_load_dword s6, s[0:1], 0xc
	v_mov_b32_e32 v1, v2
	v_cmp_gt_i64_e32 vcc, s[16:17], v[0:1]
	s_mul_i32 s21, s20, s16
	v_add_u32_e32 v3, 1, v0
	s_and_saveexec_b64 s[2:3], vcc
	s_cbranch_execz .LBB96_3
; %bb.2:
	v_add_u32_e32 v1, s21, v0
	s_waitcnt lgkmcnt(0)
	global_load_ubyte v1, v1, s[14:15]
	s_waitcnt vmcnt(0)
	v_cmp_ne_u16_e64 s[0:1], 0, v1
	v_cndmask_b32_e64 v1, 0, 1, s[0:1]
	ds_write_b8 v3, v1
.LBB96_3:
	s_or_b64 exec, exec, s[2:3]
	s_waitcnt lgkmcnt(0)
	s_and_b32 s18, 0xffff, s6
	v_add_u32_e32 v1, s18, v0
	v_cmp_gt_i64_e64 s[0:1], s[16:17], v[1:2]
	s_and_saveexec_b64 s[6:7], s[0:1]
	s_cbranch_execz .LBB96_5
; %bb.4:
	v_add_u32_e32 v2, s21, v1
	global_load_ubyte v2, v2, s[14:15]
	v_add_u32_e32 v1, 1, v1
	s_waitcnt vmcnt(0)
	v_cmp_ne_u16_e64 s[2:3], 0, v2
	v_cndmask_b32_e64 v2, 0, 1, s[2:3]
	ds_write_b8 v1, v2
.LBB96_5:
	s_or_b64 exec, exec, s[6:7]
	v_cndmask_b32_e64 v1, 0, 1, vcc
	ds_write_b8 v3, v1 offset:2048
	v_add_u32_e32 v1, s18, v3
	v_cndmask_b32_e64 v2, 0, 1, s[0:1]
	ds_write_b8 v1, v2 offset:2048
	v_add_u32_e32 v2, v3, v0
	s_waitcnt lgkmcnt(0)
	s_barrier
	s_barrier
	ds_read_u8 v1, v2
	ds_read_u8 v6, v2 offset:1
	ds_read_u8 v5, v2 offset:2048
	ds_read_u8 v7, v2 offset:2049
	v_and_b32_e32 v4, 1, v0
	s_waitcnt lgkmcnt(2)
	v_cmp_lt_u16_e32 vcc, v1, v6
	s_waitcnt lgkmcnt(1)
	v_and_b32_e32 v8, 1, v5
	v_cmp_eq_u32_e64 s[0:1], 1, v8
	s_waitcnt lgkmcnt(0)
	v_cmp_ne_u16_e64 s[2:3], v7, v4
	v_cndmask_b32_e64 v8, 0, 1, s[2:3]
	s_and_b64 vcc, vcc, s[0:1]
	v_cndmask_b32_e32 v8, v8, v0, vcc
	v_and_b32_e32 v8, 1, v8
	v_cmp_eq_u32_e32 vcc, 1, v8
	s_and_saveexec_b64 s[0:1], vcc
	s_cbranch_execz .LBB96_7
; %bb.6:
	ds_write_b8 v2, v6
	ds_write_b8 v2, v1 offset:1
	ds_write_b8 v2, v7 offset:2048
	;; [unrolled: 1-line block ×3, first 2 shown]
.LBB96_7:
	s_or_b64 exec, exec, s[0:1]
	v_lshlrev_b32_e32 v1, 1, v0
	v_sub_u32_e32 v4, v1, v4
	v_add_u32_e32 v4, 1, v4
	s_waitcnt lgkmcnt(0)
	s_barrier
	ds_read_u8 v6, v4
	ds_read_u8 v8, v4 offset:2
	ds_read_u8 v7, v4 offset:2048
	;; [unrolled: 1-line block ×3, first 2 shown]
	v_bfe_u32 v10, v0, 1, 1
	v_and_b32_e32 v5, 2, v0
	s_waitcnt lgkmcnt(2)
	v_cmp_lt_u16_e64 s[0:1], v6, v8
	s_waitcnt lgkmcnt(1)
	v_and_b32_e32 v11, 1, v7
	v_cmp_eq_u32_e64 s[2:3], 1, v11
	s_waitcnt lgkmcnt(0)
	v_cmp_ne_u16_e64 s[6:7], v9, v10
	v_cndmask_b32_e64 v11, 0, 1, s[6:7]
	s_and_b64 s[0:1], s[0:1], s[2:3]
	v_cndmask_b32_e64 v10, v11, v10, s[0:1]
	v_and_b32_e32 v10, 1, v10
	v_cmp_ne_u32_e32 vcc, 0, v5
	v_cmp_eq_u32_e64 s[0:1], 1, v10
	s_and_saveexec_b64 s[2:3], s[0:1]
	s_xor_b64 s[0:1], exec, s[2:3]
	s_cbranch_execz .LBB96_9
; %bb.8:
	ds_write_b8 v4, v8
	ds_write_b8 v4, v6 offset:2
	ds_write_b8 v4, v9 offset:2048
	;; [unrolled: 1-line block ×3, first 2 shown]
.LBB96_9:
	s_or_b64 exec, exec, s[0:1]
	s_waitcnt lgkmcnt(0)
	s_barrier
	ds_read_u8 v6, v2
	ds_read_u8 v8, v2 offset:1
	ds_read_u8 v7, v2 offset:2048
	;; [unrolled: 1-line block ×3, first 2 shown]
	v_lshrrev_b32_e32 v5, 1, v5
	s_waitcnt lgkmcnt(2)
	v_cmp_lt_u16_e64 s[0:1], v6, v8
	s_waitcnt lgkmcnt(1)
	v_and_b32_e32 v10, 1, v7
	v_cmp_eq_u32_e64 s[2:3], 1, v10
	s_waitcnt lgkmcnt(0)
	v_cmp_ne_u16_e64 s[6:7], v9, v5
	v_cndmask_b32_e64 v5, 0, 1, s[6:7]
	v_cndmask_b32_e64 v10, 0, 1, vcc
	s_and_b64 vcc, s[0:1], s[2:3]
	v_cndmask_b32_e32 v5, v5, v10, vcc
	v_and_b32_e32 v5, 1, v5
	v_cmp_eq_u32_e32 vcc, 1, v5
	s_and_saveexec_b64 s[0:1], vcc
	s_cbranch_execz .LBB96_11
; %bb.10:
	ds_write_b8 v2, v8
	ds_write_b8 v2, v6 offset:1
	ds_write_b8 v2, v9 offset:2048
	;; [unrolled: 1-line block ×3, first 2 shown]
.LBB96_11:
	s_or_b64 exec, exec, s[0:1]
	v_and_b32_e32 v6, 3, v0
	v_sub_u32_e32 v6, v1, v6
	v_add_u32_e32 v6, 1, v6
	s_waitcnt lgkmcnt(0)
	s_barrier
	ds_read_u8 v7, v6
	ds_read_u8 v9, v6 offset:4
	ds_read_u8 v8, v6 offset:2048
	;; [unrolled: 1-line block ×3, first 2 shown]
	v_bfe_u32 v11, v0, 2, 1
	v_and_b32_e32 v5, 4, v0
	s_waitcnt lgkmcnt(2)
	v_cmp_lt_u16_e64 s[0:1], v7, v9
	s_waitcnt lgkmcnt(1)
	v_and_b32_e32 v12, 1, v8
	v_cmp_eq_u32_e64 s[2:3], 1, v12
	s_waitcnt lgkmcnt(0)
	v_cmp_ne_u16_e64 s[6:7], v10, v11
	v_cndmask_b32_e64 v12, 0, 1, s[6:7]
	s_and_b64 s[0:1], s[0:1], s[2:3]
	v_cndmask_b32_e64 v11, v12, v11, s[0:1]
	v_and_b32_e32 v11, 1, v11
	v_cmp_ne_u32_e32 vcc, 0, v5
	v_cmp_eq_u32_e64 s[0:1], 1, v11
	s_and_saveexec_b64 s[2:3], s[0:1]
	s_cbranch_execz .LBB96_13
; %bb.12:
	ds_write_b8 v6, v9
	ds_write_b8 v6, v7 offset:4
	ds_write_b8 v6, v10 offset:2048
	;; [unrolled: 1-line block ×3, first 2 shown]
.LBB96_13:
	s_or_b64 exec, exec, s[2:3]
	s_waitcnt lgkmcnt(0)
	s_barrier
	ds_read_u8 v8, v4
	ds_read_u8 v10, v4 offset:2
	ds_read_u8 v9, v4 offset:2048
	;; [unrolled: 1-line block ×3, first 2 shown]
	v_lshrrev_b32_e32 v5, 2, v5
	s_waitcnt lgkmcnt(2)
	v_cmp_lt_u16_e64 s[0:1], v8, v10
	s_waitcnt lgkmcnt(1)
	v_and_b32_e32 v7, 1, v9
	v_cmp_eq_u32_e64 s[2:3], 1, v7
	s_waitcnt lgkmcnt(0)
	v_cmp_ne_u16_e64 s[6:7], v11, v5
	v_cndmask_b32_e64 v12, 0, 1, s[6:7]
	v_cndmask_b32_e64 v7, 0, 1, vcc
	s_and_b64 vcc, s[0:1], s[2:3]
	v_cndmask_b32_e32 v12, v12, v7, vcc
	v_and_b32_e32 v12, 1, v12
	v_cmp_eq_u32_e32 vcc, 1, v12
	s_and_saveexec_b64 s[0:1], vcc
	s_cbranch_execz .LBB96_15
; %bb.14:
	ds_write_b8 v4, v10
	ds_write_b8 v4, v8 offset:2
	ds_write_b8 v4, v11 offset:2048
	ds_write_b8 v4, v9 offset:2050
.LBB96_15:
	s_or_b64 exec, exec, s[0:1]
	s_waitcnt lgkmcnt(0)
	s_barrier
	ds_read_u8 v8, v2
	ds_read_u8 v10, v2 offset:1
	ds_read_u8 v9, v2 offset:2048
	;; [unrolled: 1-line block ×3, first 2 shown]
	s_waitcnt lgkmcnt(2)
	v_cmp_lt_u16_e32 vcc, v8, v10
	s_waitcnt lgkmcnt(1)
	v_and_b32_e32 v12, 1, v9
	v_cmp_eq_u32_e64 s[0:1], 1, v12
	s_waitcnt lgkmcnt(0)
	v_cmp_ne_u16_e64 s[2:3], v11, v5
	v_cndmask_b32_e64 v5, 0, 1, s[2:3]
	s_and_b64 vcc, vcc, s[0:1]
	v_cndmask_b32_e32 v5, v5, v7, vcc
	v_and_b32_e32 v5, 1, v5
	v_cmp_eq_u32_e32 vcc, 1, v5
	s_and_saveexec_b64 s[0:1], vcc
	s_cbranch_execz .LBB96_17
; %bb.16:
	ds_write_b8 v2, v10
	ds_write_b8 v2, v8 offset:1
	ds_write_b8 v2, v11 offset:2048
	;; [unrolled: 1-line block ×3, first 2 shown]
.LBB96_17:
	s_or_b64 exec, exec, s[0:1]
	v_and_b32_e32 v7, 7, v0
	v_sub_u32_e32 v7, v1, v7
	v_add_u32_e32 v7, 1, v7
	s_waitcnt lgkmcnt(0)
	s_barrier
	ds_read_u8 v8, v7
	ds_read_u8 v10, v7 offset:8
	ds_read_u8 v9, v7 offset:2048
	;; [unrolled: 1-line block ×3, first 2 shown]
	v_bfe_u32 v12, v0, 3, 1
	v_and_b32_e32 v5, 8, v0
	s_waitcnt lgkmcnt(2)
	v_cmp_lt_u16_e64 s[0:1], v8, v10
	s_waitcnt lgkmcnt(1)
	v_and_b32_e32 v13, 1, v9
	v_cmp_eq_u32_e64 s[2:3], 1, v13
	s_waitcnt lgkmcnt(0)
	v_cmp_ne_u16_e64 s[6:7], v11, v12
	v_cndmask_b32_e64 v13, 0, 1, s[6:7]
	s_and_b64 s[0:1], s[0:1], s[2:3]
	v_cndmask_b32_e64 v12, v13, v12, s[0:1]
	v_and_b32_e32 v12, 1, v12
	v_cmp_ne_u32_e32 vcc, 0, v5
	v_cmp_eq_u32_e64 s[0:1], 1, v12
	s_and_saveexec_b64 s[2:3], s[0:1]
	s_cbranch_execz .LBB96_19
; %bb.18:
	ds_write_b8 v7, v10
	ds_write_b8 v7, v8 offset:8
	ds_write_b8 v7, v11 offset:2048
	;; [unrolled: 1-line block ×3, first 2 shown]
.LBB96_19:
	s_or_b64 exec, exec, s[2:3]
	s_waitcnt lgkmcnt(0)
	s_barrier
	ds_read_u8 v9, v6
	ds_read_u8 v11, v6 offset:4
	ds_read_u8 v10, v6 offset:2048
	;; [unrolled: 1-line block ×3, first 2 shown]
	v_lshrrev_b32_e32 v5, 3, v5
	s_waitcnt lgkmcnt(2)
	v_cmp_lt_u16_e64 s[0:1], v9, v11
	s_waitcnt lgkmcnt(1)
	v_and_b32_e32 v8, 1, v10
	v_cmp_eq_u32_e64 s[2:3], 1, v8
	s_waitcnt lgkmcnt(0)
	v_cmp_ne_u16_e64 s[6:7], v12, v5
	v_cndmask_b32_e64 v13, 0, 1, s[6:7]
	v_cndmask_b32_e64 v8, 0, 1, vcc
	s_and_b64 vcc, s[0:1], s[2:3]
	v_cndmask_b32_e32 v13, v13, v8, vcc
	v_and_b32_e32 v13, 1, v13
	v_cmp_eq_u32_e32 vcc, 1, v13
	s_and_saveexec_b64 s[0:1], vcc
	s_cbranch_execz .LBB96_21
; %bb.20:
	ds_write_b8 v6, v11
	ds_write_b8 v6, v9 offset:4
	ds_write_b8 v6, v12 offset:2048
	ds_write_b8 v6, v10 offset:2052
.LBB96_21:
	s_or_b64 exec, exec, s[0:1]
	s_waitcnt lgkmcnt(0)
	s_barrier
	ds_read_u8 v9, v4
	ds_read_u8 v11, v4 offset:2
	ds_read_u8 v10, v4 offset:2048
	;; [unrolled: 1-line block ×3, first 2 shown]
	s_waitcnt lgkmcnt(2)
	v_cmp_lt_u16_e32 vcc, v9, v11
	s_waitcnt lgkmcnt(1)
	v_and_b32_e32 v13, 1, v10
	v_cmp_eq_u32_e64 s[0:1], 1, v13
	s_waitcnt lgkmcnt(0)
	v_cmp_ne_u16_e64 s[2:3], v12, v5
	v_cndmask_b32_e64 v13, 0, 1, s[2:3]
	s_and_b64 vcc, vcc, s[0:1]
	v_cndmask_b32_e32 v13, v13, v8, vcc
	v_and_b32_e32 v13, 1, v13
	v_cmp_eq_u32_e32 vcc, 1, v13
	s_and_saveexec_b64 s[0:1], vcc
	s_cbranch_execz .LBB96_23
; %bb.22:
	ds_write_b8 v4, v11
	ds_write_b8 v4, v9 offset:2
	ds_write_b8 v4, v12 offset:2048
	;; [unrolled: 1-line block ×3, first 2 shown]
.LBB96_23:
	s_or_b64 exec, exec, s[0:1]
	s_waitcnt lgkmcnt(0)
	s_barrier
	ds_read_u8 v9, v2
	ds_read_u8 v11, v2 offset:1
	ds_read_u8 v10, v2 offset:2048
	;; [unrolled: 1-line block ×3, first 2 shown]
	s_waitcnt lgkmcnt(2)
	v_cmp_lt_u16_e32 vcc, v9, v11
	s_waitcnt lgkmcnt(1)
	v_and_b32_e32 v13, 1, v10
	v_cmp_eq_u32_e64 s[0:1], 1, v13
	s_waitcnt lgkmcnt(0)
	v_cmp_ne_u16_e64 s[2:3], v12, v5
	v_cndmask_b32_e64 v5, 0, 1, s[2:3]
	s_and_b64 vcc, vcc, s[0:1]
	v_cndmask_b32_e32 v5, v5, v8, vcc
	v_and_b32_e32 v5, 1, v5
	v_cmp_eq_u32_e32 vcc, 1, v5
	s_and_saveexec_b64 s[0:1], vcc
	s_cbranch_execz .LBB96_25
; %bb.24:
	ds_write_b8 v2, v11
	ds_write_b8 v2, v9 offset:1
	ds_write_b8 v2, v12 offset:2048
	;; [unrolled: 1-line block ×3, first 2 shown]
.LBB96_25:
	s_or_b64 exec, exec, s[0:1]
	v_and_b32_e32 v8, 15, v0
	v_sub_u32_e32 v8, v1, v8
	v_add_u32_e32 v8, 1, v8
	s_waitcnt lgkmcnt(0)
	s_barrier
	ds_read_u8 v9, v8
	ds_read_u8 v11, v8 offset:16
	ds_read_u8 v10, v8 offset:2048
	ds_read_u8 v12, v8 offset:2064
	v_bfe_u32 v13, v0, 4, 1
	v_and_b32_e32 v5, 16, v0
	s_waitcnt lgkmcnt(2)
	v_cmp_lt_u16_e64 s[0:1], v9, v11
	s_waitcnt lgkmcnt(1)
	v_and_b32_e32 v14, 1, v10
	v_cmp_eq_u32_e64 s[2:3], 1, v14
	s_waitcnt lgkmcnt(0)
	v_cmp_ne_u16_e64 s[6:7], v12, v13
	v_cndmask_b32_e64 v14, 0, 1, s[6:7]
	s_and_b64 s[0:1], s[0:1], s[2:3]
	v_cndmask_b32_e64 v13, v14, v13, s[0:1]
	v_and_b32_e32 v13, 1, v13
	v_cmp_ne_u32_e32 vcc, 0, v5
	v_cmp_eq_u32_e64 s[0:1], 1, v13
	s_and_saveexec_b64 s[2:3], s[0:1]
	s_cbranch_execz .LBB96_27
; %bb.26:
	ds_write_b8 v8, v11
	ds_write_b8 v8, v9 offset:16
	ds_write_b8 v8, v12 offset:2048
	;; [unrolled: 1-line block ×3, first 2 shown]
.LBB96_27:
	s_or_b64 exec, exec, s[2:3]
	s_waitcnt lgkmcnt(0)
	s_barrier
	ds_read_u8 v10, v7
	ds_read_u8 v12, v7 offset:8
	ds_read_u8 v11, v7 offset:2048
	ds_read_u8 v13, v7 offset:2056
	v_lshrrev_b32_e32 v5, 4, v5
	s_waitcnt lgkmcnt(2)
	v_cmp_lt_u16_e64 s[0:1], v10, v12
	s_waitcnt lgkmcnt(1)
	v_and_b32_e32 v9, 1, v11
	v_cmp_eq_u32_e64 s[2:3], 1, v9
	s_waitcnt lgkmcnt(0)
	v_cmp_ne_u16_e64 s[6:7], v13, v5
	v_cndmask_b32_e64 v14, 0, 1, s[6:7]
	v_cndmask_b32_e64 v9, 0, 1, vcc
	s_and_b64 vcc, s[0:1], s[2:3]
	v_cndmask_b32_e32 v14, v14, v9, vcc
	v_and_b32_e32 v14, 1, v14
	v_cmp_eq_u32_e32 vcc, 1, v14
	s_and_saveexec_b64 s[0:1], vcc
	s_cbranch_execz .LBB96_29
; %bb.28:
	ds_write_b8 v7, v12
	ds_write_b8 v7, v10 offset:8
	ds_write_b8 v7, v13 offset:2048
	ds_write_b8 v7, v11 offset:2056
.LBB96_29:
	s_or_b64 exec, exec, s[0:1]
	s_waitcnt lgkmcnt(0)
	s_barrier
	ds_read_u8 v10, v6
	ds_read_u8 v12, v6 offset:4
	ds_read_u8 v11, v6 offset:2048
	ds_read_u8 v13, v6 offset:2052
	s_waitcnt lgkmcnt(2)
	v_cmp_lt_u16_e32 vcc, v10, v12
	s_waitcnt lgkmcnt(1)
	v_and_b32_e32 v14, 1, v11
	v_cmp_eq_u32_e64 s[0:1], 1, v14
	s_waitcnt lgkmcnt(0)
	v_cmp_ne_u16_e64 s[2:3], v13, v5
	v_cndmask_b32_e64 v14, 0, 1, s[2:3]
	s_and_b64 vcc, vcc, s[0:1]
	v_cndmask_b32_e32 v14, v14, v9, vcc
	v_and_b32_e32 v14, 1, v14
	v_cmp_eq_u32_e32 vcc, 1, v14
	s_and_saveexec_b64 s[0:1], vcc
	s_cbranch_execz .LBB96_31
; %bb.30:
	ds_write_b8 v6, v12
	ds_write_b8 v6, v10 offset:4
	ds_write_b8 v6, v13 offset:2048
	ds_write_b8 v6, v11 offset:2052
.LBB96_31:
	s_or_b64 exec, exec, s[0:1]
	s_waitcnt lgkmcnt(0)
	s_barrier
	ds_read_u8 v10, v4
	ds_read_u8 v12, v4 offset:2
	ds_read_u8 v11, v4 offset:2048
	ds_read_u8 v13, v4 offset:2050
	s_waitcnt lgkmcnt(2)
	v_cmp_lt_u16_e32 vcc, v10, v12
	s_waitcnt lgkmcnt(1)
	v_and_b32_e32 v14, 1, v11
	v_cmp_eq_u32_e64 s[0:1], 1, v14
	s_waitcnt lgkmcnt(0)
	v_cmp_ne_u16_e64 s[2:3], v13, v5
	v_cndmask_b32_e64 v14, 0, 1, s[2:3]
	s_and_b64 vcc, vcc, s[0:1]
	;; [unrolled: 27-line block ×3, first 2 shown]
	v_cndmask_b32_e32 v5, v5, v9, vcc
	v_and_b32_e32 v5, 1, v5
	v_cmp_eq_u32_e32 vcc, 1, v5
	s_and_saveexec_b64 s[0:1], vcc
	s_cbranch_execz .LBB96_35
; %bb.34:
	ds_write_b8 v2, v12
	ds_write_b8 v2, v10 offset:1
	ds_write_b8 v2, v13 offset:2048
	;; [unrolled: 1-line block ×3, first 2 shown]
.LBB96_35:
	s_or_b64 exec, exec, s[0:1]
	v_and_b32_e32 v9, 31, v0
	v_sub_u32_e32 v9, v1, v9
	v_add_u32_e32 v9, 1, v9
	s_waitcnt lgkmcnt(0)
	s_barrier
	ds_read_u8 v10, v9
	ds_read_u8 v12, v9 offset:32
	ds_read_u8 v11, v9 offset:2048
	;; [unrolled: 1-line block ×3, first 2 shown]
	v_bfe_u32 v14, v0, 5, 1
	v_and_b32_e32 v5, 32, v0
	s_waitcnt lgkmcnt(2)
	v_cmp_lt_u16_e64 s[0:1], v10, v12
	s_waitcnt lgkmcnt(1)
	v_and_b32_e32 v15, 1, v11
	v_cmp_eq_u32_e64 s[2:3], 1, v15
	s_waitcnt lgkmcnt(0)
	v_cmp_ne_u16_e64 s[6:7], v13, v14
	v_cndmask_b32_e64 v15, 0, 1, s[6:7]
	s_and_b64 s[0:1], s[0:1], s[2:3]
	v_cndmask_b32_e64 v14, v15, v14, s[0:1]
	v_and_b32_e32 v14, 1, v14
	v_cmp_ne_u32_e32 vcc, 0, v5
	v_cmp_eq_u32_e64 s[0:1], 1, v14
	s_and_saveexec_b64 s[2:3], s[0:1]
	s_cbranch_execz .LBB96_37
; %bb.36:
	ds_write_b8 v9, v12
	ds_write_b8 v9, v10 offset:32
	ds_write_b8 v9, v13 offset:2048
	;; [unrolled: 1-line block ×3, first 2 shown]
.LBB96_37:
	s_or_b64 exec, exec, s[2:3]
	s_waitcnt lgkmcnt(0)
	s_barrier
	ds_read_u8 v11, v8
	ds_read_u8 v13, v8 offset:16
	ds_read_u8 v12, v8 offset:2048
	;; [unrolled: 1-line block ×3, first 2 shown]
	v_lshrrev_b32_e32 v5, 5, v5
	s_waitcnt lgkmcnt(2)
	v_cmp_lt_u16_e64 s[0:1], v11, v13
	s_waitcnt lgkmcnt(1)
	v_and_b32_e32 v10, 1, v12
	v_cmp_eq_u32_e64 s[2:3], 1, v10
	s_waitcnt lgkmcnt(0)
	v_cmp_ne_u16_e64 s[6:7], v14, v5
	v_cndmask_b32_e64 v15, 0, 1, s[6:7]
	v_cndmask_b32_e64 v10, 0, 1, vcc
	s_and_b64 vcc, s[0:1], s[2:3]
	v_cndmask_b32_e32 v15, v15, v10, vcc
	v_and_b32_e32 v15, 1, v15
	v_cmp_eq_u32_e32 vcc, 1, v15
	s_and_saveexec_b64 s[0:1], vcc
	s_cbranch_execz .LBB96_39
; %bb.38:
	ds_write_b8 v8, v13
	ds_write_b8 v8, v11 offset:16
	ds_write_b8 v8, v14 offset:2048
	ds_write_b8 v8, v12 offset:2064
.LBB96_39:
	s_or_b64 exec, exec, s[0:1]
	s_waitcnt lgkmcnt(0)
	s_barrier
	ds_read_u8 v11, v7
	ds_read_u8 v13, v7 offset:8
	ds_read_u8 v12, v7 offset:2048
	ds_read_u8 v14, v7 offset:2056
	s_waitcnt lgkmcnt(2)
	v_cmp_lt_u16_e32 vcc, v11, v13
	s_waitcnt lgkmcnt(1)
	v_and_b32_e32 v15, 1, v12
	v_cmp_eq_u32_e64 s[0:1], 1, v15
	s_waitcnt lgkmcnt(0)
	v_cmp_ne_u16_e64 s[2:3], v14, v5
	v_cndmask_b32_e64 v15, 0, 1, s[2:3]
	s_and_b64 vcc, vcc, s[0:1]
	v_cndmask_b32_e32 v15, v15, v10, vcc
	v_and_b32_e32 v15, 1, v15
	v_cmp_eq_u32_e32 vcc, 1, v15
	s_and_saveexec_b64 s[0:1], vcc
	s_cbranch_execz .LBB96_41
; %bb.40:
	ds_write_b8 v7, v13
	ds_write_b8 v7, v11 offset:8
	ds_write_b8 v7, v14 offset:2048
	ds_write_b8 v7, v12 offset:2056
.LBB96_41:
	s_or_b64 exec, exec, s[0:1]
	s_waitcnt lgkmcnt(0)
	s_barrier
	ds_read_u8 v11, v6
	ds_read_u8 v13, v6 offset:4
	ds_read_u8 v12, v6 offset:2048
	ds_read_u8 v14, v6 offset:2052
	s_waitcnt lgkmcnt(2)
	v_cmp_lt_u16_e32 vcc, v11, v13
	s_waitcnt lgkmcnt(1)
	v_and_b32_e32 v15, 1, v12
	v_cmp_eq_u32_e64 s[0:1], 1, v15
	s_waitcnt lgkmcnt(0)
	v_cmp_ne_u16_e64 s[2:3], v14, v5
	v_cndmask_b32_e64 v15, 0, 1, s[2:3]
	s_and_b64 vcc, vcc, s[0:1]
	;; [unrolled: 27-line block ×4, first 2 shown]
	v_cndmask_b32_e32 v5, v5, v10, vcc
	v_and_b32_e32 v5, 1, v5
	v_cmp_eq_u32_e32 vcc, 1, v5
	s_and_saveexec_b64 s[0:1], vcc
	s_cbranch_execz .LBB96_47
; %bb.46:
	ds_write_b8 v2, v13
	ds_write_b8 v2, v11 offset:1
	ds_write_b8 v2, v14 offset:2048
	;; [unrolled: 1-line block ×3, first 2 shown]
.LBB96_47:
	s_or_b64 exec, exec, s[0:1]
	v_and_b32_e32 v5, 63, v0
	v_sub_u32_e32 v10, v1, v5
	v_add_u32_e32 v10, 1, v10
	s_waitcnt lgkmcnt(0)
	s_barrier
	ds_read_u8 v12, v10
	ds_read_u8 v14, v10 offset:64
	ds_read_u8 v13, v10 offset:2048
	;; [unrolled: 1-line block ×3, first 2 shown]
	v_bfe_u32 v16, v0, 6, 1
	v_and_b32_e32 v11, 64, v0
	s_waitcnt lgkmcnt(2)
	v_cmp_lt_u16_e64 s[0:1], v12, v14
	s_waitcnt lgkmcnt(1)
	v_and_b32_e32 v17, 1, v13
	v_cmp_eq_u32_e64 s[2:3], 1, v17
	s_waitcnt lgkmcnt(0)
	v_cmp_ne_u16_e64 s[6:7], v15, v16
	v_cndmask_b32_e64 v17, 0, 1, s[6:7]
	s_and_b64 s[0:1], s[0:1], s[2:3]
	v_cndmask_b32_e64 v16, v17, v16, s[0:1]
	v_and_b32_e32 v16, 1, v16
	v_cmp_ne_u32_e32 vcc, 0, v11
	v_cmp_eq_u32_e64 s[0:1], 1, v16
	s_and_saveexec_b64 s[2:3], s[0:1]
	s_cbranch_execz .LBB96_49
; %bb.48:
	ds_write_b8 v10, v14
	ds_write_b8 v10, v12 offset:64
	ds_write_b8 v10, v15 offset:2048
	;; [unrolled: 1-line block ×3, first 2 shown]
.LBB96_49:
	s_or_b64 exec, exec, s[2:3]
	s_waitcnt lgkmcnt(0)
	s_barrier
	ds_read_u8 v13, v9
	ds_read_u8 v15, v9 offset:32
	ds_read_u8 v14, v9 offset:2048
	;; [unrolled: 1-line block ×3, first 2 shown]
	v_lshrrev_b32_e32 v11, 6, v11
	s_waitcnt lgkmcnt(2)
	v_cmp_lt_u16_e64 s[0:1], v13, v15
	s_waitcnt lgkmcnt(1)
	v_and_b32_e32 v12, 1, v14
	v_cmp_eq_u32_e64 s[2:3], 1, v12
	s_waitcnt lgkmcnt(0)
	v_cmp_ne_u16_e64 s[6:7], v16, v11
	v_cndmask_b32_e64 v17, 0, 1, s[6:7]
	v_cndmask_b32_e64 v12, 0, 1, vcc
	s_and_b64 vcc, s[0:1], s[2:3]
	v_cndmask_b32_e32 v17, v17, v12, vcc
	v_and_b32_e32 v17, 1, v17
	v_cmp_eq_u32_e32 vcc, 1, v17
	s_and_saveexec_b64 s[0:1], vcc
	s_cbranch_execz .LBB96_51
; %bb.50:
	ds_write_b8 v9, v15
	ds_write_b8 v9, v13 offset:32
	ds_write_b8 v9, v16 offset:2048
	ds_write_b8 v9, v14 offset:2080
.LBB96_51:
	s_or_b64 exec, exec, s[0:1]
	s_waitcnt lgkmcnt(0)
	s_barrier
	ds_read_u8 v13, v8
	ds_read_u8 v15, v8 offset:16
	ds_read_u8 v14, v8 offset:2048
	ds_read_u8 v16, v8 offset:2064
	s_waitcnt lgkmcnt(2)
	v_cmp_lt_u16_e32 vcc, v13, v15
	s_waitcnt lgkmcnt(1)
	v_and_b32_e32 v17, 1, v14
	v_cmp_eq_u32_e64 s[0:1], 1, v17
	s_waitcnt lgkmcnt(0)
	v_cmp_ne_u16_e64 s[2:3], v16, v11
	v_cndmask_b32_e64 v17, 0, 1, s[2:3]
	s_and_b64 vcc, vcc, s[0:1]
	v_cndmask_b32_e32 v17, v17, v12, vcc
	v_and_b32_e32 v17, 1, v17
	v_cmp_eq_u32_e32 vcc, 1, v17
	s_and_saveexec_b64 s[0:1], vcc
	s_cbranch_execz .LBB96_53
; %bb.52:
	ds_write_b8 v8, v15
	ds_write_b8 v8, v13 offset:16
	ds_write_b8 v8, v16 offset:2048
	ds_write_b8 v8, v14 offset:2064
.LBB96_53:
	s_or_b64 exec, exec, s[0:1]
	s_waitcnt lgkmcnt(0)
	s_barrier
	ds_read_u8 v13, v7
	ds_read_u8 v15, v7 offset:8
	ds_read_u8 v14, v7 offset:2048
	ds_read_u8 v16, v7 offset:2056
	s_waitcnt lgkmcnt(2)
	v_cmp_lt_u16_e32 vcc, v13, v15
	s_waitcnt lgkmcnt(1)
	v_and_b32_e32 v17, 1, v14
	v_cmp_eq_u32_e64 s[0:1], 1, v17
	s_waitcnt lgkmcnt(0)
	v_cmp_ne_u16_e64 s[2:3], v16, v11
	v_cndmask_b32_e64 v17, 0, 1, s[2:3]
	s_and_b64 vcc, vcc, s[0:1]
	;; [unrolled: 27-line block ×5, first 2 shown]
	v_cndmask_b32_e32 v11, v11, v12, vcc
	v_and_b32_e32 v11, 1, v11
	v_cmp_eq_u32_e32 vcc, 1, v11
	s_and_saveexec_b64 s[0:1], vcc
	s_cbranch_execz .LBB96_61
; %bb.60:
	ds_write_b8 v2, v15
	ds_write_b8 v2, v13 offset:1
	ds_write_b8 v2, v16 offset:2048
	;; [unrolled: 1-line block ×3, first 2 shown]
.LBB96_61:
	s_or_b64 exec, exec, s[0:1]
	v_and_b32_e32 v11, 0x7f, v0
	v_sub_u32_e32 v11, v1, v11
	v_add_u32_e32 v11, 1, v11
	s_waitcnt lgkmcnt(0)
	s_barrier
	ds_read_u8 v13, v11
	ds_read_u8 v15, v11 offset:128
	ds_read_u8 v14, v11 offset:2048
	;; [unrolled: 1-line block ×3, first 2 shown]
	v_lshrrev_b32_e32 v17, 7, v0
	v_and_b32_e32 v12, 0x80, v0
	v_cmp_ne_u32_e32 vcc, 0, v12
	v_and_b32_e32 v12, 1, v17
	s_waitcnt lgkmcnt(1)
	v_and_b32_e32 v18, 1, v14
	v_cmp_lt_u16_e64 s[0:1], v13, v15
	v_cmp_eq_u32_e64 s[2:3], 1, v18
	s_waitcnt lgkmcnt(0)
	v_cmp_ne_u16_e64 s[6:7], v16, v12
	v_cndmask_b32_e64 v18, 0, 1, s[6:7]
	s_and_b64 s[0:1], s[0:1], s[2:3]
	v_cndmask_b32_e64 v17, v18, v17, s[0:1]
	v_and_b32_e32 v17, 1, v17
	v_cmp_eq_u32_e64 s[0:1], 1, v17
	s_and_saveexec_b64 s[2:3], s[0:1]
	s_cbranch_execz .LBB96_63
; %bb.62:
	ds_write_b8 v11, v15
	ds_write_b8 v11, v13 offset:128
	ds_write_b8 v11, v16 offset:2048
	;; [unrolled: 1-line block ×3, first 2 shown]
.LBB96_63:
	s_or_b64 exec, exec, s[2:3]
	s_waitcnt lgkmcnt(0)
	s_barrier
	ds_read_u8 v14, v10
	ds_read_u8 v16, v10 offset:64
	ds_read_u8 v15, v10 offset:2048
	;; [unrolled: 1-line block ×3, first 2 shown]
	s_waitcnt lgkmcnt(2)
	v_cmp_lt_u16_e64 s[0:1], v14, v16
	s_waitcnt lgkmcnt(1)
	v_and_b32_e32 v13, 1, v15
	v_cmp_eq_u32_e64 s[2:3], 1, v13
	s_waitcnt lgkmcnt(0)
	v_cmp_ne_u16_e64 s[6:7], v17, v12
	v_cndmask_b32_e64 v18, 0, 1, s[6:7]
	v_cndmask_b32_e64 v13, 0, 1, vcc
	s_and_b64 vcc, s[0:1], s[2:3]
	v_cndmask_b32_e32 v18, v18, v13, vcc
	v_and_b32_e32 v18, 1, v18
	v_cmp_eq_u32_e32 vcc, 1, v18
	s_and_saveexec_b64 s[0:1], vcc
	s_cbranch_execz .LBB96_65
; %bb.64:
	ds_write_b8 v10, v16
	ds_write_b8 v10, v14 offset:64
	ds_write_b8 v10, v17 offset:2048
	ds_write_b8 v10, v15 offset:2112
.LBB96_65:
	s_or_b64 exec, exec, s[0:1]
	s_waitcnt lgkmcnt(0)
	s_barrier
	ds_read_u8 v14, v9
	ds_read_u8 v16, v9 offset:32
	ds_read_u8 v15, v9 offset:2048
	ds_read_u8 v17, v9 offset:2080
	s_waitcnt lgkmcnt(2)
	v_cmp_lt_u16_e32 vcc, v14, v16
	s_waitcnt lgkmcnt(1)
	v_and_b32_e32 v18, 1, v15
	v_cmp_eq_u32_e64 s[0:1], 1, v18
	s_waitcnt lgkmcnt(0)
	v_cmp_ne_u16_e64 s[2:3], v17, v12
	v_cndmask_b32_e64 v18, 0, 1, s[2:3]
	s_and_b64 vcc, vcc, s[0:1]
	v_cndmask_b32_e32 v18, v18, v13, vcc
	v_and_b32_e32 v18, 1, v18
	v_cmp_eq_u32_e32 vcc, 1, v18
	s_and_saveexec_b64 s[0:1], vcc
	s_cbranch_execz .LBB96_67
; %bb.66:
	ds_write_b8 v9, v16
	ds_write_b8 v9, v14 offset:32
	ds_write_b8 v9, v17 offset:2048
	ds_write_b8 v9, v15 offset:2080
.LBB96_67:
	s_or_b64 exec, exec, s[0:1]
	s_waitcnt lgkmcnt(0)
	s_barrier
	ds_read_u8 v14, v8
	ds_read_u8 v16, v8 offset:16
	ds_read_u8 v15, v8 offset:2048
	ds_read_u8 v17, v8 offset:2064
	s_waitcnt lgkmcnt(2)
	v_cmp_lt_u16_e32 vcc, v14, v16
	s_waitcnt lgkmcnt(1)
	v_and_b32_e32 v18, 1, v15
	v_cmp_eq_u32_e64 s[0:1], 1, v18
	s_waitcnt lgkmcnt(0)
	v_cmp_ne_u16_e64 s[2:3], v17, v12
	v_cndmask_b32_e64 v18, 0, 1, s[2:3]
	s_and_b64 vcc, vcc, s[0:1]
	;; [unrolled: 27-line block ×6, first 2 shown]
	v_cndmask_b32_e32 v12, v12, v13, vcc
	v_and_b32_e32 v12, 1, v12
	v_cmp_eq_u32_e32 vcc, 1, v12
	s_and_saveexec_b64 s[0:1], vcc
	s_cbranch_execz .LBB96_77
; %bb.76:
	ds_write_b8 v2, v16
	ds_write_b8 v2, v14 offset:1
	ds_write_b8 v2, v17 offset:2048
	;; [unrolled: 1-line block ×3, first 2 shown]
.LBB96_77:
	s_or_b64 exec, exec, s[0:1]
	v_sub_u32_sdwa v12, v1, v0 dst_sel:DWORD dst_unused:UNUSED_PAD src0_sel:DWORD src1_sel:BYTE_0
	v_add_u32_e32 v12, 1, v12
	v_and_b32_e32 v17, 0x100, v0
	s_waitcnt lgkmcnt(0)
	s_barrier
	ds_read_u8 v14, v12
	ds_read_u8 v16, v12 offset:256
	ds_read_u8 v15, v12 offset:2048
	v_cmp_ne_u32_e32 vcc, 0, v17
	ds_read_u8 v17, v12 offset:2304
	v_bfe_u32 v18, v0, 8, 1
	s_waitcnt lgkmcnt(2)
	v_cmp_lt_u16_e64 s[0:1], v14, v16
	s_waitcnt lgkmcnt(1)
	v_and_b32_e32 v19, 1, v15
	v_cmp_eq_u32_e64 s[2:3], 1, v19
	s_waitcnt lgkmcnt(0)
	v_cmp_ne_u16_e64 s[6:7], v17, v18
	v_cndmask_b32_e64 v19, 0, 1, s[6:7]
	s_and_b64 s[0:1], s[0:1], s[2:3]
	v_cndmask_b32_e64 v18, v19, v18, s[0:1]
	v_and_b32_e32 v18, 1, v18
	v_and_b32_e32 v13, 0x100, v0
	v_cmp_eq_u32_e64 s[0:1], 1, v18
	s_and_saveexec_b64 s[2:3], s[0:1]
	s_cbranch_execz .LBB96_79
; %bb.78:
	ds_write_b8 v12, v16
	ds_write_b8 v12, v14 offset:256
	ds_write_b8 v12, v17 offset:2048
	;; [unrolled: 1-line block ×3, first 2 shown]
.LBB96_79:
	s_or_b64 exec, exec, s[2:3]
	s_waitcnt lgkmcnt(0)
	s_barrier
	ds_read_u8 v15, v11
	ds_read_u8 v17, v11 offset:128
	ds_read_u8 v16, v11 offset:2048
	;; [unrolled: 1-line block ×3, first 2 shown]
	v_lshrrev_b32_e32 v13, 8, v13
	s_waitcnt lgkmcnt(2)
	v_cmp_lt_u16_e64 s[0:1], v15, v17
	s_waitcnt lgkmcnt(1)
	v_and_b32_e32 v14, 1, v16
	v_cmp_eq_u32_e64 s[2:3], 1, v14
	s_waitcnt lgkmcnt(0)
	v_cmp_ne_u16_e64 s[6:7], v18, v13
	v_cndmask_b32_e64 v19, 0, 1, s[6:7]
	v_cndmask_b32_e64 v14, 0, 1, vcc
	s_and_b64 vcc, s[0:1], s[2:3]
	v_cndmask_b32_e32 v19, v19, v14, vcc
	v_and_b32_e32 v19, 1, v19
	v_cmp_eq_u32_e32 vcc, 1, v19
	s_and_saveexec_b64 s[0:1], vcc
	s_cbranch_execz .LBB96_81
; %bb.80:
	ds_write_b8 v11, v17
	ds_write_b8 v11, v15 offset:128
	ds_write_b8 v11, v18 offset:2048
	ds_write_b8 v11, v16 offset:2176
.LBB96_81:
	s_or_b64 exec, exec, s[0:1]
	s_waitcnt lgkmcnt(0)
	s_barrier
	ds_read_u8 v15, v10
	ds_read_u8 v17, v10 offset:64
	ds_read_u8 v16, v10 offset:2048
	ds_read_u8 v18, v10 offset:2112
	s_waitcnt lgkmcnt(2)
	v_cmp_lt_u16_e32 vcc, v15, v17
	s_waitcnt lgkmcnt(1)
	v_and_b32_e32 v19, 1, v16
	v_cmp_eq_u32_e64 s[0:1], 1, v19
	s_waitcnt lgkmcnt(0)
	v_cmp_ne_u16_e64 s[2:3], v18, v13
	v_cndmask_b32_e64 v19, 0, 1, s[2:3]
	s_and_b64 vcc, vcc, s[0:1]
	v_cndmask_b32_e32 v19, v19, v14, vcc
	v_and_b32_e32 v19, 1, v19
	v_cmp_eq_u32_e32 vcc, 1, v19
	s_and_saveexec_b64 s[0:1], vcc
	s_cbranch_execz .LBB96_83
; %bb.82:
	ds_write_b8 v10, v17
	ds_write_b8 v10, v15 offset:64
	ds_write_b8 v10, v18 offset:2048
	ds_write_b8 v10, v16 offset:2112
.LBB96_83:
	s_or_b64 exec, exec, s[0:1]
	s_waitcnt lgkmcnt(0)
	s_barrier
	ds_read_u8 v15, v9
	ds_read_u8 v17, v9 offset:32
	ds_read_u8 v16, v9 offset:2048
	ds_read_u8 v18, v9 offset:2080
	s_waitcnt lgkmcnt(2)
	v_cmp_lt_u16_e32 vcc, v15, v17
	s_waitcnt lgkmcnt(1)
	v_and_b32_e32 v19, 1, v16
	v_cmp_eq_u32_e64 s[0:1], 1, v19
	s_waitcnt lgkmcnt(0)
	v_cmp_ne_u16_e64 s[2:3], v18, v13
	v_cndmask_b32_e64 v19, 0, 1, s[2:3]
	s_and_b64 vcc, vcc, s[0:1]
	;; [unrolled: 27-line block ×7, first 2 shown]
	v_cndmask_b32_e32 v13, v13, v14, vcc
	v_and_b32_e32 v13, 1, v13
	v_cmp_eq_u32_e32 vcc, 1, v13
	s_and_saveexec_b64 s[0:1], vcc
	s_cbranch_execz .LBB96_95
; %bb.94:
	ds_write_b8 v2, v17
	ds_write_b8 v2, v15 offset:1
	ds_write_b8 v2, v18 offset:2048
	;; [unrolled: 1-line block ×3, first 2 shown]
.LBB96_95:
	s_or_b64 exec, exec, s[0:1]
	v_and_b32_e32 v13, 0x1ff, v0
	v_sub_u32_e32 v13, v1, v13
	v_add_u32_e32 v13, 1, v13
	s_waitcnt lgkmcnt(0)
	s_barrier
	ds_read_u8 v15, v13
	ds_read_u8 v17, v13 offset:512
	ds_read_u8 v16, v13 offset:2048
	;; [unrolled: 1-line block ×3, first 2 shown]
	s_movk_i32 s0, 0x1ff
	v_cmp_lt_u32_e32 vcc, s0, v0
	v_cndmask_b32_e64 v14, 0, 1, vcc
	s_waitcnt lgkmcnt(1)
	v_and_b32_e32 v19, 1, v16
	v_cmp_lt_u16_e32 vcc, v15, v17
	v_cmp_eq_u32_e64 s[0:1], 1, v19
	s_waitcnt lgkmcnt(0)
	v_cmp_ne_u16_e64 s[2:3], v18, v14
	v_cndmask_b32_e64 v19, 0, 1, s[2:3]
	s_and_b64 vcc, vcc, s[0:1]
	v_cndmask_b32_e32 v19, v19, v14, vcc
	v_and_b32_e32 v19, 1, v19
	v_cmp_eq_u32_e32 vcc, 1, v19
	s_and_saveexec_b64 s[0:1], vcc
	s_cbranch_execz .LBB96_97
; %bb.96:
	ds_write_b8 v13, v17
	ds_write_b8 v13, v15 offset:512
	ds_write_b8 v13, v18 offset:2048
	ds_write_b8 v13, v16 offset:2560
.LBB96_97:
	s_or_b64 exec, exec, s[0:1]
	s_waitcnt lgkmcnt(0)
	s_barrier
	ds_read_u8 v15, v12
	ds_read_u8 v17, v12 offset:256
	ds_read_u8 v16, v12 offset:2048
	ds_read_u8 v18, v12 offset:2304
	s_waitcnt lgkmcnt(2)
	v_cmp_lt_u16_e32 vcc, v15, v17
	s_waitcnt lgkmcnt(1)
	v_and_b32_e32 v19, 1, v16
	v_cmp_eq_u32_e64 s[0:1], 1, v19
	s_waitcnt lgkmcnt(0)
	v_cmp_ne_u16_e64 s[2:3], v18, v14
	v_cndmask_b32_e64 v19, 0, 1, s[2:3]
	s_and_b64 vcc, vcc, s[0:1]
	v_cndmask_b32_e32 v19, v19, v14, vcc
	v_and_b32_e32 v19, 1, v19
	v_cmp_eq_u32_e32 vcc, 1, v19
	s_and_saveexec_b64 s[0:1], vcc
	s_cbranch_execz .LBB96_99
; %bb.98:
	ds_write_b8 v12, v17
	ds_write_b8 v12, v15 offset:256
	ds_write_b8 v12, v18 offset:2048
	ds_write_b8 v12, v16 offset:2304
.LBB96_99:
	s_or_b64 exec, exec, s[0:1]
	s_waitcnt lgkmcnt(0)
	s_barrier
	ds_read_u8 v15, v11
	ds_read_u8 v17, v11 offset:128
	ds_read_u8 v16, v11 offset:2048
	ds_read_u8 v18, v11 offset:2176
	s_waitcnt lgkmcnt(2)
	v_cmp_lt_u16_e32 vcc, v15, v17
	s_waitcnt lgkmcnt(1)
	v_and_b32_e32 v19, 1, v16
	;; [unrolled: 27-line block ×9, first 2 shown]
	v_cmp_eq_u32_e64 s[0:1], 1, v19
	s_waitcnt lgkmcnt(0)
	v_cmp_ne_u16_e64 s[2:3], v18, v14
	v_cndmask_b32_e64 v19, 0, 1, s[2:3]
	s_and_b64 vcc, vcc, s[0:1]
	v_cndmask_b32_e32 v14, v19, v14, vcc
	v_and_b32_e32 v14, 1, v14
	v_cmp_eq_u32_e32 vcc, 1, v14
	s_and_saveexec_b64 s[0:1], vcc
	s_cbranch_execz .LBB96_115
; %bb.114:
	ds_write_b8 v2, v17
	ds_write_b8 v2, v15 offset:1
	ds_write_b8 v2, v18 offset:2048
	;; [unrolled: 1-line block ×3, first 2 shown]
.LBB96_115:
	s_or_b64 exec, exec, s[0:1]
	s_waitcnt lgkmcnt(0)
	s_barrier
	ds_read_u8 v15, v3
	ds_read_u8 v17, v3 offset:1024
	ds_read_u8 v16, v3 offset:2048
	;; [unrolled: 1-line block ×3, first 2 shown]
	s_waitcnt lgkmcnt(2)
	v_cmp_ge_u16_e32 vcc, v15, v17
	s_waitcnt lgkmcnt(1)
	v_and_b32_e32 v14, 1, v16
	v_cmp_eq_u32_e64 s[0:1], 1, v14
	s_xor_b64 s[0:1], s[0:1], -1
	v_mov_b32_e32 v14, 0
	s_or_b64 s[0:1], vcc, s[0:1]
	s_waitcnt lgkmcnt(0)
	v_cmp_ne_u16_sdwa s[2:3], v18, v14 src0_sel:BYTE_0 src1_sel:DWORD
	s_and_b64 s[2:3], s[0:1], s[2:3]
	s_and_saveexec_b64 s[0:1], s[2:3]
	s_cbranch_execz .LBB96_117
; %bb.116:
	ds_write_b8 v3, v17
	ds_write_b8 v3, v15 offset:1024
	v_mov_b32_e32 v15, 1
	ds_write_b8 v3, v15 offset:2048
	ds_write_b8 v3, v16 offset:3072
.LBB96_117:
	s_or_b64 exec, exec, s[0:1]
	s_waitcnt lgkmcnt(0)
	s_barrier
	ds_read_u8 v15, v13
	ds_read_u8 v17, v13 offset:512
	ds_read_u8 v16, v13 offset:2048
	;; [unrolled: 1-line block ×3, first 2 shown]
	s_waitcnt lgkmcnt(2)
	v_cmp_ge_u16_e32 vcc, v15, v17
	s_waitcnt lgkmcnt(1)
	v_and_b32_e32 v19, 1, v16
	v_cmp_eq_u32_e64 s[0:1], 1, v19
	s_xor_b64 s[0:1], s[0:1], -1
	s_or_b64 s[0:1], vcc, s[0:1]
	s_waitcnt lgkmcnt(0)
	v_cmp_ne_u16_sdwa s[2:3], v18, v14 src0_sel:BYTE_0 src1_sel:DWORD
	s_and_b64 s[2:3], s[0:1], s[2:3]
	s_and_saveexec_b64 s[0:1], s[2:3]
	s_cbranch_execz .LBB96_119
; %bb.118:
	v_mov_b32_e32 v14, 1
	ds_write_b8 v13, v17
	ds_write_b8 v13, v15 offset:512
	ds_write_b8 v13, v14 offset:2048
	;; [unrolled: 1-line block ×3, first 2 shown]
.LBB96_119:
	s_or_b64 exec, exec, s[0:1]
	s_waitcnt lgkmcnt(0)
	s_barrier
	ds_read_u8 v14, v12
	ds_read_u8 v16, v12 offset:256
	ds_read_u8 v15, v12 offset:2048
	ds_read_u8 v17, v12 offset:2304
	s_waitcnt lgkmcnt(2)
	v_cmp_ge_u16_e32 vcc, v14, v16
	s_waitcnt lgkmcnt(1)
	v_and_b32_e32 v13, 1, v15
	v_cmp_eq_u32_e64 s[0:1], 1, v13
	s_xor_b64 s[0:1], s[0:1], -1
	v_mov_b32_e32 v13, 0
	s_or_b64 s[0:1], vcc, s[0:1]
	s_waitcnt lgkmcnt(0)
	v_cmp_ne_u16_sdwa s[2:3], v17, v13 src0_sel:BYTE_0 src1_sel:DWORD
	s_and_b64 s[2:3], s[0:1], s[2:3]
	s_and_saveexec_b64 s[0:1], s[2:3]
	s_cbranch_execz .LBB96_121
; %bb.120:
	ds_write_b8 v12, v16
	ds_write_b8 v12, v14 offset:256
	v_mov_b32_e32 v14, 1
	ds_write_b8 v12, v14 offset:2048
	ds_write_b8 v12, v15 offset:2304
.LBB96_121:
	s_or_b64 exec, exec, s[0:1]
	s_waitcnt lgkmcnt(0)
	s_barrier
	ds_read_u8 v12, v11
	ds_read_u8 v15, v11 offset:128
	ds_read_u8 v14, v11 offset:2048
	ds_read_u8 v16, v11 offset:2176
	s_waitcnt lgkmcnt(2)
	v_cmp_ge_u16_e32 vcc, v12, v15
	s_waitcnt lgkmcnt(1)
	v_and_b32_e32 v17, 1, v14
	v_cmp_eq_u32_e64 s[0:1], 1, v17
	s_xor_b64 s[0:1], s[0:1], -1
	s_or_b64 s[0:1], vcc, s[0:1]
	s_waitcnt lgkmcnt(0)
	v_cmp_ne_u16_sdwa s[2:3], v16, v13 src0_sel:BYTE_0 src1_sel:DWORD
	s_and_b64 s[2:3], s[0:1], s[2:3]
	s_and_saveexec_b64 s[0:1], s[2:3]
	s_cbranch_execz .LBB96_123
; %bb.122:
	ds_write_b8 v11, v15
	ds_write_b8 v11, v12 offset:128
	v_mov_b32_e32 v12, 1
	ds_write_b8 v11, v12 offset:2048
	ds_write_b8 v11, v14 offset:2176
.LBB96_123:
	s_or_b64 exec, exec, s[0:1]
	s_waitcnt lgkmcnt(0)
	s_barrier
	ds_read_u8 v12, v10
	ds_read_u8 v14, v10 offset:64
	ds_read_u8 v13, v10 offset:2048
	ds_read_u8 v15, v10 offset:2112
	s_waitcnt lgkmcnt(2)
	v_cmp_ge_u16_e32 vcc, v12, v14
	s_waitcnt lgkmcnt(1)
	v_and_b32_e32 v11, 1, v13
	v_cmp_eq_u32_e64 s[0:1], 1, v11
	s_xor_b64 s[0:1], s[0:1], -1
	v_mov_b32_e32 v11, 0
	s_or_b64 s[0:1], vcc, s[0:1]
	s_waitcnt lgkmcnt(0)
	v_cmp_ne_u16_sdwa s[2:3], v15, v11 src0_sel:BYTE_0 src1_sel:DWORD
	s_and_b64 s[2:3], s[0:1], s[2:3]
	s_and_saveexec_b64 s[0:1], s[2:3]
	s_cbranch_execz .LBB96_125
; %bb.124:
	ds_write_b8 v10, v14
	ds_write_b8 v10, v12 offset:64
	v_mov_b32_e32 v12, 1
	ds_write_b8 v10, v12 offset:2048
	ds_write_b8 v10, v13 offset:2112
.LBB96_125:
	s_or_b64 exec, exec, s[0:1]
	s_waitcnt lgkmcnt(0)
	s_barrier
	ds_read_u8 v10, v9
	ds_read_u8 v13, v9 offset:32
	ds_read_u8 v12, v9 offset:2048
	ds_read_u8 v14, v9 offset:2080
	s_waitcnt lgkmcnt(2)
	v_cmp_ge_u16_e32 vcc, v10, v13
	s_waitcnt lgkmcnt(1)
	v_and_b32_e32 v15, 1, v12
	v_cmp_eq_u32_e64 s[0:1], 1, v15
	s_xor_b64 s[0:1], s[0:1], -1
	s_or_b64 s[0:1], vcc, s[0:1]
	s_waitcnt lgkmcnt(0)
	v_cmp_ne_u16_sdwa s[2:3], v14, v11 src0_sel:BYTE_0 src1_sel:DWORD
	s_and_b64 s[2:3], s[0:1], s[2:3]
	s_and_saveexec_b64 s[0:1], s[2:3]
	s_cbranch_execz .LBB96_127
; %bb.126:
	ds_write_b8 v9, v13
	ds_write_b8 v9, v10 offset:32
	v_mov_b32_e32 v10, 1
	ds_write_b8 v9, v10 offset:2048
	ds_write_b8 v9, v12 offset:2080
.LBB96_127:
	;; [unrolled: 53-line block ×4, first 2 shown]
	s_or_b64 exec, exec, s[0:1]
	s_waitcnt lgkmcnt(0)
	s_barrier
	ds_read_u8 v4, v2
	ds_read_u8 v7, v2 offset:1
	ds_read_u8 v6, v2 offset:2048
	;; [unrolled: 1-line block ×3, first 2 shown]
	s_waitcnt lgkmcnt(2)
	v_cmp_ge_u16_e32 vcc, v4, v7
	s_waitcnt lgkmcnt(1)
	v_and_b32_e32 v9, 1, v6
	v_cmp_eq_u32_e64 s[0:1], 1, v9
	s_xor_b64 s[0:1], s[0:1], -1
	v_mov_b32_e32 v9, 0
	s_or_b64 s[0:1], vcc, s[0:1]
	s_waitcnt lgkmcnt(0)
	v_cmp_ne_u16_sdwa s[2:3], v8, v9 src0_sel:BYTE_0 src1_sel:DWORD
	s_and_b64 s[2:3], s[0:1], s[2:3]
	s_and_saveexec_b64 s[0:1], s[2:3]
	s_cbranch_execz .LBB96_137
; %bb.136:
	ds_write_b8 v2, v7
	ds_write_b8 v2, v4 offset:1
	v_mov_b32_e32 v4, 1
	ds_write_b8 v2, v4 offset:2048
	ds_write_b8 v2, v6 offset:2049
.LBB96_137:
	s_or_b64 exec, exec, s[0:1]
	v_cmp_eq_u32_e32 vcc, 0, v0
	s_waitcnt lgkmcnt(0)
	s_barrier
	s_barrier
	s_and_saveexec_b64 s[0:1], vcc
	s_cbranch_execz .LBB96_139
; %bb.138:
	v_mov_b32_e32 v4, 1
	v_mov_b32_e32 v6, 0
	ds_write_b8 v4, v4 offset:2052
	ds_write_b32 v4, v6 offset:2048
.LBB96_139:
	s_or_b64 exec, exec, s[0:1]
	ds_read_u8 v7, v2
	ds_read_u8 v6, v2 offset:1
	v_mad_u32_u24 v2, v0, 15, v3
	v_mul_u32_u24_e32 v4, 15, v0
	s_waitcnt lgkmcnt(0)
	v_cmp_ne_u16_e64 s[0:1], v7, v6
	v_cndmask_b32_e64 v8, 0, 1, s[0:1]
	v_cmp_eq_u16_e64 s[0:1], v7, v6
	v_cndmask_b32_e64 v7, 0, 1, s[0:1]
	s_movk_i32 s0, 0x3ff
	ds_write_b8 v2, v8 offset:2060
	ds_write_b32 v2, v7 offset:2056
	v_cmp_ne_u32_e64 s[2:3], s0, v0
	v_mov_b32_e32 v2, 0x800
	s_and_saveexec_b64 s[6:7], s[2:3]
	s_cbranch_execz .LBB96_141
; %bb.140:
	v_add_u32_e32 v7, 1, v1
	ds_read_u8 v8, v7 offset:2
	v_add_u32_e32 v2, 2, v1
	v_mad_u32_u24 v7, v0, 14, v7
	s_waitcnt lgkmcnt(0)
	v_cmp_ne_u16_e64 s[0:1], v6, v8
	v_cndmask_b32_e64 v9, 0, 1, s[0:1]
	v_cmp_eq_u16_e64 s[0:1], v6, v8
	v_cndmask_b32_e64 v6, 0, 1, s[0:1]
	ds_write_b8 v7, v9 offset:2068
	ds_write_b32 v7, v6 offset:2064
.LBB96_141:
	s_or_b64 exec, exec, s[6:7]
	v_add_u32_e32 v3, v3, v4
	s_waitcnt lgkmcnt(0)
	s_barrier
	ds_read_u8 v4, v3 offset:2060
	v_add_u32_e32 v6, 0x800, v3
	ds_read2_b32 v[6:7], v6 offset1:2
	ds_read_u8 v8, v3 offset:2052
	v_add_u32_e32 v9, 0x808, v3
	s_waitcnt lgkmcnt(2)
	v_and_b32_e32 v10, 1, v4
	v_cmp_eq_u32_e64 s[0:1], 1, v10
	s_waitcnt lgkmcnt(1)
	v_cndmask_b32_e64 v6, v6, 0, s[0:1]
	s_waitcnt lgkmcnt(0)
	v_or_b32_e32 v4, v8, v4
	v_add_u32_e32 v6, v6, v7
	v_and_b32_e32 v4, 1, v4
	ds_write2_b32 v9, v6, v4 offset1:1
	v_lshlrev_b32_e32 v4, 1, v2
	s_movk_i32 s0, 0x200
	v_cmp_gt_u32_e64 s[0:1], s0, v0
	v_lshl_add_u32 v4, v4, 3, 1
	s_waitcnt lgkmcnt(0)
	s_barrier
	s_and_saveexec_b64 s[6:7], s[0:1]
	s_cbranch_execz .LBB96_143
; %bb.142:
	ds_read_u8 v8, v4 offset:2044
	v_add_u32_e32 v6, 0x400, v4
	ds_read2_b32 v[6:7], v6 offset0:250 offset1:254
	ds_read_u8 v9, v4 offset:2028
	v_add_u32_e32 v10, 0x7f8, v4
	s_waitcnt lgkmcnt(2)
	v_and_b32_e32 v11, 1, v8
	v_cmp_eq_u32_e64 s[0:1], 1, v11
	s_waitcnt lgkmcnt(1)
	v_cndmask_b32_e64 v6, v6, 0, s[0:1]
	v_add_u32_e32 v6, v6, v7
	s_waitcnt lgkmcnt(0)
	v_or_b32_e32 v7, v9, v8
	v_and_b32_e32 v7, 1, v7
	ds_write2_b32 v10, v6, v7 offset1:1
.LBB96_143:
	s_or_b64 exec, exec, s[6:7]
	v_lshlrev_b32_e32 v6, 2, v2
	s_movk_i32 s0, 0x100
	v_cmp_gt_u32_e64 s[0:1], s0, v0
	v_lshl_add_u32 v6, v6, 3, 1
	s_waitcnt lgkmcnt(0)
	s_barrier
	s_and_saveexec_b64 s[6:7], s[0:1]
	s_cbranch_execz .LBB96_145
; %bb.144:
	ds_read_u8 v9, v6 offset:2044
	v_add_u32_e32 v7, 0x400, v6
	ds_read2_b32 v[7:8], v7 offset0:246 offset1:254
	ds_read_u8 v10, v6 offset:2012
	v_add_u32_e32 v11, 0x7f8, v6
	s_waitcnt lgkmcnt(2)
	v_and_b32_e32 v12, 1, v9
	v_cmp_eq_u32_e64 s[0:1], 1, v12
	s_waitcnt lgkmcnt(1)
	v_cndmask_b32_e64 v7, v7, 0, s[0:1]
	v_add_u32_e32 v7, v7, v8
	s_waitcnt lgkmcnt(0)
	v_or_b32_e32 v8, v10, v9
	v_and_b32_e32 v8, 1, v8
	ds_write2_b32 v11, v7, v8 offset1:1
.LBB96_145:
	s_or_b64 exec, exec, s[6:7]
	v_lshlrev_b32_e32 v7, 3, v2
	s_movk_i32 s0, 0x80
	v_cmp_gt_u32_e64 s[0:1], s0, v0
	v_lshl_add_u32 v7, v7, 3, 1
	s_waitcnt lgkmcnt(0)
	s_barrier
	s_and_saveexec_b64 s[6:7], s[0:1]
	s_cbranch_execz .LBB96_147
; %bb.146:
	ds_read_u8 v10, v7 offset:2044
	ds_read_u8 v12, v7 offset:1980
	v_add_u32_e32 v8, 0x400, v7
	ds_read2_b32 v[8:9], v8 offset0:238 offset1:254
	v_add_u32_e32 v11, 0x7f8, v7
	s_waitcnt lgkmcnt(2)
	v_and_b32_e32 v13, 1, v10
	v_cmp_eq_u32_e64 s[0:1], 1, v13
	s_waitcnt lgkmcnt(0)
	v_cndmask_b32_e64 v8, v8, 0, s[0:1]
	v_add_u32_e32 v8, v8, v9
	v_or_b32_e32 v9, v12, v10
	v_and_b32_e32 v9, 1, v9
	ds_write2_b32 v11, v8, v9 offset1:1
.LBB96_147:
	s_or_b64 exec, exec, s[6:7]
	v_lshlrev_b32_e32 v8, 4, v2
	v_cmp_gt_u32_e64 s[0:1], 64, v0
	v_lshl_add_u32 v8, v8, 3, 1
	s_waitcnt lgkmcnt(0)
	s_barrier
	s_and_saveexec_b64 s[8:9], s[0:1]
	s_cbranch_execz .LBB96_149
; %bb.148:
	ds_read_u8 v11, v8 offset:2044
	ds_read_u8 v13, v8 offset:1916
	v_add_u32_e32 v9, 0x400, v8
	ds_read2_b32 v[9:10], v9 offset0:222 offset1:254
	v_add_u32_e32 v12, 0x7f8, v8
	s_waitcnt lgkmcnt(2)
	v_and_b32_e32 v14, 1, v11
	v_cmp_eq_u32_e64 s[6:7], 1, v14
	s_waitcnt lgkmcnt(0)
	v_cndmask_b32_e64 v9, v9, 0, s[6:7]
	v_add_u32_e32 v9, v9, v10
	v_or_b32_e32 v10, v13, v11
	v_and_b32_e32 v10, 1, v10
	ds_write2_b32 v12, v9, v10 offset1:1
.LBB96_149:
	s_or_b64 exec, exec, s[8:9]
	v_lshlrev_b32_e32 v9, 5, v2
	v_cmp_gt_u32_e64 s[6:7], 32, v0
	v_lshl_add_u32 v9, v9, 3, 1
	s_waitcnt lgkmcnt(0)
	s_barrier
	s_and_saveexec_b64 s[8:9], s[6:7]
	s_cbranch_execz .LBB96_151
; %bb.150:
	ds_read_u8 v12, v9 offset:2044
	ds_read_u8 v14, v9 offset:1788
	v_add_u32_e32 v10, 0xf8, v9
	ds_read2st64_b32 v[10:11], v10 offset0:6 offset1:7
	v_add_u32_e32 v13, 0x7f8, v9
	s_waitcnt lgkmcnt(2)
	v_and_b32_e32 v15, 1, v12
	v_cmp_eq_u32_e64 s[6:7], 1, v15
	s_waitcnt lgkmcnt(0)
	v_cndmask_b32_e64 v10, v10, 0, s[6:7]
	v_add_u32_e32 v10, v10, v11
	v_or_b32_e32 v11, v14, v12
	v_and_b32_e32 v11, 1, v11
	ds_write2_b32 v13, v10, v11 offset1:1
.LBB96_151:
	s_or_b64 exec, exec, s[8:9]
	v_lshlrev_b32_e32 v10, 6, v2
	v_cmp_gt_u32_e64 s[6:7], 16, v0
	v_lshl_add_u32 v10, v10, 3, 1
	s_waitcnt lgkmcnt(0)
	s_barrier
	s_and_saveexec_b64 s[8:9], s[6:7]
	s_cbranch_execz .LBB96_153
; %bb.152:
	ds_read_u8 v13, v10 offset:2044
	ds_read_u8 v15, v10 offset:1532
	v_add_u32_e32 v11, 0xf8, v10
	ds_read2st64_b32 v[11:12], v11 offset0:5 offset1:7
	v_add_u32_e32 v14, 0x7f8, v10
	s_waitcnt lgkmcnt(2)
	v_and_b32_e32 v16, 1, v13
	v_cmp_eq_u32_e64 s[6:7], 1, v16
	s_waitcnt lgkmcnt(0)
	v_cndmask_b32_e64 v11, v11, 0, s[6:7]
	v_add_u32_e32 v11, v11, v12
	v_or_b32_e32 v12, v15, v13
	v_and_b32_e32 v12, 1, v12
	ds_write2_b32 v14, v11, v12 offset1:1
.LBB96_153:
	;; [unrolled: 24-line block ×3, first 2 shown]
	s_or_b64 exec, exec, s[8:9]
	v_lshlrev_b32_e32 v12, 8, v2
	v_cmp_gt_u32_e64 s[6:7], 4, v0
	v_lshl_add_u32 v12, v12, 3, 1
	s_waitcnt lgkmcnt(0)
	s_barrier
	s_and_saveexec_b64 s[8:9], s[6:7]
	s_cbranch_execz .LBB96_157
; %bb.156:
	ds_read_u8 v15, v12 offset:2044
	v_add_u32_e32 v14, -8, v12
	v_add_u32_e32 v16, -4, v12
	ds_read_b32 v14, v14
	ds_read_b32 v17, v12 offset:2040
	ds_read_u8 v16, v16
	v_add_u32_e32 v13, 0x7f8, v12
	s_waitcnt lgkmcnt(3)
	v_and_b32_e32 v18, 1, v15
	v_cmp_eq_u32_e64 s[6:7], 1, v18
	s_waitcnt lgkmcnt(2)
	v_cndmask_b32_e64 v14, v14, 0, s[6:7]
	s_waitcnt lgkmcnt(0)
	v_or_b32_e32 v15, v16, v15
	v_add_u32_e32 v14, v14, v17
	v_and_b32_e32 v15, 1, v15
	ds_write2_b32 v13, v14, v15 offset1:1
.LBB96_157:
	s_or_b64 exec, exec, s[8:9]
	v_lshlrev_b32_e32 v13, 9, v2
	v_cmp_gt_u32_e64 s[6:7], 2, v0
	v_lshl_add_u32 v13, v13, 3, 1
	s_waitcnt lgkmcnt(0)
	s_barrier
	s_and_saveexec_b64 s[8:9], s[6:7]
	s_cbranch_execz .LBB96_159
; %bb.158:
	ds_read_u8 v16, v13 offset:2044
	v_add_u32_e32 v15, 0xfffff7f8, v13
	v_add_u32_e32 v17, 0xfffff7fc, v13
	ds_read_b32 v15, v15
	ds_read_b32 v18, v13 offset:2040
	ds_read_u8 v17, v17
	v_add_u32_e32 v14, 0x7f8, v13
	s_waitcnt lgkmcnt(3)
	v_and_b32_e32 v19, 1, v16
	v_cmp_eq_u32_e64 s[6:7], 1, v19
	s_waitcnt lgkmcnt(2)
	v_cndmask_b32_e64 v15, v15, 0, s[6:7]
	s_waitcnt lgkmcnt(0)
	v_or_b32_e32 v16, v17, v16
	v_add_u32_e32 v15, v15, v18
	v_and_b32_e32 v16, 1, v16
	ds_write2_b32 v14, v15, v16 offset1:1
.LBB96_159:
	s_or_b64 exec, exec, s[8:9]
	s_waitcnt lgkmcnt(0)
	s_barrier
	s_and_saveexec_b64 s[8:9], vcc
	s_cbranch_execz .LBB96_161
; %bb.160:
	v_mov_b32_e32 v14, 1
	ds_read_u8 v15, v14 offset:18428
	ds_read_b32 v16, v14 offset:10232
	ds_read_b32 v17, v14 offset:18424
	ds_read_u8 v14, v14 offset:10236
	s_add_i32 s10, 1, 0x47f8
	s_waitcnt lgkmcnt(3)
	v_and_b32_e32 v18, 1, v15
	v_cmp_eq_u32_e64 s[6:7], 1, v18
	s_waitcnt lgkmcnt(2)
	v_cndmask_b32_e64 v16, v16, 0, s[6:7]
	s_waitcnt lgkmcnt(0)
	v_or_b32_e32 v14, v14, v15
	v_add_u32_e32 v16, v16, v17
	v_and_b32_e32 v14, 1, v14
	v_mov_b32_e32 v15, s10
	ds_write2_b32 v15, v16, v14 offset1:1
.LBB96_161:
	s_or_b64 exec, exec, s[8:9]
	s_waitcnt lgkmcnt(0)
	s_barrier
	s_and_saveexec_b64 s[8:9], vcc
	s_cbranch_execz .LBB96_163
; %bb.162:
	ds_read_u8 v16, v13 offset:6140
	v_add_u32_e32 v14, 0xf8, v13
	ds_read2st64_b32 v[14:15], v14 offset0:7 offset1:23
	v_add_u32_e32 v17, 0x17f8, v13
	ds_read_u8 v13, v13 offset:2044
	s_waitcnt lgkmcnt(2)
	v_and_b32_e32 v18, 1, v16
	v_cmp_eq_u32_e64 s[6:7], 1, v18
	s_waitcnt lgkmcnt(1)
	v_cndmask_b32_e64 v14, v14, 0, s[6:7]
	v_add_u32_e32 v14, v14, v15
	s_waitcnt lgkmcnt(0)
	v_or_b32_e32 v13, v13, v16
	v_and_b32_e32 v13, 1, v13
	ds_write2_b32 v17, v14, v13 offset1:1
.LBB96_163:
	s_or_b64 exec, exec, s[8:9]
	v_cmp_gt_u32_e64 s[6:7], 3, v0
	s_waitcnt lgkmcnt(0)
	s_barrier
	s_and_saveexec_b64 s[8:9], s[6:7]
	s_cbranch_execz .LBB96_165
; %bb.164:
	ds_read_u8 v15, v12 offset:4092
	v_add_u32_e32 v13, 0xf8, v12
	ds_read2st64_b32 v[13:14], v13 offset0:7 offset1:15
	v_add_u32_e32 v16, 0xff8, v12
	ds_read_u8 v12, v12 offset:2044
	s_waitcnt lgkmcnt(2)
	v_and_b32_e32 v17, 1, v15
	v_cmp_eq_u32_e64 s[6:7], 1, v17
	s_waitcnt lgkmcnt(1)
	v_cndmask_b32_e64 v13, v13, 0, s[6:7]
	v_add_u32_e32 v13, v13, v14
	s_waitcnt lgkmcnt(0)
	v_or_b32_e32 v12, v12, v15
	v_and_b32_e32 v12, 1, v12
	ds_write2_b32 v16, v13, v12 offset1:1
.LBB96_165:
	s_or_b64 exec, exec, s[8:9]
	v_cmp_gt_u32_e64 s[6:7], 7, v0
	s_waitcnt lgkmcnt(0)
	s_barrier
	s_and_saveexec_b64 s[8:9], s[6:7]
	;; [unrolled: 23-line block ×5, first 2 shown]
	s_cbranch_execz .LBB96_173
; %bb.172:
	ds_read_u8 v11, v8 offset:2172
	v_add_u32_e32 v9, 0x600, v8
	ds_read2_b32 v[9:10], v9 offset0:126 offset1:158
	v_add_u32_e32 v12, 0x878, v8
	ds_read_u8 v8, v8 offset:2044
	s_waitcnt lgkmcnt(2)
	v_and_b32_e32 v13, 1, v11
	v_cmp_eq_u32_e64 s[6:7], 1, v13
	s_waitcnt lgkmcnt(1)
	v_cndmask_b32_e64 v9, v9, 0, s[6:7]
	v_add_u32_e32 v9, v9, v10
	s_waitcnt lgkmcnt(0)
	v_or_b32_e32 v8, v8, v11
	v_and_b32_e32 v8, 1, v8
	ds_write2_b32 v12, v9, v8 offset1:1
.LBB96_173:
	s_or_b64 exec, exec, s[8:9]
	s_movk_i32 s6, 0x7f
	v_cmp_gt_u32_e64 s[6:7], s6, v0
	s_waitcnt lgkmcnt(0)
	s_barrier
	s_and_saveexec_b64 s[8:9], s[6:7]
	s_cbranch_execz .LBB96_175
; %bb.174:
	ds_read_u8 v10, v7 offset:2108
	v_add_u32_e32 v8, 0x600, v7
	ds_read2_b32 v[8:9], v8 offset0:126 offset1:142
	v_add_u32_e32 v11, 0x838, v7
	ds_read_u8 v7, v7 offset:2044
	s_waitcnt lgkmcnt(2)
	v_and_b32_e32 v12, 1, v10
	v_cmp_eq_u32_e64 s[6:7], 1, v12
	s_waitcnt lgkmcnt(1)
	v_cndmask_b32_e64 v8, v8, 0, s[6:7]
	v_add_u32_e32 v8, v8, v9
	s_waitcnt lgkmcnt(0)
	v_or_b32_e32 v7, v7, v10
	v_and_b32_e32 v7, 1, v7
	ds_write2_b32 v11, v8, v7 offset1:1
.LBB96_175:
	s_or_b64 exec, exec, s[8:9]
	s_movk_i32 s6, 0xff
	v_cmp_gt_u32_e64 s[6:7], s6, v0
	s_waitcnt lgkmcnt(0)
	s_barrier
	s_and_saveexec_b64 s[8:9], s[6:7]
	s_cbranch_execz .LBB96_177
; %bb.176:
	ds_read_u8 v9, v6 offset:2076
	v_add_u32_e32 v7, 0x600, v6
	ds_read2_b32 v[7:8], v7 offset0:126 offset1:134
	ds_read_u8 v10, v6 offset:2044
	v_add_u32_e32 v6, 0x818, v6
	s_waitcnt lgkmcnt(2)
	v_and_b32_e32 v11, 1, v9
	v_cmp_eq_u32_e64 s[6:7], 1, v11
	s_waitcnt lgkmcnt(1)
	v_cndmask_b32_e64 v7, v7, 0, s[6:7]
	v_add_u32_e32 v7, v7, v8
	s_waitcnt lgkmcnt(0)
	v_or_b32_e32 v8, v10, v9
	v_and_b32_e32 v8, 1, v8
	ds_write2_b32 v6, v7, v8 offset1:1
.LBB96_177:
	s_or_b64 exec, exec, s[8:9]
	s_movk_i32 s6, 0x1ff
	v_cmp_gt_u32_e64 s[6:7], s6, v0
	s_waitcnt lgkmcnt(0)
	s_barrier
	s_and_saveexec_b64 s[8:9], s[6:7]
	s_cbranch_execz .LBB96_179
; %bb.178:
	ds_read_u8 v8, v4 offset:2060
	v_add_u32_e32 v6, 0x600, v4
	ds_read2_b32 v[6:7], v6 offset0:126 offset1:130
	ds_read_u8 v9, v4 offset:2044
	v_add_u32_e32 v4, 0x808, v4
	s_waitcnt lgkmcnt(2)
	v_and_b32_e32 v10, 1, v8
	v_cmp_eq_u32_e64 s[6:7], 1, v10
	s_waitcnt lgkmcnt(1)
	v_cndmask_b32_e64 v6, v6, 0, s[6:7]
	v_add_u32_e32 v6, v6, v7
	s_waitcnt lgkmcnt(0)
	v_or_b32_e32 v7, v9, v8
	v_and_b32_e32 v7, 1, v7
	ds_write2_b32 v4, v6, v7 offset1:1
.LBB96_179:
	s_or_b64 exec, exec, s[8:9]
	s_waitcnt lgkmcnt(0)
	s_barrier
	s_and_saveexec_b64 s[6:7], s[2:3]
	s_cbranch_execz .LBB96_181
; %bb.180:
	v_lshl_add_u32 v2, v2, 3, 1
	ds_read_u8 v4, v2 offset:2052
	v_add_u32_e32 v6, 0x800, v2
	ds_read_b32 v7, v3 offset:2056
	ds_read_b32 v2, v2 offset:2048
	ds_read_u8 v8, v3 offset:2060
	s_waitcnt lgkmcnt(3)
	v_and_b32_e32 v9, 1, v4
	v_cmp_eq_u32_e64 s[2:3], 1, v9
	s_waitcnt lgkmcnt(2)
	v_cndmask_b32_e64 v7, v7, 0, s[2:3]
	s_waitcnt lgkmcnt(0)
	v_or_b32_e32 v4, v8, v4
	v_add_u32_e32 v2, v7, v2
	v_and_b32_e32 v4, 1, v4
	ds_write2_b32 v6, v2, v4 offset1:1
.LBB96_181:
	s_or_b64 exec, exec, s[6:7]
	v_add_u32_e32 v2, 0x800, v3
	s_waitcnt lgkmcnt(0)
	s_barrier
	ds_read2_b32 v[6:7], v2 offset1:2
	v_or_b32_e32 v3, 1, v1
	v_cmp_gt_u32_e64 s[2:3], s16, v1
	v_cmp_gt_u32_e64 s[6:7], s16, v3
	v_cndmask_b32_e64 v4, 0, v1, s[2:3]
	s_waitcnt lgkmcnt(0)
	v_cndmask_b32_e64 v2, 0, v6, s[2:3]
	v_mbcnt_lo_u32_b32 v6, -1, 0
	v_cndmask_b32_e64 v7, 0, v7, s[6:7]
	v_mbcnt_hi_u32_b32 v11, -1, v6
	v_mov_b32_e32 v6, 0x80
	v_cndmask_b32_e64 v8, 0, v3, s[6:7]
	v_max_u32_e32 v9, v7, v2
	v_lshl_or_b32 v6, v11, 2, v6
	v_cmp_gt_u32_e64 s[8:9], v7, v2
	ds_bpermute_b32 v10, v6, v9
	v_cndmask_b32_e64 v2, v4, v8, s[8:9]
	ds_bpermute_b32 v4, v6, v2
	v_and_b32_e32 v12, 63, v11
	v_cmp_gt_u32_e64 s[8:9], 48, v12
	v_cndmask_b32_e64 v7, 0, 16, s[8:9]
	s_waitcnt lgkmcnt(1)
	v_max_u32_e32 v13, v10, v9
	v_add_lshl_u32 v7, v7, v11, 2
	v_cmp_gt_u32_e64 s[8:9], v10, v9
	ds_bpermute_b32 v14, v7, v13
	s_waitcnt lgkmcnt(1)
	v_cndmask_b32_e64 v2, v2, v4, s[8:9]
	ds_bpermute_b32 v4, v7, v2
	v_cmp_gt_u32_e64 s[8:9], 56, v12
	v_cndmask_b32_e64 v8, 0, 8, s[8:9]
	s_waitcnt lgkmcnt(1)
	v_max_u32_e32 v10, v14, v13
	v_add_lshl_u32 v8, v8, v11, 2
	v_cmp_gt_u32_e64 s[8:9], v14, v13
	ds_bpermute_b32 v15, v8, v10
	s_waitcnt lgkmcnt(1)
	v_cndmask_b32_e64 v2, v2, v4, s[8:9]
	ds_bpermute_b32 v4, v8, v2
	;; [unrolled: 10-line block ×4, first 2 shown]
	s_waitcnt lgkmcnt(0)
	s_barrier
	v_cmp_gt_u32_e64 s[8:9], v16, v15
	v_max_u32_e32 v2, v16, v15
	v_cndmask_b32_e64 v4, v4, v13, s[8:9]
	v_cmp_ne_u32_e64 s[8:9], 63, v12
	v_addc_co_u32_e64 v11, s[8:9], 0, v11, s[8:9]
	v_lshlrev_b32_e32 v11, 2, v11
	ds_bpermute_b32 v12, v11, v4
	ds_bpermute_b32 v13, v11, v2
	v_cmp_eq_u32_e64 s[8:9], 0, v5
	s_waitcnt lgkmcnt(0)
	s_barrier
	s_and_saveexec_b64 s[12:13], s[8:9]
	s_cbranch_execz .LBB96_183
; %bb.182:
	v_lshrrev_b32_e32 v14, 3, v0
	v_add_u32_e32 v14, 1, v14
	v_cmp_gt_u32_e64 s[10:11], v13, v2
	v_add_u32_e32 v14, 0x800, v14
	v_cndmask_b32_e64 v4, v4, v12, s[10:11]
	v_max_u32_e32 v2, v13, v2
	ds_write2_b32 v14, v2, v4 offset1:1
.LBB96_183:
	s_or_b64 exec, exec, s[12:13]
	s_lshr_b32 s10, s18, 6
	v_cmp_gt_u32_e64 s[10:11], s10, v0
	v_lshl_add_u32 v12, v5, 3, 1
	v_mov_b32_e32 v2, 0
	v_mov_b32_e32 v4, 0
	s_waitcnt lgkmcnt(0)
	s_barrier
	s_and_saveexec_b64 s[12:13], s[10:11]
	s_cbranch_execnz .LBB96_198
; %bb.184:
	s_or_b64 exec, exec, s[12:13]
	s_and_saveexec_b64 s[12:13], s[10:11]
	s_cbranch_execnz .LBB96_199
.LBB96_185:
	s_or_b64 exec, exec, s[12:13]
	s_and_saveexec_b64 s[18:19], s[0:1]
	s_cbranch_execnz .LBB96_200
.LBB96_186:
	s_or_b64 exec, exec, s[18:19]
	s_and_saveexec_b64 s[12:13], vcc
	s_cbranch_execz .LBB96_188
.LBB96_187:
	s_waitcnt lgkmcnt(0)
	v_add_u32_e32 v2, 1, v2
	ds_read_u8 v2, v2
	v_mov_b32_e32 v4, 0
	s_waitcnt lgkmcnt(0)
	ds_write_b8 v4, v2
.LBB96_188:
	s_or_b64 exec, exec, s[12:13]
	s_waitcnt lgkmcnt(0)
	v_mov_b32_e32 v2, 0
	v_cmp_gt_i64_e64 s[12:13], s[16:17], v[1:2]
	v_mov_b32_e32 v13, 0
	s_barrier
	s_and_saveexec_b64 s[18:19], s[12:13]
	s_cbranch_execz .LBB96_190
; %bb.189:
	v_add_u32_e32 v4, s21, v1
	global_load_ubyte v4, v4, s[14:15]
	v_mov_b32_e32 v13, 0
	ds_read_u8 v13, v13
	s_waitcnt vmcnt(0)
	v_cmp_ne_u16_e64 s[12:13], 0, v4
	v_cndmask_b32_e64 v4, 0, 1, s[12:13]
	s_waitcnt lgkmcnt(0)
	v_cmp_eq_u16_e64 s[12:13], v13, v4
	v_cndmask_b32_e64 v13, 0, v1, s[12:13]
.LBB96_190:
	s_or_b64 exec, exec, s[18:19]
	v_mov_b32_e32 v4, v2
	v_cmp_gt_i64_e64 s[12:13], s[16:17], v[3:4]
	s_and_saveexec_b64 s[16:17], s[12:13]
	s_cbranch_execz .LBB96_192
; %bb.191:
	v_add_u32_e32 v1, s21, v3
	global_load_ubyte v1, v1, s[14:15]
	v_mov_b32_e32 v2, 0
	ds_read_u8 v2, v2
	s_waitcnt vmcnt(0)
	v_cmp_ne_u16_e64 s[12:13], 0, v1
	v_cndmask_b32_e64 v1, 0, 1, s[12:13]
	s_waitcnt lgkmcnt(0)
	v_cmp_eq_u16_e64 s[12:13], v2, v1
	v_cndmask_b32_e64 v2, 0, v3, s[12:13]
.LBB96_192:
	s_or_b64 exec, exec, s[16:17]
	v_cndmask_b32_e64 v1, 0, v13, s[2:3]
	v_max_u32_e32 v2, v2, v1
	v_cndmask_b32_e64 v1, v1, v2, s[6:7]
	ds_bpermute_b32 v2, v6, v1
	s_waitcnt lgkmcnt(0)
	s_barrier
	v_max_u32_e32 v1, v2, v1
	ds_bpermute_b32 v2, v7, v1
	s_waitcnt lgkmcnt(0)
	v_max_u32_e32 v1, v2, v1
	ds_bpermute_b32 v2, v8, v1
	s_waitcnt lgkmcnt(0)
	;; [unrolled: 3-line block ×4, first 2 shown]
	v_max_u32_e32 v1, v2, v1
	ds_bpermute_b32 v2, v11, v1
	s_and_saveexec_b64 s[2:3], s[8:9]
	s_cbranch_execz .LBB96_194
; %bb.193:
	v_lshrrev_b32_e32 v0, 4, v0
	v_add_u32_e32 v0, 1, v0
	s_waitcnt lgkmcnt(0)
	v_max_u32_e32 v1, v2, v1
	ds_write_b32 v0, v1
.LBB96_194:
	s_or_b64 exec, exec, s[2:3]
	v_mov_b32_e32 v0, 0
	s_waitcnt lgkmcnt(0)
	s_barrier
	s_and_saveexec_b64 s[2:3], s[10:11]
	s_cbranch_execnz .LBB96_201
; %bb.195:
	s_or_b64 exec, exec, s[2:3]
	s_and_saveexec_b64 s[2:3], s[0:1]
	s_cbranch_execnz .LBB96_202
.LBB96_196:
	s_or_b64 exec, exec, s[2:3]
	s_and_saveexec_b64 s[0:1], vcc
	s_cbranch_execnz .LBB96_203
.LBB96_197:
	s_endpgm
.LBB96_198:
	ds_read_b32 v4, v12 offset:2048
	s_or_b64 exec, exec, s[12:13]
	s_and_saveexec_b64 s[12:13], s[10:11]
	s_cbranch_execz .LBB96_185
.LBB96_199:
	ds_read_b32 v2, v12 offset:2052
	s_or_b64 exec, exec, s[12:13]
	s_and_saveexec_b64 s[18:19], s[0:1]
	s_cbranch_execz .LBB96_186
.LBB96_200:
	s_waitcnt lgkmcnt(0)
	ds_bpermute_b32 v13, v6, v4
	ds_bpermute_b32 v14, v6, v2
	s_waitcnt lgkmcnt(1)
	v_max_u32_e32 v15, v13, v4
	v_cmp_gt_u32_e64 s[12:13], v13, v4
	ds_bpermute_b32 v16, v7, v15
	s_waitcnt lgkmcnt(1)
	v_cndmask_b32_e64 v2, v2, v14, s[12:13]
	ds_bpermute_b32 v4, v7, v2
	s_waitcnt lgkmcnt(1)
	v_max_u32_e32 v13, v16, v15
	v_cmp_gt_u32_e64 s[12:13], v16, v15
	ds_bpermute_b32 v14, v8, v13
	s_waitcnt lgkmcnt(1)
	v_cndmask_b32_e64 v2, v2, v4, s[12:13]
	ds_bpermute_b32 v4, v8, v2
	s_waitcnt lgkmcnt(1)
	v_max_u32_e32 v15, v14, v13
	v_cmp_gt_u32_e64 s[12:13], v14, v13
	ds_bpermute_b32 v16, v9, v15
	s_waitcnt lgkmcnt(1)
	v_cndmask_b32_e64 v2, v2, v4, s[12:13]
	ds_bpermute_b32 v4, v9, v2
	s_waitcnt lgkmcnt(1)
	v_max_u32_e32 v13, v16, v15
	v_cmp_gt_u32_e64 s[12:13], v16, v15
	ds_bpermute_b32 v14, v10, v13
	s_waitcnt lgkmcnt(1)
	v_cndmask_b32_e64 v2, v2, v4, s[12:13]
	ds_bpermute_b32 v4, v10, v2
	s_waitcnt lgkmcnt(1)
	v_max_u32_e32 v15, v14, v13
	v_cmp_gt_u32_e64 s[12:13], v14, v13
	s_waitcnt lgkmcnt(0)
	v_cndmask_b32_e64 v2, v2, v4, s[12:13]
	ds_bpermute_b32 v4, v11, v15
	ds_bpermute_b32 v13, v11, v2
	s_waitcnt lgkmcnt(1)
	v_cmp_gt_u32_e64 s[12:13], v4, v15
	s_waitcnt lgkmcnt(0)
	v_cndmask_b32_e64 v2, v2, v13, s[12:13]
	s_or_b64 exec, exec, s[18:19]
	s_and_saveexec_b64 s[12:13], vcc
	s_cbranch_execnz .LBB96_187
	s_branch .LBB96_188
.LBB96_201:
	v_lshlrev_b32_e32 v0, 2, v5
	v_sub_u32_e32 v0, v12, v0
	ds_read_b32 v0, v0
	s_or_b64 exec, exec, s[2:3]
	s_and_saveexec_b64 s[2:3], s[0:1]
	s_cbranch_execz .LBB96_196
.LBB96_202:
	s_waitcnt lgkmcnt(0)
	ds_bpermute_b32 v1, v6, v0
	s_waitcnt lgkmcnt(0)
	v_max_u32_e32 v0, v1, v0
	ds_bpermute_b32 v1, v7, v0
	s_waitcnt lgkmcnt(0)
	v_max_u32_e32 v0, v1, v0
	;; [unrolled: 3-line block ×6, first 2 shown]
	s_or_b64 exec, exec, s[2:3]
	s_and_saveexec_b64 s[0:1], vcc
	s_cbranch_execz .LBB96_197
.LBB96_203:
	s_load_dword s6, s[4:5], 0xd8
	s_load_dwordx2 s[0:1], s[4:5], 0xe0
	s_add_u32 s2, s4, 8
	s_addc_u32 s3, s5, 0
	s_mov_b32 s5, 0
	s_waitcnt lgkmcnt(0)
	s_cmp_lt_i32 s6, 2
	s_cbranch_scc1 .LBB96_206
; %bb.204:
	s_add_i32 s4, s6, -1
	s_add_i32 s8, s6, 1
	s_lshl_b64 s[6:7], s[4:5], 2
	s_add_u32 s4, s2, s6
	s_addc_u32 s7, s3, s7
	s_add_u32 s6, s4, 8
	s_addc_u32 s7, s7, 0
.LBB96_205:                             ; =>This Inner Loop Header: Depth=1
	s_load_dword s4, s[6:7], 0x0
	s_load_dword s10, s[6:7], 0x64
	s_mov_b32 s9, s20
	s_waitcnt lgkmcnt(0)
	v_cvt_f32_u32_e32 v1, s4
	s_sub_i32 s11, 0, s4
	v_rcp_iflag_f32_e32 v1, v1
	v_mul_f32_e32 v1, 0x4f7ffffe, v1
	v_cvt_u32_f32_e32 v1, v1
	v_readfirstlane_b32 s12, v1
	s_mul_i32 s11, s11, s12
	s_mul_hi_u32 s11, s12, s11
	s_add_i32 s12, s12, s11
	s_mul_hi_u32 s11, s20, s12
	s_mul_i32 s12, s11, s4
	s_sub_i32 s12, s20, s12
	s_add_i32 s13, s11, 1
	s_sub_i32 s14, s12, s4
	s_cmp_ge_u32 s12, s4
	s_cselect_b32 s11, s13, s11
	s_cselect_b32 s12, s14, s12
	s_add_i32 s13, s11, 1
	s_cmp_ge_u32 s12, s4
	s_cselect_b32 s20, s13, s11
	s_mul_i32 s4, s20, s4
	s_sub_i32 s4, s9, s4
	s_mul_i32 s4, s10, s4
	s_add_i32 s8, s8, -1
	s_add_i32 s5, s4, s5
	s_add_u32 s6, s6, -4
	s_addc_u32 s7, s7, -1
	s_cmp_gt_u32 s8, 2
	s_cbranch_scc1 .LBB96_205
.LBB96_206:
	s_load_dword s4, s[2:3], 0x6c
	v_mov_b32_e32 v1, 0
	s_load_dwordx2 s[2:3], s[2:3], 0x0
	ds_read_u8 v2, v1
	s_mov_b32 s7, 0
	s_waitcnt lgkmcnt(0)
	s_mul_i32 s4, s4, s20
	s_add_i32 s6, s4, s5
	v_mov_b32_e32 v3, s6
	global_store_byte v3, v2, s[2:3]
	s_lshl_b64 s[2:3], s[6:7], 3
	s_add_u32 s0, s0, s2
	s_addc_u32 s1, s1, s3
	global_store_dwordx2 v1, v[0:1], s[0:1]
	s_endpgm
	.section	.rodata,"a",@progbits
	.p2align	6, 0x0
	.amdhsa_kernel _ZN2at6native12compute_modeIbLj2048EEEvPKT_NS_4cuda6detail10TensorInfoIS2_jEENS7_IljEEll
		.amdhsa_group_segment_fixed_size 1
		.amdhsa_private_segment_fixed_size 0
		.amdhsa_kernarg_size 712
		.amdhsa_user_sgpr_count 6
		.amdhsa_user_sgpr_private_segment_buffer 1
		.amdhsa_user_sgpr_dispatch_ptr 0
		.amdhsa_user_sgpr_queue_ptr 0
		.amdhsa_user_sgpr_kernarg_segment_ptr 1
		.amdhsa_user_sgpr_dispatch_id 0
		.amdhsa_user_sgpr_flat_scratch_init 0
		.amdhsa_user_sgpr_private_segment_size 0
		.amdhsa_uses_dynamic_stack 0
		.amdhsa_system_sgpr_private_segment_wavefront_offset 0
		.amdhsa_system_sgpr_workgroup_id_x 1
		.amdhsa_system_sgpr_workgroup_id_y 1
		.amdhsa_system_sgpr_workgroup_id_z 1
		.amdhsa_system_sgpr_workgroup_info 0
		.amdhsa_system_vgpr_workitem_id 0
		.amdhsa_next_free_vgpr 20
		.amdhsa_next_free_sgpr 22
		.amdhsa_reserve_vcc 1
		.amdhsa_reserve_flat_scratch 0
		.amdhsa_float_round_mode_32 0
		.amdhsa_float_round_mode_16_64 0
		.amdhsa_float_denorm_mode_32 3
		.amdhsa_float_denorm_mode_16_64 3
		.amdhsa_dx10_clamp 1
		.amdhsa_ieee_mode 1
		.amdhsa_fp16_overflow 0
		.amdhsa_exception_fp_ieee_invalid_op 0
		.amdhsa_exception_fp_denorm_src 0
		.amdhsa_exception_fp_ieee_div_zero 0
		.amdhsa_exception_fp_ieee_overflow 0
		.amdhsa_exception_fp_ieee_underflow 0
		.amdhsa_exception_fp_ieee_inexact 0
		.amdhsa_exception_int_div_zero 0
	.end_amdhsa_kernel
	.section	.text._ZN2at6native12compute_modeIbLj2048EEEvPKT_NS_4cuda6detail10TensorInfoIS2_jEENS7_IljEEll,"axG",@progbits,_ZN2at6native12compute_modeIbLj2048EEEvPKT_NS_4cuda6detail10TensorInfoIS2_jEENS7_IljEEll,comdat
.Lfunc_end96:
	.size	_ZN2at6native12compute_modeIbLj2048EEEvPKT_NS_4cuda6detail10TensorInfoIS2_jEENS7_IljEEll, .Lfunc_end96-_ZN2at6native12compute_modeIbLj2048EEEvPKT_NS_4cuda6detail10TensorInfoIS2_jEENS7_IljEEll
                                        ; -- End function
	.set _ZN2at6native12compute_modeIbLj2048EEEvPKT_NS_4cuda6detail10TensorInfoIS2_jEENS7_IljEEll.num_vgpr, 20
	.set _ZN2at6native12compute_modeIbLj2048EEEvPKT_NS_4cuda6detail10TensorInfoIS2_jEENS7_IljEEll.num_agpr, 0
	.set _ZN2at6native12compute_modeIbLj2048EEEvPKT_NS_4cuda6detail10TensorInfoIS2_jEENS7_IljEEll.numbered_sgpr, 22
	.set _ZN2at6native12compute_modeIbLj2048EEEvPKT_NS_4cuda6detail10TensorInfoIS2_jEENS7_IljEEll.num_named_barrier, 0
	.set _ZN2at6native12compute_modeIbLj2048EEEvPKT_NS_4cuda6detail10TensorInfoIS2_jEENS7_IljEEll.private_seg_size, 0
	.set _ZN2at6native12compute_modeIbLj2048EEEvPKT_NS_4cuda6detail10TensorInfoIS2_jEENS7_IljEEll.uses_vcc, 1
	.set _ZN2at6native12compute_modeIbLj2048EEEvPKT_NS_4cuda6detail10TensorInfoIS2_jEENS7_IljEEll.uses_flat_scratch, 0
	.set _ZN2at6native12compute_modeIbLj2048EEEvPKT_NS_4cuda6detail10TensorInfoIS2_jEENS7_IljEEll.has_dyn_sized_stack, 0
	.set _ZN2at6native12compute_modeIbLj2048EEEvPKT_NS_4cuda6detail10TensorInfoIS2_jEENS7_IljEEll.has_recursion, 0
	.set _ZN2at6native12compute_modeIbLj2048EEEvPKT_NS_4cuda6detail10TensorInfoIS2_jEENS7_IljEEll.has_indirect_call, 0
	.section	.AMDGPU.csdata,"",@progbits
; Kernel info:
; codeLenInByte = 14896
; TotalNumSgprs: 26
; NumVgprs: 20
; ScratchSize: 0
; MemoryBound: 0
; FloatMode: 240
; IeeeMode: 1
; LDSByteSize: 1 bytes/workgroup (compile time only)
; SGPRBlocks: 3
; VGPRBlocks: 4
; NumSGPRsForWavesPerEU: 26
; NumVGPRsForWavesPerEU: 20
; Occupancy: 10
; WaveLimiterHint : 1
; COMPUTE_PGM_RSRC2:SCRATCH_EN: 0
; COMPUTE_PGM_RSRC2:USER_SGPR: 6
; COMPUTE_PGM_RSRC2:TRAP_HANDLER: 0
; COMPUTE_PGM_RSRC2:TGID_X_EN: 1
; COMPUTE_PGM_RSRC2:TGID_Y_EN: 1
; COMPUTE_PGM_RSRC2:TGID_Z_EN: 1
; COMPUTE_PGM_RSRC2:TIDIG_COMP_CNT: 0
	.section	.text._ZN2at6native12compute_modeIbLj1024EEEvPKT_NS_4cuda6detail10TensorInfoIS2_jEENS7_IljEEll,"axG",@progbits,_ZN2at6native12compute_modeIbLj1024EEEvPKT_NS_4cuda6detail10TensorInfoIS2_jEENS7_IljEEll,comdat
	.protected	_ZN2at6native12compute_modeIbLj1024EEEvPKT_NS_4cuda6detail10TensorInfoIS2_jEENS7_IljEEll ; -- Begin function _ZN2at6native12compute_modeIbLj1024EEEvPKT_NS_4cuda6detail10TensorInfoIS2_jEENS7_IljEEll
	.globl	_ZN2at6native12compute_modeIbLj1024EEEvPKT_NS_4cuda6detail10TensorInfoIS2_jEENS7_IljEEll
	.p2align	8
	.type	_ZN2at6native12compute_modeIbLj1024EEEvPKT_NS_4cuda6detail10TensorInfoIS2_jEENS7_IljEEll,@function
_ZN2at6native12compute_modeIbLj1024EEEvPKT_NS_4cuda6detail10TensorInfoIS2_jEENS7_IljEEll: ; @_ZN2at6native12compute_modeIbLj1024EEEvPKT_NS_4cuda6detail10TensorInfoIS2_jEENS7_IljEEll
; %bb.0:
	s_load_dwordx2 s[2:3], s[4:5], 0x1c8
	s_load_dwordx4 s[16:19], s[4:5], 0x1b8
	s_add_u32 s0, s4, 0x1c8
	s_addc_u32 s1, s5, 0
	v_mov_b32_e32 v2, 0
	s_waitcnt lgkmcnt(0)
	s_mul_i32 s3, s3, s8
	s_add_i32 s3, s3, s7
	s_mul_i32 s2, s3, s2
	s_add_i32 s20, s2, s6
	v_mov_b32_e32 v1, s20
	v_cmp_le_i64_e32 vcc, s[18:19], v[1:2]
	s_cbranch_vccnz .LBB97_173
; %bb.1:
	s_load_dwordx2 s[14:15], s[4:5], 0x0
	s_load_dword s6, s[0:1], 0xc
	v_mov_b32_e32 v1, v2
	v_cmp_gt_i64_e32 vcc, s[16:17], v[0:1]
	s_mul_i32 s21, s20, s16
	v_add_u32_e32 v3, 1, v0
	s_and_saveexec_b64 s[2:3], vcc
	s_cbranch_execz .LBB97_3
; %bb.2:
	v_add_u32_e32 v1, s21, v0
	s_waitcnt lgkmcnt(0)
	global_load_ubyte v1, v1, s[14:15]
	s_waitcnt vmcnt(0)
	v_cmp_ne_u16_e64 s[0:1], 0, v1
	v_cndmask_b32_e64 v1, 0, 1, s[0:1]
	ds_write_b8 v3, v1
.LBB97_3:
	s_or_b64 exec, exec, s[2:3]
	s_waitcnt lgkmcnt(0)
	s_and_b32 s18, 0xffff, s6
	v_add_u32_e32 v1, s18, v0
	v_cmp_gt_i64_e64 s[0:1], s[16:17], v[1:2]
	s_and_saveexec_b64 s[6:7], s[0:1]
	s_cbranch_execz .LBB97_5
; %bb.4:
	v_add_u32_e32 v2, s21, v1
	global_load_ubyte v2, v2, s[14:15]
	v_add_u32_e32 v1, 1, v1
	s_waitcnt vmcnt(0)
	v_cmp_ne_u16_e64 s[2:3], 0, v2
	v_cndmask_b32_e64 v2, 0, 1, s[2:3]
	ds_write_b8 v1, v2
.LBB97_5:
	s_or_b64 exec, exec, s[6:7]
	v_cndmask_b32_e64 v1, 0, 1, vcc
	ds_write_b8 v3, v1 offset:1024
	v_add_u32_e32 v1, s18, v3
	v_cndmask_b32_e64 v2, 0, 1, s[0:1]
	ds_write_b8 v1, v2 offset:1024
	v_add_u32_e32 v2, v3, v0
	s_waitcnt lgkmcnt(0)
	s_barrier
	s_barrier
	ds_read_u8 v1, v2
	ds_read_u8 v5, v2 offset:1
	ds_read_u8 v4, v2 offset:1024
	ds_read_u8 v6, v2 offset:1025
	v_and_b32_e32 v3, 1, v0
	s_waitcnt lgkmcnt(2)
	v_cmp_lt_u16_e32 vcc, v1, v5
	s_waitcnt lgkmcnt(1)
	v_and_b32_e32 v7, 1, v4
	v_cmp_eq_u32_e64 s[0:1], 1, v7
	s_waitcnt lgkmcnt(0)
	v_cmp_ne_u16_e64 s[2:3], v6, v3
	v_cndmask_b32_e64 v7, 0, 1, s[2:3]
	s_and_b64 vcc, vcc, s[0:1]
	v_cndmask_b32_e32 v7, v7, v0, vcc
	v_and_b32_e32 v7, 1, v7
	v_cmp_eq_u32_e32 vcc, 1, v7
	s_and_saveexec_b64 s[0:1], vcc
	s_cbranch_execz .LBB97_7
; %bb.6:
	ds_write_b8 v2, v5
	ds_write_b8 v2, v1 offset:1
	ds_write_b8 v2, v6 offset:1024
	;; [unrolled: 1-line block ×3, first 2 shown]
.LBB97_7:
	s_or_b64 exec, exec, s[0:1]
	v_lshlrev_b32_e32 v1, 1, v0
	v_sub_u32_e32 v3, v1, v3
	v_add_u32_e32 v3, 1, v3
	s_waitcnt lgkmcnt(0)
	s_barrier
	ds_read_u8 v5, v3
	ds_read_u8 v7, v3 offset:2
	ds_read_u8 v6, v3 offset:1024
	;; [unrolled: 1-line block ×3, first 2 shown]
	v_bfe_u32 v9, v0, 1, 1
	v_and_b32_e32 v4, 2, v0
	s_waitcnt lgkmcnt(2)
	v_cmp_lt_u16_e64 s[0:1], v5, v7
	s_waitcnt lgkmcnt(1)
	v_and_b32_e32 v10, 1, v6
	v_cmp_eq_u32_e64 s[2:3], 1, v10
	s_waitcnt lgkmcnt(0)
	v_cmp_ne_u16_e64 s[6:7], v8, v9
	v_cndmask_b32_e64 v10, 0, 1, s[6:7]
	s_and_b64 s[0:1], s[0:1], s[2:3]
	v_cndmask_b32_e64 v9, v10, v9, s[0:1]
	v_and_b32_e32 v9, 1, v9
	v_cmp_ne_u32_e32 vcc, 0, v4
	v_cmp_eq_u32_e64 s[0:1], 1, v9
	s_and_saveexec_b64 s[2:3], s[0:1]
	s_xor_b64 s[0:1], exec, s[2:3]
	s_cbranch_execz .LBB97_9
; %bb.8:
	ds_write_b8 v3, v7
	ds_write_b8 v3, v5 offset:2
	ds_write_b8 v3, v8 offset:1024
	;; [unrolled: 1-line block ×3, first 2 shown]
.LBB97_9:
	s_or_b64 exec, exec, s[0:1]
	s_waitcnt lgkmcnt(0)
	s_barrier
	ds_read_u8 v5, v2
	ds_read_u8 v7, v2 offset:1
	ds_read_u8 v6, v2 offset:1024
	;; [unrolled: 1-line block ×3, first 2 shown]
	v_lshrrev_b32_e32 v4, 1, v4
	s_waitcnt lgkmcnt(2)
	v_cmp_lt_u16_e64 s[0:1], v5, v7
	s_waitcnt lgkmcnt(1)
	v_and_b32_e32 v9, 1, v6
	v_cmp_eq_u32_e64 s[2:3], 1, v9
	s_waitcnt lgkmcnt(0)
	v_cmp_ne_u16_e64 s[6:7], v8, v4
	v_cndmask_b32_e64 v4, 0, 1, s[6:7]
	v_cndmask_b32_e64 v9, 0, 1, vcc
	s_and_b64 vcc, s[0:1], s[2:3]
	v_cndmask_b32_e32 v4, v4, v9, vcc
	v_and_b32_e32 v4, 1, v4
	v_cmp_eq_u32_e32 vcc, 1, v4
	s_and_saveexec_b64 s[0:1], vcc
	s_cbranch_execz .LBB97_11
; %bb.10:
	ds_write_b8 v2, v7
	ds_write_b8 v2, v5 offset:1
	ds_write_b8 v2, v8 offset:1024
	;; [unrolled: 1-line block ×3, first 2 shown]
.LBB97_11:
	s_or_b64 exec, exec, s[0:1]
	v_and_b32_e32 v4, 3, v0
	v_sub_u32_e32 v4, v1, v4
	v_add_u32_e32 v4, 1, v4
	s_waitcnt lgkmcnt(0)
	s_barrier
	ds_read_u8 v6, v4
	ds_read_u8 v8, v4 offset:4
	ds_read_u8 v7, v4 offset:1024
	ds_read_u8 v9, v4 offset:1028
	v_bfe_u32 v10, v0, 2, 1
	v_and_b32_e32 v5, 4, v0
	s_waitcnt lgkmcnt(2)
	v_cmp_lt_u16_e64 s[0:1], v6, v8
	s_waitcnt lgkmcnt(1)
	v_and_b32_e32 v11, 1, v7
	v_cmp_eq_u32_e64 s[2:3], 1, v11
	s_waitcnt lgkmcnt(0)
	v_cmp_ne_u16_e64 s[6:7], v9, v10
	v_cndmask_b32_e64 v11, 0, 1, s[6:7]
	s_and_b64 s[0:1], s[0:1], s[2:3]
	v_cndmask_b32_e64 v10, v11, v10, s[0:1]
	v_and_b32_e32 v10, 1, v10
	v_cmp_ne_u32_e32 vcc, 0, v5
	v_cmp_eq_u32_e64 s[0:1], 1, v10
	s_and_saveexec_b64 s[2:3], s[0:1]
	s_cbranch_execz .LBB97_13
; %bb.12:
	ds_write_b8 v4, v8
	ds_write_b8 v4, v6 offset:4
	ds_write_b8 v4, v9 offset:1024
	;; [unrolled: 1-line block ×3, first 2 shown]
.LBB97_13:
	s_or_b64 exec, exec, s[2:3]
	s_waitcnt lgkmcnt(0)
	s_barrier
	ds_read_u8 v7, v3
	ds_read_u8 v9, v3 offset:2
	ds_read_u8 v8, v3 offset:1024
	ds_read_u8 v10, v3 offset:1026
	v_lshrrev_b32_e32 v5, 2, v5
	s_waitcnt lgkmcnt(2)
	v_cmp_lt_u16_e64 s[0:1], v7, v9
	s_waitcnt lgkmcnt(1)
	v_and_b32_e32 v6, 1, v8
	v_cmp_eq_u32_e64 s[2:3], 1, v6
	s_waitcnt lgkmcnt(0)
	v_cmp_ne_u16_e64 s[6:7], v10, v5
	v_cndmask_b32_e64 v11, 0, 1, s[6:7]
	v_cndmask_b32_e64 v6, 0, 1, vcc
	s_and_b64 vcc, s[0:1], s[2:3]
	v_cndmask_b32_e32 v11, v11, v6, vcc
	v_and_b32_e32 v11, 1, v11
	v_cmp_eq_u32_e32 vcc, 1, v11
	s_and_saveexec_b64 s[0:1], vcc
	s_cbranch_execz .LBB97_15
; %bb.14:
	ds_write_b8 v3, v9
	ds_write_b8 v3, v7 offset:2
	ds_write_b8 v3, v10 offset:1024
	;; [unrolled: 1-line block ×3, first 2 shown]
.LBB97_15:
	s_or_b64 exec, exec, s[0:1]
	s_waitcnt lgkmcnt(0)
	s_barrier
	ds_read_u8 v7, v2
	ds_read_u8 v9, v2 offset:1
	ds_read_u8 v8, v2 offset:1024
	;; [unrolled: 1-line block ×3, first 2 shown]
	s_waitcnt lgkmcnt(2)
	v_cmp_lt_u16_e32 vcc, v7, v9
	s_waitcnt lgkmcnt(1)
	v_and_b32_e32 v11, 1, v8
	v_cmp_eq_u32_e64 s[0:1], 1, v11
	s_waitcnt lgkmcnt(0)
	v_cmp_ne_u16_e64 s[2:3], v10, v5
	v_cndmask_b32_e64 v5, 0, 1, s[2:3]
	s_and_b64 vcc, vcc, s[0:1]
	v_cndmask_b32_e32 v5, v5, v6, vcc
	v_and_b32_e32 v5, 1, v5
	v_cmp_eq_u32_e32 vcc, 1, v5
	s_and_saveexec_b64 s[0:1], vcc
	s_cbranch_execz .LBB97_17
; %bb.16:
	ds_write_b8 v2, v9
	ds_write_b8 v2, v7 offset:1
	ds_write_b8 v2, v10 offset:1024
	ds_write_b8 v2, v8 offset:1025
.LBB97_17:
	s_or_b64 exec, exec, s[0:1]
	v_and_b32_e32 v6, 7, v0
	v_sub_u32_e32 v6, v1, v6
	v_add_u32_e32 v6, 1, v6
	s_waitcnt lgkmcnt(0)
	s_barrier
	ds_read_u8 v7, v6
	ds_read_u8 v9, v6 offset:8
	ds_read_u8 v8, v6 offset:1024
	;; [unrolled: 1-line block ×3, first 2 shown]
	v_bfe_u32 v11, v0, 3, 1
	v_and_b32_e32 v5, 8, v0
	s_waitcnt lgkmcnt(2)
	v_cmp_lt_u16_e64 s[0:1], v7, v9
	s_waitcnt lgkmcnt(1)
	v_and_b32_e32 v12, 1, v8
	v_cmp_eq_u32_e64 s[2:3], 1, v12
	s_waitcnt lgkmcnt(0)
	v_cmp_ne_u16_e64 s[6:7], v10, v11
	v_cndmask_b32_e64 v12, 0, 1, s[6:7]
	s_and_b64 s[0:1], s[0:1], s[2:3]
	v_cndmask_b32_e64 v11, v12, v11, s[0:1]
	v_and_b32_e32 v11, 1, v11
	v_cmp_ne_u32_e32 vcc, 0, v5
	v_cmp_eq_u32_e64 s[0:1], 1, v11
	s_and_saveexec_b64 s[2:3], s[0:1]
	s_cbranch_execz .LBB97_19
; %bb.18:
	ds_write_b8 v6, v9
	ds_write_b8 v6, v7 offset:8
	ds_write_b8 v6, v10 offset:1024
	;; [unrolled: 1-line block ×3, first 2 shown]
.LBB97_19:
	s_or_b64 exec, exec, s[2:3]
	s_waitcnt lgkmcnt(0)
	s_barrier
	ds_read_u8 v8, v4
	ds_read_u8 v10, v4 offset:4
	ds_read_u8 v9, v4 offset:1024
	;; [unrolled: 1-line block ×3, first 2 shown]
	v_lshrrev_b32_e32 v5, 3, v5
	s_waitcnt lgkmcnt(2)
	v_cmp_lt_u16_e64 s[0:1], v8, v10
	s_waitcnt lgkmcnt(1)
	v_and_b32_e32 v7, 1, v9
	v_cmp_eq_u32_e64 s[2:3], 1, v7
	s_waitcnt lgkmcnt(0)
	v_cmp_ne_u16_e64 s[6:7], v11, v5
	v_cndmask_b32_e64 v12, 0, 1, s[6:7]
	v_cndmask_b32_e64 v7, 0, 1, vcc
	s_and_b64 vcc, s[0:1], s[2:3]
	v_cndmask_b32_e32 v12, v12, v7, vcc
	v_and_b32_e32 v12, 1, v12
	v_cmp_eq_u32_e32 vcc, 1, v12
	s_and_saveexec_b64 s[0:1], vcc
	s_cbranch_execz .LBB97_21
; %bb.20:
	ds_write_b8 v4, v10
	ds_write_b8 v4, v8 offset:4
	ds_write_b8 v4, v11 offset:1024
	;; [unrolled: 1-line block ×3, first 2 shown]
.LBB97_21:
	s_or_b64 exec, exec, s[0:1]
	s_waitcnt lgkmcnt(0)
	s_barrier
	ds_read_u8 v8, v3
	ds_read_u8 v10, v3 offset:2
	ds_read_u8 v9, v3 offset:1024
	;; [unrolled: 1-line block ×3, first 2 shown]
	s_waitcnt lgkmcnt(2)
	v_cmp_lt_u16_e32 vcc, v8, v10
	s_waitcnt lgkmcnt(1)
	v_and_b32_e32 v12, 1, v9
	v_cmp_eq_u32_e64 s[0:1], 1, v12
	s_waitcnt lgkmcnt(0)
	v_cmp_ne_u16_e64 s[2:3], v11, v5
	v_cndmask_b32_e64 v12, 0, 1, s[2:3]
	s_and_b64 vcc, vcc, s[0:1]
	v_cndmask_b32_e32 v12, v12, v7, vcc
	v_and_b32_e32 v12, 1, v12
	v_cmp_eq_u32_e32 vcc, 1, v12
	s_and_saveexec_b64 s[0:1], vcc
	s_cbranch_execz .LBB97_23
; %bb.22:
	ds_write_b8 v3, v10
	ds_write_b8 v3, v8 offset:2
	ds_write_b8 v3, v11 offset:1024
	;; [unrolled: 1-line block ×3, first 2 shown]
.LBB97_23:
	s_or_b64 exec, exec, s[0:1]
	s_waitcnt lgkmcnt(0)
	s_barrier
	ds_read_u8 v8, v2
	ds_read_u8 v10, v2 offset:1
	ds_read_u8 v9, v2 offset:1024
	;; [unrolled: 1-line block ×3, first 2 shown]
	s_waitcnt lgkmcnt(2)
	v_cmp_lt_u16_e32 vcc, v8, v10
	s_waitcnt lgkmcnt(1)
	v_and_b32_e32 v12, 1, v9
	v_cmp_eq_u32_e64 s[0:1], 1, v12
	s_waitcnt lgkmcnt(0)
	v_cmp_ne_u16_e64 s[2:3], v11, v5
	v_cndmask_b32_e64 v5, 0, 1, s[2:3]
	s_and_b64 vcc, vcc, s[0:1]
	v_cndmask_b32_e32 v5, v5, v7, vcc
	v_and_b32_e32 v5, 1, v5
	v_cmp_eq_u32_e32 vcc, 1, v5
	s_and_saveexec_b64 s[0:1], vcc
	s_cbranch_execz .LBB97_25
; %bb.24:
	ds_write_b8 v2, v10
	ds_write_b8 v2, v8 offset:1
	ds_write_b8 v2, v11 offset:1024
	ds_write_b8 v2, v9 offset:1025
.LBB97_25:
	s_or_b64 exec, exec, s[0:1]
	v_and_b32_e32 v7, 15, v0
	v_sub_u32_e32 v7, v1, v7
	v_add_u32_e32 v7, 1, v7
	s_waitcnt lgkmcnt(0)
	s_barrier
	ds_read_u8 v8, v7
	ds_read_u8 v10, v7 offset:16
	ds_read_u8 v9, v7 offset:1024
	;; [unrolled: 1-line block ×3, first 2 shown]
	v_bfe_u32 v12, v0, 4, 1
	v_and_b32_e32 v5, 16, v0
	s_waitcnt lgkmcnt(2)
	v_cmp_lt_u16_e64 s[0:1], v8, v10
	s_waitcnt lgkmcnt(1)
	v_and_b32_e32 v13, 1, v9
	v_cmp_eq_u32_e64 s[2:3], 1, v13
	s_waitcnt lgkmcnt(0)
	v_cmp_ne_u16_e64 s[6:7], v11, v12
	v_cndmask_b32_e64 v13, 0, 1, s[6:7]
	s_and_b64 s[0:1], s[0:1], s[2:3]
	v_cndmask_b32_e64 v12, v13, v12, s[0:1]
	v_and_b32_e32 v12, 1, v12
	v_cmp_ne_u32_e32 vcc, 0, v5
	v_cmp_eq_u32_e64 s[0:1], 1, v12
	s_and_saveexec_b64 s[2:3], s[0:1]
	s_cbranch_execz .LBB97_27
; %bb.26:
	ds_write_b8 v7, v10
	ds_write_b8 v7, v8 offset:16
	ds_write_b8 v7, v11 offset:1024
	;; [unrolled: 1-line block ×3, first 2 shown]
.LBB97_27:
	s_or_b64 exec, exec, s[2:3]
	s_waitcnt lgkmcnt(0)
	s_barrier
	ds_read_u8 v9, v6
	ds_read_u8 v11, v6 offset:8
	ds_read_u8 v10, v6 offset:1024
	ds_read_u8 v12, v6 offset:1032
	v_lshrrev_b32_e32 v5, 4, v5
	s_waitcnt lgkmcnt(2)
	v_cmp_lt_u16_e64 s[0:1], v9, v11
	s_waitcnt lgkmcnt(1)
	v_and_b32_e32 v8, 1, v10
	v_cmp_eq_u32_e64 s[2:3], 1, v8
	s_waitcnt lgkmcnt(0)
	v_cmp_ne_u16_e64 s[6:7], v12, v5
	v_cndmask_b32_e64 v13, 0, 1, s[6:7]
	v_cndmask_b32_e64 v8, 0, 1, vcc
	s_and_b64 vcc, s[0:1], s[2:3]
	v_cndmask_b32_e32 v13, v13, v8, vcc
	v_and_b32_e32 v13, 1, v13
	v_cmp_eq_u32_e32 vcc, 1, v13
	s_and_saveexec_b64 s[0:1], vcc
	s_cbranch_execz .LBB97_29
; %bb.28:
	ds_write_b8 v6, v11
	ds_write_b8 v6, v9 offset:8
	ds_write_b8 v6, v12 offset:1024
	ds_write_b8 v6, v10 offset:1032
.LBB97_29:
	s_or_b64 exec, exec, s[0:1]
	s_waitcnt lgkmcnt(0)
	s_barrier
	ds_read_u8 v9, v4
	ds_read_u8 v11, v4 offset:4
	ds_read_u8 v10, v4 offset:1024
	ds_read_u8 v12, v4 offset:1028
	s_waitcnt lgkmcnt(2)
	v_cmp_lt_u16_e32 vcc, v9, v11
	s_waitcnt lgkmcnt(1)
	v_and_b32_e32 v13, 1, v10
	v_cmp_eq_u32_e64 s[0:1], 1, v13
	s_waitcnt lgkmcnt(0)
	v_cmp_ne_u16_e64 s[2:3], v12, v5
	v_cndmask_b32_e64 v13, 0, 1, s[2:3]
	s_and_b64 vcc, vcc, s[0:1]
	v_cndmask_b32_e32 v13, v13, v8, vcc
	v_and_b32_e32 v13, 1, v13
	v_cmp_eq_u32_e32 vcc, 1, v13
	s_and_saveexec_b64 s[0:1], vcc
	s_cbranch_execz .LBB97_31
; %bb.30:
	ds_write_b8 v4, v11
	ds_write_b8 v4, v9 offset:4
	ds_write_b8 v4, v12 offset:1024
	ds_write_b8 v4, v10 offset:1028
.LBB97_31:
	s_or_b64 exec, exec, s[0:1]
	s_waitcnt lgkmcnt(0)
	s_barrier
	ds_read_u8 v9, v3
	ds_read_u8 v11, v3 offset:2
	ds_read_u8 v10, v3 offset:1024
	ds_read_u8 v12, v3 offset:1026
	s_waitcnt lgkmcnt(2)
	v_cmp_lt_u16_e32 vcc, v9, v11
	s_waitcnt lgkmcnt(1)
	v_and_b32_e32 v13, 1, v10
	v_cmp_eq_u32_e64 s[0:1], 1, v13
	s_waitcnt lgkmcnt(0)
	v_cmp_ne_u16_e64 s[2:3], v12, v5
	v_cndmask_b32_e64 v13, 0, 1, s[2:3]
	s_and_b64 vcc, vcc, s[0:1]
	v_cndmask_b32_e32 v13, v13, v8, vcc
	v_and_b32_e32 v13, 1, v13
	v_cmp_eq_u32_e32 vcc, 1, v13
	s_and_saveexec_b64 s[0:1], vcc
	s_cbranch_execz .LBB97_33
; %bb.32:
	ds_write_b8 v3, v11
	ds_write_b8 v3, v9 offset:2
	ds_write_b8 v3, v12 offset:1024
	ds_write_b8 v3, v10 offset:1026
.LBB97_33:
	s_or_b64 exec, exec, s[0:1]
	s_waitcnt lgkmcnt(0)
	s_barrier
	ds_read_u8 v9, v2
	ds_read_u8 v11, v2 offset:1
	ds_read_u8 v10, v2 offset:1024
	ds_read_u8 v12, v2 offset:1025
	s_waitcnt lgkmcnt(2)
	v_cmp_lt_u16_e32 vcc, v9, v11
	s_waitcnt lgkmcnt(1)
	v_and_b32_e32 v13, 1, v10
	v_cmp_eq_u32_e64 s[0:1], 1, v13
	s_waitcnt lgkmcnt(0)
	v_cmp_ne_u16_e64 s[2:3], v12, v5
	v_cndmask_b32_e64 v5, 0, 1, s[2:3]
	s_and_b64 vcc, vcc, s[0:1]
	v_cndmask_b32_e32 v5, v5, v8, vcc
	v_and_b32_e32 v5, 1, v5
	v_cmp_eq_u32_e32 vcc, 1, v5
	s_and_saveexec_b64 s[0:1], vcc
	s_cbranch_execz .LBB97_35
; %bb.34:
	ds_write_b8 v2, v11
	ds_write_b8 v2, v9 offset:1
	ds_write_b8 v2, v12 offset:1024
	;; [unrolled: 1-line block ×3, first 2 shown]
.LBB97_35:
	s_or_b64 exec, exec, s[0:1]
	v_and_b32_e32 v8, 31, v0
	v_sub_u32_e32 v8, v1, v8
	v_add_u32_e32 v8, 1, v8
	s_waitcnt lgkmcnt(0)
	s_barrier
	ds_read_u8 v9, v8
	ds_read_u8 v11, v8 offset:32
	ds_read_u8 v10, v8 offset:1024
	;; [unrolled: 1-line block ×3, first 2 shown]
	v_bfe_u32 v13, v0, 5, 1
	v_and_b32_e32 v5, 32, v0
	s_waitcnt lgkmcnt(2)
	v_cmp_lt_u16_e64 s[0:1], v9, v11
	s_waitcnt lgkmcnt(1)
	v_and_b32_e32 v14, 1, v10
	v_cmp_eq_u32_e64 s[2:3], 1, v14
	s_waitcnt lgkmcnt(0)
	v_cmp_ne_u16_e64 s[6:7], v12, v13
	v_cndmask_b32_e64 v14, 0, 1, s[6:7]
	s_and_b64 s[0:1], s[0:1], s[2:3]
	v_cndmask_b32_e64 v13, v14, v13, s[0:1]
	v_and_b32_e32 v13, 1, v13
	v_cmp_ne_u32_e32 vcc, 0, v5
	v_cmp_eq_u32_e64 s[0:1], 1, v13
	s_and_saveexec_b64 s[2:3], s[0:1]
	s_cbranch_execz .LBB97_37
; %bb.36:
	ds_write_b8 v8, v11
	ds_write_b8 v8, v9 offset:32
	ds_write_b8 v8, v12 offset:1024
	;; [unrolled: 1-line block ×3, first 2 shown]
.LBB97_37:
	s_or_b64 exec, exec, s[2:3]
	s_waitcnt lgkmcnt(0)
	s_barrier
	ds_read_u8 v10, v7
	ds_read_u8 v12, v7 offset:16
	ds_read_u8 v11, v7 offset:1024
	;; [unrolled: 1-line block ×3, first 2 shown]
	v_lshrrev_b32_e32 v5, 5, v5
	s_waitcnt lgkmcnt(2)
	v_cmp_lt_u16_e64 s[0:1], v10, v12
	s_waitcnt lgkmcnt(1)
	v_and_b32_e32 v9, 1, v11
	v_cmp_eq_u32_e64 s[2:3], 1, v9
	s_waitcnt lgkmcnt(0)
	v_cmp_ne_u16_e64 s[6:7], v13, v5
	v_cndmask_b32_e64 v14, 0, 1, s[6:7]
	v_cndmask_b32_e64 v9, 0, 1, vcc
	s_and_b64 vcc, s[0:1], s[2:3]
	v_cndmask_b32_e32 v14, v14, v9, vcc
	v_and_b32_e32 v14, 1, v14
	v_cmp_eq_u32_e32 vcc, 1, v14
	s_and_saveexec_b64 s[0:1], vcc
	s_cbranch_execz .LBB97_39
; %bb.38:
	ds_write_b8 v7, v12
	ds_write_b8 v7, v10 offset:16
	ds_write_b8 v7, v13 offset:1024
	ds_write_b8 v7, v11 offset:1040
.LBB97_39:
	s_or_b64 exec, exec, s[0:1]
	s_waitcnt lgkmcnt(0)
	s_barrier
	ds_read_u8 v10, v6
	ds_read_u8 v12, v6 offset:8
	ds_read_u8 v11, v6 offset:1024
	ds_read_u8 v13, v6 offset:1032
	s_waitcnt lgkmcnt(2)
	v_cmp_lt_u16_e32 vcc, v10, v12
	s_waitcnt lgkmcnt(1)
	v_and_b32_e32 v14, 1, v11
	v_cmp_eq_u32_e64 s[0:1], 1, v14
	s_waitcnt lgkmcnt(0)
	v_cmp_ne_u16_e64 s[2:3], v13, v5
	v_cndmask_b32_e64 v14, 0, 1, s[2:3]
	s_and_b64 vcc, vcc, s[0:1]
	v_cndmask_b32_e32 v14, v14, v9, vcc
	v_and_b32_e32 v14, 1, v14
	v_cmp_eq_u32_e32 vcc, 1, v14
	s_and_saveexec_b64 s[0:1], vcc
	s_cbranch_execz .LBB97_41
; %bb.40:
	ds_write_b8 v6, v12
	ds_write_b8 v6, v10 offset:8
	ds_write_b8 v6, v13 offset:1024
	ds_write_b8 v6, v11 offset:1032
.LBB97_41:
	s_or_b64 exec, exec, s[0:1]
	s_waitcnt lgkmcnt(0)
	s_barrier
	ds_read_u8 v10, v4
	ds_read_u8 v12, v4 offset:4
	ds_read_u8 v11, v4 offset:1024
	ds_read_u8 v13, v4 offset:1028
	s_waitcnt lgkmcnt(2)
	v_cmp_lt_u16_e32 vcc, v10, v12
	s_waitcnt lgkmcnt(1)
	v_and_b32_e32 v14, 1, v11
	v_cmp_eq_u32_e64 s[0:1], 1, v14
	s_waitcnt lgkmcnt(0)
	v_cmp_ne_u16_e64 s[2:3], v13, v5
	v_cndmask_b32_e64 v14, 0, 1, s[2:3]
	s_and_b64 vcc, vcc, s[0:1]
	;; [unrolled: 27-line block ×4, first 2 shown]
	v_cndmask_b32_e32 v5, v5, v9, vcc
	v_and_b32_e32 v5, 1, v5
	v_cmp_eq_u32_e32 vcc, 1, v5
	s_and_saveexec_b64 s[0:1], vcc
	s_cbranch_execz .LBB97_47
; %bb.46:
	ds_write_b8 v2, v12
	ds_write_b8 v2, v10 offset:1
	ds_write_b8 v2, v13 offset:1024
	;; [unrolled: 1-line block ×3, first 2 shown]
.LBB97_47:
	s_or_b64 exec, exec, s[0:1]
	v_and_b32_e32 v5, 63, v0
	v_sub_u32_e32 v9, v1, v5
	v_add_u32_e32 v9, 1, v9
	s_waitcnt lgkmcnt(0)
	s_barrier
	ds_read_u8 v11, v9
	ds_read_u8 v13, v9 offset:64
	ds_read_u8 v12, v9 offset:1024
	;; [unrolled: 1-line block ×3, first 2 shown]
	v_bfe_u32 v15, v0, 6, 1
	v_and_b32_e32 v10, 64, v0
	s_waitcnt lgkmcnt(2)
	v_cmp_lt_u16_e64 s[0:1], v11, v13
	s_waitcnt lgkmcnt(1)
	v_and_b32_e32 v16, 1, v12
	v_cmp_eq_u32_e64 s[2:3], 1, v16
	s_waitcnt lgkmcnt(0)
	v_cmp_ne_u16_e64 s[6:7], v14, v15
	v_cndmask_b32_e64 v16, 0, 1, s[6:7]
	s_and_b64 s[0:1], s[0:1], s[2:3]
	v_cndmask_b32_e64 v15, v16, v15, s[0:1]
	v_and_b32_e32 v15, 1, v15
	v_cmp_ne_u32_e32 vcc, 0, v10
	v_cmp_eq_u32_e64 s[0:1], 1, v15
	s_and_saveexec_b64 s[2:3], s[0:1]
	s_cbranch_execz .LBB97_49
; %bb.48:
	ds_write_b8 v9, v13
	ds_write_b8 v9, v11 offset:64
	ds_write_b8 v9, v14 offset:1024
	;; [unrolled: 1-line block ×3, first 2 shown]
.LBB97_49:
	s_or_b64 exec, exec, s[2:3]
	s_waitcnt lgkmcnt(0)
	s_barrier
	ds_read_u8 v12, v8
	ds_read_u8 v14, v8 offset:32
	ds_read_u8 v13, v8 offset:1024
	;; [unrolled: 1-line block ×3, first 2 shown]
	v_lshrrev_b32_e32 v10, 6, v10
	s_waitcnt lgkmcnt(2)
	v_cmp_lt_u16_e64 s[0:1], v12, v14
	s_waitcnt lgkmcnt(1)
	v_and_b32_e32 v11, 1, v13
	v_cmp_eq_u32_e64 s[2:3], 1, v11
	s_waitcnt lgkmcnt(0)
	v_cmp_ne_u16_e64 s[6:7], v15, v10
	v_cndmask_b32_e64 v16, 0, 1, s[6:7]
	v_cndmask_b32_e64 v11, 0, 1, vcc
	s_and_b64 vcc, s[0:1], s[2:3]
	v_cndmask_b32_e32 v16, v16, v11, vcc
	v_and_b32_e32 v16, 1, v16
	v_cmp_eq_u32_e32 vcc, 1, v16
	s_and_saveexec_b64 s[0:1], vcc
	s_cbranch_execz .LBB97_51
; %bb.50:
	ds_write_b8 v8, v14
	ds_write_b8 v8, v12 offset:32
	ds_write_b8 v8, v15 offset:1024
	ds_write_b8 v8, v13 offset:1056
.LBB97_51:
	s_or_b64 exec, exec, s[0:1]
	s_waitcnt lgkmcnt(0)
	s_barrier
	ds_read_u8 v12, v7
	ds_read_u8 v14, v7 offset:16
	ds_read_u8 v13, v7 offset:1024
	ds_read_u8 v15, v7 offset:1040
	s_waitcnt lgkmcnt(2)
	v_cmp_lt_u16_e32 vcc, v12, v14
	s_waitcnt lgkmcnt(1)
	v_and_b32_e32 v16, 1, v13
	v_cmp_eq_u32_e64 s[0:1], 1, v16
	s_waitcnt lgkmcnt(0)
	v_cmp_ne_u16_e64 s[2:3], v15, v10
	v_cndmask_b32_e64 v16, 0, 1, s[2:3]
	s_and_b64 vcc, vcc, s[0:1]
	v_cndmask_b32_e32 v16, v16, v11, vcc
	v_and_b32_e32 v16, 1, v16
	v_cmp_eq_u32_e32 vcc, 1, v16
	s_and_saveexec_b64 s[0:1], vcc
	s_cbranch_execz .LBB97_53
; %bb.52:
	ds_write_b8 v7, v14
	ds_write_b8 v7, v12 offset:16
	ds_write_b8 v7, v15 offset:1024
	ds_write_b8 v7, v13 offset:1040
.LBB97_53:
	s_or_b64 exec, exec, s[0:1]
	s_waitcnt lgkmcnt(0)
	s_barrier
	ds_read_u8 v12, v6
	ds_read_u8 v14, v6 offset:8
	ds_read_u8 v13, v6 offset:1024
	ds_read_u8 v15, v6 offset:1032
	s_waitcnt lgkmcnt(2)
	v_cmp_lt_u16_e32 vcc, v12, v14
	s_waitcnt lgkmcnt(1)
	v_and_b32_e32 v16, 1, v13
	v_cmp_eq_u32_e64 s[0:1], 1, v16
	s_waitcnt lgkmcnt(0)
	v_cmp_ne_u16_e64 s[2:3], v15, v10
	v_cndmask_b32_e64 v16, 0, 1, s[2:3]
	s_and_b64 vcc, vcc, s[0:1]
	v_cndmask_b32_e32 v16, v16, v11, vcc
	v_and_b32_e32 v16, 1, v16
	v_cmp_eq_u32_e32 vcc, 1, v16
	s_and_saveexec_b64 s[0:1], vcc
	s_cbranch_execz .LBB97_55
; %bb.54:
	ds_write_b8 v6, v14
	ds_write_b8 v6, v12 offset:8
	ds_write_b8 v6, v15 offset:1024
	ds_write_b8 v6, v13 offset:1032
.LBB97_55:
	s_or_b64 exec, exec, s[0:1]
	s_waitcnt lgkmcnt(0)
	s_barrier
	ds_read_u8 v12, v4
	ds_read_u8 v14, v4 offset:4
	ds_read_u8 v13, v4 offset:1024
	ds_read_u8 v15, v4 offset:1028
	s_waitcnt lgkmcnt(2)
	v_cmp_lt_u16_e32 vcc, v12, v14
	s_waitcnt lgkmcnt(1)
	v_and_b32_e32 v16, 1, v13
	v_cmp_eq_u32_e64 s[0:1], 1, v16
	s_waitcnt lgkmcnt(0)
	v_cmp_ne_u16_e64 s[2:3], v15, v10
	v_cndmask_b32_e64 v16, 0, 1, s[2:3]
	s_and_b64 vcc, vcc, s[0:1]
	v_cndmask_b32_e32 v16, v16, v11, vcc
	v_and_b32_e32 v16, 1, v16
	v_cmp_eq_u32_e32 vcc, 1, v16
	s_and_saveexec_b64 s[0:1], vcc
	s_cbranch_execz .LBB97_57
; %bb.56:
	ds_write_b8 v4, v14
	ds_write_b8 v4, v12 offset:4
	ds_write_b8 v4, v15 offset:1024
	ds_write_b8 v4, v13 offset:1028
.LBB97_57:
	s_or_b64 exec, exec, s[0:1]
	s_waitcnt lgkmcnt(0)
	s_barrier
	ds_read_u8 v12, v3
	ds_read_u8 v14, v3 offset:2
	ds_read_u8 v13, v3 offset:1024
	ds_read_u8 v15, v3 offset:1026
	s_waitcnt lgkmcnt(2)
	v_cmp_lt_u16_e32 vcc, v12, v14
	s_waitcnt lgkmcnt(1)
	v_and_b32_e32 v16, 1, v13
	v_cmp_eq_u32_e64 s[0:1], 1, v16
	s_waitcnt lgkmcnt(0)
	v_cmp_ne_u16_e64 s[2:3], v15, v10
	v_cndmask_b32_e64 v16, 0, 1, s[2:3]
	s_and_b64 vcc, vcc, s[0:1]
	v_cndmask_b32_e32 v16, v16, v11, vcc
	v_and_b32_e32 v16, 1, v16
	v_cmp_eq_u32_e32 vcc, 1, v16
	s_and_saveexec_b64 s[0:1], vcc
	s_cbranch_execz .LBB97_59
; %bb.58:
	ds_write_b8 v3, v14
	ds_write_b8 v3, v12 offset:2
	ds_write_b8 v3, v15 offset:1024
	ds_write_b8 v3, v13 offset:1026
.LBB97_59:
	s_or_b64 exec, exec, s[0:1]
	s_waitcnt lgkmcnt(0)
	s_barrier
	ds_read_u8 v12, v2
	ds_read_u8 v14, v2 offset:1
	ds_read_u8 v13, v2 offset:1024
	ds_read_u8 v15, v2 offset:1025
	s_waitcnt lgkmcnt(2)
	v_cmp_lt_u16_e32 vcc, v12, v14
	s_waitcnt lgkmcnt(1)
	v_and_b32_e32 v16, 1, v13
	v_cmp_eq_u32_e64 s[0:1], 1, v16
	s_waitcnt lgkmcnt(0)
	v_cmp_ne_u16_e64 s[2:3], v15, v10
	v_cndmask_b32_e64 v10, 0, 1, s[2:3]
	s_and_b64 vcc, vcc, s[0:1]
	v_cndmask_b32_e32 v10, v10, v11, vcc
	v_and_b32_e32 v10, 1, v10
	v_cmp_eq_u32_e32 vcc, 1, v10
	s_and_saveexec_b64 s[0:1], vcc
	s_cbranch_execz .LBB97_61
; %bb.60:
	ds_write_b8 v2, v14
	ds_write_b8 v2, v12 offset:1
	ds_write_b8 v2, v15 offset:1024
	;; [unrolled: 1-line block ×3, first 2 shown]
.LBB97_61:
	s_or_b64 exec, exec, s[0:1]
	v_and_b32_e32 v10, 0x7f, v0
	v_sub_u32_e32 v10, v1, v10
	v_add_u32_e32 v10, 1, v10
	s_waitcnt lgkmcnt(0)
	s_barrier
	ds_read_u8 v12, v10
	ds_read_u8 v14, v10 offset:128
	ds_read_u8 v13, v10 offset:1024
	;; [unrolled: 1-line block ×3, first 2 shown]
	v_lshrrev_b32_e32 v16, 7, v0
	v_and_b32_e32 v11, 0x80, v0
	v_cmp_ne_u32_e32 vcc, 0, v11
	v_and_b32_e32 v11, 1, v16
	s_waitcnt lgkmcnt(1)
	v_and_b32_e32 v17, 1, v13
	v_cmp_lt_u16_e64 s[0:1], v12, v14
	v_cmp_eq_u32_e64 s[2:3], 1, v17
	s_waitcnt lgkmcnt(0)
	v_cmp_ne_u16_e64 s[6:7], v15, v11
	v_cndmask_b32_e64 v17, 0, 1, s[6:7]
	s_and_b64 s[0:1], s[0:1], s[2:3]
	v_cndmask_b32_e64 v16, v17, v16, s[0:1]
	v_and_b32_e32 v16, 1, v16
	v_cmp_eq_u32_e64 s[0:1], 1, v16
	s_and_saveexec_b64 s[2:3], s[0:1]
	s_cbranch_execz .LBB97_63
; %bb.62:
	ds_write_b8 v10, v14
	ds_write_b8 v10, v12 offset:128
	ds_write_b8 v10, v15 offset:1024
	;; [unrolled: 1-line block ×3, first 2 shown]
.LBB97_63:
	s_or_b64 exec, exec, s[2:3]
	s_waitcnt lgkmcnt(0)
	s_barrier
	ds_read_u8 v13, v9
	ds_read_u8 v15, v9 offset:64
	ds_read_u8 v14, v9 offset:1024
	;; [unrolled: 1-line block ×3, first 2 shown]
	s_waitcnt lgkmcnt(2)
	v_cmp_lt_u16_e64 s[0:1], v13, v15
	s_waitcnt lgkmcnt(1)
	v_and_b32_e32 v12, 1, v14
	v_cmp_eq_u32_e64 s[2:3], 1, v12
	s_waitcnt lgkmcnt(0)
	v_cmp_ne_u16_e64 s[6:7], v16, v11
	v_cndmask_b32_e64 v17, 0, 1, s[6:7]
	v_cndmask_b32_e64 v12, 0, 1, vcc
	s_and_b64 vcc, s[0:1], s[2:3]
	v_cndmask_b32_e32 v17, v17, v12, vcc
	v_and_b32_e32 v17, 1, v17
	v_cmp_eq_u32_e32 vcc, 1, v17
	s_and_saveexec_b64 s[0:1], vcc
	s_cbranch_execz .LBB97_65
; %bb.64:
	ds_write_b8 v9, v15
	ds_write_b8 v9, v13 offset:64
	ds_write_b8 v9, v16 offset:1024
	ds_write_b8 v9, v14 offset:1088
.LBB97_65:
	s_or_b64 exec, exec, s[0:1]
	s_waitcnt lgkmcnt(0)
	s_barrier
	ds_read_u8 v13, v8
	ds_read_u8 v15, v8 offset:32
	ds_read_u8 v14, v8 offset:1024
	ds_read_u8 v16, v8 offset:1056
	s_waitcnt lgkmcnt(2)
	v_cmp_lt_u16_e32 vcc, v13, v15
	s_waitcnt lgkmcnt(1)
	v_and_b32_e32 v17, 1, v14
	v_cmp_eq_u32_e64 s[0:1], 1, v17
	s_waitcnt lgkmcnt(0)
	v_cmp_ne_u16_e64 s[2:3], v16, v11
	v_cndmask_b32_e64 v17, 0, 1, s[2:3]
	s_and_b64 vcc, vcc, s[0:1]
	v_cndmask_b32_e32 v17, v17, v12, vcc
	v_and_b32_e32 v17, 1, v17
	v_cmp_eq_u32_e32 vcc, 1, v17
	s_and_saveexec_b64 s[0:1], vcc
	s_cbranch_execz .LBB97_67
; %bb.66:
	ds_write_b8 v8, v15
	ds_write_b8 v8, v13 offset:32
	ds_write_b8 v8, v16 offset:1024
	ds_write_b8 v8, v14 offset:1056
.LBB97_67:
	s_or_b64 exec, exec, s[0:1]
	s_waitcnt lgkmcnt(0)
	s_barrier
	ds_read_u8 v13, v7
	ds_read_u8 v15, v7 offset:16
	ds_read_u8 v14, v7 offset:1024
	ds_read_u8 v16, v7 offset:1040
	s_waitcnt lgkmcnt(2)
	v_cmp_lt_u16_e32 vcc, v13, v15
	s_waitcnt lgkmcnt(1)
	v_and_b32_e32 v17, 1, v14
	v_cmp_eq_u32_e64 s[0:1], 1, v17
	s_waitcnt lgkmcnt(0)
	v_cmp_ne_u16_e64 s[2:3], v16, v11
	v_cndmask_b32_e64 v17, 0, 1, s[2:3]
	s_and_b64 vcc, vcc, s[0:1]
	;; [unrolled: 27-line block ×6, first 2 shown]
	v_cndmask_b32_e32 v11, v11, v12, vcc
	v_and_b32_e32 v11, 1, v11
	v_cmp_eq_u32_e32 vcc, 1, v11
	s_and_saveexec_b64 s[0:1], vcc
	s_cbranch_execz .LBB97_77
; %bb.76:
	ds_write_b8 v2, v15
	ds_write_b8 v2, v13 offset:1
	ds_write_b8 v2, v16 offset:1024
	;; [unrolled: 1-line block ×3, first 2 shown]
.LBB97_77:
	s_or_b64 exec, exec, s[0:1]
	v_sub_u32_sdwa v11, v1, v0 dst_sel:DWORD dst_unused:UNUSED_PAD src0_sel:DWORD src1_sel:BYTE_0
	v_add_u32_e32 v11, 1, v11
	v_and_b32_e32 v16, 0x100, v0
	s_waitcnt lgkmcnt(0)
	s_barrier
	ds_read_u8 v13, v11
	ds_read_u8 v15, v11 offset:256
	ds_read_u8 v14, v11 offset:1024
	v_cmp_ne_u32_e32 vcc, 0, v16
	ds_read_u8 v16, v11 offset:1280
	v_bfe_u32 v17, v0, 8, 1
	s_waitcnt lgkmcnt(2)
	v_cmp_lt_u16_e64 s[0:1], v13, v15
	s_waitcnt lgkmcnt(1)
	v_and_b32_e32 v18, 1, v14
	v_cmp_eq_u32_e64 s[2:3], 1, v18
	s_waitcnt lgkmcnt(0)
	v_cmp_ne_u16_e64 s[6:7], v16, v17
	v_cndmask_b32_e64 v18, 0, 1, s[6:7]
	s_and_b64 s[0:1], s[0:1], s[2:3]
	v_cndmask_b32_e64 v17, v18, v17, s[0:1]
	v_and_b32_e32 v17, 1, v17
	v_and_b32_e32 v12, 0x100, v0
	v_cmp_eq_u32_e64 s[0:1], 1, v17
	s_and_saveexec_b64 s[2:3], s[0:1]
	s_cbranch_execz .LBB97_79
; %bb.78:
	ds_write_b8 v11, v15
	ds_write_b8 v11, v13 offset:256
	ds_write_b8 v11, v16 offset:1024
	;; [unrolled: 1-line block ×3, first 2 shown]
.LBB97_79:
	s_or_b64 exec, exec, s[2:3]
	s_waitcnt lgkmcnt(0)
	s_barrier
	ds_read_u8 v14, v10
	ds_read_u8 v16, v10 offset:128
	ds_read_u8 v15, v10 offset:1024
	;; [unrolled: 1-line block ×3, first 2 shown]
	v_lshrrev_b32_e32 v12, 8, v12
	s_waitcnt lgkmcnt(2)
	v_cmp_lt_u16_e64 s[0:1], v14, v16
	s_waitcnt lgkmcnt(1)
	v_and_b32_e32 v13, 1, v15
	v_cmp_eq_u32_e64 s[2:3], 1, v13
	s_waitcnt lgkmcnt(0)
	v_cmp_ne_u16_e64 s[6:7], v17, v12
	v_cndmask_b32_e64 v18, 0, 1, s[6:7]
	v_cndmask_b32_e64 v13, 0, 1, vcc
	s_and_b64 vcc, s[0:1], s[2:3]
	v_cndmask_b32_e32 v18, v18, v13, vcc
	v_and_b32_e32 v18, 1, v18
	v_cmp_eq_u32_e32 vcc, 1, v18
	s_and_saveexec_b64 s[0:1], vcc
	s_cbranch_execz .LBB97_81
; %bb.80:
	ds_write_b8 v10, v16
	ds_write_b8 v10, v14 offset:128
	ds_write_b8 v10, v17 offset:1024
	ds_write_b8 v10, v15 offset:1152
.LBB97_81:
	s_or_b64 exec, exec, s[0:1]
	s_waitcnt lgkmcnt(0)
	s_barrier
	ds_read_u8 v14, v9
	ds_read_u8 v16, v9 offset:64
	ds_read_u8 v15, v9 offset:1024
	ds_read_u8 v17, v9 offset:1088
	s_waitcnt lgkmcnt(2)
	v_cmp_lt_u16_e32 vcc, v14, v16
	s_waitcnt lgkmcnt(1)
	v_and_b32_e32 v18, 1, v15
	v_cmp_eq_u32_e64 s[0:1], 1, v18
	s_waitcnt lgkmcnt(0)
	v_cmp_ne_u16_e64 s[2:3], v17, v12
	v_cndmask_b32_e64 v18, 0, 1, s[2:3]
	s_and_b64 vcc, vcc, s[0:1]
	v_cndmask_b32_e32 v18, v18, v13, vcc
	v_and_b32_e32 v18, 1, v18
	v_cmp_eq_u32_e32 vcc, 1, v18
	s_and_saveexec_b64 s[0:1], vcc
	s_cbranch_execz .LBB97_83
; %bb.82:
	ds_write_b8 v9, v16
	ds_write_b8 v9, v14 offset:64
	ds_write_b8 v9, v17 offset:1024
	ds_write_b8 v9, v15 offset:1088
.LBB97_83:
	s_or_b64 exec, exec, s[0:1]
	s_waitcnt lgkmcnt(0)
	s_barrier
	ds_read_u8 v14, v8
	ds_read_u8 v16, v8 offset:32
	ds_read_u8 v15, v8 offset:1024
	ds_read_u8 v17, v8 offset:1056
	s_waitcnt lgkmcnt(2)
	v_cmp_lt_u16_e32 vcc, v14, v16
	s_waitcnt lgkmcnt(1)
	v_and_b32_e32 v18, 1, v15
	v_cmp_eq_u32_e64 s[0:1], 1, v18
	s_waitcnt lgkmcnt(0)
	v_cmp_ne_u16_e64 s[2:3], v17, v12
	v_cndmask_b32_e64 v18, 0, 1, s[2:3]
	s_and_b64 vcc, vcc, s[0:1]
	;; [unrolled: 27-line block ×7, first 2 shown]
	v_cndmask_b32_e32 v12, v12, v13, vcc
	v_and_b32_e32 v12, 1, v12
	v_cmp_eq_u32_e32 vcc, 1, v12
	s_and_saveexec_b64 s[0:1], vcc
	s_cbranch_execz .LBB97_95
; %bb.94:
	ds_write_b8 v2, v16
	ds_write_b8 v2, v14 offset:1
	ds_write_b8 v2, v17 offset:1024
	;; [unrolled: 1-line block ×3, first 2 shown]
.LBB97_95:
	s_or_b64 exec, exec, s[0:1]
	v_and_b32_e32 v12, 0x1ff, v0
	v_sub_u32_e32 v12, v1, v12
	v_add_u32_e32 v13, 1, v12
	s_waitcnt lgkmcnt(0)
	s_barrier
	ds_read_u8 v14, v13
	ds_read_u8 v16, v13 offset:512
	ds_read_u8 v15, v13 offset:1024
	;; [unrolled: 1-line block ×3, first 2 shown]
	s_waitcnt lgkmcnt(2)
	v_cmp_ge_u16_e32 vcc, v14, v16
	s_waitcnt lgkmcnt(1)
	v_and_b32_e32 v12, 1, v15
	v_cmp_eq_u32_e64 s[0:1], 1, v12
	s_xor_b64 s[0:1], s[0:1], -1
	v_mov_b32_e32 v12, 0
	s_or_b64 s[0:1], vcc, s[0:1]
	s_waitcnt lgkmcnt(0)
	v_cmp_ne_u16_sdwa s[2:3], v17, v12 src0_sel:BYTE_0 src1_sel:DWORD
	s_and_b64 s[2:3], s[0:1], s[2:3]
	s_and_saveexec_b64 s[0:1], s[2:3]
	s_cbranch_execz .LBB97_97
; %bb.96:
	ds_write_b8 v13, v16
	ds_write_b8 v13, v14 offset:512
	v_mov_b32_e32 v14, 1
	ds_write_b8 v13, v14 offset:1024
	ds_write_b8 v13, v15 offset:1536
.LBB97_97:
	s_or_b64 exec, exec, s[0:1]
	s_waitcnt lgkmcnt(0)
	s_barrier
	ds_read_u8 v13, v11
	ds_read_u8 v15, v11 offset:256
	ds_read_u8 v14, v11 offset:1024
	;; [unrolled: 1-line block ×3, first 2 shown]
	s_waitcnt lgkmcnt(2)
	v_cmp_ge_u16_e32 vcc, v13, v15
	s_waitcnt lgkmcnt(1)
	v_and_b32_e32 v17, 1, v14
	v_cmp_eq_u32_e64 s[0:1], 1, v17
	s_xor_b64 s[0:1], s[0:1], -1
	s_or_b64 s[0:1], vcc, s[0:1]
	s_waitcnt lgkmcnt(0)
	v_cmp_ne_u16_sdwa s[2:3], v16, v12 src0_sel:BYTE_0 src1_sel:DWORD
	s_and_b64 s[2:3], s[0:1], s[2:3]
	s_and_saveexec_b64 s[0:1], s[2:3]
	s_cbranch_execz .LBB97_99
; %bb.98:
	v_mov_b32_e32 v12, 1
	ds_write_b8 v11, v15
	ds_write_b8 v11, v13 offset:256
	ds_write_b8 v11, v12 offset:1024
	ds_write_b8 v11, v14 offset:1280
.LBB97_99:
	s_or_b64 exec, exec, s[0:1]
	s_waitcnt lgkmcnt(0)
	s_barrier
	ds_read_u8 v12, v10
	ds_read_u8 v14, v10 offset:128
	ds_read_u8 v13, v10 offset:1024
	ds_read_u8 v15, v10 offset:1152
	s_waitcnt lgkmcnt(2)
	v_cmp_ge_u16_e32 vcc, v12, v14
	s_waitcnt lgkmcnt(1)
	v_and_b32_e32 v11, 1, v13
	v_cmp_eq_u32_e64 s[0:1], 1, v11
	s_xor_b64 s[0:1], s[0:1], -1
	v_mov_b32_e32 v11, 0
	s_or_b64 s[0:1], vcc, s[0:1]
	s_waitcnt lgkmcnt(0)
	v_cmp_ne_u16_sdwa s[2:3], v15, v11 src0_sel:BYTE_0 src1_sel:DWORD
	s_and_b64 s[2:3], s[0:1], s[2:3]
	s_and_saveexec_b64 s[0:1], s[2:3]
	s_cbranch_execz .LBB97_101
; %bb.100:
	ds_write_b8 v10, v14
	ds_write_b8 v10, v12 offset:128
	v_mov_b32_e32 v12, 1
	ds_write_b8 v10, v12 offset:1024
	ds_write_b8 v10, v13 offset:1152
.LBB97_101:
	s_or_b64 exec, exec, s[0:1]
	s_waitcnt lgkmcnt(0)
	s_barrier
	ds_read_u8 v10, v9
	ds_read_u8 v13, v9 offset:64
	ds_read_u8 v12, v9 offset:1024
	ds_read_u8 v14, v9 offset:1088
	s_waitcnt lgkmcnt(2)
	v_cmp_ge_u16_e32 vcc, v10, v13
	s_waitcnt lgkmcnt(1)
	v_and_b32_e32 v15, 1, v12
	v_cmp_eq_u32_e64 s[0:1], 1, v15
	s_xor_b64 s[0:1], s[0:1], -1
	s_or_b64 s[0:1], vcc, s[0:1]
	s_waitcnt lgkmcnt(0)
	v_cmp_ne_u16_sdwa s[2:3], v14, v11 src0_sel:BYTE_0 src1_sel:DWORD
	s_and_b64 s[2:3], s[0:1], s[2:3]
	s_and_saveexec_b64 s[0:1], s[2:3]
	s_cbranch_execz .LBB97_103
; %bb.102:
	ds_write_b8 v9, v13
	ds_write_b8 v9, v10 offset:64
	v_mov_b32_e32 v10, 1
	ds_write_b8 v9, v10 offset:1024
	ds_write_b8 v9, v12 offset:1088
.LBB97_103:
	s_or_b64 exec, exec, s[0:1]
	s_waitcnt lgkmcnt(0)
	s_barrier
	ds_read_u8 v10, v8
	ds_read_u8 v12, v8 offset:32
	ds_read_u8 v11, v8 offset:1024
	ds_read_u8 v13, v8 offset:1056
	s_waitcnt lgkmcnt(2)
	v_cmp_ge_u16_e32 vcc, v10, v12
	s_waitcnt lgkmcnt(1)
	v_and_b32_e32 v9, 1, v11
	v_cmp_eq_u32_e64 s[0:1], 1, v9
	s_xor_b64 s[0:1], s[0:1], -1
	v_mov_b32_e32 v9, 0
	s_or_b64 s[0:1], vcc, s[0:1]
	s_waitcnt lgkmcnt(0)
	v_cmp_ne_u16_sdwa s[2:3], v13, v9 src0_sel:BYTE_0 src1_sel:DWORD
	s_and_b64 s[2:3], s[0:1], s[2:3]
	s_and_saveexec_b64 s[0:1], s[2:3]
	s_cbranch_execz .LBB97_105
; %bb.104:
	ds_write_b8 v8, v12
	ds_write_b8 v8, v10 offset:32
	v_mov_b32_e32 v10, 1
	ds_write_b8 v8, v10 offset:1024
	ds_write_b8 v8, v11 offset:1056
.LBB97_105:
	s_or_b64 exec, exec, s[0:1]
	s_waitcnt lgkmcnt(0)
	s_barrier
	ds_read_u8 v8, v7
	ds_read_u8 v11, v7 offset:16
	ds_read_u8 v10, v7 offset:1024
	ds_read_u8 v12, v7 offset:1040
	s_waitcnt lgkmcnt(2)
	v_cmp_ge_u16_e32 vcc, v8, v11
	s_waitcnt lgkmcnt(1)
	v_and_b32_e32 v13, 1, v10
	v_cmp_eq_u32_e64 s[0:1], 1, v13
	s_xor_b64 s[0:1], s[0:1], -1
	s_or_b64 s[0:1], vcc, s[0:1]
	s_waitcnt lgkmcnt(0)
	v_cmp_ne_u16_sdwa s[2:3], v12, v9 src0_sel:BYTE_0 src1_sel:DWORD
	s_and_b64 s[2:3], s[0:1], s[2:3]
	s_and_saveexec_b64 s[0:1], s[2:3]
	s_cbranch_execz .LBB97_107
; %bb.106:
	ds_write_b8 v7, v11
	ds_write_b8 v7, v8 offset:16
	v_mov_b32_e32 v8, 1
	ds_write_b8 v7, v8 offset:1024
	ds_write_b8 v7, v10 offset:1040
.LBB97_107:
	;; [unrolled: 53-line block ×4, first 2 shown]
	s_or_b64 exec, exec, s[0:1]
	v_cmp_eq_u32_e32 vcc, 0, v0
	s_waitcnt lgkmcnt(0)
	s_barrier
	s_barrier
	s_and_saveexec_b64 s[0:1], vcc
	s_cbranch_execz .LBB97_117
; %bb.116:
	v_mov_b32_e32 v3, 1
	v_mov_b32_e32 v4, 0
	ds_write_b8 v3, v3 offset:1028
	ds_write_b32 v3, v4 offset:1024
.LBB97_117:
	s_or_b64 exec, exec, s[0:1]
	ds_read_u8 v4, v2
	ds_read_u8 v3, v2 offset:1
	v_lshl_add_u32 v2, v1, 3, 1
	s_waitcnt lgkmcnt(0)
	v_cmp_ne_u16_e64 s[0:1], v4, v3
	v_cndmask_b32_e64 v6, 0, 1, s[0:1]
	v_cmp_eq_u16_e64 s[0:1], v4, v3
	v_cndmask_b32_e64 v4, 0, 1, s[0:1]
	s_movk_i32 s0, 0x1ff
	v_cmp_gt_u32_e64 s[2:3], s0, v0
	ds_write_b8 v2, v6 offset:1036
	ds_write_b32 v2, v4 offset:1032
	s_and_saveexec_b64 s[6:7], s[2:3]
	s_cbranch_execz .LBB97_119
; %bb.118:
	v_mad_i32_i24 v4, v0, -14, v2
	ds_read_u8 v6, v4 offset:2
	v_mad_u32_u24 v4, v0, 14, v4
	s_waitcnt lgkmcnt(0)
	v_cmp_ne_u16_e64 s[0:1], v3, v6
	v_cndmask_b32_e64 v7, 0, 1, s[0:1]
	v_cmp_eq_u16_e64 s[0:1], v3, v6
	v_cndmask_b32_e64 v3, 0, 1, s[0:1]
	ds_write_b8 v4, v7 offset:1044
	ds_write_b32 v4, v3 offset:1040
.LBB97_119:
	s_or_b64 exec, exec, s[6:7]
	s_movk_i32 s0, 0x200
	v_cmp_gt_u32_e64 s[0:1], s0, v0
	s_waitcnt lgkmcnt(0)
	s_barrier
	s_and_saveexec_b64 s[6:7], s[0:1]
	s_cbranch_execz .LBB97_121
; %bb.120:
	ds_read_u8 v6, v2 offset:1036
	v_add_u32_e32 v3, 0x400, v2
	ds_read2_b32 v[3:4], v3 offset1:2
	ds_read_u8 v7, v2 offset:1028
	v_add_u32_e32 v8, 0x408, v2
	s_waitcnt lgkmcnt(2)
	v_and_b32_e32 v9, 1, v6
	v_cmp_eq_u32_e64 s[0:1], 1, v9
	s_waitcnt lgkmcnt(1)
	v_cndmask_b32_e64 v3, v3, 0, s[0:1]
	v_add_u32_e32 v3, v3, v4
	s_waitcnt lgkmcnt(0)
	v_or_b32_e32 v4, v7, v6
	v_and_b32_e32 v4, 1, v4
	ds_write2_b32 v8, v3, v4 offset1:1
.LBB97_121:
	s_or_b64 exec, exec, s[6:7]
	v_add_u32_e32 v9, 2, v1
	v_lshlrev_b32_e32 v3, 1, v9
	s_movk_i32 s0, 0x100
	v_cmp_gt_u32_e64 s[0:1], s0, v0
	v_lshl_add_u32 v3, v3, 3, 1
	s_waitcnt lgkmcnt(0)
	s_barrier
	s_and_saveexec_b64 s[6:7], s[0:1]
	s_cbranch_execz .LBB97_123
; %bb.122:
	ds_read_u8 v4, v3 offset:1020
	ds_read_u8 v8, v3 offset:1004
	ds_read2_b32 v[6:7], v3 offset0:250 offset1:254
	s_waitcnt lgkmcnt(2)
	v_and_b32_e32 v10, 1, v4
	v_cmp_eq_u32_e64 s[0:1], 1, v10
	s_waitcnt lgkmcnt(1)
	v_or_b32_e32 v4, v8, v4
	s_waitcnt lgkmcnt(0)
	v_cndmask_b32_e64 v6, v6, 0, s[0:1]
	v_add_u32_e32 v6, v6, v7
	v_and_b32_e32 v4, 1, v4
	ds_write2_b32 v3, v6, v4 offset0:254 offset1:255
.LBB97_123:
	s_or_b64 exec, exec, s[6:7]
	v_lshlrev_b32_e32 v4, 2, v9
	s_movk_i32 s0, 0x80
	v_cmp_gt_u32_e64 s[0:1], s0, v0
	v_lshl_add_u32 v4, v4, 3, 1
	s_waitcnt lgkmcnt(0)
	s_barrier
	s_and_saveexec_b64 s[6:7], s[0:1]
	s_cbranch_execz .LBB97_125
; %bb.124:
	ds_read_u8 v8, v4 offset:1020
	ds_read_u8 v10, v4 offset:988
	ds_read2_b32 v[6:7], v4 offset0:246 offset1:254
	s_waitcnt lgkmcnt(2)
	v_and_b32_e32 v11, 1, v8
	v_cmp_eq_u32_e64 s[0:1], 1, v11
	s_waitcnt lgkmcnt(1)
	v_or_b32_e32 v8, v10, v8
	s_waitcnt lgkmcnt(0)
	v_cndmask_b32_e64 v6, v6, 0, s[0:1]
	v_add_u32_e32 v6, v6, v7
	v_and_b32_e32 v7, 1, v8
	ds_write2_b32 v4, v6, v7 offset0:254 offset1:255
.LBB97_125:
	s_or_b64 exec, exec, s[6:7]
	v_lshlrev_b32_e32 v6, 3, v9
	v_cmp_gt_u32_e64 s[0:1], 64, v0
	v_lshl_add_u32 v6, v6, 3, 1
	s_waitcnt lgkmcnt(0)
	s_barrier
	s_and_saveexec_b64 s[8:9], s[0:1]
	s_cbranch_execz .LBB97_127
; %bb.126:
	ds_read_u8 v10, v6 offset:1020
	ds_read_u8 v11, v6 offset:956
	ds_read2_b32 v[7:8], v6 offset0:238 offset1:254
	s_waitcnt lgkmcnt(2)
	v_and_b32_e32 v12, 1, v10
	v_cmp_eq_u32_e64 s[6:7], 1, v12
	s_waitcnt lgkmcnt(1)
	v_or_b32_e32 v10, v11, v10
	s_waitcnt lgkmcnt(0)
	v_cndmask_b32_e64 v7, v7, 0, s[6:7]
	v_add_u32_e32 v7, v7, v8
	v_and_b32_e32 v8, 1, v10
	ds_write2_b32 v6, v7, v8 offset0:254 offset1:255
.LBB97_127:
	s_or_b64 exec, exec, s[8:9]
	v_lshlrev_b32_e32 v7, 4, v9
	;; [unrolled: 23-line block ×5, first 2 shown]
	v_cmp_gt_u32_e64 s[6:7], 4, v0
	v_lshl_add_u32 v11, v11, 3, 1
	s_waitcnt lgkmcnt(0)
	s_barrier
	s_and_saveexec_b64 s[8:9], s[6:7]
	s_cbranch_execz .LBB97_135
; %bb.134:
	ds_read_u8 v13, v11 offset:1020
	v_add_u32_e32 v12, -8, v11
	v_add_u32_e32 v14, -4, v11
	ds_read_b32 v12, v12
	ds_read_b32 v15, v11 offset:1016
	ds_read_u8 v14, v14
	s_waitcnt lgkmcnt(3)
	v_and_b32_e32 v16, 1, v13
	v_cmp_eq_u32_e64 s[6:7], 1, v16
	s_waitcnt lgkmcnt(2)
	v_cndmask_b32_e64 v12, v12, 0, s[6:7]
	s_waitcnt lgkmcnt(0)
	v_or_b32_e32 v13, v14, v13
	v_add_u32_e32 v12, v12, v15
	v_and_b32_e32 v13, 1, v13
	ds_write2_b32 v11, v12, v13 offset0:254 offset1:255
.LBB97_135:
	s_or_b64 exec, exec, s[8:9]
	v_lshlrev_b32_e32 v9, 8, v9
	v_cmp_gt_u32_e64 s[6:7], 2, v0
	v_lshl_add_u32 v9, v9, 3, 1
	s_waitcnt lgkmcnt(0)
	s_barrier
	s_and_saveexec_b64 s[8:9], s[6:7]
	s_cbranch_execz .LBB97_137
; %bb.136:
	ds_read_u8 v13, v9 offset:1020
	v_add_u32_e32 v12, 0xfffffbf8, v9
	v_add_u32_e32 v14, 0xfffffbfc, v9
	ds_read_b32 v12, v12
	ds_read_b32 v15, v9 offset:1016
	ds_read_u8 v14, v14
	s_waitcnt lgkmcnt(3)
	v_and_b32_e32 v16, 1, v13
	v_cmp_eq_u32_e64 s[6:7], 1, v16
	s_waitcnt lgkmcnt(2)
	v_cndmask_b32_e64 v12, v12, 0, s[6:7]
	s_waitcnt lgkmcnt(0)
	v_or_b32_e32 v13, v14, v13
	v_add_u32_e32 v12, v12, v15
	v_and_b32_e32 v13, 1, v13
	ds_write2_b32 v9, v12, v13 offset0:254 offset1:255
.LBB97_137:
	s_or_b64 exec, exec, s[8:9]
	s_waitcnt lgkmcnt(0)
	s_barrier
	s_and_saveexec_b64 s[8:9], vcc
	s_cbranch_execz .LBB97_139
; %bb.138:
	v_mov_b32_e32 v12, 1
	ds_read_u8 v13, v12 offset:9212
	ds_read_b32 v14, v12 offset:5112
	ds_read_b32 v15, v12 offset:9208
	ds_read_u8 v12, v12 offset:5116
	s_add_i32 s10, 1, 0x23f8
	s_waitcnt lgkmcnt(3)
	v_and_b32_e32 v16, 1, v13
	v_cmp_eq_u32_e64 s[6:7], 1, v16
	s_waitcnt lgkmcnt(2)
	v_cndmask_b32_e64 v14, v14, 0, s[6:7]
	s_waitcnt lgkmcnt(0)
	v_or_b32_e32 v12, v12, v13
	v_add_u32_e32 v14, v14, v15
	v_and_b32_e32 v12, 1, v12
	v_mov_b32_e32 v13, s10
	ds_write2_b32 v13, v14, v12 offset1:1
.LBB97_139:
	s_or_b64 exec, exec, s[8:9]
	s_waitcnt lgkmcnt(0)
	s_barrier
	s_and_saveexec_b64 s[8:9], vcc
	s_cbranch_execz .LBB97_141
; %bb.140:
	ds_read_u8 v14, v9 offset:3068
	v_add_u32_e32 v12, 0xf8, v9
	ds_read2st64_b32 v[12:13], v12 offset0:3 offset1:11
	v_add_u32_e32 v15, 0xbf8, v9
	ds_read_u8 v9, v9 offset:1020
	s_waitcnt lgkmcnt(2)
	v_and_b32_e32 v16, 1, v14
	v_cmp_eq_u32_e64 s[6:7], 1, v16
	s_waitcnt lgkmcnt(1)
	v_cndmask_b32_e64 v12, v12, 0, s[6:7]
	v_add_u32_e32 v12, v12, v13
	s_waitcnt lgkmcnt(0)
	v_or_b32_e32 v9, v9, v14
	v_and_b32_e32 v9, 1, v9
	ds_write2_b32 v15, v12, v9 offset1:1
.LBB97_141:
	s_or_b64 exec, exec, s[8:9]
	v_cmp_gt_u32_e64 s[6:7], 3, v0
	s_waitcnt lgkmcnt(0)
	s_barrier
	s_and_saveexec_b64 s[8:9], s[6:7]
	s_cbranch_execz .LBB97_143
; %bb.142:
	ds_read_u8 v9, v11 offset:2044
	v_add_u32_e32 v12, 0xf8, v11
	ds_read2st64_b32 v[12:13], v12 offset0:3 offset1:7
	v_add_u32_e32 v14, 0x7f8, v11
	ds_read_u8 v11, v11 offset:1020
	s_waitcnt lgkmcnt(2)
	v_and_b32_e32 v15, 1, v9
	v_cmp_eq_u32_e64 s[6:7], 1, v15
	s_waitcnt lgkmcnt(1)
	v_cndmask_b32_e64 v12, v12, 0, s[6:7]
	v_add_u32_e32 v12, v12, v13
	s_waitcnt lgkmcnt(0)
	v_or_b32_e32 v9, v11, v9
	v_and_b32_e32 v9, 1, v9
	ds_write2_b32 v14, v12, v9 offset1:1
.LBB97_143:
	s_or_b64 exec, exec, s[8:9]
	v_cmp_gt_u32_e64 s[6:7], 7, v0
	s_waitcnt lgkmcnt(0)
	s_barrier
	s_and_saveexec_b64 s[8:9], s[6:7]
	;; [unrolled: 23-line block ×4, first 2 shown]
	s_cbranch_execz .LBB97_149
; %bb.148:
	ds_read_u8 v10, v7 offset:1148
	v_add_u32_e32 v8, 0x200, v7
	ds_read2_b32 v[8:9], v8 offset0:126 offset1:158
	v_add_u32_e32 v11, 0x478, v7
	ds_read_u8 v7, v7 offset:1020
	s_waitcnt lgkmcnt(2)
	v_and_b32_e32 v12, 1, v10
	v_cmp_eq_u32_e64 s[6:7], 1, v12
	s_waitcnt lgkmcnt(1)
	v_cndmask_b32_e64 v8, v8, 0, s[6:7]
	v_add_u32_e32 v8, v8, v9
	s_waitcnt lgkmcnt(0)
	v_or_b32_e32 v7, v7, v10
	v_and_b32_e32 v7, 1, v7
	ds_write2_b32 v11, v8, v7 offset1:1
.LBB97_149:
	s_or_b64 exec, exec, s[8:9]
	v_cmp_gt_u32_e64 s[6:7], 63, v0
	s_waitcnt lgkmcnt(0)
	s_barrier
	s_and_saveexec_b64 s[8:9], s[6:7]
	s_cbranch_execz .LBB97_151
; %bb.150:
	ds_read_u8 v9, v6 offset:1084
	v_add_u32_e32 v7, 0x200, v6
	ds_read2_b32 v[7:8], v7 offset0:126 offset1:142
	v_add_u32_e32 v10, 0x438, v6
	ds_read_u8 v6, v6 offset:1020
	s_waitcnt lgkmcnt(2)
	v_and_b32_e32 v11, 1, v9
	v_cmp_eq_u32_e64 s[6:7], 1, v11
	s_waitcnt lgkmcnt(1)
	v_cndmask_b32_e64 v7, v7, 0, s[6:7]
	v_add_u32_e32 v7, v7, v8
	s_waitcnt lgkmcnt(0)
	v_or_b32_e32 v6, v6, v9
	v_and_b32_e32 v6, 1, v6
	ds_write2_b32 v10, v7, v6 offset1:1
.LBB97_151:
	s_or_b64 exec, exec, s[8:9]
	s_movk_i32 s6, 0x7f
	v_cmp_gt_u32_e64 s[6:7], s6, v0
	s_waitcnt lgkmcnt(0)
	s_barrier
	s_and_saveexec_b64 s[8:9], s[6:7]
	s_cbranch_execz .LBB97_153
; %bb.152:
	ds_read_u8 v8, v4 offset:1052
	v_add_u32_e32 v6, 0x200, v4
	ds_read2_b32 v[6:7], v6 offset0:126 offset1:134
	ds_read_u8 v9, v4 offset:1020
	v_add_u32_e32 v4, 0x418, v4
	s_waitcnt lgkmcnt(2)
	v_and_b32_e32 v10, 1, v8
	v_cmp_eq_u32_e64 s[6:7], 1, v10
	s_waitcnt lgkmcnt(1)
	v_cndmask_b32_e64 v6, v6, 0, s[6:7]
	v_add_u32_e32 v6, v6, v7
	s_waitcnt lgkmcnt(0)
	v_or_b32_e32 v7, v9, v8
	v_and_b32_e32 v7, 1, v7
	ds_write2_b32 v4, v6, v7 offset1:1
.LBB97_153:
	s_or_b64 exec, exec, s[8:9]
	s_movk_i32 s6, 0xff
	v_cmp_gt_u32_e64 s[6:7], s6, v0
	s_waitcnt lgkmcnt(0)
	s_barrier
	s_and_saveexec_b64 s[8:9], s[6:7]
	s_cbranch_execz .LBB97_155
; %bb.154:
	ds_read_u8 v4, v3 offset:1036
	v_add_u32_e32 v6, 0x200, v3
	ds_read2_b32 v[6:7], v6 offset0:126 offset1:130
	ds_read_u8 v8, v3 offset:1020
	v_add_u32_e32 v3, 0x408, v3
	s_waitcnt lgkmcnt(2)
	v_and_b32_e32 v9, 1, v4
	v_cmp_eq_u32_e64 s[6:7], 1, v9
	s_waitcnt lgkmcnt(1)
	v_cndmask_b32_e64 v6, v6, 0, s[6:7]
	s_waitcnt lgkmcnt(0)
	v_or_b32_e32 v4, v8, v4
	v_add_u32_e32 v6, v6, v7
	v_and_b32_e32 v4, 1, v4
	ds_write2_b32 v3, v6, v4 offset1:1
.LBB97_155:
	s_or_b64 exec, exec, s[8:9]
	s_waitcnt lgkmcnt(0)
	s_barrier
	s_and_saveexec_b64 s[6:7], s[2:3]
	s_cbranch_execz .LBB97_157
; %bb.156:
	ds_read_u8 v6, v2 offset:1044
	v_add_u32_e32 v3, 0x400, v2
	ds_read2_b32 v[3:4], v3 offset0:2 offset1:4
	ds_read_u8 v7, v2 offset:1036
	v_add_u32_e32 v8, 0x410, v2
	s_waitcnt lgkmcnt(2)
	v_and_b32_e32 v9, 1, v6
	v_cmp_eq_u32_e64 s[2:3], 1, v9
	s_waitcnt lgkmcnt(1)
	v_cndmask_b32_e64 v3, v3, 0, s[2:3]
	v_add_u32_e32 v3, v3, v4
	s_waitcnt lgkmcnt(0)
	v_or_b32_e32 v4, v7, v6
	v_and_b32_e32 v4, 1, v4
	ds_write2_b32 v8, v3, v4 offset1:1
.LBB97_157:
	s_or_b64 exec, exec, s[6:7]
	v_add_u32_e32 v2, 0x400, v2
	s_waitcnt lgkmcnt(0)
	s_barrier
	ds_read2_b32 v[6:7], v2 offset1:2
	v_or_b32_e32 v3, 1, v1
	v_cmp_gt_u32_e64 s[2:3], s16, v1
	v_cmp_gt_u32_e64 s[6:7], s16, v3
	v_cndmask_b32_e64 v4, 0, v1, s[2:3]
	s_waitcnt lgkmcnt(0)
	v_cndmask_b32_e64 v2, 0, v6, s[2:3]
	v_mbcnt_lo_u32_b32 v6, -1, 0
	v_cndmask_b32_e64 v7, 0, v7, s[6:7]
	v_mbcnt_hi_u32_b32 v11, -1, v6
	v_mov_b32_e32 v6, 0x80
	v_cndmask_b32_e64 v8, 0, v3, s[6:7]
	v_max_u32_e32 v9, v7, v2
	v_lshl_or_b32 v6, v11, 2, v6
	v_cmp_gt_u32_e64 s[8:9], v7, v2
	ds_bpermute_b32 v10, v6, v9
	v_cndmask_b32_e64 v2, v4, v8, s[8:9]
	ds_bpermute_b32 v4, v6, v2
	v_and_b32_e32 v12, 63, v11
	v_cmp_gt_u32_e64 s[8:9], 48, v12
	v_cndmask_b32_e64 v7, 0, 16, s[8:9]
	s_waitcnt lgkmcnt(1)
	v_max_u32_e32 v13, v10, v9
	v_add_lshl_u32 v7, v7, v11, 2
	v_cmp_gt_u32_e64 s[8:9], v10, v9
	ds_bpermute_b32 v14, v7, v13
	s_waitcnt lgkmcnt(1)
	v_cndmask_b32_e64 v2, v2, v4, s[8:9]
	ds_bpermute_b32 v4, v7, v2
	v_cmp_gt_u32_e64 s[8:9], 56, v12
	v_cndmask_b32_e64 v8, 0, 8, s[8:9]
	s_waitcnt lgkmcnt(1)
	v_max_u32_e32 v10, v14, v13
	v_add_lshl_u32 v8, v8, v11, 2
	v_cmp_gt_u32_e64 s[8:9], v14, v13
	ds_bpermute_b32 v15, v8, v10
	s_waitcnt lgkmcnt(1)
	v_cndmask_b32_e64 v2, v2, v4, s[8:9]
	ds_bpermute_b32 v4, v8, v2
	;; [unrolled: 10-line block ×4, first 2 shown]
	s_waitcnt lgkmcnt(0)
	s_barrier
	v_cmp_gt_u32_e64 s[8:9], v16, v15
	v_max_u32_e32 v2, v16, v15
	v_cndmask_b32_e64 v4, v4, v13, s[8:9]
	v_cmp_ne_u32_e64 s[8:9], 63, v12
	v_addc_co_u32_e64 v11, s[8:9], 0, v11, s[8:9]
	v_lshlrev_b32_e32 v11, 2, v11
	ds_bpermute_b32 v12, v11, v4
	ds_bpermute_b32 v13, v11, v2
	v_cmp_eq_u32_e64 s[8:9], 0, v5
	s_waitcnt lgkmcnt(0)
	s_barrier
	s_and_saveexec_b64 s[12:13], s[8:9]
	s_cbranch_execz .LBB97_159
; %bb.158:
	v_lshrrev_b32_e32 v14, 3, v0
	v_add_u32_e32 v14, 1, v14
	v_cmp_gt_u32_e64 s[10:11], v13, v2
	v_add_u32_e32 v14, 0x400, v14
	v_cndmask_b32_e64 v4, v4, v12, s[10:11]
	v_max_u32_e32 v2, v13, v2
	ds_write2_b32 v14, v2, v4 offset1:1
.LBB97_159:
	s_or_b64 exec, exec, s[12:13]
	s_lshr_b32 s10, s18, 6
	v_cmp_gt_u32_e64 s[10:11], s10, v0
	v_lshl_add_u32 v12, v5, 3, 1
	v_mov_b32_e32 v2, 0
	v_mov_b32_e32 v4, 0
	s_waitcnt lgkmcnt(0)
	s_barrier
	s_and_saveexec_b64 s[12:13], s[10:11]
	s_cbranch_execnz .LBB97_174
; %bb.160:
	s_or_b64 exec, exec, s[12:13]
	s_and_saveexec_b64 s[12:13], s[10:11]
	s_cbranch_execnz .LBB97_175
.LBB97_161:
	s_or_b64 exec, exec, s[12:13]
	s_and_saveexec_b64 s[18:19], s[0:1]
	s_cbranch_execnz .LBB97_176
.LBB97_162:
	s_or_b64 exec, exec, s[18:19]
	s_and_saveexec_b64 s[12:13], vcc
	s_cbranch_execz .LBB97_164
.LBB97_163:
	s_waitcnt lgkmcnt(0)
	v_add_u32_e32 v2, 1, v2
	ds_read_u8 v2, v2
	v_mov_b32_e32 v4, 0
	s_waitcnt lgkmcnt(0)
	ds_write_b8 v4, v2
.LBB97_164:
	s_or_b64 exec, exec, s[12:13]
	s_waitcnt lgkmcnt(0)
	v_mov_b32_e32 v2, 0
	v_cmp_gt_i64_e64 s[12:13], s[16:17], v[1:2]
	v_mov_b32_e32 v13, 0
	s_barrier
	s_and_saveexec_b64 s[18:19], s[12:13]
	s_cbranch_execz .LBB97_166
; %bb.165:
	v_add_u32_e32 v4, s21, v1
	global_load_ubyte v4, v4, s[14:15]
	v_mov_b32_e32 v13, 0
	ds_read_u8 v13, v13
	s_waitcnt vmcnt(0)
	v_cmp_ne_u16_e64 s[12:13], 0, v4
	v_cndmask_b32_e64 v4, 0, 1, s[12:13]
	s_waitcnt lgkmcnt(0)
	v_cmp_eq_u16_e64 s[12:13], v13, v4
	v_cndmask_b32_e64 v13, 0, v1, s[12:13]
.LBB97_166:
	s_or_b64 exec, exec, s[18:19]
	v_mov_b32_e32 v4, v2
	v_cmp_gt_i64_e64 s[12:13], s[16:17], v[3:4]
	s_and_saveexec_b64 s[16:17], s[12:13]
	s_cbranch_execz .LBB97_168
; %bb.167:
	v_add_u32_e32 v1, s21, v3
	global_load_ubyte v1, v1, s[14:15]
	v_mov_b32_e32 v2, 0
	ds_read_u8 v2, v2
	s_waitcnt vmcnt(0)
	v_cmp_ne_u16_e64 s[12:13], 0, v1
	v_cndmask_b32_e64 v1, 0, 1, s[12:13]
	s_waitcnt lgkmcnt(0)
	v_cmp_eq_u16_e64 s[12:13], v2, v1
	v_cndmask_b32_e64 v2, 0, v3, s[12:13]
.LBB97_168:
	s_or_b64 exec, exec, s[16:17]
	v_cndmask_b32_e64 v1, 0, v13, s[2:3]
	v_max_u32_e32 v2, v2, v1
	v_cndmask_b32_e64 v1, v1, v2, s[6:7]
	ds_bpermute_b32 v2, v6, v1
	s_waitcnt lgkmcnt(0)
	s_barrier
	v_max_u32_e32 v1, v2, v1
	ds_bpermute_b32 v2, v7, v1
	s_waitcnt lgkmcnt(0)
	v_max_u32_e32 v1, v2, v1
	ds_bpermute_b32 v2, v8, v1
	s_waitcnt lgkmcnt(0)
	;; [unrolled: 3-line block ×4, first 2 shown]
	v_max_u32_e32 v1, v2, v1
	ds_bpermute_b32 v2, v11, v1
	s_and_saveexec_b64 s[2:3], s[8:9]
	s_cbranch_execz .LBB97_170
; %bb.169:
	v_lshrrev_b32_e32 v0, 4, v0
	v_add_u32_e32 v0, 1, v0
	s_waitcnt lgkmcnt(0)
	v_max_u32_e32 v1, v2, v1
	ds_write_b32 v0, v1
.LBB97_170:
	s_or_b64 exec, exec, s[2:3]
	v_mov_b32_e32 v0, 0
	s_waitcnt lgkmcnt(0)
	s_barrier
	s_and_saveexec_b64 s[2:3], s[10:11]
	s_cbranch_execnz .LBB97_177
; %bb.171:
	s_or_b64 exec, exec, s[2:3]
	s_and_saveexec_b64 s[2:3], s[0:1]
	s_cbranch_execnz .LBB97_178
.LBB97_172:
	s_or_b64 exec, exec, s[2:3]
	s_and_saveexec_b64 s[0:1], vcc
	s_cbranch_execnz .LBB97_179
.LBB97_173:
	s_endpgm
.LBB97_174:
	ds_read_b32 v4, v12 offset:1024
	s_or_b64 exec, exec, s[12:13]
	s_and_saveexec_b64 s[12:13], s[10:11]
	s_cbranch_execz .LBB97_161
.LBB97_175:
	ds_read_b32 v2, v12 offset:1028
	s_or_b64 exec, exec, s[12:13]
	s_and_saveexec_b64 s[18:19], s[0:1]
	s_cbranch_execz .LBB97_162
.LBB97_176:
	s_waitcnt lgkmcnt(0)
	ds_bpermute_b32 v13, v6, v4
	ds_bpermute_b32 v14, v6, v2
	s_waitcnt lgkmcnt(1)
	v_max_u32_e32 v15, v13, v4
	v_cmp_gt_u32_e64 s[12:13], v13, v4
	ds_bpermute_b32 v16, v7, v15
	s_waitcnt lgkmcnt(1)
	v_cndmask_b32_e64 v2, v2, v14, s[12:13]
	ds_bpermute_b32 v4, v7, v2
	s_waitcnt lgkmcnt(1)
	v_max_u32_e32 v13, v16, v15
	v_cmp_gt_u32_e64 s[12:13], v16, v15
	ds_bpermute_b32 v14, v8, v13
	s_waitcnt lgkmcnt(1)
	v_cndmask_b32_e64 v2, v2, v4, s[12:13]
	;; [unrolled: 7-line block ×4, first 2 shown]
	ds_bpermute_b32 v4, v10, v2
	s_waitcnt lgkmcnt(1)
	v_max_u32_e32 v15, v14, v13
	v_cmp_gt_u32_e64 s[12:13], v14, v13
	s_waitcnt lgkmcnt(0)
	v_cndmask_b32_e64 v2, v2, v4, s[12:13]
	ds_bpermute_b32 v4, v11, v15
	ds_bpermute_b32 v13, v11, v2
	s_waitcnt lgkmcnt(1)
	v_cmp_gt_u32_e64 s[12:13], v4, v15
	s_waitcnt lgkmcnt(0)
	v_cndmask_b32_e64 v2, v2, v13, s[12:13]
	s_or_b64 exec, exec, s[18:19]
	s_and_saveexec_b64 s[12:13], vcc
	s_cbranch_execnz .LBB97_163
	s_branch .LBB97_164
.LBB97_177:
	v_lshlrev_b32_e32 v0, 2, v5
	v_sub_u32_e32 v0, v12, v0
	ds_read_b32 v0, v0
	s_or_b64 exec, exec, s[2:3]
	s_and_saveexec_b64 s[2:3], s[0:1]
	s_cbranch_execz .LBB97_172
.LBB97_178:
	s_waitcnt lgkmcnt(0)
	ds_bpermute_b32 v1, v6, v0
	s_waitcnt lgkmcnt(0)
	v_max_u32_e32 v0, v1, v0
	ds_bpermute_b32 v1, v7, v0
	s_waitcnt lgkmcnt(0)
	v_max_u32_e32 v0, v1, v0
	;; [unrolled: 3-line block ×6, first 2 shown]
	s_or_b64 exec, exec, s[2:3]
	s_and_saveexec_b64 s[0:1], vcc
	s_cbranch_execz .LBB97_173
.LBB97_179:
	s_load_dword s6, s[4:5], 0xd8
	s_load_dwordx2 s[0:1], s[4:5], 0xe0
	s_add_u32 s2, s4, 8
	s_addc_u32 s3, s5, 0
	s_mov_b32 s5, 0
	s_waitcnt lgkmcnt(0)
	s_cmp_lt_i32 s6, 2
	s_cbranch_scc1 .LBB97_182
; %bb.180:
	s_add_i32 s4, s6, -1
	s_add_i32 s8, s6, 1
	s_lshl_b64 s[6:7], s[4:5], 2
	s_add_u32 s4, s2, s6
	s_addc_u32 s7, s3, s7
	s_add_u32 s6, s4, 8
	s_addc_u32 s7, s7, 0
.LBB97_181:                             ; =>This Inner Loop Header: Depth=1
	s_load_dword s4, s[6:7], 0x0
	s_load_dword s10, s[6:7], 0x64
	s_mov_b32 s9, s20
	s_waitcnt lgkmcnt(0)
	v_cvt_f32_u32_e32 v1, s4
	s_sub_i32 s11, 0, s4
	v_rcp_iflag_f32_e32 v1, v1
	v_mul_f32_e32 v1, 0x4f7ffffe, v1
	v_cvt_u32_f32_e32 v1, v1
	v_readfirstlane_b32 s12, v1
	s_mul_i32 s11, s11, s12
	s_mul_hi_u32 s11, s12, s11
	s_add_i32 s12, s12, s11
	s_mul_hi_u32 s11, s20, s12
	s_mul_i32 s12, s11, s4
	s_sub_i32 s12, s20, s12
	s_add_i32 s13, s11, 1
	s_sub_i32 s14, s12, s4
	s_cmp_ge_u32 s12, s4
	s_cselect_b32 s11, s13, s11
	s_cselect_b32 s12, s14, s12
	s_add_i32 s13, s11, 1
	s_cmp_ge_u32 s12, s4
	s_cselect_b32 s20, s13, s11
	s_mul_i32 s4, s20, s4
	s_sub_i32 s4, s9, s4
	s_mul_i32 s4, s10, s4
	s_add_i32 s8, s8, -1
	s_add_i32 s5, s4, s5
	s_add_u32 s6, s6, -4
	s_addc_u32 s7, s7, -1
	s_cmp_gt_u32 s8, 2
	s_cbranch_scc1 .LBB97_181
.LBB97_182:
	s_load_dword s4, s[2:3], 0x6c
	v_mov_b32_e32 v1, 0
	s_load_dwordx2 s[2:3], s[2:3], 0x0
	ds_read_u8 v2, v1
	s_mov_b32 s7, 0
	s_waitcnt lgkmcnt(0)
	s_mul_i32 s4, s4, s20
	s_add_i32 s6, s4, s5
	v_mov_b32_e32 v3, s6
	global_store_byte v3, v2, s[2:3]
	s_lshl_b64 s[2:3], s[6:7], 3
	s_add_u32 s0, s0, s2
	s_addc_u32 s1, s1, s3
	global_store_dwordx2 v1, v[0:1], s[0:1]
	s_endpgm
	.section	.rodata,"a",@progbits
	.p2align	6, 0x0
	.amdhsa_kernel _ZN2at6native12compute_modeIbLj1024EEEvPKT_NS_4cuda6detail10TensorInfoIS2_jEENS7_IljEEll
		.amdhsa_group_segment_fixed_size 1
		.amdhsa_private_segment_fixed_size 0
		.amdhsa_kernarg_size 712
		.amdhsa_user_sgpr_count 6
		.amdhsa_user_sgpr_private_segment_buffer 1
		.amdhsa_user_sgpr_dispatch_ptr 0
		.amdhsa_user_sgpr_queue_ptr 0
		.amdhsa_user_sgpr_kernarg_segment_ptr 1
		.amdhsa_user_sgpr_dispatch_id 0
		.amdhsa_user_sgpr_flat_scratch_init 0
		.amdhsa_user_sgpr_private_segment_size 0
		.amdhsa_uses_dynamic_stack 0
		.amdhsa_system_sgpr_private_segment_wavefront_offset 0
		.amdhsa_system_sgpr_workgroup_id_x 1
		.amdhsa_system_sgpr_workgroup_id_y 1
		.amdhsa_system_sgpr_workgroup_id_z 1
		.amdhsa_system_sgpr_workgroup_info 0
		.amdhsa_system_vgpr_workitem_id 0
		.amdhsa_next_free_vgpr 19
		.amdhsa_next_free_sgpr 22
		.amdhsa_reserve_vcc 1
		.amdhsa_reserve_flat_scratch 0
		.amdhsa_float_round_mode_32 0
		.amdhsa_float_round_mode_16_64 0
		.amdhsa_float_denorm_mode_32 3
		.amdhsa_float_denorm_mode_16_64 3
		.amdhsa_dx10_clamp 1
		.amdhsa_ieee_mode 1
		.amdhsa_fp16_overflow 0
		.amdhsa_exception_fp_ieee_invalid_op 0
		.amdhsa_exception_fp_denorm_src 0
		.amdhsa_exception_fp_ieee_div_zero 0
		.amdhsa_exception_fp_ieee_overflow 0
		.amdhsa_exception_fp_ieee_underflow 0
		.amdhsa_exception_fp_ieee_inexact 0
		.amdhsa_exception_int_div_zero 0
	.end_amdhsa_kernel
	.section	.text._ZN2at6native12compute_modeIbLj1024EEEvPKT_NS_4cuda6detail10TensorInfoIS2_jEENS7_IljEEll,"axG",@progbits,_ZN2at6native12compute_modeIbLj1024EEEvPKT_NS_4cuda6detail10TensorInfoIS2_jEENS7_IljEEll,comdat
.Lfunc_end97:
	.size	_ZN2at6native12compute_modeIbLj1024EEEvPKT_NS_4cuda6detail10TensorInfoIS2_jEENS7_IljEEll, .Lfunc_end97-_ZN2at6native12compute_modeIbLj1024EEEvPKT_NS_4cuda6detail10TensorInfoIS2_jEENS7_IljEEll
                                        ; -- End function
	.set _ZN2at6native12compute_modeIbLj1024EEEvPKT_NS_4cuda6detail10TensorInfoIS2_jEENS7_IljEEll.num_vgpr, 19
	.set _ZN2at6native12compute_modeIbLj1024EEEvPKT_NS_4cuda6detail10TensorInfoIS2_jEENS7_IljEEll.num_agpr, 0
	.set _ZN2at6native12compute_modeIbLj1024EEEvPKT_NS_4cuda6detail10TensorInfoIS2_jEENS7_IljEEll.numbered_sgpr, 22
	.set _ZN2at6native12compute_modeIbLj1024EEEvPKT_NS_4cuda6detail10TensorInfoIS2_jEENS7_IljEEll.num_named_barrier, 0
	.set _ZN2at6native12compute_modeIbLj1024EEEvPKT_NS_4cuda6detail10TensorInfoIS2_jEENS7_IljEEll.private_seg_size, 0
	.set _ZN2at6native12compute_modeIbLj1024EEEvPKT_NS_4cuda6detail10TensorInfoIS2_jEENS7_IljEEll.uses_vcc, 1
	.set _ZN2at6native12compute_modeIbLj1024EEEvPKT_NS_4cuda6detail10TensorInfoIS2_jEENS7_IljEEll.uses_flat_scratch, 0
	.set _ZN2at6native12compute_modeIbLj1024EEEvPKT_NS_4cuda6detail10TensorInfoIS2_jEENS7_IljEEll.has_dyn_sized_stack, 0
	.set _ZN2at6native12compute_modeIbLj1024EEEvPKT_NS_4cuda6detail10TensorInfoIS2_jEENS7_IljEEll.has_recursion, 0
	.set _ZN2at6native12compute_modeIbLj1024EEEvPKT_NS_4cuda6detail10TensorInfoIS2_jEENS7_IljEEll.has_indirect_call, 0
	.section	.AMDGPU.csdata,"",@progbits
; Kernel info:
; codeLenInByte = 12956
; TotalNumSgprs: 26
; NumVgprs: 19
; ScratchSize: 0
; MemoryBound: 0
; FloatMode: 240
; IeeeMode: 1
; LDSByteSize: 1 bytes/workgroup (compile time only)
; SGPRBlocks: 3
; VGPRBlocks: 4
; NumSGPRsForWavesPerEU: 26
; NumVGPRsForWavesPerEU: 19
; Occupancy: 10
; WaveLimiterHint : 1
; COMPUTE_PGM_RSRC2:SCRATCH_EN: 0
; COMPUTE_PGM_RSRC2:USER_SGPR: 6
; COMPUTE_PGM_RSRC2:TRAP_HANDLER: 0
; COMPUTE_PGM_RSRC2:TGID_X_EN: 1
; COMPUTE_PGM_RSRC2:TGID_Y_EN: 1
; COMPUTE_PGM_RSRC2:TGID_Z_EN: 1
; COMPUTE_PGM_RSRC2:TIDIG_COMP_CNT: 0
	.section	.text._ZN2at6native12compute_modeIbLj128EEEvPKT_NS_4cuda6detail10TensorInfoIS2_jEENS7_IljEEll,"axG",@progbits,_ZN2at6native12compute_modeIbLj128EEEvPKT_NS_4cuda6detail10TensorInfoIS2_jEENS7_IljEEll,comdat
	.protected	_ZN2at6native12compute_modeIbLj128EEEvPKT_NS_4cuda6detail10TensorInfoIS2_jEENS7_IljEEll ; -- Begin function _ZN2at6native12compute_modeIbLj128EEEvPKT_NS_4cuda6detail10TensorInfoIS2_jEENS7_IljEEll
	.globl	_ZN2at6native12compute_modeIbLj128EEEvPKT_NS_4cuda6detail10TensorInfoIS2_jEENS7_IljEEll
	.p2align	8
	.type	_ZN2at6native12compute_modeIbLj128EEEvPKT_NS_4cuda6detail10TensorInfoIS2_jEENS7_IljEEll,@function
_ZN2at6native12compute_modeIbLj128EEEvPKT_NS_4cuda6detail10TensorInfoIS2_jEENS7_IljEEll: ; @_ZN2at6native12compute_modeIbLj128EEEvPKT_NS_4cuda6detail10TensorInfoIS2_jEENS7_IljEEll
; %bb.0:
	s_load_dwordx2 s[2:3], s[4:5], 0x1c8
	s_load_dwordx4 s[16:19], s[4:5], 0x1b8
	s_add_u32 s0, s4, 0x1c8
	s_addc_u32 s1, s5, 0
	v_mov_b32_e32 v2, 0
	s_waitcnt lgkmcnt(0)
	s_mul_i32 s3, s3, s8
	s_add_i32 s3, s3, s7
	s_mul_i32 s2, s3, s2
	s_add_i32 s20, s2, s6
	v_mov_b32_e32 v1, s20
	v_cmp_le_i64_e32 vcc, s[18:19], v[1:2]
	s_cbranch_vccnz .LBB98_107
; %bb.1:
	s_load_dwordx2 s[14:15], s[4:5], 0x0
	s_load_dword s6, s[0:1], 0xc
	v_mov_b32_e32 v1, v2
	v_cmp_gt_i64_e32 vcc, s[16:17], v[0:1]
	s_mul_i32 s21, s20, s16
	v_add_u32_e32 v3, 1, v0
	s_and_saveexec_b64 s[2:3], vcc
	s_cbranch_execz .LBB98_3
; %bb.2:
	v_add_u32_e32 v1, s21, v0
	s_waitcnt lgkmcnt(0)
	global_load_ubyte v1, v1, s[14:15]
	s_waitcnt vmcnt(0)
	v_cmp_ne_u16_e64 s[0:1], 0, v1
	v_cndmask_b32_e64 v1, 0, 1, s[0:1]
	ds_write_b8 v3, v1
.LBB98_3:
	s_or_b64 exec, exec, s[2:3]
	s_waitcnt lgkmcnt(0)
	s_and_b32 s18, 0xffff, s6
	v_add_u32_e32 v1, s18, v0
	v_cmp_gt_i64_e64 s[0:1], s[16:17], v[1:2]
	s_and_saveexec_b64 s[6:7], s[0:1]
	s_cbranch_execz .LBB98_5
; %bb.4:
	v_add_u32_e32 v2, s21, v1
	global_load_ubyte v2, v2, s[14:15]
	v_add_u32_e32 v1, 1, v1
	s_waitcnt vmcnt(0)
	v_cmp_ne_u16_e64 s[2:3], 0, v2
	v_cndmask_b32_e64 v2, 0, 1, s[2:3]
	ds_write_b8 v1, v2
.LBB98_5:
	s_or_b64 exec, exec, s[6:7]
	v_cndmask_b32_e64 v1, 0, 1, vcc
	ds_write_b8 v3, v1 offset:128
	v_add_u32_e32 v1, s18, v3
	v_cndmask_b32_e64 v2, 0, 1, s[0:1]
	ds_write_b8 v1, v2 offset:128
	v_add_u32_e32 v2, v3, v0
	s_waitcnt lgkmcnt(0)
	s_barrier
	s_barrier
	ds_read_u8 v1, v2
	ds_read_u8 v5, v2 offset:1
	ds_read_u8 v4, v2 offset:128
	;; [unrolled: 1-line block ×3, first 2 shown]
	v_and_b32_e32 v3, 1, v0
	s_waitcnt lgkmcnt(2)
	v_cmp_lt_u16_e32 vcc, v1, v5
	s_waitcnt lgkmcnt(1)
	v_and_b32_e32 v7, 1, v4
	v_cmp_eq_u32_e64 s[0:1], 1, v7
	s_waitcnt lgkmcnt(0)
	v_cmp_ne_u16_e64 s[2:3], v6, v3
	v_cndmask_b32_e64 v7, 0, 1, s[2:3]
	s_and_b64 vcc, vcc, s[0:1]
	v_cndmask_b32_e32 v7, v7, v0, vcc
	v_and_b32_e32 v7, 1, v7
	v_cmp_eq_u32_e32 vcc, 1, v7
	s_and_saveexec_b64 s[0:1], vcc
	s_cbranch_execz .LBB98_7
; %bb.6:
	ds_write_b8 v2, v5
	ds_write_b8 v2, v1 offset:1
	ds_write_b8 v2, v6 offset:128
	;; [unrolled: 1-line block ×3, first 2 shown]
.LBB98_7:
	s_or_b64 exec, exec, s[0:1]
	v_lshlrev_b32_e32 v1, 1, v0
	v_sub_u32_e32 v3, v1, v3
	v_add_u32_e32 v3, 1, v3
	s_waitcnt lgkmcnt(0)
	s_barrier
	ds_read_u8 v5, v3
	ds_read_u8 v7, v3 offset:2
	ds_read_u8 v6, v3 offset:128
	;; [unrolled: 1-line block ×3, first 2 shown]
	v_bfe_u32 v9, v0, 1, 1
	v_and_b32_e32 v4, 2, v0
	s_waitcnt lgkmcnt(2)
	v_cmp_lt_u16_e64 s[0:1], v5, v7
	s_waitcnt lgkmcnt(1)
	v_and_b32_e32 v10, 1, v6
	v_cmp_eq_u32_e64 s[2:3], 1, v10
	s_waitcnt lgkmcnt(0)
	v_cmp_ne_u16_e64 s[6:7], v8, v9
	v_cndmask_b32_e64 v10, 0, 1, s[6:7]
	s_and_b64 s[0:1], s[0:1], s[2:3]
	v_cndmask_b32_e64 v9, v10, v9, s[0:1]
	v_and_b32_e32 v9, 1, v9
	v_cmp_ne_u32_e32 vcc, 0, v4
	v_cmp_eq_u32_e64 s[0:1], 1, v9
	s_and_saveexec_b64 s[2:3], s[0:1]
	s_xor_b64 s[0:1], exec, s[2:3]
	s_cbranch_execz .LBB98_9
; %bb.8:
	ds_write_b8 v3, v7
	ds_write_b8 v3, v5 offset:2
	ds_write_b8 v3, v8 offset:128
	;; [unrolled: 1-line block ×3, first 2 shown]
.LBB98_9:
	s_or_b64 exec, exec, s[0:1]
	s_waitcnt lgkmcnt(0)
	s_barrier
	ds_read_u8 v5, v2
	ds_read_u8 v7, v2 offset:1
	ds_read_u8 v6, v2 offset:128
	;; [unrolled: 1-line block ×3, first 2 shown]
	v_lshrrev_b32_e32 v4, 1, v4
	s_waitcnt lgkmcnt(2)
	v_cmp_lt_u16_e64 s[0:1], v5, v7
	s_waitcnt lgkmcnt(1)
	v_and_b32_e32 v9, 1, v6
	v_cmp_eq_u32_e64 s[2:3], 1, v9
	s_waitcnt lgkmcnt(0)
	v_cmp_ne_u16_e64 s[6:7], v8, v4
	v_cndmask_b32_e64 v4, 0, 1, s[6:7]
	v_cndmask_b32_e64 v9, 0, 1, vcc
	s_and_b64 vcc, s[0:1], s[2:3]
	v_cndmask_b32_e32 v4, v4, v9, vcc
	v_and_b32_e32 v4, 1, v4
	v_cmp_eq_u32_e32 vcc, 1, v4
	s_and_saveexec_b64 s[0:1], vcc
	s_cbranch_execz .LBB98_11
; %bb.10:
	ds_write_b8 v2, v7
	ds_write_b8 v2, v5 offset:1
	ds_write_b8 v2, v8 offset:128
	;; [unrolled: 1-line block ×3, first 2 shown]
.LBB98_11:
	s_or_b64 exec, exec, s[0:1]
	v_and_b32_e32 v4, 3, v0
	v_sub_u32_e32 v4, v1, v4
	v_add_u32_e32 v4, 1, v4
	s_waitcnt lgkmcnt(0)
	s_barrier
	ds_read_u8 v6, v4
	ds_read_u8 v8, v4 offset:4
	ds_read_u8 v7, v4 offset:128
	;; [unrolled: 1-line block ×3, first 2 shown]
	v_bfe_u32 v10, v0, 2, 1
	v_and_b32_e32 v5, 4, v0
	s_waitcnt lgkmcnt(2)
	v_cmp_lt_u16_e64 s[0:1], v6, v8
	s_waitcnt lgkmcnt(1)
	v_and_b32_e32 v11, 1, v7
	v_cmp_eq_u32_e64 s[2:3], 1, v11
	s_waitcnt lgkmcnt(0)
	v_cmp_ne_u16_e64 s[6:7], v9, v10
	v_cndmask_b32_e64 v11, 0, 1, s[6:7]
	s_and_b64 s[0:1], s[0:1], s[2:3]
	v_cndmask_b32_e64 v10, v11, v10, s[0:1]
	v_and_b32_e32 v10, 1, v10
	v_cmp_ne_u32_e32 vcc, 0, v5
	v_cmp_eq_u32_e64 s[0:1], 1, v10
	s_and_saveexec_b64 s[2:3], s[0:1]
	s_cbranch_execz .LBB98_13
; %bb.12:
	ds_write_b8 v4, v8
	ds_write_b8 v4, v6 offset:4
	ds_write_b8 v4, v9 offset:128
	;; [unrolled: 1-line block ×3, first 2 shown]
.LBB98_13:
	s_or_b64 exec, exec, s[2:3]
	s_waitcnt lgkmcnt(0)
	s_barrier
	ds_read_u8 v7, v3
	ds_read_u8 v9, v3 offset:2
	ds_read_u8 v8, v3 offset:128
	;; [unrolled: 1-line block ×3, first 2 shown]
	v_lshrrev_b32_e32 v5, 2, v5
	s_waitcnt lgkmcnt(2)
	v_cmp_lt_u16_e64 s[0:1], v7, v9
	s_waitcnt lgkmcnt(1)
	v_and_b32_e32 v6, 1, v8
	v_cmp_eq_u32_e64 s[2:3], 1, v6
	s_waitcnt lgkmcnt(0)
	v_cmp_ne_u16_e64 s[6:7], v10, v5
	v_cndmask_b32_e64 v11, 0, 1, s[6:7]
	v_cndmask_b32_e64 v6, 0, 1, vcc
	s_and_b64 vcc, s[0:1], s[2:3]
	v_cndmask_b32_e32 v11, v11, v6, vcc
	v_and_b32_e32 v11, 1, v11
	v_cmp_eq_u32_e32 vcc, 1, v11
	s_and_saveexec_b64 s[0:1], vcc
	s_cbranch_execz .LBB98_15
; %bb.14:
	ds_write_b8 v3, v9
	ds_write_b8 v3, v7 offset:2
	ds_write_b8 v3, v10 offset:128
	ds_write_b8 v3, v8 offset:130
.LBB98_15:
	s_or_b64 exec, exec, s[0:1]
	s_waitcnt lgkmcnt(0)
	s_barrier
	ds_read_u8 v7, v2
	ds_read_u8 v9, v2 offset:1
	ds_read_u8 v8, v2 offset:128
	;; [unrolled: 1-line block ×3, first 2 shown]
	s_waitcnt lgkmcnt(2)
	v_cmp_lt_u16_e32 vcc, v7, v9
	s_waitcnt lgkmcnt(1)
	v_and_b32_e32 v11, 1, v8
	v_cmp_eq_u32_e64 s[0:1], 1, v11
	s_waitcnt lgkmcnt(0)
	v_cmp_ne_u16_e64 s[2:3], v10, v5
	v_cndmask_b32_e64 v5, 0, 1, s[2:3]
	s_and_b64 vcc, vcc, s[0:1]
	v_cndmask_b32_e32 v5, v5, v6, vcc
	v_and_b32_e32 v5, 1, v5
	v_cmp_eq_u32_e32 vcc, 1, v5
	s_and_saveexec_b64 s[0:1], vcc
	s_cbranch_execz .LBB98_17
; %bb.16:
	ds_write_b8 v2, v9
	ds_write_b8 v2, v7 offset:1
	ds_write_b8 v2, v10 offset:128
	;; [unrolled: 1-line block ×3, first 2 shown]
.LBB98_17:
	s_or_b64 exec, exec, s[0:1]
	v_and_b32_e32 v6, 7, v0
	v_sub_u32_e32 v6, v1, v6
	v_add_u32_e32 v6, 1, v6
	s_waitcnt lgkmcnt(0)
	s_barrier
	ds_read_u8 v7, v6
	ds_read_u8 v9, v6 offset:8
	ds_read_u8 v8, v6 offset:128
	ds_read_u8 v10, v6 offset:136
	v_bfe_u32 v11, v0, 3, 1
	v_and_b32_e32 v5, 8, v0
	s_waitcnt lgkmcnt(2)
	v_cmp_lt_u16_e64 s[0:1], v7, v9
	s_waitcnt lgkmcnt(1)
	v_and_b32_e32 v12, 1, v8
	v_cmp_eq_u32_e64 s[2:3], 1, v12
	s_waitcnt lgkmcnt(0)
	v_cmp_ne_u16_e64 s[6:7], v10, v11
	v_cndmask_b32_e64 v12, 0, 1, s[6:7]
	s_and_b64 s[0:1], s[0:1], s[2:3]
	v_cndmask_b32_e64 v11, v12, v11, s[0:1]
	v_and_b32_e32 v11, 1, v11
	v_cmp_ne_u32_e32 vcc, 0, v5
	v_cmp_eq_u32_e64 s[0:1], 1, v11
	s_and_saveexec_b64 s[2:3], s[0:1]
	s_cbranch_execz .LBB98_19
; %bb.18:
	ds_write_b8 v6, v9
	ds_write_b8 v6, v7 offset:8
	ds_write_b8 v6, v10 offset:128
	;; [unrolled: 1-line block ×3, first 2 shown]
.LBB98_19:
	s_or_b64 exec, exec, s[2:3]
	s_waitcnt lgkmcnt(0)
	s_barrier
	ds_read_u8 v8, v4
	ds_read_u8 v10, v4 offset:4
	ds_read_u8 v9, v4 offset:128
	;; [unrolled: 1-line block ×3, first 2 shown]
	v_lshrrev_b32_e32 v5, 3, v5
	s_waitcnt lgkmcnt(2)
	v_cmp_lt_u16_e64 s[0:1], v8, v10
	s_waitcnt lgkmcnt(1)
	v_and_b32_e32 v7, 1, v9
	v_cmp_eq_u32_e64 s[2:3], 1, v7
	s_waitcnt lgkmcnt(0)
	v_cmp_ne_u16_e64 s[6:7], v11, v5
	v_cndmask_b32_e64 v12, 0, 1, s[6:7]
	v_cndmask_b32_e64 v7, 0, 1, vcc
	s_and_b64 vcc, s[0:1], s[2:3]
	v_cndmask_b32_e32 v12, v12, v7, vcc
	v_and_b32_e32 v12, 1, v12
	v_cmp_eq_u32_e32 vcc, 1, v12
	s_and_saveexec_b64 s[0:1], vcc
	s_cbranch_execz .LBB98_21
; %bb.20:
	ds_write_b8 v4, v10
	ds_write_b8 v4, v8 offset:4
	ds_write_b8 v4, v11 offset:128
	;; [unrolled: 1-line block ×3, first 2 shown]
.LBB98_21:
	s_or_b64 exec, exec, s[0:1]
	s_waitcnt lgkmcnt(0)
	s_barrier
	ds_read_u8 v8, v3
	ds_read_u8 v10, v3 offset:2
	ds_read_u8 v9, v3 offset:128
	;; [unrolled: 1-line block ×3, first 2 shown]
	s_waitcnt lgkmcnt(2)
	v_cmp_lt_u16_e32 vcc, v8, v10
	s_waitcnt lgkmcnt(1)
	v_and_b32_e32 v12, 1, v9
	v_cmp_eq_u32_e64 s[0:1], 1, v12
	s_waitcnt lgkmcnt(0)
	v_cmp_ne_u16_e64 s[2:3], v11, v5
	v_cndmask_b32_e64 v12, 0, 1, s[2:3]
	s_and_b64 vcc, vcc, s[0:1]
	v_cndmask_b32_e32 v12, v12, v7, vcc
	v_and_b32_e32 v12, 1, v12
	v_cmp_eq_u32_e32 vcc, 1, v12
	s_and_saveexec_b64 s[0:1], vcc
	s_cbranch_execz .LBB98_23
; %bb.22:
	ds_write_b8 v3, v10
	ds_write_b8 v3, v8 offset:2
	ds_write_b8 v3, v11 offset:128
	;; [unrolled: 1-line block ×3, first 2 shown]
.LBB98_23:
	s_or_b64 exec, exec, s[0:1]
	s_waitcnt lgkmcnt(0)
	s_barrier
	ds_read_u8 v8, v2
	ds_read_u8 v10, v2 offset:1
	ds_read_u8 v9, v2 offset:128
	;; [unrolled: 1-line block ×3, first 2 shown]
	s_waitcnt lgkmcnt(2)
	v_cmp_lt_u16_e32 vcc, v8, v10
	s_waitcnt lgkmcnt(1)
	v_and_b32_e32 v12, 1, v9
	v_cmp_eq_u32_e64 s[0:1], 1, v12
	s_waitcnt lgkmcnt(0)
	v_cmp_ne_u16_e64 s[2:3], v11, v5
	v_cndmask_b32_e64 v5, 0, 1, s[2:3]
	s_and_b64 vcc, vcc, s[0:1]
	v_cndmask_b32_e32 v5, v5, v7, vcc
	v_and_b32_e32 v5, 1, v5
	v_cmp_eq_u32_e32 vcc, 1, v5
	s_and_saveexec_b64 s[0:1], vcc
	s_cbranch_execz .LBB98_25
; %bb.24:
	ds_write_b8 v2, v10
	ds_write_b8 v2, v8 offset:1
	ds_write_b8 v2, v11 offset:128
	;; [unrolled: 1-line block ×3, first 2 shown]
.LBB98_25:
	s_or_b64 exec, exec, s[0:1]
	v_and_b32_e32 v7, 15, v0
	v_sub_u32_e32 v7, v1, v7
	v_add_u32_e32 v7, 1, v7
	s_waitcnt lgkmcnt(0)
	s_barrier
	ds_read_u8 v8, v7
	ds_read_u8 v10, v7 offset:16
	ds_read_u8 v9, v7 offset:128
	;; [unrolled: 1-line block ×3, first 2 shown]
	v_bfe_u32 v12, v0, 4, 1
	v_and_b32_e32 v5, 16, v0
	s_waitcnt lgkmcnt(2)
	v_cmp_lt_u16_e64 s[0:1], v8, v10
	s_waitcnt lgkmcnt(1)
	v_and_b32_e32 v13, 1, v9
	v_cmp_eq_u32_e64 s[2:3], 1, v13
	s_waitcnt lgkmcnt(0)
	v_cmp_ne_u16_e64 s[6:7], v11, v12
	v_cndmask_b32_e64 v13, 0, 1, s[6:7]
	s_and_b64 s[0:1], s[0:1], s[2:3]
	v_cndmask_b32_e64 v12, v13, v12, s[0:1]
	v_and_b32_e32 v12, 1, v12
	v_cmp_ne_u32_e32 vcc, 0, v5
	v_cmp_eq_u32_e64 s[0:1], 1, v12
	s_and_saveexec_b64 s[2:3], s[0:1]
	s_cbranch_execz .LBB98_27
; %bb.26:
	ds_write_b8 v7, v10
	ds_write_b8 v7, v8 offset:16
	ds_write_b8 v7, v11 offset:128
	;; [unrolled: 1-line block ×3, first 2 shown]
.LBB98_27:
	s_or_b64 exec, exec, s[2:3]
	s_waitcnt lgkmcnt(0)
	s_barrier
	ds_read_u8 v9, v6
	ds_read_u8 v11, v6 offset:8
	ds_read_u8 v10, v6 offset:128
	;; [unrolled: 1-line block ×3, first 2 shown]
	v_lshrrev_b32_e32 v5, 4, v5
	s_waitcnt lgkmcnt(2)
	v_cmp_lt_u16_e64 s[0:1], v9, v11
	s_waitcnt lgkmcnt(1)
	v_and_b32_e32 v8, 1, v10
	v_cmp_eq_u32_e64 s[2:3], 1, v8
	s_waitcnt lgkmcnt(0)
	v_cmp_ne_u16_e64 s[6:7], v12, v5
	v_cndmask_b32_e64 v13, 0, 1, s[6:7]
	v_cndmask_b32_e64 v8, 0, 1, vcc
	s_and_b64 vcc, s[0:1], s[2:3]
	v_cndmask_b32_e32 v13, v13, v8, vcc
	v_and_b32_e32 v13, 1, v13
	v_cmp_eq_u32_e32 vcc, 1, v13
	s_and_saveexec_b64 s[0:1], vcc
	s_cbranch_execz .LBB98_29
; %bb.28:
	ds_write_b8 v6, v11
	ds_write_b8 v6, v9 offset:8
	ds_write_b8 v6, v12 offset:128
	ds_write_b8 v6, v10 offset:136
.LBB98_29:
	s_or_b64 exec, exec, s[0:1]
	s_waitcnt lgkmcnt(0)
	s_barrier
	ds_read_u8 v9, v4
	ds_read_u8 v11, v4 offset:4
	ds_read_u8 v10, v4 offset:128
	ds_read_u8 v12, v4 offset:132
	s_waitcnt lgkmcnt(2)
	v_cmp_lt_u16_e32 vcc, v9, v11
	s_waitcnt lgkmcnt(1)
	v_and_b32_e32 v13, 1, v10
	v_cmp_eq_u32_e64 s[0:1], 1, v13
	s_waitcnt lgkmcnt(0)
	v_cmp_ne_u16_e64 s[2:3], v12, v5
	v_cndmask_b32_e64 v13, 0, 1, s[2:3]
	s_and_b64 vcc, vcc, s[0:1]
	v_cndmask_b32_e32 v13, v13, v8, vcc
	v_and_b32_e32 v13, 1, v13
	v_cmp_eq_u32_e32 vcc, 1, v13
	s_and_saveexec_b64 s[0:1], vcc
	s_cbranch_execz .LBB98_31
; %bb.30:
	ds_write_b8 v4, v11
	ds_write_b8 v4, v9 offset:4
	ds_write_b8 v4, v12 offset:128
	ds_write_b8 v4, v10 offset:132
.LBB98_31:
	s_or_b64 exec, exec, s[0:1]
	s_waitcnt lgkmcnt(0)
	s_barrier
	ds_read_u8 v9, v3
	ds_read_u8 v11, v3 offset:2
	ds_read_u8 v10, v3 offset:128
	ds_read_u8 v12, v3 offset:130
	s_waitcnt lgkmcnt(2)
	v_cmp_lt_u16_e32 vcc, v9, v11
	s_waitcnt lgkmcnt(1)
	v_and_b32_e32 v13, 1, v10
	v_cmp_eq_u32_e64 s[0:1], 1, v13
	s_waitcnt lgkmcnt(0)
	v_cmp_ne_u16_e64 s[2:3], v12, v5
	v_cndmask_b32_e64 v13, 0, 1, s[2:3]
	s_and_b64 vcc, vcc, s[0:1]
	;; [unrolled: 27-line block ×3, first 2 shown]
	v_cndmask_b32_e32 v5, v5, v8, vcc
	v_and_b32_e32 v5, 1, v5
	v_cmp_eq_u32_e32 vcc, 1, v5
	s_and_saveexec_b64 s[0:1], vcc
	s_cbranch_execz .LBB98_35
; %bb.34:
	ds_write_b8 v2, v11
	ds_write_b8 v2, v9 offset:1
	ds_write_b8 v2, v12 offset:128
	ds_write_b8 v2, v10 offset:129
.LBB98_35:
	s_or_b64 exec, exec, s[0:1]
	v_and_b32_e32 v8, 31, v0
	v_sub_u32_e32 v8, v1, v8
	v_add_u32_e32 v8, 1, v8
	s_waitcnt lgkmcnt(0)
	s_barrier
	ds_read_u8 v9, v8
	ds_read_u8 v11, v8 offset:32
	ds_read_u8 v10, v8 offset:128
	;; [unrolled: 1-line block ×3, first 2 shown]
	v_bfe_u32 v13, v0, 5, 1
	v_and_b32_e32 v5, 32, v0
	s_waitcnt lgkmcnt(2)
	v_cmp_lt_u16_e64 s[0:1], v9, v11
	s_waitcnt lgkmcnt(1)
	v_and_b32_e32 v14, 1, v10
	v_cmp_eq_u32_e64 s[2:3], 1, v14
	s_waitcnt lgkmcnt(0)
	v_cmp_ne_u16_e64 s[6:7], v12, v13
	v_cndmask_b32_e64 v14, 0, 1, s[6:7]
	s_and_b64 s[0:1], s[0:1], s[2:3]
	v_cndmask_b32_e64 v13, v14, v13, s[0:1]
	v_and_b32_e32 v13, 1, v13
	v_cmp_ne_u32_e32 vcc, 0, v5
	v_cmp_eq_u32_e64 s[0:1], 1, v13
	s_and_saveexec_b64 s[2:3], s[0:1]
	s_cbranch_execz .LBB98_37
; %bb.36:
	ds_write_b8 v8, v11
	ds_write_b8 v8, v9 offset:32
	ds_write_b8 v8, v12 offset:128
	;; [unrolled: 1-line block ×3, first 2 shown]
.LBB98_37:
	s_or_b64 exec, exec, s[2:3]
	s_waitcnt lgkmcnt(0)
	s_barrier
	ds_read_u8 v10, v7
	ds_read_u8 v12, v7 offset:16
	ds_read_u8 v11, v7 offset:128
	;; [unrolled: 1-line block ×3, first 2 shown]
	v_lshrrev_b32_e32 v5, 5, v5
	s_waitcnt lgkmcnt(2)
	v_cmp_lt_u16_e64 s[0:1], v10, v12
	s_waitcnt lgkmcnt(1)
	v_and_b32_e32 v9, 1, v11
	v_cmp_eq_u32_e64 s[2:3], 1, v9
	s_waitcnt lgkmcnt(0)
	v_cmp_ne_u16_e64 s[6:7], v13, v5
	v_cndmask_b32_e64 v14, 0, 1, s[6:7]
	v_cndmask_b32_e64 v9, 0, 1, vcc
	s_and_b64 vcc, s[0:1], s[2:3]
	v_cndmask_b32_e32 v14, v14, v9, vcc
	v_and_b32_e32 v14, 1, v14
	v_cmp_eq_u32_e32 vcc, 1, v14
	s_and_saveexec_b64 s[0:1], vcc
	s_cbranch_execz .LBB98_39
; %bb.38:
	ds_write_b8 v7, v12
	ds_write_b8 v7, v10 offset:16
	ds_write_b8 v7, v13 offset:128
	ds_write_b8 v7, v11 offset:144
.LBB98_39:
	s_or_b64 exec, exec, s[0:1]
	s_waitcnt lgkmcnt(0)
	s_barrier
	ds_read_u8 v10, v6
	ds_read_u8 v12, v6 offset:8
	ds_read_u8 v11, v6 offset:128
	ds_read_u8 v13, v6 offset:136
	s_waitcnt lgkmcnt(2)
	v_cmp_lt_u16_e32 vcc, v10, v12
	s_waitcnt lgkmcnt(1)
	v_and_b32_e32 v14, 1, v11
	v_cmp_eq_u32_e64 s[0:1], 1, v14
	s_waitcnt lgkmcnt(0)
	v_cmp_ne_u16_e64 s[2:3], v13, v5
	v_cndmask_b32_e64 v14, 0, 1, s[2:3]
	s_and_b64 vcc, vcc, s[0:1]
	v_cndmask_b32_e32 v14, v14, v9, vcc
	v_and_b32_e32 v14, 1, v14
	v_cmp_eq_u32_e32 vcc, 1, v14
	s_and_saveexec_b64 s[0:1], vcc
	s_cbranch_execz .LBB98_41
; %bb.40:
	ds_write_b8 v6, v12
	ds_write_b8 v6, v10 offset:8
	ds_write_b8 v6, v13 offset:128
	ds_write_b8 v6, v11 offset:136
.LBB98_41:
	s_or_b64 exec, exec, s[0:1]
	s_waitcnt lgkmcnt(0)
	s_barrier
	ds_read_u8 v10, v4
	ds_read_u8 v12, v4 offset:4
	ds_read_u8 v11, v4 offset:128
	ds_read_u8 v13, v4 offset:132
	s_waitcnt lgkmcnt(2)
	v_cmp_lt_u16_e32 vcc, v10, v12
	s_waitcnt lgkmcnt(1)
	v_and_b32_e32 v14, 1, v11
	v_cmp_eq_u32_e64 s[0:1], 1, v14
	s_waitcnt lgkmcnt(0)
	v_cmp_ne_u16_e64 s[2:3], v13, v5
	v_cndmask_b32_e64 v14, 0, 1, s[2:3]
	s_and_b64 vcc, vcc, s[0:1]
	;; [unrolled: 27-line block ×4, first 2 shown]
	v_cndmask_b32_e32 v5, v5, v9, vcc
	v_and_b32_e32 v5, 1, v5
	v_cmp_eq_u32_e32 vcc, 1, v5
	s_and_saveexec_b64 s[0:1], vcc
	s_cbranch_execz .LBB98_47
; %bb.46:
	ds_write_b8 v2, v12
	ds_write_b8 v2, v10 offset:1
	ds_write_b8 v2, v13 offset:128
	;; [unrolled: 1-line block ×3, first 2 shown]
.LBB98_47:
	s_or_b64 exec, exec, s[0:1]
	v_and_b32_e32 v5, 63, v0
	v_sub_u32_e32 v9, v1, v5
	v_add_u32_e32 v10, 1, v9
	s_waitcnt lgkmcnt(0)
	s_barrier
	ds_read_u8 v11, v10
	ds_read_u8 v13, v10 offset:64
	ds_read_u8 v12, v10 offset:128
	;; [unrolled: 1-line block ×3, first 2 shown]
	s_waitcnt lgkmcnt(2)
	v_cmp_ge_u16_e32 vcc, v11, v13
	s_waitcnt lgkmcnt(1)
	v_and_b32_e32 v9, 1, v12
	v_cmp_eq_u32_e64 s[0:1], 1, v9
	s_xor_b64 s[0:1], s[0:1], -1
	v_mov_b32_e32 v9, 0
	s_or_b64 s[0:1], vcc, s[0:1]
	s_waitcnt lgkmcnt(0)
	v_cmp_ne_u16_sdwa s[2:3], v14, v9 src0_sel:BYTE_0 src1_sel:DWORD
	s_and_b64 s[2:3], s[0:1], s[2:3]
	s_and_saveexec_b64 s[0:1], s[2:3]
	s_cbranch_execz .LBB98_49
; %bb.48:
	ds_write_b8 v10, v13
	ds_write_b8 v10, v11 offset:64
	v_mov_b32_e32 v11, 1
	ds_write_b8 v10, v11 offset:128
	ds_write_b8 v10, v12 offset:192
.LBB98_49:
	s_or_b64 exec, exec, s[0:1]
	s_waitcnt lgkmcnt(0)
	s_barrier
	ds_read_u8 v10, v8
	ds_read_u8 v12, v8 offset:32
	ds_read_u8 v11, v8 offset:128
	;; [unrolled: 1-line block ×3, first 2 shown]
	s_waitcnt lgkmcnt(2)
	v_cmp_ge_u16_e32 vcc, v10, v12
	s_waitcnt lgkmcnt(1)
	v_and_b32_e32 v14, 1, v11
	v_cmp_eq_u32_e64 s[0:1], 1, v14
	s_xor_b64 s[0:1], s[0:1], -1
	s_or_b64 s[0:1], vcc, s[0:1]
	s_waitcnt lgkmcnt(0)
	v_cmp_ne_u16_sdwa s[2:3], v13, v9 src0_sel:BYTE_0 src1_sel:DWORD
	s_and_b64 s[2:3], s[0:1], s[2:3]
	s_and_saveexec_b64 s[0:1], s[2:3]
	s_cbranch_execz .LBB98_51
; %bb.50:
	v_mov_b32_e32 v9, 1
	ds_write_b8 v8, v12
	ds_write_b8 v8, v10 offset:32
	ds_write_b8 v8, v9 offset:128
	;; [unrolled: 1-line block ×3, first 2 shown]
.LBB98_51:
	s_or_b64 exec, exec, s[0:1]
	s_waitcnt lgkmcnt(0)
	s_barrier
	ds_read_u8 v9, v7
	ds_read_u8 v11, v7 offset:16
	ds_read_u8 v10, v7 offset:128
	;; [unrolled: 1-line block ×3, first 2 shown]
	s_waitcnt lgkmcnt(2)
	v_cmp_ge_u16_e32 vcc, v9, v11
	s_waitcnt lgkmcnt(1)
	v_and_b32_e32 v8, 1, v10
	v_cmp_eq_u32_e64 s[0:1], 1, v8
	s_xor_b64 s[0:1], s[0:1], -1
	v_mov_b32_e32 v8, 0
	s_or_b64 s[0:1], vcc, s[0:1]
	s_waitcnt lgkmcnt(0)
	v_cmp_ne_u16_sdwa s[2:3], v12, v8 src0_sel:BYTE_0 src1_sel:DWORD
	s_and_b64 s[2:3], s[0:1], s[2:3]
	s_and_saveexec_b64 s[0:1], s[2:3]
	s_cbranch_execz .LBB98_53
; %bb.52:
	ds_write_b8 v7, v11
	ds_write_b8 v7, v9 offset:16
	v_mov_b32_e32 v9, 1
	ds_write_b8 v7, v9 offset:128
	ds_write_b8 v7, v10 offset:144
.LBB98_53:
	s_or_b64 exec, exec, s[0:1]
	s_waitcnt lgkmcnt(0)
	s_barrier
	ds_read_u8 v7, v6
	ds_read_u8 v10, v6 offset:8
	ds_read_u8 v9, v6 offset:128
	;; [unrolled: 1-line block ×3, first 2 shown]
	s_waitcnt lgkmcnt(2)
	v_cmp_ge_u16_e32 vcc, v7, v10
	s_waitcnt lgkmcnt(1)
	v_and_b32_e32 v12, 1, v9
	v_cmp_eq_u32_e64 s[0:1], 1, v12
	s_xor_b64 s[0:1], s[0:1], -1
	s_or_b64 s[0:1], vcc, s[0:1]
	s_waitcnt lgkmcnt(0)
	v_cmp_ne_u16_sdwa s[2:3], v11, v8 src0_sel:BYTE_0 src1_sel:DWORD
	s_and_b64 s[2:3], s[0:1], s[2:3]
	s_and_saveexec_b64 s[0:1], s[2:3]
	s_cbranch_execz .LBB98_55
; %bb.54:
	ds_write_b8 v6, v10
	ds_write_b8 v6, v7 offset:8
	v_mov_b32_e32 v7, 1
	ds_write_b8 v6, v7 offset:128
	ds_write_b8 v6, v9 offset:136
.LBB98_55:
	s_or_b64 exec, exec, s[0:1]
	s_waitcnt lgkmcnt(0)
	s_barrier
	ds_read_u8 v7, v4
	ds_read_u8 v9, v4 offset:4
	ds_read_u8 v8, v4 offset:128
	;; [unrolled: 1-line block ×3, first 2 shown]
	s_waitcnt lgkmcnt(2)
	v_cmp_ge_u16_e32 vcc, v7, v9
	s_waitcnt lgkmcnt(1)
	v_and_b32_e32 v6, 1, v8
	v_cmp_eq_u32_e64 s[0:1], 1, v6
	s_xor_b64 s[0:1], s[0:1], -1
	v_mov_b32_e32 v6, 0
	s_or_b64 s[0:1], vcc, s[0:1]
	s_waitcnt lgkmcnt(0)
	v_cmp_ne_u16_sdwa s[2:3], v10, v6 src0_sel:BYTE_0 src1_sel:DWORD
	s_and_b64 s[2:3], s[0:1], s[2:3]
	s_and_saveexec_b64 s[0:1], s[2:3]
	s_cbranch_execz .LBB98_57
; %bb.56:
	ds_write_b8 v4, v9
	ds_write_b8 v4, v7 offset:4
	v_mov_b32_e32 v7, 1
	ds_write_b8 v4, v7 offset:128
	ds_write_b8 v4, v8 offset:132
.LBB98_57:
	s_or_b64 exec, exec, s[0:1]
	s_waitcnt lgkmcnt(0)
	s_barrier
	ds_read_u8 v4, v3
	ds_read_u8 v8, v3 offset:2
	ds_read_u8 v7, v3 offset:128
	;; [unrolled: 1-line block ×3, first 2 shown]
	s_waitcnt lgkmcnt(2)
	v_cmp_ge_u16_e32 vcc, v4, v8
	s_waitcnt lgkmcnt(1)
	v_and_b32_e32 v10, 1, v7
	v_cmp_eq_u32_e64 s[0:1], 1, v10
	s_xor_b64 s[0:1], s[0:1], -1
	s_or_b64 s[0:1], vcc, s[0:1]
	s_waitcnt lgkmcnt(0)
	v_cmp_ne_u16_sdwa s[2:3], v9, v6 src0_sel:BYTE_0 src1_sel:DWORD
	s_and_b64 s[2:3], s[0:1], s[2:3]
	s_and_saveexec_b64 s[0:1], s[2:3]
	s_cbranch_execz .LBB98_59
; %bb.58:
	ds_write_b8 v3, v8
	ds_write_b8 v3, v4 offset:2
	v_mov_b32_e32 v4, 1
	ds_write_b8 v3, v4 offset:128
	ds_write_b8 v3, v7 offset:130
.LBB98_59:
	s_or_b64 exec, exec, s[0:1]
	s_waitcnt lgkmcnt(0)
	s_barrier
	ds_read_u8 v3, v2
	ds_read_u8 v6, v2 offset:1
	ds_read_u8 v4, v2 offset:128
	;; [unrolled: 1-line block ×3, first 2 shown]
	s_waitcnt lgkmcnt(2)
	v_cmp_ge_u16_e32 vcc, v3, v6
	s_waitcnt lgkmcnt(1)
	v_and_b32_e32 v8, 1, v4
	v_cmp_eq_u32_e64 s[0:1], 1, v8
	s_xor_b64 s[0:1], s[0:1], -1
	v_mov_b32_e32 v8, 0
	s_or_b64 s[0:1], vcc, s[0:1]
	s_waitcnt lgkmcnt(0)
	v_cmp_ne_u16_sdwa s[2:3], v7, v8 src0_sel:BYTE_0 src1_sel:DWORD
	s_and_b64 s[2:3], s[0:1], s[2:3]
	s_and_saveexec_b64 s[0:1], s[2:3]
	s_cbranch_execz .LBB98_61
; %bb.60:
	ds_write_b8 v2, v6
	ds_write_b8 v2, v3 offset:1
	v_mov_b32_e32 v3, 1
	ds_write_b8 v2, v3 offset:128
	ds_write_b8 v2, v4 offset:129
.LBB98_61:
	s_or_b64 exec, exec, s[0:1]
	v_cmp_eq_u32_e32 vcc, 0, v0
	s_waitcnt lgkmcnt(0)
	s_barrier
	s_barrier
	s_and_saveexec_b64 s[0:1], vcc
	s_cbranch_execz .LBB98_63
; %bb.62:
	v_mov_b32_e32 v3, 1
	v_mov_b32_e32 v4, 0
	ds_write_b8 v3, v3 offset:132
	ds_write_b32 v3, v4 offset:128
.LBB98_63:
	s_or_b64 exec, exec, s[0:1]
	ds_read_u8 v4, v2
	ds_read_u8 v3, v2 offset:1
	v_mad_u32_u24 v2, v0, 14, v2
	v_cmp_gt_u32_e64 s[2:3], 63, v0
	s_waitcnt lgkmcnt(0)
	v_cmp_ne_u16_e64 s[0:1], v4, v3
	v_cndmask_b32_e64 v6, 0, 1, s[0:1]
	v_cmp_eq_u16_e64 s[0:1], v4, v3
	v_cndmask_b32_e64 v4, 0, 1, s[0:1]
	ds_write_b8 v2, v6 offset:140
	ds_write_b32 v2, v4 offset:136
	s_and_saveexec_b64 s[6:7], s[2:3]
	s_cbranch_execz .LBB98_65
; %bb.64:
	v_mad_i32_i24 v4, v0, -14, v2
	ds_read_u8 v6, v4 offset:2
	v_mul_u32_u24_e32 v7, 14, v0
	v_add_u32_e32 v4, v4, v7
	s_waitcnt lgkmcnt(0)
	v_cmp_ne_u16_e64 s[0:1], v3, v6
	v_cndmask_b32_e64 v7, 0, 1, s[0:1]
	v_cmp_eq_u16_e64 s[0:1], v3, v6
	v_cndmask_b32_e64 v3, 0, 1, s[0:1]
	ds_write_b8 v4, v7 offset:148
	ds_write_b32 v4, v3 offset:144
.LBB98_65:
	s_or_b64 exec, exec, s[6:7]
	v_cmp_gt_u32_e64 s[0:1], 64, v0
	s_waitcnt lgkmcnt(0)
	s_barrier
	s_and_saveexec_b64 s[8:9], s[0:1]
	s_cbranch_execz .LBB98_67
; %bb.66:
	ds_read_u8 v6, v2 offset:140
	ds_read_u8 v7, v2 offset:132
	ds_read2_b32 v[3:4], v2 offset0:32 offset1:34
	s_waitcnt lgkmcnt(2)
	v_and_b32_e32 v8, 1, v6
	v_cmp_eq_u32_e64 s[6:7], 1, v8
	s_waitcnt lgkmcnt(1)
	v_or_b32_e32 v6, v7, v6
	s_waitcnt lgkmcnt(0)
	v_cndmask_b32_e64 v3, v3, 0, s[6:7]
	v_add_u32_e32 v3, v3, v4
	v_and_b32_e32 v4, 1, v6
	ds_write2_b32 v2, v3, v4 offset0:34 offset1:35
.LBB98_67:
	s_or_b64 exec, exec, s[8:9]
	v_add_u32_e32 v8, 2, v1
	v_lshlrev_b32_e32 v3, 1, v8
	v_cmp_gt_u32_e64 s[6:7], 32, v0
	v_lshl_add_u32 v3, v3, 3, 1
	s_waitcnt lgkmcnt(0)
	s_barrier
	s_and_saveexec_b64 s[8:9], s[6:7]
	s_cbranch_execz .LBB98_69
; %bb.68:
	ds_read_u8 v4, v3 offset:124
	ds_read_u8 v9, v3 offset:108
	ds_read2_b32 v[6:7], v3 offset0:26 offset1:30
	s_waitcnt lgkmcnt(2)
	v_and_b32_e32 v10, 1, v4
	v_cmp_eq_u32_e64 s[6:7], 1, v10
	s_waitcnt lgkmcnt(1)
	v_or_b32_e32 v4, v9, v4
	s_waitcnt lgkmcnt(0)
	v_cndmask_b32_e64 v6, v6, 0, s[6:7]
	v_add_u32_e32 v6, v6, v7
	v_and_b32_e32 v4, 1, v4
	ds_write2_b32 v3, v6, v4 offset0:30 offset1:31
.LBB98_69:
	s_or_b64 exec, exec, s[8:9]
	v_lshlrev_b32_e32 v4, 2, v8
	v_cmp_gt_u32_e64 s[6:7], 16, v0
	v_lshl_add_u32 v4, v4, 3, 1
	s_waitcnt lgkmcnt(0)
	s_barrier
	s_and_saveexec_b64 s[8:9], s[6:7]
	s_cbranch_execz .LBB98_71
; %bb.70:
	ds_read_u8 v9, v4 offset:124
	ds_read_u8 v10, v4 offset:92
	ds_read2_b32 v[6:7], v4 offset0:22 offset1:30
	s_waitcnt lgkmcnt(2)
	v_and_b32_e32 v11, 1, v9
	v_cmp_eq_u32_e64 s[6:7], 1, v11
	s_waitcnt lgkmcnt(1)
	v_or_b32_e32 v9, v10, v9
	s_waitcnt lgkmcnt(0)
	v_cndmask_b32_e64 v6, v6, 0, s[6:7]
	v_add_u32_e32 v6, v6, v7
	v_and_b32_e32 v7, 1, v9
	ds_write2_b32 v4, v6, v7 offset0:30 offset1:31
.LBB98_71:
	s_or_b64 exec, exec, s[8:9]
	;; [unrolled: 23-line block ×3, first 2 shown]
	v_lshlrev_b32_e32 v7, 4, v8
	v_cmp_gt_u32_e64 s[6:7], 4, v0
	v_lshl_add_u32 v7, v7, 3, 1
	s_waitcnt lgkmcnt(0)
	s_barrier
	s_and_saveexec_b64 s[8:9], s[6:7]
	s_cbranch_execz .LBB98_75
; %bb.74:
	ds_read_u8 v10, v7 offset:124
	v_add_u32_e32 v9, -8, v7
	v_add_u32_e32 v11, -4, v7
	ds_read_b32 v9, v9
	ds_read_b32 v12, v7 offset:120
	ds_read_u8 v11, v11
	s_waitcnt lgkmcnt(3)
	v_and_b32_e32 v13, 1, v10
	v_cmp_eq_u32_e64 s[6:7], 1, v13
	s_waitcnt lgkmcnt(2)
	v_cndmask_b32_e64 v9, v9, 0, s[6:7]
	s_waitcnt lgkmcnt(0)
	v_or_b32_e32 v10, v11, v10
	v_add_u32_e32 v9, v9, v12
	v_and_b32_e32 v10, 1, v10
	ds_write2_b32 v7, v9, v10 offset0:30 offset1:31
.LBB98_75:
	s_or_b64 exec, exec, s[8:9]
	v_lshlrev_b32_e32 v8, 5, v8
	v_cmp_gt_u32_e64 s[6:7], 2, v0
	v_lshl_add_u32 v8, v8, 3, 1
	s_waitcnt lgkmcnt(0)
	s_barrier
	s_and_saveexec_b64 s[8:9], s[6:7]
	s_cbranch_execz .LBB98_77
; %bb.76:
	ds_read_u8 v10, v8 offset:124
	v_add_u32_e32 v9, 0xffffff78, v8
	v_add_u32_e32 v11, 0xffffff7c, v8
	ds_read_b32 v9, v9
	ds_read_b32 v12, v8 offset:120
	ds_read_u8 v11, v11
	s_waitcnt lgkmcnt(3)
	v_and_b32_e32 v13, 1, v10
	v_cmp_eq_u32_e64 s[6:7], 1, v13
	s_waitcnt lgkmcnt(2)
	v_cndmask_b32_e64 v9, v9, 0, s[6:7]
	s_waitcnt lgkmcnt(0)
	v_or_b32_e32 v10, v11, v10
	v_add_u32_e32 v9, v9, v12
	v_and_b32_e32 v10, 1, v10
	ds_write2_b32 v8, v9, v10 offset0:30 offset1:31
.LBB98_77:
	s_or_b64 exec, exec, s[8:9]
	s_waitcnt lgkmcnt(0)
	s_barrier
	s_and_saveexec_b64 s[8:9], vcc
	s_cbranch_execz .LBB98_79
; %bb.78:
	v_mov_b32_e32 v9, 1
	ds_read_u8 v10, v9 offset:1148
	ds_read_b32 v11, v9 offset:632
	ds_read_b32 v12, v9 offset:1144
	ds_read_u8 v9, v9 offset:636
	s_add_i32 s10, 1, 0x478
	s_waitcnt lgkmcnt(3)
	v_and_b32_e32 v13, 1, v10
	v_cmp_eq_u32_e64 s[6:7], 1, v13
	s_waitcnt lgkmcnt(2)
	v_cndmask_b32_e64 v11, v11, 0, s[6:7]
	s_waitcnt lgkmcnt(0)
	v_or_b32_e32 v9, v9, v10
	v_add_u32_e32 v11, v11, v12
	v_and_b32_e32 v9, 1, v9
	v_mov_b32_e32 v10, s10
	ds_write2_b32 v10, v11, v9 offset1:1
.LBB98_79:
	s_or_b64 exec, exec, s[8:9]
	s_waitcnt lgkmcnt(0)
	s_barrier
	s_and_saveexec_b64 s[8:9], vcc
	s_cbranch_execz .LBB98_81
; %bb.80:
	ds_read_u8 v11, v8 offset:380
	ds_read_u8 v12, v8 offset:124
	ds_read2_b32 v[9:10], v8 offset0:30 offset1:94
	s_waitcnt lgkmcnt(2)
	v_and_b32_e32 v13, 1, v11
	v_cmp_eq_u32_e64 s[6:7], 1, v13
	s_waitcnt lgkmcnt(1)
	v_or_b32_e32 v11, v12, v11
	s_waitcnt lgkmcnt(0)
	v_cndmask_b32_e64 v9, v9, 0, s[6:7]
	v_add_u32_e32 v9, v9, v10
	v_and_b32_e32 v10, 1, v11
	ds_write2_b32 v8, v9, v10 offset0:94 offset1:95
.LBB98_81:
	s_or_b64 exec, exec, s[8:9]
	v_cmp_gt_u32_e64 s[6:7], 3, v0
	s_waitcnt lgkmcnt(0)
	s_barrier
	s_and_saveexec_b64 s[8:9], s[6:7]
	s_cbranch_execz .LBB98_83
; %bb.82:
	ds_read_u8 v10, v7 offset:252
	ds_read_u8 v11, v7 offset:124
	ds_read2_b32 v[8:9], v7 offset0:30 offset1:62
	s_waitcnt lgkmcnt(2)
	v_and_b32_e32 v12, 1, v10
	v_cmp_eq_u32_e64 s[6:7], 1, v12
	s_waitcnt lgkmcnt(1)
	v_or_b32_e32 v10, v11, v10
	s_waitcnt lgkmcnt(0)
	v_cndmask_b32_e64 v8, v8, 0, s[6:7]
	v_add_u32_e32 v8, v8, v9
	v_and_b32_e32 v9, 1, v10
	ds_write2_b32 v7, v8, v9 offset0:62 offset1:63
.LBB98_83:
	s_or_b64 exec, exec, s[8:9]
	v_cmp_gt_u32_e64 s[6:7], 7, v0
	s_waitcnt lgkmcnt(0)
	s_barrier
	s_and_saveexec_b64 s[8:9], s[6:7]
	;; [unrolled: 21-line block ×4, first 2 shown]
	s_cbranch_execz .LBB98_89
; %bb.88:
	ds_read_u8 v4, v3 offset:140
	ds_read_u8 v8, v3 offset:124
	ds_read2_b32 v[6:7], v3 offset0:30 offset1:34
	s_waitcnt lgkmcnt(2)
	v_and_b32_e32 v9, 1, v4
	v_cmp_eq_u32_e64 s[6:7], 1, v9
	s_waitcnt lgkmcnt(1)
	v_or_b32_e32 v4, v8, v4
	s_waitcnt lgkmcnt(0)
	v_cndmask_b32_e64 v6, v6, 0, s[6:7]
	v_add_u32_e32 v6, v6, v7
	v_and_b32_e32 v4, 1, v4
	ds_write2_b32 v3, v6, v4 offset0:34 offset1:35
.LBB98_89:
	s_or_b64 exec, exec, s[8:9]
	v_lshl_add_u32 v3, v1, 3, 1
	s_waitcnt lgkmcnt(0)
	s_barrier
	s_and_saveexec_b64 s[6:7], s[2:3]
	s_cbranch_execz .LBB98_91
; %bb.90:
	ds_read_u8 v4, v3 offset:148
	ds_read_b32 v6, v2 offset:136
	ds_read_b32 v7, v3 offset:144
	ds_read_u8 v8, v2 offset:140
	s_waitcnt lgkmcnt(3)
	v_and_b32_e32 v9, 1, v4
	v_cmp_eq_u32_e64 s[2:3], 1, v9
	s_waitcnt lgkmcnt(2)
	v_cndmask_b32_e64 v6, v6, 0, s[2:3]
	s_waitcnt lgkmcnt(0)
	v_or_b32_e32 v4, v8, v4
	v_add_u32_e32 v6, v6, v7
	v_and_b32_e32 v4, 1, v4
	ds_write2_b32 v3, v6, v4 offset0:36 offset1:37
.LBB98_91:
	s_or_b64 exec, exec, s[6:7]
	s_waitcnt lgkmcnt(0)
	s_barrier
	ds_read_b32 v4, v3 offset:128
	ds_read_b32 v2, v2 offset:136
	v_or_b32_e32 v3, 1, v1
	v_cmp_gt_u32_e64 s[2:3], s16, v1
	v_cmp_gt_u32_e64 s[6:7], s16, v3
	v_mbcnt_lo_u32_b32 v6, -1, 0
	s_waitcnt lgkmcnt(1)
	v_cndmask_b32_e64 v4, 0, v4, s[2:3]
	s_waitcnt lgkmcnt(0)
	v_cndmask_b32_e64 v2, 0, v2, s[6:7]
	v_mbcnt_hi_u32_b32 v11, -1, v6
	v_mov_b32_e32 v6, 0x80
	v_cndmask_b32_e64 v7, 0, v1, s[2:3]
	v_cndmask_b32_e64 v8, 0, v3, s[6:7]
	v_max_u32_e32 v9, v2, v4
	v_lshl_or_b32 v6, v11, 2, v6
	v_cmp_gt_u32_e64 s[8:9], v2, v4
	ds_bpermute_b32 v10, v6, v9
	v_cndmask_b32_e64 v2, v7, v8, s[8:9]
	ds_bpermute_b32 v4, v6, v2
	v_and_b32_e32 v12, 63, v11
	v_cmp_gt_u32_e64 s[8:9], 48, v12
	v_cndmask_b32_e64 v7, 0, 16, s[8:9]
	s_waitcnt lgkmcnt(1)
	v_max_u32_e32 v13, v10, v9
	v_add_lshl_u32 v7, v7, v11, 2
	v_cmp_gt_u32_e64 s[8:9], v10, v9
	ds_bpermute_b32 v14, v7, v13
	s_waitcnt lgkmcnt(1)
	v_cndmask_b32_e64 v2, v2, v4, s[8:9]
	ds_bpermute_b32 v4, v7, v2
	v_cmp_gt_u32_e64 s[8:9], 56, v12
	v_cndmask_b32_e64 v8, 0, 8, s[8:9]
	s_waitcnt lgkmcnt(1)
	v_max_u32_e32 v10, v14, v13
	v_add_lshl_u32 v8, v8, v11, 2
	v_cmp_gt_u32_e64 s[8:9], v14, v13
	ds_bpermute_b32 v15, v8, v10
	s_waitcnt lgkmcnt(1)
	v_cndmask_b32_e64 v2, v2, v4, s[8:9]
	ds_bpermute_b32 v4, v8, v2
	;; [unrolled: 10-line block ×4, first 2 shown]
	s_waitcnt lgkmcnt(0)
	s_barrier
	v_cmp_gt_u32_e64 s[8:9], v16, v15
	v_max_u32_e32 v2, v16, v15
	v_cndmask_b32_e64 v4, v4, v13, s[8:9]
	v_cmp_ne_u32_e64 s[8:9], 63, v12
	v_addc_co_u32_e64 v11, s[8:9], 0, v11, s[8:9]
	v_lshlrev_b32_e32 v11, 2, v11
	ds_bpermute_b32 v12, v11, v4
	ds_bpermute_b32 v13, v11, v2
	v_cmp_eq_u32_e64 s[8:9], 0, v5
	s_waitcnt lgkmcnt(0)
	s_barrier
	s_and_saveexec_b64 s[12:13], s[8:9]
	s_cbranch_execz .LBB98_93
; %bb.92:
	v_lshrrev_b32_e32 v14, 3, v0
	v_cmp_gt_u32_e64 s[10:11], v13, v2
	v_add_u32_e32 v14, 1, v14
	v_cndmask_b32_e64 v4, v4, v12, s[10:11]
	v_max_u32_e32 v2, v13, v2
	ds_write2_b32 v14, v2, v4 offset0:32 offset1:33
.LBB98_93:
	s_or_b64 exec, exec, s[12:13]
	s_lshr_b32 s10, s18, 6
	v_cmp_gt_u32_e64 s[10:11], s10, v0
	v_lshl_add_u32 v12, v5, 3, 1
	v_mov_b32_e32 v2, 0
	v_mov_b32_e32 v4, 0
	s_waitcnt lgkmcnt(0)
	s_barrier
	s_and_saveexec_b64 s[12:13], s[10:11]
	s_cbranch_execnz .LBB98_108
; %bb.94:
	s_or_b64 exec, exec, s[12:13]
	s_and_saveexec_b64 s[12:13], s[10:11]
	s_cbranch_execnz .LBB98_109
.LBB98_95:
	s_or_b64 exec, exec, s[12:13]
	s_and_saveexec_b64 s[18:19], s[0:1]
	s_cbranch_execnz .LBB98_110
.LBB98_96:
	s_or_b64 exec, exec, s[18:19]
	s_and_saveexec_b64 s[12:13], vcc
	s_cbranch_execz .LBB98_98
.LBB98_97:
	s_waitcnt lgkmcnt(0)
	v_add_u32_e32 v2, 1, v2
	ds_read_u8 v2, v2
	v_mov_b32_e32 v4, 0
	s_waitcnt lgkmcnt(0)
	ds_write_b8 v4, v2
.LBB98_98:
	s_or_b64 exec, exec, s[12:13]
	s_waitcnt lgkmcnt(0)
	v_mov_b32_e32 v2, 0
	v_cmp_gt_i64_e64 s[12:13], s[16:17], v[1:2]
	v_mov_b32_e32 v13, 0
	s_barrier
	s_and_saveexec_b64 s[18:19], s[12:13]
	s_cbranch_execz .LBB98_100
; %bb.99:
	v_add_u32_e32 v4, s21, v1
	global_load_ubyte v4, v4, s[14:15]
	v_mov_b32_e32 v13, 0
	ds_read_u8 v13, v13
	s_waitcnt vmcnt(0)
	v_cmp_ne_u16_e64 s[12:13], 0, v4
	v_cndmask_b32_e64 v4, 0, 1, s[12:13]
	s_waitcnt lgkmcnt(0)
	v_cmp_eq_u16_e64 s[12:13], v13, v4
	v_cndmask_b32_e64 v13, 0, v1, s[12:13]
.LBB98_100:
	s_or_b64 exec, exec, s[18:19]
	v_mov_b32_e32 v4, v2
	v_cmp_gt_i64_e64 s[12:13], s[16:17], v[3:4]
	s_and_saveexec_b64 s[16:17], s[12:13]
	s_cbranch_execz .LBB98_102
; %bb.101:
	v_add_u32_e32 v1, s21, v3
	global_load_ubyte v1, v1, s[14:15]
	v_mov_b32_e32 v2, 0
	ds_read_u8 v2, v2
	s_waitcnt vmcnt(0)
	v_cmp_ne_u16_e64 s[12:13], 0, v1
	v_cndmask_b32_e64 v1, 0, 1, s[12:13]
	s_waitcnt lgkmcnt(0)
	v_cmp_eq_u16_e64 s[12:13], v2, v1
	v_cndmask_b32_e64 v2, 0, v3, s[12:13]
.LBB98_102:
	s_or_b64 exec, exec, s[16:17]
	v_cndmask_b32_e64 v1, 0, v13, s[2:3]
	v_max_u32_e32 v2, v2, v1
	v_cndmask_b32_e64 v1, v1, v2, s[6:7]
	ds_bpermute_b32 v2, v6, v1
	s_waitcnt lgkmcnt(0)
	s_barrier
	v_max_u32_e32 v1, v2, v1
	ds_bpermute_b32 v2, v7, v1
	s_waitcnt lgkmcnt(0)
	v_max_u32_e32 v1, v2, v1
	ds_bpermute_b32 v2, v8, v1
	s_waitcnt lgkmcnt(0)
	;; [unrolled: 3-line block ×4, first 2 shown]
	v_max_u32_e32 v1, v2, v1
	ds_bpermute_b32 v2, v11, v1
	s_and_saveexec_b64 s[2:3], s[8:9]
	s_cbranch_execz .LBB98_104
; %bb.103:
	v_lshrrev_b32_e32 v0, 4, v0
	v_add_u32_e32 v0, 1, v0
	s_waitcnt lgkmcnt(0)
	v_max_u32_e32 v1, v2, v1
	ds_write_b32 v0, v1
.LBB98_104:
	s_or_b64 exec, exec, s[2:3]
	v_mov_b32_e32 v0, 0
	s_waitcnt lgkmcnt(0)
	s_barrier
	s_and_saveexec_b64 s[2:3], s[10:11]
	s_cbranch_execnz .LBB98_111
; %bb.105:
	s_or_b64 exec, exec, s[2:3]
	s_and_saveexec_b64 s[2:3], s[0:1]
	s_cbranch_execnz .LBB98_112
.LBB98_106:
	s_or_b64 exec, exec, s[2:3]
	s_and_saveexec_b64 s[0:1], vcc
	s_cbranch_execnz .LBB98_113
.LBB98_107:
	s_endpgm
.LBB98_108:
	ds_read_b32 v4, v12 offset:128
	s_or_b64 exec, exec, s[12:13]
	s_and_saveexec_b64 s[12:13], s[10:11]
	s_cbranch_execz .LBB98_95
.LBB98_109:
	ds_read_b32 v2, v12 offset:132
	s_or_b64 exec, exec, s[12:13]
	s_and_saveexec_b64 s[18:19], s[0:1]
	s_cbranch_execz .LBB98_96
.LBB98_110:
	s_waitcnt lgkmcnt(0)
	ds_bpermute_b32 v13, v6, v4
	ds_bpermute_b32 v14, v6, v2
	s_waitcnt lgkmcnt(1)
	v_max_u32_e32 v15, v13, v4
	v_cmp_gt_u32_e64 s[12:13], v13, v4
	ds_bpermute_b32 v16, v7, v15
	s_waitcnt lgkmcnt(1)
	v_cndmask_b32_e64 v2, v2, v14, s[12:13]
	ds_bpermute_b32 v4, v7, v2
	s_waitcnt lgkmcnt(1)
	v_max_u32_e32 v13, v16, v15
	v_cmp_gt_u32_e64 s[12:13], v16, v15
	ds_bpermute_b32 v14, v8, v13
	s_waitcnt lgkmcnt(1)
	v_cndmask_b32_e64 v2, v2, v4, s[12:13]
	;; [unrolled: 7-line block ×4, first 2 shown]
	ds_bpermute_b32 v4, v10, v2
	s_waitcnt lgkmcnt(1)
	v_max_u32_e32 v15, v14, v13
	v_cmp_gt_u32_e64 s[12:13], v14, v13
	s_waitcnt lgkmcnt(0)
	v_cndmask_b32_e64 v2, v2, v4, s[12:13]
	ds_bpermute_b32 v4, v11, v15
	ds_bpermute_b32 v13, v11, v2
	s_waitcnt lgkmcnt(1)
	v_cmp_gt_u32_e64 s[12:13], v4, v15
	s_waitcnt lgkmcnt(0)
	v_cndmask_b32_e64 v2, v2, v13, s[12:13]
	s_or_b64 exec, exec, s[18:19]
	s_and_saveexec_b64 s[12:13], vcc
	s_cbranch_execnz .LBB98_97
	s_branch .LBB98_98
.LBB98_111:
	v_lshlrev_b32_e32 v0, 2, v5
	v_sub_u32_e32 v0, v12, v0
	ds_read_b32 v0, v0
	s_or_b64 exec, exec, s[2:3]
	s_and_saveexec_b64 s[2:3], s[0:1]
	s_cbranch_execz .LBB98_106
.LBB98_112:
	s_waitcnt lgkmcnt(0)
	ds_bpermute_b32 v1, v6, v0
	s_waitcnt lgkmcnt(0)
	v_max_u32_e32 v0, v1, v0
	ds_bpermute_b32 v1, v7, v0
	s_waitcnt lgkmcnt(0)
	v_max_u32_e32 v0, v1, v0
	ds_bpermute_b32 v1, v8, v0
	s_waitcnt lgkmcnt(0)
	v_max_u32_e32 v0, v1, v0
	ds_bpermute_b32 v1, v9, v0
	s_waitcnt lgkmcnt(0)
	v_max_u32_e32 v0, v1, v0
	ds_bpermute_b32 v1, v10, v0
	s_waitcnt lgkmcnt(0)
	v_max_u32_e32 v0, v1, v0
	ds_bpermute_b32 v1, v11, v0
	s_waitcnt lgkmcnt(0)
	v_max_u32_e32 v0, v1, v0
	s_or_b64 exec, exec, s[2:3]
	s_and_saveexec_b64 s[0:1], vcc
	s_cbranch_execz .LBB98_107
.LBB98_113:
	s_load_dword s6, s[4:5], 0xd8
	s_load_dwordx2 s[0:1], s[4:5], 0xe0
	s_add_u32 s2, s4, 8
	s_addc_u32 s3, s5, 0
	s_mov_b32 s5, 0
	s_waitcnt lgkmcnt(0)
	s_cmp_lt_i32 s6, 2
	s_cbranch_scc1 .LBB98_116
; %bb.114:
	s_add_i32 s4, s6, -1
	s_add_i32 s8, s6, 1
	s_lshl_b64 s[6:7], s[4:5], 2
	s_add_u32 s4, s2, s6
	s_addc_u32 s7, s3, s7
	s_add_u32 s6, s4, 8
	s_addc_u32 s7, s7, 0
.LBB98_115:                             ; =>This Inner Loop Header: Depth=1
	s_load_dword s4, s[6:7], 0x0
	s_load_dword s10, s[6:7], 0x64
	s_mov_b32 s9, s20
	s_waitcnt lgkmcnt(0)
	v_cvt_f32_u32_e32 v1, s4
	s_sub_i32 s11, 0, s4
	v_rcp_iflag_f32_e32 v1, v1
	v_mul_f32_e32 v1, 0x4f7ffffe, v1
	v_cvt_u32_f32_e32 v1, v1
	v_readfirstlane_b32 s12, v1
	s_mul_i32 s11, s11, s12
	s_mul_hi_u32 s11, s12, s11
	s_add_i32 s12, s12, s11
	s_mul_hi_u32 s11, s20, s12
	s_mul_i32 s12, s11, s4
	s_sub_i32 s12, s20, s12
	s_add_i32 s13, s11, 1
	s_sub_i32 s14, s12, s4
	s_cmp_ge_u32 s12, s4
	s_cselect_b32 s11, s13, s11
	s_cselect_b32 s12, s14, s12
	s_add_i32 s13, s11, 1
	s_cmp_ge_u32 s12, s4
	s_cselect_b32 s20, s13, s11
	s_mul_i32 s4, s20, s4
	s_sub_i32 s4, s9, s4
	s_mul_i32 s4, s10, s4
	s_add_i32 s8, s8, -1
	s_add_i32 s5, s4, s5
	s_add_u32 s6, s6, -4
	s_addc_u32 s7, s7, -1
	s_cmp_gt_u32 s8, 2
	s_cbranch_scc1 .LBB98_115
.LBB98_116:
	s_load_dword s4, s[2:3], 0x6c
	v_mov_b32_e32 v1, 0
	s_load_dwordx2 s[2:3], s[2:3], 0x0
	ds_read_u8 v2, v1
	s_mov_b32 s7, 0
	s_waitcnt lgkmcnt(0)
	s_mul_i32 s4, s4, s20
	s_add_i32 s6, s4, s5
	v_mov_b32_e32 v3, s6
	global_store_byte v3, v2, s[2:3]
	s_lshl_b64 s[2:3], s[6:7], 3
	s_add_u32 s0, s0, s2
	s_addc_u32 s1, s1, s3
	global_store_dwordx2 v1, v[0:1], s[0:1]
	s_endpgm
	.section	.rodata,"a",@progbits
	.p2align	6, 0x0
	.amdhsa_kernel _ZN2at6native12compute_modeIbLj128EEEvPKT_NS_4cuda6detail10TensorInfoIS2_jEENS7_IljEEll
		.amdhsa_group_segment_fixed_size 1
		.amdhsa_private_segment_fixed_size 0
		.amdhsa_kernarg_size 712
		.amdhsa_user_sgpr_count 6
		.amdhsa_user_sgpr_private_segment_buffer 1
		.amdhsa_user_sgpr_dispatch_ptr 0
		.amdhsa_user_sgpr_queue_ptr 0
		.amdhsa_user_sgpr_kernarg_segment_ptr 1
		.amdhsa_user_sgpr_dispatch_id 0
		.amdhsa_user_sgpr_flat_scratch_init 0
		.amdhsa_user_sgpr_private_segment_size 0
		.amdhsa_uses_dynamic_stack 0
		.amdhsa_system_sgpr_private_segment_wavefront_offset 0
		.amdhsa_system_sgpr_workgroup_id_x 1
		.amdhsa_system_sgpr_workgroup_id_y 1
		.amdhsa_system_sgpr_workgroup_id_z 1
		.amdhsa_system_sgpr_workgroup_info 0
		.amdhsa_system_vgpr_workitem_id 0
		.amdhsa_next_free_vgpr 17
		.amdhsa_next_free_sgpr 22
		.amdhsa_reserve_vcc 1
		.amdhsa_reserve_flat_scratch 0
		.amdhsa_float_round_mode_32 0
		.amdhsa_float_round_mode_16_64 0
		.amdhsa_float_denorm_mode_32 3
		.amdhsa_float_denorm_mode_16_64 3
		.amdhsa_dx10_clamp 1
		.amdhsa_ieee_mode 1
		.amdhsa_fp16_overflow 0
		.amdhsa_exception_fp_ieee_invalid_op 0
		.amdhsa_exception_fp_denorm_src 0
		.amdhsa_exception_fp_ieee_div_zero 0
		.amdhsa_exception_fp_ieee_overflow 0
		.amdhsa_exception_fp_ieee_underflow 0
		.amdhsa_exception_fp_ieee_inexact 0
		.amdhsa_exception_int_div_zero 0
	.end_amdhsa_kernel
	.section	.text._ZN2at6native12compute_modeIbLj128EEEvPKT_NS_4cuda6detail10TensorInfoIS2_jEENS7_IljEEll,"axG",@progbits,_ZN2at6native12compute_modeIbLj128EEEvPKT_NS_4cuda6detail10TensorInfoIS2_jEENS7_IljEEll,comdat
.Lfunc_end98:
	.size	_ZN2at6native12compute_modeIbLj128EEEvPKT_NS_4cuda6detail10TensorInfoIS2_jEENS7_IljEEll, .Lfunc_end98-_ZN2at6native12compute_modeIbLj128EEEvPKT_NS_4cuda6detail10TensorInfoIS2_jEENS7_IljEEll
                                        ; -- End function
	.set _ZN2at6native12compute_modeIbLj128EEEvPKT_NS_4cuda6detail10TensorInfoIS2_jEENS7_IljEEll.num_vgpr, 17
	.set _ZN2at6native12compute_modeIbLj128EEEvPKT_NS_4cuda6detail10TensorInfoIS2_jEENS7_IljEEll.num_agpr, 0
	.set _ZN2at6native12compute_modeIbLj128EEEvPKT_NS_4cuda6detail10TensorInfoIS2_jEENS7_IljEEll.numbered_sgpr, 22
	.set _ZN2at6native12compute_modeIbLj128EEEvPKT_NS_4cuda6detail10TensorInfoIS2_jEENS7_IljEEll.num_named_barrier, 0
	.set _ZN2at6native12compute_modeIbLj128EEEvPKT_NS_4cuda6detail10TensorInfoIS2_jEENS7_IljEEll.private_seg_size, 0
	.set _ZN2at6native12compute_modeIbLj128EEEvPKT_NS_4cuda6detail10TensorInfoIS2_jEENS7_IljEEll.uses_vcc, 1
	.set _ZN2at6native12compute_modeIbLj128EEEvPKT_NS_4cuda6detail10TensorInfoIS2_jEENS7_IljEEll.uses_flat_scratch, 0
	.set _ZN2at6native12compute_modeIbLj128EEEvPKT_NS_4cuda6detail10TensorInfoIS2_jEENS7_IljEEll.has_dyn_sized_stack, 0
	.set _ZN2at6native12compute_modeIbLj128EEEvPKT_NS_4cuda6detail10TensorInfoIS2_jEENS7_IljEEll.has_recursion, 0
	.set _ZN2at6native12compute_modeIbLj128EEEvPKT_NS_4cuda6detail10TensorInfoIS2_jEENS7_IljEEll.has_indirect_call, 0
	.section	.AMDGPU.csdata,"",@progbits
; Kernel info:
; codeLenInByte = 8072
; TotalNumSgprs: 26
; NumVgprs: 17
; ScratchSize: 0
; MemoryBound: 0
; FloatMode: 240
; IeeeMode: 1
; LDSByteSize: 1 bytes/workgroup (compile time only)
; SGPRBlocks: 3
; VGPRBlocks: 4
; NumSGPRsForWavesPerEU: 26
; NumVGPRsForWavesPerEU: 17
; Occupancy: 10
; WaveLimiterHint : 1
; COMPUTE_PGM_RSRC2:SCRATCH_EN: 0
; COMPUTE_PGM_RSRC2:USER_SGPR: 6
; COMPUTE_PGM_RSRC2:TRAP_HANDLER: 0
; COMPUTE_PGM_RSRC2:TGID_X_EN: 1
; COMPUTE_PGM_RSRC2:TGID_Y_EN: 1
; COMPUTE_PGM_RSRC2:TGID_Z_EN: 1
; COMPUTE_PGM_RSRC2:TIDIG_COMP_CNT: 0
	.section	.text._ZN2at6native12compute_modeIN3c108BFloat16ELj2048EEEvPKT_NS_4cuda6detail10TensorInfoIS4_jEENS9_IljEEll,"axG",@progbits,_ZN2at6native12compute_modeIN3c108BFloat16ELj2048EEEvPKT_NS_4cuda6detail10TensorInfoIS4_jEENS9_IljEEll,comdat
	.protected	_ZN2at6native12compute_modeIN3c108BFloat16ELj2048EEEvPKT_NS_4cuda6detail10TensorInfoIS4_jEENS9_IljEEll ; -- Begin function _ZN2at6native12compute_modeIN3c108BFloat16ELj2048EEEvPKT_NS_4cuda6detail10TensorInfoIS4_jEENS9_IljEEll
	.globl	_ZN2at6native12compute_modeIN3c108BFloat16ELj2048EEEvPKT_NS_4cuda6detail10TensorInfoIS4_jEENS9_IljEEll
	.p2align	8
	.type	_ZN2at6native12compute_modeIN3c108BFloat16ELj2048EEEvPKT_NS_4cuda6detail10TensorInfoIS4_jEENS9_IljEEll,@function
_ZN2at6native12compute_modeIN3c108BFloat16ELj2048EEEvPKT_NS_4cuda6detail10TensorInfoIS4_jEENS9_IljEEll: ; @_ZN2at6native12compute_modeIN3c108BFloat16ELj2048EEEvPKT_NS_4cuda6detail10TensorInfoIS4_jEENS9_IljEEll
; %bb.0:
	s_load_dwordx2 s[2:3], s[4:5], 0x1c8
	s_load_dwordx4 s[16:19], s[4:5], 0x1b8
	s_add_u32 s0, s4, 0x1c8
	s_addc_u32 s1, s5, 0
	v_mov_b32_e32 v2, 0
	s_waitcnt lgkmcnt(0)
	s_mul_i32 s3, s3, s8
	s_add_i32 s3, s3, s7
	s_mul_i32 s2, s3, s2
	s_add_i32 s20, s2, s6
	v_mov_b32_e32 v1, s20
	v_cmp_le_i64_e32 vcc, s[18:19], v[1:2]
	s_cbranch_vccnz .LBB99_197
; %bb.1:
	s_load_dwordx2 s[14:15], s[4:5], 0x0
	s_load_dword s6, s[0:1], 0xc
	v_mov_b32_e32 v1, v2
	v_cmp_gt_i64_e32 vcc, s[16:17], v[0:1]
	s_mul_i32 s21, s20, s16
	v_lshl_add_u32 v12, v0, 1, 2
	s_and_saveexec_b64 s[2:3], vcc
	s_cbranch_execz .LBB99_3
; %bb.2:
	v_add_u32_e32 v1, s21, v0
	v_lshlrev_b64 v[3:4], 1, v[1:2]
	s_waitcnt lgkmcnt(0)
	v_mov_b32_e32 v1, s15
	v_add_co_u32_e64 v3, s[0:1], s14, v3
	v_addc_co_u32_e64 v4, s[0:1], v1, v4, s[0:1]
	global_load_ushort v1, v[3:4], off
	s_waitcnt vmcnt(0)
	ds_write_b16 v12, v1
.LBB99_3:
	s_or_b64 exec, exec, s[2:3]
	s_waitcnt lgkmcnt(0)
	s_and_b32 s18, 0xffff, s6
	v_add_u32_e32 v1, s18, v0
	v_cmp_gt_i64_e64 s[0:1], s[16:17], v[1:2]
	s_and_saveexec_b64 s[6:7], s[0:1]
	s_cbranch_execz .LBB99_5
; %bb.4:
	v_add_u32_e32 v2, s21, v1
	v_mov_b32_e32 v3, 0
	v_lshlrev_b64 v[2:3], 1, v[2:3]
	v_mov_b32_e32 v4, s15
	v_add_co_u32_e64 v2, s[2:3], s14, v2
	v_addc_co_u32_e64 v3, s[2:3], v4, v3, s[2:3]
	global_load_ushort v2, v[2:3], off
	v_lshl_add_u32 v1, v1, 1, 2
	s_waitcnt vmcnt(0)
	ds_write_b16 v1, v2
.LBB99_5:
	s_or_b64 exec, exec, s[6:7]
	v_add_u32_e32 v2, 2, v0
	v_cndmask_b32_e64 v1, 0, 1, vcc
	ds_write_b8 v2, v1 offset:4096
	v_add_u32_e32 v1, s18, v2
	v_cndmask_b32_e64 v3, 0, 1, s[0:1]
	ds_write_b8 v1, v3 offset:4096
	v_mad_u32_u24 v3, v0, 3, v2
	s_waitcnt lgkmcnt(0)
	s_barrier
	v_lshlrev_b32_e32 v1, 1, v0
	s_barrier
	ds_read_b32 v5, v3
	v_sub_u32_e32 v8, v3, v1
	ds_read_u8 v7, v8 offset:4096
	ds_read_u8 v8, v8 offset:4097
	v_and_b32_e32 v6, 1, v0
	v_sub_u32_e32 v4, 0, v1
	s_waitcnt lgkmcnt(2)
	v_and_b32_e32 v9, 0xffff0000, v5
	v_lshlrev_b32_e32 v10, 16, v5
	v_cmp_lt_f32_e32 vcc, v10, v9
	s_waitcnt lgkmcnt(1)
	v_and_b32_e32 v9, 1, v7
	v_cmp_eq_u32_e64 s[0:1], 1, v9
	s_waitcnt lgkmcnt(0)
	v_cmp_ne_u16_e64 s[2:3], v8, v6
	v_cndmask_b32_e64 v9, 0, 1, s[2:3]
	s_and_b64 vcc, vcc, s[0:1]
	v_cndmask_b32_e32 v9, v9, v0, vcc
	v_and_b32_e32 v9, 1, v9
	v_cmp_eq_u32_e32 vcc, 1, v9
	v_add_u32_e32 v4, v3, v4
	s_and_saveexec_b64 s[0:1], vcc
	s_cbranch_execz .LBB99_7
; %bb.6:
	v_alignbit_b32 v5, v5, v5, 16
	ds_write_b32 v3, v5
	ds_write_b8 v4, v8 offset:4096
	ds_write_b8 v4, v7 offset:4097
.LBB99_7:
	s_or_b64 exec, exec, s[0:1]
	v_sub_u32_e32 v8, v1, v6
	v_add_u32_e32 v6, 2, v8
	v_lshl_add_u32 v7, v8, 1, 2
	v_add_u32_e32 v8, v6, v8
	s_waitcnt lgkmcnt(0)
	s_barrier
	ds_read_u16 v10, v8 offset:4
	ds_read_u16 v9, v7
	ds_read_u8 v11, v6 offset:4096
	ds_read_u8 v13, v6 offset:4098
	v_bfe_u32 v14, v0, 1, 1
	v_and_b32_e32 v5, 2, v0
	s_waitcnt lgkmcnt(3)
	v_lshlrev_b32_e32 v15, 16, v10
	s_waitcnt lgkmcnt(2)
	v_lshlrev_b32_e32 v16, 16, v9
	v_cmp_lt_f32_e64 s[0:1], v16, v15
	s_waitcnt lgkmcnt(1)
	v_and_b32_e32 v15, 1, v11
	v_cmp_eq_u32_e64 s[2:3], 1, v15
	s_waitcnt lgkmcnt(0)
	v_cmp_ne_u16_e64 s[6:7], v13, v14
	v_cndmask_b32_e64 v15, 0, 1, s[6:7]
	s_and_b64 s[0:1], s[0:1], s[2:3]
	v_cndmask_b32_e64 v14, v15, v14, s[0:1]
	v_and_b32_e32 v14, 1, v14
	v_cmp_ne_u32_e32 vcc, 0, v5
	v_cmp_eq_u32_e64 s[0:1], 1, v14
	s_and_saveexec_b64 s[2:3], s[0:1]
	s_xor_b64 s[0:1], exec, s[2:3]
	s_cbranch_execz .LBB99_9
; %bb.8:
	ds_write_b16 v7, v10
	ds_write_b16 v8, v9 offset:4
	ds_write_b8 v6, v13 offset:4096
	ds_write_b8 v6, v11 offset:4098
.LBB99_9:
	s_or_b64 exec, exec, s[0:1]
	s_waitcnt lgkmcnt(0)
	s_barrier
	ds_read_b32 v9, v3
	v_lshrrev_b32_e32 v11, 1, v5
	ds_read_u8 v5, v4 offset:4096
	ds_read_u8 v10, v4 offset:4097
	s_waitcnt lgkmcnt(2)
	v_and_b32_e32 v13, 0xffff0000, v9
	v_lshlrev_b32_e32 v14, 16, v9
	v_cmp_lt_f32_e64 s[0:1], v14, v13
	s_waitcnt lgkmcnt(1)
	v_and_b32_e32 v13, 1, v5
	v_cmp_eq_u32_e64 s[2:3], 1, v13
	s_waitcnt lgkmcnt(0)
	v_cmp_ne_u16_e64 s[6:7], v10, v11
	v_cndmask_b32_e64 v11, 0, 1, s[6:7]
	v_cndmask_b32_e64 v13, 0, 1, vcc
	s_and_b64 vcc, s[0:1], s[2:3]
	v_cndmask_b32_e32 v11, v11, v13, vcc
	v_and_b32_e32 v11, 1, v11
	v_cmp_eq_u32_e32 vcc, 1, v11
	s_and_saveexec_b64 s[0:1], vcc
	s_cbranch_execz .LBB99_11
; %bb.10:
	v_alignbit_b32 v9, v9, v9, 16
	ds_write_b32 v3, v9
	ds_write_b8 v4, v10 offset:4096
	ds_write_b8 v4, v5 offset:4097
.LBB99_11:
	s_or_b64 exec, exec, s[0:1]
	v_and_b32_e32 v9, 3, v0
	v_sub_u32_e32 v11, v1, v9
	v_add_u32_e32 v9, 2, v11
	v_lshl_add_u32 v10, v11, 1, 2
	v_add_u32_e32 v11, v9, v11
	s_waitcnt lgkmcnt(0)
	s_barrier
	ds_read_u16 v14, v11 offset:8
	ds_read_u16 v13, v10
	ds_read_u8 v15, v9 offset:4096
	ds_read_u8 v16, v9 offset:4100
	v_bfe_u32 v17, v0, 2, 1
	v_and_b32_e32 v5, 4, v0
	s_waitcnt lgkmcnt(3)
	v_lshlrev_b32_e32 v18, 16, v14
	s_waitcnt lgkmcnt(2)
	v_lshlrev_b32_e32 v19, 16, v13
	v_cmp_lt_f32_e64 s[0:1], v19, v18
	s_waitcnt lgkmcnt(1)
	v_and_b32_e32 v18, 1, v15
	v_cmp_eq_u32_e64 s[2:3], 1, v18
	s_waitcnt lgkmcnt(0)
	v_cmp_ne_u16_e64 s[6:7], v16, v17
	v_cndmask_b32_e64 v18, 0, 1, s[6:7]
	s_and_b64 s[0:1], s[0:1], s[2:3]
	v_cndmask_b32_e64 v17, v18, v17, s[0:1]
	v_and_b32_e32 v17, 1, v17
	v_cmp_ne_u32_e32 vcc, 0, v5
	v_cmp_eq_u32_e64 s[0:1], 1, v17
	s_and_saveexec_b64 s[2:3], s[0:1]
	s_cbranch_execz .LBB99_13
; %bb.12:
	ds_write_b16 v10, v14
	ds_write_b16 v11, v13 offset:8
	ds_write_b8 v9, v16 offset:4096
	ds_write_b8 v9, v15 offset:4100
.LBB99_13:
	s_or_b64 exec, exec, s[2:3]
	s_waitcnt lgkmcnt(0)
	s_barrier
	ds_read_u16 v15, v8 offset:4
	ds_read_u16 v14, v7
	ds_read_u8 v16, v6 offset:4096
	ds_read_u8 v17, v6 offset:4098
	v_lshrrev_b32_e32 v5, 2, v5
	s_waitcnt lgkmcnt(3)
	v_lshlrev_b32_e32 v13, 16, v15
	s_waitcnt lgkmcnt(2)
	v_lshlrev_b32_e32 v18, 16, v14
	v_cmp_lt_f32_e64 s[0:1], v18, v13
	s_waitcnt lgkmcnt(1)
	v_and_b32_e32 v13, 1, v16
	v_cmp_eq_u32_e64 s[2:3], 1, v13
	s_waitcnt lgkmcnt(0)
	v_cmp_ne_u16_e64 s[6:7], v17, v5
	v_cndmask_b32_e64 v18, 0, 1, s[6:7]
	v_cndmask_b32_e64 v13, 0, 1, vcc
	s_and_b64 vcc, s[0:1], s[2:3]
	v_cndmask_b32_e32 v18, v18, v13, vcc
	v_and_b32_e32 v18, 1, v18
	v_cmp_eq_u32_e32 vcc, 1, v18
	s_and_saveexec_b64 s[0:1], vcc
	s_cbranch_execz .LBB99_15
; %bb.14:
	ds_write_b16 v7, v15
	ds_write_b16 v8, v14 offset:4
	ds_write_b8 v6, v17 offset:4096
	ds_write_b8 v6, v16 offset:4098
.LBB99_15:
	s_or_b64 exec, exec, s[0:1]
	s_waitcnt lgkmcnt(0)
	s_barrier
	ds_read_b32 v14, v3
	ds_read_u8 v15, v4 offset:4096
	ds_read_u8 v16, v4 offset:4097
	s_waitcnt lgkmcnt(2)
	v_and_b32_e32 v17, 0xffff0000, v14
	v_lshlrev_b32_e32 v18, 16, v14
	v_cmp_lt_f32_e32 vcc, v18, v17
	s_waitcnt lgkmcnt(1)
	v_and_b32_e32 v17, 1, v15
	v_cmp_eq_u32_e64 s[0:1], 1, v17
	s_waitcnt lgkmcnt(0)
	v_cmp_ne_u16_e64 s[2:3], v16, v5
	v_cndmask_b32_e64 v5, 0, 1, s[2:3]
	s_and_b64 vcc, vcc, s[0:1]
	v_cndmask_b32_e32 v5, v5, v13, vcc
	v_and_b32_e32 v5, 1, v5
	v_cmp_eq_u32_e32 vcc, 1, v5
	s_and_saveexec_b64 s[0:1], vcc
	s_cbranch_execz .LBB99_17
; %bb.16:
	v_alignbit_b32 v5, v14, v14, 16
	ds_write_b32 v3, v5
	ds_write_b8 v4, v16 offset:4096
	ds_write_b8 v4, v15 offset:4097
.LBB99_17:
	s_or_b64 exec, exec, s[0:1]
	v_and_b32_e32 v13, 7, v0
	v_sub_u32_e32 v15, v1, v13
	v_add_u32_e32 v13, 2, v15
	v_lshl_add_u32 v14, v15, 1, 2
	v_add_u32_e32 v15, v13, v15
	s_waitcnt lgkmcnt(0)
	s_barrier
	ds_read_u16 v17, v15 offset:16
	ds_read_u16 v16, v14
	ds_read_u8 v18, v13 offset:4096
	ds_read_u8 v19, v13 offset:4104
	v_bfe_u32 v20, v0, 3, 1
	v_and_b32_e32 v5, 8, v0
	s_waitcnt lgkmcnt(3)
	v_lshlrev_b32_e32 v21, 16, v17
	s_waitcnt lgkmcnt(2)
	v_lshlrev_b32_e32 v22, 16, v16
	v_cmp_lt_f32_e64 s[0:1], v22, v21
	s_waitcnt lgkmcnt(1)
	v_and_b32_e32 v21, 1, v18
	v_cmp_eq_u32_e64 s[2:3], 1, v21
	s_waitcnt lgkmcnt(0)
	v_cmp_ne_u16_e64 s[6:7], v19, v20
	v_cndmask_b32_e64 v21, 0, 1, s[6:7]
	s_and_b64 s[0:1], s[0:1], s[2:3]
	v_cndmask_b32_e64 v20, v21, v20, s[0:1]
	v_and_b32_e32 v20, 1, v20
	v_cmp_ne_u32_e32 vcc, 0, v5
	v_cmp_eq_u32_e64 s[0:1], 1, v20
	s_and_saveexec_b64 s[2:3], s[0:1]
	s_cbranch_execz .LBB99_19
; %bb.18:
	ds_write_b16 v14, v17
	ds_write_b16 v15, v16 offset:16
	ds_write_b8 v13, v19 offset:4096
	ds_write_b8 v13, v18 offset:4104
.LBB99_19:
	s_or_b64 exec, exec, s[2:3]
	s_waitcnt lgkmcnt(0)
	s_barrier
	ds_read_u16 v18, v11 offset:8
	ds_read_u16 v17, v10
	ds_read_u8 v19, v9 offset:4096
	ds_read_u8 v20, v9 offset:4100
	v_lshrrev_b32_e32 v5, 3, v5
	s_waitcnt lgkmcnt(3)
	v_lshlrev_b32_e32 v16, 16, v18
	s_waitcnt lgkmcnt(2)
	v_lshlrev_b32_e32 v21, 16, v17
	v_cmp_lt_f32_e64 s[0:1], v21, v16
	s_waitcnt lgkmcnt(1)
	v_and_b32_e32 v16, 1, v19
	v_cmp_eq_u32_e64 s[2:3], 1, v16
	s_waitcnt lgkmcnt(0)
	v_cmp_ne_u16_e64 s[6:7], v20, v5
	v_cndmask_b32_e64 v21, 0, 1, s[6:7]
	v_cndmask_b32_e64 v16, 0, 1, vcc
	s_and_b64 vcc, s[0:1], s[2:3]
	v_cndmask_b32_e32 v21, v21, v16, vcc
	v_and_b32_e32 v21, 1, v21
	v_cmp_eq_u32_e32 vcc, 1, v21
	s_and_saveexec_b64 s[0:1], vcc
	s_cbranch_execz .LBB99_21
; %bb.20:
	ds_write_b16 v10, v18
	ds_write_b16 v11, v17 offset:8
	ds_write_b8 v9, v20 offset:4096
	ds_write_b8 v9, v19 offset:4100
.LBB99_21:
	s_or_b64 exec, exec, s[0:1]
	s_waitcnt lgkmcnt(0)
	s_barrier
	ds_read_u16 v18, v8 offset:4
	ds_read_u16 v17, v7
	ds_read_u8 v19, v6 offset:4096
	ds_read_u8 v20, v6 offset:4098
	s_waitcnt lgkmcnt(3)
	v_lshlrev_b32_e32 v21, 16, v18
	s_waitcnt lgkmcnt(2)
	v_lshlrev_b32_e32 v22, 16, v17
	v_cmp_lt_f32_e32 vcc, v22, v21
	s_waitcnt lgkmcnt(1)
	v_and_b32_e32 v21, 1, v19
	v_cmp_eq_u32_e64 s[0:1], 1, v21
	s_waitcnt lgkmcnt(0)
	v_cmp_ne_u16_e64 s[2:3], v20, v5
	v_cndmask_b32_e64 v21, 0, 1, s[2:3]
	s_and_b64 vcc, vcc, s[0:1]
	v_cndmask_b32_e32 v21, v21, v16, vcc
	v_and_b32_e32 v21, 1, v21
	v_cmp_eq_u32_e32 vcc, 1, v21
	s_and_saveexec_b64 s[0:1], vcc
	s_cbranch_execz .LBB99_23
; %bb.22:
	ds_write_b16 v7, v18
	ds_write_b16 v8, v17 offset:4
	ds_write_b8 v6, v20 offset:4096
	ds_write_b8 v6, v19 offset:4098
.LBB99_23:
	s_or_b64 exec, exec, s[0:1]
	s_waitcnt lgkmcnt(0)
	s_barrier
	ds_read_b32 v17, v3
	ds_read_u8 v18, v4 offset:4096
	ds_read_u8 v19, v4 offset:4097
	s_waitcnt lgkmcnt(2)
	v_and_b32_e32 v20, 0xffff0000, v17
	v_lshlrev_b32_e32 v21, 16, v17
	v_cmp_lt_f32_e32 vcc, v21, v20
	s_waitcnt lgkmcnt(1)
	v_and_b32_e32 v20, 1, v18
	v_cmp_eq_u32_e64 s[0:1], 1, v20
	s_waitcnt lgkmcnt(0)
	v_cmp_ne_u16_e64 s[2:3], v19, v5
	v_cndmask_b32_e64 v5, 0, 1, s[2:3]
	s_and_b64 vcc, vcc, s[0:1]
	v_cndmask_b32_e32 v5, v5, v16, vcc
	v_and_b32_e32 v5, 1, v5
	v_cmp_eq_u32_e32 vcc, 1, v5
	s_and_saveexec_b64 s[0:1], vcc
	s_cbranch_execz .LBB99_25
; %bb.24:
	v_alignbit_b32 v5, v17, v17, 16
	ds_write_b32 v3, v5
	ds_write_b8 v4, v19 offset:4096
	ds_write_b8 v4, v18 offset:4097
.LBB99_25:
	s_or_b64 exec, exec, s[0:1]
	v_and_b32_e32 v16, 15, v0
	v_sub_u32_e32 v18, v1, v16
	v_add_u32_e32 v16, 2, v18
	v_lshl_add_u32 v17, v18, 1, 2
	v_add_u32_e32 v18, v16, v18
	s_waitcnt lgkmcnt(0)
	s_barrier
	ds_read_u16 v20, v18 offset:32
	ds_read_u16 v19, v17
	ds_read_u8 v21, v16 offset:4096
	ds_read_u8 v22, v16 offset:4112
	v_bfe_u32 v23, v0, 4, 1
	v_and_b32_e32 v5, 16, v0
	s_waitcnt lgkmcnt(3)
	v_lshlrev_b32_e32 v24, 16, v20
	s_waitcnt lgkmcnt(2)
	v_lshlrev_b32_e32 v25, 16, v19
	v_cmp_lt_f32_e64 s[0:1], v25, v24
	s_waitcnt lgkmcnt(1)
	v_and_b32_e32 v24, 1, v21
	v_cmp_eq_u32_e64 s[2:3], 1, v24
	s_waitcnt lgkmcnt(0)
	v_cmp_ne_u16_e64 s[6:7], v22, v23
	v_cndmask_b32_e64 v24, 0, 1, s[6:7]
	s_and_b64 s[0:1], s[0:1], s[2:3]
	v_cndmask_b32_e64 v23, v24, v23, s[0:1]
	v_and_b32_e32 v23, 1, v23
	v_cmp_ne_u32_e32 vcc, 0, v5
	v_cmp_eq_u32_e64 s[0:1], 1, v23
	s_and_saveexec_b64 s[2:3], s[0:1]
	s_cbranch_execz .LBB99_27
; %bb.26:
	ds_write_b16 v17, v20
	ds_write_b16 v18, v19 offset:32
	ds_write_b8 v16, v22 offset:4096
	ds_write_b8 v16, v21 offset:4112
.LBB99_27:
	s_or_b64 exec, exec, s[2:3]
	s_waitcnt lgkmcnt(0)
	s_barrier
	ds_read_u16 v21, v15 offset:16
	ds_read_u16 v20, v14
	ds_read_u8 v22, v13 offset:4096
	ds_read_u8 v23, v13 offset:4104
	v_lshrrev_b32_e32 v5, 4, v5
	s_waitcnt lgkmcnt(3)
	v_lshlrev_b32_e32 v19, 16, v21
	s_waitcnt lgkmcnt(2)
	v_lshlrev_b32_e32 v24, 16, v20
	v_cmp_lt_f32_e64 s[0:1], v24, v19
	s_waitcnt lgkmcnt(1)
	v_and_b32_e32 v19, 1, v22
	v_cmp_eq_u32_e64 s[2:3], 1, v19
	s_waitcnt lgkmcnt(0)
	v_cmp_ne_u16_e64 s[6:7], v23, v5
	v_cndmask_b32_e64 v24, 0, 1, s[6:7]
	v_cndmask_b32_e64 v19, 0, 1, vcc
	s_and_b64 vcc, s[0:1], s[2:3]
	v_cndmask_b32_e32 v24, v24, v19, vcc
	v_and_b32_e32 v24, 1, v24
	v_cmp_eq_u32_e32 vcc, 1, v24
	s_and_saveexec_b64 s[0:1], vcc
	s_cbranch_execz .LBB99_29
; %bb.28:
	ds_write_b16 v14, v21
	ds_write_b16 v15, v20 offset:16
	ds_write_b8 v13, v23 offset:4096
	ds_write_b8 v13, v22 offset:4104
.LBB99_29:
	s_or_b64 exec, exec, s[0:1]
	s_waitcnt lgkmcnt(0)
	s_barrier
	ds_read_u16 v21, v11 offset:8
	ds_read_u16 v20, v10
	ds_read_u8 v22, v9 offset:4096
	ds_read_u8 v23, v9 offset:4100
	s_waitcnt lgkmcnt(3)
	v_lshlrev_b32_e32 v24, 16, v21
	s_waitcnt lgkmcnt(2)
	v_lshlrev_b32_e32 v25, 16, v20
	v_cmp_lt_f32_e32 vcc, v25, v24
	s_waitcnt lgkmcnt(1)
	v_and_b32_e32 v24, 1, v22
	v_cmp_eq_u32_e64 s[0:1], 1, v24
	s_waitcnt lgkmcnt(0)
	v_cmp_ne_u16_e64 s[2:3], v23, v5
	v_cndmask_b32_e64 v24, 0, 1, s[2:3]
	s_and_b64 vcc, vcc, s[0:1]
	v_cndmask_b32_e32 v24, v24, v19, vcc
	v_and_b32_e32 v24, 1, v24
	v_cmp_eq_u32_e32 vcc, 1, v24
	s_and_saveexec_b64 s[0:1], vcc
	s_cbranch_execz .LBB99_31
; %bb.30:
	ds_write_b16 v10, v21
	ds_write_b16 v11, v20 offset:8
	ds_write_b8 v9, v23 offset:4096
	ds_write_b8 v9, v22 offset:4100
.LBB99_31:
	s_or_b64 exec, exec, s[0:1]
	s_waitcnt lgkmcnt(0)
	s_barrier
	ds_read_u16 v21, v8 offset:4
	ds_read_u16 v20, v7
	ds_read_u8 v22, v6 offset:4096
	ds_read_u8 v23, v6 offset:4098
	s_waitcnt lgkmcnt(3)
	v_lshlrev_b32_e32 v24, 16, v21
	s_waitcnt lgkmcnt(2)
	v_lshlrev_b32_e32 v25, 16, v20
	v_cmp_lt_f32_e32 vcc, v25, v24
	s_waitcnt lgkmcnt(1)
	v_and_b32_e32 v24, 1, v22
	v_cmp_eq_u32_e64 s[0:1], 1, v24
	s_waitcnt lgkmcnt(0)
	v_cmp_ne_u16_e64 s[2:3], v23, v5
	v_cndmask_b32_e64 v24, 0, 1, s[2:3]
	s_and_b64 vcc, vcc, s[0:1]
	v_cndmask_b32_e32 v24, v24, v19, vcc
	v_and_b32_e32 v24, 1, v24
	v_cmp_eq_u32_e32 vcc, 1, v24
	s_and_saveexec_b64 s[0:1], vcc
	s_cbranch_execz .LBB99_33
; %bb.32:
	ds_write_b16 v7, v21
	ds_write_b16 v8, v20 offset:4
	ds_write_b8 v6, v23 offset:4096
	ds_write_b8 v6, v22 offset:4098
.LBB99_33:
	s_or_b64 exec, exec, s[0:1]
	s_waitcnt lgkmcnt(0)
	s_barrier
	ds_read_b32 v20, v3
	ds_read_u8 v21, v4 offset:4096
	ds_read_u8 v22, v4 offset:4097
	s_waitcnt lgkmcnt(2)
	v_and_b32_e32 v23, 0xffff0000, v20
	v_lshlrev_b32_e32 v24, 16, v20
	v_cmp_lt_f32_e32 vcc, v24, v23
	s_waitcnt lgkmcnt(1)
	v_and_b32_e32 v23, 1, v21
	v_cmp_eq_u32_e64 s[0:1], 1, v23
	s_waitcnt lgkmcnt(0)
	v_cmp_ne_u16_e64 s[2:3], v22, v5
	v_cndmask_b32_e64 v5, 0, 1, s[2:3]
	s_and_b64 vcc, vcc, s[0:1]
	v_cndmask_b32_e32 v5, v5, v19, vcc
	v_and_b32_e32 v5, 1, v5
	v_cmp_eq_u32_e32 vcc, 1, v5
	s_and_saveexec_b64 s[0:1], vcc
	s_cbranch_execz .LBB99_35
; %bb.34:
	v_alignbit_b32 v5, v20, v20, 16
	ds_write_b32 v3, v5
	ds_write_b8 v4, v22 offset:4096
	ds_write_b8 v4, v21 offset:4097
.LBB99_35:
	s_or_b64 exec, exec, s[0:1]
	v_and_b32_e32 v19, 31, v0
	v_sub_u32_e32 v21, v1, v19
	v_add_u32_e32 v19, 2, v21
	v_lshl_add_u32 v20, v21, 1, 2
	v_add_u32_e32 v21, v19, v21
	s_waitcnt lgkmcnt(0)
	s_barrier
	ds_read_u16 v23, v21 offset:64
	ds_read_u16 v22, v20
	ds_read_u8 v24, v19 offset:4096
	ds_read_u8 v25, v19 offset:4128
	v_bfe_u32 v26, v0, 5, 1
	v_and_b32_e32 v5, 32, v0
	s_waitcnt lgkmcnt(3)
	v_lshlrev_b32_e32 v27, 16, v23
	s_waitcnt lgkmcnt(2)
	v_lshlrev_b32_e32 v28, 16, v22
	v_cmp_lt_f32_e64 s[0:1], v28, v27
	s_waitcnt lgkmcnt(1)
	v_and_b32_e32 v27, 1, v24
	v_cmp_eq_u32_e64 s[2:3], 1, v27
	s_waitcnt lgkmcnt(0)
	v_cmp_ne_u16_e64 s[6:7], v25, v26
	v_cndmask_b32_e64 v27, 0, 1, s[6:7]
	s_and_b64 s[0:1], s[0:1], s[2:3]
	v_cndmask_b32_e64 v26, v27, v26, s[0:1]
	v_and_b32_e32 v26, 1, v26
	v_cmp_ne_u32_e32 vcc, 0, v5
	v_cmp_eq_u32_e64 s[0:1], 1, v26
	s_and_saveexec_b64 s[2:3], s[0:1]
	s_cbranch_execz .LBB99_37
; %bb.36:
	ds_write_b16 v20, v23
	ds_write_b16 v21, v22 offset:64
	ds_write_b8 v19, v25 offset:4096
	ds_write_b8 v19, v24 offset:4128
.LBB99_37:
	s_or_b64 exec, exec, s[2:3]
	s_waitcnt lgkmcnt(0)
	s_barrier
	ds_read_u16 v24, v18 offset:32
	ds_read_u16 v23, v17
	ds_read_u8 v25, v16 offset:4096
	ds_read_u8 v26, v16 offset:4112
	v_lshrrev_b32_e32 v5, 5, v5
	s_waitcnt lgkmcnt(3)
	v_lshlrev_b32_e32 v22, 16, v24
	s_waitcnt lgkmcnt(2)
	v_lshlrev_b32_e32 v27, 16, v23
	v_cmp_lt_f32_e64 s[0:1], v27, v22
	s_waitcnt lgkmcnt(1)
	v_and_b32_e32 v22, 1, v25
	v_cmp_eq_u32_e64 s[2:3], 1, v22
	s_waitcnt lgkmcnt(0)
	v_cmp_ne_u16_e64 s[6:7], v26, v5
	v_cndmask_b32_e64 v27, 0, 1, s[6:7]
	v_cndmask_b32_e64 v22, 0, 1, vcc
	s_and_b64 vcc, s[0:1], s[2:3]
	v_cndmask_b32_e32 v27, v27, v22, vcc
	v_and_b32_e32 v27, 1, v27
	v_cmp_eq_u32_e32 vcc, 1, v27
	s_and_saveexec_b64 s[0:1], vcc
	s_cbranch_execz .LBB99_39
; %bb.38:
	ds_write_b16 v17, v24
	ds_write_b16 v18, v23 offset:32
	ds_write_b8 v16, v26 offset:4096
	ds_write_b8 v16, v25 offset:4112
.LBB99_39:
	s_or_b64 exec, exec, s[0:1]
	s_waitcnt lgkmcnt(0)
	s_barrier
	ds_read_u16 v24, v15 offset:16
	ds_read_u16 v23, v14
	ds_read_u8 v25, v13 offset:4096
	ds_read_u8 v26, v13 offset:4104
	s_waitcnt lgkmcnt(3)
	v_lshlrev_b32_e32 v27, 16, v24
	s_waitcnt lgkmcnt(2)
	v_lshlrev_b32_e32 v28, 16, v23
	v_cmp_lt_f32_e32 vcc, v28, v27
	s_waitcnt lgkmcnt(1)
	v_and_b32_e32 v27, 1, v25
	v_cmp_eq_u32_e64 s[0:1], 1, v27
	s_waitcnt lgkmcnt(0)
	v_cmp_ne_u16_e64 s[2:3], v26, v5
	v_cndmask_b32_e64 v27, 0, 1, s[2:3]
	s_and_b64 vcc, vcc, s[0:1]
	v_cndmask_b32_e32 v27, v27, v22, vcc
	v_and_b32_e32 v27, 1, v27
	v_cmp_eq_u32_e32 vcc, 1, v27
	s_and_saveexec_b64 s[0:1], vcc
	s_cbranch_execz .LBB99_41
; %bb.40:
	ds_write_b16 v14, v24
	ds_write_b16 v15, v23 offset:16
	ds_write_b8 v13, v26 offset:4096
	ds_write_b8 v13, v25 offset:4104
.LBB99_41:
	s_or_b64 exec, exec, s[0:1]
	s_waitcnt lgkmcnt(0)
	s_barrier
	ds_read_u16 v24, v11 offset:8
	ds_read_u16 v23, v10
	ds_read_u8 v25, v9 offset:4096
	ds_read_u8 v26, v9 offset:4100
	s_waitcnt lgkmcnt(3)
	v_lshlrev_b32_e32 v27, 16, v24
	s_waitcnt lgkmcnt(2)
	v_lshlrev_b32_e32 v28, 16, v23
	v_cmp_lt_f32_e32 vcc, v28, v27
	s_waitcnt lgkmcnt(1)
	v_and_b32_e32 v27, 1, v25
	v_cmp_eq_u32_e64 s[0:1], 1, v27
	s_waitcnt lgkmcnt(0)
	v_cmp_ne_u16_e64 s[2:3], v26, v5
	v_cndmask_b32_e64 v27, 0, 1, s[2:3]
	s_and_b64 vcc, vcc, s[0:1]
	;; [unrolled: 30-line block ×3, first 2 shown]
	v_cndmask_b32_e32 v27, v27, v22, vcc
	v_and_b32_e32 v27, 1, v27
	v_cmp_eq_u32_e32 vcc, 1, v27
	s_and_saveexec_b64 s[0:1], vcc
	s_cbranch_execz .LBB99_45
; %bb.44:
	ds_write_b16 v7, v24
	ds_write_b16 v8, v23 offset:4
	ds_write_b8 v6, v26 offset:4096
	ds_write_b8 v6, v25 offset:4098
.LBB99_45:
	s_or_b64 exec, exec, s[0:1]
	s_waitcnt lgkmcnt(0)
	s_barrier
	ds_read_b32 v23, v3
	ds_read_u8 v24, v4 offset:4096
	ds_read_u8 v25, v4 offset:4097
	s_waitcnt lgkmcnt(2)
	v_and_b32_e32 v26, 0xffff0000, v23
	v_lshlrev_b32_e32 v27, 16, v23
	v_cmp_lt_f32_e32 vcc, v27, v26
	s_waitcnt lgkmcnt(1)
	v_and_b32_e32 v26, 1, v24
	v_cmp_eq_u32_e64 s[0:1], 1, v26
	s_waitcnt lgkmcnt(0)
	v_cmp_ne_u16_e64 s[2:3], v25, v5
	v_cndmask_b32_e64 v5, 0, 1, s[2:3]
	s_and_b64 vcc, vcc, s[0:1]
	v_cndmask_b32_e32 v5, v5, v22, vcc
	v_and_b32_e32 v5, 1, v5
	v_cmp_eq_u32_e32 vcc, 1, v5
	s_and_saveexec_b64 s[0:1], vcc
	s_cbranch_execz .LBB99_47
; %bb.46:
	v_alignbit_b32 v5, v23, v23, 16
	ds_write_b32 v3, v5
	ds_write_b8 v4, v25 offset:4096
	ds_write_b8 v4, v24 offset:4097
.LBB99_47:
	s_or_b64 exec, exec, s[0:1]
	v_and_b32_e32 v5, 63, v0
	v_sub_u32_e32 v24, v1, v5
	v_add_u32_e32 v22, 2, v24
	v_lshl_add_u32 v23, v24, 1, 2
	v_add_u32_e32 v24, v22, v24
	s_waitcnt lgkmcnt(0)
	s_barrier
	ds_read_u16 v27, v24 offset:128
	ds_read_u16 v26, v23
	ds_read_u8 v28, v22 offset:4096
	ds_read_u8 v29, v22 offset:4160
	v_bfe_u32 v30, v0, 6, 1
	v_and_b32_e32 v25, 64, v0
	s_waitcnt lgkmcnt(3)
	v_lshlrev_b32_e32 v31, 16, v27
	s_waitcnt lgkmcnt(2)
	v_lshlrev_b32_e32 v32, 16, v26
	v_cmp_lt_f32_e64 s[0:1], v32, v31
	s_waitcnt lgkmcnt(1)
	v_and_b32_e32 v31, 1, v28
	v_cmp_eq_u32_e64 s[2:3], 1, v31
	s_waitcnt lgkmcnt(0)
	v_cmp_ne_u16_e64 s[6:7], v29, v30
	v_cndmask_b32_e64 v31, 0, 1, s[6:7]
	s_and_b64 s[0:1], s[0:1], s[2:3]
	v_cndmask_b32_e64 v30, v31, v30, s[0:1]
	v_and_b32_e32 v30, 1, v30
	v_cmp_ne_u32_e32 vcc, 0, v25
	v_cmp_eq_u32_e64 s[0:1], 1, v30
	s_and_saveexec_b64 s[2:3], s[0:1]
	s_cbranch_execz .LBB99_49
; %bb.48:
	ds_write_b16 v23, v27
	ds_write_b16 v24, v26 offset:128
	ds_write_b8 v22, v29 offset:4096
	ds_write_b8 v22, v28 offset:4160
.LBB99_49:
	s_or_b64 exec, exec, s[2:3]
	s_waitcnt lgkmcnt(0)
	s_barrier
	ds_read_u16 v28, v21 offset:64
	ds_read_u16 v27, v20
	ds_read_u8 v29, v19 offset:4096
	ds_read_u8 v30, v19 offset:4128
	v_lshrrev_b32_e32 v25, 6, v25
	s_waitcnt lgkmcnt(3)
	v_lshlrev_b32_e32 v26, 16, v28
	s_waitcnt lgkmcnt(2)
	v_lshlrev_b32_e32 v31, 16, v27
	v_cmp_lt_f32_e64 s[0:1], v31, v26
	s_waitcnt lgkmcnt(1)
	v_and_b32_e32 v26, 1, v29
	v_cmp_eq_u32_e64 s[2:3], 1, v26
	s_waitcnt lgkmcnt(0)
	v_cmp_ne_u16_e64 s[6:7], v30, v25
	v_cndmask_b32_e64 v31, 0, 1, s[6:7]
	v_cndmask_b32_e64 v26, 0, 1, vcc
	s_and_b64 vcc, s[0:1], s[2:3]
	v_cndmask_b32_e32 v31, v31, v26, vcc
	v_and_b32_e32 v31, 1, v31
	v_cmp_eq_u32_e32 vcc, 1, v31
	s_and_saveexec_b64 s[0:1], vcc
	s_cbranch_execz .LBB99_51
; %bb.50:
	ds_write_b16 v20, v28
	ds_write_b16 v21, v27 offset:64
	ds_write_b8 v19, v30 offset:4096
	ds_write_b8 v19, v29 offset:4128
.LBB99_51:
	s_or_b64 exec, exec, s[0:1]
	s_waitcnt lgkmcnt(0)
	s_barrier
	ds_read_u16 v28, v18 offset:32
	ds_read_u16 v27, v17
	ds_read_u8 v29, v16 offset:4096
	ds_read_u8 v30, v16 offset:4112
	s_waitcnt lgkmcnt(3)
	v_lshlrev_b32_e32 v31, 16, v28
	s_waitcnt lgkmcnt(2)
	v_lshlrev_b32_e32 v32, 16, v27
	v_cmp_lt_f32_e32 vcc, v32, v31
	s_waitcnt lgkmcnt(1)
	v_and_b32_e32 v31, 1, v29
	v_cmp_eq_u32_e64 s[0:1], 1, v31
	s_waitcnt lgkmcnt(0)
	v_cmp_ne_u16_e64 s[2:3], v30, v25
	v_cndmask_b32_e64 v31, 0, 1, s[2:3]
	s_and_b64 vcc, vcc, s[0:1]
	v_cndmask_b32_e32 v31, v31, v26, vcc
	v_and_b32_e32 v31, 1, v31
	v_cmp_eq_u32_e32 vcc, 1, v31
	s_and_saveexec_b64 s[0:1], vcc
	s_cbranch_execz .LBB99_53
; %bb.52:
	ds_write_b16 v17, v28
	ds_write_b16 v18, v27 offset:32
	ds_write_b8 v16, v30 offset:4096
	ds_write_b8 v16, v29 offset:4112
.LBB99_53:
	s_or_b64 exec, exec, s[0:1]
	s_waitcnt lgkmcnt(0)
	s_barrier
	ds_read_u16 v28, v15 offset:16
	ds_read_u16 v27, v14
	ds_read_u8 v29, v13 offset:4096
	ds_read_u8 v30, v13 offset:4104
	s_waitcnt lgkmcnt(3)
	v_lshlrev_b32_e32 v31, 16, v28
	s_waitcnt lgkmcnt(2)
	v_lshlrev_b32_e32 v32, 16, v27
	v_cmp_lt_f32_e32 vcc, v32, v31
	s_waitcnt lgkmcnt(1)
	v_and_b32_e32 v31, 1, v29
	v_cmp_eq_u32_e64 s[0:1], 1, v31
	s_waitcnt lgkmcnt(0)
	v_cmp_ne_u16_e64 s[2:3], v30, v25
	v_cndmask_b32_e64 v31, 0, 1, s[2:3]
	s_and_b64 vcc, vcc, s[0:1]
	;; [unrolled: 30-line block ×4, first 2 shown]
	v_cndmask_b32_e32 v31, v31, v26, vcc
	v_and_b32_e32 v31, 1, v31
	v_cmp_eq_u32_e32 vcc, 1, v31
	s_and_saveexec_b64 s[0:1], vcc
	s_cbranch_execz .LBB99_59
; %bb.58:
	ds_write_b16 v7, v28
	ds_write_b16 v8, v27 offset:4
	ds_write_b8 v6, v30 offset:4096
	ds_write_b8 v6, v29 offset:4098
.LBB99_59:
	s_or_b64 exec, exec, s[0:1]
	s_waitcnt lgkmcnt(0)
	s_barrier
	ds_read_b32 v27, v3
	ds_read_u8 v28, v4 offset:4096
	ds_read_u8 v29, v4 offset:4097
	s_waitcnt lgkmcnt(2)
	v_and_b32_e32 v30, 0xffff0000, v27
	v_lshlrev_b32_e32 v31, 16, v27
	v_cmp_lt_f32_e32 vcc, v31, v30
	s_waitcnt lgkmcnt(1)
	v_and_b32_e32 v30, 1, v28
	v_cmp_eq_u32_e64 s[0:1], 1, v30
	s_waitcnt lgkmcnt(0)
	v_cmp_ne_u16_e64 s[2:3], v29, v25
	v_cndmask_b32_e64 v25, 0, 1, s[2:3]
	s_and_b64 vcc, vcc, s[0:1]
	v_cndmask_b32_e32 v25, v25, v26, vcc
	v_and_b32_e32 v25, 1, v25
	v_cmp_eq_u32_e32 vcc, 1, v25
	s_and_saveexec_b64 s[0:1], vcc
	s_cbranch_execz .LBB99_61
; %bb.60:
	v_alignbit_b32 v25, v27, v27, 16
	ds_write_b32 v3, v25
	ds_write_b8 v4, v29 offset:4096
	ds_write_b8 v4, v28 offset:4097
.LBB99_61:
	s_or_b64 exec, exec, s[0:1]
	v_and_b32_e32 v25, 0x80, v0
	v_cmp_ne_u32_e32 vcc, 0, v25
	v_and_b32_e32 v25, 0x7f, v0
	v_sub_u32_e32 v27, v1, v25
	v_add_u32_e32 v25, 2, v27
	v_lshl_add_u32 v26, v27, 1, 2
	v_add_u32_e32 v27, v25, v27
	s_waitcnt lgkmcnt(0)
	s_barrier
	ds_read_u16 v30, v27 offset:256
	ds_read_u16 v29, v26
	ds_read_u8 v31, v25 offset:4096
	ds_read_u8 v32, v25 offset:4224
	v_lshrrev_b32_e32 v33, 7, v0
	v_and_b32_e32 v28, 1, v33
	s_waitcnt lgkmcnt(3)
	v_lshlrev_b32_e32 v34, 16, v30
	s_waitcnt lgkmcnt(2)
	v_lshlrev_b32_e32 v35, 16, v29
	v_cmp_lt_f32_e64 s[0:1], v35, v34
	s_waitcnt lgkmcnt(1)
	v_and_b32_e32 v34, 1, v31
	v_cmp_eq_u32_e64 s[2:3], 1, v34
	s_waitcnt lgkmcnt(0)
	v_cmp_ne_u16_e64 s[6:7], v32, v28
	v_cndmask_b32_e64 v34, 0, 1, s[6:7]
	s_and_b64 s[0:1], s[0:1], s[2:3]
	v_cndmask_b32_e64 v33, v34, v33, s[0:1]
	v_and_b32_e32 v33, 1, v33
	v_cmp_eq_u32_e64 s[0:1], 1, v33
	s_and_saveexec_b64 s[2:3], s[0:1]
	s_cbranch_execz .LBB99_63
; %bb.62:
	ds_write_b16 v26, v30
	ds_write_b16 v27, v29 offset:256
	ds_write_b8 v25, v32 offset:4096
	ds_write_b8 v25, v31 offset:4224
.LBB99_63:
	s_or_b64 exec, exec, s[2:3]
	s_waitcnt lgkmcnt(0)
	s_barrier
	ds_read_u16 v31, v24 offset:128
	ds_read_u16 v30, v23
	ds_read_u8 v32, v22 offset:4096
	ds_read_u8 v33, v22 offset:4160
	s_waitcnt lgkmcnt(3)
	v_lshlrev_b32_e32 v29, 16, v31
	s_waitcnt lgkmcnt(2)
	v_lshlrev_b32_e32 v34, 16, v30
	v_cmp_lt_f32_e64 s[0:1], v34, v29
	s_waitcnt lgkmcnt(1)
	v_and_b32_e32 v29, 1, v32
	v_cmp_eq_u32_e64 s[2:3], 1, v29
	s_waitcnt lgkmcnt(0)
	v_cmp_ne_u16_e64 s[6:7], v33, v28
	v_cndmask_b32_e64 v34, 0, 1, s[6:7]
	v_cndmask_b32_e64 v29, 0, 1, vcc
	s_and_b64 vcc, s[0:1], s[2:3]
	v_cndmask_b32_e32 v34, v34, v29, vcc
	v_and_b32_e32 v34, 1, v34
	v_cmp_eq_u32_e32 vcc, 1, v34
	s_and_saveexec_b64 s[0:1], vcc
	s_cbranch_execz .LBB99_65
; %bb.64:
	ds_write_b16 v23, v31
	ds_write_b16 v24, v30 offset:128
	ds_write_b8 v22, v33 offset:4096
	ds_write_b8 v22, v32 offset:4160
.LBB99_65:
	s_or_b64 exec, exec, s[0:1]
	s_waitcnt lgkmcnt(0)
	s_barrier
	ds_read_u16 v31, v21 offset:64
	ds_read_u16 v30, v20
	ds_read_u8 v32, v19 offset:4096
	ds_read_u8 v33, v19 offset:4128
	s_waitcnt lgkmcnt(3)
	v_lshlrev_b32_e32 v34, 16, v31
	s_waitcnt lgkmcnt(2)
	v_lshlrev_b32_e32 v35, 16, v30
	v_cmp_lt_f32_e32 vcc, v35, v34
	s_waitcnt lgkmcnt(1)
	v_and_b32_e32 v34, 1, v32
	v_cmp_eq_u32_e64 s[0:1], 1, v34
	s_waitcnt lgkmcnt(0)
	v_cmp_ne_u16_e64 s[2:3], v33, v28
	v_cndmask_b32_e64 v34, 0, 1, s[2:3]
	s_and_b64 vcc, vcc, s[0:1]
	v_cndmask_b32_e32 v34, v34, v29, vcc
	v_and_b32_e32 v34, 1, v34
	v_cmp_eq_u32_e32 vcc, 1, v34
	s_and_saveexec_b64 s[0:1], vcc
	s_cbranch_execz .LBB99_67
; %bb.66:
	ds_write_b16 v20, v31
	ds_write_b16 v21, v30 offset:64
	ds_write_b8 v19, v33 offset:4096
	ds_write_b8 v19, v32 offset:4128
.LBB99_67:
	s_or_b64 exec, exec, s[0:1]
	s_waitcnt lgkmcnt(0)
	s_barrier
	ds_read_u16 v31, v18 offset:32
	ds_read_u16 v30, v17
	ds_read_u8 v32, v16 offset:4096
	ds_read_u8 v33, v16 offset:4112
	s_waitcnt lgkmcnt(3)
	v_lshlrev_b32_e32 v34, 16, v31
	s_waitcnt lgkmcnt(2)
	v_lshlrev_b32_e32 v35, 16, v30
	v_cmp_lt_f32_e32 vcc, v35, v34
	s_waitcnt lgkmcnt(1)
	v_and_b32_e32 v34, 1, v32
	v_cmp_eq_u32_e64 s[0:1], 1, v34
	s_waitcnt lgkmcnt(0)
	v_cmp_ne_u16_e64 s[2:3], v33, v28
	v_cndmask_b32_e64 v34, 0, 1, s[2:3]
	s_and_b64 vcc, vcc, s[0:1]
	;; [unrolled: 30-line block ×5, first 2 shown]
	v_cndmask_b32_e32 v34, v34, v29, vcc
	v_and_b32_e32 v34, 1, v34
	v_cmp_eq_u32_e32 vcc, 1, v34
	s_and_saveexec_b64 s[0:1], vcc
	s_cbranch_execz .LBB99_75
; %bb.74:
	ds_write_b16 v7, v31
	ds_write_b16 v8, v30 offset:4
	ds_write_b8 v6, v33 offset:4096
	ds_write_b8 v6, v32 offset:4098
.LBB99_75:
	s_or_b64 exec, exec, s[0:1]
	s_waitcnt lgkmcnt(0)
	s_barrier
	ds_read_b32 v30, v3
	ds_read_u8 v31, v4 offset:4096
	ds_read_u8 v32, v4 offset:4097
	s_waitcnt lgkmcnt(2)
	v_and_b32_e32 v33, 0xffff0000, v30
	v_lshlrev_b32_e32 v34, 16, v30
	v_cmp_lt_f32_e32 vcc, v34, v33
	s_waitcnt lgkmcnt(1)
	v_and_b32_e32 v33, 1, v31
	v_cmp_eq_u32_e64 s[0:1], 1, v33
	s_waitcnt lgkmcnt(0)
	v_cmp_ne_u16_e64 s[2:3], v32, v28
	v_cndmask_b32_e64 v28, 0, 1, s[2:3]
	s_and_b64 vcc, vcc, s[0:1]
	v_cndmask_b32_e32 v28, v28, v29, vcc
	v_and_b32_e32 v28, 1, v28
	v_cmp_eq_u32_e32 vcc, 1, v28
	s_and_saveexec_b64 s[0:1], vcc
	s_cbranch_execz .LBB99_77
; %bb.76:
	v_alignbit_b32 v28, v30, v30, 16
	ds_write_b32 v3, v28
	ds_write_b8 v4, v32 offset:4096
	ds_write_b8 v4, v31 offset:4097
.LBB99_77:
	s_or_b64 exec, exec, s[0:1]
	v_and_b32_e32 v28, 0x100, v0
	v_sub_u32_sdwa v30, v1, v0 dst_sel:DWORD dst_unused:UNUSED_PAD src0_sel:DWORD src1_sel:BYTE_0
	v_cmp_ne_u32_e32 vcc, 0, v28
	v_add_u32_e32 v28, 2, v30
	v_lshl_add_u32 v29, v30, 1, 2
	v_add_u32_e32 v30, v28, v30
	s_waitcnt lgkmcnt(0)
	s_barrier
	ds_read_u16 v33, v30 offset:512
	ds_read_u16 v32, v29
	ds_read_u8 v34, v28 offset:4096
	ds_read_u8 v35, v28 offset:4352
	v_bfe_u32 v36, v0, 8, 1
	v_and_b32_e32 v31, 0x100, v0
	s_waitcnt lgkmcnt(3)
	v_lshlrev_b32_e32 v37, 16, v33
	s_waitcnt lgkmcnt(2)
	v_lshlrev_b32_e32 v38, 16, v32
	v_cmp_lt_f32_e64 s[0:1], v38, v37
	s_waitcnt lgkmcnt(1)
	v_and_b32_e32 v37, 1, v34
	v_cmp_eq_u32_e64 s[2:3], 1, v37
	s_waitcnt lgkmcnt(0)
	v_cmp_ne_u16_e64 s[6:7], v35, v36
	v_cndmask_b32_e64 v37, 0, 1, s[6:7]
	s_and_b64 s[0:1], s[0:1], s[2:3]
	v_cndmask_b32_e64 v36, v37, v36, s[0:1]
	v_and_b32_e32 v36, 1, v36
	v_cmp_eq_u32_e64 s[0:1], 1, v36
	s_and_saveexec_b64 s[2:3], s[0:1]
	s_cbranch_execz .LBB99_79
; %bb.78:
	ds_write_b16 v29, v33
	ds_write_b16 v30, v32 offset:512
	ds_write_b8 v28, v35 offset:4096
	ds_write_b8 v28, v34 offset:4352
.LBB99_79:
	s_or_b64 exec, exec, s[2:3]
	s_waitcnt lgkmcnt(0)
	s_barrier
	ds_read_u16 v34, v27 offset:256
	ds_read_u16 v33, v26
	ds_read_u8 v35, v25 offset:4096
	ds_read_u8 v36, v25 offset:4224
	v_lshrrev_b32_e32 v31, 8, v31
	s_waitcnt lgkmcnt(3)
	v_lshlrev_b32_e32 v32, 16, v34
	s_waitcnt lgkmcnt(2)
	v_lshlrev_b32_e32 v37, 16, v33
	v_cmp_lt_f32_e64 s[0:1], v37, v32
	s_waitcnt lgkmcnt(1)
	v_and_b32_e32 v32, 1, v35
	v_cmp_eq_u32_e64 s[2:3], 1, v32
	s_waitcnt lgkmcnt(0)
	v_cmp_ne_u16_e64 s[6:7], v36, v31
	v_cndmask_b32_e64 v37, 0, 1, s[6:7]
	v_cndmask_b32_e64 v32, 0, 1, vcc
	s_and_b64 vcc, s[0:1], s[2:3]
	v_cndmask_b32_e32 v37, v37, v32, vcc
	v_and_b32_e32 v37, 1, v37
	v_cmp_eq_u32_e32 vcc, 1, v37
	s_and_saveexec_b64 s[0:1], vcc
	s_cbranch_execz .LBB99_81
; %bb.80:
	ds_write_b16 v26, v34
	ds_write_b16 v27, v33 offset:256
	ds_write_b8 v25, v36 offset:4096
	ds_write_b8 v25, v35 offset:4224
.LBB99_81:
	s_or_b64 exec, exec, s[0:1]
	s_waitcnt lgkmcnt(0)
	s_barrier
	ds_read_u16 v34, v24 offset:128
	ds_read_u16 v33, v23
	ds_read_u8 v35, v22 offset:4096
	ds_read_u8 v36, v22 offset:4160
	s_waitcnt lgkmcnt(3)
	v_lshlrev_b32_e32 v37, 16, v34
	s_waitcnt lgkmcnt(2)
	v_lshlrev_b32_e32 v38, 16, v33
	v_cmp_lt_f32_e32 vcc, v38, v37
	s_waitcnt lgkmcnt(1)
	v_and_b32_e32 v37, 1, v35
	v_cmp_eq_u32_e64 s[0:1], 1, v37
	s_waitcnt lgkmcnt(0)
	v_cmp_ne_u16_e64 s[2:3], v36, v31
	v_cndmask_b32_e64 v37, 0, 1, s[2:3]
	s_and_b64 vcc, vcc, s[0:1]
	v_cndmask_b32_e32 v37, v37, v32, vcc
	v_and_b32_e32 v37, 1, v37
	v_cmp_eq_u32_e32 vcc, 1, v37
	s_and_saveexec_b64 s[0:1], vcc
	s_cbranch_execz .LBB99_83
; %bb.82:
	ds_write_b16 v23, v34
	ds_write_b16 v24, v33 offset:128
	ds_write_b8 v22, v36 offset:4096
	ds_write_b8 v22, v35 offset:4160
.LBB99_83:
	s_or_b64 exec, exec, s[0:1]
	s_waitcnt lgkmcnt(0)
	s_barrier
	ds_read_u16 v34, v21 offset:64
	ds_read_u16 v33, v20
	ds_read_u8 v35, v19 offset:4096
	ds_read_u8 v36, v19 offset:4128
	s_waitcnt lgkmcnt(3)
	v_lshlrev_b32_e32 v37, 16, v34
	s_waitcnt lgkmcnt(2)
	v_lshlrev_b32_e32 v38, 16, v33
	v_cmp_lt_f32_e32 vcc, v38, v37
	s_waitcnt lgkmcnt(1)
	v_and_b32_e32 v37, 1, v35
	v_cmp_eq_u32_e64 s[0:1], 1, v37
	s_waitcnt lgkmcnt(0)
	v_cmp_ne_u16_e64 s[2:3], v36, v31
	v_cndmask_b32_e64 v37, 0, 1, s[2:3]
	s_and_b64 vcc, vcc, s[0:1]
	;; [unrolled: 30-line block ×6, first 2 shown]
	v_cndmask_b32_e32 v37, v37, v32, vcc
	v_and_b32_e32 v37, 1, v37
	v_cmp_eq_u32_e32 vcc, 1, v37
	s_and_saveexec_b64 s[0:1], vcc
	s_cbranch_execz .LBB99_93
; %bb.92:
	ds_write_b16 v7, v34
	ds_write_b16 v8, v33 offset:4
	ds_write_b8 v6, v36 offset:4096
	ds_write_b8 v6, v35 offset:4098
.LBB99_93:
	s_or_b64 exec, exec, s[0:1]
	s_waitcnt lgkmcnt(0)
	s_barrier
	ds_read_b32 v33, v3
	ds_read_u8 v34, v4 offset:4096
	ds_read_u8 v35, v4 offset:4097
	s_waitcnt lgkmcnt(2)
	v_and_b32_e32 v36, 0xffff0000, v33
	v_lshlrev_b32_e32 v37, 16, v33
	v_cmp_lt_f32_e32 vcc, v37, v36
	s_waitcnt lgkmcnt(1)
	v_and_b32_e32 v36, 1, v34
	v_cmp_eq_u32_e64 s[0:1], 1, v36
	s_waitcnt lgkmcnt(0)
	v_cmp_ne_u16_e64 s[2:3], v35, v31
	v_cndmask_b32_e64 v31, 0, 1, s[2:3]
	s_and_b64 vcc, vcc, s[0:1]
	v_cndmask_b32_e32 v31, v31, v32, vcc
	v_and_b32_e32 v31, 1, v31
	v_cmp_eq_u32_e32 vcc, 1, v31
	s_and_saveexec_b64 s[0:1], vcc
	s_cbranch_execz .LBB99_95
; %bb.94:
	v_alignbit_b32 v31, v33, v33, 16
	ds_write_b32 v3, v31
	ds_write_b8 v4, v35 offset:4096
	ds_write_b8 v4, v34 offset:4097
.LBB99_95:
	s_or_b64 exec, exec, s[0:1]
	v_and_b32_e32 v31, 0x1ff, v0
	v_sub_u32_e32 v33, v1, v31
	v_lshl_add_u32 v32, v33, 1, 2
	v_add_u32_e32 v31, 2, v33
	s_waitcnt lgkmcnt(0)
	s_barrier
	v_add_u32_e32 v33, v31, v33
	ds_read_u16 v35, v32
	ds_read_u16 v36, v33 offset:1024
	ds_read_u8 v37, v31 offset:4096
	ds_read_u8 v38, v31 offset:4608
	s_movk_i32 s0, 0x1ff
	v_cmp_lt_u32_e32 vcc, s0, v0
	s_waitcnt lgkmcnt(3)
	v_lshlrev_b32_e32 v40, 16, v35
	s_waitcnt lgkmcnt(2)
	v_lshlrev_b32_e32 v39, 16, v36
	v_cndmask_b32_e64 v34, 0, 1, vcc
	v_cmp_lt_f32_e32 vcc, v40, v39
	s_waitcnt lgkmcnt(1)
	v_and_b32_e32 v39, 1, v37
	v_cmp_eq_u32_e64 s[0:1], 1, v39
	s_waitcnt lgkmcnt(0)
	v_cmp_ne_u16_e64 s[2:3], v38, v34
	v_cndmask_b32_e64 v39, 0, 1, s[2:3]
	s_and_b64 vcc, vcc, s[0:1]
	v_cndmask_b32_e32 v39, v39, v34, vcc
	v_and_b32_e32 v39, 1, v39
	v_cmp_eq_u32_e32 vcc, 1, v39
	s_and_saveexec_b64 s[0:1], vcc
	s_cbranch_execz .LBB99_97
; %bb.96:
	ds_write_b16 v32, v36
	ds_write_b16 v33, v35 offset:1024
	ds_write_b8 v31, v38 offset:4096
	ds_write_b8 v31, v37 offset:4608
.LBB99_97:
	s_or_b64 exec, exec, s[0:1]
	s_waitcnt lgkmcnt(0)
	s_barrier
	ds_read_u16 v36, v30 offset:512
	ds_read_u16 v35, v29
	ds_read_u8 v37, v28 offset:4096
	ds_read_u8 v38, v28 offset:4352
	s_waitcnt lgkmcnt(3)
	v_lshlrev_b32_e32 v39, 16, v36
	s_waitcnt lgkmcnt(2)
	v_lshlrev_b32_e32 v40, 16, v35
	v_cmp_lt_f32_e32 vcc, v40, v39
	s_waitcnt lgkmcnt(1)
	v_and_b32_e32 v39, 1, v37
	v_cmp_eq_u32_e64 s[0:1], 1, v39
	s_waitcnt lgkmcnt(0)
	v_cmp_ne_u16_e64 s[2:3], v38, v34
	v_cndmask_b32_e64 v39, 0, 1, s[2:3]
	s_and_b64 vcc, vcc, s[0:1]
	v_cndmask_b32_e32 v39, v39, v34, vcc
	v_and_b32_e32 v39, 1, v39
	v_cmp_eq_u32_e32 vcc, 1, v39
	s_and_saveexec_b64 s[0:1], vcc
	s_cbranch_execz .LBB99_99
; %bb.98:
	ds_write_b16 v29, v36
	ds_write_b16 v30, v35 offset:512
	ds_write_b8 v28, v38 offset:4096
	ds_write_b8 v28, v37 offset:4352
.LBB99_99:
	s_or_b64 exec, exec, s[0:1]
	s_waitcnt lgkmcnt(0)
	s_barrier
	ds_read_u16 v36, v27 offset:256
	ds_read_u16 v35, v26
	ds_read_u8 v37, v25 offset:4096
	ds_read_u8 v38, v25 offset:4224
	s_waitcnt lgkmcnt(3)
	v_lshlrev_b32_e32 v39, 16, v36
	s_waitcnt lgkmcnt(2)
	v_lshlrev_b32_e32 v40, 16, v35
	;; [unrolled: 30-line block ×8, first 2 shown]
	v_cmp_lt_f32_e32 vcc, v40, v39
	s_waitcnt lgkmcnt(1)
	v_and_b32_e32 v39, 1, v37
	v_cmp_eq_u32_e64 s[0:1], 1, v39
	s_waitcnt lgkmcnt(0)
	v_cmp_ne_u16_e64 s[2:3], v38, v34
	v_cndmask_b32_e64 v39, 0, 1, s[2:3]
	s_and_b64 vcc, vcc, s[0:1]
	v_cndmask_b32_e32 v39, v39, v34, vcc
	v_and_b32_e32 v39, 1, v39
	v_cmp_eq_u32_e32 vcc, 1, v39
	s_and_saveexec_b64 s[0:1], vcc
	s_cbranch_execz .LBB99_113
; %bb.112:
	ds_write_b16 v7, v36
	ds_write_b16 v8, v35 offset:4
	ds_write_b8 v6, v38 offset:4096
	ds_write_b8 v6, v37 offset:4098
.LBB99_113:
	s_or_b64 exec, exec, s[0:1]
	s_waitcnt lgkmcnt(0)
	s_barrier
	ds_read_b32 v35, v3
	ds_read_u8 v36, v4 offset:4096
	ds_read_u8 v37, v4 offset:4097
	s_waitcnt lgkmcnt(2)
	v_and_b32_e32 v38, 0xffff0000, v35
	v_lshlrev_b32_e32 v39, 16, v35
	v_cmp_lt_f32_e32 vcc, v39, v38
	s_waitcnt lgkmcnt(1)
	v_and_b32_e32 v38, 1, v36
	v_cmp_eq_u32_e64 s[0:1], 1, v38
	s_waitcnt lgkmcnt(0)
	v_cmp_ne_u16_e64 s[2:3], v37, v34
	v_cndmask_b32_e64 v38, 0, 1, s[2:3]
	s_and_b64 vcc, vcc, s[0:1]
	v_cndmask_b32_e32 v34, v38, v34, vcc
	v_and_b32_e32 v34, 1, v34
	v_cmp_eq_u32_e32 vcc, 1, v34
	s_and_saveexec_b64 s[0:1], vcc
	s_cbranch_execz .LBB99_115
; %bb.114:
	v_alignbit_b32 v34, v35, v35, 16
	ds_write_b32 v3, v34
	ds_write_b8 v4, v37 offset:4096
	ds_write_b8 v4, v36 offset:4097
.LBB99_115:
	s_or_b64 exec, exec, s[0:1]
	s_waitcnt lgkmcnt(0)
	s_barrier
	ds_read_u16 v36, v12 offset:2048
	ds_read_u16 v35, v12
	ds_read_u8 v37, v2 offset:4096
	ds_read_u8 v38, v2 offset:5120
	s_waitcnt lgkmcnt(3)
	v_lshlrev_b32_e32 v34, 16, v36
	s_waitcnt lgkmcnt(2)
	v_lshlrev_b32_e32 v39, 16, v35
	v_cmp_nlt_f32_e32 vcc, v39, v34
	s_waitcnt lgkmcnt(1)
	v_and_b32_e32 v34, 1, v37
	v_cmp_eq_u32_e64 s[0:1], 1, v34
	s_xor_b64 s[0:1], s[0:1], -1
	v_mov_b32_e32 v34, 0
	s_or_b64 s[0:1], vcc, s[0:1]
	s_waitcnt lgkmcnt(0)
	v_cmp_ne_u16_sdwa s[2:3], v38, v34 src0_sel:BYTE_0 src1_sel:DWORD
	s_and_b64 s[2:3], s[0:1], s[2:3]
	s_and_saveexec_b64 s[0:1], s[2:3]
	s_cbranch_execz .LBB99_117
; %bb.116:
	ds_write_b16 v12, v36
	ds_write_b16 v12, v35 offset:2048
	v_mov_b32_e32 v12, 1
	ds_write_b8 v2, v12 offset:4096
	ds_write_b8 v2, v37 offset:5120
.LBB99_117:
	s_or_b64 exec, exec, s[0:1]
	s_waitcnt lgkmcnt(0)
	s_barrier
	ds_read_u16 v35, v33 offset:1024
	ds_read_u16 v12, v32
	ds_read_u8 v36, v31 offset:4096
	ds_read_u8 v37, v31 offset:4608
	s_waitcnt lgkmcnt(3)
	v_lshlrev_b32_e32 v38, 16, v35
	s_waitcnt lgkmcnt(2)
	v_lshlrev_b32_e32 v39, 16, v12
	v_cmp_nlt_f32_e32 vcc, v39, v38
	s_waitcnt lgkmcnt(1)
	v_and_b32_e32 v38, 1, v36
	v_cmp_eq_u32_e64 s[0:1], 1, v38
	s_xor_b64 s[0:1], s[0:1], -1
	s_or_b64 s[0:1], vcc, s[0:1]
	s_waitcnt lgkmcnt(0)
	v_cmp_ne_u16_sdwa s[2:3], v37, v34 src0_sel:BYTE_0 src1_sel:DWORD
	s_and_b64 s[2:3], s[0:1], s[2:3]
	s_and_saveexec_b64 s[0:1], s[2:3]
	s_cbranch_execz .LBB99_119
; %bb.118:
	ds_write_b16 v32, v35
	ds_write_b16 v33, v12 offset:1024
	v_mov_b32_e32 v12, 1
	ds_write_b8 v31, v12 offset:4096
	ds_write_b8 v31, v36 offset:4608
.LBB99_119:
	s_or_b64 exec, exec, s[0:1]
	s_waitcnt lgkmcnt(0)
	s_barrier
	ds_read_u16 v32, v30 offset:512
	ds_read_u16 v31, v29
	ds_read_u8 v33, v28 offset:4096
	ds_read_u8 v34, v28 offset:4352
	s_waitcnt lgkmcnt(3)
	v_lshlrev_b32_e32 v12, 16, v32
	s_waitcnt lgkmcnt(2)
	v_lshlrev_b32_e32 v35, 16, v31
	v_cmp_nlt_f32_e32 vcc, v35, v12
	s_waitcnt lgkmcnt(1)
	v_and_b32_e32 v12, 1, v33
	v_cmp_eq_u32_e64 s[0:1], 1, v12
	s_xor_b64 s[0:1], s[0:1], -1
	v_mov_b32_e32 v12, 0
	s_or_b64 s[0:1], vcc, s[0:1]
	s_waitcnt lgkmcnt(0)
	v_cmp_ne_u16_sdwa s[2:3], v34, v12 src0_sel:BYTE_0 src1_sel:DWORD
	s_and_b64 s[2:3], s[0:1], s[2:3]
	s_and_saveexec_b64 s[0:1], s[2:3]
	s_cbranch_execz .LBB99_121
; %bb.120:
	ds_write_b16 v29, v32
	ds_write_b16 v30, v31 offset:512
	v_mov_b32_e32 v29, 1
	ds_write_b8 v28, v29 offset:4096
	ds_write_b8 v28, v33 offset:4352
.LBB99_121:
	s_or_b64 exec, exec, s[0:1]
	s_waitcnt lgkmcnt(0)
	s_barrier
	ds_read_u16 v29, v27 offset:256
	ds_read_u16 v28, v26
	ds_read_u8 v30, v25 offset:4096
	ds_read_u8 v31, v25 offset:4224
	s_waitcnt lgkmcnt(3)
	v_lshlrev_b32_e32 v32, 16, v29
	s_waitcnt lgkmcnt(2)
	v_lshlrev_b32_e32 v33, 16, v28
	v_cmp_nlt_f32_e32 vcc, v33, v32
	s_waitcnt lgkmcnt(1)
	v_and_b32_e32 v32, 1, v30
	v_cmp_eq_u32_e64 s[0:1], 1, v32
	s_xor_b64 s[0:1], s[0:1], -1
	s_or_b64 s[0:1], vcc, s[0:1]
	s_waitcnt lgkmcnt(0)
	v_cmp_ne_u16_sdwa s[2:3], v31, v12 src0_sel:BYTE_0 src1_sel:DWORD
	s_and_b64 s[2:3], s[0:1], s[2:3]
	s_and_saveexec_b64 s[0:1], s[2:3]
	s_cbranch_execz .LBB99_123
; %bb.122:
	v_mov_b32_e32 v12, 1
	ds_write_b16 v26, v29
	ds_write_b16 v27, v28 offset:256
	ds_write_b8 v25, v12 offset:4096
	ds_write_b8 v25, v30 offset:4224
.LBB99_123:
	s_or_b64 exec, exec, s[0:1]
	s_waitcnt lgkmcnt(0)
	s_barrier
	ds_read_u16 v26, v24 offset:128
	ds_read_u16 v25, v23
	ds_read_u8 v27, v22 offset:4096
	ds_read_u8 v28, v22 offset:4160
	s_waitcnt lgkmcnt(3)
	v_lshlrev_b32_e32 v12, 16, v26
	s_waitcnt lgkmcnt(2)
	v_lshlrev_b32_e32 v29, 16, v25
	v_cmp_nlt_f32_e32 vcc, v29, v12
	s_waitcnt lgkmcnt(1)
	v_and_b32_e32 v12, 1, v27
	v_cmp_eq_u32_e64 s[0:1], 1, v12
	s_xor_b64 s[0:1], s[0:1], -1
	v_mov_b32_e32 v12, 0
	s_or_b64 s[0:1], vcc, s[0:1]
	s_waitcnt lgkmcnt(0)
	v_cmp_ne_u16_sdwa s[2:3], v28, v12 src0_sel:BYTE_0 src1_sel:DWORD
	s_and_b64 s[2:3], s[0:1], s[2:3]
	s_and_saveexec_b64 s[0:1], s[2:3]
	s_cbranch_execz .LBB99_125
; %bb.124:
	ds_write_b16 v23, v26
	ds_write_b16 v24, v25 offset:128
	v_mov_b32_e32 v23, 1
	ds_write_b8 v22, v23 offset:4096
	ds_write_b8 v22, v27 offset:4160
.LBB99_125:
	s_or_b64 exec, exec, s[0:1]
	s_waitcnt lgkmcnt(0)
	s_barrier
	ds_read_u16 v23, v21 offset:64
	ds_read_u16 v22, v20
	ds_read_u8 v24, v19 offset:4096
	ds_read_u8 v25, v19 offset:4128
	s_waitcnt lgkmcnt(3)
	v_lshlrev_b32_e32 v26, 16, v23
	s_waitcnt lgkmcnt(2)
	v_lshlrev_b32_e32 v27, 16, v22
	v_cmp_nlt_f32_e32 vcc, v27, v26
	s_waitcnt lgkmcnt(1)
	v_and_b32_e32 v26, 1, v24
	v_cmp_eq_u32_e64 s[0:1], 1, v26
	s_xor_b64 s[0:1], s[0:1], -1
	s_or_b64 s[0:1], vcc, s[0:1]
	s_waitcnt lgkmcnt(0)
	v_cmp_ne_u16_sdwa s[2:3], v25, v12 src0_sel:BYTE_0 src1_sel:DWORD
	s_and_b64 s[2:3], s[0:1], s[2:3]
	s_and_saveexec_b64 s[0:1], s[2:3]
	s_cbranch_execz .LBB99_127
; %bb.126:
	v_mov_b32_e32 v12, 1
	ds_write_b16 v20, v23
	ds_write_b16 v21, v22 offset:64
	ds_write_b8 v19, v12 offset:4096
	ds_write_b8 v19, v24 offset:4128
.LBB99_127:
	;; [unrolled: 59-line block ×3, first 2 shown]
	s_or_b64 exec, exec, s[0:1]
	s_waitcnt lgkmcnt(0)
	s_barrier
	ds_read_u16 v14, v11 offset:8
	ds_read_u16 v13, v10
	ds_read_u8 v15, v9 offset:4096
	ds_read_u8 v16, v9 offset:4100
	s_waitcnt lgkmcnt(3)
	v_lshlrev_b32_e32 v12, 16, v14
	s_waitcnt lgkmcnt(2)
	v_lshlrev_b32_e32 v17, 16, v13
	v_cmp_nlt_f32_e32 vcc, v17, v12
	s_waitcnt lgkmcnt(1)
	v_and_b32_e32 v12, 1, v15
	v_cmp_eq_u32_e64 s[0:1], 1, v12
	s_xor_b64 s[0:1], s[0:1], -1
	v_mov_b32_e32 v12, 0
	s_or_b64 s[0:1], vcc, s[0:1]
	s_waitcnt lgkmcnt(0)
	v_cmp_ne_u16_sdwa s[2:3], v16, v12 src0_sel:BYTE_0 src1_sel:DWORD
	s_and_b64 s[2:3], s[0:1], s[2:3]
	s_and_saveexec_b64 s[0:1], s[2:3]
	s_cbranch_execz .LBB99_133
; %bb.132:
	ds_write_b16 v10, v14
	ds_write_b16 v11, v13 offset:8
	v_mov_b32_e32 v10, 1
	ds_write_b8 v9, v10 offset:4096
	ds_write_b8 v9, v15 offset:4100
.LBB99_133:
	s_or_b64 exec, exec, s[0:1]
	s_waitcnt lgkmcnt(0)
	s_barrier
	ds_read_u16 v10, v8 offset:4
	ds_read_u16 v9, v7
	ds_read_u8 v11, v6 offset:4096
	ds_read_u8 v13, v6 offset:4098
	s_waitcnt lgkmcnt(3)
	v_lshlrev_b32_e32 v14, 16, v10
	s_waitcnt lgkmcnt(2)
	v_lshlrev_b32_e32 v15, 16, v9
	v_cmp_nlt_f32_e32 vcc, v15, v14
	s_waitcnt lgkmcnt(1)
	v_and_b32_e32 v14, 1, v11
	v_cmp_eq_u32_e64 s[0:1], 1, v14
	s_xor_b64 s[0:1], s[0:1], -1
	s_or_b64 s[0:1], vcc, s[0:1]
	s_waitcnt lgkmcnt(0)
	v_cmp_ne_u16_sdwa s[2:3], v13, v12 src0_sel:BYTE_0 src1_sel:DWORD
	s_and_b64 s[2:3], s[0:1], s[2:3]
	s_and_saveexec_b64 s[0:1], s[2:3]
	s_cbranch_execz .LBB99_135
; %bb.134:
	ds_write_b16 v7, v10
	ds_write_b16 v8, v9 offset:4
	v_mov_b32_e32 v7, 1
	ds_write_b8 v6, v7 offset:4096
	ds_write_b8 v6, v11 offset:4098
.LBB99_135:
	s_or_b64 exec, exec, s[0:1]
	s_waitcnt lgkmcnt(0)
	s_barrier
	ds_read_b32 v6, v3
	ds_read_u8 v7, v4 offset:4096
	ds_read_u8 v8, v4 offset:4097
	s_waitcnt lgkmcnt(2)
	v_and_b32_e32 v9, 0xffff0000, v6
	v_lshlrev_b32_e32 v10, 16, v6
	v_cmp_nlt_f32_e32 vcc, v10, v9
	s_waitcnt lgkmcnt(1)
	v_and_b32_e32 v9, 1, v7
	v_cmp_eq_u32_e64 s[0:1], 1, v9
	s_xor_b64 s[0:1], s[0:1], -1
	v_mov_b32_e32 v9, 0
	s_or_b64 s[0:1], vcc, s[0:1]
	s_waitcnt lgkmcnt(0)
	v_cmp_ne_u16_sdwa s[2:3], v8, v9 src0_sel:BYTE_0 src1_sel:DWORD
	s_and_b64 s[2:3], s[0:1], s[2:3]
	s_and_saveexec_b64 s[0:1], s[2:3]
	s_cbranch_execz .LBB99_137
; %bb.136:
	v_alignbit_b32 v6, v6, v6, 16
	ds_write_b32 v3, v6
	v_mov_b32_e32 v6, 1
	ds_write_b8 v4, v6 offset:4096
	ds_write_b8 v4, v7 offset:4097
.LBB99_137:
	s_or_b64 exec, exec, s[0:1]
	v_cmp_eq_u32_e32 vcc, 0, v0
	s_waitcnt lgkmcnt(0)
	s_barrier
	s_barrier
	s_and_saveexec_b64 s[0:1], vcc
	s_cbranch_execz .LBB99_139
; %bb.138:
	v_mov_b32_e32 v4, 1
	v_mov_b32_e32 v6, 2
	ds_write_b8 v6, v4 offset:4100
	v_mov_b32_e32 v4, 0
	ds_write_b32 v6, v4 offset:4096
.LBB99_139:
	s_or_b64 exec, exec, s[0:1]
	ds_read_b32 v3, v3
	v_mad_u32_u24 v7, v0, 15, v2
	v_mul_u32_u24_e32 v4, 15, v0
	s_waitcnt lgkmcnt(0)
	v_and_b32_e32 v6, 0xffff0000, v3
	v_lshlrev_b32_e32 v3, 16, v3
	v_cmp_neq_f32_e64 s[0:1], v3, v6
	v_cndmask_b32_e64 v8, 0, 1, s[0:1]
	v_cmp_eq_f32_e64 s[0:1], v3, v6
	v_cndmask_b32_e64 v3, 0, 1, s[0:1]
	s_movk_i32 s0, 0x3ff
	ds_write_b32 v7, v3 offset:4104
	v_cmp_ne_u32_e64 s[2:3], s0, v0
	v_mov_b32_e32 v3, 0x800
	ds_write_b8 v7, v8 offset:4108
	s_and_saveexec_b64 s[6:7], s[2:3]
	s_cbranch_execz .LBB99_141
; %bb.140:
	v_lshl_add_u32 v7, v1, 1, 2
	ds_read_u16 v8, v7 offset:4
	v_add_u32_e32 v3, 2, v1
	v_mad_u32_u24 v7, v0, 12, v7
	s_waitcnt lgkmcnt(0)
	v_lshlrev_b32_e32 v8, 16, v8
	v_cmp_neq_f32_e64 s[0:1], v6, v8
	v_cndmask_b32_e64 v9, 0, 1, s[0:1]
	v_cmp_eq_f32_e64 s[0:1], v6, v8
	v_cndmask_b32_e64 v6, 0, 1, s[0:1]
	ds_write_b8 v7, v9 offset:4116
	ds_write_b32 v7, v6 offset:4112
.LBB99_141:
	s_or_b64 exec, exec, s[6:7]
	v_add_u32_e32 v2, v2, v4
	s_waitcnt lgkmcnt(0)
	s_barrier
	ds_read_u8 v4, v2 offset:4108
	v_add_u32_e32 v6, 0x1000, v2
	ds_read2_b32 v[6:7], v6 offset1:2
	ds_read_u8 v8, v2 offset:4100
	v_add_u32_e32 v9, 0x1008, v2
	s_waitcnt lgkmcnt(2)
	v_and_b32_e32 v10, 1, v4
	v_cmp_eq_u32_e64 s[0:1], 1, v10
	s_waitcnt lgkmcnt(1)
	v_cndmask_b32_e64 v6, v6, 0, s[0:1]
	s_waitcnt lgkmcnt(0)
	v_or_b32_e32 v4, v8, v4
	v_add_u32_e32 v6, v6, v7
	v_and_b32_e32 v4, 1, v4
	ds_write2_b32 v9, v6, v4 offset1:1
	v_lshlrev_b32_e32 v4, 1, v3
	s_movk_i32 s0, 0x200
	v_cmp_gt_u32_e64 s[0:1], s0, v0
	v_lshl_add_u32 v4, v4, 3, 2
	s_waitcnt lgkmcnt(0)
	s_barrier
	s_and_saveexec_b64 s[6:7], s[0:1]
	s_cbranch_execz .LBB99_143
; %bb.142:
	ds_read_u8 v8, v4 offset:4092
	v_add_u32_e32 v6, 0xc00, v4
	ds_read2_b32 v[6:7], v6 offset0:250 offset1:254
	ds_read_u8 v9, v4 offset:4076
	v_add_u32_e32 v10, 0xff8, v4
	s_waitcnt lgkmcnt(2)
	v_and_b32_e32 v11, 1, v8
	v_cmp_eq_u32_e64 s[0:1], 1, v11
	s_waitcnt lgkmcnt(1)
	v_cndmask_b32_e64 v6, v6, 0, s[0:1]
	v_add_u32_e32 v6, v6, v7
	s_waitcnt lgkmcnt(0)
	v_or_b32_e32 v7, v9, v8
	v_and_b32_e32 v7, 1, v7
	ds_write2_b32 v10, v6, v7 offset1:1
.LBB99_143:
	s_or_b64 exec, exec, s[6:7]
	v_lshlrev_b32_e32 v6, 2, v3
	s_movk_i32 s0, 0x100
	v_cmp_gt_u32_e64 s[0:1], s0, v0
	v_lshl_add_u32 v6, v6, 3, 2
	s_waitcnt lgkmcnt(0)
	s_barrier
	s_and_saveexec_b64 s[6:7], s[0:1]
	s_cbranch_execz .LBB99_145
; %bb.144:
	ds_read_u8 v9, v6 offset:4092
	v_add_u32_e32 v7, 0xc00, v6
	ds_read2_b32 v[7:8], v7 offset0:246 offset1:254
	ds_read_u8 v10, v6 offset:4060
	v_add_u32_e32 v11, 0xff8, v6
	s_waitcnt lgkmcnt(2)
	v_and_b32_e32 v12, 1, v9
	v_cmp_eq_u32_e64 s[0:1], 1, v12
	s_waitcnt lgkmcnt(1)
	v_cndmask_b32_e64 v7, v7, 0, s[0:1]
	v_add_u32_e32 v7, v7, v8
	s_waitcnt lgkmcnt(0)
	v_or_b32_e32 v8, v10, v9
	v_and_b32_e32 v8, 1, v8
	ds_write2_b32 v11, v7, v8 offset1:1
.LBB99_145:
	s_or_b64 exec, exec, s[6:7]
	v_lshlrev_b32_e32 v7, 3, v3
	s_movk_i32 s0, 0x80
	v_cmp_gt_u32_e64 s[0:1], s0, v0
	v_lshl_add_u32 v7, v7, 3, 2
	s_waitcnt lgkmcnt(0)
	s_barrier
	s_and_saveexec_b64 s[6:7], s[0:1]
	s_cbranch_execz .LBB99_147
; %bb.146:
	ds_read_u8 v10, v7 offset:4092
	ds_read_u8 v12, v7 offset:4028
	v_add_u32_e32 v8, 0xc00, v7
	ds_read2_b32 v[8:9], v8 offset0:238 offset1:254
	v_add_u32_e32 v11, 0xff8, v7
	s_waitcnt lgkmcnt(2)
	v_and_b32_e32 v13, 1, v10
	v_cmp_eq_u32_e64 s[0:1], 1, v13
	s_waitcnt lgkmcnt(0)
	v_cndmask_b32_e64 v8, v8, 0, s[0:1]
	v_add_u32_e32 v8, v8, v9
	v_or_b32_e32 v9, v12, v10
	v_and_b32_e32 v9, 1, v9
	ds_write2_b32 v11, v8, v9 offset1:1
.LBB99_147:
	s_or_b64 exec, exec, s[6:7]
	v_lshlrev_b32_e32 v8, 4, v3
	v_cmp_gt_u32_e64 s[0:1], 64, v0
	v_lshl_add_u32 v8, v8, 3, 2
	s_waitcnt lgkmcnt(0)
	s_barrier
	s_and_saveexec_b64 s[8:9], s[0:1]
	s_cbranch_execz .LBB99_149
; %bb.148:
	ds_read_u8 v11, v8 offset:4092
	ds_read_u8 v13, v8 offset:3964
	v_add_u32_e32 v9, 0xc00, v8
	ds_read2_b32 v[9:10], v9 offset0:222 offset1:254
	v_add_u32_e32 v12, 0xff8, v8
	s_waitcnt lgkmcnt(2)
	v_and_b32_e32 v14, 1, v11
	v_cmp_eq_u32_e64 s[6:7], 1, v14
	s_waitcnt lgkmcnt(0)
	v_cndmask_b32_e64 v9, v9, 0, s[6:7]
	v_add_u32_e32 v9, v9, v10
	v_or_b32_e32 v10, v13, v11
	v_and_b32_e32 v10, 1, v10
	ds_write2_b32 v12, v9, v10 offset1:1
.LBB99_149:
	s_or_b64 exec, exec, s[8:9]
	v_lshlrev_b32_e32 v9, 5, v3
	v_cmp_gt_u32_e64 s[6:7], 32, v0
	v_lshl_add_u32 v9, v9, 3, 2
	s_waitcnt lgkmcnt(0)
	s_barrier
	s_and_saveexec_b64 s[8:9], s[6:7]
	s_cbranch_execz .LBB99_151
; %bb.150:
	ds_read_u8 v12, v9 offset:4092
	ds_read_u8 v14, v9 offset:3836
	v_add_u32_e32 v10, 0xf8, v9
	ds_read2st64_b32 v[10:11], v10 offset0:14 offset1:15
	v_add_u32_e32 v13, 0xff8, v9
	s_waitcnt lgkmcnt(2)
	v_and_b32_e32 v15, 1, v12
	v_cmp_eq_u32_e64 s[6:7], 1, v15
	s_waitcnt lgkmcnt(0)
	v_cndmask_b32_e64 v10, v10, 0, s[6:7]
	v_add_u32_e32 v10, v10, v11
	v_or_b32_e32 v11, v14, v12
	v_and_b32_e32 v11, 1, v11
	ds_write2_b32 v13, v10, v11 offset1:1
.LBB99_151:
	s_or_b64 exec, exec, s[8:9]
	v_lshlrev_b32_e32 v10, 6, v3
	v_cmp_gt_u32_e64 s[6:7], 16, v0
	v_lshl_add_u32 v10, v10, 3, 2
	s_waitcnt lgkmcnt(0)
	s_barrier
	s_and_saveexec_b64 s[8:9], s[6:7]
	s_cbranch_execz .LBB99_153
; %bb.152:
	ds_read_u8 v13, v10 offset:4092
	ds_read_u8 v15, v10 offset:3580
	v_add_u32_e32 v11, 0xf8, v10
	ds_read2st64_b32 v[11:12], v11 offset0:13 offset1:15
	v_add_u32_e32 v14, 0xff8, v10
	s_waitcnt lgkmcnt(2)
	v_and_b32_e32 v16, 1, v13
	v_cmp_eq_u32_e64 s[6:7], 1, v16
	s_waitcnt lgkmcnt(0)
	v_cndmask_b32_e64 v11, v11, 0, s[6:7]
	v_add_u32_e32 v11, v11, v12
	v_or_b32_e32 v12, v15, v13
	v_and_b32_e32 v12, 1, v12
	ds_write2_b32 v14, v11, v12 offset1:1
.LBB99_153:
	;; [unrolled: 24-line block ×4, first 2 shown]
	s_or_b64 exec, exec, s[8:9]
	v_lshlrev_b32_e32 v13, 9, v3
	v_cmp_gt_u32_e64 s[6:7], 2, v0
	v_lshl_add_u32 v13, v13, 3, 2
	s_waitcnt lgkmcnt(0)
	s_barrier
	s_and_saveexec_b64 s[8:9], s[6:7]
	s_cbranch_execz .LBB99_159
; %bb.158:
	ds_read_u8 v16, v13 offset:4092
	v_add_u32_e32 v15, -8, v13
	v_add_u32_e32 v17, -4, v13
	ds_read_b32 v15, v15
	ds_read_b32 v18, v13 offset:4088
	ds_read_u8 v17, v17
	v_add_u32_e32 v14, 0xff8, v13
	s_waitcnt lgkmcnt(3)
	v_and_b32_e32 v19, 1, v16
	v_cmp_eq_u32_e64 s[6:7], 1, v19
	s_waitcnt lgkmcnt(2)
	v_cndmask_b32_e64 v15, v15, 0, s[6:7]
	s_waitcnt lgkmcnt(0)
	v_or_b32_e32 v16, v17, v16
	v_add_u32_e32 v15, v15, v18
	v_and_b32_e32 v16, 1, v16
	ds_write2_b32 v14, v15, v16 offset1:1
.LBB99_159:
	s_or_b64 exec, exec, s[8:9]
	s_waitcnt lgkmcnt(0)
	s_barrier
	s_and_saveexec_b64 s[8:9], vcc
	s_cbranch_execz .LBB99_161
; %bb.160:
	v_mov_b32_e32 v14, 2
	ds_read_u8 v15, v14 offset:20476
	ds_read_b32 v16, v14 offset:12280
	ds_read_b32 v17, v14 offset:20472
	ds_read_u8 v14, v14 offset:12284
	s_add_i32 s10, 2, 0x4ff8
	s_waitcnt lgkmcnt(3)
	v_and_b32_e32 v18, 1, v15
	v_cmp_eq_u32_e64 s[6:7], 1, v18
	s_waitcnt lgkmcnt(2)
	v_cndmask_b32_e64 v16, v16, 0, s[6:7]
	s_waitcnt lgkmcnt(0)
	v_or_b32_e32 v14, v14, v15
	v_add_u32_e32 v16, v16, v17
	v_and_b32_e32 v14, 1, v14
	v_mov_b32_e32 v15, s10
	ds_write2_b32 v15, v16, v14 offset1:1
.LBB99_161:
	s_or_b64 exec, exec, s[8:9]
	s_waitcnt lgkmcnt(0)
	s_barrier
	s_and_saveexec_b64 s[8:9], vcc
	s_cbranch_execz .LBB99_163
; %bb.162:
	ds_read_u8 v16, v13 offset:8188
	v_add_u32_e32 v14, 0xf8, v13
	ds_read2st64_b32 v[14:15], v14 offset0:15 offset1:31
	v_add_u32_e32 v17, 0x1ff8, v13
	ds_read_u8 v13, v13 offset:4092
	s_waitcnt lgkmcnt(2)
	v_and_b32_e32 v18, 1, v16
	v_cmp_eq_u32_e64 s[6:7], 1, v18
	s_waitcnt lgkmcnt(1)
	v_cndmask_b32_e64 v14, v14, 0, s[6:7]
	v_add_u32_e32 v14, v14, v15
	s_waitcnt lgkmcnt(0)
	v_or_b32_e32 v13, v13, v16
	v_and_b32_e32 v13, 1, v13
	ds_write2_b32 v17, v14, v13 offset1:1
.LBB99_163:
	s_or_b64 exec, exec, s[8:9]
	v_cmp_gt_u32_e64 s[6:7], 3, v0
	s_waitcnt lgkmcnt(0)
	s_barrier
	s_and_saveexec_b64 s[8:9], s[6:7]
	s_cbranch_execz .LBB99_165
; %bb.164:
	ds_read_u8 v15, v12 offset:6140
	v_add_u32_e32 v13, 0xf8, v12
	ds_read2st64_b32 v[13:14], v13 offset0:15 offset1:23
	v_add_u32_e32 v16, 0x17f8, v12
	ds_read_u8 v12, v12 offset:4092
	s_waitcnt lgkmcnt(2)
	v_and_b32_e32 v17, 1, v15
	v_cmp_eq_u32_e64 s[6:7], 1, v17
	s_waitcnt lgkmcnt(1)
	v_cndmask_b32_e64 v13, v13, 0, s[6:7]
	v_add_u32_e32 v13, v13, v14
	s_waitcnt lgkmcnt(0)
	v_or_b32_e32 v12, v12, v15
	v_and_b32_e32 v12, 1, v12
	ds_write2_b32 v16, v13, v12 offset1:1
.LBB99_165:
	s_or_b64 exec, exec, s[8:9]
	v_cmp_gt_u32_e64 s[6:7], 7, v0
	s_waitcnt lgkmcnt(0)
	s_barrier
	s_and_saveexec_b64 s[8:9], s[6:7]
	;; [unrolled: 23-line block ×5, first 2 shown]
	s_cbranch_execz .LBB99_173
; %bb.172:
	ds_read_u8 v11, v8 offset:4220
	v_add_u32_e32 v9, 0xe00, v8
	ds_read2_b32 v[9:10], v9 offset0:126 offset1:158
	v_add_u32_e32 v12, 0x1078, v8
	ds_read_u8 v8, v8 offset:4092
	s_waitcnt lgkmcnt(2)
	v_and_b32_e32 v13, 1, v11
	v_cmp_eq_u32_e64 s[6:7], 1, v13
	s_waitcnt lgkmcnt(1)
	v_cndmask_b32_e64 v9, v9, 0, s[6:7]
	v_add_u32_e32 v9, v9, v10
	s_waitcnt lgkmcnt(0)
	v_or_b32_e32 v8, v8, v11
	v_and_b32_e32 v8, 1, v8
	ds_write2_b32 v12, v9, v8 offset1:1
.LBB99_173:
	s_or_b64 exec, exec, s[8:9]
	s_movk_i32 s6, 0x7f
	v_cmp_gt_u32_e64 s[6:7], s6, v0
	s_waitcnt lgkmcnt(0)
	s_barrier
	s_and_saveexec_b64 s[8:9], s[6:7]
	s_cbranch_execz .LBB99_175
; %bb.174:
	ds_read_u8 v10, v7 offset:4156
	v_add_u32_e32 v8, 0xe00, v7
	ds_read2_b32 v[8:9], v8 offset0:126 offset1:142
	v_add_u32_e32 v11, 0x1038, v7
	ds_read_u8 v7, v7 offset:4092
	s_waitcnt lgkmcnt(2)
	v_and_b32_e32 v12, 1, v10
	v_cmp_eq_u32_e64 s[6:7], 1, v12
	s_waitcnt lgkmcnt(1)
	v_cndmask_b32_e64 v8, v8, 0, s[6:7]
	v_add_u32_e32 v8, v8, v9
	s_waitcnt lgkmcnt(0)
	v_or_b32_e32 v7, v7, v10
	v_and_b32_e32 v7, 1, v7
	ds_write2_b32 v11, v8, v7 offset1:1
.LBB99_175:
	s_or_b64 exec, exec, s[8:9]
	s_movk_i32 s6, 0xff
	v_cmp_gt_u32_e64 s[6:7], s6, v0
	s_waitcnt lgkmcnt(0)
	s_barrier
	s_and_saveexec_b64 s[8:9], s[6:7]
	s_cbranch_execz .LBB99_177
; %bb.176:
	ds_read_u8 v9, v6 offset:4124
	v_add_u32_e32 v7, 0xe00, v6
	ds_read2_b32 v[7:8], v7 offset0:126 offset1:134
	ds_read_u8 v10, v6 offset:4092
	v_add_u32_e32 v6, 0x1018, v6
	s_waitcnt lgkmcnt(2)
	v_and_b32_e32 v11, 1, v9
	v_cmp_eq_u32_e64 s[6:7], 1, v11
	s_waitcnt lgkmcnt(1)
	v_cndmask_b32_e64 v7, v7, 0, s[6:7]
	v_add_u32_e32 v7, v7, v8
	s_waitcnt lgkmcnt(0)
	v_or_b32_e32 v8, v10, v9
	v_and_b32_e32 v8, 1, v8
	ds_write2_b32 v6, v7, v8 offset1:1
.LBB99_177:
	s_or_b64 exec, exec, s[8:9]
	s_movk_i32 s6, 0x1ff
	v_cmp_gt_u32_e64 s[6:7], s6, v0
	s_waitcnt lgkmcnt(0)
	s_barrier
	s_and_saveexec_b64 s[8:9], s[6:7]
	s_cbranch_execz .LBB99_179
; %bb.178:
	ds_read_u8 v8, v4 offset:4108
	v_add_u32_e32 v6, 0xe00, v4
	ds_read2_b32 v[6:7], v6 offset0:126 offset1:130
	ds_read_u8 v9, v4 offset:4092
	v_add_u32_e32 v4, 0x1008, v4
	s_waitcnt lgkmcnt(2)
	v_and_b32_e32 v10, 1, v8
	v_cmp_eq_u32_e64 s[6:7], 1, v10
	s_waitcnt lgkmcnt(1)
	v_cndmask_b32_e64 v6, v6, 0, s[6:7]
	v_add_u32_e32 v6, v6, v7
	s_waitcnt lgkmcnt(0)
	v_or_b32_e32 v7, v9, v8
	v_and_b32_e32 v7, 1, v7
	ds_write2_b32 v4, v6, v7 offset1:1
.LBB99_179:
	s_or_b64 exec, exec, s[8:9]
	s_waitcnt lgkmcnt(0)
	s_barrier
	s_and_saveexec_b64 s[6:7], s[2:3]
	s_cbranch_execz .LBB99_181
; %bb.180:
	v_lshl_add_u32 v3, v3, 3, 2
	ds_read_u8 v4, v3 offset:4100
	v_add_u32_e32 v6, 0x1000, v3
	ds_read_b32 v7, v2 offset:4104
	ds_read_b32 v3, v3 offset:4096
	ds_read_u8 v8, v2 offset:4108
	s_waitcnt lgkmcnt(3)
	v_and_b32_e32 v9, 1, v4
	v_cmp_eq_u32_e64 s[2:3], 1, v9
	s_waitcnt lgkmcnt(2)
	v_cndmask_b32_e64 v7, v7, 0, s[2:3]
	s_waitcnt lgkmcnt(0)
	v_or_b32_e32 v4, v8, v4
	v_add_u32_e32 v3, v7, v3
	v_and_b32_e32 v4, 1, v4
	ds_write2_b32 v6, v3, v4 offset1:1
.LBB99_181:
	s_or_b64 exec, exec, s[6:7]
	v_add_u32_e32 v2, 0x1000, v2
	s_waitcnt lgkmcnt(0)
	s_barrier
	ds_read2_b32 v[6:7], v2 offset1:2
	v_or_b32_e32 v3, 1, v1
	v_cmp_gt_u32_e64 s[2:3], s16, v1
	v_cmp_gt_u32_e64 s[6:7], s16, v3
	v_cndmask_b32_e64 v4, 0, v1, s[2:3]
	s_waitcnt lgkmcnt(0)
	v_cndmask_b32_e64 v2, 0, v6, s[2:3]
	v_mbcnt_lo_u32_b32 v6, -1, 0
	v_cndmask_b32_e64 v7, 0, v7, s[6:7]
	v_mbcnt_hi_u32_b32 v11, -1, v6
	v_mov_b32_e32 v6, 0x80
	v_cndmask_b32_e64 v8, 0, v3, s[6:7]
	v_max_u32_e32 v9, v7, v2
	v_lshl_or_b32 v6, v11, 2, v6
	v_cmp_gt_u32_e64 s[8:9], v7, v2
	ds_bpermute_b32 v10, v6, v9
	v_cndmask_b32_e64 v2, v4, v8, s[8:9]
	ds_bpermute_b32 v4, v6, v2
	v_and_b32_e32 v12, 63, v11
	v_cmp_gt_u32_e64 s[8:9], 48, v12
	v_cndmask_b32_e64 v7, 0, 16, s[8:9]
	s_waitcnt lgkmcnt(1)
	v_max_u32_e32 v13, v10, v9
	v_add_lshl_u32 v7, v7, v11, 2
	v_cmp_gt_u32_e64 s[8:9], v10, v9
	ds_bpermute_b32 v14, v7, v13
	s_waitcnt lgkmcnt(1)
	v_cndmask_b32_e64 v2, v2, v4, s[8:9]
	ds_bpermute_b32 v4, v7, v2
	v_cmp_gt_u32_e64 s[8:9], 56, v12
	v_cndmask_b32_e64 v8, 0, 8, s[8:9]
	s_waitcnt lgkmcnt(1)
	v_max_u32_e32 v10, v14, v13
	v_add_lshl_u32 v8, v8, v11, 2
	v_cmp_gt_u32_e64 s[8:9], v14, v13
	ds_bpermute_b32 v15, v8, v10
	s_waitcnt lgkmcnt(1)
	v_cndmask_b32_e64 v2, v2, v4, s[8:9]
	ds_bpermute_b32 v4, v8, v2
	;; [unrolled: 10-line block ×4, first 2 shown]
	s_waitcnt lgkmcnt(0)
	s_barrier
	v_cmp_gt_u32_e64 s[8:9], v16, v15
	v_max_u32_e32 v2, v16, v15
	v_cndmask_b32_e64 v4, v4, v13, s[8:9]
	v_cmp_ne_u32_e64 s[8:9], 63, v12
	v_addc_co_u32_e64 v11, s[8:9], 0, v11, s[8:9]
	v_lshlrev_b32_e32 v11, 2, v11
	ds_bpermute_b32 v12, v11, v4
	ds_bpermute_b32 v13, v11, v2
	v_cmp_eq_u32_e64 s[8:9], 0, v5
	s_waitcnt lgkmcnt(0)
	s_barrier
	s_and_saveexec_b64 s[12:13], s[8:9]
	s_cbranch_execz .LBB99_183
; %bb.182:
	v_lshrrev_b32_e32 v14, 3, v0
	v_add_u32_e32 v14, 2, v14
	v_cmp_gt_u32_e64 s[10:11], v13, v2
	v_add_u32_e32 v14, 0x1000, v14
	v_cndmask_b32_e64 v4, v4, v12, s[10:11]
	v_max_u32_e32 v2, v13, v2
	ds_write2_b32 v14, v2, v4 offset1:1
.LBB99_183:
	s_or_b64 exec, exec, s[12:13]
	s_lshr_b32 s10, s18, 6
	v_cmp_gt_u32_e64 s[10:11], s10, v0
	v_lshl_add_u32 v12, v5, 3, 2
	v_mov_b32_e32 v2, 0
	v_mov_b32_e32 v4, 0
	s_waitcnt lgkmcnt(0)
	s_barrier
	s_and_saveexec_b64 s[12:13], s[10:11]
	s_cbranch_execnz .LBB99_198
; %bb.184:
	s_or_b64 exec, exec, s[12:13]
	s_and_saveexec_b64 s[12:13], s[10:11]
	s_cbranch_execnz .LBB99_199
.LBB99_185:
	s_or_b64 exec, exec, s[12:13]
	s_and_saveexec_b64 s[18:19], s[0:1]
	s_cbranch_execnz .LBB99_200
.LBB99_186:
	s_or_b64 exec, exec, s[18:19]
	s_and_saveexec_b64 s[12:13], vcc
	s_cbranch_execz .LBB99_188
.LBB99_187:
	s_waitcnt lgkmcnt(0)
	v_lshl_add_u32 v2, v2, 1, 2
	ds_read_u16 v2, v2
	v_mov_b32_e32 v4, 0
	s_waitcnt lgkmcnt(0)
	ds_write_b16 v4, v2
.LBB99_188:
	s_or_b64 exec, exec, s[12:13]
	s_waitcnt lgkmcnt(0)
	v_mov_b32_e32 v2, 0
	v_cmp_gt_i64_e64 s[12:13], s[16:17], v[1:2]
	v_mov_b32_e32 v13, 0
	s_barrier
	s_and_saveexec_b64 s[18:19], s[12:13]
	s_cbranch_execz .LBB99_190
; %bb.189:
	v_add_u32_e32 v13, s21, v1
	v_mov_b32_e32 v14, 0
	v_lshlrev_b64 v[15:16], 1, v[13:14]
	v_mov_b32_e32 v4, s15
	v_add_co_u32_e64 v15, s[12:13], s14, v15
	v_addc_co_u32_e64 v16, s[12:13], v4, v16, s[12:13]
	global_load_ushort v4, v[15:16], off
	ds_read_u16 v13, v14
	s_waitcnt lgkmcnt(0)
	v_lshlrev_b32_e32 v13, 16, v13
	s_waitcnt vmcnt(0)
	v_lshlrev_b32_e32 v4, 16, v4
	v_cmp_eq_f32_e64 s[12:13], v4, v13
	v_cndmask_b32_e64 v13, 0, v1, s[12:13]
.LBB99_190:
	s_or_b64 exec, exec, s[18:19]
	v_mov_b32_e32 v4, v2
	v_cmp_gt_i64_e64 s[12:13], s[16:17], v[3:4]
	s_and_saveexec_b64 s[16:17], s[12:13]
	s_cbranch_execz .LBB99_192
; %bb.191:
	v_add_u32_e32 v1, s21, v3
	v_mov_b32_e32 v2, 0
	v_lshlrev_b64 v[14:15], 1, v[1:2]
	v_mov_b32_e32 v1, s15
	v_add_co_u32_e64 v14, s[12:13], s14, v14
	v_addc_co_u32_e64 v15, s[12:13], v1, v15, s[12:13]
	global_load_ushort v1, v[14:15], off
	ds_read_u16 v2, v2
	s_waitcnt lgkmcnt(0)
	v_lshlrev_b32_e32 v2, 16, v2
	s_waitcnt vmcnt(0)
	v_lshlrev_b32_e32 v1, 16, v1
	v_cmp_eq_f32_e64 s[12:13], v1, v2
	v_cndmask_b32_e64 v2, 0, v3, s[12:13]
.LBB99_192:
	s_or_b64 exec, exec, s[16:17]
	v_cndmask_b32_e64 v1, 0, v13, s[2:3]
	v_max_u32_e32 v2, v2, v1
	v_cndmask_b32_e64 v1, v1, v2, s[6:7]
	ds_bpermute_b32 v2, v6, v1
	s_waitcnt lgkmcnt(0)
	s_barrier
	v_max_u32_e32 v1, v2, v1
	ds_bpermute_b32 v2, v7, v1
	s_waitcnt lgkmcnt(0)
	v_max_u32_e32 v1, v2, v1
	ds_bpermute_b32 v2, v8, v1
	s_waitcnt lgkmcnt(0)
	;; [unrolled: 3-line block ×4, first 2 shown]
	v_max_u32_e32 v1, v2, v1
	ds_bpermute_b32 v2, v11, v1
	s_and_saveexec_b64 s[2:3], s[8:9]
	s_cbranch_execz .LBB99_194
; %bb.193:
	v_lshrrev_b32_e32 v0, 4, v0
	v_add_u32_e32 v0, 2, v0
	s_waitcnt lgkmcnt(0)
	v_max_u32_e32 v1, v2, v1
	ds_write_b32 v0, v1
.LBB99_194:
	s_or_b64 exec, exec, s[2:3]
	v_mov_b32_e32 v0, 0
	s_waitcnt lgkmcnt(0)
	s_barrier
	s_and_saveexec_b64 s[2:3], s[10:11]
	s_cbranch_execnz .LBB99_201
; %bb.195:
	s_or_b64 exec, exec, s[2:3]
	s_and_saveexec_b64 s[2:3], s[0:1]
	s_cbranch_execnz .LBB99_202
.LBB99_196:
	s_or_b64 exec, exec, s[2:3]
	s_and_saveexec_b64 s[0:1], vcc
	s_cbranch_execnz .LBB99_203
.LBB99_197:
	s_endpgm
.LBB99_198:
	ds_read_b32 v4, v12 offset:4096
	s_or_b64 exec, exec, s[12:13]
	s_and_saveexec_b64 s[12:13], s[10:11]
	s_cbranch_execz .LBB99_185
.LBB99_199:
	ds_read_b32 v2, v12 offset:4100
	s_or_b64 exec, exec, s[12:13]
	s_and_saveexec_b64 s[18:19], s[0:1]
	s_cbranch_execz .LBB99_186
.LBB99_200:
	s_waitcnt lgkmcnt(0)
	ds_bpermute_b32 v13, v6, v4
	ds_bpermute_b32 v14, v6, v2
	s_waitcnt lgkmcnt(1)
	v_max_u32_e32 v15, v13, v4
	v_cmp_gt_u32_e64 s[12:13], v13, v4
	ds_bpermute_b32 v16, v7, v15
	s_waitcnt lgkmcnt(1)
	v_cndmask_b32_e64 v2, v2, v14, s[12:13]
	ds_bpermute_b32 v4, v7, v2
	s_waitcnt lgkmcnt(1)
	v_max_u32_e32 v13, v16, v15
	v_cmp_gt_u32_e64 s[12:13], v16, v15
	ds_bpermute_b32 v14, v8, v13
	s_waitcnt lgkmcnt(1)
	v_cndmask_b32_e64 v2, v2, v4, s[12:13]
	;; [unrolled: 7-line block ×4, first 2 shown]
	ds_bpermute_b32 v4, v10, v2
	s_waitcnt lgkmcnt(1)
	v_max_u32_e32 v15, v14, v13
	v_cmp_gt_u32_e64 s[12:13], v14, v13
	s_waitcnt lgkmcnt(0)
	v_cndmask_b32_e64 v2, v2, v4, s[12:13]
	ds_bpermute_b32 v4, v11, v15
	ds_bpermute_b32 v13, v11, v2
	s_waitcnt lgkmcnt(1)
	v_cmp_gt_u32_e64 s[12:13], v4, v15
	s_waitcnt lgkmcnt(0)
	v_cndmask_b32_e64 v2, v2, v13, s[12:13]
	s_or_b64 exec, exec, s[18:19]
	s_and_saveexec_b64 s[12:13], vcc
	s_cbranch_execnz .LBB99_187
	s_branch .LBB99_188
.LBB99_201:
	v_lshlrev_b32_e32 v0, 2, v5
	v_sub_u32_e32 v0, v12, v0
	ds_read_b32 v0, v0
	s_or_b64 exec, exec, s[2:3]
	s_and_saveexec_b64 s[2:3], s[0:1]
	s_cbranch_execz .LBB99_196
.LBB99_202:
	s_waitcnt lgkmcnt(0)
	ds_bpermute_b32 v1, v6, v0
	s_waitcnt lgkmcnt(0)
	v_max_u32_e32 v0, v1, v0
	ds_bpermute_b32 v1, v7, v0
	s_waitcnt lgkmcnt(0)
	v_max_u32_e32 v0, v1, v0
	;; [unrolled: 3-line block ×6, first 2 shown]
	s_or_b64 exec, exec, s[2:3]
	s_and_saveexec_b64 s[0:1], vcc
	s_cbranch_execz .LBB99_197
.LBB99_203:
	s_load_dword s2, s[4:5], 0xd8
	s_load_dwordx2 s[0:1], s[4:5], 0xe0
	s_add_u32 s4, s4, 8
	s_addc_u32 s5, s5, 0
	s_mov_b32 s3, 0
	s_waitcnt lgkmcnt(0)
	s_cmp_lt_i32 s2, 2
	s_cbranch_scc1 .LBB99_206
; %bb.204:
	s_add_i32 s8, s2, 1
	s_add_i32 s2, s2, -1
	s_lshl_b64 s[6:7], s[2:3], 2
	s_add_u32 s2, s4, s6
	s_addc_u32 s7, s5, s7
	s_add_u32 s6, s2, 8
	s_addc_u32 s7, s7, 0
.LBB99_205:                             ; =>This Inner Loop Header: Depth=1
	s_load_dword s2, s[6:7], 0x0
	s_load_dword s10, s[6:7], 0x64
	s_mov_b32 s9, s20
	s_waitcnt lgkmcnt(0)
	v_cvt_f32_u32_e32 v1, s2
	s_sub_i32 s11, 0, s2
	v_rcp_iflag_f32_e32 v1, v1
	v_mul_f32_e32 v1, 0x4f7ffffe, v1
	v_cvt_u32_f32_e32 v1, v1
	v_readfirstlane_b32 s12, v1
	s_mul_i32 s11, s11, s12
	s_mul_hi_u32 s11, s12, s11
	s_add_i32 s12, s12, s11
	s_mul_hi_u32 s11, s20, s12
	s_mul_i32 s12, s11, s2
	s_sub_i32 s12, s20, s12
	s_add_i32 s13, s11, 1
	s_sub_i32 s14, s12, s2
	s_cmp_ge_u32 s12, s2
	s_cselect_b32 s11, s13, s11
	s_cselect_b32 s12, s14, s12
	s_add_i32 s13, s11, 1
	s_cmp_ge_u32 s12, s2
	s_cselect_b32 s20, s13, s11
	s_mul_i32 s2, s20, s2
	s_sub_i32 s2, s9, s2
	s_mul_i32 s2, s10, s2
	s_add_i32 s8, s8, -1
	s_add_i32 s3, s2, s3
	s_add_u32 s6, s6, -4
	s_addc_u32 s7, s7, -1
	s_cmp_gt_u32 s8, 2
	s_cbranch_scc1 .LBB99_205
.LBB99_206:
	s_load_dword s2, s[4:5], 0x6c
	v_mov_b32_e32 v1, 0
	s_load_dwordx2 s[4:5], s[4:5], 0x0
	ds_read_u16 v2, v1
	s_mov_b32 s7, 0
	s_waitcnt lgkmcnt(0)
	s_mul_i32 s2, s2, s20
	s_add_i32 s6, s2, s3
	s_lshl_b64 s[2:3], s[6:7], 1
	s_add_u32 s2, s4, s2
	s_addc_u32 s3, s5, s3
	global_store_short v1, v2, s[2:3]
	s_lshl_b64 s[2:3], s[6:7], 3
	s_add_u32 s0, s0, s2
	s_addc_u32 s1, s1, s3
	global_store_dwordx2 v1, v[0:1], s[0:1]
	s_endpgm
	.section	.rodata,"a",@progbits
	.p2align	6, 0x0
	.amdhsa_kernel _ZN2at6native12compute_modeIN3c108BFloat16ELj2048EEEvPKT_NS_4cuda6detail10TensorInfoIS4_jEENS9_IljEEll
		.amdhsa_group_segment_fixed_size 2
		.amdhsa_private_segment_fixed_size 0
		.amdhsa_kernarg_size 712
		.amdhsa_user_sgpr_count 6
		.amdhsa_user_sgpr_private_segment_buffer 1
		.amdhsa_user_sgpr_dispatch_ptr 0
		.amdhsa_user_sgpr_queue_ptr 0
		.amdhsa_user_sgpr_kernarg_segment_ptr 1
		.amdhsa_user_sgpr_dispatch_id 0
		.amdhsa_user_sgpr_flat_scratch_init 0
		.amdhsa_user_sgpr_private_segment_size 0
		.amdhsa_uses_dynamic_stack 0
		.amdhsa_system_sgpr_private_segment_wavefront_offset 0
		.amdhsa_system_sgpr_workgroup_id_x 1
		.amdhsa_system_sgpr_workgroup_id_y 1
		.amdhsa_system_sgpr_workgroup_id_z 1
		.amdhsa_system_sgpr_workgroup_info 0
		.amdhsa_system_vgpr_workitem_id 0
		.amdhsa_next_free_vgpr 41
		.amdhsa_next_free_sgpr 22
		.amdhsa_reserve_vcc 1
		.amdhsa_reserve_flat_scratch 0
		.amdhsa_float_round_mode_32 0
		.amdhsa_float_round_mode_16_64 0
		.amdhsa_float_denorm_mode_32 3
		.amdhsa_float_denorm_mode_16_64 3
		.amdhsa_dx10_clamp 1
		.amdhsa_ieee_mode 1
		.amdhsa_fp16_overflow 0
		.amdhsa_exception_fp_ieee_invalid_op 0
		.amdhsa_exception_fp_denorm_src 0
		.amdhsa_exception_fp_ieee_div_zero 0
		.amdhsa_exception_fp_ieee_overflow 0
		.amdhsa_exception_fp_ieee_underflow 0
		.amdhsa_exception_fp_ieee_inexact 0
		.amdhsa_exception_int_div_zero 0
	.end_amdhsa_kernel
	.section	.text._ZN2at6native12compute_modeIN3c108BFloat16ELj2048EEEvPKT_NS_4cuda6detail10TensorInfoIS4_jEENS9_IljEEll,"axG",@progbits,_ZN2at6native12compute_modeIN3c108BFloat16ELj2048EEEvPKT_NS_4cuda6detail10TensorInfoIS4_jEENS9_IljEEll,comdat
.Lfunc_end99:
	.size	_ZN2at6native12compute_modeIN3c108BFloat16ELj2048EEEvPKT_NS_4cuda6detail10TensorInfoIS4_jEENS9_IljEEll, .Lfunc_end99-_ZN2at6native12compute_modeIN3c108BFloat16ELj2048EEEvPKT_NS_4cuda6detail10TensorInfoIS4_jEENS9_IljEEll
                                        ; -- End function
	.set _ZN2at6native12compute_modeIN3c108BFloat16ELj2048EEEvPKT_NS_4cuda6detail10TensorInfoIS4_jEENS9_IljEEll.num_vgpr, 41
	.set _ZN2at6native12compute_modeIN3c108BFloat16ELj2048EEEvPKT_NS_4cuda6detail10TensorInfoIS4_jEENS9_IljEEll.num_agpr, 0
	.set _ZN2at6native12compute_modeIN3c108BFloat16ELj2048EEEvPKT_NS_4cuda6detail10TensorInfoIS4_jEENS9_IljEEll.numbered_sgpr, 22
	.set _ZN2at6native12compute_modeIN3c108BFloat16ELj2048EEEvPKT_NS_4cuda6detail10TensorInfoIS4_jEENS9_IljEEll.num_named_barrier, 0
	.set _ZN2at6native12compute_modeIN3c108BFloat16ELj2048EEEvPKT_NS_4cuda6detail10TensorInfoIS4_jEENS9_IljEEll.private_seg_size, 0
	.set _ZN2at6native12compute_modeIN3c108BFloat16ELj2048EEEvPKT_NS_4cuda6detail10TensorInfoIS4_jEENS9_IljEEll.uses_vcc, 1
	.set _ZN2at6native12compute_modeIN3c108BFloat16ELj2048EEEvPKT_NS_4cuda6detail10TensorInfoIS4_jEENS9_IljEEll.uses_flat_scratch, 0
	.set _ZN2at6native12compute_modeIN3c108BFloat16ELj2048EEEvPKT_NS_4cuda6detail10TensorInfoIS4_jEENS9_IljEEll.has_dyn_sized_stack, 0
	.set _ZN2at6native12compute_modeIN3c108BFloat16ELj2048EEEvPKT_NS_4cuda6detail10TensorInfoIS4_jEENS9_IljEEll.has_recursion, 0
	.set _ZN2at6native12compute_modeIN3c108BFloat16ELj2048EEEvPKT_NS_4cuda6detail10TensorInfoIS4_jEENS9_IljEEll.has_indirect_call, 0
	.section	.AMDGPU.csdata,"",@progbits
; Kernel info:
; codeLenInByte = 15820
; TotalNumSgprs: 26
; NumVgprs: 41
; ScratchSize: 0
; MemoryBound: 0
; FloatMode: 240
; IeeeMode: 1
; LDSByteSize: 2 bytes/workgroup (compile time only)
; SGPRBlocks: 3
; VGPRBlocks: 10
; NumSGPRsForWavesPerEU: 26
; NumVGPRsForWavesPerEU: 41
; Occupancy: 5
; WaveLimiterHint : 1
; COMPUTE_PGM_RSRC2:SCRATCH_EN: 0
; COMPUTE_PGM_RSRC2:USER_SGPR: 6
; COMPUTE_PGM_RSRC2:TRAP_HANDLER: 0
; COMPUTE_PGM_RSRC2:TGID_X_EN: 1
; COMPUTE_PGM_RSRC2:TGID_Y_EN: 1
; COMPUTE_PGM_RSRC2:TGID_Z_EN: 1
; COMPUTE_PGM_RSRC2:TIDIG_COMP_CNT: 0
	.section	.text._ZN2at6native12compute_modeIN3c108BFloat16ELj1024EEEvPKT_NS_4cuda6detail10TensorInfoIS4_jEENS9_IljEEll,"axG",@progbits,_ZN2at6native12compute_modeIN3c108BFloat16ELj1024EEEvPKT_NS_4cuda6detail10TensorInfoIS4_jEENS9_IljEEll,comdat
	.protected	_ZN2at6native12compute_modeIN3c108BFloat16ELj1024EEEvPKT_NS_4cuda6detail10TensorInfoIS4_jEENS9_IljEEll ; -- Begin function _ZN2at6native12compute_modeIN3c108BFloat16ELj1024EEEvPKT_NS_4cuda6detail10TensorInfoIS4_jEENS9_IljEEll
	.globl	_ZN2at6native12compute_modeIN3c108BFloat16ELj1024EEEvPKT_NS_4cuda6detail10TensorInfoIS4_jEENS9_IljEEll
	.p2align	8
	.type	_ZN2at6native12compute_modeIN3c108BFloat16ELj1024EEEvPKT_NS_4cuda6detail10TensorInfoIS4_jEENS9_IljEEll,@function
_ZN2at6native12compute_modeIN3c108BFloat16ELj1024EEEvPKT_NS_4cuda6detail10TensorInfoIS4_jEENS9_IljEEll: ; @_ZN2at6native12compute_modeIN3c108BFloat16ELj1024EEEvPKT_NS_4cuda6detail10TensorInfoIS4_jEENS9_IljEEll
; %bb.0:
	s_load_dwordx2 s[2:3], s[4:5], 0x1c8
	s_load_dwordx4 s[16:19], s[4:5], 0x1b8
	s_add_u32 s0, s4, 0x1c8
	s_addc_u32 s1, s5, 0
	v_mov_b32_e32 v2, 0
	s_waitcnt lgkmcnt(0)
	s_mul_i32 s3, s3, s8
	s_add_i32 s3, s3, s7
	s_mul_i32 s2, s3, s2
	s_add_i32 s20, s2, s6
	v_mov_b32_e32 v1, s20
	v_cmp_le_i64_e32 vcc, s[18:19], v[1:2]
	s_cbranch_vccnz .LBB100_173
; %bb.1:
	s_load_dwordx2 s[14:15], s[4:5], 0x0
	s_load_dword s6, s[0:1], 0xc
	v_mov_b32_e32 v1, v2
	v_cmp_gt_i64_e32 vcc, s[16:17], v[0:1]
	s_mul_i32 s21, s20, s16
	s_and_saveexec_b64 s[2:3], vcc
	s_cbranch_execz .LBB100_3
; %bb.2:
	v_add_u32_e32 v1, s21, v0
	v_lshlrev_b64 v[3:4], 1, v[1:2]
	s_waitcnt lgkmcnt(0)
	v_mov_b32_e32 v1, s15
	v_add_co_u32_e64 v3, s[0:1], s14, v3
	v_addc_co_u32_e64 v4, s[0:1], v1, v4, s[0:1]
	global_load_ushort v1, v[3:4], off
	v_lshl_add_u32 v3, v0, 1, 2
	s_waitcnt vmcnt(0)
	ds_write_b16 v3, v1
.LBB100_3:
	s_or_b64 exec, exec, s[2:3]
	s_waitcnt lgkmcnt(0)
	s_and_b32 s18, 0xffff, s6
	v_add_u32_e32 v1, s18, v0
	v_cmp_gt_i64_e64 s[0:1], s[16:17], v[1:2]
	s_and_saveexec_b64 s[6:7], s[0:1]
	s_cbranch_execz .LBB100_5
; %bb.4:
	v_add_u32_e32 v2, s21, v1
	v_mov_b32_e32 v3, 0
	v_lshlrev_b64 v[2:3], 1, v[2:3]
	v_mov_b32_e32 v4, s15
	v_add_co_u32_e64 v2, s[2:3], s14, v2
	v_addc_co_u32_e64 v3, s[2:3], v4, v3, s[2:3]
	global_load_ushort v2, v[2:3], off
	v_lshl_add_u32 v1, v1, 1, 2
	s_waitcnt vmcnt(0)
	ds_write_b16 v1, v2
.LBB100_5:
	s_or_b64 exec, exec, s[6:7]
	v_add_u32_e32 v2, 2, v0
	v_cndmask_b32_e64 v1, 0, 1, vcc
	ds_write_b8 v2, v1 offset:2048
	v_add_u32_e32 v1, s18, v2
	v_cndmask_b32_e64 v3, 0, 1, s[0:1]
	v_mad_u32_u24 v2, v0, 3, v2
	ds_write_b8 v1, v3 offset:2048
	s_waitcnt lgkmcnt(0)
	s_barrier
	v_lshlrev_b32_e32 v1, 1, v0
	s_barrier
	ds_read_b32 v5, v2
	v_sub_u32_e32 v7, v2, v1
	ds_read_u8 v6, v7 offset:2048
	ds_read_u8 v7, v7 offset:2049
	v_and_b32_e32 v4, 1, v0
	v_sub_u32_e32 v3, 0, v1
	s_waitcnt lgkmcnt(2)
	v_and_b32_e32 v8, 0xffff0000, v5
	v_lshlrev_b32_e32 v9, 16, v5
	v_cmp_lt_f32_e32 vcc, v9, v8
	s_waitcnt lgkmcnt(1)
	v_and_b32_e32 v8, 1, v6
	v_cmp_eq_u32_e64 s[0:1], 1, v8
	s_waitcnt lgkmcnt(0)
	v_cmp_ne_u16_e64 s[2:3], v7, v4
	v_cndmask_b32_e64 v8, 0, 1, s[2:3]
	s_and_b64 vcc, vcc, s[0:1]
	v_cndmask_b32_e32 v8, v8, v0, vcc
	v_and_b32_e32 v8, 1, v8
	v_cmp_eq_u32_e32 vcc, 1, v8
	v_add_u32_e32 v3, v2, v3
	s_and_saveexec_b64 s[0:1], vcc
	s_cbranch_execz .LBB100_7
; %bb.6:
	v_alignbit_b32 v5, v5, v5, 16
	ds_write_b32 v2, v5
	ds_write_b8 v3, v7 offset:2048
	ds_write_b8 v3, v6 offset:2049
.LBB100_7:
	s_or_b64 exec, exec, s[0:1]
	v_sub_u32_e32 v7, v1, v4
	v_add_u32_e32 v4, 2, v7
	v_lshl_add_u32 v6, v7, 1, 2
	v_add_u32_e32 v7, v4, v7
	s_waitcnt lgkmcnt(0)
	s_barrier
	ds_read_u16 v9, v7 offset:4
	ds_read_u16 v8, v6
	ds_read_u8 v10, v4 offset:2048
	ds_read_u8 v11, v4 offset:2050
	v_bfe_u32 v12, v0, 1, 1
	v_and_b32_e32 v5, 2, v0
	s_waitcnt lgkmcnt(3)
	v_lshlrev_b32_e32 v13, 16, v9
	s_waitcnt lgkmcnt(2)
	v_lshlrev_b32_e32 v14, 16, v8
	v_cmp_lt_f32_e64 s[0:1], v14, v13
	s_waitcnt lgkmcnt(1)
	v_and_b32_e32 v13, 1, v10
	v_cmp_eq_u32_e64 s[2:3], 1, v13
	s_waitcnt lgkmcnt(0)
	v_cmp_ne_u16_e64 s[6:7], v11, v12
	v_cndmask_b32_e64 v13, 0, 1, s[6:7]
	s_and_b64 s[0:1], s[0:1], s[2:3]
	v_cndmask_b32_e64 v12, v13, v12, s[0:1]
	v_and_b32_e32 v12, 1, v12
	v_cmp_ne_u32_e32 vcc, 0, v5
	v_cmp_eq_u32_e64 s[0:1], 1, v12
	s_and_saveexec_b64 s[2:3], s[0:1]
	s_xor_b64 s[0:1], exec, s[2:3]
	s_cbranch_execz .LBB100_9
; %bb.8:
	ds_write_b16 v6, v9
	ds_write_b16 v7, v8 offset:4
	ds_write_b8 v4, v11 offset:2048
	ds_write_b8 v4, v10 offset:2050
.LBB100_9:
	s_or_b64 exec, exec, s[0:1]
	s_waitcnt lgkmcnt(0)
	s_barrier
	ds_read_b32 v8, v2
	v_lshrrev_b32_e32 v10, 1, v5
	ds_read_u8 v5, v3 offset:2048
	ds_read_u8 v9, v3 offset:2049
	s_waitcnt lgkmcnt(2)
	v_and_b32_e32 v11, 0xffff0000, v8
	v_lshlrev_b32_e32 v12, 16, v8
	v_cmp_lt_f32_e64 s[0:1], v12, v11
	s_waitcnt lgkmcnt(1)
	v_and_b32_e32 v11, 1, v5
	v_cmp_eq_u32_e64 s[2:3], 1, v11
	s_waitcnt lgkmcnt(0)
	v_cmp_ne_u16_e64 s[6:7], v9, v10
	v_cndmask_b32_e64 v10, 0, 1, s[6:7]
	v_cndmask_b32_e64 v11, 0, 1, vcc
	s_and_b64 vcc, s[0:1], s[2:3]
	v_cndmask_b32_e32 v10, v10, v11, vcc
	v_and_b32_e32 v10, 1, v10
	v_cmp_eq_u32_e32 vcc, 1, v10
	s_and_saveexec_b64 s[0:1], vcc
	s_cbranch_execz .LBB100_11
; %bb.10:
	v_alignbit_b32 v8, v8, v8, 16
	ds_write_b32 v2, v8
	ds_write_b8 v3, v9 offset:2048
	ds_write_b8 v3, v5 offset:2049
.LBB100_11:
	s_or_b64 exec, exec, s[0:1]
	v_and_b32_e32 v8, 3, v0
	v_sub_u32_e32 v10, v1, v8
	v_add_u32_e32 v8, 2, v10
	v_lshl_add_u32 v9, v10, 1, 2
	v_add_u32_e32 v10, v8, v10
	s_waitcnt lgkmcnt(0)
	s_barrier
	ds_read_u16 v12, v10 offset:8
	ds_read_u16 v11, v9
	ds_read_u8 v13, v8 offset:2048
	ds_read_u8 v14, v8 offset:2052
	v_bfe_u32 v15, v0, 2, 1
	v_and_b32_e32 v5, 4, v0
	s_waitcnt lgkmcnt(3)
	v_lshlrev_b32_e32 v16, 16, v12
	s_waitcnt lgkmcnt(2)
	v_lshlrev_b32_e32 v17, 16, v11
	v_cmp_lt_f32_e64 s[0:1], v17, v16
	s_waitcnt lgkmcnt(1)
	v_and_b32_e32 v16, 1, v13
	v_cmp_eq_u32_e64 s[2:3], 1, v16
	s_waitcnt lgkmcnt(0)
	v_cmp_ne_u16_e64 s[6:7], v14, v15
	v_cndmask_b32_e64 v16, 0, 1, s[6:7]
	s_and_b64 s[0:1], s[0:1], s[2:3]
	v_cndmask_b32_e64 v15, v16, v15, s[0:1]
	v_and_b32_e32 v15, 1, v15
	v_cmp_ne_u32_e32 vcc, 0, v5
	v_cmp_eq_u32_e64 s[0:1], 1, v15
	s_and_saveexec_b64 s[2:3], s[0:1]
	s_cbranch_execz .LBB100_13
; %bb.12:
	ds_write_b16 v9, v12
	ds_write_b16 v10, v11 offset:8
	ds_write_b8 v8, v14 offset:2048
	ds_write_b8 v8, v13 offset:2052
.LBB100_13:
	s_or_b64 exec, exec, s[2:3]
	s_waitcnt lgkmcnt(0)
	s_barrier
	ds_read_u16 v13, v7 offset:4
	ds_read_u16 v12, v6
	ds_read_u8 v14, v4 offset:2048
	ds_read_u8 v15, v4 offset:2050
	v_lshrrev_b32_e32 v5, 2, v5
	s_waitcnt lgkmcnt(3)
	v_lshlrev_b32_e32 v11, 16, v13
	s_waitcnt lgkmcnt(2)
	v_lshlrev_b32_e32 v16, 16, v12
	v_cmp_lt_f32_e64 s[0:1], v16, v11
	s_waitcnt lgkmcnt(1)
	v_and_b32_e32 v11, 1, v14
	v_cmp_eq_u32_e64 s[2:3], 1, v11
	s_waitcnt lgkmcnt(0)
	v_cmp_ne_u16_e64 s[6:7], v15, v5
	v_cndmask_b32_e64 v16, 0, 1, s[6:7]
	v_cndmask_b32_e64 v11, 0, 1, vcc
	s_and_b64 vcc, s[0:1], s[2:3]
	v_cndmask_b32_e32 v16, v16, v11, vcc
	v_and_b32_e32 v16, 1, v16
	v_cmp_eq_u32_e32 vcc, 1, v16
	s_and_saveexec_b64 s[0:1], vcc
	s_cbranch_execz .LBB100_15
; %bb.14:
	ds_write_b16 v6, v13
	ds_write_b16 v7, v12 offset:4
	ds_write_b8 v4, v15 offset:2048
	ds_write_b8 v4, v14 offset:2050
.LBB100_15:
	s_or_b64 exec, exec, s[0:1]
	s_waitcnt lgkmcnt(0)
	s_barrier
	ds_read_b32 v12, v2
	ds_read_u8 v13, v3 offset:2048
	ds_read_u8 v14, v3 offset:2049
	s_waitcnt lgkmcnt(2)
	v_and_b32_e32 v15, 0xffff0000, v12
	v_lshlrev_b32_e32 v16, 16, v12
	v_cmp_lt_f32_e32 vcc, v16, v15
	s_waitcnt lgkmcnt(1)
	v_and_b32_e32 v15, 1, v13
	v_cmp_eq_u32_e64 s[0:1], 1, v15
	s_waitcnt lgkmcnt(0)
	v_cmp_ne_u16_e64 s[2:3], v14, v5
	v_cndmask_b32_e64 v5, 0, 1, s[2:3]
	s_and_b64 vcc, vcc, s[0:1]
	v_cndmask_b32_e32 v5, v5, v11, vcc
	v_and_b32_e32 v5, 1, v5
	v_cmp_eq_u32_e32 vcc, 1, v5
	s_and_saveexec_b64 s[0:1], vcc
	s_cbranch_execz .LBB100_17
; %bb.16:
	v_alignbit_b32 v5, v12, v12, 16
	ds_write_b32 v2, v5
	ds_write_b8 v3, v14 offset:2048
	ds_write_b8 v3, v13 offset:2049
.LBB100_17:
	s_or_b64 exec, exec, s[0:1]
	v_and_b32_e32 v11, 7, v0
	v_sub_u32_e32 v13, v1, v11
	v_add_u32_e32 v11, 2, v13
	v_lshl_add_u32 v12, v13, 1, 2
	v_add_u32_e32 v13, v11, v13
	s_waitcnt lgkmcnt(0)
	s_barrier
	ds_read_u16 v15, v13 offset:16
	ds_read_u16 v14, v12
	ds_read_u8 v16, v11 offset:2048
	ds_read_u8 v17, v11 offset:2056
	v_bfe_u32 v18, v0, 3, 1
	v_and_b32_e32 v5, 8, v0
	s_waitcnt lgkmcnt(3)
	v_lshlrev_b32_e32 v19, 16, v15
	s_waitcnt lgkmcnt(2)
	v_lshlrev_b32_e32 v20, 16, v14
	v_cmp_lt_f32_e64 s[0:1], v20, v19
	s_waitcnt lgkmcnt(1)
	v_and_b32_e32 v19, 1, v16
	v_cmp_eq_u32_e64 s[2:3], 1, v19
	s_waitcnt lgkmcnt(0)
	v_cmp_ne_u16_e64 s[6:7], v17, v18
	v_cndmask_b32_e64 v19, 0, 1, s[6:7]
	s_and_b64 s[0:1], s[0:1], s[2:3]
	v_cndmask_b32_e64 v18, v19, v18, s[0:1]
	v_and_b32_e32 v18, 1, v18
	v_cmp_ne_u32_e32 vcc, 0, v5
	v_cmp_eq_u32_e64 s[0:1], 1, v18
	s_and_saveexec_b64 s[2:3], s[0:1]
	s_cbranch_execz .LBB100_19
; %bb.18:
	ds_write_b16 v12, v15
	ds_write_b16 v13, v14 offset:16
	ds_write_b8 v11, v17 offset:2048
	ds_write_b8 v11, v16 offset:2056
.LBB100_19:
	s_or_b64 exec, exec, s[2:3]
	s_waitcnt lgkmcnt(0)
	s_barrier
	ds_read_u16 v16, v10 offset:8
	ds_read_u16 v15, v9
	ds_read_u8 v17, v8 offset:2048
	ds_read_u8 v18, v8 offset:2052
	v_lshrrev_b32_e32 v5, 3, v5
	s_waitcnt lgkmcnt(3)
	v_lshlrev_b32_e32 v14, 16, v16
	s_waitcnt lgkmcnt(2)
	v_lshlrev_b32_e32 v19, 16, v15
	v_cmp_lt_f32_e64 s[0:1], v19, v14
	s_waitcnt lgkmcnt(1)
	v_and_b32_e32 v14, 1, v17
	v_cmp_eq_u32_e64 s[2:3], 1, v14
	s_waitcnt lgkmcnt(0)
	v_cmp_ne_u16_e64 s[6:7], v18, v5
	v_cndmask_b32_e64 v19, 0, 1, s[6:7]
	v_cndmask_b32_e64 v14, 0, 1, vcc
	s_and_b64 vcc, s[0:1], s[2:3]
	v_cndmask_b32_e32 v19, v19, v14, vcc
	v_and_b32_e32 v19, 1, v19
	v_cmp_eq_u32_e32 vcc, 1, v19
	s_and_saveexec_b64 s[0:1], vcc
	s_cbranch_execz .LBB100_21
; %bb.20:
	ds_write_b16 v9, v16
	ds_write_b16 v10, v15 offset:8
	ds_write_b8 v8, v18 offset:2048
	ds_write_b8 v8, v17 offset:2052
.LBB100_21:
	s_or_b64 exec, exec, s[0:1]
	s_waitcnt lgkmcnt(0)
	s_barrier
	ds_read_u16 v16, v7 offset:4
	ds_read_u16 v15, v6
	ds_read_u8 v17, v4 offset:2048
	ds_read_u8 v18, v4 offset:2050
	s_waitcnt lgkmcnt(3)
	v_lshlrev_b32_e32 v19, 16, v16
	s_waitcnt lgkmcnt(2)
	v_lshlrev_b32_e32 v20, 16, v15
	v_cmp_lt_f32_e32 vcc, v20, v19
	s_waitcnt lgkmcnt(1)
	v_and_b32_e32 v19, 1, v17
	v_cmp_eq_u32_e64 s[0:1], 1, v19
	s_waitcnt lgkmcnt(0)
	v_cmp_ne_u16_e64 s[2:3], v18, v5
	v_cndmask_b32_e64 v19, 0, 1, s[2:3]
	s_and_b64 vcc, vcc, s[0:1]
	v_cndmask_b32_e32 v19, v19, v14, vcc
	v_and_b32_e32 v19, 1, v19
	v_cmp_eq_u32_e32 vcc, 1, v19
	s_and_saveexec_b64 s[0:1], vcc
	s_cbranch_execz .LBB100_23
; %bb.22:
	ds_write_b16 v6, v16
	ds_write_b16 v7, v15 offset:4
	ds_write_b8 v4, v18 offset:2048
	ds_write_b8 v4, v17 offset:2050
.LBB100_23:
	s_or_b64 exec, exec, s[0:1]
	s_waitcnt lgkmcnt(0)
	s_barrier
	ds_read_b32 v15, v2
	ds_read_u8 v16, v3 offset:2048
	ds_read_u8 v17, v3 offset:2049
	s_waitcnt lgkmcnt(2)
	v_and_b32_e32 v18, 0xffff0000, v15
	v_lshlrev_b32_e32 v19, 16, v15
	v_cmp_lt_f32_e32 vcc, v19, v18
	s_waitcnt lgkmcnt(1)
	v_and_b32_e32 v18, 1, v16
	v_cmp_eq_u32_e64 s[0:1], 1, v18
	s_waitcnt lgkmcnt(0)
	v_cmp_ne_u16_e64 s[2:3], v17, v5
	v_cndmask_b32_e64 v5, 0, 1, s[2:3]
	s_and_b64 vcc, vcc, s[0:1]
	v_cndmask_b32_e32 v5, v5, v14, vcc
	v_and_b32_e32 v5, 1, v5
	v_cmp_eq_u32_e32 vcc, 1, v5
	s_and_saveexec_b64 s[0:1], vcc
	s_cbranch_execz .LBB100_25
; %bb.24:
	v_alignbit_b32 v5, v15, v15, 16
	ds_write_b32 v2, v5
	ds_write_b8 v3, v17 offset:2048
	ds_write_b8 v3, v16 offset:2049
.LBB100_25:
	s_or_b64 exec, exec, s[0:1]
	v_and_b32_e32 v14, 15, v0
	v_sub_u32_e32 v16, v1, v14
	v_add_u32_e32 v14, 2, v16
	v_lshl_add_u32 v15, v16, 1, 2
	v_add_u32_e32 v16, v14, v16
	s_waitcnt lgkmcnt(0)
	s_barrier
	ds_read_u16 v18, v16 offset:32
	ds_read_u16 v17, v15
	ds_read_u8 v19, v14 offset:2048
	ds_read_u8 v20, v14 offset:2064
	v_bfe_u32 v21, v0, 4, 1
	v_and_b32_e32 v5, 16, v0
	s_waitcnt lgkmcnt(3)
	v_lshlrev_b32_e32 v22, 16, v18
	s_waitcnt lgkmcnt(2)
	v_lshlrev_b32_e32 v23, 16, v17
	v_cmp_lt_f32_e64 s[0:1], v23, v22
	s_waitcnt lgkmcnt(1)
	v_and_b32_e32 v22, 1, v19
	v_cmp_eq_u32_e64 s[2:3], 1, v22
	s_waitcnt lgkmcnt(0)
	v_cmp_ne_u16_e64 s[6:7], v20, v21
	v_cndmask_b32_e64 v22, 0, 1, s[6:7]
	s_and_b64 s[0:1], s[0:1], s[2:3]
	v_cndmask_b32_e64 v21, v22, v21, s[0:1]
	v_and_b32_e32 v21, 1, v21
	v_cmp_ne_u32_e32 vcc, 0, v5
	v_cmp_eq_u32_e64 s[0:1], 1, v21
	s_and_saveexec_b64 s[2:3], s[0:1]
	s_cbranch_execz .LBB100_27
; %bb.26:
	ds_write_b16 v15, v18
	ds_write_b16 v16, v17 offset:32
	ds_write_b8 v14, v20 offset:2048
	ds_write_b8 v14, v19 offset:2064
.LBB100_27:
	s_or_b64 exec, exec, s[2:3]
	s_waitcnt lgkmcnt(0)
	s_barrier
	ds_read_u16 v19, v13 offset:16
	ds_read_u16 v18, v12
	ds_read_u8 v20, v11 offset:2048
	ds_read_u8 v21, v11 offset:2056
	v_lshrrev_b32_e32 v5, 4, v5
	s_waitcnt lgkmcnt(3)
	v_lshlrev_b32_e32 v17, 16, v19
	s_waitcnt lgkmcnt(2)
	v_lshlrev_b32_e32 v22, 16, v18
	v_cmp_lt_f32_e64 s[0:1], v22, v17
	s_waitcnt lgkmcnt(1)
	v_and_b32_e32 v17, 1, v20
	v_cmp_eq_u32_e64 s[2:3], 1, v17
	s_waitcnt lgkmcnt(0)
	v_cmp_ne_u16_e64 s[6:7], v21, v5
	v_cndmask_b32_e64 v22, 0, 1, s[6:7]
	v_cndmask_b32_e64 v17, 0, 1, vcc
	s_and_b64 vcc, s[0:1], s[2:3]
	v_cndmask_b32_e32 v22, v22, v17, vcc
	v_and_b32_e32 v22, 1, v22
	v_cmp_eq_u32_e32 vcc, 1, v22
	s_and_saveexec_b64 s[0:1], vcc
	s_cbranch_execz .LBB100_29
; %bb.28:
	ds_write_b16 v12, v19
	ds_write_b16 v13, v18 offset:16
	ds_write_b8 v11, v21 offset:2048
	ds_write_b8 v11, v20 offset:2056
.LBB100_29:
	s_or_b64 exec, exec, s[0:1]
	s_waitcnt lgkmcnt(0)
	s_barrier
	ds_read_u16 v19, v10 offset:8
	ds_read_u16 v18, v9
	ds_read_u8 v20, v8 offset:2048
	ds_read_u8 v21, v8 offset:2052
	s_waitcnt lgkmcnt(3)
	v_lshlrev_b32_e32 v22, 16, v19
	s_waitcnt lgkmcnt(2)
	v_lshlrev_b32_e32 v23, 16, v18
	v_cmp_lt_f32_e32 vcc, v23, v22
	s_waitcnt lgkmcnt(1)
	v_and_b32_e32 v22, 1, v20
	v_cmp_eq_u32_e64 s[0:1], 1, v22
	s_waitcnt lgkmcnt(0)
	v_cmp_ne_u16_e64 s[2:3], v21, v5
	v_cndmask_b32_e64 v22, 0, 1, s[2:3]
	s_and_b64 vcc, vcc, s[0:1]
	v_cndmask_b32_e32 v22, v22, v17, vcc
	v_and_b32_e32 v22, 1, v22
	v_cmp_eq_u32_e32 vcc, 1, v22
	s_and_saveexec_b64 s[0:1], vcc
	s_cbranch_execz .LBB100_31
; %bb.30:
	ds_write_b16 v9, v19
	ds_write_b16 v10, v18 offset:8
	ds_write_b8 v8, v21 offset:2048
	ds_write_b8 v8, v20 offset:2052
.LBB100_31:
	s_or_b64 exec, exec, s[0:1]
	s_waitcnt lgkmcnt(0)
	s_barrier
	ds_read_u16 v19, v7 offset:4
	ds_read_u16 v18, v6
	ds_read_u8 v20, v4 offset:2048
	ds_read_u8 v21, v4 offset:2050
	s_waitcnt lgkmcnt(3)
	v_lshlrev_b32_e32 v22, 16, v19
	s_waitcnt lgkmcnt(2)
	v_lshlrev_b32_e32 v23, 16, v18
	v_cmp_lt_f32_e32 vcc, v23, v22
	s_waitcnt lgkmcnt(1)
	v_and_b32_e32 v22, 1, v20
	v_cmp_eq_u32_e64 s[0:1], 1, v22
	s_waitcnt lgkmcnt(0)
	v_cmp_ne_u16_e64 s[2:3], v21, v5
	v_cndmask_b32_e64 v22, 0, 1, s[2:3]
	s_and_b64 vcc, vcc, s[0:1]
	v_cndmask_b32_e32 v22, v22, v17, vcc
	v_and_b32_e32 v22, 1, v22
	v_cmp_eq_u32_e32 vcc, 1, v22
	s_and_saveexec_b64 s[0:1], vcc
	s_cbranch_execz .LBB100_33
; %bb.32:
	ds_write_b16 v6, v19
	ds_write_b16 v7, v18 offset:4
	ds_write_b8 v4, v21 offset:2048
	ds_write_b8 v4, v20 offset:2050
.LBB100_33:
	s_or_b64 exec, exec, s[0:1]
	s_waitcnt lgkmcnt(0)
	s_barrier
	ds_read_b32 v18, v2
	ds_read_u8 v19, v3 offset:2048
	ds_read_u8 v20, v3 offset:2049
	s_waitcnt lgkmcnt(2)
	v_and_b32_e32 v21, 0xffff0000, v18
	v_lshlrev_b32_e32 v22, 16, v18
	v_cmp_lt_f32_e32 vcc, v22, v21
	s_waitcnt lgkmcnt(1)
	v_and_b32_e32 v21, 1, v19
	v_cmp_eq_u32_e64 s[0:1], 1, v21
	s_waitcnt lgkmcnt(0)
	v_cmp_ne_u16_e64 s[2:3], v20, v5
	v_cndmask_b32_e64 v5, 0, 1, s[2:3]
	s_and_b64 vcc, vcc, s[0:1]
	v_cndmask_b32_e32 v5, v5, v17, vcc
	v_and_b32_e32 v5, 1, v5
	v_cmp_eq_u32_e32 vcc, 1, v5
	s_and_saveexec_b64 s[0:1], vcc
	s_cbranch_execz .LBB100_35
; %bb.34:
	v_alignbit_b32 v5, v18, v18, 16
	ds_write_b32 v2, v5
	ds_write_b8 v3, v20 offset:2048
	ds_write_b8 v3, v19 offset:2049
.LBB100_35:
	s_or_b64 exec, exec, s[0:1]
	v_and_b32_e32 v17, 31, v0
	v_sub_u32_e32 v19, v1, v17
	v_add_u32_e32 v17, 2, v19
	v_lshl_add_u32 v18, v19, 1, 2
	v_add_u32_e32 v19, v17, v19
	s_waitcnt lgkmcnt(0)
	s_barrier
	ds_read_u16 v21, v19 offset:64
	ds_read_u16 v20, v18
	ds_read_u8 v22, v17 offset:2048
	ds_read_u8 v23, v17 offset:2080
	v_bfe_u32 v24, v0, 5, 1
	v_and_b32_e32 v5, 32, v0
	s_waitcnt lgkmcnt(3)
	v_lshlrev_b32_e32 v25, 16, v21
	s_waitcnt lgkmcnt(2)
	v_lshlrev_b32_e32 v26, 16, v20
	v_cmp_lt_f32_e64 s[0:1], v26, v25
	s_waitcnt lgkmcnt(1)
	v_and_b32_e32 v25, 1, v22
	v_cmp_eq_u32_e64 s[2:3], 1, v25
	s_waitcnt lgkmcnt(0)
	v_cmp_ne_u16_e64 s[6:7], v23, v24
	v_cndmask_b32_e64 v25, 0, 1, s[6:7]
	s_and_b64 s[0:1], s[0:1], s[2:3]
	v_cndmask_b32_e64 v24, v25, v24, s[0:1]
	v_and_b32_e32 v24, 1, v24
	v_cmp_ne_u32_e32 vcc, 0, v5
	v_cmp_eq_u32_e64 s[0:1], 1, v24
	s_and_saveexec_b64 s[2:3], s[0:1]
	s_cbranch_execz .LBB100_37
; %bb.36:
	ds_write_b16 v18, v21
	ds_write_b16 v19, v20 offset:64
	ds_write_b8 v17, v23 offset:2048
	ds_write_b8 v17, v22 offset:2080
.LBB100_37:
	s_or_b64 exec, exec, s[2:3]
	s_waitcnt lgkmcnt(0)
	s_barrier
	ds_read_u16 v22, v16 offset:32
	ds_read_u16 v21, v15
	ds_read_u8 v23, v14 offset:2048
	ds_read_u8 v24, v14 offset:2064
	v_lshrrev_b32_e32 v5, 5, v5
	s_waitcnt lgkmcnt(3)
	v_lshlrev_b32_e32 v20, 16, v22
	s_waitcnt lgkmcnt(2)
	v_lshlrev_b32_e32 v25, 16, v21
	v_cmp_lt_f32_e64 s[0:1], v25, v20
	s_waitcnt lgkmcnt(1)
	v_and_b32_e32 v20, 1, v23
	v_cmp_eq_u32_e64 s[2:3], 1, v20
	s_waitcnt lgkmcnt(0)
	v_cmp_ne_u16_e64 s[6:7], v24, v5
	v_cndmask_b32_e64 v25, 0, 1, s[6:7]
	v_cndmask_b32_e64 v20, 0, 1, vcc
	s_and_b64 vcc, s[0:1], s[2:3]
	v_cndmask_b32_e32 v25, v25, v20, vcc
	v_and_b32_e32 v25, 1, v25
	v_cmp_eq_u32_e32 vcc, 1, v25
	s_and_saveexec_b64 s[0:1], vcc
	s_cbranch_execz .LBB100_39
; %bb.38:
	ds_write_b16 v15, v22
	ds_write_b16 v16, v21 offset:32
	ds_write_b8 v14, v24 offset:2048
	ds_write_b8 v14, v23 offset:2064
.LBB100_39:
	s_or_b64 exec, exec, s[0:1]
	s_waitcnt lgkmcnt(0)
	s_barrier
	ds_read_u16 v22, v13 offset:16
	ds_read_u16 v21, v12
	ds_read_u8 v23, v11 offset:2048
	ds_read_u8 v24, v11 offset:2056
	s_waitcnt lgkmcnt(3)
	v_lshlrev_b32_e32 v25, 16, v22
	s_waitcnt lgkmcnt(2)
	v_lshlrev_b32_e32 v26, 16, v21
	v_cmp_lt_f32_e32 vcc, v26, v25
	s_waitcnt lgkmcnt(1)
	v_and_b32_e32 v25, 1, v23
	v_cmp_eq_u32_e64 s[0:1], 1, v25
	s_waitcnt lgkmcnt(0)
	v_cmp_ne_u16_e64 s[2:3], v24, v5
	v_cndmask_b32_e64 v25, 0, 1, s[2:3]
	s_and_b64 vcc, vcc, s[0:1]
	v_cndmask_b32_e32 v25, v25, v20, vcc
	v_and_b32_e32 v25, 1, v25
	v_cmp_eq_u32_e32 vcc, 1, v25
	s_and_saveexec_b64 s[0:1], vcc
	s_cbranch_execz .LBB100_41
; %bb.40:
	ds_write_b16 v12, v22
	ds_write_b16 v13, v21 offset:16
	ds_write_b8 v11, v24 offset:2048
	ds_write_b8 v11, v23 offset:2056
.LBB100_41:
	s_or_b64 exec, exec, s[0:1]
	s_waitcnt lgkmcnt(0)
	s_barrier
	ds_read_u16 v22, v10 offset:8
	ds_read_u16 v21, v9
	ds_read_u8 v23, v8 offset:2048
	ds_read_u8 v24, v8 offset:2052
	s_waitcnt lgkmcnt(3)
	v_lshlrev_b32_e32 v25, 16, v22
	s_waitcnt lgkmcnt(2)
	v_lshlrev_b32_e32 v26, 16, v21
	v_cmp_lt_f32_e32 vcc, v26, v25
	s_waitcnt lgkmcnt(1)
	v_and_b32_e32 v25, 1, v23
	v_cmp_eq_u32_e64 s[0:1], 1, v25
	s_waitcnt lgkmcnt(0)
	v_cmp_ne_u16_e64 s[2:3], v24, v5
	v_cndmask_b32_e64 v25, 0, 1, s[2:3]
	s_and_b64 vcc, vcc, s[0:1]
	;; [unrolled: 30-line block ×3, first 2 shown]
	v_cndmask_b32_e32 v25, v25, v20, vcc
	v_and_b32_e32 v25, 1, v25
	v_cmp_eq_u32_e32 vcc, 1, v25
	s_and_saveexec_b64 s[0:1], vcc
	s_cbranch_execz .LBB100_45
; %bb.44:
	ds_write_b16 v6, v22
	ds_write_b16 v7, v21 offset:4
	ds_write_b8 v4, v24 offset:2048
	ds_write_b8 v4, v23 offset:2050
.LBB100_45:
	s_or_b64 exec, exec, s[0:1]
	s_waitcnt lgkmcnt(0)
	s_barrier
	ds_read_b32 v21, v2
	ds_read_u8 v22, v3 offset:2048
	ds_read_u8 v23, v3 offset:2049
	s_waitcnt lgkmcnt(2)
	v_and_b32_e32 v24, 0xffff0000, v21
	v_lshlrev_b32_e32 v25, 16, v21
	v_cmp_lt_f32_e32 vcc, v25, v24
	s_waitcnt lgkmcnt(1)
	v_and_b32_e32 v24, 1, v22
	v_cmp_eq_u32_e64 s[0:1], 1, v24
	s_waitcnt lgkmcnt(0)
	v_cmp_ne_u16_e64 s[2:3], v23, v5
	v_cndmask_b32_e64 v5, 0, 1, s[2:3]
	s_and_b64 vcc, vcc, s[0:1]
	v_cndmask_b32_e32 v5, v5, v20, vcc
	v_and_b32_e32 v5, 1, v5
	v_cmp_eq_u32_e32 vcc, 1, v5
	s_and_saveexec_b64 s[0:1], vcc
	s_cbranch_execz .LBB100_47
; %bb.46:
	v_alignbit_b32 v5, v21, v21, 16
	ds_write_b32 v2, v5
	ds_write_b8 v3, v23 offset:2048
	ds_write_b8 v3, v22 offset:2049
.LBB100_47:
	s_or_b64 exec, exec, s[0:1]
	v_and_b32_e32 v5, 63, v0
	v_sub_u32_e32 v22, v1, v5
	v_add_u32_e32 v20, 2, v22
	v_lshl_add_u32 v21, v22, 1, 2
	v_add_u32_e32 v22, v20, v22
	s_waitcnt lgkmcnt(0)
	s_barrier
	ds_read_u16 v25, v22 offset:128
	ds_read_u16 v24, v21
	ds_read_u8 v26, v20 offset:2048
	ds_read_u8 v27, v20 offset:2112
	v_bfe_u32 v28, v0, 6, 1
	v_and_b32_e32 v23, 64, v0
	s_waitcnt lgkmcnt(3)
	v_lshlrev_b32_e32 v29, 16, v25
	s_waitcnt lgkmcnt(2)
	v_lshlrev_b32_e32 v30, 16, v24
	v_cmp_lt_f32_e64 s[0:1], v30, v29
	s_waitcnt lgkmcnt(1)
	v_and_b32_e32 v29, 1, v26
	v_cmp_eq_u32_e64 s[2:3], 1, v29
	s_waitcnt lgkmcnt(0)
	v_cmp_ne_u16_e64 s[6:7], v27, v28
	v_cndmask_b32_e64 v29, 0, 1, s[6:7]
	s_and_b64 s[0:1], s[0:1], s[2:3]
	v_cndmask_b32_e64 v28, v29, v28, s[0:1]
	v_and_b32_e32 v28, 1, v28
	v_cmp_ne_u32_e32 vcc, 0, v23
	v_cmp_eq_u32_e64 s[0:1], 1, v28
	s_and_saveexec_b64 s[2:3], s[0:1]
	s_cbranch_execz .LBB100_49
; %bb.48:
	ds_write_b16 v21, v25
	ds_write_b16 v22, v24 offset:128
	ds_write_b8 v20, v27 offset:2048
	ds_write_b8 v20, v26 offset:2112
.LBB100_49:
	s_or_b64 exec, exec, s[2:3]
	s_waitcnt lgkmcnt(0)
	s_barrier
	ds_read_u16 v26, v19 offset:64
	ds_read_u16 v25, v18
	ds_read_u8 v27, v17 offset:2048
	ds_read_u8 v28, v17 offset:2080
	v_lshrrev_b32_e32 v23, 6, v23
	s_waitcnt lgkmcnt(3)
	v_lshlrev_b32_e32 v24, 16, v26
	s_waitcnt lgkmcnt(2)
	v_lshlrev_b32_e32 v29, 16, v25
	v_cmp_lt_f32_e64 s[0:1], v29, v24
	s_waitcnt lgkmcnt(1)
	v_and_b32_e32 v24, 1, v27
	v_cmp_eq_u32_e64 s[2:3], 1, v24
	s_waitcnt lgkmcnt(0)
	v_cmp_ne_u16_e64 s[6:7], v28, v23
	v_cndmask_b32_e64 v29, 0, 1, s[6:7]
	v_cndmask_b32_e64 v24, 0, 1, vcc
	s_and_b64 vcc, s[0:1], s[2:3]
	v_cndmask_b32_e32 v29, v29, v24, vcc
	v_and_b32_e32 v29, 1, v29
	v_cmp_eq_u32_e32 vcc, 1, v29
	s_and_saveexec_b64 s[0:1], vcc
	s_cbranch_execz .LBB100_51
; %bb.50:
	ds_write_b16 v18, v26
	ds_write_b16 v19, v25 offset:64
	ds_write_b8 v17, v28 offset:2048
	ds_write_b8 v17, v27 offset:2080
.LBB100_51:
	s_or_b64 exec, exec, s[0:1]
	s_waitcnt lgkmcnt(0)
	s_barrier
	ds_read_u16 v26, v16 offset:32
	ds_read_u16 v25, v15
	ds_read_u8 v27, v14 offset:2048
	ds_read_u8 v28, v14 offset:2064
	s_waitcnt lgkmcnt(3)
	v_lshlrev_b32_e32 v29, 16, v26
	s_waitcnt lgkmcnt(2)
	v_lshlrev_b32_e32 v30, 16, v25
	v_cmp_lt_f32_e32 vcc, v30, v29
	s_waitcnt lgkmcnt(1)
	v_and_b32_e32 v29, 1, v27
	v_cmp_eq_u32_e64 s[0:1], 1, v29
	s_waitcnt lgkmcnt(0)
	v_cmp_ne_u16_e64 s[2:3], v28, v23
	v_cndmask_b32_e64 v29, 0, 1, s[2:3]
	s_and_b64 vcc, vcc, s[0:1]
	v_cndmask_b32_e32 v29, v29, v24, vcc
	v_and_b32_e32 v29, 1, v29
	v_cmp_eq_u32_e32 vcc, 1, v29
	s_and_saveexec_b64 s[0:1], vcc
	s_cbranch_execz .LBB100_53
; %bb.52:
	ds_write_b16 v15, v26
	ds_write_b16 v16, v25 offset:32
	ds_write_b8 v14, v28 offset:2048
	ds_write_b8 v14, v27 offset:2064
.LBB100_53:
	s_or_b64 exec, exec, s[0:1]
	s_waitcnt lgkmcnt(0)
	s_barrier
	ds_read_u16 v26, v13 offset:16
	ds_read_u16 v25, v12
	ds_read_u8 v27, v11 offset:2048
	ds_read_u8 v28, v11 offset:2056
	s_waitcnt lgkmcnt(3)
	v_lshlrev_b32_e32 v29, 16, v26
	s_waitcnt lgkmcnt(2)
	v_lshlrev_b32_e32 v30, 16, v25
	v_cmp_lt_f32_e32 vcc, v30, v29
	s_waitcnt lgkmcnt(1)
	v_and_b32_e32 v29, 1, v27
	v_cmp_eq_u32_e64 s[0:1], 1, v29
	s_waitcnt lgkmcnt(0)
	v_cmp_ne_u16_e64 s[2:3], v28, v23
	v_cndmask_b32_e64 v29, 0, 1, s[2:3]
	s_and_b64 vcc, vcc, s[0:1]
	;; [unrolled: 30-line block ×4, first 2 shown]
	v_cndmask_b32_e32 v29, v29, v24, vcc
	v_and_b32_e32 v29, 1, v29
	v_cmp_eq_u32_e32 vcc, 1, v29
	s_and_saveexec_b64 s[0:1], vcc
	s_cbranch_execz .LBB100_59
; %bb.58:
	ds_write_b16 v6, v26
	ds_write_b16 v7, v25 offset:4
	ds_write_b8 v4, v28 offset:2048
	ds_write_b8 v4, v27 offset:2050
.LBB100_59:
	s_or_b64 exec, exec, s[0:1]
	s_waitcnt lgkmcnt(0)
	s_barrier
	ds_read_b32 v25, v2
	ds_read_u8 v26, v3 offset:2048
	ds_read_u8 v27, v3 offset:2049
	s_waitcnt lgkmcnt(2)
	v_and_b32_e32 v28, 0xffff0000, v25
	v_lshlrev_b32_e32 v29, 16, v25
	v_cmp_lt_f32_e32 vcc, v29, v28
	s_waitcnt lgkmcnt(1)
	v_and_b32_e32 v28, 1, v26
	v_cmp_eq_u32_e64 s[0:1], 1, v28
	s_waitcnt lgkmcnt(0)
	v_cmp_ne_u16_e64 s[2:3], v27, v23
	v_cndmask_b32_e64 v23, 0, 1, s[2:3]
	s_and_b64 vcc, vcc, s[0:1]
	v_cndmask_b32_e32 v23, v23, v24, vcc
	v_and_b32_e32 v23, 1, v23
	v_cmp_eq_u32_e32 vcc, 1, v23
	s_and_saveexec_b64 s[0:1], vcc
	s_cbranch_execz .LBB100_61
; %bb.60:
	v_alignbit_b32 v23, v25, v25, 16
	ds_write_b32 v2, v23
	ds_write_b8 v3, v27 offset:2048
	ds_write_b8 v3, v26 offset:2049
.LBB100_61:
	s_or_b64 exec, exec, s[0:1]
	v_and_b32_e32 v23, 0x80, v0
	v_cmp_ne_u32_e32 vcc, 0, v23
	v_and_b32_e32 v23, 0x7f, v0
	v_sub_u32_e32 v25, v1, v23
	v_add_u32_e32 v23, 2, v25
	v_lshl_add_u32 v24, v25, 1, 2
	v_add_u32_e32 v25, v23, v25
	s_waitcnt lgkmcnt(0)
	s_barrier
	ds_read_u16 v28, v25 offset:256
	ds_read_u16 v27, v24
	ds_read_u8 v29, v23 offset:2048
	ds_read_u8 v30, v23 offset:2176
	v_lshrrev_b32_e32 v31, 7, v0
	v_and_b32_e32 v26, 1, v31
	s_waitcnt lgkmcnt(3)
	v_lshlrev_b32_e32 v32, 16, v28
	s_waitcnt lgkmcnt(2)
	v_lshlrev_b32_e32 v33, 16, v27
	v_cmp_lt_f32_e64 s[0:1], v33, v32
	s_waitcnt lgkmcnt(1)
	v_and_b32_e32 v32, 1, v29
	v_cmp_eq_u32_e64 s[2:3], 1, v32
	s_waitcnt lgkmcnt(0)
	v_cmp_ne_u16_e64 s[6:7], v30, v26
	v_cndmask_b32_e64 v32, 0, 1, s[6:7]
	s_and_b64 s[0:1], s[0:1], s[2:3]
	v_cndmask_b32_e64 v31, v32, v31, s[0:1]
	v_and_b32_e32 v31, 1, v31
	v_cmp_eq_u32_e64 s[0:1], 1, v31
	s_and_saveexec_b64 s[2:3], s[0:1]
	s_cbranch_execz .LBB100_63
; %bb.62:
	ds_write_b16 v24, v28
	ds_write_b16 v25, v27 offset:256
	ds_write_b8 v23, v30 offset:2048
	ds_write_b8 v23, v29 offset:2176
.LBB100_63:
	s_or_b64 exec, exec, s[2:3]
	s_waitcnt lgkmcnt(0)
	s_barrier
	ds_read_u16 v29, v22 offset:128
	ds_read_u16 v28, v21
	ds_read_u8 v30, v20 offset:2048
	ds_read_u8 v31, v20 offset:2112
	s_waitcnt lgkmcnt(3)
	v_lshlrev_b32_e32 v27, 16, v29
	s_waitcnt lgkmcnt(2)
	v_lshlrev_b32_e32 v32, 16, v28
	v_cmp_lt_f32_e64 s[0:1], v32, v27
	s_waitcnt lgkmcnt(1)
	v_and_b32_e32 v27, 1, v30
	v_cmp_eq_u32_e64 s[2:3], 1, v27
	s_waitcnt lgkmcnt(0)
	v_cmp_ne_u16_e64 s[6:7], v31, v26
	v_cndmask_b32_e64 v32, 0, 1, s[6:7]
	v_cndmask_b32_e64 v27, 0, 1, vcc
	s_and_b64 vcc, s[0:1], s[2:3]
	v_cndmask_b32_e32 v32, v32, v27, vcc
	v_and_b32_e32 v32, 1, v32
	v_cmp_eq_u32_e32 vcc, 1, v32
	s_and_saveexec_b64 s[0:1], vcc
	s_cbranch_execz .LBB100_65
; %bb.64:
	ds_write_b16 v21, v29
	ds_write_b16 v22, v28 offset:128
	ds_write_b8 v20, v31 offset:2048
	ds_write_b8 v20, v30 offset:2112
.LBB100_65:
	s_or_b64 exec, exec, s[0:1]
	s_waitcnt lgkmcnt(0)
	s_barrier
	ds_read_u16 v29, v19 offset:64
	ds_read_u16 v28, v18
	ds_read_u8 v30, v17 offset:2048
	ds_read_u8 v31, v17 offset:2080
	s_waitcnt lgkmcnt(3)
	v_lshlrev_b32_e32 v32, 16, v29
	s_waitcnt lgkmcnt(2)
	v_lshlrev_b32_e32 v33, 16, v28
	v_cmp_lt_f32_e32 vcc, v33, v32
	s_waitcnt lgkmcnt(1)
	v_and_b32_e32 v32, 1, v30
	v_cmp_eq_u32_e64 s[0:1], 1, v32
	s_waitcnt lgkmcnt(0)
	v_cmp_ne_u16_e64 s[2:3], v31, v26
	v_cndmask_b32_e64 v32, 0, 1, s[2:3]
	s_and_b64 vcc, vcc, s[0:1]
	v_cndmask_b32_e32 v32, v32, v27, vcc
	v_and_b32_e32 v32, 1, v32
	v_cmp_eq_u32_e32 vcc, 1, v32
	s_and_saveexec_b64 s[0:1], vcc
	s_cbranch_execz .LBB100_67
; %bb.66:
	ds_write_b16 v18, v29
	ds_write_b16 v19, v28 offset:64
	ds_write_b8 v17, v31 offset:2048
	ds_write_b8 v17, v30 offset:2080
.LBB100_67:
	s_or_b64 exec, exec, s[0:1]
	s_waitcnt lgkmcnt(0)
	s_barrier
	ds_read_u16 v29, v16 offset:32
	ds_read_u16 v28, v15
	ds_read_u8 v30, v14 offset:2048
	ds_read_u8 v31, v14 offset:2064
	s_waitcnt lgkmcnt(3)
	v_lshlrev_b32_e32 v32, 16, v29
	s_waitcnt lgkmcnt(2)
	v_lshlrev_b32_e32 v33, 16, v28
	v_cmp_lt_f32_e32 vcc, v33, v32
	s_waitcnt lgkmcnt(1)
	v_and_b32_e32 v32, 1, v30
	v_cmp_eq_u32_e64 s[0:1], 1, v32
	s_waitcnt lgkmcnt(0)
	v_cmp_ne_u16_e64 s[2:3], v31, v26
	v_cndmask_b32_e64 v32, 0, 1, s[2:3]
	s_and_b64 vcc, vcc, s[0:1]
	;; [unrolled: 30-line block ×5, first 2 shown]
	v_cndmask_b32_e32 v32, v32, v27, vcc
	v_and_b32_e32 v32, 1, v32
	v_cmp_eq_u32_e32 vcc, 1, v32
	s_and_saveexec_b64 s[0:1], vcc
	s_cbranch_execz .LBB100_75
; %bb.74:
	ds_write_b16 v6, v29
	ds_write_b16 v7, v28 offset:4
	ds_write_b8 v4, v31 offset:2048
	ds_write_b8 v4, v30 offset:2050
.LBB100_75:
	s_or_b64 exec, exec, s[0:1]
	s_waitcnt lgkmcnt(0)
	s_barrier
	ds_read_b32 v28, v2
	ds_read_u8 v29, v3 offset:2048
	ds_read_u8 v30, v3 offset:2049
	s_waitcnt lgkmcnt(2)
	v_and_b32_e32 v31, 0xffff0000, v28
	v_lshlrev_b32_e32 v32, 16, v28
	v_cmp_lt_f32_e32 vcc, v32, v31
	s_waitcnt lgkmcnt(1)
	v_and_b32_e32 v31, 1, v29
	v_cmp_eq_u32_e64 s[0:1], 1, v31
	s_waitcnt lgkmcnt(0)
	v_cmp_ne_u16_e64 s[2:3], v30, v26
	v_cndmask_b32_e64 v26, 0, 1, s[2:3]
	s_and_b64 vcc, vcc, s[0:1]
	v_cndmask_b32_e32 v26, v26, v27, vcc
	v_and_b32_e32 v26, 1, v26
	v_cmp_eq_u32_e32 vcc, 1, v26
	s_and_saveexec_b64 s[0:1], vcc
	s_cbranch_execz .LBB100_77
; %bb.76:
	v_alignbit_b32 v26, v28, v28, 16
	ds_write_b32 v2, v26
	ds_write_b8 v3, v30 offset:2048
	ds_write_b8 v3, v29 offset:2049
.LBB100_77:
	s_or_b64 exec, exec, s[0:1]
	v_and_b32_e32 v26, 0x100, v0
	v_sub_u32_sdwa v28, v1, v0 dst_sel:DWORD dst_unused:UNUSED_PAD src0_sel:DWORD src1_sel:BYTE_0
	v_cmp_ne_u32_e32 vcc, 0, v26
	v_add_u32_e32 v26, 2, v28
	v_lshl_add_u32 v27, v28, 1, 2
	v_add_u32_e32 v28, v26, v28
	s_waitcnt lgkmcnt(0)
	s_barrier
	ds_read_u16 v31, v28 offset:512
	ds_read_u16 v30, v27
	ds_read_u8 v32, v26 offset:2048
	ds_read_u8 v33, v26 offset:2304
	v_bfe_u32 v34, v0, 8, 1
	v_and_b32_e32 v29, 0x100, v0
	s_waitcnt lgkmcnt(3)
	v_lshlrev_b32_e32 v35, 16, v31
	s_waitcnt lgkmcnt(2)
	v_lshlrev_b32_e32 v36, 16, v30
	v_cmp_lt_f32_e64 s[0:1], v36, v35
	s_waitcnt lgkmcnt(1)
	v_and_b32_e32 v35, 1, v32
	v_cmp_eq_u32_e64 s[2:3], 1, v35
	s_waitcnt lgkmcnt(0)
	v_cmp_ne_u16_e64 s[6:7], v33, v34
	v_cndmask_b32_e64 v35, 0, 1, s[6:7]
	s_and_b64 s[0:1], s[0:1], s[2:3]
	v_cndmask_b32_e64 v34, v35, v34, s[0:1]
	v_and_b32_e32 v34, 1, v34
	v_cmp_eq_u32_e64 s[0:1], 1, v34
	s_and_saveexec_b64 s[2:3], s[0:1]
	s_cbranch_execz .LBB100_79
; %bb.78:
	ds_write_b16 v27, v31
	ds_write_b16 v28, v30 offset:512
	ds_write_b8 v26, v33 offset:2048
	ds_write_b8 v26, v32 offset:2304
.LBB100_79:
	s_or_b64 exec, exec, s[2:3]
	s_waitcnt lgkmcnt(0)
	s_barrier
	ds_read_u16 v32, v25 offset:256
	ds_read_u16 v31, v24
	ds_read_u8 v33, v23 offset:2048
	ds_read_u8 v34, v23 offset:2176
	v_lshrrev_b32_e32 v29, 8, v29
	s_waitcnt lgkmcnt(3)
	v_lshlrev_b32_e32 v30, 16, v32
	s_waitcnt lgkmcnt(2)
	v_lshlrev_b32_e32 v35, 16, v31
	v_cmp_lt_f32_e64 s[0:1], v35, v30
	s_waitcnt lgkmcnt(1)
	v_and_b32_e32 v30, 1, v33
	v_cmp_eq_u32_e64 s[2:3], 1, v30
	s_waitcnt lgkmcnt(0)
	v_cmp_ne_u16_e64 s[6:7], v34, v29
	v_cndmask_b32_e64 v35, 0, 1, s[6:7]
	v_cndmask_b32_e64 v30, 0, 1, vcc
	s_and_b64 vcc, s[0:1], s[2:3]
	v_cndmask_b32_e32 v35, v35, v30, vcc
	v_and_b32_e32 v35, 1, v35
	v_cmp_eq_u32_e32 vcc, 1, v35
	s_and_saveexec_b64 s[0:1], vcc
	s_cbranch_execz .LBB100_81
; %bb.80:
	ds_write_b16 v24, v32
	ds_write_b16 v25, v31 offset:256
	ds_write_b8 v23, v34 offset:2048
	ds_write_b8 v23, v33 offset:2176
.LBB100_81:
	s_or_b64 exec, exec, s[0:1]
	s_waitcnt lgkmcnt(0)
	s_barrier
	ds_read_u16 v32, v22 offset:128
	ds_read_u16 v31, v21
	ds_read_u8 v33, v20 offset:2048
	ds_read_u8 v34, v20 offset:2112
	s_waitcnt lgkmcnt(3)
	v_lshlrev_b32_e32 v35, 16, v32
	s_waitcnt lgkmcnt(2)
	v_lshlrev_b32_e32 v36, 16, v31
	v_cmp_lt_f32_e32 vcc, v36, v35
	s_waitcnt lgkmcnt(1)
	v_and_b32_e32 v35, 1, v33
	v_cmp_eq_u32_e64 s[0:1], 1, v35
	s_waitcnt lgkmcnt(0)
	v_cmp_ne_u16_e64 s[2:3], v34, v29
	v_cndmask_b32_e64 v35, 0, 1, s[2:3]
	s_and_b64 vcc, vcc, s[0:1]
	v_cndmask_b32_e32 v35, v35, v30, vcc
	v_and_b32_e32 v35, 1, v35
	v_cmp_eq_u32_e32 vcc, 1, v35
	s_and_saveexec_b64 s[0:1], vcc
	s_cbranch_execz .LBB100_83
; %bb.82:
	ds_write_b16 v21, v32
	ds_write_b16 v22, v31 offset:128
	ds_write_b8 v20, v34 offset:2048
	ds_write_b8 v20, v33 offset:2112
.LBB100_83:
	s_or_b64 exec, exec, s[0:1]
	s_waitcnt lgkmcnt(0)
	s_barrier
	ds_read_u16 v32, v19 offset:64
	ds_read_u16 v31, v18
	ds_read_u8 v33, v17 offset:2048
	ds_read_u8 v34, v17 offset:2080
	s_waitcnt lgkmcnt(3)
	v_lshlrev_b32_e32 v35, 16, v32
	s_waitcnt lgkmcnt(2)
	v_lshlrev_b32_e32 v36, 16, v31
	v_cmp_lt_f32_e32 vcc, v36, v35
	s_waitcnt lgkmcnt(1)
	v_and_b32_e32 v35, 1, v33
	v_cmp_eq_u32_e64 s[0:1], 1, v35
	s_waitcnt lgkmcnt(0)
	v_cmp_ne_u16_e64 s[2:3], v34, v29
	v_cndmask_b32_e64 v35, 0, 1, s[2:3]
	s_and_b64 vcc, vcc, s[0:1]
	;; [unrolled: 30-line block ×6, first 2 shown]
	v_cndmask_b32_e32 v35, v35, v30, vcc
	v_and_b32_e32 v35, 1, v35
	v_cmp_eq_u32_e32 vcc, 1, v35
	s_and_saveexec_b64 s[0:1], vcc
	s_cbranch_execz .LBB100_93
; %bb.92:
	ds_write_b16 v6, v32
	ds_write_b16 v7, v31 offset:4
	ds_write_b8 v4, v34 offset:2048
	ds_write_b8 v4, v33 offset:2050
.LBB100_93:
	s_or_b64 exec, exec, s[0:1]
	s_waitcnt lgkmcnt(0)
	s_barrier
	ds_read_b32 v31, v2
	ds_read_u8 v32, v3 offset:2048
	ds_read_u8 v33, v3 offset:2049
	s_waitcnt lgkmcnt(2)
	v_and_b32_e32 v34, 0xffff0000, v31
	v_lshlrev_b32_e32 v35, 16, v31
	v_cmp_lt_f32_e32 vcc, v35, v34
	s_waitcnt lgkmcnt(1)
	v_and_b32_e32 v34, 1, v32
	v_cmp_eq_u32_e64 s[0:1], 1, v34
	s_waitcnt lgkmcnt(0)
	v_cmp_ne_u16_e64 s[2:3], v33, v29
	v_cndmask_b32_e64 v29, 0, 1, s[2:3]
	s_and_b64 vcc, vcc, s[0:1]
	v_cndmask_b32_e32 v29, v29, v30, vcc
	v_and_b32_e32 v29, 1, v29
	v_cmp_eq_u32_e32 vcc, 1, v29
	s_and_saveexec_b64 s[0:1], vcc
	s_cbranch_execz .LBB100_95
; %bb.94:
	v_alignbit_b32 v29, v31, v31, 16
	ds_write_b32 v2, v29
	ds_write_b8 v3, v33 offset:2048
	ds_write_b8 v3, v32 offset:2049
.LBB100_95:
	s_or_b64 exec, exec, s[0:1]
	v_and_b32_e32 v29, 0x1ff, v0
	v_sub_u32_e32 v29, v1, v29
	v_add_u32_e32 v30, 2, v29
	v_add_u32_e32 v32, v30, v29
	s_waitcnt lgkmcnt(0)
	s_barrier
	v_lshl_add_u32 v31, v29, 1, 2
	ds_read_u16 v34, v32 offset:1024
	ds_read_u16 v33, v31
	ds_read_u8 v35, v30 offset:2048
	ds_read_u8 v36, v30 offset:2560
	s_waitcnt lgkmcnt(3)
	v_lshlrev_b32_e32 v29, 16, v34
	s_waitcnt lgkmcnt(2)
	v_lshlrev_b32_e32 v37, 16, v33
	v_cmp_nlt_f32_e32 vcc, v37, v29
	s_waitcnt lgkmcnt(1)
	v_and_b32_e32 v29, 1, v35
	v_cmp_eq_u32_e64 s[0:1], 1, v29
	s_xor_b64 s[0:1], s[0:1], -1
	v_mov_b32_e32 v29, 0
	s_or_b64 s[0:1], vcc, s[0:1]
	s_waitcnt lgkmcnt(0)
	v_cmp_ne_u16_sdwa s[2:3], v36, v29 src0_sel:BYTE_0 src1_sel:DWORD
	s_and_b64 s[2:3], s[0:1], s[2:3]
	s_and_saveexec_b64 s[0:1], s[2:3]
	s_cbranch_execz .LBB100_97
; %bb.96:
	ds_write_b16 v31, v34
	ds_write_b16 v32, v33 offset:1024
	v_mov_b32_e32 v31, 1
	ds_write_b8 v30, v31 offset:2048
	ds_write_b8 v30, v35 offset:2560
.LBB100_97:
	s_or_b64 exec, exec, s[0:1]
	s_waitcnt lgkmcnt(0)
	s_barrier
	ds_read_u16 v31, v28 offset:512
	ds_read_u16 v30, v27
	ds_read_u8 v32, v26 offset:2048
	ds_read_u8 v33, v26 offset:2304
	s_waitcnt lgkmcnt(3)
	v_lshlrev_b32_e32 v34, 16, v31
	s_waitcnt lgkmcnt(2)
	v_lshlrev_b32_e32 v35, 16, v30
	v_cmp_nlt_f32_e32 vcc, v35, v34
	s_waitcnt lgkmcnt(1)
	v_and_b32_e32 v34, 1, v32
	v_cmp_eq_u32_e64 s[0:1], 1, v34
	s_xor_b64 s[0:1], s[0:1], -1
	s_or_b64 s[0:1], vcc, s[0:1]
	s_waitcnt lgkmcnt(0)
	v_cmp_ne_u16_sdwa s[2:3], v33, v29 src0_sel:BYTE_0 src1_sel:DWORD
	s_and_b64 s[2:3], s[0:1], s[2:3]
	s_and_saveexec_b64 s[0:1], s[2:3]
	s_cbranch_execz .LBB100_99
; %bb.98:
	ds_write_b16 v27, v31
	ds_write_b16 v28, v30 offset:512
	v_mov_b32_e32 v27, 1
	ds_write_b8 v26, v27 offset:2048
	ds_write_b8 v26, v32 offset:2304
.LBB100_99:
	s_or_b64 exec, exec, s[0:1]
	s_waitcnt lgkmcnt(0)
	s_barrier
	ds_read_u16 v28, v25 offset:256
	ds_read_u16 v27, v24
	ds_read_u8 v29, v23 offset:2048
	ds_read_u8 v30, v23 offset:2176
	s_waitcnt lgkmcnt(3)
	v_lshlrev_b32_e32 v26, 16, v28
	s_waitcnt lgkmcnt(2)
	v_lshlrev_b32_e32 v31, 16, v27
	v_cmp_nlt_f32_e32 vcc, v31, v26
	s_waitcnt lgkmcnt(1)
	v_and_b32_e32 v26, 1, v29
	v_cmp_eq_u32_e64 s[0:1], 1, v26
	s_xor_b64 s[0:1], s[0:1], -1
	v_mov_b32_e32 v26, 0
	s_or_b64 s[0:1], vcc, s[0:1]
	s_waitcnt lgkmcnt(0)
	v_cmp_ne_u16_sdwa s[2:3], v30, v26 src0_sel:BYTE_0 src1_sel:DWORD
	s_and_b64 s[2:3], s[0:1], s[2:3]
	s_and_saveexec_b64 s[0:1], s[2:3]
	s_cbranch_execz .LBB100_101
; %bb.100:
	ds_write_b16 v24, v28
	ds_write_b16 v25, v27 offset:256
	v_mov_b32_e32 v24, 1
	ds_write_b8 v23, v24 offset:2048
	ds_write_b8 v23, v29 offset:2176
.LBB100_101:
	s_or_b64 exec, exec, s[0:1]
	s_waitcnt lgkmcnt(0)
	s_barrier
	ds_read_u16 v24, v22 offset:128
	ds_read_u16 v23, v21
	ds_read_u8 v25, v20 offset:2048
	ds_read_u8 v27, v20 offset:2112
	s_waitcnt lgkmcnt(3)
	v_lshlrev_b32_e32 v28, 16, v24
	s_waitcnt lgkmcnt(2)
	v_lshlrev_b32_e32 v29, 16, v23
	v_cmp_nlt_f32_e32 vcc, v29, v28
	s_waitcnt lgkmcnt(1)
	v_and_b32_e32 v28, 1, v25
	v_cmp_eq_u32_e64 s[0:1], 1, v28
	s_xor_b64 s[0:1], s[0:1], -1
	s_or_b64 s[0:1], vcc, s[0:1]
	s_waitcnt lgkmcnt(0)
	v_cmp_ne_u16_sdwa s[2:3], v27, v26 src0_sel:BYTE_0 src1_sel:DWORD
	s_and_b64 s[2:3], s[0:1], s[2:3]
	s_and_saveexec_b64 s[0:1], s[2:3]
	s_cbranch_execz .LBB100_103
; %bb.102:
	ds_write_b16 v21, v24
	ds_write_b16 v22, v23 offset:128
	v_mov_b32_e32 v21, 1
	ds_write_b8 v20, v21 offset:2048
	ds_write_b8 v20, v25 offset:2112
.LBB100_103:
	s_or_b64 exec, exec, s[0:1]
	s_waitcnt lgkmcnt(0)
	s_barrier
	;; [unrolled: 59-line block ×4, first 2 shown]
	ds_read_u16 v10, v7 offset:4
	ds_read_u16 v9, v6
	ds_read_u8 v11, v4 offset:2048
	ds_read_u8 v12, v4 offset:2050
	s_waitcnt lgkmcnt(3)
	v_lshlrev_b32_e32 v8, 16, v10
	s_waitcnt lgkmcnt(2)
	v_lshlrev_b32_e32 v13, 16, v9
	v_cmp_nlt_f32_e32 vcc, v13, v8
	s_waitcnt lgkmcnt(1)
	v_and_b32_e32 v8, 1, v11
	v_cmp_eq_u32_e64 s[0:1], 1, v8
	s_xor_b64 s[0:1], s[0:1], -1
	v_mov_b32_e32 v8, 0
	s_or_b64 s[0:1], vcc, s[0:1]
	s_waitcnt lgkmcnt(0)
	v_cmp_ne_u16_sdwa s[2:3], v12, v8 src0_sel:BYTE_0 src1_sel:DWORD
	s_and_b64 s[2:3], s[0:1], s[2:3]
	s_and_saveexec_b64 s[0:1], s[2:3]
	s_cbranch_execz .LBB100_113
; %bb.112:
	ds_write_b16 v6, v10
	ds_write_b16 v7, v9 offset:4
	v_mov_b32_e32 v6, 1
	ds_write_b8 v4, v6 offset:2048
	ds_write_b8 v4, v11 offset:2050
.LBB100_113:
	s_or_b64 exec, exec, s[0:1]
	s_waitcnt lgkmcnt(0)
	s_barrier
	ds_read_b32 v4, v2
	ds_read_u8 v6, v3 offset:2048
	ds_read_u8 v7, v3 offset:2049
	s_waitcnt lgkmcnt(2)
	v_and_b32_e32 v9, 0xffff0000, v4
	v_lshlrev_b32_e32 v10, 16, v4
	v_cmp_nlt_f32_e32 vcc, v10, v9
	s_waitcnt lgkmcnt(1)
	v_and_b32_e32 v9, 1, v6
	v_cmp_eq_u32_e64 s[0:1], 1, v9
	s_xor_b64 s[0:1], s[0:1], -1
	s_or_b64 s[0:1], vcc, s[0:1]
	s_waitcnt lgkmcnt(0)
	v_cmp_ne_u16_sdwa s[2:3], v7, v8 src0_sel:BYTE_0 src1_sel:DWORD
	s_and_b64 s[2:3], s[0:1], s[2:3]
	s_and_saveexec_b64 s[0:1], s[2:3]
	s_cbranch_execz .LBB100_115
; %bb.114:
	v_alignbit_b32 v4, v4, v4, 16
	ds_write_b32 v2, v4
	v_mov_b32_e32 v4, 1
	ds_write_b8 v3, v4 offset:2048
	ds_write_b8 v3, v6 offset:2049
.LBB100_115:
	s_or_b64 exec, exec, s[0:1]
	v_cmp_eq_u32_e32 vcc, 0, v0
	s_waitcnt lgkmcnt(0)
	s_barrier
	s_barrier
	s_and_saveexec_b64 s[0:1], vcc
	s_cbranch_execz .LBB100_117
; %bb.116:
	v_mov_b32_e32 v3, 1
	v_mov_b32_e32 v4, 2
	ds_write_b8 v4, v3 offset:2052
	v_mov_b32_e32 v3, 0
	ds_write_b32 v4, v3 offset:2048
.LBB100_117:
	s_or_b64 exec, exec, s[0:1]
	ds_read_b32 v4, v2
	v_lshl_add_u32 v2, v1, 3, 2
	s_waitcnt lgkmcnt(0)
	v_and_b32_e32 v3, 0xffff0000, v4
	v_lshlrev_b32_e32 v4, 16, v4
	v_cmp_neq_f32_e64 s[0:1], v4, v3
	v_cndmask_b32_e64 v6, 0, 1, s[0:1]
	v_cmp_eq_f32_e64 s[0:1], v4, v3
	v_cndmask_b32_e64 v4, 0, 1, s[0:1]
	s_movk_i32 s0, 0x1ff
	v_cmp_gt_u32_e64 s[2:3], s0, v0
	ds_write_b8 v2, v6 offset:2060
	ds_write_b32 v2, v4 offset:2056
	s_and_saveexec_b64 s[6:7], s[2:3]
	s_cbranch_execz .LBB100_119
; %bb.118:
	v_mad_i32_i24 v4, v0, -12, v2
	ds_read_u16 v6, v4 offset:4
	v_mad_u32_u24 v4, v0, 12, v4
	s_waitcnt lgkmcnt(0)
	v_lshlrev_b32_e32 v6, 16, v6
	v_cmp_neq_f32_e64 s[0:1], v3, v6
	v_cndmask_b32_e64 v7, 0, 1, s[0:1]
	v_cmp_eq_f32_e64 s[0:1], v3, v6
	v_cndmask_b32_e64 v3, 0, 1, s[0:1]
	ds_write_b8 v4, v7 offset:2068
	ds_write_b32 v4, v3 offset:2064
.LBB100_119:
	s_or_b64 exec, exec, s[6:7]
	s_movk_i32 s0, 0x200
	v_cmp_gt_u32_e64 s[0:1], s0, v0
	s_waitcnt lgkmcnt(0)
	s_barrier
	s_and_saveexec_b64 s[6:7], s[0:1]
	s_cbranch_execz .LBB100_121
; %bb.120:
	ds_read_u8 v6, v2 offset:2060
	v_add_u32_e32 v3, 0x800, v2
	ds_read2_b32 v[3:4], v3 offset1:2
	ds_read_u8 v7, v2 offset:2052
	v_add_u32_e32 v8, 0x808, v2
	s_waitcnt lgkmcnt(2)
	v_and_b32_e32 v9, 1, v6
	v_cmp_eq_u32_e64 s[0:1], 1, v9
	s_waitcnt lgkmcnt(1)
	v_cndmask_b32_e64 v3, v3, 0, s[0:1]
	v_add_u32_e32 v3, v3, v4
	s_waitcnt lgkmcnt(0)
	v_or_b32_e32 v4, v7, v6
	v_and_b32_e32 v4, 1, v4
	ds_write2_b32 v8, v3, v4 offset1:1
.LBB100_121:
	s_or_b64 exec, exec, s[6:7]
	v_add_u32_e32 v9, 2, v1
	v_lshlrev_b32_e32 v3, 1, v9
	s_movk_i32 s0, 0x100
	v_cmp_gt_u32_e64 s[0:1], s0, v0
	v_lshl_add_u32 v3, v3, 3, 2
	s_waitcnt lgkmcnt(0)
	s_barrier
	s_and_saveexec_b64 s[6:7], s[0:1]
	s_cbranch_execz .LBB100_123
; %bb.122:
	ds_read_u8 v4, v3 offset:2044
	v_add_u32_e32 v6, 0x400, v3
	ds_read2_b32 v[6:7], v6 offset0:250 offset1:254
	ds_read_u8 v8, v3 offset:2028
	v_add_u32_e32 v10, 0x7f8, v3
	s_waitcnt lgkmcnt(2)
	v_and_b32_e32 v11, 1, v4
	v_cmp_eq_u32_e64 s[0:1], 1, v11
	s_waitcnt lgkmcnt(1)
	v_cndmask_b32_e64 v6, v6, 0, s[0:1]
	s_waitcnt lgkmcnt(0)
	v_or_b32_e32 v4, v8, v4
	v_add_u32_e32 v6, v6, v7
	v_and_b32_e32 v4, 1, v4
	ds_write2_b32 v10, v6, v4 offset1:1
.LBB100_123:
	s_or_b64 exec, exec, s[6:7]
	v_lshlrev_b32_e32 v4, 2, v9
	s_movk_i32 s0, 0x80
	v_cmp_gt_u32_e64 s[0:1], s0, v0
	v_lshl_add_u32 v4, v4, 3, 2
	s_waitcnt lgkmcnt(0)
	s_barrier
	s_and_saveexec_b64 s[6:7], s[0:1]
	s_cbranch_execz .LBB100_125
; %bb.124:
	ds_read_u8 v8, v4 offset:2044
	v_add_u32_e32 v6, 0x400, v4
	ds_read2_b32 v[6:7], v6 offset0:246 offset1:254
	ds_read_u8 v10, v4 offset:2012
	v_add_u32_e32 v11, 0x7f8, v4
	s_waitcnt lgkmcnt(2)
	v_and_b32_e32 v12, 1, v8
	v_cmp_eq_u32_e64 s[0:1], 1, v12
	s_waitcnt lgkmcnt(1)
	v_cndmask_b32_e64 v6, v6, 0, s[0:1]
	v_add_u32_e32 v6, v6, v7
	s_waitcnt lgkmcnt(0)
	v_or_b32_e32 v7, v10, v8
	v_and_b32_e32 v7, 1, v7
	ds_write2_b32 v11, v6, v7 offset1:1
.LBB100_125:
	s_or_b64 exec, exec, s[6:7]
	v_lshlrev_b32_e32 v6, 3, v9
	v_cmp_gt_u32_e64 s[0:1], 64, v0
	v_lshl_add_u32 v6, v6, 3, 2
	s_waitcnt lgkmcnt(0)
	s_barrier
	s_and_saveexec_b64 s[8:9], s[0:1]
	s_cbranch_execz .LBB100_127
; %bb.126:
	ds_read_u8 v10, v6 offset:2044
	ds_read_u8 v12, v6 offset:1980
	v_add_u32_e32 v7, 0x400, v6
	ds_read2_b32 v[7:8], v7 offset0:238 offset1:254
	v_add_u32_e32 v11, 0x7f8, v6
	s_waitcnt lgkmcnt(2)
	v_and_b32_e32 v13, 1, v10
	v_cmp_eq_u32_e64 s[6:7], 1, v13
	s_waitcnt lgkmcnt(0)
	v_cndmask_b32_e64 v7, v7, 0, s[6:7]
	v_add_u32_e32 v7, v7, v8
	v_or_b32_e32 v8, v12, v10
	v_and_b32_e32 v8, 1, v8
	ds_write2_b32 v11, v7, v8 offset1:1
.LBB100_127:
	s_or_b64 exec, exec, s[8:9]
	v_lshlrev_b32_e32 v7, 4, v9
	v_cmp_gt_u32_e64 s[6:7], 32, v0
	v_lshl_add_u32 v7, v7, 3, 2
	s_waitcnt lgkmcnt(0)
	s_barrier
	s_and_saveexec_b64 s[8:9], s[6:7]
	s_cbranch_execz .LBB100_129
; %bb.128:
	ds_read_u8 v8, v7 offset:2044
	ds_read_u8 v13, v7 offset:1916
	v_add_u32_e32 v10, 0x400, v7
	ds_read2_b32 v[10:11], v10 offset0:222 offset1:254
	v_add_u32_e32 v12, 0x7f8, v7
	s_waitcnt lgkmcnt(2)
	v_and_b32_e32 v14, 1, v8
	v_cmp_eq_u32_e64 s[6:7], 1, v14
	s_waitcnt lgkmcnt(1)
	v_or_b32_e32 v8, v13, v8
	s_waitcnt lgkmcnt(0)
	v_cndmask_b32_e64 v10, v10, 0, s[6:7]
	v_add_u32_e32 v10, v10, v11
	v_and_b32_e32 v8, 1, v8
	ds_write2_b32 v12, v10, v8 offset1:1
.LBB100_129:
	s_or_b64 exec, exec, s[8:9]
	v_lshlrev_b32_e32 v8, 5, v9
	v_cmp_gt_u32_e64 s[6:7], 16, v0
	v_lshl_add_u32 v8, v8, 3, 2
	s_waitcnt lgkmcnt(0)
	s_barrier
	s_and_saveexec_b64 s[8:9], s[6:7]
	s_cbranch_execz .LBB100_131
; %bb.130:
	ds_read_u8 v12, v8 offset:2044
	ds_read_u8 v14, v8 offset:1788
	v_add_u32_e32 v10, 0xf8, v8
	ds_read2st64_b32 v[10:11], v10 offset0:6 offset1:7
	v_add_u32_e32 v13, 0x7f8, v8
	s_waitcnt lgkmcnt(2)
	v_and_b32_e32 v15, 1, v12
	v_cmp_eq_u32_e64 s[6:7], 1, v15
	s_waitcnt lgkmcnt(0)
	v_cndmask_b32_e64 v10, v10, 0, s[6:7]
	v_add_u32_e32 v10, v10, v11
	v_or_b32_e32 v11, v14, v12
	v_and_b32_e32 v11, 1, v11
	ds_write2_b32 v13, v10, v11 offset1:1
.LBB100_131:
	s_or_b64 exec, exec, s[8:9]
	v_lshlrev_b32_e32 v10, 6, v9
	v_cmp_gt_u32_e64 s[6:7], 8, v0
	v_lshl_add_u32 v10, v10, 3, 2
	s_waitcnt lgkmcnt(0)
	s_barrier
	s_and_saveexec_b64 s[8:9], s[6:7]
	s_cbranch_execz .LBB100_133
; %bb.132:
	ds_read_u8 v13, v10 offset:2044
	ds_read_u8 v15, v10 offset:1532
	v_add_u32_e32 v11, 0xf8, v10
	ds_read2st64_b32 v[11:12], v11 offset0:5 offset1:7
	v_add_u32_e32 v14, 0x7f8, v10
	s_waitcnt lgkmcnt(2)
	v_and_b32_e32 v16, 1, v13
	v_cmp_eq_u32_e64 s[6:7], 1, v16
	s_waitcnt lgkmcnt(0)
	v_cndmask_b32_e64 v11, v11, 0, s[6:7]
	v_add_u32_e32 v11, v11, v12
	v_or_b32_e32 v12, v15, v13
	v_and_b32_e32 v12, 1, v12
	ds_write2_b32 v14, v11, v12 offset1:1
.LBB100_133:
	;; [unrolled: 24-line block ×3, first 2 shown]
	s_or_b64 exec, exec, s[8:9]
	v_lshlrev_b32_e32 v9, 8, v9
	v_cmp_gt_u32_e64 s[6:7], 2, v0
	v_lshl_add_u32 v9, v9, 3, 2
	s_waitcnt lgkmcnt(0)
	s_barrier
	s_and_saveexec_b64 s[8:9], s[6:7]
	s_cbranch_execz .LBB100_137
; %bb.136:
	ds_read_u8 v14, v9 offset:2044
	v_add_u32_e32 v13, -8, v9
	v_add_u32_e32 v15, -4, v9
	ds_read_b32 v13, v13
	ds_read_b32 v16, v9 offset:2040
	ds_read_u8 v15, v15
	v_add_u32_e32 v12, 0x7f8, v9
	s_waitcnt lgkmcnt(3)
	v_and_b32_e32 v17, 1, v14
	v_cmp_eq_u32_e64 s[6:7], 1, v17
	s_waitcnt lgkmcnt(2)
	v_cndmask_b32_e64 v13, v13, 0, s[6:7]
	s_waitcnt lgkmcnt(0)
	v_or_b32_e32 v14, v15, v14
	v_add_u32_e32 v13, v13, v16
	v_and_b32_e32 v14, 1, v14
	ds_write2_b32 v12, v13, v14 offset1:1
.LBB100_137:
	s_or_b64 exec, exec, s[8:9]
	s_waitcnt lgkmcnt(0)
	s_barrier
	s_and_saveexec_b64 s[8:9], vcc
	s_cbranch_execz .LBB100_139
; %bb.138:
	v_mov_b32_e32 v12, 2
	ds_read_u8 v13, v12 offset:10236
	ds_read_b32 v14, v12 offset:6136
	ds_read_b32 v15, v12 offset:10232
	ds_read_u8 v12, v12 offset:6140
	s_add_i32 s10, 2, 0x27f8
	s_waitcnt lgkmcnt(3)
	v_and_b32_e32 v16, 1, v13
	v_cmp_eq_u32_e64 s[6:7], 1, v16
	s_waitcnt lgkmcnt(2)
	v_cndmask_b32_e64 v14, v14, 0, s[6:7]
	s_waitcnt lgkmcnt(0)
	v_or_b32_e32 v12, v12, v13
	v_add_u32_e32 v14, v14, v15
	v_and_b32_e32 v12, 1, v12
	v_mov_b32_e32 v13, s10
	ds_write2_b32 v13, v14, v12 offset1:1
.LBB100_139:
	s_or_b64 exec, exec, s[8:9]
	s_waitcnt lgkmcnt(0)
	s_barrier
	s_and_saveexec_b64 s[8:9], vcc
	s_cbranch_execz .LBB100_141
; %bb.140:
	ds_read_u8 v14, v9 offset:4092
	v_add_u32_e32 v12, 0xf8, v9
	ds_read2st64_b32 v[12:13], v12 offset0:7 offset1:15
	v_add_u32_e32 v15, 0xff8, v9
	ds_read_u8 v9, v9 offset:2044
	s_waitcnt lgkmcnt(2)
	v_and_b32_e32 v16, 1, v14
	v_cmp_eq_u32_e64 s[6:7], 1, v16
	s_waitcnt lgkmcnt(1)
	v_cndmask_b32_e64 v12, v12, 0, s[6:7]
	v_add_u32_e32 v12, v12, v13
	s_waitcnt lgkmcnt(0)
	v_or_b32_e32 v9, v9, v14
	v_and_b32_e32 v9, 1, v9
	ds_write2_b32 v15, v12, v9 offset1:1
.LBB100_141:
	s_or_b64 exec, exec, s[8:9]
	v_cmp_gt_u32_e64 s[6:7], 3, v0
	s_waitcnt lgkmcnt(0)
	s_barrier
	s_and_saveexec_b64 s[8:9], s[6:7]
	s_cbranch_execz .LBB100_143
; %bb.142:
	ds_read_u8 v9, v11 offset:3068
	v_add_u32_e32 v12, 0xf8, v11
	ds_read2st64_b32 v[12:13], v12 offset0:7 offset1:11
	v_add_u32_e32 v14, 0xbf8, v11
	ds_read_u8 v11, v11 offset:2044
	s_waitcnt lgkmcnt(2)
	v_and_b32_e32 v15, 1, v9
	v_cmp_eq_u32_e64 s[6:7], 1, v15
	s_waitcnt lgkmcnt(1)
	v_cndmask_b32_e64 v12, v12, 0, s[6:7]
	v_add_u32_e32 v12, v12, v13
	s_waitcnt lgkmcnt(0)
	v_or_b32_e32 v9, v11, v9
	v_and_b32_e32 v9, 1, v9
	ds_write2_b32 v14, v12, v9 offset1:1
.LBB100_143:
	s_or_b64 exec, exec, s[8:9]
	v_cmp_gt_u32_e64 s[6:7], 7, v0
	s_waitcnt lgkmcnt(0)
	s_barrier
	s_and_saveexec_b64 s[8:9], s[6:7]
	;; [unrolled: 23-line block ×4, first 2 shown]
	s_cbranch_execz .LBB100_149
; %bb.148:
	ds_read_u8 v10, v7 offset:2172
	v_add_u32_e32 v8, 0x600, v7
	ds_read2_b32 v[8:9], v8 offset0:126 offset1:158
	v_add_u32_e32 v11, 0x878, v7
	ds_read_u8 v7, v7 offset:2044
	s_waitcnt lgkmcnt(2)
	v_and_b32_e32 v12, 1, v10
	v_cmp_eq_u32_e64 s[6:7], 1, v12
	s_waitcnt lgkmcnt(1)
	v_cndmask_b32_e64 v8, v8, 0, s[6:7]
	v_add_u32_e32 v8, v8, v9
	s_waitcnt lgkmcnt(0)
	v_or_b32_e32 v7, v7, v10
	v_and_b32_e32 v7, 1, v7
	ds_write2_b32 v11, v8, v7 offset1:1
.LBB100_149:
	s_or_b64 exec, exec, s[8:9]
	v_cmp_gt_u32_e64 s[6:7], 63, v0
	s_waitcnt lgkmcnt(0)
	s_barrier
	s_and_saveexec_b64 s[8:9], s[6:7]
	s_cbranch_execz .LBB100_151
; %bb.150:
	ds_read_u8 v9, v6 offset:2108
	v_add_u32_e32 v7, 0x600, v6
	ds_read2_b32 v[7:8], v7 offset0:126 offset1:142
	v_add_u32_e32 v10, 0x838, v6
	ds_read_u8 v6, v6 offset:2044
	s_waitcnt lgkmcnt(2)
	v_and_b32_e32 v11, 1, v9
	v_cmp_eq_u32_e64 s[6:7], 1, v11
	s_waitcnt lgkmcnt(1)
	v_cndmask_b32_e64 v7, v7, 0, s[6:7]
	v_add_u32_e32 v7, v7, v8
	s_waitcnt lgkmcnt(0)
	v_or_b32_e32 v6, v6, v9
	v_and_b32_e32 v6, 1, v6
	ds_write2_b32 v10, v7, v6 offset1:1
.LBB100_151:
	s_or_b64 exec, exec, s[8:9]
	s_movk_i32 s6, 0x7f
	v_cmp_gt_u32_e64 s[6:7], s6, v0
	s_waitcnt lgkmcnt(0)
	s_barrier
	s_and_saveexec_b64 s[8:9], s[6:7]
	s_cbranch_execz .LBB100_153
; %bb.152:
	ds_read_u8 v8, v4 offset:2076
	v_add_u32_e32 v6, 0x600, v4
	ds_read2_b32 v[6:7], v6 offset0:126 offset1:134
	ds_read_u8 v9, v4 offset:2044
	v_add_u32_e32 v4, 0x818, v4
	s_waitcnt lgkmcnt(2)
	v_and_b32_e32 v10, 1, v8
	v_cmp_eq_u32_e64 s[6:7], 1, v10
	s_waitcnt lgkmcnt(1)
	v_cndmask_b32_e64 v6, v6, 0, s[6:7]
	v_add_u32_e32 v6, v6, v7
	s_waitcnt lgkmcnt(0)
	v_or_b32_e32 v7, v9, v8
	v_and_b32_e32 v7, 1, v7
	ds_write2_b32 v4, v6, v7 offset1:1
.LBB100_153:
	s_or_b64 exec, exec, s[8:9]
	s_movk_i32 s6, 0xff
	v_cmp_gt_u32_e64 s[6:7], s6, v0
	s_waitcnt lgkmcnt(0)
	s_barrier
	s_and_saveexec_b64 s[8:9], s[6:7]
	s_cbranch_execz .LBB100_155
; %bb.154:
	ds_read_u8 v4, v3 offset:2060
	v_add_u32_e32 v6, 0x600, v3
	ds_read2_b32 v[6:7], v6 offset0:126 offset1:130
	ds_read_u8 v8, v3 offset:2044
	v_add_u32_e32 v3, 0x808, v3
	s_waitcnt lgkmcnt(2)
	v_and_b32_e32 v9, 1, v4
	v_cmp_eq_u32_e64 s[6:7], 1, v9
	s_waitcnt lgkmcnt(1)
	v_cndmask_b32_e64 v6, v6, 0, s[6:7]
	s_waitcnt lgkmcnt(0)
	v_or_b32_e32 v4, v8, v4
	v_add_u32_e32 v6, v6, v7
	v_and_b32_e32 v4, 1, v4
	ds_write2_b32 v3, v6, v4 offset1:1
.LBB100_155:
	s_or_b64 exec, exec, s[8:9]
	s_waitcnt lgkmcnt(0)
	s_barrier
	s_and_saveexec_b64 s[6:7], s[2:3]
	s_cbranch_execz .LBB100_157
; %bb.156:
	ds_read_u8 v6, v2 offset:2068
	v_add_u32_e32 v3, 0x800, v2
	ds_read2_b32 v[3:4], v3 offset0:2 offset1:4
	ds_read_u8 v7, v2 offset:2060
	v_add_u32_e32 v8, 0x810, v2
	s_waitcnt lgkmcnt(2)
	v_and_b32_e32 v9, 1, v6
	v_cmp_eq_u32_e64 s[2:3], 1, v9
	s_waitcnt lgkmcnt(1)
	v_cndmask_b32_e64 v3, v3, 0, s[2:3]
	v_add_u32_e32 v3, v3, v4
	s_waitcnt lgkmcnt(0)
	v_or_b32_e32 v4, v7, v6
	v_and_b32_e32 v4, 1, v4
	ds_write2_b32 v8, v3, v4 offset1:1
.LBB100_157:
	s_or_b64 exec, exec, s[6:7]
	v_add_u32_e32 v2, 0x800, v2
	s_waitcnt lgkmcnt(0)
	s_barrier
	ds_read2_b32 v[6:7], v2 offset1:2
	v_or_b32_e32 v3, 1, v1
	v_cmp_gt_u32_e64 s[2:3], s16, v1
	v_cmp_gt_u32_e64 s[6:7], s16, v3
	v_cndmask_b32_e64 v4, 0, v1, s[2:3]
	s_waitcnt lgkmcnt(0)
	v_cndmask_b32_e64 v2, 0, v6, s[2:3]
	v_mbcnt_lo_u32_b32 v6, -1, 0
	v_cndmask_b32_e64 v7, 0, v7, s[6:7]
	v_mbcnt_hi_u32_b32 v11, -1, v6
	v_mov_b32_e32 v6, 0x80
	v_cndmask_b32_e64 v8, 0, v3, s[6:7]
	v_max_u32_e32 v9, v7, v2
	v_lshl_or_b32 v6, v11, 2, v6
	v_cmp_gt_u32_e64 s[8:9], v7, v2
	ds_bpermute_b32 v10, v6, v9
	v_cndmask_b32_e64 v2, v4, v8, s[8:9]
	ds_bpermute_b32 v4, v6, v2
	v_and_b32_e32 v12, 63, v11
	v_cmp_gt_u32_e64 s[8:9], 48, v12
	v_cndmask_b32_e64 v7, 0, 16, s[8:9]
	s_waitcnt lgkmcnt(1)
	v_max_u32_e32 v13, v10, v9
	v_add_lshl_u32 v7, v7, v11, 2
	v_cmp_gt_u32_e64 s[8:9], v10, v9
	ds_bpermute_b32 v14, v7, v13
	s_waitcnt lgkmcnt(1)
	v_cndmask_b32_e64 v2, v2, v4, s[8:9]
	ds_bpermute_b32 v4, v7, v2
	v_cmp_gt_u32_e64 s[8:9], 56, v12
	v_cndmask_b32_e64 v8, 0, 8, s[8:9]
	s_waitcnt lgkmcnt(1)
	v_max_u32_e32 v10, v14, v13
	v_add_lshl_u32 v8, v8, v11, 2
	v_cmp_gt_u32_e64 s[8:9], v14, v13
	ds_bpermute_b32 v15, v8, v10
	s_waitcnt lgkmcnt(1)
	v_cndmask_b32_e64 v2, v2, v4, s[8:9]
	ds_bpermute_b32 v4, v8, v2
	;; [unrolled: 10-line block ×4, first 2 shown]
	s_waitcnt lgkmcnt(0)
	s_barrier
	v_cmp_gt_u32_e64 s[8:9], v16, v15
	v_max_u32_e32 v2, v16, v15
	v_cndmask_b32_e64 v4, v4, v13, s[8:9]
	v_cmp_ne_u32_e64 s[8:9], 63, v12
	v_addc_co_u32_e64 v11, s[8:9], 0, v11, s[8:9]
	v_lshlrev_b32_e32 v11, 2, v11
	ds_bpermute_b32 v12, v11, v4
	ds_bpermute_b32 v13, v11, v2
	v_cmp_eq_u32_e64 s[8:9], 0, v5
	s_waitcnt lgkmcnt(0)
	s_barrier
	s_and_saveexec_b64 s[12:13], s[8:9]
	s_cbranch_execz .LBB100_159
; %bb.158:
	v_lshrrev_b32_e32 v14, 3, v0
	v_add_u32_e32 v14, 2, v14
	v_cmp_gt_u32_e64 s[10:11], v13, v2
	v_add_u32_e32 v14, 0x800, v14
	v_cndmask_b32_e64 v4, v4, v12, s[10:11]
	v_max_u32_e32 v2, v13, v2
	ds_write2_b32 v14, v2, v4 offset1:1
.LBB100_159:
	s_or_b64 exec, exec, s[12:13]
	s_lshr_b32 s10, s18, 6
	v_cmp_gt_u32_e64 s[10:11], s10, v0
	v_lshl_add_u32 v12, v5, 3, 2
	v_mov_b32_e32 v2, 0
	v_mov_b32_e32 v4, 0
	s_waitcnt lgkmcnt(0)
	s_barrier
	s_and_saveexec_b64 s[12:13], s[10:11]
	s_cbranch_execnz .LBB100_174
; %bb.160:
	s_or_b64 exec, exec, s[12:13]
	s_and_saveexec_b64 s[12:13], s[10:11]
	s_cbranch_execnz .LBB100_175
.LBB100_161:
	s_or_b64 exec, exec, s[12:13]
	s_and_saveexec_b64 s[18:19], s[0:1]
	s_cbranch_execnz .LBB100_176
.LBB100_162:
	s_or_b64 exec, exec, s[18:19]
	s_and_saveexec_b64 s[12:13], vcc
	s_cbranch_execz .LBB100_164
.LBB100_163:
	s_waitcnt lgkmcnt(0)
	v_lshl_add_u32 v2, v2, 1, 2
	ds_read_u16 v2, v2
	v_mov_b32_e32 v4, 0
	s_waitcnt lgkmcnt(0)
	ds_write_b16 v4, v2
.LBB100_164:
	s_or_b64 exec, exec, s[12:13]
	s_waitcnt lgkmcnt(0)
	v_mov_b32_e32 v2, 0
	v_cmp_gt_i64_e64 s[12:13], s[16:17], v[1:2]
	v_mov_b32_e32 v13, 0
	s_barrier
	s_and_saveexec_b64 s[18:19], s[12:13]
	s_cbranch_execz .LBB100_166
; %bb.165:
	v_add_u32_e32 v13, s21, v1
	v_mov_b32_e32 v14, 0
	v_lshlrev_b64 v[15:16], 1, v[13:14]
	v_mov_b32_e32 v4, s15
	v_add_co_u32_e64 v15, s[12:13], s14, v15
	v_addc_co_u32_e64 v16, s[12:13], v4, v16, s[12:13]
	global_load_ushort v4, v[15:16], off
	ds_read_u16 v13, v14
	s_waitcnt lgkmcnt(0)
	v_lshlrev_b32_e32 v13, 16, v13
	s_waitcnt vmcnt(0)
	v_lshlrev_b32_e32 v4, 16, v4
	v_cmp_eq_f32_e64 s[12:13], v4, v13
	v_cndmask_b32_e64 v13, 0, v1, s[12:13]
.LBB100_166:
	s_or_b64 exec, exec, s[18:19]
	v_mov_b32_e32 v4, v2
	v_cmp_gt_i64_e64 s[12:13], s[16:17], v[3:4]
	s_and_saveexec_b64 s[16:17], s[12:13]
	s_cbranch_execz .LBB100_168
; %bb.167:
	v_add_u32_e32 v1, s21, v3
	v_mov_b32_e32 v2, 0
	v_lshlrev_b64 v[14:15], 1, v[1:2]
	v_mov_b32_e32 v1, s15
	v_add_co_u32_e64 v14, s[12:13], s14, v14
	v_addc_co_u32_e64 v15, s[12:13], v1, v15, s[12:13]
	global_load_ushort v1, v[14:15], off
	ds_read_u16 v2, v2
	s_waitcnt lgkmcnt(0)
	v_lshlrev_b32_e32 v2, 16, v2
	s_waitcnt vmcnt(0)
	v_lshlrev_b32_e32 v1, 16, v1
	v_cmp_eq_f32_e64 s[12:13], v1, v2
	v_cndmask_b32_e64 v2, 0, v3, s[12:13]
.LBB100_168:
	s_or_b64 exec, exec, s[16:17]
	v_cndmask_b32_e64 v1, 0, v13, s[2:3]
	v_max_u32_e32 v2, v2, v1
	v_cndmask_b32_e64 v1, v1, v2, s[6:7]
	ds_bpermute_b32 v2, v6, v1
	s_waitcnt lgkmcnt(0)
	s_barrier
	v_max_u32_e32 v1, v2, v1
	ds_bpermute_b32 v2, v7, v1
	s_waitcnt lgkmcnt(0)
	v_max_u32_e32 v1, v2, v1
	ds_bpermute_b32 v2, v8, v1
	s_waitcnt lgkmcnt(0)
	;; [unrolled: 3-line block ×4, first 2 shown]
	v_max_u32_e32 v1, v2, v1
	ds_bpermute_b32 v2, v11, v1
	s_and_saveexec_b64 s[2:3], s[8:9]
	s_cbranch_execz .LBB100_170
; %bb.169:
	v_lshrrev_b32_e32 v0, 4, v0
	v_add_u32_e32 v0, 2, v0
	s_waitcnt lgkmcnt(0)
	v_max_u32_e32 v1, v2, v1
	ds_write_b32 v0, v1
.LBB100_170:
	s_or_b64 exec, exec, s[2:3]
	v_mov_b32_e32 v0, 0
	s_waitcnt lgkmcnt(0)
	s_barrier
	s_and_saveexec_b64 s[2:3], s[10:11]
	s_cbranch_execnz .LBB100_177
; %bb.171:
	s_or_b64 exec, exec, s[2:3]
	s_and_saveexec_b64 s[2:3], s[0:1]
	s_cbranch_execnz .LBB100_178
.LBB100_172:
	s_or_b64 exec, exec, s[2:3]
	s_and_saveexec_b64 s[0:1], vcc
	s_cbranch_execnz .LBB100_179
.LBB100_173:
	s_endpgm
.LBB100_174:
	ds_read_b32 v4, v12 offset:2048
	s_or_b64 exec, exec, s[12:13]
	s_and_saveexec_b64 s[12:13], s[10:11]
	s_cbranch_execz .LBB100_161
.LBB100_175:
	ds_read_b32 v2, v12 offset:2052
	s_or_b64 exec, exec, s[12:13]
	s_and_saveexec_b64 s[18:19], s[0:1]
	s_cbranch_execz .LBB100_162
.LBB100_176:
	s_waitcnt lgkmcnt(0)
	ds_bpermute_b32 v13, v6, v4
	ds_bpermute_b32 v14, v6, v2
	s_waitcnt lgkmcnt(1)
	v_max_u32_e32 v15, v13, v4
	v_cmp_gt_u32_e64 s[12:13], v13, v4
	ds_bpermute_b32 v16, v7, v15
	s_waitcnt lgkmcnt(1)
	v_cndmask_b32_e64 v2, v2, v14, s[12:13]
	ds_bpermute_b32 v4, v7, v2
	s_waitcnt lgkmcnt(1)
	v_max_u32_e32 v13, v16, v15
	v_cmp_gt_u32_e64 s[12:13], v16, v15
	ds_bpermute_b32 v14, v8, v13
	s_waitcnt lgkmcnt(1)
	v_cndmask_b32_e64 v2, v2, v4, s[12:13]
	;; [unrolled: 7-line block ×4, first 2 shown]
	ds_bpermute_b32 v4, v10, v2
	s_waitcnt lgkmcnt(1)
	v_max_u32_e32 v15, v14, v13
	v_cmp_gt_u32_e64 s[12:13], v14, v13
	s_waitcnt lgkmcnt(0)
	v_cndmask_b32_e64 v2, v2, v4, s[12:13]
	ds_bpermute_b32 v4, v11, v15
	ds_bpermute_b32 v13, v11, v2
	s_waitcnt lgkmcnt(1)
	v_cmp_gt_u32_e64 s[12:13], v4, v15
	s_waitcnt lgkmcnt(0)
	v_cndmask_b32_e64 v2, v2, v13, s[12:13]
	s_or_b64 exec, exec, s[18:19]
	s_and_saveexec_b64 s[12:13], vcc
	s_cbranch_execnz .LBB100_163
	s_branch .LBB100_164
.LBB100_177:
	v_lshlrev_b32_e32 v0, 2, v5
	v_sub_u32_e32 v0, v12, v0
	ds_read_b32 v0, v0
	s_or_b64 exec, exec, s[2:3]
	s_and_saveexec_b64 s[2:3], s[0:1]
	s_cbranch_execz .LBB100_172
.LBB100_178:
	s_waitcnt lgkmcnt(0)
	ds_bpermute_b32 v1, v6, v0
	s_waitcnt lgkmcnt(0)
	v_max_u32_e32 v0, v1, v0
	ds_bpermute_b32 v1, v7, v0
	s_waitcnt lgkmcnt(0)
	v_max_u32_e32 v0, v1, v0
	;; [unrolled: 3-line block ×6, first 2 shown]
	s_or_b64 exec, exec, s[2:3]
	s_and_saveexec_b64 s[0:1], vcc
	s_cbranch_execz .LBB100_173
.LBB100_179:
	s_load_dword s2, s[4:5], 0xd8
	s_load_dwordx2 s[0:1], s[4:5], 0xe0
	s_add_u32 s4, s4, 8
	s_addc_u32 s5, s5, 0
	s_mov_b32 s3, 0
	s_waitcnt lgkmcnt(0)
	s_cmp_lt_i32 s2, 2
	s_cbranch_scc1 .LBB100_182
; %bb.180:
	s_add_i32 s8, s2, 1
	s_add_i32 s2, s2, -1
	s_lshl_b64 s[6:7], s[2:3], 2
	s_add_u32 s2, s4, s6
	s_addc_u32 s7, s5, s7
	s_add_u32 s6, s2, 8
	s_addc_u32 s7, s7, 0
.LBB100_181:                            ; =>This Inner Loop Header: Depth=1
	s_load_dword s2, s[6:7], 0x0
	s_load_dword s10, s[6:7], 0x64
	s_mov_b32 s9, s20
	s_waitcnt lgkmcnt(0)
	v_cvt_f32_u32_e32 v1, s2
	s_sub_i32 s11, 0, s2
	v_rcp_iflag_f32_e32 v1, v1
	v_mul_f32_e32 v1, 0x4f7ffffe, v1
	v_cvt_u32_f32_e32 v1, v1
	v_readfirstlane_b32 s12, v1
	s_mul_i32 s11, s11, s12
	s_mul_hi_u32 s11, s12, s11
	s_add_i32 s12, s12, s11
	s_mul_hi_u32 s11, s20, s12
	s_mul_i32 s12, s11, s2
	s_sub_i32 s12, s20, s12
	s_add_i32 s13, s11, 1
	s_sub_i32 s14, s12, s2
	s_cmp_ge_u32 s12, s2
	s_cselect_b32 s11, s13, s11
	s_cselect_b32 s12, s14, s12
	s_add_i32 s13, s11, 1
	s_cmp_ge_u32 s12, s2
	s_cselect_b32 s20, s13, s11
	s_mul_i32 s2, s20, s2
	s_sub_i32 s2, s9, s2
	s_mul_i32 s2, s10, s2
	s_add_i32 s8, s8, -1
	s_add_i32 s3, s2, s3
	s_add_u32 s6, s6, -4
	s_addc_u32 s7, s7, -1
	s_cmp_gt_u32 s8, 2
	s_cbranch_scc1 .LBB100_181
.LBB100_182:
	s_load_dword s2, s[4:5], 0x6c
	v_mov_b32_e32 v1, 0
	s_load_dwordx2 s[4:5], s[4:5], 0x0
	ds_read_u16 v2, v1
	s_mov_b32 s7, 0
	s_waitcnt lgkmcnt(0)
	s_mul_i32 s2, s2, s20
	s_add_i32 s6, s2, s3
	s_lshl_b64 s[2:3], s[6:7], 1
	s_add_u32 s2, s4, s2
	s_addc_u32 s3, s5, s3
	global_store_short v1, v2, s[2:3]
	s_lshl_b64 s[2:3], s[6:7], 3
	s_add_u32 s0, s0, s2
	s_addc_u32 s1, s1, s3
	global_store_dwordx2 v1, v[0:1], s[0:1]
	s_endpgm
	.section	.rodata,"a",@progbits
	.p2align	6, 0x0
	.amdhsa_kernel _ZN2at6native12compute_modeIN3c108BFloat16ELj1024EEEvPKT_NS_4cuda6detail10TensorInfoIS4_jEENS9_IljEEll
		.amdhsa_group_segment_fixed_size 2
		.amdhsa_private_segment_fixed_size 0
		.amdhsa_kernarg_size 712
		.amdhsa_user_sgpr_count 6
		.amdhsa_user_sgpr_private_segment_buffer 1
		.amdhsa_user_sgpr_dispatch_ptr 0
		.amdhsa_user_sgpr_queue_ptr 0
		.amdhsa_user_sgpr_kernarg_segment_ptr 1
		.amdhsa_user_sgpr_dispatch_id 0
		.amdhsa_user_sgpr_flat_scratch_init 0
		.amdhsa_user_sgpr_private_segment_size 0
		.amdhsa_uses_dynamic_stack 0
		.amdhsa_system_sgpr_private_segment_wavefront_offset 0
		.amdhsa_system_sgpr_workgroup_id_x 1
		.amdhsa_system_sgpr_workgroup_id_y 1
		.amdhsa_system_sgpr_workgroup_id_z 1
		.amdhsa_system_sgpr_workgroup_info 0
		.amdhsa_system_vgpr_workitem_id 0
		.amdhsa_next_free_vgpr 38
		.amdhsa_next_free_sgpr 22
		.amdhsa_reserve_vcc 1
		.amdhsa_reserve_flat_scratch 0
		.amdhsa_float_round_mode_32 0
		.amdhsa_float_round_mode_16_64 0
		.amdhsa_float_denorm_mode_32 3
		.amdhsa_float_denorm_mode_16_64 3
		.amdhsa_dx10_clamp 1
		.amdhsa_ieee_mode 1
		.amdhsa_fp16_overflow 0
		.amdhsa_exception_fp_ieee_invalid_op 0
		.amdhsa_exception_fp_denorm_src 0
		.amdhsa_exception_fp_ieee_div_zero 0
		.amdhsa_exception_fp_ieee_overflow 0
		.amdhsa_exception_fp_ieee_underflow 0
		.amdhsa_exception_fp_ieee_inexact 0
		.amdhsa_exception_int_div_zero 0
	.end_amdhsa_kernel
	.section	.text._ZN2at6native12compute_modeIN3c108BFloat16ELj1024EEEvPKT_NS_4cuda6detail10TensorInfoIS4_jEENS9_IljEEll,"axG",@progbits,_ZN2at6native12compute_modeIN3c108BFloat16ELj1024EEEvPKT_NS_4cuda6detail10TensorInfoIS4_jEENS9_IljEEll,comdat
.Lfunc_end100:
	.size	_ZN2at6native12compute_modeIN3c108BFloat16ELj1024EEEvPKT_NS_4cuda6detail10TensorInfoIS4_jEENS9_IljEEll, .Lfunc_end100-_ZN2at6native12compute_modeIN3c108BFloat16ELj1024EEEvPKT_NS_4cuda6detail10TensorInfoIS4_jEENS9_IljEEll
                                        ; -- End function
	.set _ZN2at6native12compute_modeIN3c108BFloat16ELj1024EEEvPKT_NS_4cuda6detail10TensorInfoIS4_jEENS9_IljEEll.num_vgpr, 38
	.set _ZN2at6native12compute_modeIN3c108BFloat16ELj1024EEEvPKT_NS_4cuda6detail10TensorInfoIS4_jEENS9_IljEEll.num_agpr, 0
	.set _ZN2at6native12compute_modeIN3c108BFloat16ELj1024EEEvPKT_NS_4cuda6detail10TensorInfoIS4_jEENS9_IljEEll.numbered_sgpr, 22
	.set _ZN2at6native12compute_modeIN3c108BFloat16ELj1024EEEvPKT_NS_4cuda6detail10TensorInfoIS4_jEENS9_IljEEll.num_named_barrier, 0
	.set _ZN2at6native12compute_modeIN3c108BFloat16ELj1024EEEvPKT_NS_4cuda6detail10TensorInfoIS4_jEENS9_IljEEll.private_seg_size, 0
	.set _ZN2at6native12compute_modeIN3c108BFloat16ELj1024EEEvPKT_NS_4cuda6detail10TensorInfoIS4_jEENS9_IljEEll.uses_vcc, 1
	.set _ZN2at6native12compute_modeIN3c108BFloat16ELj1024EEEvPKT_NS_4cuda6detail10TensorInfoIS4_jEENS9_IljEEll.uses_flat_scratch, 0
	.set _ZN2at6native12compute_modeIN3c108BFloat16ELj1024EEEvPKT_NS_4cuda6detail10TensorInfoIS4_jEENS9_IljEEll.has_dyn_sized_stack, 0
	.set _ZN2at6native12compute_modeIN3c108BFloat16ELj1024EEEvPKT_NS_4cuda6detail10TensorInfoIS4_jEENS9_IljEEll.has_recursion, 0
	.set _ZN2at6native12compute_modeIN3c108BFloat16ELj1024EEEvPKT_NS_4cuda6detail10TensorInfoIS4_jEENS9_IljEEll.has_indirect_call, 0
	.section	.AMDGPU.csdata,"",@progbits
; Kernel info:
; codeLenInByte = 13848
; TotalNumSgprs: 26
; NumVgprs: 38
; ScratchSize: 0
; MemoryBound: 0
; FloatMode: 240
; IeeeMode: 1
; LDSByteSize: 2 bytes/workgroup (compile time only)
; SGPRBlocks: 3
; VGPRBlocks: 9
; NumSGPRsForWavesPerEU: 26
; NumVGPRsForWavesPerEU: 38
; Occupancy: 6
; WaveLimiterHint : 1
; COMPUTE_PGM_RSRC2:SCRATCH_EN: 0
; COMPUTE_PGM_RSRC2:USER_SGPR: 6
; COMPUTE_PGM_RSRC2:TRAP_HANDLER: 0
; COMPUTE_PGM_RSRC2:TGID_X_EN: 1
; COMPUTE_PGM_RSRC2:TGID_Y_EN: 1
; COMPUTE_PGM_RSRC2:TGID_Z_EN: 1
; COMPUTE_PGM_RSRC2:TIDIG_COMP_CNT: 0
	.section	.text._ZN2at6native12compute_modeIN3c108BFloat16ELj128EEEvPKT_NS_4cuda6detail10TensorInfoIS4_jEENS9_IljEEll,"axG",@progbits,_ZN2at6native12compute_modeIN3c108BFloat16ELj128EEEvPKT_NS_4cuda6detail10TensorInfoIS4_jEENS9_IljEEll,comdat
	.protected	_ZN2at6native12compute_modeIN3c108BFloat16ELj128EEEvPKT_NS_4cuda6detail10TensorInfoIS4_jEENS9_IljEEll ; -- Begin function _ZN2at6native12compute_modeIN3c108BFloat16ELj128EEEvPKT_NS_4cuda6detail10TensorInfoIS4_jEENS9_IljEEll
	.globl	_ZN2at6native12compute_modeIN3c108BFloat16ELj128EEEvPKT_NS_4cuda6detail10TensorInfoIS4_jEENS9_IljEEll
	.p2align	8
	.type	_ZN2at6native12compute_modeIN3c108BFloat16ELj128EEEvPKT_NS_4cuda6detail10TensorInfoIS4_jEENS9_IljEEll,@function
_ZN2at6native12compute_modeIN3c108BFloat16ELj128EEEvPKT_NS_4cuda6detail10TensorInfoIS4_jEENS9_IljEEll: ; @_ZN2at6native12compute_modeIN3c108BFloat16ELj128EEEvPKT_NS_4cuda6detail10TensorInfoIS4_jEENS9_IljEEll
; %bb.0:
	s_load_dwordx2 s[2:3], s[4:5], 0x1c8
	s_load_dwordx4 s[16:19], s[4:5], 0x1b8
	s_add_u32 s0, s4, 0x1c8
	s_addc_u32 s1, s5, 0
	v_mov_b32_e32 v2, 0
	s_waitcnt lgkmcnt(0)
	s_mul_i32 s3, s3, s8
	s_add_i32 s3, s3, s7
	s_mul_i32 s2, s3, s2
	s_add_i32 s20, s2, s6
	v_mov_b32_e32 v1, s20
	v_cmp_le_i64_e32 vcc, s[18:19], v[1:2]
	s_cbranch_vccnz .LBB101_107
; %bb.1:
	s_load_dwordx2 s[14:15], s[4:5], 0x0
	s_load_dword s6, s[0:1], 0xc
	v_mov_b32_e32 v1, v2
	v_cmp_gt_i64_e32 vcc, s[16:17], v[0:1]
	s_mul_i32 s21, s20, s16
	s_and_saveexec_b64 s[2:3], vcc
	s_cbranch_execz .LBB101_3
; %bb.2:
	v_add_u32_e32 v1, s21, v0
	v_lshlrev_b64 v[3:4], 1, v[1:2]
	s_waitcnt lgkmcnt(0)
	v_mov_b32_e32 v1, s15
	v_add_co_u32_e64 v3, s[0:1], s14, v3
	v_addc_co_u32_e64 v4, s[0:1], v1, v4, s[0:1]
	global_load_ushort v1, v[3:4], off
	v_lshl_add_u32 v3, v0, 1, 2
	s_waitcnt vmcnt(0)
	ds_write_b16 v3, v1
.LBB101_3:
	s_or_b64 exec, exec, s[2:3]
	s_waitcnt lgkmcnt(0)
	s_and_b32 s18, 0xffff, s6
	v_add_u32_e32 v1, s18, v0
	v_cmp_gt_i64_e64 s[0:1], s[16:17], v[1:2]
	s_and_saveexec_b64 s[6:7], s[0:1]
	s_cbranch_execz .LBB101_5
; %bb.4:
	v_add_u32_e32 v2, s21, v1
	v_mov_b32_e32 v3, 0
	v_lshlrev_b64 v[2:3], 1, v[2:3]
	v_mov_b32_e32 v4, s15
	v_add_co_u32_e64 v2, s[2:3], s14, v2
	v_addc_co_u32_e64 v3, s[2:3], v4, v3, s[2:3]
	global_load_ushort v2, v[2:3], off
	v_lshl_add_u32 v1, v1, 1, 2
	s_waitcnt vmcnt(0)
	ds_write_b16 v1, v2
.LBB101_5:
	s_or_b64 exec, exec, s[6:7]
	v_add_u32_e32 v2, 2, v0
	v_cndmask_b32_e64 v1, 0, 1, vcc
	ds_write_b8 v2, v1 offset:256
	v_add_u32_e32 v1, s18, v2
	v_cndmask_b32_e64 v3, 0, 1, s[0:1]
	ds_write_b8 v1, v3 offset:256
	v_mad_u32_u24 v3, v0, 3, v2
	s_waitcnt lgkmcnt(0)
	s_barrier
	v_lshlrev_b32_e32 v1, 1, v0
	s_barrier
	ds_read_b32 v5, v3
	v_sub_u32_e32 v2, v3, v1
	ds_read_u8 v6, v2 offset:256
	ds_read_u8 v7, v2 offset:257
	v_and_b32_e32 v4, 1, v0
	s_waitcnt lgkmcnt(2)
	v_and_b32_e32 v8, 0xffff0000, v5
	v_lshlrev_b32_e32 v9, 16, v5
	v_cmp_lt_f32_e32 vcc, v9, v8
	s_waitcnt lgkmcnt(1)
	v_and_b32_e32 v8, 1, v6
	v_cmp_eq_u32_e64 s[0:1], 1, v8
	s_waitcnt lgkmcnt(0)
	v_cmp_ne_u16_e64 s[2:3], v7, v4
	v_cndmask_b32_e64 v8, 0, 1, s[2:3]
	s_and_b64 vcc, vcc, s[0:1]
	v_cndmask_b32_e32 v8, v8, v0, vcc
	v_and_b32_e32 v8, 1, v8
	v_cmp_eq_u32_e32 vcc, 1, v8
	s_and_saveexec_b64 s[0:1], vcc
	s_cbranch_execz .LBB101_7
; %bb.6:
	v_alignbit_b32 v5, v5, v5, 16
	ds_write_b32 v3, v5
	ds_write_b8 v2, v7 offset:256
	ds_write_b8 v2, v6 offset:257
.LBB101_7:
	s_or_b64 exec, exec, s[0:1]
	v_sub_u32_e32 v7, v1, v4
	v_add_u32_e32 v4, 2, v7
	v_lshl_add_u32 v6, v7, 1, 2
	v_add_u32_e32 v7, v4, v7
	s_waitcnt lgkmcnt(0)
	s_barrier
	ds_read_u16 v9, v7 offset:4
	ds_read_u16 v8, v6
	ds_read_u8 v10, v4 offset:256
	ds_read_u8 v11, v4 offset:258
	v_bfe_u32 v12, v0, 1, 1
	v_and_b32_e32 v5, 2, v0
	s_waitcnt lgkmcnt(3)
	v_lshlrev_b32_e32 v13, 16, v9
	s_waitcnt lgkmcnt(2)
	v_lshlrev_b32_e32 v14, 16, v8
	v_cmp_lt_f32_e64 s[0:1], v14, v13
	s_waitcnt lgkmcnt(1)
	v_and_b32_e32 v13, 1, v10
	v_cmp_eq_u32_e64 s[2:3], 1, v13
	s_waitcnt lgkmcnt(0)
	v_cmp_ne_u16_e64 s[6:7], v11, v12
	v_cndmask_b32_e64 v13, 0, 1, s[6:7]
	s_and_b64 s[0:1], s[0:1], s[2:3]
	v_cndmask_b32_e64 v12, v13, v12, s[0:1]
	v_and_b32_e32 v12, 1, v12
	v_cmp_ne_u32_e32 vcc, 0, v5
	v_cmp_eq_u32_e64 s[0:1], 1, v12
	s_and_saveexec_b64 s[2:3], s[0:1]
	s_xor_b64 s[0:1], exec, s[2:3]
	s_cbranch_execz .LBB101_9
; %bb.8:
	ds_write_b16 v6, v9
	ds_write_b16 v7, v8 offset:4
	ds_write_b8 v4, v11 offset:256
	ds_write_b8 v4, v10 offset:258
.LBB101_9:
	s_or_b64 exec, exec, s[0:1]
	s_waitcnt lgkmcnt(0)
	s_barrier
	ds_read_b32 v8, v3
	v_lshrrev_b32_e32 v10, 1, v5
	ds_read_u8 v5, v2 offset:256
	ds_read_u8 v9, v2 offset:257
	s_waitcnt lgkmcnt(2)
	v_and_b32_e32 v11, 0xffff0000, v8
	v_lshlrev_b32_e32 v12, 16, v8
	v_cmp_lt_f32_e64 s[0:1], v12, v11
	s_waitcnt lgkmcnt(1)
	v_and_b32_e32 v11, 1, v5
	v_cmp_eq_u32_e64 s[2:3], 1, v11
	s_waitcnt lgkmcnt(0)
	v_cmp_ne_u16_e64 s[6:7], v9, v10
	v_cndmask_b32_e64 v10, 0, 1, s[6:7]
	v_cndmask_b32_e64 v11, 0, 1, vcc
	s_and_b64 vcc, s[0:1], s[2:3]
	v_cndmask_b32_e32 v10, v10, v11, vcc
	v_and_b32_e32 v10, 1, v10
	v_cmp_eq_u32_e32 vcc, 1, v10
	s_and_saveexec_b64 s[0:1], vcc
	s_cbranch_execz .LBB101_11
; %bb.10:
	v_alignbit_b32 v8, v8, v8, 16
	ds_write_b32 v3, v8
	ds_write_b8 v2, v9 offset:256
	ds_write_b8 v2, v5 offset:257
.LBB101_11:
	s_or_b64 exec, exec, s[0:1]
	v_and_b32_e32 v8, 3, v0
	v_sub_u32_e32 v10, v1, v8
	v_add_u32_e32 v8, 2, v10
	v_lshl_add_u32 v9, v10, 1, 2
	v_add_u32_e32 v10, v8, v10
	s_waitcnt lgkmcnt(0)
	s_barrier
	ds_read_u16 v12, v10 offset:8
	ds_read_u16 v11, v9
	ds_read_u8 v13, v8 offset:256
	ds_read_u8 v14, v8 offset:260
	v_bfe_u32 v15, v0, 2, 1
	v_and_b32_e32 v5, 4, v0
	s_waitcnt lgkmcnt(3)
	v_lshlrev_b32_e32 v16, 16, v12
	s_waitcnt lgkmcnt(2)
	v_lshlrev_b32_e32 v17, 16, v11
	v_cmp_lt_f32_e64 s[0:1], v17, v16
	s_waitcnt lgkmcnt(1)
	v_and_b32_e32 v16, 1, v13
	v_cmp_eq_u32_e64 s[2:3], 1, v16
	s_waitcnt lgkmcnt(0)
	v_cmp_ne_u16_e64 s[6:7], v14, v15
	v_cndmask_b32_e64 v16, 0, 1, s[6:7]
	s_and_b64 s[0:1], s[0:1], s[2:3]
	v_cndmask_b32_e64 v15, v16, v15, s[0:1]
	v_and_b32_e32 v15, 1, v15
	v_cmp_ne_u32_e32 vcc, 0, v5
	v_cmp_eq_u32_e64 s[0:1], 1, v15
	s_and_saveexec_b64 s[2:3], s[0:1]
	s_cbranch_execz .LBB101_13
; %bb.12:
	ds_write_b16 v9, v12
	ds_write_b16 v10, v11 offset:8
	ds_write_b8 v8, v14 offset:256
	ds_write_b8 v8, v13 offset:260
.LBB101_13:
	s_or_b64 exec, exec, s[2:3]
	s_waitcnt lgkmcnt(0)
	s_barrier
	ds_read_u16 v13, v7 offset:4
	ds_read_u16 v12, v6
	ds_read_u8 v14, v4 offset:256
	ds_read_u8 v15, v4 offset:258
	v_lshrrev_b32_e32 v5, 2, v5
	s_waitcnt lgkmcnt(3)
	v_lshlrev_b32_e32 v11, 16, v13
	s_waitcnt lgkmcnt(2)
	v_lshlrev_b32_e32 v16, 16, v12
	v_cmp_lt_f32_e64 s[0:1], v16, v11
	s_waitcnt lgkmcnt(1)
	v_and_b32_e32 v11, 1, v14
	v_cmp_eq_u32_e64 s[2:3], 1, v11
	s_waitcnt lgkmcnt(0)
	v_cmp_ne_u16_e64 s[6:7], v15, v5
	v_cndmask_b32_e64 v16, 0, 1, s[6:7]
	v_cndmask_b32_e64 v11, 0, 1, vcc
	s_and_b64 vcc, s[0:1], s[2:3]
	v_cndmask_b32_e32 v16, v16, v11, vcc
	v_and_b32_e32 v16, 1, v16
	v_cmp_eq_u32_e32 vcc, 1, v16
	s_and_saveexec_b64 s[0:1], vcc
	s_cbranch_execz .LBB101_15
; %bb.14:
	ds_write_b16 v6, v13
	ds_write_b16 v7, v12 offset:4
	ds_write_b8 v4, v15 offset:256
	ds_write_b8 v4, v14 offset:258
.LBB101_15:
	s_or_b64 exec, exec, s[0:1]
	s_waitcnt lgkmcnt(0)
	s_barrier
	ds_read_b32 v12, v3
	ds_read_u8 v13, v2 offset:256
	ds_read_u8 v14, v2 offset:257
	s_waitcnt lgkmcnt(2)
	v_and_b32_e32 v15, 0xffff0000, v12
	v_lshlrev_b32_e32 v16, 16, v12
	v_cmp_lt_f32_e32 vcc, v16, v15
	s_waitcnt lgkmcnt(1)
	v_and_b32_e32 v15, 1, v13
	v_cmp_eq_u32_e64 s[0:1], 1, v15
	s_waitcnt lgkmcnt(0)
	v_cmp_ne_u16_e64 s[2:3], v14, v5
	v_cndmask_b32_e64 v5, 0, 1, s[2:3]
	s_and_b64 vcc, vcc, s[0:1]
	v_cndmask_b32_e32 v5, v5, v11, vcc
	v_and_b32_e32 v5, 1, v5
	v_cmp_eq_u32_e32 vcc, 1, v5
	s_and_saveexec_b64 s[0:1], vcc
	s_cbranch_execz .LBB101_17
; %bb.16:
	v_alignbit_b32 v5, v12, v12, 16
	ds_write_b32 v3, v5
	ds_write_b8 v2, v14 offset:256
	ds_write_b8 v2, v13 offset:257
.LBB101_17:
	s_or_b64 exec, exec, s[0:1]
	v_and_b32_e32 v11, 7, v0
	v_sub_u32_e32 v13, v1, v11
	v_add_u32_e32 v11, 2, v13
	v_lshl_add_u32 v12, v13, 1, 2
	v_add_u32_e32 v13, v11, v13
	s_waitcnt lgkmcnt(0)
	s_barrier
	ds_read_u16 v15, v13 offset:16
	ds_read_u16 v14, v12
	ds_read_u8 v16, v11 offset:256
	ds_read_u8 v17, v11 offset:264
	v_bfe_u32 v18, v0, 3, 1
	v_and_b32_e32 v5, 8, v0
	s_waitcnt lgkmcnt(3)
	v_lshlrev_b32_e32 v19, 16, v15
	s_waitcnt lgkmcnt(2)
	v_lshlrev_b32_e32 v20, 16, v14
	v_cmp_lt_f32_e64 s[0:1], v20, v19
	s_waitcnt lgkmcnt(1)
	v_and_b32_e32 v19, 1, v16
	v_cmp_eq_u32_e64 s[2:3], 1, v19
	s_waitcnt lgkmcnt(0)
	v_cmp_ne_u16_e64 s[6:7], v17, v18
	v_cndmask_b32_e64 v19, 0, 1, s[6:7]
	s_and_b64 s[0:1], s[0:1], s[2:3]
	v_cndmask_b32_e64 v18, v19, v18, s[0:1]
	v_and_b32_e32 v18, 1, v18
	v_cmp_ne_u32_e32 vcc, 0, v5
	v_cmp_eq_u32_e64 s[0:1], 1, v18
	s_and_saveexec_b64 s[2:3], s[0:1]
	s_cbranch_execz .LBB101_19
; %bb.18:
	ds_write_b16 v12, v15
	ds_write_b16 v13, v14 offset:16
	ds_write_b8 v11, v17 offset:256
	ds_write_b8 v11, v16 offset:264
.LBB101_19:
	s_or_b64 exec, exec, s[2:3]
	s_waitcnt lgkmcnt(0)
	s_barrier
	ds_read_u16 v16, v10 offset:8
	ds_read_u16 v15, v9
	ds_read_u8 v17, v8 offset:256
	ds_read_u8 v18, v8 offset:260
	v_lshrrev_b32_e32 v5, 3, v5
	s_waitcnt lgkmcnt(3)
	v_lshlrev_b32_e32 v14, 16, v16
	s_waitcnt lgkmcnt(2)
	v_lshlrev_b32_e32 v19, 16, v15
	v_cmp_lt_f32_e64 s[0:1], v19, v14
	s_waitcnt lgkmcnt(1)
	v_and_b32_e32 v14, 1, v17
	v_cmp_eq_u32_e64 s[2:3], 1, v14
	s_waitcnt lgkmcnt(0)
	v_cmp_ne_u16_e64 s[6:7], v18, v5
	v_cndmask_b32_e64 v19, 0, 1, s[6:7]
	v_cndmask_b32_e64 v14, 0, 1, vcc
	s_and_b64 vcc, s[0:1], s[2:3]
	v_cndmask_b32_e32 v19, v19, v14, vcc
	v_and_b32_e32 v19, 1, v19
	v_cmp_eq_u32_e32 vcc, 1, v19
	s_and_saveexec_b64 s[0:1], vcc
	s_cbranch_execz .LBB101_21
; %bb.20:
	ds_write_b16 v9, v16
	ds_write_b16 v10, v15 offset:8
	ds_write_b8 v8, v18 offset:256
	ds_write_b8 v8, v17 offset:260
.LBB101_21:
	s_or_b64 exec, exec, s[0:1]
	s_waitcnt lgkmcnt(0)
	s_barrier
	ds_read_u16 v16, v7 offset:4
	ds_read_u16 v15, v6
	ds_read_u8 v17, v4 offset:256
	ds_read_u8 v18, v4 offset:258
	s_waitcnt lgkmcnt(3)
	v_lshlrev_b32_e32 v19, 16, v16
	s_waitcnt lgkmcnt(2)
	v_lshlrev_b32_e32 v20, 16, v15
	v_cmp_lt_f32_e32 vcc, v20, v19
	s_waitcnt lgkmcnt(1)
	v_and_b32_e32 v19, 1, v17
	v_cmp_eq_u32_e64 s[0:1], 1, v19
	s_waitcnt lgkmcnt(0)
	v_cmp_ne_u16_e64 s[2:3], v18, v5
	v_cndmask_b32_e64 v19, 0, 1, s[2:3]
	s_and_b64 vcc, vcc, s[0:1]
	v_cndmask_b32_e32 v19, v19, v14, vcc
	v_and_b32_e32 v19, 1, v19
	v_cmp_eq_u32_e32 vcc, 1, v19
	s_and_saveexec_b64 s[0:1], vcc
	s_cbranch_execz .LBB101_23
; %bb.22:
	ds_write_b16 v6, v16
	ds_write_b16 v7, v15 offset:4
	ds_write_b8 v4, v18 offset:256
	ds_write_b8 v4, v17 offset:258
.LBB101_23:
	s_or_b64 exec, exec, s[0:1]
	s_waitcnt lgkmcnt(0)
	s_barrier
	ds_read_b32 v15, v3
	ds_read_u8 v16, v2 offset:256
	ds_read_u8 v17, v2 offset:257
	s_waitcnt lgkmcnt(2)
	v_and_b32_e32 v18, 0xffff0000, v15
	v_lshlrev_b32_e32 v19, 16, v15
	v_cmp_lt_f32_e32 vcc, v19, v18
	s_waitcnt lgkmcnt(1)
	v_and_b32_e32 v18, 1, v16
	v_cmp_eq_u32_e64 s[0:1], 1, v18
	s_waitcnt lgkmcnt(0)
	v_cmp_ne_u16_e64 s[2:3], v17, v5
	v_cndmask_b32_e64 v5, 0, 1, s[2:3]
	s_and_b64 vcc, vcc, s[0:1]
	v_cndmask_b32_e32 v5, v5, v14, vcc
	v_and_b32_e32 v5, 1, v5
	v_cmp_eq_u32_e32 vcc, 1, v5
	s_and_saveexec_b64 s[0:1], vcc
	s_cbranch_execz .LBB101_25
; %bb.24:
	v_alignbit_b32 v5, v15, v15, 16
	ds_write_b32 v3, v5
	ds_write_b8 v2, v17 offset:256
	ds_write_b8 v2, v16 offset:257
.LBB101_25:
	s_or_b64 exec, exec, s[0:1]
	v_and_b32_e32 v14, 15, v0
	v_sub_u32_e32 v16, v1, v14
	v_add_u32_e32 v14, 2, v16
	v_lshl_add_u32 v15, v16, 1, 2
	v_add_u32_e32 v16, v14, v16
	s_waitcnt lgkmcnt(0)
	s_barrier
	ds_read_u16 v18, v16 offset:32
	ds_read_u16 v17, v15
	ds_read_u8 v19, v14 offset:256
	ds_read_u8 v20, v14 offset:272
	v_bfe_u32 v21, v0, 4, 1
	v_and_b32_e32 v5, 16, v0
	s_waitcnt lgkmcnt(3)
	v_lshlrev_b32_e32 v22, 16, v18
	s_waitcnt lgkmcnt(2)
	v_lshlrev_b32_e32 v23, 16, v17
	v_cmp_lt_f32_e64 s[0:1], v23, v22
	s_waitcnt lgkmcnt(1)
	v_and_b32_e32 v22, 1, v19
	v_cmp_eq_u32_e64 s[2:3], 1, v22
	s_waitcnt lgkmcnt(0)
	v_cmp_ne_u16_e64 s[6:7], v20, v21
	v_cndmask_b32_e64 v22, 0, 1, s[6:7]
	s_and_b64 s[0:1], s[0:1], s[2:3]
	v_cndmask_b32_e64 v21, v22, v21, s[0:1]
	v_and_b32_e32 v21, 1, v21
	v_cmp_ne_u32_e32 vcc, 0, v5
	v_cmp_eq_u32_e64 s[0:1], 1, v21
	s_and_saveexec_b64 s[2:3], s[0:1]
	s_cbranch_execz .LBB101_27
; %bb.26:
	ds_write_b16 v15, v18
	ds_write_b16 v16, v17 offset:32
	ds_write_b8 v14, v20 offset:256
	ds_write_b8 v14, v19 offset:272
.LBB101_27:
	s_or_b64 exec, exec, s[2:3]
	s_waitcnt lgkmcnt(0)
	s_barrier
	ds_read_u16 v19, v13 offset:16
	ds_read_u16 v18, v12
	ds_read_u8 v20, v11 offset:256
	ds_read_u8 v21, v11 offset:264
	v_lshrrev_b32_e32 v5, 4, v5
	s_waitcnt lgkmcnt(3)
	v_lshlrev_b32_e32 v17, 16, v19
	s_waitcnt lgkmcnt(2)
	v_lshlrev_b32_e32 v22, 16, v18
	v_cmp_lt_f32_e64 s[0:1], v22, v17
	s_waitcnt lgkmcnt(1)
	v_and_b32_e32 v17, 1, v20
	v_cmp_eq_u32_e64 s[2:3], 1, v17
	s_waitcnt lgkmcnt(0)
	v_cmp_ne_u16_e64 s[6:7], v21, v5
	v_cndmask_b32_e64 v22, 0, 1, s[6:7]
	v_cndmask_b32_e64 v17, 0, 1, vcc
	s_and_b64 vcc, s[0:1], s[2:3]
	v_cndmask_b32_e32 v22, v22, v17, vcc
	v_and_b32_e32 v22, 1, v22
	v_cmp_eq_u32_e32 vcc, 1, v22
	s_and_saveexec_b64 s[0:1], vcc
	s_cbranch_execz .LBB101_29
; %bb.28:
	ds_write_b16 v12, v19
	ds_write_b16 v13, v18 offset:16
	ds_write_b8 v11, v21 offset:256
	ds_write_b8 v11, v20 offset:264
.LBB101_29:
	s_or_b64 exec, exec, s[0:1]
	s_waitcnt lgkmcnt(0)
	s_barrier
	ds_read_u16 v19, v10 offset:8
	ds_read_u16 v18, v9
	ds_read_u8 v20, v8 offset:256
	ds_read_u8 v21, v8 offset:260
	s_waitcnt lgkmcnt(3)
	v_lshlrev_b32_e32 v22, 16, v19
	s_waitcnt lgkmcnt(2)
	v_lshlrev_b32_e32 v23, 16, v18
	v_cmp_lt_f32_e32 vcc, v23, v22
	s_waitcnt lgkmcnt(1)
	v_and_b32_e32 v22, 1, v20
	v_cmp_eq_u32_e64 s[0:1], 1, v22
	s_waitcnt lgkmcnt(0)
	v_cmp_ne_u16_e64 s[2:3], v21, v5
	v_cndmask_b32_e64 v22, 0, 1, s[2:3]
	s_and_b64 vcc, vcc, s[0:1]
	v_cndmask_b32_e32 v22, v22, v17, vcc
	v_and_b32_e32 v22, 1, v22
	v_cmp_eq_u32_e32 vcc, 1, v22
	s_and_saveexec_b64 s[0:1], vcc
	s_cbranch_execz .LBB101_31
; %bb.30:
	ds_write_b16 v9, v19
	ds_write_b16 v10, v18 offset:8
	ds_write_b8 v8, v21 offset:256
	ds_write_b8 v8, v20 offset:260
.LBB101_31:
	s_or_b64 exec, exec, s[0:1]
	s_waitcnt lgkmcnt(0)
	s_barrier
	ds_read_u16 v19, v7 offset:4
	ds_read_u16 v18, v6
	ds_read_u8 v20, v4 offset:256
	ds_read_u8 v21, v4 offset:258
	s_waitcnt lgkmcnt(3)
	v_lshlrev_b32_e32 v22, 16, v19
	s_waitcnt lgkmcnt(2)
	v_lshlrev_b32_e32 v23, 16, v18
	v_cmp_lt_f32_e32 vcc, v23, v22
	s_waitcnt lgkmcnt(1)
	v_and_b32_e32 v22, 1, v20
	v_cmp_eq_u32_e64 s[0:1], 1, v22
	s_waitcnt lgkmcnt(0)
	v_cmp_ne_u16_e64 s[2:3], v21, v5
	v_cndmask_b32_e64 v22, 0, 1, s[2:3]
	s_and_b64 vcc, vcc, s[0:1]
	v_cndmask_b32_e32 v22, v22, v17, vcc
	v_and_b32_e32 v22, 1, v22
	v_cmp_eq_u32_e32 vcc, 1, v22
	s_and_saveexec_b64 s[0:1], vcc
	s_cbranch_execz .LBB101_33
; %bb.32:
	ds_write_b16 v6, v19
	ds_write_b16 v7, v18 offset:4
	ds_write_b8 v4, v21 offset:256
	ds_write_b8 v4, v20 offset:258
.LBB101_33:
	s_or_b64 exec, exec, s[0:1]
	s_waitcnt lgkmcnt(0)
	s_barrier
	ds_read_b32 v18, v3
	ds_read_u8 v19, v2 offset:256
	ds_read_u8 v20, v2 offset:257
	s_waitcnt lgkmcnt(2)
	v_and_b32_e32 v21, 0xffff0000, v18
	v_lshlrev_b32_e32 v22, 16, v18
	v_cmp_lt_f32_e32 vcc, v22, v21
	s_waitcnt lgkmcnt(1)
	v_and_b32_e32 v21, 1, v19
	v_cmp_eq_u32_e64 s[0:1], 1, v21
	s_waitcnt lgkmcnt(0)
	v_cmp_ne_u16_e64 s[2:3], v20, v5
	v_cndmask_b32_e64 v5, 0, 1, s[2:3]
	s_and_b64 vcc, vcc, s[0:1]
	v_cndmask_b32_e32 v5, v5, v17, vcc
	v_and_b32_e32 v5, 1, v5
	v_cmp_eq_u32_e32 vcc, 1, v5
	s_and_saveexec_b64 s[0:1], vcc
	s_cbranch_execz .LBB101_35
; %bb.34:
	v_alignbit_b32 v5, v18, v18, 16
	ds_write_b32 v3, v5
	ds_write_b8 v2, v20 offset:256
	ds_write_b8 v2, v19 offset:257
.LBB101_35:
	s_or_b64 exec, exec, s[0:1]
	v_and_b32_e32 v17, 31, v0
	v_sub_u32_e32 v19, v1, v17
	v_add_u32_e32 v17, 2, v19
	v_lshl_add_u32 v18, v19, 1, 2
	v_add_u32_e32 v19, v17, v19
	s_waitcnt lgkmcnt(0)
	s_barrier
	ds_read_u16 v21, v19 offset:64
	ds_read_u16 v20, v18
	ds_read_u8 v22, v17 offset:256
	ds_read_u8 v23, v17 offset:288
	v_bfe_u32 v24, v0, 5, 1
	v_and_b32_e32 v5, 32, v0
	s_waitcnt lgkmcnt(3)
	v_lshlrev_b32_e32 v25, 16, v21
	s_waitcnt lgkmcnt(2)
	v_lshlrev_b32_e32 v26, 16, v20
	v_cmp_lt_f32_e64 s[0:1], v26, v25
	s_waitcnt lgkmcnt(1)
	v_and_b32_e32 v25, 1, v22
	v_cmp_eq_u32_e64 s[2:3], 1, v25
	s_waitcnt lgkmcnt(0)
	v_cmp_ne_u16_e64 s[6:7], v23, v24
	v_cndmask_b32_e64 v25, 0, 1, s[6:7]
	s_and_b64 s[0:1], s[0:1], s[2:3]
	v_cndmask_b32_e64 v24, v25, v24, s[0:1]
	v_and_b32_e32 v24, 1, v24
	v_cmp_ne_u32_e32 vcc, 0, v5
	v_cmp_eq_u32_e64 s[0:1], 1, v24
	s_and_saveexec_b64 s[2:3], s[0:1]
	s_cbranch_execz .LBB101_37
; %bb.36:
	ds_write_b16 v18, v21
	ds_write_b16 v19, v20 offset:64
	ds_write_b8 v17, v23 offset:256
	ds_write_b8 v17, v22 offset:288
.LBB101_37:
	s_or_b64 exec, exec, s[2:3]
	s_waitcnt lgkmcnt(0)
	s_barrier
	ds_read_u16 v22, v16 offset:32
	ds_read_u16 v21, v15
	ds_read_u8 v23, v14 offset:256
	ds_read_u8 v24, v14 offset:272
	v_lshrrev_b32_e32 v5, 5, v5
	s_waitcnt lgkmcnt(3)
	v_lshlrev_b32_e32 v20, 16, v22
	s_waitcnt lgkmcnt(2)
	v_lshlrev_b32_e32 v25, 16, v21
	v_cmp_lt_f32_e64 s[0:1], v25, v20
	s_waitcnt lgkmcnt(1)
	v_and_b32_e32 v20, 1, v23
	v_cmp_eq_u32_e64 s[2:3], 1, v20
	s_waitcnt lgkmcnt(0)
	v_cmp_ne_u16_e64 s[6:7], v24, v5
	v_cndmask_b32_e64 v25, 0, 1, s[6:7]
	v_cndmask_b32_e64 v20, 0, 1, vcc
	s_and_b64 vcc, s[0:1], s[2:3]
	v_cndmask_b32_e32 v25, v25, v20, vcc
	v_and_b32_e32 v25, 1, v25
	v_cmp_eq_u32_e32 vcc, 1, v25
	s_and_saveexec_b64 s[0:1], vcc
	s_cbranch_execz .LBB101_39
; %bb.38:
	ds_write_b16 v15, v22
	ds_write_b16 v16, v21 offset:32
	ds_write_b8 v14, v24 offset:256
	ds_write_b8 v14, v23 offset:272
.LBB101_39:
	s_or_b64 exec, exec, s[0:1]
	s_waitcnt lgkmcnt(0)
	s_barrier
	ds_read_u16 v22, v13 offset:16
	ds_read_u16 v21, v12
	ds_read_u8 v23, v11 offset:256
	ds_read_u8 v24, v11 offset:264
	s_waitcnt lgkmcnt(3)
	v_lshlrev_b32_e32 v25, 16, v22
	s_waitcnt lgkmcnt(2)
	v_lshlrev_b32_e32 v26, 16, v21
	v_cmp_lt_f32_e32 vcc, v26, v25
	s_waitcnt lgkmcnt(1)
	v_and_b32_e32 v25, 1, v23
	v_cmp_eq_u32_e64 s[0:1], 1, v25
	s_waitcnt lgkmcnt(0)
	v_cmp_ne_u16_e64 s[2:3], v24, v5
	v_cndmask_b32_e64 v25, 0, 1, s[2:3]
	s_and_b64 vcc, vcc, s[0:1]
	v_cndmask_b32_e32 v25, v25, v20, vcc
	v_and_b32_e32 v25, 1, v25
	v_cmp_eq_u32_e32 vcc, 1, v25
	s_and_saveexec_b64 s[0:1], vcc
	s_cbranch_execz .LBB101_41
; %bb.40:
	ds_write_b16 v12, v22
	ds_write_b16 v13, v21 offset:16
	ds_write_b8 v11, v24 offset:256
	ds_write_b8 v11, v23 offset:264
.LBB101_41:
	s_or_b64 exec, exec, s[0:1]
	s_waitcnt lgkmcnt(0)
	s_barrier
	ds_read_u16 v22, v10 offset:8
	ds_read_u16 v21, v9
	ds_read_u8 v23, v8 offset:256
	ds_read_u8 v24, v8 offset:260
	s_waitcnt lgkmcnt(3)
	v_lshlrev_b32_e32 v25, 16, v22
	s_waitcnt lgkmcnt(2)
	v_lshlrev_b32_e32 v26, 16, v21
	v_cmp_lt_f32_e32 vcc, v26, v25
	s_waitcnt lgkmcnt(1)
	v_and_b32_e32 v25, 1, v23
	v_cmp_eq_u32_e64 s[0:1], 1, v25
	s_waitcnt lgkmcnt(0)
	v_cmp_ne_u16_e64 s[2:3], v24, v5
	v_cndmask_b32_e64 v25, 0, 1, s[2:3]
	s_and_b64 vcc, vcc, s[0:1]
	;; [unrolled: 30-line block ×3, first 2 shown]
	v_cndmask_b32_e32 v25, v25, v20, vcc
	v_and_b32_e32 v25, 1, v25
	v_cmp_eq_u32_e32 vcc, 1, v25
	s_and_saveexec_b64 s[0:1], vcc
	s_cbranch_execz .LBB101_45
; %bb.44:
	ds_write_b16 v6, v22
	ds_write_b16 v7, v21 offset:4
	ds_write_b8 v4, v24 offset:256
	ds_write_b8 v4, v23 offset:258
.LBB101_45:
	s_or_b64 exec, exec, s[0:1]
	s_waitcnt lgkmcnt(0)
	s_barrier
	ds_read_b32 v21, v3
	ds_read_u8 v22, v2 offset:256
	ds_read_u8 v23, v2 offset:257
	s_waitcnt lgkmcnt(2)
	v_and_b32_e32 v24, 0xffff0000, v21
	v_lshlrev_b32_e32 v25, 16, v21
	v_cmp_lt_f32_e32 vcc, v25, v24
	s_waitcnt lgkmcnt(1)
	v_and_b32_e32 v24, 1, v22
	v_cmp_eq_u32_e64 s[0:1], 1, v24
	s_waitcnt lgkmcnt(0)
	v_cmp_ne_u16_e64 s[2:3], v23, v5
	v_cndmask_b32_e64 v5, 0, 1, s[2:3]
	s_and_b64 vcc, vcc, s[0:1]
	v_cndmask_b32_e32 v5, v5, v20, vcc
	v_and_b32_e32 v5, 1, v5
	v_cmp_eq_u32_e32 vcc, 1, v5
	s_and_saveexec_b64 s[0:1], vcc
	s_cbranch_execz .LBB101_47
; %bb.46:
	v_alignbit_b32 v5, v21, v21, 16
	ds_write_b32 v3, v5
	ds_write_b8 v2, v23 offset:256
	ds_write_b8 v2, v22 offset:257
.LBB101_47:
	s_or_b64 exec, exec, s[0:1]
	v_and_b32_e32 v5, 63, v0
	v_sub_u32_e32 v21, v1, v5
	v_add_u32_e32 v20, 2, v21
	v_add_u32_e32 v23, v20, v21
	s_waitcnt lgkmcnt(0)
	s_barrier
	v_lshl_add_u32 v22, v21, 1, 2
	ds_read_u16 v25, v23 offset:128
	ds_read_u16 v24, v22
	ds_read_u8 v26, v20 offset:256
	ds_read_u8 v27, v20 offset:320
	s_waitcnt lgkmcnt(3)
	v_lshlrev_b32_e32 v21, 16, v25
	s_waitcnt lgkmcnt(2)
	v_lshlrev_b32_e32 v28, 16, v24
	v_cmp_nlt_f32_e32 vcc, v28, v21
	s_waitcnt lgkmcnt(1)
	v_and_b32_e32 v21, 1, v26
	v_cmp_eq_u32_e64 s[0:1], 1, v21
	s_xor_b64 s[0:1], s[0:1], -1
	v_mov_b32_e32 v21, 0
	s_or_b64 s[0:1], vcc, s[0:1]
	s_waitcnt lgkmcnt(0)
	v_cmp_ne_u16_sdwa s[2:3], v27, v21 src0_sel:BYTE_0 src1_sel:DWORD
	s_and_b64 s[2:3], s[0:1], s[2:3]
	s_and_saveexec_b64 s[0:1], s[2:3]
	s_cbranch_execz .LBB101_49
; %bb.48:
	ds_write_b16 v22, v25
	ds_write_b16 v23, v24 offset:128
	v_mov_b32_e32 v22, 1
	ds_write_b8 v20, v22 offset:256
	ds_write_b8 v20, v26 offset:320
.LBB101_49:
	s_or_b64 exec, exec, s[0:1]
	s_waitcnt lgkmcnt(0)
	s_barrier
	ds_read_u16 v22, v19 offset:64
	ds_read_u16 v20, v18
	ds_read_u8 v23, v17 offset:256
	ds_read_u8 v24, v17 offset:288
	s_waitcnt lgkmcnt(3)
	v_lshlrev_b32_e32 v25, 16, v22
	s_waitcnt lgkmcnt(2)
	v_lshlrev_b32_e32 v26, 16, v20
	v_cmp_nlt_f32_e32 vcc, v26, v25
	s_waitcnt lgkmcnt(1)
	v_and_b32_e32 v25, 1, v23
	v_cmp_eq_u32_e64 s[0:1], 1, v25
	s_xor_b64 s[0:1], s[0:1], -1
	s_or_b64 s[0:1], vcc, s[0:1]
	s_waitcnt lgkmcnt(0)
	v_cmp_ne_u16_sdwa s[2:3], v24, v21 src0_sel:BYTE_0 src1_sel:DWORD
	s_and_b64 s[2:3], s[0:1], s[2:3]
	s_and_saveexec_b64 s[0:1], s[2:3]
	s_cbranch_execz .LBB101_51
; %bb.50:
	ds_write_b16 v18, v22
	ds_write_b16 v19, v20 offset:64
	v_mov_b32_e32 v18, 1
	ds_write_b8 v17, v18 offset:256
	ds_write_b8 v17, v23 offset:288
.LBB101_51:
	s_or_b64 exec, exec, s[0:1]
	s_waitcnt lgkmcnt(0)
	s_barrier
	ds_read_u16 v19, v16 offset:32
	ds_read_u16 v18, v15
	ds_read_u8 v20, v14 offset:256
	ds_read_u8 v21, v14 offset:272
	s_waitcnt lgkmcnt(3)
	v_lshlrev_b32_e32 v17, 16, v19
	s_waitcnt lgkmcnt(2)
	v_lshlrev_b32_e32 v22, 16, v18
	v_cmp_nlt_f32_e32 vcc, v22, v17
	s_waitcnt lgkmcnt(1)
	v_and_b32_e32 v17, 1, v20
	v_cmp_eq_u32_e64 s[0:1], 1, v17
	s_xor_b64 s[0:1], s[0:1], -1
	v_mov_b32_e32 v17, 0
	s_or_b64 s[0:1], vcc, s[0:1]
	s_waitcnt lgkmcnt(0)
	v_cmp_ne_u16_sdwa s[2:3], v21, v17 src0_sel:BYTE_0 src1_sel:DWORD
	s_and_b64 s[2:3], s[0:1], s[2:3]
	s_and_saveexec_b64 s[0:1], s[2:3]
	s_cbranch_execz .LBB101_53
; %bb.52:
	ds_write_b16 v15, v19
	ds_write_b16 v16, v18 offset:32
	v_mov_b32_e32 v15, 1
	ds_write_b8 v14, v15 offset:256
	ds_write_b8 v14, v20 offset:272
.LBB101_53:
	s_or_b64 exec, exec, s[0:1]
	s_waitcnt lgkmcnt(0)
	s_barrier
	ds_read_u16 v15, v13 offset:16
	ds_read_u16 v14, v12
	ds_read_u8 v16, v11 offset:256
	ds_read_u8 v18, v11 offset:264
	s_waitcnt lgkmcnt(3)
	v_lshlrev_b32_e32 v19, 16, v15
	s_waitcnt lgkmcnt(2)
	v_lshlrev_b32_e32 v20, 16, v14
	v_cmp_nlt_f32_e32 vcc, v20, v19
	s_waitcnt lgkmcnt(1)
	v_and_b32_e32 v19, 1, v16
	v_cmp_eq_u32_e64 s[0:1], 1, v19
	s_xor_b64 s[0:1], s[0:1], -1
	s_or_b64 s[0:1], vcc, s[0:1]
	s_waitcnt lgkmcnt(0)
	v_cmp_ne_u16_sdwa s[2:3], v18, v17 src0_sel:BYTE_0 src1_sel:DWORD
	s_and_b64 s[2:3], s[0:1], s[2:3]
	s_and_saveexec_b64 s[0:1], s[2:3]
	s_cbranch_execz .LBB101_55
; %bb.54:
	ds_write_b16 v12, v15
	ds_write_b16 v13, v14 offset:16
	v_mov_b32_e32 v12, 1
	ds_write_b8 v11, v12 offset:256
	ds_write_b8 v11, v16 offset:264
.LBB101_55:
	s_or_b64 exec, exec, s[0:1]
	s_waitcnt lgkmcnt(0)
	s_barrier
	;; [unrolled: 59-line block ×3, first 2 shown]
	ds_read_b32 v4, v3
	ds_read_u8 v6, v2 offset:256
	ds_read_u8 v7, v2 offset:257
	s_waitcnt lgkmcnt(2)
	v_and_b32_e32 v8, 0xffff0000, v4
	v_lshlrev_b32_e32 v9, 16, v4
	v_cmp_nlt_f32_e32 vcc, v9, v8
	s_waitcnt lgkmcnt(1)
	v_and_b32_e32 v8, 1, v6
	v_cmp_eq_u32_e64 s[0:1], 1, v8
	s_xor_b64 s[0:1], s[0:1], -1
	v_mov_b32_e32 v8, 0
	s_or_b64 s[0:1], vcc, s[0:1]
	s_waitcnt lgkmcnt(0)
	v_cmp_ne_u16_sdwa s[2:3], v7, v8 src0_sel:BYTE_0 src1_sel:DWORD
	s_and_b64 s[2:3], s[0:1], s[2:3]
	s_and_saveexec_b64 s[0:1], s[2:3]
	s_cbranch_execz .LBB101_61
; %bb.60:
	v_alignbit_b32 v4, v4, v4, 16
	ds_write_b32 v3, v4
	v_mov_b32_e32 v4, 1
	ds_write_b8 v2, v4 offset:256
	ds_write_b8 v2, v6 offset:257
.LBB101_61:
	s_or_b64 exec, exec, s[0:1]
	v_cmp_eq_u32_e32 vcc, 0, v0
	s_waitcnt lgkmcnt(0)
	s_barrier
	s_barrier
	s_and_saveexec_b64 s[0:1], vcc
	s_cbranch_execz .LBB101_63
; %bb.62:
	v_mov_b32_e32 v4, 1
	v_mov_b32_e32 v6, 2
	ds_write_b8 v6, v4 offset:260
	v_mov_b32_e32 v4, 0
	ds_write_b32 v6, v4 offset:256
.LBB101_63:
	s_or_b64 exec, exec, s[0:1]
	ds_read_b32 v4, v3
	v_mad_u32_u24 v2, v0, 14, v2
	v_cmp_gt_u32_e64 s[2:3], 63, v0
	s_waitcnt lgkmcnt(0)
	v_and_b32_e32 v3, 0xffff0000, v4
	v_lshlrev_b32_e32 v4, 16, v4
	v_cmp_neq_f32_e64 s[0:1], v4, v3
	v_cndmask_b32_e64 v6, 0, 1, s[0:1]
	v_cmp_eq_f32_e64 s[0:1], v4, v3
	v_cndmask_b32_e64 v4, 0, 1, s[0:1]
	ds_write_b8 v2, v6 offset:268
	ds_write_b32 v2, v4 offset:264
	s_and_saveexec_b64 s[6:7], s[2:3]
	s_cbranch_execz .LBB101_65
; %bb.64:
	v_mad_i32_i24 v4, v0, -12, v2
	ds_read_u16 v6, v4 offset:4
	v_mad_u32_u24 v4, v0, 12, v4
	s_waitcnt lgkmcnt(0)
	v_lshlrev_b32_e32 v6, 16, v6
	v_cmp_neq_f32_e64 s[0:1], v3, v6
	v_cndmask_b32_e64 v7, 0, 1, s[0:1]
	v_cmp_eq_f32_e64 s[0:1], v3, v6
	v_cndmask_b32_e64 v3, 0, 1, s[0:1]
	ds_write_b8 v4, v7 offset:276
	ds_write_b32 v4, v3 offset:272
.LBB101_65:
	s_or_b64 exec, exec, s[6:7]
	v_cmp_gt_u32_e64 s[0:1], 64, v0
	s_waitcnt lgkmcnt(0)
	s_barrier
	s_and_saveexec_b64 s[8:9], s[0:1]
	s_cbranch_execz .LBB101_67
; %bb.66:
	ds_read_u8 v6, v2 offset:268
	ds_read_u8 v7, v2 offset:260
	ds_read2_b32 v[3:4], v2 offset0:64 offset1:66
	s_waitcnt lgkmcnt(2)
	v_and_b32_e32 v8, 1, v6
	v_cmp_eq_u32_e64 s[6:7], 1, v8
	s_waitcnt lgkmcnt(1)
	v_or_b32_e32 v6, v7, v6
	s_waitcnt lgkmcnt(0)
	v_cndmask_b32_e64 v3, v3, 0, s[6:7]
	v_add_u32_e32 v3, v3, v4
	v_and_b32_e32 v4, 1, v6
	ds_write2_b32 v2, v3, v4 offset0:66 offset1:67
.LBB101_67:
	s_or_b64 exec, exec, s[8:9]
	v_add_u32_e32 v8, 2, v1
	v_lshlrev_b32_e32 v3, 1, v8
	v_cmp_gt_u32_e64 s[6:7], 32, v0
	v_lshl_add_u32 v3, v3, 3, 2
	s_waitcnt lgkmcnt(0)
	s_barrier
	s_and_saveexec_b64 s[8:9], s[6:7]
	s_cbranch_execz .LBB101_69
; %bb.68:
	ds_read_u8 v4, v3 offset:252
	ds_read_u8 v9, v3 offset:236
	ds_read2_b32 v[6:7], v3 offset0:58 offset1:62
	s_waitcnt lgkmcnt(2)
	v_and_b32_e32 v10, 1, v4
	v_cmp_eq_u32_e64 s[6:7], 1, v10
	s_waitcnt lgkmcnt(1)
	v_or_b32_e32 v4, v9, v4
	s_waitcnt lgkmcnt(0)
	v_cndmask_b32_e64 v6, v6, 0, s[6:7]
	v_add_u32_e32 v6, v6, v7
	v_and_b32_e32 v4, 1, v4
	ds_write2_b32 v3, v6, v4 offset0:62 offset1:63
.LBB101_69:
	s_or_b64 exec, exec, s[8:9]
	v_lshlrev_b32_e32 v4, 2, v8
	v_cmp_gt_u32_e64 s[6:7], 16, v0
	v_lshl_add_u32 v4, v4, 3, 2
	s_waitcnt lgkmcnt(0)
	s_barrier
	s_and_saveexec_b64 s[8:9], s[6:7]
	s_cbranch_execz .LBB101_71
; %bb.70:
	ds_read_u8 v9, v4 offset:252
	ds_read_u8 v10, v4 offset:220
	ds_read2_b32 v[6:7], v4 offset0:54 offset1:62
	s_waitcnt lgkmcnt(2)
	v_and_b32_e32 v11, 1, v9
	v_cmp_eq_u32_e64 s[6:7], 1, v11
	s_waitcnt lgkmcnt(1)
	v_or_b32_e32 v9, v10, v9
	s_waitcnt lgkmcnt(0)
	v_cndmask_b32_e64 v6, v6, 0, s[6:7]
	v_add_u32_e32 v6, v6, v7
	v_and_b32_e32 v7, 1, v9
	ds_write2_b32 v4, v6, v7 offset0:62 offset1:63
.LBB101_71:
	s_or_b64 exec, exec, s[8:9]
	;; [unrolled: 23-line block ×4, first 2 shown]
	v_lshlrev_b32_e32 v8, 5, v8
	v_cmp_gt_u32_e64 s[6:7], 2, v0
	v_lshl_add_u32 v8, v8, 3, 2
	s_waitcnt lgkmcnt(0)
	s_barrier
	s_and_saveexec_b64 s[8:9], s[6:7]
	s_cbranch_execz .LBB101_77
; %bb.76:
	ds_read_u8 v10, v8 offset:252
	v_add_u32_e32 v9, -8, v8
	v_add_u32_e32 v11, -4, v8
	ds_read_b32 v9, v9
	ds_read_b32 v12, v8 offset:248
	ds_read_u8 v11, v11
	s_waitcnt lgkmcnt(3)
	v_and_b32_e32 v13, 1, v10
	v_cmp_eq_u32_e64 s[6:7], 1, v13
	s_waitcnt lgkmcnt(2)
	v_cndmask_b32_e64 v9, v9, 0, s[6:7]
	s_waitcnt lgkmcnt(0)
	v_or_b32_e32 v10, v11, v10
	v_add_u32_e32 v9, v9, v12
	v_and_b32_e32 v10, 1, v10
	ds_write2_b32 v8, v9, v10 offset0:62 offset1:63
.LBB101_77:
	s_or_b64 exec, exec, s[8:9]
	s_waitcnt lgkmcnt(0)
	s_barrier
	s_and_saveexec_b64 s[8:9], vcc
	s_cbranch_execz .LBB101_79
; %bb.78:
	v_mov_b32_e32 v9, 2
	ds_read_u8 v10, v9 offset:1276
	ds_read_b32 v11, v9 offset:760
	ds_read_b32 v12, v9 offset:1272
	ds_read_u8 v9, v9 offset:764
	s_add_i32 s10, 2, 0x4f8
	s_waitcnt lgkmcnt(3)
	v_and_b32_e32 v13, 1, v10
	v_cmp_eq_u32_e64 s[6:7], 1, v13
	s_waitcnt lgkmcnt(2)
	v_cndmask_b32_e64 v11, v11, 0, s[6:7]
	s_waitcnt lgkmcnt(0)
	v_or_b32_e32 v9, v9, v10
	v_add_u32_e32 v11, v11, v12
	v_and_b32_e32 v9, 1, v9
	v_mov_b32_e32 v10, s10
	ds_write2_b32 v10, v11, v9 offset1:1
.LBB101_79:
	s_or_b64 exec, exec, s[8:9]
	s_waitcnt lgkmcnt(0)
	s_barrier
	s_and_saveexec_b64 s[8:9], vcc
	s_cbranch_execz .LBB101_81
; %bb.80:
	ds_read_u8 v11, v8 offset:508
	ds_read_u8 v12, v8 offset:252
	ds_read2_b32 v[9:10], v8 offset0:62 offset1:126
	s_waitcnt lgkmcnt(2)
	v_and_b32_e32 v13, 1, v11
	v_cmp_eq_u32_e64 s[6:7], 1, v13
	s_waitcnt lgkmcnt(1)
	v_or_b32_e32 v11, v12, v11
	s_waitcnt lgkmcnt(0)
	v_cndmask_b32_e64 v9, v9, 0, s[6:7]
	v_add_u32_e32 v9, v9, v10
	v_and_b32_e32 v10, 1, v11
	ds_write2_b32 v8, v9, v10 offset0:126 offset1:127
.LBB101_81:
	s_or_b64 exec, exec, s[8:9]
	v_cmp_gt_u32_e64 s[6:7], 3, v0
	s_waitcnt lgkmcnt(0)
	s_barrier
	s_and_saveexec_b64 s[8:9], s[6:7]
	s_cbranch_execz .LBB101_83
; %bb.82:
	ds_read_u8 v10, v7 offset:380
	ds_read_u8 v11, v7 offset:252
	ds_read2_b32 v[8:9], v7 offset0:62 offset1:94
	s_waitcnt lgkmcnt(2)
	v_and_b32_e32 v12, 1, v10
	v_cmp_eq_u32_e64 s[6:7], 1, v12
	s_waitcnt lgkmcnt(1)
	v_or_b32_e32 v10, v11, v10
	s_waitcnt lgkmcnt(0)
	v_cndmask_b32_e64 v8, v8, 0, s[6:7]
	v_add_u32_e32 v8, v8, v9
	v_and_b32_e32 v9, 1, v10
	ds_write2_b32 v7, v8, v9 offset0:94 offset1:95
.LBB101_83:
	s_or_b64 exec, exec, s[8:9]
	v_cmp_gt_u32_e64 s[6:7], 7, v0
	s_waitcnt lgkmcnt(0)
	s_barrier
	s_and_saveexec_b64 s[8:9], s[6:7]
	;; [unrolled: 21-line block ×4, first 2 shown]
	s_cbranch_execz .LBB101_89
; %bb.88:
	ds_read_u8 v4, v3 offset:268
	ds_read_u8 v8, v3 offset:252
	ds_read2_b32 v[6:7], v3 offset0:62 offset1:66
	s_waitcnt lgkmcnt(2)
	v_and_b32_e32 v9, 1, v4
	v_cmp_eq_u32_e64 s[6:7], 1, v9
	s_waitcnt lgkmcnt(1)
	v_or_b32_e32 v4, v8, v4
	s_waitcnt lgkmcnt(0)
	v_cndmask_b32_e64 v6, v6, 0, s[6:7]
	v_add_u32_e32 v6, v6, v7
	v_and_b32_e32 v4, 1, v4
	ds_write2_b32 v3, v6, v4 offset0:66 offset1:67
.LBB101_89:
	s_or_b64 exec, exec, s[8:9]
	v_lshl_add_u32 v3, v1, 3, 2
	s_waitcnt lgkmcnt(0)
	s_barrier
	s_and_saveexec_b64 s[6:7], s[2:3]
	s_cbranch_execz .LBB101_91
; %bb.90:
	ds_read_u8 v4, v3 offset:276
	ds_read_b32 v6, v2 offset:264
	ds_read_b32 v7, v3 offset:272
	ds_read_u8 v8, v2 offset:268
	s_waitcnt lgkmcnt(3)
	v_and_b32_e32 v9, 1, v4
	v_cmp_eq_u32_e64 s[2:3], 1, v9
	s_waitcnt lgkmcnt(2)
	v_cndmask_b32_e64 v6, v6, 0, s[2:3]
	s_waitcnt lgkmcnt(0)
	v_or_b32_e32 v4, v8, v4
	v_add_u32_e32 v6, v6, v7
	v_and_b32_e32 v4, 1, v4
	ds_write2_b32 v3, v6, v4 offset0:68 offset1:69
.LBB101_91:
	s_or_b64 exec, exec, s[6:7]
	s_waitcnt lgkmcnt(0)
	s_barrier
	ds_read_b32 v4, v3 offset:256
	ds_read_b32 v2, v2 offset:264
	v_or_b32_e32 v3, 1, v1
	v_cmp_gt_u32_e64 s[2:3], s16, v1
	v_cmp_gt_u32_e64 s[6:7], s16, v3
	v_mbcnt_lo_u32_b32 v6, -1, 0
	s_waitcnt lgkmcnt(1)
	v_cndmask_b32_e64 v4, 0, v4, s[2:3]
	s_waitcnt lgkmcnt(0)
	v_cndmask_b32_e64 v2, 0, v2, s[6:7]
	v_mbcnt_hi_u32_b32 v11, -1, v6
	v_mov_b32_e32 v6, 0x80
	v_cndmask_b32_e64 v7, 0, v1, s[2:3]
	v_cndmask_b32_e64 v8, 0, v3, s[6:7]
	v_max_u32_e32 v9, v2, v4
	v_lshl_or_b32 v6, v11, 2, v6
	v_cmp_gt_u32_e64 s[8:9], v2, v4
	ds_bpermute_b32 v10, v6, v9
	v_cndmask_b32_e64 v2, v7, v8, s[8:9]
	ds_bpermute_b32 v4, v6, v2
	v_and_b32_e32 v12, 63, v11
	v_cmp_gt_u32_e64 s[8:9], 48, v12
	v_cndmask_b32_e64 v7, 0, 16, s[8:9]
	s_waitcnt lgkmcnt(1)
	v_max_u32_e32 v13, v10, v9
	v_add_lshl_u32 v7, v7, v11, 2
	v_cmp_gt_u32_e64 s[8:9], v10, v9
	ds_bpermute_b32 v14, v7, v13
	s_waitcnt lgkmcnt(1)
	v_cndmask_b32_e64 v2, v2, v4, s[8:9]
	ds_bpermute_b32 v4, v7, v2
	v_cmp_gt_u32_e64 s[8:9], 56, v12
	v_cndmask_b32_e64 v8, 0, 8, s[8:9]
	s_waitcnt lgkmcnt(1)
	v_max_u32_e32 v10, v14, v13
	v_add_lshl_u32 v8, v8, v11, 2
	v_cmp_gt_u32_e64 s[8:9], v14, v13
	ds_bpermute_b32 v15, v8, v10
	s_waitcnt lgkmcnt(1)
	v_cndmask_b32_e64 v2, v2, v4, s[8:9]
	ds_bpermute_b32 v4, v8, v2
	;; [unrolled: 10-line block ×4, first 2 shown]
	s_waitcnt lgkmcnt(0)
	s_barrier
	v_cmp_gt_u32_e64 s[8:9], v16, v15
	v_max_u32_e32 v2, v16, v15
	v_cndmask_b32_e64 v4, v4, v13, s[8:9]
	v_cmp_ne_u32_e64 s[8:9], 63, v12
	v_addc_co_u32_e64 v11, s[8:9], 0, v11, s[8:9]
	v_lshlrev_b32_e32 v11, 2, v11
	ds_bpermute_b32 v12, v11, v4
	ds_bpermute_b32 v13, v11, v2
	v_cmp_eq_u32_e64 s[8:9], 0, v5
	s_waitcnt lgkmcnt(0)
	s_barrier
	s_and_saveexec_b64 s[12:13], s[8:9]
	s_cbranch_execz .LBB101_93
; %bb.92:
	v_lshrrev_b32_e32 v14, 3, v0
	v_cmp_gt_u32_e64 s[10:11], v13, v2
	v_add_u32_e32 v14, 2, v14
	v_cndmask_b32_e64 v4, v4, v12, s[10:11]
	v_max_u32_e32 v2, v13, v2
	ds_write2_b32 v14, v2, v4 offset0:64 offset1:65
.LBB101_93:
	s_or_b64 exec, exec, s[12:13]
	s_lshr_b32 s10, s18, 6
	v_cmp_gt_u32_e64 s[10:11], s10, v0
	v_lshl_add_u32 v12, v5, 3, 2
	v_mov_b32_e32 v2, 0
	v_mov_b32_e32 v4, 0
	s_waitcnt lgkmcnt(0)
	s_barrier
	s_and_saveexec_b64 s[12:13], s[10:11]
	s_cbranch_execnz .LBB101_108
; %bb.94:
	s_or_b64 exec, exec, s[12:13]
	s_and_saveexec_b64 s[12:13], s[10:11]
	s_cbranch_execnz .LBB101_109
.LBB101_95:
	s_or_b64 exec, exec, s[12:13]
	s_and_saveexec_b64 s[18:19], s[0:1]
	s_cbranch_execnz .LBB101_110
.LBB101_96:
	s_or_b64 exec, exec, s[18:19]
	s_and_saveexec_b64 s[12:13], vcc
	s_cbranch_execz .LBB101_98
.LBB101_97:
	s_waitcnt lgkmcnt(0)
	v_lshl_add_u32 v2, v2, 1, 2
	ds_read_u16 v2, v2
	v_mov_b32_e32 v4, 0
	s_waitcnt lgkmcnt(0)
	ds_write_b16 v4, v2
.LBB101_98:
	s_or_b64 exec, exec, s[12:13]
	s_waitcnt lgkmcnt(0)
	v_mov_b32_e32 v2, 0
	v_cmp_gt_i64_e64 s[12:13], s[16:17], v[1:2]
	v_mov_b32_e32 v13, 0
	s_barrier
	s_and_saveexec_b64 s[18:19], s[12:13]
	s_cbranch_execz .LBB101_100
; %bb.99:
	v_add_u32_e32 v13, s21, v1
	v_mov_b32_e32 v14, 0
	v_lshlrev_b64 v[15:16], 1, v[13:14]
	v_mov_b32_e32 v4, s15
	v_add_co_u32_e64 v15, s[12:13], s14, v15
	v_addc_co_u32_e64 v16, s[12:13], v4, v16, s[12:13]
	global_load_ushort v4, v[15:16], off
	ds_read_u16 v13, v14
	s_waitcnt lgkmcnt(0)
	v_lshlrev_b32_e32 v13, 16, v13
	s_waitcnt vmcnt(0)
	v_lshlrev_b32_e32 v4, 16, v4
	v_cmp_eq_f32_e64 s[12:13], v4, v13
	v_cndmask_b32_e64 v13, 0, v1, s[12:13]
.LBB101_100:
	s_or_b64 exec, exec, s[18:19]
	v_mov_b32_e32 v4, v2
	v_cmp_gt_i64_e64 s[12:13], s[16:17], v[3:4]
	s_and_saveexec_b64 s[16:17], s[12:13]
	s_cbranch_execz .LBB101_102
; %bb.101:
	v_add_u32_e32 v1, s21, v3
	v_mov_b32_e32 v2, 0
	v_lshlrev_b64 v[14:15], 1, v[1:2]
	v_mov_b32_e32 v1, s15
	v_add_co_u32_e64 v14, s[12:13], s14, v14
	v_addc_co_u32_e64 v15, s[12:13], v1, v15, s[12:13]
	global_load_ushort v1, v[14:15], off
	ds_read_u16 v2, v2
	s_waitcnt lgkmcnt(0)
	v_lshlrev_b32_e32 v2, 16, v2
	s_waitcnt vmcnt(0)
	v_lshlrev_b32_e32 v1, 16, v1
	v_cmp_eq_f32_e64 s[12:13], v1, v2
	v_cndmask_b32_e64 v2, 0, v3, s[12:13]
.LBB101_102:
	s_or_b64 exec, exec, s[16:17]
	v_cndmask_b32_e64 v1, 0, v13, s[2:3]
	v_max_u32_e32 v2, v2, v1
	v_cndmask_b32_e64 v1, v1, v2, s[6:7]
	ds_bpermute_b32 v2, v6, v1
	s_waitcnt lgkmcnt(0)
	s_barrier
	v_max_u32_e32 v1, v2, v1
	ds_bpermute_b32 v2, v7, v1
	s_waitcnt lgkmcnt(0)
	v_max_u32_e32 v1, v2, v1
	ds_bpermute_b32 v2, v8, v1
	s_waitcnt lgkmcnt(0)
	;; [unrolled: 3-line block ×4, first 2 shown]
	v_max_u32_e32 v1, v2, v1
	ds_bpermute_b32 v2, v11, v1
	s_and_saveexec_b64 s[2:3], s[8:9]
	s_cbranch_execz .LBB101_104
; %bb.103:
	v_lshrrev_b32_e32 v0, 4, v0
	v_add_u32_e32 v0, 2, v0
	s_waitcnt lgkmcnt(0)
	v_max_u32_e32 v1, v2, v1
	ds_write_b32 v0, v1
.LBB101_104:
	s_or_b64 exec, exec, s[2:3]
	v_mov_b32_e32 v0, 0
	s_waitcnt lgkmcnt(0)
	s_barrier
	s_and_saveexec_b64 s[2:3], s[10:11]
	s_cbranch_execnz .LBB101_111
; %bb.105:
	s_or_b64 exec, exec, s[2:3]
	s_and_saveexec_b64 s[2:3], s[0:1]
	s_cbranch_execnz .LBB101_112
.LBB101_106:
	s_or_b64 exec, exec, s[2:3]
	s_and_saveexec_b64 s[0:1], vcc
	s_cbranch_execnz .LBB101_113
.LBB101_107:
	s_endpgm
.LBB101_108:
	ds_read_b32 v4, v12 offset:256
	s_or_b64 exec, exec, s[12:13]
	s_and_saveexec_b64 s[12:13], s[10:11]
	s_cbranch_execz .LBB101_95
.LBB101_109:
	ds_read_b32 v2, v12 offset:260
	s_or_b64 exec, exec, s[12:13]
	s_and_saveexec_b64 s[18:19], s[0:1]
	s_cbranch_execz .LBB101_96
.LBB101_110:
	s_waitcnt lgkmcnt(0)
	ds_bpermute_b32 v13, v6, v4
	ds_bpermute_b32 v14, v6, v2
	s_waitcnt lgkmcnt(1)
	v_max_u32_e32 v15, v13, v4
	v_cmp_gt_u32_e64 s[12:13], v13, v4
	ds_bpermute_b32 v16, v7, v15
	s_waitcnt lgkmcnt(1)
	v_cndmask_b32_e64 v2, v2, v14, s[12:13]
	ds_bpermute_b32 v4, v7, v2
	s_waitcnt lgkmcnt(1)
	v_max_u32_e32 v13, v16, v15
	v_cmp_gt_u32_e64 s[12:13], v16, v15
	ds_bpermute_b32 v14, v8, v13
	s_waitcnt lgkmcnt(1)
	v_cndmask_b32_e64 v2, v2, v4, s[12:13]
	ds_bpermute_b32 v4, v8, v2
	s_waitcnt lgkmcnt(1)
	v_max_u32_e32 v15, v14, v13
	v_cmp_gt_u32_e64 s[12:13], v14, v13
	ds_bpermute_b32 v16, v9, v15
	s_waitcnt lgkmcnt(1)
	v_cndmask_b32_e64 v2, v2, v4, s[12:13]
	ds_bpermute_b32 v4, v9, v2
	s_waitcnt lgkmcnt(1)
	v_max_u32_e32 v13, v16, v15
	v_cmp_gt_u32_e64 s[12:13], v16, v15
	ds_bpermute_b32 v14, v10, v13
	s_waitcnt lgkmcnt(1)
	v_cndmask_b32_e64 v2, v2, v4, s[12:13]
	ds_bpermute_b32 v4, v10, v2
	s_waitcnt lgkmcnt(1)
	v_max_u32_e32 v15, v14, v13
	v_cmp_gt_u32_e64 s[12:13], v14, v13
	s_waitcnt lgkmcnt(0)
	v_cndmask_b32_e64 v2, v2, v4, s[12:13]
	ds_bpermute_b32 v4, v11, v15
	ds_bpermute_b32 v13, v11, v2
	s_waitcnt lgkmcnt(1)
	v_cmp_gt_u32_e64 s[12:13], v4, v15
	s_waitcnt lgkmcnt(0)
	v_cndmask_b32_e64 v2, v2, v13, s[12:13]
	s_or_b64 exec, exec, s[18:19]
	s_and_saveexec_b64 s[12:13], vcc
	s_cbranch_execnz .LBB101_97
	s_branch .LBB101_98
.LBB101_111:
	v_lshlrev_b32_e32 v0, 2, v5
	v_sub_u32_e32 v0, v12, v0
	ds_read_b32 v0, v0
	s_or_b64 exec, exec, s[2:3]
	s_and_saveexec_b64 s[2:3], s[0:1]
	s_cbranch_execz .LBB101_106
.LBB101_112:
	s_waitcnt lgkmcnt(0)
	ds_bpermute_b32 v1, v6, v0
	s_waitcnt lgkmcnt(0)
	v_max_u32_e32 v0, v1, v0
	ds_bpermute_b32 v1, v7, v0
	s_waitcnt lgkmcnt(0)
	v_max_u32_e32 v0, v1, v0
	;; [unrolled: 3-line block ×6, first 2 shown]
	s_or_b64 exec, exec, s[2:3]
	s_and_saveexec_b64 s[0:1], vcc
	s_cbranch_execz .LBB101_107
.LBB101_113:
	s_load_dword s2, s[4:5], 0xd8
	s_load_dwordx2 s[0:1], s[4:5], 0xe0
	s_add_u32 s4, s4, 8
	s_addc_u32 s5, s5, 0
	s_mov_b32 s3, 0
	s_waitcnt lgkmcnt(0)
	s_cmp_lt_i32 s2, 2
	s_cbranch_scc1 .LBB101_116
; %bb.114:
	s_add_i32 s8, s2, 1
	s_add_i32 s2, s2, -1
	s_lshl_b64 s[6:7], s[2:3], 2
	s_add_u32 s2, s4, s6
	s_addc_u32 s7, s5, s7
	s_add_u32 s6, s2, 8
	s_addc_u32 s7, s7, 0
.LBB101_115:                            ; =>This Inner Loop Header: Depth=1
	s_load_dword s2, s[6:7], 0x0
	s_load_dword s10, s[6:7], 0x64
	s_mov_b32 s9, s20
	s_waitcnt lgkmcnt(0)
	v_cvt_f32_u32_e32 v1, s2
	s_sub_i32 s11, 0, s2
	v_rcp_iflag_f32_e32 v1, v1
	v_mul_f32_e32 v1, 0x4f7ffffe, v1
	v_cvt_u32_f32_e32 v1, v1
	v_readfirstlane_b32 s12, v1
	s_mul_i32 s11, s11, s12
	s_mul_hi_u32 s11, s12, s11
	s_add_i32 s12, s12, s11
	s_mul_hi_u32 s11, s20, s12
	s_mul_i32 s12, s11, s2
	s_sub_i32 s12, s20, s12
	s_add_i32 s13, s11, 1
	s_sub_i32 s14, s12, s2
	s_cmp_ge_u32 s12, s2
	s_cselect_b32 s11, s13, s11
	s_cselect_b32 s12, s14, s12
	s_add_i32 s13, s11, 1
	s_cmp_ge_u32 s12, s2
	s_cselect_b32 s20, s13, s11
	s_mul_i32 s2, s20, s2
	s_sub_i32 s2, s9, s2
	s_mul_i32 s2, s10, s2
	s_add_i32 s8, s8, -1
	s_add_i32 s3, s2, s3
	s_add_u32 s6, s6, -4
	s_addc_u32 s7, s7, -1
	s_cmp_gt_u32 s8, 2
	s_cbranch_scc1 .LBB101_115
.LBB101_116:
	s_load_dword s2, s[4:5], 0x6c
	v_mov_b32_e32 v1, 0
	s_load_dwordx2 s[4:5], s[4:5], 0x0
	ds_read_u16 v2, v1
	s_mov_b32 s7, 0
	s_waitcnt lgkmcnt(0)
	s_mul_i32 s2, s2, s20
	s_add_i32 s6, s2, s3
	s_lshl_b64 s[2:3], s[6:7], 1
	s_add_u32 s2, s4, s2
	s_addc_u32 s3, s5, s3
	global_store_short v1, v2, s[2:3]
	s_lshl_b64 s[2:3], s[6:7], 3
	s_add_u32 s0, s0, s2
	s_addc_u32 s1, s1, s3
	global_store_dwordx2 v1, v[0:1], s[0:1]
	s_endpgm
	.section	.rodata,"a",@progbits
	.p2align	6, 0x0
	.amdhsa_kernel _ZN2at6native12compute_modeIN3c108BFloat16ELj128EEEvPKT_NS_4cuda6detail10TensorInfoIS4_jEENS9_IljEEll
		.amdhsa_group_segment_fixed_size 2
		.amdhsa_private_segment_fixed_size 0
		.amdhsa_kernarg_size 712
		.amdhsa_user_sgpr_count 6
		.amdhsa_user_sgpr_private_segment_buffer 1
		.amdhsa_user_sgpr_dispatch_ptr 0
		.amdhsa_user_sgpr_queue_ptr 0
		.amdhsa_user_sgpr_kernarg_segment_ptr 1
		.amdhsa_user_sgpr_dispatch_id 0
		.amdhsa_user_sgpr_flat_scratch_init 0
		.amdhsa_user_sgpr_private_segment_size 0
		.amdhsa_uses_dynamic_stack 0
		.amdhsa_system_sgpr_private_segment_wavefront_offset 0
		.amdhsa_system_sgpr_workgroup_id_x 1
		.amdhsa_system_sgpr_workgroup_id_y 1
		.amdhsa_system_sgpr_workgroup_id_z 1
		.amdhsa_system_sgpr_workgroup_info 0
		.amdhsa_system_vgpr_workitem_id 0
		.amdhsa_next_free_vgpr 29
		.amdhsa_next_free_sgpr 22
		.amdhsa_reserve_vcc 1
		.amdhsa_reserve_flat_scratch 0
		.amdhsa_float_round_mode_32 0
		.amdhsa_float_round_mode_16_64 0
		.amdhsa_float_denorm_mode_32 3
		.amdhsa_float_denorm_mode_16_64 3
		.amdhsa_dx10_clamp 1
		.amdhsa_ieee_mode 1
		.amdhsa_fp16_overflow 0
		.amdhsa_exception_fp_ieee_invalid_op 0
		.amdhsa_exception_fp_denorm_src 0
		.amdhsa_exception_fp_ieee_div_zero 0
		.amdhsa_exception_fp_ieee_overflow 0
		.amdhsa_exception_fp_ieee_underflow 0
		.amdhsa_exception_fp_ieee_inexact 0
		.amdhsa_exception_int_div_zero 0
	.end_amdhsa_kernel
	.section	.text._ZN2at6native12compute_modeIN3c108BFloat16ELj128EEEvPKT_NS_4cuda6detail10TensorInfoIS4_jEENS9_IljEEll,"axG",@progbits,_ZN2at6native12compute_modeIN3c108BFloat16ELj128EEEvPKT_NS_4cuda6detail10TensorInfoIS4_jEENS9_IljEEll,comdat
.Lfunc_end101:
	.size	_ZN2at6native12compute_modeIN3c108BFloat16ELj128EEEvPKT_NS_4cuda6detail10TensorInfoIS4_jEENS9_IljEEll, .Lfunc_end101-_ZN2at6native12compute_modeIN3c108BFloat16ELj128EEEvPKT_NS_4cuda6detail10TensorInfoIS4_jEENS9_IljEEll
                                        ; -- End function
	.set _ZN2at6native12compute_modeIN3c108BFloat16ELj128EEEvPKT_NS_4cuda6detail10TensorInfoIS4_jEENS9_IljEEll.num_vgpr, 29
	.set _ZN2at6native12compute_modeIN3c108BFloat16ELj128EEEvPKT_NS_4cuda6detail10TensorInfoIS4_jEENS9_IljEEll.num_agpr, 0
	.set _ZN2at6native12compute_modeIN3c108BFloat16ELj128EEEvPKT_NS_4cuda6detail10TensorInfoIS4_jEENS9_IljEEll.numbered_sgpr, 22
	.set _ZN2at6native12compute_modeIN3c108BFloat16ELj128EEEvPKT_NS_4cuda6detail10TensorInfoIS4_jEENS9_IljEEll.num_named_barrier, 0
	.set _ZN2at6native12compute_modeIN3c108BFloat16ELj128EEEvPKT_NS_4cuda6detail10TensorInfoIS4_jEENS9_IljEEll.private_seg_size, 0
	.set _ZN2at6native12compute_modeIN3c108BFloat16ELj128EEEvPKT_NS_4cuda6detail10TensorInfoIS4_jEENS9_IljEEll.uses_vcc, 1
	.set _ZN2at6native12compute_modeIN3c108BFloat16ELj128EEEvPKT_NS_4cuda6detail10TensorInfoIS4_jEENS9_IljEEll.uses_flat_scratch, 0
	.set _ZN2at6native12compute_modeIN3c108BFloat16ELj128EEEvPKT_NS_4cuda6detail10TensorInfoIS4_jEENS9_IljEEll.has_dyn_sized_stack, 0
	.set _ZN2at6native12compute_modeIN3c108BFloat16ELj128EEEvPKT_NS_4cuda6detail10TensorInfoIS4_jEENS9_IljEEll.has_recursion, 0
	.set _ZN2at6native12compute_modeIN3c108BFloat16ELj128EEEvPKT_NS_4cuda6detail10TensorInfoIS4_jEENS9_IljEEll.has_indirect_call, 0
	.section	.AMDGPU.csdata,"",@progbits
; Kernel info:
; codeLenInByte = 8512
; TotalNumSgprs: 26
; NumVgprs: 29
; ScratchSize: 0
; MemoryBound: 0
; FloatMode: 240
; IeeeMode: 1
; LDSByteSize: 2 bytes/workgroup (compile time only)
; SGPRBlocks: 3
; VGPRBlocks: 7
; NumSGPRsForWavesPerEU: 26
; NumVGPRsForWavesPerEU: 29
; Occupancy: 8
; WaveLimiterHint : 1
; COMPUTE_PGM_RSRC2:SCRATCH_EN: 0
; COMPUTE_PGM_RSRC2:USER_SGPR: 6
; COMPUTE_PGM_RSRC2:TRAP_HANDLER: 0
; COMPUTE_PGM_RSRC2:TGID_X_EN: 1
; COMPUTE_PGM_RSRC2:TGID_Y_EN: 1
; COMPUTE_PGM_RSRC2:TGID_Z_EN: 1
; COMPUTE_PGM_RSRC2:TIDIG_COMP_CNT: 0
	.section	.text._ZN2at6native12compute_modeIN3c104HalfELj2048EEEvPKT_NS_4cuda6detail10TensorInfoIS4_jEENS9_IljEEll,"axG",@progbits,_ZN2at6native12compute_modeIN3c104HalfELj2048EEEvPKT_NS_4cuda6detail10TensorInfoIS4_jEENS9_IljEEll,comdat
	.protected	_ZN2at6native12compute_modeIN3c104HalfELj2048EEEvPKT_NS_4cuda6detail10TensorInfoIS4_jEENS9_IljEEll ; -- Begin function _ZN2at6native12compute_modeIN3c104HalfELj2048EEEvPKT_NS_4cuda6detail10TensorInfoIS4_jEENS9_IljEEll
	.globl	_ZN2at6native12compute_modeIN3c104HalfELj2048EEEvPKT_NS_4cuda6detail10TensorInfoIS4_jEENS9_IljEEll
	.p2align	8
	.type	_ZN2at6native12compute_modeIN3c104HalfELj2048EEEvPKT_NS_4cuda6detail10TensorInfoIS4_jEENS9_IljEEll,@function
_ZN2at6native12compute_modeIN3c104HalfELj2048EEEvPKT_NS_4cuda6detail10TensorInfoIS4_jEENS9_IljEEll: ; @_ZN2at6native12compute_modeIN3c104HalfELj2048EEEvPKT_NS_4cuda6detail10TensorInfoIS4_jEENS9_IljEEll
; %bb.0:
	s_load_dwordx2 s[2:3], s[4:5], 0x1c8
	s_load_dwordx4 s[16:19], s[4:5], 0x1b8
	s_add_u32 s0, s4, 0x1c8
	s_addc_u32 s1, s5, 0
	v_mov_b32_e32 v2, 0
	s_waitcnt lgkmcnt(0)
	s_mul_i32 s3, s3, s8
	s_add_i32 s3, s3, s7
	s_mul_i32 s2, s3, s2
	s_add_i32 s20, s2, s6
	v_mov_b32_e32 v1, s20
	v_cmp_le_i64_e32 vcc, s[18:19], v[1:2]
	s_cbranch_vccnz .LBB102_197
; %bb.1:
	s_load_dwordx2 s[14:15], s[4:5], 0x0
	s_load_dword s6, s[0:1], 0xc
	v_mov_b32_e32 v1, v2
	v_cmp_gt_i64_e32 vcc, s[16:17], v[0:1]
	s_mul_i32 s21, s20, s16
	v_lshl_add_u32 v12, v0, 1, 2
	s_and_saveexec_b64 s[2:3], vcc
	s_cbranch_execz .LBB102_3
; %bb.2:
	v_add_u32_e32 v1, s21, v0
	v_lshlrev_b64 v[3:4], 1, v[1:2]
	s_waitcnt lgkmcnt(0)
	v_mov_b32_e32 v1, s15
	v_add_co_u32_e64 v3, s[0:1], s14, v3
	v_addc_co_u32_e64 v4, s[0:1], v1, v4, s[0:1]
	global_load_ushort v1, v[3:4], off
	s_waitcnt vmcnt(0)
	ds_write_b16 v12, v1
.LBB102_3:
	s_or_b64 exec, exec, s[2:3]
	s_waitcnt lgkmcnt(0)
	s_and_b32 s18, 0xffff, s6
	v_add_u32_e32 v1, s18, v0
	v_cmp_gt_i64_e64 s[0:1], s[16:17], v[1:2]
	s_and_saveexec_b64 s[6:7], s[0:1]
	s_cbranch_execz .LBB102_5
; %bb.4:
	v_add_u32_e32 v2, s21, v1
	v_mov_b32_e32 v3, 0
	v_lshlrev_b64 v[2:3], 1, v[2:3]
	v_mov_b32_e32 v4, s15
	v_add_co_u32_e64 v2, s[2:3], s14, v2
	v_addc_co_u32_e64 v3, s[2:3], v4, v3, s[2:3]
	global_load_ushort v2, v[2:3], off
	v_lshl_add_u32 v1, v1, 1, 2
	s_waitcnt vmcnt(0)
	ds_write_b16 v1, v2
.LBB102_5:
	s_or_b64 exec, exec, s[6:7]
	v_add_u32_e32 v2, 2, v0
	v_cndmask_b32_e64 v1, 0, 1, vcc
	ds_write_b8 v2, v1 offset:4096
	v_add_u32_e32 v1, s18, v2
	v_cndmask_b32_e64 v3, 0, 1, s[0:1]
	ds_write_b8 v1, v3 offset:4096
	v_lshlrev_b32_e32 v1, 1, v0
	v_mad_u32_u24 v3, v0, 3, v2
	s_waitcnt lgkmcnt(0)
	s_barrier
	s_barrier
	v_sub_u32_e32 v4, v3, v1
	ds_read_b32 v7, v3
	ds_read_u8 v5, v4 offset:4096
	ds_read_u8 v8, v4 offset:4097
	v_and_b32_e32 v6, 1, v0
	v_sub_u32_e32 v4, 0, v1
	s_waitcnt lgkmcnt(2)
	v_cmp_lt_f16_sdwa s[2:3], v7, v7 src0_sel:DWORD src1_sel:WORD_1
	s_waitcnt lgkmcnt(1)
	v_and_b32_e32 v9, 1, v5
	v_cmp_eq_u32_e32 vcc, 1, v9
	s_waitcnt lgkmcnt(0)
	v_cmp_ne_u16_e64 s[0:1], v8, v6
	v_cndmask_b32_e64 v9, 0, 1, s[0:1]
	s_and_b64 vcc, s[2:3], vcc
	v_cndmask_b32_e32 v9, v9, v0, vcc
	v_and_b32_e32 v9, 1, v9
	v_cmp_eq_u32_e32 vcc, 1, v9
	v_add_u32_e32 v4, v3, v4
	s_and_saveexec_b64 s[0:1], vcc
	s_cbranch_execz .LBB102_7
; %bb.6:
	v_alignbit_b32 v7, v7, v7, 16
	ds_write_b32 v3, v7
	ds_write_b8 v4, v8 offset:4096
	ds_write_b8 v4, v5 offset:4097
.LBB102_7:
	s_or_b64 exec, exec, s[0:1]
	v_sub_u32_e32 v8, v1, v6
	v_lshl_add_u32 v7, v8, 1, 2
	v_add_u32_e32 v6, 2, v8
	s_waitcnt lgkmcnt(0)
	s_barrier
	v_add_u32_e32 v8, v6, v8
	ds_read_u16 v9, v7
	ds_read_u16 v11, v8 offset:4
	ds_read_u8 v10, v6 offset:4096
	ds_read_u8 v13, v6 offset:4098
	v_bfe_u32 v14, v0, 1, 1
	v_and_b32_e32 v5, 2, v0
	s_waitcnt lgkmcnt(2)
	v_cmp_lt_f16_e64 s[0:1], v9, v11
	s_waitcnt lgkmcnt(1)
	v_and_b32_e32 v15, 1, v10
	v_cmp_eq_u32_e64 s[2:3], 1, v15
	s_waitcnt lgkmcnt(0)
	v_cmp_ne_u16_e64 s[6:7], v13, v14
	v_cndmask_b32_e64 v15, 0, 1, s[6:7]
	s_and_b64 s[0:1], s[0:1], s[2:3]
	v_cndmask_b32_e64 v14, v15, v14, s[0:1]
	v_and_b32_e32 v14, 1, v14
	v_cmp_ne_u32_e32 vcc, 0, v5
	v_cmp_eq_u32_e64 s[0:1], 1, v14
	s_and_saveexec_b64 s[2:3], s[0:1]
	s_xor_b64 s[0:1], exec, s[2:3]
	s_cbranch_execz .LBB102_9
; %bb.8:
	ds_write_b16 v7, v11
	ds_write_b16 v8, v9 offset:4
	ds_write_b8 v6, v13 offset:4096
	ds_write_b8 v6, v10 offset:4098
.LBB102_9:
	s_or_b64 exec, exec, s[0:1]
	s_waitcnt lgkmcnt(0)
	s_barrier
	ds_read_b32 v10, v3
	ds_read_u8 v9, v4 offset:4096
	ds_read_u8 v11, v4 offset:4097
	v_lshrrev_b32_e32 v5, 1, v5
	s_waitcnt lgkmcnt(2)
	v_cmp_lt_f16_sdwa s[6:7], v10, v10 src0_sel:DWORD src1_sel:WORD_1
	s_waitcnt lgkmcnt(1)
	v_and_b32_e32 v13, 1, v9
	v_cmp_eq_u32_e64 s[0:1], 1, v13
	s_waitcnt lgkmcnt(0)
	v_cmp_ne_u16_e64 s[2:3], v11, v5
	v_cndmask_b32_e64 v5, 0, 1, s[2:3]
	v_cndmask_b32_e64 v13, 0, 1, vcc
	s_and_b64 vcc, s[6:7], s[0:1]
	v_cndmask_b32_e32 v5, v5, v13, vcc
	v_and_b32_e32 v5, 1, v5
	v_cmp_eq_u32_e32 vcc, 1, v5
	s_and_saveexec_b64 s[0:1], vcc
	s_cbranch_execz .LBB102_11
; %bb.10:
	v_alignbit_b32 v5, v10, v10, 16
	ds_write_b32 v3, v5
	ds_write_b8 v4, v11 offset:4096
	ds_write_b8 v4, v9 offset:4097
.LBB102_11:
	s_or_b64 exec, exec, s[0:1]
	v_and_b32_e32 v9, 3, v0
	v_sub_u32_e32 v11, v1, v9
	v_lshl_add_u32 v10, v11, 1, 2
	v_add_u32_e32 v9, 2, v11
	s_waitcnt lgkmcnt(0)
	s_barrier
	v_add_u32_e32 v11, v9, v11
	ds_read_u16 v13, v10
	ds_read_u16 v15, v11 offset:8
	ds_read_u8 v14, v9 offset:4096
	ds_read_u8 v16, v9 offset:4100
	v_bfe_u32 v17, v0, 2, 1
	v_and_b32_e32 v5, 4, v0
	s_waitcnt lgkmcnt(2)
	v_cmp_lt_f16_e64 s[0:1], v13, v15
	s_waitcnt lgkmcnt(1)
	v_and_b32_e32 v18, 1, v14
	v_cmp_eq_u32_e64 s[2:3], 1, v18
	s_waitcnt lgkmcnt(0)
	v_cmp_ne_u16_e64 s[6:7], v16, v17
	v_cndmask_b32_e64 v18, 0, 1, s[6:7]
	s_and_b64 s[0:1], s[0:1], s[2:3]
	v_cndmask_b32_e64 v17, v18, v17, s[0:1]
	v_and_b32_e32 v17, 1, v17
	v_cmp_ne_u32_e32 vcc, 0, v5
	v_cmp_eq_u32_e64 s[0:1], 1, v17
	s_and_saveexec_b64 s[2:3], s[0:1]
	s_cbranch_execz .LBB102_13
; %bb.12:
	ds_write_b16 v10, v15
	ds_write_b16 v11, v13 offset:8
	ds_write_b8 v9, v16 offset:4096
	ds_write_b8 v9, v14 offset:4100
.LBB102_13:
	s_or_b64 exec, exec, s[2:3]
	s_waitcnt lgkmcnt(0)
	s_barrier
	ds_read_u16 v14, v7
	ds_read_u16 v16, v8 offset:4
	ds_read_u8 v15, v6 offset:4096
	ds_read_u8 v17, v6 offset:4098
	v_lshrrev_b32_e32 v5, 2, v5
	s_waitcnt lgkmcnt(2)
	v_cmp_lt_f16_e64 s[0:1], v14, v16
	s_waitcnt lgkmcnt(1)
	v_and_b32_e32 v13, 1, v15
	v_cmp_eq_u32_e64 s[2:3], 1, v13
	s_waitcnt lgkmcnt(0)
	v_cmp_ne_u16_e64 s[6:7], v17, v5
	v_cndmask_b32_e64 v18, 0, 1, s[6:7]
	v_cndmask_b32_e64 v13, 0, 1, vcc
	s_and_b64 vcc, s[0:1], s[2:3]
	v_cndmask_b32_e32 v18, v18, v13, vcc
	v_and_b32_e32 v18, 1, v18
	v_cmp_eq_u32_e32 vcc, 1, v18
	s_and_saveexec_b64 s[0:1], vcc
	s_cbranch_execz .LBB102_15
; %bb.14:
	ds_write_b16 v7, v16
	ds_write_b16 v8, v14 offset:4
	ds_write_b8 v6, v17 offset:4096
	ds_write_b8 v6, v15 offset:4098
.LBB102_15:
	s_or_b64 exec, exec, s[0:1]
	s_waitcnt lgkmcnt(0)
	s_barrier
	ds_read_b32 v15, v3
	ds_read_u8 v14, v4 offset:4096
	ds_read_u8 v16, v4 offset:4097
	s_waitcnt lgkmcnt(2)
	v_cmp_lt_f16_sdwa s[2:3], v15, v15 src0_sel:DWORD src1_sel:WORD_1
	s_waitcnt lgkmcnt(1)
	v_and_b32_e32 v17, 1, v14
	v_cmp_eq_u32_e32 vcc, 1, v17
	s_waitcnt lgkmcnt(0)
	v_cmp_ne_u16_e64 s[0:1], v16, v5
	v_cndmask_b32_e64 v5, 0, 1, s[0:1]
	s_and_b64 vcc, s[2:3], vcc
	v_cndmask_b32_e32 v5, v5, v13, vcc
	v_and_b32_e32 v5, 1, v5
	v_cmp_eq_u32_e32 vcc, 1, v5
	s_and_saveexec_b64 s[0:1], vcc
	s_cbranch_execz .LBB102_17
; %bb.16:
	v_alignbit_b32 v5, v15, v15, 16
	ds_write_b32 v3, v5
	ds_write_b8 v4, v16 offset:4096
	ds_write_b8 v4, v14 offset:4097
.LBB102_17:
	s_or_b64 exec, exec, s[0:1]
	v_and_b32_e32 v13, 7, v0
	v_sub_u32_e32 v15, v1, v13
	v_lshl_add_u32 v14, v15, 1, 2
	v_add_u32_e32 v13, 2, v15
	s_waitcnt lgkmcnt(0)
	s_barrier
	v_add_u32_e32 v15, v13, v15
	ds_read_u16 v16, v14
	ds_read_u16 v18, v15 offset:16
	ds_read_u8 v17, v13 offset:4096
	ds_read_u8 v19, v13 offset:4104
	v_bfe_u32 v20, v0, 3, 1
	v_and_b32_e32 v5, 8, v0
	s_waitcnt lgkmcnt(2)
	v_cmp_lt_f16_e64 s[0:1], v16, v18
	s_waitcnt lgkmcnt(1)
	v_and_b32_e32 v21, 1, v17
	v_cmp_eq_u32_e64 s[2:3], 1, v21
	s_waitcnt lgkmcnt(0)
	v_cmp_ne_u16_e64 s[6:7], v19, v20
	v_cndmask_b32_e64 v21, 0, 1, s[6:7]
	s_and_b64 s[0:1], s[0:1], s[2:3]
	v_cndmask_b32_e64 v20, v21, v20, s[0:1]
	v_and_b32_e32 v20, 1, v20
	v_cmp_ne_u32_e32 vcc, 0, v5
	v_cmp_eq_u32_e64 s[0:1], 1, v20
	s_and_saveexec_b64 s[2:3], s[0:1]
	s_cbranch_execz .LBB102_19
; %bb.18:
	ds_write_b16 v14, v18
	ds_write_b16 v15, v16 offset:16
	ds_write_b8 v13, v19 offset:4096
	ds_write_b8 v13, v17 offset:4104
.LBB102_19:
	s_or_b64 exec, exec, s[2:3]
	s_waitcnt lgkmcnt(0)
	s_barrier
	ds_read_u16 v17, v10
	ds_read_u16 v19, v11 offset:8
	ds_read_u8 v18, v9 offset:4096
	ds_read_u8 v20, v9 offset:4100
	v_lshrrev_b32_e32 v5, 3, v5
	s_waitcnt lgkmcnt(2)
	v_cmp_lt_f16_e64 s[0:1], v17, v19
	s_waitcnt lgkmcnt(1)
	v_and_b32_e32 v16, 1, v18
	v_cmp_eq_u32_e64 s[2:3], 1, v16
	s_waitcnt lgkmcnt(0)
	v_cmp_ne_u16_e64 s[6:7], v20, v5
	v_cndmask_b32_e64 v21, 0, 1, s[6:7]
	v_cndmask_b32_e64 v16, 0, 1, vcc
	s_and_b64 vcc, s[0:1], s[2:3]
	v_cndmask_b32_e32 v21, v21, v16, vcc
	v_and_b32_e32 v21, 1, v21
	v_cmp_eq_u32_e32 vcc, 1, v21
	s_and_saveexec_b64 s[0:1], vcc
	s_cbranch_execz .LBB102_21
; %bb.20:
	ds_write_b16 v10, v19
	ds_write_b16 v11, v17 offset:8
	ds_write_b8 v9, v20 offset:4096
	ds_write_b8 v9, v18 offset:4100
.LBB102_21:
	s_or_b64 exec, exec, s[0:1]
	s_waitcnt lgkmcnt(0)
	s_barrier
	ds_read_u16 v17, v7
	ds_read_u16 v19, v8 offset:4
	ds_read_u8 v18, v6 offset:4096
	ds_read_u8 v20, v6 offset:4098
	s_waitcnt lgkmcnt(2)
	v_cmp_lt_f16_e32 vcc, v17, v19
	s_waitcnt lgkmcnt(1)
	v_and_b32_e32 v21, 1, v18
	v_cmp_eq_u32_e64 s[0:1], 1, v21
	s_waitcnt lgkmcnt(0)
	v_cmp_ne_u16_e64 s[2:3], v20, v5
	v_cndmask_b32_e64 v21, 0, 1, s[2:3]
	s_and_b64 vcc, vcc, s[0:1]
	v_cndmask_b32_e32 v21, v21, v16, vcc
	v_and_b32_e32 v21, 1, v21
	v_cmp_eq_u32_e32 vcc, 1, v21
	s_and_saveexec_b64 s[0:1], vcc
	s_cbranch_execz .LBB102_23
; %bb.22:
	ds_write_b16 v7, v19
	ds_write_b16 v8, v17 offset:4
	ds_write_b8 v6, v20 offset:4096
	ds_write_b8 v6, v18 offset:4098
.LBB102_23:
	s_or_b64 exec, exec, s[0:1]
	s_waitcnt lgkmcnt(0)
	s_barrier
	ds_read_b32 v18, v3
	ds_read_u8 v17, v4 offset:4096
	ds_read_u8 v19, v4 offset:4097
	s_waitcnt lgkmcnt(2)
	v_cmp_lt_f16_sdwa s[2:3], v18, v18 src0_sel:DWORD src1_sel:WORD_1
	s_waitcnt lgkmcnt(1)
	v_and_b32_e32 v20, 1, v17
	v_cmp_eq_u32_e32 vcc, 1, v20
	s_waitcnt lgkmcnt(0)
	v_cmp_ne_u16_e64 s[0:1], v19, v5
	v_cndmask_b32_e64 v5, 0, 1, s[0:1]
	s_and_b64 vcc, s[2:3], vcc
	v_cndmask_b32_e32 v5, v5, v16, vcc
	v_and_b32_e32 v5, 1, v5
	v_cmp_eq_u32_e32 vcc, 1, v5
	s_and_saveexec_b64 s[0:1], vcc
	s_cbranch_execz .LBB102_25
; %bb.24:
	v_alignbit_b32 v5, v18, v18, 16
	ds_write_b32 v3, v5
	ds_write_b8 v4, v19 offset:4096
	ds_write_b8 v4, v17 offset:4097
.LBB102_25:
	s_or_b64 exec, exec, s[0:1]
	v_and_b32_e32 v16, 15, v0
	v_sub_u32_e32 v18, v1, v16
	v_lshl_add_u32 v17, v18, 1, 2
	v_add_u32_e32 v16, 2, v18
	s_waitcnt lgkmcnt(0)
	s_barrier
	v_add_u32_e32 v18, v16, v18
	ds_read_u16 v19, v17
	ds_read_u16 v21, v18 offset:32
	ds_read_u8 v20, v16 offset:4096
	ds_read_u8 v22, v16 offset:4112
	v_bfe_u32 v23, v0, 4, 1
	v_and_b32_e32 v5, 16, v0
	s_waitcnt lgkmcnt(2)
	v_cmp_lt_f16_e64 s[0:1], v19, v21
	s_waitcnt lgkmcnt(1)
	v_and_b32_e32 v24, 1, v20
	v_cmp_eq_u32_e64 s[2:3], 1, v24
	s_waitcnt lgkmcnt(0)
	v_cmp_ne_u16_e64 s[6:7], v22, v23
	v_cndmask_b32_e64 v24, 0, 1, s[6:7]
	s_and_b64 s[0:1], s[0:1], s[2:3]
	v_cndmask_b32_e64 v23, v24, v23, s[0:1]
	v_and_b32_e32 v23, 1, v23
	v_cmp_ne_u32_e32 vcc, 0, v5
	v_cmp_eq_u32_e64 s[0:1], 1, v23
	s_and_saveexec_b64 s[2:3], s[0:1]
	s_cbranch_execz .LBB102_27
; %bb.26:
	ds_write_b16 v17, v21
	ds_write_b16 v18, v19 offset:32
	ds_write_b8 v16, v22 offset:4096
	ds_write_b8 v16, v20 offset:4112
.LBB102_27:
	s_or_b64 exec, exec, s[2:3]
	s_waitcnt lgkmcnt(0)
	s_barrier
	ds_read_u16 v20, v14
	ds_read_u16 v22, v15 offset:16
	ds_read_u8 v21, v13 offset:4096
	ds_read_u8 v23, v13 offset:4104
	v_lshrrev_b32_e32 v5, 4, v5
	s_waitcnt lgkmcnt(2)
	v_cmp_lt_f16_e64 s[0:1], v20, v22
	s_waitcnt lgkmcnt(1)
	v_and_b32_e32 v19, 1, v21
	v_cmp_eq_u32_e64 s[2:3], 1, v19
	s_waitcnt lgkmcnt(0)
	v_cmp_ne_u16_e64 s[6:7], v23, v5
	v_cndmask_b32_e64 v24, 0, 1, s[6:7]
	v_cndmask_b32_e64 v19, 0, 1, vcc
	s_and_b64 vcc, s[0:1], s[2:3]
	v_cndmask_b32_e32 v24, v24, v19, vcc
	v_and_b32_e32 v24, 1, v24
	v_cmp_eq_u32_e32 vcc, 1, v24
	s_and_saveexec_b64 s[0:1], vcc
	s_cbranch_execz .LBB102_29
; %bb.28:
	ds_write_b16 v14, v22
	ds_write_b16 v15, v20 offset:16
	ds_write_b8 v13, v23 offset:4096
	ds_write_b8 v13, v21 offset:4104
.LBB102_29:
	s_or_b64 exec, exec, s[0:1]
	s_waitcnt lgkmcnt(0)
	s_barrier
	ds_read_u16 v20, v10
	ds_read_u16 v22, v11 offset:8
	ds_read_u8 v21, v9 offset:4096
	ds_read_u8 v23, v9 offset:4100
	s_waitcnt lgkmcnt(2)
	v_cmp_lt_f16_e32 vcc, v20, v22
	s_waitcnt lgkmcnt(1)
	v_and_b32_e32 v24, 1, v21
	v_cmp_eq_u32_e64 s[0:1], 1, v24
	s_waitcnt lgkmcnt(0)
	v_cmp_ne_u16_e64 s[2:3], v23, v5
	v_cndmask_b32_e64 v24, 0, 1, s[2:3]
	s_and_b64 vcc, vcc, s[0:1]
	v_cndmask_b32_e32 v24, v24, v19, vcc
	v_and_b32_e32 v24, 1, v24
	v_cmp_eq_u32_e32 vcc, 1, v24
	s_and_saveexec_b64 s[0:1], vcc
	s_cbranch_execz .LBB102_31
; %bb.30:
	ds_write_b16 v10, v22
	ds_write_b16 v11, v20 offset:8
	ds_write_b8 v9, v23 offset:4096
	ds_write_b8 v9, v21 offset:4100
.LBB102_31:
	s_or_b64 exec, exec, s[0:1]
	s_waitcnt lgkmcnt(0)
	s_barrier
	ds_read_u16 v20, v7
	ds_read_u16 v22, v8 offset:4
	ds_read_u8 v21, v6 offset:4096
	ds_read_u8 v23, v6 offset:4098
	s_waitcnt lgkmcnt(2)
	v_cmp_lt_f16_e32 vcc, v20, v22
	s_waitcnt lgkmcnt(1)
	v_and_b32_e32 v24, 1, v21
	v_cmp_eq_u32_e64 s[0:1], 1, v24
	s_waitcnt lgkmcnt(0)
	v_cmp_ne_u16_e64 s[2:3], v23, v5
	v_cndmask_b32_e64 v24, 0, 1, s[2:3]
	s_and_b64 vcc, vcc, s[0:1]
	v_cndmask_b32_e32 v24, v24, v19, vcc
	v_and_b32_e32 v24, 1, v24
	v_cmp_eq_u32_e32 vcc, 1, v24
	s_and_saveexec_b64 s[0:1], vcc
	s_cbranch_execz .LBB102_33
; %bb.32:
	ds_write_b16 v7, v22
	ds_write_b16 v8, v20 offset:4
	ds_write_b8 v6, v23 offset:4096
	ds_write_b8 v6, v21 offset:4098
.LBB102_33:
	s_or_b64 exec, exec, s[0:1]
	s_waitcnt lgkmcnt(0)
	s_barrier
	ds_read_b32 v21, v3
	ds_read_u8 v20, v4 offset:4096
	ds_read_u8 v22, v4 offset:4097
	s_waitcnt lgkmcnt(2)
	v_cmp_lt_f16_sdwa s[2:3], v21, v21 src0_sel:DWORD src1_sel:WORD_1
	s_waitcnt lgkmcnt(1)
	v_and_b32_e32 v23, 1, v20
	v_cmp_eq_u32_e32 vcc, 1, v23
	s_waitcnt lgkmcnt(0)
	v_cmp_ne_u16_e64 s[0:1], v22, v5
	v_cndmask_b32_e64 v5, 0, 1, s[0:1]
	s_and_b64 vcc, s[2:3], vcc
	v_cndmask_b32_e32 v5, v5, v19, vcc
	v_and_b32_e32 v5, 1, v5
	v_cmp_eq_u32_e32 vcc, 1, v5
	s_and_saveexec_b64 s[0:1], vcc
	s_cbranch_execz .LBB102_35
; %bb.34:
	v_alignbit_b32 v5, v21, v21, 16
	ds_write_b32 v3, v5
	ds_write_b8 v4, v22 offset:4096
	ds_write_b8 v4, v20 offset:4097
.LBB102_35:
	s_or_b64 exec, exec, s[0:1]
	v_and_b32_e32 v19, 31, v0
	v_sub_u32_e32 v21, v1, v19
	v_lshl_add_u32 v20, v21, 1, 2
	v_add_u32_e32 v19, 2, v21
	s_waitcnt lgkmcnt(0)
	s_barrier
	v_add_u32_e32 v21, v19, v21
	ds_read_u16 v22, v20
	ds_read_u16 v24, v21 offset:64
	ds_read_u8 v23, v19 offset:4096
	ds_read_u8 v25, v19 offset:4128
	v_bfe_u32 v26, v0, 5, 1
	v_and_b32_e32 v5, 32, v0
	s_waitcnt lgkmcnt(2)
	v_cmp_lt_f16_e64 s[0:1], v22, v24
	s_waitcnt lgkmcnt(1)
	v_and_b32_e32 v27, 1, v23
	v_cmp_eq_u32_e64 s[2:3], 1, v27
	s_waitcnt lgkmcnt(0)
	v_cmp_ne_u16_e64 s[6:7], v25, v26
	v_cndmask_b32_e64 v27, 0, 1, s[6:7]
	s_and_b64 s[0:1], s[0:1], s[2:3]
	v_cndmask_b32_e64 v26, v27, v26, s[0:1]
	v_and_b32_e32 v26, 1, v26
	v_cmp_ne_u32_e32 vcc, 0, v5
	v_cmp_eq_u32_e64 s[0:1], 1, v26
	s_and_saveexec_b64 s[2:3], s[0:1]
	s_cbranch_execz .LBB102_37
; %bb.36:
	ds_write_b16 v20, v24
	ds_write_b16 v21, v22 offset:64
	ds_write_b8 v19, v25 offset:4096
	ds_write_b8 v19, v23 offset:4128
.LBB102_37:
	s_or_b64 exec, exec, s[2:3]
	s_waitcnt lgkmcnt(0)
	s_barrier
	ds_read_u16 v23, v17
	ds_read_u16 v25, v18 offset:32
	ds_read_u8 v24, v16 offset:4096
	ds_read_u8 v26, v16 offset:4112
	v_lshrrev_b32_e32 v5, 5, v5
	s_waitcnt lgkmcnt(2)
	v_cmp_lt_f16_e64 s[0:1], v23, v25
	s_waitcnt lgkmcnt(1)
	v_and_b32_e32 v22, 1, v24
	v_cmp_eq_u32_e64 s[2:3], 1, v22
	s_waitcnt lgkmcnt(0)
	v_cmp_ne_u16_e64 s[6:7], v26, v5
	v_cndmask_b32_e64 v27, 0, 1, s[6:7]
	v_cndmask_b32_e64 v22, 0, 1, vcc
	s_and_b64 vcc, s[0:1], s[2:3]
	v_cndmask_b32_e32 v27, v27, v22, vcc
	v_and_b32_e32 v27, 1, v27
	v_cmp_eq_u32_e32 vcc, 1, v27
	s_and_saveexec_b64 s[0:1], vcc
	s_cbranch_execz .LBB102_39
; %bb.38:
	ds_write_b16 v17, v25
	ds_write_b16 v18, v23 offset:32
	ds_write_b8 v16, v26 offset:4096
	ds_write_b8 v16, v24 offset:4112
.LBB102_39:
	s_or_b64 exec, exec, s[0:1]
	s_waitcnt lgkmcnt(0)
	s_barrier
	ds_read_u16 v23, v14
	ds_read_u16 v25, v15 offset:16
	ds_read_u8 v24, v13 offset:4096
	ds_read_u8 v26, v13 offset:4104
	s_waitcnt lgkmcnt(2)
	v_cmp_lt_f16_e32 vcc, v23, v25
	s_waitcnt lgkmcnt(1)
	v_and_b32_e32 v27, 1, v24
	v_cmp_eq_u32_e64 s[0:1], 1, v27
	s_waitcnt lgkmcnt(0)
	v_cmp_ne_u16_e64 s[2:3], v26, v5
	v_cndmask_b32_e64 v27, 0, 1, s[2:3]
	s_and_b64 vcc, vcc, s[0:1]
	v_cndmask_b32_e32 v27, v27, v22, vcc
	v_and_b32_e32 v27, 1, v27
	v_cmp_eq_u32_e32 vcc, 1, v27
	s_and_saveexec_b64 s[0:1], vcc
	s_cbranch_execz .LBB102_41
; %bb.40:
	ds_write_b16 v14, v25
	ds_write_b16 v15, v23 offset:16
	ds_write_b8 v13, v26 offset:4096
	ds_write_b8 v13, v24 offset:4104
.LBB102_41:
	s_or_b64 exec, exec, s[0:1]
	s_waitcnt lgkmcnt(0)
	s_barrier
	ds_read_u16 v23, v10
	ds_read_u16 v25, v11 offset:8
	ds_read_u8 v24, v9 offset:4096
	ds_read_u8 v26, v9 offset:4100
	s_waitcnt lgkmcnt(2)
	v_cmp_lt_f16_e32 vcc, v23, v25
	s_waitcnt lgkmcnt(1)
	v_and_b32_e32 v27, 1, v24
	v_cmp_eq_u32_e64 s[0:1], 1, v27
	s_waitcnt lgkmcnt(0)
	v_cmp_ne_u16_e64 s[2:3], v26, v5
	v_cndmask_b32_e64 v27, 0, 1, s[2:3]
	s_and_b64 vcc, vcc, s[0:1]
	;; [unrolled: 27-line block ×3, first 2 shown]
	v_cndmask_b32_e32 v27, v27, v22, vcc
	v_and_b32_e32 v27, 1, v27
	v_cmp_eq_u32_e32 vcc, 1, v27
	s_and_saveexec_b64 s[0:1], vcc
	s_cbranch_execz .LBB102_45
; %bb.44:
	ds_write_b16 v7, v25
	ds_write_b16 v8, v23 offset:4
	ds_write_b8 v6, v26 offset:4096
	ds_write_b8 v6, v24 offset:4098
.LBB102_45:
	s_or_b64 exec, exec, s[0:1]
	s_waitcnt lgkmcnt(0)
	s_barrier
	ds_read_b32 v24, v3
	ds_read_u8 v23, v4 offset:4096
	ds_read_u8 v25, v4 offset:4097
	s_waitcnt lgkmcnt(2)
	v_cmp_lt_f16_sdwa s[2:3], v24, v24 src0_sel:DWORD src1_sel:WORD_1
	s_waitcnt lgkmcnt(1)
	v_and_b32_e32 v26, 1, v23
	v_cmp_eq_u32_e32 vcc, 1, v26
	s_waitcnt lgkmcnt(0)
	v_cmp_ne_u16_e64 s[0:1], v25, v5
	v_cndmask_b32_e64 v5, 0, 1, s[0:1]
	s_and_b64 vcc, s[2:3], vcc
	v_cndmask_b32_e32 v5, v5, v22, vcc
	v_and_b32_e32 v5, 1, v5
	v_cmp_eq_u32_e32 vcc, 1, v5
	s_and_saveexec_b64 s[0:1], vcc
	s_cbranch_execz .LBB102_47
; %bb.46:
	v_alignbit_b32 v5, v24, v24, 16
	ds_write_b32 v3, v5
	ds_write_b8 v4, v25 offset:4096
	ds_write_b8 v4, v23 offset:4097
.LBB102_47:
	s_or_b64 exec, exec, s[0:1]
	v_and_b32_e32 v5, 63, v0
	v_sub_u32_e32 v24, v1, v5
	v_lshl_add_u32 v23, v24, 1, 2
	v_add_u32_e32 v22, 2, v24
	s_waitcnt lgkmcnt(0)
	s_barrier
	v_add_u32_e32 v24, v22, v24
	ds_read_u16 v26, v23
	ds_read_u16 v28, v24 offset:128
	ds_read_u8 v27, v22 offset:4096
	ds_read_u8 v29, v22 offset:4160
	v_bfe_u32 v30, v0, 6, 1
	v_and_b32_e32 v25, 64, v0
	s_waitcnt lgkmcnt(2)
	v_cmp_lt_f16_e64 s[0:1], v26, v28
	s_waitcnt lgkmcnt(1)
	v_and_b32_e32 v31, 1, v27
	v_cmp_eq_u32_e64 s[2:3], 1, v31
	s_waitcnt lgkmcnt(0)
	v_cmp_ne_u16_e64 s[6:7], v29, v30
	v_cndmask_b32_e64 v31, 0, 1, s[6:7]
	s_and_b64 s[0:1], s[0:1], s[2:3]
	v_cndmask_b32_e64 v30, v31, v30, s[0:1]
	v_and_b32_e32 v30, 1, v30
	v_cmp_ne_u32_e32 vcc, 0, v25
	v_cmp_eq_u32_e64 s[0:1], 1, v30
	s_and_saveexec_b64 s[2:3], s[0:1]
	s_cbranch_execz .LBB102_49
; %bb.48:
	ds_write_b16 v23, v28
	ds_write_b16 v24, v26 offset:128
	ds_write_b8 v22, v29 offset:4096
	ds_write_b8 v22, v27 offset:4160
.LBB102_49:
	s_or_b64 exec, exec, s[2:3]
	s_waitcnt lgkmcnt(0)
	s_barrier
	ds_read_u16 v27, v20
	ds_read_u16 v29, v21 offset:64
	ds_read_u8 v28, v19 offset:4096
	ds_read_u8 v30, v19 offset:4128
	v_lshrrev_b32_e32 v25, 6, v25
	s_waitcnt lgkmcnt(2)
	v_cmp_lt_f16_e64 s[0:1], v27, v29
	s_waitcnt lgkmcnt(1)
	v_and_b32_e32 v26, 1, v28
	v_cmp_eq_u32_e64 s[2:3], 1, v26
	s_waitcnt lgkmcnt(0)
	v_cmp_ne_u16_e64 s[6:7], v30, v25
	v_cndmask_b32_e64 v31, 0, 1, s[6:7]
	v_cndmask_b32_e64 v26, 0, 1, vcc
	s_and_b64 vcc, s[0:1], s[2:3]
	v_cndmask_b32_e32 v31, v31, v26, vcc
	v_and_b32_e32 v31, 1, v31
	v_cmp_eq_u32_e32 vcc, 1, v31
	s_and_saveexec_b64 s[0:1], vcc
	s_cbranch_execz .LBB102_51
; %bb.50:
	ds_write_b16 v20, v29
	ds_write_b16 v21, v27 offset:64
	ds_write_b8 v19, v30 offset:4096
	ds_write_b8 v19, v28 offset:4128
.LBB102_51:
	s_or_b64 exec, exec, s[0:1]
	s_waitcnt lgkmcnt(0)
	s_barrier
	ds_read_u16 v27, v17
	ds_read_u16 v29, v18 offset:32
	ds_read_u8 v28, v16 offset:4096
	ds_read_u8 v30, v16 offset:4112
	s_waitcnt lgkmcnt(2)
	v_cmp_lt_f16_e32 vcc, v27, v29
	s_waitcnt lgkmcnt(1)
	v_and_b32_e32 v31, 1, v28
	v_cmp_eq_u32_e64 s[0:1], 1, v31
	s_waitcnt lgkmcnt(0)
	v_cmp_ne_u16_e64 s[2:3], v30, v25
	v_cndmask_b32_e64 v31, 0, 1, s[2:3]
	s_and_b64 vcc, vcc, s[0:1]
	v_cndmask_b32_e32 v31, v31, v26, vcc
	v_and_b32_e32 v31, 1, v31
	v_cmp_eq_u32_e32 vcc, 1, v31
	s_and_saveexec_b64 s[0:1], vcc
	s_cbranch_execz .LBB102_53
; %bb.52:
	ds_write_b16 v17, v29
	ds_write_b16 v18, v27 offset:32
	ds_write_b8 v16, v30 offset:4096
	ds_write_b8 v16, v28 offset:4112
.LBB102_53:
	s_or_b64 exec, exec, s[0:1]
	s_waitcnt lgkmcnt(0)
	s_barrier
	ds_read_u16 v27, v14
	ds_read_u16 v29, v15 offset:16
	ds_read_u8 v28, v13 offset:4096
	ds_read_u8 v30, v13 offset:4104
	s_waitcnt lgkmcnt(2)
	v_cmp_lt_f16_e32 vcc, v27, v29
	s_waitcnt lgkmcnt(1)
	v_and_b32_e32 v31, 1, v28
	v_cmp_eq_u32_e64 s[0:1], 1, v31
	s_waitcnt lgkmcnt(0)
	v_cmp_ne_u16_e64 s[2:3], v30, v25
	v_cndmask_b32_e64 v31, 0, 1, s[2:3]
	s_and_b64 vcc, vcc, s[0:1]
	;; [unrolled: 27-line block ×4, first 2 shown]
	v_cndmask_b32_e32 v31, v31, v26, vcc
	v_and_b32_e32 v31, 1, v31
	v_cmp_eq_u32_e32 vcc, 1, v31
	s_and_saveexec_b64 s[0:1], vcc
	s_cbranch_execz .LBB102_59
; %bb.58:
	ds_write_b16 v7, v29
	ds_write_b16 v8, v27 offset:4
	ds_write_b8 v6, v30 offset:4096
	ds_write_b8 v6, v28 offset:4098
.LBB102_59:
	s_or_b64 exec, exec, s[0:1]
	s_waitcnt lgkmcnt(0)
	s_barrier
	ds_read_b32 v28, v3
	ds_read_u8 v27, v4 offset:4096
	ds_read_u8 v29, v4 offset:4097
	s_waitcnt lgkmcnt(2)
	v_cmp_lt_f16_sdwa s[2:3], v28, v28 src0_sel:DWORD src1_sel:WORD_1
	s_waitcnt lgkmcnt(1)
	v_and_b32_e32 v30, 1, v27
	v_cmp_eq_u32_e32 vcc, 1, v30
	s_waitcnt lgkmcnt(0)
	v_cmp_ne_u16_e64 s[0:1], v29, v25
	v_cndmask_b32_e64 v25, 0, 1, s[0:1]
	s_and_b64 vcc, s[2:3], vcc
	v_cndmask_b32_e32 v25, v25, v26, vcc
	v_and_b32_e32 v25, 1, v25
	v_cmp_eq_u32_e32 vcc, 1, v25
	s_and_saveexec_b64 s[0:1], vcc
	s_cbranch_execz .LBB102_61
; %bb.60:
	v_alignbit_b32 v25, v28, v28, 16
	ds_write_b32 v3, v25
	ds_write_b8 v4, v29 offset:4096
	ds_write_b8 v4, v27 offset:4097
.LBB102_61:
	s_or_b64 exec, exec, s[0:1]
	v_and_b32_e32 v25, 0x7f, v0
	v_sub_u32_e32 v27, v1, v25
	v_lshl_add_u32 v26, v27, 1, 2
	v_add_u32_e32 v25, 2, v27
	s_waitcnt lgkmcnt(0)
	s_barrier
	v_add_u32_e32 v27, v25, v27
	ds_read_u16 v29, v26
	ds_read_u16 v31, v27 offset:256
	ds_read_u8 v30, v25 offset:4096
	ds_read_u8 v32, v25 offset:4224
	v_lshrrev_b32_e32 v33, 7, v0
	v_and_b32_e32 v28, 0x80, v0
	v_cmp_ne_u32_e32 vcc, 0, v28
	v_and_b32_e32 v28, 1, v33
	s_waitcnt lgkmcnt(1)
	v_and_b32_e32 v34, 1, v30
	v_cmp_lt_f16_e64 s[0:1], v29, v31
	v_cmp_eq_u32_e64 s[2:3], 1, v34
	s_waitcnt lgkmcnt(0)
	v_cmp_ne_u16_e64 s[6:7], v32, v28
	v_cndmask_b32_e64 v34, 0, 1, s[6:7]
	s_and_b64 s[0:1], s[0:1], s[2:3]
	v_cndmask_b32_e64 v33, v34, v33, s[0:1]
	v_and_b32_e32 v33, 1, v33
	v_cmp_eq_u32_e64 s[0:1], 1, v33
	s_and_saveexec_b64 s[2:3], s[0:1]
	s_cbranch_execz .LBB102_63
; %bb.62:
	ds_write_b16 v26, v31
	ds_write_b16 v27, v29 offset:256
	ds_write_b8 v25, v32 offset:4096
	ds_write_b8 v25, v30 offset:4224
.LBB102_63:
	s_or_b64 exec, exec, s[2:3]
	s_waitcnt lgkmcnt(0)
	s_barrier
	ds_read_u16 v30, v23
	ds_read_u16 v32, v24 offset:128
	ds_read_u8 v31, v22 offset:4096
	ds_read_u8 v33, v22 offset:4160
	s_waitcnt lgkmcnt(2)
	v_cmp_lt_f16_e64 s[0:1], v30, v32
	s_waitcnt lgkmcnt(1)
	v_and_b32_e32 v29, 1, v31
	v_cmp_eq_u32_e64 s[2:3], 1, v29
	s_waitcnt lgkmcnt(0)
	v_cmp_ne_u16_e64 s[6:7], v33, v28
	v_cndmask_b32_e64 v34, 0, 1, s[6:7]
	v_cndmask_b32_e64 v29, 0, 1, vcc
	s_and_b64 vcc, s[0:1], s[2:3]
	v_cndmask_b32_e32 v34, v34, v29, vcc
	v_and_b32_e32 v34, 1, v34
	v_cmp_eq_u32_e32 vcc, 1, v34
	s_and_saveexec_b64 s[0:1], vcc
	s_cbranch_execz .LBB102_65
; %bb.64:
	ds_write_b16 v23, v32
	ds_write_b16 v24, v30 offset:128
	ds_write_b8 v22, v33 offset:4096
	ds_write_b8 v22, v31 offset:4160
.LBB102_65:
	s_or_b64 exec, exec, s[0:1]
	s_waitcnt lgkmcnt(0)
	s_barrier
	ds_read_u16 v30, v20
	ds_read_u16 v32, v21 offset:64
	ds_read_u8 v31, v19 offset:4096
	ds_read_u8 v33, v19 offset:4128
	s_waitcnt lgkmcnt(2)
	v_cmp_lt_f16_e32 vcc, v30, v32
	s_waitcnt lgkmcnt(1)
	v_and_b32_e32 v34, 1, v31
	v_cmp_eq_u32_e64 s[0:1], 1, v34
	s_waitcnt lgkmcnt(0)
	v_cmp_ne_u16_e64 s[2:3], v33, v28
	v_cndmask_b32_e64 v34, 0, 1, s[2:3]
	s_and_b64 vcc, vcc, s[0:1]
	v_cndmask_b32_e32 v34, v34, v29, vcc
	v_and_b32_e32 v34, 1, v34
	v_cmp_eq_u32_e32 vcc, 1, v34
	s_and_saveexec_b64 s[0:1], vcc
	s_cbranch_execz .LBB102_67
; %bb.66:
	ds_write_b16 v20, v32
	ds_write_b16 v21, v30 offset:64
	ds_write_b8 v19, v33 offset:4096
	ds_write_b8 v19, v31 offset:4128
.LBB102_67:
	s_or_b64 exec, exec, s[0:1]
	s_waitcnt lgkmcnt(0)
	s_barrier
	ds_read_u16 v30, v17
	ds_read_u16 v32, v18 offset:32
	ds_read_u8 v31, v16 offset:4096
	ds_read_u8 v33, v16 offset:4112
	s_waitcnt lgkmcnt(2)
	v_cmp_lt_f16_e32 vcc, v30, v32
	s_waitcnt lgkmcnt(1)
	v_and_b32_e32 v34, 1, v31
	v_cmp_eq_u32_e64 s[0:1], 1, v34
	s_waitcnt lgkmcnt(0)
	v_cmp_ne_u16_e64 s[2:3], v33, v28
	v_cndmask_b32_e64 v34, 0, 1, s[2:3]
	s_and_b64 vcc, vcc, s[0:1]
	;; [unrolled: 27-line block ×5, first 2 shown]
	v_cndmask_b32_e32 v34, v34, v29, vcc
	v_and_b32_e32 v34, 1, v34
	v_cmp_eq_u32_e32 vcc, 1, v34
	s_and_saveexec_b64 s[0:1], vcc
	s_cbranch_execz .LBB102_75
; %bb.74:
	ds_write_b16 v7, v32
	ds_write_b16 v8, v30 offset:4
	ds_write_b8 v6, v33 offset:4096
	ds_write_b8 v6, v31 offset:4098
.LBB102_75:
	s_or_b64 exec, exec, s[0:1]
	s_waitcnt lgkmcnt(0)
	s_barrier
	ds_read_b32 v31, v3
	ds_read_u8 v30, v4 offset:4096
	ds_read_u8 v32, v4 offset:4097
	s_waitcnt lgkmcnt(2)
	v_cmp_lt_f16_sdwa s[2:3], v31, v31 src0_sel:DWORD src1_sel:WORD_1
	s_waitcnt lgkmcnt(1)
	v_and_b32_e32 v33, 1, v30
	v_cmp_eq_u32_e32 vcc, 1, v33
	s_waitcnt lgkmcnt(0)
	v_cmp_ne_u16_e64 s[0:1], v32, v28
	v_cndmask_b32_e64 v28, 0, 1, s[0:1]
	s_and_b64 vcc, s[2:3], vcc
	v_cndmask_b32_e32 v28, v28, v29, vcc
	v_and_b32_e32 v28, 1, v28
	v_cmp_eq_u32_e32 vcc, 1, v28
	s_and_saveexec_b64 s[0:1], vcc
	s_cbranch_execz .LBB102_77
; %bb.76:
	v_alignbit_b32 v28, v31, v31, 16
	ds_write_b32 v3, v28
	ds_write_b8 v4, v32 offset:4096
	ds_write_b8 v4, v30 offset:4097
.LBB102_77:
	s_or_b64 exec, exec, s[0:1]
	v_sub_u32_sdwa v30, v1, v0 dst_sel:DWORD dst_unused:UNUSED_PAD src0_sel:DWORD src1_sel:BYTE_0
	v_lshl_add_u32 v29, v30, 1, 2
	v_add_u32_e32 v28, 2, v30
	v_and_b32_e32 v35, 0x100, v0
	s_waitcnt lgkmcnt(0)
	s_barrier
	v_add_u32_e32 v30, v28, v30
	ds_read_u16 v32, v29
	ds_read_u16 v34, v30 offset:512
	ds_read_u8 v33, v28 offset:4096
	v_cmp_ne_u32_e32 vcc, 0, v35
	ds_read_u8 v35, v28 offset:4352
	v_bfe_u32 v36, v0, 8, 1
	s_waitcnt lgkmcnt(2)
	v_cmp_lt_f16_e64 s[0:1], v32, v34
	s_waitcnt lgkmcnt(1)
	v_and_b32_e32 v37, 1, v33
	v_cmp_eq_u32_e64 s[2:3], 1, v37
	s_waitcnt lgkmcnt(0)
	v_cmp_ne_u16_e64 s[6:7], v35, v36
	v_cndmask_b32_e64 v37, 0, 1, s[6:7]
	s_and_b64 s[0:1], s[0:1], s[2:3]
	v_cndmask_b32_e64 v36, v37, v36, s[0:1]
	v_and_b32_e32 v36, 1, v36
	v_and_b32_e32 v31, 0x100, v0
	v_cmp_eq_u32_e64 s[0:1], 1, v36
	s_and_saveexec_b64 s[2:3], s[0:1]
	s_cbranch_execz .LBB102_79
; %bb.78:
	ds_write_b16 v29, v34
	ds_write_b16 v30, v32 offset:512
	ds_write_b8 v28, v35 offset:4096
	ds_write_b8 v28, v33 offset:4352
.LBB102_79:
	s_or_b64 exec, exec, s[2:3]
	s_waitcnt lgkmcnt(0)
	s_barrier
	ds_read_u16 v33, v26
	ds_read_u16 v35, v27 offset:256
	ds_read_u8 v34, v25 offset:4096
	ds_read_u8 v36, v25 offset:4224
	v_lshrrev_b32_e32 v31, 8, v31
	s_waitcnt lgkmcnt(2)
	v_cmp_lt_f16_e64 s[0:1], v33, v35
	s_waitcnt lgkmcnt(1)
	v_and_b32_e32 v32, 1, v34
	v_cmp_eq_u32_e64 s[2:3], 1, v32
	s_waitcnt lgkmcnt(0)
	v_cmp_ne_u16_e64 s[6:7], v36, v31
	v_cndmask_b32_e64 v37, 0, 1, s[6:7]
	v_cndmask_b32_e64 v32, 0, 1, vcc
	s_and_b64 vcc, s[0:1], s[2:3]
	v_cndmask_b32_e32 v37, v37, v32, vcc
	v_and_b32_e32 v37, 1, v37
	v_cmp_eq_u32_e32 vcc, 1, v37
	s_and_saveexec_b64 s[0:1], vcc
	s_cbranch_execz .LBB102_81
; %bb.80:
	ds_write_b16 v26, v35
	ds_write_b16 v27, v33 offset:256
	ds_write_b8 v25, v36 offset:4096
	ds_write_b8 v25, v34 offset:4224
.LBB102_81:
	s_or_b64 exec, exec, s[0:1]
	s_waitcnt lgkmcnt(0)
	s_barrier
	ds_read_u16 v33, v23
	ds_read_u16 v35, v24 offset:128
	ds_read_u8 v34, v22 offset:4096
	ds_read_u8 v36, v22 offset:4160
	s_waitcnt lgkmcnt(2)
	v_cmp_lt_f16_e32 vcc, v33, v35
	s_waitcnt lgkmcnt(1)
	v_and_b32_e32 v37, 1, v34
	v_cmp_eq_u32_e64 s[0:1], 1, v37
	s_waitcnt lgkmcnt(0)
	v_cmp_ne_u16_e64 s[2:3], v36, v31
	v_cndmask_b32_e64 v37, 0, 1, s[2:3]
	s_and_b64 vcc, vcc, s[0:1]
	v_cndmask_b32_e32 v37, v37, v32, vcc
	v_and_b32_e32 v37, 1, v37
	v_cmp_eq_u32_e32 vcc, 1, v37
	s_and_saveexec_b64 s[0:1], vcc
	s_cbranch_execz .LBB102_83
; %bb.82:
	ds_write_b16 v23, v35
	ds_write_b16 v24, v33 offset:128
	ds_write_b8 v22, v36 offset:4096
	ds_write_b8 v22, v34 offset:4160
.LBB102_83:
	s_or_b64 exec, exec, s[0:1]
	s_waitcnt lgkmcnt(0)
	s_barrier
	ds_read_u16 v33, v20
	ds_read_u16 v35, v21 offset:64
	ds_read_u8 v34, v19 offset:4096
	ds_read_u8 v36, v19 offset:4128
	s_waitcnt lgkmcnt(2)
	v_cmp_lt_f16_e32 vcc, v33, v35
	s_waitcnt lgkmcnt(1)
	v_and_b32_e32 v37, 1, v34
	v_cmp_eq_u32_e64 s[0:1], 1, v37
	s_waitcnt lgkmcnt(0)
	v_cmp_ne_u16_e64 s[2:3], v36, v31
	v_cndmask_b32_e64 v37, 0, 1, s[2:3]
	s_and_b64 vcc, vcc, s[0:1]
	;; [unrolled: 27-line block ×6, first 2 shown]
	v_cndmask_b32_e32 v37, v37, v32, vcc
	v_and_b32_e32 v37, 1, v37
	v_cmp_eq_u32_e32 vcc, 1, v37
	s_and_saveexec_b64 s[0:1], vcc
	s_cbranch_execz .LBB102_93
; %bb.92:
	ds_write_b16 v7, v35
	ds_write_b16 v8, v33 offset:4
	ds_write_b8 v6, v36 offset:4096
	ds_write_b8 v6, v34 offset:4098
.LBB102_93:
	s_or_b64 exec, exec, s[0:1]
	s_waitcnt lgkmcnt(0)
	s_barrier
	ds_read_b32 v34, v3
	ds_read_u8 v33, v4 offset:4096
	ds_read_u8 v35, v4 offset:4097
	s_waitcnt lgkmcnt(2)
	v_cmp_lt_f16_sdwa s[2:3], v34, v34 src0_sel:DWORD src1_sel:WORD_1
	s_waitcnt lgkmcnt(1)
	v_and_b32_e32 v36, 1, v33
	v_cmp_eq_u32_e32 vcc, 1, v36
	s_waitcnt lgkmcnt(0)
	v_cmp_ne_u16_e64 s[0:1], v35, v31
	v_cndmask_b32_e64 v31, 0, 1, s[0:1]
	s_and_b64 vcc, s[2:3], vcc
	v_cndmask_b32_e32 v31, v31, v32, vcc
	v_and_b32_e32 v31, 1, v31
	v_cmp_eq_u32_e32 vcc, 1, v31
	s_and_saveexec_b64 s[0:1], vcc
	s_cbranch_execz .LBB102_95
; %bb.94:
	v_alignbit_b32 v31, v34, v34, 16
	ds_write_b32 v3, v31
	ds_write_b8 v4, v35 offset:4096
	ds_write_b8 v4, v33 offset:4097
.LBB102_95:
	s_or_b64 exec, exec, s[0:1]
	v_and_b32_e32 v31, 0x1ff, v0
	v_sub_u32_e32 v33, v1, v31
	v_lshl_add_u32 v32, v33, 1, 2
	v_add_u32_e32 v31, 2, v33
	s_waitcnt lgkmcnt(0)
	s_barrier
	v_add_u32_e32 v33, v31, v33
	ds_read_u16 v35, v32
	ds_read_u16 v37, v33 offset:1024
	ds_read_u8 v36, v31 offset:4096
	ds_read_u8 v38, v31 offset:4608
	s_movk_i32 s0, 0x1ff
	v_cmp_lt_u32_e32 vcc, s0, v0
	v_cndmask_b32_e64 v34, 0, 1, vcc
	s_waitcnt lgkmcnt(1)
	v_and_b32_e32 v39, 1, v36
	v_cmp_lt_f16_e32 vcc, v35, v37
	v_cmp_eq_u32_e64 s[0:1], 1, v39
	s_waitcnt lgkmcnt(0)
	v_cmp_ne_u16_e64 s[2:3], v38, v34
	v_cndmask_b32_e64 v39, 0, 1, s[2:3]
	s_and_b64 vcc, vcc, s[0:1]
	v_cndmask_b32_e32 v39, v39, v34, vcc
	v_and_b32_e32 v39, 1, v39
	v_cmp_eq_u32_e32 vcc, 1, v39
	s_and_saveexec_b64 s[0:1], vcc
	s_cbranch_execz .LBB102_97
; %bb.96:
	ds_write_b16 v32, v37
	ds_write_b16 v33, v35 offset:1024
	ds_write_b8 v31, v38 offset:4096
	ds_write_b8 v31, v36 offset:4608
.LBB102_97:
	s_or_b64 exec, exec, s[0:1]
	s_waitcnt lgkmcnt(0)
	s_barrier
	ds_read_u16 v35, v29
	ds_read_u16 v37, v30 offset:512
	ds_read_u8 v36, v28 offset:4096
	ds_read_u8 v38, v28 offset:4352
	s_waitcnt lgkmcnt(2)
	v_cmp_lt_f16_e32 vcc, v35, v37
	s_waitcnt lgkmcnt(1)
	v_and_b32_e32 v39, 1, v36
	v_cmp_eq_u32_e64 s[0:1], 1, v39
	s_waitcnt lgkmcnt(0)
	v_cmp_ne_u16_e64 s[2:3], v38, v34
	v_cndmask_b32_e64 v39, 0, 1, s[2:3]
	s_and_b64 vcc, vcc, s[0:1]
	v_cndmask_b32_e32 v39, v39, v34, vcc
	v_and_b32_e32 v39, 1, v39
	v_cmp_eq_u32_e32 vcc, 1, v39
	s_and_saveexec_b64 s[0:1], vcc
	s_cbranch_execz .LBB102_99
; %bb.98:
	ds_write_b16 v29, v37
	ds_write_b16 v30, v35 offset:512
	ds_write_b8 v28, v38 offset:4096
	ds_write_b8 v28, v36 offset:4352
.LBB102_99:
	s_or_b64 exec, exec, s[0:1]
	s_waitcnt lgkmcnt(0)
	s_barrier
	ds_read_u16 v35, v26
	ds_read_u16 v37, v27 offset:256
	ds_read_u8 v36, v25 offset:4096
	ds_read_u8 v38, v25 offset:4224
	s_waitcnt lgkmcnt(2)
	v_cmp_lt_f16_e32 vcc, v35, v37
	s_waitcnt lgkmcnt(1)
	v_and_b32_e32 v39, 1, v36
	;; [unrolled: 27-line block ×8, first 2 shown]
	v_cmp_eq_u32_e64 s[0:1], 1, v39
	s_waitcnt lgkmcnt(0)
	v_cmp_ne_u16_e64 s[2:3], v38, v34
	v_cndmask_b32_e64 v39, 0, 1, s[2:3]
	s_and_b64 vcc, vcc, s[0:1]
	v_cndmask_b32_e32 v39, v39, v34, vcc
	v_and_b32_e32 v39, 1, v39
	v_cmp_eq_u32_e32 vcc, 1, v39
	s_and_saveexec_b64 s[0:1], vcc
	s_cbranch_execz .LBB102_113
; %bb.112:
	ds_write_b16 v7, v37
	ds_write_b16 v8, v35 offset:4
	ds_write_b8 v6, v38 offset:4096
	ds_write_b8 v6, v36 offset:4098
.LBB102_113:
	s_or_b64 exec, exec, s[0:1]
	s_waitcnt lgkmcnt(0)
	s_barrier
	ds_read_b32 v36, v3
	ds_read_u8 v35, v4 offset:4096
	ds_read_u8 v37, v4 offset:4097
	s_waitcnt lgkmcnt(2)
	v_cmp_lt_f16_sdwa s[2:3], v36, v36 src0_sel:DWORD src1_sel:WORD_1
	s_waitcnt lgkmcnt(1)
	v_and_b32_e32 v38, 1, v35
	v_cmp_eq_u32_e32 vcc, 1, v38
	s_waitcnt lgkmcnt(0)
	v_cmp_ne_u16_e64 s[0:1], v37, v34
	v_cndmask_b32_e64 v38, 0, 1, s[0:1]
	s_and_b64 vcc, s[2:3], vcc
	v_cndmask_b32_e32 v34, v38, v34, vcc
	v_and_b32_e32 v34, 1, v34
	v_cmp_eq_u32_e32 vcc, 1, v34
	s_and_saveexec_b64 s[0:1], vcc
	s_cbranch_execz .LBB102_115
; %bb.114:
	v_alignbit_b32 v34, v36, v36, 16
	ds_write_b32 v3, v34
	ds_write_b8 v4, v37 offset:4096
	ds_write_b8 v4, v35 offset:4097
.LBB102_115:
	s_or_b64 exec, exec, s[0:1]
	s_waitcnt lgkmcnt(0)
	s_barrier
	ds_read_u16 v35, v12
	ds_read_u16 v37, v12 offset:2048
	ds_read_u8 v36, v2 offset:4096
	ds_read_u8 v38, v2 offset:5120
	s_waitcnt lgkmcnt(2)
	v_cmp_nlt_f16_e32 vcc, v35, v37
	s_waitcnt lgkmcnt(1)
	v_and_b32_e32 v34, 1, v36
	v_cmp_eq_u32_e64 s[0:1], 1, v34
	s_xor_b64 s[0:1], s[0:1], -1
	v_mov_b32_e32 v34, 0
	s_or_b64 s[0:1], vcc, s[0:1]
	s_waitcnt lgkmcnt(0)
	v_cmp_ne_u16_sdwa s[2:3], v38, v34 src0_sel:BYTE_0 src1_sel:DWORD
	s_and_b64 s[2:3], s[0:1], s[2:3]
	s_and_saveexec_b64 s[0:1], s[2:3]
	s_cbranch_execz .LBB102_117
; %bb.116:
	ds_write_b16 v12, v37
	ds_write_b16 v12, v35 offset:2048
	v_mov_b32_e32 v12, 1
	ds_write_b8 v2, v12 offset:4096
	ds_write_b8 v2, v36 offset:5120
.LBB102_117:
	s_or_b64 exec, exec, s[0:1]
	s_waitcnt lgkmcnt(0)
	s_barrier
	ds_read_u16 v12, v32
	ds_read_u16 v36, v33 offset:1024
	ds_read_u8 v35, v31 offset:4096
	ds_read_u8 v37, v31 offset:4608
	s_waitcnt lgkmcnt(2)
	v_cmp_nlt_f16_e32 vcc, v12, v36
	s_waitcnt lgkmcnt(1)
	v_and_b32_e32 v38, 1, v35
	v_cmp_eq_u32_e64 s[0:1], 1, v38
	s_xor_b64 s[0:1], s[0:1], -1
	s_or_b64 s[0:1], vcc, s[0:1]
	s_waitcnt lgkmcnt(0)
	v_cmp_ne_u16_sdwa s[2:3], v37, v34 src0_sel:BYTE_0 src1_sel:DWORD
	s_and_b64 s[2:3], s[0:1], s[2:3]
	s_and_saveexec_b64 s[0:1], s[2:3]
	s_cbranch_execz .LBB102_119
; %bb.118:
	ds_write_b16 v32, v36
	ds_write_b16 v33, v12 offset:1024
	v_mov_b32_e32 v12, 1
	ds_write_b8 v31, v12 offset:4096
	ds_write_b8 v31, v35 offset:4608
.LBB102_119:
	s_or_b64 exec, exec, s[0:1]
	s_waitcnt lgkmcnt(0)
	s_barrier
	ds_read_u16 v31, v29
	ds_read_u16 v33, v30 offset:512
	ds_read_u8 v32, v28 offset:4096
	ds_read_u8 v34, v28 offset:4352
	s_waitcnt lgkmcnt(2)
	v_cmp_nlt_f16_e32 vcc, v31, v33
	s_waitcnt lgkmcnt(1)
	v_and_b32_e32 v12, 1, v32
	v_cmp_eq_u32_e64 s[0:1], 1, v12
	s_xor_b64 s[0:1], s[0:1], -1
	v_mov_b32_e32 v12, 0
	s_or_b64 s[0:1], vcc, s[0:1]
	s_waitcnt lgkmcnt(0)
	v_cmp_ne_u16_sdwa s[2:3], v34, v12 src0_sel:BYTE_0 src1_sel:DWORD
	s_and_b64 s[2:3], s[0:1], s[2:3]
	s_and_saveexec_b64 s[0:1], s[2:3]
	s_cbranch_execz .LBB102_121
; %bb.120:
	ds_write_b16 v29, v33
	ds_write_b16 v30, v31 offset:512
	v_mov_b32_e32 v29, 1
	ds_write_b8 v28, v29 offset:4096
	ds_write_b8 v28, v32 offset:4352
.LBB102_121:
	s_or_b64 exec, exec, s[0:1]
	s_waitcnt lgkmcnt(0)
	s_barrier
	ds_read_u16 v28, v26
	ds_read_u16 v30, v27 offset:256
	ds_read_u8 v29, v25 offset:4096
	ds_read_u8 v31, v25 offset:4224
	s_waitcnt lgkmcnt(2)
	v_cmp_nlt_f16_e32 vcc, v28, v30
	s_waitcnt lgkmcnt(1)
	v_and_b32_e32 v32, 1, v29
	v_cmp_eq_u32_e64 s[0:1], 1, v32
	s_xor_b64 s[0:1], s[0:1], -1
	s_or_b64 s[0:1], vcc, s[0:1]
	s_waitcnt lgkmcnt(0)
	v_cmp_ne_u16_sdwa s[2:3], v31, v12 src0_sel:BYTE_0 src1_sel:DWORD
	s_and_b64 s[2:3], s[0:1], s[2:3]
	s_and_saveexec_b64 s[0:1], s[2:3]
	s_cbranch_execz .LBB102_123
; %bb.122:
	v_mov_b32_e32 v12, 1
	ds_write_b16 v26, v30
	ds_write_b16 v27, v28 offset:256
	ds_write_b8 v25, v12 offset:4096
	ds_write_b8 v25, v29 offset:4224
.LBB102_123:
	s_or_b64 exec, exec, s[0:1]
	s_waitcnt lgkmcnt(0)
	s_barrier
	ds_read_u16 v25, v23
	ds_read_u16 v27, v24 offset:128
	ds_read_u8 v26, v22 offset:4096
	ds_read_u8 v28, v22 offset:4160
	s_waitcnt lgkmcnt(2)
	v_cmp_nlt_f16_e32 vcc, v25, v27
	s_waitcnt lgkmcnt(1)
	v_and_b32_e32 v12, 1, v26
	v_cmp_eq_u32_e64 s[0:1], 1, v12
	s_xor_b64 s[0:1], s[0:1], -1
	v_mov_b32_e32 v12, 0
	s_or_b64 s[0:1], vcc, s[0:1]
	s_waitcnt lgkmcnt(0)
	v_cmp_ne_u16_sdwa s[2:3], v28, v12 src0_sel:BYTE_0 src1_sel:DWORD
	s_and_b64 s[2:3], s[0:1], s[2:3]
	s_and_saveexec_b64 s[0:1], s[2:3]
	s_cbranch_execz .LBB102_125
; %bb.124:
	ds_write_b16 v23, v27
	ds_write_b16 v24, v25 offset:128
	v_mov_b32_e32 v23, 1
	ds_write_b8 v22, v23 offset:4096
	ds_write_b8 v22, v26 offset:4160
.LBB102_125:
	s_or_b64 exec, exec, s[0:1]
	s_waitcnt lgkmcnt(0)
	s_barrier
	ds_read_u16 v22, v20
	ds_read_u16 v24, v21 offset:64
	ds_read_u8 v23, v19 offset:4096
	ds_read_u8 v25, v19 offset:4128
	s_waitcnt lgkmcnt(2)
	v_cmp_nlt_f16_e32 vcc, v22, v24
	s_waitcnt lgkmcnt(1)
	v_and_b32_e32 v26, 1, v23
	v_cmp_eq_u32_e64 s[0:1], 1, v26
	s_xor_b64 s[0:1], s[0:1], -1
	s_or_b64 s[0:1], vcc, s[0:1]
	s_waitcnt lgkmcnt(0)
	v_cmp_ne_u16_sdwa s[2:3], v25, v12 src0_sel:BYTE_0 src1_sel:DWORD
	s_and_b64 s[2:3], s[0:1], s[2:3]
	s_and_saveexec_b64 s[0:1], s[2:3]
	s_cbranch_execz .LBB102_127
; %bb.126:
	v_mov_b32_e32 v12, 1
	ds_write_b16 v20, v24
	ds_write_b16 v21, v22 offset:64
	ds_write_b8 v19, v12 offset:4096
	ds_write_b8 v19, v23 offset:4128
.LBB102_127:
	s_or_b64 exec, exec, s[0:1]
	s_waitcnt lgkmcnt(0)
	s_barrier
	ds_read_u16 v19, v17
	ds_read_u16 v21, v18 offset:32
	ds_read_u8 v20, v16 offset:4096
	ds_read_u8 v22, v16 offset:4112
	s_waitcnt lgkmcnt(2)
	v_cmp_nlt_f16_e32 vcc, v19, v21
	s_waitcnt lgkmcnt(1)
	v_and_b32_e32 v12, 1, v20
	v_cmp_eq_u32_e64 s[0:1], 1, v12
	s_xor_b64 s[0:1], s[0:1], -1
	v_mov_b32_e32 v12, 0
	s_or_b64 s[0:1], vcc, s[0:1]
	s_waitcnt lgkmcnt(0)
	v_cmp_ne_u16_sdwa s[2:3], v22, v12 src0_sel:BYTE_0 src1_sel:DWORD
	s_and_b64 s[2:3], s[0:1], s[2:3]
	s_and_saveexec_b64 s[0:1], s[2:3]
	s_cbranch_execz .LBB102_129
; %bb.128:
	ds_write_b16 v17, v21
	ds_write_b16 v18, v19 offset:32
	v_mov_b32_e32 v17, 1
	ds_write_b8 v16, v17 offset:4096
	ds_write_b8 v16, v20 offset:4112
.LBB102_129:
	s_or_b64 exec, exec, s[0:1]
	s_waitcnt lgkmcnt(0)
	s_barrier
	ds_read_u16 v16, v14
	ds_read_u16 v18, v15 offset:16
	ds_read_u8 v17, v13 offset:4096
	ds_read_u8 v19, v13 offset:4104
	s_waitcnt lgkmcnt(2)
	v_cmp_nlt_f16_e32 vcc, v16, v18
	s_waitcnt lgkmcnt(1)
	v_and_b32_e32 v20, 1, v17
	v_cmp_eq_u32_e64 s[0:1], 1, v20
	s_xor_b64 s[0:1], s[0:1], -1
	s_or_b64 s[0:1], vcc, s[0:1]
	s_waitcnt lgkmcnt(0)
	v_cmp_ne_u16_sdwa s[2:3], v19, v12 src0_sel:BYTE_0 src1_sel:DWORD
	s_and_b64 s[2:3], s[0:1], s[2:3]
	s_and_saveexec_b64 s[0:1], s[2:3]
	s_cbranch_execz .LBB102_131
; %bb.130:
	v_mov_b32_e32 v12, 1
	ds_write_b16 v14, v18
	ds_write_b16 v15, v16 offset:16
	ds_write_b8 v13, v12 offset:4096
	ds_write_b8 v13, v17 offset:4104
.LBB102_131:
	s_or_b64 exec, exec, s[0:1]
	s_waitcnt lgkmcnt(0)
	s_barrier
	ds_read_u16 v13, v10
	ds_read_u16 v15, v11 offset:8
	ds_read_u8 v14, v9 offset:4096
	ds_read_u8 v16, v9 offset:4100
	s_waitcnt lgkmcnt(2)
	v_cmp_nlt_f16_e32 vcc, v13, v15
	s_waitcnt lgkmcnt(1)
	v_and_b32_e32 v12, 1, v14
	v_cmp_eq_u32_e64 s[0:1], 1, v12
	s_xor_b64 s[0:1], s[0:1], -1
	v_mov_b32_e32 v12, 0
	s_or_b64 s[0:1], vcc, s[0:1]
	s_waitcnt lgkmcnt(0)
	v_cmp_ne_u16_sdwa s[2:3], v16, v12 src0_sel:BYTE_0 src1_sel:DWORD
	s_and_b64 s[2:3], s[0:1], s[2:3]
	s_and_saveexec_b64 s[0:1], s[2:3]
	s_cbranch_execz .LBB102_133
; %bb.132:
	ds_write_b16 v10, v15
	ds_write_b16 v11, v13 offset:8
	v_mov_b32_e32 v10, 1
	ds_write_b8 v9, v10 offset:4096
	ds_write_b8 v9, v14 offset:4100
.LBB102_133:
	s_or_b64 exec, exec, s[0:1]
	s_waitcnt lgkmcnt(0)
	s_barrier
	ds_read_u16 v9, v7
	ds_read_u16 v11, v8 offset:4
	ds_read_u8 v10, v6 offset:4096
	ds_read_u8 v13, v6 offset:4098
	s_waitcnt lgkmcnt(2)
	v_cmp_nlt_f16_e32 vcc, v9, v11
	s_waitcnt lgkmcnt(1)
	v_and_b32_e32 v14, 1, v10
	v_cmp_eq_u32_e64 s[0:1], 1, v14
	s_xor_b64 s[0:1], s[0:1], -1
	s_or_b64 s[0:1], vcc, s[0:1]
	s_waitcnt lgkmcnt(0)
	v_cmp_ne_u16_sdwa s[2:3], v13, v12 src0_sel:BYTE_0 src1_sel:DWORD
	s_and_b64 s[2:3], s[0:1], s[2:3]
	s_and_saveexec_b64 s[0:1], s[2:3]
	s_cbranch_execz .LBB102_135
; %bb.134:
	ds_write_b16 v7, v11
	ds_write_b16 v8, v9 offset:4
	v_mov_b32_e32 v7, 1
	ds_write_b8 v6, v7 offset:4096
	ds_write_b8 v6, v10 offset:4098
.LBB102_135:
	s_or_b64 exec, exec, s[0:1]
	s_waitcnt lgkmcnt(0)
	s_barrier
	ds_read_b32 v7, v3
	ds_read_u8 v6, v4 offset:4096
	ds_read_u8 v8, v4 offset:4097
	s_waitcnt lgkmcnt(2)
	v_cmp_nlt_f16_sdwa s[0:1], v7, v7 src0_sel:DWORD src1_sel:WORD_1
	s_waitcnt lgkmcnt(1)
	v_and_b32_e32 v9, 1, v6
	v_cmp_eq_u32_e32 vcc, 1, v9
	s_xor_b64 s[2:3], vcc, -1
	v_mov_b32_e32 v9, 0
	s_or_b64 s[0:1], s[0:1], s[2:3]
	s_waitcnt lgkmcnt(0)
	v_cmp_ne_u16_sdwa s[2:3], v8, v9 src0_sel:BYTE_0 src1_sel:DWORD
	s_and_b64 s[2:3], s[0:1], s[2:3]
	s_and_saveexec_b64 s[0:1], s[2:3]
	s_cbranch_execz .LBB102_137
; %bb.136:
	v_alignbit_b32 v7, v7, v7, 16
	ds_write_b32 v3, v7
	v_mov_b32_e32 v7, 1
	ds_write_b8 v4, v7 offset:4096
	ds_write_b8 v4, v6 offset:4097
.LBB102_137:
	s_or_b64 exec, exec, s[0:1]
	v_cmp_eq_u32_e32 vcc, 0, v0
	s_waitcnt lgkmcnt(0)
	s_barrier
	s_barrier
	s_and_saveexec_b64 s[0:1], vcc
	s_cbranch_execz .LBB102_139
; %bb.138:
	v_mov_b32_e32 v4, 1
	v_mov_b32_e32 v6, 2
	ds_write_b8 v6, v4 offset:4100
	v_mov_b32_e32 v4, 0
	ds_write_b32 v6, v4 offset:4096
.LBB102_139:
	s_or_b64 exec, exec, s[0:1]
	ds_read_u16 v7, v3
	ds_read_u16 v6, v3 offset:2
	v_mad_u32_u24 v3, v0, 15, v2
	v_mul_u32_u24_e32 v4, 15, v0
	s_waitcnt lgkmcnt(0)
	v_cmp_neq_f16_e64 s[0:1], v7, v6
	v_cndmask_b32_e64 v8, 0, 1, s[0:1]
	v_cmp_eq_f16_e64 s[0:1], v7, v6
	v_cndmask_b32_e64 v7, 0, 1, s[0:1]
	s_movk_i32 s0, 0x3ff
	ds_write_b8 v3, v8 offset:4108
	ds_write_b32 v3, v7 offset:4104
	v_cmp_ne_u32_e64 s[2:3], s0, v0
	v_mov_b32_e32 v3, 0x800
	s_and_saveexec_b64 s[6:7], s[2:3]
	s_cbranch_execz .LBB102_141
; %bb.140:
	v_lshl_add_u32 v7, v1, 1, 2
	ds_read_u16 v8, v7 offset:4
	v_add_u32_e32 v3, 2, v1
	v_mad_u32_u24 v7, v0, 12, v7
	s_waitcnt lgkmcnt(0)
	v_cmp_neq_f16_e64 s[0:1], v6, v8
	v_cndmask_b32_e64 v9, 0, 1, s[0:1]
	v_cmp_eq_f16_e64 s[0:1], v6, v8
	v_cndmask_b32_e64 v6, 0, 1, s[0:1]
	ds_write_b8 v7, v9 offset:4116
	ds_write_b32 v7, v6 offset:4112
.LBB102_141:
	s_or_b64 exec, exec, s[6:7]
	v_add_u32_e32 v2, v2, v4
	s_waitcnt lgkmcnt(0)
	s_barrier
	ds_read_u8 v4, v2 offset:4108
	v_add_u32_e32 v6, 0x1000, v2
	ds_read2_b32 v[6:7], v6 offset1:2
	ds_read_u8 v8, v2 offset:4100
	v_add_u32_e32 v9, 0x1008, v2
	s_waitcnt lgkmcnt(2)
	v_and_b32_e32 v10, 1, v4
	v_cmp_eq_u32_e64 s[0:1], 1, v10
	s_waitcnt lgkmcnt(1)
	v_cndmask_b32_e64 v6, v6, 0, s[0:1]
	s_waitcnt lgkmcnt(0)
	v_or_b32_e32 v4, v8, v4
	v_add_u32_e32 v6, v6, v7
	v_and_b32_e32 v4, 1, v4
	ds_write2_b32 v9, v6, v4 offset1:1
	v_lshlrev_b32_e32 v4, 1, v3
	s_movk_i32 s0, 0x200
	v_cmp_gt_u32_e64 s[0:1], s0, v0
	v_lshl_add_u32 v4, v4, 3, 2
	s_waitcnt lgkmcnt(0)
	s_barrier
	s_and_saveexec_b64 s[6:7], s[0:1]
	s_cbranch_execz .LBB102_143
; %bb.142:
	ds_read_u8 v8, v4 offset:4092
	v_add_u32_e32 v6, 0xc00, v4
	ds_read2_b32 v[6:7], v6 offset0:250 offset1:254
	ds_read_u8 v9, v4 offset:4076
	v_add_u32_e32 v10, 0xff8, v4
	s_waitcnt lgkmcnt(2)
	v_and_b32_e32 v11, 1, v8
	v_cmp_eq_u32_e64 s[0:1], 1, v11
	s_waitcnt lgkmcnt(1)
	v_cndmask_b32_e64 v6, v6, 0, s[0:1]
	v_add_u32_e32 v6, v6, v7
	s_waitcnt lgkmcnt(0)
	v_or_b32_e32 v7, v9, v8
	v_and_b32_e32 v7, 1, v7
	ds_write2_b32 v10, v6, v7 offset1:1
.LBB102_143:
	s_or_b64 exec, exec, s[6:7]
	v_lshlrev_b32_e32 v6, 2, v3
	s_movk_i32 s0, 0x100
	v_cmp_gt_u32_e64 s[0:1], s0, v0
	v_lshl_add_u32 v6, v6, 3, 2
	s_waitcnt lgkmcnt(0)
	s_barrier
	s_and_saveexec_b64 s[6:7], s[0:1]
	s_cbranch_execz .LBB102_145
; %bb.144:
	ds_read_u8 v9, v6 offset:4092
	v_add_u32_e32 v7, 0xc00, v6
	ds_read2_b32 v[7:8], v7 offset0:246 offset1:254
	ds_read_u8 v10, v6 offset:4060
	v_add_u32_e32 v11, 0xff8, v6
	s_waitcnt lgkmcnt(2)
	v_and_b32_e32 v12, 1, v9
	v_cmp_eq_u32_e64 s[0:1], 1, v12
	s_waitcnt lgkmcnt(1)
	v_cndmask_b32_e64 v7, v7, 0, s[0:1]
	v_add_u32_e32 v7, v7, v8
	s_waitcnt lgkmcnt(0)
	v_or_b32_e32 v8, v10, v9
	v_and_b32_e32 v8, 1, v8
	ds_write2_b32 v11, v7, v8 offset1:1
.LBB102_145:
	s_or_b64 exec, exec, s[6:7]
	v_lshlrev_b32_e32 v7, 3, v3
	s_movk_i32 s0, 0x80
	v_cmp_gt_u32_e64 s[0:1], s0, v0
	v_lshl_add_u32 v7, v7, 3, 2
	s_waitcnt lgkmcnt(0)
	s_barrier
	s_and_saveexec_b64 s[6:7], s[0:1]
	s_cbranch_execz .LBB102_147
; %bb.146:
	ds_read_u8 v10, v7 offset:4092
	ds_read_u8 v12, v7 offset:4028
	v_add_u32_e32 v8, 0xc00, v7
	ds_read2_b32 v[8:9], v8 offset0:238 offset1:254
	v_add_u32_e32 v11, 0xff8, v7
	s_waitcnt lgkmcnt(2)
	v_and_b32_e32 v13, 1, v10
	v_cmp_eq_u32_e64 s[0:1], 1, v13
	s_waitcnt lgkmcnt(0)
	v_cndmask_b32_e64 v8, v8, 0, s[0:1]
	v_add_u32_e32 v8, v8, v9
	v_or_b32_e32 v9, v12, v10
	v_and_b32_e32 v9, 1, v9
	ds_write2_b32 v11, v8, v9 offset1:1
.LBB102_147:
	s_or_b64 exec, exec, s[6:7]
	v_lshlrev_b32_e32 v8, 4, v3
	v_cmp_gt_u32_e64 s[0:1], 64, v0
	v_lshl_add_u32 v8, v8, 3, 2
	s_waitcnt lgkmcnt(0)
	s_barrier
	s_and_saveexec_b64 s[8:9], s[0:1]
	s_cbranch_execz .LBB102_149
; %bb.148:
	ds_read_u8 v11, v8 offset:4092
	ds_read_u8 v13, v8 offset:3964
	v_add_u32_e32 v9, 0xc00, v8
	ds_read2_b32 v[9:10], v9 offset0:222 offset1:254
	v_add_u32_e32 v12, 0xff8, v8
	s_waitcnt lgkmcnt(2)
	v_and_b32_e32 v14, 1, v11
	v_cmp_eq_u32_e64 s[6:7], 1, v14
	s_waitcnt lgkmcnt(0)
	v_cndmask_b32_e64 v9, v9, 0, s[6:7]
	v_add_u32_e32 v9, v9, v10
	v_or_b32_e32 v10, v13, v11
	v_and_b32_e32 v10, 1, v10
	ds_write2_b32 v12, v9, v10 offset1:1
.LBB102_149:
	s_or_b64 exec, exec, s[8:9]
	v_lshlrev_b32_e32 v9, 5, v3
	v_cmp_gt_u32_e64 s[6:7], 32, v0
	v_lshl_add_u32 v9, v9, 3, 2
	s_waitcnt lgkmcnt(0)
	s_barrier
	s_and_saveexec_b64 s[8:9], s[6:7]
	s_cbranch_execz .LBB102_151
; %bb.150:
	ds_read_u8 v12, v9 offset:4092
	ds_read_u8 v14, v9 offset:3836
	v_add_u32_e32 v10, 0xf8, v9
	ds_read2st64_b32 v[10:11], v10 offset0:14 offset1:15
	v_add_u32_e32 v13, 0xff8, v9
	s_waitcnt lgkmcnt(2)
	v_and_b32_e32 v15, 1, v12
	v_cmp_eq_u32_e64 s[6:7], 1, v15
	s_waitcnt lgkmcnt(0)
	v_cndmask_b32_e64 v10, v10, 0, s[6:7]
	v_add_u32_e32 v10, v10, v11
	v_or_b32_e32 v11, v14, v12
	v_and_b32_e32 v11, 1, v11
	ds_write2_b32 v13, v10, v11 offset1:1
.LBB102_151:
	s_or_b64 exec, exec, s[8:9]
	v_lshlrev_b32_e32 v10, 6, v3
	v_cmp_gt_u32_e64 s[6:7], 16, v0
	v_lshl_add_u32 v10, v10, 3, 2
	s_waitcnt lgkmcnt(0)
	s_barrier
	s_and_saveexec_b64 s[8:9], s[6:7]
	s_cbranch_execz .LBB102_153
; %bb.152:
	ds_read_u8 v13, v10 offset:4092
	ds_read_u8 v15, v10 offset:3580
	v_add_u32_e32 v11, 0xf8, v10
	ds_read2st64_b32 v[11:12], v11 offset0:13 offset1:15
	v_add_u32_e32 v14, 0xff8, v10
	s_waitcnt lgkmcnt(2)
	v_and_b32_e32 v16, 1, v13
	v_cmp_eq_u32_e64 s[6:7], 1, v16
	s_waitcnt lgkmcnt(0)
	v_cndmask_b32_e64 v11, v11, 0, s[6:7]
	v_add_u32_e32 v11, v11, v12
	v_or_b32_e32 v12, v15, v13
	v_and_b32_e32 v12, 1, v12
	ds_write2_b32 v14, v11, v12 offset1:1
.LBB102_153:
	;; [unrolled: 24-line block ×4, first 2 shown]
	s_or_b64 exec, exec, s[8:9]
	v_lshlrev_b32_e32 v13, 9, v3
	v_cmp_gt_u32_e64 s[6:7], 2, v0
	v_lshl_add_u32 v13, v13, 3, 2
	s_waitcnt lgkmcnt(0)
	s_barrier
	s_and_saveexec_b64 s[8:9], s[6:7]
	s_cbranch_execz .LBB102_159
; %bb.158:
	ds_read_u8 v16, v13 offset:4092
	v_add_u32_e32 v15, -8, v13
	v_add_u32_e32 v17, -4, v13
	ds_read_b32 v15, v15
	ds_read_b32 v18, v13 offset:4088
	ds_read_u8 v17, v17
	v_add_u32_e32 v14, 0xff8, v13
	s_waitcnt lgkmcnt(3)
	v_and_b32_e32 v19, 1, v16
	v_cmp_eq_u32_e64 s[6:7], 1, v19
	s_waitcnt lgkmcnt(2)
	v_cndmask_b32_e64 v15, v15, 0, s[6:7]
	s_waitcnt lgkmcnt(0)
	v_or_b32_e32 v16, v17, v16
	v_add_u32_e32 v15, v15, v18
	v_and_b32_e32 v16, 1, v16
	ds_write2_b32 v14, v15, v16 offset1:1
.LBB102_159:
	s_or_b64 exec, exec, s[8:9]
	s_waitcnt lgkmcnt(0)
	s_barrier
	s_and_saveexec_b64 s[8:9], vcc
	s_cbranch_execz .LBB102_161
; %bb.160:
	v_mov_b32_e32 v14, 2
	ds_read_u8 v15, v14 offset:20476
	ds_read_b32 v16, v14 offset:12280
	ds_read_b32 v17, v14 offset:20472
	ds_read_u8 v14, v14 offset:12284
	s_add_i32 s10, 2, 0x4ff8
	s_waitcnt lgkmcnt(3)
	v_and_b32_e32 v18, 1, v15
	v_cmp_eq_u32_e64 s[6:7], 1, v18
	s_waitcnt lgkmcnt(2)
	v_cndmask_b32_e64 v16, v16, 0, s[6:7]
	s_waitcnt lgkmcnt(0)
	v_or_b32_e32 v14, v14, v15
	v_add_u32_e32 v16, v16, v17
	v_and_b32_e32 v14, 1, v14
	v_mov_b32_e32 v15, s10
	ds_write2_b32 v15, v16, v14 offset1:1
.LBB102_161:
	s_or_b64 exec, exec, s[8:9]
	s_waitcnt lgkmcnt(0)
	s_barrier
	s_and_saveexec_b64 s[8:9], vcc
	s_cbranch_execz .LBB102_163
; %bb.162:
	ds_read_u8 v16, v13 offset:8188
	v_add_u32_e32 v14, 0xf8, v13
	ds_read2st64_b32 v[14:15], v14 offset0:15 offset1:31
	v_add_u32_e32 v17, 0x1ff8, v13
	ds_read_u8 v13, v13 offset:4092
	s_waitcnt lgkmcnt(2)
	v_and_b32_e32 v18, 1, v16
	v_cmp_eq_u32_e64 s[6:7], 1, v18
	s_waitcnt lgkmcnt(1)
	v_cndmask_b32_e64 v14, v14, 0, s[6:7]
	v_add_u32_e32 v14, v14, v15
	s_waitcnt lgkmcnt(0)
	v_or_b32_e32 v13, v13, v16
	v_and_b32_e32 v13, 1, v13
	ds_write2_b32 v17, v14, v13 offset1:1
.LBB102_163:
	s_or_b64 exec, exec, s[8:9]
	v_cmp_gt_u32_e64 s[6:7], 3, v0
	s_waitcnt lgkmcnt(0)
	s_barrier
	s_and_saveexec_b64 s[8:9], s[6:7]
	s_cbranch_execz .LBB102_165
; %bb.164:
	ds_read_u8 v15, v12 offset:6140
	v_add_u32_e32 v13, 0xf8, v12
	ds_read2st64_b32 v[13:14], v13 offset0:15 offset1:23
	v_add_u32_e32 v16, 0x17f8, v12
	ds_read_u8 v12, v12 offset:4092
	s_waitcnt lgkmcnt(2)
	v_and_b32_e32 v17, 1, v15
	v_cmp_eq_u32_e64 s[6:7], 1, v17
	s_waitcnt lgkmcnt(1)
	v_cndmask_b32_e64 v13, v13, 0, s[6:7]
	v_add_u32_e32 v13, v13, v14
	s_waitcnt lgkmcnt(0)
	v_or_b32_e32 v12, v12, v15
	v_and_b32_e32 v12, 1, v12
	ds_write2_b32 v16, v13, v12 offset1:1
.LBB102_165:
	s_or_b64 exec, exec, s[8:9]
	v_cmp_gt_u32_e64 s[6:7], 7, v0
	s_waitcnt lgkmcnt(0)
	s_barrier
	s_and_saveexec_b64 s[8:9], s[6:7]
	;; [unrolled: 23-line block ×5, first 2 shown]
	s_cbranch_execz .LBB102_173
; %bb.172:
	ds_read_u8 v11, v8 offset:4220
	v_add_u32_e32 v9, 0xe00, v8
	ds_read2_b32 v[9:10], v9 offset0:126 offset1:158
	v_add_u32_e32 v12, 0x1078, v8
	ds_read_u8 v8, v8 offset:4092
	s_waitcnt lgkmcnt(2)
	v_and_b32_e32 v13, 1, v11
	v_cmp_eq_u32_e64 s[6:7], 1, v13
	s_waitcnt lgkmcnt(1)
	v_cndmask_b32_e64 v9, v9, 0, s[6:7]
	v_add_u32_e32 v9, v9, v10
	s_waitcnt lgkmcnt(0)
	v_or_b32_e32 v8, v8, v11
	v_and_b32_e32 v8, 1, v8
	ds_write2_b32 v12, v9, v8 offset1:1
.LBB102_173:
	s_or_b64 exec, exec, s[8:9]
	s_movk_i32 s6, 0x7f
	v_cmp_gt_u32_e64 s[6:7], s6, v0
	s_waitcnt lgkmcnt(0)
	s_barrier
	s_and_saveexec_b64 s[8:9], s[6:7]
	s_cbranch_execz .LBB102_175
; %bb.174:
	ds_read_u8 v10, v7 offset:4156
	v_add_u32_e32 v8, 0xe00, v7
	ds_read2_b32 v[8:9], v8 offset0:126 offset1:142
	v_add_u32_e32 v11, 0x1038, v7
	ds_read_u8 v7, v7 offset:4092
	s_waitcnt lgkmcnt(2)
	v_and_b32_e32 v12, 1, v10
	v_cmp_eq_u32_e64 s[6:7], 1, v12
	s_waitcnt lgkmcnt(1)
	v_cndmask_b32_e64 v8, v8, 0, s[6:7]
	v_add_u32_e32 v8, v8, v9
	s_waitcnt lgkmcnt(0)
	v_or_b32_e32 v7, v7, v10
	v_and_b32_e32 v7, 1, v7
	ds_write2_b32 v11, v8, v7 offset1:1
.LBB102_175:
	s_or_b64 exec, exec, s[8:9]
	s_movk_i32 s6, 0xff
	v_cmp_gt_u32_e64 s[6:7], s6, v0
	s_waitcnt lgkmcnt(0)
	s_barrier
	s_and_saveexec_b64 s[8:9], s[6:7]
	s_cbranch_execz .LBB102_177
; %bb.176:
	ds_read_u8 v9, v6 offset:4124
	v_add_u32_e32 v7, 0xe00, v6
	ds_read2_b32 v[7:8], v7 offset0:126 offset1:134
	ds_read_u8 v10, v6 offset:4092
	v_add_u32_e32 v6, 0x1018, v6
	s_waitcnt lgkmcnt(2)
	v_and_b32_e32 v11, 1, v9
	v_cmp_eq_u32_e64 s[6:7], 1, v11
	s_waitcnt lgkmcnt(1)
	v_cndmask_b32_e64 v7, v7, 0, s[6:7]
	v_add_u32_e32 v7, v7, v8
	s_waitcnt lgkmcnt(0)
	v_or_b32_e32 v8, v10, v9
	v_and_b32_e32 v8, 1, v8
	ds_write2_b32 v6, v7, v8 offset1:1
.LBB102_177:
	s_or_b64 exec, exec, s[8:9]
	s_movk_i32 s6, 0x1ff
	v_cmp_gt_u32_e64 s[6:7], s6, v0
	s_waitcnt lgkmcnt(0)
	s_barrier
	s_and_saveexec_b64 s[8:9], s[6:7]
	s_cbranch_execz .LBB102_179
; %bb.178:
	ds_read_u8 v8, v4 offset:4108
	v_add_u32_e32 v6, 0xe00, v4
	ds_read2_b32 v[6:7], v6 offset0:126 offset1:130
	ds_read_u8 v9, v4 offset:4092
	v_add_u32_e32 v4, 0x1008, v4
	s_waitcnt lgkmcnt(2)
	v_and_b32_e32 v10, 1, v8
	v_cmp_eq_u32_e64 s[6:7], 1, v10
	s_waitcnt lgkmcnt(1)
	v_cndmask_b32_e64 v6, v6, 0, s[6:7]
	v_add_u32_e32 v6, v6, v7
	s_waitcnt lgkmcnt(0)
	v_or_b32_e32 v7, v9, v8
	v_and_b32_e32 v7, 1, v7
	ds_write2_b32 v4, v6, v7 offset1:1
.LBB102_179:
	s_or_b64 exec, exec, s[8:9]
	s_waitcnt lgkmcnt(0)
	s_barrier
	s_and_saveexec_b64 s[6:7], s[2:3]
	s_cbranch_execz .LBB102_181
; %bb.180:
	v_lshl_add_u32 v3, v3, 3, 2
	ds_read_u8 v4, v3 offset:4100
	v_add_u32_e32 v6, 0x1000, v3
	ds_read_b32 v7, v2 offset:4104
	ds_read_b32 v3, v3 offset:4096
	ds_read_u8 v8, v2 offset:4108
	s_waitcnt lgkmcnt(3)
	v_and_b32_e32 v9, 1, v4
	v_cmp_eq_u32_e64 s[2:3], 1, v9
	s_waitcnt lgkmcnt(2)
	v_cndmask_b32_e64 v7, v7, 0, s[2:3]
	s_waitcnt lgkmcnt(0)
	v_or_b32_e32 v4, v8, v4
	v_add_u32_e32 v3, v7, v3
	v_and_b32_e32 v4, 1, v4
	ds_write2_b32 v6, v3, v4 offset1:1
.LBB102_181:
	s_or_b64 exec, exec, s[6:7]
	v_add_u32_e32 v2, 0x1000, v2
	s_waitcnt lgkmcnt(0)
	s_barrier
	ds_read2_b32 v[6:7], v2 offset1:2
	v_or_b32_e32 v3, 1, v1
	v_cmp_gt_u32_e64 s[2:3], s16, v1
	v_cmp_gt_u32_e64 s[6:7], s16, v3
	v_cndmask_b32_e64 v4, 0, v1, s[2:3]
	s_waitcnt lgkmcnt(0)
	v_cndmask_b32_e64 v2, 0, v6, s[2:3]
	v_mbcnt_lo_u32_b32 v6, -1, 0
	v_cndmask_b32_e64 v7, 0, v7, s[6:7]
	v_mbcnt_hi_u32_b32 v11, -1, v6
	v_mov_b32_e32 v6, 0x80
	v_cndmask_b32_e64 v8, 0, v3, s[6:7]
	v_max_u32_e32 v9, v7, v2
	v_lshl_or_b32 v6, v11, 2, v6
	v_cmp_gt_u32_e64 s[8:9], v7, v2
	ds_bpermute_b32 v10, v6, v9
	v_cndmask_b32_e64 v2, v4, v8, s[8:9]
	ds_bpermute_b32 v4, v6, v2
	v_and_b32_e32 v12, 63, v11
	v_cmp_gt_u32_e64 s[8:9], 48, v12
	v_cndmask_b32_e64 v7, 0, 16, s[8:9]
	s_waitcnt lgkmcnt(1)
	v_max_u32_e32 v13, v10, v9
	v_add_lshl_u32 v7, v7, v11, 2
	v_cmp_gt_u32_e64 s[8:9], v10, v9
	ds_bpermute_b32 v14, v7, v13
	s_waitcnt lgkmcnt(1)
	v_cndmask_b32_e64 v2, v2, v4, s[8:9]
	ds_bpermute_b32 v4, v7, v2
	v_cmp_gt_u32_e64 s[8:9], 56, v12
	v_cndmask_b32_e64 v8, 0, 8, s[8:9]
	s_waitcnt lgkmcnt(1)
	v_max_u32_e32 v10, v14, v13
	v_add_lshl_u32 v8, v8, v11, 2
	v_cmp_gt_u32_e64 s[8:9], v14, v13
	ds_bpermute_b32 v15, v8, v10
	s_waitcnt lgkmcnt(1)
	v_cndmask_b32_e64 v2, v2, v4, s[8:9]
	ds_bpermute_b32 v4, v8, v2
	v_cmp_gt_u32_e64 s[8:9], 60, v12
	v_cndmask_b32_e64 v9, 0, 4, s[8:9]
	s_waitcnt lgkmcnt(1)
	v_max_u32_e32 v13, v15, v10
	v_add_lshl_u32 v9, v9, v11, 2
	v_cmp_gt_u32_e64 s[8:9], v15, v10
	ds_bpermute_b32 v14, v9, v13
	s_waitcnt lgkmcnt(1)
	v_cndmask_b32_e64 v2, v2, v4, s[8:9]
	ds_bpermute_b32 v4, v9, v2
	v_cmp_gt_u32_e64 s[8:9], 62, v12
	v_cndmask_b32_e64 v10, 0, 2, s[8:9]
	s_waitcnt lgkmcnt(1)
	v_max_u32_e32 v15, v14, v13
	v_add_lshl_u32 v10, v10, v11, 2
	v_cmp_gt_u32_e64 s[8:9], v14, v13
	ds_bpermute_b32 v16, v10, v15
	s_waitcnt lgkmcnt(1)
	v_cndmask_b32_e64 v4, v2, v4, s[8:9]
	ds_bpermute_b32 v13, v10, v4
	s_waitcnt lgkmcnt(0)
	s_barrier
	v_cmp_gt_u32_e64 s[8:9], v16, v15
	v_max_u32_e32 v2, v16, v15
	v_cndmask_b32_e64 v4, v4, v13, s[8:9]
	v_cmp_ne_u32_e64 s[8:9], 63, v12
	v_addc_co_u32_e64 v11, s[8:9], 0, v11, s[8:9]
	v_lshlrev_b32_e32 v11, 2, v11
	ds_bpermute_b32 v12, v11, v4
	ds_bpermute_b32 v13, v11, v2
	v_cmp_eq_u32_e64 s[8:9], 0, v5
	s_waitcnt lgkmcnt(0)
	s_barrier
	s_and_saveexec_b64 s[12:13], s[8:9]
	s_cbranch_execz .LBB102_183
; %bb.182:
	v_lshrrev_b32_e32 v14, 3, v0
	v_add_u32_e32 v14, 2, v14
	v_cmp_gt_u32_e64 s[10:11], v13, v2
	v_add_u32_e32 v14, 0x1000, v14
	v_cndmask_b32_e64 v4, v4, v12, s[10:11]
	v_max_u32_e32 v2, v13, v2
	ds_write2_b32 v14, v2, v4 offset1:1
.LBB102_183:
	s_or_b64 exec, exec, s[12:13]
	s_lshr_b32 s10, s18, 6
	v_cmp_gt_u32_e64 s[10:11], s10, v0
	v_lshl_add_u32 v12, v5, 3, 2
	v_mov_b32_e32 v2, 0
	v_mov_b32_e32 v4, 0
	s_waitcnt lgkmcnt(0)
	s_barrier
	s_and_saveexec_b64 s[12:13], s[10:11]
	s_cbranch_execnz .LBB102_198
; %bb.184:
	s_or_b64 exec, exec, s[12:13]
	s_and_saveexec_b64 s[12:13], s[10:11]
	s_cbranch_execnz .LBB102_199
.LBB102_185:
	s_or_b64 exec, exec, s[12:13]
	s_and_saveexec_b64 s[18:19], s[0:1]
	s_cbranch_execnz .LBB102_200
.LBB102_186:
	s_or_b64 exec, exec, s[18:19]
	s_and_saveexec_b64 s[12:13], vcc
	s_cbranch_execz .LBB102_188
.LBB102_187:
	s_waitcnt lgkmcnt(0)
	v_lshl_add_u32 v2, v2, 1, 2
	ds_read_u16 v2, v2
	v_mov_b32_e32 v4, 0
	s_waitcnt lgkmcnt(0)
	ds_write_b16 v4, v2
.LBB102_188:
	s_or_b64 exec, exec, s[12:13]
	s_waitcnt lgkmcnt(0)
	v_mov_b32_e32 v2, 0
	v_cmp_gt_i64_e64 s[12:13], s[16:17], v[1:2]
	v_mov_b32_e32 v13, 0
	s_barrier
	s_and_saveexec_b64 s[18:19], s[12:13]
	s_cbranch_execz .LBB102_190
; %bb.189:
	v_add_u32_e32 v13, s21, v1
	v_mov_b32_e32 v14, 0
	v_lshlrev_b64 v[15:16], 1, v[13:14]
	v_mov_b32_e32 v4, s15
	v_add_co_u32_e64 v15, s[12:13], s14, v15
	v_addc_co_u32_e64 v16, s[12:13], v4, v16, s[12:13]
	global_load_ushort v4, v[15:16], off
	ds_read_u16 v13, v14
	s_waitcnt vmcnt(0) lgkmcnt(0)
	v_cmp_eq_f16_e64 s[12:13], v4, v13
	v_cndmask_b32_e64 v13, 0, v1, s[12:13]
.LBB102_190:
	s_or_b64 exec, exec, s[18:19]
	v_mov_b32_e32 v4, v2
	v_cmp_gt_i64_e64 s[12:13], s[16:17], v[3:4]
	s_and_saveexec_b64 s[16:17], s[12:13]
	s_cbranch_execz .LBB102_192
; %bb.191:
	v_add_u32_e32 v1, s21, v3
	v_mov_b32_e32 v2, 0
	v_lshlrev_b64 v[14:15], 1, v[1:2]
	v_mov_b32_e32 v1, s15
	v_add_co_u32_e64 v14, s[12:13], s14, v14
	v_addc_co_u32_e64 v15, s[12:13], v1, v15, s[12:13]
	global_load_ushort v1, v[14:15], off
	ds_read_u16 v2, v2
	s_waitcnt vmcnt(0) lgkmcnt(0)
	v_cmp_eq_f16_e64 s[12:13], v1, v2
	v_cndmask_b32_e64 v2, 0, v3, s[12:13]
.LBB102_192:
	s_or_b64 exec, exec, s[16:17]
	v_cndmask_b32_e64 v1, 0, v13, s[2:3]
	v_max_u32_e32 v2, v2, v1
	v_cndmask_b32_e64 v1, v1, v2, s[6:7]
	ds_bpermute_b32 v2, v6, v1
	s_waitcnt lgkmcnt(0)
	s_barrier
	v_max_u32_e32 v1, v2, v1
	ds_bpermute_b32 v2, v7, v1
	s_waitcnt lgkmcnt(0)
	v_max_u32_e32 v1, v2, v1
	ds_bpermute_b32 v2, v8, v1
	s_waitcnt lgkmcnt(0)
	;; [unrolled: 3-line block ×4, first 2 shown]
	v_max_u32_e32 v1, v2, v1
	ds_bpermute_b32 v2, v11, v1
	s_and_saveexec_b64 s[2:3], s[8:9]
	s_cbranch_execz .LBB102_194
; %bb.193:
	v_lshrrev_b32_e32 v0, 4, v0
	v_add_u32_e32 v0, 2, v0
	s_waitcnt lgkmcnt(0)
	v_max_u32_e32 v1, v2, v1
	ds_write_b32 v0, v1
.LBB102_194:
	s_or_b64 exec, exec, s[2:3]
	v_mov_b32_e32 v0, 0
	s_waitcnt lgkmcnt(0)
	s_barrier
	s_and_saveexec_b64 s[2:3], s[10:11]
	s_cbranch_execnz .LBB102_201
; %bb.195:
	s_or_b64 exec, exec, s[2:3]
	s_and_saveexec_b64 s[2:3], s[0:1]
	s_cbranch_execnz .LBB102_202
.LBB102_196:
	s_or_b64 exec, exec, s[2:3]
	s_and_saveexec_b64 s[0:1], vcc
	s_cbranch_execnz .LBB102_203
.LBB102_197:
	s_endpgm
.LBB102_198:
	ds_read_b32 v4, v12 offset:4096
	s_or_b64 exec, exec, s[12:13]
	s_and_saveexec_b64 s[12:13], s[10:11]
	s_cbranch_execz .LBB102_185
.LBB102_199:
	ds_read_b32 v2, v12 offset:4100
	s_or_b64 exec, exec, s[12:13]
	s_and_saveexec_b64 s[18:19], s[0:1]
	s_cbranch_execz .LBB102_186
.LBB102_200:
	s_waitcnt lgkmcnt(0)
	ds_bpermute_b32 v13, v6, v4
	ds_bpermute_b32 v14, v6, v2
	s_waitcnt lgkmcnt(1)
	v_max_u32_e32 v15, v13, v4
	v_cmp_gt_u32_e64 s[12:13], v13, v4
	ds_bpermute_b32 v16, v7, v15
	s_waitcnt lgkmcnt(1)
	v_cndmask_b32_e64 v2, v2, v14, s[12:13]
	ds_bpermute_b32 v4, v7, v2
	s_waitcnt lgkmcnt(1)
	v_max_u32_e32 v13, v16, v15
	v_cmp_gt_u32_e64 s[12:13], v16, v15
	ds_bpermute_b32 v14, v8, v13
	s_waitcnt lgkmcnt(1)
	v_cndmask_b32_e64 v2, v2, v4, s[12:13]
	;; [unrolled: 7-line block ×4, first 2 shown]
	ds_bpermute_b32 v4, v10, v2
	s_waitcnt lgkmcnt(1)
	v_max_u32_e32 v15, v14, v13
	v_cmp_gt_u32_e64 s[12:13], v14, v13
	s_waitcnt lgkmcnt(0)
	v_cndmask_b32_e64 v2, v2, v4, s[12:13]
	ds_bpermute_b32 v4, v11, v15
	ds_bpermute_b32 v13, v11, v2
	s_waitcnt lgkmcnt(1)
	v_cmp_gt_u32_e64 s[12:13], v4, v15
	s_waitcnt lgkmcnt(0)
	v_cndmask_b32_e64 v2, v2, v13, s[12:13]
	s_or_b64 exec, exec, s[18:19]
	s_and_saveexec_b64 s[12:13], vcc
	s_cbranch_execnz .LBB102_187
	s_branch .LBB102_188
.LBB102_201:
	v_lshlrev_b32_e32 v0, 2, v5
	v_sub_u32_e32 v0, v12, v0
	ds_read_b32 v0, v0
	s_or_b64 exec, exec, s[2:3]
	s_and_saveexec_b64 s[2:3], s[0:1]
	s_cbranch_execz .LBB102_196
.LBB102_202:
	s_waitcnt lgkmcnt(0)
	ds_bpermute_b32 v1, v6, v0
	s_waitcnt lgkmcnt(0)
	v_max_u32_e32 v0, v1, v0
	ds_bpermute_b32 v1, v7, v0
	s_waitcnt lgkmcnt(0)
	v_max_u32_e32 v0, v1, v0
	ds_bpermute_b32 v1, v8, v0
	s_waitcnt lgkmcnt(0)
	v_max_u32_e32 v0, v1, v0
	ds_bpermute_b32 v1, v9, v0
	s_waitcnt lgkmcnt(0)
	v_max_u32_e32 v0, v1, v0
	ds_bpermute_b32 v1, v10, v0
	s_waitcnt lgkmcnt(0)
	v_max_u32_e32 v0, v1, v0
	ds_bpermute_b32 v1, v11, v0
	s_waitcnt lgkmcnt(0)
	v_max_u32_e32 v0, v1, v0
	s_or_b64 exec, exec, s[2:3]
	s_and_saveexec_b64 s[0:1], vcc
	s_cbranch_execz .LBB102_197
.LBB102_203:
	s_load_dword s2, s[4:5], 0xd8
	s_load_dwordx2 s[0:1], s[4:5], 0xe0
	s_add_u32 s4, s4, 8
	s_addc_u32 s5, s5, 0
	s_mov_b32 s3, 0
	s_waitcnt lgkmcnt(0)
	s_cmp_lt_i32 s2, 2
	s_cbranch_scc1 .LBB102_206
; %bb.204:
	s_add_i32 s8, s2, 1
	s_add_i32 s2, s2, -1
	s_lshl_b64 s[6:7], s[2:3], 2
	s_add_u32 s2, s4, s6
	s_addc_u32 s7, s5, s7
	s_add_u32 s6, s2, 8
	s_addc_u32 s7, s7, 0
.LBB102_205:                            ; =>This Inner Loop Header: Depth=1
	s_load_dword s2, s[6:7], 0x0
	s_load_dword s10, s[6:7], 0x64
	s_mov_b32 s9, s20
	s_waitcnt lgkmcnt(0)
	v_cvt_f32_u32_e32 v1, s2
	s_sub_i32 s11, 0, s2
	v_rcp_iflag_f32_e32 v1, v1
	v_mul_f32_e32 v1, 0x4f7ffffe, v1
	v_cvt_u32_f32_e32 v1, v1
	v_readfirstlane_b32 s12, v1
	s_mul_i32 s11, s11, s12
	s_mul_hi_u32 s11, s12, s11
	s_add_i32 s12, s12, s11
	s_mul_hi_u32 s11, s20, s12
	s_mul_i32 s12, s11, s2
	s_sub_i32 s12, s20, s12
	s_add_i32 s13, s11, 1
	s_sub_i32 s14, s12, s2
	s_cmp_ge_u32 s12, s2
	s_cselect_b32 s11, s13, s11
	s_cselect_b32 s12, s14, s12
	s_add_i32 s13, s11, 1
	s_cmp_ge_u32 s12, s2
	s_cselect_b32 s20, s13, s11
	s_mul_i32 s2, s20, s2
	s_sub_i32 s2, s9, s2
	s_mul_i32 s2, s10, s2
	s_add_i32 s8, s8, -1
	s_add_i32 s3, s2, s3
	s_add_u32 s6, s6, -4
	s_addc_u32 s7, s7, -1
	s_cmp_gt_u32 s8, 2
	s_cbranch_scc1 .LBB102_205
.LBB102_206:
	s_load_dword s2, s[4:5], 0x6c
	v_mov_b32_e32 v1, 0
	s_load_dwordx2 s[4:5], s[4:5], 0x0
	ds_read_u16 v2, v1
	s_mov_b32 s7, 0
	s_waitcnt lgkmcnt(0)
	s_mul_i32 s2, s2, s20
	s_add_i32 s6, s2, s3
	s_lshl_b64 s[2:3], s[6:7], 1
	s_add_u32 s2, s4, s2
	s_addc_u32 s3, s5, s3
	global_store_short v1, v2, s[2:3]
	s_lshl_b64 s[2:3], s[6:7], 3
	s_add_u32 s0, s0, s2
	s_addc_u32 s1, s1, s3
	global_store_dwordx2 v1, v[0:1], s[0:1]
	s_endpgm
	.section	.rodata,"a",@progbits
	.p2align	6, 0x0
	.amdhsa_kernel _ZN2at6native12compute_modeIN3c104HalfELj2048EEEvPKT_NS_4cuda6detail10TensorInfoIS4_jEENS9_IljEEll
		.amdhsa_group_segment_fixed_size 2
		.amdhsa_private_segment_fixed_size 0
		.amdhsa_kernarg_size 712
		.amdhsa_user_sgpr_count 6
		.amdhsa_user_sgpr_private_segment_buffer 1
		.amdhsa_user_sgpr_dispatch_ptr 0
		.amdhsa_user_sgpr_queue_ptr 0
		.amdhsa_user_sgpr_kernarg_segment_ptr 1
		.amdhsa_user_sgpr_dispatch_id 0
		.amdhsa_user_sgpr_flat_scratch_init 0
		.amdhsa_user_sgpr_private_segment_size 0
		.amdhsa_uses_dynamic_stack 0
		.amdhsa_system_sgpr_private_segment_wavefront_offset 0
		.amdhsa_system_sgpr_workgroup_id_x 1
		.amdhsa_system_sgpr_workgroup_id_y 1
		.amdhsa_system_sgpr_workgroup_id_z 1
		.amdhsa_system_sgpr_workgroup_info 0
		.amdhsa_system_vgpr_workitem_id 0
		.amdhsa_next_free_vgpr 40
		.amdhsa_next_free_sgpr 22
		.amdhsa_reserve_vcc 1
		.amdhsa_reserve_flat_scratch 0
		.amdhsa_float_round_mode_32 0
		.amdhsa_float_round_mode_16_64 0
		.amdhsa_float_denorm_mode_32 3
		.amdhsa_float_denorm_mode_16_64 3
		.amdhsa_dx10_clamp 1
		.amdhsa_ieee_mode 1
		.amdhsa_fp16_overflow 0
		.amdhsa_exception_fp_ieee_invalid_op 0
		.amdhsa_exception_fp_denorm_src 0
		.amdhsa_exception_fp_ieee_div_zero 0
		.amdhsa_exception_fp_ieee_overflow 0
		.amdhsa_exception_fp_ieee_underflow 0
		.amdhsa_exception_fp_ieee_inexact 0
		.amdhsa_exception_int_div_zero 0
	.end_amdhsa_kernel
	.section	.text._ZN2at6native12compute_modeIN3c104HalfELj2048EEEvPKT_NS_4cuda6detail10TensorInfoIS4_jEENS9_IljEEll,"axG",@progbits,_ZN2at6native12compute_modeIN3c104HalfELj2048EEEvPKT_NS_4cuda6detail10TensorInfoIS4_jEENS9_IljEEll,comdat
.Lfunc_end102:
	.size	_ZN2at6native12compute_modeIN3c104HalfELj2048EEEvPKT_NS_4cuda6detail10TensorInfoIS4_jEENS9_IljEEll, .Lfunc_end102-_ZN2at6native12compute_modeIN3c104HalfELj2048EEEvPKT_NS_4cuda6detail10TensorInfoIS4_jEENS9_IljEEll
                                        ; -- End function
	.set _ZN2at6native12compute_modeIN3c104HalfELj2048EEEvPKT_NS_4cuda6detail10TensorInfoIS4_jEENS9_IljEEll.num_vgpr, 40
	.set _ZN2at6native12compute_modeIN3c104HalfELj2048EEEvPKT_NS_4cuda6detail10TensorInfoIS4_jEENS9_IljEEll.num_agpr, 0
	.set _ZN2at6native12compute_modeIN3c104HalfELj2048EEEvPKT_NS_4cuda6detail10TensorInfoIS4_jEENS9_IljEEll.numbered_sgpr, 22
	.set _ZN2at6native12compute_modeIN3c104HalfELj2048EEEvPKT_NS_4cuda6detail10TensorInfoIS4_jEENS9_IljEEll.num_named_barrier, 0
	.set _ZN2at6native12compute_modeIN3c104HalfELj2048EEEvPKT_NS_4cuda6detail10TensorInfoIS4_jEENS9_IljEEll.private_seg_size, 0
	.set _ZN2at6native12compute_modeIN3c104HalfELj2048EEEvPKT_NS_4cuda6detail10TensorInfoIS4_jEENS9_IljEEll.uses_vcc, 1
	.set _ZN2at6native12compute_modeIN3c104HalfELj2048EEEvPKT_NS_4cuda6detail10TensorInfoIS4_jEENS9_IljEEll.uses_flat_scratch, 0
	.set _ZN2at6native12compute_modeIN3c104HalfELj2048EEEvPKT_NS_4cuda6detail10TensorInfoIS4_jEENS9_IljEEll.has_dyn_sized_stack, 0
	.set _ZN2at6native12compute_modeIN3c104HalfELj2048EEEvPKT_NS_4cuda6detail10TensorInfoIS4_jEENS9_IljEEll.has_recursion, 0
	.set _ZN2at6native12compute_modeIN3c104HalfELj2048EEEvPKT_NS_4cuda6detail10TensorInfoIS4_jEENS9_IljEEll.has_indirect_call, 0
	.section	.AMDGPU.csdata,"",@progbits
; Kernel info:
; codeLenInByte = 14988
; TotalNumSgprs: 26
; NumVgprs: 40
; ScratchSize: 0
; MemoryBound: 0
; FloatMode: 240
; IeeeMode: 1
; LDSByteSize: 2 bytes/workgroup (compile time only)
; SGPRBlocks: 3
; VGPRBlocks: 9
; NumSGPRsForWavesPerEU: 26
; NumVGPRsForWavesPerEU: 40
; Occupancy: 6
; WaveLimiterHint : 1
; COMPUTE_PGM_RSRC2:SCRATCH_EN: 0
; COMPUTE_PGM_RSRC2:USER_SGPR: 6
; COMPUTE_PGM_RSRC2:TRAP_HANDLER: 0
; COMPUTE_PGM_RSRC2:TGID_X_EN: 1
; COMPUTE_PGM_RSRC2:TGID_Y_EN: 1
; COMPUTE_PGM_RSRC2:TGID_Z_EN: 1
; COMPUTE_PGM_RSRC2:TIDIG_COMP_CNT: 0
	.section	.text._ZN2at6native12compute_modeIN3c104HalfELj1024EEEvPKT_NS_4cuda6detail10TensorInfoIS4_jEENS9_IljEEll,"axG",@progbits,_ZN2at6native12compute_modeIN3c104HalfELj1024EEEvPKT_NS_4cuda6detail10TensorInfoIS4_jEENS9_IljEEll,comdat
	.protected	_ZN2at6native12compute_modeIN3c104HalfELj1024EEEvPKT_NS_4cuda6detail10TensorInfoIS4_jEENS9_IljEEll ; -- Begin function _ZN2at6native12compute_modeIN3c104HalfELj1024EEEvPKT_NS_4cuda6detail10TensorInfoIS4_jEENS9_IljEEll
	.globl	_ZN2at6native12compute_modeIN3c104HalfELj1024EEEvPKT_NS_4cuda6detail10TensorInfoIS4_jEENS9_IljEEll
	.p2align	8
	.type	_ZN2at6native12compute_modeIN3c104HalfELj1024EEEvPKT_NS_4cuda6detail10TensorInfoIS4_jEENS9_IljEEll,@function
_ZN2at6native12compute_modeIN3c104HalfELj1024EEEvPKT_NS_4cuda6detail10TensorInfoIS4_jEENS9_IljEEll: ; @_ZN2at6native12compute_modeIN3c104HalfELj1024EEEvPKT_NS_4cuda6detail10TensorInfoIS4_jEENS9_IljEEll
; %bb.0:
	s_load_dwordx2 s[2:3], s[4:5], 0x1c8
	s_load_dwordx4 s[16:19], s[4:5], 0x1b8
	s_add_u32 s0, s4, 0x1c8
	s_addc_u32 s1, s5, 0
	v_mov_b32_e32 v2, 0
	s_waitcnt lgkmcnt(0)
	s_mul_i32 s3, s3, s8
	s_add_i32 s3, s3, s7
	s_mul_i32 s2, s3, s2
	s_add_i32 s20, s2, s6
	v_mov_b32_e32 v1, s20
	v_cmp_le_i64_e32 vcc, s[18:19], v[1:2]
	s_cbranch_vccnz .LBB103_173
; %bb.1:
	s_load_dwordx2 s[14:15], s[4:5], 0x0
	s_load_dword s6, s[0:1], 0xc
	v_mov_b32_e32 v1, v2
	v_cmp_gt_i64_e32 vcc, s[16:17], v[0:1]
	s_mul_i32 s21, s20, s16
	s_and_saveexec_b64 s[2:3], vcc
	s_cbranch_execz .LBB103_3
; %bb.2:
	v_add_u32_e32 v1, s21, v0
	v_lshlrev_b64 v[3:4], 1, v[1:2]
	s_waitcnt lgkmcnt(0)
	v_mov_b32_e32 v1, s15
	v_add_co_u32_e64 v3, s[0:1], s14, v3
	v_addc_co_u32_e64 v4, s[0:1], v1, v4, s[0:1]
	global_load_ushort v1, v[3:4], off
	v_lshl_add_u32 v3, v0, 1, 2
	s_waitcnt vmcnt(0)
	ds_write_b16 v3, v1
.LBB103_3:
	s_or_b64 exec, exec, s[2:3]
	s_waitcnt lgkmcnt(0)
	s_and_b32 s18, 0xffff, s6
	v_add_u32_e32 v1, s18, v0
	v_cmp_gt_i64_e64 s[0:1], s[16:17], v[1:2]
	s_and_saveexec_b64 s[6:7], s[0:1]
	s_cbranch_execz .LBB103_5
; %bb.4:
	v_add_u32_e32 v2, s21, v1
	v_mov_b32_e32 v3, 0
	v_lshlrev_b64 v[2:3], 1, v[2:3]
	v_mov_b32_e32 v4, s15
	v_add_co_u32_e64 v2, s[2:3], s14, v2
	v_addc_co_u32_e64 v3, s[2:3], v4, v3, s[2:3]
	global_load_ushort v2, v[2:3], off
	v_lshl_add_u32 v1, v1, 1, 2
	s_waitcnt vmcnt(0)
	ds_write_b16 v1, v2
.LBB103_5:
	s_or_b64 exec, exec, s[6:7]
	v_add_u32_e32 v2, 2, v0
	v_cndmask_b32_e64 v1, 0, 1, vcc
	ds_write_b8 v2, v1 offset:2048
	v_add_u32_e32 v1, s18, v2
	v_cndmask_b32_e64 v3, 0, 1, s[0:1]
	ds_write_b8 v1, v3 offset:2048
	v_lshlrev_b32_e32 v1, 1, v0
	v_mad_u32_u24 v2, v0, 3, v2
	s_waitcnt lgkmcnt(0)
	s_barrier
	s_barrier
	v_sub_u32_e32 v3, v2, v1
	ds_read_b32 v6, v2
	ds_read_u8 v5, v3 offset:2048
	ds_read_u8 v7, v3 offset:2049
	v_and_b32_e32 v4, 1, v0
	v_sub_u32_e32 v3, 0, v1
	s_waitcnt lgkmcnt(2)
	v_cmp_lt_f16_sdwa s[2:3], v6, v6 src0_sel:DWORD src1_sel:WORD_1
	s_waitcnt lgkmcnt(1)
	v_and_b32_e32 v8, 1, v5
	v_cmp_eq_u32_e32 vcc, 1, v8
	s_waitcnt lgkmcnt(0)
	v_cmp_ne_u16_e64 s[0:1], v7, v4
	v_cndmask_b32_e64 v8, 0, 1, s[0:1]
	s_and_b64 vcc, s[2:3], vcc
	v_cndmask_b32_e32 v8, v8, v0, vcc
	v_and_b32_e32 v8, 1, v8
	v_cmp_eq_u32_e32 vcc, 1, v8
	v_add_u32_e32 v3, v2, v3
	s_and_saveexec_b64 s[0:1], vcc
	s_cbranch_execz .LBB103_7
; %bb.6:
	v_alignbit_b32 v6, v6, v6, 16
	ds_write_b32 v2, v6
	ds_write_b8 v3, v7 offset:2048
	ds_write_b8 v3, v5 offset:2049
.LBB103_7:
	s_or_b64 exec, exec, s[0:1]
	v_sub_u32_e32 v7, v1, v4
	v_lshl_add_u32 v6, v7, 1, 2
	v_add_u32_e32 v4, 2, v7
	s_waitcnt lgkmcnt(0)
	s_barrier
	v_add_u32_e32 v7, v4, v7
	ds_read_u16 v8, v6
	ds_read_u16 v10, v7 offset:4
	ds_read_u8 v9, v4 offset:2048
	ds_read_u8 v11, v4 offset:2050
	v_bfe_u32 v12, v0, 1, 1
	v_and_b32_e32 v5, 2, v0
	s_waitcnt lgkmcnt(2)
	v_cmp_lt_f16_e64 s[0:1], v8, v10
	s_waitcnt lgkmcnt(1)
	v_and_b32_e32 v13, 1, v9
	v_cmp_eq_u32_e64 s[2:3], 1, v13
	s_waitcnt lgkmcnt(0)
	v_cmp_ne_u16_e64 s[6:7], v11, v12
	v_cndmask_b32_e64 v13, 0, 1, s[6:7]
	s_and_b64 s[0:1], s[0:1], s[2:3]
	v_cndmask_b32_e64 v12, v13, v12, s[0:1]
	v_and_b32_e32 v12, 1, v12
	v_cmp_ne_u32_e32 vcc, 0, v5
	v_cmp_eq_u32_e64 s[0:1], 1, v12
	s_and_saveexec_b64 s[2:3], s[0:1]
	s_xor_b64 s[0:1], exec, s[2:3]
	s_cbranch_execz .LBB103_9
; %bb.8:
	ds_write_b16 v6, v10
	ds_write_b16 v7, v8 offset:4
	ds_write_b8 v4, v11 offset:2048
	ds_write_b8 v4, v9 offset:2050
.LBB103_9:
	s_or_b64 exec, exec, s[0:1]
	s_waitcnt lgkmcnt(0)
	s_barrier
	ds_read_b32 v9, v2
	ds_read_u8 v8, v3 offset:2048
	ds_read_u8 v10, v3 offset:2049
	v_lshrrev_b32_e32 v5, 1, v5
	s_waitcnt lgkmcnt(2)
	v_cmp_lt_f16_sdwa s[6:7], v9, v9 src0_sel:DWORD src1_sel:WORD_1
	s_waitcnt lgkmcnt(1)
	v_and_b32_e32 v11, 1, v8
	v_cmp_eq_u32_e64 s[0:1], 1, v11
	s_waitcnt lgkmcnt(0)
	v_cmp_ne_u16_e64 s[2:3], v10, v5
	v_cndmask_b32_e64 v5, 0, 1, s[2:3]
	v_cndmask_b32_e64 v11, 0, 1, vcc
	s_and_b64 vcc, s[6:7], s[0:1]
	v_cndmask_b32_e32 v5, v5, v11, vcc
	v_and_b32_e32 v5, 1, v5
	v_cmp_eq_u32_e32 vcc, 1, v5
	s_and_saveexec_b64 s[0:1], vcc
	s_cbranch_execz .LBB103_11
; %bb.10:
	v_alignbit_b32 v5, v9, v9, 16
	ds_write_b32 v2, v5
	ds_write_b8 v3, v10 offset:2048
	ds_write_b8 v3, v8 offset:2049
.LBB103_11:
	s_or_b64 exec, exec, s[0:1]
	v_and_b32_e32 v8, 3, v0
	v_sub_u32_e32 v10, v1, v8
	v_lshl_add_u32 v9, v10, 1, 2
	v_add_u32_e32 v8, 2, v10
	s_waitcnt lgkmcnt(0)
	s_barrier
	v_add_u32_e32 v10, v8, v10
	ds_read_u16 v11, v9
	ds_read_u16 v13, v10 offset:8
	ds_read_u8 v12, v8 offset:2048
	ds_read_u8 v14, v8 offset:2052
	v_bfe_u32 v15, v0, 2, 1
	v_and_b32_e32 v5, 4, v0
	s_waitcnt lgkmcnt(2)
	v_cmp_lt_f16_e64 s[0:1], v11, v13
	s_waitcnt lgkmcnt(1)
	v_and_b32_e32 v16, 1, v12
	v_cmp_eq_u32_e64 s[2:3], 1, v16
	s_waitcnt lgkmcnt(0)
	v_cmp_ne_u16_e64 s[6:7], v14, v15
	v_cndmask_b32_e64 v16, 0, 1, s[6:7]
	s_and_b64 s[0:1], s[0:1], s[2:3]
	v_cndmask_b32_e64 v15, v16, v15, s[0:1]
	v_and_b32_e32 v15, 1, v15
	v_cmp_ne_u32_e32 vcc, 0, v5
	v_cmp_eq_u32_e64 s[0:1], 1, v15
	s_and_saveexec_b64 s[2:3], s[0:1]
	s_cbranch_execz .LBB103_13
; %bb.12:
	ds_write_b16 v9, v13
	ds_write_b16 v10, v11 offset:8
	ds_write_b8 v8, v14 offset:2048
	ds_write_b8 v8, v12 offset:2052
.LBB103_13:
	s_or_b64 exec, exec, s[2:3]
	s_waitcnt lgkmcnt(0)
	s_barrier
	ds_read_u16 v12, v6
	ds_read_u16 v14, v7 offset:4
	ds_read_u8 v13, v4 offset:2048
	ds_read_u8 v15, v4 offset:2050
	v_lshrrev_b32_e32 v5, 2, v5
	s_waitcnt lgkmcnt(2)
	v_cmp_lt_f16_e64 s[0:1], v12, v14
	s_waitcnt lgkmcnt(1)
	v_and_b32_e32 v11, 1, v13
	v_cmp_eq_u32_e64 s[2:3], 1, v11
	s_waitcnt lgkmcnt(0)
	v_cmp_ne_u16_e64 s[6:7], v15, v5
	v_cndmask_b32_e64 v16, 0, 1, s[6:7]
	v_cndmask_b32_e64 v11, 0, 1, vcc
	s_and_b64 vcc, s[0:1], s[2:3]
	v_cndmask_b32_e32 v16, v16, v11, vcc
	v_and_b32_e32 v16, 1, v16
	v_cmp_eq_u32_e32 vcc, 1, v16
	s_and_saveexec_b64 s[0:1], vcc
	s_cbranch_execz .LBB103_15
; %bb.14:
	ds_write_b16 v6, v14
	ds_write_b16 v7, v12 offset:4
	ds_write_b8 v4, v15 offset:2048
	ds_write_b8 v4, v13 offset:2050
.LBB103_15:
	s_or_b64 exec, exec, s[0:1]
	s_waitcnt lgkmcnt(0)
	s_barrier
	ds_read_b32 v13, v2
	ds_read_u8 v12, v3 offset:2048
	ds_read_u8 v14, v3 offset:2049
	s_waitcnt lgkmcnt(2)
	v_cmp_lt_f16_sdwa s[2:3], v13, v13 src0_sel:DWORD src1_sel:WORD_1
	s_waitcnt lgkmcnt(1)
	v_and_b32_e32 v15, 1, v12
	v_cmp_eq_u32_e32 vcc, 1, v15
	s_waitcnt lgkmcnt(0)
	v_cmp_ne_u16_e64 s[0:1], v14, v5
	v_cndmask_b32_e64 v5, 0, 1, s[0:1]
	s_and_b64 vcc, s[2:3], vcc
	v_cndmask_b32_e32 v5, v5, v11, vcc
	v_and_b32_e32 v5, 1, v5
	v_cmp_eq_u32_e32 vcc, 1, v5
	s_and_saveexec_b64 s[0:1], vcc
	s_cbranch_execz .LBB103_17
; %bb.16:
	v_alignbit_b32 v5, v13, v13, 16
	ds_write_b32 v2, v5
	ds_write_b8 v3, v14 offset:2048
	ds_write_b8 v3, v12 offset:2049
.LBB103_17:
	s_or_b64 exec, exec, s[0:1]
	v_and_b32_e32 v11, 7, v0
	v_sub_u32_e32 v13, v1, v11
	v_lshl_add_u32 v12, v13, 1, 2
	v_add_u32_e32 v11, 2, v13
	s_waitcnt lgkmcnt(0)
	s_barrier
	v_add_u32_e32 v13, v11, v13
	ds_read_u16 v14, v12
	ds_read_u16 v16, v13 offset:16
	ds_read_u8 v15, v11 offset:2048
	ds_read_u8 v17, v11 offset:2056
	v_bfe_u32 v18, v0, 3, 1
	v_and_b32_e32 v5, 8, v0
	s_waitcnt lgkmcnt(2)
	v_cmp_lt_f16_e64 s[0:1], v14, v16
	s_waitcnt lgkmcnt(1)
	v_and_b32_e32 v19, 1, v15
	v_cmp_eq_u32_e64 s[2:3], 1, v19
	s_waitcnt lgkmcnt(0)
	v_cmp_ne_u16_e64 s[6:7], v17, v18
	v_cndmask_b32_e64 v19, 0, 1, s[6:7]
	s_and_b64 s[0:1], s[0:1], s[2:3]
	v_cndmask_b32_e64 v18, v19, v18, s[0:1]
	v_and_b32_e32 v18, 1, v18
	v_cmp_ne_u32_e32 vcc, 0, v5
	v_cmp_eq_u32_e64 s[0:1], 1, v18
	s_and_saveexec_b64 s[2:3], s[0:1]
	s_cbranch_execz .LBB103_19
; %bb.18:
	ds_write_b16 v12, v16
	ds_write_b16 v13, v14 offset:16
	ds_write_b8 v11, v17 offset:2048
	ds_write_b8 v11, v15 offset:2056
.LBB103_19:
	s_or_b64 exec, exec, s[2:3]
	s_waitcnt lgkmcnt(0)
	s_barrier
	ds_read_u16 v15, v9
	ds_read_u16 v17, v10 offset:8
	ds_read_u8 v16, v8 offset:2048
	ds_read_u8 v18, v8 offset:2052
	v_lshrrev_b32_e32 v5, 3, v5
	s_waitcnt lgkmcnt(2)
	v_cmp_lt_f16_e64 s[0:1], v15, v17
	s_waitcnt lgkmcnt(1)
	v_and_b32_e32 v14, 1, v16
	v_cmp_eq_u32_e64 s[2:3], 1, v14
	s_waitcnt lgkmcnt(0)
	v_cmp_ne_u16_e64 s[6:7], v18, v5
	v_cndmask_b32_e64 v19, 0, 1, s[6:7]
	v_cndmask_b32_e64 v14, 0, 1, vcc
	s_and_b64 vcc, s[0:1], s[2:3]
	v_cndmask_b32_e32 v19, v19, v14, vcc
	v_and_b32_e32 v19, 1, v19
	v_cmp_eq_u32_e32 vcc, 1, v19
	s_and_saveexec_b64 s[0:1], vcc
	s_cbranch_execz .LBB103_21
; %bb.20:
	ds_write_b16 v9, v17
	ds_write_b16 v10, v15 offset:8
	ds_write_b8 v8, v18 offset:2048
	ds_write_b8 v8, v16 offset:2052
.LBB103_21:
	s_or_b64 exec, exec, s[0:1]
	s_waitcnt lgkmcnt(0)
	s_barrier
	ds_read_u16 v15, v6
	ds_read_u16 v17, v7 offset:4
	ds_read_u8 v16, v4 offset:2048
	ds_read_u8 v18, v4 offset:2050
	s_waitcnt lgkmcnt(2)
	v_cmp_lt_f16_e32 vcc, v15, v17
	s_waitcnt lgkmcnt(1)
	v_and_b32_e32 v19, 1, v16
	v_cmp_eq_u32_e64 s[0:1], 1, v19
	s_waitcnt lgkmcnt(0)
	v_cmp_ne_u16_e64 s[2:3], v18, v5
	v_cndmask_b32_e64 v19, 0, 1, s[2:3]
	s_and_b64 vcc, vcc, s[0:1]
	v_cndmask_b32_e32 v19, v19, v14, vcc
	v_and_b32_e32 v19, 1, v19
	v_cmp_eq_u32_e32 vcc, 1, v19
	s_and_saveexec_b64 s[0:1], vcc
	s_cbranch_execz .LBB103_23
; %bb.22:
	ds_write_b16 v6, v17
	ds_write_b16 v7, v15 offset:4
	ds_write_b8 v4, v18 offset:2048
	ds_write_b8 v4, v16 offset:2050
.LBB103_23:
	s_or_b64 exec, exec, s[0:1]
	s_waitcnt lgkmcnt(0)
	s_barrier
	ds_read_b32 v16, v2
	ds_read_u8 v15, v3 offset:2048
	ds_read_u8 v17, v3 offset:2049
	s_waitcnt lgkmcnt(2)
	v_cmp_lt_f16_sdwa s[2:3], v16, v16 src0_sel:DWORD src1_sel:WORD_1
	s_waitcnt lgkmcnt(1)
	v_and_b32_e32 v18, 1, v15
	v_cmp_eq_u32_e32 vcc, 1, v18
	s_waitcnt lgkmcnt(0)
	v_cmp_ne_u16_e64 s[0:1], v17, v5
	v_cndmask_b32_e64 v5, 0, 1, s[0:1]
	s_and_b64 vcc, s[2:3], vcc
	v_cndmask_b32_e32 v5, v5, v14, vcc
	v_and_b32_e32 v5, 1, v5
	v_cmp_eq_u32_e32 vcc, 1, v5
	s_and_saveexec_b64 s[0:1], vcc
	s_cbranch_execz .LBB103_25
; %bb.24:
	v_alignbit_b32 v5, v16, v16, 16
	ds_write_b32 v2, v5
	ds_write_b8 v3, v17 offset:2048
	ds_write_b8 v3, v15 offset:2049
.LBB103_25:
	s_or_b64 exec, exec, s[0:1]
	v_and_b32_e32 v14, 15, v0
	v_sub_u32_e32 v16, v1, v14
	v_lshl_add_u32 v15, v16, 1, 2
	v_add_u32_e32 v14, 2, v16
	s_waitcnt lgkmcnt(0)
	s_barrier
	v_add_u32_e32 v16, v14, v16
	ds_read_u16 v17, v15
	ds_read_u16 v19, v16 offset:32
	ds_read_u8 v18, v14 offset:2048
	ds_read_u8 v20, v14 offset:2064
	v_bfe_u32 v21, v0, 4, 1
	v_and_b32_e32 v5, 16, v0
	s_waitcnt lgkmcnt(2)
	v_cmp_lt_f16_e64 s[0:1], v17, v19
	s_waitcnt lgkmcnt(1)
	v_and_b32_e32 v22, 1, v18
	v_cmp_eq_u32_e64 s[2:3], 1, v22
	s_waitcnt lgkmcnt(0)
	v_cmp_ne_u16_e64 s[6:7], v20, v21
	v_cndmask_b32_e64 v22, 0, 1, s[6:7]
	s_and_b64 s[0:1], s[0:1], s[2:3]
	v_cndmask_b32_e64 v21, v22, v21, s[0:1]
	v_and_b32_e32 v21, 1, v21
	v_cmp_ne_u32_e32 vcc, 0, v5
	v_cmp_eq_u32_e64 s[0:1], 1, v21
	s_and_saveexec_b64 s[2:3], s[0:1]
	s_cbranch_execz .LBB103_27
; %bb.26:
	ds_write_b16 v15, v19
	ds_write_b16 v16, v17 offset:32
	ds_write_b8 v14, v20 offset:2048
	ds_write_b8 v14, v18 offset:2064
.LBB103_27:
	s_or_b64 exec, exec, s[2:3]
	s_waitcnt lgkmcnt(0)
	s_barrier
	ds_read_u16 v18, v12
	ds_read_u16 v20, v13 offset:16
	ds_read_u8 v19, v11 offset:2048
	ds_read_u8 v21, v11 offset:2056
	v_lshrrev_b32_e32 v5, 4, v5
	s_waitcnt lgkmcnt(2)
	v_cmp_lt_f16_e64 s[0:1], v18, v20
	s_waitcnt lgkmcnt(1)
	v_and_b32_e32 v17, 1, v19
	v_cmp_eq_u32_e64 s[2:3], 1, v17
	s_waitcnt lgkmcnt(0)
	v_cmp_ne_u16_e64 s[6:7], v21, v5
	v_cndmask_b32_e64 v22, 0, 1, s[6:7]
	v_cndmask_b32_e64 v17, 0, 1, vcc
	s_and_b64 vcc, s[0:1], s[2:3]
	v_cndmask_b32_e32 v22, v22, v17, vcc
	v_and_b32_e32 v22, 1, v22
	v_cmp_eq_u32_e32 vcc, 1, v22
	s_and_saveexec_b64 s[0:1], vcc
	s_cbranch_execz .LBB103_29
; %bb.28:
	ds_write_b16 v12, v20
	ds_write_b16 v13, v18 offset:16
	ds_write_b8 v11, v21 offset:2048
	ds_write_b8 v11, v19 offset:2056
.LBB103_29:
	s_or_b64 exec, exec, s[0:1]
	s_waitcnt lgkmcnt(0)
	s_barrier
	ds_read_u16 v18, v9
	ds_read_u16 v20, v10 offset:8
	ds_read_u8 v19, v8 offset:2048
	ds_read_u8 v21, v8 offset:2052
	s_waitcnt lgkmcnt(2)
	v_cmp_lt_f16_e32 vcc, v18, v20
	s_waitcnt lgkmcnt(1)
	v_and_b32_e32 v22, 1, v19
	v_cmp_eq_u32_e64 s[0:1], 1, v22
	s_waitcnt lgkmcnt(0)
	v_cmp_ne_u16_e64 s[2:3], v21, v5
	v_cndmask_b32_e64 v22, 0, 1, s[2:3]
	s_and_b64 vcc, vcc, s[0:1]
	v_cndmask_b32_e32 v22, v22, v17, vcc
	v_and_b32_e32 v22, 1, v22
	v_cmp_eq_u32_e32 vcc, 1, v22
	s_and_saveexec_b64 s[0:1], vcc
	s_cbranch_execz .LBB103_31
; %bb.30:
	ds_write_b16 v9, v20
	ds_write_b16 v10, v18 offset:8
	ds_write_b8 v8, v21 offset:2048
	ds_write_b8 v8, v19 offset:2052
.LBB103_31:
	s_or_b64 exec, exec, s[0:1]
	s_waitcnt lgkmcnt(0)
	s_barrier
	ds_read_u16 v18, v6
	ds_read_u16 v20, v7 offset:4
	ds_read_u8 v19, v4 offset:2048
	ds_read_u8 v21, v4 offset:2050
	s_waitcnt lgkmcnt(2)
	v_cmp_lt_f16_e32 vcc, v18, v20
	s_waitcnt lgkmcnt(1)
	v_and_b32_e32 v22, 1, v19
	v_cmp_eq_u32_e64 s[0:1], 1, v22
	s_waitcnt lgkmcnt(0)
	v_cmp_ne_u16_e64 s[2:3], v21, v5
	v_cndmask_b32_e64 v22, 0, 1, s[2:3]
	s_and_b64 vcc, vcc, s[0:1]
	v_cndmask_b32_e32 v22, v22, v17, vcc
	v_and_b32_e32 v22, 1, v22
	v_cmp_eq_u32_e32 vcc, 1, v22
	s_and_saveexec_b64 s[0:1], vcc
	s_cbranch_execz .LBB103_33
; %bb.32:
	ds_write_b16 v6, v20
	ds_write_b16 v7, v18 offset:4
	ds_write_b8 v4, v21 offset:2048
	ds_write_b8 v4, v19 offset:2050
.LBB103_33:
	s_or_b64 exec, exec, s[0:1]
	s_waitcnt lgkmcnt(0)
	s_barrier
	ds_read_b32 v19, v2
	ds_read_u8 v18, v3 offset:2048
	ds_read_u8 v20, v3 offset:2049
	s_waitcnt lgkmcnt(2)
	v_cmp_lt_f16_sdwa s[2:3], v19, v19 src0_sel:DWORD src1_sel:WORD_1
	s_waitcnt lgkmcnt(1)
	v_and_b32_e32 v21, 1, v18
	v_cmp_eq_u32_e32 vcc, 1, v21
	s_waitcnt lgkmcnt(0)
	v_cmp_ne_u16_e64 s[0:1], v20, v5
	v_cndmask_b32_e64 v5, 0, 1, s[0:1]
	s_and_b64 vcc, s[2:3], vcc
	v_cndmask_b32_e32 v5, v5, v17, vcc
	v_and_b32_e32 v5, 1, v5
	v_cmp_eq_u32_e32 vcc, 1, v5
	s_and_saveexec_b64 s[0:1], vcc
	s_cbranch_execz .LBB103_35
; %bb.34:
	v_alignbit_b32 v5, v19, v19, 16
	ds_write_b32 v2, v5
	ds_write_b8 v3, v20 offset:2048
	ds_write_b8 v3, v18 offset:2049
.LBB103_35:
	s_or_b64 exec, exec, s[0:1]
	v_and_b32_e32 v17, 31, v0
	v_sub_u32_e32 v19, v1, v17
	v_lshl_add_u32 v18, v19, 1, 2
	v_add_u32_e32 v17, 2, v19
	s_waitcnt lgkmcnt(0)
	s_barrier
	v_add_u32_e32 v19, v17, v19
	ds_read_u16 v20, v18
	ds_read_u16 v22, v19 offset:64
	ds_read_u8 v21, v17 offset:2048
	ds_read_u8 v23, v17 offset:2080
	v_bfe_u32 v24, v0, 5, 1
	v_and_b32_e32 v5, 32, v0
	s_waitcnt lgkmcnt(2)
	v_cmp_lt_f16_e64 s[0:1], v20, v22
	s_waitcnt lgkmcnt(1)
	v_and_b32_e32 v25, 1, v21
	v_cmp_eq_u32_e64 s[2:3], 1, v25
	s_waitcnt lgkmcnt(0)
	v_cmp_ne_u16_e64 s[6:7], v23, v24
	v_cndmask_b32_e64 v25, 0, 1, s[6:7]
	s_and_b64 s[0:1], s[0:1], s[2:3]
	v_cndmask_b32_e64 v24, v25, v24, s[0:1]
	v_and_b32_e32 v24, 1, v24
	v_cmp_ne_u32_e32 vcc, 0, v5
	v_cmp_eq_u32_e64 s[0:1], 1, v24
	s_and_saveexec_b64 s[2:3], s[0:1]
	s_cbranch_execz .LBB103_37
; %bb.36:
	ds_write_b16 v18, v22
	ds_write_b16 v19, v20 offset:64
	ds_write_b8 v17, v23 offset:2048
	ds_write_b8 v17, v21 offset:2080
.LBB103_37:
	s_or_b64 exec, exec, s[2:3]
	s_waitcnt lgkmcnt(0)
	s_barrier
	ds_read_u16 v21, v15
	ds_read_u16 v23, v16 offset:32
	ds_read_u8 v22, v14 offset:2048
	ds_read_u8 v24, v14 offset:2064
	v_lshrrev_b32_e32 v5, 5, v5
	s_waitcnt lgkmcnt(2)
	v_cmp_lt_f16_e64 s[0:1], v21, v23
	s_waitcnt lgkmcnt(1)
	v_and_b32_e32 v20, 1, v22
	v_cmp_eq_u32_e64 s[2:3], 1, v20
	s_waitcnt lgkmcnt(0)
	v_cmp_ne_u16_e64 s[6:7], v24, v5
	v_cndmask_b32_e64 v25, 0, 1, s[6:7]
	v_cndmask_b32_e64 v20, 0, 1, vcc
	s_and_b64 vcc, s[0:1], s[2:3]
	v_cndmask_b32_e32 v25, v25, v20, vcc
	v_and_b32_e32 v25, 1, v25
	v_cmp_eq_u32_e32 vcc, 1, v25
	s_and_saveexec_b64 s[0:1], vcc
	s_cbranch_execz .LBB103_39
; %bb.38:
	ds_write_b16 v15, v23
	ds_write_b16 v16, v21 offset:32
	ds_write_b8 v14, v24 offset:2048
	ds_write_b8 v14, v22 offset:2064
.LBB103_39:
	s_or_b64 exec, exec, s[0:1]
	s_waitcnt lgkmcnt(0)
	s_barrier
	ds_read_u16 v21, v12
	ds_read_u16 v23, v13 offset:16
	ds_read_u8 v22, v11 offset:2048
	ds_read_u8 v24, v11 offset:2056
	s_waitcnt lgkmcnt(2)
	v_cmp_lt_f16_e32 vcc, v21, v23
	s_waitcnt lgkmcnt(1)
	v_and_b32_e32 v25, 1, v22
	v_cmp_eq_u32_e64 s[0:1], 1, v25
	s_waitcnt lgkmcnt(0)
	v_cmp_ne_u16_e64 s[2:3], v24, v5
	v_cndmask_b32_e64 v25, 0, 1, s[2:3]
	s_and_b64 vcc, vcc, s[0:1]
	v_cndmask_b32_e32 v25, v25, v20, vcc
	v_and_b32_e32 v25, 1, v25
	v_cmp_eq_u32_e32 vcc, 1, v25
	s_and_saveexec_b64 s[0:1], vcc
	s_cbranch_execz .LBB103_41
; %bb.40:
	ds_write_b16 v12, v23
	ds_write_b16 v13, v21 offset:16
	ds_write_b8 v11, v24 offset:2048
	ds_write_b8 v11, v22 offset:2056
.LBB103_41:
	s_or_b64 exec, exec, s[0:1]
	s_waitcnt lgkmcnt(0)
	s_barrier
	ds_read_u16 v21, v9
	ds_read_u16 v23, v10 offset:8
	ds_read_u8 v22, v8 offset:2048
	ds_read_u8 v24, v8 offset:2052
	s_waitcnt lgkmcnt(2)
	v_cmp_lt_f16_e32 vcc, v21, v23
	s_waitcnt lgkmcnt(1)
	v_and_b32_e32 v25, 1, v22
	v_cmp_eq_u32_e64 s[0:1], 1, v25
	s_waitcnt lgkmcnt(0)
	v_cmp_ne_u16_e64 s[2:3], v24, v5
	v_cndmask_b32_e64 v25, 0, 1, s[2:3]
	s_and_b64 vcc, vcc, s[0:1]
	;; [unrolled: 27-line block ×3, first 2 shown]
	v_cndmask_b32_e32 v25, v25, v20, vcc
	v_and_b32_e32 v25, 1, v25
	v_cmp_eq_u32_e32 vcc, 1, v25
	s_and_saveexec_b64 s[0:1], vcc
	s_cbranch_execz .LBB103_45
; %bb.44:
	ds_write_b16 v6, v23
	ds_write_b16 v7, v21 offset:4
	ds_write_b8 v4, v24 offset:2048
	ds_write_b8 v4, v22 offset:2050
.LBB103_45:
	s_or_b64 exec, exec, s[0:1]
	s_waitcnt lgkmcnt(0)
	s_barrier
	ds_read_b32 v22, v2
	ds_read_u8 v21, v3 offset:2048
	ds_read_u8 v23, v3 offset:2049
	s_waitcnt lgkmcnt(2)
	v_cmp_lt_f16_sdwa s[2:3], v22, v22 src0_sel:DWORD src1_sel:WORD_1
	s_waitcnt lgkmcnt(1)
	v_and_b32_e32 v24, 1, v21
	v_cmp_eq_u32_e32 vcc, 1, v24
	s_waitcnt lgkmcnt(0)
	v_cmp_ne_u16_e64 s[0:1], v23, v5
	v_cndmask_b32_e64 v5, 0, 1, s[0:1]
	s_and_b64 vcc, s[2:3], vcc
	v_cndmask_b32_e32 v5, v5, v20, vcc
	v_and_b32_e32 v5, 1, v5
	v_cmp_eq_u32_e32 vcc, 1, v5
	s_and_saveexec_b64 s[0:1], vcc
	s_cbranch_execz .LBB103_47
; %bb.46:
	v_alignbit_b32 v5, v22, v22, 16
	ds_write_b32 v2, v5
	ds_write_b8 v3, v23 offset:2048
	ds_write_b8 v3, v21 offset:2049
.LBB103_47:
	s_or_b64 exec, exec, s[0:1]
	v_and_b32_e32 v5, 63, v0
	v_sub_u32_e32 v22, v1, v5
	v_lshl_add_u32 v21, v22, 1, 2
	v_add_u32_e32 v20, 2, v22
	s_waitcnt lgkmcnt(0)
	s_barrier
	v_add_u32_e32 v22, v20, v22
	ds_read_u16 v24, v21
	ds_read_u16 v26, v22 offset:128
	ds_read_u8 v25, v20 offset:2048
	ds_read_u8 v27, v20 offset:2112
	v_bfe_u32 v28, v0, 6, 1
	v_and_b32_e32 v23, 64, v0
	s_waitcnt lgkmcnt(2)
	v_cmp_lt_f16_e64 s[0:1], v24, v26
	s_waitcnt lgkmcnt(1)
	v_and_b32_e32 v29, 1, v25
	v_cmp_eq_u32_e64 s[2:3], 1, v29
	s_waitcnt lgkmcnt(0)
	v_cmp_ne_u16_e64 s[6:7], v27, v28
	v_cndmask_b32_e64 v29, 0, 1, s[6:7]
	s_and_b64 s[0:1], s[0:1], s[2:3]
	v_cndmask_b32_e64 v28, v29, v28, s[0:1]
	v_and_b32_e32 v28, 1, v28
	v_cmp_ne_u32_e32 vcc, 0, v23
	v_cmp_eq_u32_e64 s[0:1], 1, v28
	s_and_saveexec_b64 s[2:3], s[0:1]
	s_cbranch_execz .LBB103_49
; %bb.48:
	ds_write_b16 v21, v26
	ds_write_b16 v22, v24 offset:128
	ds_write_b8 v20, v27 offset:2048
	ds_write_b8 v20, v25 offset:2112
.LBB103_49:
	s_or_b64 exec, exec, s[2:3]
	s_waitcnt lgkmcnt(0)
	s_barrier
	ds_read_u16 v25, v18
	ds_read_u16 v27, v19 offset:64
	ds_read_u8 v26, v17 offset:2048
	ds_read_u8 v28, v17 offset:2080
	v_lshrrev_b32_e32 v23, 6, v23
	s_waitcnt lgkmcnt(2)
	v_cmp_lt_f16_e64 s[0:1], v25, v27
	s_waitcnt lgkmcnt(1)
	v_and_b32_e32 v24, 1, v26
	v_cmp_eq_u32_e64 s[2:3], 1, v24
	s_waitcnt lgkmcnt(0)
	v_cmp_ne_u16_e64 s[6:7], v28, v23
	v_cndmask_b32_e64 v29, 0, 1, s[6:7]
	v_cndmask_b32_e64 v24, 0, 1, vcc
	s_and_b64 vcc, s[0:1], s[2:3]
	v_cndmask_b32_e32 v29, v29, v24, vcc
	v_and_b32_e32 v29, 1, v29
	v_cmp_eq_u32_e32 vcc, 1, v29
	s_and_saveexec_b64 s[0:1], vcc
	s_cbranch_execz .LBB103_51
; %bb.50:
	ds_write_b16 v18, v27
	ds_write_b16 v19, v25 offset:64
	ds_write_b8 v17, v28 offset:2048
	ds_write_b8 v17, v26 offset:2080
.LBB103_51:
	s_or_b64 exec, exec, s[0:1]
	s_waitcnt lgkmcnt(0)
	s_barrier
	ds_read_u16 v25, v15
	ds_read_u16 v27, v16 offset:32
	ds_read_u8 v26, v14 offset:2048
	ds_read_u8 v28, v14 offset:2064
	s_waitcnt lgkmcnt(2)
	v_cmp_lt_f16_e32 vcc, v25, v27
	s_waitcnt lgkmcnt(1)
	v_and_b32_e32 v29, 1, v26
	v_cmp_eq_u32_e64 s[0:1], 1, v29
	s_waitcnt lgkmcnt(0)
	v_cmp_ne_u16_e64 s[2:3], v28, v23
	v_cndmask_b32_e64 v29, 0, 1, s[2:3]
	s_and_b64 vcc, vcc, s[0:1]
	v_cndmask_b32_e32 v29, v29, v24, vcc
	v_and_b32_e32 v29, 1, v29
	v_cmp_eq_u32_e32 vcc, 1, v29
	s_and_saveexec_b64 s[0:1], vcc
	s_cbranch_execz .LBB103_53
; %bb.52:
	ds_write_b16 v15, v27
	ds_write_b16 v16, v25 offset:32
	ds_write_b8 v14, v28 offset:2048
	ds_write_b8 v14, v26 offset:2064
.LBB103_53:
	s_or_b64 exec, exec, s[0:1]
	s_waitcnt lgkmcnt(0)
	s_barrier
	ds_read_u16 v25, v12
	ds_read_u16 v27, v13 offset:16
	ds_read_u8 v26, v11 offset:2048
	ds_read_u8 v28, v11 offset:2056
	s_waitcnt lgkmcnt(2)
	v_cmp_lt_f16_e32 vcc, v25, v27
	s_waitcnt lgkmcnt(1)
	v_and_b32_e32 v29, 1, v26
	v_cmp_eq_u32_e64 s[0:1], 1, v29
	s_waitcnt lgkmcnt(0)
	v_cmp_ne_u16_e64 s[2:3], v28, v23
	v_cndmask_b32_e64 v29, 0, 1, s[2:3]
	s_and_b64 vcc, vcc, s[0:1]
	;; [unrolled: 27-line block ×4, first 2 shown]
	v_cndmask_b32_e32 v29, v29, v24, vcc
	v_and_b32_e32 v29, 1, v29
	v_cmp_eq_u32_e32 vcc, 1, v29
	s_and_saveexec_b64 s[0:1], vcc
	s_cbranch_execz .LBB103_59
; %bb.58:
	ds_write_b16 v6, v27
	ds_write_b16 v7, v25 offset:4
	ds_write_b8 v4, v28 offset:2048
	ds_write_b8 v4, v26 offset:2050
.LBB103_59:
	s_or_b64 exec, exec, s[0:1]
	s_waitcnt lgkmcnt(0)
	s_barrier
	ds_read_b32 v26, v2
	ds_read_u8 v25, v3 offset:2048
	ds_read_u8 v27, v3 offset:2049
	s_waitcnt lgkmcnt(2)
	v_cmp_lt_f16_sdwa s[2:3], v26, v26 src0_sel:DWORD src1_sel:WORD_1
	s_waitcnt lgkmcnt(1)
	v_and_b32_e32 v28, 1, v25
	v_cmp_eq_u32_e32 vcc, 1, v28
	s_waitcnt lgkmcnt(0)
	v_cmp_ne_u16_e64 s[0:1], v27, v23
	v_cndmask_b32_e64 v23, 0, 1, s[0:1]
	s_and_b64 vcc, s[2:3], vcc
	v_cndmask_b32_e32 v23, v23, v24, vcc
	v_and_b32_e32 v23, 1, v23
	v_cmp_eq_u32_e32 vcc, 1, v23
	s_and_saveexec_b64 s[0:1], vcc
	s_cbranch_execz .LBB103_61
; %bb.60:
	v_alignbit_b32 v23, v26, v26, 16
	ds_write_b32 v2, v23
	ds_write_b8 v3, v27 offset:2048
	ds_write_b8 v3, v25 offset:2049
.LBB103_61:
	s_or_b64 exec, exec, s[0:1]
	v_and_b32_e32 v23, 0x7f, v0
	v_sub_u32_e32 v25, v1, v23
	v_lshl_add_u32 v24, v25, 1, 2
	v_add_u32_e32 v23, 2, v25
	s_waitcnt lgkmcnt(0)
	s_barrier
	v_add_u32_e32 v25, v23, v25
	ds_read_u16 v27, v24
	ds_read_u16 v29, v25 offset:256
	ds_read_u8 v28, v23 offset:2048
	ds_read_u8 v30, v23 offset:2176
	v_lshrrev_b32_e32 v31, 7, v0
	v_and_b32_e32 v26, 0x80, v0
	v_cmp_ne_u32_e32 vcc, 0, v26
	v_and_b32_e32 v26, 1, v31
	s_waitcnt lgkmcnt(1)
	v_and_b32_e32 v32, 1, v28
	v_cmp_lt_f16_e64 s[0:1], v27, v29
	v_cmp_eq_u32_e64 s[2:3], 1, v32
	s_waitcnt lgkmcnt(0)
	v_cmp_ne_u16_e64 s[6:7], v30, v26
	v_cndmask_b32_e64 v32, 0, 1, s[6:7]
	s_and_b64 s[0:1], s[0:1], s[2:3]
	v_cndmask_b32_e64 v31, v32, v31, s[0:1]
	v_and_b32_e32 v31, 1, v31
	v_cmp_eq_u32_e64 s[0:1], 1, v31
	s_and_saveexec_b64 s[2:3], s[0:1]
	s_cbranch_execz .LBB103_63
; %bb.62:
	ds_write_b16 v24, v29
	ds_write_b16 v25, v27 offset:256
	ds_write_b8 v23, v30 offset:2048
	ds_write_b8 v23, v28 offset:2176
.LBB103_63:
	s_or_b64 exec, exec, s[2:3]
	s_waitcnt lgkmcnt(0)
	s_barrier
	ds_read_u16 v28, v21
	ds_read_u16 v30, v22 offset:128
	ds_read_u8 v29, v20 offset:2048
	ds_read_u8 v31, v20 offset:2112
	s_waitcnt lgkmcnt(2)
	v_cmp_lt_f16_e64 s[0:1], v28, v30
	s_waitcnt lgkmcnt(1)
	v_and_b32_e32 v27, 1, v29
	v_cmp_eq_u32_e64 s[2:3], 1, v27
	s_waitcnt lgkmcnt(0)
	v_cmp_ne_u16_e64 s[6:7], v31, v26
	v_cndmask_b32_e64 v32, 0, 1, s[6:7]
	v_cndmask_b32_e64 v27, 0, 1, vcc
	s_and_b64 vcc, s[0:1], s[2:3]
	v_cndmask_b32_e32 v32, v32, v27, vcc
	v_and_b32_e32 v32, 1, v32
	v_cmp_eq_u32_e32 vcc, 1, v32
	s_and_saveexec_b64 s[0:1], vcc
	s_cbranch_execz .LBB103_65
; %bb.64:
	ds_write_b16 v21, v30
	ds_write_b16 v22, v28 offset:128
	ds_write_b8 v20, v31 offset:2048
	ds_write_b8 v20, v29 offset:2112
.LBB103_65:
	s_or_b64 exec, exec, s[0:1]
	s_waitcnt lgkmcnt(0)
	s_barrier
	ds_read_u16 v28, v18
	ds_read_u16 v30, v19 offset:64
	ds_read_u8 v29, v17 offset:2048
	ds_read_u8 v31, v17 offset:2080
	s_waitcnt lgkmcnt(2)
	v_cmp_lt_f16_e32 vcc, v28, v30
	s_waitcnt lgkmcnt(1)
	v_and_b32_e32 v32, 1, v29
	v_cmp_eq_u32_e64 s[0:1], 1, v32
	s_waitcnt lgkmcnt(0)
	v_cmp_ne_u16_e64 s[2:3], v31, v26
	v_cndmask_b32_e64 v32, 0, 1, s[2:3]
	s_and_b64 vcc, vcc, s[0:1]
	v_cndmask_b32_e32 v32, v32, v27, vcc
	v_and_b32_e32 v32, 1, v32
	v_cmp_eq_u32_e32 vcc, 1, v32
	s_and_saveexec_b64 s[0:1], vcc
	s_cbranch_execz .LBB103_67
; %bb.66:
	ds_write_b16 v18, v30
	ds_write_b16 v19, v28 offset:64
	ds_write_b8 v17, v31 offset:2048
	ds_write_b8 v17, v29 offset:2080
.LBB103_67:
	s_or_b64 exec, exec, s[0:1]
	s_waitcnt lgkmcnt(0)
	s_barrier
	ds_read_u16 v28, v15
	ds_read_u16 v30, v16 offset:32
	ds_read_u8 v29, v14 offset:2048
	ds_read_u8 v31, v14 offset:2064
	s_waitcnt lgkmcnt(2)
	v_cmp_lt_f16_e32 vcc, v28, v30
	s_waitcnt lgkmcnt(1)
	v_and_b32_e32 v32, 1, v29
	v_cmp_eq_u32_e64 s[0:1], 1, v32
	s_waitcnt lgkmcnt(0)
	v_cmp_ne_u16_e64 s[2:3], v31, v26
	v_cndmask_b32_e64 v32, 0, 1, s[2:3]
	s_and_b64 vcc, vcc, s[0:1]
	;; [unrolled: 27-line block ×5, first 2 shown]
	v_cndmask_b32_e32 v32, v32, v27, vcc
	v_and_b32_e32 v32, 1, v32
	v_cmp_eq_u32_e32 vcc, 1, v32
	s_and_saveexec_b64 s[0:1], vcc
	s_cbranch_execz .LBB103_75
; %bb.74:
	ds_write_b16 v6, v30
	ds_write_b16 v7, v28 offset:4
	ds_write_b8 v4, v31 offset:2048
	ds_write_b8 v4, v29 offset:2050
.LBB103_75:
	s_or_b64 exec, exec, s[0:1]
	s_waitcnt lgkmcnt(0)
	s_barrier
	ds_read_b32 v29, v2
	ds_read_u8 v28, v3 offset:2048
	ds_read_u8 v30, v3 offset:2049
	s_waitcnt lgkmcnt(2)
	v_cmp_lt_f16_sdwa s[2:3], v29, v29 src0_sel:DWORD src1_sel:WORD_1
	s_waitcnt lgkmcnt(1)
	v_and_b32_e32 v31, 1, v28
	v_cmp_eq_u32_e32 vcc, 1, v31
	s_waitcnt lgkmcnt(0)
	v_cmp_ne_u16_e64 s[0:1], v30, v26
	v_cndmask_b32_e64 v26, 0, 1, s[0:1]
	s_and_b64 vcc, s[2:3], vcc
	v_cndmask_b32_e32 v26, v26, v27, vcc
	v_and_b32_e32 v26, 1, v26
	v_cmp_eq_u32_e32 vcc, 1, v26
	s_and_saveexec_b64 s[0:1], vcc
	s_cbranch_execz .LBB103_77
; %bb.76:
	v_alignbit_b32 v26, v29, v29, 16
	ds_write_b32 v2, v26
	ds_write_b8 v3, v30 offset:2048
	ds_write_b8 v3, v28 offset:2049
.LBB103_77:
	s_or_b64 exec, exec, s[0:1]
	v_sub_u32_sdwa v28, v1, v0 dst_sel:DWORD dst_unused:UNUSED_PAD src0_sel:DWORD src1_sel:BYTE_0
	v_lshl_add_u32 v27, v28, 1, 2
	v_add_u32_e32 v26, 2, v28
	v_and_b32_e32 v33, 0x100, v0
	s_waitcnt lgkmcnt(0)
	s_barrier
	v_add_u32_e32 v28, v26, v28
	ds_read_u16 v30, v27
	ds_read_u16 v32, v28 offset:512
	ds_read_u8 v31, v26 offset:2048
	v_cmp_ne_u32_e32 vcc, 0, v33
	ds_read_u8 v33, v26 offset:2304
	v_bfe_u32 v34, v0, 8, 1
	s_waitcnt lgkmcnt(2)
	v_cmp_lt_f16_e64 s[0:1], v30, v32
	s_waitcnt lgkmcnt(1)
	v_and_b32_e32 v35, 1, v31
	v_cmp_eq_u32_e64 s[2:3], 1, v35
	s_waitcnt lgkmcnt(0)
	v_cmp_ne_u16_e64 s[6:7], v33, v34
	v_cndmask_b32_e64 v35, 0, 1, s[6:7]
	s_and_b64 s[0:1], s[0:1], s[2:3]
	v_cndmask_b32_e64 v34, v35, v34, s[0:1]
	v_and_b32_e32 v34, 1, v34
	v_and_b32_e32 v29, 0x100, v0
	v_cmp_eq_u32_e64 s[0:1], 1, v34
	s_and_saveexec_b64 s[2:3], s[0:1]
	s_cbranch_execz .LBB103_79
; %bb.78:
	ds_write_b16 v27, v32
	ds_write_b16 v28, v30 offset:512
	ds_write_b8 v26, v33 offset:2048
	ds_write_b8 v26, v31 offset:2304
.LBB103_79:
	s_or_b64 exec, exec, s[2:3]
	s_waitcnt lgkmcnt(0)
	s_barrier
	ds_read_u16 v31, v24
	ds_read_u16 v33, v25 offset:256
	ds_read_u8 v32, v23 offset:2048
	ds_read_u8 v34, v23 offset:2176
	v_lshrrev_b32_e32 v29, 8, v29
	s_waitcnt lgkmcnt(2)
	v_cmp_lt_f16_e64 s[0:1], v31, v33
	s_waitcnt lgkmcnt(1)
	v_and_b32_e32 v30, 1, v32
	v_cmp_eq_u32_e64 s[2:3], 1, v30
	s_waitcnt lgkmcnt(0)
	v_cmp_ne_u16_e64 s[6:7], v34, v29
	v_cndmask_b32_e64 v35, 0, 1, s[6:7]
	v_cndmask_b32_e64 v30, 0, 1, vcc
	s_and_b64 vcc, s[0:1], s[2:3]
	v_cndmask_b32_e32 v35, v35, v30, vcc
	v_and_b32_e32 v35, 1, v35
	v_cmp_eq_u32_e32 vcc, 1, v35
	s_and_saveexec_b64 s[0:1], vcc
	s_cbranch_execz .LBB103_81
; %bb.80:
	ds_write_b16 v24, v33
	ds_write_b16 v25, v31 offset:256
	ds_write_b8 v23, v34 offset:2048
	ds_write_b8 v23, v32 offset:2176
.LBB103_81:
	s_or_b64 exec, exec, s[0:1]
	s_waitcnt lgkmcnt(0)
	s_barrier
	ds_read_u16 v31, v21
	ds_read_u16 v33, v22 offset:128
	ds_read_u8 v32, v20 offset:2048
	ds_read_u8 v34, v20 offset:2112
	s_waitcnt lgkmcnt(2)
	v_cmp_lt_f16_e32 vcc, v31, v33
	s_waitcnt lgkmcnt(1)
	v_and_b32_e32 v35, 1, v32
	v_cmp_eq_u32_e64 s[0:1], 1, v35
	s_waitcnt lgkmcnt(0)
	v_cmp_ne_u16_e64 s[2:3], v34, v29
	v_cndmask_b32_e64 v35, 0, 1, s[2:3]
	s_and_b64 vcc, vcc, s[0:1]
	v_cndmask_b32_e32 v35, v35, v30, vcc
	v_and_b32_e32 v35, 1, v35
	v_cmp_eq_u32_e32 vcc, 1, v35
	s_and_saveexec_b64 s[0:1], vcc
	s_cbranch_execz .LBB103_83
; %bb.82:
	ds_write_b16 v21, v33
	ds_write_b16 v22, v31 offset:128
	ds_write_b8 v20, v34 offset:2048
	ds_write_b8 v20, v32 offset:2112
.LBB103_83:
	s_or_b64 exec, exec, s[0:1]
	s_waitcnt lgkmcnt(0)
	s_barrier
	ds_read_u16 v31, v18
	ds_read_u16 v33, v19 offset:64
	ds_read_u8 v32, v17 offset:2048
	ds_read_u8 v34, v17 offset:2080
	s_waitcnt lgkmcnt(2)
	v_cmp_lt_f16_e32 vcc, v31, v33
	s_waitcnt lgkmcnt(1)
	v_and_b32_e32 v35, 1, v32
	v_cmp_eq_u32_e64 s[0:1], 1, v35
	s_waitcnt lgkmcnt(0)
	v_cmp_ne_u16_e64 s[2:3], v34, v29
	v_cndmask_b32_e64 v35, 0, 1, s[2:3]
	s_and_b64 vcc, vcc, s[0:1]
	;; [unrolled: 27-line block ×6, first 2 shown]
	v_cndmask_b32_e32 v35, v35, v30, vcc
	v_and_b32_e32 v35, 1, v35
	v_cmp_eq_u32_e32 vcc, 1, v35
	s_and_saveexec_b64 s[0:1], vcc
	s_cbranch_execz .LBB103_93
; %bb.92:
	ds_write_b16 v6, v33
	ds_write_b16 v7, v31 offset:4
	ds_write_b8 v4, v34 offset:2048
	ds_write_b8 v4, v32 offset:2050
.LBB103_93:
	s_or_b64 exec, exec, s[0:1]
	s_waitcnt lgkmcnt(0)
	s_barrier
	ds_read_b32 v32, v2
	ds_read_u8 v31, v3 offset:2048
	ds_read_u8 v33, v3 offset:2049
	s_waitcnt lgkmcnt(2)
	v_cmp_lt_f16_sdwa s[2:3], v32, v32 src0_sel:DWORD src1_sel:WORD_1
	s_waitcnt lgkmcnt(1)
	v_and_b32_e32 v34, 1, v31
	v_cmp_eq_u32_e32 vcc, 1, v34
	s_waitcnt lgkmcnt(0)
	v_cmp_ne_u16_e64 s[0:1], v33, v29
	v_cndmask_b32_e64 v29, 0, 1, s[0:1]
	s_and_b64 vcc, s[2:3], vcc
	v_cndmask_b32_e32 v29, v29, v30, vcc
	v_and_b32_e32 v29, 1, v29
	v_cmp_eq_u32_e32 vcc, 1, v29
	s_and_saveexec_b64 s[0:1], vcc
	s_cbranch_execz .LBB103_95
; %bb.94:
	v_alignbit_b32 v29, v32, v32, 16
	ds_write_b32 v2, v29
	ds_write_b8 v3, v33 offset:2048
	ds_write_b8 v3, v31 offset:2049
.LBB103_95:
	s_or_b64 exec, exec, s[0:1]
	v_and_b32_e32 v29, 0x1ff, v0
	v_sub_u32_e32 v29, v1, v29
	v_lshl_add_u32 v31, v29, 1, 2
	v_add_u32_e32 v30, 2, v29
	s_waitcnt lgkmcnt(0)
	s_barrier
	v_add_u32_e32 v32, v30, v29
	ds_read_u16 v33, v31
	ds_read_u16 v35, v32 offset:1024
	ds_read_u8 v34, v30 offset:2048
	ds_read_u8 v36, v30 offset:2560
	s_waitcnt lgkmcnt(2)
	v_cmp_nlt_f16_e32 vcc, v33, v35
	s_waitcnt lgkmcnt(1)
	v_and_b32_e32 v29, 1, v34
	v_cmp_eq_u32_e64 s[0:1], 1, v29
	s_xor_b64 s[0:1], s[0:1], -1
	v_mov_b32_e32 v29, 0
	s_or_b64 s[0:1], vcc, s[0:1]
	s_waitcnt lgkmcnt(0)
	v_cmp_ne_u16_sdwa s[2:3], v36, v29 src0_sel:BYTE_0 src1_sel:DWORD
	s_and_b64 s[2:3], s[0:1], s[2:3]
	s_and_saveexec_b64 s[0:1], s[2:3]
	s_cbranch_execz .LBB103_97
; %bb.96:
	ds_write_b16 v31, v35
	ds_write_b16 v32, v33 offset:1024
	v_mov_b32_e32 v31, 1
	ds_write_b8 v30, v31 offset:2048
	ds_write_b8 v30, v34 offset:2560
.LBB103_97:
	s_or_b64 exec, exec, s[0:1]
	s_waitcnt lgkmcnt(0)
	s_barrier
	ds_read_u16 v30, v27
	ds_read_u16 v32, v28 offset:512
	ds_read_u8 v31, v26 offset:2048
	ds_read_u8 v33, v26 offset:2304
	s_waitcnt lgkmcnt(2)
	v_cmp_nlt_f16_e32 vcc, v30, v32
	s_waitcnt lgkmcnt(1)
	v_and_b32_e32 v34, 1, v31
	v_cmp_eq_u32_e64 s[0:1], 1, v34
	s_xor_b64 s[0:1], s[0:1], -1
	s_or_b64 s[0:1], vcc, s[0:1]
	s_waitcnt lgkmcnt(0)
	v_cmp_ne_u16_sdwa s[2:3], v33, v29 src0_sel:BYTE_0 src1_sel:DWORD
	s_and_b64 s[2:3], s[0:1], s[2:3]
	s_and_saveexec_b64 s[0:1], s[2:3]
	s_cbranch_execz .LBB103_99
; %bb.98:
	ds_write_b16 v27, v32
	ds_write_b16 v28, v30 offset:512
	v_mov_b32_e32 v27, 1
	ds_write_b8 v26, v27 offset:2048
	ds_write_b8 v26, v31 offset:2304
.LBB103_99:
	s_or_b64 exec, exec, s[0:1]
	s_waitcnt lgkmcnt(0)
	s_barrier
	ds_read_u16 v27, v24
	ds_read_u16 v29, v25 offset:256
	ds_read_u8 v28, v23 offset:2048
	ds_read_u8 v30, v23 offset:2176
	s_waitcnt lgkmcnt(2)
	v_cmp_nlt_f16_e32 vcc, v27, v29
	s_waitcnt lgkmcnt(1)
	v_and_b32_e32 v26, 1, v28
	v_cmp_eq_u32_e64 s[0:1], 1, v26
	s_xor_b64 s[0:1], s[0:1], -1
	v_mov_b32_e32 v26, 0
	s_or_b64 s[0:1], vcc, s[0:1]
	s_waitcnt lgkmcnt(0)
	v_cmp_ne_u16_sdwa s[2:3], v30, v26 src0_sel:BYTE_0 src1_sel:DWORD
	s_and_b64 s[2:3], s[0:1], s[2:3]
	s_and_saveexec_b64 s[0:1], s[2:3]
	s_cbranch_execz .LBB103_101
; %bb.100:
	ds_write_b16 v24, v29
	ds_write_b16 v25, v27 offset:256
	v_mov_b32_e32 v24, 1
	ds_write_b8 v23, v24 offset:2048
	ds_write_b8 v23, v28 offset:2176
.LBB103_101:
	s_or_b64 exec, exec, s[0:1]
	s_waitcnt lgkmcnt(0)
	s_barrier
	ds_read_u16 v23, v21
	ds_read_u16 v25, v22 offset:128
	ds_read_u8 v24, v20 offset:2048
	ds_read_u8 v27, v20 offset:2112
	s_waitcnt lgkmcnt(2)
	v_cmp_nlt_f16_e32 vcc, v23, v25
	s_waitcnt lgkmcnt(1)
	v_and_b32_e32 v28, 1, v24
	v_cmp_eq_u32_e64 s[0:1], 1, v28
	s_xor_b64 s[0:1], s[0:1], -1
	s_or_b64 s[0:1], vcc, s[0:1]
	s_waitcnt lgkmcnt(0)
	v_cmp_ne_u16_sdwa s[2:3], v27, v26 src0_sel:BYTE_0 src1_sel:DWORD
	s_and_b64 s[2:3], s[0:1], s[2:3]
	s_and_saveexec_b64 s[0:1], s[2:3]
	s_cbranch_execz .LBB103_103
; %bb.102:
	ds_write_b16 v21, v25
	ds_write_b16 v22, v23 offset:128
	v_mov_b32_e32 v21, 1
	ds_write_b8 v20, v21 offset:2048
	ds_write_b8 v20, v24 offset:2112
.LBB103_103:
	s_or_b64 exec, exec, s[0:1]
	s_waitcnt lgkmcnt(0)
	s_barrier
	;; [unrolled: 53-line block ×4, first 2 shown]
	ds_read_u16 v9, v6
	ds_read_u16 v11, v7 offset:4
	ds_read_u8 v10, v4 offset:2048
	ds_read_u8 v12, v4 offset:2050
	s_waitcnt lgkmcnt(2)
	v_cmp_nlt_f16_e32 vcc, v9, v11
	s_waitcnt lgkmcnt(1)
	v_and_b32_e32 v8, 1, v10
	v_cmp_eq_u32_e64 s[0:1], 1, v8
	s_xor_b64 s[0:1], s[0:1], -1
	v_mov_b32_e32 v8, 0
	s_or_b64 s[0:1], vcc, s[0:1]
	s_waitcnt lgkmcnt(0)
	v_cmp_ne_u16_sdwa s[2:3], v12, v8 src0_sel:BYTE_0 src1_sel:DWORD
	s_and_b64 s[2:3], s[0:1], s[2:3]
	s_and_saveexec_b64 s[0:1], s[2:3]
	s_cbranch_execz .LBB103_113
; %bb.112:
	ds_write_b16 v6, v11
	ds_write_b16 v7, v9 offset:4
	v_mov_b32_e32 v6, 1
	ds_write_b8 v4, v6 offset:2048
	ds_write_b8 v4, v10 offset:2050
.LBB103_113:
	s_or_b64 exec, exec, s[0:1]
	s_waitcnt lgkmcnt(0)
	s_barrier
	ds_read_b32 v6, v2
	ds_read_u8 v4, v3 offset:2048
	ds_read_u8 v7, v3 offset:2049
	s_waitcnt lgkmcnt(2)
	v_cmp_nlt_f16_sdwa s[0:1], v6, v6 src0_sel:DWORD src1_sel:WORD_1
	s_waitcnt lgkmcnt(1)
	v_and_b32_e32 v9, 1, v4
	v_cmp_eq_u32_e32 vcc, 1, v9
	s_xor_b64 s[2:3], vcc, -1
	s_or_b64 s[0:1], s[0:1], s[2:3]
	s_waitcnt lgkmcnt(0)
	v_cmp_ne_u16_sdwa s[2:3], v7, v8 src0_sel:BYTE_0 src1_sel:DWORD
	s_and_b64 s[2:3], s[0:1], s[2:3]
	s_and_saveexec_b64 s[0:1], s[2:3]
	s_cbranch_execz .LBB103_115
; %bb.114:
	v_alignbit_b32 v6, v6, v6, 16
	ds_write_b32 v2, v6
	v_mov_b32_e32 v6, 1
	ds_write_b8 v3, v6 offset:2048
	ds_write_b8 v3, v4 offset:2049
.LBB103_115:
	s_or_b64 exec, exec, s[0:1]
	v_cmp_eq_u32_e32 vcc, 0, v0
	s_waitcnt lgkmcnt(0)
	s_barrier
	s_barrier
	s_and_saveexec_b64 s[0:1], vcc
	s_cbranch_execz .LBB103_117
; %bb.116:
	v_mov_b32_e32 v3, 1
	v_mov_b32_e32 v4, 2
	ds_write_b8 v4, v3 offset:2052
	v_mov_b32_e32 v3, 0
	ds_write_b32 v4, v3 offset:2048
.LBB103_117:
	s_or_b64 exec, exec, s[0:1]
	ds_read_u16 v4, v2
	ds_read_u16 v3, v2 offset:2
	v_lshl_add_u32 v2, v1, 3, 2
	s_waitcnt lgkmcnt(0)
	v_cmp_neq_f16_e64 s[0:1], v4, v3
	v_cndmask_b32_e64 v6, 0, 1, s[0:1]
	v_cmp_eq_f16_e64 s[0:1], v4, v3
	v_cndmask_b32_e64 v4, 0, 1, s[0:1]
	s_movk_i32 s0, 0x1ff
	v_cmp_gt_u32_e64 s[2:3], s0, v0
	ds_write_b8 v2, v6 offset:2060
	ds_write_b32 v2, v4 offset:2056
	s_and_saveexec_b64 s[6:7], s[2:3]
	s_cbranch_execz .LBB103_119
; %bb.118:
	v_mad_i32_i24 v4, v0, -12, v2
	ds_read_u16 v6, v4 offset:4
	v_mad_u32_u24 v4, v0, 12, v4
	s_waitcnt lgkmcnt(0)
	v_cmp_neq_f16_e64 s[0:1], v3, v6
	v_cndmask_b32_e64 v7, 0, 1, s[0:1]
	v_cmp_eq_f16_e64 s[0:1], v3, v6
	v_cndmask_b32_e64 v3, 0, 1, s[0:1]
	ds_write_b8 v4, v7 offset:2068
	ds_write_b32 v4, v3 offset:2064
.LBB103_119:
	s_or_b64 exec, exec, s[6:7]
	s_movk_i32 s0, 0x200
	v_cmp_gt_u32_e64 s[0:1], s0, v0
	s_waitcnt lgkmcnt(0)
	s_barrier
	s_and_saveexec_b64 s[6:7], s[0:1]
	s_cbranch_execz .LBB103_121
; %bb.120:
	ds_read_u8 v6, v2 offset:2060
	v_add_u32_e32 v3, 0x800, v2
	ds_read2_b32 v[3:4], v3 offset1:2
	ds_read_u8 v7, v2 offset:2052
	v_add_u32_e32 v8, 0x808, v2
	s_waitcnt lgkmcnt(2)
	v_and_b32_e32 v9, 1, v6
	v_cmp_eq_u32_e64 s[0:1], 1, v9
	s_waitcnt lgkmcnt(1)
	v_cndmask_b32_e64 v3, v3, 0, s[0:1]
	v_add_u32_e32 v3, v3, v4
	s_waitcnt lgkmcnt(0)
	v_or_b32_e32 v4, v7, v6
	v_and_b32_e32 v4, 1, v4
	ds_write2_b32 v8, v3, v4 offset1:1
.LBB103_121:
	s_or_b64 exec, exec, s[6:7]
	v_add_u32_e32 v9, 2, v1
	v_lshlrev_b32_e32 v3, 1, v9
	s_movk_i32 s0, 0x100
	v_cmp_gt_u32_e64 s[0:1], s0, v0
	v_lshl_add_u32 v3, v3, 3, 2
	s_waitcnt lgkmcnt(0)
	s_barrier
	s_and_saveexec_b64 s[6:7], s[0:1]
	s_cbranch_execz .LBB103_123
; %bb.122:
	ds_read_u8 v4, v3 offset:2044
	v_add_u32_e32 v6, 0x400, v3
	ds_read2_b32 v[6:7], v6 offset0:250 offset1:254
	ds_read_u8 v8, v3 offset:2028
	v_add_u32_e32 v10, 0x7f8, v3
	s_waitcnt lgkmcnt(2)
	v_and_b32_e32 v11, 1, v4
	v_cmp_eq_u32_e64 s[0:1], 1, v11
	s_waitcnt lgkmcnt(1)
	v_cndmask_b32_e64 v6, v6, 0, s[0:1]
	s_waitcnt lgkmcnt(0)
	v_or_b32_e32 v4, v8, v4
	v_add_u32_e32 v6, v6, v7
	v_and_b32_e32 v4, 1, v4
	ds_write2_b32 v10, v6, v4 offset1:1
.LBB103_123:
	s_or_b64 exec, exec, s[6:7]
	v_lshlrev_b32_e32 v4, 2, v9
	s_movk_i32 s0, 0x80
	v_cmp_gt_u32_e64 s[0:1], s0, v0
	v_lshl_add_u32 v4, v4, 3, 2
	s_waitcnt lgkmcnt(0)
	s_barrier
	s_and_saveexec_b64 s[6:7], s[0:1]
	s_cbranch_execz .LBB103_125
; %bb.124:
	ds_read_u8 v8, v4 offset:2044
	v_add_u32_e32 v6, 0x400, v4
	ds_read2_b32 v[6:7], v6 offset0:246 offset1:254
	ds_read_u8 v10, v4 offset:2012
	v_add_u32_e32 v11, 0x7f8, v4
	s_waitcnt lgkmcnt(2)
	v_and_b32_e32 v12, 1, v8
	v_cmp_eq_u32_e64 s[0:1], 1, v12
	s_waitcnt lgkmcnt(1)
	v_cndmask_b32_e64 v6, v6, 0, s[0:1]
	v_add_u32_e32 v6, v6, v7
	s_waitcnt lgkmcnt(0)
	v_or_b32_e32 v7, v10, v8
	v_and_b32_e32 v7, 1, v7
	ds_write2_b32 v11, v6, v7 offset1:1
.LBB103_125:
	s_or_b64 exec, exec, s[6:7]
	v_lshlrev_b32_e32 v6, 3, v9
	v_cmp_gt_u32_e64 s[0:1], 64, v0
	v_lshl_add_u32 v6, v6, 3, 2
	s_waitcnt lgkmcnt(0)
	s_barrier
	s_and_saveexec_b64 s[8:9], s[0:1]
	s_cbranch_execz .LBB103_127
; %bb.126:
	ds_read_u8 v10, v6 offset:2044
	ds_read_u8 v12, v6 offset:1980
	v_add_u32_e32 v7, 0x400, v6
	ds_read2_b32 v[7:8], v7 offset0:238 offset1:254
	v_add_u32_e32 v11, 0x7f8, v6
	s_waitcnt lgkmcnt(2)
	v_and_b32_e32 v13, 1, v10
	v_cmp_eq_u32_e64 s[6:7], 1, v13
	s_waitcnt lgkmcnt(0)
	v_cndmask_b32_e64 v7, v7, 0, s[6:7]
	v_add_u32_e32 v7, v7, v8
	v_or_b32_e32 v8, v12, v10
	v_and_b32_e32 v8, 1, v8
	ds_write2_b32 v11, v7, v8 offset1:1
.LBB103_127:
	s_or_b64 exec, exec, s[8:9]
	v_lshlrev_b32_e32 v7, 4, v9
	v_cmp_gt_u32_e64 s[6:7], 32, v0
	v_lshl_add_u32 v7, v7, 3, 2
	s_waitcnt lgkmcnt(0)
	s_barrier
	s_and_saveexec_b64 s[8:9], s[6:7]
	s_cbranch_execz .LBB103_129
; %bb.128:
	ds_read_u8 v8, v7 offset:2044
	ds_read_u8 v13, v7 offset:1916
	v_add_u32_e32 v10, 0x400, v7
	ds_read2_b32 v[10:11], v10 offset0:222 offset1:254
	v_add_u32_e32 v12, 0x7f8, v7
	s_waitcnt lgkmcnt(2)
	v_and_b32_e32 v14, 1, v8
	v_cmp_eq_u32_e64 s[6:7], 1, v14
	s_waitcnt lgkmcnt(1)
	v_or_b32_e32 v8, v13, v8
	s_waitcnt lgkmcnt(0)
	v_cndmask_b32_e64 v10, v10, 0, s[6:7]
	v_add_u32_e32 v10, v10, v11
	v_and_b32_e32 v8, 1, v8
	ds_write2_b32 v12, v10, v8 offset1:1
.LBB103_129:
	s_or_b64 exec, exec, s[8:9]
	v_lshlrev_b32_e32 v8, 5, v9
	v_cmp_gt_u32_e64 s[6:7], 16, v0
	v_lshl_add_u32 v8, v8, 3, 2
	s_waitcnt lgkmcnt(0)
	s_barrier
	s_and_saveexec_b64 s[8:9], s[6:7]
	s_cbranch_execz .LBB103_131
; %bb.130:
	ds_read_u8 v12, v8 offset:2044
	ds_read_u8 v14, v8 offset:1788
	v_add_u32_e32 v10, 0xf8, v8
	ds_read2st64_b32 v[10:11], v10 offset0:6 offset1:7
	v_add_u32_e32 v13, 0x7f8, v8
	s_waitcnt lgkmcnt(2)
	v_and_b32_e32 v15, 1, v12
	v_cmp_eq_u32_e64 s[6:7], 1, v15
	s_waitcnt lgkmcnt(0)
	v_cndmask_b32_e64 v10, v10, 0, s[6:7]
	v_add_u32_e32 v10, v10, v11
	v_or_b32_e32 v11, v14, v12
	v_and_b32_e32 v11, 1, v11
	ds_write2_b32 v13, v10, v11 offset1:1
.LBB103_131:
	s_or_b64 exec, exec, s[8:9]
	v_lshlrev_b32_e32 v10, 6, v9
	v_cmp_gt_u32_e64 s[6:7], 8, v0
	v_lshl_add_u32 v10, v10, 3, 2
	s_waitcnt lgkmcnt(0)
	s_barrier
	s_and_saveexec_b64 s[8:9], s[6:7]
	s_cbranch_execz .LBB103_133
; %bb.132:
	ds_read_u8 v13, v10 offset:2044
	ds_read_u8 v15, v10 offset:1532
	v_add_u32_e32 v11, 0xf8, v10
	ds_read2st64_b32 v[11:12], v11 offset0:5 offset1:7
	v_add_u32_e32 v14, 0x7f8, v10
	s_waitcnt lgkmcnt(2)
	v_and_b32_e32 v16, 1, v13
	v_cmp_eq_u32_e64 s[6:7], 1, v16
	s_waitcnt lgkmcnt(0)
	v_cndmask_b32_e64 v11, v11, 0, s[6:7]
	v_add_u32_e32 v11, v11, v12
	v_or_b32_e32 v12, v15, v13
	v_and_b32_e32 v12, 1, v12
	ds_write2_b32 v14, v11, v12 offset1:1
.LBB103_133:
	;; [unrolled: 24-line block ×3, first 2 shown]
	s_or_b64 exec, exec, s[8:9]
	v_lshlrev_b32_e32 v9, 8, v9
	v_cmp_gt_u32_e64 s[6:7], 2, v0
	v_lshl_add_u32 v9, v9, 3, 2
	s_waitcnt lgkmcnt(0)
	s_barrier
	s_and_saveexec_b64 s[8:9], s[6:7]
	s_cbranch_execz .LBB103_137
; %bb.136:
	ds_read_u8 v14, v9 offset:2044
	v_add_u32_e32 v13, -8, v9
	v_add_u32_e32 v15, -4, v9
	ds_read_b32 v13, v13
	ds_read_b32 v16, v9 offset:2040
	ds_read_u8 v15, v15
	v_add_u32_e32 v12, 0x7f8, v9
	s_waitcnt lgkmcnt(3)
	v_and_b32_e32 v17, 1, v14
	v_cmp_eq_u32_e64 s[6:7], 1, v17
	s_waitcnt lgkmcnt(2)
	v_cndmask_b32_e64 v13, v13, 0, s[6:7]
	s_waitcnt lgkmcnt(0)
	v_or_b32_e32 v14, v15, v14
	v_add_u32_e32 v13, v13, v16
	v_and_b32_e32 v14, 1, v14
	ds_write2_b32 v12, v13, v14 offset1:1
.LBB103_137:
	s_or_b64 exec, exec, s[8:9]
	s_waitcnt lgkmcnt(0)
	s_barrier
	s_and_saveexec_b64 s[8:9], vcc
	s_cbranch_execz .LBB103_139
; %bb.138:
	v_mov_b32_e32 v12, 2
	ds_read_u8 v13, v12 offset:10236
	ds_read_b32 v14, v12 offset:6136
	ds_read_b32 v15, v12 offset:10232
	ds_read_u8 v12, v12 offset:6140
	s_add_i32 s10, 2, 0x27f8
	s_waitcnt lgkmcnt(3)
	v_and_b32_e32 v16, 1, v13
	v_cmp_eq_u32_e64 s[6:7], 1, v16
	s_waitcnt lgkmcnt(2)
	v_cndmask_b32_e64 v14, v14, 0, s[6:7]
	s_waitcnt lgkmcnt(0)
	v_or_b32_e32 v12, v12, v13
	v_add_u32_e32 v14, v14, v15
	v_and_b32_e32 v12, 1, v12
	v_mov_b32_e32 v13, s10
	ds_write2_b32 v13, v14, v12 offset1:1
.LBB103_139:
	s_or_b64 exec, exec, s[8:9]
	s_waitcnt lgkmcnt(0)
	s_barrier
	s_and_saveexec_b64 s[8:9], vcc
	s_cbranch_execz .LBB103_141
; %bb.140:
	ds_read_u8 v14, v9 offset:4092
	v_add_u32_e32 v12, 0xf8, v9
	ds_read2st64_b32 v[12:13], v12 offset0:7 offset1:15
	v_add_u32_e32 v15, 0xff8, v9
	ds_read_u8 v9, v9 offset:2044
	s_waitcnt lgkmcnt(2)
	v_and_b32_e32 v16, 1, v14
	v_cmp_eq_u32_e64 s[6:7], 1, v16
	s_waitcnt lgkmcnt(1)
	v_cndmask_b32_e64 v12, v12, 0, s[6:7]
	v_add_u32_e32 v12, v12, v13
	s_waitcnt lgkmcnt(0)
	v_or_b32_e32 v9, v9, v14
	v_and_b32_e32 v9, 1, v9
	ds_write2_b32 v15, v12, v9 offset1:1
.LBB103_141:
	s_or_b64 exec, exec, s[8:9]
	v_cmp_gt_u32_e64 s[6:7], 3, v0
	s_waitcnt lgkmcnt(0)
	s_barrier
	s_and_saveexec_b64 s[8:9], s[6:7]
	s_cbranch_execz .LBB103_143
; %bb.142:
	ds_read_u8 v9, v11 offset:3068
	v_add_u32_e32 v12, 0xf8, v11
	ds_read2st64_b32 v[12:13], v12 offset0:7 offset1:11
	v_add_u32_e32 v14, 0xbf8, v11
	ds_read_u8 v11, v11 offset:2044
	s_waitcnt lgkmcnt(2)
	v_and_b32_e32 v15, 1, v9
	v_cmp_eq_u32_e64 s[6:7], 1, v15
	s_waitcnt lgkmcnt(1)
	v_cndmask_b32_e64 v12, v12, 0, s[6:7]
	v_add_u32_e32 v12, v12, v13
	s_waitcnt lgkmcnt(0)
	v_or_b32_e32 v9, v11, v9
	v_and_b32_e32 v9, 1, v9
	ds_write2_b32 v14, v12, v9 offset1:1
.LBB103_143:
	s_or_b64 exec, exec, s[8:9]
	v_cmp_gt_u32_e64 s[6:7], 7, v0
	s_waitcnt lgkmcnt(0)
	s_barrier
	s_and_saveexec_b64 s[8:9], s[6:7]
	;; [unrolled: 23-line block ×4, first 2 shown]
	s_cbranch_execz .LBB103_149
; %bb.148:
	ds_read_u8 v10, v7 offset:2172
	v_add_u32_e32 v8, 0x600, v7
	ds_read2_b32 v[8:9], v8 offset0:126 offset1:158
	v_add_u32_e32 v11, 0x878, v7
	ds_read_u8 v7, v7 offset:2044
	s_waitcnt lgkmcnt(2)
	v_and_b32_e32 v12, 1, v10
	v_cmp_eq_u32_e64 s[6:7], 1, v12
	s_waitcnt lgkmcnt(1)
	v_cndmask_b32_e64 v8, v8, 0, s[6:7]
	v_add_u32_e32 v8, v8, v9
	s_waitcnt lgkmcnt(0)
	v_or_b32_e32 v7, v7, v10
	v_and_b32_e32 v7, 1, v7
	ds_write2_b32 v11, v8, v7 offset1:1
.LBB103_149:
	s_or_b64 exec, exec, s[8:9]
	v_cmp_gt_u32_e64 s[6:7], 63, v0
	s_waitcnt lgkmcnt(0)
	s_barrier
	s_and_saveexec_b64 s[8:9], s[6:7]
	s_cbranch_execz .LBB103_151
; %bb.150:
	ds_read_u8 v9, v6 offset:2108
	v_add_u32_e32 v7, 0x600, v6
	ds_read2_b32 v[7:8], v7 offset0:126 offset1:142
	v_add_u32_e32 v10, 0x838, v6
	ds_read_u8 v6, v6 offset:2044
	s_waitcnt lgkmcnt(2)
	v_and_b32_e32 v11, 1, v9
	v_cmp_eq_u32_e64 s[6:7], 1, v11
	s_waitcnt lgkmcnt(1)
	v_cndmask_b32_e64 v7, v7, 0, s[6:7]
	v_add_u32_e32 v7, v7, v8
	s_waitcnt lgkmcnt(0)
	v_or_b32_e32 v6, v6, v9
	v_and_b32_e32 v6, 1, v6
	ds_write2_b32 v10, v7, v6 offset1:1
.LBB103_151:
	s_or_b64 exec, exec, s[8:9]
	s_movk_i32 s6, 0x7f
	v_cmp_gt_u32_e64 s[6:7], s6, v0
	s_waitcnt lgkmcnt(0)
	s_barrier
	s_and_saveexec_b64 s[8:9], s[6:7]
	s_cbranch_execz .LBB103_153
; %bb.152:
	ds_read_u8 v8, v4 offset:2076
	v_add_u32_e32 v6, 0x600, v4
	ds_read2_b32 v[6:7], v6 offset0:126 offset1:134
	ds_read_u8 v9, v4 offset:2044
	v_add_u32_e32 v4, 0x818, v4
	s_waitcnt lgkmcnt(2)
	v_and_b32_e32 v10, 1, v8
	v_cmp_eq_u32_e64 s[6:7], 1, v10
	s_waitcnt lgkmcnt(1)
	v_cndmask_b32_e64 v6, v6, 0, s[6:7]
	v_add_u32_e32 v6, v6, v7
	s_waitcnt lgkmcnt(0)
	v_or_b32_e32 v7, v9, v8
	v_and_b32_e32 v7, 1, v7
	ds_write2_b32 v4, v6, v7 offset1:1
.LBB103_153:
	s_or_b64 exec, exec, s[8:9]
	s_movk_i32 s6, 0xff
	v_cmp_gt_u32_e64 s[6:7], s6, v0
	s_waitcnt lgkmcnt(0)
	s_barrier
	s_and_saveexec_b64 s[8:9], s[6:7]
	s_cbranch_execz .LBB103_155
; %bb.154:
	ds_read_u8 v4, v3 offset:2060
	v_add_u32_e32 v6, 0x600, v3
	ds_read2_b32 v[6:7], v6 offset0:126 offset1:130
	ds_read_u8 v8, v3 offset:2044
	v_add_u32_e32 v3, 0x808, v3
	s_waitcnt lgkmcnt(2)
	v_and_b32_e32 v9, 1, v4
	v_cmp_eq_u32_e64 s[6:7], 1, v9
	s_waitcnt lgkmcnt(1)
	v_cndmask_b32_e64 v6, v6, 0, s[6:7]
	s_waitcnt lgkmcnt(0)
	v_or_b32_e32 v4, v8, v4
	v_add_u32_e32 v6, v6, v7
	v_and_b32_e32 v4, 1, v4
	ds_write2_b32 v3, v6, v4 offset1:1
.LBB103_155:
	s_or_b64 exec, exec, s[8:9]
	s_waitcnt lgkmcnt(0)
	s_barrier
	s_and_saveexec_b64 s[6:7], s[2:3]
	s_cbranch_execz .LBB103_157
; %bb.156:
	ds_read_u8 v6, v2 offset:2068
	v_add_u32_e32 v3, 0x800, v2
	ds_read2_b32 v[3:4], v3 offset0:2 offset1:4
	ds_read_u8 v7, v2 offset:2060
	v_add_u32_e32 v8, 0x810, v2
	s_waitcnt lgkmcnt(2)
	v_and_b32_e32 v9, 1, v6
	v_cmp_eq_u32_e64 s[2:3], 1, v9
	s_waitcnt lgkmcnt(1)
	v_cndmask_b32_e64 v3, v3, 0, s[2:3]
	v_add_u32_e32 v3, v3, v4
	s_waitcnt lgkmcnt(0)
	v_or_b32_e32 v4, v7, v6
	v_and_b32_e32 v4, 1, v4
	ds_write2_b32 v8, v3, v4 offset1:1
.LBB103_157:
	s_or_b64 exec, exec, s[6:7]
	v_add_u32_e32 v2, 0x800, v2
	s_waitcnt lgkmcnt(0)
	s_barrier
	ds_read2_b32 v[6:7], v2 offset1:2
	v_or_b32_e32 v3, 1, v1
	v_cmp_gt_u32_e64 s[2:3], s16, v1
	v_cmp_gt_u32_e64 s[6:7], s16, v3
	v_cndmask_b32_e64 v4, 0, v1, s[2:3]
	s_waitcnt lgkmcnt(0)
	v_cndmask_b32_e64 v2, 0, v6, s[2:3]
	v_mbcnt_lo_u32_b32 v6, -1, 0
	v_cndmask_b32_e64 v7, 0, v7, s[6:7]
	v_mbcnt_hi_u32_b32 v11, -1, v6
	v_mov_b32_e32 v6, 0x80
	v_cndmask_b32_e64 v8, 0, v3, s[6:7]
	v_max_u32_e32 v9, v7, v2
	v_lshl_or_b32 v6, v11, 2, v6
	v_cmp_gt_u32_e64 s[8:9], v7, v2
	ds_bpermute_b32 v10, v6, v9
	v_cndmask_b32_e64 v2, v4, v8, s[8:9]
	ds_bpermute_b32 v4, v6, v2
	v_and_b32_e32 v12, 63, v11
	v_cmp_gt_u32_e64 s[8:9], 48, v12
	v_cndmask_b32_e64 v7, 0, 16, s[8:9]
	s_waitcnt lgkmcnt(1)
	v_max_u32_e32 v13, v10, v9
	v_add_lshl_u32 v7, v7, v11, 2
	v_cmp_gt_u32_e64 s[8:9], v10, v9
	ds_bpermute_b32 v14, v7, v13
	s_waitcnt lgkmcnt(1)
	v_cndmask_b32_e64 v2, v2, v4, s[8:9]
	ds_bpermute_b32 v4, v7, v2
	v_cmp_gt_u32_e64 s[8:9], 56, v12
	v_cndmask_b32_e64 v8, 0, 8, s[8:9]
	s_waitcnt lgkmcnt(1)
	v_max_u32_e32 v10, v14, v13
	v_add_lshl_u32 v8, v8, v11, 2
	v_cmp_gt_u32_e64 s[8:9], v14, v13
	ds_bpermute_b32 v15, v8, v10
	s_waitcnt lgkmcnt(1)
	v_cndmask_b32_e64 v2, v2, v4, s[8:9]
	ds_bpermute_b32 v4, v8, v2
	v_cmp_gt_u32_e64 s[8:9], 60, v12
	v_cndmask_b32_e64 v9, 0, 4, s[8:9]
	s_waitcnt lgkmcnt(1)
	v_max_u32_e32 v13, v15, v10
	v_add_lshl_u32 v9, v9, v11, 2
	v_cmp_gt_u32_e64 s[8:9], v15, v10
	ds_bpermute_b32 v14, v9, v13
	s_waitcnt lgkmcnt(1)
	v_cndmask_b32_e64 v2, v2, v4, s[8:9]
	ds_bpermute_b32 v4, v9, v2
	v_cmp_gt_u32_e64 s[8:9], 62, v12
	v_cndmask_b32_e64 v10, 0, 2, s[8:9]
	s_waitcnt lgkmcnt(1)
	v_max_u32_e32 v15, v14, v13
	v_add_lshl_u32 v10, v10, v11, 2
	v_cmp_gt_u32_e64 s[8:9], v14, v13
	ds_bpermute_b32 v16, v10, v15
	s_waitcnt lgkmcnt(1)
	v_cndmask_b32_e64 v4, v2, v4, s[8:9]
	ds_bpermute_b32 v13, v10, v4
	s_waitcnt lgkmcnt(0)
	s_barrier
	v_cmp_gt_u32_e64 s[8:9], v16, v15
	v_max_u32_e32 v2, v16, v15
	v_cndmask_b32_e64 v4, v4, v13, s[8:9]
	v_cmp_ne_u32_e64 s[8:9], 63, v12
	v_addc_co_u32_e64 v11, s[8:9], 0, v11, s[8:9]
	v_lshlrev_b32_e32 v11, 2, v11
	ds_bpermute_b32 v12, v11, v4
	ds_bpermute_b32 v13, v11, v2
	v_cmp_eq_u32_e64 s[8:9], 0, v5
	s_waitcnt lgkmcnt(0)
	s_barrier
	s_and_saveexec_b64 s[12:13], s[8:9]
	s_cbranch_execz .LBB103_159
; %bb.158:
	v_lshrrev_b32_e32 v14, 3, v0
	v_add_u32_e32 v14, 2, v14
	v_cmp_gt_u32_e64 s[10:11], v13, v2
	v_add_u32_e32 v14, 0x800, v14
	v_cndmask_b32_e64 v4, v4, v12, s[10:11]
	v_max_u32_e32 v2, v13, v2
	ds_write2_b32 v14, v2, v4 offset1:1
.LBB103_159:
	s_or_b64 exec, exec, s[12:13]
	s_lshr_b32 s10, s18, 6
	v_cmp_gt_u32_e64 s[10:11], s10, v0
	v_lshl_add_u32 v12, v5, 3, 2
	v_mov_b32_e32 v2, 0
	v_mov_b32_e32 v4, 0
	s_waitcnt lgkmcnt(0)
	s_barrier
	s_and_saveexec_b64 s[12:13], s[10:11]
	s_cbranch_execnz .LBB103_174
; %bb.160:
	s_or_b64 exec, exec, s[12:13]
	s_and_saveexec_b64 s[12:13], s[10:11]
	s_cbranch_execnz .LBB103_175
.LBB103_161:
	s_or_b64 exec, exec, s[12:13]
	s_and_saveexec_b64 s[18:19], s[0:1]
	s_cbranch_execnz .LBB103_176
.LBB103_162:
	s_or_b64 exec, exec, s[18:19]
	s_and_saveexec_b64 s[12:13], vcc
	s_cbranch_execz .LBB103_164
.LBB103_163:
	s_waitcnt lgkmcnt(0)
	v_lshl_add_u32 v2, v2, 1, 2
	ds_read_u16 v2, v2
	v_mov_b32_e32 v4, 0
	s_waitcnt lgkmcnt(0)
	ds_write_b16 v4, v2
.LBB103_164:
	s_or_b64 exec, exec, s[12:13]
	s_waitcnt lgkmcnt(0)
	v_mov_b32_e32 v2, 0
	v_cmp_gt_i64_e64 s[12:13], s[16:17], v[1:2]
	v_mov_b32_e32 v13, 0
	s_barrier
	s_and_saveexec_b64 s[18:19], s[12:13]
	s_cbranch_execz .LBB103_166
; %bb.165:
	v_add_u32_e32 v13, s21, v1
	v_mov_b32_e32 v14, 0
	v_lshlrev_b64 v[15:16], 1, v[13:14]
	v_mov_b32_e32 v4, s15
	v_add_co_u32_e64 v15, s[12:13], s14, v15
	v_addc_co_u32_e64 v16, s[12:13], v4, v16, s[12:13]
	global_load_ushort v4, v[15:16], off
	ds_read_u16 v13, v14
	s_waitcnt vmcnt(0) lgkmcnt(0)
	v_cmp_eq_f16_e64 s[12:13], v4, v13
	v_cndmask_b32_e64 v13, 0, v1, s[12:13]
.LBB103_166:
	s_or_b64 exec, exec, s[18:19]
	v_mov_b32_e32 v4, v2
	v_cmp_gt_i64_e64 s[12:13], s[16:17], v[3:4]
	s_and_saveexec_b64 s[16:17], s[12:13]
	s_cbranch_execz .LBB103_168
; %bb.167:
	v_add_u32_e32 v1, s21, v3
	v_mov_b32_e32 v2, 0
	v_lshlrev_b64 v[14:15], 1, v[1:2]
	v_mov_b32_e32 v1, s15
	v_add_co_u32_e64 v14, s[12:13], s14, v14
	v_addc_co_u32_e64 v15, s[12:13], v1, v15, s[12:13]
	global_load_ushort v1, v[14:15], off
	ds_read_u16 v2, v2
	s_waitcnt vmcnt(0) lgkmcnt(0)
	v_cmp_eq_f16_e64 s[12:13], v1, v2
	v_cndmask_b32_e64 v2, 0, v3, s[12:13]
.LBB103_168:
	s_or_b64 exec, exec, s[16:17]
	v_cndmask_b32_e64 v1, 0, v13, s[2:3]
	v_max_u32_e32 v2, v2, v1
	v_cndmask_b32_e64 v1, v1, v2, s[6:7]
	ds_bpermute_b32 v2, v6, v1
	s_waitcnt lgkmcnt(0)
	s_barrier
	v_max_u32_e32 v1, v2, v1
	ds_bpermute_b32 v2, v7, v1
	s_waitcnt lgkmcnt(0)
	v_max_u32_e32 v1, v2, v1
	ds_bpermute_b32 v2, v8, v1
	s_waitcnt lgkmcnt(0)
	;; [unrolled: 3-line block ×4, first 2 shown]
	v_max_u32_e32 v1, v2, v1
	ds_bpermute_b32 v2, v11, v1
	s_and_saveexec_b64 s[2:3], s[8:9]
	s_cbranch_execz .LBB103_170
; %bb.169:
	v_lshrrev_b32_e32 v0, 4, v0
	v_add_u32_e32 v0, 2, v0
	s_waitcnt lgkmcnt(0)
	v_max_u32_e32 v1, v2, v1
	ds_write_b32 v0, v1
.LBB103_170:
	s_or_b64 exec, exec, s[2:3]
	v_mov_b32_e32 v0, 0
	s_waitcnt lgkmcnt(0)
	s_barrier
	s_and_saveexec_b64 s[2:3], s[10:11]
	s_cbranch_execnz .LBB103_177
; %bb.171:
	s_or_b64 exec, exec, s[2:3]
	s_and_saveexec_b64 s[2:3], s[0:1]
	s_cbranch_execnz .LBB103_178
.LBB103_172:
	s_or_b64 exec, exec, s[2:3]
	s_and_saveexec_b64 s[0:1], vcc
	s_cbranch_execnz .LBB103_179
.LBB103_173:
	s_endpgm
.LBB103_174:
	ds_read_b32 v4, v12 offset:2048
	s_or_b64 exec, exec, s[12:13]
	s_and_saveexec_b64 s[12:13], s[10:11]
	s_cbranch_execz .LBB103_161
.LBB103_175:
	ds_read_b32 v2, v12 offset:2052
	s_or_b64 exec, exec, s[12:13]
	s_and_saveexec_b64 s[18:19], s[0:1]
	s_cbranch_execz .LBB103_162
.LBB103_176:
	s_waitcnt lgkmcnt(0)
	ds_bpermute_b32 v13, v6, v4
	ds_bpermute_b32 v14, v6, v2
	s_waitcnt lgkmcnt(1)
	v_max_u32_e32 v15, v13, v4
	v_cmp_gt_u32_e64 s[12:13], v13, v4
	ds_bpermute_b32 v16, v7, v15
	s_waitcnt lgkmcnt(1)
	v_cndmask_b32_e64 v2, v2, v14, s[12:13]
	ds_bpermute_b32 v4, v7, v2
	s_waitcnt lgkmcnt(1)
	v_max_u32_e32 v13, v16, v15
	v_cmp_gt_u32_e64 s[12:13], v16, v15
	ds_bpermute_b32 v14, v8, v13
	s_waitcnt lgkmcnt(1)
	v_cndmask_b32_e64 v2, v2, v4, s[12:13]
	;; [unrolled: 7-line block ×4, first 2 shown]
	ds_bpermute_b32 v4, v10, v2
	s_waitcnt lgkmcnt(1)
	v_max_u32_e32 v15, v14, v13
	v_cmp_gt_u32_e64 s[12:13], v14, v13
	s_waitcnt lgkmcnt(0)
	v_cndmask_b32_e64 v2, v2, v4, s[12:13]
	ds_bpermute_b32 v4, v11, v15
	ds_bpermute_b32 v13, v11, v2
	s_waitcnt lgkmcnt(1)
	v_cmp_gt_u32_e64 s[12:13], v4, v15
	s_waitcnt lgkmcnt(0)
	v_cndmask_b32_e64 v2, v2, v13, s[12:13]
	s_or_b64 exec, exec, s[18:19]
	s_and_saveexec_b64 s[12:13], vcc
	s_cbranch_execnz .LBB103_163
	s_branch .LBB103_164
.LBB103_177:
	v_lshlrev_b32_e32 v0, 2, v5
	v_sub_u32_e32 v0, v12, v0
	ds_read_b32 v0, v0
	s_or_b64 exec, exec, s[2:3]
	s_and_saveexec_b64 s[2:3], s[0:1]
	s_cbranch_execz .LBB103_172
.LBB103_178:
	s_waitcnt lgkmcnt(0)
	ds_bpermute_b32 v1, v6, v0
	s_waitcnt lgkmcnt(0)
	v_max_u32_e32 v0, v1, v0
	ds_bpermute_b32 v1, v7, v0
	s_waitcnt lgkmcnt(0)
	v_max_u32_e32 v0, v1, v0
	;; [unrolled: 3-line block ×6, first 2 shown]
	s_or_b64 exec, exec, s[2:3]
	s_and_saveexec_b64 s[0:1], vcc
	s_cbranch_execz .LBB103_173
.LBB103_179:
	s_load_dword s2, s[4:5], 0xd8
	s_load_dwordx2 s[0:1], s[4:5], 0xe0
	s_add_u32 s4, s4, 8
	s_addc_u32 s5, s5, 0
	s_mov_b32 s3, 0
	s_waitcnt lgkmcnt(0)
	s_cmp_lt_i32 s2, 2
	s_cbranch_scc1 .LBB103_182
; %bb.180:
	s_add_i32 s8, s2, 1
	s_add_i32 s2, s2, -1
	s_lshl_b64 s[6:7], s[2:3], 2
	s_add_u32 s2, s4, s6
	s_addc_u32 s7, s5, s7
	s_add_u32 s6, s2, 8
	s_addc_u32 s7, s7, 0
.LBB103_181:                            ; =>This Inner Loop Header: Depth=1
	s_load_dword s2, s[6:7], 0x0
	s_load_dword s10, s[6:7], 0x64
	s_mov_b32 s9, s20
	s_waitcnt lgkmcnt(0)
	v_cvt_f32_u32_e32 v1, s2
	s_sub_i32 s11, 0, s2
	v_rcp_iflag_f32_e32 v1, v1
	v_mul_f32_e32 v1, 0x4f7ffffe, v1
	v_cvt_u32_f32_e32 v1, v1
	v_readfirstlane_b32 s12, v1
	s_mul_i32 s11, s11, s12
	s_mul_hi_u32 s11, s12, s11
	s_add_i32 s12, s12, s11
	s_mul_hi_u32 s11, s20, s12
	s_mul_i32 s12, s11, s2
	s_sub_i32 s12, s20, s12
	s_add_i32 s13, s11, 1
	s_sub_i32 s14, s12, s2
	s_cmp_ge_u32 s12, s2
	s_cselect_b32 s11, s13, s11
	s_cselect_b32 s12, s14, s12
	s_add_i32 s13, s11, 1
	s_cmp_ge_u32 s12, s2
	s_cselect_b32 s20, s13, s11
	s_mul_i32 s2, s20, s2
	s_sub_i32 s2, s9, s2
	s_mul_i32 s2, s10, s2
	s_add_i32 s8, s8, -1
	s_add_i32 s3, s2, s3
	s_add_u32 s6, s6, -4
	s_addc_u32 s7, s7, -1
	s_cmp_gt_u32 s8, 2
	s_cbranch_scc1 .LBB103_181
.LBB103_182:
	s_load_dword s2, s[4:5], 0x6c
	v_mov_b32_e32 v1, 0
	s_load_dwordx2 s[4:5], s[4:5], 0x0
	ds_read_u16 v2, v1
	s_mov_b32 s7, 0
	s_waitcnt lgkmcnt(0)
	s_mul_i32 s2, s2, s20
	s_add_i32 s6, s2, s3
	s_lshl_b64 s[2:3], s[6:7], 1
	s_add_u32 s2, s4, s2
	s_addc_u32 s3, s5, s3
	global_store_short v1, v2, s[2:3]
	s_lshl_b64 s[2:3], s[6:7], 3
	s_add_u32 s0, s0, s2
	s_addc_u32 s1, s1, s3
	global_store_dwordx2 v1, v[0:1], s[0:1]
	s_endpgm
	.section	.rodata,"a",@progbits
	.p2align	6, 0x0
	.amdhsa_kernel _ZN2at6native12compute_modeIN3c104HalfELj1024EEEvPKT_NS_4cuda6detail10TensorInfoIS4_jEENS9_IljEEll
		.amdhsa_group_segment_fixed_size 2
		.amdhsa_private_segment_fixed_size 0
		.amdhsa_kernarg_size 712
		.amdhsa_user_sgpr_count 6
		.amdhsa_user_sgpr_private_segment_buffer 1
		.amdhsa_user_sgpr_dispatch_ptr 0
		.amdhsa_user_sgpr_queue_ptr 0
		.amdhsa_user_sgpr_kernarg_segment_ptr 1
		.amdhsa_user_sgpr_dispatch_id 0
		.amdhsa_user_sgpr_flat_scratch_init 0
		.amdhsa_user_sgpr_private_segment_size 0
		.amdhsa_uses_dynamic_stack 0
		.amdhsa_system_sgpr_private_segment_wavefront_offset 0
		.amdhsa_system_sgpr_workgroup_id_x 1
		.amdhsa_system_sgpr_workgroup_id_y 1
		.amdhsa_system_sgpr_workgroup_id_z 1
		.amdhsa_system_sgpr_workgroup_info 0
		.amdhsa_system_vgpr_workitem_id 0
		.amdhsa_next_free_vgpr 37
		.amdhsa_next_free_sgpr 22
		.amdhsa_reserve_vcc 1
		.amdhsa_reserve_flat_scratch 0
		.amdhsa_float_round_mode_32 0
		.amdhsa_float_round_mode_16_64 0
		.amdhsa_float_denorm_mode_32 3
		.amdhsa_float_denorm_mode_16_64 3
		.amdhsa_dx10_clamp 1
		.amdhsa_ieee_mode 1
		.amdhsa_fp16_overflow 0
		.amdhsa_exception_fp_ieee_invalid_op 0
		.amdhsa_exception_fp_denorm_src 0
		.amdhsa_exception_fp_ieee_div_zero 0
		.amdhsa_exception_fp_ieee_overflow 0
		.amdhsa_exception_fp_ieee_underflow 0
		.amdhsa_exception_fp_ieee_inexact 0
		.amdhsa_exception_int_div_zero 0
	.end_amdhsa_kernel
	.section	.text._ZN2at6native12compute_modeIN3c104HalfELj1024EEEvPKT_NS_4cuda6detail10TensorInfoIS4_jEENS9_IljEEll,"axG",@progbits,_ZN2at6native12compute_modeIN3c104HalfELj1024EEEvPKT_NS_4cuda6detail10TensorInfoIS4_jEENS9_IljEEll,comdat
.Lfunc_end103:
	.size	_ZN2at6native12compute_modeIN3c104HalfELj1024EEEvPKT_NS_4cuda6detail10TensorInfoIS4_jEENS9_IljEEll, .Lfunc_end103-_ZN2at6native12compute_modeIN3c104HalfELj1024EEEvPKT_NS_4cuda6detail10TensorInfoIS4_jEENS9_IljEEll
                                        ; -- End function
	.set _ZN2at6native12compute_modeIN3c104HalfELj1024EEEvPKT_NS_4cuda6detail10TensorInfoIS4_jEENS9_IljEEll.num_vgpr, 37
	.set _ZN2at6native12compute_modeIN3c104HalfELj1024EEEvPKT_NS_4cuda6detail10TensorInfoIS4_jEENS9_IljEEll.num_agpr, 0
	.set _ZN2at6native12compute_modeIN3c104HalfELj1024EEEvPKT_NS_4cuda6detail10TensorInfoIS4_jEENS9_IljEEll.numbered_sgpr, 22
	.set _ZN2at6native12compute_modeIN3c104HalfELj1024EEEvPKT_NS_4cuda6detail10TensorInfoIS4_jEENS9_IljEEll.num_named_barrier, 0
	.set _ZN2at6native12compute_modeIN3c104HalfELj1024EEEvPKT_NS_4cuda6detail10TensorInfoIS4_jEENS9_IljEEll.private_seg_size, 0
	.set _ZN2at6native12compute_modeIN3c104HalfELj1024EEEvPKT_NS_4cuda6detail10TensorInfoIS4_jEENS9_IljEEll.uses_vcc, 1
	.set _ZN2at6native12compute_modeIN3c104HalfELj1024EEEvPKT_NS_4cuda6detail10TensorInfoIS4_jEENS9_IljEEll.uses_flat_scratch, 0
	.set _ZN2at6native12compute_modeIN3c104HalfELj1024EEEvPKT_NS_4cuda6detail10TensorInfoIS4_jEENS9_IljEEll.has_dyn_sized_stack, 0
	.set _ZN2at6native12compute_modeIN3c104HalfELj1024EEEvPKT_NS_4cuda6detail10TensorInfoIS4_jEENS9_IljEEll.has_recursion, 0
	.set _ZN2at6native12compute_modeIN3c104HalfELj1024EEEvPKT_NS_4cuda6detail10TensorInfoIS4_jEENS9_IljEEll.has_indirect_call, 0
	.section	.AMDGPU.csdata,"",@progbits
; Kernel info:
; codeLenInByte = 13152
; TotalNumSgprs: 26
; NumVgprs: 37
; ScratchSize: 0
; MemoryBound: 0
; FloatMode: 240
; IeeeMode: 1
; LDSByteSize: 2 bytes/workgroup (compile time only)
; SGPRBlocks: 3
; VGPRBlocks: 9
; NumSGPRsForWavesPerEU: 26
; NumVGPRsForWavesPerEU: 37
; Occupancy: 6
; WaveLimiterHint : 1
; COMPUTE_PGM_RSRC2:SCRATCH_EN: 0
; COMPUTE_PGM_RSRC2:USER_SGPR: 6
; COMPUTE_PGM_RSRC2:TRAP_HANDLER: 0
; COMPUTE_PGM_RSRC2:TGID_X_EN: 1
; COMPUTE_PGM_RSRC2:TGID_Y_EN: 1
; COMPUTE_PGM_RSRC2:TGID_Z_EN: 1
; COMPUTE_PGM_RSRC2:TIDIG_COMP_CNT: 0
	.section	.text._ZN2at6native12compute_modeIN3c104HalfELj128EEEvPKT_NS_4cuda6detail10TensorInfoIS4_jEENS9_IljEEll,"axG",@progbits,_ZN2at6native12compute_modeIN3c104HalfELj128EEEvPKT_NS_4cuda6detail10TensorInfoIS4_jEENS9_IljEEll,comdat
	.protected	_ZN2at6native12compute_modeIN3c104HalfELj128EEEvPKT_NS_4cuda6detail10TensorInfoIS4_jEENS9_IljEEll ; -- Begin function _ZN2at6native12compute_modeIN3c104HalfELj128EEEvPKT_NS_4cuda6detail10TensorInfoIS4_jEENS9_IljEEll
	.globl	_ZN2at6native12compute_modeIN3c104HalfELj128EEEvPKT_NS_4cuda6detail10TensorInfoIS4_jEENS9_IljEEll
	.p2align	8
	.type	_ZN2at6native12compute_modeIN3c104HalfELj128EEEvPKT_NS_4cuda6detail10TensorInfoIS4_jEENS9_IljEEll,@function
_ZN2at6native12compute_modeIN3c104HalfELj128EEEvPKT_NS_4cuda6detail10TensorInfoIS4_jEENS9_IljEEll: ; @_ZN2at6native12compute_modeIN3c104HalfELj128EEEvPKT_NS_4cuda6detail10TensorInfoIS4_jEENS9_IljEEll
; %bb.0:
	s_load_dwordx2 s[2:3], s[4:5], 0x1c8
	s_load_dwordx4 s[16:19], s[4:5], 0x1b8
	s_add_u32 s0, s4, 0x1c8
	s_addc_u32 s1, s5, 0
	v_mov_b32_e32 v2, 0
	s_waitcnt lgkmcnt(0)
	s_mul_i32 s3, s3, s8
	s_add_i32 s3, s3, s7
	s_mul_i32 s2, s3, s2
	s_add_i32 s20, s2, s6
	v_mov_b32_e32 v1, s20
	v_cmp_le_i64_e32 vcc, s[18:19], v[1:2]
	s_cbranch_vccnz .LBB104_107
; %bb.1:
	s_load_dwordx2 s[14:15], s[4:5], 0x0
	s_load_dword s6, s[0:1], 0xc
	v_mov_b32_e32 v1, v2
	v_cmp_gt_i64_e32 vcc, s[16:17], v[0:1]
	s_mul_i32 s21, s20, s16
	s_and_saveexec_b64 s[2:3], vcc
	s_cbranch_execz .LBB104_3
; %bb.2:
	v_add_u32_e32 v1, s21, v0
	v_lshlrev_b64 v[3:4], 1, v[1:2]
	s_waitcnt lgkmcnt(0)
	v_mov_b32_e32 v1, s15
	v_add_co_u32_e64 v3, s[0:1], s14, v3
	v_addc_co_u32_e64 v4, s[0:1], v1, v4, s[0:1]
	global_load_ushort v1, v[3:4], off
	v_lshl_add_u32 v3, v0, 1, 2
	s_waitcnt vmcnt(0)
	ds_write_b16 v3, v1
.LBB104_3:
	s_or_b64 exec, exec, s[2:3]
	s_waitcnt lgkmcnt(0)
	s_and_b32 s18, 0xffff, s6
	v_add_u32_e32 v1, s18, v0
	v_cmp_gt_i64_e64 s[0:1], s[16:17], v[1:2]
	s_and_saveexec_b64 s[6:7], s[0:1]
	s_cbranch_execz .LBB104_5
; %bb.4:
	v_add_u32_e32 v2, s21, v1
	v_mov_b32_e32 v3, 0
	v_lshlrev_b64 v[2:3], 1, v[2:3]
	v_mov_b32_e32 v4, s15
	v_add_co_u32_e64 v2, s[2:3], s14, v2
	v_addc_co_u32_e64 v3, s[2:3], v4, v3, s[2:3]
	global_load_ushort v2, v[2:3], off
	v_lshl_add_u32 v1, v1, 1, 2
	s_waitcnt vmcnt(0)
	ds_write_b16 v1, v2
.LBB104_5:
	s_or_b64 exec, exec, s[6:7]
	v_add_u32_e32 v2, 2, v0
	v_cndmask_b32_e64 v1, 0, 1, vcc
	ds_write_b8 v2, v1 offset:256
	v_add_u32_e32 v1, s18, v2
	v_cndmask_b32_e64 v3, 0, 1, s[0:1]
	ds_write_b8 v1, v3 offset:256
	v_lshlrev_b32_e32 v1, 1, v0
	v_mad_u32_u24 v3, v0, 3, v2
	s_waitcnt lgkmcnt(0)
	s_barrier
	s_barrier
	v_sub_u32_e32 v2, v3, v1
	ds_read_b32 v6, v3
	ds_read_u8 v5, v2 offset:256
	ds_read_u8 v7, v2 offset:257
	v_and_b32_e32 v4, 1, v0
	s_waitcnt lgkmcnt(2)
	v_cmp_lt_f16_sdwa s[2:3], v6, v6 src0_sel:DWORD src1_sel:WORD_1
	s_waitcnt lgkmcnt(1)
	v_and_b32_e32 v8, 1, v5
	v_cmp_eq_u32_e32 vcc, 1, v8
	s_waitcnt lgkmcnt(0)
	v_cmp_ne_u16_e64 s[0:1], v7, v4
	v_cndmask_b32_e64 v8, 0, 1, s[0:1]
	s_and_b64 vcc, s[2:3], vcc
	v_cndmask_b32_e32 v8, v8, v0, vcc
	v_and_b32_e32 v8, 1, v8
	v_cmp_eq_u32_e32 vcc, 1, v8
	s_and_saveexec_b64 s[0:1], vcc
	s_cbranch_execz .LBB104_7
; %bb.6:
	v_alignbit_b32 v6, v6, v6, 16
	ds_write_b32 v3, v6
	ds_write_b8 v2, v7 offset:256
	ds_write_b8 v2, v5 offset:257
.LBB104_7:
	s_or_b64 exec, exec, s[0:1]
	v_sub_u32_e32 v7, v1, v4
	v_lshl_add_u32 v6, v7, 1, 2
	v_add_u32_e32 v4, 2, v7
	s_waitcnt lgkmcnt(0)
	s_barrier
	v_add_u32_e32 v7, v4, v7
	ds_read_u16 v8, v6
	ds_read_u16 v10, v7 offset:4
	ds_read_u8 v9, v4 offset:256
	ds_read_u8 v11, v4 offset:258
	v_bfe_u32 v12, v0, 1, 1
	v_and_b32_e32 v5, 2, v0
	s_waitcnt lgkmcnt(2)
	v_cmp_lt_f16_e64 s[0:1], v8, v10
	s_waitcnt lgkmcnt(1)
	v_and_b32_e32 v13, 1, v9
	v_cmp_eq_u32_e64 s[2:3], 1, v13
	s_waitcnt lgkmcnt(0)
	v_cmp_ne_u16_e64 s[6:7], v11, v12
	v_cndmask_b32_e64 v13, 0, 1, s[6:7]
	s_and_b64 s[0:1], s[0:1], s[2:3]
	v_cndmask_b32_e64 v12, v13, v12, s[0:1]
	v_and_b32_e32 v12, 1, v12
	v_cmp_ne_u32_e32 vcc, 0, v5
	v_cmp_eq_u32_e64 s[0:1], 1, v12
	s_and_saveexec_b64 s[2:3], s[0:1]
	s_xor_b64 s[0:1], exec, s[2:3]
	s_cbranch_execz .LBB104_9
; %bb.8:
	ds_write_b16 v6, v10
	ds_write_b16 v7, v8 offset:4
	ds_write_b8 v4, v11 offset:256
	ds_write_b8 v4, v9 offset:258
.LBB104_9:
	s_or_b64 exec, exec, s[0:1]
	s_waitcnt lgkmcnt(0)
	s_barrier
	ds_read_b32 v9, v3
	ds_read_u8 v8, v2 offset:256
	ds_read_u8 v10, v2 offset:257
	v_lshrrev_b32_e32 v5, 1, v5
	s_waitcnt lgkmcnt(2)
	v_cmp_lt_f16_sdwa s[6:7], v9, v9 src0_sel:DWORD src1_sel:WORD_1
	s_waitcnt lgkmcnt(1)
	v_and_b32_e32 v11, 1, v8
	v_cmp_eq_u32_e64 s[0:1], 1, v11
	s_waitcnt lgkmcnt(0)
	v_cmp_ne_u16_e64 s[2:3], v10, v5
	v_cndmask_b32_e64 v5, 0, 1, s[2:3]
	v_cndmask_b32_e64 v11, 0, 1, vcc
	s_and_b64 vcc, s[6:7], s[0:1]
	v_cndmask_b32_e32 v5, v5, v11, vcc
	v_and_b32_e32 v5, 1, v5
	v_cmp_eq_u32_e32 vcc, 1, v5
	s_and_saveexec_b64 s[0:1], vcc
	s_cbranch_execz .LBB104_11
; %bb.10:
	v_alignbit_b32 v5, v9, v9, 16
	ds_write_b32 v3, v5
	ds_write_b8 v2, v10 offset:256
	ds_write_b8 v2, v8 offset:257
.LBB104_11:
	s_or_b64 exec, exec, s[0:1]
	v_and_b32_e32 v8, 3, v0
	v_sub_u32_e32 v10, v1, v8
	v_lshl_add_u32 v9, v10, 1, 2
	v_add_u32_e32 v8, 2, v10
	s_waitcnt lgkmcnt(0)
	s_barrier
	v_add_u32_e32 v10, v8, v10
	ds_read_u16 v11, v9
	ds_read_u16 v13, v10 offset:8
	ds_read_u8 v12, v8 offset:256
	ds_read_u8 v14, v8 offset:260
	v_bfe_u32 v15, v0, 2, 1
	v_and_b32_e32 v5, 4, v0
	s_waitcnt lgkmcnt(2)
	v_cmp_lt_f16_e64 s[0:1], v11, v13
	s_waitcnt lgkmcnt(1)
	v_and_b32_e32 v16, 1, v12
	v_cmp_eq_u32_e64 s[2:3], 1, v16
	s_waitcnt lgkmcnt(0)
	v_cmp_ne_u16_e64 s[6:7], v14, v15
	v_cndmask_b32_e64 v16, 0, 1, s[6:7]
	s_and_b64 s[0:1], s[0:1], s[2:3]
	v_cndmask_b32_e64 v15, v16, v15, s[0:1]
	v_and_b32_e32 v15, 1, v15
	v_cmp_ne_u32_e32 vcc, 0, v5
	v_cmp_eq_u32_e64 s[0:1], 1, v15
	s_and_saveexec_b64 s[2:3], s[0:1]
	s_cbranch_execz .LBB104_13
; %bb.12:
	ds_write_b16 v9, v13
	ds_write_b16 v10, v11 offset:8
	ds_write_b8 v8, v14 offset:256
	ds_write_b8 v8, v12 offset:260
.LBB104_13:
	s_or_b64 exec, exec, s[2:3]
	s_waitcnt lgkmcnt(0)
	s_barrier
	ds_read_u16 v12, v6
	ds_read_u16 v14, v7 offset:4
	ds_read_u8 v13, v4 offset:256
	ds_read_u8 v15, v4 offset:258
	v_lshrrev_b32_e32 v5, 2, v5
	s_waitcnt lgkmcnt(2)
	v_cmp_lt_f16_e64 s[0:1], v12, v14
	s_waitcnt lgkmcnt(1)
	v_and_b32_e32 v11, 1, v13
	v_cmp_eq_u32_e64 s[2:3], 1, v11
	s_waitcnt lgkmcnt(0)
	v_cmp_ne_u16_e64 s[6:7], v15, v5
	v_cndmask_b32_e64 v16, 0, 1, s[6:7]
	v_cndmask_b32_e64 v11, 0, 1, vcc
	s_and_b64 vcc, s[0:1], s[2:3]
	v_cndmask_b32_e32 v16, v16, v11, vcc
	v_and_b32_e32 v16, 1, v16
	v_cmp_eq_u32_e32 vcc, 1, v16
	s_and_saveexec_b64 s[0:1], vcc
	s_cbranch_execz .LBB104_15
; %bb.14:
	ds_write_b16 v6, v14
	ds_write_b16 v7, v12 offset:4
	ds_write_b8 v4, v15 offset:256
	ds_write_b8 v4, v13 offset:258
.LBB104_15:
	s_or_b64 exec, exec, s[0:1]
	s_waitcnt lgkmcnt(0)
	s_barrier
	ds_read_b32 v13, v3
	ds_read_u8 v12, v2 offset:256
	ds_read_u8 v14, v2 offset:257
	s_waitcnt lgkmcnt(2)
	v_cmp_lt_f16_sdwa s[2:3], v13, v13 src0_sel:DWORD src1_sel:WORD_1
	s_waitcnt lgkmcnt(1)
	v_and_b32_e32 v15, 1, v12
	v_cmp_eq_u32_e32 vcc, 1, v15
	s_waitcnt lgkmcnt(0)
	v_cmp_ne_u16_e64 s[0:1], v14, v5
	v_cndmask_b32_e64 v5, 0, 1, s[0:1]
	s_and_b64 vcc, s[2:3], vcc
	v_cndmask_b32_e32 v5, v5, v11, vcc
	v_and_b32_e32 v5, 1, v5
	v_cmp_eq_u32_e32 vcc, 1, v5
	s_and_saveexec_b64 s[0:1], vcc
	s_cbranch_execz .LBB104_17
; %bb.16:
	v_alignbit_b32 v5, v13, v13, 16
	ds_write_b32 v3, v5
	ds_write_b8 v2, v14 offset:256
	ds_write_b8 v2, v12 offset:257
.LBB104_17:
	s_or_b64 exec, exec, s[0:1]
	v_and_b32_e32 v11, 7, v0
	v_sub_u32_e32 v13, v1, v11
	v_lshl_add_u32 v12, v13, 1, 2
	v_add_u32_e32 v11, 2, v13
	s_waitcnt lgkmcnt(0)
	s_barrier
	v_add_u32_e32 v13, v11, v13
	ds_read_u16 v14, v12
	ds_read_u16 v16, v13 offset:16
	ds_read_u8 v15, v11 offset:256
	ds_read_u8 v17, v11 offset:264
	v_bfe_u32 v18, v0, 3, 1
	v_and_b32_e32 v5, 8, v0
	s_waitcnt lgkmcnt(2)
	v_cmp_lt_f16_e64 s[0:1], v14, v16
	s_waitcnt lgkmcnt(1)
	v_and_b32_e32 v19, 1, v15
	v_cmp_eq_u32_e64 s[2:3], 1, v19
	s_waitcnt lgkmcnt(0)
	v_cmp_ne_u16_e64 s[6:7], v17, v18
	v_cndmask_b32_e64 v19, 0, 1, s[6:7]
	s_and_b64 s[0:1], s[0:1], s[2:3]
	v_cndmask_b32_e64 v18, v19, v18, s[0:1]
	v_and_b32_e32 v18, 1, v18
	v_cmp_ne_u32_e32 vcc, 0, v5
	v_cmp_eq_u32_e64 s[0:1], 1, v18
	s_and_saveexec_b64 s[2:3], s[0:1]
	s_cbranch_execz .LBB104_19
; %bb.18:
	ds_write_b16 v12, v16
	ds_write_b16 v13, v14 offset:16
	ds_write_b8 v11, v17 offset:256
	ds_write_b8 v11, v15 offset:264
.LBB104_19:
	s_or_b64 exec, exec, s[2:3]
	s_waitcnt lgkmcnt(0)
	s_barrier
	ds_read_u16 v15, v9
	ds_read_u16 v17, v10 offset:8
	ds_read_u8 v16, v8 offset:256
	ds_read_u8 v18, v8 offset:260
	v_lshrrev_b32_e32 v5, 3, v5
	s_waitcnt lgkmcnt(2)
	v_cmp_lt_f16_e64 s[0:1], v15, v17
	s_waitcnt lgkmcnt(1)
	v_and_b32_e32 v14, 1, v16
	v_cmp_eq_u32_e64 s[2:3], 1, v14
	s_waitcnt lgkmcnt(0)
	v_cmp_ne_u16_e64 s[6:7], v18, v5
	v_cndmask_b32_e64 v19, 0, 1, s[6:7]
	v_cndmask_b32_e64 v14, 0, 1, vcc
	s_and_b64 vcc, s[0:1], s[2:3]
	v_cndmask_b32_e32 v19, v19, v14, vcc
	v_and_b32_e32 v19, 1, v19
	v_cmp_eq_u32_e32 vcc, 1, v19
	s_and_saveexec_b64 s[0:1], vcc
	s_cbranch_execz .LBB104_21
; %bb.20:
	ds_write_b16 v9, v17
	ds_write_b16 v10, v15 offset:8
	ds_write_b8 v8, v18 offset:256
	ds_write_b8 v8, v16 offset:260
.LBB104_21:
	s_or_b64 exec, exec, s[0:1]
	s_waitcnt lgkmcnt(0)
	s_barrier
	ds_read_u16 v15, v6
	ds_read_u16 v17, v7 offset:4
	ds_read_u8 v16, v4 offset:256
	ds_read_u8 v18, v4 offset:258
	s_waitcnt lgkmcnt(2)
	v_cmp_lt_f16_e32 vcc, v15, v17
	s_waitcnt lgkmcnt(1)
	v_and_b32_e32 v19, 1, v16
	v_cmp_eq_u32_e64 s[0:1], 1, v19
	s_waitcnt lgkmcnt(0)
	v_cmp_ne_u16_e64 s[2:3], v18, v5
	v_cndmask_b32_e64 v19, 0, 1, s[2:3]
	s_and_b64 vcc, vcc, s[0:1]
	v_cndmask_b32_e32 v19, v19, v14, vcc
	v_and_b32_e32 v19, 1, v19
	v_cmp_eq_u32_e32 vcc, 1, v19
	s_and_saveexec_b64 s[0:1], vcc
	s_cbranch_execz .LBB104_23
; %bb.22:
	ds_write_b16 v6, v17
	ds_write_b16 v7, v15 offset:4
	ds_write_b8 v4, v18 offset:256
	ds_write_b8 v4, v16 offset:258
.LBB104_23:
	s_or_b64 exec, exec, s[0:1]
	s_waitcnt lgkmcnt(0)
	s_barrier
	ds_read_b32 v16, v3
	ds_read_u8 v15, v2 offset:256
	ds_read_u8 v17, v2 offset:257
	s_waitcnt lgkmcnt(2)
	v_cmp_lt_f16_sdwa s[2:3], v16, v16 src0_sel:DWORD src1_sel:WORD_1
	s_waitcnt lgkmcnt(1)
	v_and_b32_e32 v18, 1, v15
	v_cmp_eq_u32_e32 vcc, 1, v18
	s_waitcnt lgkmcnt(0)
	v_cmp_ne_u16_e64 s[0:1], v17, v5
	v_cndmask_b32_e64 v5, 0, 1, s[0:1]
	s_and_b64 vcc, s[2:3], vcc
	v_cndmask_b32_e32 v5, v5, v14, vcc
	v_and_b32_e32 v5, 1, v5
	v_cmp_eq_u32_e32 vcc, 1, v5
	s_and_saveexec_b64 s[0:1], vcc
	s_cbranch_execz .LBB104_25
; %bb.24:
	v_alignbit_b32 v5, v16, v16, 16
	ds_write_b32 v3, v5
	ds_write_b8 v2, v17 offset:256
	ds_write_b8 v2, v15 offset:257
.LBB104_25:
	s_or_b64 exec, exec, s[0:1]
	v_and_b32_e32 v14, 15, v0
	v_sub_u32_e32 v16, v1, v14
	v_lshl_add_u32 v15, v16, 1, 2
	v_add_u32_e32 v14, 2, v16
	s_waitcnt lgkmcnt(0)
	s_barrier
	v_add_u32_e32 v16, v14, v16
	ds_read_u16 v17, v15
	ds_read_u16 v19, v16 offset:32
	ds_read_u8 v18, v14 offset:256
	ds_read_u8 v20, v14 offset:272
	v_bfe_u32 v21, v0, 4, 1
	v_and_b32_e32 v5, 16, v0
	s_waitcnt lgkmcnt(2)
	v_cmp_lt_f16_e64 s[0:1], v17, v19
	s_waitcnt lgkmcnt(1)
	v_and_b32_e32 v22, 1, v18
	v_cmp_eq_u32_e64 s[2:3], 1, v22
	s_waitcnt lgkmcnt(0)
	v_cmp_ne_u16_e64 s[6:7], v20, v21
	v_cndmask_b32_e64 v22, 0, 1, s[6:7]
	s_and_b64 s[0:1], s[0:1], s[2:3]
	v_cndmask_b32_e64 v21, v22, v21, s[0:1]
	v_and_b32_e32 v21, 1, v21
	v_cmp_ne_u32_e32 vcc, 0, v5
	v_cmp_eq_u32_e64 s[0:1], 1, v21
	s_and_saveexec_b64 s[2:3], s[0:1]
	s_cbranch_execz .LBB104_27
; %bb.26:
	ds_write_b16 v15, v19
	ds_write_b16 v16, v17 offset:32
	ds_write_b8 v14, v20 offset:256
	ds_write_b8 v14, v18 offset:272
.LBB104_27:
	s_or_b64 exec, exec, s[2:3]
	s_waitcnt lgkmcnt(0)
	s_barrier
	ds_read_u16 v18, v12
	ds_read_u16 v20, v13 offset:16
	ds_read_u8 v19, v11 offset:256
	ds_read_u8 v21, v11 offset:264
	v_lshrrev_b32_e32 v5, 4, v5
	s_waitcnt lgkmcnt(2)
	v_cmp_lt_f16_e64 s[0:1], v18, v20
	s_waitcnt lgkmcnt(1)
	v_and_b32_e32 v17, 1, v19
	v_cmp_eq_u32_e64 s[2:3], 1, v17
	s_waitcnt lgkmcnt(0)
	v_cmp_ne_u16_e64 s[6:7], v21, v5
	v_cndmask_b32_e64 v22, 0, 1, s[6:7]
	v_cndmask_b32_e64 v17, 0, 1, vcc
	s_and_b64 vcc, s[0:1], s[2:3]
	v_cndmask_b32_e32 v22, v22, v17, vcc
	v_and_b32_e32 v22, 1, v22
	v_cmp_eq_u32_e32 vcc, 1, v22
	s_and_saveexec_b64 s[0:1], vcc
	s_cbranch_execz .LBB104_29
; %bb.28:
	ds_write_b16 v12, v20
	ds_write_b16 v13, v18 offset:16
	ds_write_b8 v11, v21 offset:256
	ds_write_b8 v11, v19 offset:264
.LBB104_29:
	s_or_b64 exec, exec, s[0:1]
	s_waitcnt lgkmcnt(0)
	s_barrier
	ds_read_u16 v18, v9
	ds_read_u16 v20, v10 offset:8
	ds_read_u8 v19, v8 offset:256
	ds_read_u8 v21, v8 offset:260
	s_waitcnt lgkmcnt(2)
	v_cmp_lt_f16_e32 vcc, v18, v20
	s_waitcnt lgkmcnt(1)
	v_and_b32_e32 v22, 1, v19
	v_cmp_eq_u32_e64 s[0:1], 1, v22
	s_waitcnt lgkmcnt(0)
	v_cmp_ne_u16_e64 s[2:3], v21, v5
	v_cndmask_b32_e64 v22, 0, 1, s[2:3]
	s_and_b64 vcc, vcc, s[0:1]
	v_cndmask_b32_e32 v22, v22, v17, vcc
	v_and_b32_e32 v22, 1, v22
	v_cmp_eq_u32_e32 vcc, 1, v22
	s_and_saveexec_b64 s[0:1], vcc
	s_cbranch_execz .LBB104_31
; %bb.30:
	ds_write_b16 v9, v20
	ds_write_b16 v10, v18 offset:8
	ds_write_b8 v8, v21 offset:256
	ds_write_b8 v8, v19 offset:260
.LBB104_31:
	s_or_b64 exec, exec, s[0:1]
	s_waitcnt lgkmcnt(0)
	s_barrier
	ds_read_u16 v18, v6
	ds_read_u16 v20, v7 offset:4
	ds_read_u8 v19, v4 offset:256
	ds_read_u8 v21, v4 offset:258
	s_waitcnt lgkmcnt(2)
	v_cmp_lt_f16_e32 vcc, v18, v20
	s_waitcnt lgkmcnt(1)
	v_and_b32_e32 v22, 1, v19
	v_cmp_eq_u32_e64 s[0:1], 1, v22
	s_waitcnt lgkmcnt(0)
	v_cmp_ne_u16_e64 s[2:3], v21, v5
	v_cndmask_b32_e64 v22, 0, 1, s[2:3]
	s_and_b64 vcc, vcc, s[0:1]
	v_cndmask_b32_e32 v22, v22, v17, vcc
	v_and_b32_e32 v22, 1, v22
	v_cmp_eq_u32_e32 vcc, 1, v22
	s_and_saveexec_b64 s[0:1], vcc
	s_cbranch_execz .LBB104_33
; %bb.32:
	ds_write_b16 v6, v20
	ds_write_b16 v7, v18 offset:4
	ds_write_b8 v4, v21 offset:256
	ds_write_b8 v4, v19 offset:258
.LBB104_33:
	s_or_b64 exec, exec, s[0:1]
	s_waitcnt lgkmcnt(0)
	s_barrier
	ds_read_b32 v19, v3
	ds_read_u8 v18, v2 offset:256
	ds_read_u8 v20, v2 offset:257
	s_waitcnt lgkmcnt(2)
	v_cmp_lt_f16_sdwa s[2:3], v19, v19 src0_sel:DWORD src1_sel:WORD_1
	s_waitcnt lgkmcnt(1)
	v_and_b32_e32 v21, 1, v18
	v_cmp_eq_u32_e32 vcc, 1, v21
	s_waitcnt lgkmcnt(0)
	v_cmp_ne_u16_e64 s[0:1], v20, v5
	v_cndmask_b32_e64 v5, 0, 1, s[0:1]
	s_and_b64 vcc, s[2:3], vcc
	v_cndmask_b32_e32 v5, v5, v17, vcc
	v_and_b32_e32 v5, 1, v5
	v_cmp_eq_u32_e32 vcc, 1, v5
	s_and_saveexec_b64 s[0:1], vcc
	s_cbranch_execz .LBB104_35
; %bb.34:
	v_alignbit_b32 v5, v19, v19, 16
	ds_write_b32 v3, v5
	ds_write_b8 v2, v20 offset:256
	ds_write_b8 v2, v18 offset:257
.LBB104_35:
	s_or_b64 exec, exec, s[0:1]
	v_and_b32_e32 v17, 31, v0
	v_sub_u32_e32 v19, v1, v17
	v_lshl_add_u32 v18, v19, 1, 2
	v_add_u32_e32 v17, 2, v19
	s_waitcnt lgkmcnt(0)
	s_barrier
	v_add_u32_e32 v19, v17, v19
	ds_read_u16 v20, v18
	ds_read_u16 v22, v19 offset:64
	ds_read_u8 v21, v17 offset:256
	ds_read_u8 v23, v17 offset:288
	v_bfe_u32 v24, v0, 5, 1
	v_and_b32_e32 v5, 32, v0
	s_waitcnt lgkmcnt(2)
	v_cmp_lt_f16_e64 s[0:1], v20, v22
	s_waitcnt lgkmcnt(1)
	v_and_b32_e32 v25, 1, v21
	v_cmp_eq_u32_e64 s[2:3], 1, v25
	s_waitcnt lgkmcnt(0)
	v_cmp_ne_u16_e64 s[6:7], v23, v24
	v_cndmask_b32_e64 v25, 0, 1, s[6:7]
	s_and_b64 s[0:1], s[0:1], s[2:3]
	v_cndmask_b32_e64 v24, v25, v24, s[0:1]
	v_and_b32_e32 v24, 1, v24
	v_cmp_ne_u32_e32 vcc, 0, v5
	v_cmp_eq_u32_e64 s[0:1], 1, v24
	s_and_saveexec_b64 s[2:3], s[0:1]
	s_cbranch_execz .LBB104_37
; %bb.36:
	ds_write_b16 v18, v22
	ds_write_b16 v19, v20 offset:64
	ds_write_b8 v17, v23 offset:256
	ds_write_b8 v17, v21 offset:288
.LBB104_37:
	s_or_b64 exec, exec, s[2:3]
	s_waitcnt lgkmcnt(0)
	s_barrier
	ds_read_u16 v21, v15
	ds_read_u16 v23, v16 offset:32
	ds_read_u8 v22, v14 offset:256
	ds_read_u8 v24, v14 offset:272
	v_lshrrev_b32_e32 v5, 5, v5
	s_waitcnt lgkmcnt(2)
	v_cmp_lt_f16_e64 s[0:1], v21, v23
	s_waitcnt lgkmcnt(1)
	v_and_b32_e32 v20, 1, v22
	v_cmp_eq_u32_e64 s[2:3], 1, v20
	s_waitcnt lgkmcnt(0)
	v_cmp_ne_u16_e64 s[6:7], v24, v5
	v_cndmask_b32_e64 v25, 0, 1, s[6:7]
	v_cndmask_b32_e64 v20, 0, 1, vcc
	s_and_b64 vcc, s[0:1], s[2:3]
	v_cndmask_b32_e32 v25, v25, v20, vcc
	v_and_b32_e32 v25, 1, v25
	v_cmp_eq_u32_e32 vcc, 1, v25
	s_and_saveexec_b64 s[0:1], vcc
	s_cbranch_execz .LBB104_39
; %bb.38:
	ds_write_b16 v15, v23
	ds_write_b16 v16, v21 offset:32
	ds_write_b8 v14, v24 offset:256
	ds_write_b8 v14, v22 offset:272
.LBB104_39:
	s_or_b64 exec, exec, s[0:1]
	s_waitcnt lgkmcnt(0)
	s_barrier
	ds_read_u16 v21, v12
	ds_read_u16 v23, v13 offset:16
	ds_read_u8 v22, v11 offset:256
	ds_read_u8 v24, v11 offset:264
	s_waitcnt lgkmcnt(2)
	v_cmp_lt_f16_e32 vcc, v21, v23
	s_waitcnt lgkmcnt(1)
	v_and_b32_e32 v25, 1, v22
	v_cmp_eq_u32_e64 s[0:1], 1, v25
	s_waitcnt lgkmcnt(0)
	v_cmp_ne_u16_e64 s[2:3], v24, v5
	v_cndmask_b32_e64 v25, 0, 1, s[2:3]
	s_and_b64 vcc, vcc, s[0:1]
	v_cndmask_b32_e32 v25, v25, v20, vcc
	v_and_b32_e32 v25, 1, v25
	v_cmp_eq_u32_e32 vcc, 1, v25
	s_and_saveexec_b64 s[0:1], vcc
	s_cbranch_execz .LBB104_41
; %bb.40:
	ds_write_b16 v12, v23
	ds_write_b16 v13, v21 offset:16
	ds_write_b8 v11, v24 offset:256
	ds_write_b8 v11, v22 offset:264
.LBB104_41:
	s_or_b64 exec, exec, s[0:1]
	s_waitcnt lgkmcnt(0)
	s_barrier
	ds_read_u16 v21, v9
	ds_read_u16 v23, v10 offset:8
	ds_read_u8 v22, v8 offset:256
	ds_read_u8 v24, v8 offset:260
	s_waitcnt lgkmcnt(2)
	v_cmp_lt_f16_e32 vcc, v21, v23
	s_waitcnt lgkmcnt(1)
	v_and_b32_e32 v25, 1, v22
	v_cmp_eq_u32_e64 s[0:1], 1, v25
	s_waitcnt lgkmcnt(0)
	v_cmp_ne_u16_e64 s[2:3], v24, v5
	v_cndmask_b32_e64 v25, 0, 1, s[2:3]
	s_and_b64 vcc, vcc, s[0:1]
	v_cndmask_b32_e32 v25, v25, v20, vcc
	v_and_b32_e32 v25, 1, v25
	v_cmp_eq_u32_e32 vcc, 1, v25
	s_and_saveexec_b64 s[0:1], vcc
	s_cbranch_execz .LBB104_43
; %bb.42:
	ds_write_b16 v9, v23
	ds_write_b16 v10, v21 offset:8
	ds_write_b8 v8, v24 offset:256
	ds_write_b8 v8, v22 offset:260
.LBB104_43:
	s_or_b64 exec, exec, s[0:1]
	s_waitcnt lgkmcnt(0)
	s_barrier
	ds_read_u16 v21, v6
	ds_read_u16 v23, v7 offset:4
	ds_read_u8 v22, v4 offset:256
	ds_read_u8 v24, v4 offset:258
	s_waitcnt lgkmcnt(2)
	v_cmp_lt_f16_e32 vcc, v21, v23
	s_waitcnt lgkmcnt(1)
	v_and_b32_e32 v25, 1, v22
	v_cmp_eq_u32_e64 s[0:1], 1, v25
	s_waitcnt lgkmcnt(0)
	v_cmp_ne_u16_e64 s[2:3], v24, v5
	v_cndmask_b32_e64 v25, 0, 1, s[2:3]
	s_and_b64 vcc, vcc, s[0:1]
	v_cndmask_b32_e32 v25, v25, v20, vcc
	v_and_b32_e32 v25, 1, v25
	v_cmp_eq_u32_e32 vcc, 1, v25
	s_and_saveexec_b64 s[0:1], vcc
	s_cbranch_execz .LBB104_45
; %bb.44:
	ds_write_b16 v6, v23
	ds_write_b16 v7, v21 offset:4
	ds_write_b8 v4, v24 offset:256
	ds_write_b8 v4, v22 offset:258
.LBB104_45:
	s_or_b64 exec, exec, s[0:1]
	s_waitcnt lgkmcnt(0)
	s_barrier
	ds_read_b32 v22, v3
	ds_read_u8 v21, v2 offset:256
	ds_read_u8 v23, v2 offset:257
	s_waitcnt lgkmcnt(2)
	v_cmp_lt_f16_sdwa s[2:3], v22, v22 src0_sel:DWORD src1_sel:WORD_1
	s_waitcnt lgkmcnt(1)
	v_and_b32_e32 v24, 1, v21
	v_cmp_eq_u32_e32 vcc, 1, v24
	s_waitcnt lgkmcnt(0)
	v_cmp_ne_u16_e64 s[0:1], v23, v5
	v_cndmask_b32_e64 v5, 0, 1, s[0:1]
	s_and_b64 vcc, s[2:3], vcc
	v_cndmask_b32_e32 v5, v5, v20, vcc
	v_and_b32_e32 v5, 1, v5
	v_cmp_eq_u32_e32 vcc, 1, v5
	s_and_saveexec_b64 s[0:1], vcc
	s_cbranch_execz .LBB104_47
; %bb.46:
	v_alignbit_b32 v5, v22, v22, 16
	ds_write_b32 v3, v5
	ds_write_b8 v2, v23 offset:256
	ds_write_b8 v2, v21 offset:257
.LBB104_47:
	s_or_b64 exec, exec, s[0:1]
	v_and_b32_e32 v5, 63, v0
	v_sub_u32_e32 v21, v1, v5
	v_lshl_add_u32 v22, v21, 1, 2
	v_add_u32_e32 v20, 2, v21
	s_waitcnt lgkmcnt(0)
	s_barrier
	v_add_u32_e32 v23, v20, v21
	ds_read_u16 v24, v22
	ds_read_u16 v26, v23 offset:128
	ds_read_u8 v25, v20 offset:256
	ds_read_u8 v27, v20 offset:320
	s_waitcnt lgkmcnt(2)
	v_cmp_nlt_f16_e32 vcc, v24, v26
	s_waitcnt lgkmcnt(1)
	v_and_b32_e32 v21, 1, v25
	v_cmp_eq_u32_e64 s[0:1], 1, v21
	s_xor_b64 s[0:1], s[0:1], -1
	v_mov_b32_e32 v21, 0
	s_or_b64 s[0:1], vcc, s[0:1]
	s_waitcnt lgkmcnt(0)
	v_cmp_ne_u16_sdwa s[2:3], v27, v21 src0_sel:BYTE_0 src1_sel:DWORD
	s_and_b64 s[2:3], s[0:1], s[2:3]
	s_and_saveexec_b64 s[0:1], s[2:3]
	s_cbranch_execz .LBB104_49
; %bb.48:
	ds_write_b16 v22, v26
	ds_write_b16 v23, v24 offset:128
	v_mov_b32_e32 v22, 1
	ds_write_b8 v20, v22 offset:256
	ds_write_b8 v20, v25 offset:320
.LBB104_49:
	s_or_b64 exec, exec, s[0:1]
	s_waitcnt lgkmcnt(0)
	s_barrier
	ds_read_u16 v20, v18
	ds_read_u16 v23, v19 offset:64
	ds_read_u8 v22, v17 offset:256
	ds_read_u8 v24, v17 offset:288
	s_waitcnt lgkmcnt(2)
	v_cmp_nlt_f16_e32 vcc, v20, v23
	s_waitcnt lgkmcnt(1)
	v_and_b32_e32 v25, 1, v22
	v_cmp_eq_u32_e64 s[0:1], 1, v25
	s_xor_b64 s[0:1], s[0:1], -1
	s_or_b64 s[0:1], vcc, s[0:1]
	s_waitcnt lgkmcnt(0)
	v_cmp_ne_u16_sdwa s[2:3], v24, v21 src0_sel:BYTE_0 src1_sel:DWORD
	s_and_b64 s[2:3], s[0:1], s[2:3]
	s_and_saveexec_b64 s[0:1], s[2:3]
	s_cbranch_execz .LBB104_51
; %bb.50:
	ds_write_b16 v18, v23
	ds_write_b16 v19, v20 offset:64
	v_mov_b32_e32 v18, 1
	ds_write_b8 v17, v18 offset:256
	ds_write_b8 v17, v22 offset:288
.LBB104_51:
	s_or_b64 exec, exec, s[0:1]
	s_waitcnt lgkmcnt(0)
	s_barrier
	ds_read_u16 v18, v15
	ds_read_u16 v20, v16 offset:32
	ds_read_u8 v19, v14 offset:256
	ds_read_u8 v21, v14 offset:272
	s_waitcnt lgkmcnt(2)
	v_cmp_nlt_f16_e32 vcc, v18, v20
	s_waitcnt lgkmcnt(1)
	v_and_b32_e32 v17, 1, v19
	v_cmp_eq_u32_e64 s[0:1], 1, v17
	s_xor_b64 s[0:1], s[0:1], -1
	v_mov_b32_e32 v17, 0
	s_or_b64 s[0:1], vcc, s[0:1]
	s_waitcnt lgkmcnt(0)
	v_cmp_ne_u16_sdwa s[2:3], v21, v17 src0_sel:BYTE_0 src1_sel:DWORD
	s_and_b64 s[2:3], s[0:1], s[2:3]
	s_and_saveexec_b64 s[0:1], s[2:3]
	s_cbranch_execz .LBB104_53
; %bb.52:
	ds_write_b16 v15, v20
	ds_write_b16 v16, v18 offset:32
	v_mov_b32_e32 v15, 1
	ds_write_b8 v14, v15 offset:256
	ds_write_b8 v14, v19 offset:272
.LBB104_53:
	s_or_b64 exec, exec, s[0:1]
	s_waitcnt lgkmcnt(0)
	s_barrier
	ds_read_u16 v14, v12
	ds_read_u16 v16, v13 offset:16
	ds_read_u8 v15, v11 offset:256
	ds_read_u8 v18, v11 offset:264
	s_waitcnt lgkmcnt(2)
	v_cmp_nlt_f16_e32 vcc, v14, v16
	s_waitcnt lgkmcnt(1)
	v_and_b32_e32 v19, 1, v15
	v_cmp_eq_u32_e64 s[0:1], 1, v19
	s_xor_b64 s[0:1], s[0:1], -1
	s_or_b64 s[0:1], vcc, s[0:1]
	s_waitcnt lgkmcnt(0)
	v_cmp_ne_u16_sdwa s[2:3], v18, v17 src0_sel:BYTE_0 src1_sel:DWORD
	s_and_b64 s[2:3], s[0:1], s[2:3]
	s_and_saveexec_b64 s[0:1], s[2:3]
	s_cbranch_execz .LBB104_55
; %bb.54:
	ds_write_b16 v12, v16
	ds_write_b16 v13, v14 offset:16
	v_mov_b32_e32 v12, 1
	ds_write_b8 v11, v12 offset:256
	ds_write_b8 v11, v15 offset:264
.LBB104_55:
	s_or_b64 exec, exec, s[0:1]
	s_waitcnt lgkmcnt(0)
	s_barrier
	;; [unrolled: 53-line block ×3, first 2 shown]
	ds_read_b32 v6, v3
	ds_read_u8 v4, v2 offset:256
	ds_read_u8 v7, v2 offset:257
	s_waitcnt lgkmcnt(2)
	v_cmp_nlt_f16_sdwa s[0:1], v6, v6 src0_sel:DWORD src1_sel:WORD_1
	s_waitcnt lgkmcnt(1)
	v_and_b32_e32 v8, 1, v4
	v_cmp_eq_u32_e32 vcc, 1, v8
	s_xor_b64 s[2:3], vcc, -1
	v_mov_b32_e32 v8, 0
	s_or_b64 s[0:1], s[0:1], s[2:3]
	s_waitcnt lgkmcnt(0)
	v_cmp_ne_u16_sdwa s[2:3], v7, v8 src0_sel:BYTE_0 src1_sel:DWORD
	s_and_b64 s[2:3], s[0:1], s[2:3]
	s_and_saveexec_b64 s[0:1], s[2:3]
	s_cbranch_execz .LBB104_61
; %bb.60:
	v_alignbit_b32 v6, v6, v6, 16
	ds_write_b32 v3, v6
	v_mov_b32_e32 v6, 1
	ds_write_b8 v2, v6 offset:256
	ds_write_b8 v2, v4 offset:257
.LBB104_61:
	s_or_b64 exec, exec, s[0:1]
	v_cmp_eq_u32_e32 vcc, 0, v0
	s_waitcnt lgkmcnt(0)
	s_barrier
	s_barrier
	s_and_saveexec_b64 s[0:1], vcc
	s_cbranch_execz .LBB104_63
; %bb.62:
	v_mov_b32_e32 v4, 1
	v_mov_b32_e32 v6, 2
	ds_write_b8 v6, v4 offset:260
	v_mov_b32_e32 v4, 0
	ds_write_b32 v6, v4 offset:256
.LBB104_63:
	s_or_b64 exec, exec, s[0:1]
	ds_read_u16 v4, v3
	ds_read_u16 v3, v3 offset:2
	v_mad_u32_u24 v2, v0, 14, v2
	v_cmp_gt_u32_e64 s[2:3], 63, v0
	s_waitcnt lgkmcnt(0)
	v_cmp_neq_f16_e64 s[0:1], v4, v3
	v_cndmask_b32_e64 v6, 0, 1, s[0:1]
	v_cmp_eq_f16_e64 s[0:1], v4, v3
	v_cndmask_b32_e64 v4, 0, 1, s[0:1]
	ds_write_b8 v2, v6 offset:268
	ds_write_b32 v2, v4 offset:264
	s_and_saveexec_b64 s[6:7], s[2:3]
	s_cbranch_execz .LBB104_65
; %bb.64:
	v_mad_i32_i24 v4, v0, -12, v2
	ds_read_u16 v6, v4 offset:4
	v_mad_u32_u24 v4, v0, 12, v4
	s_waitcnt lgkmcnt(0)
	v_cmp_neq_f16_e64 s[0:1], v3, v6
	v_cndmask_b32_e64 v7, 0, 1, s[0:1]
	v_cmp_eq_f16_e64 s[0:1], v3, v6
	v_cndmask_b32_e64 v3, 0, 1, s[0:1]
	ds_write_b8 v4, v7 offset:276
	ds_write_b32 v4, v3 offset:272
.LBB104_65:
	s_or_b64 exec, exec, s[6:7]
	v_cmp_gt_u32_e64 s[0:1], 64, v0
	s_waitcnt lgkmcnt(0)
	s_barrier
	s_and_saveexec_b64 s[8:9], s[0:1]
	s_cbranch_execz .LBB104_67
; %bb.66:
	ds_read_u8 v6, v2 offset:268
	ds_read_u8 v7, v2 offset:260
	ds_read2_b32 v[3:4], v2 offset0:64 offset1:66
	s_waitcnt lgkmcnt(2)
	v_and_b32_e32 v8, 1, v6
	v_cmp_eq_u32_e64 s[6:7], 1, v8
	s_waitcnt lgkmcnt(1)
	v_or_b32_e32 v6, v7, v6
	s_waitcnt lgkmcnt(0)
	v_cndmask_b32_e64 v3, v3, 0, s[6:7]
	v_add_u32_e32 v3, v3, v4
	v_and_b32_e32 v4, 1, v6
	ds_write2_b32 v2, v3, v4 offset0:66 offset1:67
.LBB104_67:
	s_or_b64 exec, exec, s[8:9]
	v_add_u32_e32 v8, 2, v1
	v_lshlrev_b32_e32 v3, 1, v8
	v_cmp_gt_u32_e64 s[6:7], 32, v0
	v_lshl_add_u32 v3, v3, 3, 2
	s_waitcnt lgkmcnt(0)
	s_barrier
	s_and_saveexec_b64 s[8:9], s[6:7]
	s_cbranch_execz .LBB104_69
; %bb.68:
	ds_read_u8 v4, v3 offset:252
	ds_read_u8 v9, v3 offset:236
	ds_read2_b32 v[6:7], v3 offset0:58 offset1:62
	s_waitcnt lgkmcnt(2)
	v_and_b32_e32 v10, 1, v4
	v_cmp_eq_u32_e64 s[6:7], 1, v10
	s_waitcnt lgkmcnt(1)
	v_or_b32_e32 v4, v9, v4
	s_waitcnt lgkmcnt(0)
	v_cndmask_b32_e64 v6, v6, 0, s[6:7]
	v_add_u32_e32 v6, v6, v7
	v_and_b32_e32 v4, 1, v4
	ds_write2_b32 v3, v6, v4 offset0:62 offset1:63
.LBB104_69:
	s_or_b64 exec, exec, s[8:9]
	v_lshlrev_b32_e32 v4, 2, v8
	v_cmp_gt_u32_e64 s[6:7], 16, v0
	v_lshl_add_u32 v4, v4, 3, 2
	s_waitcnt lgkmcnt(0)
	s_barrier
	s_and_saveexec_b64 s[8:9], s[6:7]
	s_cbranch_execz .LBB104_71
; %bb.70:
	ds_read_u8 v9, v4 offset:252
	ds_read_u8 v10, v4 offset:220
	ds_read2_b32 v[6:7], v4 offset0:54 offset1:62
	s_waitcnt lgkmcnt(2)
	v_and_b32_e32 v11, 1, v9
	v_cmp_eq_u32_e64 s[6:7], 1, v11
	s_waitcnt lgkmcnt(1)
	v_or_b32_e32 v9, v10, v9
	s_waitcnt lgkmcnt(0)
	v_cndmask_b32_e64 v6, v6, 0, s[6:7]
	v_add_u32_e32 v6, v6, v7
	v_and_b32_e32 v7, 1, v9
	ds_write2_b32 v4, v6, v7 offset0:62 offset1:63
.LBB104_71:
	s_or_b64 exec, exec, s[8:9]
	;; [unrolled: 23-line block ×4, first 2 shown]
	v_lshlrev_b32_e32 v8, 5, v8
	v_cmp_gt_u32_e64 s[6:7], 2, v0
	v_lshl_add_u32 v8, v8, 3, 2
	s_waitcnt lgkmcnt(0)
	s_barrier
	s_and_saveexec_b64 s[8:9], s[6:7]
	s_cbranch_execz .LBB104_77
; %bb.76:
	ds_read_u8 v10, v8 offset:252
	v_add_u32_e32 v9, -8, v8
	v_add_u32_e32 v11, -4, v8
	ds_read_b32 v9, v9
	ds_read_b32 v12, v8 offset:248
	ds_read_u8 v11, v11
	s_waitcnt lgkmcnt(3)
	v_and_b32_e32 v13, 1, v10
	v_cmp_eq_u32_e64 s[6:7], 1, v13
	s_waitcnt lgkmcnt(2)
	v_cndmask_b32_e64 v9, v9, 0, s[6:7]
	s_waitcnt lgkmcnt(0)
	v_or_b32_e32 v10, v11, v10
	v_add_u32_e32 v9, v9, v12
	v_and_b32_e32 v10, 1, v10
	ds_write2_b32 v8, v9, v10 offset0:62 offset1:63
.LBB104_77:
	s_or_b64 exec, exec, s[8:9]
	s_waitcnt lgkmcnt(0)
	s_barrier
	s_and_saveexec_b64 s[8:9], vcc
	s_cbranch_execz .LBB104_79
; %bb.78:
	v_mov_b32_e32 v9, 2
	ds_read_u8 v10, v9 offset:1276
	ds_read_b32 v11, v9 offset:760
	ds_read_b32 v12, v9 offset:1272
	ds_read_u8 v9, v9 offset:764
	s_add_i32 s10, 2, 0x4f8
	s_waitcnt lgkmcnt(3)
	v_and_b32_e32 v13, 1, v10
	v_cmp_eq_u32_e64 s[6:7], 1, v13
	s_waitcnt lgkmcnt(2)
	v_cndmask_b32_e64 v11, v11, 0, s[6:7]
	s_waitcnt lgkmcnt(0)
	v_or_b32_e32 v9, v9, v10
	v_add_u32_e32 v11, v11, v12
	v_and_b32_e32 v9, 1, v9
	v_mov_b32_e32 v10, s10
	ds_write2_b32 v10, v11, v9 offset1:1
.LBB104_79:
	s_or_b64 exec, exec, s[8:9]
	s_waitcnt lgkmcnt(0)
	s_barrier
	s_and_saveexec_b64 s[8:9], vcc
	s_cbranch_execz .LBB104_81
; %bb.80:
	ds_read_u8 v11, v8 offset:508
	ds_read_u8 v12, v8 offset:252
	ds_read2_b32 v[9:10], v8 offset0:62 offset1:126
	s_waitcnt lgkmcnt(2)
	v_and_b32_e32 v13, 1, v11
	v_cmp_eq_u32_e64 s[6:7], 1, v13
	s_waitcnt lgkmcnt(1)
	v_or_b32_e32 v11, v12, v11
	s_waitcnt lgkmcnt(0)
	v_cndmask_b32_e64 v9, v9, 0, s[6:7]
	v_add_u32_e32 v9, v9, v10
	v_and_b32_e32 v10, 1, v11
	ds_write2_b32 v8, v9, v10 offset0:126 offset1:127
.LBB104_81:
	s_or_b64 exec, exec, s[8:9]
	v_cmp_gt_u32_e64 s[6:7], 3, v0
	s_waitcnt lgkmcnt(0)
	s_barrier
	s_and_saveexec_b64 s[8:9], s[6:7]
	s_cbranch_execz .LBB104_83
; %bb.82:
	ds_read_u8 v10, v7 offset:380
	ds_read_u8 v11, v7 offset:252
	ds_read2_b32 v[8:9], v7 offset0:62 offset1:94
	s_waitcnt lgkmcnt(2)
	v_and_b32_e32 v12, 1, v10
	v_cmp_eq_u32_e64 s[6:7], 1, v12
	s_waitcnt lgkmcnt(1)
	v_or_b32_e32 v10, v11, v10
	s_waitcnt lgkmcnt(0)
	v_cndmask_b32_e64 v8, v8, 0, s[6:7]
	v_add_u32_e32 v8, v8, v9
	v_and_b32_e32 v9, 1, v10
	ds_write2_b32 v7, v8, v9 offset0:94 offset1:95
.LBB104_83:
	s_or_b64 exec, exec, s[8:9]
	v_cmp_gt_u32_e64 s[6:7], 7, v0
	s_waitcnt lgkmcnt(0)
	s_barrier
	s_and_saveexec_b64 s[8:9], s[6:7]
	;; [unrolled: 21-line block ×4, first 2 shown]
	s_cbranch_execz .LBB104_89
; %bb.88:
	ds_read_u8 v4, v3 offset:268
	ds_read_u8 v8, v3 offset:252
	ds_read2_b32 v[6:7], v3 offset0:62 offset1:66
	s_waitcnt lgkmcnt(2)
	v_and_b32_e32 v9, 1, v4
	v_cmp_eq_u32_e64 s[6:7], 1, v9
	s_waitcnt lgkmcnt(1)
	v_or_b32_e32 v4, v8, v4
	s_waitcnt lgkmcnt(0)
	v_cndmask_b32_e64 v6, v6, 0, s[6:7]
	v_add_u32_e32 v6, v6, v7
	v_and_b32_e32 v4, 1, v4
	ds_write2_b32 v3, v6, v4 offset0:66 offset1:67
.LBB104_89:
	s_or_b64 exec, exec, s[8:9]
	v_lshl_add_u32 v3, v1, 3, 2
	s_waitcnt lgkmcnt(0)
	s_barrier
	s_and_saveexec_b64 s[6:7], s[2:3]
	s_cbranch_execz .LBB104_91
; %bb.90:
	ds_read_u8 v4, v3 offset:276
	ds_read_b32 v6, v2 offset:264
	ds_read_b32 v7, v3 offset:272
	ds_read_u8 v8, v2 offset:268
	s_waitcnt lgkmcnt(3)
	v_and_b32_e32 v9, 1, v4
	v_cmp_eq_u32_e64 s[2:3], 1, v9
	s_waitcnt lgkmcnt(2)
	v_cndmask_b32_e64 v6, v6, 0, s[2:3]
	s_waitcnt lgkmcnt(0)
	v_or_b32_e32 v4, v8, v4
	v_add_u32_e32 v6, v6, v7
	v_and_b32_e32 v4, 1, v4
	ds_write2_b32 v3, v6, v4 offset0:68 offset1:69
.LBB104_91:
	s_or_b64 exec, exec, s[6:7]
	s_waitcnt lgkmcnt(0)
	s_barrier
	ds_read_b32 v4, v3 offset:256
	ds_read_b32 v2, v2 offset:264
	v_or_b32_e32 v3, 1, v1
	v_cmp_gt_u32_e64 s[2:3], s16, v1
	v_cmp_gt_u32_e64 s[6:7], s16, v3
	v_mbcnt_lo_u32_b32 v6, -1, 0
	s_waitcnt lgkmcnt(1)
	v_cndmask_b32_e64 v4, 0, v4, s[2:3]
	s_waitcnt lgkmcnt(0)
	v_cndmask_b32_e64 v2, 0, v2, s[6:7]
	v_mbcnt_hi_u32_b32 v11, -1, v6
	v_mov_b32_e32 v6, 0x80
	v_cndmask_b32_e64 v7, 0, v1, s[2:3]
	v_cndmask_b32_e64 v8, 0, v3, s[6:7]
	v_max_u32_e32 v9, v2, v4
	v_lshl_or_b32 v6, v11, 2, v6
	v_cmp_gt_u32_e64 s[8:9], v2, v4
	ds_bpermute_b32 v10, v6, v9
	v_cndmask_b32_e64 v2, v7, v8, s[8:9]
	ds_bpermute_b32 v4, v6, v2
	v_and_b32_e32 v12, 63, v11
	v_cmp_gt_u32_e64 s[8:9], 48, v12
	v_cndmask_b32_e64 v7, 0, 16, s[8:9]
	s_waitcnt lgkmcnt(1)
	v_max_u32_e32 v13, v10, v9
	v_add_lshl_u32 v7, v7, v11, 2
	v_cmp_gt_u32_e64 s[8:9], v10, v9
	ds_bpermute_b32 v14, v7, v13
	s_waitcnt lgkmcnt(1)
	v_cndmask_b32_e64 v2, v2, v4, s[8:9]
	ds_bpermute_b32 v4, v7, v2
	v_cmp_gt_u32_e64 s[8:9], 56, v12
	v_cndmask_b32_e64 v8, 0, 8, s[8:9]
	s_waitcnt lgkmcnt(1)
	v_max_u32_e32 v10, v14, v13
	v_add_lshl_u32 v8, v8, v11, 2
	v_cmp_gt_u32_e64 s[8:9], v14, v13
	ds_bpermute_b32 v15, v8, v10
	s_waitcnt lgkmcnt(1)
	v_cndmask_b32_e64 v2, v2, v4, s[8:9]
	ds_bpermute_b32 v4, v8, v2
	;; [unrolled: 10-line block ×4, first 2 shown]
	s_waitcnt lgkmcnt(0)
	s_barrier
	v_cmp_gt_u32_e64 s[8:9], v16, v15
	v_max_u32_e32 v2, v16, v15
	v_cndmask_b32_e64 v4, v4, v13, s[8:9]
	v_cmp_ne_u32_e64 s[8:9], 63, v12
	v_addc_co_u32_e64 v11, s[8:9], 0, v11, s[8:9]
	v_lshlrev_b32_e32 v11, 2, v11
	ds_bpermute_b32 v12, v11, v4
	ds_bpermute_b32 v13, v11, v2
	v_cmp_eq_u32_e64 s[8:9], 0, v5
	s_waitcnt lgkmcnt(0)
	s_barrier
	s_and_saveexec_b64 s[12:13], s[8:9]
	s_cbranch_execz .LBB104_93
; %bb.92:
	v_lshrrev_b32_e32 v14, 3, v0
	v_cmp_gt_u32_e64 s[10:11], v13, v2
	v_add_u32_e32 v14, 2, v14
	v_cndmask_b32_e64 v4, v4, v12, s[10:11]
	v_max_u32_e32 v2, v13, v2
	ds_write2_b32 v14, v2, v4 offset0:64 offset1:65
.LBB104_93:
	s_or_b64 exec, exec, s[12:13]
	s_lshr_b32 s10, s18, 6
	v_cmp_gt_u32_e64 s[10:11], s10, v0
	v_lshl_add_u32 v12, v5, 3, 2
	v_mov_b32_e32 v2, 0
	v_mov_b32_e32 v4, 0
	s_waitcnt lgkmcnt(0)
	s_barrier
	s_and_saveexec_b64 s[12:13], s[10:11]
	s_cbranch_execnz .LBB104_108
; %bb.94:
	s_or_b64 exec, exec, s[12:13]
	s_and_saveexec_b64 s[12:13], s[10:11]
	s_cbranch_execnz .LBB104_109
.LBB104_95:
	s_or_b64 exec, exec, s[12:13]
	s_and_saveexec_b64 s[18:19], s[0:1]
	s_cbranch_execnz .LBB104_110
.LBB104_96:
	s_or_b64 exec, exec, s[18:19]
	s_and_saveexec_b64 s[12:13], vcc
	s_cbranch_execz .LBB104_98
.LBB104_97:
	s_waitcnt lgkmcnt(0)
	v_lshl_add_u32 v2, v2, 1, 2
	ds_read_u16 v2, v2
	v_mov_b32_e32 v4, 0
	s_waitcnt lgkmcnt(0)
	ds_write_b16 v4, v2
.LBB104_98:
	s_or_b64 exec, exec, s[12:13]
	s_waitcnt lgkmcnt(0)
	v_mov_b32_e32 v2, 0
	v_cmp_gt_i64_e64 s[12:13], s[16:17], v[1:2]
	v_mov_b32_e32 v13, 0
	s_barrier
	s_and_saveexec_b64 s[18:19], s[12:13]
	s_cbranch_execz .LBB104_100
; %bb.99:
	v_add_u32_e32 v13, s21, v1
	v_mov_b32_e32 v14, 0
	v_lshlrev_b64 v[15:16], 1, v[13:14]
	v_mov_b32_e32 v4, s15
	v_add_co_u32_e64 v15, s[12:13], s14, v15
	v_addc_co_u32_e64 v16, s[12:13], v4, v16, s[12:13]
	global_load_ushort v4, v[15:16], off
	ds_read_u16 v13, v14
	s_waitcnt vmcnt(0) lgkmcnt(0)
	v_cmp_eq_f16_e64 s[12:13], v4, v13
	v_cndmask_b32_e64 v13, 0, v1, s[12:13]
.LBB104_100:
	s_or_b64 exec, exec, s[18:19]
	v_mov_b32_e32 v4, v2
	v_cmp_gt_i64_e64 s[12:13], s[16:17], v[3:4]
	s_and_saveexec_b64 s[16:17], s[12:13]
	s_cbranch_execz .LBB104_102
; %bb.101:
	v_add_u32_e32 v1, s21, v3
	v_mov_b32_e32 v2, 0
	v_lshlrev_b64 v[14:15], 1, v[1:2]
	v_mov_b32_e32 v1, s15
	v_add_co_u32_e64 v14, s[12:13], s14, v14
	v_addc_co_u32_e64 v15, s[12:13], v1, v15, s[12:13]
	global_load_ushort v1, v[14:15], off
	ds_read_u16 v2, v2
	s_waitcnt vmcnt(0) lgkmcnt(0)
	v_cmp_eq_f16_e64 s[12:13], v1, v2
	v_cndmask_b32_e64 v2, 0, v3, s[12:13]
.LBB104_102:
	s_or_b64 exec, exec, s[16:17]
	v_cndmask_b32_e64 v1, 0, v13, s[2:3]
	v_max_u32_e32 v2, v2, v1
	v_cndmask_b32_e64 v1, v1, v2, s[6:7]
	ds_bpermute_b32 v2, v6, v1
	s_waitcnt lgkmcnt(0)
	s_barrier
	v_max_u32_e32 v1, v2, v1
	ds_bpermute_b32 v2, v7, v1
	s_waitcnt lgkmcnt(0)
	v_max_u32_e32 v1, v2, v1
	ds_bpermute_b32 v2, v8, v1
	s_waitcnt lgkmcnt(0)
	;; [unrolled: 3-line block ×4, first 2 shown]
	v_max_u32_e32 v1, v2, v1
	ds_bpermute_b32 v2, v11, v1
	s_and_saveexec_b64 s[2:3], s[8:9]
	s_cbranch_execz .LBB104_104
; %bb.103:
	v_lshrrev_b32_e32 v0, 4, v0
	v_add_u32_e32 v0, 2, v0
	s_waitcnt lgkmcnt(0)
	v_max_u32_e32 v1, v2, v1
	ds_write_b32 v0, v1
.LBB104_104:
	s_or_b64 exec, exec, s[2:3]
	v_mov_b32_e32 v0, 0
	s_waitcnt lgkmcnt(0)
	s_barrier
	s_and_saveexec_b64 s[2:3], s[10:11]
	s_cbranch_execnz .LBB104_111
; %bb.105:
	s_or_b64 exec, exec, s[2:3]
	s_and_saveexec_b64 s[2:3], s[0:1]
	s_cbranch_execnz .LBB104_112
.LBB104_106:
	s_or_b64 exec, exec, s[2:3]
	s_and_saveexec_b64 s[0:1], vcc
	s_cbranch_execnz .LBB104_113
.LBB104_107:
	s_endpgm
.LBB104_108:
	ds_read_b32 v4, v12 offset:256
	s_or_b64 exec, exec, s[12:13]
	s_and_saveexec_b64 s[12:13], s[10:11]
	s_cbranch_execz .LBB104_95
.LBB104_109:
	ds_read_b32 v2, v12 offset:260
	s_or_b64 exec, exec, s[12:13]
	s_and_saveexec_b64 s[18:19], s[0:1]
	s_cbranch_execz .LBB104_96
.LBB104_110:
	s_waitcnt lgkmcnt(0)
	ds_bpermute_b32 v13, v6, v4
	ds_bpermute_b32 v14, v6, v2
	s_waitcnt lgkmcnt(1)
	v_max_u32_e32 v15, v13, v4
	v_cmp_gt_u32_e64 s[12:13], v13, v4
	ds_bpermute_b32 v16, v7, v15
	s_waitcnt lgkmcnt(1)
	v_cndmask_b32_e64 v2, v2, v14, s[12:13]
	ds_bpermute_b32 v4, v7, v2
	s_waitcnt lgkmcnt(1)
	v_max_u32_e32 v13, v16, v15
	v_cmp_gt_u32_e64 s[12:13], v16, v15
	ds_bpermute_b32 v14, v8, v13
	s_waitcnt lgkmcnt(1)
	v_cndmask_b32_e64 v2, v2, v4, s[12:13]
	;; [unrolled: 7-line block ×4, first 2 shown]
	ds_bpermute_b32 v4, v10, v2
	s_waitcnt lgkmcnt(1)
	v_max_u32_e32 v15, v14, v13
	v_cmp_gt_u32_e64 s[12:13], v14, v13
	s_waitcnt lgkmcnt(0)
	v_cndmask_b32_e64 v2, v2, v4, s[12:13]
	ds_bpermute_b32 v4, v11, v15
	ds_bpermute_b32 v13, v11, v2
	s_waitcnt lgkmcnt(1)
	v_cmp_gt_u32_e64 s[12:13], v4, v15
	s_waitcnt lgkmcnt(0)
	v_cndmask_b32_e64 v2, v2, v13, s[12:13]
	s_or_b64 exec, exec, s[18:19]
	s_and_saveexec_b64 s[12:13], vcc
	s_cbranch_execnz .LBB104_97
	s_branch .LBB104_98
.LBB104_111:
	v_lshlrev_b32_e32 v0, 2, v5
	v_sub_u32_e32 v0, v12, v0
	ds_read_b32 v0, v0
	s_or_b64 exec, exec, s[2:3]
	s_and_saveexec_b64 s[2:3], s[0:1]
	s_cbranch_execz .LBB104_106
.LBB104_112:
	s_waitcnt lgkmcnt(0)
	ds_bpermute_b32 v1, v6, v0
	s_waitcnt lgkmcnt(0)
	v_max_u32_e32 v0, v1, v0
	ds_bpermute_b32 v1, v7, v0
	s_waitcnt lgkmcnt(0)
	v_max_u32_e32 v0, v1, v0
	;; [unrolled: 3-line block ×6, first 2 shown]
	s_or_b64 exec, exec, s[2:3]
	s_and_saveexec_b64 s[0:1], vcc
	s_cbranch_execz .LBB104_107
.LBB104_113:
	s_load_dword s2, s[4:5], 0xd8
	s_load_dwordx2 s[0:1], s[4:5], 0xe0
	s_add_u32 s4, s4, 8
	s_addc_u32 s5, s5, 0
	s_mov_b32 s3, 0
	s_waitcnt lgkmcnt(0)
	s_cmp_lt_i32 s2, 2
	s_cbranch_scc1 .LBB104_116
; %bb.114:
	s_add_i32 s8, s2, 1
	s_add_i32 s2, s2, -1
	s_lshl_b64 s[6:7], s[2:3], 2
	s_add_u32 s2, s4, s6
	s_addc_u32 s7, s5, s7
	s_add_u32 s6, s2, 8
	s_addc_u32 s7, s7, 0
.LBB104_115:                            ; =>This Inner Loop Header: Depth=1
	s_load_dword s2, s[6:7], 0x0
	s_load_dword s10, s[6:7], 0x64
	s_mov_b32 s9, s20
	s_waitcnt lgkmcnt(0)
	v_cvt_f32_u32_e32 v1, s2
	s_sub_i32 s11, 0, s2
	v_rcp_iflag_f32_e32 v1, v1
	v_mul_f32_e32 v1, 0x4f7ffffe, v1
	v_cvt_u32_f32_e32 v1, v1
	v_readfirstlane_b32 s12, v1
	s_mul_i32 s11, s11, s12
	s_mul_hi_u32 s11, s12, s11
	s_add_i32 s12, s12, s11
	s_mul_hi_u32 s11, s20, s12
	s_mul_i32 s12, s11, s2
	s_sub_i32 s12, s20, s12
	s_add_i32 s13, s11, 1
	s_sub_i32 s14, s12, s2
	s_cmp_ge_u32 s12, s2
	s_cselect_b32 s11, s13, s11
	s_cselect_b32 s12, s14, s12
	s_add_i32 s13, s11, 1
	s_cmp_ge_u32 s12, s2
	s_cselect_b32 s20, s13, s11
	s_mul_i32 s2, s20, s2
	s_sub_i32 s2, s9, s2
	s_mul_i32 s2, s10, s2
	s_add_i32 s8, s8, -1
	s_add_i32 s3, s2, s3
	s_add_u32 s6, s6, -4
	s_addc_u32 s7, s7, -1
	s_cmp_gt_u32 s8, 2
	s_cbranch_scc1 .LBB104_115
.LBB104_116:
	s_load_dword s2, s[4:5], 0x6c
	v_mov_b32_e32 v1, 0
	s_load_dwordx2 s[4:5], s[4:5], 0x0
	ds_read_u16 v2, v1
	s_mov_b32 s7, 0
	s_waitcnt lgkmcnt(0)
	s_mul_i32 s2, s2, s20
	s_add_i32 s6, s2, s3
	s_lshl_b64 s[2:3], s[6:7], 1
	s_add_u32 s2, s4, s2
	s_addc_u32 s3, s5, s3
	global_store_short v1, v2, s[2:3]
	s_lshl_b64 s[2:3], s[6:7], 3
	s_add_u32 s0, s0, s2
	s_addc_u32 s1, s1, s3
	global_store_dwordx2 v1, v[0:1], s[0:1]
	s_endpgm
	.section	.rodata,"a",@progbits
	.p2align	6, 0x0
	.amdhsa_kernel _ZN2at6native12compute_modeIN3c104HalfELj128EEEvPKT_NS_4cuda6detail10TensorInfoIS4_jEENS9_IljEEll
		.amdhsa_group_segment_fixed_size 2
		.amdhsa_private_segment_fixed_size 0
		.amdhsa_kernarg_size 712
		.amdhsa_user_sgpr_count 6
		.amdhsa_user_sgpr_private_segment_buffer 1
		.amdhsa_user_sgpr_dispatch_ptr 0
		.amdhsa_user_sgpr_queue_ptr 0
		.amdhsa_user_sgpr_kernarg_segment_ptr 1
		.amdhsa_user_sgpr_dispatch_id 0
		.amdhsa_user_sgpr_flat_scratch_init 0
		.amdhsa_user_sgpr_private_segment_size 0
		.amdhsa_uses_dynamic_stack 0
		.amdhsa_system_sgpr_private_segment_wavefront_offset 0
		.amdhsa_system_sgpr_workgroup_id_x 1
		.amdhsa_system_sgpr_workgroup_id_y 1
		.amdhsa_system_sgpr_workgroup_id_z 1
		.amdhsa_system_sgpr_workgroup_info 0
		.amdhsa_system_vgpr_workitem_id 0
		.amdhsa_next_free_vgpr 28
		.amdhsa_next_free_sgpr 22
		.amdhsa_reserve_vcc 1
		.amdhsa_reserve_flat_scratch 0
		.amdhsa_float_round_mode_32 0
		.amdhsa_float_round_mode_16_64 0
		.amdhsa_float_denorm_mode_32 3
		.amdhsa_float_denorm_mode_16_64 3
		.amdhsa_dx10_clamp 1
		.amdhsa_ieee_mode 1
		.amdhsa_fp16_overflow 0
		.amdhsa_exception_fp_ieee_invalid_op 0
		.amdhsa_exception_fp_denorm_src 0
		.amdhsa_exception_fp_ieee_div_zero 0
		.amdhsa_exception_fp_ieee_overflow 0
		.amdhsa_exception_fp_ieee_underflow 0
		.amdhsa_exception_fp_ieee_inexact 0
		.amdhsa_exception_int_div_zero 0
	.end_amdhsa_kernel
	.section	.text._ZN2at6native12compute_modeIN3c104HalfELj128EEEvPKT_NS_4cuda6detail10TensorInfoIS4_jEENS9_IljEEll,"axG",@progbits,_ZN2at6native12compute_modeIN3c104HalfELj128EEEvPKT_NS_4cuda6detail10TensorInfoIS4_jEENS9_IljEEll,comdat
.Lfunc_end104:
	.size	_ZN2at6native12compute_modeIN3c104HalfELj128EEEvPKT_NS_4cuda6detail10TensorInfoIS4_jEENS9_IljEEll, .Lfunc_end104-_ZN2at6native12compute_modeIN3c104HalfELj128EEEvPKT_NS_4cuda6detail10TensorInfoIS4_jEENS9_IljEEll
                                        ; -- End function
	.set _ZN2at6native12compute_modeIN3c104HalfELj128EEEvPKT_NS_4cuda6detail10TensorInfoIS4_jEENS9_IljEEll.num_vgpr, 28
	.set _ZN2at6native12compute_modeIN3c104HalfELj128EEEvPKT_NS_4cuda6detail10TensorInfoIS4_jEENS9_IljEEll.num_agpr, 0
	.set _ZN2at6native12compute_modeIN3c104HalfELj128EEEvPKT_NS_4cuda6detail10TensorInfoIS4_jEENS9_IljEEll.numbered_sgpr, 22
	.set _ZN2at6native12compute_modeIN3c104HalfELj128EEEvPKT_NS_4cuda6detail10TensorInfoIS4_jEENS9_IljEEll.num_named_barrier, 0
	.set _ZN2at6native12compute_modeIN3c104HalfELj128EEEvPKT_NS_4cuda6detail10TensorInfoIS4_jEENS9_IljEEll.private_seg_size, 0
	.set _ZN2at6native12compute_modeIN3c104HalfELj128EEEvPKT_NS_4cuda6detail10TensorInfoIS4_jEENS9_IljEEll.uses_vcc, 1
	.set _ZN2at6native12compute_modeIN3c104HalfELj128EEEvPKT_NS_4cuda6detail10TensorInfoIS4_jEENS9_IljEEll.uses_flat_scratch, 0
	.set _ZN2at6native12compute_modeIN3c104HalfELj128EEEvPKT_NS_4cuda6detail10TensorInfoIS4_jEENS9_IljEEll.has_dyn_sized_stack, 0
	.set _ZN2at6native12compute_modeIN3c104HalfELj128EEEvPKT_NS_4cuda6detail10TensorInfoIS4_jEENS9_IljEEll.has_recursion, 0
	.set _ZN2at6native12compute_modeIN3c104HalfELj128EEEvPKT_NS_4cuda6detail10TensorInfoIS4_jEENS9_IljEEll.has_indirect_call, 0
	.section	.AMDGPU.csdata,"",@progbits
; Kernel info:
; codeLenInByte = 8144
; TotalNumSgprs: 26
; NumVgprs: 28
; ScratchSize: 0
; MemoryBound: 0
; FloatMode: 240
; IeeeMode: 1
; LDSByteSize: 2 bytes/workgroup (compile time only)
; SGPRBlocks: 3
; VGPRBlocks: 6
; NumSGPRsForWavesPerEU: 26
; NumVGPRsForWavesPerEU: 28
; Occupancy: 9
; WaveLimiterHint : 1
; COMPUTE_PGM_RSRC2:SCRATCH_EN: 0
; COMPUTE_PGM_RSRC2:USER_SGPR: 6
; COMPUTE_PGM_RSRC2:TRAP_HANDLER: 0
; COMPUTE_PGM_RSRC2:TGID_X_EN: 1
; COMPUTE_PGM_RSRC2:TGID_Y_EN: 1
; COMPUTE_PGM_RSRC2:TGID_Z_EN: 1
; COMPUTE_PGM_RSRC2:TIDIG_COMP_CNT: 0
	.section	.text._ZN6thrust23THRUST_200600_302600_NS11hip_rocprim14__parallel_for6kernelILj256ENS1_11__transform17unary_transform_fINS0_17counting_iteratorIlNS0_11use_defaultES7_S7_EENS0_10device_ptrIlEENS4_14no_stencil_tagENS0_8identityIlEENS4_21always_true_predicateEEElLj1EEEvT0_T1_SH_,"axG",@progbits,_ZN6thrust23THRUST_200600_302600_NS11hip_rocprim14__parallel_for6kernelILj256ENS1_11__transform17unary_transform_fINS0_17counting_iteratorIlNS0_11use_defaultES7_S7_EENS0_10device_ptrIlEENS4_14no_stencil_tagENS0_8identityIlEENS4_21always_true_predicateEEElLj1EEEvT0_T1_SH_,comdat
	.protected	_ZN6thrust23THRUST_200600_302600_NS11hip_rocprim14__parallel_for6kernelILj256ENS1_11__transform17unary_transform_fINS0_17counting_iteratorIlNS0_11use_defaultES7_S7_EENS0_10device_ptrIlEENS4_14no_stencil_tagENS0_8identityIlEENS4_21always_true_predicateEEElLj1EEEvT0_T1_SH_ ; -- Begin function _ZN6thrust23THRUST_200600_302600_NS11hip_rocprim14__parallel_for6kernelILj256ENS1_11__transform17unary_transform_fINS0_17counting_iteratorIlNS0_11use_defaultES7_S7_EENS0_10device_ptrIlEENS4_14no_stencil_tagENS0_8identityIlEENS4_21always_true_predicateEEElLj1EEEvT0_T1_SH_
	.globl	_ZN6thrust23THRUST_200600_302600_NS11hip_rocprim14__parallel_for6kernelILj256ENS1_11__transform17unary_transform_fINS0_17counting_iteratorIlNS0_11use_defaultES7_S7_EENS0_10device_ptrIlEENS4_14no_stencil_tagENS0_8identityIlEENS4_21always_true_predicateEEElLj1EEEvT0_T1_SH_
	.p2align	8
	.type	_ZN6thrust23THRUST_200600_302600_NS11hip_rocprim14__parallel_for6kernelILj256ENS1_11__transform17unary_transform_fINS0_17counting_iteratorIlNS0_11use_defaultES7_S7_EENS0_10device_ptrIlEENS4_14no_stencil_tagENS0_8identityIlEENS4_21always_true_predicateEEElLj1EEEvT0_T1_SH_,@function
_ZN6thrust23THRUST_200600_302600_NS11hip_rocprim14__parallel_for6kernelILj256ENS1_11__transform17unary_transform_fINS0_17counting_iteratorIlNS0_11use_defaultES7_S7_EENS0_10device_ptrIlEENS4_14no_stencil_tagENS0_8identityIlEENS4_21always_true_predicateEEElLj1EEEvT0_T1_SH_: ; @_ZN6thrust23THRUST_200600_302600_NS11hip_rocprim14__parallel_for6kernelILj256ENS1_11__transform17unary_transform_fINS0_17counting_iteratorIlNS0_11use_defaultES7_S7_EENS0_10device_ptrIlEENS4_14no_stencil_tagENS0_8identityIlEENS4_21always_true_predicateEEElLj1EEEvT0_T1_SH_
; %bb.0:
	s_load_dwordx4 s[8:11], s[4:5], 0x18
	s_lshl_b32 s0, s6, 8
	v_mov_b32_e32 v1, 0x100
	v_mov_b32_e32 v2, 0
	s_waitcnt lgkmcnt(0)
	s_add_u32 s0, s10, s0
	s_addc_u32 s1, s11, 0
	s_sub_u32 s2, s8, s0
	s_subb_u32 s3, s9, s1
	v_cmp_lt_i64_e32 vcc, s[2:3], v[1:2]
	s_and_b64 s[6:7], vcc, exec
	s_cselect_b32 s6, s2, 0x100
	s_cmpk_eq_i32 s6, 0x100
	s_cselect_b64 s[2:3], -1, 0
	v_cmp_gt_u32_e32 vcc, s6, v0
	s_or_b64 s[2:3], s[2:3], vcc
	s_and_saveexec_b64 s[6:7], s[2:3]
	s_cbranch_execz .LBB105_2
; %bb.1:
	s_load_dwordx4 s[8:11], s[4:5], 0x0
	v_mov_b32_e32 v1, s1
	v_add_co_u32_e32 v0, vcc, s0, v0
	v_addc_co_u32_e32 v1, vcc, 0, v1, vcc
	s_waitcnt lgkmcnt(0)
	v_mov_b32_e32 v3, s9
	v_add_co_u32_e32 v2, vcc, s8, v0
	v_addc_co_u32_e32 v3, vcc, v3, v1, vcc
	v_lshlrev_b64 v[0:1], 3, v[0:1]
	v_mov_b32_e32 v4, s11
	v_add_co_u32_e32 v0, vcc, s10, v0
	v_addc_co_u32_e32 v1, vcc, v4, v1, vcc
	flat_store_dwordx2 v[0:1], v[2:3]
.LBB105_2:
	s_endpgm
	.section	.rodata,"a",@progbits
	.p2align	6, 0x0
	.amdhsa_kernel _ZN6thrust23THRUST_200600_302600_NS11hip_rocprim14__parallel_for6kernelILj256ENS1_11__transform17unary_transform_fINS0_17counting_iteratorIlNS0_11use_defaultES7_S7_EENS0_10device_ptrIlEENS4_14no_stencil_tagENS0_8identityIlEENS4_21always_true_predicateEEElLj1EEEvT0_T1_SH_
		.amdhsa_group_segment_fixed_size 0
		.amdhsa_private_segment_fixed_size 0
		.amdhsa_kernarg_size 40
		.amdhsa_user_sgpr_count 6
		.amdhsa_user_sgpr_private_segment_buffer 1
		.amdhsa_user_sgpr_dispatch_ptr 0
		.amdhsa_user_sgpr_queue_ptr 0
		.amdhsa_user_sgpr_kernarg_segment_ptr 1
		.amdhsa_user_sgpr_dispatch_id 0
		.amdhsa_user_sgpr_flat_scratch_init 0
		.amdhsa_user_sgpr_private_segment_size 0
		.amdhsa_uses_dynamic_stack 0
		.amdhsa_system_sgpr_private_segment_wavefront_offset 0
		.amdhsa_system_sgpr_workgroup_id_x 1
		.amdhsa_system_sgpr_workgroup_id_y 0
		.amdhsa_system_sgpr_workgroup_id_z 0
		.amdhsa_system_sgpr_workgroup_info 0
		.amdhsa_system_vgpr_workitem_id 0
		.amdhsa_next_free_vgpr 5
		.amdhsa_next_free_sgpr 12
		.amdhsa_reserve_vcc 1
		.amdhsa_reserve_flat_scratch 0
		.amdhsa_float_round_mode_32 0
		.amdhsa_float_round_mode_16_64 0
		.amdhsa_float_denorm_mode_32 3
		.amdhsa_float_denorm_mode_16_64 3
		.amdhsa_dx10_clamp 1
		.amdhsa_ieee_mode 1
		.amdhsa_fp16_overflow 0
		.amdhsa_exception_fp_ieee_invalid_op 0
		.amdhsa_exception_fp_denorm_src 0
		.amdhsa_exception_fp_ieee_div_zero 0
		.amdhsa_exception_fp_ieee_overflow 0
		.amdhsa_exception_fp_ieee_underflow 0
		.amdhsa_exception_fp_ieee_inexact 0
		.amdhsa_exception_int_div_zero 0
	.end_amdhsa_kernel
	.section	.text._ZN6thrust23THRUST_200600_302600_NS11hip_rocprim14__parallel_for6kernelILj256ENS1_11__transform17unary_transform_fINS0_17counting_iteratorIlNS0_11use_defaultES7_S7_EENS0_10device_ptrIlEENS4_14no_stencil_tagENS0_8identityIlEENS4_21always_true_predicateEEElLj1EEEvT0_T1_SH_,"axG",@progbits,_ZN6thrust23THRUST_200600_302600_NS11hip_rocprim14__parallel_for6kernelILj256ENS1_11__transform17unary_transform_fINS0_17counting_iteratorIlNS0_11use_defaultES7_S7_EENS0_10device_ptrIlEENS4_14no_stencil_tagENS0_8identityIlEENS4_21always_true_predicateEEElLj1EEEvT0_T1_SH_,comdat
.Lfunc_end105:
	.size	_ZN6thrust23THRUST_200600_302600_NS11hip_rocprim14__parallel_for6kernelILj256ENS1_11__transform17unary_transform_fINS0_17counting_iteratorIlNS0_11use_defaultES7_S7_EENS0_10device_ptrIlEENS4_14no_stencil_tagENS0_8identityIlEENS4_21always_true_predicateEEElLj1EEEvT0_T1_SH_, .Lfunc_end105-_ZN6thrust23THRUST_200600_302600_NS11hip_rocprim14__parallel_for6kernelILj256ENS1_11__transform17unary_transform_fINS0_17counting_iteratorIlNS0_11use_defaultES7_S7_EENS0_10device_ptrIlEENS4_14no_stencil_tagENS0_8identityIlEENS4_21always_true_predicateEEElLj1EEEvT0_T1_SH_
                                        ; -- End function
	.set _ZN6thrust23THRUST_200600_302600_NS11hip_rocprim14__parallel_for6kernelILj256ENS1_11__transform17unary_transform_fINS0_17counting_iteratorIlNS0_11use_defaultES7_S7_EENS0_10device_ptrIlEENS4_14no_stencil_tagENS0_8identityIlEENS4_21always_true_predicateEEElLj1EEEvT0_T1_SH_.num_vgpr, 5
	.set _ZN6thrust23THRUST_200600_302600_NS11hip_rocprim14__parallel_for6kernelILj256ENS1_11__transform17unary_transform_fINS0_17counting_iteratorIlNS0_11use_defaultES7_S7_EENS0_10device_ptrIlEENS4_14no_stencil_tagENS0_8identityIlEENS4_21always_true_predicateEEElLj1EEEvT0_T1_SH_.num_agpr, 0
	.set _ZN6thrust23THRUST_200600_302600_NS11hip_rocprim14__parallel_for6kernelILj256ENS1_11__transform17unary_transform_fINS0_17counting_iteratorIlNS0_11use_defaultES7_S7_EENS0_10device_ptrIlEENS4_14no_stencil_tagENS0_8identityIlEENS4_21always_true_predicateEEElLj1EEEvT0_T1_SH_.numbered_sgpr, 12
	.set _ZN6thrust23THRUST_200600_302600_NS11hip_rocprim14__parallel_for6kernelILj256ENS1_11__transform17unary_transform_fINS0_17counting_iteratorIlNS0_11use_defaultES7_S7_EENS0_10device_ptrIlEENS4_14no_stencil_tagENS0_8identityIlEENS4_21always_true_predicateEEElLj1EEEvT0_T1_SH_.num_named_barrier, 0
	.set _ZN6thrust23THRUST_200600_302600_NS11hip_rocprim14__parallel_for6kernelILj256ENS1_11__transform17unary_transform_fINS0_17counting_iteratorIlNS0_11use_defaultES7_S7_EENS0_10device_ptrIlEENS4_14no_stencil_tagENS0_8identityIlEENS4_21always_true_predicateEEElLj1EEEvT0_T1_SH_.private_seg_size, 0
	.set _ZN6thrust23THRUST_200600_302600_NS11hip_rocprim14__parallel_for6kernelILj256ENS1_11__transform17unary_transform_fINS0_17counting_iteratorIlNS0_11use_defaultES7_S7_EENS0_10device_ptrIlEENS4_14no_stencil_tagENS0_8identityIlEENS4_21always_true_predicateEEElLj1EEEvT0_T1_SH_.uses_vcc, 1
	.set _ZN6thrust23THRUST_200600_302600_NS11hip_rocprim14__parallel_for6kernelILj256ENS1_11__transform17unary_transform_fINS0_17counting_iteratorIlNS0_11use_defaultES7_S7_EENS0_10device_ptrIlEENS4_14no_stencil_tagENS0_8identityIlEENS4_21always_true_predicateEEElLj1EEEvT0_T1_SH_.uses_flat_scratch, 0
	.set _ZN6thrust23THRUST_200600_302600_NS11hip_rocprim14__parallel_for6kernelILj256ENS1_11__transform17unary_transform_fINS0_17counting_iteratorIlNS0_11use_defaultES7_S7_EENS0_10device_ptrIlEENS4_14no_stencil_tagENS0_8identityIlEENS4_21always_true_predicateEEElLj1EEEvT0_T1_SH_.has_dyn_sized_stack, 0
	.set _ZN6thrust23THRUST_200600_302600_NS11hip_rocprim14__parallel_for6kernelILj256ENS1_11__transform17unary_transform_fINS0_17counting_iteratorIlNS0_11use_defaultES7_S7_EENS0_10device_ptrIlEENS4_14no_stencil_tagENS0_8identityIlEENS4_21always_true_predicateEEElLj1EEEvT0_T1_SH_.has_recursion, 0
	.set _ZN6thrust23THRUST_200600_302600_NS11hip_rocprim14__parallel_for6kernelILj256ENS1_11__transform17unary_transform_fINS0_17counting_iteratorIlNS0_11use_defaultES7_S7_EENS0_10device_ptrIlEENS4_14no_stencil_tagENS0_8identityIlEENS4_21always_true_predicateEEElLj1EEEvT0_T1_SH_.has_indirect_call, 0
	.section	.AMDGPU.csdata,"",@progbits
; Kernel info:
; codeLenInByte = 152
; TotalNumSgprs: 16
; NumVgprs: 5
; ScratchSize: 0
; MemoryBound: 0
; FloatMode: 240
; IeeeMode: 1
; LDSByteSize: 0 bytes/workgroup (compile time only)
; SGPRBlocks: 1
; VGPRBlocks: 1
; NumSGPRsForWavesPerEU: 16
; NumVGPRsForWavesPerEU: 5
; Occupancy: 10
; WaveLimiterHint : 0
; COMPUTE_PGM_RSRC2:SCRATCH_EN: 0
; COMPUTE_PGM_RSRC2:USER_SGPR: 6
; COMPUTE_PGM_RSRC2:TRAP_HANDLER: 0
; COMPUTE_PGM_RSRC2:TGID_X_EN: 1
; COMPUTE_PGM_RSRC2:TGID_Y_EN: 0
; COMPUTE_PGM_RSRC2:TGID_Z_EN: 0
; COMPUTE_PGM_RSRC2:TIDIG_COMP_CNT: 0
	.section	.text._ZN7rocprim17ROCPRIM_400000_NS6detail17trampoline_kernelINS0_13kernel_configILj256ELj4ELj4294967295EEENS1_37radix_sort_block_sort_config_selectorIhlEEZNS1_21radix_sort_block_sortIS4_Lb0EPhS8_N6thrust23THRUST_200600_302600_NS10device_ptrIlEESC_NS0_19identity_decomposerEEE10hipError_tT1_T2_T3_T4_jRjT5_jjP12ihipStream_tbEUlT_E_NS1_11comp_targetILNS1_3genE0ELNS1_11target_archE4294967295ELNS1_3gpuE0ELNS1_3repE0EEENS1_44radix_sort_block_sort_config_static_selectorELNS0_4arch9wavefront6targetE1EEEvSF_,"axG",@progbits,_ZN7rocprim17ROCPRIM_400000_NS6detail17trampoline_kernelINS0_13kernel_configILj256ELj4ELj4294967295EEENS1_37radix_sort_block_sort_config_selectorIhlEEZNS1_21radix_sort_block_sortIS4_Lb0EPhS8_N6thrust23THRUST_200600_302600_NS10device_ptrIlEESC_NS0_19identity_decomposerEEE10hipError_tT1_T2_T3_T4_jRjT5_jjP12ihipStream_tbEUlT_E_NS1_11comp_targetILNS1_3genE0ELNS1_11target_archE4294967295ELNS1_3gpuE0ELNS1_3repE0EEENS1_44radix_sort_block_sort_config_static_selectorELNS0_4arch9wavefront6targetE1EEEvSF_,comdat
	.protected	_ZN7rocprim17ROCPRIM_400000_NS6detail17trampoline_kernelINS0_13kernel_configILj256ELj4ELj4294967295EEENS1_37radix_sort_block_sort_config_selectorIhlEEZNS1_21radix_sort_block_sortIS4_Lb0EPhS8_N6thrust23THRUST_200600_302600_NS10device_ptrIlEESC_NS0_19identity_decomposerEEE10hipError_tT1_T2_T3_T4_jRjT5_jjP12ihipStream_tbEUlT_E_NS1_11comp_targetILNS1_3genE0ELNS1_11target_archE4294967295ELNS1_3gpuE0ELNS1_3repE0EEENS1_44radix_sort_block_sort_config_static_selectorELNS0_4arch9wavefront6targetE1EEEvSF_ ; -- Begin function _ZN7rocprim17ROCPRIM_400000_NS6detail17trampoline_kernelINS0_13kernel_configILj256ELj4ELj4294967295EEENS1_37radix_sort_block_sort_config_selectorIhlEEZNS1_21radix_sort_block_sortIS4_Lb0EPhS8_N6thrust23THRUST_200600_302600_NS10device_ptrIlEESC_NS0_19identity_decomposerEEE10hipError_tT1_T2_T3_T4_jRjT5_jjP12ihipStream_tbEUlT_E_NS1_11comp_targetILNS1_3genE0ELNS1_11target_archE4294967295ELNS1_3gpuE0ELNS1_3repE0EEENS1_44radix_sort_block_sort_config_static_selectorELNS0_4arch9wavefront6targetE1EEEvSF_
	.globl	_ZN7rocprim17ROCPRIM_400000_NS6detail17trampoline_kernelINS0_13kernel_configILj256ELj4ELj4294967295EEENS1_37radix_sort_block_sort_config_selectorIhlEEZNS1_21radix_sort_block_sortIS4_Lb0EPhS8_N6thrust23THRUST_200600_302600_NS10device_ptrIlEESC_NS0_19identity_decomposerEEE10hipError_tT1_T2_T3_T4_jRjT5_jjP12ihipStream_tbEUlT_E_NS1_11comp_targetILNS1_3genE0ELNS1_11target_archE4294967295ELNS1_3gpuE0ELNS1_3repE0EEENS1_44radix_sort_block_sort_config_static_selectorELNS0_4arch9wavefront6targetE1EEEvSF_
	.p2align	8
	.type	_ZN7rocprim17ROCPRIM_400000_NS6detail17trampoline_kernelINS0_13kernel_configILj256ELj4ELj4294967295EEENS1_37radix_sort_block_sort_config_selectorIhlEEZNS1_21radix_sort_block_sortIS4_Lb0EPhS8_N6thrust23THRUST_200600_302600_NS10device_ptrIlEESC_NS0_19identity_decomposerEEE10hipError_tT1_T2_T3_T4_jRjT5_jjP12ihipStream_tbEUlT_E_NS1_11comp_targetILNS1_3genE0ELNS1_11target_archE4294967295ELNS1_3gpuE0ELNS1_3repE0EEENS1_44radix_sort_block_sort_config_static_selectorELNS0_4arch9wavefront6targetE1EEEvSF_,@function
_ZN7rocprim17ROCPRIM_400000_NS6detail17trampoline_kernelINS0_13kernel_configILj256ELj4ELj4294967295EEENS1_37radix_sort_block_sort_config_selectorIhlEEZNS1_21radix_sort_block_sortIS4_Lb0EPhS8_N6thrust23THRUST_200600_302600_NS10device_ptrIlEESC_NS0_19identity_decomposerEEE10hipError_tT1_T2_T3_T4_jRjT5_jjP12ihipStream_tbEUlT_E_NS1_11comp_targetILNS1_3genE0ELNS1_11target_archE4294967295ELNS1_3gpuE0ELNS1_3repE0EEENS1_44radix_sort_block_sort_config_static_selectorELNS0_4arch9wavefront6targetE1EEEvSF_: ; @_ZN7rocprim17ROCPRIM_400000_NS6detail17trampoline_kernelINS0_13kernel_configILj256ELj4ELj4294967295EEENS1_37radix_sort_block_sort_config_selectorIhlEEZNS1_21radix_sort_block_sortIS4_Lb0EPhS8_N6thrust23THRUST_200600_302600_NS10device_ptrIlEESC_NS0_19identity_decomposerEEE10hipError_tT1_T2_T3_T4_jRjT5_jjP12ihipStream_tbEUlT_E_NS1_11comp_targetILNS1_3genE0ELNS1_11target_archE4294967295ELNS1_3gpuE0ELNS1_3repE0EEENS1_44radix_sort_block_sort_config_static_selectorELNS0_4arch9wavefront6targetE1EEEvSF_
; %bb.0:
	.section	.rodata,"a",@progbits
	.p2align	6, 0x0
	.amdhsa_kernel _ZN7rocprim17ROCPRIM_400000_NS6detail17trampoline_kernelINS0_13kernel_configILj256ELj4ELj4294967295EEENS1_37radix_sort_block_sort_config_selectorIhlEEZNS1_21radix_sort_block_sortIS4_Lb0EPhS8_N6thrust23THRUST_200600_302600_NS10device_ptrIlEESC_NS0_19identity_decomposerEEE10hipError_tT1_T2_T3_T4_jRjT5_jjP12ihipStream_tbEUlT_E_NS1_11comp_targetILNS1_3genE0ELNS1_11target_archE4294967295ELNS1_3gpuE0ELNS1_3repE0EEENS1_44radix_sort_block_sort_config_static_selectorELNS0_4arch9wavefront6targetE1EEEvSF_
		.amdhsa_group_segment_fixed_size 0
		.amdhsa_private_segment_fixed_size 0
		.amdhsa_kernarg_size 48
		.amdhsa_user_sgpr_count 6
		.amdhsa_user_sgpr_private_segment_buffer 1
		.amdhsa_user_sgpr_dispatch_ptr 0
		.amdhsa_user_sgpr_queue_ptr 0
		.amdhsa_user_sgpr_kernarg_segment_ptr 1
		.amdhsa_user_sgpr_dispatch_id 0
		.amdhsa_user_sgpr_flat_scratch_init 0
		.amdhsa_user_sgpr_private_segment_size 0
		.amdhsa_uses_dynamic_stack 0
		.amdhsa_system_sgpr_private_segment_wavefront_offset 0
		.amdhsa_system_sgpr_workgroup_id_x 1
		.amdhsa_system_sgpr_workgroup_id_y 0
		.amdhsa_system_sgpr_workgroup_id_z 0
		.amdhsa_system_sgpr_workgroup_info 0
		.amdhsa_system_vgpr_workitem_id 0
		.amdhsa_next_free_vgpr 1
		.amdhsa_next_free_sgpr 0
		.amdhsa_reserve_vcc 0
		.amdhsa_reserve_flat_scratch 0
		.amdhsa_float_round_mode_32 0
		.amdhsa_float_round_mode_16_64 0
		.amdhsa_float_denorm_mode_32 3
		.amdhsa_float_denorm_mode_16_64 3
		.amdhsa_dx10_clamp 1
		.amdhsa_ieee_mode 1
		.amdhsa_fp16_overflow 0
		.amdhsa_exception_fp_ieee_invalid_op 0
		.amdhsa_exception_fp_denorm_src 0
		.amdhsa_exception_fp_ieee_div_zero 0
		.amdhsa_exception_fp_ieee_overflow 0
		.amdhsa_exception_fp_ieee_underflow 0
		.amdhsa_exception_fp_ieee_inexact 0
		.amdhsa_exception_int_div_zero 0
	.end_amdhsa_kernel
	.section	.text._ZN7rocprim17ROCPRIM_400000_NS6detail17trampoline_kernelINS0_13kernel_configILj256ELj4ELj4294967295EEENS1_37radix_sort_block_sort_config_selectorIhlEEZNS1_21radix_sort_block_sortIS4_Lb0EPhS8_N6thrust23THRUST_200600_302600_NS10device_ptrIlEESC_NS0_19identity_decomposerEEE10hipError_tT1_T2_T3_T4_jRjT5_jjP12ihipStream_tbEUlT_E_NS1_11comp_targetILNS1_3genE0ELNS1_11target_archE4294967295ELNS1_3gpuE0ELNS1_3repE0EEENS1_44radix_sort_block_sort_config_static_selectorELNS0_4arch9wavefront6targetE1EEEvSF_,"axG",@progbits,_ZN7rocprim17ROCPRIM_400000_NS6detail17trampoline_kernelINS0_13kernel_configILj256ELj4ELj4294967295EEENS1_37radix_sort_block_sort_config_selectorIhlEEZNS1_21radix_sort_block_sortIS4_Lb0EPhS8_N6thrust23THRUST_200600_302600_NS10device_ptrIlEESC_NS0_19identity_decomposerEEE10hipError_tT1_T2_T3_T4_jRjT5_jjP12ihipStream_tbEUlT_E_NS1_11comp_targetILNS1_3genE0ELNS1_11target_archE4294967295ELNS1_3gpuE0ELNS1_3repE0EEENS1_44radix_sort_block_sort_config_static_selectorELNS0_4arch9wavefront6targetE1EEEvSF_,comdat
.Lfunc_end106:
	.size	_ZN7rocprim17ROCPRIM_400000_NS6detail17trampoline_kernelINS0_13kernel_configILj256ELj4ELj4294967295EEENS1_37radix_sort_block_sort_config_selectorIhlEEZNS1_21radix_sort_block_sortIS4_Lb0EPhS8_N6thrust23THRUST_200600_302600_NS10device_ptrIlEESC_NS0_19identity_decomposerEEE10hipError_tT1_T2_T3_T4_jRjT5_jjP12ihipStream_tbEUlT_E_NS1_11comp_targetILNS1_3genE0ELNS1_11target_archE4294967295ELNS1_3gpuE0ELNS1_3repE0EEENS1_44radix_sort_block_sort_config_static_selectorELNS0_4arch9wavefront6targetE1EEEvSF_, .Lfunc_end106-_ZN7rocprim17ROCPRIM_400000_NS6detail17trampoline_kernelINS0_13kernel_configILj256ELj4ELj4294967295EEENS1_37radix_sort_block_sort_config_selectorIhlEEZNS1_21radix_sort_block_sortIS4_Lb0EPhS8_N6thrust23THRUST_200600_302600_NS10device_ptrIlEESC_NS0_19identity_decomposerEEE10hipError_tT1_T2_T3_T4_jRjT5_jjP12ihipStream_tbEUlT_E_NS1_11comp_targetILNS1_3genE0ELNS1_11target_archE4294967295ELNS1_3gpuE0ELNS1_3repE0EEENS1_44radix_sort_block_sort_config_static_selectorELNS0_4arch9wavefront6targetE1EEEvSF_
                                        ; -- End function
	.set _ZN7rocprim17ROCPRIM_400000_NS6detail17trampoline_kernelINS0_13kernel_configILj256ELj4ELj4294967295EEENS1_37radix_sort_block_sort_config_selectorIhlEEZNS1_21radix_sort_block_sortIS4_Lb0EPhS8_N6thrust23THRUST_200600_302600_NS10device_ptrIlEESC_NS0_19identity_decomposerEEE10hipError_tT1_T2_T3_T4_jRjT5_jjP12ihipStream_tbEUlT_E_NS1_11comp_targetILNS1_3genE0ELNS1_11target_archE4294967295ELNS1_3gpuE0ELNS1_3repE0EEENS1_44radix_sort_block_sort_config_static_selectorELNS0_4arch9wavefront6targetE1EEEvSF_.num_vgpr, 0
	.set _ZN7rocprim17ROCPRIM_400000_NS6detail17trampoline_kernelINS0_13kernel_configILj256ELj4ELj4294967295EEENS1_37radix_sort_block_sort_config_selectorIhlEEZNS1_21radix_sort_block_sortIS4_Lb0EPhS8_N6thrust23THRUST_200600_302600_NS10device_ptrIlEESC_NS0_19identity_decomposerEEE10hipError_tT1_T2_T3_T4_jRjT5_jjP12ihipStream_tbEUlT_E_NS1_11comp_targetILNS1_3genE0ELNS1_11target_archE4294967295ELNS1_3gpuE0ELNS1_3repE0EEENS1_44radix_sort_block_sort_config_static_selectorELNS0_4arch9wavefront6targetE1EEEvSF_.num_agpr, 0
	.set _ZN7rocprim17ROCPRIM_400000_NS6detail17trampoline_kernelINS0_13kernel_configILj256ELj4ELj4294967295EEENS1_37radix_sort_block_sort_config_selectorIhlEEZNS1_21radix_sort_block_sortIS4_Lb0EPhS8_N6thrust23THRUST_200600_302600_NS10device_ptrIlEESC_NS0_19identity_decomposerEEE10hipError_tT1_T2_T3_T4_jRjT5_jjP12ihipStream_tbEUlT_E_NS1_11comp_targetILNS1_3genE0ELNS1_11target_archE4294967295ELNS1_3gpuE0ELNS1_3repE0EEENS1_44radix_sort_block_sort_config_static_selectorELNS0_4arch9wavefront6targetE1EEEvSF_.numbered_sgpr, 0
	.set _ZN7rocprim17ROCPRIM_400000_NS6detail17trampoline_kernelINS0_13kernel_configILj256ELj4ELj4294967295EEENS1_37radix_sort_block_sort_config_selectorIhlEEZNS1_21radix_sort_block_sortIS4_Lb0EPhS8_N6thrust23THRUST_200600_302600_NS10device_ptrIlEESC_NS0_19identity_decomposerEEE10hipError_tT1_T2_T3_T4_jRjT5_jjP12ihipStream_tbEUlT_E_NS1_11comp_targetILNS1_3genE0ELNS1_11target_archE4294967295ELNS1_3gpuE0ELNS1_3repE0EEENS1_44radix_sort_block_sort_config_static_selectorELNS0_4arch9wavefront6targetE1EEEvSF_.num_named_barrier, 0
	.set _ZN7rocprim17ROCPRIM_400000_NS6detail17trampoline_kernelINS0_13kernel_configILj256ELj4ELj4294967295EEENS1_37radix_sort_block_sort_config_selectorIhlEEZNS1_21radix_sort_block_sortIS4_Lb0EPhS8_N6thrust23THRUST_200600_302600_NS10device_ptrIlEESC_NS0_19identity_decomposerEEE10hipError_tT1_T2_T3_T4_jRjT5_jjP12ihipStream_tbEUlT_E_NS1_11comp_targetILNS1_3genE0ELNS1_11target_archE4294967295ELNS1_3gpuE0ELNS1_3repE0EEENS1_44radix_sort_block_sort_config_static_selectorELNS0_4arch9wavefront6targetE1EEEvSF_.private_seg_size, 0
	.set _ZN7rocprim17ROCPRIM_400000_NS6detail17trampoline_kernelINS0_13kernel_configILj256ELj4ELj4294967295EEENS1_37radix_sort_block_sort_config_selectorIhlEEZNS1_21radix_sort_block_sortIS4_Lb0EPhS8_N6thrust23THRUST_200600_302600_NS10device_ptrIlEESC_NS0_19identity_decomposerEEE10hipError_tT1_T2_T3_T4_jRjT5_jjP12ihipStream_tbEUlT_E_NS1_11comp_targetILNS1_3genE0ELNS1_11target_archE4294967295ELNS1_3gpuE0ELNS1_3repE0EEENS1_44radix_sort_block_sort_config_static_selectorELNS0_4arch9wavefront6targetE1EEEvSF_.uses_vcc, 0
	.set _ZN7rocprim17ROCPRIM_400000_NS6detail17trampoline_kernelINS0_13kernel_configILj256ELj4ELj4294967295EEENS1_37radix_sort_block_sort_config_selectorIhlEEZNS1_21radix_sort_block_sortIS4_Lb0EPhS8_N6thrust23THRUST_200600_302600_NS10device_ptrIlEESC_NS0_19identity_decomposerEEE10hipError_tT1_T2_T3_T4_jRjT5_jjP12ihipStream_tbEUlT_E_NS1_11comp_targetILNS1_3genE0ELNS1_11target_archE4294967295ELNS1_3gpuE0ELNS1_3repE0EEENS1_44radix_sort_block_sort_config_static_selectorELNS0_4arch9wavefront6targetE1EEEvSF_.uses_flat_scratch, 0
	.set _ZN7rocprim17ROCPRIM_400000_NS6detail17trampoline_kernelINS0_13kernel_configILj256ELj4ELj4294967295EEENS1_37radix_sort_block_sort_config_selectorIhlEEZNS1_21radix_sort_block_sortIS4_Lb0EPhS8_N6thrust23THRUST_200600_302600_NS10device_ptrIlEESC_NS0_19identity_decomposerEEE10hipError_tT1_T2_T3_T4_jRjT5_jjP12ihipStream_tbEUlT_E_NS1_11comp_targetILNS1_3genE0ELNS1_11target_archE4294967295ELNS1_3gpuE0ELNS1_3repE0EEENS1_44radix_sort_block_sort_config_static_selectorELNS0_4arch9wavefront6targetE1EEEvSF_.has_dyn_sized_stack, 0
	.set _ZN7rocprim17ROCPRIM_400000_NS6detail17trampoline_kernelINS0_13kernel_configILj256ELj4ELj4294967295EEENS1_37radix_sort_block_sort_config_selectorIhlEEZNS1_21radix_sort_block_sortIS4_Lb0EPhS8_N6thrust23THRUST_200600_302600_NS10device_ptrIlEESC_NS0_19identity_decomposerEEE10hipError_tT1_T2_T3_T4_jRjT5_jjP12ihipStream_tbEUlT_E_NS1_11comp_targetILNS1_3genE0ELNS1_11target_archE4294967295ELNS1_3gpuE0ELNS1_3repE0EEENS1_44radix_sort_block_sort_config_static_selectorELNS0_4arch9wavefront6targetE1EEEvSF_.has_recursion, 0
	.set _ZN7rocprim17ROCPRIM_400000_NS6detail17trampoline_kernelINS0_13kernel_configILj256ELj4ELj4294967295EEENS1_37radix_sort_block_sort_config_selectorIhlEEZNS1_21radix_sort_block_sortIS4_Lb0EPhS8_N6thrust23THRUST_200600_302600_NS10device_ptrIlEESC_NS0_19identity_decomposerEEE10hipError_tT1_T2_T3_T4_jRjT5_jjP12ihipStream_tbEUlT_E_NS1_11comp_targetILNS1_3genE0ELNS1_11target_archE4294967295ELNS1_3gpuE0ELNS1_3repE0EEENS1_44radix_sort_block_sort_config_static_selectorELNS0_4arch9wavefront6targetE1EEEvSF_.has_indirect_call, 0
	.section	.AMDGPU.csdata,"",@progbits
; Kernel info:
; codeLenInByte = 0
; TotalNumSgprs: 4
; NumVgprs: 0
; ScratchSize: 0
; MemoryBound: 0
; FloatMode: 240
; IeeeMode: 1
; LDSByteSize: 0 bytes/workgroup (compile time only)
; SGPRBlocks: 0
; VGPRBlocks: 0
; NumSGPRsForWavesPerEU: 4
; NumVGPRsForWavesPerEU: 1
; Occupancy: 10
; WaveLimiterHint : 0
; COMPUTE_PGM_RSRC2:SCRATCH_EN: 0
; COMPUTE_PGM_RSRC2:USER_SGPR: 6
; COMPUTE_PGM_RSRC2:TRAP_HANDLER: 0
; COMPUTE_PGM_RSRC2:TGID_X_EN: 1
; COMPUTE_PGM_RSRC2:TGID_Y_EN: 0
; COMPUTE_PGM_RSRC2:TGID_Z_EN: 0
; COMPUTE_PGM_RSRC2:TIDIG_COMP_CNT: 0
	.section	.text._ZN7rocprim17ROCPRIM_400000_NS6detail17trampoline_kernelINS0_13kernel_configILj256ELj4ELj4294967295EEENS1_37radix_sort_block_sort_config_selectorIhlEEZNS1_21radix_sort_block_sortIS4_Lb0EPhS8_N6thrust23THRUST_200600_302600_NS10device_ptrIlEESC_NS0_19identity_decomposerEEE10hipError_tT1_T2_T3_T4_jRjT5_jjP12ihipStream_tbEUlT_E_NS1_11comp_targetILNS1_3genE5ELNS1_11target_archE942ELNS1_3gpuE9ELNS1_3repE0EEENS1_44radix_sort_block_sort_config_static_selectorELNS0_4arch9wavefront6targetE1EEEvSF_,"axG",@progbits,_ZN7rocprim17ROCPRIM_400000_NS6detail17trampoline_kernelINS0_13kernel_configILj256ELj4ELj4294967295EEENS1_37radix_sort_block_sort_config_selectorIhlEEZNS1_21radix_sort_block_sortIS4_Lb0EPhS8_N6thrust23THRUST_200600_302600_NS10device_ptrIlEESC_NS0_19identity_decomposerEEE10hipError_tT1_T2_T3_T4_jRjT5_jjP12ihipStream_tbEUlT_E_NS1_11comp_targetILNS1_3genE5ELNS1_11target_archE942ELNS1_3gpuE9ELNS1_3repE0EEENS1_44radix_sort_block_sort_config_static_selectorELNS0_4arch9wavefront6targetE1EEEvSF_,comdat
	.protected	_ZN7rocprim17ROCPRIM_400000_NS6detail17trampoline_kernelINS0_13kernel_configILj256ELj4ELj4294967295EEENS1_37radix_sort_block_sort_config_selectorIhlEEZNS1_21radix_sort_block_sortIS4_Lb0EPhS8_N6thrust23THRUST_200600_302600_NS10device_ptrIlEESC_NS0_19identity_decomposerEEE10hipError_tT1_T2_T3_T4_jRjT5_jjP12ihipStream_tbEUlT_E_NS1_11comp_targetILNS1_3genE5ELNS1_11target_archE942ELNS1_3gpuE9ELNS1_3repE0EEENS1_44radix_sort_block_sort_config_static_selectorELNS0_4arch9wavefront6targetE1EEEvSF_ ; -- Begin function _ZN7rocprim17ROCPRIM_400000_NS6detail17trampoline_kernelINS0_13kernel_configILj256ELj4ELj4294967295EEENS1_37radix_sort_block_sort_config_selectorIhlEEZNS1_21radix_sort_block_sortIS4_Lb0EPhS8_N6thrust23THRUST_200600_302600_NS10device_ptrIlEESC_NS0_19identity_decomposerEEE10hipError_tT1_T2_T3_T4_jRjT5_jjP12ihipStream_tbEUlT_E_NS1_11comp_targetILNS1_3genE5ELNS1_11target_archE942ELNS1_3gpuE9ELNS1_3repE0EEENS1_44radix_sort_block_sort_config_static_selectorELNS0_4arch9wavefront6targetE1EEEvSF_
	.globl	_ZN7rocprim17ROCPRIM_400000_NS6detail17trampoline_kernelINS0_13kernel_configILj256ELj4ELj4294967295EEENS1_37radix_sort_block_sort_config_selectorIhlEEZNS1_21radix_sort_block_sortIS4_Lb0EPhS8_N6thrust23THRUST_200600_302600_NS10device_ptrIlEESC_NS0_19identity_decomposerEEE10hipError_tT1_T2_T3_T4_jRjT5_jjP12ihipStream_tbEUlT_E_NS1_11comp_targetILNS1_3genE5ELNS1_11target_archE942ELNS1_3gpuE9ELNS1_3repE0EEENS1_44radix_sort_block_sort_config_static_selectorELNS0_4arch9wavefront6targetE1EEEvSF_
	.p2align	8
	.type	_ZN7rocprim17ROCPRIM_400000_NS6detail17trampoline_kernelINS0_13kernel_configILj256ELj4ELj4294967295EEENS1_37radix_sort_block_sort_config_selectorIhlEEZNS1_21radix_sort_block_sortIS4_Lb0EPhS8_N6thrust23THRUST_200600_302600_NS10device_ptrIlEESC_NS0_19identity_decomposerEEE10hipError_tT1_T2_T3_T4_jRjT5_jjP12ihipStream_tbEUlT_E_NS1_11comp_targetILNS1_3genE5ELNS1_11target_archE942ELNS1_3gpuE9ELNS1_3repE0EEENS1_44radix_sort_block_sort_config_static_selectorELNS0_4arch9wavefront6targetE1EEEvSF_,@function
_ZN7rocprim17ROCPRIM_400000_NS6detail17trampoline_kernelINS0_13kernel_configILj256ELj4ELj4294967295EEENS1_37radix_sort_block_sort_config_selectorIhlEEZNS1_21radix_sort_block_sortIS4_Lb0EPhS8_N6thrust23THRUST_200600_302600_NS10device_ptrIlEESC_NS0_19identity_decomposerEEE10hipError_tT1_T2_T3_T4_jRjT5_jjP12ihipStream_tbEUlT_E_NS1_11comp_targetILNS1_3genE5ELNS1_11target_archE942ELNS1_3gpuE9ELNS1_3repE0EEENS1_44radix_sort_block_sort_config_static_selectorELNS0_4arch9wavefront6targetE1EEEvSF_: ; @_ZN7rocprim17ROCPRIM_400000_NS6detail17trampoline_kernelINS0_13kernel_configILj256ELj4ELj4294967295EEENS1_37radix_sort_block_sort_config_selectorIhlEEZNS1_21radix_sort_block_sortIS4_Lb0EPhS8_N6thrust23THRUST_200600_302600_NS10device_ptrIlEESC_NS0_19identity_decomposerEEE10hipError_tT1_T2_T3_T4_jRjT5_jjP12ihipStream_tbEUlT_E_NS1_11comp_targetILNS1_3genE5ELNS1_11target_archE942ELNS1_3gpuE9ELNS1_3repE0EEENS1_44radix_sort_block_sort_config_static_selectorELNS0_4arch9wavefront6targetE1EEEvSF_
; %bb.0:
	.section	.rodata,"a",@progbits
	.p2align	6, 0x0
	.amdhsa_kernel _ZN7rocprim17ROCPRIM_400000_NS6detail17trampoline_kernelINS0_13kernel_configILj256ELj4ELj4294967295EEENS1_37radix_sort_block_sort_config_selectorIhlEEZNS1_21radix_sort_block_sortIS4_Lb0EPhS8_N6thrust23THRUST_200600_302600_NS10device_ptrIlEESC_NS0_19identity_decomposerEEE10hipError_tT1_T2_T3_T4_jRjT5_jjP12ihipStream_tbEUlT_E_NS1_11comp_targetILNS1_3genE5ELNS1_11target_archE942ELNS1_3gpuE9ELNS1_3repE0EEENS1_44radix_sort_block_sort_config_static_selectorELNS0_4arch9wavefront6targetE1EEEvSF_
		.amdhsa_group_segment_fixed_size 0
		.amdhsa_private_segment_fixed_size 0
		.amdhsa_kernarg_size 48
		.amdhsa_user_sgpr_count 6
		.amdhsa_user_sgpr_private_segment_buffer 1
		.amdhsa_user_sgpr_dispatch_ptr 0
		.amdhsa_user_sgpr_queue_ptr 0
		.amdhsa_user_sgpr_kernarg_segment_ptr 1
		.amdhsa_user_sgpr_dispatch_id 0
		.amdhsa_user_sgpr_flat_scratch_init 0
		.amdhsa_user_sgpr_private_segment_size 0
		.amdhsa_uses_dynamic_stack 0
		.amdhsa_system_sgpr_private_segment_wavefront_offset 0
		.amdhsa_system_sgpr_workgroup_id_x 1
		.amdhsa_system_sgpr_workgroup_id_y 0
		.amdhsa_system_sgpr_workgroup_id_z 0
		.amdhsa_system_sgpr_workgroup_info 0
		.amdhsa_system_vgpr_workitem_id 0
		.amdhsa_next_free_vgpr 1
		.amdhsa_next_free_sgpr 0
		.amdhsa_reserve_vcc 0
		.amdhsa_reserve_flat_scratch 0
		.amdhsa_float_round_mode_32 0
		.amdhsa_float_round_mode_16_64 0
		.amdhsa_float_denorm_mode_32 3
		.amdhsa_float_denorm_mode_16_64 3
		.amdhsa_dx10_clamp 1
		.amdhsa_ieee_mode 1
		.amdhsa_fp16_overflow 0
		.amdhsa_exception_fp_ieee_invalid_op 0
		.amdhsa_exception_fp_denorm_src 0
		.amdhsa_exception_fp_ieee_div_zero 0
		.amdhsa_exception_fp_ieee_overflow 0
		.amdhsa_exception_fp_ieee_underflow 0
		.amdhsa_exception_fp_ieee_inexact 0
		.amdhsa_exception_int_div_zero 0
	.end_amdhsa_kernel
	.section	.text._ZN7rocprim17ROCPRIM_400000_NS6detail17trampoline_kernelINS0_13kernel_configILj256ELj4ELj4294967295EEENS1_37radix_sort_block_sort_config_selectorIhlEEZNS1_21radix_sort_block_sortIS4_Lb0EPhS8_N6thrust23THRUST_200600_302600_NS10device_ptrIlEESC_NS0_19identity_decomposerEEE10hipError_tT1_T2_T3_T4_jRjT5_jjP12ihipStream_tbEUlT_E_NS1_11comp_targetILNS1_3genE5ELNS1_11target_archE942ELNS1_3gpuE9ELNS1_3repE0EEENS1_44radix_sort_block_sort_config_static_selectorELNS0_4arch9wavefront6targetE1EEEvSF_,"axG",@progbits,_ZN7rocprim17ROCPRIM_400000_NS6detail17trampoline_kernelINS0_13kernel_configILj256ELj4ELj4294967295EEENS1_37radix_sort_block_sort_config_selectorIhlEEZNS1_21radix_sort_block_sortIS4_Lb0EPhS8_N6thrust23THRUST_200600_302600_NS10device_ptrIlEESC_NS0_19identity_decomposerEEE10hipError_tT1_T2_T3_T4_jRjT5_jjP12ihipStream_tbEUlT_E_NS1_11comp_targetILNS1_3genE5ELNS1_11target_archE942ELNS1_3gpuE9ELNS1_3repE0EEENS1_44radix_sort_block_sort_config_static_selectorELNS0_4arch9wavefront6targetE1EEEvSF_,comdat
.Lfunc_end107:
	.size	_ZN7rocprim17ROCPRIM_400000_NS6detail17trampoline_kernelINS0_13kernel_configILj256ELj4ELj4294967295EEENS1_37radix_sort_block_sort_config_selectorIhlEEZNS1_21radix_sort_block_sortIS4_Lb0EPhS8_N6thrust23THRUST_200600_302600_NS10device_ptrIlEESC_NS0_19identity_decomposerEEE10hipError_tT1_T2_T3_T4_jRjT5_jjP12ihipStream_tbEUlT_E_NS1_11comp_targetILNS1_3genE5ELNS1_11target_archE942ELNS1_3gpuE9ELNS1_3repE0EEENS1_44radix_sort_block_sort_config_static_selectorELNS0_4arch9wavefront6targetE1EEEvSF_, .Lfunc_end107-_ZN7rocprim17ROCPRIM_400000_NS6detail17trampoline_kernelINS0_13kernel_configILj256ELj4ELj4294967295EEENS1_37radix_sort_block_sort_config_selectorIhlEEZNS1_21radix_sort_block_sortIS4_Lb0EPhS8_N6thrust23THRUST_200600_302600_NS10device_ptrIlEESC_NS0_19identity_decomposerEEE10hipError_tT1_T2_T3_T4_jRjT5_jjP12ihipStream_tbEUlT_E_NS1_11comp_targetILNS1_3genE5ELNS1_11target_archE942ELNS1_3gpuE9ELNS1_3repE0EEENS1_44radix_sort_block_sort_config_static_selectorELNS0_4arch9wavefront6targetE1EEEvSF_
                                        ; -- End function
	.set _ZN7rocprim17ROCPRIM_400000_NS6detail17trampoline_kernelINS0_13kernel_configILj256ELj4ELj4294967295EEENS1_37radix_sort_block_sort_config_selectorIhlEEZNS1_21radix_sort_block_sortIS4_Lb0EPhS8_N6thrust23THRUST_200600_302600_NS10device_ptrIlEESC_NS0_19identity_decomposerEEE10hipError_tT1_T2_T3_T4_jRjT5_jjP12ihipStream_tbEUlT_E_NS1_11comp_targetILNS1_3genE5ELNS1_11target_archE942ELNS1_3gpuE9ELNS1_3repE0EEENS1_44radix_sort_block_sort_config_static_selectorELNS0_4arch9wavefront6targetE1EEEvSF_.num_vgpr, 0
	.set _ZN7rocprim17ROCPRIM_400000_NS6detail17trampoline_kernelINS0_13kernel_configILj256ELj4ELj4294967295EEENS1_37radix_sort_block_sort_config_selectorIhlEEZNS1_21radix_sort_block_sortIS4_Lb0EPhS8_N6thrust23THRUST_200600_302600_NS10device_ptrIlEESC_NS0_19identity_decomposerEEE10hipError_tT1_T2_T3_T4_jRjT5_jjP12ihipStream_tbEUlT_E_NS1_11comp_targetILNS1_3genE5ELNS1_11target_archE942ELNS1_3gpuE9ELNS1_3repE0EEENS1_44radix_sort_block_sort_config_static_selectorELNS0_4arch9wavefront6targetE1EEEvSF_.num_agpr, 0
	.set _ZN7rocprim17ROCPRIM_400000_NS6detail17trampoline_kernelINS0_13kernel_configILj256ELj4ELj4294967295EEENS1_37radix_sort_block_sort_config_selectorIhlEEZNS1_21radix_sort_block_sortIS4_Lb0EPhS8_N6thrust23THRUST_200600_302600_NS10device_ptrIlEESC_NS0_19identity_decomposerEEE10hipError_tT1_T2_T3_T4_jRjT5_jjP12ihipStream_tbEUlT_E_NS1_11comp_targetILNS1_3genE5ELNS1_11target_archE942ELNS1_3gpuE9ELNS1_3repE0EEENS1_44radix_sort_block_sort_config_static_selectorELNS0_4arch9wavefront6targetE1EEEvSF_.numbered_sgpr, 0
	.set _ZN7rocprim17ROCPRIM_400000_NS6detail17trampoline_kernelINS0_13kernel_configILj256ELj4ELj4294967295EEENS1_37radix_sort_block_sort_config_selectorIhlEEZNS1_21radix_sort_block_sortIS4_Lb0EPhS8_N6thrust23THRUST_200600_302600_NS10device_ptrIlEESC_NS0_19identity_decomposerEEE10hipError_tT1_T2_T3_T4_jRjT5_jjP12ihipStream_tbEUlT_E_NS1_11comp_targetILNS1_3genE5ELNS1_11target_archE942ELNS1_3gpuE9ELNS1_3repE0EEENS1_44radix_sort_block_sort_config_static_selectorELNS0_4arch9wavefront6targetE1EEEvSF_.num_named_barrier, 0
	.set _ZN7rocprim17ROCPRIM_400000_NS6detail17trampoline_kernelINS0_13kernel_configILj256ELj4ELj4294967295EEENS1_37radix_sort_block_sort_config_selectorIhlEEZNS1_21radix_sort_block_sortIS4_Lb0EPhS8_N6thrust23THRUST_200600_302600_NS10device_ptrIlEESC_NS0_19identity_decomposerEEE10hipError_tT1_T2_T3_T4_jRjT5_jjP12ihipStream_tbEUlT_E_NS1_11comp_targetILNS1_3genE5ELNS1_11target_archE942ELNS1_3gpuE9ELNS1_3repE0EEENS1_44radix_sort_block_sort_config_static_selectorELNS0_4arch9wavefront6targetE1EEEvSF_.private_seg_size, 0
	.set _ZN7rocprim17ROCPRIM_400000_NS6detail17trampoline_kernelINS0_13kernel_configILj256ELj4ELj4294967295EEENS1_37radix_sort_block_sort_config_selectorIhlEEZNS1_21radix_sort_block_sortIS4_Lb0EPhS8_N6thrust23THRUST_200600_302600_NS10device_ptrIlEESC_NS0_19identity_decomposerEEE10hipError_tT1_T2_T3_T4_jRjT5_jjP12ihipStream_tbEUlT_E_NS1_11comp_targetILNS1_3genE5ELNS1_11target_archE942ELNS1_3gpuE9ELNS1_3repE0EEENS1_44radix_sort_block_sort_config_static_selectorELNS0_4arch9wavefront6targetE1EEEvSF_.uses_vcc, 0
	.set _ZN7rocprim17ROCPRIM_400000_NS6detail17trampoline_kernelINS0_13kernel_configILj256ELj4ELj4294967295EEENS1_37radix_sort_block_sort_config_selectorIhlEEZNS1_21radix_sort_block_sortIS4_Lb0EPhS8_N6thrust23THRUST_200600_302600_NS10device_ptrIlEESC_NS0_19identity_decomposerEEE10hipError_tT1_T2_T3_T4_jRjT5_jjP12ihipStream_tbEUlT_E_NS1_11comp_targetILNS1_3genE5ELNS1_11target_archE942ELNS1_3gpuE9ELNS1_3repE0EEENS1_44radix_sort_block_sort_config_static_selectorELNS0_4arch9wavefront6targetE1EEEvSF_.uses_flat_scratch, 0
	.set _ZN7rocprim17ROCPRIM_400000_NS6detail17trampoline_kernelINS0_13kernel_configILj256ELj4ELj4294967295EEENS1_37radix_sort_block_sort_config_selectorIhlEEZNS1_21radix_sort_block_sortIS4_Lb0EPhS8_N6thrust23THRUST_200600_302600_NS10device_ptrIlEESC_NS0_19identity_decomposerEEE10hipError_tT1_T2_T3_T4_jRjT5_jjP12ihipStream_tbEUlT_E_NS1_11comp_targetILNS1_3genE5ELNS1_11target_archE942ELNS1_3gpuE9ELNS1_3repE0EEENS1_44radix_sort_block_sort_config_static_selectorELNS0_4arch9wavefront6targetE1EEEvSF_.has_dyn_sized_stack, 0
	.set _ZN7rocprim17ROCPRIM_400000_NS6detail17trampoline_kernelINS0_13kernel_configILj256ELj4ELj4294967295EEENS1_37radix_sort_block_sort_config_selectorIhlEEZNS1_21radix_sort_block_sortIS4_Lb0EPhS8_N6thrust23THRUST_200600_302600_NS10device_ptrIlEESC_NS0_19identity_decomposerEEE10hipError_tT1_T2_T3_T4_jRjT5_jjP12ihipStream_tbEUlT_E_NS1_11comp_targetILNS1_3genE5ELNS1_11target_archE942ELNS1_3gpuE9ELNS1_3repE0EEENS1_44radix_sort_block_sort_config_static_selectorELNS0_4arch9wavefront6targetE1EEEvSF_.has_recursion, 0
	.set _ZN7rocprim17ROCPRIM_400000_NS6detail17trampoline_kernelINS0_13kernel_configILj256ELj4ELj4294967295EEENS1_37radix_sort_block_sort_config_selectorIhlEEZNS1_21radix_sort_block_sortIS4_Lb0EPhS8_N6thrust23THRUST_200600_302600_NS10device_ptrIlEESC_NS0_19identity_decomposerEEE10hipError_tT1_T2_T3_T4_jRjT5_jjP12ihipStream_tbEUlT_E_NS1_11comp_targetILNS1_3genE5ELNS1_11target_archE942ELNS1_3gpuE9ELNS1_3repE0EEENS1_44radix_sort_block_sort_config_static_selectorELNS0_4arch9wavefront6targetE1EEEvSF_.has_indirect_call, 0
	.section	.AMDGPU.csdata,"",@progbits
; Kernel info:
; codeLenInByte = 0
; TotalNumSgprs: 4
; NumVgprs: 0
; ScratchSize: 0
; MemoryBound: 0
; FloatMode: 240
; IeeeMode: 1
; LDSByteSize: 0 bytes/workgroup (compile time only)
; SGPRBlocks: 0
; VGPRBlocks: 0
; NumSGPRsForWavesPerEU: 4
; NumVGPRsForWavesPerEU: 1
; Occupancy: 10
; WaveLimiterHint : 0
; COMPUTE_PGM_RSRC2:SCRATCH_EN: 0
; COMPUTE_PGM_RSRC2:USER_SGPR: 6
; COMPUTE_PGM_RSRC2:TRAP_HANDLER: 0
; COMPUTE_PGM_RSRC2:TGID_X_EN: 1
; COMPUTE_PGM_RSRC2:TGID_Y_EN: 0
; COMPUTE_PGM_RSRC2:TGID_Z_EN: 0
; COMPUTE_PGM_RSRC2:TIDIG_COMP_CNT: 0
	.section	.text._ZN7rocprim17ROCPRIM_400000_NS6detail17trampoline_kernelINS0_13kernel_configILj256ELj4ELj4294967295EEENS1_37radix_sort_block_sort_config_selectorIhlEEZNS1_21radix_sort_block_sortIS4_Lb0EPhS8_N6thrust23THRUST_200600_302600_NS10device_ptrIlEESC_NS0_19identity_decomposerEEE10hipError_tT1_T2_T3_T4_jRjT5_jjP12ihipStream_tbEUlT_E_NS1_11comp_targetILNS1_3genE4ELNS1_11target_archE910ELNS1_3gpuE8ELNS1_3repE0EEENS1_44radix_sort_block_sort_config_static_selectorELNS0_4arch9wavefront6targetE1EEEvSF_,"axG",@progbits,_ZN7rocprim17ROCPRIM_400000_NS6detail17trampoline_kernelINS0_13kernel_configILj256ELj4ELj4294967295EEENS1_37radix_sort_block_sort_config_selectorIhlEEZNS1_21radix_sort_block_sortIS4_Lb0EPhS8_N6thrust23THRUST_200600_302600_NS10device_ptrIlEESC_NS0_19identity_decomposerEEE10hipError_tT1_T2_T3_T4_jRjT5_jjP12ihipStream_tbEUlT_E_NS1_11comp_targetILNS1_3genE4ELNS1_11target_archE910ELNS1_3gpuE8ELNS1_3repE0EEENS1_44radix_sort_block_sort_config_static_selectorELNS0_4arch9wavefront6targetE1EEEvSF_,comdat
	.protected	_ZN7rocprim17ROCPRIM_400000_NS6detail17trampoline_kernelINS0_13kernel_configILj256ELj4ELj4294967295EEENS1_37radix_sort_block_sort_config_selectorIhlEEZNS1_21radix_sort_block_sortIS4_Lb0EPhS8_N6thrust23THRUST_200600_302600_NS10device_ptrIlEESC_NS0_19identity_decomposerEEE10hipError_tT1_T2_T3_T4_jRjT5_jjP12ihipStream_tbEUlT_E_NS1_11comp_targetILNS1_3genE4ELNS1_11target_archE910ELNS1_3gpuE8ELNS1_3repE0EEENS1_44radix_sort_block_sort_config_static_selectorELNS0_4arch9wavefront6targetE1EEEvSF_ ; -- Begin function _ZN7rocprim17ROCPRIM_400000_NS6detail17trampoline_kernelINS0_13kernel_configILj256ELj4ELj4294967295EEENS1_37radix_sort_block_sort_config_selectorIhlEEZNS1_21radix_sort_block_sortIS4_Lb0EPhS8_N6thrust23THRUST_200600_302600_NS10device_ptrIlEESC_NS0_19identity_decomposerEEE10hipError_tT1_T2_T3_T4_jRjT5_jjP12ihipStream_tbEUlT_E_NS1_11comp_targetILNS1_3genE4ELNS1_11target_archE910ELNS1_3gpuE8ELNS1_3repE0EEENS1_44radix_sort_block_sort_config_static_selectorELNS0_4arch9wavefront6targetE1EEEvSF_
	.globl	_ZN7rocprim17ROCPRIM_400000_NS6detail17trampoline_kernelINS0_13kernel_configILj256ELj4ELj4294967295EEENS1_37radix_sort_block_sort_config_selectorIhlEEZNS1_21radix_sort_block_sortIS4_Lb0EPhS8_N6thrust23THRUST_200600_302600_NS10device_ptrIlEESC_NS0_19identity_decomposerEEE10hipError_tT1_T2_T3_T4_jRjT5_jjP12ihipStream_tbEUlT_E_NS1_11comp_targetILNS1_3genE4ELNS1_11target_archE910ELNS1_3gpuE8ELNS1_3repE0EEENS1_44radix_sort_block_sort_config_static_selectorELNS0_4arch9wavefront6targetE1EEEvSF_
	.p2align	8
	.type	_ZN7rocprim17ROCPRIM_400000_NS6detail17trampoline_kernelINS0_13kernel_configILj256ELj4ELj4294967295EEENS1_37radix_sort_block_sort_config_selectorIhlEEZNS1_21radix_sort_block_sortIS4_Lb0EPhS8_N6thrust23THRUST_200600_302600_NS10device_ptrIlEESC_NS0_19identity_decomposerEEE10hipError_tT1_T2_T3_T4_jRjT5_jjP12ihipStream_tbEUlT_E_NS1_11comp_targetILNS1_3genE4ELNS1_11target_archE910ELNS1_3gpuE8ELNS1_3repE0EEENS1_44radix_sort_block_sort_config_static_selectorELNS0_4arch9wavefront6targetE1EEEvSF_,@function
_ZN7rocprim17ROCPRIM_400000_NS6detail17trampoline_kernelINS0_13kernel_configILj256ELj4ELj4294967295EEENS1_37radix_sort_block_sort_config_selectorIhlEEZNS1_21radix_sort_block_sortIS4_Lb0EPhS8_N6thrust23THRUST_200600_302600_NS10device_ptrIlEESC_NS0_19identity_decomposerEEE10hipError_tT1_T2_T3_T4_jRjT5_jjP12ihipStream_tbEUlT_E_NS1_11comp_targetILNS1_3genE4ELNS1_11target_archE910ELNS1_3gpuE8ELNS1_3repE0EEENS1_44radix_sort_block_sort_config_static_selectorELNS0_4arch9wavefront6targetE1EEEvSF_: ; @_ZN7rocprim17ROCPRIM_400000_NS6detail17trampoline_kernelINS0_13kernel_configILj256ELj4ELj4294967295EEENS1_37radix_sort_block_sort_config_selectorIhlEEZNS1_21radix_sort_block_sortIS4_Lb0EPhS8_N6thrust23THRUST_200600_302600_NS10device_ptrIlEESC_NS0_19identity_decomposerEEE10hipError_tT1_T2_T3_T4_jRjT5_jjP12ihipStream_tbEUlT_E_NS1_11comp_targetILNS1_3genE4ELNS1_11target_archE910ELNS1_3gpuE8ELNS1_3repE0EEENS1_44radix_sort_block_sort_config_static_selectorELNS0_4arch9wavefront6targetE1EEEvSF_
; %bb.0:
	.section	.rodata,"a",@progbits
	.p2align	6, 0x0
	.amdhsa_kernel _ZN7rocprim17ROCPRIM_400000_NS6detail17trampoline_kernelINS0_13kernel_configILj256ELj4ELj4294967295EEENS1_37radix_sort_block_sort_config_selectorIhlEEZNS1_21radix_sort_block_sortIS4_Lb0EPhS8_N6thrust23THRUST_200600_302600_NS10device_ptrIlEESC_NS0_19identity_decomposerEEE10hipError_tT1_T2_T3_T4_jRjT5_jjP12ihipStream_tbEUlT_E_NS1_11comp_targetILNS1_3genE4ELNS1_11target_archE910ELNS1_3gpuE8ELNS1_3repE0EEENS1_44radix_sort_block_sort_config_static_selectorELNS0_4arch9wavefront6targetE1EEEvSF_
		.amdhsa_group_segment_fixed_size 0
		.amdhsa_private_segment_fixed_size 0
		.amdhsa_kernarg_size 48
		.amdhsa_user_sgpr_count 6
		.amdhsa_user_sgpr_private_segment_buffer 1
		.amdhsa_user_sgpr_dispatch_ptr 0
		.amdhsa_user_sgpr_queue_ptr 0
		.amdhsa_user_sgpr_kernarg_segment_ptr 1
		.amdhsa_user_sgpr_dispatch_id 0
		.amdhsa_user_sgpr_flat_scratch_init 0
		.amdhsa_user_sgpr_private_segment_size 0
		.amdhsa_uses_dynamic_stack 0
		.amdhsa_system_sgpr_private_segment_wavefront_offset 0
		.amdhsa_system_sgpr_workgroup_id_x 1
		.amdhsa_system_sgpr_workgroup_id_y 0
		.amdhsa_system_sgpr_workgroup_id_z 0
		.amdhsa_system_sgpr_workgroup_info 0
		.amdhsa_system_vgpr_workitem_id 0
		.amdhsa_next_free_vgpr 1
		.amdhsa_next_free_sgpr 0
		.amdhsa_reserve_vcc 0
		.amdhsa_reserve_flat_scratch 0
		.amdhsa_float_round_mode_32 0
		.amdhsa_float_round_mode_16_64 0
		.amdhsa_float_denorm_mode_32 3
		.amdhsa_float_denorm_mode_16_64 3
		.amdhsa_dx10_clamp 1
		.amdhsa_ieee_mode 1
		.amdhsa_fp16_overflow 0
		.amdhsa_exception_fp_ieee_invalid_op 0
		.amdhsa_exception_fp_denorm_src 0
		.amdhsa_exception_fp_ieee_div_zero 0
		.amdhsa_exception_fp_ieee_overflow 0
		.amdhsa_exception_fp_ieee_underflow 0
		.amdhsa_exception_fp_ieee_inexact 0
		.amdhsa_exception_int_div_zero 0
	.end_amdhsa_kernel
	.section	.text._ZN7rocprim17ROCPRIM_400000_NS6detail17trampoline_kernelINS0_13kernel_configILj256ELj4ELj4294967295EEENS1_37radix_sort_block_sort_config_selectorIhlEEZNS1_21radix_sort_block_sortIS4_Lb0EPhS8_N6thrust23THRUST_200600_302600_NS10device_ptrIlEESC_NS0_19identity_decomposerEEE10hipError_tT1_T2_T3_T4_jRjT5_jjP12ihipStream_tbEUlT_E_NS1_11comp_targetILNS1_3genE4ELNS1_11target_archE910ELNS1_3gpuE8ELNS1_3repE0EEENS1_44radix_sort_block_sort_config_static_selectorELNS0_4arch9wavefront6targetE1EEEvSF_,"axG",@progbits,_ZN7rocprim17ROCPRIM_400000_NS6detail17trampoline_kernelINS0_13kernel_configILj256ELj4ELj4294967295EEENS1_37radix_sort_block_sort_config_selectorIhlEEZNS1_21radix_sort_block_sortIS4_Lb0EPhS8_N6thrust23THRUST_200600_302600_NS10device_ptrIlEESC_NS0_19identity_decomposerEEE10hipError_tT1_T2_T3_T4_jRjT5_jjP12ihipStream_tbEUlT_E_NS1_11comp_targetILNS1_3genE4ELNS1_11target_archE910ELNS1_3gpuE8ELNS1_3repE0EEENS1_44radix_sort_block_sort_config_static_selectorELNS0_4arch9wavefront6targetE1EEEvSF_,comdat
.Lfunc_end108:
	.size	_ZN7rocprim17ROCPRIM_400000_NS6detail17trampoline_kernelINS0_13kernel_configILj256ELj4ELj4294967295EEENS1_37radix_sort_block_sort_config_selectorIhlEEZNS1_21radix_sort_block_sortIS4_Lb0EPhS8_N6thrust23THRUST_200600_302600_NS10device_ptrIlEESC_NS0_19identity_decomposerEEE10hipError_tT1_T2_T3_T4_jRjT5_jjP12ihipStream_tbEUlT_E_NS1_11comp_targetILNS1_3genE4ELNS1_11target_archE910ELNS1_3gpuE8ELNS1_3repE0EEENS1_44radix_sort_block_sort_config_static_selectorELNS0_4arch9wavefront6targetE1EEEvSF_, .Lfunc_end108-_ZN7rocprim17ROCPRIM_400000_NS6detail17trampoline_kernelINS0_13kernel_configILj256ELj4ELj4294967295EEENS1_37radix_sort_block_sort_config_selectorIhlEEZNS1_21radix_sort_block_sortIS4_Lb0EPhS8_N6thrust23THRUST_200600_302600_NS10device_ptrIlEESC_NS0_19identity_decomposerEEE10hipError_tT1_T2_T3_T4_jRjT5_jjP12ihipStream_tbEUlT_E_NS1_11comp_targetILNS1_3genE4ELNS1_11target_archE910ELNS1_3gpuE8ELNS1_3repE0EEENS1_44radix_sort_block_sort_config_static_selectorELNS0_4arch9wavefront6targetE1EEEvSF_
                                        ; -- End function
	.set _ZN7rocprim17ROCPRIM_400000_NS6detail17trampoline_kernelINS0_13kernel_configILj256ELj4ELj4294967295EEENS1_37radix_sort_block_sort_config_selectorIhlEEZNS1_21radix_sort_block_sortIS4_Lb0EPhS8_N6thrust23THRUST_200600_302600_NS10device_ptrIlEESC_NS0_19identity_decomposerEEE10hipError_tT1_T2_T3_T4_jRjT5_jjP12ihipStream_tbEUlT_E_NS1_11comp_targetILNS1_3genE4ELNS1_11target_archE910ELNS1_3gpuE8ELNS1_3repE0EEENS1_44radix_sort_block_sort_config_static_selectorELNS0_4arch9wavefront6targetE1EEEvSF_.num_vgpr, 0
	.set _ZN7rocprim17ROCPRIM_400000_NS6detail17trampoline_kernelINS0_13kernel_configILj256ELj4ELj4294967295EEENS1_37radix_sort_block_sort_config_selectorIhlEEZNS1_21radix_sort_block_sortIS4_Lb0EPhS8_N6thrust23THRUST_200600_302600_NS10device_ptrIlEESC_NS0_19identity_decomposerEEE10hipError_tT1_T2_T3_T4_jRjT5_jjP12ihipStream_tbEUlT_E_NS1_11comp_targetILNS1_3genE4ELNS1_11target_archE910ELNS1_3gpuE8ELNS1_3repE0EEENS1_44radix_sort_block_sort_config_static_selectorELNS0_4arch9wavefront6targetE1EEEvSF_.num_agpr, 0
	.set _ZN7rocprim17ROCPRIM_400000_NS6detail17trampoline_kernelINS0_13kernel_configILj256ELj4ELj4294967295EEENS1_37radix_sort_block_sort_config_selectorIhlEEZNS1_21radix_sort_block_sortIS4_Lb0EPhS8_N6thrust23THRUST_200600_302600_NS10device_ptrIlEESC_NS0_19identity_decomposerEEE10hipError_tT1_T2_T3_T4_jRjT5_jjP12ihipStream_tbEUlT_E_NS1_11comp_targetILNS1_3genE4ELNS1_11target_archE910ELNS1_3gpuE8ELNS1_3repE0EEENS1_44radix_sort_block_sort_config_static_selectorELNS0_4arch9wavefront6targetE1EEEvSF_.numbered_sgpr, 0
	.set _ZN7rocprim17ROCPRIM_400000_NS6detail17trampoline_kernelINS0_13kernel_configILj256ELj4ELj4294967295EEENS1_37radix_sort_block_sort_config_selectorIhlEEZNS1_21radix_sort_block_sortIS4_Lb0EPhS8_N6thrust23THRUST_200600_302600_NS10device_ptrIlEESC_NS0_19identity_decomposerEEE10hipError_tT1_T2_T3_T4_jRjT5_jjP12ihipStream_tbEUlT_E_NS1_11comp_targetILNS1_3genE4ELNS1_11target_archE910ELNS1_3gpuE8ELNS1_3repE0EEENS1_44radix_sort_block_sort_config_static_selectorELNS0_4arch9wavefront6targetE1EEEvSF_.num_named_barrier, 0
	.set _ZN7rocprim17ROCPRIM_400000_NS6detail17trampoline_kernelINS0_13kernel_configILj256ELj4ELj4294967295EEENS1_37radix_sort_block_sort_config_selectorIhlEEZNS1_21radix_sort_block_sortIS4_Lb0EPhS8_N6thrust23THRUST_200600_302600_NS10device_ptrIlEESC_NS0_19identity_decomposerEEE10hipError_tT1_T2_T3_T4_jRjT5_jjP12ihipStream_tbEUlT_E_NS1_11comp_targetILNS1_3genE4ELNS1_11target_archE910ELNS1_3gpuE8ELNS1_3repE0EEENS1_44radix_sort_block_sort_config_static_selectorELNS0_4arch9wavefront6targetE1EEEvSF_.private_seg_size, 0
	.set _ZN7rocprim17ROCPRIM_400000_NS6detail17trampoline_kernelINS0_13kernel_configILj256ELj4ELj4294967295EEENS1_37radix_sort_block_sort_config_selectorIhlEEZNS1_21radix_sort_block_sortIS4_Lb0EPhS8_N6thrust23THRUST_200600_302600_NS10device_ptrIlEESC_NS0_19identity_decomposerEEE10hipError_tT1_T2_T3_T4_jRjT5_jjP12ihipStream_tbEUlT_E_NS1_11comp_targetILNS1_3genE4ELNS1_11target_archE910ELNS1_3gpuE8ELNS1_3repE0EEENS1_44radix_sort_block_sort_config_static_selectorELNS0_4arch9wavefront6targetE1EEEvSF_.uses_vcc, 0
	.set _ZN7rocprim17ROCPRIM_400000_NS6detail17trampoline_kernelINS0_13kernel_configILj256ELj4ELj4294967295EEENS1_37radix_sort_block_sort_config_selectorIhlEEZNS1_21radix_sort_block_sortIS4_Lb0EPhS8_N6thrust23THRUST_200600_302600_NS10device_ptrIlEESC_NS0_19identity_decomposerEEE10hipError_tT1_T2_T3_T4_jRjT5_jjP12ihipStream_tbEUlT_E_NS1_11comp_targetILNS1_3genE4ELNS1_11target_archE910ELNS1_3gpuE8ELNS1_3repE0EEENS1_44radix_sort_block_sort_config_static_selectorELNS0_4arch9wavefront6targetE1EEEvSF_.uses_flat_scratch, 0
	.set _ZN7rocprim17ROCPRIM_400000_NS6detail17trampoline_kernelINS0_13kernel_configILj256ELj4ELj4294967295EEENS1_37radix_sort_block_sort_config_selectorIhlEEZNS1_21radix_sort_block_sortIS4_Lb0EPhS8_N6thrust23THRUST_200600_302600_NS10device_ptrIlEESC_NS0_19identity_decomposerEEE10hipError_tT1_T2_T3_T4_jRjT5_jjP12ihipStream_tbEUlT_E_NS1_11comp_targetILNS1_3genE4ELNS1_11target_archE910ELNS1_3gpuE8ELNS1_3repE0EEENS1_44radix_sort_block_sort_config_static_selectorELNS0_4arch9wavefront6targetE1EEEvSF_.has_dyn_sized_stack, 0
	.set _ZN7rocprim17ROCPRIM_400000_NS6detail17trampoline_kernelINS0_13kernel_configILj256ELj4ELj4294967295EEENS1_37radix_sort_block_sort_config_selectorIhlEEZNS1_21radix_sort_block_sortIS4_Lb0EPhS8_N6thrust23THRUST_200600_302600_NS10device_ptrIlEESC_NS0_19identity_decomposerEEE10hipError_tT1_T2_T3_T4_jRjT5_jjP12ihipStream_tbEUlT_E_NS1_11comp_targetILNS1_3genE4ELNS1_11target_archE910ELNS1_3gpuE8ELNS1_3repE0EEENS1_44radix_sort_block_sort_config_static_selectorELNS0_4arch9wavefront6targetE1EEEvSF_.has_recursion, 0
	.set _ZN7rocprim17ROCPRIM_400000_NS6detail17trampoline_kernelINS0_13kernel_configILj256ELj4ELj4294967295EEENS1_37radix_sort_block_sort_config_selectorIhlEEZNS1_21radix_sort_block_sortIS4_Lb0EPhS8_N6thrust23THRUST_200600_302600_NS10device_ptrIlEESC_NS0_19identity_decomposerEEE10hipError_tT1_T2_T3_T4_jRjT5_jjP12ihipStream_tbEUlT_E_NS1_11comp_targetILNS1_3genE4ELNS1_11target_archE910ELNS1_3gpuE8ELNS1_3repE0EEENS1_44radix_sort_block_sort_config_static_selectorELNS0_4arch9wavefront6targetE1EEEvSF_.has_indirect_call, 0
	.section	.AMDGPU.csdata,"",@progbits
; Kernel info:
; codeLenInByte = 0
; TotalNumSgprs: 4
; NumVgprs: 0
; ScratchSize: 0
; MemoryBound: 0
; FloatMode: 240
; IeeeMode: 1
; LDSByteSize: 0 bytes/workgroup (compile time only)
; SGPRBlocks: 0
; VGPRBlocks: 0
; NumSGPRsForWavesPerEU: 4
; NumVGPRsForWavesPerEU: 1
; Occupancy: 10
; WaveLimiterHint : 0
; COMPUTE_PGM_RSRC2:SCRATCH_EN: 0
; COMPUTE_PGM_RSRC2:USER_SGPR: 6
; COMPUTE_PGM_RSRC2:TRAP_HANDLER: 0
; COMPUTE_PGM_RSRC2:TGID_X_EN: 1
; COMPUTE_PGM_RSRC2:TGID_Y_EN: 0
; COMPUTE_PGM_RSRC2:TGID_Z_EN: 0
; COMPUTE_PGM_RSRC2:TIDIG_COMP_CNT: 0
	.section	.text._ZN7rocprim17ROCPRIM_400000_NS6detail17trampoline_kernelINS0_13kernel_configILj256ELj4ELj4294967295EEENS1_37radix_sort_block_sort_config_selectorIhlEEZNS1_21radix_sort_block_sortIS4_Lb0EPhS8_N6thrust23THRUST_200600_302600_NS10device_ptrIlEESC_NS0_19identity_decomposerEEE10hipError_tT1_T2_T3_T4_jRjT5_jjP12ihipStream_tbEUlT_E_NS1_11comp_targetILNS1_3genE3ELNS1_11target_archE908ELNS1_3gpuE7ELNS1_3repE0EEENS1_44radix_sort_block_sort_config_static_selectorELNS0_4arch9wavefront6targetE1EEEvSF_,"axG",@progbits,_ZN7rocprim17ROCPRIM_400000_NS6detail17trampoline_kernelINS0_13kernel_configILj256ELj4ELj4294967295EEENS1_37radix_sort_block_sort_config_selectorIhlEEZNS1_21radix_sort_block_sortIS4_Lb0EPhS8_N6thrust23THRUST_200600_302600_NS10device_ptrIlEESC_NS0_19identity_decomposerEEE10hipError_tT1_T2_T3_T4_jRjT5_jjP12ihipStream_tbEUlT_E_NS1_11comp_targetILNS1_3genE3ELNS1_11target_archE908ELNS1_3gpuE7ELNS1_3repE0EEENS1_44radix_sort_block_sort_config_static_selectorELNS0_4arch9wavefront6targetE1EEEvSF_,comdat
	.protected	_ZN7rocprim17ROCPRIM_400000_NS6detail17trampoline_kernelINS0_13kernel_configILj256ELj4ELj4294967295EEENS1_37radix_sort_block_sort_config_selectorIhlEEZNS1_21radix_sort_block_sortIS4_Lb0EPhS8_N6thrust23THRUST_200600_302600_NS10device_ptrIlEESC_NS0_19identity_decomposerEEE10hipError_tT1_T2_T3_T4_jRjT5_jjP12ihipStream_tbEUlT_E_NS1_11comp_targetILNS1_3genE3ELNS1_11target_archE908ELNS1_3gpuE7ELNS1_3repE0EEENS1_44radix_sort_block_sort_config_static_selectorELNS0_4arch9wavefront6targetE1EEEvSF_ ; -- Begin function _ZN7rocprim17ROCPRIM_400000_NS6detail17trampoline_kernelINS0_13kernel_configILj256ELj4ELj4294967295EEENS1_37radix_sort_block_sort_config_selectorIhlEEZNS1_21radix_sort_block_sortIS4_Lb0EPhS8_N6thrust23THRUST_200600_302600_NS10device_ptrIlEESC_NS0_19identity_decomposerEEE10hipError_tT1_T2_T3_T4_jRjT5_jjP12ihipStream_tbEUlT_E_NS1_11comp_targetILNS1_3genE3ELNS1_11target_archE908ELNS1_3gpuE7ELNS1_3repE0EEENS1_44radix_sort_block_sort_config_static_selectorELNS0_4arch9wavefront6targetE1EEEvSF_
	.globl	_ZN7rocprim17ROCPRIM_400000_NS6detail17trampoline_kernelINS0_13kernel_configILj256ELj4ELj4294967295EEENS1_37radix_sort_block_sort_config_selectorIhlEEZNS1_21radix_sort_block_sortIS4_Lb0EPhS8_N6thrust23THRUST_200600_302600_NS10device_ptrIlEESC_NS0_19identity_decomposerEEE10hipError_tT1_T2_T3_T4_jRjT5_jjP12ihipStream_tbEUlT_E_NS1_11comp_targetILNS1_3genE3ELNS1_11target_archE908ELNS1_3gpuE7ELNS1_3repE0EEENS1_44radix_sort_block_sort_config_static_selectorELNS0_4arch9wavefront6targetE1EEEvSF_
	.p2align	8
	.type	_ZN7rocprim17ROCPRIM_400000_NS6detail17trampoline_kernelINS0_13kernel_configILj256ELj4ELj4294967295EEENS1_37radix_sort_block_sort_config_selectorIhlEEZNS1_21radix_sort_block_sortIS4_Lb0EPhS8_N6thrust23THRUST_200600_302600_NS10device_ptrIlEESC_NS0_19identity_decomposerEEE10hipError_tT1_T2_T3_T4_jRjT5_jjP12ihipStream_tbEUlT_E_NS1_11comp_targetILNS1_3genE3ELNS1_11target_archE908ELNS1_3gpuE7ELNS1_3repE0EEENS1_44radix_sort_block_sort_config_static_selectorELNS0_4arch9wavefront6targetE1EEEvSF_,@function
_ZN7rocprim17ROCPRIM_400000_NS6detail17trampoline_kernelINS0_13kernel_configILj256ELj4ELj4294967295EEENS1_37radix_sort_block_sort_config_selectorIhlEEZNS1_21radix_sort_block_sortIS4_Lb0EPhS8_N6thrust23THRUST_200600_302600_NS10device_ptrIlEESC_NS0_19identity_decomposerEEE10hipError_tT1_T2_T3_T4_jRjT5_jjP12ihipStream_tbEUlT_E_NS1_11comp_targetILNS1_3genE3ELNS1_11target_archE908ELNS1_3gpuE7ELNS1_3repE0EEENS1_44radix_sort_block_sort_config_static_selectorELNS0_4arch9wavefront6targetE1EEEvSF_: ; @_ZN7rocprim17ROCPRIM_400000_NS6detail17trampoline_kernelINS0_13kernel_configILj256ELj4ELj4294967295EEENS1_37radix_sort_block_sort_config_selectorIhlEEZNS1_21radix_sort_block_sortIS4_Lb0EPhS8_N6thrust23THRUST_200600_302600_NS10device_ptrIlEESC_NS0_19identity_decomposerEEE10hipError_tT1_T2_T3_T4_jRjT5_jjP12ihipStream_tbEUlT_E_NS1_11comp_targetILNS1_3genE3ELNS1_11target_archE908ELNS1_3gpuE7ELNS1_3repE0EEENS1_44radix_sort_block_sort_config_static_selectorELNS0_4arch9wavefront6targetE1EEEvSF_
; %bb.0:
	.section	.rodata,"a",@progbits
	.p2align	6, 0x0
	.amdhsa_kernel _ZN7rocprim17ROCPRIM_400000_NS6detail17trampoline_kernelINS0_13kernel_configILj256ELj4ELj4294967295EEENS1_37radix_sort_block_sort_config_selectorIhlEEZNS1_21radix_sort_block_sortIS4_Lb0EPhS8_N6thrust23THRUST_200600_302600_NS10device_ptrIlEESC_NS0_19identity_decomposerEEE10hipError_tT1_T2_T3_T4_jRjT5_jjP12ihipStream_tbEUlT_E_NS1_11comp_targetILNS1_3genE3ELNS1_11target_archE908ELNS1_3gpuE7ELNS1_3repE0EEENS1_44radix_sort_block_sort_config_static_selectorELNS0_4arch9wavefront6targetE1EEEvSF_
		.amdhsa_group_segment_fixed_size 0
		.amdhsa_private_segment_fixed_size 0
		.amdhsa_kernarg_size 48
		.amdhsa_user_sgpr_count 6
		.amdhsa_user_sgpr_private_segment_buffer 1
		.amdhsa_user_sgpr_dispatch_ptr 0
		.amdhsa_user_sgpr_queue_ptr 0
		.amdhsa_user_sgpr_kernarg_segment_ptr 1
		.amdhsa_user_sgpr_dispatch_id 0
		.amdhsa_user_sgpr_flat_scratch_init 0
		.amdhsa_user_sgpr_private_segment_size 0
		.amdhsa_uses_dynamic_stack 0
		.amdhsa_system_sgpr_private_segment_wavefront_offset 0
		.amdhsa_system_sgpr_workgroup_id_x 1
		.amdhsa_system_sgpr_workgroup_id_y 0
		.amdhsa_system_sgpr_workgroup_id_z 0
		.amdhsa_system_sgpr_workgroup_info 0
		.amdhsa_system_vgpr_workitem_id 0
		.amdhsa_next_free_vgpr 1
		.amdhsa_next_free_sgpr 0
		.amdhsa_reserve_vcc 0
		.amdhsa_reserve_flat_scratch 0
		.amdhsa_float_round_mode_32 0
		.amdhsa_float_round_mode_16_64 0
		.amdhsa_float_denorm_mode_32 3
		.amdhsa_float_denorm_mode_16_64 3
		.amdhsa_dx10_clamp 1
		.amdhsa_ieee_mode 1
		.amdhsa_fp16_overflow 0
		.amdhsa_exception_fp_ieee_invalid_op 0
		.amdhsa_exception_fp_denorm_src 0
		.amdhsa_exception_fp_ieee_div_zero 0
		.amdhsa_exception_fp_ieee_overflow 0
		.amdhsa_exception_fp_ieee_underflow 0
		.amdhsa_exception_fp_ieee_inexact 0
		.amdhsa_exception_int_div_zero 0
	.end_amdhsa_kernel
	.section	.text._ZN7rocprim17ROCPRIM_400000_NS6detail17trampoline_kernelINS0_13kernel_configILj256ELj4ELj4294967295EEENS1_37radix_sort_block_sort_config_selectorIhlEEZNS1_21radix_sort_block_sortIS4_Lb0EPhS8_N6thrust23THRUST_200600_302600_NS10device_ptrIlEESC_NS0_19identity_decomposerEEE10hipError_tT1_T2_T3_T4_jRjT5_jjP12ihipStream_tbEUlT_E_NS1_11comp_targetILNS1_3genE3ELNS1_11target_archE908ELNS1_3gpuE7ELNS1_3repE0EEENS1_44radix_sort_block_sort_config_static_selectorELNS0_4arch9wavefront6targetE1EEEvSF_,"axG",@progbits,_ZN7rocprim17ROCPRIM_400000_NS6detail17trampoline_kernelINS0_13kernel_configILj256ELj4ELj4294967295EEENS1_37radix_sort_block_sort_config_selectorIhlEEZNS1_21radix_sort_block_sortIS4_Lb0EPhS8_N6thrust23THRUST_200600_302600_NS10device_ptrIlEESC_NS0_19identity_decomposerEEE10hipError_tT1_T2_T3_T4_jRjT5_jjP12ihipStream_tbEUlT_E_NS1_11comp_targetILNS1_3genE3ELNS1_11target_archE908ELNS1_3gpuE7ELNS1_3repE0EEENS1_44radix_sort_block_sort_config_static_selectorELNS0_4arch9wavefront6targetE1EEEvSF_,comdat
.Lfunc_end109:
	.size	_ZN7rocprim17ROCPRIM_400000_NS6detail17trampoline_kernelINS0_13kernel_configILj256ELj4ELj4294967295EEENS1_37radix_sort_block_sort_config_selectorIhlEEZNS1_21radix_sort_block_sortIS4_Lb0EPhS8_N6thrust23THRUST_200600_302600_NS10device_ptrIlEESC_NS0_19identity_decomposerEEE10hipError_tT1_T2_T3_T4_jRjT5_jjP12ihipStream_tbEUlT_E_NS1_11comp_targetILNS1_3genE3ELNS1_11target_archE908ELNS1_3gpuE7ELNS1_3repE0EEENS1_44radix_sort_block_sort_config_static_selectorELNS0_4arch9wavefront6targetE1EEEvSF_, .Lfunc_end109-_ZN7rocprim17ROCPRIM_400000_NS6detail17trampoline_kernelINS0_13kernel_configILj256ELj4ELj4294967295EEENS1_37radix_sort_block_sort_config_selectorIhlEEZNS1_21radix_sort_block_sortIS4_Lb0EPhS8_N6thrust23THRUST_200600_302600_NS10device_ptrIlEESC_NS0_19identity_decomposerEEE10hipError_tT1_T2_T3_T4_jRjT5_jjP12ihipStream_tbEUlT_E_NS1_11comp_targetILNS1_3genE3ELNS1_11target_archE908ELNS1_3gpuE7ELNS1_3repE0EEENS1_44radix_sort_block_sort_config_static_selectorELNS0_4arch9wavefront6targetE1EEEvSF_
                                        ; -- End function
	.set _ZN7rocprim17ROCPRIM_400000_NS6detail17trampoline_kernelINS0_13kernel_configILj256ELj4ELj4294967295EEENS1_37radix_sort_block_sort_config_selectorIhlEEZNS1_21radix_sort_block_sortIS4_Lb0EPhS8_N6thrust23THRUST_200600_302600_NS10device_ptrIlEESC_NS0_19identity_decomposerEEE10hipError_tT1_T2_T3_T4_jRjT5_jjP12ihipStream_tbEUlT_E_NS1_11comp_targetILNS1_3genE3ELNS1_11target_archE908ELNS1_3gpuE7ELNS1_3repE0EEENS1_44radix_sort_block_sort_config_static_selectorELNS0_4arch9wavefront6targetE1EEEvSF_.num_vgpr, 0
	.set _ZN7rocprim17ROCPRIM_400000_NS6detail17trampoline_kernelINS0_13kernel_configILj256ELj4ELj4294967295EEENS1_37radix_sort_block_sort_config_selectorIhlEEZNS1_21radix_sort_block_sortIS4_Lb0EPhS8_N6thrust23THRUST_200600_302600_NS10device_ptrIlEESC_NS0_19identity_decomposerEEE10hipError_tT1_T2_T3_T4_jRjT5_jjP12ihipStream_tbEUlT_E_NS1_11comp_targetILNS1_3genE3ELNS1_11target_archE908ELNS1_3gpuE7ELNS1_3repE0EEENS1_44radix_sort_block_sort_config_static_selectorELNS0_4arch9wavefront6targetE1EEEvSF_.num_agpr, 0
	.set _ZN7rocprim17ROCPRIM_400000_NS6detail17trampoline_kernelINS0_13kernel_configILj256ELj4ELj4294967295EEENS1_37radix_sort_block_sort_config_selectorIhlEEZNS1_21radix_sort_block_sortIS4_Lb0EPhS8_N6thrust23THRUST_200600_302600_NS10device_ptrIlEESC_NS0_19identity_decomposerEEE10hipError_tT1_T2_T3_T4_jRjT5_jjP12ihipStream_tbEUlT_E_NS1_11comp_targetILNS1_3genE3ELNS1_11target_archE908ELNS1_3gpuE7ELNS1_3repE0EEENS1_44radix_sort_block_sort_config_static_selectorELNS0_4arch9wavefront6targetE1EEEvSF_.numbered_sgpr, 0
	.set _ZN7rocprim17ROCPRIM_400000_NS6detail17trampoline_kernelINS0_13kernel_configILj256ELj4ELj4294967295EEENS1_37radix_sort_block_sort_config_selectorIhlEEZNS1_21radix_sort_block_sortIS4_Lb0EPhS8_N6thrust23THRUST_200600_302600_NS10device_ptrIlEESC_NS0_19identity_decomposerEEE10hipError_tT1_T2_T3_T4_jRjT5_jjP12ihipStream_tbEUlT_E_NS1_11comp_targetILNS1_3genE3ELNS1_11target_archE908ELNS1_3gpuE7ELNS1_3repE0EEENS1_44radix_sort_block_sort_config_static_selectorELNS0_4arch9wavefront6targetE1EEEvSF_.num_named_barrier, 0
	.set _ZN7rocprim17ROCPRIM_400000_NS6detail17trampoline_kernelINS0_13kernel_configILj256ELj4ELj4294967295EEENS1_37radix_sort_block_sort_config_selectorIhlEEZNS1_21radix_sort_block_sortIS4_Lb0EPhS8_N6thrust23THRUST_200600_302600_NS10device_ptrIlEESC_NS0_19identity_decomposerEEE10hipError_tT1_T2_T3_T4_jRjT5_jjP12ihipStream_tbEUlT_E_NS1_11comp_targetILNS1_3genE3ELNS1_11target_archE908ELNS1_3gpuE7ELNS1_3repE0EEENS1_44radix_sort_block_sort_config_static_selectorELNS0_4arch9wavefront6targetE1EEEvSF_.private_seg_size, 0
	.set _ZN7rocprim17ROCPRIM_400000_NS6detail17trampoline_kernelINS0_13kernel_configILj256ELj4ELj4294967295EEENS1_37radix_sort_block_sort_config_selectorIhlEEZNS1_21radix_sort_block_sortIS4_Lb0EPhS8_N6thrust23THRUST_200600_302600_NS10device_ptrIlEESC_NS0_19identity_decomposerEEE10hipError_tT1_T2_T3_T4_jRjT5_jjP12ihipStream_tbEUlT_E_NS1_11comp_targetILNS1_3genE3ELNS1_11target_archE908ELNS1_3gpuE7ELNS1_3repE0EEENS1_44radix_sort_block_sort_config_static_selectorELNS0_4arch9wavefront6targetE1EEEvSF_.uses_vcc, 0
	.set _ZN7rocprim17ROCPRIM_400000_NS6detail17trampoline_kernelINS0_13kernel_configILj256ELj4ELj4294967295EEENS1_37radix_sort_block_sort_config_selectorIhlEEZNS1_21radix_sort_block_sortIS4_Lb0EPhS8_N6thrust23THRUST_200600_302600_NS10device_ptrIlEESC_NS0_19identity_decomposerEEE10hipError_tT1_T2_T3_T4_jRjT5_jjP12ihipStream_tbEUlT_E_NS1_11comp_targetILNS1_3genE3ELNS1_11target_archE908ELNS1_3gpuE7ELNS1_3repE0EEENS1_44radix_sort_block_sort_config_static_selectorELNS0_4arch9wavefront6targetE1EEEvSF_.uses_flat_scratch, 0
	.set _ZN7rocprim17ROCPRIM_400000_NS6detail17trampoline_kernelINS0_13kernel_configILj256ELj4ELj4294967295EEENS1_37radix_sort_block_sort_config_selectorIhlEEZNS1_21radix_sort_block_sortIS4_Lb0EPhS8_N6thrust23THRUST_200600_302600_NS10device_ptrIlEESC_NS0_19identity_decomposerEEE10hipError_tT1_T2_T3_T4_jRjT5_jjP12ihipStream_tbEUlT_E_NS1_11comp_targetILNS1_3genE3ELNS1_11target_archE908ELNS1_3gpuE7ELNS1_3repE0EEENS1_44radix_sort_block_sort_config_static_selectorELNS0_4arch9wavefront6targetE1EEEvSF_.has_dyn_sized_stack, 0
	.set _ZN7rocprim17ROCPRIM_400000_NS6detail17trampoline_kernelINS0_13kernel_configILj256ELj4ELj4294967295EEENS1_37radix_sort_block_sort_config_selectorIhlEEZNS1_21radix_sort_block_sortIS4_Lb0EPhS8_N6thrust23THRUST_200600_302600_NS10device_ptrIlEESC_NS0_19identity_decomposerEEE10hipError_tT1_T2_T3_T4_jRjT5_jjP12ihipStream_tbEUlT_E_NS1_11comp_targetILNS1_3genE3ELNS1_11target_archE908ELNS1_3gpuE7ELNS1_3repE0EEENS1_44radix_sort_block_sort_config_static_selectorELNS0_4arch9wavefront6targetE1EEEvSF_.has_recursion, 0
	.set _ZN7rocprim17ROCPRIM_400000_NS6detail17trampoline_kernelINS0_13kernel_configILj256ELj4ELj4294967295EEENS1_37radix_sort_block_sort_config_selectorIhlEEZNS1_21radix_sort_block_sortIS4_Lb0EPhS8_N6thrust23THRUST_200600_302600_NS10device_ptrIlEESC_NS0_19identity_decomposerEEE10hipError_tT1_T2_T3_T4_jRjT5_jjP12ihipStream_tbEUlT_E_NS1_11comp_targetILNS1_3genE3ELNS1_11target_archE908ELNS1_3gpuE7ELNS1_3repE0EEENS1_44radix_sort_block_sort_config_static_selectorELNS0_4arch9wavefront6targetE1EEEvSF_.has_indirect_call, 0
	.section	.AMDGPU.csdata,"",@progbits
; Kernel info:
; codeLenInByte = 0
; TotalNumSgprs: 4
; NumVgprs: 0
; ScratchSize: 0
; MemoryBound: 0
; FloatMode: 240
; IeeeMode: 1
; LDSByteSize: 0 bytes/workgroup (compile time only)
; SGPRBlocks: 0
; VGPRBlocks: 0
; NumSGPRsForWavesPerEU: 4
; NumVGPRsForWavesPerEU: 1
; Occupancy: 10
; WaveLimiterHint : 0
; COMPUTE_PGM_RSRC2:SCRATCH_EN: 0
; COMPUTE_PGM_RSRC2:USER_SGPR: 6
; COMPUTE_PGM_RSRC2:TRAP_HANDLER: 0
; COMPUTE_PGM_RSRC2:TGID_X_EN: 1
; COMPUTE_PGM_RSRC2:TGID_Y_EN: 0
; COMPUTE_PGM_RSRC2:TGID_Z_EN: 0
; COMPUTE_PGM_RSRC2:TIDIG_COMP_CNT: 0
	.section	.text._ZN7rocprim17ROCPRIM_400000_NS6detail17trampoline_kernelINS0_13kernel_configILj256ELj4ELj4294967295EEENS1_37radix_sort_block_sort_config_selectorIhlEEZNS1_21radix_sort_block_sortIS4_Lb0EPhS8_N6thrust23THRUST_200600_302600_NS10device_ptrIlEESC_NS0_19identity_decomposerEEE10hipError_tT1_T2_T3_T4_jRjT5_jjP12ihipStream_tbEUlT_E_NS1_11comp_targetILNS1_3genE2ELNS1_11target_archE906ELNS1_3gpuE6ELNS1_3repE0EEENS1_44radix_sort_block_sort_config_static_selectorELNS0_4arch9wavefront6targetE1EEEvSF_,"axG",@progbits,_ZN7rocprim17ROCPRIM_400000_NS6detail17trampoline_kernelINS0_13kernel_configILj256ELj4ELj4294967295EEENS1_37radix_sort_block_sort_config_selectorIhlEEZNS1_21radix_sort_block_sortIS4_Lb0EPhS8_N6thrust23THRUST_200600_302600_NS10device_ptrIlEESC_NS0_19identity_decomposerEEE10hipError_tT1_T2_T3_T4_jRjT5_jjP12ihipStream_tbEUlT_E_NS1_11comp_targetILNS1_3genE2ELNS1_11target_archE906ELNS1_3gpuE6ELNS1_3repE0EEENS1_44radix_sort_block_sort_config_static_selectorELNS0_4arch9wavefront6targetE1EEEvSF_,comdat
	.protected	_ZN7rocprim17ROCPRIM_400000_NS6detail17trampoline_kernelINS0_13kernel_configILj256ELj4ELj4294967295EEENS1_37radix_sort_block_sort_config_selectorIhlEEZNS1_21radix_sort_block_sortIS4_Lb0EPhS8_N6thrust23THRUST_200600_302600_NS10device_ptrIlEESC_NS0_19identity_decomposerEEE10hipError_tT1_T2_T3_T4_jRjT5_jjP12ihipStream_tbEUlT_E_NS1_11comp_targetILNS1_3genE2ELNS1_11target_archE906ELNS1_3gpuE6ELNS1_3repE0EEENS1_44radix_sort_block_sort_config_static_selectorELNS0_4arch9wavefront6targetE1EEEvSF_ ; -- Begin function _ZN7rocprim17ROCPRIM_400000_NS6detail17trampoline_kernelINS0_13kernel_configILj256ELj4ELj4294967295EEENS1_37radix_sort_block_sort_config_selectorIhlEEZNS1_21radix_sort_block_sortIS4_Lb0EPhS8_N6thrust23THRUST_200600_302600_NS10device_ptrIlEESC_NS0_19identity_decomposerEEE10hipError_tT1_T2_T3_T4_jRjT5_jjP12ihipStream_tbEUlT_E_NS1_11comp_targetILNS1_3genE2ELNS1_11target_archE906ELNS1_3gpuE6ELNS1_3repE0EEENS1_44radix_sort_block_sort_config_static_selectorELNS0_4arch9wavefront6targetE1EEEvSF_
	.globl	_ZN7rocprim17ROCPRIM_400000_NS6detail17trampoline_kernelINS0_13kernel_configILj256ELj4ELj4294967295EEENS1_37radix_sort_block_sort_config_selectorIhlEEZNS1_21radix_sort_block_sortIS4_Lb0EPhS8_N6thrust23THRUST_200600_302600_NS10device_ptrIlEESC_NS0_19identity_decomposerEEE10hipError_tT1_T2_T3_T4_jRjT5_jjP12ihipStream_tbEUlT_E_NS1_11comp_targetILNS1_3genE2ELNS1_11target_archE906ELNS1_3gpuE6ELNS1_3repE0EEENS1_44radix_sort_block_sort_config_static_selectorELNS0_4arch9wavefront6targetE1EEEvSF_
	.p2align	8
	.type	_ZN7rocprim17ROCPRIM_400000_NS6detail17trampoline_kernelINS0_13kernel_configILj256ELj4ELj4294967295EEENS1_37radix_sort_block_sort_config_selectorIhlEEZNS1_21radix_sort_block_sortIS4_Lb0EPhS8_N6thrust23THRUST_200600_302600_NS10device_ptrIlEESC_NS0_19identity_decomposerEEE10hipError_tT1_T2_T3_T4_jRjT5_jjP12ihipStream_tbEUlT_E_NS1_11comp_targetILNS1_3genE2ELNS1_11target_archE906ELNS1_3gpuE6ELNS1_3repE0EEENS1_44radix_sort_block_sort_config_static_selectorELNS0_4arch9wavefront6targetE1EEEvSF_,@function
_ZN7rocprim17ROCPRIM_400000_NS6detail17trampoline_kernelINS0_13kernel_configILj256ELj4ELj4294967295EEENS1_37radix_sort_block_sort_config_selectorIhlEEZNS1_21radix_sort_block_sortIS4_Lb0EPhS8_N6thrust23THRUST_200600_302600_NS10device_ptrIlEESC_NS0_19identity_decomposerEEE10hipError_tT1_T2_T3_T4_jRjT5_jjP12ihipStream_tbEUlT_E_NS1_11comp_targetILNS1_3genE2ELNS1_11target_archE906ELNS1_3gpuE6ELNS1_3repE0EEENS1_44radix_sort_block_sort_config_static_selectorELNS0_4arch9wavefront6targetE1EEEvSF_: ; @_ZN7rocprim17ROCPRIM_400000_NS6detail17trampoline_kernelINS0_13kernel_configILj256ELj4ELj4294967295EEENS1_37radix_sort_block_sort_config_selectorIhlEEZNS1_21radix_sort_block_sortIS4_Lb0EPhS8_N6thrust23THRUST_200600_302600_NS10device_ptrIlEESC_NS0_19identity_decomposerEEE10hipError_tT1_T2_T3_T4_jRjT5_jjP12ihipStream_tbEUlT_E_NS1_11comp_targetILNS1_3genE2ELNS1_11target_archE906ELNS1_3gpuE6ELNS1_3repE0EEENS1_44radix_sort_block_sort_config_static_selectorELNS0_4arch9wavefront6targetE1EEEvSF_
; %bb.0:
	s_load_dword s2, s[4:5], 0x20
	s_load_dwordx8 s[36:43], s[4:5], 0x0
	s_lshl_b32 s28, s6, 10
	v_mbcnt_lo_u32_b32 v3, -1, 0
	v_mbcnt_hi_u32_b32 v11, -1, v3
	s_waitcnt lgkmcnt(0)
	s_lshr_b32 s0, s2, 10
	s_cmp_lg_u32 s6, s0
	s_cselect_b64 s[30:31], -1, 0
	s_add_u32 s1, s36, s28
	s_addc_u32 s3, s37, 0
	v_and_b32_e32 v25, 63, v11
	v_lshlrev_b32_e32 v3, 2, v0
	v_and_b32_e32 v26, 0x300, v3
	v_mov_b32_e32 v3, s3
	v_add_co_u32_e32 v4, vcc, s1, v25
	v_addc_co_u32_e32 v3, vcc, 0, v3, vcc
	v_add_co_u32_e32 v9, vcc, v4, v26
	s_mov_b32 s29, 0
	s_cmp_eq_u32 s6, s0
	v_addc_co_u32_e32 v10, vcc, 0, v3, vcc
	v_lshlrev_b32_e32 v12, 3, v25
	v_lshlrev_b32_e32 v13, 3, v26
	s_cbranch_scc1 .LBB110_2
; %bb.1:
	s_lshl_b64 s[0:1], s[28:29], 3
	s_add_u32 s0, s40, s0
	s_addc_u32 s1, s41, s1
	v_mov_b32_e32 v3, s1
	v_add_co_u32_e32 v4, vcc, s0, v12
	v_addc_co_u32_e32 v3, vcc, 0, v3, vcc
	v_add_co_u32_e32 v14, vcc, v4, v13
	global_load_ubyte v27, v[9:10], off offset:192
	global_load_ubyte v30, v[9:10], off offset:128
	;; [unrolled: 1-line block ×3, first 2 shown]
	global_load_ubyte v28, v[9:10], off
	v_addc_co_u32_e32 v15, vcc, 0, v3, vcc
	global_load_dwordx2 v[3:4], v[14:15], off
	global_load_dwordx2 v[5:6], v[14:15], off offset:512
	global_load_dwordx2 v[7:8], v[14:15], off offset:1024
	s_mov_b64 s[8:9], -1
	s_load_dwordx2 s[34:35], s[4:5], 0x28
	s_sub_i32 s33, s2, s28
	s_cbranch_execz .LBB110_3
	s_branch .LBB110_16
.LBB110_2:
	s_mov_b64 s[8:9], 0
                                        ; implicit-def: $vgpr28
                                        ; implicit-def: $vgpr29
                                        ; implicit-def: $vgpr30
                                        ; implicit-def: $vgpr27
                                        ; implicit-def: $vgpr3_vgpr4
                                        ; implicit-def: $vgpr7_vgpr8
	s_load_dwordx2 s[34:35], s[4:5], 0x28
	s_sub_i32 s33, s2, s28
.LBB110_3:
	s_waitcnt vmcnt(2)
	v_or_b32_e32 v3, v25, v26
	v_cmp_gt_u32_e32 vcc, s33, v3
	v_mov_b32_e32 v27, 0xff
	v_mov_b32_e32 v28, 0xff
	;; [unrolled: 1-line block ×4, first 2 shown]
	s_and_saveexec_b64 s[0:1], vcc
	s_cbranch_execz .LBB110_5
; %bb.4:
	global_load_ubyte v28, v[9:10], off
	v_mov_b32_e32 v27, 0xff
	v_mov_b32_e32 v29, 0xff
	;; [unrolled: 1-line block ×3, first 2 shown]
.LBB110_5:
	s_or_b64 exec, exec, s[0:1]
	v_or_b32_e32 v4, 64, v3
	v_cmp_gt_u32_e64 s[0:1], s33, v4
	s_and_saveexec_b64 s[2:3], s[0:1]
	s_cbranch_execz .LBB110_7
; %bb.6:
	global_load_ubyte v29, v[9:10], off offset:64
.LBB110_7:
	s_or_b64 exec, exec, s[2:3]
	v_or_b32_e32 v4, 0x80, v3
	v_cmp_gt_u32_e64 s[2:3], s33, v4
	s_and_saveexec_b64 s[6:7], s[2:3]
	s_cbranch_execz .LBB110_9
; %bb.8:
	global_load_ubyte v30, v[9:10], off offset:128
.LBB110_9:
	;; [unrolled: 8-line block ×3, first 2 shown]
	s_or_b64 exec, exec, s[6:7]
	s_lshl_b64 s[6:7], s[28:29], 3
	s_add_u32 s6, s40, s6
	s_addc_u32 s7, s41, s7
	v_mov_b32_e32 v3, s7
	v_add_co_u32_e64 v4, s[6:7], s6, v12
	v_addc_co_u32_e64 v3, s[6:7], 0, v3, s[6:7]
	v_add_co_u32_e64 v9, s[6:7], v4, v13
	v_addc_co_u32_e64 v10, s[6:7], 0, v3, s[6:7]
                                        ; implicit-def: $vgpr3_vgpr4
	s_and_saveexec_b64 s[6:7], vcc
	s_cbranch_execnz .LBB110_55
; %bb.12:
	s_or_b64 exec, exec, s[6:7]
	s_and_saveexec_b64 s[6:7], s[0:1]
	s_cbranch_execnz .LBB110_56
.LBB110_13:
	s_or_b64 exec, exec, s[6:7]
                                        ; implicit-def: $vgpr7_vgpr8
	s_and_saveexec_b64 s[0:1], s[2:3]
	s_cbranch_execz .LBB110_15
.LBB110_14:
	global_load_dwordx2 v[7:8], v[9:10], off offset:1024
.LBB110_15:
	s_or_b64 exec, exec, s[0:1]
.LBB110_16:
	s_and_saveexec_b64 s[0:1], s[8:9]
	s_cbranch_execz .LBB110_18
; %bb.17:
	s_lshl_b64 s[2:3], s[28:29], 3
	s_add_u32 s2, s40, s2
	s_addc_u32 s3, s41, s3
	v_mov_b32_e32 v9, s3
	v_add_co_u32_e32 v10, vcc, s2, v12
	v_addc_co_u32_e32 v14, vcc, 0, v9, vcc
	v_add_co_u32_e32 v9, vcc, v10, v13
	v_addc_co_u32_e32 v10, vcc, 0, v14, vcc
	global_load_dwordx2 v[9:10], v[9:10], off offset:1536
.LBB110_18:
	s_or_b64 exec, exec, s[0:1]
	s_load_dword s2, s[4:5], 0x3c
	s_waitcnt lgkmcnt(0)
	s_add_i32 s36, s35, s34
	s_getpc_b64 s[0:1]
	s_add_u32 s0, s0, _ZN7rocprim17ROCPRIM_400000_NS16block_radix_sortIhLj256ELj4ElLj1ELj1ELj0ELNS0_26block_radix_rank_algorithmE1ELNS0_18block_padding_hintE2ELNS0_4arch9wavefront6targetE1EE19radix_bits_per_passE@rel32@lo+4
	s_addc_u32 s1, s1, _ZN7rocprim17ROCPRIM_400000_NS16block_radix_sortIhLj256ELj4ElLj1ELj1ELj0ELNS0_26block_radix_rank_algorithmE1ELNS0_18block_padding_hintE2ELNS0_4arch9wavefront6targetE1EE19radix_bits_per_passE@rel32@hi+12
	s_load_dword s37, s[0:1], 0x0
	s_mov_b32 s26, 0
	s_lshr_b32 s3, s2, 16
	s_and_b32 s2, s2, 0xffff
	v_mad_u32_u24 v1, v2, s3, v1
	v_mad_u64_u32 v[1:2], s[2:3], v1, s2, v[0:1]
	v_and_b32_e32 v2, 15, v11
	v_cmp_eq_u32_e64 s[0:1], 0, v2
	v_lshrrev_b32_e32 v1, 4, v1
	v_and_b32_e32 v32, 0xffffffc, v1
	v_and_b32_e32 v1, 16, v11
	v_cmp_eq_u32_e64 s[8:9], 0, v1
	v_or_b32_e32 v1, 63, v0
	v_cmp_lt_u32_e64 s[2:3], 1, v2
	v_cmp_lt_u32_e64 s[4:5], 3, v2
	;; [unrolled: 1-line block ×3, first 2 shown]
	v_cmp_eq_u32_e64 s[12:13], v0, v1
	v_subrev_co_u32_e64 v1, s[18:19], 1, v11
	v_and_b32_e32 v2, 64, v11
	v_cmp_lt_i32_e32 vcc, v1, v2
	v_cndmask_b32_e32 v1, v1, v11, vcc
	v_lshlrev_b32_e32 v33, 2, v1
	v_lshrrev_b32_e32 v1, 4, v0
	s_mov_b32 s40, s26
	v_lshlrev_b32_e32 v31, 4, v0
	v_and_b32_e32 v34, 12, v1
	v_mul_i32_i24_e32 v1, -12, v0
	v_and_b32_e32 v2, 3, v11
	s_mov_b32 s27, s26
	s_mov_b32 s41, s26
	v_mov_b32_e32 v19, s26
	v_mov_b32_e32 v21, s40
	v_cmp_lt_u32_e64 s[10:11], 31, v11
	v_cmp_gt_u32_e64 s[14:15], 4, v0
	v_cmp_lt_u32_e64 s[16:17], 63, v0
	v_cmp_eq_u32_e64 s[20:21], 0, v0
	v_cmp_eq_u32_e64 s[22:23], 0, v2
	v_cmp_lt_u32_e64 s[24:25], 1, v2
	v_add_u32_e32 v35, -4, v34
	v_lshl_add_u32 v36, v26, 3, v12
	v_mov_b32_e32 v20, s27
	v_mov_b32_e32 v22, s41
	;; [unrolled: 1-line block ×3, first 2 shown]
	v_add_u32_e32 v37, v31, v1
	s_branch .LBB110_20
.LBB110_19:                             ;   in Loop: Header=BB110_20 Depth=1
	s_andn2_b64 vcc, exec, s[26:27]
	s_cbranch_vccz .LBB110_36
.LBB110_20:                             ; =>This Inner Loop Header: Depth=1
	s_waitcnt lgkmcnt(0)
	s_min_u32 s26, s37, s35
	s_lshl_b32 s26, -1, s26
	s_not_b32 s40, s26
	s_waitcnt vmcnt(0)
	v_lshrrev_b32_sdwa v1, s34, v28 dst_sel:DWORD dst_unused:UNUSED_PAD src0_sel:DWORD src1_sel:BYTE_0
	v_and_b32_e32 v1, s40, v1
	v_mov_b32_e32 v18, v4
	v_and_b32_e32 v2, 1, v1
	v_mov_b32_e32 v17, v3
	v_mov_b32_e32 v16, v6
	v_add_co_u32_e32 v4, vcc, -1, v2
	v_mov_b32_e32 v15, v5
	v_addc_co_u32_e64 v5, s[26:27], 0, -1, vcc
	v_cmp_ne_u32_e32 vcc, 0, v2
	v_lshlrev_b32_e32 v24, 30, v1
	v_xor_b32_e32 v2, vcc_hi, v5
	v_xor_b32_e32 v4, vcc_lo, v4
	v_cmp_gt_i64_e32 vcc, 0, v[23:24]
	v_not_b32_e32 v5, v24
	v_ashrrev_i32_e32 v5, 31, v5
	v_and_b32_e32 v4, exec_lo, v4
	v_xor_b32_e32 v6, vcc_hi, v5
	v_xor_b32_e32 v5, vcc_lo, v5
	v_lshlrev_b32_e32 v24, 29, v1
	v_and_b32_e32 v4, v4, v5
	v_cmp_gt_i64_e32 vcc, 0, v[23:24]
	v_not_b32_e32 v5, v24
	v_and_b32_e32 v2, exec_hi, v2
	v_ashrrev_i32_e32 v5, 31, v5
	v_and_b32_e32 v2, v2, v6
	v_xor_b32_e32 v6, vcc_hi, v5
	v_xor_b32_e32 v5, vcc_lo, v5
	v_lshlrev_b32_e32 v24, 28, v1
	v_and_b32_e32 v4, v4, v5
	v_cmp_gt_i64_e32 vcc, 0, v[23:24]
	v_not_b32_e32 v5, v24
	v_ashrrev_i32_e32 v5, 31, v5
	v_and_b32_e32 v2, v2, v6
	v_xor_b32_e32 v6, vcc_hi, v5
	v_xor_b32_e32 v5, vcc_lo, v5
	v_lshlrev_b32_e32 v24, 27, v1
	v_and_b32_e32 v4, v4, v5
	v_cmp_gt_i64_e32 vcc, 0, v[23:24]
	v_not_b32_e32 v5, v24
	;; [unrolled: 8-line block ×4, first 2 shown]
	v_ashrrev_i32_e32 v5, 31, v5
	v_lshlrev_b32_e32 v24, 24, v1
	v_lshlrev_b32_e32 v3, 4, v1
	v_and_b32_e32 v2, v2, v6
	v_xor_b32_e32 v6, vcc_hi, v5
	v_xor_b32_e32 v5, vcc_lo, v5
	v_cmp_gt_i64_e32 vcc, 0, v[23:24]
	v_not_b32_e32 v1, v24
	v_ashrrev_i32_e32 v1, 31, v1
	v_and_b32_e32 v4, v4, v5
	v_xor_b32_e32 v5, vcc_hi, v1
	v_xor_b32_e32 v1, vcc_lo, v1
	v_and_b32_e32 v2, v2, v6
	v_and_b32_e32 v1, v4, v1
	;; [unrolled: 1-line block ×3, first 2 shown]
	v_mbcnt_lo_u32_b32 v4, v1, 0
	v_mbcnt_hi_u32_b32 v5, v2, v4
	v_cmp_ne_u64_e32 vcc, 0, v[1:2]
	v_mov_b32_e32 v14, v8
	v_mov_b32_e32 v12, v10
	v_cmp_eq_u32_e64 s[26:27], 0, v5
	v_mov_b32_e32 v13, v7
	v_mov_b32_e32 v11, v9
	s_and_b64 s[44:45], vcc, s[26:27]
	v_add_u32_e32 v6, v32, v3
	ds_write2_b64 v31, v[19:20], v[21:22] offset0:2 offset1:3
	s_waitcnt lgkmcnt(0)
	s_barrier
	; wave barrier
	s_and_saveexec_b64 s[26:27], s[44:45]
; %bb.21:                               ;   in Loop: Header=BB110_20 Depth=1
	v_bcnt_u32_b32 v1, v1, 0
	v_bcnt_u32_b32 v1, v2, v1
	ds_write_b32 v6, v1 offset:16
; %bb.22:                               ;   in Loop: Header=BB110_20 Depth=1
	s_or_b64 exec, exec, s[26:27]
	v_lshrrev_b32_sdwa v1, s34, v29 dst_sel:DWORD dst_unused:UNUSED_PAD src0_sel:DWORD src1_sel:BYTE_0
	v_and_b32_e32 v1, s40, v1
	v_lshlrev_b32_e32 v2, 4, v1
	v_add_u32_e32 v8, v32, v2
	v_and_b32_e32 v2, 1, v1
	v_add_co_u32_e32 v3, vcc, -1, v2
	v_addc_co_u32_e64 v4, s[26:27], 0, -1, vcc
	v_cmp_ne_u32_e32 vcc, 0, v2
	v_lshlrev_b32_e32 v24, 30, v1
	v_xor_b32_e32 v2, vcc_hi, v4
	v_xor_b32_e32 v3, vcc_lo, v3
	v_cmp_gt_i64_e32 vcc, 0, v[23:24]
	v_not_b32_e32 v4, v24
	v_ashrrev_i32_e32 v4, 31, v4
	v_and_b32_e32 v3, exec_lo, v3
	v_xor_b32_e32 v9, vcc_hi, v4
	v_xor_b32_e32 v4, vcc_lo, v4
	v_lshlrev_b32_e32 v24, 29, v1
	v_and_b32_e32 v3, v3, v4
	v_cmp_gt_i64_e32 vcc, 0, v[23:24]
	v_not_b32_e32 v4, v24
	v_and_b32_e32 v2, exec_hi, v2
	v_ashrrev_i32_e32 v4, 31, v4
	v_and_b32_e32 v2, v2, v9
	v_xor_b32_e32 v9, vcc_hi, v4
	v_xor_b32_e32 v4, vcc_lo, v4
	v_lshlrev_b32_e32 v24, 28, v1
	v_and_b32_e32 v3, v3, v4
	v_cmp_gt_i64_e32 vcc, 0, v[23:24]
	v_not_b32_e32 v4, v24
	v_ashrrev_i32_e32 v4, 31, v4
	v_and_b32_e32 v2, v2, v9
	v_xor_b32_e32 v9, vcc_hi, v4
	v_xor_b32_e32 v4, vcc_lo, v4
	v_lshlrev_b32_e32 v24, 27, v1
	v_and_b32_e32 v3, v3, v4
	v_cmp_gt_i64_e32 vcc, 0, v[23:24]
	v_not_b32_e32 v4, v24
	v_ashrrev_i32_e32 v4, 31, v4
	v_and_b32_e32 v2, v2, v9
	v_xor_b32_e32 v9, vcc_hi, v4
	v_xor_b32_e32 v4, vcc_lo, v4
	v_lshlrev_b32_e32 v24, 26, v1
	v_and_b32_e32 v3, v3, v4
	v_cmp_gt_i64_e32 vcc, 0, v[23:24]
	v_not_b32_e32 v4, v24
	v_ashrrev_i32_e32 v4, 31, v4
	v_and_b32_e32 v2, v2, v9
	v_xor_b32_e32 v9, vcc_hi, v4
	v_xor_b32_e32 v4, vcc_lo, v4
	v_lshlrev_b32_e32 v24, 25, v1
	v_and_b32_e32 v3, v3, v4
	v_cmp_gt_i64_e32 vcc, 0, v[23:24]
	v_not_b32_e32 v4, v24
	v_ashrrev_i32_e32 v4, 31, v4
	v_lshlrev_b32_e32 v24, 24, v1
	v_and_b32_e32 v2, v2, v9
	v_xor_b32_e32 v9, vcc_hi, v4
	v_xor_b32_e32 v4, vcc_lo, v4
	v_cmp_gt_i64_e32 vcc, 0, v[23:24]
	v_not_b32_e32 v1, v24
	v_ashrrev_i32_e32 v1, 31, v1
	v_and_b32_e32 v3, v3, v4
	v_xor_b32_e32 v4, vcc_hi, v1
	v_xor_b32_e32 v1, vcc_lo, v1
	; wave barrier
	ds_read_b32 v7, v8 offset:16
	v_and_b32_e32 v2, v2, v9
	v_and_b32_e32 v1, v3, v1
	;; [unrolled: 1-line block ×3, first 2 shown]
	v_mbcnt_lo_u32_b32 v3, v1, 0
	v_mbcnt_hi_u32_b32 v9, v2, v3
	v_cmp_ne_u64_e32 vcc, 0, v[1:2]
	v_cmp_eq_u32_e64 s[26:27], 0, v9
	s_and_b64 s[44:45], vcc, s[26:27]
	; wave barrier
	s_and_saveexec_b64 s[26:27], s[44:45]
	s_cbranch_execz .LBB110_24
; %bb.23:                               ;   in Loop: Header=BB110_20 Depth=1
	v_bcnt_u32_b32 v1, v1, 0
	v_bcnt_u32_b32 v1, v2, v1
	s_waitcnt lgkmcnt(0)
	v_add_u32_e32 v1, v7, v1
	ds_write_b32 v8, v1 offset:16
.LBB110_24:                             ;   in Loop: Header=BB110_20 Depth=1
	s_or_b64 exec, exec, s[26:27]
	v_lshrrev_b32_sdwa v1, s34, v30 dst_sel:DWORD dst_unused:UNUSED_PAD src0_sel:DWORD src1_sel:BYTE_0
	v_and_b32_e32 v1, s40, v1
	v_lshlrev_b32_e32 v2, 4, v1
	v_add_u32_e32 v38, v32, v2
	v_and_b32_e32 v2, 1, v1
	v_add_co_u32_e32 v3, vcc, -1, v2
	v_addc_co_u32_e64 v4, s[26:27], 0, -1, vcc
	v_cmp_ne_u32_e32 vcc, 0, v2
	v_lshlrev_b32_e32 v24, 30, v1
	v_xor_b32_e32 v2, vcc_hi, v4
	v_xor_b32_e32 v3, vcc_lo, v3
	v_cmp_gt_i64_e32 vcc, 0, v[23:24]
	v_not_b32_e32 v4, v24
	v_ashrrev_i32_e32 v4, 31, v4
	v_and_b32_e32 v2, exec_hi, v2
	v_xor_b32_e32 v24, vcc_hi, v4
	v_and_b32_e32 v3, exec_lo, v3
	v_xor_b32_e32 v4, vcc_lo, v4
	v_and_b32_e32 v2, v2, v24
	v_lshlrev_b32_e32 v24, 29, v1
	v_and_b32_e32 v3, v3, v4
	v_cmp_gt_i64_e32 vcc, 0, v[23:24]
	v_not_b32_e32 v4, v24
	v_ashrrev_i32_e32 v4, 31, v4
	v_xor_b32_e32 v24, vcc_hi, v4
	v_xor_b32_e32 v4, vcc_lo, v4
	v_and_b32_e32 v2, v2, v24
	v_lshlrev_b32_e32 v24, 28, v1
	v_and_b32_e32 v3, v3, v4
	v_cmp_gt_i64_e32 vcc, 0, v[23:24]
	v_not_b32_e32 v4, v24
	v_ashrrev_i32_e32 v4, 31, v4
	v_xor_b32_e32 v24, vcc_hi, v4
	;; [unrolled: 8-line block ×5, first 2 shown]
	v_and_b32_e32 v2, v2, v24
	v_lshlrev_b32_e32 v24, 24, v1
	v_xor_b32_e32 v4, vcc_lo, v4
	v_cmp_gt_i64_e32 vcc, 0, v[23:24]
	v_not_b32_e32 v1, v24
	v_ashrrev_i32_e32 v1, 31, v1
	v_and_b32_e32 v3, v3, v4
	v_xor_b32_e32 v4, vcc_hi, v1
	v_xor_b32_e32 v1, vcc_lo, v1
	; wave barrier
	ds_read_b32 v10, v38 offset:16
	v_and_b32_e32 v1, v3, v1
	v_and_b32_e32 v2, v2, v4
	v_mbcnt_lo_u32_b32 v3, v1, 0
	v_mbcnt_hi_u32_b32 v39, v2, v3
	v_cmp_ne_u64_e32 vcc, 0, v[1:2]
	v_cmp_eq_u32_e64 s[26:27], 0, v39
	s_and_b64 s[44:45], vcc, s[26:27]
	; wave barrier
	s_and_saveexec_b64 s[26:27], s[44:45]
	s_cbranch_execz .LBB110_26
; %bb.25:                               ;   in Loop: Header=BB110_20 Depth=1
	v_bcnt_u32_b32 v1, v1, 0
	v_bcnt_u32_b32 v1, v2, v1
	s_waitcnt lgkmcnt(0)
	v_add_u32_e32 v1, v10, v1
	ds_write_b32 v38, v1 offset:16
.LBB110_26:                             ;   in Loop: Header=BB110_20 Depth=1
	s_or_b64 exec, exec, s[26:27]
	v_lshrrev_b32_sdwa v1, s34, v27 dst_sel:DWORD dst_unused:UNUSED_PAD src0_sel:DWORD src1_sel:BYTE_0
	v_and_b32_e32 v1, s40, v1
	v_lshlrev_b32_e32 v2, 4, v1
	v_add_u32_e32 v41, v32, v2
	v_and_b32_e32 v2, 1, v1
	v_add_co_u32_e32 v3, vcc, -1, v2
	v_addc_co_u32_e64 v4, s[26:27], 0, -1, vcc
	v_cmp_ne_u32_e32 vcc, 0, v2
	v_lshlrev_b32_e32 v24, 30, v1
	v_xor_b32_e32 v2, vcc_hi, v4
	v_xor_b32_e32 v3, vcc_lo, v3
	v_cmp_gt_i64_e32 vcc, 0, v[23:24]
	v_not_b32_e32 v4, v24
	v_ashrrev_i32_e32 v4, 31, v4
	v_and_b32_e32 v2, exec_hi, v2
	v_xor_b32_e32 v24, vcc_hi, v4
	v_and_b32_e32 v3, exec_lo, v3
	v_xor_b32_e32 v4, vcc_lo, v4
	v_and_b32_e32 v2, v2, v24
	v_lshlrev_b32_e32 v24, 29, v1
	v_and_b32_e32 v3, v3, v4
	v_cmp_gt_i64_e32 vcc, 0, v[23:24]
	v_not_b32_e32 v4, v24
	v_ashrrev_i32_e32 v4, 31, v4
	v_xor_b32_e32 v24, vcc_hi, v4
	v_xor_b32_e32 v4, vcc_lo, v4
	v_and_b32_e32 v2, v2, v24
	v_lshlrev_b32_e32 v24, 28, v1
	v_and_b32_e32 v3, v3, v4
	v_cmp_gt_i64_e32 vcc, 0, v[23:24]
	v_not_b32_e32 v4, v24
	v_ashrrev_i32_e32 v4, 31, v4
	v_xor_b32_e32 v24, vcc_hi, v4
	;; [unrolled: 8-line block ×5, first 2 shown]
	v_and_b32_e32 v2, v2, v24
	v_lshlrev_b32_e32 v24, 24, v1
	v_xor_b32_e32 v4, vcc_lo, v4
	v_cmp_gt_i64_e32 vcc, 0, v[23:24]
	v_not_b32_e32 v1, v24
	v_ashrrev_i32_e32 v1, 31, v1
	v_and_b32_e32 v3, v3, v4
	v_xor_b32_e32 v4, vcc_hi, v1
	v_xor_b32_e32 v1, vcc_lo, v1
	; wave barrier
	ds_read_b32 v40, v41 offset:16
	v_and_b32_e32 v1, v3, v1
	v_and_b32_e32 v2, v2, v4
	v_mbcnt_lo_u32_b32 v3, v1, 0
	v_mbcnt_hi_u32_b32 v45, v2, v3
	v_cmp_ne_u64_e32 vcc, 0, v[1:2]
	v_cmp_eq_u32_e64 s[26:27], 0, v45
	s_and_b64 s[40:41], vcc, s[26:27]
	; wave barrier
	s_and_saveexec_b64 s[26:27], s[40:41]
	s_cbranch_execz .LBB110_28
; %bb.27:                               ;   in Loop: Header=BB110_20 Depth=1
	v_bcnt_u32_b32 v1, v1, 0
	v_bcnt_u32_b32 v1, v2, v1
	s_waitcnt lgkmcnt(0)
	v_add_u32_e32 v1, v40, v1
	ds_write_b32 v41, v1 offset:16
.LBB110_28:                             ;   in Loop: Header=BB110_20 Depth=1
	s_or_b64 exec, exec, s[26:27]
	; wave barrier
	s_waitcnt lgkmcnt(0)
	s_barrier
	ds_read2_b64 v[1:4], v31 offset0:2 offset1:3
	s_waitcnt lgkmcnt(0)
	v_add_u32_e32 v24, v2, v1
	v_add3_u32 v4, v24, v3, v4
	s_nop 1
	v_mov_b32_dpp v24, v4 row_shr:1 row_mask:0xf bank_mask:0xf
	v_cndmask_b32_e64 v24, v24, 0, s[0:1]
	v_add_u32_e32 v4, v24, v4
	s_nop 1
	v_mov_b32_dpp v24, v4 row_shr:2 row_mask:0xf bank_mask:0xf
	v_cndmask_b32_e64 v24, 0, v24, s[2:3]
	v_add_u32_e32 v4, v4, v24
	;; [unrolled: 4-line block ×4, first 2 shown]
	s_nop 1
	v_mov_b32_dpp v24, v4 row_bcast:15 row_mask:0xf bank_mask:0xf
	v_cndmask_b32_e64 v24, v24, 0, s[8:9]
	v_add_u32_e32 v4, v4, v24
	s_nop 1
	v_mov_b32_dpp v24, v4 row_bcast:31 row_mask:0xf bank_mask:0xf
	v_cndmask_b32_e64 v24, 0, v24, s[10:11]
	v_add_u32_e32 v4, v4, v24
	s_and_saveexec_b64 s[26:27], s[12:13]
; %bb.29:                               ;   in Loop: Header=BB110_20 Depth=1
	ds_write_b32 v34, v4
; %bb.30:                               ;   in Loop: Header=BB110_20 Depth=1
	s_or_b64 exec, exec, s[26:27]
	s_waitcnt lgkmcnt(0)
	s_barrier
	s_and_saveexec_b64 s[26:27], s[14:15]
	s_cbranch_execz .LBB110_32
; %bb.31:                               ;   in Loop: Header=BB110_20 Depth=1
	ds_read_b32 v24, v37
	s_waitcnt lgkmcnt(0)
	s_nop 0
	v_mov_b32_dpp v42, v24 row_shr:1 row_mask:0xf bank_mask:0xf
	v_cndmask_b32_e64 v42, v42, 0, s[22:23]
	v_add_u32_e32 v24, v42, v24
	s_nop 1
	v_mov_b32_dpp v42, v24 row_shr:2 row_mask:0xf bank_mask:0xf
	v_cndmask_b32_e64 v42, 0, v42, s[24:25]
	v_add_u32_e32 v24, v24, v42
	ds_write_b32 v37, v24
.LBB110_32:                             ;   in Loop: Header=BB110_20 Depth=1
	s_or_b64 exec, exec, s[26:27]
	v_mov_b32_e32 v24, 0
	s_waitcnt lgkmcnt(0)
	s_barrier
	s_and_saveexec_b64 s[26:27], s[16:17]
; %bb.33:                               ;   in Loop: Header=BB110_20 Depth=1
	ds_read_b32 v24, v35
; %bb.34:                               ;   in Loop: Header=BB110_20 Depth=1
	s_or_b64 exec, exec, s[26:27]
	s_waitcnt lgkmcnt(0)
	v_add_u32_e32 v4, v24, v4
	ds_bpermute_b32 v4, v33, v4
	s_add_i32 s34, s34, 8
	v_mov_b32_e32 v42, v28
	v_mov_b32_e32 v43, v29
	;; [unrolled: 1-line block ×3, first 2 shown]
	s_waitcnt lgkmcnt(0)
	v_cndmask_b32_e64 v4, v4, v24, s[18:19]
	v_cndmask_b32_e64 v46, v4, 0, s[20:21]
	v_add_u32_e32 v47, v46, v1
	v_add_u32_e32 v1, v47, v2
	;; [unrolled: 1-line block ×3, first 2 shown]
	ds_write2_b64 v31, v[46:47], v[1:2] offset0:2 offset1:3
	s_waitcnt lgkmcnt(0)
	s_barrier
	ds_read_b32 v1, v6 offset:16
	ds_read_b32 v2, v8 offset:16
	;; [unrolled: 1-line block ×4, first 2 shown]
	v_mov_b32_e32 v41, v27
	s_waitcnt lgkmcnt(3)
	v_add_u32_e32 v38, v1, v5
	s_waitcnt lgkmcnt(2)
	v_add3_u32 v24, v9, v7, v2
	s_waitcnt lgkmcnt(1)
	v_add3_u32 v2, v39, v10, v3
	v_mul_lo_u32 v39, v38, 7
	s_waitcnt lgkmcnt(0)
	v_add3_u32 v1, v45, v40, v4
	s_cmp_ge_u32 s34, s36
	s_mov_b64 s[26:27], -1
                                        ; implicit-def: $vgpr3_vgpr4
                                        ; implicit-def: $vgpr7_vgpr8
	s_cbranch_scc1 .LBB110_19
; %bb.35:                               ;   in Loop: Header=BB110_20 Depth=1
	v_add_u32_e32 v3, v25, v26
	s_barrier
	ds_write_b8 v38, v28
	ds_write_b8 v24, v29
	;; [unrolled: 1-line block ×4, first 2 shown]
	s_waitcnt lgkmcnt(0)
	s_barrier
	ds_read_u8 v27, v3 offset:192
	ds_read_u8 v30, v3 offset:128
	;; [unrolled: 1-line block ×3, first 2 shown]
	ds_read_u8 v28, v3
	v_mad_u64_u32 v[3:4], s[26:27], v24, 7, v[24:25]
	v_add_u32_e32 v7, v38, v39
	s_waitcnt lgkmcnt(0)
	v_mad_u64_u32 v[4:5], s[26:27], v2, 7, v[2:3]
	v_mad_u64_u32 v[5:6], s[26:27], v1, 7, v[1:2]
	s_barrier
	ds_write_b64 v7, v[17:18]
	ds_write_b64 v3, v[15:16]
	;; [unrolled: 1-line block ×4, first 2 shown]
	s_waitcnt lgkmcnt(0)
	s_barrier
	ds_read2st64_b64 v[3:6], v36 offset1:1
	ds_read2st64_b64 v[7:10], v36 offset0:2 offset1:3
	s_add_i32 s35, s35, -8
	s_mov_b64 s[26:27], 0
	s_waitcnt lgkmcnt(0)
	s_barrier
	s_branch .LBB110_19
.LBB110_36:
	v_mad_u64_u32 v[3:4], s[0:1], v24, 7, v[24:25]
	s_barrier
	v_mad_u64_u32 v[4:5], s[0:1], v2, 7, v[2:3]
	ds_write_b8 v38, v42
	ds_write_b8 v24, v43
	;; [unrolled: 1-line block ×4, first 2 shown]
	s_waitcnt lgkmcnt(0)
	s_barrier
	ds_read_u8 v22, v0
	ds_read_u8 v21, v0 offset:256
	ds_read_u8 v20, v0 offset:512
	;; [unrolled: 1-line block ×3, first 2 shown]
	v_add_u32_e32 v6, v38, v39
	v_mad_u64_u32 v[1:2], s[0:1], v1, 7, v[1:2]
	s_waitcnt lgkmcnt(0)
	s_barrier
	ds_write_b64 v6, v[17:18]
	ds_write_b64 v3, v[15:16]
	;; [unrolled: 1-line block ×4, first 2 shown]
	v_mad_u32_u24 v1, v0, 7, v0
	s_waitcnt lgkmcnt(0)
	s_barrier
	ds_read2st64_b64 v[5:8], v1 offset1:4
	ds_read2st64_b64 v[1:4], v1 offset0:8 offset1:12
	s_add_u32 s0, s38, s28
	s_addc_u32 s1, s39, 0
	v_mov_b32_e32 v10, s1
	v_add_co_u32_e32 v9, vcc, s0, v0
	v_addc_co_u32_e32 v10, vcc, 0, v10, vcc
	s_andn2_b64 vcc, exec, s[30:31]
	v_lshlrev_b32_e32 v11, 3, v0
	s_cbranch_vccnz .LBB110_38
; %bb.37:
	s_lshl_b64 s[0:1], s[28:29], 3
	s_add_u32 s0, s42, s0
	s_addc_u32 s1, s43, s1
	v_mov_b32_e32 v12, s1
	v_add_co_u32_e32 v13, vcc, s0, v11
	v_addc_co_u32_e32 v14, vcc, 0, v12, vcc
	v_add_co_u32_e32 v12, vcc, 0x1000, v13
	global_store_byte v[9:10], v22, off
	global_store_byte v[9:10], v21, off offset:256
	global_store_byte v[9:10], v20, off offset:512
	;; [unrolled: 1-line block ×3, first 2 shown]
	s_waitcnt lgkmcnt(1)
	global_store_dwordx2 v11, v[5:6], s[0:1]
	global_store_dwordx2 v11, v[7:8], s[0:1] offset:2048
	v_addc_co_u32_e32 v13, vcc, 0, v14, vcc
	s_mov_b64 s[6:7], -1
	s_waitcnt lgkmcnt(0)
	global_store_dwordx2 v[12:13], v[1:2], off
	s_cbranch_execz .LBB110_39
	s_branch .LBB110_52
.LBB110_38:
	s_mov_b64 s[6:7], 0
.LBB110_39:
	v_cmp_gt_u32_e32 vcc, s33, v0
	s_and_saveexec_b64 s[0:1], vcc
	s_cbranch_execz .LBB110_41
; %bb.40:
	global_store_byte v[9:10], v22, off
.LBB110_41:
	s_or_b64 exec, exec, s[0:1]
	v_or_b32_e32 v12, 0x100, v0
	v_cmp_gt_u32_e64 s[0:1], s33, v12
	s_and_saveexec_b64 s[2:3], s[0:1]
	s_cbranch_execz .LBB110_43
; %bb.42:
	global_store_byte v[9:10], v21, off offset:256
.LBB110_43:
	s_or_b64 exec, exec, s[2:3]
	v_or_b32_e32 v12, 0x200, v0
	v_cmp_gt_u32_e64 s[2:3], s33, v12
	s_and_saveexec_b64 s[4:5], s[2:3]
	s_cbranch_execz .LBB110_45
; %bb.44:
	global_store_byte v[9:10], v20, off offset:512
.LBB110_45:
	;; [unrolled: 8-line block ×3, first 2 shown]
	s_or_b64 exec, exec, s[4:5]
	s_lshl_b64 s[4:5], s[28:29], 3
	s_add_u32 s4, s42, s4
	s_addc_u32 s5, s43, s5
	v_mov_b32_e32 v0, s5
	v_add_co_u32_e64 v9, s[4:5], s4, v11
	v_addc_co_u32_e64 v10, s[4:5], 0, v0, s[4:5]
	s_and_saveexec_b64 s[4:5], vcc
	s_cbranch_execnz .LBB110_57
; %bb.48:
	s_or_b64 exec, exec, s[4:5]
	s_and_saveexec_b64 s[4:5], s[0:1]
	s_cbranch_execnz .LBB110_58
.LBB110_49:
	s_or_b64 exec, exec, s[4:5]
	s_and_saveexec_b64 s[0:1], s[2:3]
	s_cbranch_execz .LBB110_51
.LBB110_50:
	s_waitcnt lgkmcnt(1)
	v_add_co_u32_e32 v5, vcc, 0x1000, v9
	v_addc_co_u32_e32 v6, vcc, 0, v10, vcc
	s_waitcnt lgkmcnt(0)
	global_store_dwordx2 v[5:6], v[1:2], off
.LBB110_51:
	s_or_b64 exec, exec, s[0:1]
.LBB110_52:
	s_and_saveexec_b64 s[0:1], s[6:7]
	s_cbranch_execnz .LBB110_54
; %bb.53:
	s_endpgm
.LBB110_54:
	s_lshl_b64 s[0:1], s[28:29], 3
	s_add_u32 s0, s42, s0
	s_addc_u32 s1, s43, s1
	v_mov_b32_e32 v0, s1
	s_waitcnt lgkmcnt(0)
	v_add_co_u32_e32 v1, vcc, s0, v11
	v_addc_co_u32_e32 v2, vcc, 0, v0, vcc
	v_add_co_u32_e32 v0, vcc, 0x1000, v1
	v_addc_co_u32_e32 v1, vcc, 0, v2, vcc
	global_store_dwordx2 v[0:1], v[3:4], off offset:2048
	s_endpgm
.LBB110_55:
	global_load_dwordx2 v[3:4], v[9:10], off
	s_or_b64 exec, exec, s[6:7]
	s_and_saveexec_b64 s[6:7], s[0:1]
	s_cbranch_execz .LBB110_13
.LBB110_56:
	global_load_dwordx2 v[5:6], v[9:10], off offset:512
	s_or_b64 exec, exec, s[6:7]
                                        ; implicit-def: $vgpr7_vgpr8
	s_and_saveexec_b64 s[0:1], s[2:3]
	s_cbranch_execnz .LBB110_14
	s_branch .LBB110_15
.LBB110_57:
	s_waitcnt lgkmcnt(1)
	global_store_dwordx2 v[9:10], v[5:6], off
	s_or_b64 exec, exec, s[4:5]
	s_and_saveexec_b64 s[4:5], s[0:1]
	s_cbranch_execz .LBB110_49
.LBB110_58:
	s_waitcnt lgkmcnt(1)
	global_store_dwordx2 v[9:10], v[7:8], off offset:2048
	s_or_b64 exec, exec, s[4:5]
	s_and_saveexec_b64 s[0:1], s[2:3]
	s_cbranch_execnz .LBB110_50
	s_branch .LBB110_51
	.section	.rodata,"a",@progbits
	.p2align	6, 0x0
	.amdhsa_kernel _ZN7rocprim17ROCPRIM_400000_NS6detail17trampoline_kernelINS0_13kernel_configILj256ELj4ELj4294967295EEENS1_37radix_sort_block_sort_config_selectorIhlEEZNS1_21radix_sort_block_sortIS4_Lb0EPhS8_N6thrust23THRUST_200600_302600_NS10device_ptrIlEESC_NS0_19identity_decomposerEEE10hipError_tT1_T2_T3_T4_jRjT5_jjP12ihipStream_tbEUlT_E_NS1_11comp_targetILNS1_3genE2ELNS1_11target_archE906ELNS1_3gpuE6ELNS1_3repE0EEENS1_44radix_sort_block_sort_config_static_selectorELNS0_4arch9wavefront6targetE1EEEvSF_
		.amdhsa_group_segment_fixed_size 8192
		.amdhsa_private_segment_fixed_size 0
		.amdhsa_kernarg_size 304
		.amdhsa_user_sgpr_count 6
		.amdhsa_user_sgpr_private_segment_buffer 1
		.amdhsa_user_sgpr_dispatch_ptr 0
		.amdhsa_user_sgpr_queue_ptr 0
		.amdhsa_user_sgpr_kernarg_segment_ptr 1
		.amdhsa_user_sgpr_dispatch_id 0
		.amdhsa_user_sgpr_flat_scratch_init 0
		.amdhsa_user_sgpr_private_segment_size 0
		.amdhsa_uses_dynamic_stack 0
		.amdhsa_system_sgpr_private_segment_wavefront_offset 0
		.amdhsa_system_sgpr_workgroup_id_x 1
		.amdhsa_system_sgpr_workgroup_id_y 0
		.amdhsa_system_sgpr_workgroup_id_z 0
		.amdhsa_system_sgpr_workgroup_info 0
		.amdhsa_system_vgpr_workitem_id 2
		.amdhsa_next_free_vgpr 48
		.amdhsa_next_free_sgpr 61
		.amdhsa_reserve_vcc 1
		.amdhsa_reserve_flat_scratch 0
		.amdhsa_float_round_mode_32 0
		.amdhsa_float_round_mode_16_64 0
		.amdhsa_float_denorm_mode_32 3
		.amdhsa_float_denorm_mode_16_64 3
		.amdhsa_dx10_clamp 1
		.amdhsa_ieee_mode 1
		.amdhsa_fp16_overflow 0
		.amdhsa_exception_fp_ieee_invalid_op 0
		.amdhsa_exception_fp_denorm_src 0
		.amdhsa_exception_fp_ieee_div_zero 0
		.amdhsa_exception_fp_ieee_overflow 0
		.amdhsa_exception_fp_ieee_underflow 0
		.amdhsa_exception_fp_ieee_inexact 0
		.amdhsa_exception_int_div_zero 0
	.end_amdhsa_kernel
	.section	.text._ZN7rocprim17ROCPRIM_400000_NS6detail17trampoline_kernelINS0_13kernel_configILj256ELj4ELj4294967295EEENS1_37radix_sort_block_sort_config_selectorIhlEEZNS1_21radix_sort_block_sortIS4_Lb0EPhS8_N6thrust23THRUST_200600_302600_NS10device_ptrIlEESC_NS0_19identity_decomposerEEE10hipError_tT1_T2_T3_T4_jRjT5_jjP12ihipStream_tbEUlT_E_NS1_11comp_targetILNS1_3genE2ELNS1_11target_archE906ELNS1_3gpuE6ELNS1_3repE0EEENS1_44radix_sort_block_sort_config_static_selectorELNS0_4arch9wavefront6targetE1EEEvSF_,"axG",@progbits,_ZN7rocprim17ROCPRIM_400000_NS6detail17trampoline_kernelINS0_13kernel_configILj256ELj4ELj4294967295EEENS1_37radix_sort_block_sort_config_selectorIhlEEZNS1_21radix_sort_block_sortIS4_Lb0EPhS8_N6thrust23THRUST_200600_302600_NS10device_ptrIlEESC_NS0_19identity_decomposerEEE10hipError_tT1_T2_T3_T4_jRjT5_jjP12ihipStream_tbEUlT_E_NS1_11comp_targetILNS1_3genE2ELNS1_11target_archE906ELNS1_3gpuE6ELNS1_3repE0EEENS1_44radix_sort_block_sort_config_static_selectorELNS0_4arch9wavefront6targetE1EEEvSF_,comdat
.Lfunc_end110:
	.size	_ZN7rocprim17ROCPRIM_400000_NS6detail17trampoline_kernelINS0_13kernel_configILj256ELj4ELj4294967295EEENS1_37radix_sort_block_sort_config_selectorIhlEEZNS1_21radix_sort_block_sortIS4_Lb0EPhS8_N6thrust23THRUST_200600_302600_NS10device_ptrIlEESC_NS0_19identity_decomposerEEE10hipError_tT1_T2_T3_T4_jRjT5_jjP12ihipStream_tbEUlT_E_NS1_11comp_targetILNS1_3genE2ELNS1_11target_archE906ELNS1_3gpuE6ELNS1_3repE0EEENS1_44radix_sort_block_sort_config_static_selectorELNS0_4arch9wavefront6targetE1EEEvSF_, .Lfunc_end110-_ZN7rocprim17ROCPRIM_400000_NS6detail17trampoline_kernelINS0_13kernel_configILj256ELj4ELj4294967295EEENS1_37radix_sort_block_sort_config_selectorIhlEEZNS1_21radix_sort_block_sortIS4_Lb0EPhS8_N6thrust23THRUST_200600_302600_NS10device_ptrIlEESC_NS0_19identity_decomposerEEE10hipError_tT1_T2_T3_T4_jRjT5_jjP12ihipStream_tbEUlT_E_NS1_11comp_targetILNS1_3genE2ELNS1_11target_archE906ELNS1_3gpuE6ELNS1_3repE0EEENS1_44radix_sort_block_sort_config_static_selectorELNS0_4arch9wavefront6targetE1EEEvSF_
                                        ; -- End function
	.set _ZN7rocprim17ROCPRIM_400000_NS6detail17trampoline_kernelINS0_13kernel_configILj256ELj4ELj4294967295EEENS1_37radix_sort_block_sort_config_selectorIhlEEZNS1_21radix_sort_block_sortIS4_Lb0EPhS8_N6thrust23THRUST_200600_302600_NS10device_ptrIlEESC_NS0_19identity_decomposerEEE10hipError_tT1_T2_T3_T4_jRjT5_jjP12ihipStream_tbEUlT_E_NS1_11comp_targetILNS1_3genE2ELNS1_11target_archE906ELNS1_3gpuE6ELNS1_3repE0EEENS1_44radix_sort_block_sort_config_static_selectorELNS0_4arch9wavefront6targetE1EEEvSF_.num_vgpr, 48
	.set _ZN7rocprim17ROCPRIM_400000_NS6detail17trampoline_kernelINS0_13kernel_configILj256ELj4ELj4294967295EEENS1_37radix_sort_block_sort_config_selectorIhlEEZNS1_21radix_sort_block_sortIS4_Lb0EPhS8_N6thrust23THRUST_200600_302600_NS10device_ptrIlEESC_NS0_19identity_decomposerEEE10hipError_tT1_T2_T3_T4_jRjT5_jjP12ihipStream_tbEUlT_E_NS1_11comp_targetILNS1_3genE2ELNS1_11target_archE906ELNS1_3gpuE6ELNS1_3repE0EEENS1_44radix_sort_block_sort_config_static_selectorELNS0_4arch9wavefront6targetE1EEEvSF_.num_agpr, 0
	.set _ZN7rocprim17ROCPRIM_400000_NS6detail17trampoline_kernelINS0_13kernel_configILj256ELj4ELj4294967295EEENS1_37radix_sort_block_sort_config_selectorIhlEEZNS1_21radix_sort_block_sortIS4_Lb0EPhS8_N6thrust23THRUST_200600_302600_NS10device_ptrIlEESC_NS0_19identity_decomposerEEE10hipError_tT1_T2_T3_T4_jRjT5_jjP12ihipStream_tbEUlT_E_NS1_11comp_targetILNS1_3genE2ELNS1_11target_archE906ELNS1_3gpuE6ELNS1_3repE0EEENS1_44radix_sort_block_sort_config_static_selectorELNS0_4arch9wavefront6targetE1EEEvSF_.numbered_sgpr, 46
	.set _ZN7rocprim17ROCPRIM_400000_NS6detail17trampoline_kernelINS0_13kernel_configILj256ELj4ELj4294967295EEENS1_37radix_sort_block_sort_config_selectorIhlEEZNS1_21radix_sort_block_sortIS4_Lb0EPhS8_N6thrust23THRUST_200600_302600_NS10device_ptrIlEESC_NS0_19identity_decomposerEEE10hipError_tT1_T2_T3_T4_jRjT5_jjP12ihipStream_tbEUlT_E_NS1_11comp_targetILNS1_3genE2ELNS1_11target_archE906ELNS1_3gpuE6ELNS1_3repE0EEENS1_44radix_sort_block_sort_config_static_selectorELNS0_4arch9wavefront6targetE1EEEvSF_.num_named_barrier, 0
	.set _ZN7rocprim17ROCPRIM_400000_NS6detail17trampoline_kernelINS0_13kernel_configILj256ELj4ELj4294967295EEENS1_37radix_sort_block_sort_config_selectorIhlEEZNS1_21radix_sort_block_sortIS4_Lb0EPhS8_N6thrust23THRUST_200600_302600_NS10device_ptrIlEESC_NS0_19identity_decomposerEEE10hipError_tT1_T2_T3_T4_jRjT5_jjP12ihipStream_tbEUlT_E_NS1_11comp_targetILNS1_3genE2ELNS1_11target_archE906ELNS1_3gpuE6ELNS1_3repE0EEENS1_44radix_sort_block_sort_config_static_selectorELNS0_4arch9wavefront6targetE1EEEvSF_.private_seg_size, 0
	.set _ZN7rocprim17ROCPRIM_400000_NS6detail17trampoline_kernelINS0_13kernel_configILj256ELj4ELj4294967295EEENS1_37radix_sort_block_sort_config_selectorIhlEEZNS1_21radix_sort_block_sortIS4_Lb0EPhS8_N6thrust23THRUST_200600_302600_NS10device_ptrIlEESC_NS0_19identity_decomposerEEE10hipError_tT1_T2_T3_T4_jRjT5_jjP12ihipStream_tbEUlT_E_NS1_11comp_targetILNS1_3genE2ELNS1_11target_archE906ELNS1_3gpuE6ELNS1_3repE0EEENS1_44radix_sort_block_sort_config_static_selectorELNS0_4arch9wavefront6targetE1EEEvSF_.uses_vcc, 1
	.set _ZN7rocprim17ROCPRIM_400000_NS6detail17trampoline_kernelINS0_13kernel_configILj256ELj4ELj4294967295EEENS1_37radix_sort_block_sort_config_selectorIhlEEZNS1_21radix_sort_block_sortIS4_Lb0EPhS8_N6thrust23THRUST_200600_302600_NS10device_ptrIlEESC_NS0_19identity_decomposerEEE10hipError_tT1_T2_T3_T4_jRjT5_jjP12ihipStream_tbEUlT_E_NS1_11comp_targetILNS1_3genE2ELNS1_11target_archE906ELNS1_3gpuE6ELNS1_3repE0EEENS1_44radix_sort_block_sort_config_static_selectorELNS0_4arch9wavefront6targetE1EEEvSF_.uses_flat_scratch, 0
	.set _ZN7rocprim17ROCPRIM_400000_NS6detail17trampoline_kernelINS0_13kernel_configILj256ELj4ELj4294967295EEENS1_37radix_sort_block_sort_config_selectorIhlEEZNS1_21radix_sort_block_sortIS4_Lb0EPhS8_N6thrust23THRUST_200600_302600_NS10device_ptrIlEESC_NS0_19identity_decomposerEEE10hipError_tT1_T2_T3_T4_jRjT5_jjP12ihipStream_tbEUlT_E_NS1_11comp_targetILNS1_3genE2ELNS1_11target_archE906ELNS1_3gpuE6ELNS1_3repE0EEENS1_44radix_sort_block_sort_config_static_selectorELNS0_4arch9wavefront6targetE1EEEvSF_.has_dyn_sized_stack, 0
	.set _ZN7rocprim17ROCPRIM_400000_NS6detail17trampoline_kernelINS0_13kernel_configILj256ELj4ELj4294967295EEENS1_37radix_sort_block_sort_config_selectorIhlEEZNS1_21radix_sort_block_sortIS4_Lb0EPhS8_N6thrust23THRUST_200600_302600_NS10device_ptrIlEESC_NS0_19identity_decomposerEEE10hipError_tT1_T2_T3_T4_jRjT5_jjP12ihipStream_tbEUlT_E_NS1_11comp_targetILNS1_3genE2ELNS1_11target_archE906ELNS1_3gpuE6ELNS1_3repE0EEENS1_44radix_sort_block_sort_config_static_selectorELNS0_4arch9wavefront6targetE1EEEvSF_.has_recursion, 0
	.set _ZN7rocprim17ROCPRIM_400000_NS6detail17trampoline_kernelINS0_13kernel_configILj256ELj4ELj4294967295EEENS1_37radix_sort_block_sort_config_selectorIhlEEZNS1_21radix_sort_block_sortIS4_Lb0EPhS8_N6thrust23THRUST_200600_302600_NS10device_ptrIlEESC_NS0_19identity_decomposerEEE10hipError_tT1_T2_T3_T4_jRjT5_jjP12ihipStream_tbEUlT_E_NS1_11comp_targetILNS1_3genE2ELNS1_11target_archE906ELNS1_3gpuE6ELNS1_3repE0EEENS1_44radix_sort_block_sort_config_static_selectorELNS0_4arch9wavefront6targetE1EEEvSF_.has_indirect_call, 0
	.section	.AMDGPU.csdata,"",@progbits
; Kernel info:
; codeLenInByte = 3776
; TotalNumSgprs: 50
; NumVgprs: 48
; ScratchSize: 0
; MemoryBound: 0
; FloatMode: 240
; IeeeMode: 1
; LDSByteSize: 8192 bytes/workgroup (compile time only)
; SGPRBlocks: 8
; VGPRBlocks: 11
; NumSGPRsForWavesPerEU: 65
; NumVGPRsForWavesPerEU: 48
; Occupancy: 5
; WaveLimiterHint : 1
; COMPUTE_PGM_RSRC2:SCRATCH_EN: 0
; COMPUTE_PGM_RSRC2:USER_SGPR: 6
; COMPUTE_PGM_RSRC2:TRAP_HANDLER: 0
; COMPUTE_PGM_RSRC2:TGID_X_EN: 1
; COMPUTE_PGM_RSRC2:TGID_Y_EN: 0
; COMPUTE_PGM_RSRC2:TGID_Z_EN: 0
; COMPUTE_PGM_RSRC2:TIDIG_COMP_CNT: 2
	.section	.text._ZN7rocprim17ROCPRIM_400000_NS6detail17trampoline_kernelINS0_13kernel_configILj256ELj4ELj4294967295EEENS1_37radix_sort_block_sort_config_selectorIhlEEZNS1_21radix_sort_block_sortIS4_Lb0EPhS8_N6thrust23THRUST_200600_302600_NS10device_ptrIlEESC_NS0_19identity_decomposerEEE10hipError_tT1_T2_T3_T4_jRjT5_jjP12ihipStream_tbEUlT_E_NS1_11comp_targetILNS1_3genE10ELNS1_11target_archE1201ELNS1_3gpuE5ELNS1_3repE0EEENS1_44radix_sort_block_sort_config_static_selectorELNS0_4arch9wavefront6targetE1EEEvSF_,"axG",@progbits,_ZN7rocprim17ROCPRIM_400000_NS6detail17trampoline_kernelINS0_13kernel_configILj256ELj4ELj4294967295EEENS1_37radix_sort_block_sort_config_selectorIhlEEZNS1_21radix_sort_block_sortIS4_Lb0EPhS8_N6thrust23THRUST_200600_302600_NS10device_ptrIlEESC_NS0_19identity_decomposerEEE10hipError_tT1_T2_T3_T4_jRjT5_jjP12ihipStream_tbEUlT_E_NS1_11comp_targetILNS1_3genE10ELNS1_11target_archE1201ELNS1_3gpuE5ELNS1_3repE0EEENS1_44radix_sort_block_sort_config_static_selectorELNS0_4arch9wavefront6targetE1EEEvSF_,comdat
	.protected	_ZN7rocprim17ROCPRIM_400000_NS6detail17trampoline_kernelINS0_13kernel_configILj256ELj4ELj4294967295EEENS1_37radix_sort_block_sort_config_selectorIhlEEZNS1_21radix_sort_block_sortIS4_Lb0EPhS8_N6thrust23THRUST_200600_302600_NS10device_ptrIlEESC_NS0_19identity_decomposerEEE10hipError_tT1_T2_T3_T4_jRjT5_jjP12ihipStream_tbEUlT_E_NS1_11comp_targetILNS1_3genE10ELNS1_11target_archE1201ELNS1_3gpuE5ELNS1_3repE0EEENS1_44radix_sort_block_sort_config_static_selectorELNS0_4arch9wavefront6targetE1EEEvSF_ ; -- Begin function _ZN7rocprim17ROCPRIM_400000_NS6detail17trampoline_kernelINS0_13kernel_configILj256ELj4ELj4294967295EEENS1_37radix_sort_block_sort_config_selectorIhlEEZNS1_21radix_sort_block_sortIS4_Lb0EPhS8_N6thrust23THRUST_200600_302600_NS10device_ptrIlEESC_NS0_19identity_decomposerEEE10hipError_tT1_T2_T3_T4_jRjT5_jjP12ihipStream_tbEUlT_E_NS1_11comp_targetILNS1_3genE10ELNS1_11target_archE1201ELNS1_3gpuE5ELNS1_3repE0EEENS1_44radix_sort_block_sort_config_static_selectorELNS0_4arch9wavefront6targetE1EEEvSF_
	.globl	_ZN7rocprim17ROCPRIM_400000_NS6detail17trampoline_kernelINS0_13kernel_configILj256ELj4ELj4294967295EEENS1_37radix_sort_block_sort_config_selectorIhlEEZNS1_21radix_sort_block_sortIS4_Lb0EPhS8_N6thrust23THRUST_200600_302600_NS10device_ptrIlEESC_NS0_19identity_decomposerEEE10hipError_tT1_T2_T3_T4_jRjT5_jjP12ihipStream_tbEUlT_E_NS1_11comp_targetILNS1_3genE10ELNS1_11target_archE1201ELNS1_3gpuE5ELNS1_3repE0EEENS1_44radix_sort_block_sort_config_static_selectorELNS0_4arch9wavefront6targetE1EEEvSF_
	.p2align	8
	.type	_ZN7rocprim17ROCPRIM_400000_NS6detail17trampoline_kernelINS0_13kernel_configILj256ELj4ELj4294967295EEENS1_37radix_sort_block_sort_config_selectorIhlEEZNS1_21radix_sort_block_sortIS4_Lb0EPhS8_N6thrust23THRUST_200600_302600_NS10device_ptrIlEESC_NS0_19identity_decomposerEEE10hipError_tT1_T2_T3_T4_jRjT5_jjP12ihipStream_tbEUlT_E_NS1_11comp_targetILNS1_3genE10ELNS1_11target_archE1201ELNS1_3gpuE5ELNS1_3repE0EEENS1_44radix_sort_block_sort_config_static_selectorELNS0_4arch9wavefront6targetE1EEEvSF_,@function
_ZN7rocprim17ROCPRIM_400000_NS6detail17trampoline_kernelINS0_13kernel_configILj256ELj4ELj4294967295EEENS1_37radix_sort_block_sort_config_selectorIhlEEZNS1_21radix_sort_block_sortIS4_Lb0EPhS8_N6thrust23THRUST_200600_302600_NS10device_ptrIlEESC_NS0_19identity_decomposerEEE10hipError_tT1_T2_T3_T4_jRjT5_jjP12ihipStream_tbEUlT_E_NS1_11comp_targetILNS1_3genE10ELNS1_11target_archE1201ELNS1_3gpuE5ELNS1_3repE0EEENS1_44radix_sort_block_sort_config_static_selectorELNS0_4arch9wavefront6targetE1EEEvSF_: ; @_ZN7rocprim17ROCPRIM_400000_NS6detail17trampoline_kernelINS0_13kernel_configILj256ELj4ELj4294967295EEENS1_37radix_sort_block_sort_config_selectorIhlEEZNS1_21radix_sort_block_sortIS4_Lb0EPhS8_N6thrust23THRUST_200600_302600_NS10device_ptrIlEESC_NS0_19identity_decomposerEEE10hipError_tT1_T2_T3_T4_jRjT5_jjP12ihipStream_tbEUlT_E_NS1_11comp_targetILNS1_3genE10ELNS1_11target_archE1201ELNS1_3gpuE5ELNS1_3repE0EEENS1_44radix_sort_block_sort_config_static_selectorELNS0_4arch9wavefront6targetE1EEEvSF_
; %bb.0:
	.section	.rodata,"a",@progbits
	.p2align	6, 0x0
	.amdhsa_kernel _ZN7rocprim17ROCPRIM_400000_NS6detail17trampoline_kernelINS0_13kernel_configILj256ELj4ELj4294967295EEENS1_37radix_sort_block_sort_config_selectorIhlEEZNS1_21radix_sort_block_sortIS4_Lb0EPhS8_N6thrust23THRUST_200600_302600_NS10device_ptrIlEESC_NS0_19identity_decomposerEEE10hipError_tT1_T2_T3_T4_jRjT5_jjP12ihipStream_tbEUlT_E_NS1_11comp_targetILNS1_3genE10ELNS1_11target_archE1201ELNS1_3gpuE5ELNS1_3repE0EEENS1_44radix_sort_block_sort_config_static_selectorELNS0_4arch9wavefront6targetE1EEEvSF_
		.amdhsa_group_segment_fixed_size 0
		.amdhsa_private_segment_fixed_size 0
		.amdhsa_kernarg_size 48
		.amdhsa_user_sgpr_count 6
		.amdhsa_user_sgpr_private_segment_buffer 1
		.amdhsa_user_sgpr_dispatch_ptr 0
		.amdhsa_user_sgpr_queue_ptr 0
		.amdhsa_user_sgpr_kernarg_segment_ptr 1
		.amdhsa_user_sgpr_dispatch_id 0
		.amdhsa_user_sgpr_flat_scratch_init 0
		.amdhsa_user_sgpr_private_segment_size 0
		.amdhsa_uses_dynamic_stack 0
		.amdhsa_system_sgpr_private_segment_wavefront_offset 0
		.amdhsa_system_sgpr_workgroup_id_x 1
		.amdhsa_system_sgpr_workgroup_id_y 0
		.amdhsa_system_sgpr_workgroup_id_z 0
		.amdhsa_system_sgpr_workgroup_info 0
		.amdhsa_system_vgpr_workitem_id 0
		.amdhsa_next_free_vgpr 1
		.amdhsa_next_free_sgpr 0
		.amdhsa_reserve_vcc 0
		.amdhsa_reserve_flat_scratch 0
		.amdhsa_float_round_mode_32 0
		.amdhsa_float_round_mode_16_64 0
		.amdhsa_float_denorm_mode_32 3
		.amdhsa_float_denorm_mode_16_64 3
		.amdhsa_dx10_clamp 1
		.amdhsa_ieee_mode 1
		.amdhsa_fp16_overflow 0
		.amdhsa_exception_fp_ieee_invalid_op 0
		.amdhsa_exception_fp_denorm_src 0
		.amdhsa_exception_fp_ieee_div_zero 0
		.amdhsa_exception_fp_ieee_overflow 0
		.amdhsa_exception_fp_ieee_underflow 0
		.amdhsa_exception_fp_ieee_inexact 0
		.amdhsa_exception_int_div_zero 0
	.end_amdhsa_kernel
	.section	.text._ZN7rocprim17ROCPRIM_400000_NS6detail17trampoline_kernelINS0_13kernel_configILj256ELj4ELj4294967295EEENS1_37radix_sort_block_sort_config_selectorIhlEEZNS1_21radix_sort_block_sortIS4_Lb0EPhS8_N6thrust23THRUST_200600_302600_NS10device_ptrIlEESC_NS0_19identity_decomposerEEE10hipError_tT1_T2_T3_T4_jRjT5_jjP12ihipStream_tbEUlT_E_NS1_11comp_targetILNS1_3genE10ELNS1_11target_archE1201ELNS1_3gpuE5ELNS1_3repE0EEENS1_44radix_sort_block_sort_config_static_selectorELNS0_4arch9wavefront6targetE1EEEvSF_,"axG",@progbits,_ZN7rocprim17ROCPRIM_400000_NS6detail17trampoline_kernelINS0_13kernel_configILj256ELj4ELj4294967295EEENS1_37radix_sort_block_sort_config_selectorIhlEEZNS1_21radix_sort_block_sortIS4_Lb0EPhS8_N6thrust23THRUST_200600_302600_NS10device_ptrIlEESC_NS0_19identity_decomposerEEE10hipError_tT1_T2_T3_T4_jRjT5_jjP12ihipStream_tbEUlT_E_NS1_11comp_targetILNS1_3genE10ELNS1_11target_archE1201ELNS1_3gpuE5ELNS1_3repE0EEENS1_44radix_sort_block_sort_config_static_selectorELNS0_4arch9wavefront6targetE1EEEvSF_,comdat
.Lfunc_end111:
	.size	_ZN7rocprim17ROCPRIM_400000_NS6detail17trampoline_kernelINS0_13kernel_configILj256ELj4ELj4294967295EEENS1_37radix_sort_block_sort_config_selectorIhlEEZNS1_21radix_sort_block_sortIS4_Lb0EPhS8_N6thrust23THRUST_200600_302600_NS10device_ptrIlEESC_NS0_19identity_decomposerEEE10hipError_tT1_T2_T3_T4_jRjT5_jjP12ihipStream_tbEUlT_E_NS1_11comp_targetILNS1_3genE10ELNS1_11target_archE1201ELNS1_3gpuE5ELNS1_3repE0EEENS1_44radix_sort_block_sort_config_static_selectorELNS0_4arch9wavefront6targetE1EEEvSF_, .Lfunc_end111-_ZN7rocprim17ROCPRIM_400000_NS6detail17trampoline_kernelINS0_13kernel_configILj256ELj4ELj4294967295EEENS1_37radix_sort_block_sort_config_selectorIhlEEZNS1_21radix_sort_block_sortIS4_Lb0EPhS8_N6thrust23THRUST_200600_302600_NS10device_ptrIlEESC_NS0_19identity_decomposerEEE10hipError_tT1_T2_T3_T4_jRjT5_jjP12ihipStream_tbEUlT_E_NS1_11comp_targetILNS1_3genE10ELNS1_11target_archE1201ELNS1_3gpuE5ELNS1_3repE0EEENS1_44radix_sort_block_sort_config_static_selectorELNS0_4arch9wavefront6targetE1EEEvSF_
                                        ; -- End function
	.set _ZN7rocprim17ROCPRIM_400000_NS6detail17trampoline_kernelINS0_13kernel_configILj256ELj4ELj4294967295EEENS1_37radix_sort_block_sort_config_selectorIhlEEZNS1_21radix_sort_block_sortIS4_Lb0EPhS8_N6thrust23THRUST_200600_302600_NS10device_ptrIlEESC_NS0_19identity_decomposerEEE10hipError_tT1_T2_T3_T4_jRjT5_jjP12ihipStream_tbEUlT_E_NS1_11comp_targetILNS1_3genE10ELNS1_11target_archE1201ELNS1_3gpuE5ELNS1_3repE0EEENS1_44radix_sort_block_sort_config_static_selectorELNS0_4arch9wavefront6targetE1EEEvSF_.num_vgpr, 0
	.set _ZN7rocprim17ROCPRIM_400000_NS6detail17trampoline_kernelINS0_13kernel_configILj256ELj4ELj4294967295EEENS1_37radix_sort_block_sort_config_selectorIhlEEZNS1_21radix_sort_block_sortIS4_Lb0EPhS8_N6thrust23THRUST_200600_302600_NS10device_ptrIlEESC_NS0_19identity_decomposerEEE10hipError_tT1_T2_T3_T4_jRjT5_jjP12ihipStream_tbEUlT_E_NS1_11comp_targetILNS1_3genE10ELNS1_11target_archE1201ELNS1_3gpuE5ELNS1_3repE0EEENS1_44radix_sort_block_sort_config_static_selectorELNS0_4arch9wavefront6targetE1EEEvSF_.num_agpr, 0
	.set _ZN7rocprim17ROCPRIM_400000_NS6detail17trampoline_kernelINS0_13kernel_configILj256ELj4ELj4294967295EEENS1_37radix_sort_block_sort_config_selectorIhlEEZNS1_21radix_sort_block_sortIS4_Lb0EPhS8_N6thrust23THRUST_200600_302600_NS10device_ptrIlEESC_NS0_19identity_decomposerEEE10hipError_tT1_T2_T3_T4_jRjT5_jjP12ihipStream_tbEUlT_E_NS1_11comp_targetILNS1_3genE10ELNS1_11target_archE1201ELNS1_3gpuE5ELNS1_3repE0EEENS1_44radix_sort_block_sort_config_static_selectorELNS0_4arch9wavefront6targetE1EEEvSF_.numbered_sgpr, 0
	.set _ZN7rocprim17ROCPRIM_400000_NS6detail17trampoline_kernelINS0_13kernel_configILj256ELj4ELj4294967295EEENS1_37radix_sort_block_sort_config_selectorIhlEEZNS1_21radix_sort_block_sortIS4_Lb0EPhS8_N6thrust23THRUST_200600_302600_NS10device_ptrIlEESC_NS0_19identity_decomposerEEE10hipError_tT1_T2_T3_T4_jRjT5_jjP12ihipStream_tbEUlT_E_NS1_11comp_targetILNS1_3genE10ELNS1_11target_archE1201ELNS1_3gpuE5ELNS1_3repE0EEENS1_44radix_sort_block_sort_config_static_selectorELNS0_4arch9wavefront6targetE1EEEvSF_.num_named_barrier, 0
	.set _ZN7rocprim17ROCPRIM_400000_NS6detail17trampoline_kernelINS0_13kernel_configILj256ELj4ELj4294967295EEENS1_37radix_sort_block_sort_config_selectorIhlEEZNS1_21radix_sort_block_sortIS4_Lb0EPhS8_N6thrust23THRUST_200600_302600_NS10device_ptrIlEESC_NS0_19identity_decomposerEEE10hipError_tT1_T2_T3_T4_jRjT5_jjP12ihipStream_tbEUlT_E_NS1_11comp_targetILNS1_3genE10ELNS1_11target_archE1201ELNS1_3gpuE5ELNS1_3repE0EEENS1_44radix_sort_block_sort_config_static_selectorELNS0_4arch9wavefront6targetE1EEEvSF_.private_seg_size, 0
	.set _ZN7rocprim17ROCPRIM_400000_NS6detail17trampoline_kernelINS0_13kernel_configILj256ELj4ELj4294967295EEENS1_37radix_sort_block_sort_config_selectorIhlEEZNS1_21radix_sort_block_sortIS4_Lb0EPhS8_N6thrust23THRUST_200600_302600_NS10device_ptrIlEESC_NS0_19identity_decomposerEEE10hipError_tT1_T2_T3_T4_jRjT5_jjP12ihipStream_tbEUlT_E_NS1_11comp_targetILNS1_3genE10ELNS1_11target_archE1201ELNS1_3gpuE5ELNS1_3repE0EEENS1_44radix_sort_block_sort_config_static_selectorELNS0_4arch9wavefront6targetE1EEEvSF_.uses_vcc, 0
	.set _ZN7rocprim17ROCPRIM_400000_NS6detail17trampoline_kernelINS0_13kernel_configILj256ELj4ELj4294967295EEENS1_37radix_sort_block_sort_config_selectorIhlEEZNS1_21radix_sort_block_sortIS4_Lb0EPhS8_N6thrust23THRUST_200600_302600_NS10device_ptrIlEESC_NS0_19identity_decomposerEEE10hipError_tT1_T2_T3_T4_jRjT5_jjP12ihipStream_tbEUlT_E_NS1_11comp_targetILNS1_3genE10ELNS1_11target_archE1201ELNS1_3gpuE5ELNS1_3repE0EEENS1_44radix_sort_block_sort_config_static_selectorELNS0_4arch9wavefront6targetE1EEEvSF_.uses_flat_scratch, 0
	.set _ZN7rocprim17ROCPRIM_400000_NS6detail17trampoline_kernelINS0_13kernel_configILj256ELj4ELj4294967295EEENS1_37radix_sort_block_sort_config_selectorIhlEEZNS1_21radix_sort_block_sortIS4_Lb0EPhS8_N6thrust23THRUST_200600_302600_NS10device_ptrIlEESC_NS0_19identity_decomposerEEE10hipError_tT1_T2_T3_T4_jRjT5_jjP12ihipStream_tbEUlT_E_NS1_11comp_targetILNS1_3genE10ELNS1_11target_archE1201ELNS1_3gpuE5ELNS1_3repE0EEENS1_44radix_sort_block_sort_config_static_selectorELNS0_4arch9wavefront6targetE1EEEvSF_.has_dyn_sized_stack, 0
	.set _ZN7rocprim17ROCPRIM_400000_NS6detail17trampoline_kernelINS0_13kernel_configILj256ELj4ELj4294967295EEENS1_37radix_sort_block_sort_config_selectorIhlEEZNS1_21radix_sort_block_sortIS4_Lb0EPhS8_N6thrust23THRUST_200600_302600_NS10device_ptrIlEESC_NS0_19identity_decomposerEEE10hipError_tT1_T2_T3_T4_jRjT5_jjP12ihipStream_tbEUlT_E_NS1_11comp_targetILNS1_3genE10ELNS1_11target_archE1201ELNS1_3gpuE5ELNS1_3repE0EEENS1_44radix_sort_block_sort_config_static_selectorELNS0_4arch9wavefront6targetE1EEEvSF_.has_recursion, 0
	.set _ZN7rocprim17ROCPRIM_400000_NS6detail17trampoline_kernelINS0_13kernel_configILj256ELj4ELj4294967295EEENS1_37radix_sort_block_sort_config_selectorIhlEEZNS1_21radix_sort_block_sortIS4_Lb0EPhS8_N6thrust23THRUST_200600_302600_NS10device_ptrIlEESC_NS0_19identity_decomposerEEE10hipError_tT1_T2_T3_T4_jRjT5_jjP12ihipStream_tbEUlT_E_NS1_11comp_targetILNS1_3genE10ELNS1_11target_archE1201ELNS1_3gpuE5ELNS1_3repE0EEENS1_44radix_sort_block_sort_config_static_selectorELNS0_4arch9wavefront6targetE1EEEvSF_.has_indirect_call, 0
	.section	.AMDGPU.csdata,"",@progbits
; Kernel info:
; codeLenInByte = 0
; TotalNumSgprs: 4
; NumVgprs: 0
; ScratchSize: 0
; MemoryBound: 0
; FloatMode: 240
; IeeeMode: 1
; LDSByteSize: 0 bytes/workgroup (compile time only)
; SGPRBlocks: 0
; VGPRBlocks: 0
; NumSGPRsForWavesPerEU: 4
; NumVGPRsForWavesPerEU: 1
; Occupancy: 10
; WaveLimiterHint : 0
; COMPUTE_PGM_RSRC2:SCRATCH_EN: 0
; COMPUTE_PGM_RSRC2:USER_SGPR: 6
; COMPUTE_PGM_RSRC2:TRAP_HANDLER: 0
; COMPUTE_PGM_RSRC2:TGID_X_EN: 1
; COMPUTE_PGM_RSRC2:TGID_Y_EN: 0
; COMPUTE_PGM_RSRC2:TGID_Z_EN: 0
; COMPUTE_PGM_RSRC2:TIDIG_COMP_CNT: 0
	.section	.text._ZN7rocprim17ROCPRIM_400000_NS6detail17trampoline_kernelINS0_13kernel_configILj256ELj4ELj4294967295EEENS1_37radix_sort_block_sort_config_selectorIhlEEZNS1_21radix_sort_block_sortIS4_Lb0EPhS8_N6thrust23THRUST_200600_302600_NS10device_ptrIlEESC_NS0_19identity_decomposerEEE10hipError_tT1_T2_T3_T4_jRjT5_jjP12ihipStream_tbEUlT_E_NS1_11comp_targetILNS1_3genE10ELNS1_11target_archE1200ELNS1_3gpuE4ELNS1_3repE0EEENS1_44radix_sort_block_sort_config_static_selectorELNS0_4arch9wavefront6targetE1EEEvSF_,"axG",@progbits,_ZN7rocprim17ROCPRIM_400000_NS6detail17trampoline_kernelINS0_13kernel_configILj256ELj4ELj4294967295EEENS1_37radix_sort_block_sort_config_selectorIhlEEZNS1_21radix_sort_block_sortIS4_Lb0EPhS8_N6thrust23THRUST_200600_302600_NS10device_ptrIlEESC_NS0_19identity_decomposerEEE10hipError_tT1_T2_T3_T4_jRjT5_jjP12ihipStream_tbEUlT_E_NS1_11comp_targetILNS1_3genE10ELNS1_11target_archE1200ELNS1_3gpuE4ELNS1_3repE0EEENS1_44radix_sort_block_sort_config_static_selectorELNS0_4arch9wavefront6targetE1EEEvSF_,comdat
	.protected	_ZN7rocprim17ROCPRIM_400000_NS6detail17trampoline_kernelINS0_13kernel_configILj256ELj4ELj4294967295EEENS1_37radix_sort_block_sort_config_selectorIhlEEZNS1_21radix_sort_block_sortIS4_Lb0EPhS8_N6thrust23THRUST_200600_302600_NS10device_ptrIlEESC_NS0_19identity_decomposerEEE10hipError_tT1_T2_T3_T4_jRjT5_jjP12ihipStream_tbEUlT_E_NS1_11comp_targetILNS1_3genE10ELNS1_11target_archE1200ELNS1_3gpuE4ELNS1_3repE0EEENS1_44radix_sort_block_sort_config_static_selectorELNS0_4arch9wavefront6targetE1EEEvSF_ ; -- Begin function _ZN7rocprim17ROCPRIM_400000_NS6detail17trampoline_kernelINS0_13kernel_configILj256ELj4ELj4294967295EEENS1_37radix_sort_block_sort_config_selectorIhlEEZNS1_21radix_sort_block_sortIS4_Lb0EPhS8_N6thrust23THRUST_200600_302600_NS10device_ptrIlEESC_NS0_19identity_decomposerEEE10hipError_tT1_T2_T3_T4_jRjT5_jjP12ihipStream_tbEUlT_E_NS1_11comp_targetILNS1_3genE10ELNS1_11target_archE1200ELNS1_3gpuE4ELNS1_3repE0EEENS1_44radix_sort_block_sort_config_static_selectorELNS0_4arch9wavefront6targetE1EEEvSF_
	.globl	_ZN7rocprim17ROCPRIM_400000_NS6detail17trampoline_kernelINS0_13kernel_configILj256ELj4ELj4294967295EEENS1_37radix_sort_block_sort_config_selectorIhlEEZNS1_21radix_sort_block_sortIS4_Lb0EPhS8_N6thrust23THRUST_200600_302600_NS10device_ptrIlEESC_NS0_19identity_decomposerEEE10hipError_tT1_T2_T3_T4_jRjT5_jjP12ihipStream_tbEUlT_E_NS1_11comp_targetILNS1_3genE10ELNS1_11target_archE1200ELNS1_3gpuE4ELNS1_3repE0EEENS1_44radix_sort_block_sort_config_static_selectorELNS0_4arch9wavefront6targetE1EEEvSF_
	.p2align	8
	.type	_ZN7rocprim17ROCPRIM_400000_NS6detail17trampoline_kernelINS0_13kernel_configILj256ELj4ELj4294967295EEENS1_37radix_sort_block_sort_config_selectorIhlEEZNS1_21radix_sort_block_sortIS4_Lb0EPhS8_N6thrust23THRUST_200600_302600_NS10device_ptrIlEESC_NS0_19identity_decomposerEEE10hipError_tT1_T2_T3_T4_jRjT5_jjP12ihipStream_tbEUlT_E_NS1_11comp_targetILNS1_3genE10ELNS1_11target_archE1200ELNS1_3gpuE4ELNS1_3repE0EEENS1_44radix_sort_block_sort_config_static_selectorELNS0_4arch9wavefront6targetE1EEEvSF_,@function
_ZN7rocprim17ROCPRIM_400000_NS6detail17trampoline_kernelINS0_13kernel_configILj256ELj4ELj4294967295EEENS1_37radix_sort_block_sort_config_selectorIhlEEZNS1_21radix_sort_block_sortIS4_Lb0EPhS8_N6thrust23THRUST_200600_302600_NS10device_ptrIlEESC_NS0_19identity_decomposerEEE10hipError_tT1_T2_T3_T4_jRjT5_jjP12ihipStream_tbEUlT_E_NS1_11comp_targetILNS1_3genE10ELNS1_11target_archE1200ELNS1_3gpuE4ELNS1_3repE0EEENS1_44radix_sort_block_sort_config_static_selectorELNS0_4arch9wavefront6targetE1EEEvSF_: ; @_ZN7rocprim17ROCPRIM_400000_NS6detail17trampoline_kernelINS0_13kernel_configILj256ELj4ELj4294967295EEENS1_37radix_sort_block_sort_config_selectorIhlEEZNS1_21radix_sort_block_sortIS4_Lb0EPhS8_N6thrust23THRUST_200600_302600_NS10device_ptrIlEESC_NS0_19identity_decomposerEEE10hipError_tT1_T2_T3_T4_jRjT5_jjP12ihipStream_tbEUlT_E_NS1_11comp_targetILNS1_3genE10ELNS1_11target_archE1200ELNS1_3gpuE4ELNS1_3repE0EEENS1_44radix_sort_block_sort_config_static_selectorELNS0_4arch9wavefront6targetE1EEEvSF_
; %bb.0:
	.section	.rodata,"a",@progbits
	.p2align	6, 0x0
	.amdhsa_kernel _ZN7rocprim17ROCPRIM_400000_NS6detail17trampoline_kernelINS0_13kernel_configILj256ELj4ELj4294967295EEENS1_37radix_sort_block_sort_config_selectorIhlEEZNS1_21radix_sort_block_sortIS4_Lb0EPhS8_N6thrust23THRUST_200600_302600_NS10device_ptrIlEESC_NS0_19identity_decomposerEEE10hipError_tT1_T2_T3_T4_jRjT5_jjP12ihipStream_tbEUlT_E_NS1_11comp_targetILNS1_3genE10ELNS1_11target_archE1200ELNS1_3gpuE4ELNS1_3repE0EEENS1_44radix_sort_block_sort_config_static_selectorELNS0_4arch9wavefront6targetE1EEEvSF_
		.amdhsa_group_segment_fixed_size 0
		.amdhsa_private_segment_fixed_size 0
		.amdhsa_kernarg_size 48
		.amdhsa_user_sgpr_count 6
		.amdhsa_user_sgpr_private_segment_buffer 1
		.amdhsa_user_sgpr_dispatch_ptr 0
		.amdhsa_user_sgpr_queue_ptr 0
		.amdhsa_user_sgpr_kernarg_segment_ptr 1
		.amdhsa_user_sgpr_dispatch_id 0
		.amdhsa_user_sgpr_flat_scratch_init 0
		.amdhsa_user_sgpr_private_segment_size 0
		.amdhsa_uses_dynamic_stack 0
		.amdhsa_system_sgpr_private_segment_wavefront_offset 0
		.amdhsa_system_sgpr_workgroup_id_x 1
		.amdhsa_system_sgpr_workgroup_id_y 0
		.amdhsa_system_sgpr_workgroup_id_z 0
		.amdhsa_system_sgpr_workgroup_info 0
		.amdhsa_system_vgpr_workitem_id 0
		.amdhsa_next_free_vgpr 1
		.amdhsa_next_free_sgpr 0
		.amdhsa_reserve_vcc 0
		.amdhsa_reserve_flat_scratch 0
		.amdhsa_float_round_mode_32 0
		.amdhsa_float_round_mode_16_64 0
		.amdhsa_float_denorm_mode_32 3
		.amdhsa_float_denorm_mode_16_64 3
		.amdhsa_dx10_clamp 1
		.amdhsa_ieee_mode 1
		.amdhsa_fp16_overflow 0
		.amdhsa_exception_fp_ieee_invalid_op 0
		.amdhsa_exception_fp_denorm_src 0
		.amdhsa_exception_fp_ieee_div_zero 0
		.amdhsa_exception_fp_ieee_overflow 0
		.amdhsa_exception_fp_ieee_underflow 0
		.amdhsa_exception_fp_ieee_inexact 0
		.amdhsa_exception_int_div_zero 0
	.end_amdhsa_kernel
	.section	.text._ZN7rocprim17ROCPRIM_400000_NS6detail17trampoline_kernelINS0_13kernel_configILj256ELj4ELj4294967295EEENS1_37radix_sort_block_sort_config_selectorIhlEEZNS1_21radix_sort_block_sortIS4_Lb0EPhS8_N6thrust23THRUST_200600_302600_NS10device_ptrIlEESC_NS0_19identity_decomposerEEE10hipError_tT1_T2_T3_T4_jRjT5_jjP12ihipStream_tbEUlT_E_NS1_11comp_targetILNS1_3genE10ELNS1_11target_archE1200ELNS1_3gpuE4ELNS1_3repE0EEENS1_44radix_sort_block_sort_config_static_selectorELNS0_4arch9wavefront6targetE1EEEvSF_,"axG",@progbits,_ZN7rocprim17ROCPRIM_400000_NS6detail17trampoline_kernelINS0_13kernel_configILj256ELj4ELj4294967295EEENS1_37radix_sort_block_sort_config_selectorIhlEEZNS1_21radix_sort_block_sortIS4_Lb0EPhS8_N6thrust23THRUST_200600_302600_NS10device_ptrIlEESC_NS0_19identity_decomposerEEE10hipError_tT1_T2_T3_T4_jRjT5_jjP12ihipStream_tbEUlT_E_NS1_11comp_targetILNS1_3genE10ELNS1_11target_archE1200ELNS1_3gpuE4ELNS1_3repE0EEENS1_44radix_sort_block_sort_config_static_selectorELNS0_4arch9wavefront6targetE1EEEvSF_,comdat
.Lfunc_end112:
	.size	_ZN7rocprim17ROCPRIM_400000_NS6detail17trampoline_kernelINS0_13kernel_configILj256ELj4ELj4294967295EEENS1_37radix_sort_block_sort_config_selectorIhlEEZNS1_21radix_sort_block_sortIS4_Lb0EPhS8_N6thrust23THRUST_200600_302600_NS10device_ptrIlEESC_NS0_19identity_decomposerEEE10hipError_tT1_T2_T3_T4_jRjT5_jjP12ihipStream_tbEUlT_E_NS1_11comp_targetILNS1_3genE10ELNS1_11target_archE1200ELNS1_3gpuE4ELNS1_3repE0EEENS1_44radix_sort_block_sort_config_static_selectorELNS0_4arch9wavefront6targetE1EEEvSF_, .Lfunc_end112-_ZN7rocprim17ROCPRIM_400000_NS6detail17trampoline_kernelINS0_13kernel_configILj256ELj4ELj4294967295EEENS1_37radix_sort_block_sort_config_selectorIhlEEZNS1_21radix_sort_block_sortIS4_Lb0EPhS8_N6thrust23THRUST_200600_302600_NS10device_ptrIlEESC_NS0_19identity_decomposerEEE10hipError_tT1_T2_T3_T4_jRjT5_jjP12ihipStream_tbEUlT_E_NS1_11comp_targetILNS1_3genE10ELNS1_11target_archE1200ELNS1_3gpuE4ELNS1_3repE0EEENS1_44radix_sort_block_sort_config_static_selectorELNS0_4arch9wavefront6targetE1EEEvSF_
                                        ; -- End function
	.set _ZN7rocprim17ROCPRIM_400000_NS6detail17trampoline_kernelINS0_13kernel_configILj256ELj4ELj4294967295EEENS1_37radix_sort_block_sort_config_selectorIhlEEZNS1_21radix_sort_block_sortIS4_Lb0EPhS8_N6thrust23THRUST_200600_302600_NS10device_ptrIlEESC_NS0_19identity_decomposerEEE10hipError_tT1_T2_T3_T4_jRjT5_jjP12ihipStream_tbEUlT_E_NS1_11comp_targetILNS1_3genE10ELNS1_11target_archE1200ELNS1_3gpuE4ELNS1_3repE0EEENS1_44radix_sort_block_sort_config_static_selectorELNS0_4arch9wavefront6targetE1EEEvSF_.num_vgpr, 0
	.set _ZN7rocprim17ROCPRIM_400000_NS6detail17trampoline_kernelINS0_13kernel_configILj256ELj4ELj4294967295EEENS1_37radix_sort_block_sort_config_selectorIhlEEZNS1_21radix_sort_block_sortIS4_Lb0EPhS8_N6thrust23THRUST_200600_302600_NS10device_ptrIlEESC_NS0_19identity_decomposerEEE10hipError_tT1_T2_T3_T4_jRjT5_jjP12ihipStream_tbEUlT_E_NS1_11comp_targetILNS1_3genE10ELNS1_11target_archE1200ELNS1_3gpuE4ELNS1_3repE0EEENS1_44radix_sort_block_sort_config_static_selectorELNS0_4arch9wavefront6targetE1EEEvSF_.num_agpr, 0
	.set _ZN7rocprim17ROCPRIM_400000_NS6detail17trampoline_kernelINS0_13kernel_configILj256ELj4ELj4294967295EEENS1_37radix_sort_block_sort_config_selectorIhlEEZNS1_21radix_sort_block_sortIS4_Lb0EPhS8_N6thrust23THRUST_200600_302600_NS10device_ptrIlEESC_NS0_19identity_decomposerEEE10hipError_tT1_T2_T3_T4_jRjT5_jjP12ihipStream_tbEUlT_E_NS1_11comp_targetILNS1_3genE10ELNS1_11target_archE1200ELNS1_3gpuE4ELNS1_3repE0EEENS1_44radix_sort_block_sort_config_static_selectorELNS0_4arch9wavefront6targetE1EEEvSF_.numbered_sgpr, 0
	.set _ZN7rocprim17ROCPRIM_400000_NS6detail17trampoline_kernelINS0_13kernel_configILj256ELj4ELj4294967295EEENS1_37radix_sort_block_sort_config_selectorIhlEEZNS1_21radix_sort_block_sortIS4_Lb0EPhS8_N6thrust23THRUST_200600_302600_NS10device_ptrIlEESC_NS0_19identity_decomposerEEE10hipError_tT1_T2_T3_T4_jRjT5_jjP12ihipStream_tbEUlT_E_NS1_11comp_targetILNS1_3genE10ELNS1_11target_archE1200ELNS1_3gpuE4ELNS1_3repE0EEENS1_44radix_sort_block_sort_config_static_selectorELNS0_4arch9wavefront6targetE1EEEvSF_.num_named_barrier, 0
	.set _ZN7rocprim17ROCPRIM_400000_NS6detail17trampoline_kernelINS0_13kernel_configILj256ELj4ELj4294967295EEENS1_37radix_sort_block_sort_config_selectorIhlEEZNS1_21radix_sort_block_sortIS4_Lb0EPhS8_N6thrust23THRUST_200600_302600_NS10device_ptrIlEESC_NS0_19identity_decomposerEEE10hipError_tT1_T2_T3_T4_jRjT5_jjP12ihipStream_tbEUlT_E_NS1_11comp_targetILNS1_3genE10ELNS1_11target_archE1200ELNS1_3gpuE4ELNS1_3repE0EEENS1_44radix_sort_block_sort_config_static_selectorELNS0_4arch9wavefront6targetE1EEEvSF_.private_seg_size, 0
	.set _ZN7rocprim17ROCPRIM_400000_NS6detail17trampoline_kernelINS0_13kernel_configILj256ELj4ELj4294967295EEENS1_37radix_sort_block_sort_config_selectorIhlEEZNS1_21radix_sort_block_sortIS4_Lb0EPhS8_N6thrust23THRUST_200600_302600_NS10device_ptrIlEESC_NS0_19identity_decomposerEEE10hipError_tT1_T2_T3_T4_jRjT5_jjP12ihipStream_tbEUlT_E_NS1_11comp_targetILNS1_3genE10ELNS1_11target_archE1200ELNS1_3gpuE4ELNS1_3repE0EEENS1_44radix_sort_block_sort_config_static_selectorELNS0_4arch9wavefront6targetE1EEEvSF_.uses_vcc, 0
	.set _ZN7rocprim17ROCPRIM_400000_NS6detail17trampoline_kernelINS0_13kernel_configILj256ELj4ELj4294967295EEENS1_37radix_sort_block_sort_config_selectorIhlEEZNS1_21radix_sort_block_sortIS4_Lb0EPhS8_N6thrust23THRUST_200600_302600_NS10device_ptrIlEESC_NS0_19identity_decomposerEEE10hipError_tT1_T2_T3_T4_jRjT5_jjP12ihipStream_tbEUlT_E_NS1_11comp_targetILNS1_3genE10ELNS1_11target_archE1200ELNS1_3gpuE4ELNS1_3repE0EEENS1_44radix_sort_block_sort_config_static_selectorELNS0_4arch9wavefront6targetE1EEEvSF_.uses_flat_scratch, 0
	.set _ZN7rocprim17ROCPRIM_400000_NS6detail17trampoline_kernelINS0_13kernel_configILj256ELj4ELj4294967295EEENS1_37radix_sort_block_sort_config_selectorIhlEEZNS1_21radix_sort_block_sortIS4_Lb0EPhS8_N6thrust23THRUST_200600_302600_NS10device_ptrIlEESC_NS0_19identity_decomposerEEE10hipError_tT1_T2_T3_T4_jRjT5_jjP12ihipStream_tbEUlT_E_NS1_11comp_targetILNS1_3genE10ELNS1_11target_archE1200ELNS1_3gpuE4ELNS1_3repE0EEENS1_44radix_sort_block_sort_config_static_selectorELNS0_4arch9wavefront6targetE1EEEvSF_.has_dyn_sized_stack, 0
	.set _ZN7rocprim17ROCPRIM_400000_NS6detail17trampoline_kernelINS0_13kernel_configILj256ELj4ELj4294967295EEENS1_37radix_sort_block_sort_config_selectorIhlEEZNS1_21radix_sort_block_sortIS4_Lb0EPhS8_N6thrust23THRUST_200600_302600_NS10device_ptrIlEESC_NS0_19identity_decomposerEEE10hipError_tT1_T2_T3_T4_jRjT5_jjP12ihipStream_tbEUlT_E_NS1_11comp_targetILNS1_3genE10ELNS1_11target_archE1200ELNS1_3gpuE4ELNS1_3repE0EEENS1_44radix_sort_block_sort_config_static_selectorELNS0_4arch9wavefront6targetE1EEEvSF_.has_recursion, 0
	.set _ZN7rocprim17ROCPRIM_400000_NS6detail17trampoline_kernelINS0_13kernel_configILj256ELj4ELj4294967295EEENS1_37radix_sort_block_sort_config_selectorIhlEEZNS1_21radix_sort_block_sortIS4_Lb0EPhS8_N6thrust23THRUST_200600_302600_NS10device_ptrIlEESC_NS0_19identity_decomposerEEE10hipError_tT1_T2_T3_T4_jRjT5_jjP12ihipStream_tbEUlT_E_NS1_11comp_targetILNS1_3genE10ELNS1_11target_archE1200ELNS1_3gpuE4ELNS1_3repE0EEENS1_44radix_sort_block_sort_config_static_selectorELNS0_4arch9wavefront6targetE1EEEvSF_.has_indirect_call, 0
	.section	.AMDGPU.csdata,"",@progbits
; Kernel info:
; codeLenInByte = 0
; TotalNumSgprs: 4
; NumVgprs: 0
; ScratchSize: 0
; MemoryBound: 0
; FloatMode: 240
; IeeeMode: 1
; LDSByteSize: 0 bytes/workgroup (compile time only)
; SGPRBlocks: 0
; VGPRBlocks: 0
; NumSGPRsForWavesPerEU: 4
; NumVGPRsForWavesPerEU: 1
; Occupancy: 10
; WaveLimiterHint : 0
; COMPUTE_PGM_RSRC2:SCRATCH_EN: 0
; COMPUTE_PGM_RSRC2:USER_SGPR: 6
; COMPUTE_PGM_RSRC2:TRAP_HANDLER: 0
; COMPUTE_PGM_RSRC2:TGID_X_EN: 1
; COMPUTE_PGM_RSRC2:TGID_Y_EN: 0
; COMPUTE_PGM_RSRC2:TGID_Z_EN: 0
; COMPUTE_PGM_RSRC2:TIDIG_COMP_CNT: 0
	.section	.text._ZN7rocprim17ROCPRIM_400000_NS6detail17trampoline_kernelINS0_13kernel_configILj256ELj4ELj4294967295EEENS1_37radix_sort_block_sort_config_selectorIhlEEZNS1_21radix_sort_block_sortIS4_Lb0EPhS8_N6thrust23THRUST_200600_302600_NS10device_ptrIlEESC_NS0_19identity_decomposerEEE10hipError_tT1_T2_T3_T4_jRjT5_jjP12ihipStream_tbEUlT_E_NS1_11comp_targetILNS1_3genE9ELNS1_11target_archE1100ELNS1_3gpuE3ELNS1_3repE0EEENS1_44radix_sort_block_sort_config_static_selectorELNS0_4arch9wavefront6targetE1EEEvSF_,"axG",@progbits,_ZN7rocprim17ROCPRIM_400000_NS6detail17trampoline_kernelINS0_13kernel_configILj256ELj4ELj4294967295EEENS1_37radix_sort_block_sort_config_selectorIhlEEZNS1_21radix_sort_block_sortIS4_Lb0EPhS8_N6thrust23THRUST_200600_302600_NS10device_ptrIlEESC_NS0_19identity_decomposerEEE10hipError_tT1_T2_T3_T4_jRjT5_jjP12ihipStream_tbEUlT_E_NS1_11comp_targetILNS1_3genE9ELNS1_11target_archE1100ELNS1_3gpuE3ELNS1_3repE0EEENS1_44radix_sort_block_sort_config_static_selectorELNS0_4arch9wavefront6targetE1EEEvSF_,comdat
	.protected	_ZN7rocprim17ROCPRIM_400000_NS6detail17trampoline_kernelINS0_13kernel_configILj256ELj4ELj4294967295EEENS1_37radix_sort_block_sort_config_selectorIhlEEZNS1_21radix_sort_block_sortIS4_Lb0EPhS8_N6thrust23THRUST_200600_302600_NS10device_ptrIlEESC_NS0_19identity_decomposerEEE10hipError_tT1_T2_T3_T4_jRjT5_jjP12ihipStream_tbEUlT_E_NS1_11comp_targetILNS1_3genE9ELNS1_11target_archE1100ELNS1_3gpuE3ELNS1_3repE0EEENS1_44radix_sort_block_sort_config_static_selectorELNS0_4arch9wavefront6targetE1EEEvSF_ ; -- Begin function _ZN7rocprim17ROCPRIM_400000_NS6detail17trampoline_kernelINS0_13kernel_configILj256ELj4ELj4294967295EEENS1_37radix_sort_block_sort_config_selectorIhlEEZNS1_21radix_sort_block_sortIS4_Lb0EPhS8_N6thrust23THRUST_200600_302600_NS10device_ptrIlEESC_NS0_19identity_decomposerEEE10hipError_tT1_T2_T3_T4_jRjT5_jjP12ihipStream_tbEUlT_E_NS1_11comp_targetILNS1_3genE9ELNS1_11target_archE1100ELNS1_3gpuE3ELNS1_3repE0EEENS1_44radix_sort_block_sort_config_static_selectorELNS0_4arch9wavefront6targetE1EEEvSF_
	.globl	_ZN7rocprim17ROCPRIM_400000_NS6detail17trampoline_kernelINS0_13kernel_configILj256ELj4ELj4294967295EEENS1_37radix_sort_block_sort_config_selectorIhlEEZNS1_21radix_sort_block_sortIS4_Lb0EPhS8_N6thrust23THRUST_200600_302600_NS10device_ptrIlEESC_NS0_19identity_decomposerEEE10hipError_tT1_T2_T3_T4_jRjT5_jjP12ihipStream_tbEUlT_E_NS1_11comp_targetILNS1_3genE9ELNS1_11target_archE1100ELNS1_3gpuE3ELNS1_3repE0EEENS1_44radix_sort_block_sort_config_static_selectorELNS0_4arch9wavefront6targetE1EEEvSF_
	.p2align	8
	.type	_ZN7rocprim17ROCPRIM_400000_NS6detail17trampoline_kernelINS0_13kernel_configILj256ELj4ELj4294967295EEENS1_37radix_sort_block_sort_config_selectorIhlEEZNS1_21radix_sort_block_sortIS4_Lb0EPhS8_N6thrust23THRUST_200600_302600_NS10device_ptrIlEESC_NS0_19identity_decomposerEEE10hipError_tT1_T2_T3_T4_jRjT5_jjP12ihipStream_tbEUlT_E_NS1_11comp_targetILNS1_3genE9ELNS1_11target_archE1100ELNS1_3gpuE3ELNS1_3repE0EEENS1_44radix_sort_block_sort_config_static_selectorELNS0_4arch9wavefront6targetE1EEEvSF_,@function
_ZN7rocprim17ROCPRIM_400000_NS6detail17trampoline_kernelINS0_13kernel_configILj256ELj4ELj4294967295EEENS1_37radix_sort_block_sort_config_selectorIhlEEZNS1_21radix_sort_block_sortIS4_Lb0EPhS8_N6thrust23THRUST_200600_302600_NS10device_ptrIlEESC_NS0_19identity_decomposerEEE10hipError_tT1_T2_T3_T4_jRjT5_jjP12ihipStream_tbEUlT_E_NS1_11comp_targetILNS1_3genE9ELNS1_11target_archE1100ELNS1_3gpuE3ELNS1_3repE0EEENS1_44radix_sort_block_sort_config_static_selectorELNS0_4arch9wavefront6targetE1EEEvSF_: ; @_ZN7rocprim17ROCPRIM_400000_NS6detail17trampoline_kernelINS0_13kernel_configILj256ELj4ELj4294967295EEENS1_37radix_sort_block_sort_config_selectorIhlEEZNS1_21radix_sort_block_sortIS4_Lb0EPhS8_N6thrust23THRUST_200600_302600_NS10device_ptrIlEESC_NS0_19identity_decomposerEEE10hipError_tT1_T2_T3_T4_jRjT5_jjP12ihipStream_tbEUlT_E_NS1_11comp_targetILNS1_3genE9ELNS1_11target_archE1100ELNS1_3gpuE3ELNS1_3repE0EEENS1_44radix_sort_block_sort_config_static_selectorELNS0_4arch9wavefront6targetE1EEEvSF_
; %bb.0:
	.section	.rodata,"a",@progbits
	.p2align	6, 0x0
	.amdhsa_kernel _ZN7rocprim17ROCPRIM_400000_NS6detail17trampoline_kernelINS0_13kernel_configILj256ELj4ELj4294967295EEENS1_37radix_sort_block_sort_config_selectorIhlEEZNS1_21radix_sort_block_sortIS4_Lb0EPhS8_N6thrust23THRUST_200600_302600_NS10device_ptrIlEESC_NS0_19identity_decomposerEEE10hipError_tT1_T2_T3_T4_jRjT5_jjP12ihipStream_tbEUlT_E_NS1_11comp_targetILNS1_3genE9ELNS1_11target_archE1100ELNS1_3gpuE3ELNS1_3repE0EEENS1_44radix_sort_block_sort_config_static_selectorELNS0_4arch9wavefront6targetE1EEEvSF_
		.amdhsa_group_segment_fixed_size 0
		.amdhsa_private_segment_fixed_size 0
		.amdhsa_kernarg_size 48
		.amdhsa_user_sgpr_count 6
		.amdhsa_user_sgpr_private_segment_buffer 1
		.amdhsa_user_sgpr_dispatch_ptr 0
		.amdhsa_user_sgpr_queue_ptr 0
		.amdhsa_user_sgpr_kernarg_segment_ptr 1
		.amdhsa_user_sgpr_dispatch_id 0
		.amdhsa_user_sgpr_flat_scratch_init 0
		.amdhsa_user_sgpr_private_segment_size 0
		.amdhsa_uses_dynamic_stack 0
		.amdhsa_system_sgpr_private_segment_wavefront_offset 0
		.amdhsa_system_sgpr_workgroup_id_x 1
		.amdhsa_system_sgpr_workgroup_id_y 0
		.amdhsa_system_sgpr_workgroup_id_z 0
		.amdhsa_system_sgpr_workgroup_info 0
		.amdhsa_system_vgpr_workitem_id 0
		.amdhsa_next_free_vgpr 1
		.amdhsa_next_free_sgpr 0
		.amdhsa_reserve_vcc 0
		.amdhsa_reserve_flat_scratch 0
		.amdhsa_float_round_mode_32 0
		.amdhsa_float_round_mode_16_64 0
		.amdhsa_float_denorm_mode_32 3
		.amdhsa_float_denorm_mode_16_64 3
		.amdhsa_dx10_clamp 1
		.amdhsa_ieee_mode 1
		.amdhsa_fp16_overflow 0
		.amdhsa_exception_fp_ieee_invalid_op 0
		.amdhsa_exception_fp_denorm_src 0
		.amdhsa_exception_fp_ieee_div_zero 0
		.amdhsa_exception_fp_ieee_overflow 0
		.amdhsa_exception_fp_ieee_underflow 0
		.amdhsa_exception_fp_ieee_inexact 0
		.amdhsa_exception_int_div_zero 0
	.end_amdhsa_kernel
	.section	.text._ZN7rocprim17ROCPRIM_400000_NS6detail17trampoline_kernelINS0_13kernel_configILj256ELj4ELj4294967295EEENS1_37radix_sort_block_sort_config_selectorIhlEEZNS1_21radix_sort_block_sortIS4_Lb0EPhS8_N6thrust23THRUST_200600_302600_NS10device_ptrIlEESC_NS0_19identity_decomposerEEE10hipError_tT1_T2_T3_T4_jRjT5_jjP12ihipStream_tbEUlT_E_NS1_11comp_targetILNS1_3genE9ELNS1_11target_archE1100ELNS1_3gpuE3ELNS1_3repE0EEENS1_44radix_sort_block_sort_config_static_selectorELNS0_4arch9wavefront6targetE1EEEvSF_,"axG",@progbits,_ZN7rocprim17ROCPRIM_400000_NS6detail17trampoline_kernelINS0_13kernel_configILj256ELj4ELj4294967295EEENS1_37radix_sort_block_sort_config_selectorIhlEEZNS1_21radix_sort_block_sortIS4_Lb0EPhS8_N6thrust23THRUST_200600_302600_NS10device_ptrIlEESC_NS0_19identity_decomposerEEE10hipError_tT1_T2_T3_T4_jRjT5_jjP12ihipStream_tbEUlT_E_NS1_11comp_targetILNS1_3genE9ELNS1_11target_archE1100ELNS1_3gpuE3ELNS1_3repE0EEENS1_44radix_sort_block_sort_config_static_selectorELNS0_4arch9wavefront6targetE1EEEvSF_,comdat
.Lfunc_end113:
	.size	_ZN7rocprim17ROCPRIM_400000_NS6detail17trampoline_kernelINS0_13kernel_configILj256ELj4ELj4294967295EEENS1_37radix_sort_block_sort_config_selectorIhlEEZNS1_21radix_sort_block_sortIS4_Lb0EPhS8_N6thrust23THRUST_200600_302600_NS10device_ptrIlEESC_NS0_19identity_decomposerEEE10hipError_tT1_T2_T3_T4_jRjT5_jjP12ihipStream_tbEUlT_E_NS1_11comp_targetILNS1_3genE9ELNS1_11target_archE1100ELNS1_3gpuE3ELNS1_3repE0EEENS1_44radix_sort_block_sort_config_static_selectorELNS0_4arch9wavefront6targetE1EEEvSF_, .Lfunc_end113-_ZN7rocprim17ROCPRIM_400000_NS6detail17trampoline_kernelINS0_13kernel_configILj256ELj4ELj4294967295EEENS1_37radix_sort_block_sort_config_selectorIhlEEZNS1_21radix_sort_block_sortIS4_Lb0EPhS8_N6thrust23THRUST_200600_302600_NS10device_ptrIlEESC_NS0_19identity_decomposerEEE10hipError_tT1_T2_T3_T4_jRjT5_jjP12ihipStream_tbEUlT_E_NS1_11comp_targetILNS1_3genE9ELNS1_11target_archE1100ELNS1_3gpuE3ELNS1_3repE0EEENS1_44radix_sort_block_sort_config_static_selectorELNS0_4arch9wavefront6targetE1EEEvSF_
                                        ; -- End function
	.set _ZN7rocprim17ROCPRIM_400000_NS6detail17trampoline_kernelINS0_13kernel_configILj256ELj4ELj4294967295EEENS1_37radix_sort_block_sort_config_selectorIhlEEZNS1_21radix_sort_block_sortIS4_Lb0EPhS8_N6thrust23THRUST_200600_302600_NS10device_ptrIlEESC_NS0_19identity_decomposerEEE10hipError_tT1_T2_T3_T4_jRjT5_jjP12ihipStream_tbEUlT_E_NS1_11comp_targetILNS1_3genE9ELNS1_11target_archE1100ELNS1_3gpuE3ELNS1_3repE0EEENS1_44radix_sort_block_sort_config_static_selectorELNS0_4arch9wavefront6targetE1EEEvSF_.num_vgpr, 0
	.set _ZN7rocprim17ROCPRIM_400000_NS6detail17trampoline_kernelINS0_13kernel_configILj256ELj4ELj4294967295EEENS1_37radix_sort_block_sort_config_selectorIhlEEZNS1_21radix_sort_block_sortIS4_Lb0EPhS8_N6thrust23THRUST_200600_302600_NS10device_ptrIlEESC_NS0_19identity_decomposerEEE10hipError_tT1_T2_T3_T4_jRjT5_jjP12ihipStream_tbEUlT_E_NS1_11comp_targetILNS1_3genE9ELNS1_11target_archE1100ELNS1_3gpuE3ELNS1_3repE0EEENS1_44radix_sort_block_sort_config_static_selectorELNS0_4arch9wavefront6targetE1EEEvSF_.num_agpr, 0
	.set _ZN7rocprim17ROCPRIM_400000_NS6detail17trampoline_kernelINS0_13kernel_configILj256ELj4ELj4294967295EEENS1_37radix_sort_block_sort_config_selectorIhlEEZNS1_21radix_sort_block_sortIS4_Lb0EPhS8_N6thrust23THRUST_200600_302600_NS10device_ptrIlEESC_NS0_19identity_decomposerEEE10hipError_tT1_T2_T3_T4_jRjT5_jjP12ihipStream_tbEUlT_E_NS1_11comp_targetILNS1_3genE9ELNS1_11target_archE1100ELNS1_3gpuE3ELNS1_3repE0EEENS1_44radix_sort_block_sort_config_static_selectorELNS0_4arch9wavefront6targetE1EEEvSF_.numbered_sgpr, 0
	.set _ZN7rocprim17ROCPRIM_400000_NS6detail17trampoline_kernelINS0_13kernel_configILj256ELj4ELj4294967295EEENS1_37radix_sort_block_sort_config_selectorIhlEEZNS1_21radix_sort_block_sortIS4_Lb0EPhS8_N6thrust23THRUST_200600_302600_NS10device_ptrIlEESC_NS0_19identity_decomposerEEE10hipError_tT1_T2_T3_T4_jRjT5_jjP12ihipStream_tbEUlT_E_NS1_11comp_targetILNS1_3genE9ELNS1_11target_archE1100ELNS1_3gpuE3ELNS1_3repE0EEENS1_44radix_sort_block_sort_config_static_selectorELNS0_4arch9wavefront6targetE1EEEvSF_.num_named_barrier, 0
	.set _ZN7rocprim17ROCPRIM_400000_NS6detail17trampoline_kernelINS0_13kernel_configILj256ELj4ELj4294967295EEENS1_37radix_sort_block_sort_config_selectorIhlEEZNS1_21radix_sort_block_sortIS4_Lb0EPhS8_N6thrust23THRUST_200600_302600_NS10device_ptrIlEESC_NS0_19identity_decomposerEEE10hipError_tT1_T2_T3_T4_jRjT5_jjP12ihipStream_tbEUlT_E_NS1_11comp_targetILNS1_3genE9ELNS1_11target_archE1100ELNS1_3gpuE3ELNS1_3repE0EEENS1_44radix_sort_block_sort_config_static_selectorELNS0_4arch9wavefront6targetE1EEEvSF_.private_seg_size, 0
	.set _ZN7rocprim17ROCPRIM_400000_NS6detail17trampoline_kernelINS0_13kernel_configILj256ELj4ELj4294967295EEENS1_37radix_sort_block_sort_config_selectorIhlEEZNS1_21radix_sort_block_sortIS4_Lb0EPhS8_N6thrust23THRUST_200600_302600_NS10device_ptrIlEESC_NS0_19identity_decomposerEEE10hipError_tT1_T2_T3_T4_jRjT5_jjP12ihipStream_tbEUlT_E_NS1_11comp_targetILNS1_3genE9ELNS1_11target_archE1100ELNS1_3gpuE3ELNS1_3repE0EEENS1_44radix_sort_block_sort_config_static_selectorELNS0_4arch9wavefront6targetE1EEEvSF_.uses_vcc, 0
	.set _ZN7rocprim17ROCPRIM_400000_NS6detail17trampoline_kernelINS0_13kernel_configILj256ELj4ELj4294967295EEENS1_37radix_sort_block_sort_config_selectorIhlEEZNS1_21radix_sort_block_sortIS4_Lb0EPhS8_N6thrust23THRUST_200600_302600_NS10device_ptrIlEESC_NS0_19identity_decomposerEEE10hipError_tT1_T2_T3_T4_jRjT5_jjP12ihipStream_tbEUlT_E_NS1_11comp_targetILNS1_3genE9ELNS1_11target_archE1100ELNS1_3gpuE3ELNS1_3repE0EEENS1_44radix_sort_block_sort_config_static_selectorELNS0_4arch9wavefront6targetE1EEEvSF_.uses_flat_scratch, 0
	.set _ZN7rocprim17ROCPRIM_400000_NS6detail17trampoline_kernelINS0_13kernel_configILj256ELj4ELj4294967295EEENS1_37radix_sort_block_sort_config_selectorIhlEEZNS1_21radix_sort_block_sortIS4_Lb0EPhS8_N6thrust23THRUST_200600_302600_NS10device_ptrIlEESC_NS0_19identity_decomposerEEE10hipError_tT1_T2_T3_T4_jRjT5_jjP12ihipStream_tbEUlT_E_NS1_11comp_targetILNS1_3genE9ELNS1_11target_archE1100ELNS1_3gpuE3ELNS1_3repE0EEENS1_44radix_sort_block_sort_config_static_selectorELNS0_4arch9wavefront6targetE1EEEvSF_.has_dyn_sized_stack, 0
	.set _ZN7rocprim17ROCPRIM_400000_NS6detail17trampoline_kernelINS0_13kernel_configILj256ELj4ELj4294967295EEENS1_37radix_sort_block_sort_config_selectorIhlEEZNS1_21radix_sort_block_sortIS4_Lb0EPhS8_N6thrust23THRUST_200600_302600_NS10device_ptrIlEESC_NS0_19identity_decomposerEEE10hipError_tT1_T2_T3_T4_jRjT5_jjP12ihipStream_tbEUlT_E_NS1_11comp_targetILNS1_3genE9ELNS1_11target_archE1100ELNS1_3gpuE3ELNS1_3repE0EEENS1_44radix_sort_block_sort_config_static_selectorELNS0_4arch9wavefront6targetE1EEEvSF_.has_recursion, 0
	.set _ZN7rocprim17ROCPRIM_400000_NS6detail17trampoline_kernelINS0_13kernel_configILj256ELj4ELj4294967295EEENS1_37radix_sort_block_sort_config_selectorIhlEEZNS1_21radix_sort_block_sortIS4_Lb0EPhS8_N6thrust23THRUST_200600_302600_NS10device_ptrIlEESC_NS0_19identity_decomposerEEE10hipError_tT1_T2_T3_T4_jRjT5_jjP12ihipStream_tbEUlT_E_NS1_11comp_targetILNS1_3genE9ELNS1_11target_archE1100ELNS1_3gpuE3ELNS1_3repE0EEENS1_44radix_sort_block_sort_config_static_selectorELNS0_4arch9wavefront6targetE1EEEvSF_.has_indirect_call, 0
	.section	.AMDGPU.csdata,"",@progbits
; Kernel info:
; codeLenInByte = 0
; TotalNumSgprs: 4
; NumVgprs: 0
; ScratchSize: 0
; MemoryBound: 0
; FloatMode: 240
; IeeeMode: 1
; LDSByteSize: 0 bytes/workgroup (compile time only)
; SGPRBlocks: 0
; VGPRBlocks: 0
; NumSGPRsForWavesPerEU: 4
; NumVGPRsForWavesPerEU: 1
; Occupancy: 10
; WaveLimiterHint : 0
; COMPUTE_PGM_RSRC2:SCRATCH_EN: 0
; COMPUTE_PGM_RSRC2:USER_SGPR: 6
; COMPUTE_PGM_RSRC2:TRAP_HANDLER: 0
; COMPUTE_PGM_RSRC2:TGID_X_EN: 1
; COMPUTE_PGM_RSRC2:TGID_Y_EN: 0
; COMPUTE_PGM_RSRC2:TGID_Z_EN: 0
; COMPUTE_PGM_RSRC2:TIDIG_COMP_CNT: 0
	.section	.text._ZN7rocprim17ROCPRIM_400000_NS6detail17trampoline_kernelINS0_13kernel_configILj256ELj4ELj4294967295EEENS1_37radix_sort_block_sort_config_selectorIhlEEZNS1_21radix_sort_block_sortIS4_Lb0EPhS8_N6thrust23THRUST_200600_302600_NS10device_ptrIlEESC_NS0_19identity_decomposerEEE10hipError_tT1_T2_T3_T4_jRjT5_jjP12ihipStream_tbEUlT_E_NS1_11comp_targetILNS1_3genE8ELNS1_11target_archE1030ELNS1_3gpuE2ELNS1_3repE0EEENS1_44radix_sort_block_sort_config_static_selectorELNS0_4arch9wavefront6targetE1EEEvSF_,"axG",@progbits,_ZN7rocprim17ROCPRIM_400000_NS6detail17trampoline_kernelINS0_13kernel_configILj256ELj4ELj4294967295EEENS1_37radix_sort_block_sort_config_selectorIhlEEZNS1_21radix_sort_block_sortIS4_Lb0EPhS8_N6thrust23THRUST_200600_302600_NS10device_ptrIlEESC_NS0_19identity_decomposerEEE10hipError_tT1_T2_T3_T4_jRjT5_jjP12ihipStream_tbEUlT_E_NS1_11comp_targetILNS1_3genE8ELNS1_11target_archE1030ELNS1_3gpuE2ELNS1_3repE0EEENS1_44radix_sort_block_sort_config_static_selectorELNS0_4arch9wavefront6targetE1EEEvSF_,comdat
	.protected	_ZN7rocprim17ROCPRIM_400000_NS6detail17trampoline_kernelINS0_13kernel_configILj256ELj4ELj4294967295EEENS1_37radix_sort_block_sort_config_selectorIhlEEZNS1_21radix_sort_block_sortIS4_Lb0EPhS8_N6thrust23THRUST_200600_302600_NS10device_ptrIlEESC_NS0_19identity_decomposerEEE10hipError_tT1_T2_T3_T4_jRjT5_jjP12ihipStream_tbEUlT_E_NS1_11comp_targetILNS1_3genE8ELNS1_11target_archE1030ELNS1_3gpuE2ELNS1_3repE0EEENS1_44radix_sort_block_sort_config_static_selectorELNS0_4arch9wavefront6targetE1EEEvSF_ ; -- Begin function _ZN7rocprim17ROCPRIM_400000_NS6detail17trampoline_kernelINS0_13kernel_configILj256ELj4ELj4294967295EEENS1_37radix_sort_block_sort_config_selectorIhlEEZNS1_21radix_sort_block_sortIS4_Lb0EPhS8_N6thrust23THRUST_200600_302600_NS10device_ptrIlEESC_NS0_19identity_decomposerEEE10hipError_tT1_T2_T3_T4_jRjT5_jjP12ihipStream_tbEUlT_E_NS1_11comp_targetILNS1_3genE8ELNS1_11target_archE1030ELNS1_3gpuE2ELNS1_3repE0EEENS1_44radix_sort_block_sort_config_static_selectorELNS0_4arch9wavefront6targetE1EEEvSF_
	.globl	_ZN7rocprim17ROCPRIM_400000_NS6detail17trampoline_kernelINS0_13kernel_configILj256ELj4ELj4294967295EEENS1_37radix_sort_block_sort_config_selectorIhlEEZNS1_21radix_sort_block_sortIS4_Lb0EPhS8_N6thrust23THRUST_200600_302600_NS10device_ptrIlEESC_NS0_19identity_decomposerEEE10hipError_tT1_T2_T3_T4_jRjT5_jjP12ihipStream_tbEUlT_E_NS1_11comp_targetILNS1_3genE8ELNS1_11target_archE1030ELNS1_3gpuE2ELNS1_3repE0EEENS1_44radix_sort_block_sort_config_static_selectorELNS0_4arch9wavefront6targetE1EEEvSF_
	.p2align	8
	.type	_ZN7rocprim17ROCPRIM_400000_NS6detail17trampoline_kernelINS0_13kernel_configILj256ELj4ELj4294967295EEENS1_37radix_sort_block_sort_config_selectorIhlEEZNS1_21radix_sort_block_sortIS4_Lb0EPhS8_N6thrust23THRUST_200600_302600_NS10device_ptrIlEESC_NS0_19identity_decomposerEEE10hipError_tT1_T2_T3_T4_jRjT5_jjP12ihipStream_tbEUlT_E_NS1_11comp_targetILNS1_3genE8ELNS1_11target_archE1030ELNS1_3gpuE2ELNS1_3repE0EEENS1_44radix_sort_block_sort_config_static_selectorELNS0_4arch9wavefront6targetE1EEEvSF_,@function
_ZN7rocprim17ROCPRIM_400000_NS6detail17trampoline_kernelINS0_13kernel_configILj256ELj4ELj4294967295EEENS1_37radix_sort_block_sort_config_selectorIhlEEZNS1_21radix_sort_block_sortIS4_Lb0EPhS8_N6thrust23THRUST_200600_302600_NS10device_ptrIlEESC_NS0_19identity_decomposerEEE10hipError_tT1_T2_T3_T4_jRjT5_jjP12ihipStream_tbEUlT_E_NS1_11comp_targetILNS1_3genE8ELNS1_11target_archE1030ELNS1_3gpuE2ELNS1_3repE0EEENS1_44radix_sort_block_sort_config_static_selectorELNS0_4arch9wavefront6targetE1EEEvSF_: ; @_ZN7rocprim17ROCPRIM_400000_NS6detail17trampoline_kernelINS0_13kernel_configILj256ELj4ELj4294967295EEENS1_37radix_sort_block_sort_config_selectorIhlEEZNS1_21radix_sort_block_sortIS4_Lb0EPhS8_N6thrust23THRUST_200600_302600_NS10device_ptrIlEESC_NS0_19identity_decomposerEEE10hipError_tT1_T2_T3_T4_jRjT5_jjP12ihipStream_tbEUlT_E_NS1_11comp_targetILNS1_3genE8ELNS1_11target_archE1030ELNS1_3gpuE2ELNS1_3repE0EEENS1_44radix_sort_block_sort_config_static_selectorELNS0_4arch9wavefront6targetE1EEEvSF_
; %bb.0:
	.section	.rodata,"a",@progbits
	.p2align	6, 0x0
	.amdhsa_kernel _ZN7rocprim17ROCPRIM_400000_NS6detail17trampoline_kernelINS0_13kernel_configILj256ELj4ELj4294967295EEENS1_37radix_sort_block_sort_config_selectorIhlEEZNS1_21radix_sort_block_sortIS4_Lb0EPhS8_N6thrust23THRUST_200600_302600_NS10device_ptrIlEESC_NS0_19identity_decomposerEEE10hipError_tT1_T2_T3_T4_jRjT5_jjP12ihipStream_tbEUlT_E_NS1_11comp_targetILNS1_3genE8ELNS1_11target_archE1030ELNS1_3gpuE2ELNS1_3repE0EEENS1_44radix_sort_block_sort_config_static_selectorELNS0_4arch9wavefront6targetE1EEEvSF_
		.amdhsa_group_segment_fixed_size 0
		.amdhsa_private_segment_fixed_size 0
		.amdhsa_kernarg_size 48
		.amdhsa_user_sgpr_count 6
		.amdhsa_user_sgpr_private_segment_buffer 1
		.amdhsa_user_sgpr_dispatch_ptr 0
		.amdhsa_user_sgpr_queue_ptr 0
		.amdhsa_user_sgpr_kernarg_segment_ptr 1
		.amdhsa_user_sgpr_dispatch_id 0
		.amdhsa_user_sgpr_flat_scratch_init 0
		.amdhsa_user_sgpr_private_segment_size 0
		.amdhsa_uses_dynamic_stack 0
		.amdhsa_system_sgpr_private_segment_wavefront_offset 0
		.amdhsa_system_sgpr_workgroup_id_x 1
		.amdhsa_system_sgpr_workgroup_id_y 0
		.amdhsa_system_sgpr_workgroup_id_z 0
		.amdhsa_system_sgpr_workgroup_info 0
		.amdhsa_system_vgpr_workitem_id 0
		.amdhsa_next_free_vgpr 1
		.amdhsa_next_free_sgpr 0
		.amdhsa_reserve_vcc 0
		.amdhsa_reserve_flat_scratch 0
		.amdhsa_float_round_mode_32 0
		.amdhsa_float_round_mode_16_64 0
		.amdhsa_float_denorm_mode_32 3
		.amdhsa_float_denorm_mode_16_64 3
		.amdhsa_dx10_clamp 1
		.amdhsa_ieee_mode 1
		.amdhsa_fp16_overflow 0
		.amdhsa_exception_fp_ieee_invalid_op 0
		.amdhsa_exception_fp_denorm_src 0
		.amdhsa_exception_fp_ieee_div_zero 0
		.amdhsa_exception_fp_ieee_overflow 0
		.amdhsa_exception_fp_ieee_underflow 0
		.amdhsa_exception_fp_ieee_inexact 0
		.amdhsa_exception_int_div_zero 0
	.end_amdhsa_kernel
	.section	.text._ZN7rocprim17ROCPRIM_400000_NS6detail17trampoline_kernelINS0_13kernel_configILj256ELj4ELj4294967295EEENS1_37radix_sort_block_sort_config_selectorIhlEEZNS1_21radix_sort_block_sortIS4_Lb0EPhS8_N6thrust23THRUST_200600_302600_NS10device_ptrIlEESC_NS0_19identity_decomposerEEE10hipError_tT1_T2_T3_T4_jRjT5_jjP12ihipStream_tbEUlT_E_NS1_11comp_targetILNS1_3genE8ELNS1_11target_archE1030ELNS1_3gpuE2ELNS1_3repE0EEENS1_44radix_sort_block_sort_config_static_selectorELNS0_4arch9wavefront6targetE1EEEvSF_,"axG",@progbits,_ZN7rocprim17ROCPRIM_400000_NS6detail17trampoline_kernelINS0_13kernel_configILj256ELj4ELj4294967295EEENS1_37radix_sort_block_sort_config_selectorIhlEEZNS1_21radix_sort_block_sortIS4_Lb0EPhS8_N6thrust23THRUST_200600_302600_NS10device_ptrIlEESC_NS0_19identity_decomposerEEE10hipError_tT1_T2_T3_T4_jRjT5_jjP12ihipStream_tbEUlT_E_NS1_11comp_targetILNS1_3genE8ELNS1_11target_archE1030ELNS1_3gpuE2ELNS1_3repE0EEENS1_44radix_sort_block_sort_config_static_selectorELNS0_4arch9wavefront6targetE1EEEvSF_,comdat
.Lfunc_end114:
	.size	_ZN7rocprim17ROCPRIM_400000_NS6detail17trampoline_kernelINS0_13kernel_configILj256ELj4ELj4294967295EEENS1_37radix_sort_block_sort_config_selectorIhlEEZNS1_21radix_sort_block_sortIS4_Lb0EPhS8_N6thrust23THRUST_200600_302600_NS10device_ptrIlEESC_NS0_19identity_decomposerEEE10hipError_tT1_T2_T3_T4_jRjT5_jjP12ihipStream_tbEUlT_E_NS1_11comp_targetILNS1_3genE8ELNS1_11target_archE1030ELNS1_3gpuE2ELNS1_3repE0EEENS1_44radix_sort_block_sort_config_static_selectorELNS0_4arch9wavefront6targetE1EEEvSF_, .Lfunc_end114-_ZN7rocprim17ROCPRIM_400000_NS6detail17trampoline_kernelINS0_13kernel_configILj256ELj4ELj4294967295EEENS1_37radix_sort_block_sort_config_selectorIhlEEZNS1_21radix_sort_block_sortIS4_Lb0EPhS8_N6thrust23THRUST_200600_302600_NS10device_ptrIlEESC_NS0_19identity_decomposerEEE10hipError_tT1_T2_T3_T4_jRjT5_jjP12ihipStream_tbEUlT_E_NS1_11comp_targetILNS1_3genE8ELNS1_11target_archE1030ELNS1_3gpuE2ELNS1_3repE0EEENS1_44radix_sort_block_sort_config_static_selectorELNS0_4arch9wavefront6targetE1EEEvSF_
                                        ; -- End function
	.set _ZN7rocprim17ROCPRIM_400000_NS6detail17trampoline_kernelINS0_13kernel_configILj256ELj4ELj4294967295EEENS1_37radix_sort_block_sort_config_selectorIhlEEZNS1_21radix_sort_block_sortIS4_Lb0EPhS8_N6thrust23THRUST_200600_302600_NS10device_ptrIlEESC_NS0_19identity_decomposerEEE10hipError_tT1_T2_T3_T4_jRjT5_jjP12ihipStream_tbEUlT_E_NS1_11comp_targetILNS1_3genE8ELNS1_11target_archE1030ELNS1_3gpuE2ELNS1_3repE0EEENS1_44radix_sort_block_sort_config_static_selectorELNS0_4arch9wavefront6targetE1EEEvSF_.num_vgpr, 0
	.set _ZN7rocprim17ROCPRIM_400000_NS6detail17trampoline_kernelINS0_13kernel_configILj256ELj4ELj4294967295EEENS1_37radix_sort_block_sort_config_selectorIhlEEZNS1_21radix_sort_block_sortIS4_Lb0EPhS8_N6thrust23THRUST_200600_302600_NS10device_ptrIlEESC_NS0_19identity_decomposerEEE10hipError_tT1_T2_T3_T4_jRjT5_jjP12ihipStream_tbEUlT_E_NS1_11comp_targetILNS1_3genE8ELNS1_11target_archE1030ELNS1_3gpuE2ELNS1_3repE0EEENS1_44radix_sort_block_sort_config_static_selectorELNS0_4arch9wavefront6targetE1EEEvSF_.num_agpr, 0
	.set _ZN7rocprim17ROCPRIM_400000_NS6detail17trampoline_kernelINS0_13kernel_configILj256ELj4ELj4294967295EEENS1_37radix_sort_block_sort_config_selectorIhlEEZNS1_21radix_sort_block_sortIS4_Lb0EPhS8_N6thrust23THRUST_200600_302600_NS10device_ptrIlEESC_NS0_19identity_decomposerEEE10hipError_tT1_T2_T3_T4_jRjT5_jjP12ihipStream_tbEUlT_E_NS1_11comp_targetILNS1_3genE8ELNS1_11target_archE1030ELNS1_3gpuE2ELNS1_3repE0EEENS1_44radix_sort_block_sort_config_static_selectorELNS0_4arch9wavefront6targetE1EEEvSF_.numbered_sgpr, 0
	.set _ZN7rocprim17ROCPRIM_400000_NS6detail17trampoline_kernelINS0_13kernel_configILj256ELj4ELj4294967295EEENS1_37radix_sort_block_sort_config_selectorIhlEEZNS1_21radix_sort_block_sortIS4_Lb0EPhS8_N6thrust23THRUST_200600_302600_NS10device_ptrIlEESC_NS0_19identity_decomposerEEE10hipError_tT1_T2_T3_T4_jRjT5_jjP12ihipStream_tbEUlT_E_NS1_11comp_targetILNS1_3genE8ELNS1_11target_archE1030ELNS1_3gpuE2ELNS1_3repE0EEENS1_44radix_sort_block_sort_config_static_selectorELNS0_4arch9wavefront6targetE1EEEvSF_.num_named_barrier, 0
	.set _ZN7rocprim17ROCPRIM_400000_NS6detail17trampoline_kernelINS0_13kernel_configILj256ELj4ELj4294967295EEENS1_37radix_sort_block_sort_config_selectorIhlEEZNS1_21radix_sort_block_sortIS4_Lb0EPhS8_N6thrust23THRUST_200600_302600_NS10device_ptrIlEESC_NS0_19identity_decomposerEEE10hipError_tT1_T2_T3_T4_jRjT5_jjP12ihipStream_tbEUlT_E_NS1_11comp_targetILNS1_3genE8ELNS1_11target_archE1030ELNS1_3gpuE2ELNS1_3repE0EEENS1_44radix_sort_block_sort_config_static_selectorELNS0_4arch9wavefront6targetE1EEEvSF_.private_seg_size, 0
	.set _ZN7rocprim17ROCPRIM_400000_NS6detail17trampoline_kernelINS0_13kernel_configILj256ELj4ELj4294967295EEENS1_37radix_sort_block_sort_config_selectorIhlEEZNS1_21radix_sort_block_sortIS4_Lb0EPhS8_N6thrust23THRUST_200600_302600_NS10device_ptrIlEESC_NS0_19identity_decomposerEEE10hipError_tT1_T2_T3_T4_jRjT5_jjP12ihipStream_tbEUlT_E_NS1_11comp_targetILNS1_3genE8ELNS1_11target_archE1030ELNS1_3gpuE2ELNS1_3repE0EEENS1_44radix_sort_block_sort_config_static_selectorELNS0_4arch9wavefront6targetE1EEEvSF_.uses_vcc, 0
	.set _ZN7rocprim17ROCPRIM_400000_NS6detail17trampoline_kernelINS0_13kernel_configILj256ELj4ELj4294967295EEENS1_37radix_sort_block_sort_config_selectorIhlEEZNS1_21radix_sort_block_sortIS4_Lb0EPhS8_N6thrust23THRUST_200600_302600_NS10device_ptrIlEESC_NS0_19identity_decomposerEEE10hipError_tT1_T2_T3_T4_jRjT5_jjP12ihipStream_tbEUlT_E_NS1_11comp_targetILNS1_3genE8ELNS1_11target_archE1030ELNS1_3gpuE2ELNS1_3repE0EEENS1_44radix_sort_block_sort_config_static_selectorELNS0_4arch9wavefront6targetE1EEEvSF_.uses_flat_scratch, 0
	.set _ZN7rocprim17ROCPRIM_400000_NS6detail17trampoline_kernelINS0_13kernel_configILj256ELj4ELj4294967295EEENS1_37radix_sort_block_sort_config_selectorIhlEEZNS1_21radix_sort_block_sortIS4_Lb0EPhS8_N6thrust23THRUST_200600_302600_NS10device_ptrIlEESC_NS0_19identity_decomposerEEE10hipError_tT1_T2_T3_T4_jRjT5_jjP12ihipStream_tbEUlT_E_NS1_11comp_targetILNS1_3genE8ELNS1_11target_archE1030ELNS1_3gpuE2ELNS1_3repE0EEENS1_44radix_sort_block_sort_config_static_selectorELNS0_4arch9wavefront6targetE1EEEvSF_.has_dyn_sized_stack, 0
	.set _ZN7rocprim17ROCPRIM_400000_NS6detail17trampoline_kernelINS0_13kernel_configILj256ELj4ELj4294967295EEENS1_37radix_sort_block_sort_config_selectorIhlEEZNS1_21radix_sort_block_sortIS4_Lb0EPhS8_N6thrust23THRUST_200600_302600_NS10device_ptrIlEESC_NS0_19identity_decomposerEEE10hipError_tT1_T2_T3_T4_jRjT5_jjP12ihipStream_tbEUlT_E_NS1_11comp_targetILNS1_3genE8ELNS1_11target_archE1030ELNS1_3gpuE2ELNS1_3repE0EEENS1_44radix_sort_block_sort_config_static_selectorELNS0_4arch9wavefront6targetE1EEEvSF_.has_recursion, 0
	.set _ZN7rocprim17ROCPRIM_400000_NS6detail17trampoline_kernelINS0_13kernel_configILj256ELj4ELj4294967295EEENS1_37radix_sort_block_sort_config_selectorIhlEEZNS1_21radix_sort_block_sortIS4_Lb0EPhS8_N6thrust23THRUST_200600_302600_NS10device_ptrIlEESC_NS0_19identity_decomposerEEE10hipError_tT1_T2_T3_T4_jRjT5_jjP12ihipStream_tbEUlT_E_NS1_11comp_targetILNS1_3genE8ELNS1_11target_archE1030ELNS1_3gpuE2ELNS1_3repE0EEENS1_44radix_sort_block_sort_config_static_selectorELNS0_4arch9wavefront6targetE1EEEvSF_.has_indirect_call, 0
	.section	.AMDGPU.csdata,"",@progbits
; Kernel info:
; codeLenInByte = 0
; TotalNumSgprs: 4
; NumVgprs: 0
; ScratchSize: 0
; MemoryBound: 0
; FloatMode: 240
; IeeeMode: 1
; LDSByteSize: 0 bytes/workgroup (compile time only)
; SGPRBlocks: 0
; VGPRBlocks: 0
; NumSGPRsForWavesPerEU: 4
; NumVGPRsForWavesPerEU: 1
; Occupancy: 10
; WaveLimiterHint : 0
; COMPUTE_PGM_RSRC2:SCRATCH_EN: 0
; COMPUTE_PGM_RSRC2:USER_SGPR: 6
; COMPUTE_PGM_RSRC2:TRAP_HANDLER: 0
; COMPUTE_PGM_RSRC2:TGID_X_EN: 1
; COMPUTE_PGM_RSRC2:TGID_Y_EN: 0
; COMPUTE_PGM_RSRC2:TGID_Z_EN: 0
; COMPUTE_PGM_RSRC2:TIDIG_COMP_CNT: 0
	.section	.text._ZN7rocprim17ROCPRIM_400000_NS6detail44device_merge_sort_compile_time_verifier_archINS1_11comp_targetILNS1_3genE0ELNS1_11target_archE4294967295ELNS1_3gpuE0ELNS1_3repE0EEES8_NS1_28merge_sort_block_sort_configILj256ELj4ELNS0_20block_sort_algorithmE0EEENS0_14default_configENS1_37merge_sort_block_sort_config_selectorIhlEENS1_38merge_sort_block_merge_config_selectorIhlEEEEvv,"axG",@progbits,_ZN7rocprim17ROCPRIM_400000_NS6detail44device_merge_sort_compile_time_verifier_archINS1_11comp_targetILNS1_3genE0ELNS1_11target_archE4294967295ELNS1_3gpuE0ELNS1_3repE0EEES8_NS1_28merge_sort_block_sort_configILj256ELj4ELNS0_20block_sort_algorithmE0EEENS0_14default_configENS1_37merge_sort_block_sort_config_selectorIhlEENS1_38merge_sort_block_merge_config_selectorIhlEEEEvv,comdat
	.protected	_ZN7rocprim17ROCPRIM_400000_NS6detail44device_merge_sort_compile_time_verifier_archINS1_11comp_targetILNS1_3genE0ELNS1_11target_archE4294967295ELNS1_3gpuE0ELNS1_3repE0EEES8_NS1_28merge_sort_block_sort_configILj256ELj4ELNS0_20block_sort_algorithmE0EEENS0_14default_configENS1_37merge_sort_block_sort_config_selectorIhlEENS1_38merge_sort_block_merge_config_selectorIhlEEEEvv ; -- Begin function _ZN7rocprim17ROCPRIM_400000_NS6detail44device_merge_sort_compile_time_verifier_archINS1_11comp_targetILNS1_3genE0ELNS1_11target_archE4294967295ELNS1_3gpuE0ELNS1_3repE0EEES8_NS1_28merge_sort_block_sort_configILj256ELj4ELNS0_20block_sort_algorithmE0EEENS0_14default_configENS1_37merge_sort_block_sort_config_selectorIhlEENS1_38merge_sort_block_merge_config_selectorIhlEEEEvv
	.globl	_ZN7rocprim17ROCPRIM_400000_NS6detail44device_merge_sort_compile_time_verifier_archINS1_11comp_targetILNS1_3genE0ELNS1_11target_archE4294967295ELNS1_3gpuE0ELNS1_3repE0EEES8_NS1_28merge_sort_block_sort_configILj256ELj4ELNS0_20block_sort_algorithmE0EEENS0_14default_configENS1_37merge_sort_block_sort_config_selectorIhlEENS1_38merge_sort_block_merge_config_selectorIhlEEEEvv
	.p2align	8
	.type	_ZN7rocprim17ROCPRIM_400000_NS6detail44device_merge_sort_compile_time_verifier_archINS1_11comp_targetILNS1_3genE0ELNS1_11target_archE4294967295ELNS1_3gpuE0ELNS1_3repE0EEES8_NS1_28merge_sort_block_sort_configILj256ELj4ELNS0_20block_sort_algorithmE0EEENS0_14default_configENS1_37merge_sort_block_sort_config_selectorIhlEENS1_38merge_sort_block_merge_config_selectorIhlEEEEvv,@function
_ZN7rocprim17ROCPRIM_400000_NS6detail44device_merge_sort_compile_time_verifier_archINS1_11comp_targetILNS1_3genE0ELNS1_11target_archE4294967295ELNS1_3gpuE0ELNS1_3repE0EEES8_NS1_28merge_sort_block_sort_configILj256ELj4ELNS0_20block_sort_algorithmE0EEENS0_14default_configENS1_37merge_sort_block_sort_config_selectorIhlEENS1_38merge_sort_block_merge_config_selectorIhlEEEEvv: ; @_ZN7rocprim17ROCPRIM_400000_NS6detail44device_merge_sort_compile_time_verifier_archINS1_11comp_targetILNS1_3genE0ELNS1_11target_archE4294967295ELNS1_3gpuE0ELNS1_3repE0EEES8_NS1_28merge_sort_block_sort_configILj256ELj4ELNS0_20block_sort_algorithmE0EEENS0_14default_configENS1_37merge_sort_block_sort_config_selectorIhlEENS1_38merge_sort_block_merge_config_selectorIhlEEEEvv
; %bb.0:
	s_endpgm
	.section	.rodata,"a",@progbits
	.p2align	6, 0x0
	.amdhsa_kernel _ZN7rocprim17ROCPRIM_400000_NS6detail44device_merge_sort_compile_time_verifier_archINS1_11comp_targetILNS1_3genE0ELNS1_11target_archE4294967295ELNS1_3gpuE0ELNS1_3repE0EEES8_NS1_28merge_sort_block_sort_configILj256ELj4ELNS0_20block_sort_algorithmE0EEENS0_14default_configENS1_37merge_sort_block_sort_config_selectorIhlEENS1_38merge_sort_block_merge_config_selectorIhlEEEEvv
		.amdhsa_group_segment_fixed_size 0
		.amdhsa_private_segment_fixed_size 0
		.amdhsa_kernarg_size 0
		.amdhsa_user_sgpr_count 4
		.amdhsa_user_sgpr_private_segment_buffer 1
		.amdhsa_user_sgpr_dispatch_ptr 0
		.amdhsa_user_sgpr_queue_ptr 0
		.amdhsa_user_sgpr_kernarg_segment_ptr 0
		.amdhsa_user_sgpr_dispatch_id 0
		.amdhsa_user_sgpr_flat_scratch_init 0
		.amdhsa_user_sgpr_private_segment_size 0
		.amdhsa_uses_dynamic_stack 0
		.amdhsa_system_sgpr_private_segment_wavefront_offset 0
		.amdhsa_system_sgpr_workgroup_id_x 1
		.amdhsa_system_sgpr_workgroup_id_y 0
		.amdhsa_system_sgpr_workgroup_id_z 0
		.amdhsa_system_sgpr_workgroup_info 0
		.amdhsa_system_vgpr_workitem_id 0
		.amdhsa_next_free_vgpr 1
		.amdhsa_next_free_sgpr 0
		.amdhsa_reserve_vcc 0
		.amdhsa_reserve_flat_scratch 0
		.amdhsa_float_round_mode_32 0
		.amdhsa_float_round_mode_16_64 0
		.amdhsa_float_denorm_mode_32 3
		.amdhsa_float_denorm_mode_16_64 3
		.amdhsa_dx10_clamp 1
		.amdhsa_ieee_mode 1
		.amdhsa_fp16_overflow 0
		.amdhsa_exception_fp_ieee_invalid_op 0
		.amdhsa_exception_fp_denorm_src 0
		.amdhsa_exception_fp_ieee_div_zero 0
		.amdhsa_exception_fp_ieee_overflow 0
		.amdhsa_exception_fp_ieee_underflow 0
		.amdhsa_exception_fp_ieee_inexact 0
		.amdhsa_exception_int_div_zero 0
	.end_amdhsa_kernel
	.section	.text._ZN7rocprim17ROCPRIM_400000_NS6detail44device_merge_sort_compile_time_verifier_archINS1_11comp_targetILNS1_3genE0ELNS1_11target_archE4294967295ELNS1_3gpuE0ELNS1_3repE0EEES8_NS1_28merge_sort_block_sort_configILj256ELj4ELNS0_20block_sort_algorithmE0EEENS0_14default_configENS1_37merge_sort_block_sort_config_selectorIhlEENS1_38merge_sort_block_merge_config_selectorIhlEEEEvv,"axG",@progbits,_ZN7rocprim17ROCPRIM_400000_NS6detail44device_merge_sort_compile_time_verifier_archINS1_11comp_targetILNS1_3genE0ELNS1_11target_archE4294967295ELNS1_3gpuE0ELNS1_3repE0EEES8_NS1_28merge_sort_block_sort_configILj256ELj4ELNS0_20block_sort_algorithmE0EEENS0_14default_configENS1_37merge_sort_block_sort_config_selectorIhlEENS1_38merge_sort_block_merge_config_selectorIhlEEEEvv,comdat
.Lfunc_end115:
	.size	_ZN7rocprim17ROCPRIM_400000_NS6detail44device_merge_sort_compile_time_verifier_archINS1_11comp_targetILNS1_3genE0ELNS1_11target_archE4294967295ELNS1_3gpuE0ELNS1_3repE0EEES8_NS1_28merge_sort_block_sort_configILj256ELj4ELNS0_20block_sort_algorithmE0EEENS0_14default_configENS1_37merge_sort_block_sort_config_selectorIhlEENS1_38merge_sort_block_merge_config_selectorIhlEEEEvv, .Lfunc_end115-_ZN7rocprim17ROCPRIM_400000_NS6detail44device_merge_sort_compile_time_verifier_archINS1_11comp_targetILNS1_3genE0ELNS1_11target_archE4294967295ELNS1_3gpuE0ELNS1_3repE0EEES8_NS1_28merge_sort_block_sort_configILj256ELj4ELNS0_20block_sort_algorithmE0EEENS0_14default_configENS1_37merge_sort_block_sort_config_selectorIhlEENS1_38merge_sort_block_merge_config_selectorIhlEEEEvv
                                        ; -- End function
	.set _ZN7rocprim17ROCPRIM_400000_NS6detail44device_merge_sort_compile_time_verifier_archINS1_11comp_targetILNS1_3genE0ELNS1_11target_archE4294967295ELNS1_3gpuE0ELNS1_3repE0EEES8_NS1_28merge_sort_block_sort_configILj256ELj4ELNS0_20block_sort_algorithmE0EEENS0_14default_configENS1_37merge_sort_block_sort_config_selectorIhlEENS1_38merge_sort_block_merge_config_selectorIhlEEEEvv.num_vgpr, 0
	.set _ZN7rocprim17ROCPRIM_400000_NS6detail44device_merge_sort_compile_time_verifier_archINS1_11comp_targetILNS1_3genE0ELNS1_11target_archE4294967295ELNS1_3gpuE0ELNS1_3repE0EEES8_NS1_28merge_sort_block_sort_configILj256ELj4ELNS0_20block_sort_algorithmE0EEENS0_14default_configENS1_37merge_sort_block_sort_config_selectorIhlEENS1_38merge_sort_block_merge_config_selectorIhlEEEEvv.num_agpr, 0
	.set _ZN7rocprim17ROCPRIM_400000_NS6detail44device_merge_sort_compile_time_verifier_archINS1_11comp_targetILNS1_3genE0ELNS1_11target_archE4294967295ELNS1_3gpuE0ELNS1_3repE0EEES8_NS1_28merge_sort_block_sort_configILj256ELj4ELNS0_20block_sort_algorithmE0EEENS0_14default_configENS1_37merge_sort_block_sort_config_selectorIhlEENS1_38merge_sort_block_merge_config_selectorIhlEEEEvv.numbered_sgpr, 0
	.set _ZN7rocprim17ROCPRIM_400000_NS6detail44device_merge_sort_compile_time_verifier_archINS1_11comp_targetILNS1_3genE0ELNS1_11target_archE4294967295ELNS1_3gpuE0ELNS1_3repE0EEES8_NS1_28merge_sort_block_sort_configILj256ELj4ELNS0_20block_sort_algorithmE0EEENS0_14default_configENS1_37merge_sort_block_sort_config_selectorIhlEENS1_38merge_sort_block_merge_config_selectorIhlEEEEvv.num_named_barrier, 0
	.set _ZN7rocprim17ROCPRIM_400000_NS6detail44device_merge_sort_compile_time_verifier_archINS1_11comp_targetILNS1_3genE0ELNS1_11target_archE4294967295ELNS1_3gpuE0ELNS1_3repE0EEES8_NS1_28merge_sort_block_sort_configILj256ELj4ELNS0_20block_sort_algorithmE0EEENS0_14default_configENS1_37merge_sort_block_sort_config_selectorIhlEENS1_38merge_sort_block_merge_config_selectorIhlEEEEvv.private_seg_size, 0
	.set _ZN7rocprim17ROCPRIM_400000_NS6detail44device_merge_sort_compile_time_verifier_archINS1_11comp_targetILNS1_3genE0ELNS1_11target_archE4294967295ELNS1_3gpuE0ELNS1_3repE0EEES8_NS1_28merge_sort_block_sort_configILj256ELj4ELNS0_20block_sort_algorithmE0EEENS0_14default_configENS1_37merge_sort_block_sort_config_selectorIhlEENS1_38merge_sort_block_merge_config_selectorIhlEEEEvv.uses_vcc, 0
	.set _ZN7rocprim17ROCPRIM_400000_NS6detail44device_merge_sort_compile_time_verifier_archINS1_11comp_targetILNS1_3genE0ELNS1_11target_archE4294967295ELNS1_3gpuE0ELNS1_3repE0EEES8_NS1_28merge_sort_block_sort_configILj256ELj4ELNS0_20block_sort_algorithmE0EEENS0_14default_configENS1_37merge_sort_block_sort_config_selectorIhlEENS1_38merge_sort_block_merge_config_selectorIhlEEEEvv.uses_flat_scratch, 0
	.set _ZN7rocprim17ROCPRIM_400000_NS6detail44device_merge_sort_compile_time_verifier_archINS1_11comp_targetILNS1_3genE0ELNS1_11target_archE4294967295ELNS1_3gpuE0ELNS1_3repE0EEES8_NS1_28merge_sort_block_sort_configILj256ELj4ELNS0_20block_sort_algorithmE0EEENS0_14default_configENS1_37merge_sort_block_sort_config_selectorIhlEENS1_38merge_sort_block_merge_config_selectorIhlEEEEvv.has_dyn_sized_stack, 0
	.set _ZN7rocprim17ROCPRIM_400000_NS6detail44device_merge_sort_compile_time_verifier_archINS1_11comp_targetILNS1_3genE0ELNS1_11target_archE4294967295ELNS1_3gpuE0ELNS1_3repE0EEES8_NS1_28merge_sort_block_sort_configILj256ELj4ELNS0_20block_sort_algorithmE0EEENS0_14default_configENS1_37merge_sort_block_sort_config_selectorIhlEENS1_38merge_sort_block_merge_config_selectorIhlEEEEvv.has_recursion, 0
	.set _ZN7rocprim17ROCPRIM_400000_NS6detail44device_merge_sort_compile_time_verifier_archINS1_11comp_targetILNS1_3genE0ELNS1_11target_archE4294967295ELNS1_3gpuE0ELNS1_3repE0EEES8_NS1_28merge_sort_block_sort_configILj256ELj4ELNS0_20block_sort_algorithmE0EEENS0_14default_configENS1_37merge_sort_block_sort_config_selectorIhlEENS1_38merge_sort_block_merge_config_selectorIhlEEEEvv.has_indirect_call, 0
	.section	.AMDGPU.csdata,"",@progbits
; Kernel info:
; codeLenInByte = 4
; TotalNumSgprs: 4
; NumVgprs: 0
; ScratchSize: 0
; MemoryBound: 0
; FloatMode: 240
; IeeeMode: 1
; LDSByteSize: 0 bytes/workgroup (compile time only)
; SGPRBlocks: 0
; VGPRBlocks: 0
; NumSGPRsForWavesPerEU: 4
; NumVGPRsForWavesPerEU: 1
; Occupancy: 10
; WaveLimiterHint : 0
; COMPUTE_PGM_RSRC2:SCRATCH_EN: 0
; COMPUTE_PGM_RSRC2:USER_SGPR: 4
; COMPUTE_PGM_RSRC2:TRAP_HANDLER: 0
; COMPUTE_PGM_RSRC2:TGID_X_EN: 1
; COMPUTE_PGM_RSRC2:TGID_Y_EN: 0
; COMPUTE_PGM_RSRC2:TGID_Z_EN: 0
; COMPUTE_PGM_RSRC2:TIDIG_COMP_CNT: 0
	.section	.text._ZN7rocprim17ROCPRIM_400000_NS6detail44device_merge_sort_compile_time_verifier_archINS1_11comp_targetILNS1_3genE5ELNS1_11target_archE942ELNS1_3gpuE9ELNS1_3repE0EEES8_NS1_28merge_sort_block_sort_configILj256ELj4ELNS0_20block_sort_algorithmE0EEENS0_14default_configENS1_37merge_sort_block_sort_config_selectorIhlEENS1_38merge_sort_block_merge_config_selectorIhlEEEEvv,"axG",@progbits,_ZN7rocprim17ROCPRIM_400000_NS6detail44device_merge_sort_compile_time_verifier_archINS1_11comp_targetILNS1_3genE5ELNS1_11target_archE942ELNS1_3gpuE9ELNS1_3repE0EEES8_NS1_28merge_sort_block_sort_configILj256ELj4ELNS0_20block_sort_algorithmE0EEENS0_14default_configENS1_37merge_sort_block_sort_config_selectorIhlEENS1_38merge_sort_block_merge_config_selectorIhlEEEEvv,comdat
	.protected	_ZN7rocprim17ROCPRIM_400000_NS6detail44device_merge_sort_compile_time_verifier_archINS1_11comp_targetILNS1_3genE5ELNS1_11target_archE942ELNS1_3gpuE9ELNS1_3repE0EEES8_NS1_28merge_sort_block_sort_configILj256ELj4ELNS0_20block_sort_algorithmE0EEENS0_14default_configENS1_37merge_sort_block_sort_config_selectorIhlEENS1_38merge_sort_block_merge_config_selectorIhlEEEEvv ; -- Begin function _ZN7rocprim17ROCPRIM_400000_NS6detail44device_merge_sort_compile_time_verifier_archINS1_11comp_targetILNS1_3genE5ELNS1_11target_archE942ELNS1_3gpuE9ELNS1_3repE0EEES8_NS1_28merge_sort_block_sort_configILj256ELj4ELNS0_20block_sort_algorithmE0EEENS0_14default_configENS1_37merge_sort_block_sort_config_selectorIhlEENS1_38merge_sort_block_merge_config_selectorIhlEEEEvv
	.globl	_ZN7rocprim17ROCPRIM_400000_NS6detail44device_merge_sort_compile_time_verifier_archINS1_11comp_targetILNS1_3genE5ELNS1_11target_archE942ELNS1_3gpuE9ELNS1_3repE0EEES8_NS1_28merge_sort_block_sort_configILj256ELj4ELNS0_20block_sort_algorithmE0EEENS0_14default_configENS1_37merge_sort_block_sort_config_selectorIhlEENS1_38merge_sort_block_merge_config_selectorIhlEEEEvv
	.p2align	8
	.type	_ZN7rocprim17ROCPRIM_400000_NS6detail44device_merge_sort_compile_time_verifier_archINS1_11comp_targetILNS1_3genE5ELNS1_11target_archE942ELNS1_3gpuE9ELNS1_3repE0EEES8_NS1_28merge_sort_block_sort_configILj256ELj4ELNS0_20block_sort_algorithmE0EEENS0_14default_configENS1_37merge_sort_block_sort_config_selectorIhlEENS1_38merge_sort_block_merge_config_selectorIhlEEEEvv,@function
_ZN7rocprim17ROCPRIM_400000_NS6detail44device_merge_sort_compile_time_verifier_archINS1_11comp_targetILNS1_3genE5ELNS1_11target_archE942ELNS1_3gpuE9ELNS1_3repE0EEES8_NS1_28merge_sort_block_sort_configILj256ELj4ELNS0_20block_sort_algorithmE0EEENS0_14default_configENS1_37merge_sort_block_sort_config_selectorIhlEENS1_38merge_sort_block_merge_config_selectorIhlEEEEvv: ; @_ZN7rocprim17ROCPRIM_400000_NS6detail44device_merge_sort_compile_time_verifier_archINS1_11comp_targetILNS1_3genE5ELNS1_11target_archE942ELNS1_3gpuE9ELNS1_3repE0EEES8_NS1_28merge_sort_block_sort_configILj256ELj4ELNS0_20block_sort_algorithmE0EEENS0_14default_configENS1_37merge_sort_block_sort_config_selectorIhlEENS1_38merge_sort_block_merge_config_selectorIhlEEEEvv
; %bb.0:
	s_endpgm
	.section	.rodata,"a",@progbits
	.p2align	6, 0x0
	.amdhsa_kernel _ZN7rocprim17ROCPRIM_400000_NS6detail44device_merge_sort_compile_time_verifier_archINS1_11comp_targetILNS1_3genE5ELNS1_11target_archE942ELNS1_3gpuE9ELNS1_3repE0EEES8_NS1_28merge_sort_block_sort_configILj256ELj4ELNS0_20block_sort_algorithmE0EEENS0_14default_configENS1_37merge_sort_block_sort_config_selectorIhlEENS1_38merge_sort_block_merge_config_selectorIhlEEEEvv
		.amdhsa_group_segment_fixed_size 0
		.amdhsa_private_segment_fixed_size 0
		.amdhsa_kernarg_size 0
		.amdhsa_user_sgpr_count 4
		.amdhsa_user_sgpr_private_segment_buffer 1
		.amdhsa_user_sgpr_dispatch_ptr 0
		.amdhsa_user_sgpr_queue_ptr 0
		.amdhsa_user_sgpr_kernarg_segment_ptr 0
		.amdhsa_user_sgpr_dispatch_id 0
		.amdhsa_user_sgpr_flat_scratch_init 0
		.amdhsa_user_sgpr_private_segment_size 0
		.amdhsa_uses_dynamic_stack 0
		.amdhsa_system_sgpr_private_segment_wavefront_offset 0
		.amdhsa_system_sgpr_workgroup_id_x 1
		.amdhsa_system_sgpr_workgroup_id_y 0
		.amdhsa_system_sgpr_workgroup_id_z 0
		.amdhsa_system_sgpr_workgroup_info 0
		.amdhsa_system_vgpr_workitem_id 0
		.amdhsa_next_free_vgpr 1
		.amdhsa_next_free_sgpr 0
		.amdhsa_reserve_vcc 0
		.amdhsa_reserve_flat_scratch 0
		.amdhsa_float_round_mode_32 0
		.amdhsa_float_round_mode_16_64 0
		.amdhsa_float_denorm_mode_32 3
		.amdhsa_float_denorm_mode_16_64 3
		.amdhsa_dx10_clamp 1
		.amdhsa_ieee_mode 1
		.amdhsa_fp16_overflow 0
		.amdhsa_exception_fp_ieee_invalid_op 0
		.amdhsa_exception_fp_denorm_src 0
		.amdhsa_exception_fp_ieee_div_zero 0
		.amdhsa_exception_fp_ieee_overflow 0
		.amdhsa_exception_fp_ieee_underflow 0
		.amdhsa_exception_fp_ieee_inexact 0
		.amdhsa_exception_int_div_zero 0
	.end_amdhsa_kernel
	.section	.text._ZN7rocprim17ROCPRIM_400000_NS6detail44device_merge_sort_compile_time_verifier_archINS1_11comp_targetILNS1_3genE5ELNS1_11target_archE942ELNS1_3gpuE9ELNS1_3repE0EEES8_NS1_28merge_sort_block_sort_configILj256ELj4ELNS0_20block_sort_algorithmE0EEENS0_14default_configENS1_37merge_sort_block_sort_config_selectorIhlEENS1_38merge_sort_block_merge_config_selectorIhlEEEEvv,"axG",@progbits,_ZN7rocprim17ROCPRIM_400000_NS6detail44device_merge_sort_compile_time_verifier_archINS1_11comp_targetILNS1_3genE5ELNS1_11target_archE942ELNS1_3gpuE9ELNS1_3repE0EEES8_NS1_28merge_sort_block_sort_configILj256ELj4ELNS0_20block_sort_algorithmE0EEENS0_14default_configENS1_37merge_sort_block_sort_config_selectorIhlEENS1_38merge_sort_block_merge_config_selectorIhlEEEEvv,comdat
.Lfunc_end116:
	.size	_ZN7rocprim17ROCPRIM_400000_NS6detail44device_merge_sort_compile_time_verifier_archINS1_11comp_targetILNS1_3genE5ELNS1_11target_archE942ELNS1_3gpuE9ELNS1_3repE0EEES8_NS1_28merge_sort_block_sort_configILj256ELj4ELNS0_20block_sort_algorithmE0EEENS0_14default_configENS1_37merge_sort_block_sort_config_selectorIhlEENS1_38merge_sort_block_merge_config_selectorIhlEEEEvv, .Lfunc_end116-_ZN7rocprim17ROCPRIM_400000_NS6detail44device_merge_sort_compile_time_verifier_archINS1_11comp_targetILNS1_3genE5ELNS1_11target_archE942ELNS1_3gpuE9ELNS1_3repE0EEES8_NS1_28merge_sort_block_sort_configILj256ELj4ELNS0_20block_sort_algorithmE0EEENS0_14default_configENS1_37merge_sort_block_sort_config_selectorIhlEENS1_38merge_sort_block_merge_config_selectorIhlEEEEvv
                                        ; -- End function
	.set _ZN7rocprim17ROCPRIM_400000_NS6detail44device_merge_sort_compile_time_verifier_archINS1_11comp_targetILNS1_3genE5ELNS1_11target_archE942ELNS1_3gpuE9ELNS1_3repE0EEES8_NS1_28merge_sort_block_sort_configILj256ELj4ELNS0_20block_sort_algorithmE0EEENS0_14default_configENS1_37merge_sort_block_sort_config_selectorIhlEENS1_38merge_sort_block_merge_config_selectorIhlEEEEvv.num_vgpr, 0
	.set _ZN7rocprim17ROCPRIM_400000_NS6detail44device_merge_sort_compile_time_verifier_archINS1_11comp_targetILNS1_3genE5ELNS1_11target_archE942ELNS1_3gpuE9ELNS1_3repE0EEES8_NS1_28merge_sort_block_sort_configILj256ELj4ELNS0_20block_sort_algorithmE0EEENS0_14default_configENS1_37merge_sort_block_sort_config_selectorIhlEENS1_38merge_sort_block_merge_config_selectorIhlEEEEvv.num_agpr, 0
	.set _ZN7rocprim17ROCPRIM_400000_NS6detail44device_merge_sort_compile_time_verifier_archINS1_11comp_targetILNS1_3genE5ELNS1_11target_archE942ELNS1_3gpuE9ELNS1_3repE0EEES8_NS1_28merge_sort_block_sort_configILj256ELj4ELNS0_20block_sort_algorithmE0EEENS0_14default_configENS1_37merge_sort_block_sort_config_selectorIhlEENS1_38merge_sort_block_merge_config_selectorIhlEEEEvv.numbered_sgpr, 0
	.set _ZN7rocprim17ROCPRIM_400000_NS6detail44device_merge_sort_compile_time_verifier_archINS1_11comp_targetILNS1_3genE5ELNS1_11target_archE942ELNS1_3gpuE9ELNS1_3repE0EEES8_NS1_28merge_sort_block_sort_configILj256ELj4ELNS0_20block_sort_algorithmE0EEENS0_14default_configENS1_37merge_sort_block_sort_config_selectorIhlEENS1_38merge_sort_block_merge_config_selectorIhlEEEEvv.num_named_barrier, 0
	.set _ZN7rocprim17ROCPRIM_400000_NS6detail44device_merge_sort_compile_time_verifier_archINS1_11comp_targetILNS1_3genE5ELNS1_11target_archE942ELNS1_3gpuE9ELNS1_3repE0EEES8_NS1_28merge_sort_block_sort_configILj256ELj4ELNS0_20block_sort_algorithmE0EEENS0_14default_configENS1_37merge_sort_block_sort_config_selectorIhlEENS1_38merge_sort_block_merge_config_selectorIhlEEEEvv.private_seg_size, 0
	.set _ZN7rocprim17ROCPRIM_400000_NS6detail44device_merge_sort_compile_time_verifier_archINS1_11comp_targetILNS1_3genE5ELNS1_11target_archE942ELNS1_3gpuE9ELNS1_3repE0EEES8_NS1_28merge_sort_block_sort_configILj256ELj4ELNS0_20block_sort_algorithmE0EEENS0_14default_configENS1_37merge_sort_block_sort_config_selectorIhlEENS1_38merge_sort_block_merge_config_selectorIhlEEEEvv.uses_vcc, 0
	.set _ZN7rocprim17ROCPRIM_400000_NS6detail44device_merge_sort_compile_time_verifier_archINS1_11comp_targetILNS1_3genE5ELNS1_11target_archE942ELNS1_3gpuE9ELNS1_3repE0EEES8_NS1_28merge_sort_block_sort_configILj256ELj4ELNS0_20block_sort_algorithmE0EEENS0_14default_configENS1_37merge_sort_block_sort_config_selectorIhlEENS1_38merge_sort_block_merge_config_selectorIhlEEEEvv.uses_flat_scratch, 0
	.set _ZN7rocprim17ROCPRIM_400000_NS6detail44device_merge_sort_compile_time_verifier_archINS1_11comp_targetILNS1_3genE5ELNS1_11target_archE942ELNS1_3gpuE9ELNS1_3repE0EEES8_NS1_28merge_sort_block_sort_configILj256ELj4ELNS0_20block_sort_algorithmE0EEENS0_14default_configENS1_37merge_sort_block_sort_config_selectorIhlEENS1_38merge_sort_block_merge_config_selectorIhlEEEEvv.has_dyn_sized_stack, 0
	.set _ZN7rocprim17ROCPRIM_400000_NS6detail44device_merge_sort_compile_time_verifier_archINS1_11comp_targetILNS1_3genE5ELNS1_11target_archE942ELNS1_3gpuE9ELNS1_3repE0EEES8_NS1_28merge_sort_block_sort_configILj256ELj4ELNS0_20block_sort_algorithmE0EEENS0_14default_configENS1_37merge_sort_block_sort_config_selectorIhlEENS1_38merge_sort_block_merge_config_selectorIhlEEEEvv.has_recursion, 0
	.set _ZN7rocprim17ROCPRIM_400000_NS6detail44device_merge_sort_compile_time_verifier_archINS1_11comp_targetILNS1_3genE5ELNS1_11target_archE942ELNS1_3gpuE9ELNS1_3repE0EEES8_NS1_28merge_sort_block_sort_configILj256ELj4ELNS0_20block_sort_algorithmE0EEENS0_14default_configENS1_37merge_sort_block_sort_config_selectorIhlEENS1_38merge_sort_block_merge_config_selectorIhlEEEEvv.has_indirect_call, 0
	.section	.AMDGPU.csdata,"",@progbits
; Kernel info:
; codeLenInByte = 4
; TotalNumSgprs: 4
; NumVgprs: 0
; ScratchSize: 0
; MemoryBound: 0
; FloatMode: 240
; IeeeMode: 1
; LDSByteSize: 0 bytes/workgroup (compile time only)
; SGPRBlocks: 0
; VGPRBlocks: 0
; NumSGPRsForWavesPerEU: 4
; NumVGPRsForWavesPerEU: 1
; Occupancy: 10
; WaveLimiterHint : 0
; COMPUTE_PGM_RSRC2:SCRATCH_EN: 0
; COMPUTE_PGM_RSRC2:USER_SGPR: 4
; COMPUTE_PGM_RSRC2:TRAP_HANDLER: 0
; COMPUTE_PGM_RSRC2:TGID_X_EN: 1
; COMPUTE_PGM_RSRC2:TGID_Y_EN: 0
; COMPUTE_PGM_RSRC2:TGID_Z_EN: 0
; COMPUTE_PGM_RSRC2:TIDIG_COMP_CNT: 0
	.section	.text._ZN7rocprim17ROCPRIM_400000_NS6detail44device_merge_sort_compile_time_verifier_archINS1_11comp_targetILNS1_3genE4ELNS1_11target_archE910ELNS1_3gpuE8ELNS1_3repE0EEES8_NS1_28merge_sort_block_sort_configILj256ELj4ELNS0_20block_sort_algorithmE0EEENS0_14default_configENS1_37merge_sort_block_sort_config_selectorIhlEENS1_38merge_sort_block_merge_config_selectorIhlEEEEvv,"axG",@progbits,_ZN7rocprim17ROCPRIM_400000_NS6detail44device_merge_sort_compile_time_verifier_archINS1_11comp_targetILNS1_3genE4ELNS1_11target_archE910ELNS1_3gpuE8ELNS1_3repE0EEES8_NS1_28merge_sort_block_sort_configILj256ELj4ELNS0_20block_sort_algorithmE0EEENS0_14default_configENS1_37merge_sort_block_sort_config_selectorIhlEENS1_38merge_sort_block_merge_config_selectorIhlEEEEvv,comdat
	.protected	_ZN7rocprim17ROCPRIM_400000_NS6detail44device_merge_sort_compile_time_verifier_archINS1_11comp_targetILNS1_3genE4ELNS1_11target_archE910ELNS1_3gpuE8ELNS1_3repE0EEES8_NS1_28merge_sort_block_sort_configILj256ELj4ELNS0_20block_sort_algorithmE0EEENS0_14default_configENS1_37merge_sort_block_sort_config_selectorIhlEENS1_38merge_sort_block_merge_config_selectorIhlEEEEvv ; -- Begin function _ZN7rocprim17ROCPRIM_400000_NS6detail44device_merge_sort_compile_time_verifier_archINS1_11comp_targetILNS1_3genE4ELNS1_11target_archE910ELNS1_3gpuE8ELNS1_3repE0EEES8_NS1_28merge_sort_block_sort_configILj256ELj4ELNS0_20block_sort_algorithmE0EEENS0_14default_configENS1_37merge_sort_block_sort_config_selectorIhlEENS1_38merge_sort_block_merge_config_selectorIhlEEEEvv
	.globl	_ZN7rocprim17ROCPRIM_400000_NS6detail44device_merge_sort_compile_time_verifier_archINS1_11comp_targetILNS1_3genE4ELNS1_11target_archE910ELNS1_3gpuE8ELNS1_3repE0EEES8_NS1_28merge_sort_block_sort_configILj256ELj4ELNS0_20block_sort_algorithmE0EEENS0_14default_configENS1_37merge_sort_block_sort_config_selectorIhlEENS1_38merge_sort_block_merge_config_selectorIhlEEEEvv
	.p2align	8
	.type	_ZN7rocprim17ROCPRIM_400000_NS6detail44device_merge_sort_compile_time_verifier_archINS1_11comp_targetILNS1_3genE4ELNS1_11target_archE910ELNS1_3gpuE8ELNS1_3repE0EEES8_NS1_28merge_sort_block_sort_configILj256ELj4ELNS0_20block_sort_algorithmE0EEENS0_14default_configENS1_37merge_sort_block_sort_config_selectorIhlEENS1_38merge_sort_block_merge_config_selectorIhlEEEEvv,@function
_ZN7rocprim17ROCPRIM_400000_NS6detail44device_merge_sort_compile_time_verifier_archINS1_11comp_targetILNS1_3genE4ELNS1_11target_archE910ELNS1_3gpuE8ELNS1_3repE0EEES8_NS1_28merge_sort_block_sort_configILj256ELj4ELNS0_20block_sort_algorithmE0EEENS0_14default_configENS1_37merge_sort_block_sort_config_selectorIhlEENS1_38merge_sort_block_merge_config_selectorIhlEEEEvv: ; @_ZN7rocprim17ROCPRIM_400000_NS6detail44device_merge_sort_compile_time_verifier_archINS1_11comp_targetILNS1_3genE4ELNS1_11target_archE910ELNS1_3gpuE8ELNS1_3repE0EEES8_NS1_28merge_sort_block_sort_configILj256ELj4ELNS0_20block_sort_algorithmE0EEENS0_14default_configENS1_37merge_sort_block_sort_config_selectorIhlEENS1_38merge_sort_block_merge_config_selectorIhlEEEEvv
; %bb.0:
	s_endpgm
	.section	.rodata,"a",@progbits
	.p2align	6, 0x0
	.amdhsa_kernel _ZN7rocprim17ROCPRIM_400000_NS6detail44device_merge_sort_compile_time_verifier_archINS1_11comp_targetILNS1_3genE4ELNS1_11target_archE910ELNS1_3gpuE8ELNS1_3repE0EEES8_NS1_28merge_sort_block_sort_configILj256ELj4ELNS0_20block_sort_algorithmE0EEENS0_14default_configENS1_37merge_sort_block_sort_config_selectorIhlEENS1_38merge_sort_block_merge_config_selectorIhlEEEEvv
		.amdhsa_group_segment_fixed_size 0
		.amdhsa_private_segment_fixed_size 0
		.amdhsa_kernarg_size 0
		.amdhsa_user_sgpr_count 4
		.amdhsa_user_sgpr_private_segment_buffer 1
		.amdhsa_user_sgpr_dispatch_ptr 0
		.amdhsa_user_sgpr_queue_ptr 0
		.amdhsa_user_sgpr_kernarg_segment_ptr 0
		.amdhsa_user_sgpr_dispatch_id 0
		.amdhsa_user_sgpr_flat_scratch_init 0
		.amdhsa_user_sgpr_private_segment_size 0
		.amdhsa_uses_dynamic_stack 0
		.amdhsa_system_sgpr_private_segment_wavefront_offset 0
		.amdhsa_system_sgpr_workgroup_id_x 1
		.amdhsa_system_sgpr_workgroup_id_y 0
		.amdhsa_system_sgpr_workgroup_id_z 0
		.amdhsa_system_sgpr_workgroup_info 0
		.amdhsa_system_vgpr_workitem_id 0
		.amdhsa_next_free_vgpr 1
		.amdhsa_next_free_sgpr 0
		.amdhsa_reserve_vcc 0
		.amdhsa_reserve_flat_scratch 0
		.amdhsa_float_round_mode_32 0
		.amdhsa_float_round_mode_16_64 0
		.amdhsa_float_denorm_mode_32 3
		.amdhsa_float_denorm_mode_16_64 3
		.amdhsa_dx10_clamp 1
		.amdhsa_ieee_mode 1
		.amdhsa_fp16_overflow 0
		.amdhsa_exception_fp_ieee_invalid_op 0
		.amdhsa_exception_fp_denorm_src 0
		.amdhsa_exception_fp_ieee_div_zero 0
		.amdhsa_exception_fp_ieee_overflow 0
		.amdhsa_exception_fp_ieee_underflow 0
		.amdhsa_exception_fp_ieee_inexact 0
		.amdhsa_exception_int_div_zero 0
	.end_amdhsa_kernel
	.section	.text._ZN7rocprim17ROCPRIM_400000_NS6detail44device_merge_sort_compile_time_verifier_archINS1_11comp_targetILNS1_3genE4ELNS1_11target_archE910ELNS1_3gpuE8ELNS1_3repE0EEES8_NS1_28merge_sort_block_sort_configILj256ELj4ELNS0_20block_sort_algorithmE0EEENS0_14default_configENS1_37merge_sort_block_sort_config_selectorIhlEENS1_38merge_sort_block_merge_config_selectorIhlEEEEvv,"axG",@progbits,_ZN7rocprim17ROCPRIM_400000_NS6detail44device_merge_sort_compile_time_verifier_archINS1_11comp_targetILNS1_3genE4ELNS1_11target_archE910ELNS1_3gpuE8ELNS1_3repE0EEES8_NS1_28merge_sort_block_sort_configILj256ELj4ELNS0_20block_sort_algorithmE0EEENS0_14default_configENS1_37merge_sort_block_sort_config_selectorIhlEENS1_38merge_sort_block_merge_config_selectorIhlEEEEvv,comdat
.Lfunc_end117:
	.size	_ZN7rocprim17ROCPRIM_400000_NS6detail44device_merge_sort_compile_time_verifier_archINS1_11comp_targetILNS1_3genE4ELNS1_11target_archE910ELNS1_3gpuE8ELNS1_3repE0EEES8_NS1_28merge_sort_block_sort_configILj256ELj4ELNS0_20block_sort_algorithmE0EEENS0_14default_configENS1_37merge_sort_block_sort_config_selectorIhlEENS1_38merge_sort_block_merge_config_selectorIhlEEEEvv, .Lfunc_end117-_ZN7rocprim17ROCPRIM_400000_NS6detail44device_merge_sort_compile_time_verifier_archINS1_11comp_targetILNS1_3genE4ELNS1_11target_archE910ELNS1_3gpuE8ELNS1_3repE0EEES8_NS1_28merge_sort_block_sort_configILj256ELj4ELNS0_20block_sort_algorithmE0EEENS0_14default_configENS1_37merge_sort_block_sort_config_selectorIhlEENS1_38merge_sort_block_merge_config_selectorIhlEEEEvv
                                        ; -- End function
	.set _ZN7rocprim17ROCPRIM_400000_NS6detail44device_merge_sort_compile_time_verifier_archINS1_11comp_targetILNS1_3genE4ELNS1_11target_archE910ELNS1_3gpuE8ELNS1_3repE0EEES8_NS1_28merge_sort_block_sort_configILj256ELj4ELNS0_20block_sort_algorithmE0EEENS0_14default_configENS1_37merge_sort_block_sort_config_selectorIhlEENS1_38merge_sort_block_merge_config_selectorIhlEEEEvv.num_vgpr, 0
	.set _ZN7rocprim17ROCPRIM_400000_NS6detail44device_merge_sort_compile_time_verifier_archINS1_11comp_targetILNS1_3genE4ELNS1_11target_archE910ELNS1_3gpuE8ELNS1_3repE0EEES8_NS1_28merge_sort_block_sort_configILj256ELj4ELNS0_20block_sort_algorithmE0EEENS0_14default_configENS1_37merge_sort_block_sort_config_selectorIhlEENS1_38merge_sort_block_merge_config_selectorIhlEEEEvv.num_agpr, 0
	.set _ZN7rocprim17ROCPRIM_400000_NS6detail44device_merge_sort_compile_time_verifier_archINS1_11comp_targetILNS1_3genE4ELNS1_11target_archE910ELNS1_3gpuE8ELNS1_3repE0EEES8_NS1_28merge_sort_block_sort_configILj256ELj4ELNS0_20block_sort_algorithmE0EEENS0_14default_configENS1_37merge_sort_block_sort_config_selectorIhlEENS1_38merge_sort_block_merge_config_selectorIhlEEEEvv.numbered_sgpr, 0
	.set _ZN7rocprim17ROCPRIM_400000_NS6detail44device_merge_sort_compile_time_verifier_archINS1_11comp_targetILNS1_3genE4ELNS1_11target_archE910ELNS1_3gpuE8ELNS1_3repE0EEES8_NS1_28merge_sort_block_sort_configILj256ELj4ELNS0_20block_sort_algorithmE0EEENS0_14default_configENS1_37merge_sort_block_sort_config_selectorIhlEENS1_38merge_sort_block_merge_config_selectorIhlEEEEvv.num_named_barrier, 0
	.set _ZN7rocprim17ROCPRIM_400000_NS6detail44device_merge_sort_compile_time_verifier_archINS1_11comp_targetILNS1_3genE4ELNS1_11target_archE910ELNS1_3gpuE8ELNS1_3repE0EEES8_NS1_28merge_sort_block_sort_configILj256ELj4ELNS0_20block_sort_algorithmE0EEENS0_14default_configENS1_37merge_sort_block_sort_config_selectorIhlEENS1_38merge_sort_block_merge_config_selectorIhlEEEEvv.private_seg_size, 0
	.set _ZN7rocprim17ROCPRIM_400000_NS6detail44device_merge_sort_compile_time_verifier_archINS1_11comp_targetILNS1_3genE4ELNS1_11target_archE910ELNS1_3gpuE8ELNS1_3repE0EEES8_NS1_28merge_sort_block_sort_configILj256ELj4ELNS0_20block_sort_algorithmE0EEENS0_14default_configENS1_37merge_sort_block_sort_config_selectorIhlEENS1_38merge_sort_block_merge_config_selectorIhlEEEEvv.uses_vcc, 0
	.set _ZN7rocprim17ROCPRIM_400000_NS6detail44device_merge_sort_compile_time_verifier_archINS1_11comp_targetILNS1_3genE4ELNS1_11target_archE910ELNS1_3gpuE8ELNS1_3repE0EEES8_NS1_28merge_sort_block_sort_configILj256ELj4ELNS0_20block_sort_algorithmE0EEENS0_14default_configENS1_37merge_sort_block_sort_config_selectorIhlEENS1_38merge_sort_block_merge_config_selectorIhlEEEEvv.uses_flat_scratch, 0
	.set _ZN7rocprim17ROCPRIM_400000_NS6detail44device_merge_sort_compile_time_verifier_archINS1_11comp_targetILNS1_3genE4ELNS1_11target_archE910ELNS1_3gpuE8ELNS1_3repE0EEES8_NS1_28merge_sort_block_sort_configILj256ELj4ELNS0_20block_sort_algorithmE0EEENS0_14default_configENS1_37merge_sort_block_sort_config_selectorIhlEENS1_38merge_sort_block_merge_config_selectorIhlEEEEvv.has_dyn_sized_stack, 0
	.set _ZN7rocprim17ROCPRIM_400000_NS6detail44device_merge_sort_compile_time_verifier_archINS1_11comp_targetILNS1_3genE4ELNS1_11target_archE910ELNS1_3gpuE8ELNS1_3repE0EEES8_NS1_28merge_sort_block_sort_configILj256ELj4ELNS0_20block_sort_algorithmE0EEENS0_14default_configENS1_37merge_sort_block_sort_config_selectorIhlEENS1_38merge_sort_block_merge_config_selectorIhlEEEEvv.has_recursion, 0
	.set _ZN7rocprim17ROCPRIM_400000_NS6detail44device_merge_sort_compile_time_verifier_archINS1_11comp_targetILNS1_3genE4ELNS1_11target_archE910ELNS1_3gpuE8ELNS1_3repE0EEES8_NS1_28merge_sort_block_sort_configILj256ELj4ELNS0_20block_sort_algorithmE0EEENS0_14default_configENS1_37merge_sort_block_sort_config_selectorIhlEENS1_38merge_sort_block_merge_config_selectorIhlEEEEvv.has_indirect_call, 0
	.section	.AMDGPU.csdata,"",@progbits
; Kernel info:
; codeLenInByte = 4
; TotalNumSgprs: 4
; NumVgprs: 0
; ScratchSize: 0
; MemoryBound: 0
; FloatMode: 240
; IeeeMode: 1
; LDSByteSize: 0 bytes/workgroup (compile time only)
; SGPRBlocks: 0
; VGPRBlocks: 0
; NumSGPRsForWavesPerEU: 4
; NumVGPRsForWavesPerEU: 1
; Occupancy: 10
; WaveLimiterHint : 0
; COMPUTE_PGM_RSRC2:SCRATCH_EN: 0
; COMPUTE_PGM_RSRC2:USER_SGPR: 4
; COMPUTE_PGM_RSRC2:TRAP_HANDLER: 0
; COMPUTE_PGM_RSRC2:TGID_X_EN: 1
; COMPUTE_PGM_RSRC2:TGID_Y_EN: 0
; COMPUTE_PGM_RSRC2:TGID_Z_EN: 0
; COMPUTE_PGM_RSRC2:TIDIG_COMP_CNT: 0
	.section	.text._ZN7rocprim17ROCPRIM_400000_NS6detail44device_merge_sort_compile_time_verifier_archINS1_11comp_targetILNS1_3genE3ELNS1_11target_archE908ELNS1_3gpuE7ELNS1_3repE0EEES8_NS1_28merge_sort_block_sort_configILj256ELj4ELNS0_20block_sort_algorithmE0EEENS0_14default_configENS1_37merge_sort_block_sort_config_selectorIhlEENS1_38merge_sort_block_merge_config_selectorIhlEEEEvv,"axG",@progbits,_ZN7rocprim17ROCPRIM_400000_NS6detail44device_merge_sort_compile_time_verifier_archINS1_11comp_targetILNS1_3genE3ELNS1_11target_archE908ELNS1_3gpuE7ELNS1_3repE0EEES8_NS1_28merge_sort_block_sort_configILj256ELj4ELNS0_20block_sort_algorithmE0EEENS0_14default_configENS1_37merge_sort_block_sort_config_selectorIhlEENS1_38merge_sort_block_merge_config_selectorIhlEEEEvv,comdat
	.protected	_ZN7rocprim17ROCPRIM_400000_NS6detail44device_merge_sort_compile_time_verifier_archINS1_11comp_targetILNS1_3genE3ELNS1_11target_archE908ELNS1_3gpuE7ELNS1_3repE0EEES8_NS1_28merge_sort_block_sort_configILj256ELj4ELNS0_20block_sort_algorithmE0EEENS0_14default_configENS1_37merge_sort_block_sort_config_selectorIhlEENS1_38merge_sort_block_merge_config_selectorIhlEEEEvv ; -- Begin function _ZN7rocprim17ROCPRIM_400000_NS6detail44device_merge_sort_compile_time_verifier_archINS1_11comp_targetILNS1_3genE3ELNS1_11target_archE908ELNS1_3gpuE7ELNS1_3repE0EEES8_NS1_28merge_sort_block_sort_configILj256ELj4ELNS0_20block_sort_algorithmE0EEENS0_14default_configENS1_37merge_sort_block_sort_config_selectorIhlEENS1_38merge_sort_block_merge_config_selectorIhlEEEEvv
	.globl	_ZN7rocprim17ROCPRIM_400000_NS6detail44device_merge_sort_compile_time_verifier_archINS1_11comp_targetILNS1_3genE3ELNS1_11target_archE908ELNS1_3gpuE7ELNS1_3repE0EEES8_NS1_28merge_sort_block_sort_configILj256ELj4ELNS0_20block_sort_algorithmE0EEENS0_14default_configENS1_37merge_sort_block_sort_config_selectorIhlEENS1_38merge_sort_block_merge_config_selectorIhlEEEEvv
	.p2align	8
	.type	_ZN7rocprim17ROCPRIM_400000_NS6detail44device_merge_sort_compile_time_verifier_archINS1_11comp_targetILNS1_3genE3ELNS1_11target_archE908ELNS1_3gpuE7ELNS1_3repE0EEES8_NS1_28merge_sort_block_sort_configILj256ELj4ELNS0_20block_sort_algorithmE0EEENS0_14default_configENS1_37merge_sort_block_sort_config_selectorIhlEENS1_38merge_sort_block_merge_config_selectorIhlEEEEvv,@function
_ZN7rocprim17ROCPRIM_400000_NS6detail44device_merge_sort_compile_time_verifier_archINS1_11comp_targetILNS1_3genE3ELNS1_11target_archE908ELNS1_3gpuE7ELNS1_3repE0EEES8_NS1_28merge_sort_block_sort_configILj256ELj4ELNS0_20block_sort_algorithmE0EEENS0_14default_configENS1_37merge_sort_block_sort_config_selectorIhlEENS1_38merge_sort_block_merge_config_selectorIhlEEEEvv: ; @_ZN7rocprim17ROCPRIM_400000_NS6detail44device_merge_sort_compile_time_verifier_archINS1_11comp_targetILNS1_3genE3ELNS1_11target_archE908ELNS1_3gpuE7ELNS1_3repE0EEES8_NS1_28merge_sort_block_sort_configILj256ELj4ELNS0_20block_sort_algorithmE0EEENS0_14default_configENS1_37merge_sort_block_sort_config_selectorIhlEENS1_38merge_sort_block_merge_config_selectorIhlEEEEvv
; %bb.0:
	s_endpgm
	.section	.rodata,"a",@progbits
	.p2align	6, 0x0
	.amdhsa_kernel _ZN7rocprim17ROCPRIM_400000_NS6detail44device_merge_sort_compile_time_verifier_archINS1_11comp_targetILNS1_3genE3ELNS1_11target_archE908ELNS1_3gpuE7ELNS1_3repE0EEES8_NS1_28merge_sort_block_sort_configILj256ELj4ELNS0_20block_sort_algorithmE0EEENS0_14default_configENS1_37merge_sort_block_sort_config_selectorIhlEENS1_38merge_sort_block_merge_config_selectorIhlEEEEvv
		.amdhsa_group_segment_fixed_size 0
		.amdhsa_private_segment_fixed_size 0
		.amdhsa_kernarg_size 0
		.amdhsa_user_sgpr_count 4
		.amdhsa_user_sgpr_private_segment_buffer 1
		.amdhsa_user_sgpr_dispatch_ptr 0
		.amdhsa_user_sgpr_queue_ptr 0
		.amdhsa_user_sgpr_kernarg_segment_ptr 0
		.amdhsa_user_sgpr_dispatch_id 0
		.amdhsa_user_sgpr_flat_scratch_init 0
		.amdhsa_user_sgpr_private_segment_size 0
		.amdhsa_uses_dynamic_stack 0
		.amdhsa_system_sgpr_private_segment_wavefront_offset 0
		.amdhsa_system_sgpr_workgroup_id_x 1
		.amdhsa_system_sgpr_workgroup_id_y 0
		.amdhsa_system_sgpr_workgroup_id_z 0
		.amdhsa_system_sgpr_workgroup_info 0
		.amdhsa_system_vgpr_workitem_id 0
		.amdhsa_next_free_vgpr 1
		.amdhsa_next_free_sgpr 0
		.amdhsa_reserve_vcc 0
		.amdhsa_reserve_flat_scratch 0
		.amdhsa_float_round_mode_32 0
		.amdhsa_float_round_mode_16_64 0
		.amdhsa_float_denorm_mode_32 3
		.amdhsa_float_denorm_mode_16_64 3
		.amdhsa_dx10_clamp 1
		.amdhsa_ieee_mode 1
		.amdhsa_fp16_overflow 0
		.amdhsa_exception_fp_ieee_invalid_op 0
		.amdhsa_exception_fp_denorm_src 0
		.amdhsa_exception_fp_ieee_div_zero 0
		.amdhsa_exception_fp_ieee_overflow 0
		.amdhsa_exception_fp_ieee_underflow 0
		.amdhsa_exception_fp_ieee_inexact 0
		.amdhsa_exception_int_div_zero 0
	.end_amdhsa_kernel
	.section	.text._ZN7rocprim17ROCPRIM_400000_NS6detail44device_merge_sort_compile_time_verifier_archINS1_11comp_targetILNS1_3genE3ELNS1_11target_archE908ELNS1_3gpuE7ELNS1_3repE0EEES8_NS1_28merge_sort_block_sort_configILj256ELj4ELNS0_20block_sort_algorithmE0EEENS0_14default_configENS1_37merge_sort_block_sort_config_selectorIhlEENS1_38merge_sort_block_merge_config_selectorIhlEEEEvv,"axG",@progbits,_ZN7rocprim17ROCPRIM_400000_NS6detail44device_merge_sort_compile_time_verifier_archINS1_11comp_targetILNS1_3genE3ELNS1_11target_archE908ELNS1_3gpuE7ELNS1_3repE0EEES8_NS1_28merge_sort_block_sort_configILj256ELj4ELNS0_20block_sort_algorithmE0EEENS0_14default_configENS1_37merge_sort_block_sort_config_selectorIhlEENS1_38merge_sort_block_merge_config_selectorIhlEEEEvv,comdat
.Lfunc_end118:
	.size	_ZN7rocprim17ROCPRIM_400000_NS6detail44device_merge_sort_compile_time_verifier_archINS1_11comp_targetILNS1_3genE3ELNS1_11target_archE908ELNS1_3gpuE7ELNS1_3repE0EEES8_NS1_28merge_sort_block_sort_configILj256ELj4ELNS0_20block_sort_algorithmE0EEENS0_14default_configENS1_37merge_sort_block_sort_config_selectorIhlEENS1_38merge_sort_block_merge_config_selectorIhlEEEEvv, .Lfunc_end118-_ZN7rocprim17ROCPRIM_400000_NS6detail44device_merge_sort_compile_time_verifier_archINS1_11comp_targetILNS1_3genE3ELNS1_11target_archE908ELNS1_3gpuE7ELNS1_3repE0EEES8_NS1_28merge_sort_block_sort_configILj256ELj4ELNS0_20block_sort_algorithmE0EEENS0_14default_configENS1_37merge_sort_block_sort_config_selectorIhlEENS1_38merge_sort_block_merge_config_selectorIhlEEEEvv
                                        ; -- End function
	.set _ZN7rocprim17ROCPRIM_400000_NS6detail44device_merge_sort_compile_time_verifier_archINS1_11comp_targetILNS1_3genE3ELNS1_11target_archE908ELNS1_3gpuE7ELNS1_3repE0EEES8_NS1_28merge_sort_block_sort_configILj256ELj4ELNS0_20block_sort_algorithmE0EEENS0_14default_configENS1_37merge_sort_block_sort_config_selectorIhlEENS1_38merge_sort_block_merge_config_selectorIhlEEEEvv.num_vgpr, 0
	.set _ZN7rocprim17ROCPRIM_400000_NS6detail44device_merge_sort_compile_time_verifier_archINS1_11comp_targetILNS1_3genE3ELNS1_11target_archE908ELNS1_3gpuE7ELNS1_3repE0EEES8_NS1_28merge_sort_block_sort_configILj256ELj4ELNS0_20block_sort_algorithmE0EEENS0_14default_configENS1_37merge_sort_block_sort_config_selectorIhlEENS1_38merge_sort_block_merge_config_selectorIhlEEEEvv.num_agpr, 0
	.set _ZN7rocprim17ROCPRIM_400000_NS6detail44device_merge_sort_compile_time_verifier_archINS1_11comp_targetILNS1_3genE3ELNS1_11target_archE908ELNS1_3gpuE7ELNS1_3repE0EEES8_NS1_28merge_sort_block_sort_configILj256ELj4ELNS0_20block_sort_algorithmE0EEENS0_14default_configENS1_37merge_sort_block_sort_config_selectorIhlEENS1_38merge_sort_block_merge_config_selectorIhlEEEEvv.numbered_sgpr, 0
	.set _ZN7rocprim17ROCPRIM_400000_NS6detail44device_merge_sort_compile_time_verifier_archINS1_11comp_targetILNS1_3genE3ELNS1_11target_archE908ELNS1_3gpuE7ELNS1_3repE0EEES8_NS1_28merge_sort_block_sort_configILj256ELj4ELNS0_20block_sort_algorithmE0EEENS0_14default_configENS1_37merge_sort_block_sort_config_selectorIhlEENS1_38merge_sort_block_merge_config_selectorIhlEEEEvv.num_named_barrier, 0
	.set _ZN7rocprim17ROCPRIM_400000_NS6detail44device_merge_sort_compile_time_verifier_archINS1_11comp_targetILNS1_3genE3ELNS1_11target_archE908ELNS1_3gpuE7ELNS1_3repE0EEES8_NS1_28merge_sort_block_sort_configILj256ELj4ELNS0_20block_sort_algorithmE0EEENS0_14default_configENS1_37merge_sort_block_sort_config_selectorIhlEENS1_38merge_sort_block_merge_config_selectorIhlEEEEvv.private_seg_size, 0
	.set _ZN7rocprim17ROCPRIM_400000_NS6detail44device_merge_sort_compile_time_verifier_archINS1_11comp_targetILNS1_3genE3ELNS1_11target_archE908ELNS1_3gpuE7ELNS1_3repE0EEES8_NS1_28merge_sort_block_sort_configILj256ELj4ELNS0_20block_sort_algorithmE0EEENS0_14default_configENS1_37merge_sort_block_sort_config_selectorIhlEENS1_38merge_sort_block_merge_config_selectorIhlEEEEvv.uses_vcc, 0
	.set _ZN7rocprim17ROCPRIM_400000_NS6detail44device_merge_sort_compile_time_verifier_archINS1_11comp_targetILNS1_3genE3ELNS1_11target_archE908ELNS1_3gpuE7ELNS1_3repE0EEES8_NS1_28merge_sort_block_sort_configILj256ELj4ELNS0_20block_sort_algorithmE0EEENS0_14default_configENS1_37merge_sort_block_sort_config_selectorIhlEENS1_38merge_sort_block_merge_config_selectorIhlEEEEvv.uses_flat_scratch, 0
	.set _ZN7rocprim17ROCPRIM_400000_NS6detail44device_merge_sort_compile_time_verifier_archINS1_11comp_targetILNS1_3genE3ELNS1_11target_archE908ELNS1_3gpuE7ELNS1_3repE0EEES8_NS1_28merge_sort_block_sort_configILj256ELj4ELNS0_20block_sort_algorithmE0EEENS0_14default_configENS1_37merge_sort_block_sort_config_selectorIhlEENS1_38merge_sort_block_merge_config_selectorIhlEEEEvv.has_dyn_sized_stack, 0
	.set _ZN7rocprim17ROCPRIM_400000_NS6detail44device_merge_sort_compile_time_verifier_archINS1_11comp_targetILNS1_3genE3ELNS1_11target_archE908ELNS1_3gpuE7ELNS1_3repE0EEES8_NS1_28merge_sort_block_sort_configILj256ELj4ELNS0_20block_sort_algorithmE0EEENS0_14default_configENS1_37merge_sort_block_sort_config_selectorIhlEENS1_38merge_sort_block_merge_config_selectorIhlEEEEvv.has_recursion, 0
	.set _ZN7rocprim17ROCPRIM_400000_NS6detail44device_merge_sort_compile_time_verifier_archINS1_11comp_targetILNS1_3genE3ELNS1_11target_archE908ELNS1_3gpuE7ELNS1_3repE0EEES8_NS1_28merge_sort_block_sort_configILj256ELj4ELNS0_20block_sort_algorithmE0EEENS0_14default_configENS1_37merge_sort_block_sort_config_selectorIhlEENS1_38merge_sort_block_merge_config_selectorIhlEEEEvv.has_indirect_call, 0
	.section	.AMDGPU.csdata,"",@progbits
; Kernel info:
; codeLenInByte = 4
; TotalNumSgprs: 4
; NumVgprs: 0
; ScratchSize: 0
; MemoryBound: 0
; FloatMode: 240
; IeeeMode: 1
; LDSByteSize: 0 bytes/workgroup (compile time only)
; SGPRBlocks: 0
; VGPRBlocks: 0
; NumSGPRsForWavesPerEU: 4
; NumVGPRsForWavesPerEU: 1
; Occupancy: 10
; WaveLimiterHint : 0
; COMPUTE_PGM_RSRC2:SCRATCH_EN: 0
; COMPUTE_PGM_RSRC2:USER_SGPR: 4
; COMPUTE_PGM_RSRC2:TRAP_HANDLER: 0
; COMPUTE_PGM_RSRC2:TGID_X_EN: 1
; COMPUTE_PGM_RSRC2:TGID_Y_EN: 0
; COMPUTE_PGM_RSRC2:TGID_Z_EN: 0
; COMPUTE_PGM_RSRC2:TIDIG_COMP_CNT: 0
	.section	.text._ZN7rocprim17ROCPRIM_400000_NS6detail44device_merge_sort_compile_time_verifier_archINS1_11comp_targetILNS1_3genE2ELNS1_11target_archE906ELNS1_3gpuE6ELNS1_3repE0EEES8_NS1_28merge_sort_block_sort_configILj256ELj4ELNS0_20block_sort_algorithmE0EEENS0_14default_configENS1_37merge_sort_block_sort_config_selectorIhlEENS1_38merge_sort_block_merge_config_selectorIhlEEEEvv,"axG",@progbits,_ZN7rocprim17ROCPRIM_400000_NS6detail44device_merge_sort_compile_time_verifier_archINS1_11comp_targetILNS1_3genE2ELNS1_11target_archE906ELNS1_3gpuE6ELNS1_3repE0EEES8_NS1_28merge_sort_block_sort_configILj256ELj4ELNS0_20block_sort_algorithmE0EEENS0_14default_configENS1_37merge_sort_block_sort_config_selectorIhlEENS1_38merge_sort_block_merge_config_selectorIhlEEEEvv,comdat
	.protected	_ZN7rocprim17ROCPRIM_400000_NS6detail44device_merge_sort_compile_time_verifier_archINS1_11comp_targetILNS1_3genE2ELNS1_11target_archE906ELNS1_3gpuE6ELNS1_3repE0EEES8_NS1_28merge_sort_block_sort_configILj256ELj4ELNS0_20block_sort_algorithmE0EEENS0_14default_configENS1_37merge_sort_block_sort_config_selectorIhlEENS1_38merge_sort_block_merge_config_selectorIhlEEEEvv ; -- Begin function _ZN7rocprim17ROCPRIM_400000_NS6detail44device_merge_sort_compile_time_verifier_archINS1_11comp_targetILNS1_3genE2ELNS1_11target_archE906ELNS1_3gpuE6ELNS1_3repE0EEES8_NS1_28merge_sort_block_sort_configILj256ELj4ELNS0_20block_sort_algorithmE0EEENS0_14default_configENS1_37merge_sort_block_sort_config_selectorIhlEENS1_38merge_sort_block_merge_config_selectorIhlEEEEvv
	.globl	_ZN7rocprim17ROCPRIM_400000_NS6detail44device_merge_sort_compile_time_verifier_archINS1_11comp_targetILNS1_3genE2ELNS1_11target_archE906ELNS1_3gpuE6ELNS1_3repE0EEES8_NS1_28merge_sort_block_sort_configILj256ELj4ELNS0_20block_sort_algorithmE0EEENS0_14default_configENS1_37merge_sort_block_sort_config_selectorIhlEENS1_38merge_sort_block_merge_config_selectorIhlEEEEvv
	.p2align	8
	.type	_ZN7rocprim17ROCPRIM_400000_NS6detail44device_merge_sort_compile_time_verifier_archINS1_11comp_targetILNS1_3genE2ELNS1_11target_archE906ELNS1_3gpuE6ELNS1_3repE0EEES8_NS1_28merge_sort_block_sort_configILj256ELj4ELNS0_20block_sort_algorithmE0EEENS0_14default_configENS1_37merge_sort_block_sort_config_selectorIhlEENS1_38merge_sort_block_merge_config_selectorIhlEEEEvv,@function
_ZN7rocprim17ROCPRIM_400000_NS6detail44device_merge_sort_compile_time_verifier_archINS1_11comp_targetILNS1_3genE2ELNS1_11target_archE906ELNS1_3gpuE6ELNS1_3repE0EEES8_NS1_28merge_sort_block_sort_configILj256ELj4ELNS0_20block_sort_algorithmE0EEENS0_14default_configENS1_37merge_sort_block_sort_config_selectorIhlEENS1_38merge_sort_block_merge_config_selectorIhlEEEEvv: ; @_ZN7rocprim17ROCPRIM_400000_NS6detail44device_merge_sort_compile_time_verifier_archINS1_11comp_targetILNS1_3genE2ELNS1_11target_archE906ELNS1_3gpuE6ELNS1_3repE0EEES8_NS1_28merge_sort_block_sort_configILj256ELj4ELNS0_20block_sort_algorithmE0EEENS0_14default_configENS1_37merge_sort_block_sort_config_selectorIhlEENS1_38merge_sort_block_merge_config_selectorIhlEEEEvv
; %bb.0:
	s_endpgm
	.section	.rodata,"a",@progbits
	.p2align	6, 0x0
	.amdhsa_kernel _ZN7rocprim17ROCPRIM_400000_NS6detail44device_merge_sort_compile_time_verifier_archINS1_11comp_targetILNS1_3genE2ELNS1_11target_archE906ELNS1_3gpuE6ELNS1_3repE0EEES8_NS1_28merge_sort_block_sort_configILj256ELj4ELNS0_20block_sort_algorithmE0EEENS0_14default_configENS1_37merge_sort_block_sort_config_selectorIhlEENS1_38merge_sort_block_merge_config_selectorIhlEEEEvv
		.amdhsa_group_segment_fixed_size 0
		.amdhsa_private_segment_fixed_size 0
		.amdhsa_kernarg_size 0
		.amdhsa_user_sgpr_count 4
		.amdhsa_user_sgpr_private_segment_buffer 1
		.amdhsa_user_sgpr_dispatch_ptr 0
		.amdhsa_user_sgpr_queue_ptr 0
		.amdhsa_user_sgpr_kernarg_segment_ptr 0
		.amdhsa_user_sgpr_dispatch_id 0
		.amdhsa_user_sgpr_flat_scratch_init 0
		.amdhsa_user_sgpr_private_segment_size 0
		.amdhsa_uses_dynamic_stack 0
		.amdhsa_system_sgpr_private_segment_wavefront_offset 0
		.amdhsa_system_sgpr_workgroup_id_x 1
		.amdhsa_system_sgpr_workgroup_id_y 0
		.amdhsa_system_sgpr_workgroup_id_z 0
		.amdhsa_system_sgpr_workgroup_info 0
		.amdhsa_system_vgpr_workitem_id 0
		.amdhsa_next_free_vgpr 1
		.amdhsa_next_free_sgpr 0
		.amdhsa_reserve_vcc 0
		.amdhsa_reserve_flat_scratch 0
		.amdhsa_float_round_mode_32 0
		.amdhsa_float_round_mode_16_64 0
		.amdhsa_float_denorm_mode_32 3
		.amdhsa_float_denorm_mode_16_64 3
		.amdhsa_dx10_clamp 1
		.amdhsa_ieee_mode 1
		.amdhsa_fp16_overflow 0
		.amdhsa_exception_fp_ieee_invalid_op 0
		.amdhsa_exception_fp_denorm_src 0
		.amdhsa_exception_fp_ieee_div_zero 0
		.amdhsa_exception_fp_ieee_overflow 0
		.amdhsa_exception_fp_ieee_underflow 0
		.amdhsa_exception_fp_ieee_inexact 0
		.amdhsa_exception_int_div_zero 0
	.end_amdhsa_kernel
	.section	.text._ZN7rocprim17ROCPRIM_400000_NS6detail44device_merge_sort_compile_time_verifier_archINS1_11comp_targetILNS1_3genE2ELNS1_11target_archE906ELNS1_3gpuE6ELNS1_3repE0EEES8_NS1_28merge_sort_block_sort_configILj256ELj4ELNS0_20block_sort_algorithmE0EEENS0_14default_configENS1_37merge_sort_block_sort_config_selectorIhlEENS1_38merge_sort_block_merge_config_selectorIhlEEEEvv,"axG",@progbits,_ZN7rocprim17ROCPRIM_400000_NS6detail44device_merge_sort_compile_time_verifier_archINS1_11comp_targetILNS1_3genE2ELNS1_11target_archE906ELNS1_3gpuE6ELNS1_3repE0EEES8_NS1_28merge_sort_block_sort_configILj256ELj4ELNS0_20block_sort_algorithmE0EEENS0_14default_configENS1_37merge_sort_block_sort_config_selectorIhlEENS1_38merge_sort_block_merge_config_selectorIhlEEEEvv,comdat
.Lfunc_end119:
	.size	_ZN7rocprim17ROCPRIM_400000_NS6detail44device_merge_sort_compile_time_verifier_archINS1_11comp_targetILNS1_3genE2ELNS1_11target_archE906ELNS1_3gpuE6ELNS1_3repE0EEES8_NS1_28merge_sort_block_sort_configILj256ELj4ELNS0_20block_sort_algorithmE0EEENS0_14default_configENS1_37merge_sort_block_sort_config_selectorIhlEENS1_38merge_sort_block_merge_config_selectorIhlEEEEvv, .Lfunc_end119-_ZN7rocprim17ROCPRIM_400000_NS6detail44device_merge_sort_compile_time_verifier_archINS1_11comp_targetILNS1_3genE2ELNS1_11target_archE906ELNS1_3gpuE6ELNS1_3repE0EEES8_NS1_28merge_sort_block_sort_configILj256ELj4ELNS0_20block_sort_algorithmE0EEENS0_14default_configENS1_37merge_sort_block_sort_config_selectorIhlEENS1_38merge_sort_block_merge_config_selectorIhlEEEEvv
                                        ; -- End function
	.set _ZN7rocprim17ROCPRIM_400000_NS6detail44device_merge_sort_compile_time_verifier_archINS1_11comp_targetILNS1_3genE2ELNS1_11target_archE906ELNS1_3gpuE6ELNS1_3repE0EEES8_NS1_28merge_sort_block_sort_configILj256ELj4ELNS0_20block_sort_algorithmE0EEENS0_14default_configENS1_37merge_sort_block_sort_config_selectorIhlEENS1_38merge_sort_block_merge_config_selectorIhlEEEEvv.num_vgpr, 0
	.set _ZN7rocprim17ROCPRIM_400000_NS6detail44device_merge_sort_compile_time_verifier_archINS1_11comp_targetILNS1_3genE2ELNS1_11target_archE906ELNS1_3gpuE6ELNS1_3repE0EEES8_NS1_28merge_sort_block_sort_configILj256ELj4ELNS0_20block_sort_algorithmE0EEENS0_14default_configENS1_37merge_sort_block_sort_config_selectorIhlEENS1_38merge_sort_block_merge_config_selectorIhlEEEEvv.num_agpr, 0
	.set _ZN7rocprim17ROCPRIM_400000_NS6detail44device_merge_sort_compile_time_verifier_archINS1_11comp_targetILNS1_3genE2ELNS1_11target_archE906ELNS1_3gpuE6ELNS1_3repE0EEES8_NS1_28merge_sort_block_sort_configILj256ELj4ELNS0_20block_sort_algorithmE0EEENS0_14default_configENS1_37merge_sort_block_sort_config_selectorIhlEENS1_38merge_sort_block_merge_config_selectorIhlEEEEvv.numbered_sgpr, 0
	.set _ZN7rocprim17ROCPRIM_400000_NS6detail44device_merge_sort_compile_time_verifier_archINS1_11comp_targetILNS1_3genE2ELNS1_11target_archE906ELNS1_3gpuE6ELNS1_3repE0EEES8_NS1_28merge_sort_block_sort_configILj256ELj4ELNS0_20block_sort_algorithmE0EEENS0_14default_configENS1_37merge_sort_block_sort_config_selectorIhlEENS1_38merge_sort_block_merge_config_selectorIhlEEEEvv.num_named_barrier, 0
	.set _ZN7rocprim17ROCPRIM_400000_NS6detail44device_merge_sort_compile_time_verifier_archINS1_11comp_targetILNS1_3genE2ELNS1_11target_archE906ELNS1_3gpuE6ELNS1_3repE0EEES8_NS1_28merge_sort_block_sort_configILj256ELj4ELNS0_20block_sort_algorithmE0EEENS0_14default_configENS1_37merge_sort_block_sort_config_selectorIhlEENS1_38merge_sort_block_merge_config_selectorIhlEEEEvv.private_seg_size, 0
	.set _ZN7rocprim17ROCPRIM_400000_NS6detail44device_merge_sort_compile_time_verifier_archINS1_11comp_targetILNS1_3genE2ELNS1_11target_archE906ELNS1_3gpuE6ELNS1_3repE0EEES8_NS1_28merge_sort_block_sort_configILj256ELj4ELNS0_20block_sort_algorithmE0EEENS0_14default_configENS1_37merge_sort_block_sort_config_selectorIhlEENS1_38merge_sort_block_merge_config_selectorIhlEEEEvv.uses_vcc, 0
	.set _ZN7rocprim17ROCPRIM_400000_NS6detail44device_merge_sort_compile_time_verifier_archINS1_11comp_targetILNS1_3genE2ELNS1_11target_archE906ELNS1_3gpuE6ELNS1_3repE0EEES8_NS1_28merge_sort_block_sort_configILj256ELj4ELNS0_20block_sort_algorithmE0EEENS0_14default_configENS1_37merge_sort_block_sort_config_selectorIhlEENS1_38merge_sort_block_merge_config_selectorIhlEEEEvv.uses_flat_scratch, 0
	.set _ZN7rocprim17ROCPRIM_400000_NS6detail44device_merge_sort_compile_time_verifier_archINS1_11comp_targetILNS1_3genE2ELNS1_11target_archE906ELNS1_3gpuE6ELNS1_3repE0EEES8_NS1_28merge_sort_block_sort_configILj256ELj4ELNS0_20block_sort_algorithmE0EEENS0_14default_configENS1_37merge_sort_block_sort_config_selectorIhlEENS1_38merge_sort_block_merge_config_selectorIhlEEEEvv.has_dyn_sized_stack, 0
	.set _ZN7rocprim17ROCPRIM_400000_NS6detail44device_merge_sort_compile_time_verifier_archINS1_11comp_targetILNS1_3genE2ELNS1_11target_archE906ELNS1_3gpuE6ELNS1_3repE0EEES8_NS1_28merge_sort_block_sort_configILj256ELj4ELNS0_20block_sort_algorithmE0EEENS0_14default_configENS1_37merge_sort_block_sort_config_selectorIhlEENS1_38merge_sort_block_merge_config_selectorIhlEEEEvv.has_recursion, 0
	.set _ZN7rocprim17ROCPRIM_400000_NS6detail44device_merge_sort_compile_time_verifier_archINS1_11comp_targetILNS1_3genE2ELNS1_11target_archE906ELNS1_3gpuE6ELNS1_3repE0EEES8_NS1_28merge_sort_block_sort_configILj256ELj4ELNS0_20block_sort_algorithmE0EEENS0_14default_configENS1_37merge_sort_block_sort_config_selectorIhlEENS1_38merge_sort_block_merge_config_selectorIhlEEEEvv.has_indirect_call, 0
	.section	.AMDGPU.csdata,"",@progbits
; Kernel info:
; codeLenInByte = 4
; TotalNumSgprs: 4
; NumVgprs: 0
; ScratchSize: 0
; MemoryBound: 0
; FloatMode: 240
; IeeeMode: 1
; LDSByteSize: 0 bytes/workgroup (compile time only)
; SGPRBlocks: 0
; VGPRBlocks: 0
; NumSGPRsForWavesPerEU: 4
; NumVGPRsForWavesPerEU: 1
; Occupancy: 10
; WaveLimiterHint : 0
; COMPUTE_PGM_RSRC2:SCRATCH_EN: 0
; COMPUTE_PGM_RSRC2:USER_SGPR: 4
; COMPUTE_PGM_RSRC2:TRAP_HANDLER: 0
; COMPUTE_PGM_RSRC2:TGID_X_EN: 1
; COMPUTE_PGM_RSRC2:TGID_Y_EN: 0
; COMPUTE_PGM_RSRC2:TGID_Z_EN: 0
; COMPUTE_PGM_RSRC2:TIDIG_COMP_CNT: 0
	.section	.text._ZN7rocprim17ROCPRIM_400000_NS6detail44device_merge_sort_compile_time_verifier_archINS1_11comp_targetILNS1_3genE10ELNS1_11target_archE1201ELNS1_3gpuE5ELNS1_3repE0EEES8_NS1_28merge_sort_block_sort_configILj256ELj4ELNS0_20block_sort_algorithmE0EEENS0_14default_configENS1_37merge_sort_block_sort_config_selectorIhlEENS1_38merge_sort_block_merge_config_selectorIhlEEEEvv,"axG",@progbits,_ZN7rocprim17ROCPRIM_400000_NS6detail44device_merge_sort_compile_time_verifier_archINS1_11comp_targetILNS1_3genE10ELNS1_11target_archE1201ELNS1_3gpuE5ELNS1_3repE0EEES8_NS1_28merge_sort_block_sort_configILj256ELj4ELNS0_20block_sort_algorithmE0EEENS0_14default_configENS1_37merge_sort_block_sort_config_selectorIhlEENS1_38merge_sort_block_merge_config_selectorIhlEEEEvv,comdat
	.protected	_ZN7rocprim17ROCPRIM_400000_NS6detail44device_merge_sort_compile_time_verifier_archINS1_11comp_targetILNS1_3genE10ELNS1_11target_archE1201ELNS1_3gpuE5ELNS1_3repE0EEES8_NS1_28merge_sort_block_sort_configILj256ELj4ELNS0_20block_sort_algorithmE0EEENS0_14default_configENS1_37merge_sort_block_sort_config_selectorIhlEENS1_38merge_sort_block_merge_config_selectorIhlEEEEvv ; -- Begin function _ZN7rocprim17ROCPRIM_400000_NS6detail44device_merge_sort_compile_time_verifier_archINS1_11comp_targetILNS1_3genE10ELNS1_11target_archE1201ELNS1_3gpuE5ELNS1_3repE0EEES8_NS1_28merge_sort_block_sort_configILj256ELj4ELNS0_20block_sort_algorithmE0EEENS0_14default_configENS1_37merge_sort_block_sort_config_selectorIhlEENS1_38merge_sort_block_merge_config_selectorIhlEEEEvv
	.globl	_ZN7rocprim17ROCPRIM_400000_NS6detail44device_merge_sort_compile_time_verifier_archINS1_11comp_targetILNS1_3genE10ELNS1_11target_archE1201ELNS1_3gpuE5ELNS1_3repE0EEES8_NS1_28merge_sort_block_sort_configILj256ELj4ELNS0_20block_sort_algorithmE0EEENS0_14default_configENS1_37merge_sort_block_sort_config_selectorIhlEENS1_38merge_sort_block_merge_config_selectorIhlEEEEvv
	.p2align	8
	.type	_ZN7rocprim17ROCPRIM_400000_NS6detail44device_merge_sort_compile_time_verifier_archINS1_11comp_targetILNS1_3genE10ELNS1_11target_archE1201ELNS1_3gpuE5ELNS1_3repE0EEES8_NS1_28merge_sort_block_sort_configILj256ELj4ELNS0_20block_sort_algorithmE0EEENS0_14default_configENS1_37merge_sort_block_sort_config_selectorIhlEENS1_38merge_sort_block_merge_config_selectorIhlEEEEvv,@function
_ZN7rocprim17ROCPRIM_400000_NS6detail44device_merge_sort_compile_time_verifier_archINS1_11comp_targetILNS1_3genE10ELNS1_11target_archE1201ELNS1_3gpuE5ELNS1_3repE0EEES8_NS1_28merge_sort_block_sort_configILj256ELj4ELNS0_20block_sort_algorithmE0EEENS0_14default_configENS1_37merge_sort_block_sort_config_selectorIhlEENS1_38merge_sort_block_merge_config_selectorIhlEEEEvv: ; @_ZN7rocprim17ROCPRIM_400000_NS6detail44device_merge_sort_compile_time_verifier_archINS1_11comp_targetILNS1_3genE10ELNS1_11target_archE1201ELNS1_3gpuE5ELNS1_3repE0EEES8_NS1_28merge_sort_block_sort_configILj256ELj4ELNS0_20block_sort_algorithmE0EEENS0_14default_configENS1_37merge_sort_block_sort_config_selectorIhlEENS1_38merge_sort_block_merge_config_selectorIhlEEEEvv
; %bb.0:
	s_endpgm
	.section	.rodata,"a",@progbits
	.p2align	6, 0x0
	.amdhsa_kernel _ZN7rocprim17ROCPRIM_400000_NS6detail44device_merge_sort_compile_time_verifier_archINS1_11comp_targetILNS1_3genE10ELNS1_11target_archE1201ELNS1_3gpuE5ELNS1_3repE0EEES8_NS1_28merge_sort_block_sort_configILj256ELj4ELNS0_20block_sort_algorithmE0EEENS0_14default_configENS1_37merge_sort_block_sort_config_selectorIhlEENS1_38merge_sort_block_merge_config_selectorIhlEEEEvv
		.amdhsa_group_segment_fixed_size 0
		.amdhsa_private_segment_fixed_size 0
		.amdhsa_kernarg_size 0
		.amdhsa_user_sgpr_count 4
		.amdhsa_user_sgpr_private_segment_buffer 1
		.amdhsa_user_sgpr_dispatch_ptr 0
		.amdhsa_user_sgpr_queue_ptr 0
		.amdhsa_user_sgpr_kernarg_segment_ptr 0
		.amdhsa_user_sgpr_dispatch_id 0
		.amdhsa_user_sgpr_flat_scratch_init 0
		.amdhsa_user_sgpr_private_segment_size 0
		.amdhsa_uses_dynamic_stack 0
		.amdhsa_system_sgpr_private_segment_wavefront_offset 0
		.amdhsa_system_sgpr_workgroup_id_x 1
		.amdhsa_system_sgpr_workgroup_id_y 0
		.amdhsa_system_sgpr_workgroup_id_z 0
		.amdhsa_system_sgpr_workgroup_info 0
		.amdhsa_system_vgpr_workitem_id 0
		.amdhsa_next_free_vgpr 1
		.amdhsa_next_free_sgpr 0
		.amdhsa_reserve_vcc 0
		.amdhsa_reserve_flat_scratch 0
		.amdhsa_float_round_mode_32 0
		.amdhsa_float_round_mode_16_64 0
		.amdhsa_float_denorm_mode_32 3
		.amdhsa_float_denorm_mode_16_64 3
		.amdhsa_dx10_clamp 1
		.amdhsa_ieee_mode 1
		.amdhsa_fp16_overflow 0
		.amdhsa_exception_fp_ieee_invalid_op 0
		.amdhsa_exception_fp_denorm_src 0
		.amdhsa_exception_fp_ieee_div_zero 0
		.amdhsa_exception_fp_ieee_overflow 0
		.amdhsa_exception_fp_ieee_underflow 0
		.amdhsa_exception_fp_ieee_inexact 0
		.amdhsa_exception_int_div_zero 0
	.end_amdhsa_kernel
	.section	.text._ZN7rocprim17ROCPRIM_400000_NS6detail44device_merge_sort_compile_time_verifier_archINS1_11comp_targetILNS1_3genE10ELNS1_11target_archE1201ELNS1_3gpuE5ELNS1_3repE0EEES8_NS1_28merge_sort_block_sort_configILj256ELj4ELNS0_20block_sort_algorithmE0EEENS0_14default_configENS1_37merge_sort_block_sort_config_selectorIhlEENS1_38merge_sort_block_merge_config_selectorIhlEEEEvv,"axG",@progbits,_ZN7rocprim17ROCPRIM_400000_NS6detail44device_merge_sort_compile_time_verifier_archINS1_11comp_targetILNS1_3genE10ELNS1_11target_archE1201ELNS1_3gpuE5ELNS1_3repE0EEES8_NS1_28merge_sort_block_sort_configILj256ELj4ELNS0_20block_sort_algorithmE0EEENS0_14default_configENS1_37merge_sort_block_sort_config_selectorIhlEENS1_38merge_sort_block_merge_config_selectorIhlEEEEvv,comdat
.Lfunc_end120:
	.size	_ZN7rocprim17ROCPRIM_400000_NS6detail44device_merge_sort_compile_time_verifier_archINS1_11comp_targetILNS1_3genE10ELNS1_11target_archE1201ELNS1_3gpuE5ELNS1_3repE0EEES8_NS1_28merge_sort_block_sort_configILj256ELj4ELNS0_20block_sort_algorithmE0EEENS0_14default_configENS1_37merge_sort_block_sort_config_selectorIhlEENS1_38merge_sort_block_merge_config_selectorIhlEEEEvv, .Lfunc_end120-_ZN7rocprim17ROCPRIM_400000_NS6detail44device_merge_sort_compile_time_verifier_archINS1_11comp_targetILNS1_3genE10ELNS1_11target_archE1201ELNS1_3gpuE5ELNS1_3repE0EEES8_NS1_28merge_sort_block_sort_configILj256ELj4ELNS0_20block_sort_algorithmE0EEENS0_14default_configENS1_37merge_sort_block_sort_config_selectorIhlEENS1_38merge_sort_block_merge_config_selectorIhlEEEEvv
                                        ; -- End function
	.set _ZN7rocprim17ROCPRIM_400000_NS6detail44device_merge_sort_compile_time_verifier_archINS1_11comp_targetILNS1_3genE10ELNS1_11target_archE1201ELNS1_3gpuE5ELNS1_3repE0EEES8_NS1_28merge_sort_block_sort_configILj256ELj4ELNS0_20block_sort_algorithmE0EEENS0_14default_configENS1_37merge_sort_block_sort_config_selectorIhlEENS1_38merge_sort_block_merge_config_selectorIhlEEEEvv.num_vgpr, 0
	.set _ZN7rocprim17ROCPRIM_400000_NS6detail44device_merge_sort_compile_time_verifier_archINS1_11comp_targetILNS1_3genE10ELNS1_11target_archE1201ELNS1_3gpuE5ELNS1_3repE0EEES8_NS1_28merge_sort_block_sort_configILj256ELj4ELNS0_20block_sort_algorithmE0EEENS0_14default_configENS1_37merge_sort_block_sort_config_selectorIhlEENS1_38merge_sort_block_merge_config_selectorIhlEEEEvv.num_agpr, 0
	.set _ZN7rocprim17ROCPRIM_400000_NS6detail44device_merge_sort_compile_time_verifier_archINS1_11comp_targetILNS1_3genE10ELNS1_11target_archE1201ELNS1_3gpuE5ELNS1_3repE0EEES8_NS1_28merge_sort_block_sort_configILj256ELj4ELNS0_20block_sort_algorithmE0EEENS0_14default_configENS1_37merge_sort_block_sort_config_selectorIhlEENS1_38merge_sort_block_merge_config_selectorIhlEEEEvv.numbered_sgpr, 0
	.set _ZN7rocprim17ROCPRIM_400000_NS6detail44device_merge_sort_compile_time_verifier_archINS1_11comp_targetILNS1_3genE10ELNS1_11target_archE1201ELNS1_3gpuE5ELNS1_3repE0EEES8_NS1_28merge_sort_block_sort_configILj256ELj4ELNS0_20block_sort_algorithmE0EEENS0_14default_configENS1_37merge_sort_block_sort_config_selectorIhlEENS1_38merge_sort_block_merge_config_selectorIhlEEEEvv.num_named_barrier, 0
	.set _ZN7rocprim17ROCPRIM_400000_NS6detail44device_merge_sort_compile_time_verifier_archINS1_11comp_targetILNS1_3genE10ELNS1_11target_archE1201ELNS1_3gpuE5ELNS1_3repE0EEES8_NS1_28merge_sort_block_sort_configILj256ELj4ELNS0_20block_sort_algorithmE0EEENS0_14default_configENS1_37merge_sort_block_sort_config_selectorIhlEENS1_38merge_sort_block_merge_config_selectorIhlEEEEvv.private_seg_size, 0
	.set _ZN7rocprim17ROCPRIM_400000_NS6detail44device_merge_sort_compile_time_verifier_archINS1_11comp_targetILNS1_3genE10ELNS1_11target_archE1201ELNS1_3gpuE5ELNS1_3repE0EEES8_NS1_28merge_sort_block_sort_configILj256ELj4ELNS0_20block_sort_algorithmE0EEENS0_14default_configENS1_37merge_sort_block_sort_config_selectorIhlEENS1_38merge_sort_block_merge_config_selectorIhlEEEEvv.uses_vcc, 0
	.set _ZN7rocprim17ROCPRIM_400000_NS6detail44device_merge_sort_compile_time_verifier_archINS1_11comp_targetILNS1_3genE10ELNS1_11target_archE1201ELNS1_3gpuE5ELNS1_3repE0EEES8_NS1_28merge_sort_block_sort_configILj256ELj4ELNS0_20block_sort_algorithmE0EEENS0_14default_configENS1_37merge_sort_block_sort_config_selectorIhlEENS1_38merge_sort_block_merge_config_selectorIhlEEEEvv.uses_flat_scratch, 0
	.set _ZN7rocprim17ROCPRIM_400000_NS6detail44device_merge_sort_compile_time_verifier_archINS1_11comp_targetILNS1_3genE10ELNS1_11target_archE1201ELNS1_3gpuE5ELNS1_3repE0EEES8_NS1_28merge_sort_block_sort_configILj256ELj4ELNS0_20block_sort_algorithmE0EEENS0_14default_configENS1_37merge_sort_block_sort_config_selectorIhlEENS1_38merge_sort_block_merge_config_selectorIhlEEEEvv.has_dyn_sized_stack, 0
	.set _ZN7rocprim17ROCPRIM_400000_NS6detail44device_merge_sort_compile_time_verifier_archINS1_11comp_targetILNS1_3genE10ELNS1_11target_archE1201ELNS1_3gpuE5ELNS1_3repE0EEES8_NS1_28merge_sort_block_sort_configILj256ELj4ELNS0_20block_sort_algorithmE0EEENS0_14default_configENS1_37merge_sort_block_sort_config_selectorIhlEENS1_38merge_sort_block_merge_config_selectorIhlEEEEvv.has_recursion, 0
	.set _ZN7rocprim17ROCPRIM_400000_NS6detail44device_merge_sort_compile_time_verifier_archINS1_11comp_targetILNS1_3genE10ELNS1_11target_archE1201ELNS1_3gpuE5ELNS1_3repE0EEES8_NS1_28merge_sort_block_sort_configILj256ELj4ELNS0_20block_sort_algorithmE0EEENS0_14default_configENS1_37merge_sort_block_sort_config_selectorIhlEENS1_38merge_sort_block_merge_config_selectorIhlEEEEvv.has_indirect_call, 0
	.section	.AMDGPU.csdata,"",@progbits
; Kernel info:
; codeLenInByte = 4
; TotalNumSgprs: 4
; NumVgprs: 0
; ScratchSize: 0
; MemoryBound: 0
; FloatMode: 240
; IeeeMode: 1
; LDSByteSize: 0 bytes/workgroup (compile time only)
; SGPRBlocks: 0
; VGPRBlocks: 0
; NumSGPRsForWavesPerEU: 4
; NumVGPRsForWavesPerEU: 1
; Occupancy: 10
; WaveLimiterHint : 0
; COMPUTE_PGM_RSRC2:SCRATCH_EN: 0
; COMPUTE_PGM_RSRC2:USER_SGPR: 4
; COMPUTE_PGM_RSRC2:TRAP_HANDLER: 0
; COMPUTE_PGM_RSRC2:TGID_X_EN: 1
; COMPUTE_PGM_RSRC2:TGID_Y_EN: 0
; COMPUTE_PGM_RSRC2:TGID_Z_EN: 0
; COMPUTE_PGM_RSRC2:TIDIG_COMP_CNT: 0
	.section	.text._ZN7rocprim17ROCPRIM_400000_NS6detail44device_merge_sort_compile_time_verifier_archINS1_11comp_targetILNS1_3genE10ELNS1_11target_archE1200ELNS1_3gpuE4ELNS1_3repE0EEENS3_ILS4_10ELS5_1201ELS6_5ELS7_0EEENS1_28merge_sort_block_sort_configILj256ELj4ELNS0_20block_sort_algorithmE0EEENS0_14default_configENS1_37merge_sort_block_sort_config_selectorIhlEENS1_38merge_sort_block_merge_config_selectorIhlEEEEvv,"axG",@progbits,_ZN7rocprim17ROCPRIM_400000_NS6detail44device_merge_sort_compile_time_verifier_archINS1_11comp_targetILNS1_3genE10ELNS1_11target_archE1200ELNS1_3gpuE4ELNS1_3repE0EEENS3_ILS4_10ELS5_1201ELS6_5ELS7_0EEENS1_28merge_sort_block_sort_configILj256ELj4ELNS0_20block_sort_algorithmE0EEENS0_14default_configENS1_37merge_sort_block_sort_config_selectorIhlEENS1_38merge_sort_block_merge_config_selectorIhlEEEEvv,comdat
	.protected	_ZN7rocprim17ROCPRIM_400000_NS6detail44device_merge_sort_compile_time_verifier_archINS1_11comp_targetILNS1_3genE10ELNS1_11target_archE1200ELNS1_3gpuE4ELNS1_3repE0EEENS3_ILS4_10ELS5_1201ELS6_5ELS7_0EEENS1_28merge_sort_block_sort_configILj256ELj4ELNS0_20block_sort_algorithmE0EEENS0_14default_configENS1_37merge_sort_block_sort_config_selectorIhlEENS1_38merge_sort_block_merge_config_selectorIhlEEEEvv ; -- Begin function _ZN7rocprim17ROCPRIM_400000_NS6detail44device_merge_sort_compile_time_verifier_archINS1_11comp_targetILNS1_3genE10ELNS1_11target_archE1200ELNS1_3gpuE4ELNS1_3repE0EEENS3_ILS4_10ELS5_1201ELS6_5ELS7_0EEENS1_28merge_sort_block_sort_configILj256ELj4ELNS0_20block_sort_algorithmE0EEENS0_14default_configENS1_37merge_sort_block_sort_config_selectorIhlEENS1_38merge_sort_block_merge_config_selectorIhlEEEEvv
	.globl	_ZN7rocprim17ROCPRIM_400000_NS6detail44device_merge_sort_compile_time_verifier_archINS1_11comp_targetILNS1_3genE10ELNS1_11target_archE1200ELNS1_3gpuE4ELNS1_3repE0EEENS3_ILS4_10ELS5_1201ELS6_5ELS7_0EEENS1_28merge_sort_block_sort_configILj256ELj4ELNS0_20block_sort_algorithmE0EEENS0_14default_configENS1_37merge_sort_block_sort_config_selectorIhlEENS1_38merge_sort_block_merge_config_selectorIhlEEEEvv
	.p2align	8
	.type	_ZN7rocprim17ROCPRIM_400000_NS6detail44device_merge_sort_compile_time_verifier_archINS1_11comp_targetILNS1_3genE10ELNS1_11target_archE1200ELNS1_3gpuE4ELNS1_3repE0EEENS3_ILS4_10ELS5_1201ELS6_5ELS7_0EEENS1_28merge_sort_block_sort_configILj256ELj4ELNS0_20block_sort_algorithmE0EEENS0_14default_configENS1_37merge_sort_block_sort_config_selectorIhlEENS1_38merge_sort_block_merge_config_selectorIhlEEEEvv,@function
_ZN7rocprim17ROCPRIM_400000_NS6detail44device_merge_sort_compile_time_verifier_archINS1_11comp_targetILNS1_3genE10ELNS1_11target_archE1200ELNS1_3gpuE4ELNS1_3repE0EEENS3_ILS4_10ELS5_1201ELS6_5ELS7_0EEENS1_28merge_sort_block_sort_configILj256ELj4ELNS0_20block_sort_algorithmE0EEENS0_14default_configENS1_37merge_sort_block_sort_config_selectorIhlEENS1_38merge_sort_block_merge_config_selectorIhlEEEEvv: ; @_ZN7rocprim17ROCPRIM_400000_NS6detail44device_merge_sort_compile_time_verifier_archINS1_11comp_targetILNS1_3genE10ELNS1_11target_archE1200ELNS1_3gpuE4ELNS1_3repE0EEENS3_ILS4_10ELS5_1201ELS6_5ELS7_0EEENS1_28merge_sort_block_sort_configILj256ELj4ELNS0_20block_sort_algorithmE0EEENS0_14default_configENS1_37merge_sort_block_sort_config_selectorIhlEENS1_38merge_sort_block_merge_config_selectorIhlEEEEvv
; %bb.0:
	s_endpgm
	.section	.rodata,"a",@progbits
	.p2align	6, 0x0
	.amdhsa_kernel _ZN7rocprim17ROCPRIM_400000_NS6detail44device_merge_sort_compile_time_verifier_archINS1_11comp_targetILNS1_3genE10ELNS1_11target_archE1200ELNS1_3gpuE4ELNS1_3repE0EEENS3_ILS4_10ELS5_1201ELS6_5ELS7_0EEENS1_28merge_sort_block_sort_configILj256ELj4ELNS0_20block_sort_algorithmE0EEENS0_14default_configENS1_37merge_sort_block_sort_config_selectorIhlEENS1_38merge_sort_block_merge_config_selectorIhlEEEEvv
		.amdhsa_group_segment_fixed_size 0
		.amdhsa_private_segment_fixed_size 0
		.amdhsa_kernarg_size 0
		.amdhsa_user_sgpr_count 4
		.amdhsa_user_sgpr_private_segment_buffer 1
		.amdhsa_user_sgpr_dispatch_ptr 0
		.amdhsa_user_sgpr_queue_ptr 0
		.amdhsa_user_sgpr_kernarg_segment_ptr 0
		.amdhsa_user_sgpr_dispatch_id 0
		.amdhsa_user_sgpr_flat_scratch_init 0
		.amdhsa_user_sgpr_private_segment_size 0
		.amdhsa_uses_dynamic_stack 0
		.amdhsa_system_sgpr_private_segment_wavefront_offset 0
		.amdhsa_system_sgpr_workgroup_id_x 1
		.amdhsa_system_sgpr_workgroup_id_y 0
		.amdhsa_system_sgpr_workgroup_id_z 0
		.amdhsa_system_sgpr_workgroup_info 0
		.amdhsa_system_vgpr_workitem_id 0
		.amdhsa_next_free_vgpr 1
		.amdhsa_next_free_sgpr 0
		.amdhsa_reserve_vcc 0
		.amdhsa_reserve_flat_scratch 0
		.amdhsa_float_round_mode_32 0
		.amdhsa_float_round_mode_16_64 0
		.amdhsa_float_denorm_mode_32 3
		.amdhsa_float_denorm_mode_16_64 3
		.amdhsa_dx10_clamp 1
		.amdhsa_ieee_mode 1
		.amdhsa_fp16_overflow 0
		.amdhsa_exception_fp_ieee_invalid_op 0
		.amdhsa_exception_fp_denorm_src 0
		.amdhsa_exception_fp_ieee_div_zero 0
		.amdhsa_exception_fp_ieee_overflow 0
		.amdhsa_exception_fp_ieee_underflow 0
		.amdhsa_exception_fp_ieee_inexact 0
		.amdhsa_exception_int_div_zero 0
	.end_amdhsa_kernel
	.section	.text._ZN7rocprim17ROCPRIM_400000_NS6detail44device_merge_sort_compile_time_verifier_archINS1_11comp_targetILNS1_3genE10ELNS1_11target_archE1200ELNS1_3gpuE4ELNS1_3repE0EEENS3_ILS4_10ELS5_1201ELS6_5ELS7_0EEENS1_28merge_sort_block_sort_configILj256ELj4ELNS0_20block_sort_algorithmE0EEENS0_14default_configENS1_37merge_sort_block_sort_config_selectorIhlEENS1_38merge_sort_block_merge_config_selectorIhlEEEEvv,"axG",@progbits,_ZN7rocprim17ROCPRIM_400000_NS6detail44device_merge_sort_compile_time_verifier_archINS1_11comp_targetILNS1_3genE10ELNS1_11target_archE1200ELNS1_3gpuE4ELNS1_3repE0EEENS3_ILS4_10ELS5_1201ELS6_5ELS7_0EEENS1_28merge_sort_block_sort_configILj256ELj4ELNS0_20block_sort_algorithmE0EEENS0_14default_configENS1_37merge_sort_block_sort_config_selectorIhlEENS1_38merge_sort_block_merge_config_selectorIhlEEEEvv,comdat
.Lfunc_end121:
	.size	_ZN7rocprim17ROCPRIM_400000_NS6detail44device_merge_sort_compile_time_verifier_archINS1_11comp_targetILNS1_3genE10ELNS1_11target_archE1200ELNS1_3gpuE4ELNS1_3repE0EEENS3_ILS4_10ELS5_1201ELS6_5ELS7_0EEENS1_28merge_sort_block_sort_configILj256ELj4ELNS0_20block_sort_algorithmE0EEENS0_14default_configENS1_37merge_sort_block_sort_config_selectorIhlEENS1_38merge_sort_block_merge_config_selectorIhlEEEEvv, .Lfunc_end121-_ZN7rocprim17ROCPRIM_400000_NS6detail44device_merge_sort_compile_time_verifier_archINS1_11comp_targetILNS1_3genE10ELNS1_11target_archE1200ELNS1_3gpuE4ELNS1_3repE0EEENS3_ILS4_10ELS5_1201ELS6_5ELS7_0EEENS1_28merge_sort_block_sort_configILj256ELj4ELNS0_20block_sort_algorithmE0EEENS0_14default_configENS1_37merge_sort_block_sort_config_selectorIhlEENS1_38merge_sort_block_merge_config_selectorIhlEEEEvv
                                        ; -- End function
	.set _ZN7rocprim17ROCPRIM_400000_NS6detail44device_merge_sort_compile_time_verifier_archINS1_11comp_targetILNS1_3genE10ELNS1_11target_archE1200ELNS1_3gpuE4ELNS1_3repE0EEENS3_ILS4_10ELS5_1201ELS6_5ELS7_0EEENS1_28merge_sort_block_sort_configILj256ELj4ELNS0_20block_sort_algorithmE0EEENS0_14default_configENS1_37merge_sort_block_sort_config_selectorIhlEENS1_38merge_sort_block_merge_config_selectorIhlEEEEvv.num_vgpr, 0
	.set _ZN7rocprim17ROCPRIM_400000_NS6detail44device_merge_sort_compile_time_verifier_archINS1_11comp_targetILNS1_3genE10ELNS1_11target_archE1200ELNS1_3gpuE4ELNS1_3repE0EEENS3_ILS4_10ELS5_1201ELS6_5ELS7_0EEENS1_28merge_sort_block_sort_configILj256ELj4ELNS0_20block_sort_algorithmE0EEENS0_14default_configENS1_37merge_sort_block_sort_config_selectorIhlEENS1_38merge_sort_block_merge_config_selectorIhlEEEEvv.num_agpr, 0
	.set _ZN7rocprim17ROCPRIM_400000_NS6detail44device_merge_sort_compile_time_verifier_archINS1_11comp_targetILNS1_3genE10ELNS1_11target_archE1200ELNS1_3gpuE4ELNS1_3repE0EEENS3_ILS4_10ELS5_1201ELS6_5ELS7_0EEENS1_28merge_sort_block_sort_configILj256ELj4ELNS0_20block_sort_algorithmE0EEENS0_14default_configENS1_37merge_sort_block_sort_config_selectorIhlEENS1_38merge_sort_block_merge_config_selectorIhlEEEEvv.numbered_sgpr, 0
	.set _ZN7rocprim17ROCPRIM_400000_NS6detail44device_merge_sort_compile_time_verifier_archINS1_11comp_targetILNS1_3genE10ELNS1_11target_archE1200ELNS1_3gpuE4ELNS1_3repE0EEENS3_ILS4_10ELS5_1201ELS6_5ELS7_0EEENS1_28merge_sort_block_sort_configILj256ELj4ELNS0_20block_sort_algorithmE0EEENS0_14default_configENS1_37merge_sort_block_sort_config_selectorIhlEENS1_38merge_sort_block_merge_config_selectorIhlEEEEvv.num_named_barrier, 0
	.set _ZN7rocprim17ROCPRIM_400000_NS6detail44device_merge_sort_compile_time_verifier_archINS1_11comp_targetILNS1_3genE10ELNS1_11target_archE1200ELNS1_3gpuE4ELNS1_3repE0EEENS3_ILS4_10ELS5_1201ELS6_5ELS7_0EEENS1_28merge_sort_block_sort_configILj256ELj4ELNS0_20block_sort_algorithmE0EEENS0_14default_configENS1_37merge_sort_block_sort_config_selectorIhlEENS1_38merge_sort_block_merge_config_selectorIhlEEEEvv.private_seg_size, 0
	.set _ZN7rocprim17ROCPRIM_400000_NS6detail44device_merge_sort_compile_time_verifier_archINS1_11comp_targetILNS1_3genE10ELNS1_11target_archE1200ELNS1_3gpuE4ELNS1_3repE0EEENS3_ILS4_10ELS5_1201ELS6_5ELS7_0EEENS1_28merge_sort_block_sort_configILj256ELj4ELNS0_20block_sort_algorithmE0EEENS0_14default_configENS1_37merge_sort_block_sort_config_selectorIhlEENS1_38merge_sort_block_merge_config_selectorIhlEEEEvv.uses_vcc, 0
	.set _ZN7rocprim17ROCPRIM_400000_NS6detail44device_merge_sort_compile_time_verifier_archINS1_11comp_targetILNS1_3genE10ELNS1_11target_archE1200ELNS1_3gpuE4ELNS1_3repE0EEENS3_ILS4_10ELS5_1201ELS6_5ELS7_0EEENS1_28merge_sort_block_sort_configILj256ELj4ELNS0_20block_sort_algorithmE0EEENS0_14default_configENS1_37merge_sort_block_sort_config_selectorIhlEENS1_38merge_sort_block_merge_config_selectorIhlEEEEvv.uses_flat_scratch, 0
	.set _ZN7rocprim17ROCPRIM_400000_NS6detail44device_merge_sort_compile_time_verifier_archINS1_11comp_targetILNS1_3genE10ELNS1_11target_archE1200ELNS1_3gpuE4ELNS1_3repE0EEENS3_ILS4_10ELS5_1201ELS6_5ELS7_0EEENS1_28merge_sort_block_sort_configILj256ELj4ELNS0_20block_sort_algorithmE0EEENS0_14default_configENS1_37merge_sort_block_sort_config_selectorIhlEENS1_38merge_sort_block_merge_config_selectorIhlEEEEvv.has_dyn_sized_stack, 0
	.set _ZN7rocprim17ROCPRIM_400000_NS6detail44device_merge_sort_compile_time_verifier_archINS1_11comp_targetILNS1_3genE10ELNS1_11target_archE1200ELNS1_3gpuE4ELNS1_3repE0EEENS3_ILS4_10ELS5_1201ELS6_5ELS7_0EEENS1_28merge_sort_block_sort_configILj256ELj4ELNS0_20block_sort_algorithmE0EEENS0_14default_configENS1_37merge_sort_block_sort_config_selectorIhlEENS1_38merge_sort_block_merge_config_selectorIhlEEEEvv.has_recursion, 0
	.set _ZN7rocprim17ROCPRIM_400000_NS6detail44device_merge_sort_compile_time_verifier_archINS1_11comp_targetILNS1_3genE10ELNS1_11target_archE1200ELNS1_3gpuE4ELNS1_3repE0EEENS3_ILS4_10ELS5_1201ELS6_5ELS7_0EEENS1_28merge_sort_block_sort_configILj256ELj4ELNS0_20block_sort_algorithmE0EEENS0_14default_configENS1_37merge_sort_block_sort_config_selectorIhlEENS1_38merge_sort_block_merge_config_selectorIhlEEEEvv.has_indirect_call, 0
	.section	.AMDGPU.csdata,"",@progbits
; Kernel info:
; codeLenInByte = 4
; TotalNumSgprs: 4
; NumVgprs: 0
; ScratchSize: 0
; MemoryBound: 0
; FloatMode: 240
; IeeeMode: 1
; LDSByteSize: 0 bytes/workgroup (compile time only)
; SGPRBlocks: 0
; VGPRBlocks: 0
; NumSGPRsForWavesPerEU: 4
; NumVGPRsForWavesPerEU: 1
; Occupancy: 10
; WaveLimiterHint : 0
; COMPUTE_PGM_RSRC2:SCRATCH_EN: 0
; COMPUTE_PGM_RSRC2:USER_SGPR: 4
; COMPUTE_PGM_RSRC2:TRAP_HANDLER: 0
; COMPUTE_PGM_RSRC2:TGID_X_EN: 1
; COMPUTE_PGM_RSRC2:TGID_Y_EN: 0
; COMPUTE_PGM_RSRC2:TGID_Z_EN: 0
; COMPUTE_PGM_RSRC2:TIDIG_COMP_CNT: 0
	.section	.text._ZN7rocprim17ROCPRIM_400000_NS6detail44device_merge_sort_compile_time_verifier_archINS1_11comp_targetILNS1_3genE9ELNS1_11target_archE1100ELNS1_3gpuE3ELNS1_3repE0EEES8_NS1_28merge_sort_block_sort_configILj256ELj4ELNS0_20block_sort_algorithmE0EEENS0_14default_configENS1_37merge_sort_block_sort_config_selectorIhlEENS1_38merge_sort_block_merge_config_selectorIhlEEEEvv,"axG",@progbits,_ZN7rocprim17ROCPRIM_400000_NS6detail44device_merge_sort_compile_time_verifier_archINS1_11comp_targetILNS1_3genE9ELNS1_11target_archE1100ELNS1_3gpuE3ELNS1_3repE0EEES8_NS1_28merge_sort_block_sort_configILj256ELj4ELNS0_20block_sort_algorithmE0EEENS0_14default_configENS1_37merge_sort_block_sort_config_selectorIhlEENS1_38merge_sort_block_merge_config_selectorIhlEEEEvv,comdat
	.protected	_ZN7rocprim17ROCPRIM_400000_NS6detail44device_merge_sort_compile_time_verifier_archINS1_11comp_targetILNS1_3genE9ELNS1_11target_archE1100ELNS1_3gpuE3ELNS1_3repE0EEES8_NS1_28merge_sort_block_sort_configILj256ELj4ELNS0_20block_sort_algorithmE0EEENS0_14default_configENS1_37merge_sort_block_sort_config_selectorIhlEENS1_38merge_sort_block_merge_config_selectorIhlEEEEvv ; -- Begin function _ZN7rocprim17ROCPRIM_400000_NS6detail44device_merge_sort_compile_time_verifier_archINS1_11comp_targetILNS1_3genE9ELNS1_11target_archE1100ELNS1_3gpuE3ELNS1_3repE0EEES8_NS1_28merge_sort_block_sort_configILj256ELj4ELNS0_20block_sort_algorithmE0EEENS0_14default_configENS1_37merge_sort_block_sort_config_selectorIhlEENS1_38merge_sort_block_merge_config_selectorIhlEEEEvv
	.globl	_ZN7rocprim17ROCPRIM_400000_NS6detail44device_merge_sort_compile_time_verifier_archINS1_11comp_targetILNS1_3genE9ELNS1_11target_archE1100ELNS1_3gpuE3ELNS1_3repE0EEES8_NS1_28merge_sort_block_sort_configILj256ELj4ELNS0_20block_sort_algorithmE0EEENS0_14default_configENS1_37merge_sort_block_sort_config_selectorIhlEENS1_38merge_sort_block_merge_config_selectorIhlEEEEvv
	.p2align	8
	.type	_ZN7rocprim17ROCPRIM_400000_NS6detail44device_merge_sort_compile_time_verifier_archINS1_11comp_targetILNS1_3genE9ELNS1_11target_archE1100ELNS1_3gpuE3ELNS1_3repE0EEES8_NS1_28merge_sort_block_sort_configILj256ELj4ELNS0_20block_sort_algorithmE0EEENS0_14default_configENS1_37merge_sort_block_sort_config_selectorIhlEENS1_38merge_sort_block_merge_config_selectorIhlEEEEvv,@function
_ZN7rocprim17ROCPRIM_400000_NS6detail44device_merge_sort_compile_time_verifier_archINS1_11comp_targetILNS1_3genE9ELNS1_11target_archE1100ELNS1_3gpuE3ELNS1_3repE0EEES8_NS1_28merge_sort_block_sort_configILj256ELj4ELNS0_20block_sort_algorithmE0EEENS0_14default_configENS1_37merge_sort_block_sort_config_selectorIhlEENS1_38merge_sort_block_merge_config_selectorIhlEEEEvv: ; @_ZN7rocprim17ROCPRIM_400000_NS6detail44device_merge_sort_compile_time_verifier_archINS1_11comp_targetILNS1_3genE9ELNS1_11target_archE1100ELNS1_3gpuE3ELNS1_3repE0EEES8_NS1_28merge_sort_block_sort_configILj256ELj4ELNS0_20block_sort_algorithmE0EEENS0_14default_configENS1_37merge_sort_block_sort_config_selectorIhlEENS1_38merge_sort_block_merge_config_selectorIhlEEEEvv
; %bb.0:
	s_endpgm
	.section	.rodata,"a",@progbits
	.p2align	6, 0x0
	.amdhsa_kernel _ZN7rocprim17ROCPRIM_400000_NS6detail44device_merge_sort_compile_time_verifier_archINS1_11comp_targetILNS1_3genE9ELNS1_11target_archE1100ELNS1_3gpuE3ELNS1_3repE0EEES8_NS1_28merge_sort_block_sort_configILj256ELj4ELNS0_20block_sort_algorithmE0EEENS0_14default_configENS1_37merge_sort_block_sort_config_selectorIhlEENS1_38merge_sort_block_merge_config_selectorIhlEEEEvv
		.amdhsa_group_segment_fixed_size 0
		.amdhsa_private_segment_fixed_size 0
		.amdhsa_kernarg_size 0
		.amdhsa_user_sgpr_count 4
		.amdhsa_user_sgpr_private_segment_buffer 1
		.amdhsa_user_sgpr_dispatch_ptr 0
		.amdhsa_user_sgpr_queue_ptr 0
		.amdhsa_user_sgpr_kernarg_segment_ptr 0
		.amdhsa_user_sgpr_dispatch_id 0
		.amdhsa_user_sgpr_flat_scratch_init 0
		.amdhsa_user_sgpr_private_segment_size 0
		.amdhsa_uses_dynamic_stack 0
		.amdhsa_system_sgpr_private_segment_wavefront_offset 0
		.amdhsa_system_sgpr_workgroup_id_x 1
		.amdhsa_system_sgpr_workgroup_id_y 0
		.amdhsa_system_sgpr_workgroup_id_z 0
		.amdhsa_system_sgpr_workgroup_info 0
		.amdhsa_system_vgpr_workitem_id 0
		.amdhsa_next_free_vgpr 1
		.amdhsa_next_free_sgpr 0
		.amdhsa_reserve_vcc 0
		.amdhsa_reserve_flat_scratch 0
		.amdhsa_float_round_mode_32 0
		.amdhsa_float_round_mode_16_64 0
		.amdhsa_float_denorm_mode_32 3
		.amdhsa_float_denorm_mode_16_64 3
		.amdhsa_dx10_clamp 1
		.amdhsa_ieee_mode 1
		.amdhsa_fp16_overflow 0
		.amdhsa_exception_fp_ieee_invalid_op 0
		.amdhsa_exception_fp_denorm_src 0
		.amdhsa_exception_fp_ieee_div_zero 0
		.amdhsa_exception_fp_ieee_overflow 0
		.amdhsa_exception_fp_ieee_underflow 0
		.amdhsa_exception_fp_ieee_inexact 0
		.amdhsa_exception_int_div_zero 0
	.end_amdhsa_kernel
	.section	.text._ZN7rocprim17ROCPRIM_400000_NS6detail44device_merge_sort_compile_time_verifier_archINS1_11comp_targetILNS1_3genE9ELNS1_11target_archE1100ELNS1_3gpuE3ELNS1_3repE0EEES8_NS1_28merge_sort_block_sort_configILj256ELj4ELNS0_20block_sort_algorithmE0EEENS0_14default_configENS1_37merge_sort_block_sort_config_selectorIhlEENS1_38merge_sort_block_merge_config_selectorIhlEEEEvv,"axG",@progbits,_ZN7rocprim17ROCPRIM_400000_NS6detail44device_merge_sort_compile_time_verifier_archINS1_11comp_targetILNS1_3genE9ELNS1_11target_archE1100ELNS1_3gpuE3ELNS1_3repE0EEES8_NS1_28merge_sort_block_sort_configILj256ELj4ELNS0_20block_sort_algorithmE0EEENS0_14default_configENS1_37merge_sort_block_sort_config_selectorIhlEENS1_38merge_sort_block_merge_config_selectorIhlEEEEvv,comdat
.Lfunc_end122:
	.size	_ZN7rocprim17ROCPRIM_400000_NS6detail44device_merge_sort_compile_time_verifier_archINS1_11comp_targetILNS1_3genE9ELNS1_11target_archE1100ELNS1_3gpuE3ELNS1_3repE0EEES8_NS1_28merge_sort_block_sort_configILj256ELj4ELNS0_20block_sort_algorithmE0EEENS0_14default_configENS1_37merge_sort_block_sort_config_selectorIhlEENS1_38merge_sort_block_merge_config_selectorIhlEEEEvv, .Lfunc_end122-_ZN7rocprim17ROCPRIM_400000_NS6detail44device_merge_sort_compile_time_verifier_archINS1_11comp_targetILNS1_3genE9ELNS1_11target_archE1100ELNS1_3gpuE3ELNS1_3repE0EEES8_NS1_28merge_sort_block_sort_configILj256ELj4ELNS0_20block_sort_algorithmE0EEENS0_14default_configENS1_37merge_sort_block_sort_config_selectorIhlEENS1_38merge_sort_block_merge_config_selectorIhlEEEEvv
                                        ; -- End function
	.set _ZN7rocprim17ROCPRIM_400000_NS6detail44device_merge_sort_compile_time_verifier_archINS1_11comp_targetILNS1_3genE9ELNS1_11target_archE1100ELNS1_3gpuE3ELNS1_3repE0EEES8_NS1_28merge_sort_block_sort_configILj256ELj4ELNS0_20block_sort_algorithmE0EEENS0_14default_configENS1_37merge_sort_block_sort_config_selectorIhlEENS1_38merge_sort_block_merge_config_selectorIhlEEEEvv.num_vgpr, 0
	.set _ZN7rocprim17ROCPRIM_400000_NS6detail44device_merge_sort_compile_time_verifier_archINS1_11comp_targetILNS1_3genE9ELNS1_11target_archE1100ELNS1_3gpuE3ELNS1_3repE0EEES8_NS1_28merge_sort_block_sort_configILj256ELj4ELNS0_20block_sort_algorithmE0EEENS0_14default_configENS1_37merge_sort_block_sort_config_selectorIhlEENS1_38merge_sort_block_merge_config_selectorIhlEEEEvv.num_agpr, 0
	.set _ZN7rocprim17ROCPRIM_400000_NS6detail44device_merge_sort_compile_time_verifier_archINS1_11comp_targetILNS1_3genE9ELNS1_11target_archE1100ELNS1_3gpuE3ELNS1_3repE0EEES8_NS1_28merge_sort_block_sort_configILj256ELj4ELNS0_20block_sort_algorithmE0EEENS0_14default_configENS1_37merge_sort_block_sort_config_selectorIhlEENS1_38merge_sort_block_merge_config_selectorIhlEEEEvv.numbered_sgpr, 0
	.set _ZN7rocprim17ROCPRIM_400000_NS6detail44device_merge_sort_compile_time_verifier_archINS1_11comp_targetILNS1_3genE9ELNS1_11target_archE1100ELNS1_3gpuE3ELNS1_3repE0EEES8_NS1_28merge_sort_block_sort_configILj256ELj4ELNS0_20block_sort_algorithmE0EEENS0_14default_configENS1_37merge_sort_block_sort_config_selectorIhlEENS1_38merge_sort_block_merge_config_selectorIhlEEEEvv.num_named_barrier, 0
	.set _ZN7rocprim17ROCPRIM_400000_NS6detail44device_merge_sort_compile_time_verifier_archINS1_11comp_targetILNS1_3genE9ELNS1_11target_archE1100ELNS1_3gpuE3ELNS1_3repE0EEES8_NS1_28merge_sort_block_sort_configILj256ELj4ELNS0_20block_sort_algorithmE0EEENS0_14default_configENS1_37merge_sort_block_sort_config_selectorIhlEENS1_38merge_sort_block_merge_config_selectorIhlEEEEvv.private_seg_size, 0
	.set _ZN7rocprim17ROCPRIM_400000_NS6detail44device_merge_sort_compile_time_verifier_archINS1_11comp_targetILNS1_3genE9ELNS1_11target_archE1100ELNS1_3gpuE3ELNS1_3repE0EEES8_NS1_28merge_sort_block_sort_configILj256ELj4ELNS0_20block_sort_algorithmE0EEENS0_14default_configENS1_37merge_sort_block_sort_config_selectorIhlEENS1_38merge_sort_block_merge_config_selectorIhlEEEEvv.uses_vcc, 0
	.set _ZN7rocprim17ROCPRIM_400000_NS6detail44device_merge_sort_compile_time_verifier_archINS1_11comp_targetILNS1_3genE9ELNS1_11target_archE1100ELNS1_3gpuE3ELNS1_3repE0EEES8_NS1_28merge_sort_block_sort_configILj256ELj4ELNS0_20block_sort_algorithmE0EEENS0_14default_configENS1_37merge_sort_block_sort_config_selectorIhlEENS1_38merge_sort_block_merge_config_selectorIhlEEEEvv.uses_flat_scratch, 0
	.set _ZN7rocprim17ROCPRIM_400000_NS6detail44device_merge_sort_compile_time_verifier_archINS1_11comp_targetILNS1_3genE9ELNS1_11target_archE1100ELNS1_3gpuE3ELNS1_3repE0EEES8_NS1_28merge_sort_block_sort_configILj256ELj4ELNS0_20block_sort_algorithmE0EEENS0_14default_configENS1_37merge_sort_block_sort_config_selectorIhlEENS1_38merge_sort_block_merge_config_selectorIhlEEEEvv.has_dyn_sized_stack, 0
	.set _ZN7rocprim17ROCPRIM_400000_NS6detail44device_merge_sort_compile_time_verifier_archINS1_11comp_targetILNS1_3genE9ELNS1_11target_archE1100ELNS1_3gpuE3ELNS1_3repE0EEES8_NS1_28merge_sort_block_sort_configILj256ELj4ELNS0_20block_sort_algorithmE0EEENS0_14default_configENS1_37merge_sort_block_sort_config_selectorIhlEENS1_38merge_sort_block_merge_config_selectorIhlEEEEvv.has_recursion, 0
	.set _ZN7rocprim17ROCPRIM_400000_NS6detail44device_merge_sort_compile_time_verifier_archINS1_11comp_targetILNS1_3genE9ELNS1_11target_archE1100ELNS1_3gpuE3ELNS1_3repE0EEES8_NS1_28merge_sort_block_sort_configILj256ELj4ELNS0_20block_sort_algorithmE0EEENS0_14default_configENS1_37merge_sort_block_sort_config_selectorIhlEENS1_38merge_sort_block_merge_config_selectorIhlEEEEvv.has_indirect_call, 0
	.section	.AMDGPU.csdata,"",@progbits
; Kernel info:
; codeLenInByte = 4
; TotalNumSgprs: 4
; NumVgprs: 0
; ScratchSize: 0
; MemoryBound: 0
; FloatMode: 240
; IeeeMode: 1
; LDSByteSize: 0 bytes/workgroup (compile time only)
; SGPRBlocks: 0
; VGPRBlocks: 0
; NumSGPRsForWavesPerEU: 4
; NumVGPRsForWavesPerEU: 1
; Occupancy: 10
; WaveLimiterHint : 0
; COMPUTE_PGM_RSRC2:SCRATCH_EN: 0
; COMPUTE_PGM_RSRC2:USER_SGPR: 4
; COMPUTE_PGM_RSRC2:TRAP_HANDLER: 0
; COMPUTE_PGM_RSRC2:TGID_X_EN: 1
; COMPUTE_PGM_RSRC2:TGID_Y_EN: 0
; COMPUTE_PGM_RSRC2:TGID_Z_EN: 0
; COMPUTE_PGM_RSRC2:TIDIG_COMP_CNT: 0
	.section	.text._ZN7rocprim17ROCPRIM_400000_NS6detail44device_merge_sort_compile_time_verifier_archINS1_11comp_targetILNS1_3genE8ELNS1_11target_archE1030ELNS1_3gpuE2ELNS1_3repE0EEES8_NS1_28merge_sort_block_sort_configILj256ELj4ELNS0_20block_sort_algorithmE0EEENS0_14default_configENS1_37merge_sort_block_sort_config_selectorIhlEENS1_38merge_sort_block_merge_config_selectorIhlEEEEvv,"axG",@progbits,_ZN7rocprim17ROCPRIM_400000_NS6detail44device_merge_sort_compile_time_verifier_archINS1_11comp_targetILNS1_3genE8ELNS1_11target_archE1030ELNS1_3gpuE2ELNS1_3repE0EEES8_NS1_28merge_sort_block_sort_configILj256ELj4ELNS0_20block_sort_algorithmE0EEENS0_14default_configENS1_37merge_sort_block_sort_config_selectorIhlEENS1_38merge_sort_block_merge_config_selectorIhlEEEEvv,comdat
	.protected	_ZN7rocprim17ROCPRIM_400000_NS6detail44device_merge_sort_compile_time_verifier_archINS1_11comp_targetILNS1_3genE8ELNS1_11target_archE1030ELNS1_3gpuE2ELNS1_3repE0EEES8_NS1_28merge_sort_block_sort_configILj256ELj4ELNS0_20block_sort_algorithmE0EEENS0_14default_configENS1_37merge_sort_block_sort_config_selectorIhlEENS1_38merge_sort_block_merge_config_selectorIhlEEEEvv ; -- Begin function _ZN7rocprim17ROCPRIM_400000_NS6detail44device_merge_sort_compile_time_verifier_archINS1_11comp_targetILNS1_3genE8ELNS1_11target_archE1030ELNS1_3gpuE2ELNS1_3repE0EEES8_NS1_28merge_sort_block_sort_configILj256ELj4ELNS0_20block_sort_algorithmE0EEENS0_14default_configENS1_37merge_sort_block_sort_config_selectorIhlEENS1_38merge_sort_block_merge_config_selectorIhlEEEEvv
	.globl	_ZN7rocprim17ROCPRIM_400000_NS6detail44device_merge_sort_compile_time_verifier_archINS1_11comp_targetILNS1_3genE8ELNS1_11target_archE1030ELNS1_3gpuE2ELNS1_3repE0EEES8_NS1_28merge_sort_block_sort_configILj256ELj4ELNS0_20block_sort_algorithmE0EEENS0_14default_configENS1_37merge_sort_block_sort_config_selectorIhlEENS1_38merge_sort_block_merge_config_selectorIhlEEEEvv
	.p2align	8
	.type	_ZN7rocprim17ROCPRIM_400000_NS6detail44device_merge_sort_compile_time_verifier_archINS1_11comp_targetILNS1_3genE8ELNS1_11target_archE1030ELNS1_3gpuE2ELNS1_3repE0EEES8_NS1_28merge_sort_block_sort_configILj256ELj4ELNS0_20block_sort_algorithmE0EEENS0_14default_configENS1_37merge_sort_block_sort_config_selectorIhlEENS1_38merge_sort_block_merge_config_selectorIhlEEEEvv,@function
_ZN7rocprim17ROCPRIM_400000_NS6detail44device_merge_sort_compile_time_verifier_archINS1_11comp_targetILNS1_3genE8ELNS1_11target_archE1030ELNS1_3gpuE2ELNS1_3repE0EEES8_NS1_28merge_sort_block_sort_configILj256ELj4ELNS0_20block_sort_algorithmE0EEENS0_14default_configENS1_37merge_sort_block_sort_config_selectorIhlEENS1_38merge_sort_block_merge_config_selectorIhlEEEEvv: ; @_ZN7rocprim17ROCPRIM_400000_NS6detail44device_merge_sort_compile_time_verifier_archINS1_11comp_targetILNS1_3genE8ELNS1_11target_archE1030ELNS1_3gpuE2ELNS1_3repE0EEES8_NS1_28merge_sort_block_sort_configILj256ELj4ELNS0_20block_sort_algorithmE0EEENS0_14default_configENS1_37merge_sort_block_sort_config_selectorIhlEENS1_38merge_sort_block_merge_config_selectorIhlEEEEvv
; %bb.0:
	s_endpgm
	.section	.rodata,"a",@progbits
	.p2align	6, 0x0
	.amdhsa_kernel _ZN7rocprim17ROCPRIM_400000_NS6detail44device_merge_sort_compile_time_verifier_archINS1_11comp_targetILNS1_3genE8ELNS1_11target_archE1030ELNS1_3gpuE2ELNS1_3repE0EEES8_NS1_28merge_sort_block_sort_configILj256ELj4ELNS0_20block_sort_algorithmE0EEENS0_14default_configENS1_37merge_sort_block_sort_config_selectorIhlEENS1_38merge_sort_block_merge_config_selectorIhlEEEEvv
		.amdhsa_group_segment_fixed_size 0
		.amdhsa_private_segment_fixed_size 0
		.amdhsa_kernarg_size 0
		.amdhsa_user_sgpr_count 4
		.amdhsa_user_sgpr_private_segment_buffer 1
		.amdhsa_user_sgpr_dispatch_ptr 0
		.amdhsa_user_sgpr_queue_ptr 0
		.amdhsa_user_sgpr_kernarg_segment_ptr 0
		.amdhsa_user_sgpr_dispatch_id 0
		.amdhsa_user_sgpr_flat_scratch_init 0
		.amdhsa_user_sgpr_private_segment_size 0
		.amdhsa_uses_dynamic_stack 0
		.amdhsa_system_sgpr_private_segment_wavefront_offset 0
		.amdhsa_system_sgpr_workgroup_id_x 1
		.amdhsa_system_sgpr_workgroup_id_y 0
		.amdhsa_system_sgpr_workgroup_id_z 0
		.amdhsa_system_sgpr_workgroup_info 0
		.amdhsa_system_vgpr_workitem_id 0
		.amdhsa_next_free_vgpr 1
		.amdhsa_next_free_sgpr 0
		.amdhsa_reserve_vcc 0
		.amdhsa_reserve_flat_scratch 0
		.amdhsa_float_round_mode_32 0
		.amdhsa_float_round_mode_16_64 0
		.amdhsa_float_denorm_mode_32 3
		.amdhsa_float_denorm_mode_16_64 3
		.amdhsa_dx10_clamp 1
		.amdhsa_ieee_mode 1
		.amdhsa_fp16_overflow 0
		.amdhsa_exception_fp_ieee_invalid_op 0
		.amdhsa_exception_fp_denorm_src 0
		.amdhsa_exception_fp_ieee_div_zero 0
		.amdhsa_exception_fp_ieee_overflow 0
		.amdhsa_exception_fp_ieee_underflow 0
		.amdhsa_exception_fp_ieee_inexact 0
		.amdhsa_exception_int_div_zero 0
	.end_amdhsa_kernel
	.section	.text._ZN7rocprim17ROCPRIM_400000_NS6detail44device_merge_sort_compile_time_verifier_archINS1_11comp_targetILNS1_3genE8ELNS1_11target_archE1030ELNS1_3gpuE2ELNS1_3repE0EEES8_NS1_28merge_sort_block_sort_configILj256ELj4ELNS0_20block_sort_algorithmE0EEENS0_14default_configENS1_37merge_sort_block_sort_config_selectorIhlEENS1_38merge_sort_block_merge_config_selectorIhlEEEEvv,"axG",@progbits,_ZN7rocprim17ROCPRIM_400000_NS6detail44device_merge_sort_compile_time_verifier_archINS1_11comp_targetILNS1_3genE8ELNS1_11target_archE1030ELNS1_3gpuE2ELNS1_3repE0EEES8_NS1_28merge_sort_block_sort_configILj256ELj4ELNS0_20block_sort_algorithmE0EEENS0_14default_configENS1_37merge_sort_block_sort_config_selectorIhlEENS1_38merge_sort_block_merge_config_selectorIhlEEEEvv,comdat
.Lfunc_end123:
	.size	_ZN7rocprim17ROCPRIM_400000_NS6detail44device_merge_sort_compile_time_verifier_archINS1_11comp_targetILNS1_3genE8ELNS1_11target_archE1030ELNS1_3gpuE2ELNS1_3repE0EEES8_NS1_28merge_sort_block_sort_configILj256ELj4ELNS0_20block_sort_algorithmE0EEENS0_14default_configENS1_37merge_sort_block_sort_config_selectorIhlEENS1_38merge_sort_block_merge_config_selectorIhlEEEEvv, .Lfunc_end123-_ZN7rocprim17ROCPRIM_400000_NS6detail44device_merge_sort_compile_time_verifier_archINS1_11comp_targetILNS1_3genE8ELNS1_11target_archE1030ELNS1_3gpuE2ELNS1_3repE0EEES8_NS1_28merge_sort_block_sort_configILj256ELj4ELNS0_20block_sort_algorithmE0EEENS0_14default_configENS1_37merge_sort_block_sort_config_selectorIhlEENS1_38merge_sort_block_merge_config_selectorIhlEEEEvv
                                        ; -- End function
	.set _ZN7rocprim17ROCPRIM_400000_NS6detail44device_merge_sort_compile_time_verifier_archINS1_11comp_targetILNS1_3genE8ELNS1_11target_archE1030ELNS1_3gpuE2ELNS1_3repE0EEES8_NS1_28merge_sort_block_sort_configILj256ELj4ELNS0_20block_sort_algorithmE0EEENS0_14default_configENS1_37merge_sort_block_sort_config_selectorIhlEENS1_38merge_sort_block_merge_config_selectorIhlEEEEvv.num_vgpr, 0
	.set _ZN7rocprim17ROCPRIM_400000_NS6detail44device_merge_sort_compile_time_verifier_archINS1_11comp_targetILNS1_3genE8ELNS1_11target_archE1030ELNS1_3gpuE2ELNS1_3repE0EEES8_NS1_28merge_sort_block_sort_configILj256ELj4ELNS0_20block_sort_algorithmE0EEENS0_14default_configENS1_37merge_sort_block_sort_config_selectorIhlEENS1_38merge_sort_block_merge_config_selectorIhlEEEEvv.num_agpr, 0
	.set _ZN7rocprim17ROCPRIM_400000_NS6detail44device_merge_sort_compile_time_verifier_archINS1_11comp_targetILNS1_3genE8ELNS1_11target_archE1030ELNS1_3gpuE2ELNS1_3repE0EEES8_NS1_28merge_sort_block_sort_configILj256ELj4ELNS0_20block_sort_algorithmE0EEENS0_14default_configENS1_37merge_sort_block_sort_config_selectorIhlEENS1_38merge_sort_block_merge_config_selectorIhlEEEEvv.numbered_sgpr, 0
	.set _ZN7rocprim17ROCPRIM_400000_NS6detail44device_merge_sort_compile_time_verifier_archINS1_11comp_targetILNS1_3genE8ELNS1_11target_archE1030ELNS1_3gpuE2ELNS1_3repE0EEES8_NS1_28merge_sort_block_sort_configILj256ELj4ELNS0_20block_sort_algorithmE0EEENS0_14default_configENS1_37merge_sort_block_sort_config_selectorIhlEENS1_38merge_sort_block_merge_config_selectorIhlEEEEvv.num_named_barrier, 0
	.set _ZN7rocprim17ROCPRIM_400000_NS6detail44device_merge_sort_compile_time_verifier_archINS1_11comp_targetILNS1_3genE8ELNS1_11target_archE1030ELNS1_3gpuE2ELNS1_3repE0EEES8_NS1_28merge_sort_block_sort_configILj256ELj4ELNS0_20block_sort_algorithmE0EEENS0_14default_configENS1_37merge_sort_block_sort_config_selectorIhlEENS1_38merge_sort_block_merge_config_selectorIhlEEEEvv.private_seg_size, 0
	.set _ZN7rocprim17ROCPRIM_400000_NS6detail44device_merge_sort_compile_time_verifier_archINS1_11comp_targetILNS1_3genE8ELNS1_11target_archE1030ELNS1_3gpuE2ELNS1_3repE0EEES8_NS1_28merge_sort_block_sort_configILj256ELj4ELNS0_20block_sort_algorithmE0EEENS0_14default_configENS1_37merge_sort_block_sort_config_selectorIhlEENS1_38merge_sort_block_merge_config_selectorIhlEEEEvv.uses_vcc, 0
	.set _ZN7rocprim17ROCPRIM_400000_NS6detail44device_merge_sort_compile_time_verifier_archINS1_11comp_targetILNS1_3genE8ELNS1_11target_archE1030ELNS1_3gpuE2ELNS1_3repE0EEES8_NS1_28merge_sort_block_sort_configILj256ELj4ELNS0_20block_sort_algorithmE0EEENS0_14default_configENS1_37merge_sort_block_sort_config_selectorIhlEENS1_38merge_sort_block_merge_config_selectorIhlEEEEvv.uses_flat_scratch, 0
	.set _ZN7rocprim17ROCPRIM_400000_NS6detail44device_merge_sort_compile_time_verifier_archINS1_11comp_targetILNS1_3genE8ELNS1_11target_archE1030ELNS1_3gpuE2ELNS1_3repE0EEES8_NS1_28merge_sort_block_sort_configILj256ELj4ELNS0_20block_sort_algorithmE0EEENS0_14default_configENS1_37merge_sort_block_sort_config_selectorIhlEENS1_38merge_sort_block_merge_config_selectorIhlEEEEvv.has_dyn_sized_stack, 0
	.set _ZN7rocprim17ROCPRIM_400000_NS6detail44device_merge_sort_compile_time_verifier_archINS1_11comp_targetILNS1_3genE8ELNS1_11target_archE1030ELNS1_3gpuE2ELNS1_3repE0EEES8_NS1_28merge_sort_block_sort_configILj256ELj4ELNS0_20block_sort_algorithmE0EEENS0_14default_configENS1_37merge_sort_block_sort_config_selectorIhlEENS1_38merge_sort_block_merge_config_selectorIhlEEEEvv.has_recursion, 0
	.set _ZN7rocprim17ROCPRIM_400000_NS6detail44device_merge_sort_compile_time_verifier_archINS1_11comp_targetILNS1_3genE8ELNS1_11target_archE1030ELNS1_3gpuE2ELNS1_3repE0EEES8_NS1_28merge_sort_block_sort_configILj256ELj4ELNS0_20block_sort_algorithmE0EEENS0_14default_configENS1_37merge_sort_block_sort_config_selectorIhlEENS1_38merge_sort_block_merge_config_selectorIhlEEEEvv.has_indirect_call, 0
	.section	.AMDGPU.csdata,"",@progbits
; Kernel info:
; codeLenInByte = 4
; TotalNumSgprs: 4
; NumVgprs: 0
; ScratchSize: 0
; MemoryBound: 0
; FloatMode: 240
; IeeeMode: 1
; LDSByteSize: 0 bytes/workgroup (compile time only)
; SGPRBlocks: 0
; VGPRBlocks: 0
; NumSGPRsForWavesPerEU: 4
; NumVGPRsForWavesPerEU: 1
; Occupancy: 10
; WaveLimiterHint : 0
; COMPUTE_PGM_RSRC2:SCRATCH_EN: 0
; COMPUTE_PGM_RSRC2:USER_SGPR: 4
; COMPUTE_PGM_RSRC2:TRAP_HANDLER: 0
; COMPUTE_PGM_RSRC2:TGID_X_EN: 1
; COMPUTE_PGM_RSRC2:TGID_Y_EN: 0
; COMPUTE_PGM_RSRC2:TGID_Z_EN: 0
; COMPUTE_PGM_RSRC2:TIDIG_COMP_CNT: 0
	.section	.text._ZN7rocprim17ROCPRIM_400000_NS6detail17trampoline_kernelINS0_14default_configENS1_38merge_sort_block_merge_config_selectorIhlEEZZNS1_27merge_sort_block_merge_implIS3_PhN6thrust23THRUST_200600_302600_NS10device_ptrIlEEjNS1_19radix_merge_compareILb0ELb0EhNS0_19identity_decomposerEEEEE10hipError_tT0_T1_T2_jT3_P12ihipStream_tbPNSt15iterator_traitsISG_E10value_typeEPNSM_ISH_E10value_typeEPSI_NS1_7vsmem_tEENKUlT_SG_SH_SI_E_clIS7_S7_PlSB_EESF_SV_SG_SH_SI_EUlSV_E_NS1_11comp_targetILNS1_3genE0ELNS1_11target_archE4294967295ELNS1_3gpuE0ELNS1_3repE0EEENS1_48merge_mergepath_partition_config_static_selectorELNS0_4arch9wavefront6targetE1EEEvSH_,"axG",@progbits,_ZN7rocprim17ROCPRIM_400000_NS6detail17trampoline_kernelINS0_14default_configENS1_38merge_sort_block_merge_config_selectorIhlEEZZNS1_27merge_sort_block_merge_implIS3_PhN6thrust23THRUST_200600_302600_NS10device_ptrIlEEjNS1_19radix_merge_compareILb0ELb0EhNS0_19identity_decomposerEEEEE10hipError_tT0_T1_T2_jT3_P12ihipStream_tbPNSt15iterator_traitsISG_E10value_typeEPNSM_ISH_E10value_typeEPSI_NS1_7vsmem_tEENKUlT_SG_SH_SI_E_clIS7_S7_PlSB_EESF_SV_SG_SH_SI_EUlSV_E_NS1_11comp_targetILNS1_3genE0ELNS1_11target_archE4294967295ELNS1_3gpuE0ELNS1_3repE0EEENS1_48merge_mergepath_partition_config_static_selectorELNS0_4arch9wavefront6targetE1EEEvSH_,comdat
	.protected	_ZN7rocprim17ROCPRIM_400000_NS6detail17trampoline_kernelINS0_14default_configENS1_38merge_sort_block_merge_config_selectorIhlEEZZNS1_27merge_sort_block_merge_implIS3_PhN6thrust23THRUST_200600_302600_NS10device_ptrIlEEjNS1_19radix_merge_compareILb0ELb0EhNS0_19identity_decomposerEEEEE10hipError_tT0_T1_T2_jT3_P12ihipStream_tbPNSt15iterator_traitsISG_E10value_typeEPNSM_ISH_E10value_typeEPSI_NS1_7vsmem_tEENKUlT_SG_SH_SI_E_clIS7_S7_PlSB_EESF_SV_SG_SH_SI_EUlSV_E_NS1_11comp_targetILNS1_3genE0ELNS1_11target_archE4294967295ELNS1_3gpuE0ELNS1_3repE0EEENS1_48merge_mergepath_partition_config_static_selectorELNS0_4arch9wavefront6targetE1EEEvSH_ ; -- Begin function _ZN7rocprim17ROCPRIM_400000_NS6detail17trampoline_kernelINS0_14default_configENS1_38merge_sort_block_merge_config_selectorIhlEEZZNS1_27merge_sort_block_merge_implIS3_PhN6thrust23THRUST_200600_302600_NS10device_ptrIlEEjNS1_19radix_merge_compareILb0ELb0EhNS0_19identity_decomposerEEEEE10hipError_tT0_T1_T2_jT3_P12ihipStream_tbPNSt15iterator_traitsISG_E10value_typeEPNSM_ISH_E10value_typeEPSI_NS1_7vsmem_tEENKUlT_SG_SH_SI_E_clIS7_S7_PlSB_EESF_SV_SG_SH_SI_EUlSV_E_NS1_11comp_targetILNS1_3genE0ELNS1_11target_archE4294967295ELNS1_3gpuE0ELNS1_3repE0EEENS1_48merge_mergepath_partition_config_static_selectorELNS0_4arch9wavefront6targetE1EEEvSH_
	.globl	_ZN7rocprim17ROCPRIM_400000_NS6detail17trampoline_kernelINS0_14default_configENS1_38merge_sort_block_merge_config_selectorIhlEEZZNS1_27merge_sort_block_merge_implIS3_PhN6thrust23THRUST_200600_302600_NS10device_ptrIlEEjNS1_19radix_merge_compareILb0ELb0EhNS0_19identity_decomposerEEEEE10hipError_tT0_T1_T2_jT3_P12ihipStream_tbPNSt15iterator_traitsISG_E10value_typeEPNSM_ISH_E10value_typeEPSI_NS1_7vsmem_tEENKUlT_SG_SH_SI_E_clIS7_S7_PlSB_EESF_SV_SG_SH_SI_EUlSV_E_NS1_11comp_targetILNS1_3genE0ELNS1_11target_archE4294967295ELNS1_3gpuE0ELNS1_3repE0EEENS1_48merge_mergepath_partition_config_static_selectorELNS0_4arch9wavefront6targetE1EEEvSH_
	.p2align	8
	.type	_ZN7rocprim17ROCPRIM_400000_NS6detail17trampoline_kernelINS0_14default_configENS1_38merge_sort_block_merge_config_selectorIhlEEZZNS1_27merge_sort_block_merge_implIS3_PhN6thrust23THRUST_200600_302600_NS10device_ptrIlEEjNS1_19radix_merge_compareILb0ELb0EhNS0_19identity_decomposerEEEEE10hipError_tT0_T1_T2_jT3_P12ihipStream_tbPNSt15iterator_traitsISG_E10value_typeEPNSM_ISH_E10value_typeEPSI_NS1_7vsmem_tEENKUlT_SG_SH_SI_E_clIS7_S7_PlSB_EESF_SV_SG_SH_SI_EUlSV_E_NS1_11comp_targetILNS1_3genE0ELNS1_11target_archE4294967295ELNS1_3gpuE0ELNS1_3repE0EEENS1_48merge_mergepath_partition_config_static_selectorELNS0_4arch9wavefront6targetE1EEEvSH_,@function
_ZN7rocprim17ROCPRIM_400000_NS6detail17trampoline_kernelINS0_14default_configENS1_38merge_sort_block_merge_config_selectorIhlEEZZNS1_27merge_sort_block_merge_implIS3_PhN6thrust23THRUST_200600_302600_NS10device_ptrIlEEjNS1_19radix_merge_compareILb0ELb0EhNS0_19identity_decomposerEEEEE10hipError_tT0_T1_T2_jT3_P12ihipStream_tbPNSt15iterator_traitsISG_E10value_typeEPNSM_ISH_E10value_typeEPSI_NS1_7vsmem_tEENKUlT_SG_SH_SI_E_clIS7_S7_PlSB_EESF_SV_SG_SH_SI_EUlSV_E_NS1_11comp_targetILNS1_3genE0ELNS1_11target_archE4294967295ELNS1_3gpuE0ELNS1_3repE0EEENS1_48merge_mergepath_partition_config_static_selectorELNS0_4arch9wavefront6targetE1EEEvSH_: ; @_ZN7rocprim17ROCPRIM_400000_NS6detail17trampoline_kernelINS0_14default_configENS1_38merge_sort_block_merge_config_selectorIhlEEZZNS1_27merge_sort_block_merge_implIS3_PhN6thrust23THRUST_200600_302600_NS10device_ptrIlEEjNS1_19radix_merge_compareILb0ELb0EhNS0_19identity_decomposerEEEEE10hipError_tT0_T1_T2_jT3_P12ihipStream_tbPNSt15iterator_traitsISG_E10value_typeEPNSM_ISH_E10value_typeEPSI_NS1_7vsmem_tEENKUlT_SG_SH_SI_E_clIS7_S7_PlSB_EESF_SV_SG_SH_SI_EUlSV_E_NS1_11comp_targetILNS1_3genE0ELNS1_11target_archE4294967295ELNS1_3gpuE0ELNS1_3repE0EEENS1_48merge_mergepath_partition_config_static_selectorELNS0_4arch9wavefront6targetE1EEEvSH_
; %bb.0:
	.section	.rodata,"a",@progbits
	.p2align	6, 0x0
	.amdhsa_kernel _ZN7rocprim17ROCPRIM_400000_NS6detail17trampoline_kernelINS0_14default_configENS1_38merge_sort_block_merge_config_selectorIhlEEZZNS1_27merge_sort_block_merge_implIS3_PhN6thrust23THRUST_200600_302600_NS10device_ptrIlEEjNS1_19radix_merge_compareILb0ELb0EhNS0_19identity_decomposerEEEEE10hipError_tT0_T1_T2_jT3_P12ihipStream_tbPNSt15iterator_traitsISG_E10value_typeEPNSM_ISH_E10value_typeEPSI_NS1_7vsmem_tEENKUlT_SG_SH_SI_E_clIS7_S7_PlSB_EESF_SV_SG_SH_SI_EUlSV_E_NS1_11comp_targetILNS1_3genE0ELNS1_11target_archE4294967295ELNS1_3gpuE0ELNS1_3repE0EEENS1_48merge_mergepath_partition_config_static_selectorELNS0_4arch9wavefront6targetE1EEEvSH_
		.amdhsa_group_segment_fixed_size 0
		.amdhsa_private_segment_fixed_size 0
		.amdhsa_kernarg_size 40
		.amdhsa_user_sgpr_count 6
		.amdhsa_user_sgpr_private_segment_buffer 1
		.amdhsa_user_sgpr_dispatch_ptr 0
		.amdhsa_user_sgpr_queue_ptr 0
		.amdhsa_user_sgpr_kernarg_segment_ptr 1
		.amdhsa_user_sgpr_dispatch_id 0
		.amdhsa_user_sgpr_flat_scratch_init 0
		.amdhsa_user_sgpr_private_segment_size 0
		.amdhsa_uses_dynamic_stack 0
		.amdhsa_system_sgpr_private_segment_wavefront_offset 0
		.amdhsa_system_sgpr_workgroup_id_x 1
		.amdhsa_system_sgpr_workgroup_id_y 0
		.amdhsa_system_sgpr_workgroup_id_z 0
		.amdhsa_system_sgpr_workgroup_info 0
		.amdhsa_system_vgpr_workitem_id 0
		.amdhsa_next_free_vgpr 1
		.amdhsa_next_free_sgpr 0
		.amdhsa_reserve_vcc 0
		.amdhsa_reserve_flat_scratch 0
		.amdhsa_float_round_mode_32 0
		.amdhsa_float_round_mode_16_64 0
		.amdhsa_float_denorm_mode_32 3
		.amdhsa_float_denorm_mode_16_64 3
		.amdhsa_dx10_clamp 1
		.amdhsa_ieee_mode 1
		.amdhsa_fp16_overflow 0
		.amdhsa_exception_fp_ieee_invalid_op 0
		.amdhsa_exception_fp_denorm_src 0
		.amdhsa_exception_fp_ieee_div_zero 0
		.amdhsa_exception_fp_ieee_overflow 0
		.amdhsa_exception_fp_ieee_underflow 0
		.amdhsa_exception_fp_ieee_inexact 0
		.amdhsa_exception_int_div_zero 0
	.end_amdhsa_kernel
	.section	.text._ZN7rocprim17ROCPRIM_400000_NS6detail17trampoline_kernelINS0_14default_configENS1_38merge_sort_block_merge_config_selectorIhlEEZZNS1_27merge_sort_block_merge_implIS3_PhN6thrust23THRUST_200600_302600_NS10device_ptrIlEEjNS1_19radix_merge_compareILb0ELb0EhNS0_19identity_decomposerEEEEE10hipError_tT0_T1_T2_jT3_P12ihipStream_tbPNSt15iterator_traitsISG_E10value_typeEPNSM_ISH_E10value_typeEPSI_NS1_7vsmem_tEENKUlT_SG_SH_SI_E_clIS7_S7_PlSB_EESF_SV_SG_SH_SI_EUlSV_E_NS1_11comp_targetILNS1_3genE0ELNS1_11target_archE4294967295ELNS1_3gpuE0ELNS1_3repE0EEENS1_48merge_mergepath_partition_config_static_selectorELNS0_4arch9wavefront6targetE1EEEvSH_,"axG",@progbits,_ZN7rocprim17ROCPRIM_400000_NS6detail17trampoline_kernelINS0_14default_configENS1_38merge_sort_block_merge_config_selectorIhlEEZZNS1_27merge_sort_block_merge_implIS3_PhN6thrust23THRUST_200600_302600_NS10device_ptrIlEEjNS1_19radix_merge_compareILb0ELb0EhNS0_19identity_decomposerEEEEE10hipError_tT0_T1_T2_jT3_P12ihipStream_tbPNSt15iterator_traitsISG_E10value_typeEPNSM_ISH_E10value_typeEPSI_NS1_7vsmem_tEENKUlT_SG_SH_SI_E_clIS7_S7_PlSB_EESF_SV_SG_SH_SI_EUlSV_E_NS1_11comp_targetILNS1_3genE0ELNS1_11target_archE4294967295ELNS1_3gpuE0ELNS1_3repE0EEENS1_48merge_mergepath_partition_config_static_selectorELNS0_4arch9wavefront6targetE1EEEvSH_,comdat
.Lfunc_end124:
	.size	_ZN7rocprim17ROCPRIM_400000_NS6detail17trampoline_kernelINS0_14default_configENS1_38merge_sort_block_merge_config_selectorIhlEEZZNS1_27merge_sort_block_merge_implIS3_PhN6thrust23THRUST_200600_302600_NS10device_ptrIlEEjNS1_19radix_merge_compareILb0ELb0EhNS0_19identity_decomposerEEEEE10hipError_tT0_T1_T2_jT3_P12ihipStream_tbPNSt15iterator_traitsISG_E10value_typeEPNSM_ISH_E10value_typeEPSI_NS1_7vsmem_tEENKUlT_SG_SH_SI_E_clIS7_S7_PlSB_EESF_SV_SG_SH_SI_EUlSV_E_NS1_11comp_targetILNS1_3genE0ELNS1_11target_archE4294967295ELNS1_3gpuE0ELNS1_3repE0EEENS1_48merge_mergepath_partition_config_static_selectorELNS0_4arch9wavefront6targetE1EEEvSH_, .Lfunc_end124-_ZN7rocprim17ROCPRIM_400000_NS6detail17trampoline_kernelINS0_14default_configENS1_38merge_sort_block_merge_config_selectorIhlEEZZNS1_27merge_sort_block_merge_implIS3_PhN6thrust23THRUST_200600_302600_NS10device_ptrIlEEjNS1_19radix_merge_compareILb0ELb0EhNS0_19identity_decomposerEEEEE10hipError_tT0_T1_T2_jT3_P12ihipStream_tbPNSt15iterator_traitsISG_E10value_typeEPNSM_ISH_E10value_typeEPSI_NS1_7vsmem_tEENKUlT_SG_SH_SI_E_clIS7_S7_PlSB_EESF_SV_SG_SH_SI_EUlSV_E_NS1_11comp_targetILNS1_3genE0ELNS1_11target_archE4294967295ELNS1_3gpuE0ELNS1_3repE0EEENS1_48merge_mergepath_partition_config_static_selectorELNS0_4arch9wavefront6targetE1EEEvSH_
                                        ; -- End function
	.set _ZN7rocprim17ROCPRIM_400000_NS6detail17trampoline_kernelINS0_14default_configENS1_38merge_sort_block_merge_config_selectorIhlEEZZNS1_27merge_sort_block_merge_implIS3_PhN6thrust23THRUST_200600_302600_NS10device_ptrIlEEjNS1_19radix_merge_compareILb0ELb0EhNS0_19identity_decomposerEEEEE10hipError_tT0_T1_T2_jT3_P12ihipStream_tbPNSt15iterator_traitsISG_E10value_typeEPNSM_ISH_E10value_typeEPSI_NS1_7vsmem_tEENKUlT_SG_SH_SI_E_clIS7_S7_PlSB_EESF_SV_SG_SH_SI_EUlSV_E_NS1_11comp_targetILNS1_3genE0ELNS1_11target_archE4294967295ELNS1_3gpuE0ELNS1_3repE0EEENS1_48merge_mergepath_partition_config_static_selectorELNS0_4arch9wavefront6targetE1EEEvSH_.num_vgpr, 0
	.set _ZN7rocprim17ROCPRIM_400000_NS6detail17trampoline_kernelINS0_14default_configENS1_38merge_sort_block_merge_config_selectorIhlEEZZNS1_27merge_sort_block_merge_implIS3_PhN6thrust23THRUST_200600_302600_NS10device_ptrIlEEjNS1_19radix_merge_compareILb0ELb0EhNS0_19identity_decomposerEEEEE10hipError_tT0_T1_T2_jT3_P12ihipStream_tbPNSt15iterator_traitsISG_E10value_typeEPNSM_ISH_E10value_typeEPSI_NS1_7vsmem_tEENKUlT_SG_SH_SI_E_clIS7_S7_PlSB_EESF_SV_SG_SH_SI_EUlSV_E_NS1_11comp_targetILNS1_3genE0ELNS1_11target_archE4294967295ELNS1_3gpuE0ELNS1_3repE0EEENS1_48merge_mergepath_partition_config_static_selectorELNS0_4arch9wavefront6targetE1EEEvSH_.num_agpr, 0
	.set _ZN7rocprim17ROCPRIM_400000_NS6detail17trampoline_kernelINS0_14default_configENS1_38merge_sort_block_merge_config_selectorIhlEEZZNS1_27merge_sort_block_merge_implIS3_PhN6thrust23THRUST_200600_302600_NS10device_ptrIlEEjNS1_19radix_merge_compareILb0ELb0EhNS0_19identity_decomposerEEEEE10hipError_tT0_T1_T2_jT3_P12ihipStream_tbPNSt15iterator_traitsISG_E10value_typeEPNSM_ISH_E10value_typeEPSI_NS1_7vsmem_tEENKUlT_SG_SH_SI_E_clIS7_S7_PlSB_EESF_SV_SG_SH_SI_EUlSV_E_NS1_11comp_targetILNS1_3genE0ELNS1_11target_archE4294967295ELNS1_3gpuE0ELNS1_3repE0EEENS1_48merge_mergepath_partition_config_static_selectorELNS0_4arch9wavefront6targetE1EEEvSH_.numbered_sgpr, 0
	.set _ZN7rocprim17ROCPRIM_400000_NS6detail17trampoline_kernelINS0_14default_configENS1_38merge_sort_block_merge_config_selectorIhlEEZZNS1_27merge_sort_block_merge_implIS3_PhN6thrust23THRUST_200600_302600_NS10device_ptrIlEEjNS1_19radix_merge_compareILb0ELb0EhNS0_19identity_decomposerEEEEE10hipError_tT0_T1_T2_jT3_P12ihipStream_tbPNSt15iterator_traitsISG_E10value_typeEPNSM_ISH_E10value_typeEPSI_NS1_7vsmem_tEENKUlT_SG_SH_SI_E_clIS7_S7_PlSB_EESF_SV_SG_SH_SI_EUlSV_E_NS1_11comp_targetILNS1_3genE0ELNS1_11target_archE4294967295ELNS1_3gpuE0ELNS1_3repE0EEENS1_48merge_mergepath_partition_config_static_selectorELNS0_4arch9wavefront6targetE1EEEvSH_.num_named_barrier, 0
	.set _ZN7rocprim17ROCPRIM_400000_NS6detail17trampoline_kernelINS0_14default_configENS1_38merge_sort_block_merge_config_selectorIhlEEZZNS1_27merge_sort_block_merge_implIS3_PhN6thrust23THRUST_200600_302600_NS10device_ptrIlEEjNS1_19radix_merge_compareILb0ELb0EhNS0_19identity_decomposerEEEEE10hipError_tT0_T1_T2_jT3_P12ihipStream_tbPNSt15iterator_traitsISG_E10value_typeEPNSM_ISH_E10value_typeEPSI_NS1_7vsmem_tEENKUlT_SG_SH_SI_E_clIS7_S7_PlSB_EESF_SV_SG_SH_SI_EUlSV_E_NS1_11comp_targetILNS1_3genE0ELNS1_11target_archE4294967295ELNS1_3gpuE0ELNS1_3repE0EEENS1_48merge_mergepath_partition_config_static_selectorELNS0_4arch9wavefront6targetE1EEEvSH_.private_seg_size, 0
	.set _ZN7rocprim17ROCPRIM_400000_NS6detail17trampoline_kernelINS0_14default_configENS1_38merge_sort_block_merge_config_selectorIhlEEZZNS1_27merge_sort_block_merge_implIS3_PhN6thrust23THRUST_200600_302600_NS10device_ptrIlEEjNS1_19radix_merge_compareILb0ELb0EhNS0_19identity_decomposerEEEEE10hipError_tT0_T1_T2_jT3_P12ihipStream_tbPNSt15iterator_traitsISG_E10value_typeEPNSM_ISH_E10value_typeEPSI_NS1_7vsmem_tEENKUlT_SG_SH_SI_E_clIS7_S7_PlSB_EESF_SV_SG_SH_SI_EUlSV_E_NS1_11comp_targetILNS1_3genE0ELNS1_11target_archE4294967295ELNS1_3gpuE0ELNS1_3repE0EEENS1_48merge_mergepath_partition_config_static_selectorELNS0_4arch9wavefront6targetE1EEEvSH_.uses_vcc, 0
	.set _ZN7rocprim17ROCPRIM_400000_NS6detail17trampoline_kernelINS0_14default_configENS1_38merge_sort_block_merge_config_selectorIhlEEZZNS1_27merge_sort_block_merge_implIS3_PhN6thrust23THRUST_200600_302600_NS10device_ptrIlEEjNS1_19radix_merge_compareILb0ELb0EhNS0_19identity_decomposerEEEEE10hipError_tT0_T1_T2_jT3_P12ihipStream_tbPNSt15iterator_traitsISG_E10value_typeEPNSM_ISH_E10value_typeEPSI_NS1_7vsmem_tEENKUlT_SG_SH_SI_E_clIS7_S7_PlSB_EESF_SV_SG_SH_SI_EUlSV_E_NS1_11comp_targetILNS1_3genE0ELNS1_11target_archE4294967295ELNS1_3gpuE0ELNS1_3repE0EEENS1_48merge_mergepath_partition_config_static_selectorELNS0_4arch9wavefront6targetE1EEEvSH_.uses_flat_scratch, 0
	.set _ZN7rocprim17ROCPRIM_400000_NS6detail17trampoline_kernelINS0_14default_configENS1_38merge_sort_block_merge_config_selectorIhlEEZZNS1_27merge_sort_block_merge_implIS3_PhN6thrust23THRUST_200600_302600_NS10device_ptrIlEEjNS1_19radix_merge_compareILb0ELb0EhNS0_19identity_decomposerEEEEE10hipError_tT0_T1_T2_jT3_P12ihipStream_tbPNSt15iterator_traitsISG_E10value_typeEPNSM_ISH_E10value_typeEPSI_NS1_7vsmem_tEENKUlT_SG_SH_SI_E_clIS7_S7_PlSB_EESF_SV_SG_SH_SI_EUlSV_E_NS1_11comp_targetILNS1_3genE0ELNS1_11target_archE4294967295ELNS1_3gpuE0ELNS1_3repE0EEENS1_48merge_mergepath_partition_config_static_selectorELNS0_4arch9wavefront6targetE1EEEvSH_.has_dyn_sized_stack, 0
	.set _ZN7rocprim17ROCPRIM_400000_NS6detail17trampoline_kernelINS0_14default_configENS1_38merge_sort_block_merge_config_selectorIhlEEZZNS1_27merge_sort_block_merge_implIS3_PhN6thrust23THRUST_200600_302600_NS10device_ptrIlEEjNS1_19radix_merge_compareILb0ELb0EhNS0_19identity_decomposerEEEEE10hipError_tT0_T1_T2_jT3_P12ihipStream_tbPNSt15iterator_traitsISG_E10value_typeEPNSM_ISH_E10value_typeEPSI_NS1_7vsmem_tEENKUlT_SG_SH_SI_E_clIS7_S7_PlSB_EESF_SV_SG_SH_SI_EUlSV_E_NS1_11comp_targetILNS1_3genE0ELNS1_11target_archE4294967295ELNS1_3gpuE0ELNS1_3repE0EEENS1_48merge_mergepath_partition_config_static_selectorELNS0_4arch9wavefront6targetE1EEEvSH_.has_recursion, 0
	.set _ZN7rocprim17ROCPRIM_400000_NS6detail17trampoline_kernelINS0_14default_configENS1_38merge_sort_block_merge_config_selectorIhlEEZZNS1_27merge_sort_block_merge_implIS3_PhN6thrust23THRUST_200600_302600_NS10device_ptrIlEEjNS1_19radix_merge_compareILb0ELb0EhNS0_19identity_decomposerEEEEE10hipError_tT0_T1_T2_jT3_P12ihipStream_tbPNSt15iterator_traitsISG_E10value_typeEPNSM_ISH_E10value_typeEPSI_NS1_7vsmem_tEENKUlT_SG_SH_SI_E_clIS7_S7_PlSB_EESF_SV_SG_SH_SI_EUlSV_E_NS1_11comp_targetILNS1_3genE0ELNS1_11target_archE4294967295ELNS1_3gpuE0ELNS1_3repE0EEENS1_48merge_mergepath_partition_config_static_selectorELNS0_4arch9wavefront6targetE1EEEvSH_.has_indirect_call, 0
	.section	.AMDGPU.csdata,"",@progbits
; Kernel info:
; codeLenInByte = 0
; TotalNumSgprs: 4
; NumVgprs: 0
; ScratchSize: 0
; MemoryBound: 0
; FloatMode: 240
; IeeeMode: 1
; LDSByteSize: 0 bytes/workgroup (compile time only)
; SGPRBlocks: 0
; VGPRBlocks: 0
; NumSGPRsForWavesPerEU: 4
; NumVGPRsForWavesPerEU: 1
; Occupancy: 10
; WaveLimiterHint : 0
; COMPUTE_PGM_RSRC2:SCRATCH_EN: 0
; COMPUTE_PGM_RSRC2:USER_SGPR: 6
; COMPUTE_PGM_RSRC2:TRAP_HANDLER: 0
; COMPUTE_PGM_RSRC2:TGID_X_EN: 1
; COMPUTE_PGM_RSRC2:TGID_Y_EN: 0
; COMPUTE_PGM_RSRC2:TGID_Z_EN: 0
; COMPUTE_PGM_RSRC2:TIDIG_COMP_CNT: 0
	.section	.text._ZN7rocprim17ROCPRIM_400000_NS6detail17trampoline_kernelINS0_14default_configENS1_38merge_sort_block_merge_config_selectorIhlEEZZNS1_27merge_sort_block_merge_implIS3_PhN6thrust23THRUST_200600_302600_NS10device_ptrIlEEjNS1_19radix_merge_compareILb0ELb0EhNS0_19identity_decomposerEEEEE10hipError_tT0_T1_T2_jT3_P12ihipStream_tbPNSt15iterator_traitsISG_E10value_typeEPNSM_ISH_E10value_typeEPSI_NS1_7vsmem_tEENKUlT_SG_SH_SI_E_clIS7_S7_PlSB_EESF_SV_SG_SH_SI_EUlSV_E_NS1_11comp_targetILNS1_3genE10ELNS1_11target_archE1201ELNS1_3gpuE5ELNS1_3repE0EEENS1_48merge_mergepath_partition_config_static_selectorELNS0_4arch9wavefront6targetE1EEEvSH_,"axG",@progbits,_ZN7rocprim17ROCPRIM_400000_NS6detail17trampoline_kernelINS0_14default_configENS1_38merge_sort_block_merge_config_selectorIhlEEZZNS1_27merge_sort_block_merge_implIS3_PhN6thrust23THRUST_200600_302600_NS10device_ptrIlEEjNS1_19radix_merge_compareILb0ELb0EhNS0_19identity_decomposerEEEEE10hipError_tT0_T1_T2_jT3_P12ihipStream_tbPNSt15iterator_traitsISG_E10value_typeEPNSM_ISH_E10value_typeEPSI_NS1_7vsmem_tEENKUlT_SG_SH_SI_E_clIS7_S7_PlSB_EESF_SV_SG_SH_SI_EUlSV_E_NS1_11comp_targetILNS1_3genE10ELNS1_11target_archE1201ELNS1_3gpuE5ELNS1_3repE0EEENS1_48merge_mergepath_partition_config_static_selectorELNS0_4arch9wavefront6targetE1EEEvSH_,comdat
	.protected	_ZN7rocprim17ROCPRIM_400000_NS6detail17trampoline_kernelINS0_14default_configENS1_38merge_sort_block_merge_config_selectorIhlEEZZNS1_27merge_sort_block_merge_implIS3_PhN6thrust23THRUST_200600_302600_NS10device_ptrIlEEjNS1_19radix_merge_compareILb0ELb0EhNS0_19identity_decomposerEEEEE10hipError_tT0_T1_T2_jT3_P12ihipStream_tbPNSt15iterator_traitsISG_E10value_typeEPNSM_ISH_E10value_typeEPSI_NS1_7vsmem_tEENKUlT_SG_SH_SI_E_clIS7_S7_PlSB_EESF_SV_SG_SH_SI_EUlSV_E_NS1_11comp_targetILNS1_3genE10ELNS1_11target_archE1201ELNS1_3gpuE5ELNS1_3repE0EEENS1_48merge_mergepath_partition_config_static_selectorELNS0_4arch9wavefront6targetE1EEEvSH_ ; -- Begin function _ZN7rocprim17ROCPRIM_400000_NS6detail17trampoline_kernelINS0_14default_configENS1_38merge_sort_block_merge_config_selectorIhlEEZZNS1_27merge_sort_block_merge_implIS3_PhN6thrust23THRUST_200600_302600_NS10device_ptrIlEEjNS1_19radix_merge_compareILb0ELb0EhNS0_19identity_decomposerEEEEE10hipError_tT0_T1_T2_jT3_P12ihipStream_tbPNSt15iterator_traitsISG_E10value_typeEPNSM_ISH_E10value_typeEPSI_NS1_7vsmem_tEENKUlT_SG_SH_SI_E_clIS7_S7_PlSB_EESF_SV_SG_SH_SI_EUlSV_E_NS1_11comp_targetILNS1_3genE10ELNS1_11target_archE1201ELNS1_3gpuE5ELNS1_3repE0EEENS1_48merge_mergepath_partition_config_static_selectorELNS0_4arch9wavefront6targetE1EEEvSH_
	.globl	_ZN7rocprim17ROCPRIM_400000_NS6detail17trampoline_kernelINS0_14default_configENS1_38merge_sort_block_merge_config_selectorIhlEEZZNS1_27merge_sort_block_merge_implIS3_PhN6thrust23THRUST_200600_302600_NS10device_ptrIlEEjNS1_19radix_merge_compareILb0ELb0EhNS0_19identity_decomposerEEEEE10hipError_tT0_T1_T2_jT3_P12ihipStream_tbPNSt15iterator_traitsISG_E10value_typeEPNSM_ISH_E10value_typeEPSI_NS1_7vsmem_tEENKUlT_SG_SH_SI_E_clIS7_S7_PlSB_EESF_SV_SG_SH_SI_EUlSV_E_NS1_11comp_targetILNS1_3genE10ELNS1_11target_archE1201ELNS1_3gpuE5ELNS1_3repE0EEENS1_48merge_mergepath_partition_config_static_selectorELNS0_4arch9wavefront6targetE1EEEvSH_
	.p2align	8
	.type	_ZN7rocprim17ROCPRIM_400000_NS6detail17trampoline_kernelINS0_14default_configENS1_38merge_sort_block_merge_config_selectorIhlEEZZNS1_27merge_sort_block_merge_implIS3_PhN6thrust23THRUST_200600_302600_NS10device_ptrIlEEjNS1_19radix_merge_compareILb0ELb0EhNS0_19identity_decomposerEEEEE10hipError_tT0_T1_T2_jT3_P12ihipStream_tbPNSt15iterator_traitsISG_E10value_typeEPNSM_ISH_E10value_typeEPSI_NS1_7vsmem_tEENKUlT_SG_SH_SI_E_clIS7_S7_PlSB_EESF_SV_SG_SH_SI_EUlSV_E_NS1_11comp_targetILNS1_3genE10ELNS1_11target_archE1201ELNS1_3gpuE5ELNS1_3repE0EEENS1_48merge_mergepath_partition_config_static_selectorELNS0_4arch9wavefront6targetE1EEEvSH_,@function
_ZN7rocprim17ROCPRIM_400000_NS6detail17trampoline_kernelINS0_14default_configENS1_38merge_sort_block_merge_config_selectorIhlEEZZNS1_27merge_sort_block_merge_implIS3_PhN6thrust23THRUST_200600_302600_NS10device_ptrIlEEjNS1_19radix_merge_compareILb0ELb0EhNS0_19identity_decomposerEEEEE10hipError_tT0_T1_T2_jT3_P12ihipStream_tbPNSt15iterator_traitsISG_E10value_typeEPNSM_ISH_E10value_typeEPSI_NS1_7vsmem_tEENKUlT_SG_SH_SI_E_clIS7_S7_PlSB_EESF_SV_SG_SH_SI_EUlSV_E_NS1_11comp_targetILNS1_3genE10ELNS1_11target_archE1201ELNS1_3gpuE5ELNS1_3repE0EEENS1_48merge_mergepath_partition_config_static_selectorELNS0_4arch9wavefront6targetE1EEEvSH_: ; @_ZN7rocprim17ROCPRIM_400000_NS6detail17trampoline_kernelINS0_14default_configENS1_38merge_sort_block_merge_config_selectorIhlEEZZNS1_27merge_sort_block_merge_implIS3_PhN6thrust23THRUST_200600_302600_NS10device_ptrIlEEjNS1_19radix_merge_compareILb0ELb0EhNS0_19identity_decomposerEEEEE10hipError_tT0_T1_T2_jT3_P12ihipStream_tbPNSt15iterator_traitsISG_E10value_typeEPNSM_ISH_E10value_typeEPSI_NS1_7vsmem_tEENKUlT_SG_SH_SI_E_clIS7_S7_PlSB_EESF_SV_SG_SH_SI_EUlSV_E_NS1_11comp_targetILNS1_3genE10ELNS1_11target_archE1201ELNS1_3gpuE5ELNS1_3repE0EEENS1_48merge_mergepath_partition_config_static_selectorELNS0_4arch9wavefront6targetE1EEEvSH_
; %bb.0:
	.section	.rodata,"a",@progbits
	.p2align	6, 0x0
	.amdhsa_kernel _ZN7rocprim17ROCPRIM_400000_NS6detail17trampoline_kernelINS0_14default_configENS1_38merge_sort_block_merge_config_selectorIhlEEZZNS1_27merge_sort_block_merge_implIS3_PhN6thrust23THRUST_200600_302600_NS10device_ptrIlEEjNS1_19radix_merge_compareILb0ELb0EhNS0_19identity_decomposerEEEEE10hipError_tT0_T1_T2_jT3_P12ihipStream_tbPNSt15iterator_traitsISG_E10value_typeEPNSM_ISH_E10value_typeEPSI_NS1_7vsmem_tEENKUlT_SG_SH_SI_E_clIS7_S7_PlSB_EESF_SV_SG_SH_SI_EUlSV_E_NS1_11comp_targetILNS1_3genE10ELNS1_11target_archE1201ELNS1_3gpuE5ELNS1_3repE0EEENS1_48merge_mergepath_partition_config_static_selectorELNS0_4arch9wavefront6targetE1EEEvSH_
		.amdhsa_group_segment_fixed_size 0
		.amdhsa_private_segment_fixed_size 0
		.amdhsa_kernarg_size 40
		.amdhsa_user_sgpr_count 6
		.amdhsa_user_sgpr_private_segment_buffer 1
		.amdhsa_user_sgpr_dispatch_ptr 0
		.amdhsa_user_sgpr_queue_ptr 0
		.amdhsa_user_sgpr_kernarg_segment_ptr 1
		.amdhsa_user_sgpr_dispatch_id 0
		.amdhsa_user_sgpr_flat_scratch_init 0
		.amdhsa_user_sgpr_private_segment_size 0
		.amdhsa_uses_dynamic_stack 0
		.amdhsa_system_sgpr_private_segment_wavefront_offset 0
		.amdhsa_system_sgpr_workgroup_id_x 1
		.amdhsa_system_sgpr_workgroup_id_y 0
		.amdhsa_system_sgpr_workgroup_id_z 0
		.amdhsa_system_sgpr_workgroup_info 0
		.amdhsa_system_vgpr_workitem_id 0
		.amdhsa_next_free_vgpr 1
		.amdhsa_next_free_sgpr 0
		.amdhsa_reserve_vcc 0
		.amdhsa_reserve_flat_scratch 0
		.amdhsa_float_round_mode_32 0
		.amdhsa_float_round_mode_16_64 0
		.amdhsa_float_denorm_mode_32 3
		.amdhsa_float_denorm_mode_16_64 3
		.amdhsa_dx10_clamp 1
		.amdhsa_ieee_mode 1
		.amdhsa_fp16_overflow 0
		.amdhsa_exception_fp_ieee_invalid_op 0
		.amdhsa_exception_fp_denorm_src 0
		.amdhsa_exception_fp_ieee_div_zero 0
		.amdhsa_exception_fp_ieee_overflow 0
		.amdhsa_exception_fp_ieee_underflow 0
		.amdhsa_exception_fp_ieee_inexact 0
		.amdhsa_exception_int_div_zero 0
	.end_amdhsa_kernel
	.section	.text._ZN7rocprim17ROCPRIM_400000_NS6detail17trampoline_kernelINS0_14default_configENS1_38merge_sort_block_merge_config_selectorIhlEEZZNS1_27merge_sort_block_merge_implIS3_PhN6thrust23THRUST_200600_302600_NS10device_ptrIlEEjNS1_19radix_merge_compareILb0ELb0EhNS0_19identity_decomposerEEEEE10hipError_tT0_T1_T2_jT3_P12ihipStream_tbPNSt15iterator_traitsISG_E10value_typeEPNSM_ISH_E10value_typeEPSI_NS1_7vsmem_tEENKUlT_SG_SH_SI_E_clIS7_S7_PlSB_EESF_SV_SG_SH_SI_EUlSV_E_NS1_11comp_targetILNS1_3genE10ELNS1_11target_archE1201ELNS1_3gpuE5ELNS1_3repE0EEENS1_48merge_mergepath_partition_config_static_selectorELNS0_4arch9wavefront6targetE1EEEvSH_,"axG",@progbits,_ZN7rocprim17ROCPRIM_400000_NS6detail17trampoline_kernelINS0_14default_configENS1_38merge_sort_block_merge_config_selectorIhlEEZZNS1_27merge_sort_block_merge_implIS3_PhN6thrust23THRUST_200600_302600_NS10device_ptrIlEEjNS1_19radix_merge_compareILb0ELb0EhNS0_19identity_decomposerEEEEE10hipError_tT0_T1_T2_jT3_P12ihipStream_tbPNSt15iterator_traitsISG_E10value_typeEPNSM_ISH_E10value_typeEPSI_NS1_7vsmem_tEENKUlT_SG_SH_SI_E_clIS7_S7_PlSB_EESF_SV_SG_SH_SI_EUlSV_E_NS1_11comp_targetILNS1_3genE10ELNS1_11target_archE1201ELNS1_3gpuE5ELNS1_3repE0EEENS1_48merge_mergepath_partition_config_static_selectorELNS0_4arch9wavefront6targetE1EEEvSH_,comdat
.Lfunc_end125:
	.size	_ZN7rocprim17ROCPRIM_400000_NS6detail17trampoline_kernelINS0_14default_configENS1_38merge_sort_block_merge_config_selectorIhlEEZZNS1_27merge_sort_block_merge_implIS3_PhN6thrust23THRUST_200600_302600_NS10device_ptrIlEEjNS1_19radix_merge_compareILb0ELb0EhNS0_19identity_decomposerEEEEE10hipError_tT0_T1_T2_jT3_P12ihipStream_tbPNSt15iterator_traitsISG_E10value_typeEPNSM_ISH_E10value_typeEPSI_NS1_7vsmem_tEENKUlT_SG_SH_SI_E_clIS7_S7_PlSB_EESF_SV_SG_SH_SI_EUlSV_E_NS1_11comp_targetILNS1_3genE10ELNS1_11target_archE1201ELNS1_3gpuE5ELNS1_3repE0EEENS1_48merge_mergepath_partition_config_static_selectorELNS0_4arch9wavefront6targetE1EEEvSH_, .Lfunc_end125-_ZN7rocprim17ROCPRIM_400000_NS6detail17trampoline_kernelINS0_14default_configENS1_38merge_sort_block_merge_config_selectorIhlEEZZNS1_27merge_sort_block_merge_implIS3_PhN6thrust23THRUST_200600_302600_NS10device_ptrIlEEjNS1_19radix_merge_compareILb0ELb0EhNS0_19identity_decomposerEEEEE10hipError_tT0_T1_T2_jT3_P12ihipStream_tbPNSt15iterator_traitsISG_E10value_typeEPNSM_ISH_E10value_typeEPSI_NS1_7vsmem_tEENKUlT_SG_SH_SI_E_clIS7_S7_PlSB_EESF_SV_SG_SH_SI_EUlSV_E_NS1_11comp_targetILNS1_3genE10ELNS1_11target_archE1201ELNS1_3gpuE5ELNS1_3repE0EEENS1_48merge_mergepath_partition_config_static_selectorELNS0_4arch9wavefront6targetE1EEEvSH_
                                        ; -- End function
	.set _ZN7rocprim17ROCPRIM_400000_NS6detail17trampoline_kernelINS0_14default_configENS1_38merge_sort_block_merge_config_selectorIhlEEZZNS1_27merge_sort_block_merge_implIS3_PhN6thrust23THRUST_200600_302600_NS10device_ptrIlEEjNS1_19radix_merge_compareILb0ELb0EhNS0_19identity_decomposerEEEEE10hipError_tT0_T1_T2_jT3_P12ihipStream_tbPNSt15iterator_traitsISG_E10value_typeEPNSM_ISH_E10value_typeEPSI_NS1_7vsmem_tEENKUlT_SG_SH_SI_E_clIS7_S7_PlSB_EESF_SV_SG_SH_SI_EUlSV_E_NS1_11comp_targetILNS1_3genE10ELNS1_11target_archE1201ELNS1_3gpuE5ELNS1_3repE0EEENS1_48merge_mergepath_partition_config_static_selectorELNS0_4arch9wavefront6targetE1EEEvSH_.num_vgpr, 0
	.set _ZN7rocprim17ROCPRIM_400000_NS6detail17trampoline_kernelINS0_14default_configENS1_38merge_sort_block_merge_config_selectorIhlEEZZNS1_27merge_sort_block_merge_implIS3_PhN6thrust23THRUST_200600_302600_NS10device_ptrIlEEjNS1_19radix_merge_compareILb0ELb0EhNS0_19identity_decomposerEEEEE10hipError_tT0_T1_T2_jT3_P12ihipStream_tbPNSt15iterator_traitsISG_E10value_typeEPNSM_ISH_E10value_typeEPSI_NS1_7vsmem_tEENKUlT_SG_SH_SI_E_clIS7_S7_PlSB_EESF_SV_SG_SH_SI_EUlSV_E_NS1_11comp_targetILNS1_3genE10ELNS1_11target_archE1201ELNS1_3gpuE5ELNS1_3repE0EEENS1_48merge_mergepath_partition_config_static_selectorELNS0_4arch9wavefront6targetE1EEEvSH_.num_agpr, 0
	.set _ZN7rocprim17ROCPRIM_400000_NS6detail17trampoline_kernelINS0_14default_configENS1_38merge_sort_block_merge_config_selectorIhlEEZZNS1_27merge_sort_block_merge_implIS3_PhN6thrust23THRUST_200600_302600_NS10device_ptrIlEEjNS1_19radix_merge_compareILb0ELb0EhNS0_19identity_decomposerEEEEE10hipError_tT0_T1_T2_jT3_P12ihipStream_tbPNSt15iterator_traitsISG_E10value_typeEPNSM_ISH_E10value_typeEPSI_NS1_7vsmem_tEENKUlT_SG_SH_SI_E_clIS7_S7_PlSB_EESF_SV_SG_SH_SI_EUlSV_E_NS1_11comp_targetILNS1_3genE10ELNS1_11target_archE1201ELNS1_3gpuE5ELNS1_3repE0EEENS1_48merge_mergepath_partition_config_static_selectorELNS0_4arch9wavefront6targetE1EEEvSH_.numbered_sgpr, 0
	.set _ZN7rocprim17ROCPRIM_400000_NS6detail17trampoline_kernelINS0_14default_configENS1_38merge_sort_block_merge_config_selectorIhlEEZZNS1_27merge_sort_block_merge_implIS3_PhN6thrust23THRUST_200600_302600_NS10device_ptrIlEEjNS1_19radix_merge_compareILb0ELb0EhNS0_19identity_decomposerEEEEE10hipError_tT0_T1_T2_jT3_P12ihipStream_tbPNSt15iterator_traitsISG_E10value_typeEPNSM_ISH_E10value_typeEPSI_NS1_7vsmem_tEENKUlT_SG_SH_SI_E_clIS7_S7_PlSB_EESF_SV_SG_SH_SI_EUlSV_E_NS1_11comp_targetILNS1_3genE10ELNS1_11target_archE1201ELNS1_3gpuE5ELNS1_3repE0EEENS1_48merge_mergepath_partition_config_static_selectorELNS0_4arch9wavefront6targetE1EEEvSH_.num_named_barrier, 0
	.set _ZN7rocprim17ROCPRIM_400000_NS6detail17trampoline_kernelINS0_14default_configENS1_38merge_sort_block_merge_config_selectorIhlEEZZNS1_27merge_sort_block_merge_implIS3_PhN6thrust23THRUST_200600_302600_NS10device_ptrIlEEjNS1_19radix_merge_compareILb0ELb0EhNS0_19identity_decomposerEEEEE10hipError_tT0_T1_T2_jT3_P12ihipStream_tbPNSt15iterator_traitsISG_E10value_typeEPNSM_ISH_E10value_typeEPSI_NS1_7vsmem_tEENKUlT_SG_SH_SI_E_clIS7_S7_PlSB_EESF_SV_SG_SH_SI_EUlSV_E_NS1_11comp_targetILNS1_3genE10ELNS1_11target_archE1201ELNS1_3gpuE5ELNS1_3repE0EEENS1_48merge_mergepath_partition_config_static_selectorELNS0_4arch9wavefront6targetE1EEEvSH_.private_seg_size, 0
	.set _ZN7rocprim17ROCPRIM_400000_NS6detail17trampoline_kernelINS0_14default_configENS1_38merge_sort_block_merge_config_selectorIhlEEZZNS1_27merge_sort_block_merge_implIS3_PhN6thrust23THRUST_200600_302600_NS10device_ptrIlEEjNS1_19radix_merge_compareILb0ELb0EhNS0_19identity_decomposerEEEEE10hipError_tT0_T1_T2_jT3_P12ihipStream_tbPNSt15iterator_traitsISG_E10value_typeEPNSM_ISH_E10value_typeEPSI_NS1_7vsmem_tEENKUlT_SG_SH_SI_E_clIS7_S7_PlSB_EESF_SV_SG_SH_SI_EUlSV_E_NS1_11comp_targetILNS1_3genE10ELNS1_11target_archE1201ELNS1_3gpuE5ELNS1_3repE0EEENS1_48merge_mergepath_partition_config_static_selectorELNS0_4arch9wavefront6targetE1EEEvSH_.uses_vcc, 0
	.set _ZN7rocprim17ROCPRIM_400000_NS6detail17trampoline_kernelINS0_14default_configENS1_38merge_sort_block_merge_config_selectorIhlEEZZNS1_27merge_sort_block_merge_implIS3_PhN6thrust23THRUST_200600_302600_NS10device_ptrIlEEjNS1_19radix_merge_compareILb0ELb0EhNS0_19identity_decomposerEEEEE10hipError_tT0_T1_T2_jT3_P12ihipStream_tbPNSt15iterator_traitsISG_E10value_typeEPNSM_ISH_E10value_typeEPSI_NS1_7vsmem_tEENKUlT_SG_SH_SI_E_clIS7_S7_PlSB_EESF_SV_SG_SH_SI_EUlSV_E_NS1_11comp_targetILNS1_3genE10ELNS1_11target_archE1201ELNS1_3gpuE5ELNS1_3repE0EEENS1_48merge_mergepath_partition_config_static_selectorELNS0_4arch9wavefront6targetE1EEEvSH_.uses_flat_scratch, 0
	.set _ZN7rocprim17ROCPRIM_400000_NS6detail17trampoline_kernelINS0_14default_configENS1_38merge_sort_block_merge_config_selectorIhlEEZZNS1_27merge_sort_block_merge_implIS3_PhN6thrust23THRUST_200600_302600_NS10device_ptrIlEEjNS1_19radix_merge_compareILb0ELb0EhNS0_19identity_decomposerEEEEE10hipError_tT0_T1_T2_jT3_P12ihipStream_tbPNSt15iterator_traitsISG_E10value_typeEPNSM_ISH_E10value_typeEPSI_NS1_7vsmem_tEENKUlT_SG_SH_SI_E_clIS7_S7_PlSB_EESF_SV_SG_SH_SI_EUlSV_E_NS1_11comp_targetILNS1_3genE10ELNS1_11target_archE1201ELNS1_3gpuE5ELNS1_3repE0EEENS1_48merge_mergepath_partition_config_static_selectorELNS0_4arch9wavefront6targetE1EEEvSH_.has_dyn_sized_stack, 0
	.set _ZN7rocprim17ROCPRIM_400000_NS6detail17trampoline_kernelINS0_14default_configENS1_38merge_sort_block_merge_config_selectorIhlEEZZNS1_27merge_sort_block_merge_implIS3_PhN6thrust23THRUST_200600_302600_NS10device_ptrIlEEjNS1_19radix_merge_compareILb0ELb0EhNS0_19identity_decomposerEEEEE10hipError_tT0_T1_T2_jT3_P12ihipStream_tbPNSt15iterator_traitsISG_E10value_typeEPNSM_ISH_E10value_typeEPSI_NS1_7vsmem_tEENKUlT_SG_SH_SI_E_clIS7_S7_PlSB_EESF_SV_SG_SH_SI_EUlSV_E_NS1_11comp_targetILNS1_3genE10ELNS1_11target_archE1201ELNS1_3gpuE5ELNS1_3repE0EEENS1_48merge_mergepath_partition_config_static_selectorELNS0_4arch9wavefront6targetE1EEEvSH_.has_recursion, 0
	.set _ZN7rocprim17ROCPRIM_400000_NS6detail17trampoline_kernelINS0_14default_configENS1_38merge_sort_block_merge_config_selectorIhlEEZZNS1_27merge_sort_block_merge_implIS3_PhN6thrust23THRUST_200600_302600_NS10device_ptrIlEEjNS1_19radix_merge_compareILb0ELb0EhNS0_19identity_decomposerEEEEE10hipError_tT0_T1_T2_jT3_P12ihipStream_tbPNSt15iterator_traitsISG_E10value_typeEPNSM_ISH_E10value_typeEPSI_NS1_7vsmem_tEENKUlT_SG_SH_SI_E_clIS7_S7_PlSB_EESF_SV_SG_SH_SI_EUlSV_E_NS1_11comp_targetILNS1_3genE10ELNS1_11target_archE1201ELNS1_3gpuE5ELNS1_3repE0EEENS1_48merge_mergepath_partition_config_static_selectorELNS0_4arch9wavefront6targetE1EEEvSH_.has_indirect_call, 0
	.section	.AMDGPU.csdata,"",@progbits
; Kernel info:
; codeLenInByte = 0
; TotalNumSgprs: 4
; NumVgprs: 0
; ScratchSize: 0
; MemoryBound: 0
; FloatMode: 240
; IeeeMode: 1
; LDSByteSize: 0 bytes/workgroup (compile time only)
; SGPRBlocks: 0
; VGPRBlocks: 0
; NumSGPRsForWavesPerEU: 4
; NumVGPRsForWavesPerEU: 1
; Occupancy: 10
; WaveLimiterHint : 0
; COMPUTE_PGM_RSRC2:SCRATCH_EN: 0
; COMPUTE_PGM_RSRC2:USER_SGPR: 6
; COMPUTE_PGM_RSRC2:TRAP_HANDLER: 0
; COMPUTE_PGM_RSRC2:TGID_X_EN: 1
; COMPUTE_PGM_RSRC2:TGID_Y_EN: 0
; COMPUTE_PGM_RSRC2:TGID_Z_EN: 0
; COMPUTE_PGM_RSRC2:TIDIG_COMP_CNT: 0
	.section	.text._ZN7rocprim17ROCPRIM_400000_NS6detail17trampoline_kernelINS0_14default_configENS1_38merge_sort_block_merge_config_selectorIhlEEZZNS1_27merge_sort_block_merge_implIS3_PhN6thrust23THRUST_200600_302600_NS10device_ptrIlEEjNS1_19radix_merge_compareILb0ELb0EhNS0_19identity_decomposerEEEEE10hipError_tT0_T1_T2_jT3_P12ihipStream_tbPNSt15iterator_traitsISG_E10value_typeEPNSM_ISH_E10value_typeEPSI_NS1_7vsmem_tEENKUlT_SG_SH_SI_E_clIS7_S7_PlSB_EESF_SV_SG_SH_SI_EUlSV_E_NS1_11comp_targetILNS1_3genE5ELNS1_11target_archE942ELNS1_3gpuE9ELNS1_3repE0EEENS1_48merge_mergepath_partition_config_static_selectorELNS0_4arch9wavefront6targetE1EEEvSH_,"axG",@progbits,_ZN7rocprim17ROCPRIM_400000_NS6detail17trampoline_kernelINS0_14default_configENS1_38merge_sort_block_merge_config_selectorIhlEEZZNS1_27merge_sort_block_merge_implIS3_PhN6thrust23THRUST_200600_302600_NS10device_ptrIlEEjNS1_19radix_merge_compareILb0ELb0EhNS0_19identity_decomposerEEEEE10hipError_tT0_T1_T2_jT3_P12ihipStream_tbPNSt15iterator_traitsISG_E10value_typeEPNSM_ISH_E10value_typeEPSI_NS1_7vsmem_tEENKUlT_SG_SH_SI_E_clIS7_S7_PlSB_EESF_SV_SG_SH_SI_EUlSV_E_NS1_11comp_targetILNS1_3genE5ELNS1_11target_archE942ELNS1_3gpuE9ELNS1_3repE0EEENS1_48merge_mergepath_partition_config_static_selectorELNS0_4arch9wavefront6targetE1EEEvSH_,comdat
	.protected	_ZN7rocprim17ROCPRIM_400000_NS6detail17trampoline_kernelINS0_14default_configENS1_38merge_sort_block_merge_config_selectorIhlEEZZNS1_27merge_sort_block_merge_implIS3_PhN6thrust23THRUST_200600_302600_NS10device_ptrIlEEjNS1_19radix_merge_compareILb0ELb0EhNS0_19identity_decomposerEEEEE10hipError_tT0_T1_T2_jT3_P12ihipStream_tbPNSt15iterator_traitsISG_E10value_typeEPNSM_ISH_E10value_typeEPSI_NS1_7vsmem_tEENKUlT_SG_SH_SI_E_clIS7_S7_PlSB_EESF_SV_SG_SH_SI_EUlSV_E_NS1_11comp_targetILNS1_3genE5ELNS1_11target_archE942ELNS1_3gpuE9ELNS1_3repE0EEENS1_48merge_mergepath_partition_config_static_selectorELNS0_4arch9wavefront6targetE1EEEvSH_ ; -- Begin function _ZN7rocprim17ROCPRIM_400000_NS6detail17trampoline_kernelINS0_14default_configENS1_38merge_sort_block_merge_config_selectorIhlEEZZNS1_27merge_sort_block_merge_implIS3_PhN6thrust23THRUST_200600_302600_NS10device_ptrIlEEjNS1_19radix_merge_compareILb0ELb0EhNS0_19identity_decomposerEEEEE10hipError_tT0_T1_T2_jT3_P12ihipStream_tbPNSt15iterator_traitsISG_E10value_typeEPNSM_ISH_E10value_typeEPSI_NS1_7vsmem_tEENKUlT_SG_SH_SI_E_clIS7_S7_PlSB_EESF_SV_SG_SH_SI_EUlSV_E_NS1_11comp_targetILNS1_3genE5ELNS1_11target_archE942ELNS1_3gpuE9ELNS1_3repE0EEENS1_48merge_mergepath_partition_config_static_selectorELNS0_4arch9wavefront6targetE1EEEvSH_
	.globl	_ZN7rocprim17ROCPRIM_400000_NS6detail17trampoline_kernelINS0_14default_configENS1_38merge_sort_block_merge_config_selectorIhlEEZZNS1_27merge_sort_block_merge_implIS3_PhN6thrust23THRUST_200600_302600_NS10device_ptrIlEEjNS1_19radix_merge_compareILb0ELb0EhNS0_19identity_decomposerEEEEE10hipError_tT0_T1_T2_jT3_P12ihipStream_tbPNSt15iterator_traitsISG_E10value_typeEPNSM_ISH_E10value_typeEPSI_NS1_7vsmem_tEENKUlT_SG_SH_SI_E_clIS7_S7_PlSB_EESF_SV_SG_SH_SI_EUlSV_E_NS1_11comp_targetILNS1_3genE5ELNS1_11target_archE942ELNS1_3gpuE9ELNS1_3repE0EEENS1_48merge_mergepath_partition_config_static_selectorELNS0_4arch9wavefront6targetE1EEEvSH_
	.p2align	8
	.type	_ZN7rocprim17ROCPRIM_400000_NS6detail17trampoline_kernelINS0_14default_configENS1_38merge_sort_block_merge_config_selectorIhlEEZZNS1_27merge_sort_block_merge_implIS3_PhN6thrust23THRUST_200600_302600_NS10device_ptrIlEEjNS1_19radix_merge_compareILb0ELb0EhNS0_19identity_decomposerEEEEE10hipError_tT0_T1_T2_jT3_P12ihipStream_tbPNSt15iterator_traitsISG_E10value_typeEPNSM_ISH_E10value_typeEPSI_NS1_7vsmem_tEENKUlT_SG_SH_SI_E_clIS7_S7_PlSB_EESF_SV_SG_SH_SI_EUlSV_E_NS1_11comp_targetILNS1_3genE5ELNS1_11target_archE942ELNS1_3gpuE9ELNS1_3repE0EEENS1_48merge_mergepath_partition_config_static_selectorELNS0_4arch9wavefront6targetE1EEEvSH_,@function
_ZN7rocprim17ROCPRIM_400000_NS6detail17trampoline_kernelINS0_14default_configENS1_38merge_sort_block_merge_config_selectorIhlEEZZNS1_27merge_sort_block_merge_implIS3_PhN6thrust23THRUST_200600_302600_NS10device_ptrIlEEjNS1_19radix_merge_compareILb0ELb0EhNS0_19identity_decomposerEEEEE10hipError_tT0_T1_T2_jT3_P12ihipStream_tbPNSt15iterator_traitsISG_E10value_typeEPNSM_ISH_E10value_typeEPSI_NS1_7vsmem_tEENKUlT_SG_SH_SI_E_clIS7_S7_PlSB_EESF_SV_SG_SH_SI_EUlSV_E_NS1_11comp_targetILNS1_3genE5ELNS1_11target_archE942ELNS1_3gpuE9ELNS1_3repE0EEENS1_48merge_mergepath_partition_config_static_selectorELNS0_4arch9wavefront6targetE1EEEvSH_: ; @_ZN7rocprim17ROCPRIM_400000_NS6detail17trampoline_kernelINS0_14default_configENS1_38merge_sort_block_merge_config_selectorIhlEEZZNS1_27merge_sort_block_merge_implIS3_PhN6thrust23THRUST_200600_302600_NS10device_ptrIlEEjNS1_19radix_merge_compareILb0ELb0EhNS0_19identity_decomposerEEEEE10hipError_tT0_T1_T2_jT3_P12ihipStream_tbPNSt15iterator_traitsISG_E10value_typeEPNSM_ISH_E10value_typeEPSI_NS1_7vsmem_tEENKUlT_SG_SH_SI_E_clIS7_S7_PlSB_EESF_SV_SG_SH_SI_EUlSV_E_NS1_11comp_targetILNS1_3genE5ELNS1_11target_archE942ELNS1_3gpuE9ELNS1_3repE0EEENS1_48merge_mergepath_partition_config_static_selectorELNS0_4arch9wavefront6targetE1EEEvSH_
; %bb.0:
	.section	.rodata,"a",@progbits
	.p2align	6, 0x0
	.amdhsa_kernel _ZN7rocprim17ROCPRIM_400000_NS6detail17trampoline_kernelINS0_14default_configENS1_38merge_sort_block_merge_config_selectorIhlEEZZNS1_27merge_sort_block_merge_implIS3_PhN6thrust23THRUST_200600_302600_NS10device_ptrIlEEjNS1_19radix_merge_compareILb0ELb0EhNS0_19identity_decomposerEEEEE10hipError_tT0_T1_T2_jT3_P12ihipStream_tbPNSt15iterator_traitsISG_E10value_typeEPNSM_ISH_E10value_typeEPSI_NS1_7vsmem_tEENKUlT_SG_SH_SI_E_clIS7_S7_PlSB_EESF_SV_SG_SH_SI_EUlSV_E_NS1_11comp_targetILNS1_3genE5ELNS1_11target_archE942ELNS1_3gpuE9ELNS1_3repE0EEENS1_48merge_mergepath_partition_config_static_selectorELNS0_4arch9wavefront6targetE1EEEvSH_
		.amdhsa_group_segment_fixed_size 0
		.amdhsa_private_segment_fixed_size 0
		.amdhsa_kernarg_size 40
		.amdhsa_user_sgpr_count 6
		.amdhsa_user_sgpr_private_segment_buffer 1
		.amdhsa_user_sgpr_dispatch_ptr 0
		.amdhsa_user_sgpr_queue_ptr 0
		.amdhsa_user_sgpr_kernarg_segment_ptr 1
		.amdhsa_user_sgpr_dispatch_id 0
		.amdhsa_user_sgpr_flat_scratch_init 0
		.amdhsa_user_sgpr_private_segment_size 0
		.amdhsa_uses_dynamic_stack 0
		.amdhsa_system_sgpr_private_segment_wavefront_offset 0
		.amdhsa_system_sgpr_workgroup_id_x 1
		.amdhsa_system_sgpr_workgroup_id_y 0
		.amdhsa_system_sgpr_workgroup_id_z 0
		.amdhsa_system_sgpr_workgroup_info 0
		.amdhsa_system_vgpr_workitem_id 0
		.amdhsa_next_free_vgpr 1
		.amdhsa_next_free_sgpr 0
		.amdhsa_reserve_vcc 0
		.amdhsa_reserve_flat_scratch 0
		.amdhsa_float_round_mode_32 0
		.amdhsa_float_round_mode_16_64 0
		.amdhsa_float_denorm_mode_32 3
		.amdhsa_float_denorm_mode_16_64 3
		.amdhsa_dx10_clamp 1
		.amdhsa_ieee_mode 1
		.amdhsa_fp16_overflow 0
		.amdhsa_exception_fp_ieee_invalid_op 0
		.amdhsa_exception_fp_denorm_src 0
		.amdhsa_exception_fp_ieee_div_zero 0
		.amdhsa_exception_fp_ieee_overflow 0
		.amdhsa_exception_fp_ieee_underflow 0
		.amdhsa_exception_fp_ieee_inexact 0
		.amdhsa_exception_int_div_zero 0
	.end_amdhsa_kernel
	.section	.text._ZN7rocprim17ROCPRIM_400000_NS6detail17trampoline_kernelINS0_14default_configENS1_38merge_sort_block_merge_config_selectorIhlEEZZNS1_27merge_sort_block_merge_implIS3_PhN6thrust23THRUST_200600_302600_NS10device_ptrIlEEjNS1_19radix_merge_compareILb0ELb0EhNS0_19identity_decomposerEEEEE10hipError_tT0_T1_T2_jT3_P12ihipStream_tbPNSt15iterator_traitsISG_E10value_typeEPNSM_ISH_E10value_typeEPSI_NS1_7vsmem_tEENKUlT_SG_SH_SI_E_clIS7_S7_PlSB_EESF_SV_SG_SH_SI_EUlSV_E_NS1_11comp_targetILNS1_3genE5ELNS1_11target_archE942ELNS1_3gpuE9ELNS1_3repE0EEENS1_48merge_mergepath_partition_config_static_selectorELNS0_4arch9wavefront6targetE1EEEvSH_,"axG",@progbits,_ZN7rocprim17ROCPRIM_400000_NS6detail17trampoline_kernelINS0_14default_configENS1_38merge_sort_block_merge_config_selectorIhlEEZZNS1_27merge_sort_block_merge_implIS3_PhN6thrust23THRUST_200600_302600_NS10device_ptrIlEEjNS1_19radix_merge_compareILb0ELb0EhNS0_19identity_decomposerEEEEE10hipError_tT0_T1_T2_jT3_P12ihipStream_tbPNSt15iterator_traitsISG_E10value_typeEPNSM_ISH_E10value_typeEPSI_NS1_7vsmem_tEENKUlT_SG_SH_SI_E_clIS7_S7_PlSB_EESF_SV_SG_SH_SI_EUlSV_E_NS1_11comp_targetILNS1_3genE5ELNS1_11target_archE942ELNS1_3gpuE9ELNS1_3repE0EEENS1_48merge_mergepath_partition_config_static_selectorELNS0_4arch9wavefront6targetE1EEEvSH_,comdat
.Lfunc_end126:
	.size	_ZN7rocprim17ROCPRIM_400000_NS6detail17trampoline_kernelINS0_14default_configENS1_38merge_sort_block_merge_config_selectorIhlEEZZNS1_27merge_sort_block_merge_implIS3_PhN6thrust23THRUST_200600_302600_NS10device_ptrIlEEjNS1_19radix_merge_compareILb0ELb0EhNS0_19identity_decomposerEEEEE10hipError_tT0_T1_T2_jT3_P12ihipStream_tbPNSt15iterator_traitsISG_E10value_typeEPNSM_ISH_E10value_typeEPSI_NS1_7vsmem_tEENKUlT_SG_SH_SI_E_clIS7_S7_PlSB_EESF_SV_SG_SH_SI_EUlSV_E_NS1_11comp_targetILNS1_3genE5ELNS1_11target_archE942ELNS1_3gpuE9ELNS1_3repE0EEENS1_48merge_mergepath_partition_config_static_selectorELNS0_4arch9wavefront6targetE1EEEvSH_, .Lfunc_end126-_ZN7rocprim17ROCPRIM_400000_NS6detail17trampoline_kernelINS0_14default_configENS1_38merge_sort_block_merge_config_selectorIhlEEZZNS1_27merge_sort_block_merge_implIS3_PhN6thrust23THRUST_200600_302600_NS10device_ptrIlEEjNS1_19radix_merge_compareILb0ELb0EhNS0_19identity_decomposerEEEEE10hipError_tT0_T1_T2_jT3_P12ihipStream_tbPNSt15iterator_traitsISG_E10value_typeEPNSM_ISH_E10value_typeEPSI_NS1_7vsmem_tEENKUlT_SG_SH_SI_E_clIS7_S7_PlSB_EESF_SV_SG_SH_SI_EUlSV_E_NS1_11comp_targetILNS1_3genE5ELNS1_11target_archE942ELNS1_3gpuE9ELNS1_3repE0EEENS1_48merge_mergepath_partition_config_static_selectorELNS0_4arch9wavefront6targetE1EEEvSH_
                                        ; -- End function
	.set _ZN7rocprim17ROCPRIM_400000_NS6detail17trampoline_kernelINS0_14default_configENS1_38merge_sort_block_merge_config_selectorIhlEEZZNS1_27merge_sort_block_merge_implIS3_PhN6thrust23THRUST_200600_302600_NS10device_ptrIlEEjNS1_19radix_merge_compareILb0ELb0EhNS0_19identity_decomposerEEEEE10hipError_tT0_T1_T2_jT3_P12ihipStream_tbPNSt15iterator_traitsISG_E10value_typeEPNSM_ISH_E10value_typeEPSI_NS1_7vsmem_tEENKUlT_SG_SH_SI_E_clIS7_S7_PlSB_EESF_SV_SG_SH_SI_EUlSV_E_NS1_11comp_targetILNS1_3genE5ELNS1_11target_archE942ELNS1_3gpuE9ELNS1_3repE0EEENS1_48merge_mergepath_partition_config_static_selectorELNS0_4arch9wavefront6targetE1EEEvSH_.num_vgpr, 0
	.set _ZN7rocprim17ROCPRIM_400000_NS6detail17trampoline_kernelINS0_14default_configENS1_38merge_sort_block_merge_config_selectorIhlEEZZNS1_27merge_sort_block_merge_implIS3_PhN6thrust23THRUST_200600_302600_NS10device_ptrIlEEjNS1_19radix_merge_compareILb0ELb0EhNS0_19identity_decomposerEEEEE10hipError_tT0_T1_T2_jT3_P12ihipStream_tbPNSt15iterator_traitsISG_E10value_typeEPNSM_ISH_E10value_typeEPSI_NS1_7vsmem_tEENKUlT_SG_SH_SI_E_clIS7_S7_PlSB_EESF_SV_SG_SH_SI_EUlSV_E_NS1_11comp_targetILNS1_3genE5ELNS1_11target_archE942ELNS1_3gpuE9ELNS1_3repE0EEENS1_48merge_mergepath_partition_config_static_selectorELNS0_4arch9wavefront6targetE1EEEvSH_.num_agpr, 0
	.set _ZN7rocprim17ROCPRIM_400000_NS6detail17trampoline_kernelINS0_14default_configENS1_38merge_sort_block_merge_config_selectorIhlEEZZNS1_27merge_sort_block_merge_implIS3_PhN6thrust23THRUST_200600_302600_NS10device_ptrIlEEjNS1_19radix_merge_compareILb0ELb0EhNS0_19identity_decomposerEEEEE10hipError_tT0_T1_T2_jT3_P12ihipStream_tbPNSt15iterator_traitsISG_E10value_typeEPNSM_ISH_E10value_typeEPSI_NS1_7vsmem_tEENKUlT_SG_SH_SI_E_clIS7_S7_PlSB_EESF_SV_SG_SH_SI_EUlSV_E_NS1_11comp_targetILNS1_3genE5ELNS1_11target_archE942ELNS1_3gpuE9ELNS1_3repE0EEENS1_48merge_mergepath_partition_config_static_selectorELNS0_4arch9wavefront6targetE1EEEvSH_.numbered_sgpr, 0
	.set _ZN7rocprim17ROCPRIM_400000_NS6detail17trampoline_kernelINS0_14default_configENS1_38merge_sort_block_merge_config_selectorIhlEEZZNS1_27merge_sort_block_merge_implIS3_PhN6thrust23THRUST_200600_302600_NS10device_ptrIlEEjNS1_19radix_merge_compareILb0ELb0EhNS0_19identity_decomposerEEEEE10hipError_tT0_T1_T2_jT3_P12ihipStream_tbPNSt15iterator_traitsISG_E10value_typeEPNSM_ISH_E10value_typeEPSI_NS1_7vsmem_tEENKUlT_SG_SH_SI_E_clIS7_S7_PlSB_EESF_SV_SG_SH_SI_EUlSV_E_NS1_11comp_targetILNS1_3genE5ELNS1_11target_archE942ELNS1_3gpuE9ELNS1_3repE0EEENS1_48merge_mergepath_partition_config_static_selectorELNS0_4arch9wavefront6targetE1EEEvSH_.num_named_barrier, 0
	.set _ZN7rocprim17ROCPRIM_400000_NS6detail17trampoline_kernelINS0_14default_configENS1_38merge_sort_block_merge_config_selectorIhlEEZZNS1_27merge_sort_block_merge_implIS3_PhN6thrust23THRUST_200600_302600_NS10device_ptrIlEEjNS1_19radix_merge_compareILb0ELb0EhNS0_19identity_decomposerEEEEE10hipError_tT0_T1_T2_jT3_P12ihipStream_tbPNSt15iterator_traitsISG_E10value_typeEPNSM_ISH_E10value_typeEPSI_NS1_7vsmem_tEENKUlT_SG_SH_SI_E_clIS7_S7_PlSB_EESF_SV_SG_SH_SI_EUlSV_E_NS1_11comp_targetILNS1_3genE5ELNS1_11target_archE942ELNS1_3gpuE9ELNS1_3repE0EEENS1_48merge_mergepath_partition_config_static_selectorELNS0_4arch9wavefront6targetE1EEEvSH_.private_seg_size, 0
	.set _ZN7rocprim17ROCPRIM_400000_NS6detail17trampoline_kernelINS0_14default_configENS1_38merge_sort_block_merge_config_selectorIhlEEZZNS1_27merge_sort_block_merge_implIS3_PhN6thrust23THRUST_200600_302600_NS10device_ptrIlEEjNS1_19radix_merge_compareILb0ELb0EhNS0_19identity_decomposerEEEEE10hipError_tT0_T1_T2_jT3_P12ihipStream_tbPNSt15iterator_traitsISG_E10value_typeEPNSM_ISH_E10value_typeEPSI_NS1_7vsmem_tEENKUlT_SG_SH_SI_E_clIS7_S7_PlSB_EESF_SV_SG_SH_SI_EUlSV_E_NS1_11comp_targetILNS1_3genE5ELNS1_11target_archE942ELNS1_3gpuE9ELNS1_3repE0EEENS1_48merge_mergepath_partition_config_static_selectorELNS0_4arch9wavefront6targetE1EEEvSH_.uses_vcc, 0
	.set _ZN7rocprim17ROCPRIM_400000_NS6detail17trampoline_kernelINS0_14default_configENS1_38merge_sort_block_merge_config_selectorIhlEEZZNS1_27merge_sort_block_merge_implIS3_PhN6thrust23THRUST_200600_302600_NS10device_ptrIlEEjNS1_19radix_merge_compareILb0ELb0EhNS0_19identity_decomposerEEEEE10hipError_tT0_T1_T2_jT3_P12ihipStream_tbPNSt15iterator_traitsISG_E10value_typeEPNSM_ISH_E10value_typeEPSI_NS1_7vsmem_tEENKUlT_SG_SH_SI_E_clIS7_S7_PlSB_EESF_SV_SG_SH_SI_EUlSV_E_NS1_11comp_targetILNS1_3genE5ELNS1_11target_archE942ELNS1_3gpuE9ELNS1_3repE0EEENS1_48merge_mergepath_partition_config_static_selectorELNS0_4arch9wavefront6targetE1EEEvSH_.uses_flat_scratch, 0
	.set _ZN7rocprim17ROCPRIM_400000_NS6detail17trampoline_kernelINS0_14default_configENS1_38merge_sort_block_merge_config_selectorIhlEEZZNS1_27merge_sort_block_merge_implIS3_PhN6thrust23THRUST_200600_302600_NS10device_ptrIlEEjNS1_19radix_merge_compareILb0ELb0EhNS0_19identity_decomposerEEEEE10hipError_tT0_T1_T2_jT3_P12ihipStream_tbPNSt15iterator_traitsISG_E10value_typeEPNSM_ISH_E10value_typeEPSI_NS1_7vsmem_tEENKUlT_SG_SH_SI_E_clIS7_S7_PlSB_EESF_SV_SG_SH_SI_EUlSV_E_NS1_11comp_targetILNS1_3genE5ELNS1_11target_archE942ELNS1_3gpuE9ELNS1_3repE0EEENS1_48merge_mergepath_partition_config_static_selectorELNS0_4arch9wavefront6targetE1EEEvSH_.has_dyn_sized_stack, 0
	.set _ZN7rocprim17ROCPRIM_400000_NS6detail17trampoline_kernelINS0_14default_configENS1_38merge_sort_block_merge_config_selectorIhlEEZZNS1_27merge_sort_block_merge_implIS3_PhN6thrust23THRUST_200600_302600_NS10device_ptrIlEEjNS1_19radix_merge_compareILb0ELb0EhNS0_19identity_decomposerEEEEE10hipError_tT0_T1_T2_jT3_P12ihipStream_tbPNSt15iterator_traitsISG_E10value_typeEPNSM_ISH_E10value_typeEPSI_NS1_7vsmem_tEENKUlT_SG_SH_SI_E_clIS7_S7_PlSB_EESF_SV_SG_SH_SI_EUlSV_E_NS1_11comp_targetILNS1_3genE5ELNS1_11target_archE942ELNS1_3gpuE9ELNS1_3repE0EEENS1_48merge_mergepath_partition_config_static_selectorELNS0_4arch9wavefront6targetE1EEEvSH_.has_recursion, 0
	.set _ZN7rocprim17ROCPRIM_400000_NS6detail17trampoline_kernelINS0_14default_configENS1_38merge_sort_block_merge_config_selectorIhlEEZZNS1_27merge_sort_block_merge_implIS3_PhN6thrust23THRUST_200600_302600_NS10device_ptrIlEEjNS1_19radix_merge_compareILb0ELb0EhNS0_19identity_decomposerEEEEE10hipError_tT0_T1_T2_jT3_P12ihipStream_tbPNSt15iterator_traitsISG_E10value_typeEPNSM_ISH_E10value_typeEPSI_NS1_7vsmem_tEENKUlT_SG_SH_SI_E_clIS7_S7_PlSB_EESF_SV_SG_SH_SI_EUlSV_E_NS1_11comp_targetILNS1_3genE5ELNS1_11target_archE942ELNS1_3gpuE9ELNS1_3repE0EEENS1_48merge_mergepath_partition_config_static_selectorELNS0_4arch9wavefront6targetE1EEEvSH_.has_indirect_call, 0
	.section	.AMDGPU.csdata,"",@progbits
; Kernel info:
; codeLenInByte = 0
; TotalNumSgprs: 4
; NumVgprs: 0
; ScratchSize: 0
; MemoryBound: 0
; FloatMode: 240
; IeeeMode: 1
; LDSByteSize: 0 bytes/workgroup (compile time only)
; SGPRBlocks: 0
; VGPRBlocks: 0
; NumSGPRsForWavesPerEU: 4
; NumVGPRsForWavesPerEU: 1
; Occupancy: 10
; WaveLimiterHint : 0
; COMPUTE_PGM_RSRC2:SCRATCH_EN: 0
; COMPUTE_PGM_RSRC2:USER_SGPR: 6
; COMPUTE_PGM_RSRC2:TRAP_HANDLER: 0
; COMPUTE_PGM_RSRC2:TGID_X_EN: 1
; COMPUTE_PGM_RSRC2:TGID_Y_EN: 0
; COMPUTE_PGM_RSRC2:TGID_Z_EN: 0
; COMPUTE_PGM_RSRC2:TIDIG_COMP_CNT: 0
	.section	.text._ZN7rocprim17ROCPRIM_400000_NS6detail17trampoline_kernelINS0_14default_configENS1_38merge_sort_block_merge_config_selectorIhlEEZZNS1_27merge_sort_block_merge_implIS3_PhN6thrust23THRUST_200600_302600_NS10device_ptrIlEEjNS1_19radix_merge_compareILb0ELb0EhNS0_19identity_decomposerEEEEE10hipError_tT0_T1_T2_jT3_P12ihipStream_tbPNSt15iterator_traitsISG_E10value_typeEPNSM_ISH_E10value_typeEPSI_NS1_7vsmem_tEENKUlT_SG_SH_SI_E_clIS7_S7_PlSB_EESF_SV_SG_SH_SI_EUlSV_E_NS1_11comp_targetILNS1_3genE4ELNS1_11target_archE910ELNS1_3gpuE8ELNS1_3repE0EEENS1_48merge_mergepath_partition_config_static_selectorELNS0_4arch9wavefront6targetE1EEEvSH_,"axG",@progbits,_ZN7rocprim17ROCPRIM_400000_NS6detail17trampoline_kernelINS0_14default_configENS1_38merge_sort_block_merge_config_selectorIhlEEZZNS1_27merge_sort_block_merge_implIS3_PhN6thrust23THRUST_200600_302600_NS10device_ptrIlEEjNS1_19radix_merge_compareILb0ELb0EhNS0_19identity_decomposerEEEEE10hipError_tT0_T1_T2_jT3_P12ihipStream_tbPNSt15iterator_traitsISG_E10value_typeEPNSM_ISH_E10value_typeEPSI_NS1_7vsmem_tEENKUlT_SG_SH_SI_E_clIS7_S7_PlSB_EESF_SV_SG_SH_SI_EUlSV_E_NS1_11comp_targetILNS1_3genE4ELNS1_11target_archE910ELNS1_3gpuE8ELNS1_3repE0EEENS1_48merge_mergepath_partition_config_static_selectorELNS0_4arch9wavefront6targetE1EEEvSH_,comdat
	.protected	_ZN7rocprim17ROCPRIM_400000_NS6detail17trampoline_kernelINS0_14default_configENS1_38merge_sort_block_merge_config_selectorIhlEEZZNS1_27merge_sort_block_merge_implIS3_PhN6thrust23THRUST_200600_302600_NS10device_ptrIlEEjNS1_19radix_merge_compareILb0ELb0EhNS0_19identity_decomposerEEEEE10hipError_tT0_T1_T2_jT3_P12ihipStream_tbPNSt15iterator_traitsISG_E10value_typeEPNSM_ISH_E10value_typeEPSI_NS1_7vsmem_tEENKUlT_SG_SH_SI_E_clIS7_S7_PlSB_EESF_SV_SG_SH_SI_EUlSV_E_NS1_11comp_targetILNS1_3genE4ELNS1_11target_archE910ELNS1_3gpuE8ELNS1_3repE0EEENS1_48merge_mergepath_partition_config_static_selectorELNS0_4arch9wavefront6targetE1EEEvSH_ ; -- Begin function _ZN7rocprim17ROCPRIM_400000_NS6detail17trampoline_kernelINS0_14default_configENS1_38merge_sort_block_merge_config_selectorIhlEEZZNS1_27merge_sort_block_merge_implIS3_PhN6thrust23THRUST_200600_302600_NS10device_ptrIlEEjNS1_19radix_merge_compareILb0ELb0EhNS0_19identity_decomposerEEEEE10hipError_tT0_T1_T2_jT3_P12ihipStream_tbPNSt15iterator_traitsISG_E10value_typeEPNSM_ISH_E10value_typeEPSI_NS1_7vsmem_tEENKUlT_SG_SH_SI_E_clIS7_S7_PlSB_EESF_SV_SG_SH_SI_EUlSV_E_NS1_11comp_targetILNS1_3genE4ELNS1_11target_archE910ELNS1_3gpuE8ELNS1_3repE0EEENS1_48merge_mergepath_partition_config_static_selectorELNS0_4arch9wavefront6targetE1EEEvSH_
	.globl	_ZN7rocprim17ROCPRIM_400000_NS6detail17trampoline_kernelINS0_14default_configENS1_38merge_sort_block_merge_config_selectorIhlEEZZNS1_27merge_sort_block_merge_implIS3_PhN6thrust23THRUST_200600_302600_NS10device_ptrIlEEjNS1_19radix_merge_compareILb0ELb0EhNS0_19identity_decomposerEEEEE10hipError_tT0_T1_T2_jT3_P12ihipStream_tbPNSt15iterator_traitsISG_E10value_typeEPNSM_ISH_E10value_typeEPSI_NS1_7vsmem_tEENKUlT_SG_SH_SI_E_clIS7_S7_PlSB_EESF_SV_SG_SH_SI_EUlSV_E_NS1_11comp_targetILNS1_3genE4ELNS1_11target_archE910ELNS1_3gpuE8ELNS1_3repE0EEENS1_48merge_mergepath_partition_config_static_selectorELNS0_4arch9wavefront6targetE1EEEvSH_
	.p2align	8
	.type	_ZN7rocprim17ROCPRIM_400000_NS6detail17trampoline_kernelINS0_14default_configENS1_38merge_sort_block_merge_config_selectorIhlEEZZNS1_27merge_sort_block_merge_implIS3_PhN6thrust23THRUST_200600_302600_NS10device_ptrIlEEjNS1_19radix_merge_compareILb0ELb0EhNS0_19identity_decomposerEEEEE10hipError_tT0_T1_T2_jT3_P12ihipStream_tbPNSt15iterator_traitsISG_E10value_typeEPNSM_ISH_E10value_typeEPSI_NS1_7vsmem_tEENKUlT_SG_SH_SI_E_clIS7_S7_PlSB_EESF_SV_SG_SH_SI_EUlSV_E_NS1_11comp_targetILNS1_3genE4ELNS1_11target_archE910ELNS1_3gpuE8ELNS1_3repE0EEENS1_48merge_mergepath_partition_config_static_selectorELNS0_4arch9wavefront6targetE1EEEvSH_,@function
_ZN7rocprim17ROCPRIM_400000_NS6detail17trampoline_kernelINS0_14default_configENS1_38merge_sort_block_merge_config_selectorIhlEEZZNS1_27merge_sort_block_merge_implIS3_PhN6thrust23THRUST_200600_302600_NS10device_ptrIlEEjNS1_19radix_merge_compareILb0ELb0EhNS0_19identity_decomposerEEEEE10hipError_tT0_T1_T2_jT3_P12ihipStream_tbPNSt15iterator_traitsISG_E10value_typeEPNSM_ISH_E10value_typeEPSI_NS1_7vsmem_tEENKUlT_SG_SH_SI_E_clIS7_S7_PlSB_EESF_SV_SG_SH_SI_EUlSV_E_NS1_11comp_targetILNS1_3genE4ELNS1_11target_archE910ELNS1_3gpuE8ELNS1_3repE0EEENS1_48merge_mergepath_partition_config_static_selectorELNS0_4arch9wavefront6targetE1EEEvSH_: ; @_ZN7rocprim17ROCPRIM_400000_NS6detail17trampoline_kernelINS0_14default_configENS1_38merge_sort_block_merge_config_selectorIhlEEZZNS1_27merge_sort_block_merge_implIS3_PhN6thrust23THRUST_200600_302600_NS10device_ptrIlEEjNS1_19radix_merge_compareILb0ELb0EhNS0_19identity_decomposerEEEEE10hipError_tT0_T1_T2_jT3_P12ihipStream_tbPNSt15iterator_traitsISG_E10value_typeEPNSM_ISH_E10value_typeEPSI_NS1_7vsmem_tEENKUlT_SG_SH_SI_E_clIS7_S7_PlSB_EESF_SV_SG_SH_SI_EUlSV_E_NS1_11comp_targetILNS1_3genE4ELNS1_11target_archE910ELNS1_3gpuE8ELNS1_3repE0EEENS1_48merge_mergepath_partition_config_static_selectorELNS0_4arch9wavefront6targetE1EEEvSH_
; %bb.0:
	.section	.rodata,"a",@progbits
	.p2align	6, 0x0
	.amdhsa_kernel _ZN7rocprim17ROCPRIM_400000_NS6detail17trampoline_kernelINS0_14default_configENS1_38merge_sort_block_merge_config_selectorIhlEEZZNS1_27merge_sort_block_merge_implIS3_PhN6thrust23THRUST_200600_302600_NS10device_ptrIlEEjNS1_19radix_merge_compareILb0ELb0EhNS0_19identity_decomposerEEEEE10hipError_tT0_T1_T2_jT3_P12ihipStream_tbPNSt15iterator_traitsISG_E10value_typeEPNSM_ISH_E10value_typeEPSI_NS1_7vsmem_tEENKUlT_SG_SH_SI_E_clIS7_S7_PlSB_EESF_SV_SG_SH_SI_EUlSV_E_NS1_11comp_targetILNS1_3genE4ELNS1_11target_archE910ELNS1_3gpuE8ELNS1_3repE0EEENS1_48merge_mergepath_partition_config_static_selectorELNS0_4arch9wavefront6targetE1EEEvSH_
		.amdhsa_group_segment_fixed_size 0
		.amdhsa_private_segment_fixed_size 0
		.amdhsa_kernarg_size 40
		.amdhsa_user_sgpr_count 6
		.amdhsa_user_sgpr_private_segment_buffer 1
		.amdhsa_user_sgpr_dispatch_ptr 0
		.amdhsa_user_sgpr_queue_ptr 0
		.amdhsa_user_sgpr_kernarg_segment_ptr 1
		.amdhsa_user_sgpr_dispatch_id 0
		.amdhsa_user_sgpr_flat_scratch_init 0
		.amdhsa_user_sgpr_private_segment_size 0
		.amdhsa_uses_dynamic_stack 0
		.amdhsa_system_sgpr_private_segment_wavefront_offset 0
		.amdhsa_system_sgpr_workgroup_id_x 1
		.amdhsa_system_sgpr_workgroup_id_y 0
		.amdhsa_system_sgpr_workgroup_id_z 0
		.amdhsa_system_sgpr_workgroup_info 0
		.amdhsa_system_vgpr_workitem_id 0
		.amdhsa_next_free_vgpr 1
		.amdhsa_next_free_sgpr 0
		.amdhsa_reserve_vcc 0
		.amdhsa_reserve_flat_scratch 0
		.amdhsa_float_round_mode_32 0
		.amdhsa_float_round_mode_16_64 0
		.amdhsa_float_denorm_mode_32 3
		.amdhsa_float_denorm_mode_16_64 3
		.amdhsa_dx10_clamp 1
		.amdhsa_ieee_mode 1
		.amdhsa_fp16_overflow 0
		.amdhsa_exception_fp_ieee_invalid_op 0
		.amdhsa_exception_fp_denorm_src 0
		.amdhsa_exception_fp_ieee_div_zero 0
		.amdhsa_exception_fp_ieee_overflow 0
		.amdhsa_exception_fp_ieee_underflow 0
		.amdhsa_exception_fp_ieee_inexact 0
		.amdhsa_exception_int_div_zero 0
	.end_amdhsa_kernel
	.section	.text._ZN7rocprim17ROCPRIM_400000_NS6detail17trampoline_kernelINS0_14default_configENS1_38merge_sort_block_merge_config_selectorIhlEEZZNS1_27merge_sort_block_merge_implIS3_PhN6thrust23THRUST_200600_302600_NS10device_ptrIlEEjNS1_19radix_merge_compareILb0ELb0EhNS0_19identity_decomposerEEEEE10hipError_tT0_T1_T2_jT3_P12ihipStream_tbPNSt15iterator_traitsISG_E10value_typeEPNSM_ISH_E10value_typeEPSI_NS1_7vsmem_tEENKUlT_SG_SH_SI_E_clIS7_S7_PlSB_EESF_SV_SG_SH_SI_EUlSV_E_NS1_11comp_targetILNS1_3genE4ELNS1_11target_archE910ELNS1_3gpuE8ELNS1_3repE0EEENS1_48merge_mergepath_partition_config_static_selectorELNS0_4arch9wavefront6targetE1EEEvSH_,"axG",@progbits,_ZN7rocprim17ROCPRIM_400000_NS6detail17trampoline_kernelINS0_14default_configENS1_38merge_sort_block_merge_config_selectorIhlEEZZNS1_27merge_sort_block_merge_implIS3_PhN6thrust23THRUST_200600_302600_NS10device_ptrIlEEjNS1_19radix_merge_compareILb0ELb0EhNS0_19identity_decomposerEEEEE10hipError_tT0_T1_T2_jT3_P12ihipStream_tbPNSt15iterator_traitsISG_E10value_typeEPNSM_ISH_E10value_typeEPSI_NS1_7vsmem_tEENKUlT_SG_SH_SI_E_clIS7_S7_PlSB_EESF_SV_SG_SH_SI_EUlSV_E_NS1_11comp_targetILNS1_3genE4ELNS1_11target_archE910ELNS1_3gpuE8ELNS1_3repE0EEENS1_48merge_mergepath_partition_config_static_selectorELNS0_4arch9wavefront6targetE1EEEvSH_,comdat
.Lfunc_end127:
	.size	_ZN7rocprim17ROCPRIM_400000_NS6detail17trampoline_kernelINS0_14default_configENS1_38merge_sort_block_merge_config_selectorIhlEEZZNS1_27merge_sort_block_merge_implIS3_PhN6thrust23THRUST_200600_302600_NS10device_ptrIlEEjNS1_19radix_merge_compareILb0ELb0EhNS0_19identity_decomposerEEEEE10hipError_tT0_T1_T2_jT3_P12ihipStream_tbPNSt15iterator_traitsISG_E10value_typeEPNSM_ISH_E10value_typeEPSI_NS1_7vsmem_tEENKUlT_SG_SH_SI_E_clIS7_S7_PlSB_EESF_SV_SG_SH_SI_EUlSV_E_NS1_11comp_targetILNS1_3genE4ELNS1_11target_archE910ELNS1_3gpuE8ELNS1_3repE0EEENS1_48merge_mergepath_partition_config_static_selectorELNS0_4arch9wavefront6targetE1EEEvSH_, .Lfunc_end127-_ZN7rocprim17ROCPRIM_400000_NS6detail17trampoline_kernelINS0_14default_configENS1_38merge_sort_block_merge_config_selectorIhlEEZZNS1_27merge_sort_block_merge_implIS3_PhN6thrust23THRUST_200600_302600_NS10device_ptrIlEEjNS1_19radix_merge_compareILb0ELb0EhNS0_19identity_decomposerEEEEE10hipError_tT0_T1_T2_jT3_P12ihipStream_tbPNSt15iterator_traitsISG_E10value_typeEPNSM_ISH_E10value_typeEPSI_NS1_7vsmem_tEENKUlT_SG_SH_SI_E_clIS7_S7_PlSB_EESF_SV_SG_SH_SI_EUlSV_E_NS1_11comp_targetILNS1_3genE4ELNS1_11target_archE910ELNS1_3gpuE8ELNS1_3repE0EEENS1_48merge_mergepath_partition_config_static_selectorELNS0_4arch9wavefront6targetE1EEEvSH_
                                        ; -- End function
	.set _ZN7rocprim17ROCPRIM_400000_NS6detail17trampoline_kernelINS0_14default_configENS1_38merge_sort_block_merge_config_selectorIhlEEZZNS1_27merge_sort_block_merge_implIS3_PhN6thrust23THRUST_200600_302600_NS10device_ptrIlEEjNS1_19radix_merge_compareILb0ELb0EhNS0_19identity_decomposerEEEEE10hipError_tT0_T1_T2_jT3_P12ihipStream_tbPNSt15iterator_traitsISG_E10value_typeEPNSM_ISH_E10value_typeEPSI_NS1_7vsmem_tEENKUlT_SG_SH_SI_E_clIS7_S7_PlSB_EESF_SV_SG_SH_SI_EUlSV_E_NS1_11comp_targetILNS1_3genE4ELNS1_11target_archE910ELNS1_3gpuE8ELNS1_3repE0EEENS1_48merge_mergepath_partition_config_static_selectorELNS0_4arch9wavefront6targetE1EEEvSH_.num_vgpr, 0
	.set _ZN7rocprim17ROCPRIM_400000_NS6detail17trampoline_kernelINS0_14default_configENS1_38merge_sort_block_merge_config_selectorIhlEEZZNS1_27merge_sort_block_merge_implIS3_PhN6thrust23THRUST_200600_302600_NS10device_ptrIlEEjNS1_19radix_merge_compareILb0ELb0EhNS0_19identity_decomposerEEEEE10hipError_tT0_T1_T2_jT3_P12ihipStream_tbPNSt15iterator_traitsISG_E10value_typeEPNSM_ISH_E10value_typeEPSI_NS1_7vsmem_tEENKUlT_SG_SH_SI_E_clIS7_S7_PlSB_EESF_SV_SG_SH_SI_EUlSV_E_NS1_11comp_targetILNS1_3genE4ELNS1_11target_archE910ELNS1_3gpuE8ELNS1_3repE0EEENS1_48merge_mergepath_partition_config_static_selectorELNS0_4arch9wavefront6targetE1EEEvSH_.num_agpr, 0
	.set _ZN7rocprim17ROCPRIM_400000_NS6detail17trampoline_kernelINS0_14default_configENS1_38merge_sort_block_merge_config_selectorIhlEEZZNS1_27merge_sort_block_merge_implIS3_PhN6thrust23THRUST_200600_302600_NS10device_ptrIlEEjNS1_19radix_merge_compareILb0ELb0EhNS0_19identity_decomposerEEEEE10hipError_tT0_T1_T2_jT3_P12ihipStream_tbPNSt15iterator_traitsISG_E10value_typeEPNSM_ISH_E10value_typeEPSI_NS1_7vsmem_tEENKUlT_SG_SH_SI_E_clIS7_S7_PlSB_EESF_SV_SG_SH_SI_EUlSV_E_NS1_11comp_targetILNS1_3genE4ELNS1_11target_archE910ELNS1_3gpuE8ELNS1_3repE0EEENS1_48merge_mergepath_partition_config_static_selectorELNS0_4arch9wavefront6targetE1EEEvSH_.numbered_sgpr, 0
	.set _ZN7rocprim17ROCPRIM_400000_NS6detail17trampoline_kernelINS0_14default_configENS1_38merge_sort_block_merge_config_selectorIhlEEZZNS1_27merge_sort_block_merge_implIS3_PhN6thrust23THRUST_200600_302600_NS10device_ptrIlEEjNS1_19radix_merge_compareILb0ELb0EhNS0_19identity_decomposerEEEEE10hipError_tT0_T1_T2_jT3_P12ihipStream_tbPNSt15iterator_traitsISG_E10value_typeEPNSM_ISH_E10value_typeEPSI_NS1_7vsmem_tEENKUlT_SG_SH_SI_E_clIS7_S7_PlSB_EESF_SV_SG_SH_SI_EUlSV_E_NS1_11comp_targetILNS1_3genE4ELNS1_11target_archE910ELNS1_3gpuE8ELNS1_3repE0EEENS1_48merge_mergepath_partition_config_static_selectorELNS0_4arch9wavefront6targetE1EEEvSH_.num_named_barrier, 0
	.set _ZN7rocprim17ROCPRIM_400000_NS6detail17trampoline_kernelINS0_14default_configENS1_38merge_sort_block_merge_config_selectorIhlEEZZNS1_27merge_sort_block_merge_implIS3_PhN6thrust23THRUST_200600_302600_NS10device_ptrIlEEjNS1_19radix_merge_compareILb0ELb0EhNS0_19identity_decomposerEEEEE10hipError_tT0_T1_T2_jT3_P12ihipStream_tbPNSt15iterator_traitsISG_E10value_typeEPNSM_ISH_E10value_typeEPSI_NS1_7vsmem_tEENKUlT_SG_SH_SI_E_clIS7_S7_PlSB_EESF_SV_SG_SH_SI_EUlSV_E_NS1_11comp_targetILNS1_3genE4ELNS1_11target_archE910ELNS1_3gpuE8ELNS1_3repE0EEENS1_48merge_mergepath_partition_config_static_selectorELNS0_4arch9wavefront6targetE1EEEvSH_.private_seg_size, 0
	.set _ZN7rocprim17ROCPRIM_400000_NS6detail17trampoline_kernelINS0_14default_configENS1_38merge_sort_block_merge_config_selectorIhlEEZZNS1_27merge_sort_block_merge_implIS3_PhN6thrust23THRUST_200600_302600_NS10device_ptrIlEEjNS1_19radix_merge_compareILb0ELb0EhNS0_19identity_decomposerEEEEE10hipError_tT0_T1_T2_jT3_P12ihipStream_tbPNSt15iterator_traitsISG_E10value_typeEPNSM_ISH_E10value_typeEPSI_NS1_7vsmem_tEENKUlT_SG_SH_SI_E_clIS7_S7_PlSB_EESF_SV_SG_SH_SI_EUlSV_E_NS1_11comp_targetILNS1_3genE4ELNS1_11target_archE910ELNS1_3gpuE8ELNS1_3repE0EEENS1_48merge_mergepath_partition_config_static_selectorELNS0_4arch9wavefront6targetE1EEEvSH_.uses_vcc, 0
	.set _ZN7rocprim17ROCPRIM_400000_NS6detail17trampoline_kernelINS0_14default_configENS1_38merge_sort_block_merge_config_selectorIhlEEZZNS1_27merge_sort_block_merge_implIS3_PhN6thrust23THRUST_200600_302600_NS10device_ptrIlEEjNS1_19radix_merge_compareILb0ELb0EhNS0_19identity_decomposerEEEEE10hipError_tT0_T1_T2_jT3_P12ihipStream_tbPNSt15iterator_traitsISG_E10value_typeEPNSM_ISH_E10value_typeEPSI_NS1_7vsmem_tEENKUlT_SG_SH_SI_E_clIS7_S7_PlSB_EESF_SV_SG_SH_SI_EUlSV_E_NS1_11comp_targetILNS1_3genE4ELNS1_11target_archE910ELNS1_3gpuE8ELNS1_3repE0EEENS1_48merge_mergepath_partition_config_static_selectorELNS0_4arch9wavefront6targetE1EEEvSH_.uses_flat_scratch, 0
	.set _ZN7rocprim17ROCPRIM_400000_NS6detail17trampoline_kernelINS0_14default_configENS1_38merge_sort_block_merge_config_selectorIhlEEZZNS1_27merge_sort_block_merge_implIS3_PhN6thrust23THRUST_200600_302600_NS10device_ptrIlEEjNS1_19radix_merge_compareILb0ELb0EhNS0_19identity_decomposerEEEEE10hipError_tT0_T1_T2_jT3_P12ihipStream_tbPNSt15iterator_traitsISG_E10value_typeEPNSM_ISH_E10value_typeEPSI_NS1_7vsmem_tEENKUlT_SG_SH_SI_E_clIS7_S7_PlSB_EESF_SV_SG_SH_SI_EUlSV_E_NS1_11comp_targetILNS1_3genE4ELNS1_11target_archE910ELNS1_3gpuE8ELNS1_3repE0EEENS1_48merge_mergepath_partition_config_static_selectorELNS0_4arch9wavefront6targetE1EEEvSH_.has_dyn_sized_stack, 0
	.set _ZN7rocprim17ROCPRIM_400000_NS6detail17trampoline_kernelINS0_14default_configENS1_38merge_sort_block_merge_config_selectorIhlEEZZNS1_27merge_sort_block_merge_implIS3_PhN6thrust23THRUST_200600_302600_NS10device_ptrIlEEjNS1_19radix_merge_compareILb0ELb0EhNS0_19identity_decomposerEEEEE10hipError_tT0_T1_T2_jT3_P12ihipStream_tbPNSt15iterator_traitsISG_E10value_typeEPNSM_ISH_E10value_typeEPSI_NS1_7vsmem_tEENKUlT_SG_SH_SI_E_clIS7_S7_PlSB_EESF_SV_SG_SH_SI_EUlSV_E_NS1_11comp_targetILNS1_3genE4ELNS1_11target_archE910ELNS1_3gpuE8ELNS1_3repE0EEENS1_48merge_mergepath_partition_config_static_selectorELNS0_4arch9wavefront6targetE1EEEvSH_.has_recursion, 0
	.set _ZN7rocprim17ROCPRIM_400000_NS6detail17trampoline_kernelINS0_14default_configENS1_38merge_sort_block_merge_config_selectorIhlEEZZNS1_27merge_sort_block_merge_implIS3_PhN6thrust23THRUST_200600_302600_NS10device_ptrIlEEjNS1_19radix_merge_compareILb0ELb0EhNS0_19identity_decomposerEEEEE10hipError_tT0_T1_T2_jT3_P12ihipStream_tbPNSt15iterator_traitsISG_E10value_typeEPNSM_ISH_E10value_typeEPSI_NS1_7vsmem_tEENKUlT_SG_SH_SI_E_clIS7_S7_PlSB_EESF_SV_SG_SH_SI_EUlSV_E_NS1_11comp_targetILNS1_3genE4ELNS1_11target_archE910ELNS1_3gpuE8ELNS1_3repE0EEENS1_48merge_mergepath_partition_config_static_selectorELNS0_4arch9wavefront6targetE1EEEvSH_.has_indirect_call, 0
	.section	.AMDGPU.csdata,"",@progbits
; Kernel info:
; codeLenInByte = 0
; TotalNumSgprs: 4
; NumVgprs: 0
; ScratchSize: 0
; MemoryBound: 0
; FloatMode: 240
; IeeeMode: 1
; LDSByteSize: 0 bytes/workgroup (compile time only)
; SGPRBlocks: 0
; VGPRBlocks: 0
; NumSGPRsForWavesPerEU: 4
; NumVGPRsForWavesPerEU: 1
; Occupancy: 10
; WaveLimiterHint : 0
; COMPUTE_PGM_RSRC2:SCRATCH_EN: 0
; COMPUTE_PGM_RSRC2:USER_SGPR: 6
; COMPUTE_PGM_RSRC2:TRAP_HANDLER: 0
; COMPUTE_PGM_RSRC2:TGID_X_EN: 1
; COMPUTE_PGM_RSRC2:TGID_Y_EN: 0
; COMPUTE_PGM_RSRC2:TGID_Z_EN: 0
; COMPUTE_PGM_RSRC2:TIDIG_COMP_CNT: 0
	.section	.text._ZN7rocprim17ROCPRIM_400000_NS6detail17trampoline_kernelINS0_14default_configENS1_38merge_sort_block_merge_config_selectorIhlEEZZNS1_27merge_sort_block_merge_implIS3_PhN6thrust23THRUST_200600_302600_NS10device_ptrIlEEjNS1_19radix_merge_compareILb0ELb0EhNS0_19identity_decomposerEEEEE10hipError_tT0_T1_T2_jT3_P12ihipStream_tbPNSt15iterator_traitsISG_E10value_typeEPNSM_ISH_E10value_typeEPSI_NS1_7vsmem_tEENKUlT_SG_SH_SI_E_clIS7_S7_PlSB_EESF_SV_SG_SH_SI_EUlSV_E_NS1_11comp_targetILNS1_3genE3ELNS1_11target_archE908ELNS1_3gpuE7ELNS1_3repE0EEENS1_48merge_mergepath_partition_config_static_selectorELNS0_4arch9wavefront6targetE1EEEvSH_,"axG",@progbits,_ZN7rocprim17ROCPRIM_400000_NS6detail17trampoline_kernelINS0_14default_configENS1_38merge_sort_block_merge_config_selectorIhlEEZZNS1_27merge_sort_block_merge_implIS3_PhN6thrust23THRUST_200600_302600_NS10device_ptrIlEEjNS1_19radix_merge_compareILb0ELb0EhNS0_19identity_decomposerEEEEE10hipError_tT0_T1_T2_jT3_P12ihipStream_tbPNSt15iterator_traitsISG_E10value_typeEPNSM_ISH_E10value_typeEPSI_NS1_7vsmem_tEENKUlT_SG_SH_SI_E_clIS7_S7_PlSB_EESF_SV_SG_SH_SI_EUlSV_E_NS1_11comp_targetILNS1_3genE3ELNS1_11target_archE908ELNS1_3gpuE7ELNS1_3repE0EEENS1_48merge_mergepath_partition_config_static_selectorELNS0_4arch9wavefront6targetE1EEEvSH_,comdat
	.protected	_ZN7rocprim17ROCPRIM_400000_NS6detail17trampoline_kernelINS0_14default_configENS1_38merge_sort_block_merge_config_selectorIhlEEZZNS1_27merge_sort_block_merge_implIS3_PhN6thrust23THRUST_200600_302600_NS10device_ptrIlEEjNS1_19radix_merge_compareILb0ELb0EhNS0_19identity_decomposerEEEEE10hipError_tT0_T1_T2_jT3_P12ihipStream_tbPNSt15iterator_traitsISG_E10value_typeEPNSM_ISH_E10value_typeEPSI_NS1_7vsmem_tEENKUlT_SG_SH_SI_E_clIS7_S7_PlSB_EESF_SV_SG_SH_SI_EUlSV_E_NS1_11comp_targetILNS1_3genE3ELNS1_11target_archE908ELNS1_3gpuE7ELNS1_3repE0EEENS1_48merge_mergepath_partition_config_static_selectorELNS0_4arch9wavefront6targetE1EEEvSH_ ; -- Begin function _ZN7rocprim17ROCPRIM_400000_NS6detail17trampoline_kernelINS0_14default_configENS1_38merge_sort_block_merge_config_selectorIhlEEZZNS1_27merge_sort_block_merge_implIS3_PhN6thrust23THRUST_200600_302600_NS10device_ptrIlEEjNS1_19radix_merge_compareILb0ELb0EhNS0_19identity_decomposerEEEEE10hipError_tT0_T1_T2_jT3_P12ihipStream_tbPNSt15iterator_traitsISG_E10value_typeEPNSM_ISH_E10value_typeEPSI_NS1_7vsmem_tEENKUlT_SG_SH_SI_E_clIS7_S7_PlSB_EESF_SV_SG_SH_SI_EUlSV_E_NS1_11comp_targetILNS1_3genE3ELNS1_11target_archE908ELNS1_3gpuE7ELNS1_3repE0EEENS1_48merge_mergepath_partition_config_static_selectorELNS0_4arch9wavefront6targetE1EEEvSH_
	.globl	_ZN7rocprim17ROCPRIM_400000_NS6detail17trampoline_kernelINS0_14default_configENS1_38merge_sort_block_merge_config_selectorIhlEEZZNS1_27merge_sort_block_merge_implIS3_PhN6thrust23THRUST_200600_302600_NS10device_ptrIlEEjNS1_19radix_merge_compareILb0ELb0EhNS0_19identity_decomposerEEEEE10hipError_tT0_T1_T2_jT3_P12ihipStream_tbPNSt15iterator_traitsISG_E10value_typeEPNSM_ISH_E10value_typeEPSI_NS1_7vsmem_tEENKUlT_SG_SH_SI_E_clIS7_S7_PlSB_EESF_SV_SG_SH_SI_EUlSV_E_NS1_11comp_targetILNS1_3genE3ELNS1_11target_archE908ELNS1_3gpuE7ELNS1_3repE0EEENS1_48merge_mergepath_partition_config_static_selectorELNS0_4arch9wavefront6targetE1EEEvSH_
	.p2align	8
	.type	_ZN7rocprim17ROCPRIM_400000_NS6detail17trampoline_kernelINS0_14default_configENS1_38merge_sort_block_merge_config_selectorIhlEEZZNS1_27merge_sort_block_merge_implIS3_PhN6thrust23THRUST_200600_302600_NS10device_ptrIlEEjNS1_19radix_merge_compareILb0ELb0EhNS0_19identity_decomposerEEEEE10hipError_tT0_T1_T2_jT3_P12ihipStream_tbPNSt15iterator_traitsISG_E10value_typeEPNSM_ISH_E10value_typeEPSI_NS1_7vsmem_tEENKUlT_SG_SH_SI_E_clIS7_S7_PlSB_EESF_SV_SG_SH_SI_EUlSV_E_NS1_11comp_targetILNS1_3genE3ELNS1_11target_archE908ELNS1_3gpuE7ELNS1_3repE0EEENS1_48merge_mergepath_partition_config_static_selectorELNS0_4arch9wavefront6targetE1EEEvSH_,@function
_ZN7rocprim17ROCPRIM_400000_NS6detail17trampoline_kernelINS0_14default_configENS1_38merge_sort_block_merge_config_selectorIhlEEZZNS1_27merge_sort_block_merge_implIS3_PhN6thrust23THRUST_200600_302600_NS10device_ptrIlEEjNS1_19radix_merge_compareILb0ELb0EhNS0_19identity_decomposerEEEEE10hipError_tT0_T1_T2_jT3_P12ihipStream_tbPNSt15iterator_traitsISG_E10value_typeEPNSM_ISH_E10value_typeEPSI_NS1_7vsmem_tEENKUlT_SG_SH_SI_E_clIS7_S7_PlSB_EESF_SV_SG_SH_SI_EUlSV_E_NS1_11comp_targetILNS1_3genE3ELNS1_11target_archE908ELNS1_3gpuE7ELNS1_3repE0EEENS1_48merge_mergepath_partition_config_static_selectorELNS0_4arch9wavefront6targetE1EEEvSH_: ; @_ZN7rocprim17ROCPRIM_400000_NS6detail17trampoline_kernelINS0_14default_configENS1_38merge_sort_block_merge_config_selectorIhlEEZZNS1_27merge_sort_block_merge_implIS3_PhN6thrust23THRUST_200600_302600_NS10device_ptrIlEEjNS1_19radix_merge_compareILb0ELb0EhNS0_19identity_decomposerEEEEE10hipError_tT0_T1_T2_jT3_P12ihipStream_tbPNSt15iterator_traitsISG_E10value_typeEPNSM_ISH_E10value_typeEPSI_NS1_7vsmem_tEENKUlT_SG_SH_SI_E_clIS7_S7_PlSB_EESF_SV_SG_SH_SI_EUlSV_E_NS1_11comp_targetILNS1_3genE3ELNS1_11target_archE908ELNS1_3gpuE7ELNS1_3repE0EEENS1_48merge_mergepath_partition_config_static_selectorELNS0_4arch9wavefront6targetE1EEEvSH_
; %bb.0:
	.section	.rodata,"a",@progbits
	.p2align	6, 0x0
	.amdhsa_kernel _ZN7rocprim17ROCPRIM_400000_NS6detail17trampoline_kernelINS0_14default_configENS1_38merge_sort_block_merge_config_selectorIhlEEZZNS1_27merge_sort_block_merge_implIS3_PhN6thrust23THRUST_200600_302600_NS10device_ptrIlEEjNS1_19radix_merge_compareILb0ELb0EhNS0_19identity_decomposerEEEEE10hipError_tT0_T1_T2_jT3_P12ihipStream_tbPNSt15iterator_traitsISG_E10value_typeEPNSM_ISH_E10value_typeEPSI_NS1_7vsmem_tEENKUlT_SG_SH_SI_E_clIS7_S7_PlSB_EESF_SV_SG_SH_SI_EUlSV_E_NS1_11comp_targetILNS1_3genE3ELNS1_11target_archE908ELNS1_3gpuE7ELNS1_3repE0EEENS1_48merge_mergepath_partition_config_static_selectorELNS0_4arch9wavefront6targetE1EEEvSH_
		.amdhsa_group_segment_fixed_size 0
		.amdhsa_private_segment_fixed_size 0
		.amdhsa_kernarg_size 40
		.amdhsa_user_sgpr_count 6
		.amdhsa_user_sgpr_private_segment_buffer 1
		.amdhsa_user_sgpr_dispatch_ptr 0
		.amdhsa_user_sgpr_queue_ptr 0
		.amdhsa_user_sgpr_kernarg_segment_ptr 1
		.amdhsa_user_sgpr_dispatch_id 0
		.amdhsa_user_sgpr_flat_scratch_init 0
		.amdhsa_user_sgpr_private_segment_size 0
		.amdhsa_uses_dynamic_stack 0
		.amdhsa_system_sgpr_private_segment_wavefront_offset 0
		.amdhsa_system_sgpr_workgroup_id_x 1
		.amdhsa_system_sgpr_workgroup_id_y 0
		.amdhsa_system_sgpr_workgroup_id_z 0
		.amdhsa_system_sgpr_workgroup_info 0
		.amdhsa_system_vgpr_workitem_id 0
		.amdhsa_next_free_vgpr 1
		.amdhsa_next_free_sgpr 0
		.amdhsa_reserve_vcc 0
		.amdhsa_reserve_flat_scratch 0
		.amdhsa_float_round_mode_32 0
		.amdhsa_float_round_mode_16_64 0
		.amdhsa_float_denorm_mode_32 3
		.amdhsa_float_denorm_mode_16_64 3
		.amdhsa_dx10_clamp 1
		.amdhsa_ieee_mode 1
		.amdhsa_fp16_overflow 0
		.amdhsa_exception_fp_ieee_invalid_op 0
		.amdhsa_exception_fp_denorm_src 0
		.amdhsa_exception_fp_ieee_div_zero 0
		.amdhsa_exception_fp_ieee_overflow 0
		.amdhsa_exception_fp_ieee_underflow 0
		.amdhsa_exception_fp_ieee_inexact 0
		.amdhsa_exception_int_div_zero 0
	.end_amdhsa_kernel
	.section	.text._ZN7rocprim17ROCPRIM_400000_NS6detail17trampoline_kernelINS0_14default_configENS1_38merge_sort_block_merge_config_selectorIhlEEZZNS1_27merge_sort_block_merge_implIS3_PhN6thrust23THRUST_200600_302600_NS10device_ptrIlEEjNS1_19radix_merge_compareILb0ELb0EhNS0_19identity_decomposerEEEEE10hipError_tT0_T1_T2_jT3_P12ihipStream_tbPNSt15iterator_traitsISG_E10value_typeEPNSM_ISH_E10value_typeEPSI_NS1_7vsmem_tEENKUlT_SG_SH_SI_E_clIS7_S7_PlSB_EESF_SV_SG_SH_SI_EUlSV_E_NS1_11comp_targetILNS1_3genE3ELNS1_11target_archE908ELNS1_3gpuE7ELNS1_3repE0EEENS1_48merge_mergepath_partition_config_static_selectorELNS0_4arch9wavefront6targetE1EEEvSH_,"axG",@progbits,_ZN7rocprim17ROCPRIM_400000_NS6detail17trampoline_kernelINS0_14default_configENS1_38merge_sort_block_merge_config_selectorIhlEEZZNS1_27merge_sort_block_merge_implIS3_PhN6thrust23THRUST_200600_302600_NS10device_ptrIlEEjNS1_19radix_merge_compareILb0ELb0EhNS0_19identity_decomposerEEEEE10hipError_tT0_T1_T2_jT3_P12ihipStream_tbPNSt15iterator_traitsISG_E10value_typeEPNSM_ISH_E10value_typeEPSI_NS1_7vsmem_tEENKUlT_SG_SH_SI_E_clIS7_S7_PlSB_EESF_SV_SG_SH_SI_EUlSV_E_NS1_11comp_targetILNS1_3genE3ELNS1_11target_archE908ELNS1_3gpuE7ELNS1_3repE0EEENS1_48merge_mergepath_partition_config_static_selectorELNS0_4arch9wavefront6targetE1EEEvSH_,comdat
.Lfunc_end128:
	.size	_ZN7rocprim17ROCPRIM_400000_NS6detail17trampoline_kernelINS0_14default_configENS1_38merge_sort_block_merge_config_selectorIhlEEZZNS1_27merge_sort_block_merge_implIS3_PhN6thrust23THRUST_200600_302600_NS10device_ptrIlEEjNS1_19radix_merge_compareILb0ELb0EhNS0_19identity_decomposerEEEEE10hipError_tT0_T1_T2_jT3_P12ihipStream_tbPNSt15iterator_traitsISG_E10value_typeEPNSM_ISH_E10value_typeEPSI_NS1_7vsmem_tEENKUlT_SG_SH_SI_E_clIS7_S7_PlSB_EESF_SV_SG_SH_SI_EUlSV_E_NS1_11comp_targetILNS1_3genE3ELNS1_11target_archE908ELNS1_3gpuE7ELNS1_3repE0EEENS1_48merge_mergepath_partition_config_static_selectorELNS0_4arch9wavefront6targetE1EEEvSH_, .Lfunc_end128-_ZN7rocprim17ROCPRIM_400000_NS6detail17trampoline_kernelINS0_14default_configENS1_38merge_sort_block_merge_config_selectorIhlEEZZNS1_27merge_sort_block_merge_implIS3_PhN6thrust23THRUST_200600_302600_NS10device_ptrIlEEjNS1_19radix_merge_compareILb0ELb0EhNS0_19identity_decomposerEEEEE10hipError_tT0_T1_T2_jT3_P12ihipStream_tbPNSt15iterator_traitsISG_E10value_typeEPNSM_ISH_E10value_typeEPSI_NS1_7vsmem_tEENKUlT_SG_SH_SI_E_clIS7_S7_PlSB_EESF_SV_SG_SH_SI_EUlSV_E_NS1_11comp_targetILNS1_3genE3ELNS1_11target_archE908ELNS1_3gpuE7ELNS1_3repE0EEENS1_48merge_mergepath_partition_config_static_selectorELNS0_4arch9wavefront6targetE1EEEvSH_
                                        ; -- End function
	.set _ZN7rocprim17ROCPRIM_400000_NS6detail17trampoline_kernelINS0_14default_configENS1_38merge_sort_block_merge_config_selectorIhlEEZZNS1_27merge_sort_block_merge_implIS3_PhN6thrust23THRUST_200600_302600_NS10device_ptrIlEEjNS1_19radix_merge_compareILb0ELb0EhNS0_19identity_decomposerEEEEE10hipError_tT0_T1_T2_jT3_P12ihipStream_tbPNSt15iterator_traitsISG_E10value_typeEPNSM_ISH_E10value_typeEPSI_NS1_7vsmem_tEENKUlT_SG_SH_SI_E_clIS7_S7_PlSB_EESF_SV_SG_SH_SI_EUlSV_E_NS1_11comp_targetILNS1_3genE3ELNS1_11target_archE908ELNS1_3gpuE7ELNS1_3repE0EEENS1_48merge_mergepath_partition_config_static_selectorELNS0_4arch9wavefront6targetE1EEEvSH_.num_vgpr, 0
	.set _ZN7rocprim17ROCPRIM_400000_NS6detail17trampoline_kernelINS0_14default_configENS1_38merge_sort_block_merge_config_selectorIhlEEZZNS1_27merge_sort_block_merge_implIS3_PhN6thrust23THRUST_200600_302600_NS10device_ptrIlEEjNS1_19radix_merge_compareILb0ELb0EhNS0_19identity_decomposerEEEEE10hipError_tT0_T1_T2_jT3_P12ihipStream_tbPNSt15iterator_traitsISG_E10value_typeEPNSM_ISH_E10value_typeEPSI_NS1_7vsmem_tEENKUlT_SG_SH_SI_E_clIS7_S7_PlSB_EESF_SV_SG_SH_SI_EUlSV_E_NS1_11comp_targetILNS1_3genE3ELNS1_11target_archE908ELNS1_3gpuE7ELNS1_3repE0EEENS1_48merge_mergepath_partition_config_static_selectorELNS0_4arch9wavefront6targetE1EEEvSH_.num_agpr, 0
	.set _ZN7rocprim17ROCPRIM_400000_NS6detail17trampoline_kernelINS0_14default_configENS1_38merge_sort_block_merge_config_selectorIhlEEZZNS1_27merge_sort_block_merge_implIS3_PhN6thrust23THRUST_200600_302600_NS10device_ptrIlEEjNS1_19radix_merge_compareILb0ELb0EhNS0_19identity_decomposerEEEEE10hipError_tT0_T1_T2_jT3_P12ihipStream_tbPNSt15iterator_traitsISG_E10value_typeEPNSM_ISH_E10value_typeEPSI_NS1_7vsmem_tEENKUlT_SG_SH_SI_E_clIS7_S7_PlSB_EESF_SV_SG_SH_SI_EUlSV_E_NS1_11comp_targetILNS1_3genE3ELNS1_11target_archE908ELNS1_3gpuE7ELNS1_3repE0EEENS1_48merge_mergepath_partition_config_static_selectorELNS0_4arch9wavefront6targetE1EEEvSH_.numbered_sgpr, 0
	.set _ZN7rocprim17ROCPRIM_400000_NS6detail17trampoline_kernelINS0_14default_configENS1_38merge_sort_block_merge_config_selectorIhlEEZZNS1_27merge_sort_block_merge_implIS3_PhN6thrust23THRUST_200600_302600_NS10device_ptrIlEEjNS1_19radix_merge_compareILb0ELb0EhNS0_19identity_decomposerEEEEE10hipError_tT0_T1_T2_jT3_P12ihipStream_tbPNSt15iterator_traitsISG_E10value_typeEPNSM_ISH_E10value_typeEPSI_NS1_7vsmem_tEENKUlT_SG_SH_SI_E_clIS7_S7_PlSB_EESF_SV_SG_SH_SI_EUlSV_E_NS1_11comp_targetILNS1_3genE3ELNS1_11target_archE908ELNS1_3gpuE7ELNS1_3repE0EEENS1_48merge_mergepath_partition_config_static_selectorELNS0_4arch9wavefront6targetE1EEEvSH_.num_named_barrier, 0
	.set _ZN7rocprim17ROCPRIM_400000_NS6detail17trampoline_kernelINS0_14default_configENS1_38merge_sort_block_merge_config_selectorIhlEEZZNS1_27merge_sort_block_merge_implIS3_PhN6thrust23THRUST_200600_302600_NS10device_ptrIlEEjNS1_19radix_merge_compareILb0ELb0EhNS0_19identity_decomposerEEEEE10hipError_tT0_T1_T2_jT3_P12ihipStream_tbPNSt15iterator_traitsISG_E10value_typeEPNSM_ISH_E10value_typeEPSI_NS1_7vsmem_tEENKUlT_SG_SH_SI_E_clIS7_S7_PlSB_EESF_SV_SG_SH_SI_EUlSV_E_NS1_11comp_targetILNS1_3genE3ELNS1_11target_archE908ELNS1_3gpuE7ELNS1_3repE0EEENS1_48merge_mergepath_partition_config_static_selectorELNS0_4arch9wavefront6targetE1EEEvSH_.private_seg_size, 0
	.set _ZN7rocprim17ROCPRIM_400000_NS6detail17trampoline_kernelINS0_14default_configENS1_38merge_sort_block_merge_config_selectorIhlEEZZNS1_27merge_sort_block_merge_implIS3_PhN6thrust23THRUST_200600_302600_NS10device_ptrIlEEjNS1_19radix_merge_compareILb0ELb0EhNS0_19identity_decomposerEEEEE10hipError_tT0_T1_T2_jT3_P12ihipStream_tbPNSt15iterator_traitsISG_E10value_typeEPNSM_ISH_E10value_typeEPSI_NS1_7vsmem_tEENKUlT_SG_SH_SI_E_clIS7_S7_PlSB_EESF_SV_SG_SH_SI_EUlSV_E_NS1_11comp_targetILNS1_3genE3ELNS1_11target_archE908ELNS1_3gpuE7ELNS1_3repE0EEENS1_48merge_mergepath_partition_config_static_selectorELNS0_4arch9wavefront6targetE1EEEvSH_.uses_vcc, 0
	.set _ZN7rocprim17ROCPRIM_400000_NS6detail17trampoline_kernelINS0_14default_configENS1_38merge_sort_block_merge_config_selectorIhlEEZZNS1_27merge_sort_block_merge_implIS3_PhN6thrust23THRUST_200600_302600_NS10device_ptrIlEEjNS1_19radix_merge_compareILb0ELb0EhNS0_19identity_decomposerEEEEE10hipError_tT0_T1_T2_jT3_P12ihipStream_tbPNSt15iterator_traitsISG_E10value_typeEPNSM_ISH_E10value_typeEPSI_NS1_7vsmem_tEENKUlT_SG_SH_SI_E_clIS7_S7_PlSB_EESF_SV_SG_SH_SI_EUlSV_E_NS1_11comp_targetILNS1_3genE3ELNS1_11target_archE908ELNS1_3gpuE7ELNS1_3repE0EEENS1_48merge_mergepath_partition_config_static_selectorELNS0_4arch9wavefront6targetE1EEEvSH_.uses_flat_scratch, 0
	.set _ZN7rocprim17ROCPRIM_400000_NS6detail17trampoline_kernelINS0_14default_configENS1_38merge_sort_block_merge_config_selectorIhlEEZZNS1_27merge_sort_block_merge_implIS3_PhN6thrust23THRUST_200600_302600_NS10device_ptrIlEEjNS1_19radix_merge_compareILb0ELb0EhNS0_19identity_decomposerEEEEE10hipError_tT0_T1_T2_jT3_P12ihipStream_tbPNSt15iterator_traitsISG_E10value_typeEPNSM_ISH_E10value_typeEPSI_NS1_7vsmem_tEENKUlT_SG_SH_SI_E_clIS7_S7_PlSB_EESF_SV_SG_SH_SI_EUlSV_E_NS1_11comp_targetILNS1_3genE3ELNS1_11target_archE908ELNS1_3gpuE7ELNS1_3repE0EEENS1_48merge_mergepath_partition_config_static_selectorELNS0_4arch9wavefront6targetE1EEEvSH_.has_dyn_sized_stack, 0
	.set _ZN7rocprim17ROCPRIM_400000_NS6detail17trampoline_kernelINS0_14default_configENS1_38merge_sort_block_merge_config_selectorIhlEEZZNS1_27merge_sort_block_merge_implIS3_PhN6thrust23THRUST_200600_302600_NS10device_ptrIlEEjNS1_19radix_merge_compareILb0ELb0EhNS0_19identity_decomposerEEEEE10hipError_tT0_T1_T2_jT3_P12ihipStream_tbPNSt15iterator_traitsISG_E10value_typeEPNSM_ISH_E10value_typeEPSI_NS1_7vsmem_tEENKUlT_SG_SH_SI_E_clIS7_S7_PlSB_EESF_SV_SG_SH_SI_EUlSV_E_NS1_11comp_targetILNS1_3genE3ELNS1_11target_archE908ELNS1_3gpuE7ELNS1_3repE0EEENS1_48merge_mergepath_partition_config_static_selectorELNS0_4arch9wavefront6targetE1EEEvSH_.has_recursion, 0
	.set _ZN7rocprim17ROCPRIM_400000_NS6detail17trampoline_kernelINS0_14default_configENS1_38merge_sort_block_merge_config_selectorIhlEEZZNS1_27merge_sort_block_merge_implIS3_PhN6thrust23THRUST_200600_302600_NS10device_ptrIlEEjNS1_19radix_merge_compareILb0ELb0EhNS0_19identity_decomposerEEEEE10hipError_tT0_T1_T2_jT3_P12ihipStream_tbPNSt15iterator_traitsISG_E10value_typeEPNSM_ISH_E10value_typeEPSI_NS1_7vsmem_tEENKUlT_SG_SH_SI_E_clIS7_S7_PlSB_EESF_SV_SG_SH_SI_EUlSV_E_NS1_11comp_targetILNS1_3genE3ELNS1_11target_archE908ELNS1_3gpuE7ELNS1_3repE0EEENS1_48merge_mergepath_partition_config_static_selectorELNS0_4arch9wavefront6targetE1EEEvSH_.has_indirect_call, 0
	.section	.AMDGPU.csdata,"",@progbits
; Kernel info:
; codeLenInByte = 0
; TotalNumSgprs: 4
; NumVgprs: 0
; ScratchSize: 0
; MemoryBound: 0
; FloatMode: 240
; IeeeMode: 1
; LDSByteSize: 0 bytes/workgroup (compile time only)
; SGPRBlocks: 0
; VGPRBlocks: 0
; NumSGPRsForWavesPerEU: 4
; NumVGPRsForWavesPerEU: 1
; Occupancy: 10
; WaveLimiterHint : 0
; COMPUTE_PGM_RSRC2:SCRATCH_EN: 0
; COMPUTE_PGM_RSRC2:USER_SGPR: 6
; COMPUTE_PGM_RSRC2:TRAP_HANDLER: 0
; COMPUTE_PGM_RSRC2:TGID_X_EN: 1
; COMPUTE_PGM_RSRC2:TGID_Y_EN: 0
; COMPUTE_PGM_RSRC2:TGID_Z_EN: 0
; COMPUTE_PGM_RSRC2:TIDIG_COMP_CNT: 0
	.section	.text._ZN7rocprim17ROCPRIM_400000_NS6detail17trampoline_kernelINS0_14default_configENS1_38merge_sort_block_merge_config_selectorIhlEEZZNS1_27merge_sort_block_merge_implIS3_PhN6thrust23THRUST_200600_302600_NS10device_ptrIlEEjNS1_19radix_merge_compareILb0ELb0EhNS0_19identity_decomposerEEEEE10hipError_tT0_T1_T2_jT3_P12ihipStream_tbPNSt15iterator_traitsISG_E10value_typeEPNSM_ISH_E10value_typeEPSI_NS1_7vsmem_tEENKUlT_SG_SH_SI_E_clIS7_S7_PlSB_EESF_SV_SG_SH_SI_EUlSV_E_NS1_11comp_targetILNS1_3genE2ELNS1_11target_archE906ELNS1_3gpuE6ELNS1_3repE0EEENS1_48merge_mergepath_partition_config_static_selectorELNS0_4arch9wavefront6targetE1EEEvSH_,"axG",@progbits,_ZN7rocprim17ROCPRIM_400000_NS6detail17trampoline_kernelINS0_14default_configENS1_38merge_sort_block_merge_config_selectorIhlEEZZNS1_27merge_sort_block_merge_implIS3_PhN6thrust23THRUST_200600_302600_NS10device_ptrIlEEjNS1_19radix_merge_compareILb0ELb0EhNS0_19identity_decomposerEEEEE10hipError_tT0_T1_T2_jT3_P12ihipStream_tbPNSt15iterator_traitsISG_E10value_typeEPNSM_ISH_E10value_typeEPSI_NS1_7vsmem_tEENKUlT_SG_SH_SI_E_clIS7_S7_PlSB_EESF_SV_SG_SH_SI_EUlSV_E_NS1_11comp_targetILNS1_3genE2ELNS1_11target_archE906ELNS1_3gpuE6ELNS1_3repE0EEENS1_48merge_mergepath_partition_config_static_selectorELNS0_4arch9wavefront6targetE1EEEvSH_,comdat
	.protected	_ZN7rocprim17ROCPRIM_400000_NS6detail17trampoline_kernelINS0_14default_configENS1_38merge_sort_block_merge_config_selectorIhlEEZZNS1_27merge_sort_block_merge_implIS3_PhN6thrust23THRUST_200600_302600_NS10device_ptrIlEEjNS1_19radix_merge_compareILb0ELb0EhNS0_19identity_decomposerEEEEE10hipError_tT0_T1_T2_jT3_P12ihipStream_tbPNSt15iterator_traitsISG_E10value_typeEPNSM_ISH_E10value_typeEPSI_NS1_7vsmem_tEENKUlT_SG_SH_SI_E_clIS7_S7_PlSB_EESF_SV_SG_SH_SI_EUlSV_E_NS1_11comp_targetILNS1_3genE2ELNS1_11target_archE906ELNS1_3gpuE6ELNS1_3repE0EEENS1_48merge_mergepath_partition_config_static_selectorELNS0_4arch9wavefront6targetE1EEEvSH_ ; -- Begin function _ZN7rocprim17ROCPRIM_400000_NS6detail17trampoline_kernelINS0_14default_configENS1_38merge_sort_block_merge_config_selectorIhlEEZZNS1_27merge_sort_block_merge_implIS3_PhN6thrust23THRUST_200600_302600_NS10device_ptrIlEEjNS1_19radix_merge_compareILb0ELb0EhNS0_19identity_decomposerEEEEE10hipError_tT0_T1_T2_jT3_P12ihipStream_tbPNSt15iterator_traitsISG_E10value_typeEPNSM_ISH_E10value_typeEPSI_NS1_7vsmem_tEENKUlT_SG_SH_SI_E_clIS7_S7_PlSB_EESF_SV_SG_SH_SI_EUlSV_E_NS1_11comp_targetILNS1_3genE2ELNS1_11target_archE906ELNS1_3gpuE6ELNS1_3repE0EEENS1_48merge_mergepath_partition_config_static_selectorELNS0_4arch9wavefront6targetE1EEEvSH_
	.globl	_ZN7rocprim17ROCPRIM_400000_NS6detail17trampoline_kernelINS0_14default_configENS1_38merge_sort_block_merge_config_selectorIhlEEZZNS1_27merge_sort_block_merge_implIS3_PhN6thrust23THRUST_200600_302600_NS10device_ptrIlEEjNS1_19radix_merge_compareILb0ELb0EhNS0_19identity_decomposerEEEEE10hipError_tT0_T1_T2_jT3_P12ihipStream_tbPNSt15iterator_traitsISG_E10value_typeEPNSM_ISH_E10value_typeEPSI_NS1_7vsmem_tEENKUlT_SG_SH_SI_E_clIS7_S7_PlSB_EESF_SV_SG_SH_SI_EUlSV_E_NS1_11comp_targetILNS1_3genE2ELNS1_11target_archE906ELNS1_3gpuE6ELNS1_3repE0EEENS1_48merge_mergepath_partition_config_static_selectorELNS0_4arch9wavefront6targetE1EEEvSH_
	.p2align	8
	.type	_ZN7rocprim17ROCPRIM_400000_NS6detail17trampoline_kernelINS0_14default_configENS1_38merge_sort_block_merge_config_selectorIhlEEZZNS1_27merge_sort_block_merge_implIS3_PhN6thrust23THRUST_200600_302600_NS10device_ptrIlEEjNS1_19radix_merge_compareILb0ELb0EhNS0_19identity_decomposerEEEEE10hipError_tT0_T1_T2_jT3_P12ihipStream_tbPNSt15iterator_traitsISG_E10value_typeEPNSM_ISH_E10value_typeEPSI_NS1_7vsmem_tEENKUlT_SG_SH_SI_E_clIS7_S7_PlSB_EESF_SV_SG_SH_SI_EUlSV_E_NS1_11comp_targetILNS1_3genE2ELNS1_11target_archE906ELNS1_3gpuE6ELNS1_3repE0EEENS1_48merge_mergepath_partition_config_static_selectorELNS0_4arch9wavefront6targetE1EEEvSH_,@function
_ZN7rocprim17ROCPRIM_400000_NS6detail17trampoline_kernelINS0_14default_configENS1_38merge_sort_block_merge_config_selectorIhlEEZZNS1_27merge_sort_block_merge_implIS3_PhN6thrust23THRUST_200600_302600_NS10device_ptrIlEEjNS1_19radix_merge_compareILb0ELb0EhNS0_19identity_decomposerEEEEE10hipError_tT0_T1_T2_jT3_P12ihipStream_tbPNSt15iterator_traitsISG_E10value_typeEPNSM_ISH_E10value_typeEPSI_NS1_7vsmem_tEENKUlT_SG_SH_SI_E_clIS7_S7_PlSB_EESF_SV_SG_SH_SI_EUlSV_E_NS1_11comp_targetILNS1_3genE2ELNS1_11target_archE906ELNS1_3gpuE6ELNS1_3repE0EEENS1_48merge_mergepath_partition_config_static_selectorELNS0_4arch9wavefront6targetE1EEEvSH_: ; @_ZN7rocprim17ROCPRIM_400000_NS6detail17trampoline_kernelINS0_14default_configENS1_38merge_sort_block_merge_config_selectorIhlEEZZNS1_27merge_sort_block_merge_implIS3_PhN6thrust23THRUST_200600_302600_NS10device_ptrIlEEjNS1_19radix_merge_compareILb0ELb0EhNS0_19identity_decomposerEEEEE10hipError_tT0_T1_T2_jT3_P12ihipStream_tbPNSt15iterator_traitsISG_E10value_typeEPNSM_ISH_E10value_typeEPSI_NS1_7vsmem_tEENKUlT_SG_SH_SI_E_clIS7_S7_PlSB_EESF_SV_SG_SH_SI_EUlSV_E_NS1_11comp_targetILNS1_3genE2ELNS1_11target_archE906ELNS1_3gpuE6ELNS1_3repE0EEENS1_48merge_mergepath_partition_config_static_selectorELNS0_4arch9wavefront6targetE1EEEvSH_
; %bb.0:
	s_load_dword s0, s[4:5], 0x0
	v_lshl_or_b32 v0, s6, 7, v0
	s_waitcnt lgkmcnt(0)
	v_cmp_gt_u32_e32 vcc, s0, v0
	s_and_saveexec_b64 s[0:1], vcc
	s_cbranch_execz .LBB129_6
; %bb.1:
	s_load_dwordx2 s[2:3], s[4:5], 0x4
	s_load_dwordx2 s[0:1], s[4:5], 0x20
	s_waitcnt lgkmcnt(0)
	s_lshr_b32 s6, s2, 9
	s_and_b32 s6, s6, 0x7ffffe
	s_add_i32 s7, s6, -1
	s_sub_i32 s6, 0, s6
	v_and_b32_e32 v1, s6, v0
	v_lshlrev_b32_e32 v3, 10, v1
	v_min_u32_e32 v1, s3, v3
	v_add_u32_e32 v3, s2, v3
	v_min_u32_e32 v7, s3, v3
	v_add_u32_e32 v3, s2, v7
	v_and_b32_e32 v2, s7, v0
	v_min_u32_e32 v4, s3, v3
	v_sub_u32_e32 v3, v4, v1
	v_lshlrev_b32_e32 v2, 10, v2
	v_min_u32_e32 v3, v3, v2
	v_sub_u32_e32 v5, v7, v1
	v_sub_u32_e32 v2, v4, v7
	v_sub_u32_e64 v2, v3, v2 clamp
	v_min_u32_e32 v4, v3, v5
	v_cmp_lt_u32_e32 vcc, v2, v4
	s_and_saveexec_b64 s[2:3], vcc
	s_cbranch_execz .LBB129_5
; %bb.2:
	s_load_dwordx2 s[4:5], s[4:5], 0x10
	s_waitcnt lgkmcnt(0)
	v_mov_b32_e32 v8, s5
	v_add_co_u32_e32 v5, vcc, s4, v1
	v_addc_co_u32_e32 v6, vcc, 0, v8, vcc
	v_add_co_u32_e32 v7, vcc, s4, v7
	v_addc_co_u32_e32 v8, vcc, 0, v8, vcc
	s_mov_b64 s[4:5], 0
.LBB129_3:                              ; =>This Inner Loop Header: Depth=1
	v_add_u32_e32 v9, v4, v2
	v_lshrrev_b32_e32 v13, 1, v9
	v_add_co_u32_e32 v9, vcc, v5, v13
	v_xad_u32 v11, v13, -1, v3
	v_addc_co_u32_e32 v10, vcc, 0, v6, vcc
	v_add_co_u32_e32 v11, vcc, v7, v11
	v_addc_co_u32_e32 v12, vcc, 0, v8, vcc
	global_load_ubyte v14, v[9:10], off
	global_load_ubyte v15, v[11:12], off
	v_add_u32_e32 v9, 1, v13
	s_waitcnt vmcnt(0)
	v_cmp_gt_u16_e32 vcc, v14, v15
	v_cndmask_b32_e32 v4, v4, v13, vcc
	v_cndmask_b32_e32 v2, v9, v2, vcc
	v_cmp_ge_u32_e32 vcc, v2, v4
	s_or_b64 s[4:5], vcc, s[4:5]
	s_andn2_b64 exec, exec, s[4:5]
	s_cbranch_execnz .LBB129_3
; %bb.4:
	s_or_b64 exec, exec, s[4:5]
.LBB129_5:
	s_or_b64 exec, exec, s[2:3]
	v_add_u32_e32 v2, v2, v1
	v_mov_b32_e32 v1, 0
	v_lshlrev_b64 v[0:1], 2, v[0:1]
	v_mov_b32_e32 v3, s1
	v_add_co_u32_e32 v0, vcc, s0, v0
	v_addc_co_u32_e32 v1, vcc, v3, v1, vcc
	global_store_dword v[0:1], v2, off
.LBB129_6:
	s_endpgm
	.section	.rodata,"a",@progbits
	.p2align	6, 0x0
	.amdhsa_kernel _ZN7rocprim17ROCPRIM_400000_NS6detail17trampoline_kernelINS0_14default_configENS1_38merge_sort_block_merge_config_selectorIhlEEZZNS1_27merge_sort_block_merge_implIS3_PhN6thrust23THRUST_200600_302600_NS10device_ptrIlEEjNS1_19radix_merge_compareILb0ELb0EhNS0_19identity_decomposerEEEEE10hipError_tT0_T1_T2_jT3_P12ihipStream_tbPNSt15iterator_traitsISG_E10value_typeEPNSM_ISH_E10value_typeEPSI_NS1_7vsmem_tEENKUlT_SG_SH_SI_E_clIS7_S7_PlSB_EESF_SV_SG_SH_SI_EUlSV_E_NS1_11comp_targetILNS1_3genE2ELNS1_11target_archE906ELNS1_3gpuE6ELNS1_3repE0EEENS1_48merge_mergepath_partition_config_static_selectorELNS0_4arch9wavefront6targetE1EEEvSH_
		.amdhsa_group_segment_fixed_size 0
		.amdhsa_private_segment_fixed_size 0
		.amdhsa_kernarg_size 40
		.amdhsa_user_sgpr_count 6
		.amdhsa_user_sgpr_private_segment_buffer 1
		.amdhsa_user_sgpr_dispatch_ptr 0
		.amdhsa_user_sgpr_queue_ptr 0
		.amdhsa_user_sgpr_kernarg_segment_ptr 1
		.amdhsa_user_sgpr_dispatch_id 0
		.amdhsa_user_sgpr_flat_scratch_init 0
		.amdhsa_user_sgpr_private_segment_size 0
		.amdhsa_uses_dynamic_stack 0
		.amdhsa_system_sgpr_private_segment_wavefront_offset 0
		.amdhsa_system_sgpr_workgroup_id_x 1
		.amdhsa_system_sgpr_workgroup_id_y 0
		.amdhsa_system_sgpr_workgroup_id_z 0
		.amdhsa_system_sgpr_workgroup_info 0
		.amdhsa_system_vgpr_workitem_id 0
		.amdhsa_next_free_vgpr 16
		.amdhsa_next_free_sgpr 8
		.amdhsa_reserve_vcc 1
		.amdhsa_reserve_flat_scratch 0
		.amdhsa_float_round_mode_32 0
		.amdhsa_float_round_mode_16_64 0
		.amdhsa_float_denorm_mode_32 3
		.amdhsa_float_denorm_mode_16_64 3
		.amdhsa_dx10_clamp 1
		.amdhsa_ieee_mode 1
		.amdhsa_fp16_overflow 0
		.amdhsa_exception_fp_ieee_invalid_op 0
		.amdhsa_exception_fp_denorm_src 0
		.amdhsa_exception_fp_ieee_div_zero 0
		.amdhsa_exception_fp_ieee_overflow 0
		.amdhsa_exception_fp_ieee_underflow 0
		.amdhsa_exception_fp_ieee_inexact 0
		.amdhsa_exception_int_div_zero 0
	.end_amdhsa_kernel
	.section	.text._ZN7rocprim17ROCPRIM_400000_NS6detail17trampoline_kernelINS0_14default_configENS1_38merge_sort_block_merge_config_selectorIhlEEZZNS1_27merge_sort_block_merge_implIS3_PhN6thrust23THRUST_200600_302600_NS10device_ptrIlEEjNS1_19radix_merge_compareILb0ELb0EhNS0_19identity_decomposerEEEEE10hipError_tT0_T1_T2_jT3_P12ihipStream_tbPNSt15iterator_traitsISG_E10value_typeEPNSM_ISH_E10value_typeEPSI_NS1_7vsmem_tEENKUlT_SG_SH_SI_E_clIS7_S7_PlSB_EESF_SV_SG_SH_SI_EUlSV_E_NS1_11comp_targetILNS1_3genE2ELNS1_11target_archE906ELNS1_3gpuE6ELNS1_3repE0EEENS1_48merge_mergepath_partition_config_static_selectorELNS0_4arch9wavefront6targetE1EEEvSH_,"axG",@progbits,_ZN7rocprim17ROCPRIM_400000_NS6detail17trampoline_kernelINS0_14default_configENS1_38merge_sort_block_merge_config_selectorIhlEEZZNS1_27merge_sort_block_merge_implIS3_PhN6thrust23THRUST_200600_302600_NS10device_ptrIlEEjNS1_19radix_merge_compareILb0ELb0EhNS0_19identity_decomposerEEEEE10hipError_tT0_T1_T2_jT3_P12ihipStream_tbPNSt15iterator_traitsISG_E10value_typeEPNSM_ISH_E10value_typeEPSI_NS1_7vsmem_tEENKUlT_SG_SH_SI_E_clIS7_S7_PlSB_EESF_SV_SG_SH_SI_EUlSV_E_NS1_11comp_targetILNS1_3genE2ELNS1_11target_archE906ELNS1_3gpuE6ELNS1_3repE0EEENS1_48merge_mergepath_partition_config_static_selectorELNS0_4arch9wavefront6targetE1EEEvSH_,comdat
.Lfunc_end129:
	.size	_ZN7rocprim17ROCPRIM_400000_NS6detail17trampoline_kernelINS0_14default_configENS1_38merge_sort_block_merge_config_selectorIhlEEZZNS1_27merge_sort_block_merge_implIS3_PhN6thrust23THRUST_200600_302600_NS10device_ptrIlEEjNS1_19radix_merge_compareILb0ELb0EhNS0_19identity_decomposerEEEEE10hipError_tT0_T1_T2_jT3_P12ihipStream_tbPNSt15iterator_traitsISG_E10value_typeEPNSM_ISH_E10value_typeEPSI_NS1_7vsmem_tEENKUlT_SG_SH_SI_E_clIS7_S7_PlSB_EESF_SV_SG_SH_SI_EUlSV_E_NS1_11comp_targetILNS1_3genE2ELNS1_11target_archE906ELNS1_3gpuE6ELNS1_3repE0EEENS1_48merge_mergepath_partition_config_static_selectorELNS0_4arch9wavefront6targetE1EEEvSH_, .Lfunc_end129-_ZN7rocprim17ROCPRIM_400000_NS6detail17trampoline_kernelINS0_14default_configENS1_38merge_sort_block_merge_config_selectorIhlEEZZNS1_27merge_sort_block_merge_implIS3_PhN6thrust23THRUST_200600_302600_NS10device_ptrIlEEjNS1_19radix_merge_compareILb0ELb0EhNS0_19identity_decomposerEEEEE10hipError_tT0_T1_T2_jT3_P12ihipStream_tbPNSt15iterator_traitsISG_E10value_typeEPNSM_ISH_E10value_typeEPSI_NS1_7vsmem_tEENKUlT_SG_SH_SI_E_clIS7_S7_PlSB_EESF_SV_SG_SH_SI_EUlSV_E_NS1_11comp_targetILNS1_3genE2ELNS1_11target_archE906ELNS1_3gpuE6ELNS1_3repE0EEENS1_48merge_mergepath_partition_config_static_selectorELNS0_4arch9wavefront6targetE1EEEvSH_
                                        ; -- End function
	.set _ZN7rocprim17ROCPRIM_400000_NS6detail17trampoline_kernelINS0_14default_configENS1_38merge_sort_block_merge_config_selectorIhlEEZZNS1_27merge_sort_block_merge_implIS3_PhN6thrust23THRUST_200600_302600_NS10device_ptrIlEEjNS1_19radix_merge_compareILb0ELb0EhNS0_19identity_decomposerEEEEE10hipError_tT0_T1_T2_jT3_P12ihipStream_tbPNSt15iterator_traitsISG_E10value_typeEPNSM_ISH_E10value_typeEPSI_NS1_7vsmem_tEENKUlT_SG_SH_SI_E_clIS7_S7_PlSB_EESF_SV_SG_SH_SI_EUlSV_E_NS1_11comp_targetILNS1_3genE2ELNS1_11target_archE906ELNS1_3gpuE6ELNS1_3repE0EEENS1_48merge_mergepath_partition_config_static_selectorELNS0_4arch9wavefront6targetE1EEEvSH_.num_vgpr, 16
	.set _ZN7rocprim17ROCPRIM_400000_NS6detail17trampoline_kernelINS0_14default_configENS1_38merge_sort_block_merge_config_selectorIhlEEZZNS1_27merge_sort_block_merge_implIS3_PhN6thrust23THRUST_200600_302600_NS10device_ptrIlEEjNS1_19radix_merge_compareILb0ELb0EhNS0_19identity_decomposerEEEEE10hipError_tT0_T1_T2_jT3_P12ihipStream_tbPNSt15iterator_traitsISG_E10value_typeEPNSM_ISH_E10value_typeEPSI_NS1_7vsmem_tEENKUlT_SG_SH_SI_E_clIS7_S7_PlSB_EESF_SV_SG_SH_SI_EUlSV_E_NS1_11comp_targetILNS1_3genE2ELNS1_11target_archE906ELNS1_3gpuE6ELNS1_3repE0EEENS1_48merge_mergepath_partition_config_static_selectorELNS0_4arch9wavefront6targetE1EEEvSH_.num_agpr, 0
	.set _ZN7rocprim17ROCPRIM_400000_NS6detail17trampoline_kernelINS0_14default_configENS1_38merge_sort_block_merge_config_selectorIhlEEZZNS1_27merge_sort_block_merge_implIS3_PhN6thrust23THRUST_200600_302600_NS10device_ptrIlEEjNS1_19radix_merge_compareILb0ELb0EhNS0_19identity_decomposerEEEEE10hipError_tT0_T1_T2_jT3_P12ihipStream_tbPNSt15iterator_traitsISG_E10value_typeEPNSM_ISH_E10value_typeEPSI_NS1_7vsmem_tEENKUlT_SG_SH_SI_E_clIS7_S7_PlSB_EESF_SV_SG_SH_SI_EUlSV_E_NS1_11comp_targetILNS1_3genE2ELNS1_11target_archE906ELNS1_3gpuE6ELNS1_3repE0EEENS1_48merge_mergepath_partition_config_static_selectorELNS0_4arch9wavefront6targetE1EEEvSH_.numbered_sgpr, 8
	.set _ZN7rocprim17ROCPRIM_400000_NS6detail17trampoline_kernelINS0_14default_configENS1_38merge_sort_block_merge_config_selectorIhlEEZZNS1_27merge_sort_block_merge_implIS3_PhN6thrust23THRUST_200600_302600_NS10device_ptrIlEEjNS1_19radix_merge_compareILb0ELb0EhNS0_19identity_decomposerEEEEE10hipError_tT0_T1_T2_jT3_P12ihipStream_tbPNSt15iterator_traitsISG_E10value_typeEPNSM_ISH_E10value_typeEPSI_NS1_7vsmem_tEENKUlT_SG_SH_SI_E_clIS7_S7_PlSB_EESF_SV_SG_SH_SI_EUlSV_E_NS1_11comp_targetILNS1_3genE2ELNS1_11target_archE906ELNS1_3gpuE6ELNS1_3repE0EEENS1_48merge_mergepath_partition_config_static_selectorELNS0_4arch9wavefront6targetE1EEEvSH_.num_named_barrier, 0
	.set _ZN7rocprim17ROCPRIM_400000_NS6detail17trampoline_kernelINS0_14default_configENS1_38merge_sort_block_merge_config_selectorIhlEEZZNS1_27merge_sort_block_merge_implIS3_PhN6thrust23THRUST_200600_302600_NS10device_ptrIlEEjNS1_19radix_merge_compareILb0ELb0EhNS0_19identity_decomposerEEEEE10hipError_tT0_T1_T2_jT3_P12ihipStream_tbPNSt15iterator_traitsISG_E10value_typeEPNSM_ISH_E10value_typeEPSI_NS1_7vsmem_tEENKUlT_SG_SH_SI_E_clIS7_S7_PlSB_EESF_SV_SG_SH_SI_EUlSV_E_NS1_11comp_targetILNS1_3genE2ELNS1_11target_archE906ELNS1_3gpuE6ELNS1_3repE0EEENS1_48merge_mergepath_partition_config_static_selectorELNS0_4arch9wavefront6targetE1EEEvSH_.private_seg_size, 0
	.set _ZN7rocprim17ROCPRIM_400000_NS6detail17trampoline_kernelINS0_14default_configENS1_38merge_sort_block_merge_config_selectorIhlEEZZNS1_27merge_sort_block_merge_implIS3_PhN6thrust23THRUST_200600_302600_NS10device_ptrIlEEjNS1_19radix_merge_compareILb0ELb0EhNS0_19identity_decomposerEEEEE10hipError_tT0_T1_T2_jT3_P12ihipStream_tbPNSt15iterator_traitsISG_E10value_typeEPNSM_ISH_E10value_typeEPSI_NS1_7vsmem_tEENKUlT_SG_SH_SI_E_clIS7_S7_PlSB_EESF_SV_SG_SH_SI_EUlSV_E_NS1_11comp_targetILNS1_3genE2ELNS1_11target_archE906ELNS1_3gpuE6ELNS1_3repE0EEENS1_48merge_mergepath_partition_config_static_selectorELNS0_4arch9wavefront6targetE1EEEvSH_.uses_vcc, 1
	.set _ZN7rocprim17ROCPRIM_400000_NS6detail17trampoline_kernelINS0_14default_configENS1_38merge_sort_block_merge_config_selectorIhlEEZZNS1_27merge_sort_block_merge_implIS3_PhN6thrust23THRUST_200600_302600_NS10device_ptrIlEEjNS1_19radix_merge_compareILb0ELb0EhNS0_19identity_decomposerEEEEE10hipError_tT0_T1_T2_jT3_P12ihipStream_tbPNSt15iterator_traitsISG_E10value_typeEPNSM_ISH_E10value_typeEPSI_NS1_7vsmem_tEENKUlT_SG_SH_SI_E_clIS7_S7_PlSB_EESF_SV_SG_SH_SI_EUlSV_E_NS1_11comp_targetILNS1_3genE2ELNS1_11target_archE906ELNS1_3gpuE6ELNS1_3repE0EEENS1_48merge_mergepath_partition_config_static_selectorELNS0_4arch9wavefront6targetE1EEEvSH_.uses_flat_scratch, 0
	.set _ZN7rocprim17ROCPRIM_400000_NS6detail17trampoline_kernelINS0_14default_configENS1_38merge_sort_block_merge_config_selectorIhlEEZZNS1_27merge_sort_block_merge_implIS3_PhN6thrust23THRUST_200600_302600_NS10device_ptrIlEEjNS1_19radix_merge_compareILb0ELb0EhNS0_19identity_decomposerEEEEE10hipError_tT0_T1_T2_jT3_P12ihipStream_tbPNSt15iterator_traitsISG_E10value_typeEPNSM_ISH_E10value_typeEPSI_NS1_7vsmem_tEENKUlT_SG_SH_SI_E_clIS7_S7_PlSB_EESF_SV_SG_SH_SI_EUlSV_E_NS1_11comp_targetILNS1_3genE2ELNS1_11target_archE906ELNS1_3gpuE6ELNS1_3repE0EEENS1_48merge_mergepath_partition_config_static_selectorELNS0_4arch9wavefront6targetE1EEEvSH_.has_dyn_sized_stack, 0
	.set _ZN7rocprim17ROCPRIM_400000_NS6detail17trampoline_kernelINS0_14default_configENS1_38merge_sort_block_merge_config_selectorIhlEEZZNS1_27merge_sort_block_merge_implIS3_PhN6thrust23THRUST_200600_302600_NS10device_ptrIlEEjNS1_19radix_merge_compareILb0ELb0EhNS0_19identity_decomposerEEEEE10hipError_tT0_T1_T2_jT3_P12ihipStream_tbPNSt15iterator_traitsISG_E10value_typeEPNSM_ISH_E10value_typeEPSI_NS1_7vsmem_tEENKUlT_SG_SH_SI_E_clIS7_S7_PlSB_EESF_SV_SG_SH_SI_EUlSV_E_NS1_11comp_targetILNS1_3genE2ELNS1_11target_archE906ELNS1_3gpuE6ELNS1_3repE0EEENS1_48merge_mergepath_partition_config_static_selectorELNS0_4arch9wavefront6targetE1EEEvSH_.has_recursion, 0
	.set _ZN7rocprim17ROCPRIM_400000_NS6detail17trampoline_kernelINS0_14default_configENS1_38merge_sort_block_merge_config_selectorIhlEEZZNS1_27merge_sort_block_merge_implIS3_PhN6thrust23THRUST_200600_302600_NS10device_ptrIlEEjNS1_19radix_merge_compareILb0ELb0EhNS0_19identity_decomposerEEEEE10hipError_tT0_T1_T2_jT3_P12ihipStream_tbPNSt15iterator_traitsISG_E10value_typeEPNSM_ISH_E10value_typeEPSI_NS1_7vsmem_tEENKUlT_SG_SH_SI_E_clIS7_S7_PlSB_EESF_SV_SG_SH_SI_EUlSV_E_NS1_11comp_targetILNS1_3genE2ELNS1_11target_archE906ELNS1_3gpuE6ELNS1_3repE0EEENS1_48merge_mergepath_partition_config_static_selectorELNS0_4arch9wavefront6targetE1EEEvSH_.has_indirect_call, 0
	.section	.AMDGPU.csdata,"",@progbits
; Kernel info:
; codeLenInByte = 316
; TotalNumSgprs: 12
; NumVgprs: 16
; ScratchSize: 0
; MemoryBound: 0
; FloatMode: 240
; IeeeMode: 1
; LDSByteSize: 0 bytes/workgroup (compile time only)
; SGPRBlocks: 1
; VGPRBlocks: 3
; NumSGPRsForWavesPerEU: 12
; NumVGPRsForWavesPerEU: 16
; Occupancy: 10
; WaveLimiterHint : 0
; COMPUTE_PGM_RSRC2:SCRATCH_EN: 0
; COMPUTE_PGM_RSRC2:USER_SGPR: 6
; COMPUTE_PGM_RSRC2:TRAP_HANDLER: 0
; COMPUTE_PGM_RSRC2:TGID_X_EN: 1
; COMPUTE_PGM_RSRC2:TGID_Y_EN: 0
; COMPUTE_PGM_RSRC2:TGID_Z_EN: 0
; COMPUTE_PGM_RSRC2:TIDIG_COMP_CNT: 0
	.section	.text._ZN7rocprim17ROCPRIM_400000_NS6detail17trampoline_kernelINS0_14default_configENS1_38merge_sort_block_merge_config_selectorIhlEEZZNS1_27merge_sort_block_merge_implIS3_PhN6thrust23THRUST_200600_302600_NS10device_ptrIlEEjNS1_19radix_merge_compareILb0ELb0EhNS0_19identity_decomposerEEEEE10hipError_tT0_T1_T2_jT3_P12ihipStream_tbPNSt15iterator_traitsISG_E10value_typeEPNSM_ISH_E10value_typeEPSI_NS1_7vsmem_tEENKUlT_SG_SH_SI_E_clIS7_S7_PlSB_EESF_SV_SG_SH_SI_EUlSV_E_NS1_11comp_targetILNS1_3genE9ELNS1_11target_archE1100ELNS1_3gpuE3ELNS1_3repE0EEENS1_48merge_mergepath_partition_config_static_selectorELNS0_4arch9wavefront6targetE1EEEvSH_,"axG",@progbits,_ZN7rocprim17ROCPRIM_400000_NS6detail17trampoline_kernelINS0_14default_configENS1_38merge_sort_block_merge_config_selectorIhlEEZZNS1_27merge_sort_block_merge_implIS3_PhN6thrust23THRUST_200600_302600_NS10device_ptrIlEEjNS1_19radix_merge_compareILb0ELb0EhNS0_19identity_decomposerEEEEE10hipError_tT0_T1_T2_jT3_P12ihipStream_tbPNSt15iterator_traitsISG_E10value_typeEPNSM_ISH_E10value_typeEPSI_NS1_7vsmem_tEENKUlT_SG_SH_SI_E_clIS7_S7_PlSB_EESF_SV_SG_SH_SI_EUlSV_E_NS1_11comp_targetILNS1_3genE9ELNS1_11target_archE1100ELNS1_3gpuE3ELNS1_3repE0EEENS1_48merge_mergepath_partition_config_static_selectorELNS0_4arch9wavefront6targetE1EEEvSH_,comdat
	.protected	_ZN7rocprim17ROCPRIM_400000_NS6detail17trampoline_kernelINS0_14default_configENS1_38merge_sort_block_merge_config_selectorIhlEEZZNS1_27merge_sort_block_merge_implIS3_PhN6thrust23THRUST_200600_302600_NS10device_ptrIlEEjNS1_19radix_merge_compareILb0ELb0EhNS0_19identity_decomposerEEEEE10hipError_tT0_T1_T2_jT3_P12ihipStream_tbPNSt15iterator_traitsISG_E10value_typeEPNSM_ISH_E10value_typeEPSI_NS1_7vsmem_tEENKUlT_SG_SH_SI_E_clIS7_S7_PlSB_EESF_SV_SG_SH_SI_EUlSV_E_NS1_11comp_targetILNS1_3genE9ELNS1_11target_archE1100ELNS1_3gpuE3ELNS1_3repE0EEENS1_48merge_mergepath_partition_config_static_selectorELNS0_4arch9wavefront6targetE1EEEvSH_ ; -- Begin function _ZN7rocprim17ROCPRIM_400000_NS6detail17trampoline_kernelINS0_14default_configENS1_38merge_sort_block_merge_config_selectorIhlEEZZNS1_27merge_sort_block_merge_implIS3_PhN6thrust23THRUST_200600_302600_NS10device_ptrIlEEjNS1_19radix_merge_compareILb0ELb0EhNS0_19identity_decomposerEEEEE10hipError_tT0_T1_T2_jT3_P12ihipStream_tbPNSt15iterator_traitsISG_E10value_typeEPNSM_ISH_E10value_typeEPSI_NS1_7vsmem_tEENKUlT_SG_SH_SI_E_clIS7_S7_PlSB_EESF_SV_SG_SH_SI_EUlSV_E_NS1_11comp_targetILNS1_3genE9ELNS1_11target_archE1100ELNS1_3gpuE3ELNS1_3repE0EEENS1_48merge_mergepath_partition_config_static_selectorELNS0_4arch9wavefront6targetE1EEEvSH_
	.globl	_ZN7rocprim17ROCPRIM_400000_NS6detail17trampoline_kernelINS0_14default_configENS1_38merge_sort_block_merge_config_selectorIhlEEZZNS1_27merge_sort_block_merge_implIS3_PhN6thrust23THRUST_200600_302600_NS10device_ptrIlEEjNS1_19radix_merge_compareILb0ELb0EhNS0_19identity_decomposerEEEEE10hipError_tT0_T1_T2_jT3_P12ihipStream_tbPNSt15iterator_traitsISG_E10value_typeEPNSM_ISH_E10value_typeEPSI_NS1_7vsmem_tEENKUlT_SG_SH_SI_E_clIS7_S7_PlSB_EESF_SV_SG_SH_SI_EUlSV_E_NS1_11comp_targetILNS1_3genE9ELNS1_11target_archE1100ELNS1_3gpuE3ELNS1_3repE0EEENS1_48merge_mergepath_partition_config_static_selectorELNS0_4arch9wavefront6targetE1EEEvSH_
	.p2align	8
	.type	_ZN7rocprim17ROCPRIM_400000_NS6detail17trampoline_kernelINS0_14default_configENS1_38merge_sort_block_merge_config_selectorIhlEEZZNS1_27merge_sort_block_merge_implIS3_PhN6thrust23THRUST_200600_302600_NS10device_ptrIlEEjNS1_19radix_merge_compareILb0ELb0EhNS0_19identity_decomposerEEEEE10hipError_tT0_T1_T2_jT3_P12ihipStream_tbPNSt15iterator_traitsISG_E10value_typeEPNSM_ISH_E10value_typeEPSI_NS1_7vsmem_tEENKUlT_SG_SH_SI_E_clIS7_S7_PlSB_EESF_SV_SG_SH_SI_EUlSV_E_NS1_11comp_targetILNS1_3genE9ELNS1_11target_archE1100ELNS1_3gpuE3ELNS1_3repE0EEENS1_48merge_mergepath_partition_config_static_selectorELNS0_4arch9wavefront6targetE1EEEvSH_,@function
_ZN7rocprim17ROCPRIM_400000_NS6detail17trampoline_kernelINS0_14default_configENS1_38merge_sort_block_merge_config_selectorIhlEEZZNS1_27merge_sort_block_merge_implIS3_PhN6thrust23THRUST_200600_302600_NS10device_ptrIlEEjNS1_19radix_merge_compareILb0ELb0EhNS0_19identity_decomposerEEEEE10hipError_tT0_T1_T2_jT3_P12ihipStream_tbPNSt15iterator_traitsISG_E10value_typeEPNSM_ISH_E10value_typeEPSI_NS1_7vsmem_tEENKUlT_SG_SH_SI_E_clIS7_S7_PlSB_EESF_SV_SG_SH_SI_EUlSV_E_NS1_11comp_targetILNS1_3genE9ELNS1_11target_archE1100ELNS1_3gpuE3ELNS1_3repE0EEENS1_48merge_mergepath_partition_config_static_selectorELNS0_4arch9wavefront6targetE1EEEvSH_: ; @_ZN7rocprim17ROCPRIM_400000_NS6detail17trampoline_kernelINS0_14default_configENS1_38merge_sort_block_merge_config_selectorIhlEEZZNS1_27merge_sort_block_merge_implIS3_PhN6thrust23THRUST_200600_302600_NS10device_ptrIlEEjNS1_19radix_merge_compareILb0ELb0EhNS0_19identity_decomposerEEEEE10hipError_tT0_T1_T2_jT3_P12ihipStream_tbPNSt15iterator_traitsISG_E10value_typeEPNSM_ISH_E10value_typeEPSI_NS1_7vsmem_tEENKUlT_SG_SH_SI_E_clIS7_S7_PlSB_EESF_SV_SG_SH_SI_EUlSV_E_NS1_11comp_targetILNS1_3genE9ELNS1_11target_archE1100ELNS1_3gpuE3ELNS1_3repE0EEENS1_48merge_mergepath_partition_config_static_selectorELNS0_4arch9wavefront6targetE1EEEvSH_
; %bb.0:
	.section	.rodata,"a",@progbits
	.p2align	6, 0x0
	.amdhsa_kernel _ZN7rocprim17ROCPRIM_400000_NS6detail17trampoline_kernelINS0_14default_configENS1_38merge_sort_block_merge_config_selectorIhlEEZZNS1_27merge_sort_block_merge_implIS3_PhN6thrust23THRUST_200600_302600_NS10device_ptrIlEEjNS1_19radix_merge_compareILb0ELb0EhNS0_19identity_decomposerEEEEE10hipError_tT0_T1_T2_jT3_P12ihipStream_tbPNSt15iterator_traitsISG_E10value_typeEPNSM_ISH_E10value_typeEPSI_NS1_7vsmem_tEENKUlT_SG_SH_SI_E_clIS7_S7_PlSB_EESF_SV_SG_SH_SI_EUlSV_E_NS1_11comp_targetILNS1_3genE9ELNS1_11target_archE1100ELNS1_3gpuE3ELNS1_3repE0EEENS1_48merge_mergepath_partition_config_static_selectorELNS0_4arch9wavefront6targetE1EEEvSH_
		.amdhsa_group_segment_fixed_size 0
		.amdhsa_private_segment_fixed_size 0
		.amdhsa_kernarg_size 40
		.amdhsa_user_sgpr_count 6
		.amdhsa_user_sgpr_private_segment_buffer 1
		.amdhsa_user_sgpr_dispatch_ptr 0
		.amdhsa_user_sgpr_queue_ptr 0
		.amdhsa_user_sgpr_kernarg_segment_ptr 1
		.amdhsa_user_sgpr_dispatch_id 0
		.amdhsa_user_sgpr_flat_scratch_init 0
		.amdhsa_user_sgpr_private_segment_size 0
		.amdhsa_uses_dynamic_stack 0
		.amdhsa_system_sgpr_private_segment_wavefront_offset 0
		.amdhsa_system_sgpr_workgroup_id_x 1
		.amdhsa_system_sgpr_workgroup_id_y 0
		.amdhsa_system_sgpr_workgroup_id_z 0
		.amdhsa_system_sgpr_workgroup_info 0
		.amdhsa_system_vgpr_workitem_id 0
		.amdhsa_next_free_vgpr 1
		.amdhsa_next_free_sgpr 0
		.amdhsa_reserve_vcc 0
		.amdhsa_reserve_flat_scratch 0
		.amdhsa_float_round_mode_32 0
		.amdhsa_float_round_mode_16_64 0
		.amdhsa_float_denorm_mode_32 3
		.amdhsa_float_denorm_mode_16_64 3
		.amdhsa_dx10_clamp 1
		.amdhsa_ieee_mode 1
		.amdhsa_fp16_overflow 0
		.amdhsa_exception_fp_ieee_invalid_op 0
		.amdhsa_exception_fp_denorm_src 0
		.amdhsa_exception_fp_ieee_div_zero 0
		.amdhsa_exception_fp_ieee_overflow 0
		.amdhsa_exception_fp_ieee_underflow 0
		.amdhsa_exception_fp_ieee_inexact 0
		.amdhsa_exception_int_div_zero 0
	.end_amdhsa_kernel
	.section	.text._ZN7rocprim17ROCPRIM_400000_NS6detail17trampoline_kernelINS0_14default_configENS1_38merge_sort_block_merge_config_selectorIhlEEZZNS1_27merge_sort_block_merge_implIS3_PhN6thrust23THRUST_200600_302600_NS10device_ptrIlEEjNS1_19radix_merge_compareILb0ELb0EhNS0_19identity_decomposerEEEEE10hipError_tT0_T1_T2_jT3_P12ihipStream_tbPNSt15iterator_traitsISG_E10value_typeEPNSM_ISH_E10value_typeEPSI_NS1_7vsmem_tEENKUlT_SG_SH_SI_E_clIS7_S7_PlSB_EESF_SV_SG_SH_SI_EUlSV_E_NS1_11comp_targetILNS1_3genE9ELNS1_11target_archE1100ELNS1_3gpuE3ELNS1_3repE0EEENS1_48merge_mergepath_partition_config_static_selectorELNS0_4arch9wavefront6targetE1EEEvSH_,"axG",@progbits,_ZN7rocprim17ROCPRIM_400000_NS6detail17trampoline_kernelINS0_14default_configENS1_38merge_sort_block_merge_config_selectorIhlEEZZNS1_27merge_sort_block_merge_implIS3_PhN6thrust23THRUST_200600_302600_NS10device_ptrIlEEjNS1_19radix_merge_compareILb0ELb0EhNS0_19identity_decomposerEEEEE10hipError_tT0_T1_T2_jT3_P12ihipStream_tbPNSt15iterator_traitsISG_E10value_typeEPNSM_ISH_E10value_typeEPSI_NS1_7vsmem_tEENKUlT_SG_SH_SI_E_clIS7_S7_PlSB_EESF_SV_SG_SH_SI_EUlSV_E_NS1_11comp_targetILNS1_3genE9ELNS1_11target_archE1100ELNS1_3gpuE3ELNS1_3repE0EEENS1_48merge_mergepath_partition_config_static_selectorELNS0_4arch9wavefront6targetE1EEEvSH_,comdat
.Lfunc_end130:
	.size	_ZN7rocprim17ROCPRIM_400000_NS6detail17trampoline_kernelINS0_14default_configENS1_38merge_sort_block_merge_config_selectorIhlEEZZNS1_27merge_sort_block_merge_implIS3_PhN6thrust23THRUST_200600_302600_NS10device_ptrIlEEjNS1_19radix_merge_compareILb0ELb0EhNS0_19identity_decomposerEEEEE10hipError_tT0_T1_T2_jT3_P12ihipStream_tbPNSt15iterator_traitsISG_E10value_typeEPNSM_ISH_E10value_typeEPSI_NS1_7vsmem_tEENKUlT_SG_SH_SI_E_clIS7_S7_PlSB_EESF_SV_SG_SH_SI_EUlSV_E_NS1_11comp_targetILNS1_3genE9ELNS1_11target_archE1100ELNS1_3gpuE3ELNS1_3repE0EEENS1_48merge_mergepath_partition_config_static_selectorELNS0_4arch9wavefront6targetE1EEEvSH_, .Lfunc_end130-_ZN7rocprim17ROCPRIM_400000_NS6detail17trampoline_kernelINS0_14default_configENS1_38merge_sort_block_merge_config_selectorIhlEEZZNS1_27merge_sort_block_merge_implIS3_PhN6thrust23THRUST_200600_302600_NS10device_ptrIlEEjNS1_19radix_merge_compareILb0ELb0EhNS0_19identity_decomposerEEEEE10hipError_tT0_T1_T2_jT3_P12ihipStream_tbPNSt15iterator_traitsISG_E10value_typeEPNSM_ISH_E10value_typeEPSI_NS1_7vsmem_tEENKUlT_SG_SH_SI_E_clIS7_S7_PlSB_EESF_SV_SG_SH_SI_EUlSV_E_NS1_11comp_targetILNS1_3genE9ELNS1_11target_archE1100ELNS1_3gpuE3ELNS1_3repE0EEENS1_48merge_mergepath_partition_config_static_selectorELNS0_4arch9wavefront6targetE1EEEvSH_
                                        ; -- End function
	.set _ZN7rocprim17ROCPRIM_400000_NS6detail17trampoline_kernelINS0_14default_configENS1_38merge_sort_block_merge_config_selectorIhlEEZZNS1_27merge_sort_block_merge_implIS3_PhN6thrust23THRUST_200600_302600_NS10device_ptrIlEEjNS1_19radix_merge_compareILb0ELb0EhNS0_19identity_decomposerEEEEE10hipError_tT0_T1_T2_jT3_P12ihipStream_tbPNSt15iterator_traitsISG_E10value_typeEPNSM_ISH_E10value_typeEPSI_NS1_7vsmem_tEENKUlT_SG_SH_SI_E_clIS7_S7_PlSB_EESF_SV_SG_SH_SI_EUlSV_E_NS1_11comp_targetILNS1_3genE9ELNS1_11target_archE1100ELNS1_3gpuE3ELNS1_3repE0EEENS1_48merge_mergepath_partition_config_static_selectorELNS0_4arch9wavefront6targetE1EEEvSH_.num_vgpr, 0
	.set _ZN7rocprim17ROCPRIM_400000_NS6detail17trampoline_kernelINS0_14default_configENS1_38merge_sort_block_merge_config_selectorIhlEEZZNS1_27merge_sort_block_merge_implIS3_PhN6thrust23THRUST_200600_302600_NS10device_ptrIlEEjNS1_19radix_merge_compareILb0ELb0EhNS0_19identity_decomposerEEEEE10hipError_tT0_T1_T2_jT3_P12ihipStream_tbPNSt15iterator_traitsISG_E10value_typeEPNSM_ISH_E10value_typeEPSI_NS1_7vsmem_tEENKUlT_SG_SH_SI_E_clIS7_S7_PlSB_EESF_SV_SG_SH_SI_EUlSV_E_NS1_11comp_targetILNS1_3genE9ELNS1_11target_archE1100ELNS1_3gpuE3ELNS1_3repE0EEENS1_48merge_mergepath_partition_config_static_selectorELNS0_4arch9wavefront6targetE1EEEvSH_.num_agpr, 0
	.set _ZN7rocprim17ROCPRIM_400000_NS6detail17trampoline_kernelINS0_14default_configENS1_38merge_sort_block_merge_config_selectorIhlEEZZNS1_27merge_sort_block_merge_implIS3_PhN6thrust23THRUST_200600_302600_NS10device_ptrIlEEjNS1_19radix_merge_compareILb0ELb0EhNS0_19identity_decomposerEEEEE10hipError_tT0_T1_T2_jT3_P12ihipStream_tbPNSt15iterator_traitsISG_E10value_typeEPNSM_ISH_E10value_typeEPSI_NS1_7vsmem_tEENKUlT_SG_SH_SI_E_clIS7_S7_PlSB_EESF_SV_SG_SH_SI_EUlSV_E_NS1_11comp_targetILNS1_3genE9ELNS1_11target_archE1100ELNS1_3gpuE3ELNS1_3repE0EEENS1_48merge_mergepath_partition_config_static_selectorELNS0_4arch9wavefront6targetE1EEEvSH_.numbered_sgpr, 0
	.set _ZN7rocprim17ROCPRIM_400000_NS6detail17trampoline_kernelINS0_14default_configENS1_38merge_sort_block_merge_config_selectorIhlEEZZNS1_27merge_sort_block_merge_implIS3_PhN6thrust23THRUST_200600_302600_NS10device_ptrIlEEjNS1_19radix_merge_compareILb0ELb0EhNS0_19identity_decomposerEEEEE10hipError_tT0_T1_T2_jT3_P12ihipStream_tbPNSt15iterator_traitsISG_E10value_typeEPNSM_ISH_E10value_typeEPSI_NS1_7vsmem_tEENKUlT_SG_SH_SI_E_clIS7_S7_PlSB_EESF_SV_SG_SH_SI_EUlSV_E_NS1_11comp_targetILNS1_3genE9ELNS1_11target_archE1100ELNS1_3gpuE3ELNS1_3repE0EEENS1_48merge_mergepath_partition_config_static_selectorELNS0_4arch9wavefront6targetE1EEEvSH_.num_named_barrier, 0
	.set _ZN7rocprim17ROCPRIM_400000_NS6detail17trampoline_kernelINS0_14default_configENS1_38merge_sort_block_merge_config_selectorIhlEEZZNS1_27merge_sort_block_merge_implIS3_PhN6thrust23THRUST_200600_302600_NS10device_ptrIlEEjNS1_19radix_merge_compareILb0ELb0EhNS0_19identity_decomposerEEEEE10hipError_tT0_T1_T2_jT3_P12ihipStream_tbPNSt15iterator_traitsISG_E10value_typeEPNSM_ISH_E10value_typeEPSI_NS1_7vsmem_tEENKUlT_SG_SH_SI_E_clIS7_S7_PlSB_EESF_SV_SG_SH_SI_EUlSV_E_NS1_11comp_targetILNS1_3genE9ELNS1_11target_archE1100ELNS1_3gpuE3ELNS1_3repE0EEENS1_48merge_mergepath_partition_config_static_selectorELNS0_4arch9wavefront6targetE1EEEvSH_.private_seg_size, 0
	.set _ZN7rocprim17ROCPRIM_400000_NS6detail17trampoline_kernelINS0_14default_configENS1_38merge_sort_block_merge_config_selectorIhlEEZZNS1_27merge_sort_block_merge_implIS3_PhN6thrust23THRUST_200600_302600_NS10device_ptrIlEEjNS1_19radix_merge_compareILb0ELb0EhNS0_19identity_decomposerEEEEE10hipError_tT0_T1_T2_jT3_P12ihipStream_tbPNSt15iterator_traitsISG_E10value_typeEPNSM_ISH_E10value_typeEPSI_NS1_7vsmem_tEENKUlT_SG_SH_SI_E_clIS7_S7_PlSB_EESF_SV_SG_SH_SI_EUlSV_E_NS1_11comp_targetILNS1_3genE9ELNS1_11target_archE1100ELNS1_3gpuE3ELNS1_3repE0EEENS1_48merge_mergepath_partition_config_static_selectorELNS0_4arch9wavefront6targetE1EEEvSH_.uses_vcc, 0
	.set _ZN7rocprim17ROCPRIM_400000_NS6detail17trampoline_kernelINS0_14default_configENS1_38merge_sort_block_merge_config_selectorIhlEEZZNS1_27merge_sort_block_merge_implIS3_PhN6thrust23THRUST_200600_302600_NS10device_ptrIlEEjNS1_19radix_merge_compareILb0ELb0EhNS0_19identity_decomposerEEEEE10hipError_tT0_T1_T2_jT3_P12ihipStream_tbPNSt15iterator_traitsISG_E10value_typeEPNSM_ISH_E10value_typeEPSI_NS1_7vsmem_tEENKUlT_SG_SH_SI_E_clIS7_S7_PlSB_EESF_SV_SG_SH_SI_EUlSV_E_NS1_11comp_targetILNS1_3genE9ELNS1_11target_archE1100ELNS1_3gpuE3ELNS1_3repE0EEENS1_48merge_mergepath_partition_config_static_selectorELNS0_4arch9wavefront6targetE1EEEvSH_.uses_flat_scratch, 0
	.set _ZN7rocprim17ROCPRIM_400000_NS6detail17trampoline_kernelINS0_14default_configENS1_38merge_sort_block_merge_config_selectorIhlEEZZNS1_27merge_sort_block_merge_implIS3_PhN6thrust23THRUST_200600_302600_NS10device_ptrIlEEjNS1_19radix_merge_compareILb0ELb0EhNS0_19identity_decomposerEEEEE10hipError_tT0_T1_T2_jT3_P12ihipStream_tbPNSt15iterator_traitsISG_E10value_typeEPNSM_ISH_E10value_typeEPSI_NS1_7vsmem_tEENKUlT_SG_SH_SI_E_clIS7_S7_PlSB_EESF_SV_SG_SH_SI_EUlSV_E_NS1_11comp_targetILNS1_3genE9ELNS1_11target_archE1100ELNS1_3gpuE3ELNS1_3repE0EEENS1_48merge_mergepath_partition_config_static_selectorELNS0_4arch9wavefront6targetE1EEEvSH_.has_dyn_sized_stack, 0
	.set _ZN7rocprim17ROCPRIM_400000_NS6detail17trampoline_kernelINS0_14default_configENS1_38merge_sort_block_merge_config_selectorIhlEEZZNS1_27merge_sort_block_merge_implIS3_PhN6thrust23THRUST_200600_302600_NS10device_ptrIlEEjNS1_19radix_merge_compareILb0ELb0EhNS0_19identity_decomposerEEEEE10hipError_tT0_T1_T2_jT3_P12ihipStream_tbPNSt15iterator_traitsISG_E10value_typeEPNSM_ISH_E10value_typeEPSI_NS1_7vsmem_tEENKUlT_SG_SH_SI_E_clIS7_S7_PlSB_EESF_SV_SG_SH_SI_EUlSV_E_NS1_11comp_targetILNS1_3genE9ELNS1_11target_archE1100ELNS1_3gpuE3ELNS1_3repE0EEENS1_48merge_mergepath_partition_config_static_selectorELNS0_4arch9wavefront6targetE1EEEvSH_.has_recursion, 0
	.set _ZN7rocprim17ROCPRIM_400000_NS6detail17trampoline_kernelINS0_14default_configENS1_38merge_sort_block_merge_config_selectorIhlEEZZNS1_27merge_sort_block_merge_implIS3_PhN6thrust23THRUST_200600_302600_NS10device_ptrIlEEjNS1_19radix_merge_compareILb0ELb0EhNS0_19identity_decomposerEEEEE10hipError_tT0_T1_T2_jT3_P12ihipStream_tbPNSt15iterator_traitsISG_E10value_typeEPNSM_ISH_E10value_typeEPSI_NS1_7vsmem_tEENKUlT_SG_SH_SI_E_clIS7_S7_PlSB_EESF_SV_SG_SH_SI_EUlSV_E_NS1_11comp_targetILNS1_3genE9ELNS1_11target_archE1100ELNS1_3gpuE3ELNS1_3repE0EEENS1_48merge_mergepath_partition_config_static_selectorELNS0_4arch9wavefront6targetE1EEEvSH_.has_indirect_call, 0
	.section	.AMDGPU.csdata,"",@progbits
; Kernel info:
; codeLenInByte = 0
; TotalNumSgprs: 4
; NumVgprs: 0
; ScratchSize: 0
; MemoryBound: 0
; FloatMode: 240
; IeeeMode: 1
; LDSByteSize: 0 bytes/workgroup (compile time only)
; SGPRBlocks: 0
; VGPRBlocks: 0
; NumSGPRsForWavesPerEU: 4
; NumVGPRsForWavesPerEU: 1
; Occupancy: 10
; WaveLimiterHint : 0
; COMPUTE_PGM_RSRC2:SCRATCH_EN: 0
; COMPUTE_PGM_RSRC2:USER_SGPR: 6
; COMPUTE_PGM_RSRC2:TRAP_HANDLER: 0
; COMPUTE_PGM_RSRC2:TGID_X_EN: 1
; COMPUTE_PGM_RSRC2:TGID_Y_EN: 0
; COMPUTE_PGM_RSRC2:TGID_Z_EN: 0
; COMPUTE_PGM_RSRC2:TIDIG_COMP_CNT: 0
	.section	.text._ZN7rocprim17ROCPRIM_400000_NS6detail17trampoline_kernelINS0_14default_configENS1_38merge_sort_block_merge_config_selectorIhlEEZZNS1_27merge_sort_block_merge_implIS3_PhN6thrust23THRUST_200600_302600_NS10device_ptrIlEEjNS1_19radix_merge_compareILb0ELb0EhNS0_19identity_decomposerEEEEE10hipError_tT0_T1_T2_jT3_P12ihipStream_tbPNSt15iterator_traitsISG_E10value_typeEPNSM_ISH_E10value_typeEPSI_NS1_7vsmem_tEENKUlT_SG_SH_SI_E_clIS7_S7_PlSB_EESF_SV_SG_SH_SI_EUlSV_E_NS1_11comp_targetILNS1_3genE8ELNS1_11target_archE1030ELNS1_3gpuE2ELNS1_3repE0EEENS1_48merge_mergepath_partition_config_static_selectorELNS0_4arch9wavefront6targetE1EEEvSH_,"axG",@progbits,_ZN7rocprim17ROCPRIM_400000_NS6detail17trampoline_kernelINS0_14default_configENS1_38merge_sort_block_merge_config_selectorIhlEEZZNS1_27merge_sort_block_merge_implIS3_PhN6thrust23THRUST_200600_302600_NS10device_ptrIlEEjNS1_19radix_merge_compareILb0ELb0EhNS0_19identity_decomposerEEEEE10hipError_tT0_T1_T2_jT3_P12ihipStream_tbPNSt15iterator_traitsISG_E10value_typeEPNSM_ISH_E10value_typeEPSI_NS1_7vsmem_tEENKUlT_SG_SH_SI_E_clIS7_S7_PlSB_EESF_SV_SG_SH_SI_EUlSV_E_NS1_11comp_targetILNS1_3genE8ELNS1_11target_archE1030ELNS1_3gpuE2ELNS1_3repE0EEENS1_48merge_mergepath_partition_config_static_selectorELNS0_4arch9wavefront6targetE1EEEvSH_,comdat
	.protected	_ZN7rocprim17ROCPRIM_400000_NS6detail17trampoline_kernelINS0_14default_configENS1_38merge_sort_block_merge_config_selectorIhlEEZZNS1_27merge_sort_block_merge_implIS3_PhN6thrust23THRUST_200600_302600_NS10device_ptrIlEEjNS1_19radix_merge_compareILb0ELb0EhNS0_19identity_decomposerEEEEE10hipError_tT0_T1_T2_jT3_P12ihipStream_tbPNSt15iterator_traitsISG_E10value_typeEPNSM_ISH_E10value_typeEPSI_NS1_7vsmem_tEENKUlT_SG_SH_SI_E_clIS7_S7_PlSB_EESF_SV_SG_SH_SI_EUlSV_E_NS1_11comp_targetILNS1_3genE8ELNS1_11target_archE1030ELNS1_3gpuE2ELNS1_3repE0EEENS1_48merge_mergepath_partition_config_static_selectorELNS0_4arch9wavefront6targetE1EEEvSH_ ; -- Begin function _ZN7rocprim17ROCPRIM_400000_NS6detail17trampoline_kernelINS0_14default_configENS1_38merge_sort_block_merge_config_selectorIhlEEZZNS1_27merge_sort_block_merge_implIS3_PhN6thrust23THRUST_200600_302600_NS10device_ptrIlEEjNS1_19radix_merge_compareILb0ELb0EhNS0_19identity_decomposerEEEEE10hipError_tT0_T1_T2_jT3_P12ihipStream_tbPNSt15iterator_traitsISG_E10value_typeEPNSM_ISH_E10value_typeEPSI_NS1_7vsmem_tEENKUlT_SG_SH_SI_E_clIS7_S7_PlSB_EESF_SV_SG_SH_SI_EUlSV_E_NS1_11comp_targetILNS1_3genE8ELNS1_11target_archE1030ELNS1_3gpuE2ELNS1_3repE0EEENS1_48merge_mergepath_partition_config_static_selectorELNS0_4arch9wavefront6targetE1EEEvSH_
	.globl	_ZN7rocprim17ROCPRIM_400000_NS6detail17trampoline_kernelINS0_14default_configENS1_38merge_sort_block_merge_config_selectorIhlEEZZNS1_27merge_sort_block_merge_implIS3_PhN6thrust23THRUST_200600_302600_NS10device_ptrIlEEjNS1_19radix_merge_compareILb0ELb0EhNS0_19identity_decomposerEEEEE10hipError_tT0_T1_T2_jT3_P12ihipStream_tbPNSt15iterator_traitsISG_E10value_typeEPNSM_ISH_E10value_typeEPSI_NS1_7vsmem_tEENKUlT_SG_SH_SI_E_clIS7_S7_PlSB_EESF_SV_SG_SH_SI_EUlSV_E_NS1_11comp_targetILNS1_3genE8ELNS1_11target_archE1030ELNS1_3gpuE2ELNS1_3repE0EEENS1_48merge_mergepath_partition_config_static_selectorELNS0_4arch9wavefront6targetE1EEEvSH_
	.p2align	8
	.type	_ZN7rocprim17ROCPRIM_400000_NS6detail17trampoline_kernelINS0_14default_configENS1_38merge_sort_block_merge_config_selectorIhlEEZZNS1_27merge_sort_block_merge_implIS3_PhN6thrust23THRUST_200600_302600_NS10device_ptrIlEEjNS1_19radix_merge_compareILb0ELb0EhNS0_19identity_decomposerEEEEE10hipError_tT0_T1_T2_jT3_P12ihipStream_tbPNSt15iterator_traitsISG_E10value_typeEPNSM_ISH_E10value_typeEPSI_NS1_7vsmem_tEENKUlT_SG_SH_SI_E_clIS7_S7_PlSB_EESF_SV_SG_SH_SI_EUlSV_E_NS1_11comp_targetILNS1_3genE8ELNS1_11target_archE1030ELNS1_3gpuE2ELNS1_3repE0EEENS1_48merge_mergepath_partition_config_static_selectorELNS0_4arch9wavefront6targetE1EEEvSH_,@function
_ZN7rocprim17ROCPRIM_400000_NS6detail17trampoline_kernelINS0_14default_configENS1_38merge_sort_block_merge_config_selectorIhlEEZZNS1_27merge_sort_block_merge_implIS3_PhN6thrust23THRUST_200600_302600_NS10device_ptrIlEEjNS1_19radix_merge_compareILb0ELb0EhNS0_19identity_decomposerEEEEE10hipError_tT0_T1_T2_jT3_P12ihipStream_tbPNSt15iterator_traitsISG_E10value_typeEPNSM_ISH_E10value_typeEPSI_NS1_7vsmem_tEENKUlT_SG_SH_SI_E_clIS7_S7_PlSB_EESF_SV_SG_SH_SI_EUlSV_E_NS1_11comp_targetILNS1_3genE8ELNS1_11target_archE1030ELNS1_3gpuE2ELNS1_3repE0EEENS1_48merge_mergepath_partition_config_static_selectorELNS0_4arch9wavefront6targetE1EEEvSH_: ; @_ZN7rocprim17ROCPRIM_400000_NS6detail17trampoline_kernelINS0_14default_configENS1_38merge_sort_block_merge_config_selectorIhlEEZZNS1_27merge_sort_block_merge_implIS3_PhN6thrust23THRUST_200600_302600_NS10device_ptrIlEEjNS1_19radix_merge_compareILb0ELb0EhNS0_19identity_decomposerEEEEE10hipError_tT0_T1_T2_jT3_P12ihipStream_tbPNSt15iterator_traitsISG_E10value_typeEPNSM_ISH_E10value_typeEPSI_NS1_7vsmem_tEENKUlT_SG_SH_SI_E_clIS7_S7_PlSB_EESF_SV_SG_SH_SI_EUlSV_E_NS1_11comp_targetILNS1_3genE8ELNS1_11target_archE1030ELNS1_3gpuE2ELNS1_3repE0EEENS1_48merge_mergepath_partition_config_static_selectorELNS0_4arch9wavefront6targetE1EEEvSH_
; %bb.0:
	.section	.rodata,"a",@progbits
	.p2align	6, 0x0
	.amdhsa_kernel _ZN7rocprim17ROCPRIM_400000_NS6detail17trampoline_kernelINS0_14default_configENS1_38merge_sort_block_merge_config_selectorIhlEEZZNS1_27merge_sort_block_merge_implIS3_PhN6thrust23THRUST_200600_302600_NS10device_ptrIlEEjNS1_19radix_merge_compareILb0ELb0EhNS0_19identity_decomposerEEEEE10hipError_tT0_T1_T2_jT3_P12ihipStream_tbPNSt15iterator_traitsISG_E10value_typeEPNSM_ISH_E10value_typeEPSI_NS1_7vsmem_tEENKUlT_SG_SH_SI_E_clIS7_S7_PlSB_EESF_SV_SG_SH_SI_EUlSV_E_NS1_11comp_targetILNS1_3genE8ELNS1_11target_archE1030ELNS1_3gpuE2ELNS1_3repE0EEENS1_48merge_mergepath_partition_config_static_selectorELNS0_4arch9wavefront6targetE1EEEvSH_
		.amdhsa_group_segment_fixed_size 0
		.amdhsa_private_segment_fixed_size 0
		.amdhsa_kernarg_size 40
		.amdhsa_user_sgpr_count 6
		.amdhsa_user_sgpr_private_segment_buffer 1
		.amdhsa_user_sgpr_dispatch_ptr 0
		.amdhsa_user_sgpr_queue_ptr 0
		.amdhsa_user_sgpr_kernarg_segment_ptr 1
		.amdhsa_user_sgpr_dispatch_id 0
		.amdhsa_user_sgpr_flat_scratch_init 0
		.amdhsa_user_sgpr_private_segment_size 0
		.amdhsa_uses_dynamic_stack 0
		.amdhsa_system_sgpr_private_segment_wavefront_offset 0
		.amdhsa_system_sgpr_workgroup_id_x 1
		.amdhsa_system_sgpr_workgroup_id_y 0
		.amdhsa_system_sgpr_workgroup_id_z 0
		.amdhsa_system_sgpr_workgroup_info 0
		.amdhsa_system_vgpr_workitem_id 0
		.amdhsa_next_free_vgpr 1
		.amdhsa_next_free_sgpr 0
		.amdhsa_reserve_vcc 0
		.amdhsa_reserve_flat_scratch 0
		.amdhsa_float_round_mode_32 0
		.amdhsa_float_round_mode_16_64 0
		.amdhsa_float_denorm_mode_32 3
		.amdhsa_float_denorm_mode_16_64 3
		.amdhsa_dx10_clamp 1
		.amdhsa_ieee_mode 1
		.amdhsa_fp16_overflow 0
		.amdhsa_exception_fp_ieee_invalid_op 0
		.amdhsa_exception_fp_denorm_src 0
		.amdhsa_exception_fp_ieee_div_zero 0
		.amdhsa_exception_fp_ieee_overflow 0
		.amdhsa_exception_fp_ieee_underflow 0
		.amdhsa_exception_fp_ieee_inexact 0
		.amdhsa_exception_int_div_zero 0
	.end_amdhsa_kernel
	.section	.text._ZN7rocprim17ROCPRIM_400000_NS6detail17trampoline_kernelINS0_14default_configENS1_38merge_sort_block_merge_config_selectorIhlEEZZNS1_27merge_sort_block_merge_implIS3_PhN6thrust23THRUST_200600_302600_NS10device_ptrIlEEjNS1_19radix_merge_compareILb0ELb0EhNS0_19identity_decomposerEEEEE10hipError_tT0_T1_T2_jT3_P12ihipStream_tbPNSt15iterator_traitsISG_E10value_typeEPNSM_ISH_E10value_typeEPSI_NS1_7vsmem_tEENKUlT_SG_SH_SI_E_clIS7_S7_PlSB_EESF_SV_SG_SH_SI_EUlSV_E_NS1_11comp_targetILNS1_3genE8ELNS1_11target_archE1030ELNS1_3gpuE2ELNS1_3repE0EEENS1_48merge_mergepath_partition_config_static_selectorELNS0_4arch9wavefront6targetE1EEEvSH_,"axG",@progbits,_ZN7rocprim17ROCPRIM_400000_NS6detail17trampoline_kernelINS0_14default_configENS1_38merge_sort_block_merge_config_selectorIhlEEZZNS1_27merge_sort_block_merge_implIS3_PhN6thrust23THRUST_200600_302600_NS10device_ptrIlEEjNS1_19radix_merge_compareILb0ELb0EhNS0_19identity_decomposerEEEEE10hipError_tT0_T1_T2_jT3_P12ihipStream_tbPNSt15iterator_traitsISG_E10value_typeEPNSM_ISH_E10value_typeEPSI_NS1_7vsmem_tEENKUlT_SG_SH_SI_E_clIS7_S7_PlSB_EESF_SV_SG_SH_SI_EUlSV_E_NS1_11comp_targetILNS1_3genE8ELNS1_11target_archE1030ELNS1_3gpuE2ELNS1_3repE0EEENS1_48merge_mergepath_partition_config_static_selectorELNS0_4arch9wavefront6targetE1EEEvSH_,comdat
.Lfunc_end131:
	.size	_ZN7rocprim17ROCPRIM_400000_NS6detail17trampoline_kernelINS0_14default_configENS1_38merge_sort_block_merge_config_selectorIhlEEZZNS1_27merge_sort_block_merge_implIS3_PhN6thrust23THRUST_200600_302600_NS10device_ptrIlEEjNS1_19radix_merge_compareILb0ELb0EhNS0_19identity_decomposerEEEEE10hipError_tT0_T1_T2_jT3_P12ihipStream_tbPNSt15iterator_traitsISG_E10value_typeEPNSM_ISH_E10value_typeEPSI_NS1_7vsmem_tEENKUlT_SG_SH_SI_E_clIS7_S7_PlSB_EESF_SV_SG_SH_SI_EUlSV_E_NS1_11comp_targetILNS1_3genE8ELNS1_11target_archE1030ELNS1_3gpuE2ELNS1_3repE0EEENS1_48merge_mergepath_partition_config_static_selectorELNS0_4arch9wavefront6targetE1EEEvSH_, .Lfunc_end131-_ZN7rocprim17ROCPRIM_400000_NS6detail17trampoline_kernelINS0_14default_configENS1_38merge_sort_block_merge_config_selectorIhlEEZZNS1_27merge_sort_block_merge_implIS3_PhN6thrust23THRUST_200600_302600_NS10device_ptrIlEEjNS1_19radix_merge_compareILb0ELb0EhNS0_19identity_decomposerEEEEE10hipError_tT0_T1_T2_jT3_P12ihipStream_tbPNSt15iterator_traitsISG_E10value_typeEPNSM_ISH_E10value_typeEPSI_NS1_7vsmem_tEENKUlT_SG_SH_SI_E_clIS7_S7_PlSB_EESF_SV_SG_SH_SI_EUlSV_E_NS1_11comp_targetILNS1_3genE8ELNS1_11target_archE1030ELNS1_3gpuE2ELNS1_3repE0EEENS1_48merge_mergepath_partition_config_static_selectorELNS0_4arch9wavefront6targetE1EEEvSH_
                                        ; -- End function
	.set _ZN7rocprim17ROCPRIM_400000_NS6detail17trampoline_kernelINS0_14default_configENS1_38merge_sort_block_merge_config_selectorIhlEEZZNS1_27merge_sort_block_merge_implIS3_PhN6thrust23THRUST_200600_302600_NS10device_ptrIlEEjNS1_19radix_merge_compareILb0ELb0EhNS0_19identity_decomposerEEEEE10hipError_tT0_T1_T2_jT3_P12ihipStream_tbPNSt15iterator_traitsISG_E10value_typeEPNSM_ISH_E10value_typeEPSI_NS1_7vsmem_tEENKUlT_SG_SH_SI_E_clIS7_S7_PlSB_EESF_SV_SG_SH_SI_EUlSV_E_NS1_11comp_targetILNS1_3genE8ELNS1_11target_archE1030ELNS1_3gpuE2ELNS1_3repE0EEENS1_48merge_mergepath_partition_config_static_selectorELNS0_4arch9wavefront6targetE1EEEvSH_.num_vgpr, 0
	.set _ZN7rocprim17ROCPRIM_400000_NS6detail17trampoline_kernelINS0_14default_configENS1_38merge_sort_block_merge_config_selectorIhlEEZZNS1_27merge_sort_block_merge_implIS3_PhN6thrust23THRUST_200600_302600_NS10device_ptrIlEEjNS1_19radix_merge_compareILb0ELb0EhNS0_19identity_decomposerEEEEE10hipError_tT0_T1_T2_jT3_P12ihipStream_tbPNSt15iterator_traitsISG_E10value_typeEPNSM_ISH_E10value_typeEPSI_NS1_7vsmem_tEENKUlT_SG_SH_SI_E_clIS7_S7_PlSB_EESF_SV_SG_SH_SI_EUlSV_E_NS1_11comp_targetILNS1_3genE8ELNS1_11target_archE1030ELNS1_3gpuE2ELNS1_3repE0EEENS1_48merge_mergepath_partition_config_static_selectorELNS0_4arch9wavefront6targetE1EEEvSH_.num_agpr, 0
	.set _ZN7rocprim17ROCPRIM_400000_NS6detail17trampoline_kernelINS0_14default_configENS1_38merge_sort_block_merge_config_selectorIhlEEZZNS1_27merge_sort_block_merge_implIS3_PhN6thrust23THRUST_200600_302600_NS10device_ptrIlEEjNS1_19radix_merge_compareILb0ELb0EhNS0_19identity_decomposerEEEEE10hipError_tT0_T1_T2_jT3_P12ihipStream_tbPNSt15iterator_traitsISG_E10value_typeEPNSM_ISH_E10value_typeEPSI_NS1_7vsmem_tEENKUlT_SG_SH_SI_E_clIS7_S7_PlSB_EESF_SV_SG_SH_SI_EUlSV_E_NS1_11comp_targetILNS1_3genE8ELNS1_11target_archE1030ELNS1_3gpuE2ELNS1_3repE0EEENS1_48merge_mergepath_partition_config_static_selectorELNS0_4arch9wavefront6targetE1EEEvSH_.numbered_sgpr, 0
	.set _ZN7rocprim17ROCPRIM_400000_NS6detail17trampoline_kernelINS0_14default_configENS1_38merge_sort_block_merge_config_selectorIhlEEZZNS1_27merge_sort_block_merge_implIS3_PhN6thrust23THRUST_200600_302600_NS10device_ptrIlEEjNS1_19radix_merge_compareILb0ELb0EhNS0_19identity_decomposerEEEEE10hipError_tT0_T1_T2_jT3_P12ihipStream_tbPNSt15iterator_traitsISG_E10value_typeEPNSM_ISH_E10value_typeEPSI_NS1_7vsmem_tEENKUlT_SG_SH_SI_E_clIS7_S7_PlSB_EESF_SV_SG_SH_SI_EUlSV_E_NS1_11comp_targetILNS1_3genE8ELNS1_11target_archE1030ELNS1_3gpuE2ELNS1_3repE0EEENS1_48merge_mergepath_partition_config_static_selectorELNS0_4arch9wavefront6targetE1EEEvSH_.num_named_barrier, 0
	.set _ZN7rocprim17ROCPRIM_400000_NS6detail17trampoline_kernelINS0_14default_configENS1_38merge_sort_block_merge_config_selectorIhlEEZZNS1_27merge_sort_block_merge_implIS3_PhN6thrust23THRUST_200600_302600_NS10device_ptrIlEEjNS1_19radix_merge_compareILb0ELb0EhNS0_19identity_decomposerEEEEE10hipError_tT0_T1_T2_jT3_P12ihipStream_tbPNSt15iterator_traitsISG_E10value_typeEPNSM_ISH_E10value_typeEPSI_NS1_7vsmem_tEENKUlT_SG_SH_SI_E_clIS7_S7_PlSB_EESF_SV_SG_SH_SI_EUlSV_E_NS1_11comp_targetILNS1_3genE8ELNS1_11target_archE1030ELNS1_3gpuE2ELNS1_3repE0EEENS1_48merge_mergepath_partition_config_static_selectorELNS0_4arch9wavefront6targetE1EEEvSH_.private_seg_size, 0
	.set _ZN7rocprim17ROCPRIM_400000_NS6detail17trampoline_kernelINS0_14default_configENS1_38merge_sort_block_merge_config_selectorIhlEEZZNS1_27merge_sort_block_merge_implIS3_PhN6thrust23THRUST_200600_302600_NS10device_ptrIlEEjNS1_19radix_merge_compareILb0ELb0EhNS0_19identity_decomposerEEEEE10hipError_tT0_T1_T2_jT3_P12ihipStream_tbPNSt15iterator_traitsISG_E10value_typeEPNSM_ISH_E10value_typeEPSI_NS1_7vsmem_tEENKUlT_SG_SH_SI_E_clIS7_S7_PlSB_EESF_SV_SG_SH_SI_EUlSV_E_NS1_11comp_targetILNS1_3genE8ELNS1_11target_archE1030ELNS1_3gpuE2ELNS1_3repE0EEENS1_48merge_mergepath_partition_config_static_selectorELNS0_4arch9wavefront6targetE1EEEvSH_.uses_vcc, 0
	.set _ZN7rocprim17ROCPRIM_400000_NS6detail17trampoline_kernelINS0_14default_configENS1_38merge_sort_block_merge_config_selectorIhlEEZZNS1_27merge_sort_block_merge_implIS3_PhN6thrust23THRUST_200600_302600_NS10device_ptrIlEEjNS1_19radix_merge_compareILb0ELb0EhNS0_19identity_decomposerEEEEE10hipError_tT0_T1_T2_jT3_P12ihipStream_tbPNSt15iterator_traitsISG_E10value_typeEPNSM_ISH_E10value_typeEPSI_NS1_7vsmem_tEENKUlT_SG_SH_SI_E_clIS7_S7_PlSB_EESF_SV_SG_SH_SI_EUlSV_E_NS1_11comp_targetILNS1_3genE8ELNS1_11target_archE1030ELNS1_3gpuE2ELNS1_3repE0EEENS1_48merge_mergepath_partition_config_static_selectorELNS0_4arch9wavefront6targetE1EEEvSH_.uses_flat_scratch, 0
	.set _ZN7rocprim17ROCPRIM_400000_NS6detail17trampoline_kernelINS0_14default_configENS1_38merge_sort_block_merge_config_selectorIhlEEZZNS1_27merge_sort_block_merge_implIS3_PhN6thrust23THRUST_200600_302600_NS10device_ptrIlEEjNS1_19radix_merge_compareILb0ELb0EhNS0_19identity_decomposerEEEEE10hipError_tT0_T1_T2_jT3_P12ihipStream_tbPNSt15iterator_traitsISG_E10value_typeEPNSM_ISH_E10value_typeEPSI_NS1_7vsmem_tEENKUlT_SG_SH_SI_E_clIS7_S7_PlSB_EESF_SV_SG_SH_SI_EUlSV_E_NS1_11comp_targetILNS1_3genE8ELNS1_11target_archE1030ELNS1_3gpuE2ELNS1_3repE0EEENS1_48merge_mergepath_partition_config_static_selectorELNS0_4arch9wavefront6targetE1EEEvSH_.has_dyn_sized_stack, 0
	.set _ZN7rocprim17ROCPRIM_400000_NS6detail17trampoline_kernelINS0_14default_configENS1_38merge_sort_block_merge_config_selectorIhlEEZZNS1_27merge_sort_block_merge_implIS3_PhN6thrust23THRUST_200600_302600_NS10device_ptrIlEEjNS1_19radix_merge_compareILb0ELb0EhNS0_19identity_decomposerEEEEE10hipError_tT0_T1_T2_jT3_P12ihipStream_tbPNSt15iterator_traitsISG_E10value_typeEPNSM_ISH_E10value_typeEPSI_NS1_7vsmem_tEENKUlT_SG_SH_SI_E_clIS7_S7_PlSB_EESF_SV_SG_SH_SI_EUlSV_E_NS1_11comp_targetILNS1_3genE8ELNS1_11target_archE1030ELNS1_3gpuE2ELNS1_3repE0EEENS1_48merge_mergepath_partition_config_static_selectorELNS0_4arch9wavefront6targetE1EEEvSH_.has_recursion, 0
	.set _ZN7rocprim17ROCPRIM_400000_NS6detail17trampoline_kernelINS0_14default_configENS1_38merge_sort_block_merge_config_selectorIhlEEZZNS1_27merge_sort_block_merge_implIS3_PhN6thrust23THRUST_200600_302600_NS10device_ptrIlEEjNS1_19radix_merge_compareILb0ELb0EhNS0_19identity_decomposerEEEEE10hipError_tT0_T1_T2_jT3_P12ihipStream_tbPNSt15iterator_traitsISG_E10value_typeEPNSM_ISH_E10value_typeEPSI_NS1_7vsmem_tEENKUlT_SG_SH_SI_E_clIS7_S7_PlSB_EESF_SV_SG_SH_SI_EUlSV_E_NS1_11comp_targetILNS1_3genE8ELNS1_11target_archE1030ELNS1_3gpuE2ELNS1_3repE0EEENS1_48merge_mergepath_partition_config_static_selectorELNS0_4arch9wavefront6targetE1EEEvSH_.has_indirect_call, 0
	.section	.AMDGPU.csdata,"",@progbits
; Kernel info:
; codeLenInByte = 0
; TotalNumSgprs: 4
; NumVgprs: 0
; ScratchSize: 0
; MemoryBound: 0
; FloatMode: 240
; IeeeMode: 1
; LDSByteSize: 0 bytes/workgroup (compile time only)
; SGPRBlocks: 0
; VGPRBlocks: 0
; NumSGPRsForWavesPerEU: 4
; NumVGPRsForWavesPerEU: 1
; Occupancy: 10
; WaveLimiterHint : 0
; COMPUTE_PGM_RSRC2:SCRATCH_EN: 0
; COMPUTE_PGM_RSRC2:USER_SGPR: 6
; COMPUTE_PGM_RSRC2:TRAP_HANDLER: 0
; COMPUTE_PGM_RSRC2:TGID_X_EN: 1
; COMPUTE_PGM_RSRC2:TGID_Y_EN: 0
; COMPUTE_PGM_RSRC2:TGID_Z_EN: 0
; COMPUTE_PGM_RSRC2:TIDIG_COMP_CNT: 0
	.section	.text._ZN7rocprim17ROCPRIM_400000_NS6detail17trampoline_kernelINS0_14default_configENS1_38merge_sort_block_merge_config_selectorIhlEEZZNS1_27merge_sort_block_merge_implIS3_PhN6thrust23THRUST_200600_302600_NS10device_ptrIlEEjNS1_19radix_merge_compareILb0ELb0EhNS0_19identity_decomposerEEEEE10hipError_tT0_T1_T2_jT3_P12ihipStream_tbPNSt15iterator_traitsISG_E10value_typeEPNSM_ISH_E10value_typeEPSI_NS1_7vsmem_tEENKUlT_SG_SH_SI_E_clIS7_S7_PlSB_EESF_SV_SG_SH_SI_EUlSV_E0_NS1_11comp_targetILNS1_3genE0ELNS1_11target_archE4294967295ELNS1_3gpuE0ELNS1_3repE0EEENS1_38merge_mergepath_config_static_selectorELNS0_4arch9wavefront6targetE1EEEvSH_,"axG",@progbits,_ZN7rocprim17ROCPRIM_400000_NS6detail17trampoline_kernelINS0_14default_configENS1_38merge_sort_block_merge_config_selectorIhlEEZZNS1_27merge_sort_block_merge_implIS3_PhN6thrust23THRUST_200600_302600_NS10device_ptrIlEEjNS1_19radix_merge_compareILb0ELb0EhNS0_19identity_decomposerEEEEE10hipError_tT0_T1_T2_jT3_P12ihipStream_tbPNSt15iterator_traitsISG_E10value_typeEPNSM_ISH_E10value_typeEPSI_NS1_7vsmem_tEENKUlT_SG_SH_SI_E_clIS7_S7_PlSB_EESF_SV_SG_SH_SI_EUlSV_E0_NS1_11comp_targetILNS1_3genE0ELNS1_11target_archE4294967295ELNS1_3gpuE0ELNS1_3repE0EEENS1_38merge_mergepath_config_static_selectorELNS0_4arch9wavefront6targetE1EEEvSH_,comdat
	.protected	_ZN7rocprim17ROCPRIM_400000_NS6detail17trampoline_kernelINS0_14default_configENS1_38merge_sort_block_merge_config_selectorIhlEEZZNS1_27merge_sort_block_merge_implIS3_PhN6thrust23THRUST_200600_302600_NS10device_ptrIlEEjNS1_19radix_merge_compareILb0ELb0EhNS0_19identity_decomposerEEEEE10hipError_tT0_T1_T2_jT3_P12ihipStream_tbPNSt15iterator_traitsISG_E10value_typeEPNSM_ISH_E10value_typeEPSI_NS1_7vsmem_tEENKUlT_SG_SH_SI_E_clIS7_S7_PlSB_EESF_SV_SG_SH_SI_EUlSV_E0_NS1_11comp_targetILNS1_3genE0ELNS1_11target_archE4294967295ELNS1_3gpuE0ELNS1_3repE0EEENS1_38merge_mergepath_config_static_selectorELNS0_4arch9wavefront6targetE1EEEvSH_ ; -- Begin function _ZN7rocprim17ROCPRIM_400000_NS6detail17trampoline_kernelINS0_14default_configENS1_38merge_sort_block_merge_config_selectorIhlEEZZNS1_27merge_sort_block_merge_implIS3_PhN6thrust23THRUST_200600_302600_NS10device_ptrIlEEjNS1_19radix_merge_compareILb0ELb0EhNS0_19identity_decomposerEEEEE10hipError_tT0_T1_T2_jT3_P12ihipStream_tbPNSt15iterator_traitsISG_E10value_typeEPNSM_ISH_E10value_typeEPSI_NS1_7vsmem_tEENKUlT_SG_SH_SI_E_clIS7_S7_PlSB_EESF_SV_SG_SH_SI_EUlSV_E0_NS1_11comp_targetILNS1_3genE0ELNS1_11target_archE4294967295ELNS1_3gpuE0ELNS1_3repE0EEENS1_38merge_mergepath_config_static_selectorELNS0_4arch9wavefront6targetE1EEEvSH_
	.globl	_ZN7rocprim17ROCPRIM_400000_NS6detail17trampoline_kernelINS0_14default_configENS1_38merge_sort_block_merge_config_selectorIhlEEZZNS1_27merge_sort_block_merge_implIS3_PhN6thrust23THRUST_200600_302600_NS10device_ptrIlEEjNS1_19radix_merge_compareILb0ELb0EhNS0_19identity_decomposerEEEEE10hipError_tT0_T1_T2_jT3_P12ihipStream_tbPNSt15iterator_traitsISG_E10value_typeEPNSM_ISH_E10value_typeEPSI_NS1_7vsmem_tEENKUlT_SG_SH_SI_E_clIS7_S7_PlSB_EESF_SV_SG_SH_SI_EUlSV_E0_NS1_11comp_targetILNS1_3genE0ELNS1_11target_archE4294967295ELNS1_3gpuE0ELNS1_3repE0EEENS1_38merge_mergepath_config_static_selectorELNS0_4arch9wavefront6targetE1EEEvSH_
	.p2align	8
	.type	_ZN7rocprim17ROCPRIM_400000_NS6detail17trampoline_kernelINS0_14default_configENS1_38merge_sort_block_merge_config_selectorIhlEEZZNS1_27merge_sort_block_merge_implIS3_PhN6thrust23THRUST_200600_302600_NS10device_ptrIlEEjNS1_19radix_merge_compareILb0ELb0EhNS0_19identity_decomposerEEEEE10hipError_tT0_T1_T2_jT3_P12ihipStream_tbPNSt15iterator_traitsISG_E10value_typeEPNSM_ISH_E10value_typeEPSI_NS1_7vsmem_tEENKUlT_SG_SH_SI_E_clIS7_S7_PlSB_EESF_SV_SG_SH_SI_EUlSV_E0_NS1_11comp_targetILNS1_3genE0ELNS1_11target_archE4294967295ELNS1_3gpuE0ELNS1_3repE0EEENS1_38merge_mergepath_config_static_selectorELNS0_4arch9wavefront6targetE1EEEvSH_,@function
_ZN7rocprim17ROCPRIM_400000_NS6detail17trampoline_kernelINS0_14default_configENS1_38merge_sort_block_merge_config_selectorIhlEEZZNS1_27merge_sort_block_merge_implIS3_PhN6thrust23THRUST_200600_302600_NS10device_ptrIlEEjNS1_19radix_merge_compareILb0ELb0EhNS0_19identity_decomposerEEEEE10hipError_tT0_T1_T2_jT3_P12ihipStream_tbPNSt15iterator_traitsISG_E10value_typeEPNSM_ISH_E10value_typeEPSI_NS1_7vsmem_tEENKUlT_SG_SH_SI_E_clIS7_S7_PlSB_EESF_SV_SG_SH_SI_EUlSV_E0_NS1_11comp_targetILNS1_3genE0ELNS1_11target_archE4294967295ELNS1_3gpuE0ELNS1_3repE0EEENS1_38merge_mergepath_config_static_selectorELNS0_4arch9wavefront6targetE1EEEvSH_: ; @_ZN7rocprim17ROCPRIM_400000_NS6detail17trampoline_kernelINS0_14default_configENS1_38merge_sort_block_merge_config_selectorIhlEEZZNS1_27merge_sort_block_merge_implIS3_PhN6thrust23THRUST_200600_302600_NS10device_ptrIlEEjNS1_19radix_merge_compareILb0ELb0EhNS0_19identity_decomposerEEEEE10hipError_tT0_T1_T2_jT3_P12ihipStream_tbPNSt15iterator_traitsISG_E10value_typeEPNSM_ISH_E10value_typeEPSI_NS1_7vsmem_tEENKUlT_SG_SH_SI_E_clIS7_S7_PlSB_EESF_SV_SG_SH_SI_EUlSV_E0_NS1_11comp_targetILNS1_3genE0ELNS1_11target_archE4294967295ELNS1_3gpuE0ELNS1_3repE0EEENS1_38merge_mergepath_config_static_selectorELNS0_4arch9wavefront6targetE1EEEvSH_
; %bb.0:
	.section	.rodata,"a",@progbits
	.p2align	6, 0x0
	.amdhsa_kernel _ZN7rocprim17ROCPRIM_400000_NS6detail17trampoline_kernelINS0_14default_configENS1_38merge_sort_block_merge_config_selectorIhlEEZZNS1_27merge_sort_block_merge_implIS3_PhN6thrust23THRUST_200600_302600_NS10device_ptrIlEEjNS1_19radix_merge_compareILb0ELb0EhNS0_19identity_decomposerEEEEE10hipError_tT0_T1_T2_jT3_P12ihipStream_tbPNSt15iterator_traitsISG_E10value_typeEPNSM_ISH_E10value_typeEPSI_NS1_7vsmem_tEENKUlT_SG_SH_SI_E_clIS7_S7_PlSB_EESF_SV_SG_SH_SI_EUlSV_E0_NS1_11comp_targetILNS1_3genE0ELNS1_11target_archE4294967295ELNS1_3gpuE0ELNS1_3repE0EEENS1_38merge_mergepath_config_static_selectorELNS0_4arch9wavefront6targetE1EEEvSH_
		.amdhsa_group_segment_fixed_size 0
		.amdhsa_private_segment_fixed_size 0
		.amdhsa_kernarg_size 64
		.amdhsa_user_sgpr_count 6
		.amdhsa_user_sgpr_private_segment_buffer 1
		.amdhsa_user_sgpr_dispatch_ptr 0
		.amdhsa_user_sgpr_queue_ptr 0
		.amdhsa_user_sgpr_kernarg_segment_ptr 1
		.amdhsa_user_sgpr_dispatch_id 0
		.amdhsa_user_sgpr_flat_scratch_init 0
		.amdhsa_user_sgpr_private_segment_size 0
		.amdhsa_uses_dynamic_stack 0
		.amdhsa_system_sgpr_private_segment_wavefront_offset 0
		.amdhsa_system_sgpr_workgroup_id_x 1
		.amdhsa_system_sgpr_workgroup_id_y 0
		.amdhsa_system_sgpr_workgroup_id_z 0
		.amdhsa_system_sgpr_workgroup_info 0
		.amdhsa_system_vgpr_workitem_id 0
		.amdhsa_next_free_vgpr 1
		.amdhsa_next_free_sgpr 0
		.amdhsa_reserve_vcc 0
		.amdhsa_reserve_flat_scratch 0
		.amdhsa_float_round_mode_32 0
		.amdhsa_float_round_mode_16_64 0
		.amdhsa_float_denorm_mode_32 3
		.amdhsa_float_denorm_mode_16_64 3
		.amdhsa_dx10_clamp 1
		.amdhsa_ieee_mode 1
		.amdhsa_fp16_overflow 0
		.amdhsa_exception_fp_ieee_invalid_op 0
		.amdhsa_exception_fp_denorm_src 0
		.amdhsa_exception_fp_ieee_div_zero 0
		.amdhsa_exception_fp_ieee_overflow 0
		.amdhsa_exception_fp_ieee_underflow 0
		.amdhsa_exception_fp_ieee_inexact 0
		.amdhsa_exception_int_div_zero 0
	.end_amdhsa_kernel
	.section	.text._ZN7rocprim17ROCPRIM_400000_NS6detail17trampoline_kernelINS0_14default_configENS1_38merge_sort_block_merge_config_selectorIhlEEZZNS1_27merge_sort_block_merge_implIS3_PhN6thrust23THRUST_200600_302600_NS10device_ptrIlEEjNS1_19radix_merge_compareILb0ELb0EhNS0_19identity_decomposerEEEEE10hipError_tT0_T1_T2_jT3_P12ihipStream_tbPNSt15iterator_traitsISG_E10value_typeEPNSM_ISH_E10value_typeEPSI_NS1_7vsmem_tEENKUlT_SG_SH_SI_E_clIS7_S7_PlSB_EESF_SV_SG_SH_SI_EUlSV_E0_NS1_11comp_targetILNS1_3genE0ELNS1_11target_archE4294967295ELNS1_3gpuE0ELNS1_3repE0EEENS1_38merge_mergepath_config_static_selectorELNS0_4arch9wavefront6targetE1EEEvSH_,"axG",@progbits,_ZN7rocprim17ROCPRIM_400000_NS6detail17trampoline_kernelINS0_14default_configENS1_38merge_sort_block_merge_config_selectorIhlEEZZNS1_27merge_sort_block_merge_implIS3_PhN6thrust23THRUST_200600_302600_NS10device_ptrIlEEjNS1_19radix_merge_compareILb0ELb0EhNS0_19identity_decomposerEEEEE10hipError_tT0_T1_T2_jT3_P12ihipStream_tbPNSt15iterator_traitsISG_E10value_typeEPNSM_ISH_E10value_typeEPSI_NS1_7vsmem_tEENKUlT_SG_SH_SI_E_clIS7_S7_PlSB_EESF_SV_SG_SH_SI_EUlSV_E0_NS1_11comp_targetILNS1_3genE0ELNS1_11target_archE4294967295ELNS1_3gpuE0ELNS1_3repE0EEENS1_38merge_mergepath_config_static_selectorELNS0_4arch9wavefront6targetE1EEEvSH_,comdat
.Lfunc_end132:
	.size	_ZN7rocprim17ROCPRIM_400000_NS6detail17trampoline_kernelINS0_14default_configENS1_38merge_sort_block_merge_config_selectorIhlEEZZNS1_27merge_sort_block_merge_implIS3_PhN6thrust23THRUST_200600_302600_NS10device_ptrIlEEjNS1_19radix_merge_compareILb0ELb0EhNS0_19identity_decomposerEEEEE10hipError_tT0_T1_T2_jT3_P12ihipStream_tbPNSt15iterator_traitsISG_E10value_typeEPNSM_ISH_E10value_typeEPSI_NS1_7vsmem_tEENKUlT_SG_SH_SI_E_clIS7_S7_PlSB_EESF_SV_SG_SH_SI_EUlSV_E0_NS1_11comp_targetILNS1_3genE0ELNS1_11target_archE4294967295ELNS1_3gpuE0ELNS1_3repE0EEENS1_38merge_mergepath_config_static_selectorELNS0_4arch9wavefront6targetE1EEEvSH_, .Lfunc_end132-_ZN7rocprim17ROCPRIM_400000_NS6detail17trampoline_kernelINS0_14default_configENS1_38merge_sort_block_merge_config_selectorIhlEEZZNS1_27merge_sort_block_merge_implIS3_PhN6thrust23THRUST_200600_302600_NS10device_ptrIlEEjNS1_19radix_merge_compareILb0ELb0EhNS0_19identity_decomposerEEEEE10hipError_tT0_T1_T2_jT3_P12ihipStream_tbPNSt15iterator_traitsISG_E10value_typeEPNSM_ISH_E10value_typeEPSI_NS1_7vsmem_tEENKUlT_SG_SH_SI_E_clIS7_S7_PlSB_EESF_SV_SG_SH_SI_EUlSV_E0_NS1_11comp_targetILNS1_3genE0ELNS1_11target_archE4294967295ELNS1_3gpuE0ELNS1_3repE0EEENS1_38merge_mergepath_config_static_selectorELNS0_4arch9wavefront6targetE1EEEvSH_
                                        ; -- End function
	.set _ZN7rocprim17ROCPRIM_400000_NS6detail17trampoline_kernelINS0_14default_configENS1_38merge_sort_block_merge_config_selectorIhlEEZZNS1_27merge_sort_block_merge_implIS3_PhN6thrust23THRUST_200600_302600_NS10device_ptrIlEEjNS1_19radix_merge_compareILb0ELb0EhNS0_19identity_decomposerEEEEE10hipError_tT0_T1_T2_jT3_P12ihipStream_tbPNSt15iterator_traitsISG_E10value_typeEPNSM_ISH_E10value_typeEPSI_NS1_7vsmem_tEENKUlT_SG_SH_SI_E_clIS7_S7_PlSB_EESF_SV_SG_SH_SI_EUlSV_E0_NS1_11comp_targetILNS1_3genE0ELNS1_11target_archE4294967295ELNS1_3gpuE0ELNS1_3repE0EEENS1_38merge_mergepath_config_static_selectorELNS0_4arch9wavefront6targetE1EEEvSH_.num_vgpr, 0
	.set _ZN7rocprim17ROCPRIM_400000_NS6detail17trampoline_kernelINS0_14default_configENS1_38merge_sort_block_merge_config_selectorIhlEEZZNS1_27merge_sort_block_merge_implIS3_PhN6thrust23THRUST_200600_302600_NS10device_ptrIlEEjNS1_19radix_merge_compareILb0ELb0EhNS0_19identity_decomposerEEEEE10hipError_tT0_T1_T2_jT3_P12ihipStream_tbPNSt15iterator_traitsISG_E10value_typeEPNSM_ISH_E10value_typeEPSI_NS1_7vsmem_tEENKUlT_SG_SH_SI_E_clIS7_S7_PlSB_EESF_SV_SG_SH_SI_EUlSV_E0_NS1_11comp_targetILNS1_3genE0ELNS1_11target_archE4294967295ELNS1_3gpuE0ELNS1_3repE0EEENS1_38merge_mergepath_config_static_selectorELNS0_4arch9wavefront6targetE1EEEvSH_.num_agpr, 0
	.set _ZN7rocprim17ROCPRIM_400000_NS6detail17trampoline_kernelINS0_14default_configENS1_38merge_sort_block_merge_config_selectorIhlEEZZNS1_27merge_sort_block_merge_implIS3_PhN6thrust23THRUST_200600_302600_NS10device_ptrIlEEjNS1_19radix_merge_compareILb0ELb0EhNS0_19identity_decomposerEEEEE10hipError_tT0_T1_T2_jT3_P12ihipStream_tbPNSt15iterator_traitsISG_E10value_typeEPNSM_ISH_E10value_typeEPSI_NS1_7vsmem_tEENKUlT_SG_SH_SI_E_clIS7_S7_PlSB_EESF_SV_SG_SH_SI_EUlSV_E0_NS1_11comp_targetILNS1_3genE0ELNS1_11target_archE4294967295ELNS1_3gpuE0ELNS1_3repE0EEENS1_38merge_mergepath_config_static_selectorELNS0_4arch9wavefront6targetE1EEEvSH_.numbered_sgpr, 0
	.set _ZN7rocprim17ROCPRIM_400000_NS6detail17trampoline_kernelINS0_14default_configENS1_38merge_sort_block_merge_config_selectorIhlEEZZNS1_27merge_sort_block_merge_implIS3_PhN6thrust23THRUST_200600_302600_NS10device_ptrIlEEjNS1_19radix_merge_compareILb0ELb0EhNS0_19identity_decomposerEEEEE10hipError_tT0_T1_T2_jT3_P12ihipStream_tbPNSt15iterator_traitsISG_E10value_typeEPNSM_ISH_E10value_typeEPSI_NS1_7vsmem_tEENKUlT_SG_SH_SI_E_clIS7_S7_PlSB_EESF_SV_SG_SH_SI_EUlSV_E0_NS1_11comp_targetILNS1_3genE0ELNS1_11target_archE4294967295ELNS1_3gpuE0ELNS1_3repE0EEENS1_38merge_mergepath_config_static_selectorELNS0_4arch9wavefront6targetE1EEEvSH_.num_named_barrier, 0
	.set _ZN7rocprim17ROCPRIM_400000_NS6detail17trampoline_kernelINS0_14default_configENS1_38merge_sort_block_merge_config_selectorIhlEEZZNS1_27merge_sort_block_merge_implIS3_PhN6thrust23THRUST_200600_302600_NS10device_ptrIlEEjNS1_19radix_merge_compareILb0ELb0EhNS0_19identity_decomposerEEEEE10hipError_tT0_T1_T2_jT3_P12ihipStream_tbPNSt15iterator_traitsISG_E10value_typeEPNSM_ISH_E10value_typeEPSI_NS1_7vsmem_tEENKUlT_SG_SH_SI_E_clIS7_S7_PlSB_EESF_SV_SG_SH_SI_EUlSV_E0_NS1_11comp_targetILNS1_3genE0ELNS1_11target_archE4294967295ELNS1_3gpuE0ELNS1_3repE0EEENS1_38merge_mergepath_config_static_selectorELNS0_4arch9wavefront6targetE1EEEvSH_.private_seg_size, 0
	.set _ZN7rocprim17ROCPRIM_400000_NS6detail17trampoline_kernelINS0_14default_configENS1_38merge_sort_block_merge_config_selectorIhlEEZZNS1_27merge_sort_block_merge_implIS3_PhN6thrust23THRUST_200600_302600_NS10device_ptrIlEEjNS1_19radix_merge_compareILb0ELb0EhNS0_19identity_decomposerEEEEE10hipError_tT0_T1_T2_jT3_P12ihipStream_tbPNSt15iterator_traitsISG_E10value_typeEPNSM_ISH_E10value_typeEPSI_NS1_7vsmem_tEENKUlT_SG_SH_SI_E_clIS7_S7_PlSB_EESF_SV_SG_SH_SI_EUlSV_E0_NS1_11comp_targetILNS1_3genE0ELNS1_11target_archE4294967295ELNS1_3gpuE0ELNS1_3repE0EEENS1_38merge_mergepath_config_static_selectorELNS0_4arch9wavefront6targetE1EEEvSH_.uses_vcc, 0
	.set _ZN7rocprim17ROCPRIM_400000_NS6detail17trampoline_kernelINS0_14default_configENS1_38merge_sort_block_merge_config_selectorIhlEEZZNS1_27merge_sort_block_merge_implIS3_PhN6thrust23THRUST_200600_302600_NS10device_ptrIlEEjNS1_19radix_merge_compareILb0ELb0EhNS0_19identity_decomposerEEEEE10hipError_tT0_T1_T2_jT3_P12ihipStream_tbPNSt15iterator_traitsISG_E10value_typeEPNSM_ISH_E10value_typeEPSI_NS1_7vsmem_tEENKUlT_SG_SH_SI_E_clIS7_S7_PlSB_EESF_SV_SG_SH_SI_EUlSV_E0_NS1_11comp_targetILNS1_3genE0ELNS1_11target_archE4294967295ELNS1_3gpuE0ELNS1_3repE0EEENS1_38merge_mergepath_config_static_selectorELNS0_4arch9wavefront6targetE1EEEvSH_.uses_flat_scratch, 0
	.set _ZN7rocprim17ROCPRIM_400000_NS6detail17trampoline_kernelINS0_14default_configENS1_38merge_sort_block_merge_config_selectorIhlEEZZNS1_27merge_sort_block_merge_implIS3_PhN6thrust23THRUST_200600_302600_NS10device_ptrIlEEjNS1_19radix_merge_compareILb0ELb0EhNS0_19identity_decomposerEEEEE10hipError_tT0_T1_T2_jT3_P12ihipStream_tbPNSt15iterator_traitsISG_E10value_typeEPNSM_ISH_E10value_typeEPSI_NS1_7vsmem_tEENKUlT_SG_SH_SI_E_clIS7_S7_PlSB_EESF_SV_SG_SH_SI_EUlSV_E0_NS1_11comp_targetILNS1_3genE0ELNS1_11target_archE4294967295ELNS1_3gpuE0ELNS1_3repE0EEENS1_38merge_mergepath_config_static_selectorELNS0_4arch9wavefront6targetE1EEEvSH_.has_dyn_sized_stack, 0
	.set _ZN7rocprim17ROCPRIM_400000_NS6detail17trampoline_kernelINS0_14default_configENS1_38merge_sort_block_merge_config_selectorIhlEEZZNS1_27merge_sort_block_merge_implIS3_PhN6thrust23THRUST_200600_302600_NS10device_ptrIlEEjNS1_19radix_merge_compareILb0ELb0EhNS0_19identity_decomposerEEEEE10hipError_tT0_T1_T2_jT3_P12ihipStream_tbPNSt15iterator_traitsISG_E10value_typeEPNSM_ISH_E10value_typeEPSI_NS1_7vsmem_tEENKUlT_SG_SH_SI_E_clIS7_S7_PlSB_EESF_SV_SG_SH_SI_EUlSV_E0_NS1_11comp_targetILNS1_3genE0ELNS1_11target_archE4294967295ELNS1_3gpuE0ELNS1_3repE0EEENS1_38merge_mergepath_config_static_selectorELNS0_4arch9wavefront6targetE1EEEvSH_.has_recursion, 0
	.set _ZN7rocprim17ROCPRIM_400000_NS6detail17trampoline_kernelINS0_14default_configENS1_38merge_sort_block_merge_config_selectorIhlEEZZNS1_27merge_sort_block_merge_implIS3_PhN6thrust23THRUST_200600_302600_NS10device_ptrIlEEjNS1_19radix_merge_compareILb0ELb0EhNS0_19identity_decomposerEEEEE10hipError_tT0_T1_T2_jT3_P12ihipStream_tbPNSt15iterator_traitsISG_E10value_typeEPNSM_ISH_E10value_typeEPSI_NS1_7vsmem_tEENKUlT_SG_SH_SI_E_clIS7_S7_PlSB_EESF_SV_SG_SH_SI_EUlSV_E0_NS1_11comp_targetILNS1_3genE0ELNS1_11target_archE4294967295ELNS1_3gpuE0ELNS1_3repE0EEENS1_38merge_mergepath_config_static_selectorELNS0_4arch9wavefront6targetE1EEEvSH_.has_indirect_call, 0
	.section	.AMDGPU.csdata,"",@progbits
; Kernel info:
; codeLenInByte = 0
; TotalNumSgprs: 4
; NumVgprs: 0
; ScratchSize: 0
; MemoryBound: 0
; FloatMode: 240
; IeeeMode: 1
; LDSByteSize: 0 bytes/workgroup (compile time only)
; SGPRBlocks: 0
; VGPRBlocks: 0
; NumSGPRsForWavesPerEU: 4
; NumVGPRsForWavesPerEU: 1
; Occupancy: 10
; WaveLimiterHint : 0
; COMPUTE_PGM_RSRC2:SCRATCH_EN: 0
; COMPUTE_PGM_RSRC2:USER_SGPR: 6
; COMPUTE_PGM_RSRC2:TRAP_HANDLER: 0
; COMPUTE_PGM_RSRC2:TGID_X_EN: 1
; COMPUTE_PGM_RSRC2:TGID_Y_EN: 0
; COMPUTE_PGM_RSRC2:TGID_Z_EN: 0
; COMPUTE_PGM_RSRC2:TIDIG_COMP_CNT: 0
	.section	.text._ZN7rocprim17ROCPRIM_400000_NS6detail17trampoline_kernelINS0_14default_configENS1_38merge_sort_block_merge_config_selectorIhlEEZZNS1_27merge_sort_block_merge_implIS3_PhN6thrust23THRUST_200600_302600_NS10device_ptrIlEEjNS1_19radix_merge_compareILb0ELb0EhNS0_19identity_decomposerEEEEE10hipError_tT0_T1_T2_jT3_P12ihipStream_tbPNSt15iterator_traitsISG_E10value_typeEPNSM_ISH_E10value_typeEPSI_NS1_7vsmem_tEENKUlT_SG_SH_SI_E_clIS7_S7_PlSB_EESF_SV_SG_SH_SI_EUlSV_E0_NS1_11comp_targetILNS1_3genE10ELNS1_11target_archE1201ELNS1_3gpuE5ELNS1_3repE0EEENS1_38merge_mergepath_config_static_selectorELNS0_4arch9wavefront6targetE1EEEvSH_,"axG",@progbits,_ZN7rocprim17ROCPRIM_400000_NS6detail17trampoline_kernelINS0_14default_configENS1_38merge_sort_block_merge_config_selectorIhlEEZZNS1_27merge_sort_block_merge_implIS3_PhN6thrust23THRUST_200600_302600_NS10device_ptrIlEEjNS1_19radix_merge_compareILb0ELb0EhNS0_19identity_decomposerEEEEE10hipError_tT0_T1_T2_jT3_P12ihipStream_tbPNSt15iterator_traitsISG_E10value_typeEPNSM_ISH_E10value_typeEPSI_NS1_7vsmem_tEENKUlT_SG_SH_SI_E_clIS7_S7_PlSB_EESF_SV_SG_SH_SI_EUlSV_E0_NS1_11comp_targetILNS1_3genE10ELNS1_11target_archE1201ELNS1_3gpuE5ELNS1_3repE0EEENS1_38merge_mergepath_config_static_selectorELNS0_4arch9wavefront6targetE1EEEvSH_,comdat
	.protected	_ZN7rocprim17ROCPRIM_400000_NS6detail17trampoline_kernelINS0_14default_configENS1_38merge_sort_block_merge_config_selectorIhlEEZZNS1_27merge_sort_block_merge_implIS3_PhN6thrust23THRUST_200600_302600_NS10device_ptrIlEEjNS1_19radix_merge_compareILb0ELb0EhNS0_19identity_decomposerEEEEE10hipError_tT0_T1_T2_jT3_P12ihipStream_tbPNSt15iterator_traitsISG_E10value_typeEPNSM_ISH_E10value_typeEPSI_NS1_7vsmem_tEENKUlT_SG_SH_SI_E_clIS7_S7_PlSB_EESF_SV_SG_SH_SI_EUlSV_E0_NS1_11comp_targetILNS1_3genE10ELNS1_11target_archE1201ELNS1_3gpuE5ELNS1_3repE0EEENS1_38merge_mergepath_config_static_selectorELNS0_4arch9wavefront6targetE1EEEvSH_ ; -- Begin function _ZN7rocprim17ROCPRIM_400000_NS6detail17trampoline_kernelINS0_14default_configENS1_38merge_sort_block_merge_config_selectorIhlEEZZNS1_27merge_sort_block_merge_implIS3_PhN6thrust23THRUST_200600_302600_NS10device_ptrIlEEjNS1_19radix_merge_compareILb0ELb0EhNS0_19identity_decomposerEEEEE10hipError_tT0_T1_T2_jT3_P12ihipStream_tbPNSt15iterator_traitsISG_E10value_typeEPNSM_ISH_E10value_typeEPSI_NS1_7vsmem_tEENKUlT_SG_SH_SI_E_clIS7_S7_PlSB_EESF_SV_SG_SH_SI_EUlSV_E0_NS1_11comp_targetILNS1_3genE10ELNS1_11target_archE1201ELNS1_3gpuE5ELNS1_3repE0EEENS1_38merge_mergepath_config_static_selectorELNS0_4arch9wavefront6targetE1EEEvSH_
	.globl	_ZN7rocprim17ROCPRIM_400000_NS6detail17trampoline_kernelINS0_14default_configENS1_38merge_sort_block_merge_config_selectorIhlEEZZNS1_27merge_sort_block_merge_implIS3_PhN6thrust23THRUST_200600_302600_NS10device_ptrIlEEjNS1_19radix_merge_compareILb0ELb0EhNS0_19identity_decomposerEEEEE10hipError_tT0_T1_T2_jT3_P12ihipStream_tbPNSt15iterator_traitsISG_E10value_typeEPNSM_ISH_E10value_typeEPSI_NS1_7vsmem_tEENKUlT_SG_SH_SI_E_clIS7_S7_PlSB_EESF_SV_SG_SH_SI_EUlSV_E0_NS1_11comp_targetILNS1_3genE10ELNS1_11target_archE1201ELNS1_3gpuE5ELNS1_3repE0EEENS1_38merge_mergepath_config_static_selectorELNS0_4arch9wavefront6targetE1EEEvSH_
	.p2align	8
	.type	_ZN7rocprim17ROCPRIM_400000_NS6detail17trampoline_kernelINS0_14default_configENS1_38merge_sort_block_merge_config_selectorIhlEEZZNS1_27merge_sort_block_merge_implIS3_PhN6thrust23THRUST_200600_302600_NS10device_ptrIlEEjNS1_19radix_merge_compareILb0ELb0EhNS0_19identity_decomposerEEEEE10hipError_tT0_T1_T2_jT3_P12ihipStream_tbPNSt15iterator_traitsISG_E10value_typeEPNSM_ISH_E10value_typeEPSI_NS1_7vsmem_tEENKUlT_SG_SH_SI_E_clIS7_S7_PlSB_EESF_SV_SG_SH_SI_EUlSV_E0_NS1_11comp_targetILNS1_3genE10ELNS1_11target_archE1201ELNS1_3gpuE5ELNS1_3repE0EEENS1_38merge_mergepath_config_static_selectorELNS0_4arch9wavefront6targetE1EEEvSH_,@function
_ZN7rocprim17ROCPRIM_400000_NS6detail17trampoline_kernelINS0_14default_configENS1_38merge_sort_block_merge_config_selectorIhlEEZZNS1_27merge_sort_block_merge_implIS3_PhN6thrust23THRUST_200600_302600_NS10device_ptrIlEEjNS1_19radix_merge_compareILb0ELb0EhNS0_19identity_decomposerEEEEE10hipError_tT0_T1_T2_jT3_P12ihipStream_tbPNSt15iterator_traitsISG_E10value_typeEPNSM_ISH_E10value_typeEPSI_NS1_7vsmem_tEENKUlT_SG_SH_SI_E_clIS7_S7_PlSB_EESF_SV_SG_SH_SI_EUlSV_E0_NS1_11comp_targetILNS1_3genE10ELNS1_11target_archE1201ELNS1_3gpuE5ELNS1_3repE0EEENS1_38merge_mergepath_config_static_selectorELNS0_4arch9wavefront6targetE1EEEvSH_: ; @_ZN7rocprim17ROCPRIM_400000_NS6detail17trampoline_kernelINS0_14default_configENS1_38merge_sort_block_merge_config_selectorIhlEEZZNS1_27merge_sort_block_merge_implIS3_PhN6thrust23THRUST_200600_302600_NS10device_ptrIlEEjNS1_19radix_merge_compareILb0ELb0EhNS0_19identity_decomposerEEEEE10hipError_tT0_T1_T2_jT3_P12ihipStream_tbPNSt15iterator_traitsISG_E10value_typeEPNSM_ISH_E10value_typeEPSI_NS1_7vsmem_tEENKUlT_SG_SH_SI_E_clIS7_S7_PlSB_EESF_SV_SG_SH_SI_EUlSV_E0_NS1_11comp_targetILNS1_3genE10ELNS1_11target_archE1201ELNS1_3gpuE5ELNS1_3repE0EEENS1_38merge_mergepath_config_static_selectorELNS0_4arch9wavefront6targetE1EEEvSH_
; %bb.0:
	.section	.rodata,"a",@progbits
	.p2align	6, 0x0
	.amdhsa_kernel _ZN7rocprim17ROCPRIM_400000_NS6detail17trampoline_kernelINS0_14default_configENS1_38merge_sort_block_merge_config_selectorIhlEEZZNS1_27merge_sort_block_merge_implIS3_PhN6thrust23THRUST_200600_302600_NS10device_ptrIlEEjNS1_19radix_merge_compareILb0ELb0EhNS0_19identity_decomposerEEEEE10hipError_tT0_T1_T2_jT3_P12ihipStream_tbPNSt15iterator_traitsISG_E10value_typeEPNSM_ISH_E10value_typeEPSI_NS1_7vsmem_tEENKUlT_SG_SH_SI_E_clIS7_S7_PlSB_EESF_SV_SG_SH_SI_EUlSV_E0_NS1_11comp_targetILNS1_3genE10ELNS1_11target_archE1201ELNS1_3gpuE5ELNS1_3repE0EEENS1_38merge_mergepath_config_static_selectorELNS0_4arch9wavefront6targetE1EEEvSH_
		.amdhsa_group_segment_fixed_size 0
		.amdhsa_private_segment_fixed_size 0
		.amdhsa_kernarg_size 64
		.amdhsa_user_sgpr_count 6
		.amdhsa_user_sgpr_private_segment_buffer 1
		.amdhsa_user_sgpr_dispatch_ptr 0
		.amdhsa_user_sgpr_queue_ptr 0
		.amdhsa_user_sgpr_kernarg_segment_ptr 1
		.amdhsa_user_sgpr_dispatch_id 0
		.amdhsa_user_sgpr_flat_scratch_init 0
		.amdhsa_user_sgpr_private_segment_size 0
		.amdhsa_uses_dynamic_stack 0
		.amdhsa_system_sgpr_private_segment_wavefront_offset 0
		.amdhsa_system_sgpr_workgroup_id_x 1
		.amdhsa_system_sgpr_workgroup_id_y 0
		.amdhsa_system_sgpr_workgroup_id_z 0
		.amdhsa_system_sgpr_workgroup_info 0
		.amdhsa_system_vgpr_workitem_id 0
		.amdhsa_next_free_vgpr 1
		.amdhsa_next_free_sgpr 0
		.amdhsa_reserve_vcc 0
		.amdhsa_reserve_flat_scratch 0
		.amdhsa_float_round_mode_32 0
		.amdhsa_float_round_mode_16_64 0
		.amdhsa_float_denorm_mode_32 3
		.amdhsa_float_denorm_mode_16_64 3
		.amdhsa_dx10_clamp 1
		.amdhsa_ieee_mode 1
		.amdhsa_fp16_overflow 0
		.amdhsa_exception_fp_ieee_invalid_op 0
		.amdhsa_exception_fp_denorm_src 0
		.amdhsa_exception_fp_ieee_div_zero 0
		.amdhsa_exception_fp_ieee_overflow 0
		.amdhsa_exception_fp_ieee_underflow 0
		.amdhsa_exception_fp_ieee_inexact 0
		.amdhsa_exception_int_div_zero 0
	.end_amdhsa_kernel
	.section	.text._ZN7rocprim17ROCPRIM_400000_NS6detail17trampoline_kernelINS0_14default_configENS1_38merge_sort_block_merge_config_selectorIhlEEZZNS1_27merge_sort_block_merge_implIS3_PhN6thrust23THRUST_200600_302600_NS10device_ptrIlEEjNS1_19radix_merge_compareILb0ELb0EhNS0_19identity_decomposerEEEEE10hipError_tT0_T1_T2_jT3_P12ihipStream_tbPNSt15iterator_traitsISG_E10value_typeEPNSM_ISH_E10value_typeEPSI_NS1_7vsmem_tEENKUlT_SG_SH_SI_E_clIS7_S7_PlSB_EESF_SV_SG_SH_SI_EUlSV_E0_NS1_11comp_targetILNS1_3genE10ELNS1_11target_archE1201ELNS1_3gpuE5ELNS1_3repE0EEENS1_38merge_mergepath_config_static_selectorELNS0_4arch9wavefront6targetE1EEEvSH_,"axG",@progbits,_ZN7rocprim17ROCPRIM_400000_NS6detail17trampoline_kernelINS0_14default_configENS1_38merge_sort_block_merge_config_selectorIhlEEZZNS1_27merge_sort_block_merge_implIS3_PhN6thrust23THRUST_200600_302600_NS10device_ptrIlEEjNS1_19radix_merge_compareILb0ELb0EhNS0_19identity_decomposerEEEEE10hipError_tT0_T1_T2_jT3_P12ihipStream_tbPNSt15iterator_traitsISG_E10value_typeEPNSM_ISH_E10value_typeEPSI_NS1_7vsmem_tEENKUlT_SG_SH_SI_E_clIS7_S7_PlSB_EESF_SV_SG_SH_SI_EUlSV_E0_NS1_11comp_targetILNS1_3genE10ELNS1_11target_archE1201ELNS1_3gpuE5ELNS1_3repE0EEENS1_38merge_mergepath_config_static_selectorELNS0_4arch9wavefront6targetE1EEEvSH_,comdat
.Lfunc_end133:
	.size	_ZN7rocprim17ROCPRIM_400000_NS6detail17trampoline_kernelINS0_14default_configENS1_38merge_sort_block_merge_config_selectorIhlEEZZNS1_27merge_sort_block_merge_implIS3_PhN6thrust23THRUST_200600_302600_NS10device_ptrIlEEjNS1_19radix_merge_compareILb0ELb0EhNS0_19identity_decomposerEEEEE10hipError_tT0_T1_T2_jT3_P12ihipStream_tbPNSt15iterator_traitsISG_E10value_typeEPNSM_ISH_E10value_typeEPSI_NS1_7vsmem_tEENKUlT_SG_SH_SI_E_clIS7_S7_PlSB_EESF_SV_SG_SH_SI_EUlSV_E0_NS1_11comp_targetILNS1_3genE10ELNS1_11target_archE1201ELNS1_3gpuE5ELNS1_3repE0EEENS1_38merge_mergepath_config_static_selectorELNS0_4arch9wavefront6targetE1EEEvSH_, .Lfunc_end133-_ZN7rocprim17ROCPRIM_400000_NS6detail17trampoline_kernelINS0_14default_configENS1_38merge_sort_block_merge_config_selectorIhlEEZZNS1_27merge_sort_block_merge_implIS3_PhN6thrust23THRUST_200600_302600_NS10device_ptrIlEEjNS1_19radix_merge_compareILb0ELb0EhNS0_19identity_decomposerEEEEE10hipError_tT0_T1_T2_jT3_P12ihipStream_tbPNSt15iterator_traitsISG_E10value_typeEPNSM_ISH_E10value_typeEPSI_NS1_7vsmem_tEENKUlT_SG_SH_SI_E_clIS7_S7_PlSB_EESF_SV_SG_SH_SI_EUlSV_E0_NS1_11comp_targetILNS1_3genE10ELNS1_11target_archE1201ELNS1_3gpuE5ELNS1_3repE0EEENS1_38merge_mergepath_config_static_selectorELNS0_4arch9wavefront6targetE1EEEvSH_
                                        ; -- End function
	.set _ZN7rocprim17ROCPRIM_400000_NS6detail17trampoline_kernelINS0_14default_configENS1_38merge_sort_block_merge_config_selectorIhlEEZZNS1_27merge_sort_block_merge_implIS3_PhN6thrust23THRUST_200600_302600_NS10device_ptrIlEEjNS1_19radix_merge_compareILb0ELb0EhNS0_19identity_decomposerEEEEE10hipError_tT0_T1_T2_jT3_P12ihipStream_tbPNSt15iterator_traitsISG_E10value_typeEPNSM_ISH_E10value_typeEPSI_NS1_7vsmem_tEENKUlT_SG_SH_SI_E_clIS7_S7_PlSB_EESF_SV_SG_SH_SI_EUlSV_E0_NS1_11comp_targetILNS1_3genE10ELNS1_11target_archE1201ELNS1_3gpuE5ELNS1_3repE0EEENS1_38merge_mergepath_config_static_selectorELNS0_4arch9wavefront6targetE1EEEvSH_.num_vgpr, 0
	.set _ZN7rocprim17ROCPRIM_400000_NS6detail17trampoline_kernelINS0_14default_configENS1_38merge_sort_block_merge_config_selectorIhlEEZZNS1_27merge_sort_block_merge_implIS3_PhN6thrust23THRUST_200600_302600_NS10device_ptrIlEEjNS1_19radix_merge_compareILb0ELb0EhNS0_19identity_decomposerEEEEE10hipError_tT0_T1_T2_jT3_P12ihipStream_tbPNSt15iterator_traitsISG_E10value_typeEPNSM_ISH_E10value_typeEPSI_NS1_7vsmem_tEENKUlT_SG_SH_SI_E_clIS7_S7_PlSB_EESF_SV_SG_SH_SI_EUlSV_E0_NS1_11comp_targetILNS1_3genE10ELNS1_11target_archE1201ELNS1_3gpuE5ELNS1_3repE0EEENS1_38merge_mergepath_config_static_selectorELNS0_4arch9wavefront6targetE1EEEvSH_.num_agpr, 0
	.set _ZN7rocprim17ROCPRIM_400000_NS6detail17trampoline_kernelINS0_14default_configENS1_38merge_sort_block_merge_config_selectorIhlEEZZNS1_27merge_sort_block_merge_implIS3_PhN6thrust23THRUST_200600_302600_NS10device_ptrIlEEjNS1_19radix_merge_compareILb0ELb0EhNS0_19identity_decomposerEEEEE10hipError_tT0_T1_T2_jT3_P12ihipStream_tbPNSt15iterator_traitsISG_E10value_typeEPNSM_ISH_E10value_typeEPSI_NS1_7vsmem_tEENKUlT_SG_SH_SI_E_clIS7_S7_PlSB_EESF_SV_SG_SH_SI_EUlSV_E0_NS1_11comp_targetILNS1_3genE10ELNS1_11target_archE1201ELNS1_3gpuE5ELNS1_3repE0EEENS1_38merge_mergepath_config_static_selectorELNS0_4arch9wavefront6targetE1EEEvSH_.numbered_sgpr, 0
	.set _ZN7rocprim17ROCPRIM_400000_NS6detail17trampoline_kernelINS0_14default_configENS1_38merge_sort_block_merge_config_selectorIhlEEZZNS1_27merge_sort_block_merge_implIS3_PhN6thrust23THRUST_200600_302600_NS10device_ptrIlEEjNS1_19radix_merge_compareILb0ELb0EhNS0_19identity_decomposerEEEEE10hipError_tT0_T1_T2_jT3_P12ihipStream_tbPNSt15iterator_traitsISG_E10value_typeEPNSM_ISH_E10value_typeEPSI_NS1_7vsmem_tEENKUlT_SG_SH_SI_E_clIS7_S7_PlSB_EESF_SV_SG_SH_SI_EUlSV_E0_NS1_11comp_targetILNS1_3genE10ELNS1_11target_archE1201ELNS1_3gpuE5ELNS1_3repE0EEENS1_38merge_mergepath_config_static_selectorELNS0_4arch9wavefront6targetE1EEEvSH_.num_named_barrier, 0
	.set _ZN7rocprim17ROCPRIM_400000_NS6detail17trampoline_kernelINS0_14default_configENS1_38merge_sort_block_merge_config_selectorIhlEEZZNS1_27merge_sort_block_merge_implIS3_PhN6thrust23THRUST_200600_302600_NS10device_ptrIlEEjNS1_19radix_merge_compareILb0ELb0EhNS0_19identity_decomposerEEEEE10hipError_tT0_T1_T2_jT3_P12ihipStream_tbPNSt15iterator_traitsISG_E10value_typeEPNSM_ISH_E10value_typeEPSI_NS1_7vsmem_tEENKUlT_SG_SH_SI_E_clIS7_S7_PlSB_EESF_SV_SG_SH_SI_EUlSV_E0_NS1_11comp_targetILNS1_3genE10ELNS1_11target_archE1201ELNS1_3gpuE5ELNS1_3repE0EEENS1_38merge_mergepath_config_static_selectorELNS0_4arch9wavefront6targetE1EEEvSH_.private_seg_size, 0
	.set _ZN7rocprim17ROCPRIM_400000_NS6detail17trampoline_kernelINS0_14default_configENS1_38merge_sort_block_merge_config_selectorIhlEEZZNS1_27merge_sort_block_merge_implIS3_PhN6thrust23THRUST_200600_302600_NS10device_ptrIlEEjNS1_19radix_merge_compareILb0ELb0EhNS0_19identity_decomposerEEEEE10hipError_tT0_T1_T2_jT3_P12ihipStream_tbPNSt15iterator_traitsISG_E10value_typeEPNSM_ISH_E10value_typeEPSI_NS1_7vsmem_tEENKUlT_SG_SH_SI_E_clIS7_S7_PlSB_EESF_SV_SG_SH_SI_EUlSV_E0_NS1_11comp_targetILNS1_3genE10ELNS1_11target_archE1201ELNS1_3gpuE5ELNS1_3repE0EEENS1_38merge_mergepath_config_static_selectorELNS0_4arch9wavefront6targetE1EEEvSH_.uses_vcc, 0
	.set _ZN7rocprim17ROCPRIM_400000_NS6detail17trampoline_kernelINS0_14default_configENS1_38merge_sort_block_merge_config_selectorIhlEEZZNS1_27merge_sort_block_merge_implIS3_PhN6thrust23THRUST_200600_302600_NS10device_ptrIlEEjNS1_19radix_merge_compareILb0ELb0EhNS0_19identity_decomposerEEEEE10hipError_tT0_T1_T2_jT3_P12ihipStream_tbPNSt15iterator_traitsISG_E10value_typeEPNSM_ISH_E10value_typeEPSI_NS1_7vsmem_tEENKUlT_SG_SH_SI_E_clIS7_S7_PlSB_EESF_SV_SG_SH_SI_EUlSV_E0_NS1_11comp_targetILNS1_3genE10ELNS1_11target_archE1201ELNS1_3gpuE5ELNS1_3repE0EEENS1_38merge_mergepath_config_static_selectorELNS0_4arch9wavefront6targetE1EEEvSH_.uses_flat_scratch, 0
	.set _ZN7rocprim17ROCPRIM_400000_NS6detail17trampoline_kernelINS0_14default_configENS1_38merge_sort_block_merge_config_selectorIhlEEZZNS1_27merge_sort_block_merge_implIS3_PhN6thrust23THRUST_200600_302600_NS10device_ptrIlEEjNS1_19radix_merge_compareILb0ELb0EhNS0_19identity_decomposerEEEEE10hipError_tT0_T1_T2_jT3_P12ihipStream_tbPNSt15iterator_traitsISG_E10value_typeEPNSM_ISH_E10value_typeEPSI_NS1_7vsmem_tEENKUlT_SG_SH_SI_E_clIS7_S7_PlSB_EESF_SV_SG_SH_SI_EUlSV_E0_NS1_11comp_targetILNS1_3genE10ELNS1_11target_archE1201ELNS1_3gpuE5ELNS1_3repE0EEENS1_38merge_mergepath_config_static_selectorELNS0_4arch9wavefront6targetE1EEEvSH_.has_dyn_sized_stack, 0
	.set _ZN7rocprim17ROCPRIM_400000_NS6detail17trampoline_kernelINS0_14default_configENS1_38merge_sort_block_merge_config_selectorIhlEEZZNS1_27merge_sort_block_merge_implIS3_PhN6thrust23THRUST_200600_302600_NS10device_ptrIlEEjNS1_19radix_merge_compareILb0ELb0EhNS0_19identity_decomposerEEEEE10hipError_tT0_T1_T2_jT3_P12ihipStream_tbPNSt15iterator_traitsISG_E10value_typeEPNSM_ISH_E10value_typeEPSI_NS1_7vsmem_tEENKUlT_SG_SH_SI_E_clIS7_S7_PlSB_EESF_SV_SG_SH_SI_EUlSV_E0_NS1_11comp_targetILNS1_3genE10ELNS1_11target_archE1201ELNS1_3gpuE5ELNS1_3repE0EEENS1_38merge_mergepath_config_static_selectorELNS0_4arch9wavefront6targetE1EEEvSH_.has_recursion, 0
	.set _ZN7rocprim17ROCPRIM_400000_NS6detail17trampoline_kernelINS0_14default_configENS1_38merge_sort_block_merge_config_selectorIhlEEZZNS1_27merge_sort_block_merge_implIS3_PhN6thrust23THRUST_200600_302600_NS10device_ptrIlEEjNS1_19radix_merge_compareILb0ELb0EhNS0_19identity_decomposerEEEEE10hipError_tT0_T1_T2_jT3_P12ihipStream_tbPNSt15iterator_traitsISG_E10value_typeEPNSM_ISH_E10value_typeEPSI_NS1_7vsmem_tEENKUlT_SG_SH_SI_E_clIS7_S7_PlSB_EESF_SV_SG_SH_SI_EUlSV_E0_NS1_11comp_targetILNS1_3genE10ELNS1_11target_archE1201ELNS1_3gpuE5ELNS1_3repE0EEENS1_38merge_mergepath_config_static_selectorELNS0_4arch9wavefront6targetE1EEEvSH_.has_indirect_call, 0
	.section	.AMDGPU.csdata,"",@progbits
; Kernel info:
; codeLenInByte = 0
; TotalNumSgprs: 4
; NumVgprs: 0
; ScratchSize: 0
; MemoryBound: 0
; FloatMode: 240
; IeeeMode: 1
; LDSByteSize: 0 bytes/workgroup (compile time only)
; SGPRBlocks: 0
; VGPRBlocks: 0
; NumSGPRsForWavesPerEU: 4
; NumVGPRsForWavesPerEU: 1
; Occupancy: 10
; WaveLimiterHint : 0
; COMPUTE_PGM_RSRC2:SCRATCH_EN: 0
; COMPUTE_PGM_RSRC2:USER_SGPR: 6
; COMPUTE_PGM_RSRC2:TRAP_HANDLER: 0
; COMPUTE_PGM_RSRC2:TGID_X_EN: 1
; COMPUTE_PGM_RSRC2:TGID_Y_EN: 0
; COMPUTE_PGM_RSRC2:TGID_Z_EN: 0
; COMPUTE_PGM_RSRC2:TIDIG_COMP_CNT: 0
	.section	.text._ZN7rocprim17ROCPRIM_400000_NS6detail17trampoline_kernelINS0_14default_configENS1_38merge_sort_block_merge_config_selectorIhlEEZZNS1_27merge_sort_block_merge_implIS3_PhN6thrust23THRUST_200600_302600_NS10device_ptrIlEEjNS1_19radix_merge_compareILb0ELb0EhNS0_19identity_decomposerEEEEE10hipError_tT0_T1_T2_jT3_P12ihipStream_tbPNSt15iterator_traitsISG_E10value_typeEPNSM_ISH_E10value_typeEPSI_NS1_7vsmem_tEENKUlT_SG_SH_SI_E_clIS7_S7_PlSB_EESF_SV_SG_SH_SI_EUlSV_E0_NS1_11comp_targetILNS1_3genE5ELNS1_11target_archE942ELNS1_3gpuE9ELNS1_3repE0EEENS1_38merge_mergepath_config_static_selectorELNS0_4arch9wavefront6targetE1EEEvSH_,"axG",@progbits,_ZN7rocprim17ROCPRIM_400000_NS6detail17trampoline_kernelINS0_14default_configENS1_38merge_sort_block_merge_config_selectorIhlEEZZNS1_27merge_sort_block_merge_implIS3_PhN6thrust23THRUST_200600_302600_NS10device_ptrIlEEjNS1_19radix_merge_compareILb0ELb0EhNS0_19identity_decomposerEEEEE10hipError_tT0_T1_T2_jT3_P12ihipStream_tbPNSt15iterator_traitsISG_E10value_typeEPNSM_ISH_E10value_typeEPSI_NS1_7vsmem_tEENKUlT_SG_SH_SI_E_clIS7_S7_PlSB_EESF_SV_SG_SH_SI_EUlSV_E0_NS1_11comp_targetILNS1_3genE5ELNS1_11target_archE942ELNS1_3gpuE9ELNS1_3repE0EEENS1_38merge_mergepath_config_static_selectorELNS0_4arch9wavefront6targetE1EEEvSH_,comdat
	.protected	_ZN7rocprim17ROCPRIM_400000_NS6detail17trampoline_kernelINS0_14default_configENS1_38merge_sort_block_merge_config_selectorIhlEEZZNS1_27merge_sort_block_merge_implIS3_PhN6thrust23THRUST_200600_302600_NS10device_ptrIlEEjNS1_19radix_merge_compareILb0ELb0EhNS0_19identity_decomposerEEEEE10hipError_tT0_T1_T2_jT3_P12ihipStream_tbPNSt15iterator_traitsISG_E10value_typeEPNSM_ISH_E10value_typeEPSI_NS1_7vsmem_tEENKUlT_SG_SH_SI_E_clIS7_S7_PlSB_EESF_SV_SG_SH_SI_EUlSV_E0_NS1_11comp_targetILNS1_3genE5ELNS1_11target_archE942ELNS1_3gpuE9ELNS1_3repE0EEENS1_38merge_mergepath_config_static_selectorELNS0_4arch9wavefront6targetE1EEEvSH_ ; -- Begin function _ZN7rocprim17ROCPRIM_400000_NS6detail17trampoline_kernelINS0_14default_configENS1_38merge_sort_block_merge_config_selectorIhlEEZZNS1_27merge_sort_block_merge_implIS3_PhN6thrust23THRUST_200600_302600_NS10device_ptrIlEEjNS1_19radix_merge_compareILb0ELb0EhNS0_19identity_decomposerEEEEE10hipError_tT0_T1_T2_jT3_P12ihipStream_tbPNSt15iterator_traitsISG_E10value_typeEPNSM_ISH_E10value_typeEPSI_NS1_7vsmem_tEENKUlT_SG_SH_SI_E_clIS7_S7_PlSB_EESF_SV_SG_SH_SI_EUlSV_E0_NS1_11comp_targetILNS1_3genE5ELNS1_11target_archE942ELNS1_3gpuE9ELNS1_3repE0EEENS1_38merge_mergepath_config_static_selectorELNS0_4arch9wavefront6targetE1EEEvSH_
	.globl	_ZN7rocprim17ROCPRIM_400000_NS6detail17trampoline_kernelINS0_14default_configENS1_38merge_sort_block_merge_config_selectorIhlEEZZNS1_27merge_sort_block_merge_implIS3_PhN6thrust23THRUST_200600_302600_NS10device_ptrIlEEjNS1_19radix_merge_compareILb0ELb0EhNS0_19identity_decomposerEEEEE10hipError_tT0_T1_T2_jT3_P12ihipStream_tbPNSt15iterator_traitsISG_E10value_typeEPNSM_ISH_E10value_typeEPSI_NS1_7vsmem_tEENKUlT_SG_SH_SI_E_clIS7_S7_PlSB_EESF_SV_SG_SH_SI_EUlSV_E0_NS1_11comp_targetILNS1_3genE5ELNS1_11target_archE942ELNS1_3gpuE9ELNS1_3repE0EEENS1_38merge_mergepath_config_static_selectorELNS0_4arch9wavefront6targetE1EEEvSH_
	.p2align	8
	.type	_ZN7rocprim17ROCPRIM_400000_NS6detail17trampoline_kernelINS0_14default_configENS1_38merge_sort_block_merge_config_selectorIhlEEZZNS1_27merge_sort_block_merge_implIS3_PhN6thrust23THRUST_200600_302600_NS10device_ptrIlEEjNS1_19radix_merge_compareILb0ELb0EhNS0_19identity_decomposerEEEEE10hipError_tT0_T1_T2_jT3_P12ihipStream_tbPNSt15iterator_traitsISG_E10value_typeEPNSM_ISH_E10value_typeEPSI_NS1_7vsmem_tEENKUlT_SG_SH_SI_E_clIS7_S7_PlSB_EESF_SV_SG_SH_SI_EUlSV_E0_NS1_11comp_targetILNS1_3genE5ELNS1_11target_archE942ELNS1_3gpuE9ELNS1_3repE0EEENS1_38merge_mergepath_config_static_selectorELNS0_4arch9wavefront6targetE1EEEvSH_,@function
_ZN7rocprim17ROCPRIM_400000_NS6detail17trampoline_kernelINS0_14default_configENS1_38merge_sort_block_merge_config_selectorIhlEEZZNS1_27merge_sort_block_merge_implIS3_PhN6thrust23THRUST_200600_302600_NS10device_ptrIlEEjNS1_19radix_merge_compareILb0ELb0EhNS0_19identity_decomposerEEEEE10hipError_tT0_T1_T2_jT3_P12ihipStream_tbPNSt15iterator_traitsISG_E10value_typeEPNSM_ISH_E10value_typeEPSI_NS1_7vsmem_tEENKUlT_SG_SH_SI_E_clIS7_S7_PlSB_EESF_SV_SG_SH_SI_EUlSV_E0_NS1_11comp_targetILNS1_3genE5ELNS1_11target_archE942ELNS1_3gpuE9ELNS1_3repE0EEENS1_38merge_mergepath_config_static_selectorELNS0_4arch9wavefront6targetE1EEEvSH_: ; @_ZN7rocprim17ROCPRIM_400000_NS6detail17trampoline_kernelINS0_14default_configENS1_38merge_sort_block_merge_config_selectorIhlEEZZNS1_27merge_sort_block_merge_implIS3_PhN6thrust23THRUST_200600_302600_NS10device_ptrIlEEjNS1_19radix_merge_compareILb0ELb0EhNS0_19identity_decomposerEEEEE10hipError_tT0_T1_T2_jT3_P12ihipStream_tbPNSt15iterator_traitsISG_E10value_typeEPNSM_ISH_E10value_typeEPSI_NS1_7vsmem_tEENKUlT_SG_SH_SI_E_clIS7_S7_PlSB_EESF_SV_SG_SH_SI_EUlSV_E0_NS1_11comp_targetILNS1_3genE5ELNS1_11target_archE942ELNS1_3gpuE9ELNS1_3repE0EEENS1_38merge_mergepath_config_static_selectorELNS0_4arch9wavefront6targetE1EEEvSH_
; %bb.0:
	.section	.rodata,"a",@progbits
	.p2align	6, 0x0
	.amdhsa_kernel _ZN7rocprim17ROCPRIM_400000_NS6detail17trampoline_kernelINS0_14default_configENS1_38merge_sort_block_merge_config_selectorIhlEEZZNS1_27merge_sort_block_merge_implIS3_PhN6thrust23THRUST_200600_302600_NS10device_ptrIlEEjNS1_19radix_merge_compareILb0ELb0EhNS0_19identity_decomposerEEEEE10hipError_tT0_T1_T2_jT3_P12ihipStream_tbPNSt15iterator_traitsISG_E10value_typeEPNSM_ISH_E10value_typeEPSI_NS1_7vsmem_tEENKUlT_SG_SH_SI_E_clIS7_S7_PlSB_EESF_SV_SG_SH_SI_EUlSV_E0_NS1_11comp_targetILNS1_3genE5ELNS1_11target_archE942ELNS1_3gpuE9ELNS1_3repE0EEENS1_38merge_mergepath_config_static_selectorELNS0_4arch9wavefront6targetE1EEEvSH_
		.amdhsa_group_segment_fixed_size 0
		.amdhsa_private_segment_fixed_size 0
		.amdhsa_kernarg_size 64
		.amdhsa_user_sgpr_count 6
		.amdhsa_user_sgpr_private_segment_buffer 1
		.amdhsa_user_sgpr_dispatch_ptr 0
		.amdhsa_user_sgpr_queue_ptr 0
		.amdhsa_user_sgpr_kernarg_segment_ptr 1
		.amdhsa_user_sgpr_dispatch_id 0
		.amdhsa_user_sgpr_flat_scratch_init 0
		.amdhsa_user_sgpr_private_segment_size 0
		.amdhsa_uses_dynamic_stack 0
		.amdhsa_system_sgpr_private_segment_wavefront_offset 0
		.amdhsa_system_sgpr_workgroup_id_x 1
		.amdhsa_system_sgpr_workgroup_id_y 0
		.amdhsa_system_sgpr_workgroup_id_z 0
		.amdhsa_system_sgpr_workgroup_info 0
		.amdhsa_system_vgpr_workitem_id 0
		.amdhsa_next_free_vgpr 1
		.amdhsa_next_free_sgpr 0
		.amdhsa_reserve_vcc 0
		.amdhsa_reserve_flat_scratch 0
		.amdhsa_float_round_mode_32 0
		.amdhsa_float_round_mode_16_64 0
		.amdhsa_float_denorm_mode_32 3
		.amdhsa_float_denorm_mode_16_64 3
		.amdhsa_dx10_clamp 1
		.amdhsa_ieee_mode 1
		.amdhsa_fp16_overflow 0
		.amdhsa_exception_fp_ieee_invalid_op 0
		.amdhsa_exception_fp_denorm_src 0
		.amdhsa_exception_fp_ieee_div_zero 0
		.amdhsa_exception_fp_ieee_overflow 0
		.amdhsa_exception_fp_ieee_underflow 0
		.amdhsa_exception_fp_ieee_inexact 0
		.amdhsa_exception_int_div_zero 0
	.end_amdhsa_kernel
	.section	.text._ZN7rocprim17ROCPRIM_400000_NS6detail17trampoline_kernelINS0_14default_configENS1_38merge_sort_block_merge_config_selectorIhlEEZZNS1_27merge_sort_block_merge_implIS3_PhN6thrust23THRUST_200600_302600_NS10device_ptrIlEEjNS1_19radix_merge_compareILb0ELb0EhNS0_19identity_decomposerEEEEE10hipError_tT0_T1_T2_jT3_P12ihipStream_tbPNSt15iterator_traitsISG_E10value_typeEPNSM_ISH_E10value_typeEPSI_NS1_7vsmem_tEENKUlT_SG_SH_SI_E_clIS7_S7_PlSB_EESF_SV_SG_SH_SI_EUlSV_E0_NS1_11comp_targetILNS1_3genE5ELNS1_11target_archE942ELNS1_3gpuE9ELNS1_3repE0EEENS1_38merge_mergepath_config_static_selectorELNS0_4arch9wavefront6targetE1EEEvSH_,"axG",@progbits,_ZN7rocprim17ROCPRIM_400000_NS6detail17trampoline_kernelINS0_14default_configENS1_38merge_sort_block_merge_config_selectorIhlEEZZNS1_27merge_sort_block_merge_implIS3_PhN6thrust23THRUST_200600_302600_NS10device_ptrIlEEjNS1_19radix_merge_compareILb0ELb0EhNS0_19identity_decomposerEEEEE10hipError_tT0_T1_T2_jT3_P12ihipStream_tbPNSt15iterator_traitsISG_E10value_typeEPNSM_ISH_E10value_typeEPSI_NS1_7vsmem_tEENKUlT_SG_SH_SI_E_clIS7_S7_PlSB_EESF_SV_SG_SH_SI_EUlSV_E0_NS1_11comp_targetILNS1_3genE5ELNS1_11target_archE942ELNS1_3gpuE9ELNS1_3repE0EEENS1_38merge_mergepath_config_static_selectorELNS0_4arch9wavefront6targetE1EEEvSH_,comdat
.Lfunc_end134:
	.size	_ZN7rocprim17ROCPRIM_400000_NS6detail17trampoline_kernelINS0_14default_configENS1_38merge_sort_block_merge_config_selectorIhlEEZZNS1_27merge_sort_block_merge_implIS3_PhN6thrust23THRUST_200600_302600_NS10device_ptrIlEEjNS1_19radix_merge_compareILb0ELb0EhNS0_19identity_decomposerEEEEE10hipError_tT0_T1_T2_jT3_P12ihipStream_tbPNSt15iterator_traitsISG_E10value_typeEPNSM_ISH_E10value_typeEPSI_NS1_7vsmem_tEENKUlT_SG_SH_SI_E_clIS7_S7_PlSB_EESF_SV_SG_SH_SI_EUlSV_E0_NS1_11comp_targetILNS1_3genE5ELNS1_11target_archE942ELNS1_3gpuE9ELNS1_3repE0EEENS1_38merge_mergepath_config_static_selectorELNS0_4arch9wavefront6targetE1EEEvSH_, .Lfunc_end134-_ZN7rocprim17ROCPRIM_400000_NS6detail17trampoline_kernelINS0_14default_configENS1_38merge_sort_block_merge_config_selectorIhlEEZZNS1_27merge_sort_block_merge_implIS3_PhN6thrust23THRUST_200600_302600_NS10device_ptrIlEEjNS1_19radix_merge_compareILb0ELb0EhNS0_19identity_decomposerEEEEE10hipError_tT0_T1_T2_jT3_P12ihipStream_tbPNSt15iterator_traitsISG_E10value_typeEPNSM_ISH_E10value_typeEPSI_NS1_7vsmem_tEENKUlT_SG_SH_SI_E_clIS7_S7_PlSB_EESF_SV_SG_SH_SI_EUlSV_E0_NS1_11comp_targetILNS1_3genE5ELNS1_11target_archE942ELNS1_3gpuE9ELNS1_3repE0EEENS1_38merge_mergepath_config_static_selectorELNS0_4arch9wavefront6targetE1EEEvSH_
                                        ; -- End function
	.set _ZN7rocprim17ROCPRIM_400000_NS6detail17trampoline_kernelINS0_14default_configENS1_38merge_sort_block_merge_config_selectorIhlEEZZNS1_27merge_sort_block_merge_implIS3_PhN6thrust23THRUST_200600_302600_NS10device_ptrIlEEjNS1_19radix_merge_compareILb0ELb0EhNS0_19identity_decomposerEEEEE10hipError_tT0_T1_T2_jT3_P12ihipStream_tbPNSt15iterator_traitsISG_E10value_typeEPNSM_ISH_E10value_typeEPSI_NS1_7vsmem_tEENKUlT_SG_SH_SI_E_clIS7_S7_PlSB_EESF_SV_SG_SH_SI_EUlSV_E0_NS1_11comp_targetILNS1_3genE5ELNS1_11target_archE942ELNS1_3gpuE9ELNS1_3repE0EEENS1_38merge_mergepath_config_static_selectorELNS0_4arch9wavefront6targetE1EEEvSH_.num_vgpr, 0
	.set _ZN7rocprim17ROCPRIM_400000_NS6detail17trampoline_kernelINS0_14default_configENS1_38merge_sort_block_merge_config_selectorIhlEEZZNS1_27merge_sort_block_merge_implIS3_PhN6thrust23THRUST_200600_302600_NS10device_ptrIlEEjNS1_19radix_merge_compareILb0ELb0EhNS0_19identity_decomposerEEEEE10hipError_tT0_T1_T2_jT3_P12ihipStream_tbPNSt15iterator_traitsISG_E10value_typeEPNSM_ISH_E10value_typeEPSI_NS1_7vsmem_tEENKUlT_SG_SH_SI_E_clIS7_S7_PlSB_EESF_SV_SG_SH_SI_EUlSV_E0_NS1_11comp_targetILNS1_3genE5ELNS1_11target_archE942ELNS1_3gpuE9ELNS1_3repE0EEENS1_38merge_mergepath_config_static_selectorELNS0_4arch9wavefront6targetE1EEEvSH_.num_agpr, 0
	.set _ZN7rocprim17ROCPRIM_400000_NS6detail17trampoline_kernelINS0_14default_configENS1_38merge_sort_block_merge_config_selectorIhlEEZZNS1_27merge_sort_block_merge_implIS3_PhN6thrust23THRUST_200600_302600_NS10device_ptrIlEEjNS1_19radix_merge_compareILb0ELb0EhNS0_19identity_decomposerEEEEE10hipError_tT0_T1_T2_jT3_P12ihipStream_tbPNSt15iterator_traitsISG_E10value_typeEPNSM_ISH_E10value_typeEPSI_NS1_7vsmem_tEENKUlT_SG_SH_SI_E_clIS7_S7_PlSB_EESF_SV_SG_SH_SI_EUlSV_E0_NS1_11comp_targetILNS1_3genE5ELNS1_11target_archE942ELNS1_3gpuE9ELNS1_3repE0EEENS1_38merge_mergepath_config_static_selectorELNS0_4arch9wavefront6targetE1EEEvSH_.numbered_sgpr, 0
	.set _ZN7rocprim17ROCPRIM_400000_NS6detail17trampoline_kernelINS0_14default_configENS1_38merge_sort_block_merge_config_selectorIhlEEZZNS1_27merge_sort_block_merge_implIS3_PhN6thrust23THRUST_200600_302600_NS10device_ptrIlEEjNS1_19radix_merge_compareILb0ELb0EhNS0_19identity_decomposerEEEEE10hipError_tT0_T1_T2_jT3_P12ihipStream_tbPNSt15iterator_traitsISG_E10value_typeEPNSM_ISH_E10value_typeEPSI_NS1_7vsmem_tEENKUlT_SG_SH_SI_E_clIS7_S7_PlSB_EESF_SV_SG_SH_SI_EUlSV_E0_NS1_11comp_targetILNS1_3genE5ELNS1_11target_archE942ELNS1_3gpuE9ELNS1_3repE0EEENS1_38merge_mergepath_config_static_selectorELNS0_4arch9wavefront6targetE1EEEvSH_.num_named_barrier, 0
	.set _ZN7rocprim17ROCPRIM_400000_NS6detail17trampoline_kernelINS0_14default_configENS1_38merge_sort_block_merge_config_selectorIhlEEZZNS1_27merge_sort_block_merge_implIS3_PhN6thrust23THRUST_200600_302600_NS10device_ptrIlEEjNS1_19radix_merge_compareILb0ELb0EhNS0_19identity_decomposerEEEEE10hipError_tT0_T1_T2_jT3_P12ihipStream_tbPNSt15iterator_traitsISG_E10value_typeEPNSM_ISH_E10value_typeEPSI_NS1_7vsmem_tEENKUlT_SG_SH_SI_E_clIS7_S7_PlSB_EESF_SV_SG_SH_SI_EUlSV_E0_NS1_11comp_targetILNS1_3genE5ELNS1_11target_archE942ELNS1_3gpuE9ELNS1_3repE0EEENS1_38merge_mergepath_config_static_selectorELNS0_4arch9wavefront6targetE1EEEvSH_.private_seg_size, 0
	.set _ZN7rocprim17ROCPRIM_400000_NS6detail17trampoline_kernelINS0_14default_configENS1_38merge_sort_block_merge_config_selectorIhlEEZZNS1_27merge_sort_block_merge_implIS3_PhN6thrust23THRUST_200600_302600_NS10device_ptrIlEEjNS1_19radix_merge_compareILb0ELb0EhNS0_19identity_decomposerEEEEE10hipError_tT0_T1_T2_jT3_P12ihipStream_tbPNSt15iterator_traitsISG_E10value_typeEPNSM_ISH_E10value_typeEPSI_NS1_7vsmem_tEENKUlT_SG_SH_SI_E_clIS7_S7_PlSB_EESF_SV_SG_SH_SI_EUlSV_E0_NS1_11comp_targetILNS1_3genE5ELNS1_11target_archE942ELNS1_3gpuE9ELNS1_3repE0EEENS1_38merge_mergepath_config_static_selectorELNS0_4arch9wavefront6targetE1EEEvSH_.uses_vcc, 0
	.set _ZN7rocprim17ROCPRIM_400000_NS6detail17trampoline_kernelINS0_14default_configENS1_38merge_sort_block_merge_config_selectorIhlEEZZNS1_27merge_sort_block_merge_implIS3_PhN6thrust23THRUST_200600_302600_NS10device_ptrIlEEjNS1_19radix_merge_compareILb0ELb0EhNS0_19identity_decomposerEEEEE10hipError_tT0_T1_T2_jT3_P12ihipStream_tbPNSt15iterator_traitsISG_E10value_typeEPNSM_ISH_E10value_typeEPSI_NS1_7vsmem_tEENKUlT_SG_SH_SI_E_clIS7_S7_PlSB_EESF_SV_SG_SH_SI_EUlSV_E0_NS1_11comp_targetILNS1_3genE5ELNS1_11target_archE942ELNS1_3gpuE9ELNS1_3repE0EEENS1_38merge_mergepath_config_static_selectorELNS0_4arch9wavefront6targetE1EEEvSH_.uses_flat_scratch, 0
	.set _ZN7rocprim17ROCPRIM_400000_NS6detail17trampoline_kernelINS0_14default_configENS1_38merge_sort_block_merge_config_selectorIhlEEZZNS1_27merge_sort_block_merge_implIS3_PhN6thrust23THRUST_200600_302600_NS10device_ptrIlEEjNS1_19radix_merge_compareILb0ELb0EhNS0_19identity_decomposerEEEEE10hipError_tT0_T1_T2_jT3_P12ihipStream_tbPNSt15iterator_traitsISG_E10value_typeEPNSM_ISH_E10value_typeEPSI_NS1_7vsmem_tEENKUlT_SG_SH_SI_E_clIS7_S7_PlSB_EESF_SV_SG_SH_SI_EUlSV_E0_NS1_11comp_targetILNS1_3genE5ELNS1_11target_archE942ELNS1_3gpuE9ELNS1_3repE0EEENS1_38merge_mergepath_config_static_selectorELNS0_4arch9wavefront6targetE1EEEvSH_.has_dyn_sized_stack, 0
	.set _ZN7rocprim17ROCPRIM_400000_NS6detail17trampoline_kernelINS0_14default_configENS1_38merge_sort_block_merge_config_selectorIhlEEZZNS1_27merge_sort_block_merge_implIS3_PhN6thrust23THRUST_200600_302600_NS10device_ptrIlEEjNS1_19radix_merge_compareILb0ELb0EhNS0_19identity_decomposerEEEEE10hipError_tT0_T1_T2_jT3_P12ihipStream_tbPNSt15iterator_traitsISG_E10value_typeEPNSM_ISH_E10value_typeEPSI_NS1_7vsmem_tEENKUlT_SG_SH_SI_E_clIS7_S7_PlSB_EESF_SV_SG_SH_SI_EUlSV_E0_NS1_11comp_targetILNS1_3genE5ELNS1_11target_archE942ELNS1_3gpuE9ELNS1_3repE0EEENS1_38merge_mergepath_config_static_selectorELNS0_4arch9wavefront6targetE1EEEvSH_.has_recursion, 0
	.set _ZN7rocprim17ROCPRIM_400000_NS6detail17trampoline_kernelINS0_14default_configENS1_38merge_sort_block_merge_config_selectorIhlEEZZNS1_27merge_sort_block_merge_implIS3_PhN6thrust23THRUST_200600_302600_NS10device_ptrIlEEjNS1_19radix_merge_compareILb0ELb0EhNS0_19identity_decomposerEEEEE10hipError_tT0_T1_T2_jT3_P12ihipStream_tbPNSt15iterator_traitsISG_E10value_typeEPNSM_ISH_E10value_typeEPSI_NS1_7vsmem_tEENKUlT_SG_SH_SI_E_clIS7_S7_PlSB_EESF_SV_SG_SH_SI_EUlSV_E0_NS1_11comp_targetILNS1_3genE5ELNS1_11target_archE942ELNS1_3gpuE9ELNS1_3repE0EEENS1_38merge_mergepath_config_static_selectorELNS0_4arch9wavefront6targetE1EEEvSH_.has_indirect_call, 0
	.section	.AMDGPU.csdata,"",@progbits
; Kernel info:
; codeLenInByte = 0
; TotalNumSgprs: 4
; NumVgprs: 0
; ScratchSize: 0
; MemoryBound: 0
; FloatMode: 240
; IeeeMode: 1
; LDSByteSize: 0 bytes/workgroup (compile time only)
; SGPRBlocks: 0
; VGPRBlocks: 0
; NumSGPRsForWavesPerEU: 4
; NumVGPRsForWavesPerEU: 1
; Occupancy: 10
; WaveLimiterHint : 0
; COMPUTE_PGM_RSRC2:SCRATCH_EN: 0
; COMPUTE_PGM_RSRC2:USER_SGPR: 6
; COMPUTE_PGM_RSRC2:TRAP_HANDLER: 0
; COMPUTE_PGM_RSRC2:TGID_X_EN: 1
; COMPUTE_PGM_RSRC2:TGID_Y_EN: 0
; COMPUTE_PGM_RSRC2:TGID_Z_EN: 0
; COMPUTE_PGM_RSRC2:TIDIG_COMP_CNT: 0
	.section	.text._ZN7rocprim17ROCPRIM_400000_NS6detail17trampoline_kernelINS0_14default_configENS1_38merge_sort_block_merge_config_selectorIhlEEZZNS1_27merge_sort_block_merge_implIS3_PhN6thrust23THRUST_200600_302600_NS10device_ptrIlEEjNS1_19radix_merge_compareILb0ELb0EhNS0_19identity_decomposerEEEEE10hipError_tT0_T1_T2_jT3_P12ihipStream_tbPNSt15iterator_traitsISG_E10value_typeEPNSM_ISH_E10value_typeEPSI_NS1_7vsmem_tEENKUlT_SG_SH_SI_E_clIS7_S7_PlSB_EESF_SV_SG_SH_SI_EUlSV_E0_NS1_11comp_targetILNS1_3genE4ELNS1_11target_archE910ELNS1_3gpuE8ELNS1_3repE0EEENS1_38merge_mergepath_config_static_selectorELNS0_4arch9wavefront6targetE1EEEvSH_,"axG",@progbits,_ZN7rocprim17ROCPRIM_400000_NS6detail17trampoline_kernelINS0_14default_configENS1_38merge_sort_block_merge_config_selectorIhlEEZZNS1_27merge_sort_block_merge_implIS3_PhN6thrust23THRUST_200600_302600_NS10device_ptrIlEEjNS1_19radix_merge_compareILb0ELb0EhNS0_19identity_decomposerEEEEE10hipError_tT0_T1_T2_jT3_P12ihipStream_tbPNSt15iterator_traitsISG_E10value_typeEPNSM_ISH_E10value_typeEPSI_NS1_7vsmem_tEENKUlT_SG_SH_SI_E_clIS7_S7_PlSB_EESF_SV_SG_SH_SI_EUlSV_E0_NS1_11comp_targetILNS1_3genE4ELNS1_11target_archE910ELNS1_3gpuE8ELNS1_3repE0EEENS1_38merge_mergepath_config_static_selectorELNS0_4arch9wavefront6targetE1EEEvSH_,comdat
	.protected	_ZN7rocprim17ROCPRIM_400000_NS6detail17trampoline_kernelINS0_14default_configENS1_38merge_sort_block_merge_config_selectorIhlEEZZNS1_27merge_sort_block_merge_implIS3_PhN6thrust23THRUST_200600_302600_NS10device_ptrIlEEjNS1_19radix_merge_compareILb0ELb0EhNS0_19identity_decomposerEEEEE10hipError_tT0_T1_T2_jT3_P12ihipStream_tbPNSt15iterator_traitsISG_E10value_typeEPNSM_ISH_E10value_typeEPSI_NS1_7vsmem_tEENKUlT_SG_SH_SI_E_clIS7_S7_PlSB_EESF_SV_SG_SH_SI_EUlSV_E0_NS1_11comp_targetILNS1_3genE4ELNS1_11target_archE910ELNS1_3gpuE8ELNS1_3repE0EEENS1_38merge_mergepath_config_static_selectorELNS0_4arch9wavefront6targetE1EEEvSH_ ; -- Begin function _ZN7rocprim17ROCPRIM_400000_NS6detail17trampoline_kernelINS0_14default_configENS1_38merge_sort_block_merge_config_selectorIhlEEZZNS1_27merge_sort_block_merge_implIS3_PhN6thrust23THRUST_200600_302600_NS10device_ptrIlEEjNS1_19radix_merge_compareILb0ELb0EhNS0_19identity_decomposerEEEEE10hipError_tT0_T1_T2_jT3_P12ihipStream_tbPNSt15iterator_traitsISG_E10value_typeEPNSM_ISH_E10value_typeEPSI_NS1_7vsmem_tEENKUlT_SG_SH_SI_E_clIS7_S7_PlSB_EESF_SV_SG_SH_SI_EUlSV_E0_NS1_11comp_targetILNS1_3genE4ELNS1_11target_archE910ELNS1_3gpuE8ELNS1_3repE0EEENS1_38merge_mergepath_config_static_selectorELNS0_4arch9wavefront6targetE1EEEvSH_
	.globl	_ZN7rocprim17ROCPRIM_400000_NS6detail17trampoline_kernelINS0_14default_configENS1_38merge_sort_block_merge_config_selectorIhlEEZZNS1_27merge_sort_block_merge_implIS3_PhN6thrust23THRUST_200600_302600_NS10device_ptrIlEEjNS1_19radix_merge_compareILb0ELb0EhNS0_19identity_decomposerEEEEE10hipError_tT0_T1_T2_jT3_P12ihipStream_tbPNSt15iterator_traitsISG_E10value_typeEPNSM_ISH_E10value_typeEPSI_NS1_7vsmem_tEENKUlT_SG_SH_SI_E_clIS7_S7_PlSB_EESF_SV_SG_SH_SI_EUlSV_E0_NS1_11comp_targetILNS1_3genE4ELNS1_11target_archE910ELNS1_3gpuE8ELNS1_3repE0EEENS1_38merge_mergepath_config_static_selectorELNS0_4arch9wavefront6targetE1EEEvSH_
	.p2align	8
	.type	_ZN7rocprim17ROCPRIM_400000_NS6detail17trampoline_kernelINS0_14default_configENS1_38merge_sort_block_merge_config_selectorIhlEEZZNS1_27merge_sort_block_merge_implIS3_PhN6thrust23THRUST_200600_302600_NS10device_ptrIlEEjNS1_19radix_merge_compareILb0ELb0EhNS0_19identity_decomposerEEEEE10hipError_tT0_T1_T2_jT3_P12ihipStream_tbPNSt15iterator_traitsISG_E10value_typeEPNSM_ISH_E10value_typeEPSI_NS1_7vsmem_tEENKUlT_SG_SH_SI_E_clIS7_S7_PlSB_EESF_SV_SG_SH_SI_EUlSV_E0_NS1_11comp_targetILNS1_3genE4ELNS1_11target_archE910ELNS1_3gpuE8ELNS1_3repE0EEENS1_38merge_mergepath_config_static_selectorELNS0_4arch9wavefront6targetE1EEEvSH_,@function
_ZN7rocprim17ROCPRIM_400000_NS6detail17trampoline_kernelINS0_14default_configENS1_38merge_sort_block_merge_config_selectorIhlEEZZNS1_27merge_sort_block_merge_implIS3_PhN6thrust23THRUST_200600_302600_NS10device_ptrIlEEjNS1_19radix_merge_compareILb0ELb0EhNS0_19identity_decomposerEEEEE10hipError_tT0_T1_T2_jT3_P12ihipStream_tbPNSt15iterator_traitsISG_E10value_typeEPNSM_ISH_E10value_typeEPSI_NS1_7vsmem_tEENKUlT_SG_SH_SI_E_clIS7_S7_PlSB_EESF_SV_SG_SH_SI_EUlSV_E0_NS1_11comp_targetILNS1_3genE4ELNS1_11target_archE910ELNS1_3gpuE8ELNS1_3repE0EEENS1_38merge_mergepath_config_static_selectorELNS0_4arch9wavefront6targetE1EEEvSH_: ; @_ZN7rocprim17ROCPRIM_400000_NS6detail17trampoline_kernelINS0_14default_configENS1_38merge_sort_block_merge_config_selectorIhlEEZZNS1_27merge_sort_block_merge_implIS3_PhN6thrust23THRUST_200600_302600_NS10device_ptrIlEEjNS1_19radix_merge_compareILb0ELb0EhNS0_19identity_decomposerEEEEE10hipError_tT0_T1_T2_jT3_P12ihipStream_tbPNSt15iterator_traitsISG_E10value_typeEPNSM_ISH_E10value_typeEPSI_NS1_7vsmem_tEENKUlT_SG_SH_SI_E_clIS7_S7_PlSB_EESF_SV_SG_SH_SI_EUlSV_E0_NS1_11comp_targetILNS1_3genE4ELNS1_11target_archE910ELNS1_3gpuE8ELNS1_3repE0EEENS1_38merge_mergepath_config_static_selectorELNS0_4arch9wavefront6targetE1EEEvSH_
; %bb.0:
	.section	.rodata,"a",@progbits
	.p2align	6, 0x0
	.amdhsa_kernel _ZN7rocprim17ROCPRIM_400000_NS6detail17trampoline_kernelINS0_14default_configENS1_38merge_sort_block_merge_config_selectorIhlEEZZNS1_27merge_sort_block_merge_implIS3_PhN6thrust23THRUST_200600_302600_NS10device_ptrIlEEjNS1_19radix_merge_compareILb0ELb0EhNS0_19identity_decomposerEEEEE10hipError_tT0_T1_T2_jT3_P12ihipStream_tbPNSt15iterator_traitsISG_E10value_typeEPNSM_ISH_E10value_typeEPSI_NS1_7vsmem_tEENKUlT_SG_SH_SI_E_clIS7_S7_PlSB_EESF_SV_SG_SH_SI_EUlSV_E0_NS1_11comp_targetILNS1_3genE4ELNS1_11target_archE910ELNS1_3gpuE8ELNS1_3repE0EEENS1_38merge_mergepath_config_static_selectorELNS0_4arch9wavefront6targetE1EEEvSH_
		.amdhsa_group_segment_fixed_size 0
		.amdhsa_private_segment_fixed_size 0
		.amdhsa_kernarg_size 64
		.amdhsa_user_sgpr_count 6
		.amdhsa_user_sgpr_private_segment_buffer 1
		.amdhsa_user_sgpr_dispatch_ptr 0
		.amdhsa_user_sgpr_queue_ptr 0
		.amdhsa_user_sgpr_kernarg_segment_ptr 1
		.amdhsa_user_sgpr_dispatch_id 0
		.amdhsa_user_sgpr_flat_scratch_init 0
		.amdhsa_user_sgpr_private_segment_size 0
		.amdhsa_uses_dynamic_stack 0
		.amdhsa_system_sgpr_private_segment_wavefront_offset 0
		.amdhsa_system_sgpr_workgroup_id_x 1
		.amdhsa_system_sgpr_workgroup_id_y 0
		.amdhsa_system_sgpr_workgroup_id_z 0
		.amdhsa_system_sgpr_workgroup_info 0
		.amdhsa_system_vgpr_workitem_id 0
		.amdhsa_next_free_vgpr 1
		.amdhsa_next_free_sgpr 0
		.amdhsa_reserve_vcc 0
		.amdhsa_reserve_flat_scratch 0
		.amdhsa_float_round_mode_32 0
		.amdhsa_float_round_mode_16_64 0
		.amdhsa_float_denorm_mode_32 3
		.amdhsa_float_denorm_mode_16_64 3
		.amdhsa_dx10_clamp 1
		.amdhsa_ieee_mode 1
		.amdhsa_fp16_overflow 0
		.amdhsa_exception_fp_ieee_invalid_op 0
		.amdhsa_exception_fp_denorm_src 0
		.amdhsa_exception_fp_ieee_div_zero 0
		.amdhsa_exception_fp_ieee_overflow 0
		.amdhsa_exception_fp_ieee_underflow 0
		.amdhsa_exception_fp_ieee_inexact 0
		.amdhsa_exception_int_div_zero 0
	.end_amdhsa_kernel
	.section	.text._ZN7rocprim17ROCPRIM_400000_NS6detail17trampoline_kernelINS0_14default_configENS1_38merge_sort_block_merge_config_selectorIhlEEZZNS1_27merge_sort_block_merge_implIS3_PhN6thrust23THRUST_200600_302600_NS10device_ptrIlEEjNS1_19radix_merge_compareILb0ELb0EhNS0_19identity_decomposerEEEEE10hipError_tT0_T1_T2_jT3_P12ihipStream_tbPNSt15iterator_traitsISG_E10value_typeEPNSM_ISH_E10value_typeEPSI_NS1_7vsmem_tEENKUlT_SG_SH_SI_E_clIS7_S7_PlSB_EESF_SV_SG_SH_SI_EUlSV_E0_NS1_11comp_targetILNS1_3genE4ELNS1_11target_archE910ELNS1_3gpuE8ELNS1_3repE0EEENS1_38merge_mergepath_config_static_selectorELNS0_4arch9wavefront6targetE1EEEvSH_,"axG",@progbits,_ZN7rocprim17ROCPRIM_400000_NS6detail17trampoline_kernelINS0_14default_configENS1_38merge_sort_block_merge_config_selectorIhlEEZZNS1_27merge_sort_block_merge_implIS3_PhN6thrust23THRUST_200600_302600_NS10device_ptrIlEEjNS1_19radix_merge_compareILb0ELb0EhNS0_19identity_decomposerEEEEE10hipError_tT0_T1_T2_jT3_P12ihipStream_tbPNSt15iterator_traitsISG_E10value_typeEPNSM_ISH_E10value_typeEPSI_NS1_7vsmem_tEENKUlT_SG_SH_SI_E_clIS7_S7_PlSB_EESF_SV_SG_SH_SI_EUlSV_E0_NS1_11comp_targetILNS1_3genE4ELNS1_11target_archE910ELNS1_3gpuE8ELNS1_3repE0EEENS1_38merge_mergepath_config_static_selectorELNS0_4arch9wavefront6targetE1EEEvSH_,comdat
.Lfunc_end135:
	.size	_ZN7rocprim17ROCPRIM_400000_NS6detail17trampoline_kernelINS0_14default_configENS1_38merge_sort_block_merge_config_selectorIhlEEZZNS1_27merge_sort_block_merge_implIS3_PhN6thrust23THRUST_200600_302600_NS10device_ptrIlEEjNS1_19radix_merge_compareILb0ELb0EhNS0_19identity_decomposerEEEEE10hipError_tT0_T1_T2_jT3_P12ihipStream_tbPNSt15iterator_traitsISG_E10value_typeEPNSM_ISH_E10value_typeEPSI_NS1_7vsmem_tEENKUlT_SG_SH_SI_E_clIS7_S7_PlSB_EESF_SV_SG_SH_SI_EUlSV_E0_NS1_11comp_targetILNS1_3genE4ELNS1_11target_archE910ELNS1_3gpuE8ELNS1_3repE0EEENS1_38merge_mergepath_config_static_selectorELNS0_4arch9wavefront6targetE1EEEvSH_, .Lfunc_end135-_ZN7rocprim17ROCPRIM_400000_NS6detail17trampoline_kernelINS0_14default_configENS1_38merge_sort_block_merge_config_selectorIhlEEZZNS1_27merge_sort_block_merge_implIS3_PhN6thrust23THRUST_200600_302600_NS10device_ptrIlEEjNS1_19radix_merge_compareILb0ELb0EhNS0_19identity_decomposerEEEEE10hipError_tT0_T1_T2_jT3_P12ihipStream_tbPNSt15iterator_traitsISG_E10value_typeEPNSM_ISH_E10value_typeEPSI_NS1_7vsmem_tEENKUlT_SG_SH_SI_E_clIS7_S7_PlSB_EESF_SV_SG_SH_SI_EUlSV_E0_NS1_11comp_targetILNS1_3genE4ELNS1_11target_archE910ELNS1_3gpuE8ELNS1_3repE0EEENS1_38merge_mergepath_config_static_selectorELNS0_4arch9wavefront6targetE1EEEvSH_
                                        ; -- End function
	.set _ZN7rocprim17ROCPRIM_400000_NS6detail17trampoline_kernelINS0_14default_configENS1_38merge_sort_block_merge_config_selectorIhlEEZZNS1_27merge_sort_block_merge_implIS3_PhN6thrust23THRUST_200600_302600_NS10device_ptrIlEEjNS1_19radix_merge_compareILb0ELb0EhNS0_19identity_decomposerEEEEE10hipError_tT0_T1_T2_jT3_P12ihipStream_tbPNSt15iterator_traitsISG_E10value_typeEPNSM_ISH_E10value_typeEPSI_NS1_7vsmem_tEENKUlT_SG_SH_SI_E_clIS7_S7_PlSB_EESF_SV_SG_SH_SI_EUlSV_E0_NS1_11comp_targetILNS1_3genE4ELNS1_11target_archE910ELNS1_3gpuE8ELNS1_3repE0EEENS1_38merge_mergepath_config_static_selectorELNS0_4arch9wavefront6targetE1EEEvSH_.num_vgpr, 0
	.set _ZN7rocprim17ROCPRIM_400000_NS6detail17trampoline_kernelINS0_14default_configENS1_38merge_sort_block_merge_config_selectorIhlEEZZNS1_27merge_sort_block_merge_implIS3_PhN6thrust23THRUST_200600_302600_NS10device_ptrIlEEjNS1_19radix_merge_compareILb0ELb0EhNS0_19identity_decomposerEEEEE10hipError_tT0_T1_T2_jT3_P12ihipStream_tbPNSt15iterator_traitsISG_E10value_typeEPNSM_ISH_E10value_typeEPSI_NS1_7vsmem_tEENKUlT_SG_SH_SI_E_clIS7_S7_PlSB_EESF_SV_SG_SH_SI_EUlSV_E0_NS1_11comp_targetILNS1_3genE4ELNS1_11target_archE910ELNS1_3gpuE8ELNS1_3repE0EEENS1_38merge_mergepath_config_static_selectorELNS0_4arch9wavefront6targetE1EEEvSH_.num_agpr, 0
	.set _ZN7rocprim17ROCPRIM_400000_NS6detail17trampoline_kernelINS0_14default_configENS1_38merge_sort_block_merge_config_selectorIhlEEZZNS1_27merge_sort_block_merge_implIS3_PhN6thrust23THRUST_200600_302600_NS10device_ptrIlEEjNS1_19radix_merge_compareILb0ELb0EhNS0_19identity_decomposerEEEEE10hipError_tT0_T1_T2_jT3_P12ihipStream_tbPNSt15iterator_traitsISG_E10value_typeEPNSM_ISH_E10value_typeEPSI_NS1_7vsmem_tEENKUlT_SG_SH_SI_E_clIS7_S7_PlSB_EESF_SV_SG_SH_SI_EUlSV_E0_NS1_11comp_targetILNS1_3genE4ELNS1_11target_archE910ELNS1_3gpuE8ELNS1_3repE0EEENS1_38merge_mergepath_config_static_selectorELNS0_4arch9wavefront6targetE1EEEvSH_.numbered_sgpr, 0
	.set _ZN7rocprim17ROCPRIM_400000_NS6detail17trampoline_kernelINS0_14default_configENS1_38merge_sort_block_merge_config_selectorIhlEEZZNS1_27merge_sort_block_merge_implIS3_PhN6thrust23THRUST_200600_302600_NS10device_ptrIlEEjNS1_19radix_merge_compareILb0ELb0EhNS0_19identity_decomposerEEEEE10hipError_tT0_T1_T2_jT3_P12ihipStream_tbPNSt15iterator_traitsISG_E10value_typeEPNSM_ISH_E10value_typeEPSI_NS1_7vsmem_tEENKUlT_SG_SH_SI_E_clIS7_S7_PlSB_EESF_SV_SG_SH_SI_EUlSV_E0_NS1_11comp_targetILNS1_3genE4ELNS1_11target_archE910ELNS1_3gpuE8ELNS1_3repE0EEENS1_38merge_mergepath_config_static_selectorELNS0_4arch9wavefront6targetE1EEEvSH_.num_named_barrier, 0
	.set _ZN7rocprim17ROCPRIM_400000_NS6detail17trampoline_kernelINS0_14default_configENS1_38merge_sort_block_merge_config_selectorIhlEEZZNS1_27merge_sort_block_merge_implIS3_PhN6thrust23THRUST_200600_302600_NS10device_ptrIlEEjNS1_19radix_merge_compareILb0ELb0EhNS0_19identity_decomposerEEEEE10hipError_tT0_T1_T2_jT3_P12ihipStream_tbPNSt15iterator_traitsISG_E10value_typeEPNSM_ISH_E10value_typeEPSI_NS1_7vsmem_tEENKUlT_SG_SH_SI_E_clIS7_S7_PlSB_EESF_SV_SG_SH_SI_EUlSV_E0_NS1_11comp_targetILNS1_3genE4ELNS1_11target_archE910ELNS1_3gpuE8ELNS1_3repE0EEENS1_38merge_mergepath_config_static_selectorELNS0_4arch9wavefront6targetE1EEEvSH_.private_seg_size, 0
	.set _ZN7rocprim17ROCPRIM_400000_NS6detail17trampoline_kernelINS0_14default_configENS1_38merge_sort_block_merge_config_selectorIhlEEZZNS1_27merge_sort_block_merge_implIS3_PhN6thrust23THRUST_200600_302600_NS10device_ptrIlEEjNS1_19radix_merge_compareILb0ELb0EhNS0_19identity_decomposerEEEEE10hipError_tT0_T1_T2_jT3_P12ihipStream_tbPNSt15iterator_traitsISG_E10value_typeEPNSM_ISH_E10value_typeEPSI_NS1_7vsmem_tEENKUlT_SG_SH_SI_E_clIS7_S7_PlSB_EESF_SV_SG_SH_SI_EUlSV_E0_NS1_11comp_targetILNS1_3genE4ELNS1_11target_archE910ELNS1_3gpuE8ELNS1_3repE0EEENS1_38merge_mergepath_config_static_selectorELNS0_4arch9wavefront6targetE1EEEvSH_.uses_vcc, 0
	.set _ZN7rocprim17ROCPRIM_400000_NS6detail17trampoline_kernelINS0_14default_configENS1_38merge_sort_block_merge_config_selectorIhlEEZZNS1_27merge_sort_block_merge_implIS3_PhN6thrust23THRUST_200600_302600_NS10device_ptrIlEEjNS1_19radix_merge_compareILb0ELb0EhNS0_19identity_decomposerEEEEE10hipError_tT0_T1_T2_jT3_P12ihipStream_tbPNSt15iterator_traitsISG_E10value_typeEPNSM_ISH_E10value_typeEPSI_NS1_7vsmem_tEENKUlT_SG_SH_SI_E_clIS7_S7_PlSB_EESF_SV_SG_SH_SI_EUlSV_E0_NS1_11comp_targetILNS1_3genE4ELNS1_11target_archE910ELNS1_3gpuE8ELNS1_3repE0EEENS1_38merge_mergepath_config_static_selectorELNS0_4arch9wavefront6targetE1EEEvSH_.uses_flat_scratch, 0
	.set _ZN7rocprim17ROCPRIM_400000_NS6detail17trampoline_kernelINS0_14default_configENS1_38merge_sort_block_merge_config_selectorIhlEEZZNS1_27merge_sort_block_merge_implIS3_PhN6thrust23THRUST_200600_302600_NS10device_ptrIlEEjNS1_19radix_merge_compareILb0ELb0EhNS0_19identity_decomposerEEEEE10hipError_tT0_T1_T2_jT3_P12ihipStream_tbPNSt15iterator_traitsISG_E10value_typeEPNSM_ISH_E10value_typeEPSI_NS1_7vsmem_tEENKUlT_SG_SH_SI_E_clIS7_S7_PlSB_EESF_SV_SG_SH_SI_EUlSV_E0_NS1_11comp_targetILNS1_3genE4ELNS1_11target_archE910ELNS1_3gpuE8ELNS1_3repE0EEENS1_38merge_mergepath_config_static_selectorELNS0_4arch9wavefront6targetE1EEEvSH_.has_dyn_sized_stack, 0
	.set _ZN7rocprim17ROCPRIM_400000_NS6detail17trampoline_kernelINS0_14default_configENS1_38merge_sort_block_merge_config_selectorIhlEEZZNS1_27merge_sort_block_merge_implIS3_PhN6thrust23THRUST_200600_302600_NS10device_ptrIlEEjNS1_19radix_merge_compareILb0ELb0EhNS0_19identity_decomposerEEEEE10hipError_tT0_T1_T2_jT3_P12ihipStream_tbPNSt15iterator_traitsISG_E10value_typeEPNSM_ISH_E10value_typeEPSI_NS1_7vsmem_tEENKUlT_SG_SH_SI_E_clIS7_S7_PlSB_EESF_SV_SG_SH_SI_EUlSV_E0_NS1_11comp_targetILNS1_3genE4ELNS1_11target_archE910ELNS1_3gpuE8ELNS1_3repE0EEENS1_38merge_mergepath_config_static_selectorELNS0_4arch9wavefront6targetE1EEEvSH_.has_recursion, 0
	.set _ZN7rocprim17ROCPRIM_400000_NS6detail17trampoline_kernelINS0_14default_configENS1_38merge_sort_block_merge_config_selectorIhlEEZZNS1_27merge_sort_block_merge_implIS3_PhN6thrust23THRUST_200600_302600_NS10device_ptrIlEEjNS1_19radix_merge_compareILb0ELb0EhNS0_19identity_decomposerEEEEE10hipError_tT0_T1_T2_jT3_P12ihipStream_tbPNSt15iterator_traitsISG_E10value_typeEPNSM_ISH_E10value_typeEPSI_NS1_7vsmem_tEENKUlT_SG_SH_SI_E_clIS7_S7_PlSB_EESF_SV_SG_SH_SI_EUlSV_E0_NS1_11comp_targetILNS1_3genE4ELNS1_11target_archE910ELNS1_3gpuE8ELNS1_3repE0EEENS1_38merge_mergepath_config_static_selectorELNS0_4arch9wavefront6targetE1EEEvSH_.has_indirect_call, 0
	.section	.AMDGPU.csdata,"",@progbits
; Kernel info:
; codeLenInByte = 0
; TotalNumSgprs: 4
; NumVgprs: 0
; ScratchSize: 0
; MemoryBound: 0
; FloatMode: 240
; IeeeMode: 1
; LDSByteSize: 0 bytes/workgroup (compile time only)
; SGPRBlocks: 0
; VGPRBlocks: 0
; NumSGPRsForWavesPerEU: 4
; NumVGPRsForWavesPerEU: 1
; Occupancy: 10
; WaveLimiterHint : 0
; COMPUTE_PGM_RSRC2:SCRATCH_EN: 0
; COMPUTE_PGM_RSRC2:USER_SGPR: 6
; COMPUTE_PGM_RSRC2:TRAP_HANDLER: 0
; COMPUTE_PGM_RSRC2:TGID_X_EN: 1
; COMPUTE_PGM_RSRC2:TGID_Y_EN: 0
; COMPUTE_PGM_RSRC2:TGID_Z_EN: 0
; COMPUTE_PGM_RSRC2:TIDIG_COMP_CNT: 0
	.section	.text._ZN7rocprim17ROCPRIM_400000_NS6detail17trampoline_kernelINS0_14default_configENS1_38merge_sort_block_merge_config_selectorIhlEEZZNS1_27merge_sort_block_merge_implIS3_PhN6thrust23THRUST_200600_302600_NS10device_ptrIlEEjNS1_19radix_merge_compareILb0ELb0EhNS0_19identity_decomposerEEEEE10hipError_tT0_T1_T2_jT3_P12ihipStream_tbPNSt15iterator_traitsISG_E10value_typeEPNSM_ISH_E10value_typeEPSI_NS1_7vsmem_tEENKUlT_SG_SH_SI_E_clIS7_S7_PlSB_EESF_SV_SG_SH_SI_EUlSV_E0_NS1_11comp_targetILNS1_3genE3ELNS1_11target_archE908ELNS1_3gpuE7ELNS1_3repE0EEENS1_38merge_mergepath_config_static_selectorELNS0_4arch9wavefront6targetE1EEEvSH_,"axG",@progbits,_ZN7rocprim17ROCPRIM_400000_NS6detail17trampoline_kernelINS0_14default_configENS1_38merge_sort_block_merge_config_selectorIhlEEZZNS1_27merge_sort_block_merge_implIS3_PhN6thrust23THRUST_200600_302600_NS10device_ptrIlEEjNS1_19radix_merge_compareILb0ELb0EhNS0_19identity_decomposerEEEEE10hipError_tT0_T1_T2_jT3_P12ihipStream_tbPNSt15iterator_traitsISG_E10value_typeEPNSM_ISH_E10value_typeEPSI_NS1_7vsmem_tEENKUlT_SG_SH_SI_E_clIS7_S7_PlSB_EESF_SV_SG_SH_SI_EUlSV_E0_NS1_11comp_targetILNS1_3genE3ELNS1_11target_archE908ELNS1_3gpuE7ELNS1_3repE0EEENS1_38merge_mergepath_config_static_selectorELNS0_4arch9wavefront6targetE1EEEvSH_,comdat
	.protected	_ZN7rocprim17ROCPRIM_400000_NS6detail17trampoline_kernelINS0_14default_configENS1_38merge_sort_block_merge_config_selectorIhlEEZZNS1_27merge_sort_block_merge_implIS3_PhN6thrust23THRUST_200600_302600_NS10device_ptrIlEEjNS1_19radix_merge_compareILb0ELb0EhNS0_19identity_decomposerEEEEE10hipError_tT0_T1_T2_jT3_P12ihipStream_tbPNSt15iterator_traitsISG_E10value_typeEPNSM_ISH_E10value_typeEPSI_NS1_7vsmem_tEENKUlT_SG_SH_SI_E_clIS7_S7_PlSB_EESF_SV_SG_SH_SI_EUlSV_E0_NS1_11comp_targetILNS1_3genE3ELNS1_11target_archE908ELNS1_3gpuE7ELNS1_3repE0EEENS1_38merge_mergepath_config_static_selectorELNS0_4arch9wavefront6targetE1EEEvSH_ ; -- Begin function _ZN7rocprim17ROCPRIM_400000_NS6detail17trampoline_kernelINS0_14default_configENS1_38merge_sort_block_merge_config_selectorIhlEEZZNS1_27merge_sort_block_merge_implIS3_PhN6thrust23THRUST_200600_302600_NS10device_ptrIlEEjNS1_19radix_merge_compareILb0ELb0EhNS0_19identity_decomposerEEEEE10hipError_tT0_T1_T2_jT3_P12ihipStream_tbPNSt15iterator_traitsISG_E10value_typeEPNSM_ISH_E10value_typeEPSI_NS1_7vsmem_tEENKUlT_SG_SH_SI_E_clIS7_S7_PlSB_EESF_SV_SG_SH_SI_EUlSV_E0_NS1_11comp_targetILNS1_3genE3ELNS1_11target_archE908ELNS1_3gpuE7ELNS1_3repE0EEENS1_38merge_mergepath_config_static_selectorELNS0_4arch9wavefront6targetE1EEEvSH_
	.globl	_ZN7rocprim17ROCPRIM_400000_NS6detail17trampoline_kernelINS0_14default_configENS1_38merge_sort_block_merge_config_selectorIhlEEZZNS1_27merge_sort_block_merge_implIS3_PhN6thrust23THRUST_200600_302600_NS10device_ptrIlEEjNS1_19radix_merge_compareILb0ELb0EhNS0_19identity_decomposerEEEEE10hipError_tT0_T1_T2_jT3_P12ihipStream_tbPNSt15iterator_traitsISG_E10value_typeEPNSM_ISH_E10value_typeEPSI_NS1_7vsmem_tEENKUlT_SG_SH_SI_E_clIS7_S7_PlSB_EESF_SV_SG_SH_SI_EUlSV_E0_NS1_11comp_targetILNS1_3genE3ELNS1_11target_archE908ELNS1_3gpuE7ELNS1_3repE0EEENS1_38merge_mergepath_config_static_selectorELNS0_4arch9wavefront6targetE1EEEvSH_
	.p2align	8
	.type	_ZN7rocprim17ROCPRIM_400000_NS6detail17trampoline_kernelINS0_14default_configENS1_38merge_sort_block_merge_config_selectorIhlEEZZNS1_27merge_sort_block_merge_implIS3_PhN6thrust23THRUST_200600_302600_NS10device_ptrIlEEjNS1_19radix_merge_compareILb0ELb0EhNS0_19identity_decomposerEEEEE10hipError_tT0_T1_T2_jT3_P12ihipStream_tbPNSt15iterator_traitsISG_E10value_typeEPNSM_ISH_E10value_typeEPSI_NS1_7vsmem_tEENKUlT_SG_SH_SI_E_clIS7_S7_PlSB_EESF_SV_SG_SH_SI_EUlSV_E0_NS1_11comp_targetILNS1_3genE3ELNS1_11target_archE908ELNS1_3gpuE7ELNS1_3repE0EEENS1_38merge_mergepath_config_static_selectorELNS0_4arch9wavefront6targetE1EEEvSH_,@function
_ZN7rocprim17ROCPRIM_400000_NS6detail17trampoline_kernelINS0_14default_configENS1_38merge_sort_block_merge_config_selectorIhlEEZZNS1_27merge_sort_block_merge_implIS3_PhN6thrust23THRUST_200600_302600_NS10device_ptrIlEEjNS1_19radix_merge_compareILb0ELb0EhNS0_19identity_decomposerEEEEE10hipError_tT0_T1_T2_jT3_P12ihipStream_tbPNSt15iterator_traitsISG_E10value_typeEPNSM_ISH_E10value_typeEPSI_NS1_7vsmem_tEENKUlT_SG_SH_SI_E_clIS7_S7_PlSB_EESF_SV_SG_SH_SI_EUlSV_E0_NS1_11comp_targetILNS1_3genE3ELNS1_11target_archE908ELNS1_3gpuE7ELNS1_3repE0EEENS1_38merge_mergepath_config_static_selectorELNS0_4arch9wavefront6targetE1EEEvSH_: ; @_ZN7rocprim17ROCPRIM_400000_NS6detail17trampoline_kernelINS0_14default_configENS1_38merge_sort_block_merge_config_selectorIhlEEZZNS1_27merge_sort_block_merge_implIS3_PhN6thrust23THRUST_200600_302600_NS10device_ptrIlEEjNS1_19radix_merge_compareILb0ELb0EhNS0_19identity_decomposerEEEEE10hipError_tT0_T1_T2_jT3_P12ihipStream_tbPNSt15iterator_traitsISG_E10value_typeEPNSM_ISH_E10value_typeEPSI_NS1_7vsmem_tEENKUlT_SG_SH_SI_E_clIS7_S7_PlSB_EESF_SV_SG_SH_SI_EUlSV_E0_NS1_11comp_targetILNS1_3genE3ELNS1_11target_archE908ELNS1_3gpuE7ELNS1_3repE0EEENS1_38merge_mergepath_config_static_selectorELNS0_4arch9wavefront6targetE1EEEvSH_
; %bb.0:
	.section	.rodata,"a",@progbits
	.p2align	6, 0x0
	.amdhsa_kernel _ZN7rocprim17ROCPRIM_400000_NS6detail17trampoline_kernelINS0_14default_configENS1_38merge_sort_block_merge_config_selectorIhlEEZZNS1_27merge_sort_block_merge_implIS3_PhN6thrust23THRUST_200600_302600_NS10device_ptrIlEEjNS1_19radix_merge_compareILb0ELb0EhNS0_19identity_decomposerEEEEE10hipError_tT0_T1_T2_jT3_P12ihipStream_tbPNSt15iterator_traitsISG_E10value_typeEPNSM_ISH_E10value_typeEPSI_NS1_7vsmem_tEENKUlT_SG_SH_SI_E_clIS7_S7_PlSB_EESF_SV_SG_SH_SI_EUlSV_E0_NS1_11comp_targetILNS1_3genE3ELNS1_11target_archE908ELNS1_3gpuE7ELNS1_3repE0EEENS1_38merge_mergepath_config_static_selectorELNS0_4arch9wavefront6targetE1EEEvSH_
		.amdhsa_group_segment_fixed_size 0
		.amdhsa_private_segment_fixed_size 0
		.amdhsa_kernarg_size 64
		.amdhsa_user_sgpr_count 6
		.amdhsa_user_sgpr_private_segment_buffer 1
		.amdhsa_user_sgpr_dispatch_ptr 0
		.amdhsa_user_sgpr_queue_ptr 0
		.amdhsa_user_sgpr_kernarg_segment_ptr 1
		.amdhsa_user_sgpr_dispatch_id 0
		.amdhsa_user_sgpr_flat_scratch_init 0
		.amdhsa_user_sgpr_private_segment_size 0
		.amdhsa_uses_dynamic_stack 0
		.amdhsa_system_sgpr_private_segment_wavefront_offset 0
		.amdhsa_system_sgpr_workgroup_id_x 1
		.amdhsa_system_sgpr_workgroup_id_y 0
		.amdhsa_system_sgpr_workgroup_id_z 0
		.amdhsa_system_sgpr_workgroup_info 0
		.amdhsa_system_vgpr_workitem_id 0
		.amdhsa_next_free_vgpr 1
		.amdhsa_next_free_sgpr 0
		.amdhsa_reserve_vcc 0
		.amdhsa_reserve_flat_scratch 0
		.amdhsa_float_round_mode_32 0
		.amdhsa_float_round_mode_16_64 0
		.amdhsa_float_denorm_mode_32 3
		.amdhsa_float_denorm_mode_16_64 3
		.amdhsa_dx10_clamp 1
		.amdhsa_ieee_mode 1
		.amdhsa_fp16_overflow 0
		.amdhsa_exception_fp_ieee_invalid_op 0
		.amdhsa_exception_fp_denorm_src 0
		.amdhsa_exception_fp_ieee_div_zero 0
		.amdhsa_exception_fp_ieee_overflow 0
		.amdhsa_exception_fp_ieee_underflow 0
		.amdhsa_exception_fp_ieee_inexact 0
		.amdhsa_exception_int_div_zero 0
	.end_amdhsa_kernel
	.section	.text._ZN7rocprim17ROCPRIM_400000_NS6detail17trampoline_kernelINS0_14default_configENS1_38merge_sort_block_merge_config_selectorIhlEEZZNS1_27merge_sort_block_merge_implIS3_PhN6thrust23THRUST_200600_302600_NS10device_ptrIlEEjNS1_19radix_merge_compareILb0ELb0EhNS0_19identity_decomposerEEEEE10hipError_tT0_T1_T2_jT3_P12ihipStream_tbPNSt15iterator_traitsISG_E10value_typeEPNSM_ISH_E10value_typeEPSI_NS1_7vsmem_tEENKUlT_SG_SH_SI_E_clIS7_S7_PlSB_EESF_SV_SG_SH_SI_EUlSV_E0_NS1_11comp_targetILNS1_3genE3ELNS1_11target_archE908ELNS1_3gpuE7ELNS1_3repE0EEENS1_38merge_mergepath_config_static_selectorELNS0_4arch9wavefront6targetE1EEEvSH_,"axG",@progbits,_ZN7rocprim17ROCPRIM_400000_NS6detail17trampoline_kernelINS0_14default_configENS1_38merge_sort_block_merge_config_selectorIhlEEZZNS1_27merge_sort_block_merge_implIS3_PhN6thrust23THRUST_200600_302600_NS10device_ptrIlEEjNS1_19radix_merge_compareILb0ELb0EhNS0_19identity_decomposerEEEEE10hipError_tT0_T1_T2_jT3_P12ihipStream_tbPNSt15iterator_traitsISG_E10value_typeEPNSM_ISH_E10value_typeEPSI_NS1_7vsmem_tEENKUlT_SG_SH_SI_E_clIS7_S7_PlSB_EESF_SV_SG_SH_SI_EUlSV_E0_NS1_11comp_targetILNS1_3genE3ELNS1_11target_archE908ELNS1_3gpuE7ELNS1_3repE0EEENS1_38merge_mergepath_config_static_selectorELNS0_4arch9wavefront6targetE1EEEvSH_,comdat
.Lfunc_end136:
	.size	_ZN7rocprim17ROCPRIM_400000_NS6detail17trampoline_kernelINS0_14default_configENS1_38merge_sort_block_merge_config_selectorIhlEEZZNS1_27merge_sort_block_merge_implIS3_PhN6thrust23THRUST_200600_302600_NS10device_ptrIlEEjNS1_19radix_merge_compareILb0ELb0EhNS0_19identity_decomposerEEEEE10hipError_tT0_T1_T2_jT3_P12ihipStream_tbPNSt15iterator_traitsISG_E10value_typeEPNSM_ISH_E10value_typeEPSI_NS1_7vsmem_tEENKUlT_SG_SH_SI_E_clIS7_S7_PlSB_EESF_SV_SG_SH_SI_EUlSV_E0_NS1_11comp_targetILNS1_3genE3ELNS1_11target_archE908ELNS1_3gpuE7ELNS1_3repE0EEENS1_38merge_mergepath_config_static_selectorELNS0_4arch9wavefront6targetE1EEEvSH_, .Lfunc_end136-_ZN7rocprim17ROCPRIM_400000_NS6detail17trampoline_kernelINS0_14default_configENS1_38merge_sort_block_merge_config_selectorIhlEEZZNS1_27merge_sort_block_merge_implIS3_PhN6thrust23THRUST_200600_302600_NS10device_ptrIlEEjNS1_19radix_merge_compareILb0ELb0EhNS0_19identity_decomposerEEEEE10hipError_tT0_T1_T2_jT3_P12ihipStream_tbPNSt15iterator_traitsISG_E10value_typeEPNSM_ISH_E10value_typeEPSI_NS1_7vsmem_tEENKUlT_SG_SH_SI_E_clIS7_S7_PlSB_EESF_SV_SG_SH_SI_EUlSV_E0_NS1_11comp_targetILNS1_3genE3ELNS1_11target_archE908ELNS1_3gpuE7ELNS1_3repE0EEENS1_38merge_mergepath_config_static_selectorELNS0_4arch9wavefront6targetE1EEEvSH_
                                        ; -- End function
	.set _ZN7rocprim17ROCPRIM_400000_NS6detail17trampoline_kernelINS0_14default_configENS1_38merge_sort_block_merge_config_selectorIhlEEZZNS1_27merge_sort_block_merge_implIS3_PhN6thrust23THRUST_200600_302600_NS10device_ptrIlEEjNS1_19radix_merge_compareILb0ELb0EhNS0_19identity_decomposerEEEEE10hipError_tT0_T1_T2_jT3_P12ihipStream_tbPNSt15iterator_traitsISG_E10value_typeEPNSM_ISH_E10value_typeEPSI_NS1_7vsmem_tEENKUlT_SG_SH_SI_E_clIS7_S7_PlSB_EESF_SV_SG_SH_SI_EUlSV_E0_NS1_11comp_targetILNS1_3genE3ELNS1_11target_archE908ELNS1_3gpuE7ELNS1_3repE0EEENS1_38merge_mergepath_config_static_selectorELNS0_4arch9wavefront6targetE1EEEvSH_.num_vgpr, 0
	.set _ZN7rocprim17ROCPRIM_400000_NS6detail17trampoline_kernelINS0_14default_configENS1_38merge_sort_block_merge_config_selectorIhlEEZZNS1_27merge_sort_block_merge_implIS3_PhN6thrust23THRUST_200600_302600_NS10device_ptrIlEEjNS1_19radix_merge_compareILb0ELb0EhNS0_19identity_decomposerEEEEE10hipError_tT0_T1_T2_jT3_P12ihipStream_tbPNSt15iterator_traitsISG_E10value_typeEPNSM_ISH_E10value_typeEPSI_NS1_7vsmem_tEENKUlT_SG_SH_SI_E_clIS7_S7_PlSB_EESF_SV_SG_SH_SI_EUlSV_E0_NS1_11comp_targetILNS1_3genE3ELNS1_11target_archE908ELNS1_3gpuE7ELNS1_3repE0EEENS1_38merge_mergepath_config_static_selectorELNS0_4arch9wavefront6targetE1EEEvSH_.num_agpr, 0
	.set _ZN7rocprim17ROCPRIM_400000_NS6detail17trampoline_kernelINS0_14default_configENS1_38merge_sort_block_merge_config_selectorIhlEEZZNS1_27merge_sort_block_merge_implIS3_PhN6thrust23THRUST_200600_302600_NS10device_ptrIlEEjNS1_19radix_merge_compareILb0ELb0EhNS0_19identity_decomposerEEEEE10hipError_tT0_T1_T2_jT3_P12ihipStream_tbPNSt15iterator_traitsISG_E10value_typeEPNSM_ISH_E10value_typeEPSI_NS1_7vsmem_tEENKUlT_SG_SH_SI_E_clIS7_S7_PlSB_EESF_SV_SG_SH_SI_EUlSV_E0_NS1_11comp_targetILNS1_3genE3ELNS1_11target_archE908ELNS1_3gpuE7ELNS1_3repE0EEENS1_38merge_mergepath_config_static_selectorELNS0_4arch9wavefront6targetE1EEEvSH_.numbered_sgpr, 0
	.set _ZN7rocprim17ROCPRIM_400000_NS6detail17trampoline_kernelINS0_14default_configENS1_38merge_sort_block_merge_config_selectorIhlEEZZNS1_27merge_sort_block_merge_implIS3_PhN6thrust23THRUST_200600_302600_NS10device_ptrIlEEjNS1_19radix_merge_compareILb0ELb0EhNS0_19identity_decomposerEEEEE10hipError_tT0_T1_T2_jT3_P12ihipStream_tbPNSt15iterator_traitsISG_E10value_typeEPNSM_ISH_E10value_typeEPSI_NS1_7vsmem_tEENKUlT_SG_SH_SI_E_clIS7_S7_PlSB_EESF_SV_SG_SH_SI_EUlSV_E0_NS1_11comp_targetILNS1_3genE3ELNS1_11target_archE908ELNS1_3gpuE7ELNS1_3repE0EEENS1_38merge_mergepath_config_static_selectorELNS0_4arch9wavefront6targetE1EEEvSH_.num_named_barrier, 0
	.set _ZN7rocprim17ROCPRIM_400000_NS6detail17trampoline_kernelINS0_14default_configENS1_38merge_sort_block_merge_config_selectorIhlEEZZNS1_27merge_sort_block_merge_implIS3_PhN6thrust23THRUST_200600_302600_NS10device_ptrIlEEjNS1_19radix_merge_compareILb0ELb0EhNS0_19identity_decomposerEEEEE10hipError_tT0_T1_T2_jT3_P12ihipStream_tbPNSt15iterator_traitsISG_E10value_typeEPNSM_ISH_E10value_typeEPSI_NS1_7vsmem_tEENKUlT_SG_SH_SI_E_clIS7_S7_PlSB_EESF_SV_SG_SH_SI_EUlSV_E0_NS1_11comp_targetILNS1_3genE3ELNS1_11target_archE908ELNS1_3gpuE7ELNS1_3repE0EEENS1_38merge_mergepath_config_static_selectorELNS0_4arch9wavefront6targetE1EEEvSH_.private_seg_size, 0
	.set _ZN7rocprim17ROCPRIM_400000_NS6detail17trampoline_kernelINS0_14default_configENS1_38merge_sort_block_merge_config_selectorIhlEEZZNS1_27merge_sort_block_merge_implIS3_PhN6thrust23THRUST_200600_302600_NS10device_ptrIlEEjNS1_19radix_merge_compareILb0ELb0EhNS0_19identity_decomposerEEEEE10hipError_tT0_T1_T2_jT3_P12ihipStream_tbPNSt15iterator_traitsISG_E10value_typeEPNSM_ISH_E10value_typeEPSI_NS1_7vsmem_tEENKUlT_SG_SH_SI_E_clIS7_S7_PlSB_EESF_SV_SG_SH_SI_EUlSV_E0_NS1_11comp_targetILNS1_3genE3ELNS1_11target_archE908ELNS1_3gpuE7ELNS1_3repE0EEENS1_38merge_mergepath_config_static_selectorELNS0_4arch9wavefront6targetE1EEEvSH_.uses_vcc, 0
	.set _ZN7rocprim17ROCPRIM_400000_NS6detail17trampoline_kernelINS0_14default_configENS1_38merge_sort_block_merge_config_selectorIhlEEZZNS1_27merge_sort_block_merge_implIS3_PhN6thrust23THRUST_200600_302600_NS10device_ptrIlEEjNS1_19radix_merge_compareILb0ELb0EhNS0_19identity_decomposerEEEEE10hipError_tT0_T1_T2_jT3_P12ihipStream_tbPNSt15iterator_traitsISG_E10value_typeEPNSM_ISH_E10value_typeEPSI_NS1_7vsmem_tEENKUlT_SG_SH_SI_E_clIS7_S7_PlSB_EESF_SV_SG_SH_SI_EUlSV_E0_NS1_11comp_targetILNS1_3genE3ELNS1_11target_archE908ELNS1_3gpuE7ELNS1_3repE0EEENS1_38merge_mergepath_config_static_selectorELNS0_4arch9wavefront6targetE1EEEvSH_.uses_flat_scratch, 0
	.set _ZN7rocprim17ROCPRIM_400000_NS6detail17trampoline_kernelINS0_14default_configENS1_38merge_sort_block_merge_config_selectorIhlEEZZNS1_27merge_sort_block_merge_implIS3_PhN6thrust23THRUST_200600_302600_NS10device_ptrIlEEjNS1_19radix_merge_compareILb0ELb0EhNS0_19identity_decomposerEEEEE10hipError_tT0_T1_T2_jT3_P12ihipStream_tbPNSt15iterator_traitsISG_E10value_typeEPNSM_ISH_E10value_typeEPSI_NS1_7vsmem_tEENKUlT_SG_SH_SI_E_clIS7_S7_PlSB_EESF_SV_SG_SH_SI_EUlSV_E0_NS1_11comp_targetILNS1_3genE3ELNS1_11target_archE908ELNS1_3gpuE7ELNS1_3repE0EEENS1_38merge_mergepath_config_static_selectorELNS0_4arch9wavefront6targetE1EEEvSH_.has_dyn_sized_stack, 0
	.set _ZN7rocprim17ROCPRIM_400000_NS6detail17trampoline_kernelINS0_14default_configENS1_38merge_sort_block_merge_config_selectorIhlEEZZNS1_27merge_sort_block_merge_implIS3_PhN6thrust23THRUST_200600_302600_NS10device_ptrIlEEjNS1_19radix_merge_compareILb0ELb0EhNS0_19identity_decomposerEEEEE10hipError_tT0_T1_T2_jT3_P12ihipStream_tbPNSt15iterator_traitsISG_E10value_typeEPNSM_ISH_E10value_typeEPSI_NS1_7vsmem_tEENKUlT_SG_SH_SI_E_clIS7_S7_PlSB_EESF_SV_SG_SH_SI_EUlSV_E0_NS1_11comp_targetILNS1_3genE3ELNS1_11target_archE908ELNS1_3gpuE7ELNS1_3repE0EEENS1_38merge_mergepath_config_static_selectorELNS0_4arch9wavefront6targetE1EEEvSH_.has_recursion, 0
	.set _ZN7rocprim17ROCPRIM_400000_NS6detail17trampoline_kernelINS0_14default_configENS1_38merge_sort_block_merge_config_selectorIhlEEZZNS1_27merge_sort_block_merge_implIS3_PhN6thrust23THRUST_200600_302600_NS10device_ptrIlEEjNS1_19radix_merge_compareILb0ELb0EhNS0_19identity_decomposerEEEEE10hipError_tT0_T1_T2_jT3_P12ihipStream_tbPNSt15iterator_traitsISG_E10value_typeEPNSM_ISH_E10value_typeEPSI_NS1_7vsmem_tEENKUlT_SG_SH_SI_E_clIS7_S7_PlSB_EESF_SV_SG_SH_SI_EUlSV_E0_NS1_11comp_targetILNS1_3genE3ELNS1_11target_archE908ELNS1_3gpuE7ELNS1_3repE0EEENS1_38merge_mergepath_config_static_selectorELNS0_4arch9wavefront6targetE1EEEvSH_.has_indirect_call, 0
	.section	.AMDGPU.csdata,"",@progbits
; Kernel info:
; codeLenInByte = 0
; TotalNumSgprs: 4
; NumVgprs: 0
; ScratchSize: 0
; MemoryBound: 0
; FloatMode: 240
; IeeeMode: 1
; LDSByteSize: 0 bytes/workgroup (compile time only)
; SGPRBlocks: 0
; VGPRBlocks: 0
; NumSGPRsForWavesPerEU: 4
; NumVGPRsForWavesPerEU: 1
; Occupancy: 10
; WaveLimiterHint : 0
; COMPUTE_PGM_RSRC2:SCRATCH_EN: 0
; COMPUTE_PGM_RSRC2:USER_SGPR: 6
; COMPUTE_PGM_RSRC2:TRAP_HANDLER: 0
; COMPUTE_PGM_RSRC2:TGID_X_EN: 1
; COMPUTE_PGM_RSRC2:TGID_Y_EN: 0
; COMPUTE_PGM_RSRC2:TGID_Z_EN: 0
; COMPUTE_PGM_RSRC2:TIDIG_COMP_CNT: 0
	.section	.text._ZN7rocprim17ROCPRIM_400000_NS6detail17trampoline_kernelINS0_14default_configENS1_38merge_sort_block_merge_config_selectorIhlEEZZNS1_27merge_sort_block_merge_implIS3_PhN6thrust23THRUST_200600_302600_NS10device_ptrIlEEjNS1_19radix_merge_compareILb0ELb0EhNS0_19identity_decomposerEEEEE10hipError_tT0_T1_T2_jT3_P12ihipStream_tbPNSt15iterator_traitsISG_E10value_typeEPNSM_ISH_E10value_typeEPSI_NS1_7vsmem_tEENKUlT_SG_SH_SI_E_clIS7_S7_PlSB_EESF_SV_SG_SH_SI_EUlSV_E0_NS1_11comp_targetILNS1_3genE2ELNS1_11target_archE906ELNS1_3gpuE6ELNS1_3repE0EEENS1_38merge_mergepath_config_static_selectorELNS0_4arch9wavefront6targetE1EEEvSH_,"axG",@progbits,_ZN7rocprim17ROCPRIM_400000_NS6detail17trampoline_kernelINS0_14default_configENS1_38merge_sort_block_merge_config_selectorIhlEEZZNS1_27merge_sort_block_merge_implIS3_PhN6thrust23THRUST_200600_302600_NS10device_ptrIlEEjNS1_19radix_merge_compareILb0ELb0EhNS0_19identity_decomposerEEEEE10hipError_tT0_T1_T2_jT3_P12ihipStream_tbPNSt15iterator_traitsISG_E10value_typeEPNSM_ISH_E10value_typeEPSI_NS1_7vsmem_tEENKUlT_SG_SH_SI_E_clIS7_S7_PlSB_EESF_SV_SG_SH_SI_EUlSV_E0_NS1_11comp_targetILNS1_3genE2ELNS1_11target_archE906ELNS1_3gpuE6ELNS1_3repE0EEENS1_38merge_mergepath_config_static_selectorELNS0_4arch9wavefront6targetE1EEEvSH_,comdat
	.protected	_ZN7rocprim17ROCPRIM_400000_NS6detail17trampoline_kernelINS0_14default_configENS1_38merge_sort_block_merge_config_selectorIhlEEZZNS1_27merge_sort_block_merge_implIS3_PhN6thrust23THRUST_200600_302600_NS10device_ptrIlEEjNS1_19radix_merge_compareILb0ELb0EhNS0_19identity_decomposerEEEEE10hipError_tT0_T1_T2_jT3_P12ihipStream_tbPNSt15iterator_traitsISG_E10value_typeEPNSM_ISH_E10value_typeEPSI_NS1_7vsmem_tEENKUlT_SG_SH_SI_E_clIS7_S7_PlSB_EESF_SV_SG_SH_SI_EUlSV_E0_NS1_11comp_targetILNS1_3genE2ELNS1_11target_archE906ELNS1_3gpuE6ELNS1_3repE0EEENS1_38merge_mergepath_config_static_selectorELNS0_4arch9wavefront6targetE1EEEvSH_ ; -- Begin function _ZN7rocprim17ROCPRIM_400000_NS6detail17trampoline_kernelINS0_14default_configENS1_38merge_sort_block_merge_config_selectorIhlEEZZNS1_27merge_sort_block_merge_implIS3_PhN6thrust23THRUST_200600_302600_NS10device_ptrIlEEjNS1_19radix_merge_compareILb0ELb0EhNS0_19identity_decomposerEEEEE10hipError_tT0_T1_T2_jT3_P12ihipStream_tbPNSt15iterator_traitsISG_E10value_typeEPNSM_ISH_E10value_typeEPSI_NS1_7vsmem_tEENKUlT_SG_SH_SI_E_clIS7_S7_PlSB_EESF_SV_SG_SH_SI_EUlSV_E0_NS1_11comp_targetILNS1_3genE2ELNS1_11target_archE906ELNS1_3gpuE6ELNS1_3repE0EEENS1_38merge_mergepath_config_static_selectorELNS0_4arch9wavefront6targetE1EEEvSH_
	.globl	_ZN7rocprim17ROCPRIM_400000_NS6detail17trampoline_kernelINS0_14default_configENS1_38merge_sort_block_merge_config_selectorIhlEEZZNS1_27merge_sort_block_merge_implIS3_PhN6thrust23THRUST_200600_302600_NS10device_ptrIlEEjNS1_19radix_merge_compareILb0ELb0EhNS0_19identity_decomposerEEEEE10hipError_tT0_T1_T2_jT3_P12ihipStream_tbPNSt15iterator_traitsISG_E10value_typeEPNSM_ISH_E10value_typeEPSI_NS1_7vsmem_tEENKUlT_SG_SH_SI_E_clIS7_S7_PlSB_EESF_SV_SG_SH_SI_EUlSV_E0_NS1_11comp_targetILNS1_3genE2ELNS1_11target_archE906ELNS1_3gpuE6ELNS1_3repE0EEENS1_38merge_mergepath_config_static_selectorELNS0_4arch9wavefront6targetE1EEEvSH_
	.p2align	8
	.type	_ZN7rocprim17ROCPRIM_400000_NS6detail17trampoline_kernelINS0_14default_configENS1_38merge_sort_block_merge_config_selectorIhlEEZZNS1_27merge_sort_block_merge_implIS3_PhN6thrust23THRUST_200600_302600_NS10device_ptrIlEEjNS1_19radix_merge_compareILb0ELb0EhNS0_19identity_decomposerEEEEE10hipError_tT0_T1_T2_jT3_P12ihipStream_tbPNSt15iterator_traitsISG_E10value_typeEPNSM_ISH_E10value_typeEPSI_NS1_7vsmem_tEENKUlT_SG_SH_SI_E_clIS7_S7_PlSB_EESF_SV_SG_SH_SI_EUlSV_E0_NS1_11comp_targetILNS1_3genE2ELNS1_11target_archE906ELNS1_3gpuE6ELNS1_3repE0EEENS1_38merge_mergepath_config_static_selectorELNS0_4arch9wavefront6targetE1EEEvSH_,@function
_ZN7rocprim17ROCPRIM_400000_NS6detail17trampoline_kernelINS0_14default_configENS1_38merge_sort_block_merge_config_selectorIhlEEZZNS1_27merge_sort_block_merge_implIS3_PhN6thrust23THRUST_200600_302600_NS10device_ptrIlEEjNS1_19radix_merge_compareILb0ELb0EhNS0_19identity_decomposerEEEEE10hipError_tT0_T1_T2_jT3_P12ihipStream_tbPNSt15iterator_traitsISG_E10value_typeEPNSM_ISH_E10value_typeEPSI_NS1_7vsmem_tEENKUlT_SG_SH_SI_E_clIS7_S7_PlSB_EESF_SV_SG_SH_SI_EUlSV_E0_NS1_11comp_targetILNS1_3genE2ELNS1_11target_archE906ELNS1_3gpuE6ELNS1_3repE0EEENS1_38merge_mergepath_config_static_selectorELNS0_4arch9wavefront6targetE1EEEvSH_: ; @_ZN7rocprim17ROCPRIM_400000_NS6detail17trampoline_kernelINS0_14default_configENS1_38merge_sort_block_merge_config_selectorIhlEEZZNS1_27merge_sort_block_merge_implIS3_PhN6thrust23THRUST_200600_302600_NS10device_ptrIlEEjNS1_19radix_merge_compareILb0ELb0EhNS0_19identity_decomposerEEEEE10hipError_tT0_T1_T2_jT3_P12ihipStream_tbPNSt15iterator_traitsISG_E10value_typeEPNSM_ISH_E10value_typeEPSI_NS1_7vsmem_tEENKUlT_SG_SH_SI_E_clIS7_S7_PlSB_EESF_SV_SG_SH_SI_EUlSV_E0_NS1_11comp_targetILNS1_3genE2ELNS1_11target_archE906ELNS1_3gpuE6ELNS1_3repE0EEENS1_38merge_mergepath_config_static_selectorELNS0_4arch9wavefront6targetE1EEEvSH_
; %bb.0:
	s_load_dwordx2 s[22:23], s[4:5], 0x40
	s_load_dword s1, s[4:5], 0x30
	s_add_u32 s20, s4, 64
	s_addc_u32 s21, s5, 0
	s_waitcnt lgkmcnt(0)
	s_mul_i32 s0, s23, s8
	s_add_i32 s0, s0, s7
	s_mul_i32 s0, s0, s22
	s_add_i32 s0, s0, s6
	s_cmp_ge_u32 s0, s1
	s_cbranch_scc1 .LBB137_46
; %bb.1:
	s_load_dwordx8 s[8:15], s[4:5], 0x10
	s_load_dwordx2 s[26:27], s[4:5], 0x8
	s_load_dwordx2 s[2:3], s[4:5], 0x38
	s_mov_b32 s1, 0
	v_mov_b32_e32 v1, 0
	s_waitcnt lgkmcnt(0)
	s_lshr_b32 s28, s14, 10
	s_cmp_lg_u32 s0, s28
	s_cselect_b64 s[18:19], -1, 0
	s_lshl_b64 s[4:5], s[0:1], 2
	s_add_u32 s4, s2, s4
	s_addc_u32 s5, s3, s5
	s_load_dwordx2 s[2:3], s[4:5], 0x0
	s_lshr_b32 s4, s15, 9
	s_and_b32 s4, s4, 0x7ffffe
	s_sub_i32 s5, 0, s4
	s_and_b32 s4, s0, s5
	s_lshl_b32 s7, s4, 10
	s_lshl_b32 s16, s0, 10
	;; [unrolled: 1-line block ×3, first 2 shown]
	s_sub_i32 s17, s16, s7
	s_add_i32 s23, s4, s15
	s_add_i32 s17, s23, s17
	s_waitcnt lgkmcnt(0)
	s_sub_i32 s4, s17, s2
	s_sub_i32 s17, s17, s3
	;; [unrolled: 1-line block ×3, first 2 shown]
	s_min_u32 s4, s14, s4
	s_addk_i32 s17, 0x400
	s_or_b32 s5, s0, s5
	s_min_u32 s23, s14, s7
	s_add_i32 s7, s7, s15
	s_cmp_eq_u32 s5, -1
	s_cselect_b32 s5, s7, s17
	s_cselect_b32 s3, s23, s3
	s_min_u32 s17, s5, s14
	s_sub_i32 s15, s3, s2
	s_add_u32 s24, s26, s2
	s_addc_u32 s25, s27, 0
	s_add_u32 s23, s26, s4
	global_load_dword v2, v1, s[20:21] offset:14
	s_addc_u32 s26, s27, 0
	s_cmp_lt_u32 s6, s22
	s_cselect_b32 s3, 12, 18
	s_add_u32 s6, s20, s3
	s_addc_u32 s7, s21, 0
	global_load_ushort v1, v1, s[6:7]
	s_mov_b32 s3, s1
	s_mov_b32 s5, s1
	s_cmp_eq_u32 s0, s28
	s_waitcnt vmcnt(1)
	v_lshrrev_b32_e32 v3, 16, v2
	v_and_b32_e32 v2, 0xffff, v2
	v_mul_lo_u32 v2, v2, v3
	s_waitcnt vmcnt(0)
	v_mul_lo_u32 v15, v2, v1
	v_add_u32_e32 v11, v15, v0
	v_add_u32_e32 v9, v11, v15
	s_cbranch_scc1 .LBB137_3
; %bb.2:
	v_mov_b32_e32 v1, s25
	v_add_co_u32_e32 v3, vcc, s24, v0
	v_addc_co_u32_e32 v1, vcc, 0, v1, vcc
	v_subrev_co_u32_e32 v2, vcc, s15, v0
	v_mov_b32_e32 v4, s26
	v_add_co_u32_e64 v5, s[0:1], s23, v2
	v_addc_co_u32_e64 v2, s[0:1], 0, v4, s[0:1]
	v_cndmask_b32_e32 v2, v2, v1, vcc
	v_cndmask_b32_e32 v1, v5, v3, vcc
	v_mov_b32_e32 v3, s25
	v_add_co_u32_e32 v5, vcc, s24, v11
	v_addc_co_u32_e32 v3, vcc, 0, v3, vcc
	v_subrev_co_u32_e32 v4, vcc, s15, v11
	v_mov_b32_e32 v6, s26
	v_add_co_u32_e64 v7, s[0:1], s23, v4
	v_addc_co_u32_e64 v4, s[0:1], 0, v6, s[0:1]
	v_cndmask_b32_e32 v4, v4, v3, vcc
	v_cndmask_b32_e32 v3, v7, v5, vcc
	;; [unrolled: 9-line block ×3, first 2 shown]
	global_load_ubyte v7, v[1:2], off
	global_load_ubyte v8, v[3:4], off
	;; [unrolled: 1-line block ×3, first 2 shown]
	s_mov_b32 s0, 0xc0c0004
	v_add_u32_e32 v1, v9, v15
	s_waitcnt vmcnt(1)
	v_perm_b32 v2, v7, v8, s0
	s_waitcnt vmcnt(0)
	v_lshl_or_b32 v14, v10, 16, v2
	s_mov_b64 s[0:1], -1
	s_sub_i32 s17, s17, s4
	s_cbranch_execz .LBB137_4
	s_branch .LBB137_9
.LBB137_3:
	s_mov_b64 s[0:1], 0
                                        ; implicit-def: $vgpr1
                                        ; implicit-def: $vgpr14
	s_sub_i32 s17, s17, s4
.LBB137_4:
	s_add_i32 s20, s17, s15
	v_cmp_gt_u32_e32 vcc, s20, v0
	v_mov_b32_e32 v14, 0
	s_and_saveexec_b64 s[6:7], vcc
	s_cbranch_execnz .LBB137_47
; %bb.5:
	s_or_b64 exec, exec, s[6:7]
	v_cmp_gt_u32_e32 vcc, s20, v11
	s_and_saveexec_b64 s[6:7], vcc
	s_cbranch_execnz .LBB137_48
.LBB137_6:
	s_or_b64 exec, exec, s[6:7]
	v_cmp_gt_u32_e32 vcc, s20, v9
	s_and_saveexec_b64 s[6:7], vcc
	s_cbranch_execz .LBB137_8
.LBB137_7:
	v_mov_b32_e32 v1, s25
	v_add_co_u32_e32 v3, vcc, s24, v9
	v_addc_co_u32_e32 v1, vcc, 0, v1, vcc
	v_subrev_co_u32_e32 v2, vcc, s15, v9
	v_mov_b32_e32 v4, s26
	v_add_co_u32_e64 v5, s[0:1], s23, v2
	v_addc_co_u32_e64 v2, s[0:1], 0, v4, s[0:1]
	v_cndmask_b32_e32 v2, v2, v1, vcc
	v_cndmask_b32_e32 v1, v5, v3, vcc
	global_load_ubyte v1, v[1:2], off
	s_waitcnt vmcnt(0)
	v_lshl_or_b32 v14, v1, 16, v14
.LBB137_8:
	s_or_b64 exec, exec, s[6:7]
	v_add_u32_e32 v1, v9, v15
	v_cmp_gt_u32_e64 s[0:1], s20, v1
.LBB137_9:
	s_and_saveexec_b64 s[6:7], s[0:1]
	s_cbranch_execz .LBB137_11
; %bb.10:
	v_mov_b32_e32 v2, s25
	v_add_co_u32_e32 v3, vcc, s24, v1
	v_addc_co_u32_e32 v2, vcc, 0, v2, vcc
	v_subrev_co_u32_e32 v1, vcc, s15, v1
	v_mov_b32_e32 v4, s26
	v_add_co_u32_e64 v1, s[0:1], s23, v1
	v_addc_co_u32_e64 v4, s[0:1], 0, v4, s[0:1]
	v_cndmask_b32_e32 v2, v4, v2, vcc
	v_cndmask_b32_e32 v1, v1, v3, vcc
	global_load_ubyte v1, v[1:2], off
	s_mov_b32 s0, 0x60504
	s_waitcnt vmcnt(0)
	v_perm_b32 v14, v14, v1, s0
.LBB137_11:
	s_or_b64 exec, exec, s[6:7]
	s_lshl_b64 s[0:1], s[2:3], 3
	s_add_u32 s6, s10, s0
	s_addc_u32 s7, s11, s1
	s_lshl_b64 s[0:1], s[4:5], 3
	s_add_u32 s4, s10, s0
	s_waitcnt vmcnt(0)
	v_lshrrev_b32_e32 v16, 16, v14
	v_mov_b32_e32 v8, 0
	v_lshrrev_b32_e32 v17, 8, v14
	v_lshrrev_b32_e32 v18, 24, v14
	s_addc_u32 s5, s11, s1
	s_andn2_b64 vcc, exec, s[18:19]
	v_lshlrev_b32_e32 v13, 3, v0
	ds_write_b8 v0, v14
	ds_write_b8 v0, v17 offset:256
	ds_write_b8 v0, v16 offset:512
	ds_write_b8 v0, v18 offset:768
	s_cbranch_vccnz .LBB137_13
; %bb.12:
	v_mov_b32_e32 v1, s7
	v_add_co_u32_e32 v3, vcc, s6, v13
	v_addc_co_u32_e32 v4, vcc, 0, v1, vcc
	v_subrev_co_u32_e32 v7, vcc, s15, v0
	v_lshlrev_b64 v[1:2], 3, v[7:8]
	v_mov_b32_e32 v5, s5
	v_add_co_u32_e64 v1, s[0:1], s4, v1
	v_addc_co_u32_e64 v2, s[0:1], v5, v2, s[0:1]
	v_mov_b32_e32 v12, v8
	v_cndmask_b32_e32 v2, v2, v4, vcc
	v_cndmask_b32_e32 v1, v1, v3, vcc
	v_lshlrev_b64 v[3:4], 3, v[11:12]
	v_mov_b32_e32 v5, s7
	v_add_co_u32_e32 v6, vcc, s6, v3
	v_addc_co_u32_e32 v5, vcc, v5, v4, vcc
	v_subrev_co_u32_e32 v7, vcc, s15, v11
	v_lshlrev_b64 v[3:4], 3, v[7:8]
	v_mov_b32_e32 v7, s5
	v_add_co_u32_e64 v3, s[0:1], s4, v3
	v_addc_co_u32_e64 v4, s[0:1], v7, v4, s[0:1]
	v_mov_b32_e32 v10, v8
	v_cndmask_b32_e32 v4, v4, v5, vcc
	v_cndmask_b32_e32 v3, v3, v6, vcc
	v_lshlrev_b64 v[5:6], 3, v[9:10]
	v_mov_b32_e32 v7, s7
	v_add_co_u32_e32 v10, vcc, s6, v5
	v_addc_co_u32_e32 v12, vcc, v7, v6, vcc
	v_subrev_co_u32_e32 v7, vcc, s15, v9
	v_lshlrev_b64 v[5:6], 3, v[7:8]
	v_mov_b32_e32 v7, s5
	v_add_co_u32_e64 v5, s[0:1], s4, v5
	v_addc_co_u32_e64 v6, s[0:1], v7, v6, s[0:1]
	v_add_u32_e32 v7, v9, v15
	v_lshlrev_b64 v[19:20], 3, v[7:8]
	v_cndmask_b32_e32 v6, v6, v12, vcc
	v_cndmask_b32_e32 v5, v5, v10, vcc
	v_mov_b32_e32 v10, s7
	v_add_co_u32_e32 v12, vcc, s6, v19
	v_addc_co_u32_e32 v10, vcc, v10, v20, vcc
	v_subrev_co_u32_e32 v7, vcc, s15, v7
	v_lshlrev_b64 v[7:8], 3, v[7:8]
	v_mov_b32_e32 v19, s5
	v_add_co_u32_e64 v7, s[0:1], s4, v7
	v_addc_co_u32_e64 v8, s[0:1], v19, v8, s[0:1]
	v_cndmask_b32_e32 v8, v8, v10, vcc
	v_cndmask_b32_e32 v7, v7, v12, vcc
	global_load_dwordx2 v[1:2], v[1:2], off
	s_add_i32 s10, s17, s15
	global_load_dwordx2 v[3:4], v[3:4], off
	s_nop 0
	global_load_dwordx2 v[5:6], v[5:6], off
	s_nop 0
	global_load_dwordx2 v[7:8], v[7:8], off
	s_cbranch_execz .LBB137_14
	s_branch .LBB137_21
.LBB137_13:
                                        ; implicit-def: $vgpr1_vgpr2_vgpr3_vgpr4_vgpr5_vgpr6_vgpr7_vgpr8
                                        ; implicit-def: $sgpr10
.LBB137_14:
	s_add_i32 s10, s17, s15
	s_waitcnt vmcnt(3)
	v_mov_b32_e32 v1, 0
	v_cmp_gt_u32_e32 vcc, s10, v0
	v_mov_b32_e32 v2, v1
	s_waitcnt vmcnt(2)
	v_mov_b32_e32 v3, v1
	v_mov_b32_e32 v4, v1
	s_waitcnt vmcnt(1)
	v_mov_b32_e32 v5, v1
	;; [unrolled: 3-line block ×3, first 2 shown]
	v_mov_b32_e32 v8, v1
	s_and_saveexec_b64 s[2:3], vcc
	s_cbranch_execnz .LBB137_49
; %bb.15:
	s_or_b64 exec, exec, s[2:3]
	v_cmp_gt_u32_e32 vcc, s10, v11
	s_and_saveexec_b64 s[2:3], vcc
	s_cbranch_execnz .LBB137_50
.LBB137_16:
	s_or_b64 exec, exec, s[2:3]
	v_cmp_gt_u32_e32 vcc, s10, v9
	s_and_saveexec_b64 s[2:3], vcc
	s_cbranch_execz .LBB137_18
.LBB137_17:
	v_mov_b32_e32 v10, 0
	v_lshlrev_b64 v[5:6], 3, v[9:10]
	v_mov_b32_e32 v11, s7
	v_add_co_u32_e32 v12, vcc, s6, v5
	v_addc_co_u32_e32 v11, vcc, v11, v6, vcc
	v_subrev_co_u32_e32 v5, vcc, s15, v9
	v_mov_b32_e32 v6, v10
	v_lshlrev_b64 v[5:6], 3, v[5:6]
	v_mov_b32_e32 v10, s5
	v_add_co_u32_e64 v5, s[0:1], s4, v5
	v_addc_co_u32_e64 v6, s[0:1], v10, v6, s[0:1]
	v_cndmask_b32_e32 v6, v6, v11, vcc
	v_cndmask_b32_e32 v5, v5, v12, vcc
	global_load_dwordx2 v[5:6], v[5:6], off
.LBB137_18:
	s_or_b64 exec, exec, s[2:3]
	v_add_u32_e32 v9, v9, v15
	v_cmp_gt_u32_e32 vcc, s10, v9
	s_and_saveexec_b64 s[2:3], vcc
	s_cbranch_execz .LBB137_20
; %bb.19:
	v_mov_b32_e32 v10, 0
	v_lshlrev_b64 v[7:8], 3, v[9:10]
	v_mov_b32_e32 v11, s7
	v_add_co_u32_e32 v12, vcc, s6, v7
	v_addc_co_u32_e32 v11, vcc, v11, v8, vcc
	v_subrev_co_u32_e32 v9, vcc, s15, v9
	v_lshlrev_b64 v[7:8], 3, v[9:10]
	v_mov_b32_e32 v9, s5
	v_add_co_u32_e64 v7, s[0:1], s4, v7
	v_addc_co_u32_e64 v8, s[0:1], v9, v8, s[0:1]
	v_cndmask_b32_e32 v8, v8, v11, vcc
	v_cndmask_b32_e32 v7, v7, v12, vcc
	global_load_dwordx2 v[7:8], v[7:8], off
.LBB137_20:
	s_or_b64 exec, exec, s[2:3]
.LBB137_21:
	v_lshlrev_b32_e32 v11, 2, v0
	v_min_u32_e32 v10, s10, v11
	v_sub_u32_e64 v9, v10, s17 clamp
	v_min_u32_e32 v12, s15, v10
	v_cmp_lt_u32_e32 vcc, v9, v12
	s_waitcnt vmcnt(0) lgkmcnt(0)
	s_barrier
	s_and_saveexec_b64 s[0:1], vcc
	s_cbranch_execz .LBB137_25
; %bb.22:
	v_add_u32_e32 v15, s15, v10
	s_mov_b64 s[2:3], 0
.LBB137_23:                             ; =>This Inner Loop Header: Depth=1
	v_add_u32_e32 v19, v12, v9
	v_lshrrev_b32_e32 v19, 1, v19
	v_xad_u32 v20, v19, -1, v15
	ds_read_u8 v21, v19
	ds_read_u8 v20, v20
	v_add_u32_e32 v22, 1, v19
	s_waitcnt lgkmcnt(0)
	v_cmp_gt_u16_e32 vcc, v21, v20
	v_cndmask_b32_e32 v12, v12, v19, vcc
	v_cndmask_b32_e32 v9, v22, v9, vcc
	v_cmp_ge_u32_e32 vcc, v9, v12
	s_or_b64 s[2:3], vcc, s[2:3]
	s_andn2_b64 exec, exec, s[2:3]
	s_cbranch_execnz .LBB137_23
; %bb.24:
	s_or_b64 exec, exec, s[2:3]
.LBB137_25:
	s_or_b64 exec, exec, s[0:1]
	v_sub_u32_e32 v10, v10, v9
	v_add_u32_e32 v19, s15, v10
	v_cmp_ge_u32_e32 vcc, s15, v9
	v_cmp_ge_u32_e64 s[0:1], s10, v19
	s_or_b64 s[0:1], vcc, s[0:1]
	v_mov_b32_e32 v20, 0
	v_mov_b32_e32 v15, 0
	;; [unrolled: 1-line block ×4, first 2 shown]
	s_and_saveexec_b64 s[6:7], s[0:1]
	s_cbranch_execz .LBB137_31
; %bb.26:
	v_cmp_gt_u32_e32 vcc, s15, v9
                                        ; implicit-def: $vgpr14
	s_and_saveexec_b64 s[0:1], vcc
; %bb.27:
	ds_read_u8 v14, v9
; %bb.28:
	s_or_b64 exec, exec, s[0:1]
	v_cmp_le_u32_e64 s[0:1], s10, v19
	v_cmp_gt_u32_e64 s[2:3], s10, v19
                                        ; implicit-def: $vgpr16
	s_and_saveexec_b64 s[4:5], s[2:3]
; %bb.29:
	ds_read_u8 v16, v19
; %bb.30:
	s_or_b64 exec, exec, s[4:5]
	s_waitcnt lgkmcnt(0)
	v_cmp_le_u16_sdwa s[2:3], v14, v16 src0_sel:BYTE_0 src1_sel:BYTE_0
	s_and_b64 s[2:3], vcc, s[2:3]
	s_or_b64 vcc, s[0:1], s[2:3]
	v_mov_b32_e32 v17, s10
	v_mov_b32_e32 v18, s15
	v_cndmask_b32_e32 v10, v19, v9, vcc
	v_cndmask_b32_e32 v12, v17, v18, vcc
	v_add_u32_e32 v15, 1, v10
	v_add_u32_e32 v12, -1, v12
	v_min_u32_e32 v12, v15, v12
	ds_read_u8 v12, v12
	v_cndmask_b32_e32 v9, v9, v15, vcc
	v_cndmask_b32_e32 v19, v15, v19, vcc
	v_cmp_gt_u32_e64 s[2:3], s15, v9
	v_cmp_le_u32_e64 s[0:1], s10, v19
	s_waitcnt lgkmcnt(0)
	v_cndmask_b32_e32 v20, v12, v16, vcc
	v_cndmask_b32_e32 v21, v14, v12, vcc
	v_cmp_le_u16_sdwa s[4:5], v21, v20 src0_sel:BYTE_0 src1_sel:BYTE_0
	s_and_b64 s[2:3], s[2:3], s[4:5]
	s_or_b64 s[0:1], s[0:1], s[2:3]
	v_cndmask_b32_e64 v12, v19, v9, s[0:1]
	v_cndmask_b32_e64 v15, v17, v18, s[0:1]
	v_add_u32_e32 v22, 1, v12
	v_add_u32_e32 v15, -1, v15
	v_min_u32_e32 v15, v22, v15
	ds_read_u8 v15, v15
	v_cndmask_b32_e64 v9, v9, v22, s[0:1]
	v_cndmask_b32_e64 v19, v22, v19, s[0:1]
	v_cmp_gt_u32_e64 s[4:5], s15, v9
	v_cmp_le_u32_e64 s[2:3], s10, v19
	s_waitcnt lgkmcnt(0)
	v_cndmask_b32_e64 v23, v15, v20, s[0:1]
	v_cndmask_b32_e64 v24, v21, v15, s[0:1]
	v_cmp_le_u16_sdwa s[20:21], v24, v23 src0_sel:BYTE_0 src1_sel:BYTE_0
	s_and_b64 s[4:5], s[4:5], s[20:21]
	s_or_b64 s[2:3], s[2:3], s[4:5]
	v_cndmask_b32_e64 v15, v19, v9, s[2:3]
	v_cndmask_b32_e64 v17, v17, v18, s[2:3]
	v_add_u32_e32 v18, 1, v15
	v_add_u32_e32 v17, -1, v17
	v_min_u32_e32 v17, v18, v17
	ds_read_u8 v22, v17
	v_cndmask_b32_e64 v17, v20, v21, s[0:1]
	v_cndmask_b32_e64 v9, v9, v18, s[2:3]
	v_cndmask_b32_e32 v14, v16, v14, vcc
	v_cndmask_b32_e64 v16, v23, v24, s[2:3]
	s_waitcnt lgkmcnt(0)
	v_cndmask_b32_e64 v21, v22, v23, s[2:3]
	v_cndmask_b32_e64 v22, v24, v22, s[2:3]
	;; [unrolled: 1-line block ×3, first 2 shown]
	v_cmp_gt_u32_e64 s[0:1], s15, v9
	v_cmp_le_u16_sdwa s[2:3], v22, v21 src0_sel:BYTE_0 src1_sel:BYTE_0
	v_cmp_le_u32_e32 vcc, s10, v19
	s_and_b64 s[0:1], s[0:1], s[2:3]
	s_or_b64 vcc, vcc, s[0:1]
	v_cndmask_b32_e32 v20, v19, v9, vcc
	v_cndmask_b32_e32 v18, v21, v22, vcc
.LBB137_31:
	s_or_b64 exec, exec, s[6:7]
	v_mad_u32_u24 v9, v0, 7, v0
	s_barrier
	ds_write2st64_b64 v9, v[1:2], v[3:4] offset1:4
	ds_write2st64_b64 v9, v[5:6], v[7:8] offset0:8 offset1:12
	v_lshlrev_b32_e32 v1, 3, v10
	v_lshlrev_b32_e32 v2, 3, v12
	;; [unrolled: 1-line block ×4, first 2 shown]
	s_waitcnt lgkmcnt(0)
	s_barrier
	ds_read_b64 v[5:6], v1
	ds_read_b64 v[7:8], v2
	;; [unrolled: 1-line block ×4, first 2 shown]
	v_lshrrev_b32_e32 v19, 3, v0
	s_mov_b32 s2, 0xc0c0004
	s_add_u32 s0, s8, s16
	v_and_b32_e32 v9, 28, v19
	v_perm_b32 v10, v14, v17, s2
	v_perm_b32 v12, v16, v18, s2
	s_addc_u32 s1, s9, 0
	v_add_u32_e32 v9, v9, v11
	v_lshl_or_b32 v10, v12, 16, v10
	v_or_b32_e32 v22, 0x100, v0
	v_or_b32_e32 v21, 0x200, v0
	;; [unrolled: 1-line block ×3, first 2 shown]
	s_waitcnt lgkmcnt(0)
	s_barrier
	s_barrier
	ds_write_b32 v9, v10
	v_lshrrev_b32_e32 v15, 5, v22
	v_lshrrev_b32_e32 v16, 5, v21
	v_lshrrev_b32_e32 v17, 5, v20
	v_mov_b32_e32 v10, s1
	v_add_co_u32_e32 v9, vcc, s0, v0
	v_lshrrev_b32_e32 v14, 5, v0
	v_and_b32_e32 v12, 12, v15
	v_and_b32_e32 v18, 20, v16
	;; [unrolled: 1-line block ×3, first 2 shown]
	v_addc_co_u32_e32 v10, vcc, 0, v10, vcc
	s_mov_b32 s17, 0
	v_and_b32_e32 v23, 4, v14
	s_and_b64 vcc, exec, s[18:19]
	v_add_u32_e32 v24, v12, v0
	v_add_u32_e32 v25, v18, v0
	;; [unrolled: 1-line block ×3, first 2 shown]
	v_lshlrev_b32_e32 v18, 3, v11
	s_waitcnt lgkmcnt(0)
	s_cbranch_vccz .LBB137_33
; %bb.32:
	v_add_u32_e32 v11, v23, v0
	s_barrier
	ds_read_u8 v11, v11
	ds_read_u8 v12, v24 offset:256
	ds_read_u8 v27, v25 offset:512
	;; [unrolled: 1-line block ×3, first 2 shown]
	s_lshl_b64 s[0:1], s[16:17], 3
	s_add_u32 s0, s12, s0
	s_waitcnt lgkmcnt(3)
	global_store_byte v[9:10], v11, off
	s_waitcnt lgkmcnt(2)
	global_store_byte v[9:10], v12, off offset:256
	s_waitcnt lgkmcnt(1)
	global_store_byte v[9:10], v27, off offset:512
	;; [unrolled: 2-line block ×3, first 2 shown]
	v_lshl_add_u32 v11, v19, 3, v18
	s_waitcnt vmcnt(0)
	s_barrier
	ds_write2_b64 v11, v[5:6], v[7:8] offset1:1
	ds_write2_b64 v11, v[1:2], v[3:4] offset0:2 offset1:3
	v_lshl_add_u32 v11, v14, 3, v13
	v_lshl_add_u32 v12, v15, 3, v13
	;; [unrolled: 1-line block ×3, first 2 shown]
	s_addc_u32 s1, s13, s1
	s_waitcnt lgkmcnt(0)
	s_barrier
	v_lshl_add_u32 v33, v17, 3, v13
	ds_read_b64 v[27:28], v11
	ds_read_b64 v[29:30], v12 offset:2048
	ds_read_b64 v[31:32], v31 offset:4096
	;; [unrolled: 1-line block ×3, first 2 shown]
	v_mov_b32_e32 v33, s1
	v_add_co_u32_e32 v34, vcc, s0, v13
	v_addc_co_u32_e32 v33, vcc, 0, v33, vcc
	s_waitcnt lgkmcnt(3)
	global_store_dwordx2 v13, v[27:28], s[0:1]
	s_waitcnt lgkmcnt(2)
	global_store_dwordx2 v13, v[29:30], s[0:1] offset:2048
	v_add_co_u32_e32 v27, vcc, 0x1000, v34
	v_addc_co_u32_e32 v28, vcc, 0, v33, vcc
	s_waitcnt lgkmcnt(1)
	global_store_dwordx2 v[27:28], v[31:32], off
	s_mov_b64 s[6:7], -1
	s_cbranch_execz .LBB137_34
	s_branch .LBB137_44
.LBB137_33:
	s_mov_b64 s[6:7], 0
                                        ; implicit-def: $vgpr11_vgpr12
.LBB137_34:
	s_waitcnt vmcnt(0) lgkmcnt(0)
	s_barrier
	ds_read_u8 v24, v24 offset:256
	ds_read_u8 v12, v25 offset:512
	;; [unrolled: 1-line block ×3, first 2 shown]
	s_sub_i32 s6, s14, s16
	v_cmp_gt_u32_e32 vcc, s6, v0
	s_and_saveexec_b64 s[0:1], vcc
	s_cbranch_execnz .LBB137_51
; %bb.35:
	s_or_b64 exec, exec, s[0:1]
	v_cmp_gt_u32_e64 s[0:1], s6, v22
	s_and_saveexec_b64 s[2:3], s[0:1]
	s_cbranch_execnz .LBB137_52
.LBB137_36:
	s_or_b64 exec, exec, s[2:3]
	v_cmp_gt_u32_e64 s[2:3], s6, v21
	s_and_saveexec_b64 s[4:5], s[2:3]
	s_cbranch_execnz .LBB137_53
.LBB137_37:
	s_or_b64 exec, exec, s[4:5]
	v_cmp_gt_u32_e64 s[6:7], s6, v20
	s_and_saveexec_b64 s[4:5], s[6:7]
	s_cbranch_execz .LBB137_39
.LBB137_38:
	s_waitcnt lgkmcnt(0)
	global_store_byte v[9:10], v11, off offset:768
.LBB137_39:
	s_or_b64 exec, exec, s[4:5]
	v_lshl_add_u32 v0, v19, 3, v18
	s_waitcnt vmcnt(0) lgkmcnt(0)
	s_barrier
	ds_write2_b64 v0, v[5:6], v[7:8] offset1:1
	ds_write2_b64 v0, v[1:2], v[3:4] offset0:2 offset1:3
	v_lshl_add_u32 v0, v15, 3, v13
	v_lshl_add_u32 v1, v16, 3, v13
	s_waitcnt lgkmcnt(0)
	s_barrier
	v_lshl_add_u32 v2, v17, 3, v13
	ds_read_b64 v[4:5], v0 offset:2048
	ds_read_b64 v[0:1], v1 offset:4096
	;; [unrolled: 1-line block ×3, first 2 shown]
	s_lshl_b64 s[4:5], s[16:17], 3
	s_add_u32 s4, s12, s4
	s_addc_u32 s5, s13, s5
	v_mov_b32_e32 v3, s5
	v_add_co_u32_e64 v2, s[4:5], s4, v13
	v_addc_co_u32_e64 v3, s[4:5], 0, v3, s[4:5]
	s_and_saveexec_b64 s[4:5], vcc
	s_cbranch_execnz .LBB137_54
; %bb.40:
	s_or_b64 exec, exec, s[4:5]
	s_and_saveexec_b64 s[4:5], s[0:1]
	s_cbranch_execnz .LBB137_55
.LBB137_41:
	s_or_b64 exec, exec, s[4:5]
	s_and_saveexec_b64 s[0:1], s[2:3]
	s_cbranch_execz .LBB137_43
.LBB137_42:
	v_add_co_u32_e32 v2, vcc, 0x1000, v2
	v_addc_co_u32_e32 v3, vcc, 0, v3, vcc
	s_waitcnt lgkmcnt(1)
	global_store_dwordx2 v[2:3], v[0:1], off
.LBB137_43:
	s_or_b64 exec, exec, s[0:1]
.LBB137_44:
	s_and_saveexec_b64 s[0:1], s[6:7]
	s_cbranch_execz .LBB137_46
; %bb.45:
	s_lshl_b64 s[0:1], s[16:17], 3
	s_add_u32 s0, s12, s0
	s_addc_u32 s1, s13, s1
	s_waitcnt lgkmcnt(1)
	v_mov_b32_e32 v0, s1
	v_add_co_u32_e32 v1, vcc, s0, v13
	v_addc_co_u32_e32 v2, vcc, 0, v0, vcc
	v_add_co_u32_e32 v0, vcc, 0x1000, v1
	v_addc_co_u32_e32 v1, vcc, 0, v2, vcc
	s_waitcnt lgkmcnt(0)
	global_store_dwordx2 v[0:1], v[11:12], off offset:2048
.LBB137_46:
	s_endpgm
.LBB137_47:
	v_mov_b32_e32 v1, s25
	v_add_co_u32_e32 v3, vcc, s24, v0
	v_addc_co_u32_e32 v1, vcc, 0, v1, vcc
	v_subrev_co_u32_e32 v2, vcc, s15, v0
	v_mov_b32_e32 v4, s26
	v_add_co_u32_e64 v5, s[0:1], s23, v2
	v_addc_co_u32_e64 v2, s[0:1], 0, v4, s[0:1]
	v_cndmask_b32_e32 v2, v2, v1, vcc
	v_cndmask_b32_e32 v1, v5, v3, vcc
	global_load_ubyte v14, v[1:2], off
	s_or_b64 exec, exec, s[6:7]
	v_cmp_gt_u32_e32 vcc, s20, v11
	s_and_saveexec_b64 s[6:7], vcc
	s_cbranch_execz .LBB137_6
.LBB137_48:
	v_mov_b32_e32 v1, s25
	v_add_co_u32_e32 v3, vcc, s24, v11
	v_addc_co_u32_e32 v1, vcc, 0, v1, vcc
	v_subrev_co_u32_e32 v2, vcc, s15, v11
	v_mov_b32_e32 v4, s26
	v_add_co_u32_e64 v5, s[0:1], s23, v2
	v_addc_co_u32_e64 v2, s[0:1], 0, v4, s[0:1]
	v_cndmask_b32_e32 v2, v2, v1, vcc
	v_cndmask_b32_e32 v1, v5, v3, vcc
	global_load_ubyte v1, v[1:2], off
	s_waitcnt vmcnt(0)
	v_lshlrev_b16_e32 v1, 8, v1
	v_or_b32_e32 v1, v14, v1
	v_and_b32_e32 v14, 0xffff, v1
	s_or_b64 exec, exec, s[6:7]
	v_cmp_gt_u32_e32 vcc, s20, v9
	s_and_saveexec_b64 s[6:7], vcc
	s_cbranch_execnz .LBB137_7
	s_branch .LBB137_8
.LBB137_49:
	v_mov_b32_e32 v2, s7
	v_add_co_u32_e32 v4, vcc, s6, v13
	v_addc_co_u32_e32 v5, vcc, 0, v2, vcc
	v_subrev_co_u32_e32 v2, vcc, s15, v0
	v_mov_b32_e32 v3, v1
	v_lshlrev_b64 v[2:3], 3, v[2:3]
	v_mov_b32_e32 v6, s5
	v_add_co_u32_e64 v2, s[0:1], s4, v2
	v_addc_co_u32_e64 v3, s[0:1], v6, v3, s[0:1]
	v_cndmask_b32_e32 v3, v3, v5, vcc
	v_cndmask_b32_e32 v2, v2, v4, vcc
	global_load_dwordx2 v[19:20], v[2:3], off
	v_mov_b32_e32 v21, v1
	v_mov_b32_e32 v22, v1
	;; [unrolled: 1-line block ×6, first 2 shown]
	s_waitcnt vmcnt(0)
	v_mov_b32_e32 v1, v19
	v_mov_b32_e32 v2, v20
	;; [unrolled: 1-line block ×8, first 2 shown]
	s_or_b64 exec, exec, s[2:3]
	v_cmp_gt_u32_e32 vcc, s10, v11
	s_and_saveexec_b64 s[2:3], vcc
	s_cbranch_execz .LBB137_16
.LBB137_50:
	v_mov_b32_e32 v12, 0
	v_lshlrev_b64 v[3:4], 3, v[11:12]
	v_mov_b32_e32 v10, s7
	v_add_co_u32_e32 v19, vcc, s6, v3
	v_addc_co_u32_e32 v10, vcc, v10, v4, vcc
	v_subrev_co_u32_e32 v11, vcc, s15, v11
	v_lshlrev_b64 v[3:4], 3, v[11:12]
	v_mov_b32_e32 v11, s5
	v_add_co_u32_e64 v3, s[0:1], s4, v3
	v_addc_co_u32_e64 v4, s[0:1], v11, v4, s[0:1]
	v_cndmask_b32_e32 v4, v4, v10, vcc
	v_cndmask_b32_e32 v3, v3, v19, vcc
	global_load_dwordx2 v[3:4], v[3:4], off
	s_or_b64 exec, exec, s[2:3]
	v_cmp_gt_u32_e32 vcc, s10, v9
	s_and_saveexec_b64 s[2:3], vcc
	s_cbranch_execnz .LBB137_17
	s_branch .LBB137_18
.LBB137_51:
	v_add_u32_e32 v0, v23, v0
	ds_read_u8 v0, v0
	s_waitcnt lgkmcnt(0)
	global_store_byte v[9:10], v0, off
	s_or_b64 exec, exec, s[0:1]
	v_cmp_gt_u32_e64 s[0:1], s6, v22
	s_and_saveexec_b64 s[2:3], s[0:1]
	s_cbranch_execz .LBB137_36
.LBB137_52:
	s_waitcnt lgkmcnt(2)
	global_store_byte v[9:10], v24, off offset:256
	s_or_b64 exec, exec, s[2:3]
	v_cmp_gt_u32_e64 s[2:3], s6, v21
	s_and_saveexec_b64 s[4:5], s[2:3]
	s_cbranch_execz .LBB137_37
.LBB137_53:
	s_waitcnt lgkmcnt(1)
	global_store_byte v[9:10], v12, off offset:512
	s_or_b64 exec, exec, s[4:5]
	v_cmp_gt_u32_e64 s[6:7], s6, v20
	s_and_saveexec_b64 s[4:5], s[6:7]
	s_cbranch_execnz .LBB137_38
	s_branch .LBB137_39
.LBB137_54:
	v_lshl_add_u32 v6, v14, 3, v13
	ds_read_b64 v[6:7], v6
	s_waitcnt lgkmcnt(0)
	global_store_dwordx2 v[2:3], v[6:7], off
	s_or_b64 exec, exec, s[4:5]
	s_and_saveexec_b64 s[4:5], s[0:1]
	s_cbranch_execz .LBB137_41
.LBB137_55:
	s_waitcnt lgkmcnt(2)
	global_store_dwordx2 v[2:3], v[4:5], off offset:2048
	s_or_b64 exec, exec, s[4:5]
	s_and_saveexec_b64 s[0:1], s[2:3]
	s_cbranch_execnz .LBB137_42
	s_branch .LBB137_43
	.section	.rodata,"a",@progbits
	.p2align	6, 0x0
	.amdhsa_kernel _ZN7rocprim17ROCPRIM_400000_NS6detail17trampoline_kernelINS0_14default_configENS1_38merge_sort_block_merge_config_selectorIhlEEZZNS1_27merge_sort_block_merge_implIS3_PhN6thrust23THRUST_200600_302600_NS10device_ptrIlEEjNS1_19radix_merge_compareILb0ELb0EhNS0_19identity_decomposerEEEEE10hipError_tT0_T1_T2_jT3_P12ihipStream_tbPNSt15iterator_traitsISG_E10value_typeEPNSM_ISH_E10value_typeEPSI_NS1_7vsmem_tEENKUlT_SG_SH_SI_E_clIS7_S7_PlSB_EESF_SV_SG_SH_SI_EUlSV_E0_NS1_11comp_targetILNS1_3genE2ELNS1_11target_archE906ELNS1_3gpuE6ELNS1_3repE0EEENS1_38merge_mergepath_config_static_selectorELNS0_4arch9wavefront6targetE1EEEvSH_
		.amdhsa_group_segment_fixed_size 8448
		.amdhsa_private_segment_fixed_size 0
		.amdhsa_kernarg_size 320
		.amdhsa_user_sgpr_count 6
		.amdhsa_user_sgpr_private_segment_buffer 1
		.amdhsa_user_sgpr_dispatch_ptr 0
		.amdhsa_user_sgpr_queue_ptr 0
		.amdhsa_user_sgpr_kernarg_segment_ptr 1
		.amdhsa_user_sgpr_dispatch_id 0
		.amdhsa_user_sgpr_flat_scratch_init 0
		.amdhsa_user_sgpr_private_segment_size 0
		.amdhsa_uses_dynamic_stack 0
		.amdhsa_system_sgpr_private_segment_wavefront_offset 0
		.amdhsa_system_sgpr_workgroup_id_x 1
		.amdhsa_system_sgpr_workgroup_id_y 1
		.amdhsa_system_sgpr_workgroup_id_z 1
		.amdhsa_system_sgpr_workgroup_info 0
		.amdhsa_system_vgpr_workitem_id 0
		.amdhsa_next_free_vgpr 35
		.amdhsa_next_free_sgpr 77
		.amdhsa_reserve_vcc 1
		.amdhsa_reserve_flat_scratch 0
		.amdhsa_float_round_mode_32 0
		.amdhsa_float_round_mode_16_64 0
		.amdhsa_float_denorm_mode_32 3
		.amdhsa_float_denorm_mode_16_64 3
		.amdhsa_dx10_clamp 1
		.amdhsa_ieee_mode 1
		.amdhsa_fp16_overflow 0
		.amdhsa_exception_fp_ieee_invalid_op 0
		.amdhsa_exception_fp_denorm_src 0
		.amdhsa_exception_fp_ieee_div_zero 0
		.amdhsa_exception_fp_ieee_overflow 0
		.amdhsa_exception_fp_ieee_underflow 0
		.amdhsa_exception_fp_ieee_inexact 0
		.amdhsa_exception_int_div_zero 0
	.end_amdhsa_kernel
	.section	.text._ZN7rocprim17ROCPRIM_400000_NS6detail17trampoline_kernelINS0_14default_configENS1_38merge_sort_block_merge_config_selectorIhlEEZZNS1_27merge_sort_block_merge_implIS3_PhN6thrust23THRUST_200600_302600_NS10device_ptrIlEEjNS1_19radix_merge_compareILb0ELb0EhNS0_19identity_decomposerEEEEE10hipError_tT0_T1_T2_jT3_P12ihipStream_tbPNSt15iterator_traitsISG_E10value_typeEPNSM_ISH_E10value_typeEPSI_NS1_7vsmem_tEENKUlT_SG_SH_SI_E_clIS7_S7_PlSB_EESF_SV_SG_SH_SI_EUlSV_E0_NS1_11comp_targetILNS1_3genE2ELNS1_11target_archE906ELNS1_3gpuE6ELNS1_3repE0EEENS1_38merge_mergepath_config_static_selectorELNS0_4arch9wavefront6targetE1EEEvSH_,"axG",@progbits,_ZN7rocprim17ROCPRIM_400000_NS6detail17trampoline_kernelINS0_14default_configENS1_38merge_sort_block_merge_config_selectorIhlEEZZNS1_27merge_sort_block_merge_implIS3_PhN6thrust23THRUST_200600_302600_NS10device_ptrIlEEjNS1_19radix_merge_compareILb0ELb0EhNS0_19identity_decomposerEEEEE10hipError_tT0_T1_T2_jT3_P12ihipStream_tbPNSt15iterator_traitsISG_E10value_typeEPNSM_ISH_E10value_typeEPSI_NS1_7vsmem_tEENKUlT_SG_SH_SI_E_clIS7_S7_PlSB_EESF_SV_SG_SH_SI_EUlSV_E0_NS1_11comp_targetILNS1_3genE2ELNS1_11target_archE906ELNS1_3gpuE6ELNS1_3repE0EEENS1_38merge_mergepath_config_static_selectorELNS0_4arch9wavefront6targetE1EEEvSH_,comdat
.Lfunc_end137:
	.size	_ZN7rocprim17ROCPRIM_400000_NS6detail17trampoline_kernelINS0_14default_configENS1_38merge_sort_block_merge_config_selectorIhlEEZZNS1_27merge_sort_block_merge_implIS3_PhN6thrust23THRUST_200600_302600_NS10device_ptrIlEEjNS1_19radix_merge_compareILb0ELb0EhNS0_19identity_decomposerEEEEE10hipError_tT0_T1_T2_jT3_P12ihipStream_tbPNSt15iterator_traitsISG_E10value_typeEPNSM_ISH_E10value_typeEPSI_NS1_7vsmem_tEENKUlT_SG_SH_SI_E_clIS7_S7_PlSB_EESF_SV_SG_SH_SI_EUlSV_E0_NS1_11comp_targetILNS1_3genE2ELNS1_11target_archE906ELNS1_3gpuE6ELNS1_3repE0EEENS1_38merge_mergepath_config_static_selectorELNS0_4arch9wavefront6targetE1EEEvSH_, .Lfunc_end137-_ZN7rocprim17ROCPRIM_400000_NS6detail17trampoline_kernelINS0_14default_configENS1_38merge_sort_block_merge_config_selectorIhlEEZZNS1_27merge_sort_block_merge_implIS3_PhN6thrust23THRUST_200600_302600_NS10device_ptrIlEEjNS1_19radix_merge_compareILb0ELb0EhNS0_19identity_decomposerEEEEE10hipError_tT0_T1_T2_jT3_P12ihipStream_tbPNSt15iterator_traitsISG_E10value_typeEPNSM_ISH_E10value_typeEPSI_NS1_7vsmem_tEENKUlT_SG_SH_SI_E_clIS7_S7_PlSB_EESF_SV_SG_SH_SI_EUlSV_E0_NS1_11comp_targetILNS1_3genE2ELNS1_11target_archE906ELNS1_3gpuE6ELNS1_3repE0EEENS1_38merge_mergepath_config_static_selectorELNS0_4arch9wavefront6targetE1EEEvSH_
                                        ; -- End function
	.set _ZN7rocprim17ROCPRIM_400000_NS6detail17trampoline_kernelINS0_14default_configENS1_38merge_sort_block_merge_config_selectorIhlEEZZNS1_27merge_sort_block_merge_implIS3_PhN6thrust23THRUST_200600_302600_NS10device_ptrIlEEjNS1_19radix_merge_compareILb0ELb0EhNS0_19identity_decomposerEEEEE10hipError_tT0_T1_T2_jT3_P12ihipStream_tbPNSt15iterator_traitsISG_E10value_typeEPNSM_ISH_E10value_typeEPSI_NS1_7vsmem_tEENKUlT_SG_SH_SI_E_clIS7_S7_PlSB_EESF_SV_SG_SH_SI_EUlSV_E0_NS1_11comp_targetILNS1_3genE2ELNS1_11target_archE906ELNS1_3gpuE6ELNS1_3repE0EEENS1_38merge_mergepath_config_static_selectorELNS0_4arch9wavefront6targetE1EEEvSH_.num_vgpr, 35
	.set _ZN7rocprim17ROCPRIM_400000_NS6detail17trampoline_kernelINS0_14default_configENS1_38merge_sort_block_merge_config_selectorIhlEEZZNS1_27merge_sort_block_merge_implIS3_PhN6thrust23THRUST_200600_302600_NS10device_ptrIlEEjNS1_19radix_merge_compareILb0ELb0EhNS0_19identity_decomposerEEEEE10hipError_tT0_T1_T2_jT3_P12ihipStream_tbPNSt15iterator_traitsISG_E10value_typeEPNSM_ISH_E10value_typeEPSI_NS1_7vsmem_tEENKUlT_SG_SH_SI_E_clIS7_S7_PlSB_EESF_SV_SG_SH_SI_EUlSV_E0_NS1_11comp_targetILNS1_3genE2ELNS1_11target_archE906ELNS1_3gpuE6ELNS1_3repE0EEENS1_38merge_mergepath_config_static_selectorELNS0_4arch9wavefront6targetE1EEEvSH_.num_agpr, 0
	.set _ZN7rocprim17ROCPRIM_400000_NS6detail17trampoline_kernelINS0_14default_configENS1_38merge_sort_block_merge_config_selectorIhlEEZZNS1_27merge_sort_block_merge_implIS3_PhN6thrust23THRUST_200600_302600_NS10device_ptrIlEEjNS1_19radix_merge_compareILb0ELb0EhNS0_19identity_decomposerEEEEE10hipError_tT0_T1_T2_jT3_P12ihipStream_tbPNSt15iterator_traitsISG_E10value_typeEPNSM_ISH_E10value_typeEPSI_NS1_7vsmem_tEENKUlT_SG_SH_SI_E_clIS7_S7_PlSB_EESF_SV_SG_SH_SI_EUlSV_E0_NS1_11comp_targetILNS1_3genE2ELNS1_11target_archE906ELNS1_3gpuE6ELNS1_3repE0EEENS1_38merge_mergepath_config_static_selectorELNS0_4arch9wavefront6targetE1EEEvSH_.numbered_sgpr, 29
	.set _ZN7rocprim17ROCPRIM_400000_NS6detail17trampoline_kernelINS0_14default_configENS1_38merge_sort_block_merge_config_selectorIhlEEZZNS1_27merge_sort_block_merge_implIS3_PhN6thrust23THRUST_200600_302600_NS10device_ptrIlEEjNS1_19radix_merge_compareILb0ELb0EhNS0_19identity_decomposerEEEEE10hipError_tT0_T1_T2_jT3_P12ihipStream_tbPNSt15iterator_traitsISG_E10value_typeEPNSM_ISH_E10value_typeEPSI_NS1_7vsmem_tEENKUlT_SG_SH_SI_E_clIS7_S7_PlSB_EESF_SV_SG_SH_SI_EUlSV_E0_NS1_11comp_targetILNS1_3genE2ELNS1_11target_archE906ELNS1_3gpuE6ELNS1_3repE0EEENS1_38merge_mergepath_config_static_selectorELNS0_4arch9wavefront6targetE1EEEvSH_.num_named_barrier, 0
	.set _ZN7rocprim17ROCPRIM_400000_NS6detail17trampoline_kernelINS0_14default_configENS1_38merge_sort_block_merge_config_selectorIhlEEZZNS1_27merge_sort_block_merge_implIS3_PhN6thrust23THRUST_200600_302600_NS10device_ptrIlEEjNS1_19radix_merge_compareILb0ELb0EhNS0_19identity_decomposerEEEEE10hipError_tT0_T1_T2_jT3_P12ihipStream_tbPNSt15iterator_traitsISG_E10value_typeEPNSM_ISH_E10value_typeEPSI_NS1_7vsmem_tEENKUlT_SG_SH_SI_E_clIS7_S7_PlSB_EESF_SV_SG_SH_SI_EUlSV_E0_NS1_11comp_targetILNS1_3genE2ELNS1_11target_archE906ELNS1_3gpuE6ELNS1_3repE0EEENS1_38merge_mergepath_config_static_selectorELNS0_4arch9wavefront6targetE1EEEvSH_.private_seg_size, 0
	.set _ZN7rocprim17ROCPRIM_400000_NS6detail17trampoline_kernelINS0_14default_configENS1_38merge_sort_block_merge_config_selectorIhlEEZZNS1_27merge_sort_block_merge_implIS3_PhN6thrust23THRUST_200600_302600_NS10device_ptrIlEEjNS1_19radix_merge_compareILb0ELb0EhNS0_19identity_decomposerEEEEE10hipError_tT0_T1_T2_jT3_P12ihipStream_tbPNSt15iterator_traitsISG_E10value_typeEPNSM_ISH_E10value_typeEPSI_NS1_7vsmem_tEENKUlT_SG_SH_SI_E_clIS7_S7_PlSB_EESF_SV_SG_SH_SI_EUlSV_E0_NS1_11comp_targetILNS1_3genE2ELNS1_11target_archE906ELNS1_3gpuE6ELNS1_3repE0EEENS1_38merge_mergepath_config_static_selectorELNS0_4arch9wavefront6targetE1EEEvSH_.uses_vcc, 1
	.set _ZN7rocprim17ROCPRIM_400000_NS6detail17trampoline_kernelINS0_14default_configENS1_38merge_sort_block_merge_config_selectorIhlEEZZNS1_27merge_sort_block_merge_implIS3_PhN6thrust23THRUST_200600_302600_NS10device_ptrIlEEjNS1_19radix_merge_compareILb0ELb0EhNS0_19identity_decomposerEEEEE10hipError_tT0_T1_T2_jT3_P12ihipStream_tbPNSt15iterator_traitsISG_E10value_typeEPNSM_ISH_E10value_typeEPSI_NS1_7vsmem_tEENKUlT_SG_SH_SI_E_clIS7_S7_PlSB_EESF_SV_SG_SH_SI_EUlSV_E0_NS1_11comp_targetILNS1_3genE2ELNS1_11target_archE906ELNS1_3gpuE6ELNS1_3repE0EEENS1_38merge_mergepath_config_static_selectorELNS0_4arch9wavefront6targetE1EEEvSH_.uses_flat_scratch, 0
	.set _ZN7rocprim17ROCPRIM_400000_NS6detail17trampoline_kernelINS0_14default_configENS1_38merge_sort_block_merge_config_selectorIhlEEZZNS1_27merge_sort_block_merge_implIS3_PhN6thrust23THRUST_200600_302600_NS10device_ptrIlEEjNS1_19radix_merge_compareILb0ELb0EhNS0_19identity_decomposerEEEEE10hipError_tT0_T1_T2_jT3_P12ihipStream_tbPNSt15iterator_traitsISG_E10value_typeEPNSM_ISH_E10value_typeEPSI_NS1_7vsmem_tEENKUlT_SG_SH_SI_E_clIS7_S7_PlSB_EESF_SV_SG_SH_SI_EUlSV_E0_NS1_11comp_targetILNS1_3genE2ELNS1_11target_archE906ELNS1_3gpuE6ELNS1_3repE0EEENS1_38merge_mergepath_config_static_selectorELNS0_4arch9wavefront6targetE1EEEvSH_.has_dyn_sized_stack, 0
	.set _ZN7rocprim17ROCPRIM_400000_NS6detail17trampoline_kernelINS0_14default_configENS1_38merge_sort_block_merge_config_selectorIhlEEZZNS1_27merge_sort_block_merge_implIS3_PhN6thrust23THRUST_200600_302600_NS10device_ptrIlEEjNS1_19radix_merge_compareILb0ELb0EhNS0_19identity_decomposerEEEEE10hipError_tT0_T1_T2_jT3_P12ihipStream_tbPNSt15iterator_traitsISG_E10value_typeEPNSM_ISH_E10value_typeEPSI_NS1_7vsmem_tEENKUlT_SG_SH_SI_E_clIS7_S7_PlSB_EESF_SV_SG_SH_SI_EUlSV_E0_NS1_11comp_targetILNS1_3genE2ELNS1_11target_archE906ELNS1_3gpuE6ELNS1_3repE0EEENS1_38merge_mergepath_config_static_selectorELNS0_4arch9wavefront6targetE1EEEvSH_.has_recursion, 0
	.set _ZN7rocprim17ROCPRIM_400000_NS6detail17trampoline_kernelINS0_14default_configENS1_38merge_sort_block_merge_config_selectorIhlEEZZNS1_27merge_sort_block_merge_implIS3_PhN6thrust23THRUST_200600_302600_NS10device_ptrIlEEjNS1_19radix_merge_compareILb0ELb0EhNS0_19identity_decomposerEEEEE10hipError_tT0_T1_T2_jT3_P12ihipStream_tbPNSt15iterator_traitsISG_E10value_typeEPNSM_ISH_E10value_typeEPSI_NS1_7vsmem_tEENKUlT_SG_SH_SI_E_clIS7_S7_PlSB_EESF_SV_SG_SH_SI_EUlSV_E0_NS1_11comp_targetILNS1_3genE2ELNS1_11target_archE906ELNS1_3gpuE6ELNS1_3repE0EEENS1_38merge_mergepath_config_static_selectorELNS0_4arch9wavefront6targetE1EEEvSH_.has_indirect_call, 0
	.section	.AMDGPU.csdata,"",@progbits
; Kernel info:
; codeLenInByte = 3456
; TotalNumSgprs: 33
; NumVgprs: 35
; ScratchSize: 0
; MemoryBound: 0
; FloatMode: 240
; IeeeMode: 1
; LDSByteSize: 8448 bytes/workgroup (compile time only)
; SGPRBlocks: 10
; VGPRBlocks: 8
; NumSGPRsForWavesPerEU: 81
; NumVGPRsForWavesPerEU: 35
; Occupancy: 7
; WaveLimiterHint : 1
; COMPUTE_PGM_RSRC2:SCRATCH_EN: 0
; COMPUTE_PGM_RSRC2:USER_SGPR: 6
; COMPUTE_PGM_RSRC2:TRAP_HANDLER: 0
; COMPUTE_PGM_RSRC2:TGID_X_EN: 1
; COMPUTE_PGM_RSRC2:TGID_Y_EN: 1
; COMPUTE_PGM_RSRC2:TGID_Z_EN: 1
; COMPUTE_PGM_RSRC2:TIDIG_COMP_CNT: 0
	.section	.text._ZN7rocprim17ROCPRIM_400000_NS6detail17trampoline_kernelINS0_14default_configENS1_38merge_sort_block_merge_config_selectorIhlEEZZNS1_27merge_sort_block_merge_implIS3_PhN6thrust23THRUST_200600_302600_NS10device_ptrIlEEjNS1_19radix_merge_compareILb0ELb0EhNS0_19identity_decomposerEEEEE10hipError_tT0_T1_T2_jT3_P12ihipStream_tbPNSt15iterator_traitsISG_E10value_typeEPNSM_ISH_E10value_typeEPSI_NS1_7vsmem_tEENKUlT_SG_SH_SI_E_clIS7_S7_PlSB_EESF_SV_SG_SH_SI_EUlSV_E0_NS1_11comp_targetILNS1_3genE9ELNS1_11target_archE1100ELNS1_3gpuE3ELNS1_3repE0EEENS1_38merge_mergepath_config_static_selectorELNS0_4arch9wavefront6targetE1EEEvSH_,"axG",@progbits,_ZN7rocprim17ROCPRIM_400000_NS6detail17trampoline_kernelINS0_14default_configENS1_38merge_sort_block_merge_config_selectorIhlEEZZNS1_27merge_sort_block_merge_implIS3_PhN6thrust23THRUST_200600_302600_NS10device_ptrIlEEjNS1_19radix_merge_compareILb0ELb0EhNS0_19identity_decomposerEEEEE10hipError_tT0_T1_T2_jT3_P12ihipStream_tbPNSt15iterator_traitsISG_E10value_typeEPNSM_ISH_E10value_typeEPSI_NS1_7vsmem_tEENKUlT_SG_SH_SI_E_clIS7_S7_PlSB_EESF_SV_SG_SH_SI_EUlSV_E0_NS1_11comp_targetILNS1_3genE9ELNS1_11target_archE1100ELNS1_3gpuE3ELNS1_3repE0EEENS1_38merge_mergepath_config_static_selectorELNS0_4arch9wavefront6targetE1EEEvSH_,comdat
	.protected	_ZN7rocprim17ROCPRIM_400000_NS6detail17trampoline_kernelINS0_14default_configENS1_38merge_sort_block_merge_config_selectorIhlEEZZNS1_27merge_sort_block_merge_implIS3_PhN6thrust23THRUST_200600_302600_NS10device_ptrIlEEjNS1_19radix_merge_compareILb0ELb0EhNS0_19identity_decomposerEEEEE10hipError_tT0_T1_T2_jT3_P12ihipStream_tbPNSt15iterator_traitsISG_E10value_typeEPNSM_ISH_E10value_typeEPSI_NS1_7vsmem_tEENKUlT_SG_SH_SI_E_clIS7_S7_PlSB_EESF_SV_SG_SH_SI_EUlSV_E0_NS1_11comp_targetILNS1_3genE9ELNS1_11target_archE1100ELNS1_3gpuE3ELNS1_3repE0EEENS1_38merge_mergepath_config_static_selectorELNS0_4arch9wavefront6targetE1EEEvSH_ ; -- Begin function _ZN7rocprim17ROCPRIM_400000_NS6detail17trampoline_kernelINS0_14default_configENS1_38merge_sort_block_merge_config_selectorIhlEEZZNS1_27merge_sort_block_merge_implIS3_PhN6thrust23THRUST_200600_302600_NS10device_ptrIlEEjNS1_19radix_merge_compareILb0ELb0EhNS0_19identity_decomposerEEEEE10hipError_tT0_T1_T2_jT3_P12ihipStream_tbPNSt15iterator_traitsISG_E10value_typeEPNSM_ISH_E10value_typeEPSI_NS1_7vsmem_tEENKUlT_SG_SH_SI_E_clIS7_S7_PlSB_EESF_SV_SG_SH_SI_EUlSV_E0_NS1_11comp_targetILNS1_3genE9ELNS1_11target_archE1100ELNS1_3gpuE3ELNS1_3repE0EEENS1_38merge_mergepath_config_static_selectorELNS0_4arch9wavefront6targetE1EEEvSH_
	.globl	_ZN7rocprim17ROCPRIM_400000_NS6detail17trampoline_kernelINS0_14default_configENS1_38merge_sort_block_merge_config_selectorIhlEEZZNS1_27merge_sort_block_merge_implIS3_PhN6thrust23THRUST_200600_302600_NS10device_ptrIlEEjNS1_19radix_merge_compareILb0ELb0EhNS0_19identity_decomposerEEEEE10hipError_tT0_T1_T2_jT3_P12ihipStream_tbPNSt15iterator_traitsISG_E10value_typeEPNSM_ISH_E10value_typeEPSI_NS1_7vsmem_tEENKUlT_SG_SH_SI_E_clIS7_S7_PlSB_EESF_SV_SG_SH_SI_EUlSV_E0_NS1_11comp_targetILNS1_3genE9ELNS1_11target_archE1100ELNS1_3gpuE3ELNS1_3repE0EEENS1_38merge_mergepath_config_static_selectorELNS0_4arch9wavefront6targetE1EEEvSH_
	.p2align	8
	.type	_ZN7rocprim17ROCPRIM_400000_NS6detail17trampoline_kernelINS0_14default_configENS1_38merge_sort_block_merge_config_selectorIhlEEZZNS1_27merge_sort_block_merge_implIS3_PhN6thrust23THRUST_200600_302600_NS10device_ptrIlEEjNS1_19radix_merge_compareILb0ELb0EhNS0_19identity_decomposerEEEEE10hipError_tT0_T1_T2_jT3_P12ihipStream_tbPNSt15iterator_traitsISG_E10value_typeEPNSM_ISH_E10value_typeEPSI_NS1_7vsmem_tEENKUlT_SG_SH_SI_E_clIS7_S7_PlSB_EESF_SV_SG_SH_SI_EUlSV_E0_NS1_11comp_targetILNS1_3genE9ELNS1_11target_archE1100ELNS1_3gpuE3ELNS1_3repE0EEENS1_38merge_mergepath_config_static_selectorELNS0_4arch9wavefront6targetE1EEEvSH_,@function
_ZN7rocprim17ROCPRIM_400000_NS6detail17trampoline_kernelINS0_14default_configENS1_38merge_sort_block_merge_config_selectorIhlEEZZNS1_27merge_sort_block_merge_implIS3_PhN6thrust23THRUST_200600_302600_NS10device_ptrIlEEjNS1_19radix_merge_compareILb0ELb0EhNS0_19identity_decomposerEEEEE10hipError_tT0_T1_T2_jT3_P12ihipStream_tbPNSt15iterator_traitsISG_E10value_typeEPNSM_ISH_E10value_typeEPSI_NS1_7vsmem_tEENKUlT_SG_SH_SI_E_clIS7_S7_PlSB_EESF_SV_SG_SH_SI_EUlSV_E0_NS1_11comp_targetILNS1_3genE9ELNS1_11target_archE1100ELNS1_3gpuE3ELNS1_3repE0EEENS1_38merge_mergepath_config_static_selectorELNS0_4arch9wavefront6targetE1EEEvSH_: ; @_ZN7rocprim17ROCPRIM_400000_NS6detail17trampoline_kernelINS0_14default_configENS1_38merge_sort_block_merge_config_selectorIhlEEZZNS1_27merge_sort_block_merge_implIS3_PhN6thrust23THRUST_200600_302600_NS10device_ptrIlEEjNS1_19radix_merge_compareILb0ELb0EhNS0_19identity_decomposerEEEEE10hipError_tT0_T1_T2_jT3_P12ihipStream_tbPNSt15iterator_traitsISG_E10value_typeEPNSM_ISH_E10value_typeEPSI_NS1_7vsmem_tEENKUlT_SG_SH_SI_E_clIS7_S7_PlSB_EESF_SV_SG_SH_SI_EUlSV_E0_NS1_11comp_targetILNS1_3genE9ELNS1_11target_archE1100ELNS1_3gpuE3ELNS1_3repE0EEENS1_38merge_mergepath_config_static_selectorELNS0_4arch9wavefront6targetE1EEEvSH_
; %bb.0:
	.section	.rodata,"a",@progbits
	.p2align	6, 0x0
	.amdhsa_kernel _ZN7rocprim17ROCPRIM_400000_NS6detail17trampoline_kernelINS0_14default_configENS1_38merge_sort_block_merge_config_selectorIhlEEZZNS1_27merge_sort_block_merge_implIS3_PhN6thrust23THRUST_200600_302600_NS10device_ptrIlEEjNS1_19radix_merge_compareILb0ELb0EhNS0_19identity_decomposerEEEEE10hipError_tT0_T1_T2_jT3_P12ihipStream_tbPNSt15iterator_traitsISG_E10value_typeEPNSM_ISH_E10value_typeEPSI_NS1_7vsmem_tEENKUlT_SG_SH_SI_E_clIS7_S7_PlSB_EESF_SV_SG_SH_SI_EUlSV_E0_NS1_11comp_targetILNS1_3genE9ELNS1_11target_archE1100ELNS1_3gpuE3ELNS1_3repE0EEENS1_38merge_mergepath_config_static_selectorELNS0_4arch9wavefront6targetE1EEEvSH_
		.amdhsa_group_segment_fixed_size 0
		.amdhsa_private_segment_fixed_size 0
		.amdhsa_kernarg_size 64
		.amdhsa_user_sgpr_count 6
		.amdhsa_user_sgpr_private_segment_buffer 1
		.amdhsa_user_sgpr_dispatch_ptr 0
		.amdhsa_user_sgpr_queue_ptr 0
		.amdhsa_user_sgpr_kernarg_segment_ptr 1
		.amdhsa_user_sgpr_dispatch_id 0
		.amdhsa_user_sgpr_flat_scratch_init 0
		.amdhsa_user_sgpr_private_segment_size 0
		.amdhsa_uses_dynamic_stack 0
		.amdhsa_system_sgpr_private_segment_wavefront_offset 0
		.amdhsa_system_sgpr_workgroup_id_x 1
		.amdhsa_system_sgpr_workgroup_id_y 0
		.amdhsa_system_sgpr_workgroup_id_z 0
		.amdhsa_system_sgpr_workgroup_info 0
		.amdhsa_system_vgpr_workitem_id 0
		.amdhsa_next_free_vgpr 1
		.amdhsa_next_free_sgpr 0
		.amdhsa_reserve_vcc 0
		.amdhsa_reserve_flat_scratch 0
		.amdhsa_float_round_mode_32 0
		.amdhsa_float_round_mode_16_64 0
		.amdhsa_float_denorm_mode_32 3
		.amdhsa_float_denorm_mode_16_64 3
		.amdhsa_dx10_clamp 1
		.amdhsa_ieee_mode 1
		.amdhsa_fp16_overflow 0
		.amdhsa_exception_fp_ieee_invalid_op 0
		.amdhsa_exception_fp_denorm_src 0
		.amdhsa_exception_fp_ieee_div_zero 0
		.amdhsa_exception_fp_ieee_overflow 0
		.amdhsa_exception_fp_ieee_underflow 0
		.amdhsa_exception_fp_ieee_inexact 0
		.amdhsa_exception_int_div_zero 0
	.end_amdhsa_kernel
	.section	.text._ZN7rocprim17ROCPRIM_400000_NS6detail17trampoline_kernelINS0_14default_configENS1_38merge_sort_block_merge_config_selectorIhlEEZZNS1_27merge_sort_block_merge_implIS3_PhN6thrust23THRUST_200600_302600_NS10device_ptrIlEEjNS1_19radix_merge_compareILb0ELb0EhNS0_19identity_decomposerEEEEE10hipError_tT0_T1_T2_jT3_P12ihipStream_tbPNSt15iterator_traitsISG_E10value_typeEPNSM_ISH_E10value_typeEPSI_NS1_7vsmem_tEENKUlT_SG_SH_SI_E_clIS7_S7_PlSB_EESF_SV_SG_SH_SI_EUlSV_E0_NS1_11comp_targetILNS1_3genE9ELNS1_11target_archE1100ELNS1_3gpuE3ELNS1_3repE0EEENS1_38merge_mergepath_config_static_selectorELNS0_4arch9wavefront6targetE1EEEvSH_,"axG",@progbits,_ZN7rocprim17ROCPRIM_400000_NS6detail17trampoline_kernelINS0_14default_configENS1_38merge_sort_block_merge_config_selectorIhlEEZZNS1_27merge_sort_block_merge_implIS3_PhN6thrust23THRUST_200600_302600_NS10device_ptrIlEEjNS1_19radix_merge_compareILb0ELb0EhNS0_19identity_decomposerEEEEE10hipError_tT0_T1_T2_jT3_P12ihipStream_tbPNSt15iterator_traitsISG_E10value_typeEPNSM_ISH_E10value_typeEPSI_NS1_7vsmem_tEENKUlT_SG_SH_SI_E_clIS7_S7_PlSB_EESF_SV_SG_SH_SI_EUlSV_E0_NS1_11comp_targetILNS1_3genE9ELNS1_11target_archE1100ELNS1_3gpuE3ELNS1_3repE0EEENS1_38merge_mergepath_config_static_selectorELNS0_4arch9wavefront6targetE1EEEvSH_,comdat
.Lfunc_end138:
	.size	_ZN7rocprim17ROCPRIM_400000_NS6detail17trampoline_kernelINS0_14default_configENS1_38merge_sort_block_merge_config_selectorIhlEEZZNS1_27merge_sort_block_merge_implIS3_PhN6thrust23THRUST_200600_302600_NS10device_ptrIlEEjNS1_19radix_merge_compareILb0ELb0EhNS0_19identity_decomposerEEEEE10hipError_tT0_T1_T2_jT3_P12ihipStream_tbPNSt15iterator_traitsISG_E10value_typeEPNSM_ISH_E10value_typeEPSI_NS1_7vsmem_tEENKUlT_SG_SH_SI_E_clIS7_S7_PlSB_EESF_SV_SG_SH_SI_EUlSV_E0_NS1_11comp_targetILNS1_3genE9ELNS1_11target_archE1100ELNS1_3gpuE3ELNS1_3repE0EEENS1_38merge_mergepath_config_static_selectorELNS0_4arch9wavefront6targetE1EEEvSH_, .Lfunc_end138-_ZN7rocprim17ROCPRIM_400000_NS6detail17trampoline_kernelINS0_14default_configENS1_38merge_sort_block_merge_config_selectorIhlEEZZNS1_27merge_sort_block_merge_implIS3_PhN6thrust23THRUST_200600_302600_NS10device_ptrIlEEjNS1_19radix_merge_compareILb0ELb0EhNS0_19identity_decomposerEEEEE10hipError_tT0_T1_T2_jT3_P12ihipStream_tbPNSt15iterator_traitsISG_E10value_typeEPNSM_ISH_E10value_typeEPSI_NS1_7vsmem_tEENKUlT_SG_SH_SI_E_clIS7_S7_PlSB_EESF_SV_SG_SH_SI_EUlSV_E0_NS1_11comp_targetILNS1_3genE9ELNS1_11target_archE1100ELNS1_3gpuE3ELNS1_3repE0EEENS1_38merge_mergepath_config_static_selectorELNS0_4arch9wavefront6targetE1EEEvSH_
                                        ; -- End function
	.set _ZN7rocprim17ROCPRIM_400000_NS6detail17trampoline_kernelINS0_14default_configENS1_38merge_sort_block_merge_config_selectorIhlEEZZNS1_27merge_sort_block_merge_implIS3_PhN6thrust23THRUST_200600_302600_NS10device_ptrIlEEjNS1_19radix_merge_compareILb0ELb0EhNS0_19identity_decomposerEEEEE10hipError_tT0_T1_T2_jT3_P12ihipStream_tbPNSt15iterator_traitsISG_E10value_typeEPNSM_ISH_E10value_typeEPSI_NS1_7vsmem_tEENKUlT_SG_SH_SI_E_clIS7_S7_PlSB_EESF_SV_SG_SH_SI_EUlSV_E0_NS1_11comp_targetILNS1_3genE9ELNS1_11target_archE1100ELNS1_3gpuE3ELNS1_3repE0EEENS1_38merge_mergepath_config_static_selectorELNS0_4arch9wavefront6targetE1EEEvSH_.num_vgpr, 0
	.set _ZN7rocprim17ROCPRIM_400000_NS6detail17trampoline_kernelINS0_14default_configENS1_38merge_sort_block_merge_config_selectorIhlEEZZNS1_27merge_sort_block_merge_implIS3_PhN6thrust23THRUST_200600_302600_NS10device_ptrIlEEjNS1_19radix_merge_compareILb0ELb0EhNS0_19identity_decomposerEEEEE10hipError_tT0_T1_T2_jT3_P12ihipStream_tbPNSt15iterator_traitsISG_E10value_typeEPNSM_ISH_E10value_typeEPSI_NS1_7vsmem_tEENKUlT_SG_SH_SI_E_clIS7_S7_PlSB_EESF_SV_SG_SH_SI_EUlSV_E0_NS1_11comp_targetILNS1_3genE9ELNS1_11target_archE1100ELNS1_3gpuE3ELNS1_3repE0EEENS1_38merge_mergepath_config_static_selectorELNS0_4arch9wavefront6targetE1EEEvSH_.num_agpr, 0
	.set _ZN7rocprim17ROCPRIM_400000_NS6detail17trampoline_kernelINS0_14default_configENS1_38merge_sort_block_merge_config_selectorIhlEEZZNS1_27merge_sort_block_merge_implIS3_PhN6thrust23THRUST_200600_302600_NS10device_ptrIlEEjNS1_19radix_merge_compareILb0ELb0EhNS0_19identity_decomposerEEEEE10hipError_tT0_T1_T2_jT3_P12ihipStream_tbPNSt15iterator_traitsISG_E10value_typeEPNSM_ISH_E10value_typeEPSI_NS1_7vsmem_tEENKUlT_SG_SH_SI_E_clIS7_S7_PlSB_EESF_SV_SG_SH_SI_EUlSV_E0_NS1_11comp_targetILNS1_3genE9ELNS1_11target_archE1100ELNS1_3gpuE3ELNS1_3repE0EEENS1_38merge_mergepath_config_static_selectorELNS0_4arch9wavefront6targetE1EEEvSH_.numbered_sgpr, 0
	.set _ZN7rocprim17ROCPRIM_400000_NS6detail17trampoline_kernelINS0_14default_configENS1_38merge_sort_block_merge_config_selectorIhlEEZZNS1_27merge_sort_block_merge_implIS3_PhN6thrust23THRUST_200600_302600_NS10device_ptrIlEEjNS1_19radix_merge_compareILb0ELb0EhNS0_19identity_decomposerEEEEE10hipError_tT0_T1_T2_jT3_P12ihipStream_tbPNSt15iterator_traitsISG_E10value_typeEPNSM_ISH_E10value_typeEPSI_NS1_7vsmem_tEENKUlT_SG_SH_SI_E_clIS7_S7_PlSB_EESF_SV_SG_SH_SI_EUlSV_E0_NS1_11comp_targetILNS1_3genE9ELNS1_11target_archE1100ELNS1_3gpuE3ELNS1_3repE0EEENS1_38merge_mergepath_config_static_selectorELNS0_4arch9wavefront6targetE1EEEvSH_.num_named_barrier, 0
	.set _ZN7rocprim17ROCPRIM_400000_NS6detail17trampoline_kernelINS0_14default_configENS1_38merge_sort_block_merge_config_selectorIhlEEZZNS1_27merge_sort_block_merge_implIS3_PhN6thrust23THRUST_200600_302600_NS10device_ptrIlEEjNS1_19radix_merge_compareILb0ELb0EhNS0_19identity_decomposerEEEEE10hipError_tT0_T1_T2_jT3_P12ihipStream_tbPNSt15iterator_traitsISG_E10value_typeEPNSM_ISH_E10value_typeEPSI_NS1_7vsmem_tEENKUlT_SG_SH_SI_E_clIS7_S7_PlSB_EESF_SV_SG_SH_SI_EUlSV_E0_NS1_11comp_targetILNS1_3genE9ELNS1_11target_archE1100ELNS1_3gpuE3ELNS1_3repE0EEENS1_38merge_mergepath_config_static_selectorELNS0_4arch9wavefront6targetE1EEEvSH_.private_seg_size, 0
	.set _ZN7rocprim17ROCPRIM_400000_NS6detail17trampoline_kernelINS0_14default_configENS1_38merge_sort_block_merge_config_selectorIhlEEZZNS1_27merge_sort_block_merge_implIS3_PhN6thrust23THRUST_200600_302600_NS10device_ptrIlEEjNS1_19radix_merge_compareILb0ELb0EhNS0_19identity_decomposerEEEEE10hipError_tT0_T1_T2_jT3_P12ihipStream_tbPNSt15iterator_traitsISG_E10value_typeEPNSM_ISH_E10value_typeEPSI_NS1_7vsmem_tEENKUlT_SG_SH_SI_E_clIS7_S7_PlSB_EESF_SV_SG_SH_SI_EUlSV_E0_NS1_11comp_targetILNS1_3genE9ELNS1_11target_archE1100ELNS1_3gpuE3ELNS1_3repE0EEENS1_38merge_mergepath_config_static_selectorELNS0_4arch9wavefront6targetE1EEEvSH_.uses_vcc, 0
	.set _ZN7rocprim17ROCPRIM_400000_NS6detail17trampoline_kernelINS0_14default_configENS1_38merge_sort_block_merge_config_selectorIhlEEZZNS1_27merge_sort_block_merge_implIS3_PhN6thrust23THRUST_200600_302600_NS10device_ptrIlEEjNS1_19radix_merge_compareILb0ELb0EhNS0_19identity_decomposerEEEEE10hipError_tT0_T1_T2_jT3_P12ihipStream_tbPNSt15iterator_traitsISG_E10value_typeEPNSM_ISH_E10value_typeEPSI_NS1_7vsmem_tEENKUlT_SG_SH_SI_E_clIS7_S7_PlSB_EESF_SV_SG_SH_SI_EUlSV_E0_NS1_11comp_targetILNS1_3genE9ELNS1_11target_archE1100ELNS1_3gpuE3ELNS1_3repE0EEENS1_38merge_mergepath_config_static_selectorELNS0_4arch9wavefront6targetE1EEEvSH_.uses_flat_scratch, 0
	.set _ZN7rocprim17ROCPRIM_400000_NS6detail17trampoline_kernelINS0_14default_configENS1_38merge_sort_block_merge_config_selectorIhlEEZZNS1_27merge_sort_block_merge_implIS3_PhN6thrust23THRUST_200600_302600_NS10device_ptrIlEEjNS1_19radix_merge_compareILb0ELb0EhNS0_19identity_decomposerEEEEE10hipError_tT0_T1_T2_jT3_P12ihipStream_tbPNSt15iterator_traitsISG_E10value_typeEPNSM_ISH_E10value_typeEPSI_NS1_7vsmem_tEENKUlT_SG_SH_SI_E_clIS7_S7_PlSB_EESF_SV_SG_SH_SI_EUlSV_E0_NS1_11comp_targetILNS1_3genE9ELNS1_11target_archE1100ELNS1_3gpuE3ELNS1_3repE0EEENS1_38merge_mergepath_config_static_selectorELNS0_4arch9wavefront6targetE1EEEvSH_.has_dyn_sized_stack, 0
	.set _ZN7rocprim17ROCPRIM_400000_NS6detail17trampoline_kernelINS0_14default_configENS1_38merge_sort_block_merge_config_selectorIhlEEZZNS1_27merge_sort_block_merge_implIS3_PhN6thrust23THRUST_200600_302600_NS10device_ptrIlEEjNS1_19radix_merge_compareILb0ELb0EhNS0_19identity_decomposerEEEEE10hipError_tT0_T1_T2_jT3_P12ihipStream_tbPNSt15iterator_traitsISG_E10value_typeEPNSM_ISH_E10value_typeEPSI_NS1_7vsmem_tEENKUlT_SG_SH_SI_E_clIS7_S7_PlSB_EESF_SV_SG_SH_SI_EUlSV_E0_NS1_11comp_targetILNS1_3genE9ELNS1_11target_archE1100ELNS1_3gpuE3ELNS1_3repE0EEENS1_38merge_mergepath_config_static_selectorELNS0_4arch9wavefront6targetE1EEEvSH_.has_recursion, 0
	.set _ZN7rocprim17ROCPRIM_400000_NS6detail17trampoline_kernelINS0_14default_configENS1_38merge_sort_block_merge_config_selectorIhlEEZZNS1_27merge_sort_block_merge_implIS3_PhN6thrust23THRUST_200600_302600_NS10device_ptrIlEEjNS1_19radix_merge_compareILb0ELb0EhNS0_19identity_decomposerEEEEE10hipError_tT0_T1_T2_jT3_P12ihipStream_tbPNSt15iterator_traitsISG_E10value_typeEPNSM_ISH_E10value_typeEPSI_NS1_7vsmem_tEENKUlT_SG_SH_SI_E_clIS7_S7_PlSB_EESF_SV_SG_SH_SI_EUlSV_E0_NS1_11comp_targetILNS1_3genE9ELNS1_11target_archE1100ELNS1_3gpuE3ELNS1_3repE0EEENS1_38merge_mergepath_config_static_selectorELNS0_4arch9wavefront6targetE1EEEvSH_.has_indirect_call, 0
	.section	.AMDGPU.csdata,"",@progbits
; Kernel info:
; codeLenInByte = 0
; TotalNumSgprs: 4
; NumVgprs: 0
; ScratchSize: 0
; MemoryBound: 0
; FloatMode: 240
; IeeeMode: 1
; LDSByteSize: 0 bytes/workgroup (compile time only)
; SGPRBlocks: 0
; VGPRBlocks: 0
; NumSGPRsForWavesPerEU: 4
; NumVGPRsForWavesPerEU: 1
; Occupancy: 10
; WaveLimiterHint : 0
; COMPUTE_PGM_RSRC2:SCRATCH_EN: 0
; COMPUTE_PGM_RSRC2:USER_SGPR: 6
; COMPUTE_PGM_RSRC2:TRAP_HANDLER: 0
; COMPUTE_PGM_RSRC2:TGID_X_EN: 1
; COMPUTE_PGM_RSRC2:TGID_Y_EN: 0
; COMPUTE_PGM_RSRC2:TGID_Z_EN: 0
; COMPUTE_PGM_RSRC2:TIDIG_COMP_CNT: 0
	.section	.text._ZN7rocprim17ROCPRIM_400000_NS6detail17trampoline_kernelINS0_14default_configENS1_38merge_sort_block_merge_config_selectorIhlEEZZNS1_27merge_sort_block_merge_implIS3_PhN6thrust23THRUST_200600_302600_NS10device_ptrIlEEjNS1_19radix_merge_compareILb0ELb0EhNS0_19identity_decomposerEEEEE10hipError_tT0_T1_T2_jT3_P12ihipStream_tbPNSt15iterator_traitsISG_E10value_typeEPNSM_ISH_E10value_typeEPSI_NS1_7vsmem_tEENKUlT_SG_SH_SI_E_clIS7_S7_PlSB_EESF_SV_SG_SH_SI_EUlSV_E0_NS1_11comp_targetILNS1_3genE8ELNS1_11target_archE1030ELNS1_3gpuE2ELNS1_3repE0EEENS1_38merge_mergepath_config_static_selectorELNS0_4arch9wavefront6targetE1EEEvSH_,"axG",@progbits,_ZN7rocprim17ROCPRIM_400000_NS6detail17trampoline_kernelINS0_14default_configENS1_38merge_sort_block_merge_config_selectorIhlEEZZNS1_27merge_sort_block_merge_implIS3_PhN6thrust23THRUST_200600_302600_NS10device_ptrIlEEjNS1_19radix_merge_compareILb0ELb0EhNS0_19identity_decomposerEEEEE10hipError_tT0_T1_T2_jT3_P12ihipStream_tbPNSt15iterator_traitsISG_E10value_typeEPNSM_ISH_E10value_typeEPSI_NS1_7vsmem_tEENKUlT_SG_SH_SI_E_clIS7_S7_PlSB_EESF_SV_SG_SH_SI_EUlSV_E0_NS1_11comp_targetILNS1_3genE8ELNS1_11target_archE1030ELNS1_3gpuE2ELNS1_3repE0EEENS1_38merge_mergepath_config_static_selectorELNS0_4arch9wavefront6targetE1EEEvSH_,comdat
	.protected	_ZN7rocprim17ROCPRIM_400000_NS6detail17trampoline_kernelINS0_14default_configENS1_38merge_sort_block_merge_config_selectorIhlEEZZNS1_27merge_sort_block_merge_implIS3_PhN6thrust23THRUST_200600_302600_NS10device_ptrIlEEjNS1_19radix_merge_compareILb0ELb0EhNS0_19identity_decomposerEEEEE10hipError_tT0_T1_T2_jT3_P12ihipStream_tbPNSt15iterator_traitsISG_E10value_typeEPNSM_ISH_E10value_typeEPSI_NS1_7vsmem_tEENKUlT_SG_SH_SI_E_clIS7_S7_PlSB_EESF_SV_SG_SH_SI_EUlSV_E0_NS1_11comp_targetILNS1_3genE8ELNS1_11target_archE1030ELNS1_3gpuE2ELNS1_3repE0EEENS1_38merge_mergepath_config_static_selectorELNS0_4arch9wavefront6targetE1EEEvSH_ ; -- Begin function _ZN7rocprim17ROCPRIM_400000_NS6detail17trampoline_kernelINS0_14default_configENS1_38merge_sort_block_merge_config_selectorIhlEEZZNS1_27merge_sort_block_merge_implIS3_PhN6thrust23THRUST_200600_302600_NS10device_ptrIlEEjNS1_19radix_merge_compareILb0ELb0EhNS0_19identity_decomposerEEEEE10hipError_tT0_T1_T2_jT3_P12ihipStream_tbPNSt15iterator_traitsISG_E10value_typeEPNSM_ISH_E10value_typeEPSI_NS1_7vsmem_tEENKUlT_SG_SH_SI_E_clIS7_S7_PlSB_EESF_SV_SG_SH_SI_EUlSV_E0_NS1_11comp_targetILNS1_3genE8ELNS1_11target_archE1030ELNS1_3gpuE2ELNS1_3repE0EEENS1_38merge_mergepath_config_static_selectorELNS0_4arch9wavefront6targetE1EEEvSH_
	.globl	_ZN7rocprim17ROCPRIM_400000_NS6detail17trampoline_kernelINS0_14default_configENS1_38merge_sort_block_merge_config_selectorIhlEEZZNS1_27merge_sort_block_merge_implIS3_PhN6thrust23THRUST_200600_302600_NS10device_ptrIlEEjNS1_19radix_merge_compareILb0ELb0EhNS0_19identity_decomposerEEEEE10hipError_tT0_T1_T2_jT3_P12ihipStream_tbPNSt15iterator_traitsISG_E10value_typeEPNSM_ISH_E10value_typeEPSI_NS1_7vsmem_tEENKUlT_SG_SH_SI_E_clIS7_S7_PlSB_EESF_SV_SG_SH_SI_EUlSV_E0_NS1_11comp_targetILNS1_3genE8ELNS1_11target_archE1030ELNS1_3gpuE2ELNS1_3repE0EEENS1_38merge_mergepath_config_static_selectorELNS0_4arch9wavefront6targetE1EEEvSH_
	.p2align	8
	.type	_ZN7rocprim17ROCPRIM_400000_NS6detail17trampoline_kernelINS0_14default_configENS1_38merge_sort_block_merge_config_selectorIhlEEZZNS1_27merge_sort_block_merge_implIS3_PhN6thrust23THRUST_200600_302600_NS10device_ptrIlEEjNS1_19radix_merge_compareILb0ELb0EhNS0_19identity_decomposerEEEEE10hipError_tT0_T1_T2_jT3_P12ihipStream_tbPNSt15iterator_traitsISG_E10value_typeEPNSM_ISH_E10value_typeEPSI_NS1_7vsmem_tEENKUlT_SG_SH_SI_E_clIS7_S7_PlSB_EESF_SV_SG_SH_SI_EUlSV_E0_NS1_11comp_targetILNS1_3genE8ELNS1_11target_archE1030ELNS1_3gpuE2ELNS1_3repE0EEENS1_38merge_mergepath_config_static_selectorELNS0_4arch9wavefront6targetE1EEEvSH_,@function
_ZN7rocprim17ROCPRIM_400000_NS6detail17trampoline_kernelINS0_14default_configENS1_38merge_sort_block_merge_config_selectorIhlEEZZNS1_27merge_sort_block_merge_implIS3_PhN6thrust23THRUST_200600_302600_NS10device_ptrIlEEjNS1_19radix_merge_compareILb0ELb0EhNS0_19identity_decomposerEEEEE10hipError_tT0_T1_T2_jT3_P12ihipStream_tbPNSt15iterator_traitsISG_E10value_typeEPNSM_ISH_E10value_typeEPSI_NS1_7vsmem_tEENKUlT_SG_SH_SI_E_clIS7_S7_PlSB_EESF_SV_SG_SH_SI_EUlSV_E0_NS1_11comp_targetILNS1_3genE8ELNS1_11target_archE1030ELNS1_3gpuE2ELNS1_3repE0EEENS1_38merge_mergepath_config_static_selectorELNS0_4arch9wavefront6targetE1EEEvSH_: ; @_ZN7rocprim17ROCPRIM_400000_NS6detail17trampoline_kernelINS0_14default_configENS1_38merge_sort_block_merge_config_selectorIhlEEZZNS1_27merge_sort_block_merge_implIS3_PhN6thrust23THRUST_200600_302600_NS10device_ptrIlEEjNS1_19radix_merge_compareILb0ELb0EhNS0_19identity_decomposerEEEEE10hipError_tT0_T1_T2_jT3_P12ihipStream_tbPNSt15iterator_traitsISG_E10value_typeEPNSM_ISH_E10value_typeEPSI_NS1_7vsmem_tEENKUlT_SG_SH_SI_E_clIS7_S7_PlSB_EESF_SV_SG_SH_SI_EUlSV_E0_NS1_11comp_targetILNS1_3genE8ELNS1_11target_archE1030ELNS1_3gpuE2ELNS1_3repE0EEENS1_38merge_mergepath_config_static_selectorELNS0_4arch9wavefront6targetE1EEEvSH_
; %bb.0:
	.section	.rodata,"a",@progbits
	.p2align	6, 0x0
	.amdhsa_kernel _ZN7rocprim17ROCPRIM_400000_NS6detail17trampoline_kernelINS0_14default_configENS1_38merge_sort_block_merge_config_selectorIhlEEZZNS1_27merge_sort_block_merge_implIS3_PhN6thrust23THRUST_200600_302600_NS10device_ptrIlEEjNS1_19radix_merge_compareILb0ELb0EhNS0_19identity_decomposerEEEEE10hipError_tT0_T1_T2_jT3_P12ihipStream_tbPNSt15iterator_traitsISG_E10value_typeEPNSM_ISH_E10value_typeEPSI_NS1_7vsmem_tEENKUlT_SG_SH_SI_E_clIS7_S7_PlSB_EESF_SV_SG_SH_SI_EUlSV_E0_NS1_11comp_targetILNS1_3genE8ELNS1_11target_archE1030ELNS1_3gpuE2ELNS1_3repE0EEENS1_38merge_mergepath_config_static_selectorELNS0_4arch9wavefront6targetE1EEEvSH_
		.amdhsa_group_segment_fixed_size 0
		.amdhsa_private_segment_fixed_size 0
		.amdhsa_kernarg_size 64
		.amdhsa_user_sgpr_count 6
		.amdhsa_user_sgpr_private_segment_buffer 1
		.amdhsa_user_sgpr_dispatch_ptr 0
		.amdhsa_user_sgpr_queue_ptr 0
		.amdhsa_user_sgpr_kernarg_segment_ptr 1
		.amdhsa_user_sgpr_dispatch_id 0
		.amdhsa_user_sgpr_flat_scratch_init 0
		.amdhsa_user_sgpr_private_segment_size 0
		.amdhsa_uses_dynamic_stack 0
		.amdhsa_system_sgpr_private_segment_wavefront_offset 0
		.amdhsa_system_sgpr_workgroup_id_x 1
		.amdhsa_system_sgpr_workgroup_id_y 0
		.amdhsa_system_sgpr_workgroup_id_z 0
		.amdhsa_system_sgpr_workgroup_info 0
		.amdhsa_system_vgpr_workitem_id 0
		.amdhsa_next_free_vgpr 1
		.amdhsa_next_free_sgpr 0
		.amdhsa_reserve_vcc 0
		.amdhsa_reserve_flat_scratch 0
		.amdhsa_float_round_mode_32 0
		.amdhsa_float_round_mode_16_64 0
		.amdhsa_float_denorm_mode_32 3
		.amdhsa_float_denorm_mode_16_64 3
		.amdhsa_dx10_clamp 1
		.amdhsa_ieee_mode 1
		.amdhsa_fp16_overflow 0
		.amdhsa_exception_fp_ieee_invalid_op 0
		.amdhsa_exception_fp_denorm_src 0
		.amdhsa_exception_fp_ieee_div_zero 0
		.amdhsa_exception_fp_ieee_overflow 0
		.amdhsa_exception_fp_ieee_underflow 0
		.amdhsa_exception_fp_ieee_inexact 0
		.amdhsa_exception_int_div_zero 0
	.end_amdhsa_kernel
	.section	.text._ZN7rocprim17ROCPRIM_400000_NS6detail17trampoline_kernelINS0_14default_configENS1_38merge_sort_block_merge_config_selectorIhlEEZZNS1_27merge_sort_block_merge_implIS3_PhN6thrust23THRUST_200600_302600_NS10device_ptrIlEEjNS1_19radix_merge_compareILb0ELb0EhNS0_19identity_decomposerEEEEE10hipError_tT0_T1_T2_jT3_P12ihipStream_tbPNSt15iterator_traitsISG_E10value_typeEPNSM_ISH_E10value_typeEPSI_NS1_7vsmem_tEENKUlT_SG_SH_SI_E_clIS7_S7_PlSB_EESF_SV_SG_SH_SI_EUlSV_E0_NS1_11comp_targetILNS1_3genE8ELNS1_11target_archE1030ELNS1_3gpuE2ELNS1_3repE0EEENS1_38merge_mergepath_config_static_selectorELNS0_4arch9wavefront6targetE1EEEvSH_,"axG",@progbits,_ZN7rocprim17ROCPRIM_400000_NS6detail17trampoline_kernelINS0_14default_configENS1_38merge_sort_block_merge_config_selectorIhlEEZZNS1_27merge_sort_block_merge_implIS3_PhN6thrust23THRUST_200600_302600_NS10device_ptrIlEEjNS1_19radix_merge_compareILb0ELb0EhNS0_19identity_decomposerEEEEE10hipError_tT0_T1_T2_jT3_P12ihipStream_tbPNSt15iterator_traitsISG_E10value_typeEPNSM_ISH_E10value_typeEPSI_NS1_7vsmem_tEENKUlT_SG_SH_SI_E_clIS7_S7_PlSB_EESF_SV_SG_SH_SI_EUlSV_E0_NS1_11comp_targetILNS1_3genE8ELNS1_11target_archE1030ELNS1_3gpuE2ELNS1_3repE0EEENS1_38merge_mergepath_config_static_selectorELNS0_4arch9wavefront6targetE1EEEvSH_,comdat
.Lfunc_end139:
	.size	_ZN7rocprim17ROCPRIM_400000_NS6detail17trampoline_kernelINS0_14default_configENS1_38merge_sort_block_merge_config_selectorIhlEEZZNS1_27merge_sort_block_merge_implIS3_PhN6thrust23THRUST_200600_302600_NS10device_ptrIlEEjNS1_19radix_merge_compareILb0ELb0EhNS0_19identity_decomposerEEEEE10hipError_tT0_T1_T2_jT3_P12ihipStream_tbPNSt15iterator_traitsISG_E10value_typeEPNSM_ISH_E10value_typeEPSI_NS1_7vsmem_tEENKUlT_SG_SH_SI_E_clIS7_S7_PlSB_EESF_SV_SG_SH_SI_EUlSV_E0_NS1_11comp_targetILNS1_3genE8ELNS1_11target_archE1030ELNS1_3gpuE2ELNS1_3repE0EEENS1_38merge_mergepath_config_static_selectorELNS0_4arch9wavefront6targetE1EEEvSH_, .Lfunc_end139-_ZN7rocprim17ROCPRIM_400000_NS6detail17trampoline_kernelINS0_14default_configENS1_38merge_sort_block_merge_config_selectorIhlEEZZNS1_27merge_sort_block_merge_implIS3_PhN6thrust23THRUST_200600_302600_NS10device_ptrIlEEjNS1_19radix_merge_compareILb0ELb0EhNS0_19identity_decomposerEEEEE10hipError_tT0_T1_T2_jT3_P12ihipStream_tbPNSt15iterator_traitsISG_E10value_typeEPNSM_ISH_E10value_typeEPSI_NS1_7vsmem_tEENKUlT_SG_SH_SI_E_clIS7_S7_PlSB_EESF_SV_SG_SH_SI_EUlSV_E0_NS1_11comp_targetILNS1_3genE8ELNS1_11target_archE1030ELNS1_3gpuE2ELNS1_3repE0EEENS1_38merge_mergepath_config_static_selectorELNS0_4arch9wavefront6targetE1EEEvSH_
                                        ; -- End function
	.set _ZN7rocprim17ROCPRIM_400000_NS6detail17trampoline_kernelINS0_14default_configENS1_38merge_sort_block_merge_config_selectorIhlEEZZNS1_27merge_sort_block_merge_implIS3_PhN6thrust23THRUST_200600_302600_NS10device_ptrIlEEjNS1_19radix_merge_compareILb0ELb0EhNS0_19identity_decomposerEEEEE10hipError_tT0_T1_T2_jT3_P12ihipStream_tbPNSt15iterator_traitsISG_E10value_typeEPNSM_ISH_E10value_typeEPSI_NS1_7vsmem_tEENKUlT_SG_SH_SI_E_clIS7_S7_PlSB_EESF_SV_SG_SH_SI_EUlSV_E0_NS1_11comp_targetILNS1_3genE8ELNS1_11target_archE1030ELNS1_3gpuE2ELNS1_3repE0EEENS1_38merge_mergepath_config_static_selectorELNS0_4arch9wavefront6targetE1EEEvSH_.num_vgpr, 0
	.set _ZN7rocprim17ROCPRIM_400000_NS6detail17trampoline_kernelINS0_14default_configENS1_38merge_sort_block_merge_config_selectorIhlEEZZNS1_27merge_sort_block_merge_implIS3_PhN6thrust23THRUST_200600_302600_NS10device_ptrIlEEjNS1_19radix_merge_compareILb0ELb0EhNS0_19identity_decomposerEEEEE10hipError_tT0_T1_T2_jT3_P12ihipStream_tbPNSt15iterator_traitsISG_E10value_typeEPNSM_ISH_E10value_typeEPSI_NS1_7vsmem_tEENKUlT_SG_SH_SI_E_clIS7_S7_PlSB_EESF_SV_SG_SH_SI_EUlSV_E0_NS1_11comp_targetILNS1_3genE8ELNS1_11target_archE1030ELNS1_3gpuE2ELNS1_3repE0EEENS1_38merge_mergepath_config_static_selectorELNS0_4arch9wavefront6targetE1EEEvSH_.num_agpr, 0
	.set _ZN7rocprim17ROCPRIM_400000_NS6detail17trampoline_kernelINS0_14default_configENS1_38merge_sort_block_merge_config_selectorIhlEEZZNS1_27merge_sort_block_merge_implIS3_PhN6thrust23THRUST_200600_302600_NS10device_ptrIlEEjNS1_19radix_merge_compareILb0ELb0EhNS0_19identity_decomposerEEEEE10hipError_tT0_T1_T2_jT3_P12ihipStream_tbPNSt15iterator_traitsISG_E10value_typeEPNSM_ISH_E10value_typeEPSI_NS1_7vsmem_tEENKUlT_SG_SH_SI_E_clIS7_S7_PlSB_EESF_SV_SG_SH_SI_EUlSV_E0_NS1_11comp_targetILNS1_3genE8ELNS1_11target_archE1030ELNS1_3gpuE2ELNS1_3repE0EEENS1_38merge_mergepath_config_static_selectorELNS0_4arch9wavefront6targetE1EEEvSH_.numbered_sgpr, 0
	.set _ZN7rocprim17ROCPRIM_400000_NS6detail17trampoline_kernelINS0_14default_configENS1_38merge_sort_block_merge_config_selectorIhlEEZZNS1_27merge_sort_block_merge_implIS3_PhN6thrust23THRUST_200600_302600_NS10device_ptrIlEEjNS1_19radix_merge_compareILb0ELb0EhNS0_19identity_decomposerEEEEE10hipError_tT0_T1_T2_jT3_P12ihipStream_tbPNSt15iterator_traitsISG_E10value_typeEPNSM_ISH_E10value_typeEPSI_NS1_7vsmem_tEENKUlT_SG_SH_SI_E_clIS7_S7_PlSB_EESF_SV_SG_SH_SI_EUlSV_E0_NS1_11comp_targetILNS1_3genE8ELNS1_11target_archE1030ELNS1_3gpuE2ELNS1_3repE0EEENS1_38merge_mergepath_config_static_selectorELNS0_4arch9wavefront6targetE1EEEvSH_.num_named_barrier, 0
	.set _ZN7rocprim17ROCPRIM_400000_NS6detail17trampoline_kernelINS0_14default_configENS1_38merge_sort_block_merge_config_selectorIhlEEZZNS1_27merge_sort_block_merge_implIS3_PhN6thrust23THRUST_200600_302600_NS10device_ptrIlEEjNS1_19radix_merge_compareILb0ELb0EhNS0_19identity_decomposerEEEEE10hipError_tT0_T1_T2_jT3_P12ihipStream_tbPNSt15iterator_traitsISG_E10value_typeEPNSM_ISH_E10value_typeEPSI_NS1_7vsmem_tEENKUlT_SG_SH_SI_E_clIS7_S7_PlSB_EESF_SV_SG_SH_SI_EUlSV_E0_NS1_11comp_targetILNS1_3genE8ELNS1_11target_archE1030ELNS1_3gpuE2ELNS1_3repE0EEENS1_38merge_mergepath_config_static_selectorELNS0_4arch9wavefront6targetE1EEEvSH_.private_seg_size, 0
	.set _ZN7rocprim17ROCPRIM_400000_NS6detail17trampoline_kernelINS0_14default_configENS1_38merge_sort_block_merge_config_selectorIhlEEZZNS1_27merge_sort_block_merge_implIS3_PhN6thrust23THRUST_200600_302600_NS10device_ptrIlEEjNS1_19radix_merge_compareILb0ELb0EhNS0_19identity_decomposerEEEEE10hipError_tT0_T1_T2_jT3_P12ihipStream_tbPNSt15iterator_traitsISG_E10value_typeEPNSM_ISH_E10value_typeEPSI_NS1_7vsmem_tEENKUlT_SG_SH_SI_E_clIS7_S7_PlSB_EESF_SV_SG_SH_SI_EUlSV_E0_NS1_11comp_targetILNS1_3genE8ELNS1_11target_archE1030ELNS1_3gpuE2ELNS1_3repE0EEENS1_38merge_mergepath_config_static_selectorELNS0_4arch9wavefront6targetE1EEEvSH_.uses_vcc, 0
	.set _ZN7rocprim17ROCPRIM_400000_NS6detail17trampoline_kernelINS0_14default_configENS1_38merge_sort_block_merge_config_selectorIhlEEZZNS1_27merge_sort_block_merge_implIS3_PhN6thrust23THRUST_200600_302600_NS10device_ptrIlEEjNS1_19radix_merge_compareILb0ELb0EhNS0_19identity_decomposerEEEEE10hipError_tT0_T1_T2_jT3_P12ihipStream_tbPNSt15iterator_traitsISG_E10value_typeEPNSM_ISH_E10value_typeEPSI_NS1_7vsmem_tEENKUlT_SG_SH_SI_E_clIS7_S7_PlSB_EESF_SV_SG_SH_SI_EUlSV_E0_NS1_11comp_targetILNS1_3genE8ELNS1_11target_archE1030ELNS1_3gpuE2ELNS1_3repE0EEENS1_38merge_mergepath_config_static_selectorELNS0_4arch9wavefront6targetE1EEEvSH_.uses_flat_scratch, 0
	.set _ZN7rocprim17ROCPRIM_400000_NS6detail17trampoline_kernelINS0_14default_configENS1_38merge_sort_block_merge_config_selectorIhlEEZZNS1_27merge_sort_block_merge_implIS3_PhN6thrust23THRUST_200600_302600_NS10device_ptrIlEEjNS1_19radix_merge_compareILb0ELb0EhNS0_19identity_decomposerEEEEE10hipError_tT0_T1_T2_jT3_P12ihipStream_tbPNSt15iterator_traitsISG_E10value_typeEPNSM_ISH_E10value_typeEPSI_NS1_7vsmem_tEENKUlT_SG_SH_SI_E_clIS7_S7_PlSB_EESF_SV_SG_SH_SI_EUlSV_E0_NS1_11comp_targetILNS1_3genE8ELNS1_11target_archE1030ELNS1_3gpuE2ELNS1_3repE0EEENS1_38merge_mergepath_config_static_selectorELNS0_4arch9wavefront6targetE1EEEvSH_.has_dyn_sized_stack, 0
	.set _ZN7rocprim17ROCPRIM_400000_NS6detail17trampoline_kernelINS0_14default_configENS1_38merge_sort_block_merge_config_selectorIhlEEZZNS1_27merge_sort_block_merge_implIS3_PhN6thrust23THRUST_200600_302600_NS10device_ptrIlEEjNS1_19radix_merge_compareILb0ELb0EhNS0_19identity_decomposerEEEEE10hipError_tT0_T1_T2_jT3_P12ihipStream_tbPNSt15iterator_traitsISG_E10value_typeEPNSM_ISH_E10value_typeEPSI_NS1_7vsmem_tEENKUlT_SG_SH_SI_E_clIS7_S7_PlSB_EESF_SV_SG_SH_SI_EUlSV_E0_NS1_11comp_targetILNS1_3genE8ELNS1_11target_archE1030ELNS1_3gpuE2ELNS1_3repE0EEENS1_38merge_mergepath_config_static_selectorELNS0_4arch9wavefront6targetE1EEEvSH_.has_recursion, 0
	.set _ZN7rocprim17ROCPRIM_400000_NS6detail17trampoline_kernelINS0_14default_configENS1_38merge_sort_block_merge_config_selectorIhlEEZZNS1_27merge_sort_block_merge_implIS3_PhN6thrust23THRUST_200600_302600_NS10device_ptrIlEEjNS1_19radix_merge_compareILb0ELb0EhNS0_19identity_decomposerEEEEE10hipError_tT0_T1_T2_jT3_P12ihipStream_tbPNSt15iterator_traitsISG_E10value_typeEPNSM_ISH_E10value_typeEPSI_NS1_7vsmem_tEENKUlT_SG_SH_SI_E_clIS7_S7_PlSB_EESF_SV_SG_SH_SI_EUlSV_E0_NS1_11comp_targetILNS1_3genE8ELNS1_11target_archE1030ELNS1_3gpuE2ELNS1_3repE0EEENS1_38merge_mergepath_config_static_selectorELNS0_4arch9wavefront6targetE1EEEvSH_.has_indirect_call, 0
	.section	.AMDGPU.csdata,"",@progbits
; Kernel info:
; codeLenInByte = 0
; TotalNumSgprs: 4
; NumVgprs: 0
; ScratchSize: 0
; MemoryBound: 0
; FloatMode: 240
; IeeeMode: 1
; LDSByteSize: 0 bytes/workgroup (compile time only)
; SGPRBlocks: 0
; VGPRBlocks: 0
; NumSGPRsForWavesPerEU: 4
; NumVGPRsForWavesPerEU: 1
; Occupancy: 10
; WaveLimiterHint : 0
; COMPUTE_PGM_RSRC2:SCRATCH_EN: 0
; COMPUTE_PGM_RSRC2:USER_SGPR: 6
; COMPUTE_PGM_RSRC2:TRAP_HANDLER: 0
; COMPUTE_PGM_RSRC2:TGID_X_EN: 1
; COMPUTE_PGM_RSRC2:TGID_Y_EN: 0
; COMPUTE_PGM_RSRC2:TGID_Z_EN: 0
; COMPUTE_PGM_RSRC2:TIDIG_COMP_CNT: 0
	.section	.text._ZN7rocprim17ROCPRIM_400000_NS6detail17trampoline_kernelINS0_14default_configENS1_38merge_sort_block_merge_config_selectorIhlEEZZNS1_27merge_sort_block_merge_implIS3_PhN6thrust23THRUST_200600_302600_NS10device_ptrIlEEjNS1_19radix_merge_compareILb0ELb0EhNS0_19identity_decomposerEEEEE10hipError_tT0_T1_T2_jT3_P12ihipStream_tbPNSt15iterator_traitsISG_E10value_typeEPNSM_ISH_E10value_typeEPSI_NS1_7vsmem_tEENKUlT_SG_SH_SI_E_clIS7_S7_PlSB_EESF_SV_SG_SH_SI_EUlSV_E1_NS1_11comp_targetILNS1_3genE0ELNS1_11target_archE4294967295ELNS1_3gpuE0ELNS1_3repE0EEENS1_36merge_oddeven_config_static_selectorELNS0_4arch9wavefront6targetE1EEEvSH_,"axG",@progbits,_ZN7rocprim17ROCPRIM_400000_NS6detail17trampoline_kernelINS0_14default_configENS1_38merge_sort_block_merge_config_selectorIhlEEZZNS1_27merge_sort_block_merge_implIS3_PhN6thrust23THRUST_200600_302600_NS10device_ptrIlEEjNS1_19radix_merge_compareILb0ELb0EhNS0_19identity_decomposerEEEEE10hipError_tT0_T1_T2_jT3_P12ihipStream_tbPNSt15iterator_traitsISG_E10value_typeEPNSM_ISH_E10value_typeEPSI_NS1_7vsmem_tEENKUlT_SG_SH_SI_E_clIS7_S7_PlSB_EESF_SV_SG_SH_SI_EUlSV_E1_NS1_11comp_targetILNS1_3genE0ELNS1_11target_archE4294967295ELNS1_3gpuE0ELNS1_3repE0EEENS1_36merge_oddeven_config_static_selectorELNS0_4arch9wavefront6targetE1EEEvSH_,comdat
	.protected	_ZN7rocprim17ROCPRIM_400000_NS6detail17trampoline_kernelINS0_14default_configENS1_38merge_sort_block_merge_config_selectorIhlEEZZNS1_27merge_sort_block_merge_implIS3_PhN6thrust23THRUST_200600_302600_NS10device_ptrIlEEjNS1_19radix_merge_compareILb0ELb0EhNS0_19identity_decomposerEEEEE10hipError_tT0_T1_T2_jT3_P12ihipStream_tbPNSt15iterator_traitsISG_E10value_typeEPNSM_ISH_E10value_typeEPSI_NS1_7vsmem_tEENKUlT_SG_SH_SI_E_clIS7_S7_PlSB_EESF_SV_SG_SH_SI_EUlSV_E1_NS1_11comp_targetILNS1_3genE0ELNS1_11target_archE4294967295ELNS1_3gpuE0ELNS1_3repE0EEENS1_36merge_oddeven_config_static_selectorELNS0_4arch9wavefront6targetE1EEEvSH_ ; -- Begin function _ZN7rocprim17ROCPRIM_400000_NS6detail17trampoline_kernelINS0_14default_configENS1_38merge_sort_block_merge_config_selectorIhlEEZZNS1_27merge_sort_block_merge_implIS3_PhN6thrust23THRUST_200600_302600_NS10device_ptrIlEEjNS1_19radix_merge_compareILb0ELb0EhNS0_19identity_decomposerEEEEE10hipError_tT0_T1_T2_jT3_P12ihipStream_tbPNSt15iterator_traitsISG_E10value_typeEPNSM_ISH_E10value_typeEPSI_NS1_7vsmem_tEENKUlT_SG_SH_SI_E_clIS7_S7_PlSB_EESF_SV_SG_SH_SI_EUlSV_E1_NS1_11comp_targetILNS1_3genE0ELNS1_11target_archE4294967295ELNS1_3gpuE0ELNS1_3repE0EEENS1_36merge_oddeven_config_static_selectorELNS0_4arch9wavefront6targetE1EEEvSH_
	.globl	_ZN7rocprim17ROCPRIM_400000_NS6detail17trampoline_kernelINS0_14default_configENS1_38merge_sort_block_merge_config_selectorIhlEEZZNS1_27merge_sort_block_merge_implIS3_PhN6thrust23THRUST_200600_302600_NS10device_ptrIlEEjNS1_19radix_merge_compareILb0ELb0EhNS0_19identity_decomposerEEEEE10hipError_tT0_T1_T2_jT3_P12ihipStream_tbPNSt15iterator_traitsISG_E10value_typeEPNSM_ISH_E10value_typeEPSI_NS1_7vsmem_tEENKUlT_SG_SH_SI_E_clIS7_S7_PlSB_EESF_SV_SG_SH_SI_EUlSV_E1_NS1_11comp_targetILNS1_3genE0ELNS1_11target_archE4294967295ELNS1_3gpuE0ELNS1_3repE0EEENS1_36merge_oddeven_config_static_selectorELNS0_4arch9wavefront6targetE1EEEvSH_
	.p2align	8
	.type	_ZN7rocprim17ROCPRIM_400000_NS6detail17trampoline_kernelINS0_14default_configENS1_38merge_sort_block_merge_config_selectorIhlEEZZNS1_27merge_sort_block_merge_implIS3_PhN6thrust23THRUST_200600_302600_NS10device_ptrIlEEjNS1_19radix_merge_compareILb0ELb0EhNS0_19identity_decomposerEEEEE10hipError_tT0_T1_T2_jT3_P12ihipStream_tbPNSt15iterator_traitsISG_E10value_typeEPNSM_ISH_E10value_typeEPSI_NS1_7vsmem_tEENKUlT_SG_SH_SI_E_clIS7_S7_PlSB_EESF_SV_SG_SH_SI_EUlSV_E1_NS1_11comp_targetILNS1_3genE0ELNS1_11target_archE4294967295ELNS1_3gpuE0ELNS1_3repE0EEENS1_36merge_oddeven_config_static_selectorELNS0_4arch9wavefront6targetE1EEEvSH_,@function
_ZN7rocprim17ROCPRIM_400000_NS6detail17trampoline_kernelINS0_14default_configENS1_38merge_sort_block_merge_config_selectorIhlEEZZNS1_27merge_sort_block_merge_implIS3_PhN6thrust23THRUST_200600_302600_NS10device_ptrIlEEjNS1_19radix_merge_compareILb0ELb0EhNS0_19identity_decomposerEEEEE10hipError_tT0_T1_T2_jT3_P12ihipStream_tbPNSt15iterator_traitsISG_E10value_typeEPNSM_ISH_E10value_typeEPSI_NS1_7vsmem_tEENKUlT_SG_SH_SI_E_clIS7_S7_PlSB_EESF_SV_SG_SH_SI_EUlSV_E1_NS1_11comp_targetILNS1_3genE0ELNS1_11target_archE4294967295ELNS1_3gpuE0ELNS1_3repE0EEENS1_36merge_oddeven_config_static_selectorELNS0_4arch9wavefront6targetE1EEEvSH_: ; @_ZN7rocprim17ROCPRIM_400000_NS6detail17trampoline_kernelINS0_14default_configENS1_38merge_sort_block_merge_config_selectorIhlEEZZNS1_27merge_sort_block_merge_implIS3_PhN6thrust23THRUST_200600_302600_NS10device_ptrIlEEjNS1_19radix_merge_compareILb0ELb0EhNS0_19identity_decomposerEEEEE10hipError_tT0_T1_T2_jT3_P12ihipStream_tbPNSt15iterator_traitsISG_E10value_typeEPNSM_ISH_E10value_typeEPSI_NS1_7vsmem_tEENKUlT_SG_SH_SI_E_clIS7_S7_PlSB_EESF_SV_SG_SH_SI_EUlSV_E1_NS1_11comp_targetILNS1_3genE0ELNS1_11target_archE4294967295ELNS1_3gpuE0ELNS1_3repE0EEENS1_36merge_oddeven_config_static_selectorELNS0_4arch9wavefront6targetE1EEEvSH_
; %bb.0:
	.section	.rodata,"a",@progbits
	.p2align	6, 0x0
	.amdhsa_kernel _ZN7rocprim17ROCPRIM_400000_NS6detail17trampoline_kernelINS0_14default_configENS1_38merge_sort_block_merge_config_selectorIhlEEZZNS1_27merge_sort_block_merge_implIS3_PhN6thrust23THRUST_200600_302600_NS10device_ptrIlEEjNS1_19radix_merge_compareILb0ELb0EhNS0_19identity_decomposerEEEEE10hipError_tT0_T1_T2_jT3_P12ihipStream_tbPNSt15iterator_traitsISG_E10value_typeEPNSM_ISH_E10value_typeEPSI_NS1_7vsmem_tEENKUlT_SG_SH_SI_E_clIS7_S7_PlSB_EESF_SV_SG_SH_SI_EUlSV_E1_NS1_11comp_targetILNS1_3genE0ELNS1_11target_archE4294967295ELNS1_3gpuE0ELNS1_3repE0EEENS1_36merge_oddeven_config_static_selectorELNS0_4arch9wavefront6targetE1EEEvSH_
		.amdhsa_group_segment_fixed_size 0
		.amdhsa_private_segment_fixed_size 0
		.amdhsa_kernarg_size 48
		.amdhsa_user_sgpr_count 6
		.amdhsa_user_sgpr_private_segment_buffer 1
		.amdhsa_user_sgpr_dispatch_ptr 0
		.amdhsa_user_sgpr_queue_ptr 0
		.amdhsa_user_sgpr_kernarg_segment_ptr 1
		.amdhsa_user_sgpr_dispatch_id 0
		.amdhsa_user_sgpr_flat_scratch_init 0
		.amdhsa_user_sgpr_private_segment_size 0
		.amdhsa_uses_dynamic_stack 0
		.amdhsa_system_sgpr_private_segment_wavefront_offset 0
		.amdhsa_system_sgpr_workgroup_id_x 1
		.amdhsa_system_sgpr_workgroup_id_y 0
		.amdhsa_system_sgpr_workgroup_id_z 0
		.amdhsa_system_sgpr_workgroup_info 0
		.amdhsa_system_vgpr_workitem_id 0
		.amdhsa_next_free_vgpr 1
		.amdhsa_next_free_sgpr 0
		.amdhsa_reserve_vcc 0
		.amdhsa_reserve_flat_scratch 0
		.amdhsa_float_round_mode_32 0
		.amdhsa_float_round_mode_16_64 0
		.amdhsa_float_denorm_mode_32 3
		.amdhsa_float_denorm_mode_16_64 3
		.amdhsa_dx10_clamp 1
		.amdhsa_ieee_mode 1
		.amdhsa_fp16_overflow 0
		.amdhsa_exception_fp_ieee_invalid_op 0
		.amdhsa_exception_fp_denorm_src 0
		.amdhsa_exception_fp_ieee_div_zero 0
		.amdhsa_exception_fp_ieee_overflow 0
		.amdhsa_exception_fp_ieee_underflow 0
		.amdhsa_exception_fp_ieee_inexact 0
		.amdhsa_exception_int_div_zero 0
	.end_amdhsa_kernel
	.section	.text._ZN7rocprim17ROCPRIM_400000_NS6detail17trampoline_kernelINS0_14default_configENS1_38merge_sort_block_merge_config_selectorIhlEEZZNS1_27merge_sort_block_merge_implIS3_PhN6thrust23THRUST_200600_302600_NS10device_ptrIlEEjNS1_19radix_merge_compareILb0ELb0EhNS0_19identity_decomposerEEEEE10hipError_tT0_T1_T2_jT3_P12ihipStream_tbPNSt15iterator_traitsISG_E10value_typeEPNSM_ISH_E10value_typeEPSI_NS1_7vsmem_tEENKUlT_SG_SH_SI_E_clIS7_S7_PlSB_EESF_SV_SG_SH_SI_EUlSV_E1_NS1_11comp_targetILNS1_3genE0ELNS1_11target_archE4294967295ELNS1_3gpuE0ELNS1_3repE0EEENS1_36merge_oddeven_config_static_selectorELNS0_4arch9wavefront6targetE1EEEvSH_,"axG",@progbits,_ZN7rocprim17ROCPRIM_400000_NS6detail17trampoline_kernelINS0_14default_configENS1_38merge_sort_block_merge_config_selectorIhlEEZZNS1_27merge_sort_block_merge_implIS3_PhN6thrust23THRUST_200600_302600_NS10device_ptrIlEEjNS1_19radix_merge_compareILb0ELb0EhNS0_19identity_decomposerEEEEE10hipError_tT0_T1_T2_jT3_P12ihipStream_tbPNSt15iterator_traitsISG_E10value_typeEPNSM_ISH_E10value_typeEPSI_NS1_7vsmem_tEENKUlT_SG_SH_SI_E_clIS7_S7_PlSB_EESF_SV_SG_SH_SI_EUlSV_E1_NS1_11comp_targetILNS1_3genE0ELNS1_11target_archE4294967295ELNS1_3gpuE0ELNS1_3repE0EEENS1_36merge_oddeven_config_static_selectorELNS0_4arch9wavefront6targetE1EEEvSH_,comdat
.Lfunc_end140:
	.size	_ZN7rocprim17ROCPRIM_400000_NS6detail17trampoline_kernelINS0_14default_configENS1_38merge_sort_block_merge_config_selectorIhlEEZZNS1_27merge_sort_block_merge_implIS3_PhN6thrust23THRUST_200600_302600_NS10device_ptrIlEEjNS1_19radix_merge_compareILb0ELb0EhNS0_19identity_decomposerEEEEE10hipError_tT0_T1_T2_jT3_P12ihipStream_tbPNSt15iterator_traitsISG_E10value_typeEPNSM_ISH_E10value_typeEPSI_NS1_7vsmem_tEENKUlT_SG_SH_SI_E_clIS7_S7_PlSB_EESF_SV_SG_SH_SI_EUlSV_E1_NS1_11comp_targetILNS1_3genE0ELNS1_11target_archE4294967295ELNS1_3gpuE0ELNS1_3repE0EEENS1_36merge_oddeven_config_static_selectorELNS0_4arch9wavefront6targetE1EEEvSH_, .Lfunc_end140-_ZN7rocprim17ROCPRIM_400000_NS6detail17trampoline_kernelINS0_14default_configENS1_38merge_sort_block_merge_config_selectorIhlEEZZNS1_27merge_sort_block_merge_implIS3_PhN6thrust23THRUST_200600_302600_NS10device_ptrIlEEjNS1_19radix_merge_compareILb0ELb0EhNS0_19identity_decomposerEEEEE10hipError_tT0_T1_T2_jT3_P12ihipStream_tbPNSt15iterator_traitsISG_E10value_typeEPNSM_ISH_E10value_typeEPSI_NS1_7vsmem_tEENKUlT_SG_SH_SI_E_clIS7_S7_PlSB_EESF_SV_SG_SH_SI_EUlSV_E1_NS1_11comp_targetILNS1_3genE0ELNS1_11target_archE4294967295ELNS1_3gpuE0ELNS1_3repE0EEENS1_36merge_oddeven_config_static_selectorELNS0_4arch9wavefront6targetE1EEEvSH_
                                        ; -- End function
	.set _ZN7rocprim17ROCPRIM_400000_NS6detail17trampoline_kernelINS0_14default_configENS1_38merge_sort_block_merge_config_selectorIhlEEZZNS1_27merge_sort_block_merge_implIS3_PhN6thrust23THRUST_200600_302600_NS10device_ptrIlEEjNS1_19radix_merge_compareILb0ELb0EhNS0_19identity_decomposerEEEEE10hipError_tT0_T1_T2_jT3_P12ihipStream_tbPNSt15iterator_traitsISG_E10value_typeEPNSM_ISH_E10value_typeEPSI_NS1_7vsmem_tEENKUlT_SG_SH_SI_E_clIS7_S7_PlSB_EESF_SV_SG_SH_SI_EUlSV_E1_NS1_11comp_targetILNS1_3genE0ELNS1_11target_archE4294967295ELNS1_3gpuE0ELNS1_3repE0EEENS1_36merge_oddeven_config_static_selectorELNS0_4arch9wavefront6targetE1EEEvSH_.num_vgpr, 0
	.set _ZN7rocprim17ROCPRIM_400000_NS6detail17trampoline_kernelINS0_14default_configENS1_38merge_sort_block_merge_config_selectorIhlEEZZNS1_27merge_sort_block_merge_implIS3_PhN6thrust23THRUST_200600_302600_NS10device_ptrIlEEjNS1_19radix_merge_compareILb0ELb0EhNS0_19identity_decomposerEEEEE10hipError_tT0_T1_T2_jT3_P12ihipStream_tbPNSt15iterator_traitsISG_E10value_typeEPNSM_ISH_E10value_typeEPSI_NS1_7vsmem_tEENKUlT_SG_SH_SI_E_clIS7_S7_PlSB_EESF_SV_SG_SH_SI_EUlSV_E1_NS1_11comp_targetILNS1_3genE0ELNS1_11target_archE4294967295ELNS1_3gpuE0ELNS1_3repE0EEENS1_36merge_oddeven_config_static_selectorELNS0_4arch9wavefront6targetE1EEEvSH_.num_agpr, 0
	.set _ZN7rocprim17ROCPRIM_400000_NS6detail17trampoline_kernelINS0_14default_configENS1_38merge_sort_block_merge_config_selectorIhlEEZZNS1_27merge_sort_block_merge_implIS3_PhN6thrust23THRUST_200600_302600_NS10device_ptrIlEEjNS1_19radix_merge_compareILb0ELb0EhNS0_19identity_decomposerEEEEE10hipError_tT0_T1_T2_jT3_P12ihipStream_tbPNSt15iterator_traitsISG_E10value_typeEPNSM_ISH_E10value_typeEPSI_NS1_7vsmem_tEENKUlT_SG_SH_SI_E_clIS7_S7_PlSB_EESF_SV_SG_SH_SI_EUlSV_E1_NS1_11comp_targetILNS1_3genE0ELNS1_11target_archE4294967295ELNS1_3gpuE0ELNS1_3repE0EEENS1_36merge_oddeven_config_static_selectorELNS0_4arch9wavefront6targetE1EEEvSH_.numbered_sgpr, 0
	.set _ZN7rocprim17ROCPRIM_400000_NS6detail17trampoline_kernelINS0_14default_configENS1_38merge_sort_block_merge_config_selectorIhlEEZZNS1_27merge_sort_block_merge_implIS3_PhN6thrust23THRUST_200600_302600_NS10device_ptrIlEEjNS1_19radix_merge_compareILb0ELb0EhNS0_19identity_decomposerEEEEE10hipError_tT0_T1_T2_jT3_P12ihipStream_tbPNSt15iterator_traitsISG_E10value_typeEPNSM_ISH_E10value_typeEPSI_NS1_7vsmem_tEENKUlT_SG_SH_SI_E_clIS7_S7_PlSB_EESF_SV_SG_SH_SI_EUlSV_E1_NS1_11comp_targetILNS1_3genE0ELNS1_11target_archE4294967295ELNS1_3gpuE0ELNS1_3repE0EEENS1_36merge_oddeven_config_static_selectorELNS0_4arch9wavefront6targetE1EEEvSH_.num_named_barrier, 0
	.set _ZN7rocprim17ROCPRIM_400000_NS6detail17trampoline_kernelINS0_14default_configENS1_38merge_sort_block_merge_config_selectorIhlEEZZNS1_27merge_sort_block_merge_implIS3_PhN6thrust23THRUST_200600_302600_NS10device_ptrIlEEjNS1_19radix_merge_compareILb0ELb0EhNS0_19identity_decomposerEEEEE10hipError_tT0_T1_T2_jT3_P12ihipStream_tbPNSt15iterator_traitsISG_E10value_typeEPNSM_ISH_E10value_typeEPSI_NS1_7vsmem_tEENKUlT_SG_SH_SI_E_clIS7_S7_PlSB_EESF_SV_SG_SH_SI_EUlSV_E1_NS1_11comp_targetILNS1_3genE0ELNS1_11target_archE4294967295ELNS1_3gpuE0ELNS1_3repE0EEENS1_36merge_oddeven_config_static_selectorELNS0_4arch9wavefront6targetE1EEEvSH_.private_seg_size, 0
	.set _ZN7rocprim17ROCPRIM_400000_NS6detail17trampoline_kernelINS0_14default_configENS1_38merge_sort_block_merge_config_selectorIhlEEZZNS1_27merge_sort_block_merge_implIS3_PhN6thrust23THRUST_200600_302600_NS10device_ptrIlEEjNS1_19radix_merge_compareILb0ELb0EhNS0_19identity_decomposerEEEEE10hipError_tT0_T1_T2_jT3_P12ihipStream_tbPNSt15iterator_traitsISG_E10value_typeEPNSM_ISH_E10value_typeEPSI_NS1_7vsmem_tEENKUlT_SG_SH_SI_E_clIS7_S7_PlSB_EESF_SV_SG_SH_SI_EUlSV_E1_NS1_11comp_targetILNS1_3genE0ELNS1_11target_archE4294967295ELNS1_3gpuE0ELNS1_3repE0EEENS1_36merge_oddeven_config_static_selectorELNS0_4arch9wavefront6targetE1EEEvSH_.uses_vcc, 0
	.set _ZN7rocprim17ROCPRIM_400000_NS6detail17trampoline_kernelINS0_14default_configENS1_38merge_sort_block_merge_config_selectorIhlEEZZNS1_27merge_sort_block_merge_implIS3_PhN6thrust23THRUST_200600_302600_NS10device_ptrIlEEjNS1_19radix_merge_compareILb0ELb0EhNS0_19identity_decomposerEEEEE10hipError_tT0_T1_T2_jT3_P12ihipStream_tbPNSt15iterator_traitsISG_E10value_typeEPNSM_ISH_E10value_typeEPSI_NS1_7vsmem_tEENKUlT_SG_SH_SI_E_clIS7_S7_PlSB_EESF_SV_SG_SH_SI_EUlSV_E1_NS1_11comp_targetILNS1_3genE0ELNS1_11target_archE4294967295ELNS1_3gpuE0ELNS1_3repE0EEENS1_36merge_oddeven_config_static_selectorELNS0_4arch9wavefront6targetE1EEEvSH_.uses_flat_scratch, 0
	.set _ZN7rocprim17ROCPRIM_400000_NS6detail17trampoline_kernelINS0_14default_configENS1_38merge_sort_block_merge_config_selectorIhlEEZZNS1_27merge_sort_block_merge_implIS3_PhN6thrust23THRUST_200600_302600_NS10device_ptrIlEEjNS1_19radix_merge_compareILb0ELb0EhNS0_19identity_decomposerEEEEE10hipError_tT0_T1_T2_jT3_P12ihipStream_tbPNSt15iterator_traitsISG_E10value_typeEPNSM_ISH_E10value_typeEPSI_NS1_7vsmem_tEENKUlT_SG_SH_SI_E_clIS7_S7_PlSB_EESF_SV_SG_SH_SI_EUlSV_E1_NS1_11comp_targetILNS1_3genE0ELNS1_11target_archE4294967295ELNS1_3gpuE0ELNS1_3repE0EEENS1_36merge_oddeven_config_static_selectorELNS0_4arch9wavefront6targetE1EEEvSH_.has_dyn_sized_stack, 0
	.set _ZN7rocprim17ROCPRIM_400000_NS6detail17trampoline_kernelINS0_14default_configENS1_38merge_sort_block_merge_config_selectorIhlEEZZNS1_27merge_sort_block_merge_implIS3_PhN6thrust23THRUST_200600_302600_NS10device_ptrIlEEjNS1_19radix_merge_compareILb0ELb0EhNS0_19identity_decomposerEEEEE10hipError_tT0_T1_T2_jT3_P12ihipStream_tbPNSt15iterator_traitsISG_E10value_typeEPNSM_ISH_E10value_typeEPSI_NS1_7vsmem_tEENKUlT_SG_SH_SI_E_clIS7_S7_PlSB_EESF_SV_SG_SH_SI_EUlSV_E1_NS1_11comp_targetILNS1_3genE0ELNS1_11target_archE4294967295ELNS1_3gpuE0ELNS1_3repE0EEENS1_36merge_oddeven_config_static_selectorELNS0_4arch9wavefront6targetE1EEEvSH_.has_recursion, 0
	.set _ZN7rocprim17ROCPRIM_400000_NS6detail17trampoline_kernelINS0_14default_configENS1_38merge_sort_block_merge_config_selectorIhlEEZZNS1_27merge_sort_block_merge_implIS3_PhN6thrust23THRUST_200600_302600_NS10device_ptrIlEEjNS1_19radix_merge_compareILb0ELb0EhNS0_19identity_decomposerEEEEE10hipError_tT0_T1_T2_jT3_P12ihipStream_tbPNSt15iterator_traitsISG_E10value_typeEPNSM_ISH_E10value_typeEPSI_NS1_7vsmem_tEENKUlT_SG_SH_SI_E_clIS7_S7_PlSB_EESF_SV_SG_SH_SI_EUlSV_E1_NS1_11comp_targetILNS1_3genE0ELNS1_11target_archE4294967295ELNS1_3gpuE0ELNS1_3repE0EEENS1_36merge_oddeven_config_static_selectorELNS0_4arch9wavefront6targetE1EEEvSH_.has_indirect_call, 0
	.section	.AMDGPU.csdata,"",@progbits
; Kernel info:
; codeLenInByte = 0
; TotalNumSgprs: 4
; NumVgprs: 0
; ScratchSize: 0
; MemoryBound: 0
; FloatMode: 240
; IeeeMode: 1
; LDSByteSize: 0 bytes/workgroup (compile time only)
; SGPRBlocks: 0
; VGPRBlocks: 0
; NumSGPRsForWavesPerEU: 4
; NumVGPRsForWavesPerEU: 1
; Occupancy: 10
; WaveLimiterHint : 0
; COMPUTE_PGM_RSRC2:SCRATCH_EN: 0
; COMPUTE_PGM_RSRC2:USER_SGPR: 6
; COMPUTE_PGM_RSRC2:TRAP_HANDLER: 0
; COMPUTE_PGM_RSRC2:TGID_X_EN: 1
; COMPUTE_PGM_RSRC2:TGID_Y_EN: 0
; COMPUTE_PGM_RSRC2:TGID_Z_EN: 0
; COMPUTE_PGM_RSRC2:TIDIG_COMP_CNT: 0
	.section	.text._ZN7rocprim17ROCPRIM_400000_NS6detail17trampoline_kernelINS0_14default_configENS1_38merge_sort_block_merge_config_selectorIhlEEZZNS1_27merge_sort_block_merge_implIS3_PhN6thrust23THRUST_200600_302600_NS10device_ptrIlEEjNS1_19radix_merge_compareILb0ELb0EhNS0_19identity_decomposerEEEEE10hipError_tT0_T1_T2_jT3_P12ihipStream_tbPNSt15iterator_traitsISG_E10value_typeEPNSM_ISH_E10value_typeEPSI_NS1_7vsmem_tEENKUlT_SG_SH_SI_E_clIS7_S7_PlSB_EESF_SV_SG_SH_SI_EUlSV_E1_NS1_11comp_targetILNS1_3genE10ELNS1_11target_archE1201ELNS1_3gpuE5ELNS1_3repE0EEENS1_36merge_oddeven_config_static_selectorELNS0_4arch9wavefront6targetE1EEEvSH_,"axG",@progbits,_ZN7rocprim17ROCPRIM_400000_NS6detail17trampoline_kernelINS0_14default_configENS1_38merge_sort_block_merge_config_selectorIhlEEZZNS1_27merge_sort_block_merge_implIS3_PhN6thrust23THRUST_200600_302600_NS10device_ptrIlEEjNS1_19radix_merge_compareILb0ELb0EhNS0_19identity_decomposerEEEEE10hipError_tT0_T1_T2_jT3_P12ihipStream_tbPNSt15iterator_traitsISG_E10value_typeEPNSM_ISH_E10value_typeEPSI_NS1_7vsmem_tEENKUlT_SG_SH_SI_E_clIS7_S7_PlSB_EESF_SV_SG_SH_SI_EUlSV_E1_NS1_11comp_targetILNS1_3genE10ELNS1_11target_archE1201ELNS1_3gpuE5ELNS1_3repE0EEENS1_36merge_oddeven_config_static_selectorELNS0_4arch9wavefront6targetE1EEEvSH_,comdat
	.protected	_ZN7rocprim17ROCPRIM_400000_NS6detail17trampoline_kernelINS0_14default_configENS1_38merge_sort_block_merge_config_selectorIhlEEZZNS1_27merge_sort_block_merge_implIS3_PhN6thrust23THRUST_200600_302600_NS10device_ptrIlEEjNS1_19radix_merge_compareILb0ELb0EhNS0_19identity_decomposerEEEEE10hipError_tT0_T1_T2_jT3_P12ihipStream_tbPNSt15iterator_traitsISG_E10value_typeEPNSM_ISH_E10value_typeEPSI_NS1_7vsmem_tEENKUlT_SG_SH_SI_E_clIS7_S7_PlSB_EESF_SV_SG_SH_SI_EUlSV_E1_NS1_11comp_targetILNS1_3genE10ELNS1_11target_archE1201ELNS1_3gpuE5ELNS1_3repE0EEENS1_36merge_oddeven_config_static_selectorELNS0_4arch9wavefront6targetE1EEEvSH_ ; -- Begin function _ZN7rocprim17ROCPRIM_400000_NS6detail17trampoline_kernelINS0_14default_configENS1_38merge_sort_block_merge_config_selectorIhlEEZZNS1_27merge_sort_block_merge_implIS3_PhN6thrust23THRUST_200600_302600_NS10device_ptrIlEEjNS1_19radix_merge_compareILb0ELb0EhNS0_19identity_decomposerEEEEE10hipError_tT0_T1_T2_jT3_P12ihipStream_tbPNSt15iterator_traitsISG_E10value_typeEPNSM_ISH_E10value_typeEPSI_NS1_7vsmem_tEENKUlT_SG_SH_SI_E_clIS7_S7_PlSB_EESF_SV_SG_SH_SI_EUlSV_E1_NS1_11comp_targetILNS1_3genE10ELNS1_11target_archE1201ELNS1_3gpuE5ELNS1_3repE0EEENS1_36merge_oddeven_config_static_selectorELNS0_4arch9wavefront6targetE1EEEvSH_
	.globl	_ZN7rocprim17ROCPRIM_400000_NS6detail17trampoline_kernelINS0_14default_configENS1_38merge_sort_block_merge_config_selectorIhlEEZZNS1_27merge_sort_block_merge_implIS3_PhN6thrust23THRUST_200600_302600_NS10device_ptrIlEEjNS1_19radix_merge_compareILb0ELb0EhNS0_19identity_decomposerEEEEE10hipError_tT0_T1_T2_jT3_P12ihipStream_tbPNSt15iterator_traitsISG_E10value_typeEPNSM_ISH_E10value_typeEPSI_NS1_7vsmem_tEENKUlT_SG_SH_SI_E_clIS7_S7_PlSB_EESF_SV_SG_SH_SI_EUlSV_E1_NS1_11comp_targetILNS1_3genE10ELNS1_11target_archE1201ELNS1_3gpuE5ELNS1_3repE0EEENS1_36merge_oddeven_config_static_selectorELNS0_4arch9wavefront6targetE1EEEvSH_
	.p2align	8
	.type	_ZN7rocprim17ROCPRIM_400000_NS6detail17trampoline_kernelINS0_14default_configENS1_38merge_sort_block_merge_config_selectorIhlEEZZNS1_27merge_sort_block_merge_implIS3_PhN6thrust23THRUST_200600_302600_NS10device_ptrIlEEjNS1_19radix_merge_compareILb0ELb0EhNS0_19identity_decomposerEEEEE10hipError_tT0_T1_T2_jT3_P12ihipStream_tbPNSt15iterator_traitsISG_E10value_typeEPNSM_ISH_E10value_typeEPSI_NS1_7vsmem_tEENKUlT_SG_SH_SI_E_clIS7_S7_PlSB_EESF_SV_SG_SH_SI_EUlSV_E1_NS1_11comp_targetILNS1_3genE10ELNS1_11target_archE1201ELNS1_3gpuE5ELNS1_3repE0EEENS1_36merge_oddeven_config_static_selectorELNS0_4arch9wavefront6targetE1EEEvSH_,@function
_ZN7rocprim17ROCPRIM_400000_NS6detail17trampoline_kernelINS0_14default_configENS1_38merge_sort_block_merge_config_selectorIhlEEZZNS1_27merge_sort_block_merge_implIS3_PhN6thrust23THRUST_200600_302600_NS10device_ptrIlEEjNS1_19radix_merge_compareILb0ELb0EhNS0_19identity_decomposerEEEEE10hipError_tT0_T1_T2_jT3_P12ihipStream_tbPNSt15iterator_traitsISG_E10value_typeEPNSM_ISH_E10value_typeEPSI_NS1_7vsmem_tEENKUlT_SG_SH_SI_E_clIS7_S7_PlSB_EESF_SV_SG_SH_SI_EUlSV_E1_NS1_11comp_targetILNS1_3genE10ELNS1_11target_archE1201ELNS1_3gpuE5ELNS1_3repE0EEENS1_36merge_oddeven_config_static_selectorELNS0_4arch9wavefront6targetE1EEEvSH_: ; @_ZN7rocprim17ROCPRIM_400000_NS6detail17trampoline_kernelINS0_14default_configENS1_38merge_sort_block_merge_config_selectorIhlEEZZNS1_27merge_sort_block_merge_implIS3_PhN6thrust23THRUST_200600_302600_NS10device_ptrIlEEjNS1_19radix_merge_compareILb0ELb0EhNS0_19identity_decomposerEEEEE10hipError_tT0_T1_T2_jT3_P12ihipStream_tbPNSt15iterator_traitsISG_E10value_typeEPNSM_ISH_E10value_typeEPSI_NS1_7vsmem_tEENKUlT_SG_SH_SI_E_clIS7_S7_PlSB_EESF_SV_SG_SH_SI_EUlSV_E1_NS1_11comp_targetILNS1_3genE10ELNS1_11target_archE1201ELNS1_3gpuE5ELNS1_3repE0EEENS1_36merge_oddeven_config_static_selectorELNS0_4arch9wavefront6targetE1EEEvSH_
; %bb.0:
	.section	.rodata,"a",@progbits
	.p2align	6, 0x0
	.amdhsa_kernel _ZN7rocprim17ROCPRIM_400000_NS6detail17trampoline_kernelINS0_14default_configENS1_38merge_sort_block_merge_config_selectorIhlEEZZNS1_27merge_sort_block_merge_implIS3_PhN6thrust23THRUST_200600_302600_NS10device_ptrIlEEjNS1_19radix_merge_compareILb0ELb0EhNS0_19identity_decomposerEEEEE10hipError_tT0_T1_T2_jT3_P12ihipStream_tbPNSt15iterator_traitsISG_E10value_typeEPNSM_ISH_E10value_typeEPSI_NS1_7vsmem_tEENKUlT_SG_SH_SI_E_clIS7_S7_PlSB_EESF_SV_SG_SH_SI_EUlSV_E1_NS1_11comp_targetILNS1_3genE10ELNS1_11target_archE1201ELNS1_3gpuE5ELNS1_3repE0EEENS1_36merge_oddeven_config_static_selectorELNS0_4arch9wavefront6targetE1EEEvSH_
		.amdhsa_group_segment_fixed_size 0
		.amdhsa_private_segment_fixed_size 0
		.amdhsa_kernarg_size 48
		.amdhsa_user_sgpr_count 6
		.amdhsa_user_sgpr_private_segment_buffer 1
		.amdhsa_user_sgpr_dispatch_ptr 0
		.amdhsa_user_sgpr_queue_ptr 0
		.amdhsa_user_sgpr_kernarg_segment_ptr 1
		.amdhsa_user_sgpr_dispatch_id 0
		.amdhsa_user_sgpr_flat_scratch_init 0
		.amdhsa_user_sgpr_private_segment_size 0
		.amdhsa_uses_dynamic_stack 0
		.amdhsa_system_sgpr_private_segment_wavefront_offset 0
		.amdhsa_system_sgpr_workgroup_id_x 1
		.amdhsa_system_sgpr_workgroup_id_y 0
		.amdhsa_system_sgpr_workgroup_id_z 0
		.amdhsa_system_sgpr_workgroup_info 0
		.amdhsa_system_vgpr_workitem_id 0
		.amdhsa_next_free_vgpr 1
		.amdhsa_next_free_sgpr 0
		.amdhsa_reserve_vcc 0
		.amdhsa_reserve_flat_scratch 0
		.amdhsa_float_round_mode_32 0
		.amdhsa_float_round_mode_16_64 0
		.amdhsa_float_denorm_mode_32 3
		.amdhsa_float_denorm_mode_16_64 3
		.amdhsa_dx10_clamp 1
		.amdhsa_ieee_mode 1
		.amdhsa_fp16_overflow 0
		.amdhsa_exception_fp_ieee_invalid_op 0
		.amdhsa_exception_fp_denorm_src 0
		.amdhsa_exception_fp_ieee_div_zero 0
		.amdhsa_exception_fp_ieee_overflow 0
		.amdhsa_exception_fp_ieee_underflow 0
		.amdhsa_exception_fp_ieee_inexact 0
		.amdhsa_exception_int_div_zero 0
	.end_amdhsa_kernel
	.section	.text._ZN7rocprim17ROCPRIM_400000_NS6detail17trampoline_kernelINS0_14default_configENS1_38merge_sort_block_merge_config_selectorIhlEEZZNS1_27merge_sort_block_merge_implIS3_PhN6thrust23THRUST_200600_302600_NS10device_ptrIlEEjNS1_19radix_merge_compareILb0ELb0EhNS0_19identity_decomposerEEEEE10hipError_tT0_T1_T2_jT3_P12ihipStream_tbPNSt15iterator_traitsISG_E10value_typeEPNSM_ISH_E10value_typeEPSI_NS1_7vsmem_tEENKUlT_SG_SH_SI_E_clIS7_S7_PlSB_EESF_SV_SG_SH_SI_EUlSV_E1_NS1_11comp_targetILNS1_3genE10ELNS1_11target_archE1201ELNS1_3gpuE5ELNS1_3repE0EEENS1_36merge_oddeven_config_static_selectorELNS0_4arch9wavefront6targetE1EEEvSH_,"axG",@progbits,_ZN7rocprim17ROCPRIM_400000_NS6detail17trampoline_kernelINS0_14default_configENS1_38merge_sort_block_merge_config_selectorIhlEEZZNS1_27merge_sort_block_merge_implIS3_PhN6thrust23THRUST_200600_302600_NS10device_ptrIlEEjNS1_19radix_merge_compareILb0ELb0EhNS0_19identity_decomposerEEEEE10hipError_tT0_T1_T2_jT3_P12ihipStream_tbPNSt15iterator_traitsISG_E10value_typeEPNSM_ISH_E10value_typeEPSI_NS1_7vsmem_tEENKUlT_SG_SH_SI_E_clIS7_S7_PlSB_EESF_SV_SG_SH_SI_EUlSV_E1_NS1_11comp_targetILNS1_3genE10ELNS1_11target_archE1201ELNS1_3gpuE5ELNS1_3repE0EEENS1_36merge_oddeven_config_static_selectorELNS0_4arch9wavefront6targetE1EEEvSH_,comdat
.Lfunc_end141:
	.size	_ZN7rocprim17ROCPRIM_400000_NS6detail17trampoline_kernelINS0_14default_configENS1_38merge_sort_block_merge_config_selectorIhlEEZZNS1_27merge_sort_block_merge_implIS3_PhN6thrust23THRUST_200600_302600_NS10device_ptrIlEEjNS1_19radix_merge_compareILb0ELb0EhNS0_19identity_decomposerEEEEE10hipError_tT0_T1_T2_jT3_P12ihipStream_tbPNSt15iterator_traitsISG_E10value_typeEPNSM_ISH_E10value_typeEPSI_NS1_7vsmem_tEENKUlT_SG_SH_SI_E_clIS7_S7_PlSB_EESF_SV_SG_SH_SI_EUlSV_E1_NS1_11comp_targetILNS1_3genE10ELNS1_11target_archE1201ELNS1_3gpuE5ELNS1_3repE0EEENS1_36merge_oddeven_config_static_selectorELNS0_4arch9wavefront6targetE1EEEvSH_, .Lfunc_end141-_ZN7rocprim17ROCPRIM_400000_NS6detail17trampoline_kernelINS0_14default_configENS1_38merge_sort_block_merge_config_selectorIhlEEZZNS1_27merge_sort_block_merge_implIS3_PhN6thrust23THRUST_200600_302600_NS10device_ptrIlEEjNS1_19radix_merge_compareILb0ELb0EhNS0_19identity_decomposerEEEEE10hipError_tT0_T1_T2_jT3_P12ihipStream_tbPNSt15iterator_traitsISG_E10value_typeEPNSM_ISH_E10value_typeEPSI_NS1_7vsmem_tEENKUlT_SG_SH_SI_E_clIS7_S7_PlSB_EESF_SV_SG_SH_SI_EUlSV_E1_NS1_11comp_targetILNS1_3genE10ELNS1_11target_archE1201ELNS1_3gpuE5ELNS1_3repE0EEENS1_36merge_oddeven_config_static_selectorELNS0_4arch9wavefront6targetE1EEEvSH_
                                        ; -- End function
	.set _ZN7rocprim17ROCPRIM_400000_NS6detail17trampoline_kernelINS0_14default_configENS1_38merge_sort_block_merge_config_selectorIhlEEZZNS1_27merge_sort_block_merge_implIS3_PhN6thrust23THRUST_200600_302600_NS10device_ptrIlEEjNS1_19radix_merge_compareILb0ELb0EhNS0_19identity_decomposerEEEEE10hipError_tT0_T1_T2_jT3_P12ihipStream_tbPNSt15iterator_traitsISG_E10value_typeEPNSM_ISH_E10value_typeEPSI_NS1_7vsmem_tEENKUlT_SG_SH_SI_E_clIS7_S7_PlSB_EESF_SV_SG_SH_SI_EUlSV_E1_NS1_11comp_targetILNS1_3genE10ELNS1_11target_archE1201ELNS1_3gpuE5ELNS1_3repE0EEENS1_36merge_oddeven_config_static_selectorELNS0_4arch9wavefront6targetE1EEEvSH_.num_vgpr, 0
	.set _ZN7rocprim17ROCPRIM_400000_NS6detail17trampoline_kernelINS0_14default_configENS1_38merge_sort_block_merge_config_selectorIhlEEZZNS1_27merge_sort_block_merge_implIS3_PhN6thrust23THRUST_200600_302600_NS10device_ptrIlEEjNS1_19radix_merge_compareILb0ELb0EhNS0_19identity_decomposerEEEEE10hipError_tT0_T1_T2_jT3_P12ihipStream_tbPNSt15iterator_traitsISG_E10value_typeEPNSM_ISH_E10value_typeEPSI_NS1_7vsmem_tEENKUlT_SG_SH_SI_E_clIS7_S7_PlSB_EESF_SV_SG_SH_SI_EUlSV_E1_NS1_11comp_targetILNS1_3genE10ELNS1_11target_archE1201ELNS1_3gpuE5ELNS1_3repE0EEENS1_36merge_oddeven_config_static_selectorELNS0_4arch9wavefront6targetE1EEEvSH_.num_agpr, 0
	.set _ZN7rocprim17ROCPRIM_400000_NS6detail17trampoline_kernelINS0_14default_configENS1_38merge_sort_block_merge_config_selectorIhlEEZZNS1_27merge_sort_block_merge_implIS3_PhN6thrust23THRUST_200600_302600_NS10device_ptrIlEEjNS1_19radix_merge_compareILb0ELb0EhNS0_19identity_decomposerEEEEE10hipError_tT0_T1_T2_jT3_P12ihipStream_tbPNSt15iterator_traitsISG_E10value_typeEPNSM_ISH_E10value_typeEPSI_NS1_7vsmem_tEENKUlT_SG_SH_SI_E_clIS7_S7_PlSB_EESF_SV_SG_SH_SI_EUlSV_E1_NS1_11comp_targetILNS1_3genE10ELNS1_11target_archE1201ELNS1_3gpuE5ELNS1_3repE0EEENS1_36merge_oddeven_config_static_selectorELNS0_4arch9wavefront6targetE1EEEvSH_.numbered_sgpr, 0
	.set _ZN7rocprim17ROCPRIM_400000_NS6detail17trampoline_kernelINS0_14default_configENS1_38merge_sort_block_merge_config_selectorIhlEEZZNS1_27merge_sort_block_merge_implIS3_PhN6thrust23THRUST_200600_302600_NS10device_ptrIlEEjNS1_19radix_merge_compareILb0ELb0EhNS0_19identity_decomposerEEEEE10hipError_tT0_T1_T2_jT3_P12ihipStream_tbPNSt15iterator_traitsISG_E10value_typeEPNSM_ISH_E10value_typeEPSI_NS1_7vsmem_tEENKUlT_SG_SH_SI_E_clIS7_S7_PlSB_EESF_SV_SG_SH_SI_EUlSV_E1_NS1_11comp_targetILNS1_3genE10ELNS1_11target_archE1201ELNS1_3gpuE5ELNS1_3repE0EEENS1_36merge_oddeven_config_static_selectorELNS0_4arch9wavefront6targetE1EEEvSH_.num_named_barrier, 0
	.set _ZN7rocprim17ROCPRIM_400000_NS6detail17trampoline_kernelINS0_14default_configENS1_38merge_sort_block_merge_config_selectorIhlEEZZNS1_27merge_sort_block_merge_implIS3_PhN6thrust23THRUST_200600_302600_NS10device_ptrIlEEjNS1_19radix_merge_compareILb0ELb0EhNS0_19identity_decomposerEEEEE10hipError_tT0_T1_T2_jT3_P12ihipStream_tbPNSt15iterator_traitsISG_E10value_typeEPNSM_ISH_E10value_typeEPSI_NS1_7vsmem_tEENKUlT_SG_SH_SI_E_clIS7_S7_PlSB_EESF_SV_SG_SH_SI_EUlSV_E1_NS1_11comp_targetILNS1_3genE10ELNS1_11target_archE1201ELNS1_3gpuE5ELNS1_3repE0EEENS1_36merge_oddeven_config_static_selectorELNS0_4arch9wavefront6targetE1EEEvSH_.private_seg_size, 0
	.set _ZN7rocprim17ROCPRIM_400000_NS6detail17trampoline_kernelINS0_14default_configENS1_38merge_sort_block_merge_config_selectorIhlEEZZNS1_27merge_sort_block_merge_implIS3_PhN6thrust23THRUST_200600_302600_NS10device_ptrIlEEjNS1_19radix_merge_compareILb0ELb0EhNS0_19identity_decomposerEEEEE10hipError_tT0_T1_T2_jT3_P12ihipStream_tbPNSt15iterator_traitsISG_E10value_typeEPNSM_ISH_E10value_typeEPSI_NS1_7vsmem_tEENKUlT_SG_SH_SI_E_clIS7_S7_PlSB_EESF_SV_SG_SH_SI_EUlSV_E1_NS1_11comp_targetILNS1_3genE10ELNS1_11target_archE1201ELNS1_3gpuE5ELNS1_3repE0EEENS1_36merge_oddeven_config_static_selectorELNS0_4arch9wavefront6targetE1EEEvSH_.uses_vcc, 0
	.set _ZN7rocprim17ROCPRIM_400000_NS6detail17trampoline_kernelINS0_14default_configENS1_38merge_sort_block_merge_config_selectorIhlEEZZNS1_27merge_sort_block_merge_implIS3_PhN6thrust23THRUST_200600_302600_NS10device_ptrIlEEjNS1_19radix_merge_compareILb0ELb0EhNS0_19identity_decomposerEEEEE10hipError_tT0_T1_T2_jT3_P12ihipStream_tbPNSt15iterator_traitsISG_E10value_typeEPNSM_ISH_E10value_typeEPSI_NS1_7vsmem_tEENKUlT_SG_SH_SI_E_clIS7_S7_PlSB_EESF_SV_SG_SH_SI_EUlSV_E1_NS1_11comp_targetILNS1_3genE10ELNS1_11target_archE1201ELNS1_3gpuE5ELNS1_3repE0EEENS1_36merge_oddeven_config_static_selectorELNS0_4arch9wavefront6targetE1EEEvSH_.uses_flat_scratch, 0
	.set _ZN7rocprim17ROCPRIM_400000_NS6detail17trampoline_kernelINS0_14default_configENS1_38merge_sort_block_merge_config_selectorIhlEEZZNS1_27merge_sort_block_merge_implIS3_PhN6thrust23THRUST_200600_302600_NS10device_ptrIlEEjNS1_19radix_merge_compareILb0ELb0EhNS0_19identity_decomposerEEEEE10hipError_tT0_T1_T2_jT3_P12ihipStream_tbPNSt15iterator_traitsISG_E10value_typeEPNSM_ISH_E10value_typeEPSI_NS1_7vsmem_tEENKUlT_SG_SH_SI_E_clIS7_S7_PlSB_EESF_SV_SG_SH_SI_EUlSV_E1_NS1_11comp_targetILNS1_3genE10ELNS1_11target_archE1201ELNS1_3gpuE5ELNS1_3repE0EEENS1_36merge_oddeven_config_static_selectorELNS0_4arch9wavefront6targetE1EEEvSH_.has_dyn_sized_stack, 0
	.set _ZN7rocprim17ROCPRIM_400000_NS6detail17trampoline_kernelINS0_14default_configENS1_38merge_sort_block_merge_config_selectorIhlEEZZNS1_27merge_sort_block_merge_implIS3_PhN6thrust23THRUST_200600_302600_NS10device_ptrIlEEjNS1_19radix_merge_compareILb0ELb0EhNS0_19identity_decomposerEEEEE10hipError_tT0_T1_T2_jT3_P12ihipStream_tbPNSt15iterator_traitsISG_E10value_typeEPNSM_ISH_E10value_typeEPSI_NS1_7vsmem_tEENKUlT_SG_SH_SI_E_clIS7_S7_PlSB_EESF_SV_SG_SH_SI_EUlSV_E1_NS1_11comp_targetILNS1_3genE10ELNS1_11target_archE1201ELNS1_3gpuE5ELNS1_3repE0EEENS1_36merge_oddeven_config_static_selectorELNS0_4arch9wavefront6targetE1EEEvSH_.has_recursion, 0
	.set _ZN7rocprim17ROCPRIM_400000_NS6detail17trampoline_kernelINS0_14default_configENS1_38merge_sort_block_merge_config_selectorIhlEEZZNS1_27merge_sort_block_merge_implIS3_PhN6thrust23THRUST_200600_302600_NS10device_ptrIlEEjNS1_19radix_merge_compareILb0ELb0EhNS0_19identity_decomposerEEEEE10hipError_tT0_T1_T2_jT3_P12ihipStream_tbPNSt15iterator_traitsISG_E10value_typeEPNSM_ISH_E10value_typeEPSI_NS1_7vsmem_tEENKUlT_SG_SH_SI_E_clIS7_S7_PlSB_EESF_SV_SG_SH_SI_EUlSV_E1_NS1_11comp_targetILNS1_3genE10ELNS1_11target_archE1201ELNS1_3gpuE5ELNS1_3repE0EEENS1_36merge_oddeven_config_static_selectorELNS0_4arch9wavefront6targetE1EEEvSH_.has_indirect_call, 0
	.section	.AMDGPU.csdata,"",@progbits
; Kernel info:
; codeLenInByte = 0
; TotalNumSgprs: 4
; NumVgprs: 0
; ScratchSize: 0
; MemoryBound: 0
; FloatMode: 240
; IeeeMode: 1
; LDSByteSize: 0 bytes/workgroup (compile time only)
; SGPRBlocks: 0
; VGPRBlocks: 0
; NumSGPRsForWavesPerEU: 4
; NumVGPRsForWavesPerEU: 1
; Occupancy: 10
; WaveLimiterHint : 0
; COMPUTE_PGM_RSRC2:SCRATCH_EN: 0
; COMPUTE_PGM_RSRC2:USER_SGPR: 6
; COMPUTE_PGM_RSRC2:TRAP_HANDLER: 0
; COMPUTE_PGM_RSRC2:TGID_X_EN: 1
; COMPUTE_PGM_RSRC2:TGID_Y_EN: 0
; COMPUTE_PGM_RSRC2:TGID_Z_EN: 0
; COMPUTE_PGM_RSRC2:TIDIG_COMP_CNT: 0
	.section	.text._ZN7rocprim17ROCPRIM_400000_NS6detail17trampoline_kernelINS0_14default_configENS1_38merge_sort_block_merge_config_selectorIhlEEZZNS1_27merge_sort_block_merge_implIS3_PhN6thrust23THRUST_200600_302600_NS10device_ptrIlEEjNS1_19radix_merge_compareILb0ELb0EhNS0_19identity_decomposerEEEEE10hipError_tT0_T1_T2_jT3_P12ihipStream_tbPNSt15iterator_traitsISG_E10value_typeEPNSM_ISH_E10value_typeEPSI_NS1_7vsmem_tEENKUlT_SG_SH_SI_E_clIS7_S7_PlSB_EESF_SV_SG_SH_SI_EUlSV_E1_NS1_11comp_targetILNS1_3genE5ELNS1_11target_archE942ELNS1_3gpuE9ELNS1_3repE0EEENS1_36merge_oddeven_config_static_selectorELNS0_4arch9wavefront6targetE1EEEvSH_,"axG",@progbits,_ZN7rocprim17ROCPRIM_400000_NS6detail17trampoline_kernelINS0_14default_configENS1_38merge_sort_block_merge_config_selectorIhlEEZZNS1_27merge_sort_block_merge_implIS3_PhN6thrust23THRUST_200600_302600_NS10device_ptrIlEEjNS1_19radix_merge_compareILb0ELb0EhNS0_19identity_decomposerEEEEE10hipError_tT0_T1_T2_jT3_P12ihipStream_tbPNSt15iterator_traitsISG_E10value_typeEPNSM_ISH_E10value_typeEPSI_NS1_7vsmem_tEENKUlT_SG_SH_SI_E_clIS7_S7_PlSB_EESF_SV_SG_SH_SI_EUlSV_E1_NS1_11comp_targetILNS1_3genE5ELNS1_11target_archE942ELNS1_3gpuE9ELNS1_3repE0EEENS1_36merge_oddeven_config_static_selectorELNS0_4arch9wavefront6targetE1EEEvSH_,comdat
	.protected	_ZN7rocprim17ROCPRIM_400000_NS6detail17trampoline_kernelINS0_14default_configENS1_38merge_sort_block_merge_config_selectorIhlEEZZNS1_27merge_sort_block_merge_implIS3_PhN6thrust23THRUST_200600_302600_NS10device_ptrIlEEjNS1_19radix_merge_compareILb0ELb0EhNS0_19identity_decomposerEEEEE10hipError_tT0_T1_T2_jT3_P12ihipStream_tbPNSt15iterator_traitsISG_E10value_typeEPNSM_ISH_E10value_typeEPSI_NS1_7vsmem_tEENKUlT_SG_SH_SI_E_clIS7_S7_PlSB_EESF_SV_SG_SH_SI_EUlSV_E1_NS1_11comp_targetILNS1_3genE5ELNS1_11target_archE942ELNS1_3gpuE9ELNS1_3repE0EEENS1_36merge_oddeven_config_static_selectorELNS0_4arch9wavefront6targetE1EEEvSH_ ; -- Begin function _ZN7rocprim17ROCPRIM_400000_NS6detail17trampoline_kernelINS0_14default_configENS1_38merge_sort_block_merge_config_selectorIhlEEZZNS1_27merge_sort_block_merge_implIS3_PhN6thrust23THRUST_200600_302600_NS10device_ptrIlEEjNS1_19radix_merge_compareILb0ELb0EhNS0_19identity_decomposerEEEEE10hipError_tT0_T1_T2_jT3_P12ihipStream_tbPNSt15iterator_traitsISG_E10value_typeEPNSM_ISH_E10value_typeEPSI_NS1_7vsmem_tEENKUlT_SG_SH_SI_E_clIS7_S7_PlSB_EESF_SV_SG_SH_SI_EUlSV_E1_NS1_11comp_targetILNS1_3genE5ELNS1_11target_archE942ELNS1_3gpuE9ELNS1_3repE0EEENS1_36merge_oddeven_config_static_selectorELNS0_4arch9wavefront6targetE1EEEvSH_
	.globl	_ZN7rocprim17ROCPRIM_400000_NS6detail17trampoline_kernelINS0_14default_configENS1_38merge_sort_block_merge_config_selectorIhlEEZZNS1_27merge_sort_block_merge_implIS3_PhN6thrust23THRUST_200600_302600_NS10device_ptrIlEEjNS1_19radix_merge_compareILb0ELb0EhNS0_19identity_decomposerEEEEE10hipError_tT0_T1_T2_jT3_P12ihipStream_tbPNSt15iterator_traitsISG_E10value_typeEPNSM_ISH_E10value_typeEPSI_NS1_7vsmem_tEENKUlT_SG_SH_SI_E_clIS7_S7_PlSB_EESF_SV_SG_SH_SI_EUlSV_E1_NS1_11comp_targetILNS1_3genE5ELNS1_11target_archE942ELNS1_3gpuE9ELNS1_3repE0EEENS1_36merge_oddeven_config_static_selectorELNS0_4arch9wavefront6targetE1EEEvSH_
	.p2align	8
	.type	_ZN7rocprim17ROCPRIM_400000_NS6detail17trampoline_kernelINS0_14default_configENS1_38merge_sort_block_merge_config_selectorIhlEEZZNS1_27merge_sort_block_merge_implIS3_PhN6thrust23THRUST_200600_302600_NS10device_ptrIlEEjNS1_19radix_merge_compareILb0ELb0EhNS0_19identity_decomposerEEEEE10hipError_tT0_T1_T2_jT3_P12ihipStream_tbPNSt15iterator_traitsISG_E10value_typeEPNSM_ISH_E10value_typeEPSI_NS1_7vsmem_tEENKUlT_SG_SH_SI_E_clIS7_S7_PlSB_EESF_SV_SG_SH_SI_EUlSV_E1_NS1_11comp_targetILNS1_3genE5ELNS1_11target_archE942ELNS1_3gpuE9ELNS1_3repE0EEENS1_36merge_oddeven_config_static_selectorELNS0_4arch9wavefront6targetE1EEEvSH_,@function
_ZN7rocprim17ROCPRIM_400000_NS6detail17trampoline_kernelINS0_14default_configENS1_38merge_sort_block_merge_config_selectorIhlEEZZNS1_27merge_sort_block_merge_implIS3_PhN6thrust23THRUST_200600_302600_NS10device_ptrIlEEjNS1_19radix_merge_compareILb0ELb0EhNS0_19identity_decomposerEEEEE10hipError_tT0_T1_T2_jT3_P12ihipStream_tbPNSt15iterator_traitsISG_E10value_typeEPNSM_ISH_E10value_typeEPSI_NS1_7vsmem_tEENKUlT_SG_SH_SI_E_clIS7_S7_PlSB_EESF_SV_SG_SH_SI_EUlSV_E1_NS1_11comp_targetILNS1_3genE5ELNS1_11target_archE942ELNS1_3gpuE9ELNS1_3repE0EEENS1_36merge_oddeven_config_static_selectorELNS0_4arch9wavefront6targetE1EEEvSH_: ; @_ZN7rocprim17ROCPRIM_400000_NS6detail17trampoline_kernelINS0_14default_configENS1_38merge_sort_block_merge_config_selectorIhlEEZZNS1_27merge_sort_block_merge_implIS3_PhN6thrust23THRUST_200600_302600_NS10device_ptrIlEEjNS1_19radix_merge_compareILb0ELb0EhNS0_19identity_decomposerEEEEE10hipError_tT0_T1_T2_jT3_P12ihipStream_tbPNSt15iterator_traitsISG_E10value_typeEPNSM_ISH_E10value_typeEPSI_NS1_7vsmem_tEENKUlT_SG_SH_SI_E_clIS7_S7_PlSB_EESF_SV_SG_SH_SI_EUlSV_E1_NS1_11comp_targetILNS1_3genE5ELNS1_11target_archE942ELNS1_3gpuE9ELNS1_3repE0EEENS1_36merge_oddeven_config_static_selectorELNS0_4arch9wavefront6targetE1EEEvSH_
; %bb.0:
	.section	.rodata,"a",@progbits
	.p2align	6, 0x0
	.amdhsa_kernel _ZN7rocprim17ROCPRIM_400000_NS6detail17trampoline_kernelINS0_14default_configENS1_38merge_sort_block_merge_config_selectorIhlEEZZNS1_27merge_sort_block_merge_implIS3_PhN6thrust23THRUST_200600_302600_NS10device_ptrIlEEjNS1_19radix_merge_compareILb0ELb0EhNS0_19identity_decomposerEEEEE10hipError_tT0_T1_T2_jT3_P12ihipStream_tbPNSt15iterator_traitsISG_E10value_typeEPNSM_ISH_E10value_typeEPSI_NS1_7vsmem_tEENKUlT_SG_SH_SI_E_clIS7_S7_PlSB_EESF_SV_SG_SH_SI_EUlSV_E1_NS1_11comp_targetILNS1_3genE5ELNS1_11target_archE942ELNS1_3gpuE9ELNS1_3repE0EEENS1_36merge_oddeven_config_static_selectorELNS0_4arch9wavefront6targetE1EEEvSH_
		.amdhsa_group_segment_fixed_size 0
		.amdhsa_private_segment_fixed_size 0
		.amdhsa_kernarg_size 48
		.amdhsa_user_sgpr_count 6
		.amdhsa_user_sgpr_private_segment_buffer 1
		.amdhsa_user_sgpr_dispatch_ptr 0
		.amdhsa_user_sgpr_queue_ptr 0
		.amdhsa_user_sgpr_kernarg_segment_ptr 1
		.amdhsa_user_sgpr_dispatch_id 0
		.amdhsa_user_sgpr_flat_scratch_init 0
		.amdhsa_user_sgpr_private_segment_size 0
		.amdhsa_uses_dynamic_stack 0
		.amdhsa_system_sgpr_private_segment_wavefront_offset 0
		.amdhsa_system_sgpr_workgroup_id_x 1
		.amdhsa_system_sgpr_workgroup_id_y 0
		.amdhsa_system_sgpr_workgroup_id_z 0
		.amdhsa_system_sgpr_workgroup_info 0
		.amdhsa_system_vgpr_workitem_id 0
		.amdhsa_next_free_vgpr 1
		.amdhsa_next_free_sgpr 0
		.amdhsa_reserve_vcc 0
		.amdhsa_reserve_flat_scratch 0
		.amdhsa_float_round_mode_32 0
		.amdhsa_float_round_mode_16_64 0
		.amdhsa_float_denorm_mode_32 3
		.amdhsa_float_denorm_mode_16_64 3
		.amdhsa_dx10_clamp 1
		.amdhsa_ieee_mode 1
		.amdhsa_fp16_overflow 0
		.amdhsa_exception_fp_ieee_invalid_op 0
		.amdhsa_exception_fp_denorm_src 0
		.amdhsa_exception_fp_ieee_div_zero 0
		.amdhsa_exception_fp_ieee_overflow 0
		.amdhsa_exception_fp_ieee_underflow 0
		.amdhsa_exception_fp_ieee_inexact 0
		.amdhsa_exception_int_div_zero 0
	.end_amdhsa_kernel
	.section	.text._ZN7rocprim17ROCPRIM_400000_NS6detail17trampoline_kernelINS0_14default_configENS1_38merge_sort_block_merge_config_selectorIhlEEZZNS1_27merge_sort_block_merge_implIS3_PhN6thrust23THRUST_200600_302600_NS10device_ptrIlEEjNS1_19radix_merge_compareILb0ELb0EhNS0_19identity_decomposerEEEEE10hipError_tT0_T1_T2_jT3_P12ihipStream_tbPNSt15iterator_traitsISG_E10value_typeEPNSM_ISH_E10value_typeEPSI_NS1_7vsmem_tEENKUlT_SG_SH_SI_E_clIS7_S7_PlSB_EESF_SV_SG_SH_SI_EUlSV_E1_NS1_11comp_targetILNS1_3genE5ELNS1_11target_archE942ELNS1_3gpuE9ELNS1_3repE0EEENS1_36merge_oddeven_config_static_selectorELNS0_4arch9wavefront6targetE1EEEvSH_,"axG",@progbits,_ZN7rocprim17ROCPRIM_400000_NS6detail17trampoline_kernelINS0_14default_configENS1_38merge_sort_block_merge_config_selectorIhlEEZZNS1_27merge_sort_block_merge_implIS3_PhN6thrust23THRUST_200600_302600_NS10device_ptrIlEEjNS1_19radix_merge_compareILb0ELb0EhNS0_19identity_decomposerEEEEE10hipError_tT0_T1_T2_jT3_P12ihipStream_tbPNSt15iterator_traitsISG_E10value_typeEPNSM_ISH_E10value_typeEPSI_NS1_7vsmem_tEENKUlT_SG_SH_SI_E_clIS7_S7_PlSB_EESF_SV_SG_SH_SI_EUlSV_E1_NS1_11comp_targetILNS1_3genE5ELNS1_11target_archE942ELNS1_3gpuE9ELNS1_3repE0EEENS1_36merge_oddeven_config_static_selectorELNS0_4arch9wavefront6targetE1EEEvSH_,comdat
.Lfunc_end142:
	.size	_ZN7rocprim17ROCPRIM_400000_NS6detail17trampoline_kernelINS0_14default_configENS1_38merge_sort_block_merge_config_selectorIhlEEZZNS1_27merge_sort_block_merge_implIS3_PhN6thrust23THRUST_200600_302600_NS10device_ptrIlEEjNS1_19radix_merge_compareILb0ELb0EhNS0_19identity_decomposerEEEEE10hipError_tT0_T1_T2_jT3_P12ihipStream_tbPNSt15iterator_traitsISG_E10value_typeEPNSM_ISH_E10value_typeEPSI_NS1_7vsmem_tEENKUlT_SG_SH_SI_E_clIS7_S7_PlSB_EESF_SV_SG_SH_SI_EUlSV_E1_NS1_11comp_targetILNS1_3genE5ELNS1_11target_archE942ELNS1_3gpuE9ELNS1_3repE0EEENS1_36merge_oddeven_config_static_selectorELNS0_4arch9wavefront6targetE1EEEvSH_, .Lfunc_end142-_ZN7rocprim17ROCPRIM_400000_NS6detail17trampoline_kernelINS0_14default_configENS1_38merge_sort_block_merge_config_selectorIhlEEZZNS1_27merge_sort_block_merge_implIS3_PhN6thrust23THRUST_200600_302600_NS10device_ptrIlEEjNS1_19radix_merge_compareILb0ELb0EhNS0_19identity_decomposerEEEEE10hipError_tT0_T1_T2_jT3_P12ihipStream_tbPNSt15iterator_traitsISG_E10value_typeEPNSM_ISH_E10value_typeEPSI_NS1_7vsmem_tEENKUlT_SG_SH_SI_E_clIS7_S7_PlSB_EESF_SV_SG_SH_SI_EUlSV_E1_NS1_11comp_targetILNS1_3genE5ELNS1_11target_archE942ELNS1_3gpuE9ELNS1_3repE0EEENS1_36merge_oddeven_config_static_selectorELNS0_4arch9wavefront6targetE1EEEvSH_
                                        ; -- End function
	.set _ZN7rocprim17ROCPRIM_400000_NS6detail17trampoline_kernelINS0_14default_configENS1_38merge_sort_block_merge_config_selectorIhlEEZZNS1_27merge_sort_block_merge_implIS3_PhN6thrust23THRUST_200600_302600_NS10device_ptrIlEEjNS1_19radix_merge_compareILb0ELb0EhNS0_19identity_decomposerEEEEE10hipError_tT0_T1_T2_jT3_P12ihipStream_tbPNSt15iterator_traitsISG_E10value_typeEPNSM_ISH_E10value_typeEPSI_NS1_7vsmem_tEENKUlT_SG_SH_SI_E_clIS7_S7_PlSB_EESF_SV_SG_SH_SI_EUlSV_E1_NS1_11comp_targetILNS1_3genE5ELNS1_11target_archE942ELNS1_3gpuE9ELNS1_3repE0EEENS1_36merge_oddeven_config_static_selectorELNS0_4arch9wavefront6targetE1EEEvSH_.num_vgpr, 0
	.set _ZN7rocprim17ROCPRIM_400000_NS6detail17trampoline_kernelINS0_14default_configENS1_38merge_sort_block_merge_config_selectorIhlEEZZNS1_27merge_sort_block_merge_implIS3_PhN6thrust23THRUST_200600_302600_NS10device_ptrIlEEjNS1_19radix_merge_compareILb0ELb0EhNS0_19identity_decomposerEEEEE10hipError_tT0_T1_T2_jT3_P12ihipStream_tbPNSt15iterator_traitsISG_E10value_typeEPNSM_ISH_E10value_typeEPSI_NS1_7vsmem_tEENKUlT_SG_SH_SI_E_clIS7_S7_PlSB_EESF_SV_SG_SH_SI_EUlSV_E1_NS1_11comp_targetILNS1_3genE5ELNS1_11target_archE942ELNS1_3gpuE9ELNS1_3repE0EEENS1_36merge_oddeven_config_static_selectorELNS0_4arch9wavefront6targetE1EEEvSH_.num_agpr, 0
	.set _ZN7rocprim17ROCPRIM_400000_NS6detail17trampoline_kernelINS0_14default_configENS1_38merge_sort_block_merge_config_selectorIhlEEZZNS1_27merge_sort_block_merge_implIS3_PhN6thrust23THRUST_200600_302600_NS10device_ptrIlEEjNS1_19radix_merge_compareILb0ELb0EhNS0_19identity_decomposerEEEEE10hipError_tT0_T1_T2_jT3_P12ihipStream_tbPNSt15iterator_traitsISG_E10value_typeEPNSM_ISH_E10value_typeEPSI_NS1_7vsmem_tEENKUlT_SG_SH_SI_E_clIS7_S7_PlSB_EESF_SV_SG_SH_SI_EUlSV_E1_NS1_11comp_targetILNS1_3genE5ELNS1_11target_archE942ELNS1_3gpuE9ELNS1_3repE0EEENS1_36merge_oddeven_config_static_selectorELNS0_4arch9wavefront6targetE1EEEvSH_.numbered_sgpr, 0
	.set _ZN7rocprim17ROCPRIM_400000_NS6detail17trampoline_kernelINS0_14default_configENS1_38merge_sort_block_merge_config_selectorIhlEEZZNS1_27merge_sort_block_merge_implIS3_PhN6thrust23THRUST_200600_302600_NS10device_ptrIlEEjNS1_19radix_merge_compareILb0ELb0EhNS0_19identity_decomposerEEEEE10hipError_tT0_T1_T2_jT3_P12ihipStream_tbPNSt15iterator_traitsISG_E10value_typeEPNSM_ISH_E10value_typeEPSI_NS1_7vsmem_tEENKUlT_SG_SH_SI_E_clIS7_S7_PlSB_EESF_SV_SG_SH_SI_EUlSV_E1_NS1_11comp_targetILNS1_3genE5ELNS1_11target_archE942ELNS1_3gpuE9ELNS1_3repE0EEENS1_36merge_oddeven_config_static_selectorELNS0_4arch9wavefront6targetE1EEEvSH_.num_named_barrier, 0
	.set _ZN7rocprim17ROCPRIM_400000_NS6detail17trampoline_kernelINS0_14default_configENS1_38merge_sort_block_merge_config_selectorIhlEEZZNS1_27merge_sort_block_merge_implIS3_PhN6thrust23THRUST_200600_302600_NS10device_ptrIlEEjNS1_19radix_merge_compareILb0ELb0EhNS0_19identity_decomposerEEEEE10hipError_tT0_T1_T2_jT3_P12ihipStream_tbPNSt15iterator_traitsISG_E10value_typeEPNSM_ISH_E10value_typeEPSI_NS1_7vsmem_tEENKUlT_SG_SH_SI_E_clIS7_S7_PlSB_EESF_SV_SG_SH_SI_EUlSV_E1_NS1_11comp_targetILNS1_3genE5ELNS1_11target_archE942ELNS1_3gpuE9ELNS1_3repE0EEENS1_36merge_oddeven_config_static_selectorELNS0_4arch9wavefront6targetE1EEEvSH_.private_seg_size, 0
	.set _ZN7rocprim17ROCPRIM_400000_NS6detail17trampoline_kernelINS0_14default_configENS1_38merge_sort_block_merge_config_selectorIhlEEZZNS1_27merge_sort_block_merge_implIS3_PhN6thrust23THRUST_200600_302600_NS10device_ptrIlEEjNS1_19radix_merge_compareILb0ELb0EhNS0_19identity_decomposerEEEEE10hipError_tT0_T1_T2_jT3_P12ihipStream_tbPNSt15iterator_traitsISG_E10value_typeEPNSM_ISH_E10value_typeEPSI_NS1_7vsmem_tEENKUlT_SG_SH_SI_E_clIS7_S7_PlSB_EESF_SV_SG_SH_SI_EUlSV_E1_NS1_11comp_targetILNS1_3genE5ELNS1_11target_archE942ELNS1_3gpuE9ELNS1_3repE0EEENS1_36merge_oddeven_config_static_selectorELNS0_4arch9wavefront6targetE1EEEvSH_.uses_vcc, 0
	.set _ZN7rocprim17ROCPRIM_400000_NS6detail17trampoline_kernelINS0_14default_configENS1_38merge_sort_block_merge_config_selectorIhlEEZZNS1_27merge_sort_block_merge_implIS3_PhN6thrust23THRUST_200600_302600_NS10device_ptrIlEEjNS1_19radix_merge_compareILb0ELb0EhNS0_19identity_decomposerEEEEE10hipError_tT0_T1_T2_jT3_P12ihipStream_tbPNSt15iterator_traitsISG_E10value_typeEPNSM_ISH_E10value_typeEPSI_NS1_7vsmem_tEENKUlT_SG_SH_SI_E_clIS7_S7_PlSB_EESF_SV_SG_SH_SI_EUlSV_E1_NS1_11comp_targetILNS1_3genE5ELNS1_11target_archE942ELNS1_3gpuE9ELNS1_3repE0EEENS1_36merge_oddeven_config_static_selectorELNS0_4arch9wavefront6targetE1EEEvSH_.uses_flat_scratch, 0
	.set _ZN7rocprim17ROCPRIM_400000_NS6detail17trampoline_kernelINS0_14default_configENS1_38merge_sort_block_merge_config_selectorIhlEEZZNS1_27merge_sort_block_merge_implIS3_PhN6thrust23THRUST_200600_302600_NS10device_ptrIlEEjNS1_19radix_merge_compareILb0ELb0EhNS0_19identity_decomposerEEEEE10hipError_tT0_T1_T2_jT3_P12ihipStream_tbPNSt15iterator_traitsISG_E10value_typeEPNSM_ISH_E10value_typeEPSI_NS1_7vsmem_tEENKUlT_SG_SH_SI_E_clIS7_S7_PlSB_EESF_SV_SG_SH_SI_EUlSV_E1_NS1_11comp_targetILNS1_3genE5ELNS1_11target_archE942ELNS1_3gpuE9ELNS1_3repE0EEENS1_36merge_oddeven_config_static_selectorELNS0_4arch9wavefront6targetE1EEEvSH_.has_dyn_sized_stack, 0
	.set _ZN7rocprim17ROCPRIM_400000_NS6detail17trampoline_kernelINS0_14default_configENS1_38merge_sort_block_merge_config_selectorIhlEEZZNS1_27merge_sort_block_merge_implIS3_PhN6thrust23THRUST_200600_302600_NS10device_ptrIlEEjNS1_19radix_merge_compareILb0ELb0EhNS0_19identity_decomposerEEEEE10hipError_tT0_T1_T2_jT3_P12ihipStream_tbPNSt15iterator_traitsISG_E10value_typeEPNSM_ISH_E10value_typeEPSI_NS1_7vsmem_tEENKUlT_SG_SH_SI_E_clIS7_S7_PlSB_EESF_SV_SG_SH_SI_EUlSV_E1_NS1_11comp_targetILNS1_3genE5ELNS1_11target_archE942ELNS1_3gpuE9ELNS1_3repE0EEENS1_36merge_oddeven_config_static_selectorELNS0_4arch9wavefront6targetE1EEEvSH_.has_recursion, 0
	.set _ZN7rocprim17ROCPRIM_400000_NS6detail17trampoline_kernelINS0_14default_configENS1_38merge_sort_block_merge_config_selectorIhlEEZZNS1_27merge_sort_block_merge_implIS3_PhN6thrust23THRUST_200600_302600_NS10device_ptrIlEEjNS1_19radix_merge_compareILb0ELb0EhNS0_19identity_decomposerEEEEE10hipError_tT0_T1_T2_jT3_P12ihipStream_tbPNSt15iterator_traitsISG_E10value_typeEPNSM_ISH_E10value_typeEPSI_NS1_7vsmem_tEENKUlT_SG_SH_SI_E_clIS7_S7_PlSB_EESF_SV_SG_SH_SI_EUlSV_E1_NS1_11comp_targetILNS1_3genE5ELNS1_11target_archE942ELNS1_3gpuE9ELNS1_3repE0EEENS1_36merge_oddeven_config_static_selectorELNS0_4arch9wavefront6targetE1EEEvSH_.has_indirect_call, 0
	.section	.AMDGPU.csdata,"",@progbits
; Kernel info:
; codeLenInByte = 0
; TotalNumSgprs: 4
; NumVgprs: 0
; ScratchSize: 0
; MemoryBound: 0
; FloatMode: 240
; IeeeMode: 1
; LDSByteSize: 0 bytes/workgroup (compile time only)
; SGPRBlocks: 0
; VGPRBlocks: 0
; NumSGPRsForWavesPerEU: 4
; NumVGPRsForWavesPerEU: 1
; Occupancy: 10
; WaveLimiterHint : 0
; COMPUTE_PGM_RSRC2:SCRATCH_EN: 0
; COMPUTE_PGM_RSRC2:USER_SGPR: 6
; COMPUTE_PGM_RSRC2:TRAP_HANDLER: 0
; COMPUTE_PGM_RSRC2:TGID_X_EN: 1
; COMPUTE_PGM_RSRC2:TGID_Y_EN: 0
; COMPUTE_PGM_RSRC2:TGID_Z_EN: 0
; COMPUTE_PGM_RSRC2:TIDIG_COMP_CNT: 0
	.section	.text._ZN7rocprim17ROCPRIM_400000_NS6detail17trampoline_kernelINS0_14default_configENS1_38merge_sort_block_merge_config_selectorIhlEEZZNS1_27merge_sort_block_merge_implIS3_PhN6thrust23THRUST_200600_302600_NS10device_ptrIlEEjNS1_19radix_merge_compareILb0ELb0EhNS0_19identity_decomposerEEEEE10hipError_tT0_T1_T2_jT3_P12ihipStream_tbPNSt15iterator_traitsISG_E10value_typeEPNSM_ISH_E10value_typeEPSI_NS1_7vsmem_tEENKUlT_SG_SH_SI_E_clIS7_S7_PlSB_EESF_SV_SG_SH_SI_EUlSV_E1_NS1_11comp_targetILNS1_3genE4ELNS1_11target_archE910ELNS1_3gpuE8ELNS1_3repE0EEENS1_36merge_oddeven_config_static_selectorELNS0_4arch9wavefront6targetE1EEEvSH_,"axG",@progbits,_ZN7rocprim17ROCPRIM_400000_NS6detail17trampoline_kernelINS0_14default_configENS1_38merge_sort_block_merge_config_selectorIhlEEZZNS1_27merge_sort_block_merge_implIS3_PhN6thrust23THRUST_200600_302600_NS10device_ptrIlEEjNS1_19radix_merge_compareILb0ELb0EhNS0_19identity_decomposerEEEEE10hipError_tT0_T1_T2_jT3_P12ihipStream_tbPNSt15iterator_traitsISG_E10value_typeEPNSM_ISH_E10value_typeEPSI_NS1_7vsmem_tEENKUlT_SG_SH_SI_E_clIS7_S7_PlSB_EESF_SV_SG_SH_SI_EUlSV_E1_NS1_11comp_targetILNS1_3genE4ELNS1_11target_archE910ELNS1_3gpuE8ELNS1_3repE0EEENS1_36merge_oddeven_config_static_selectorELNS0_4arch9wavefront6targetE1EEEvSH_,comdat
	.protected	_ZN7rocprim17ROCPRIM_400000_NS6detail17trampoline_kernelINS0_14default_configENS1_38merge_sort_block_merge_config_selectorIhlEEZZNS1_27merge_sort_block_merge_implIS3_PhN6thrust23THRUST_200600_302600_NS10device_ptrIlEEjNS1_19radix_merge_compareILb0ELb0EhNS0_19identity_decomposerEEEEE10hipError_tT0_T1_T2_jT3_P12ihipStream_tbPNSt15iterator_traitsISG_E10value_typeEPNSM_ISH_E10value_typeEPSI_NS1_7vsmem_tEENKUlT_SG_SH_SI_E_clIS7_S7_PlSB_EESF_SV_SG_SH_SI_EUlSV_E1_NS1_11comp_targetILNS1_3genE4ELNS1_11target_archE910ELNS1_3gpuE8ELNS1_3repE0EEENS1_36merge_oddeven_config_static_selectorELNS0_4arch9wavefront6targetE1EEEvSH_ ; -- Begin function _ZN7rocprim17ROCPRIM_400000_NS6detail17trampoline_kernelINS0_14default_configENS1_38merge_sort_block_merge_config_selectorIhlEEZZNS1_27merge_sort_block_merge_implIS3_PhN6thrust23THRUST_200600_302600_NS10device_ptrIlEEjNS1_19radix_merge_compareILb0ELb0EhNS0_19identity_decomposerEEEEE10hipError_tT0_T1_T2_jT3_P12ihipStream_tbPNSt15iterator_traitsISG_E10value_typeEPNSM_ISH_E10value_typeEPSI_NS1_7vsmem_tEENKUlT_SG_SH_SI_E_clIS7_S7_PlSB_EESF_SV_SG_SH_SI_EUlSV_E1_NS1_11comp_targetILNS1_3genE4ELNS1_11target_archE910ELNS1_3gpuE8ELNS1_3repE0EEENS1_36merge_oddeven_config_static_selectorELNS0_4arch9wavefront6targetE1EEEvSH_
	.globl	_ZN7rocprim17ROCPRIM_400000_NS6detail17trampoline_kernelINS0_14default_configENS1_38merge_sort_block_merge_config_selectorIhlEEZZNS1_27merge_sort_block_merge_implIS3_PhN6thrust23THRUST_200600_302600_NS10device_ptrIlEEjNS1_19radix_merge_compareILb0ELb0EhNS0_19identity_decomposerEEEEE10hipError_tT0_T1_T2_jT3_P12ihipStream_tbPNSt15iterator_traitsISG_E10value_typeEPNSM_ISH_E10value_typeEPSI_NS1_7vsmem_tEENKUlT_SG_SH_SI_E_clIS7_S7_PlSB_EESF_SV_SG_SH_SI_EUlSV_E1_NS1_11comp_targetILNS1_3genE4ELNS1_11target_archE910ELNS1_3gpuE8ELNS1_3repE0EEENS1_36merge_oddeven_config_static_selectorELNS0_4arch9wavefront6targetE1EEEvSH_
	.p2align	8
	.type	_ZN7rocprim17ROCPRIM_400000_NS6detail17trampoline_kernelINS0_14default_configENS1_38merge_sort_block_merge_config_selectorIhlEEZZNS1_27merge_sort_block_merge_implIS3_PhN6thrust23THRUST_200600_302600_NS10device_ptrIlEEjNS1_19radix_merge_compareILb0ELb0EhNS0_19identity_decomposerEEEEE10hipError_tT0_T1_T2_jT3_P12ihipStream_tbPNSt15iterator_traitsISG_E10value_typeEPNSM_ISH_E10value_typeEPSI_NS1_7vsmem_tEENKUlT_SG_SH_SI_E_clIS7_S7_PlSB_EESF_SV_SG_SH_SI_EUlSV_E1_NS1_11comp_targetILNS1_3genE4ELNS1_11target_archE910ELNS1_3gpuE8ELNS1_3repE0EEENS1_36merge_oddeven_config_static_selectorELNS0_4arch9wavefront6targetE1EEEvSH_,@function
_ZN7rocprim17ROCPRIM_400000_NS6detail17trampoline_kernelINS0_14default_configENS1_38merge_sort_block_merge_config_selectorIhlEEZZNS1_27merge_sort_block_merge_implIS3_PhN6thrust23THRUST_200600_302600_NS10device_ptrIlEEjNS1_19radix_merge_compareILb0ELb0EhNS0_19identity_decomposerEEEEE10hipError_tT0_T1_T2_jT3_P12ihipStream_tbPNSt15iterator_traitsISG_E10value_typeEPNSM_ISH_E10value_typeEPSI_NS1_7vsmem_tEENKUlT_SG_SH_SI_E_clIS7_S7_PlSB_EESF_SV_SG_SH_SI_EUlSV_E1_NS1_11comp_targetILNS1_3genE4ELNS1_11target_archE910ELNS1_3gpuE8ELNS1_3repE0EEENS1_36merge_oddeven_config_static_selectorELNS0_4arch9wavefront6targetE1EEEvSH_: ; @_ZN7rocprim17ROCPRIM_400000_NS6detail17trampoline_kernelINS0_14default_configENS1_38merge_sort_block_merge_config_selectorIhlEEZZNS1_27merge_sort_block_merge_implIS3_PhN6thrust23THRUST_200600_302600_NS10device_ptrIlEEjNS1_19radix_merge_compareILb0ELb0EhNS0_19identity_decomposerEEEEE10hipError_tT0_T1_T2_jT3_P12ihipStream_tbPNSt15iterator_traitsISG_E10value_typeEPNSM_ISH_E10value_typeEPSI_NS1_7vsmem_tEENKUlT_SG_SH_SI_E_clIS7_S7_PlSB_EESF_SV_SG_SH_SI_EUlSV_E1_NS1_11comp_targetILNS1_3genE4ELNS1_11target_archE910ELNS1_3gpuE8ELNS1_3repE0EEENS1_36merge_oddeven_config_static_selectorELNS0_4arch9wavefront6targetE1EEEvSH_
; %bb.0:
	.section	.rodata,"a",@progbits
	.p2align	6, 0x0
	.amdhsa_kernel _ZN7rocprim17ROCPRIM_400000_NS6detail17trampoline_kernelINS0_14default_configENS1_38merge_sort_block_merge_config_selectorIhlEEZZNS1_27merge_sort_block_merge_implIS3_PhN6thrust23THRUST_200600_302600_NS10device_ptrIlEEjNS1_19radix_merge_compareILb0ELb0EhNS0_19identity_decomposerEEEEE10hipError_tT0_T1_T2_jT3_P12ihipStream_tbPNSt15iterator_traitsISG_E10value_typeEPNSM_ISH_E10value_typeEPSI_NS1_7vsmem_tEENKUlT_SG_SH_SI_E_clIS7_S7_PlSB_EESF_SV_SG_SH_SI_EUlSV_E1_NS1_11comp_targetILNS1_3genE4ELNS1_11target_archE910ELNS1_3gpuE8ELNS1_3repE0EEENS1_36merge_oddeven_config_static_selectorELNS0_4arch9wavefront6targetE1EEEvSH_
		.amdhsa_group_segment_fixed_size 0
		.amdhsa_private_segment_fixed_size 0
		.amdhsa_kernarg_size 48
		.amdhsa_user_sgpr_count 6
		.amdhsa_user_sgpr_private_segment_buffer 1
		.amdhsa_user_sgpr_dispatch_ptr 0
		.amdhsa_user_sgpr_queue_ptr 0
		.amdhsa_user_sgpr_kernarg_segment_ptr 1
		.amdhsa_user_sgpr_dispatch_id 0
		.amdhsa_user_sgpr_flat_scratch_init 0
		.amdhsa_user_sgpr_private_segment_size 0
		.amdhsa_uses_dynamic_stack 0
		.amdhsa_system_sgpr_private_segment_wavefront_offset 0
		.amdhsa_system_sgpr_workgroup_id_x 1
		.amdhsa_system_sgpr_workgroup_id_y 0
		.amdhsa_system_sgpr_workgroup_id_z 0
		.amdhsa_system_sgpr_workgroup_info 0
		.amdhsa_system_vgpr_workitem_id 0
		.amdhsa_next_free_vgpr 1
		.amdhsa_next_free_sgpr 0
		.amdhsa_reserve_vcc 0
		.amdhsa_reserve_flat_scratch 0
		.amdhsa_float_round_mode_32 0
		.amdhsa_float_round_mode_16_64 0
		.amdhsa_float_denorm_mode_32 3
		.amdhsa_float_denorm_mode_16_64 3
		.amdhsa_dx10_clamp 1
		.amdhsa_ieee_mode 1
		.amdhsa_fp16_overflow 0
		.amdhsa_exception_fp_ieee_invalid_op 0
		.amdhsa_exception_fp_denorm_src 0
		.amdhsa_exception_fp_ieee_div_zero 0
		.amdhsa_exception_fp_ieee_overflow 0
		.amdhsa_exception_fp_ieee_underflow 0
		.amdhsa_exception_fp_ieee_inexact 0
		.amdhsa_exception_int_div_zero 0
	.end_amdhsa_kernel
	.section	.text._ZN7rocprim17ROCPRIM_400000_NS6detail17trampoline_kernelINS0_14default_configENS1_38merge_sort_block_merge_config_selectorIhlEEZZNS1_27merge_sort_block_merge_implIS3_PhN6thrust23THRUST_200600_302600_NS10device_ptrIlEEjNS1_19radix_merge_compareILb0ELb0EhNS0_19identity_decomposerEEEEE10hipError_tT0_T1_T2_jT3_P12ihipStream_tbPNSt15iterator_traitsISG_E10value_typeEPNSM_ISH_E10value_typeEPSI_NS1_7vsmem_tEENKUlT_SG_SH_SI_E_clIS7_S7_PlSB_EESF_SV_SG_SH_SI_EUlSV_E1_NS1_11comp_targetILNS1_3genE4ELNS1_11target_archE910ELNS1_3gpuE8ELNS1_3repE0EEENS1_36merge_oddeven_config_static_selectorELNS0_4arch9wavefront6targetE1EEEvSH_,"axG",@progbits,_ZN7rocprim17ROCPRIM_400000_NS6detail17trampoline_kernelINS0_14default_configENS1_38merge_sort_block_merge_config_selectorIhlEEZZNS1_27merge_sort_block_merge_implIS3_PhN6thrust23THRUST_200600_302600_NS10device_ptrIlEEjNS1_19radix_merge_compareILb0ELb0EhNS0_19identity_decomposerEEEEE10hipError_tT0_T1_T2_jT3_P12ihipStream_tbPNSt15iterator_traitsISG_E10value_typeEPNSM_ISH_E10value_typeEPSI_NS1_7vsmem_tEENKUlT_SG_SH_SI_E_clIS7_S7_PlSB_EESF_SV_SG_SH_SI_EUlSV_E1_NS1_11comp_targetILNS1_3genE4ELNS1_11target_archE910ELNS1_3gpuE8ELNS1_3repE0EEENS1_36merge_oddeven_config_static_selectorELNS0_4arch9wavefront6targetE1EEEvSH_,comdat
.Lfunc_end143:
	.size	_ZN7rocprim17ROCPRIM_400000_NS6detail17trampoline_kernelINS0_14default_configENS1_38merge_sort_block_merge_config_selectorIhlEEZZNS1_27merge_sort_block_merge_implIS3_PhN6thrust23THRUST_200600_302600_NS10device_ptrIlEEjNS1_19radix_merge_compareILb0ELb0EhNS0_19identity_decomposerEEEEE10hipError_tT0_T1_T2_jT3_P12ihipStream_tbPNSt15iterator_traitsISG_E10value_typeEPNSM_ISH_E10value_typeEPSI_NS1_7vsmem_tEENKUlT_SG_SH_SI_E_clIS7_S7_PlSB_EESF_SV_SG_SH_SI_EUlSV_E1_NS1_11comp_targetILNS1_3genE4ELNS1_11target_archE910ELNS1_3gpuE8ELNS1_3repE0EEENS1_36merge_oddeven_config_static_selectorELNS0_4arch9wavefront6targetE1EEEvSH_, .Lfunc_end143-_ZN7rocprim17ROCPRIM_400000_NS6detail17trampoline_kernelINS0_14default_configENS1_38merge_sort_block_merge_config_selectorIhlEEZZNS1_27merge_sort_block_merge_implIS3_PhN6thrust23THRUST_200600_302600_NS10device_ptrIlEEjNS1_19radix_merge_compareILb0ELb0EhNS0_19identity_decomposerEEEEE10hipError_tT0_T1_T2_jT3_P12ihipStream_tbPNSt15iterator_traitsISG_E10value_typeEPNSM_ISH_E10value_typeEPSI_NS1_7vsmem_tEENKUlT_SG_SH_SI_E_clIS7_S7_PlSB_EESF_SV_SG_SH_SI_EUlSV_E1_NS1_11comp_targetILNS1_3genE4ELNS1_11target_archE910ELNS1_3gpuE8ELNS1_3repE0EEENS1_36merge_oddeven_config_static_selectorELNS0_4arch9wavefront6targetE1EEEvSH_
                                        ; -- End function
	.set _ZN7rocprim17ROCPRIM_400000_NS6detail17trampoline_kernelINS0_14default_configENS1_38merge_sort_block_merge_config_selectorIhlEEZZNS1_27merge_sort_block_merge_implIS3_PhN6thrust23THRUST_200600_302600_NS10device_ptrIlEEjNS1_19radix_merge_compareILb0ELb0EhNS0_19identity_decomposerEEEEE10hipError_tT0_T1_T2_jT3_P12ihipStream_tbPNSt15iterator_traitsISG_E10value_typeEPNSM_ISH_E10value_typeEPSI_NS1_7vsmem_tEENKUlT_SG_SH_SI_E_clIS7_S7_PlSB_EESF_SV_SG_SH_SI_EUlSV_E1_NS1_11comp_targetILNS1_3genE4ELNS1_11target_archE910ELNS1_3gpuE8ELNS1_3repE0EEENS1_36merge_oddeven_config_static_selectorELNS0_4arch9wavefront6targetE1EEEvSH_.num_vgpr, 0
	.set _ZN7rocprim17ROCPRIM_400000_NS6detail17trampoline_kernelINS0_14default_configENS1_38merge_sort_block_merge_config_selectorIhlEEZZNS1_27merge_sort_block_merge_implIS3_PhN6thrust23THRUST_200600_302600_NS10device_ptrIlEEjNS1_19radix_merge_compareILb0ELb0EhNS0_19identity_decomposerEEEEE10hipError_tT0_T1_T2_jT3_P12ihipStream_tbPNSt15iterator_traitsISG_E10value_typeEPNSM_ISH_E10value_typeEPSI_NS1_7vsmem_tEENKUlT_SG_SH_SI_E_clIS7_S7_PlSB_EESF_SV_SG_SH_SI_EUlSV_E1_NS1_11comp_targetILNS1_3genE4ELNS1_11target_archE910ELNS1_3gpuE8ELNS1_3repE0EEENS1_36merge_oddeven_config_static_selectorELNS0_4arch9wavefront6targetE1EEEvSH_.num_agpr, 0
	.set _ZN7rocprim17ROCPRIM_400000_NS6detail17trampoline_kernelINS0_14default_configENS1_38merge_sort_block_merge_config_selectorIhlEEZZNS1_27merge_sort_block_merge_implIS3_PhN6thrust23THRUST_200600_302600_NS10device_ptrIlEEjNS1_19radix_merge_compareILb0ELb0EhNS0_19identity_decomposerEEEEE10hipError_tT0_T1_T2_jT3_P12ihipStream_tbPNSt15iterator_traitsISG_E10value_typeEPNSM_ISH_E10value_typeEPSI_NS1_7vsmem_tEENKUlT_SG_SH_SI_E_clIS7_S7_PlSB_EESF_SV_SG_SH_SI_EUlSV_E1_NS1_11comp_targetILNS1_3genE4ELNS1_11target_archE910ELNS1_3gpuE8ELNS1_3repE0EEENS1_36merge_oddeven_config_static_selectorELNS0_4arch9wavefront6targetE1EEEvSH_.numbered_sgpr, 0
	.set _ZN7rocprim17ROCPRIM_400000_NS6detail17trampoline_kernelINS0_14default_configENS1_38merge_sort_block_merge_config_selectorIhlEEZZNS1_27merge_sort_block_merge_implIS3_PhN6thrust23THRUST_200600_302600_NS10device_ptrIlEEjNS1_19radix_merge_compareILb0ELb0EhNS0_19identity_decomposerEEEEE10hipError_tT0_T1_T2_jT3_P12ihipStream_tbPNSt15iterator_traitsISG_E10value_typeEPNSM_ISH_E10value_typeEPSI_NS1_7vsmem_tEENKUlT_SG_SH_SI_E_clIS7_S7_PlSB_EESF_SV_SG_SH_SI_EUlSV_E1_NS1_11comp_targetILNS1_3genE4ELNS1_11target_archE910ELNS1_3gpuE8ELNS1_3repE0EEENS1_36merge_oddeven_config_static_selectorELNS0_4arch9wavefront6targetE1EEEvSH_.num_named_barrier, 0
	.set _ZN7rocprim17ROCPRIM_400000_NS6detail17trampoline_kernelINS0_14default_configENS1_38merge_sort_block_merge_config_selectorIhlEEZZNS1_27merge_sort_block_merge_implIS3_PhN6thrust23THRUST_200600_302600_NS10device_ptrIlEEjNS1_19radix_merge_compareILb0ELb0EhNS0_19identity_decomposerEEEEE10hipError_tT0_T1_T2_jT3_P12ihipStream_tbPNSt15iterator_traitsISG_E10value_typeEPNSM_ISH_E10value_typeEPSI_NS1_7vsmem_tEENKUlT_SG_SH_SI_E_clIS7_S7_PlSB_EESF_SV_SG_SH_SI_EUlSV_E1_NS1_11comp_targetILNS1_3genE4ELNS1_11target_archE910ELNS1_3gpuE8ELNS1_3repE0EEENS1_36merge_oddeven_config_static_selectorELNS0_4arch9wavefront6targetE1EEEvSH_.private_seg_size, 0
	.set _ZN7rocprim17ROCPRIM_400000_NS6detail17trampoline_kernelINS0_14default_configENS1_38merge_sort_block_merge_config_selectorIhlEEZZNS1_27merge_sort_block_merge_implIS3_PhN6thrust23THRUST_200600_302600_NS10device_ptrIlEEjNS1_19radix_merge_compareILb0ELb0EhNS0_19identity_decomposerEEEEE10hipError_tT0_T1_T2_jT3_P12ihipStream_tbPNSt15iterator_traitsISG_E10value_typeEPNSM_ISH_E10value_typeEPSI_NS1_7vsmem_tEENKUlT_SG_SH_SI_E_clIS7_S7_PlSB_EESF_SV_SG_SH_SI_EUlSV_E1_NS1_11comp_targetILNS1_3genE4ELNS1_11target_archE910ELNS1_3gpuE8ELNS1_3repE0EEENS1_36merge_oddeven_config_static_selectorELNS0_4arch9wavefront6targetE1EEEvSH_.uses_vcc, 0
	.set _ZN7rocprim17ROCPRIM_400000_NS6detail17trampoline_kernelINS0_14default_configENS1_38merge_sort_block_merge_config_selectorIhlEEZZNS1_27merge_sort_block_merge_implIS3_PhN6thrust23THRUST_200600_302600_NS10device_ptrIlEEjNS1_19radix_merge_compareILb0ELb0EhNS0_19identity_decomposerEEEEE10hipError_tT0_T1_T2_jT3_P12ihipStream_tbPNSt15iterator_traitsISG_E10value_typeEPNSM_ISH_E10value_typeEPSI_NS1_7vsmem_tEENKUlT_SG_SH_SI_E_clIS7_S7_PlSB_EESF_SV_SG_SH_SI_EUlSV_E1_NS1_11comp_targetILNS1_3genE4ELNS1_11target_archE910ELNS1_3gpuE8ELNS1_3repE0EEENS1_36merge_oddeven_config_static_selectorELNS0_4arch9wavefront6targetE1EEEvSH_.uses_flat_scratch, 0
	.set _ZN7rocprim17ROCPRIM_400000_NS6detail17trampoline_kernelINS0_14default_configENS1_38merge_sort_block_merge_config_selectorIhlEEZZNS1_27merge_sort_block_merge_implIS3_PhN6thrust23THRUST_200600_302600_NS10device_ptrIlEEjNS1_19radix_merge_compareILb0ELb0EhNS0_19identity_decomposerEEEEE10hipError_tT0_T1_T2_jT3_P12ihipStream_tbPNSt15iterator_traitsISG_E10value_typeEPNSM_ISH_E10value_typeEPSI_NS1_7vsmem_tEENKUlT_SG_SH_SI_E_clIS7_S7_PlSB_EESF_SV_SG_SH_SI_EUlSV_E1_NS1_11comp_targetILNS1_3genE4ELNS1_11target_archE910ELNS1_3gpuE8ELNS1_3repE0EEENS1_36merge_oddeven_config_static_selectorELNS0_4arch9wavefront6targetE1EEEvSH_.has_dyn_sized_stack, 0
	.set _ZN7rocprim17ROCPRIM_400000_NS6detail17trampoline_kernelINS0_14default_configENS1_38merge_sort_block_merge_config_selectorIhlEEZZNS1_27merge_sort_block_merge_implIS3_PhN6thrust23THRUST_200600_302600_NS10device_ptrIlEEjNS1_19radix_merge_compareILb0ELb0EhNS0_19identity_decomposerEEEEE10hipError_tT0_T1_T2_jT3_P12ihipStream_tbPNSt15iterator_traitsISG_E10value_typeEPNSM_ISH_E10value_typeEPSI_NS1_7vsmem_tEENKUlT_SG_SH_SI_E_clIS7_S7_PlSB_EESF_SV_SG_SH_SI_EUlSV_E1_NS1_11comp_targetILNS1_3genE4ELNS1_11target_archE910ELNS1_3gpuE8ELNS1_3repE0EEENS1_36merge_oddeven_config_static_selectorELNS0_4arch9wavefront6targetE1EEEvSH_.has_recursion, 0
	.set _ZN7rocprim17ROCPRIM_400000_NS6detail17trampoline_kernelINS0_14default_configENS1_38merge_sort_block_merge_config_selectorIhlEEZZNS1_27merge_sort_block_merge_implIS3_PhN6thrust23THRUST_200600_302600_NS10device_ptrIlEEjNS1_19radix_merge_compareILb0ELb0EhNS0_19identity_decomposerEEEEE10hipError_tT0_T1_T2_jT3_P12ihipStream_tbPNSt15iterator_traitsISG_E10value_typeEPNSM_ISH_E10value_typeEPSI_NS1_7vsmem_tEENKUlT_SG_SH_SI_E_clIS7_S7_PlSB_EESF_SV_SG_SH_SI_EUlSV_E1_NS1_11comp_targetILNS1_3genE4ELNS1_11target_archE910ELNS1_3gpuE8ELNS1_3repE0EEENS1_36merge_oddeven_config_static_selectorELNS0_4arch9wavefront6targetE1EEEvSH_.has_indirect_call, 0
	.section	.AMDGPU.csdata,"",@progbits
; Kernel info:
; codeLenInByte = 0
; TotalNumSgprs: 4
; NumVgprs: 0
; ScratchSize: 0
; MemoryBound: 0
; FloatMode: 240
; IeeeMode: 1
; LDSByteSize: 0 bytes/workgroup (compile time only)
; SGPRBlocks: 0
; VGPRBlocks: 0
; NumSGPRsForWavesPerEU: 4
; NumVGPRsForWavesPerEU: 1
; Occupancy: 10
; WaveLimiterHint : 0
; COMPUTE_PGM_RSRC2:SCRATCH_EN: 0
; COMPUTE_PGM_RSRC2:USER_SGPR: 6
; COMPUTE_PGM_RSRC2:TRAP_HANDLER: 0
; COMPUTE_PGM_RSRC2:TGID_X_EN: 1
; COMPUTE_PGM_RSRC2:TGID_Y_EN: 0
; COMPUTE_PGM_RSRC2:TGID_Z_EN: 0
; COMPUTE_PGM_RSRC2:TIDIG_COMP_CNT: 0
	.section	.text._ZN7rocprim17ROCPRIM_400000_NS6detail17trampoline_kernelINS0_14default_configENS1_38merge_sort_block_merge_config_selectorIhlEEZZNS1_27merge_sort_block_merge_implIS3_PhN6thrust23THRUST_200600_302600_NS10device_ptrIlEEjNS1_19radix_merge_compareILb0ELb0EhNS0_19identity_decomposerEEEEE10hipError_tT0_T1_T2_jT3_P12ihipStream_tbPNSt15iterator_traitsISG_E10value_typeEPNSM_ISH_E10value_typeEPSI_NS1_7vsmem_tEENKUlT_SG_SH_SI_E_clIS7_S7_PlSB_EESF_SV_SG_SH_SI_EUlSV_E1_NS1_11comp_targetILNS1_3genE3ELNS1_11target_archE908ELNS1_3gpuE7ELNS1_3repE0EEENS1_36merge_oddeven_config_static_selectorELNS0_4arch9wavefront6targetE1EEEvSH_,"axG",@progbits,_ZN7rocprim17ROCPRIM_400000_NS6detail17trampoline_kernelINS0_14default_configENS1_38merge_sort_block_merge_config_selectorIhlEEZZNS1_27merge_sort_block_merge_implIS3_PhN6thrust23THRUST_200600_302600_NS10device_ptrIlEEjNS1_19radix_merge_compareILb0ELb0EhNS0_19identity_decomposerEEEEE10hipError_tT0_T1_T2_jT3_P12ihipStream_tbPNSt15iterator_traitsISG_E10value_typeEPNSM_ISH_E10value_typeEPSI_NS1_7vsmem_tEENKUlT_SG_SH_SI_E_clIS7_S7_PlSB_EESF_SV_SG_SH_SI_EUlSV_E1_NS1_11comp_targetILNS1_3genE3ELNS1_11target_archE908ELNS1_3gpuE7ELNS1_3repE0EEENS1_36merge_oddeven_config_static_selectorELNS0_4arch9wavefront6targetE1EEEvSH_,comdat
	.protected	_ZN7rocprim17ROCPRIM_400000_NS6detail17trampoline_kernelINS0_14default_configENS1_38merge_sort_block_merge_config_selectorIhlEEZZNS1_27merge_sort_block_merge_implIS3_PhN6thrust23THRUST_200600_302600_NS10device_ptrIlEEjNS1_19radix_merge_compareILb0ELb0EhNS0_19identity_decomposerEEEEE10hipError_tT0_T1_T2_jT3_P12ihipStream_tbPNSt15iterator_traitsISG_E10value_typeEPNSM_ISH_E10value_typeEPSI_NS1_7vsmem_tEENKUlT_SG_SH_SI_E_clIS7_S7_PlSB_EESF_SV_SG_SH_SI_EUlSV_E1_NS1_11comp_targetILNS1_3genE3ELNS1_11target_archE908ELNS1_3gpuE7ELNS1_3repE0EEENS1_36merge_oddeven_config_static_selectorELNS0_4arch9wavefront6targetE1EEEvSH_ ; -- Begin function _ZN7rocprim17ROCPRIM_400000_NS6detail17trampoline_kernelINS0_14default_configENS1_38merge_sort_block_merge_config_selectorIhlEEZZNS1_27merge_sort_block_merge_implIS3_PhN6thrust23THRUST_200600_302600_NS10device_ptrIlEEjNS1_19radix_merge_compareILb0ELb0EhNS0_19identity_decomposerEEEEE10hipError_tT0_T1_T2_jT3_P12ihipStream_tbPNSt15iterator_traitsISG_E10value_typeEPNSM_ISH_E10value_typeEPSI_NS1_7vsmem_tEENKUlT_SG_SH_SI_E_clIS7_S7_PlSB_EESF_SV_SG_SH_SI_EUlSV_E1_NS1_11comp_targetILNS1_3genE3ELNS1_11target_archE908ELNS1_3gpuE7ELNS1_3repE0EEENS1_36merge_oddeven_config_static_selectorELNS0_4arch9wavefront6targetE1EEEvSH_
	.globl	_ZN7rocprim17ROCPRIM_400000_NS6detail17trampoline_kernelINS0_14default_configENS1_38merge_sort_block_merge_config_selectorIhlEEZZNS1_27merge_sort_block_merge_implIS3_PhN6thrust23THRUST_200600_302600_NS10device_ptrIlEEjNS1_19radix_merge_compareILb0ELb0EhNS0_19identity_decomposerEEEEE10hipError_tT0_T1_T2_jT3_P12ihipStream_tbPNSt15iterator_traitsISG_E10value_typeEPNSM_ISH_E10value_typeEPSI_NS1_7vsmem_tEENKUlT_SG_SH_SI_E_clIS7_S7_PlSB_EESF_SV_SG_SH_SI_EUlSV_E1_NS1_11comp_targetILNS1_3genE3ELNS1_11target_archE908ELNS1_3gpuE7ELNS1_3repE0EEENS1_36merge_oddeven_config_static_selectorELNS0_4arch9wavefront6targetE1EEEvSH_
	.p2align	8
	.type	_ZN7rocprim17ROCPRIM_400000_NS6detail17trampoline_kernelINS0_14default_configENS1_38merge_sort_block_merge_config_selectorIhlEEZZNS1_27merge_sort_block_merge_implIS3_PhN6thrust23THRUST_200600_302600_NS10device_ptrIlEEjNS1_19radix_merge_compareILb0ELb0EhNS0_19identity_decomposerEEEEE10hipError_tT0_T1_T2_jT3_P12ihipStream_tbPNSt15iterator_traitsISG_E10value_typeEPNSM_ISH_E10value_typeEPSI_NS1_7vsmem_tEENKUlT_SG_SH_SI_E_clIS7_S7_PlSB_EESF_SV_SG_SH_SI_EUlSV_E1_NS1_11comp_targetILNS1_3genE3ELNS1_11target_archE908ELNS1_3gpuE7ELNS1_3repE0EEENS1_36merge_oddeven_config_static_selectorELNS0_4arch9wavefront6targetE1EEEvSH_,@function
_ZN7rocprim17ROCPRIM_400000_NS6detail17trampoline_kernelINS0_14default_configENS1_38merge_sort_block_merge_config_selectorIhlEEZZNS1_27merge_sort_block_merge_implIS3_PhN6thrust23THRUST_200600_302600_NS10device_ptrIlEEjNS1_19radix_merge_compareILb0ELb0EhNS0_19identity_decomposerEEEEE10hipError_tT0_T1_T2_jT3_P12ihipStream_tbPNSt15iterator_traitsISG_E10value_typeEPNSM_ISH_E10value_typeEPSI_NS1_7vsmem_tEENKUlT_SG_SH_SI_E_clIS7_S7_PlSB_EESF_SV_SG_SH_SI_EUlSV_E1_NS1_11comp_targetILNS1_3genE3ELNS1_11target_archE908ELNS1_3gpuE7ELNS1_3repE0EEENS1_36merge_oddeven_config_static_selectorELNS0_4arch9wavefront6targetE1EEEvSH_: ; @_ZN7rocprim17ROCPRIM_400000_NS6detail17trampoline_kernelINS0_14default_configENS1_38merge_sort_block_merge_config_selectorIhlEEZZNS1_27merge_sort_block_merge_implIS3_PhN6thrust23THRUST_200600_302600_NS10device_ptrIlEEjNS1_19radix_merge_compareILb0ELb0EhNS0_19identity_decomposerEEEEE10hipError_tT0_T1_T2_jT3_P12ihipStream_tbPNSt15iterator_traitsISG_E10value_typeEPNSM_ISH_E10value_typeEPSI_NS1_7vsmem_tEENKUlT_SG_SH_SI_E_clIS7_S7_PlSB_EESF_SV_SG_SH_SI_EUlSV_E1_NS1_11comp_targetILNS1_3genE3ELNS1_11target_archE908ELNS1_3gpuE7ELNS1_3repE0EEENS1_36merge_oddeven_config_static_selectorELNS0_4arch9wavefront6targetE1EEEvSH_
; %bb.0:
	.section	.rodata,"a",@progbits
	.p2align	6, 0x0
	.amdhsa_kernel _ZN7rocprim17ROCPRIM_400000_NS6detail17trampoline_kernelINS0_14default_configENS1_38merge_sort_block_merge_config_selectorIhlEEZZNS1_27merge_sort_block_merge_implIS3_PhN6thrust23THRUST_200600_302600_NS10device_ptrIlEEjNS1_19radix_merge_compareILb0ELb0EhNS0_19identity_decomposerEEEEE10hipError_tT0_T1_T2_jT3_P12ihipStream_tbPNSt15iterator_traitsISG_E10value_typeEPNSM_ISH_E10value_typeEPSI_NS1_7vsmem_tEENKUlT_SG_SH_SI_E_clIS7_S7_PlSB_EESF_SV_SG_SH_SI_EUlSV_E1_NS1_11comp_targetILNS1_3genE3ELNS1_11target_archE908ELNS1_3gpuE7ELNS1_3repE0EEENS1_36merge_oddeven_config_static_selectorELNS0_4arch9wavefront6targetE1EEEvSH_
		.amdhsa_group_segment_fixed_size 0
		.amdhsa_private_segment_fixed_size 0
		.amdhsa_kernarg_size 48
		.amdhsa_user_sgpr_count 6
		.amdhsa_user_sgpr_private_segment_buffer 1
		.amdhsa_user_sgpr_dispatch_ptr 0
		.amdhsa_user_sgpr_queue_ptr 0
		.amdhsa_user_sgpr_kernarg_segment_ptr 1
		.amdhsa_user_sgpr_dispatch_id 0
		.amdhsa_user_sgpr_flat_scratch_init 0
		.amdhsa_user_sgpr_private_segment_size 0
		.amdhsa_uses_dynamic_stack 0
		.amdhsa_system_sgpr_private_segment_wavefront_offset 0
		.amdhsa_system_sgpr_workgroup_id_x 1
		.amdhsa_system_sgpr_workgroup_id_y 0
		.amdhsa_system_sgpr_workgroup_id_z 0
		.amdhsa_system_sgpr_workgroup_info 0
		.amdhsa_system_vgpr_workitem_id 0
		.amdhsa_next_free_vgpr 1
		.amdhsa_next_free_sgpr 0
		.amdhsa_reserve_vcc 0
		.amdhsa_reserve_flat_scratch 0
		.amdhsa_float_round_mode_32 0
		.amdhsa_float_round_mode_16_64 0
		.amdhsa_float_denorm_mode_32 3
		.amdhsa_float_denorm_mode_16_64 3
		.amdhsa_dx10_clamp 1
		.amdhsa_ieee_mode 1
		.amdhsa_fp16_overflow 0
		.amdhsa_exception_fp_ieee_invalid_op 0
		.amdhsa_exception_fp_denorm_src 0
		.amdhsa_exception_fp_ieee_div_zero 0
		.amdhsa_exception_fp_ieee_overflow 0
		.amdhsa_exception_fp_ieee_underflow 0
		.amdhsa_exception_fp_ieee_inexact 0
		.amdhsa_exception_int_div_zero 0
	.end_amdhsa_kernel
	.section	.text._ZN7rocprim17ROCPRIM_400000_NS6detail17trampoline_kernelINS0_14default_configENS1_38merge_sort_block_merge_config_selectorIhlEEZZNS1_27merge_sort_block_merge_implIS3_PhN6thrust23THRUST_200600_302600_NS10device_ptrIlEEjNS1_19radix_merge_compareILb0ELb0EhNS0_19identity_decomposerEEEEE10hipError_tT0_T1_T2_jT3_P12ihipStream_tbPNSt15iterator_traitsISG_E10value_typeEPNSM_ISH_E10value_typeEPSI_NS1_7vsmem_tEENKUlT_SG_SH_SI_E_clIS7_S7_PlSB_EESF_SV_SG_SH_SI_EUlSV_E1_NS1_11comp_targetILNS1_3genE3ELNS1_11target_archE908ELNS1_3gpuE7ELNS1_3repE0EEENS1_36merge_oddeven_config_static_selectorELNS0_4arch9wavefront6targetE1EEEvSH_,"axG",@progbits,_ZN7rocprim17ROCPRIM_400000_NS6detail17trampoline_kernelINS0_14default_configENS1_38merge_sort_block_merge_config_selectorIhlEEZZNS1_27merge_sort_block_merge_implIS3_PhN6thrust23THRUST_200600_302600_NS10device_ptrIlEEjNS1_19radix_merge_compareILb0ELb0EhNS0_19identity_decomposerEEEEE10hipError_tT0_T1_T2_jT3_P12ihipStream_tbPNSt15iterator_traitsISG_E10value_typeEPNSM_ISH_E10value_typeEPSI_NS1_7vsmem_tEENKUlT_SG_SH_SI_E_clIS7_S7_PlSB_EESF_SV_SG_SH_SI_EUlSV_E1_NS1_11comp_targetILNS1_3genE3ELNS1_11target_archE908ELNS1_3gpuE7ELNS1_3repE0EEENS1_36merge_oddeven_config_static_selectorELNS0_4arch9wavefront6targetE1EEEvSH_,comdat
.Lfunc_end144:
	.size	_ZN7rocprim17ROCPRIM_400000_NS6detail17trampoline_kernelINS0_14default_configENS1_38merge_sort_block_merge_config_selectorIhlEEZZNS1_27merge_sort_block_merge_implIS3_PhN6thrust23THRUST_200600_302600_NS10device_ptrIlEEjNS1_19radix_merge_compareILb0ELb0EhNS0_19identity_decomposerEEEEE10hipError_tT0_T1_T2_jT3_P12ihipStream_tbPNSt15iterator_traitsISG_E10value_typeEPNSM_ISH_E10value_typeEPSI_NS1_7vsmem_tEENKUlT_SG_SH_SI_E_clIS7_S7_PlSB_EESF_SV_SG_SH_SI_EUlSV_E1_NS1_11comp_targetILNS1_3genE3ELNS1_11target_archE908ELNS1_3gpuE7ELNS1_3repE0EEENS1_36merge_oddeven_config_static_selectorELNS0_4arch9wavefront6targetE1EEEvSH_, .Lfunc_end144-_ZN7rocprim17ROCPRIM_400000_NS6detail17trampoline_kernelINS0_14default_configENS1_38merge_sort_block_merge_config_selectorIhlEEZZNS1_27merge_sort_block_merge_implIS3_PhN6thrust23THRUST_200600_302600_NS10device_ptrIlEEjNS1_19radix_merge_compareILb0ELb0EhNS0_19identity_decomposerEEEEE10hipError_tT0_T1_T2_jT3_P12ihipStream_tbPNSt15iterator_traitsISG_E10value_typeEPNSM_ISH_E10value_typeEPSI_NS1_7vsmem_tEENKUlT_SG_SH_SI_E_clIS7_S7_PlSB_EESF_SV_SG_SH_SI_EUlSV_E1_NS1_11comp_targetILNS1_3genE3ELNS1_11target_archE908ELNS1_3gpuE7ELNS1_3repE0EEENS1_36merge_oddeven_config_static_selectorELNS0_4arch9wavefront6targetE1EEEvSH_
                                        ; -- End function
	.set _ZN7rocprim17ROCPRIM_400000_NS6detail17trampoline_kernelINS0_14default_configENS1_38merge_sort_block_merge_config_selectorIhlEEZZNS1_27merge_sort_block_merge_implIS3_PhN6thrust23THRUST_200600_302600_NS10device_ptrIlEEjNS1_19radix_merge_compareILb0ELb0EhNS0_19identity_decomposerEEEEE10hipError_tT0_T1_T2_jT3_P12ihipStream_tbPNSt15iterator_traitsISG_E10value_typeEPNSM_ISH_E10value_typeEPSI_NS1_7vsmem_tEENKUlT_SG_SH_SI_E_clIS7_S7_PlSB_EESF_SV_SG_SH_SI_EUlSV_E1_NS1_11comp_targetILNS1_3genE3ELNS1_11target_archE908ELNS1_3gpuE7ELNS1_3repE0EEENS1_36merge_oddeven_config_static_selectorELNS0_4arch9wavefront6targetE1EEEvSH_.num_vgpr, 0
	.set _ZN7rocprim17ROCPRIM_400000_NS6detail17trampoline_kernelINS0_14default_configENS1_38merge_sort_block_merge_config_selectorIhlEEZZNS1_27merge_sort_block_merge_implIS3_PhN6thrust23THRUST_200600_302600_NS10device_ptrIlEEjNS1_19radix_merge_compareILb0ELb0EhNS0_19identity_decomposerEEEEE10hipError_tT0_T1_T2_jT3_P12ihipStream_tbPNSt15iterator_traitsISG_E10value_typeEPNSM_ISH_E10value_typeEPSI_NS1_7vsmem_tEENKUlT_SG_SH_SI_E_clIS7_S7_PlSB_EESF_SV_SG_SH_SI_EUlSV_E1_NS1_11comp_targetILNS1_3genE3ELNS1_11target_archE908ELNS1_3gpuE7ELNS1_3repE0EEENS1_36merge_oddeven_config_static_selectorELNS0_4arch9wavefront6targetE1EEEvSH_.num_agpr, 0
	.set _ZN7rocprim17ROCPRIM_400000_NS6detail17trampoline_kernelINS0_14default_configENS1_38merge_sort_block_merge_config_selectorIhlEEZZNS1_27merge_sort_block_merge_implIS3_PhN6thrust23THRUST_200600_302600_NS10device_ptrIlEEjNS1_19radix_merge_compareILb0ELb0EhNS0_19identity_decomposerEEEEE10hipError_tT0_T1_T2_jT3_P12ihipStream_tbPNSt15iterator_traitsISG_E10value_typeEPNSM_ISH_E10value_typeEPSI_NS1_7vsmem_tEENKUlT_SG_SH_SI_E_clIS7_S7_PlSB_EESF_SV_SG_SH_SI_EUlSV_E1_NS1_11comp_targetILNS1_3genE3ELNS1_11target_archE908ELNS1_3gpuE7ELNS1_3repE0EEENS1_36merge_oddeven_config_static_selectorELNS0_4arch9wavefront6targetE1EEEvSH_.numbered_sgpr, 0
	.set _ZN7rocprim17ROCPRIM_400000_NS6detail17trampoline_kernelINS0_14default_configENS1_38merge_sort_block_merge_config_selectorIhlEEZZNS1_27merge_sort_block_merge_implIS3_PhN6thrust23THRUST_200600_302600_NS10device_ptrIlEEjNS1_19radix_merge_compareILb0ELb0EhNS0_19identity_decomposerEEEEE10hipError_tT0_T1_T2_jT3_P12ihipStream_tbPNSt15iterator_traitsISG_E10value_typeEPNSM_ISH_E10value_typeEPSI_NS1_7vsmem_tEENKUlT_SG_SH_SI_E_clIS7_S7_PlSB_EESF_SV_SG_SH_SI_EUlSV_E1_NS1_11comp_targetILNS1_3genE3ELNS1_11target_archE908ELNS1_3gpuE7ELNS1_3repE0EEENS1_36merge_oddeven_config_static_selectorELNS0_4arch9wavefront6targetE1EEEvSH_.num_named_barrier, 0
	.set _ZN7rocprim17ROCPRIM_400000_NS6detail17trampoline_kernelINS0_14default_configENS1_38merge_sort_block_merge_config_selectorIhlEEZZNS1_27merge_sort_block_merge_implIS3_PhN6thrust23THRUST_200600_302600_NS10device_ptrIlEEjNS1_19radix_merge_compareILb0ELb0EhNS0_19identity_decomposerEEEEE10hipError_tT0_T1_T2_jT3_P12ihipStream_tbPNSt15iterator_traitsISG_E10value_typeEPNSM_ISH_E10value_typeEPSI_NS1_7vsmem_tEENKUlT_SG_SH_SI_E_clIS7_S7_PlSB_EESF_SV_SG_SH_SI_EUlSV_E1_NS1_11comp_targetILNS1_3genE3ELNS1_11target_archE908ELNS1_3gpuE7ELNS1_3repE0EEENS1_36merge_oddeven_config_static_selectorELNS0_4arch9wavefront6targetE1EEEvSH_.private_seg_size, 0
	.set _ZN7rocprim17ROCPRIM_400000_NS6detail17trampoline_kernelINS0_14default_configENS1_38merge_sort_block_merge_config_selectorIhlEEZZNS1_27merge_sort_block_merge_implIS3_PhN6thrust23THRUST_200600_302600_NS10device_ptrIlEEjNS1_19radix_merge_compareILb0ELb0EhNS0_19identity_decomposerEEEEE10hipError_tT0_T1_T2_jT3_P12ihipStream_tbPNSt15iterator_traitsISG_E10value_typeEPNSM_ISH_E10value_typeEPSI_NS1_7vsmem_tEENKUlT_SG_SH_SI_E_clIS7_S7_PlSB_EESF_SV_SG_SH_SI_EUlSV_E1_NS1_11comp_targetILNS1_3genE3ELNS1_11target_archE908ELNS1_3gpuE7ELNS1_3repE0EEENS1_36merge_oddeven_config_static_selectorELNS0_4arch9wavefront6targetE1EEEvSH_.uses_vcc, 0
	.set _ZN7rocprim17ROCPRIM_400000_NS6detail17trampoline_kernelINS0_14default_configENS1_38merge_sort_block_merge_config_selectorIhlEEZZNS1_27merge_sort_block_merge_implIS3_PhN6thrust23THRUST_200600_302600_NS10device_ptrIlEEjNS1_19radix_merge_compareILb0ELb0EhNS0_19identity_decomposerEEEEE10hipError_tT0_T1_T2_jT3_P12ihipStream_tbPNSt15iterator_traitsISG_E10value_typeEPNSM_ISH_E10value_typeEPSI_NS1_7vsmem_tEENKUlT_SG_SH_SI_E_clIS7_S7_PlSB_EESF_SV_SG_SH_SI_EUlSV_E1_NS1_11comp_targetILNS1_3genE3ELNS1_11target_archE908ELNS1_3gpuE7ELNS1_3repE0EEENS1_36merge_oddeven_config_static_selectorELNS0_4arch9wavefront6targetE1EEEvSH_.uses_flat_scratch, 0
	.set _ZN7rocprim17ROCPRIM_400000_NS6detail17trampoline_kernelINS0_14default_configENS1_38merge_sort_block_merge_config_selectorIhlEEZZNS1_27merge_sort_block_merge_implIS3_PhN6thrust23THRUST_200600_302600_NS10device_ptrIlEEjNS1_19radix_merge_compareILb0ELb0EhNS0_19identity_decomposerEEEEE10hipError_tT0_T1_T2_jT3_P12ihipStream_tbPNSt15iterator_traitsISG_E10value_typeEPNSM_ISH_E10value_typeEPSI_NS1_7vsmem_tEENKUlT_SG_SH_SI_E_clIS7_S7_PlSB_EESF_SV_SG_SH_SI_EUlSV_E1_NS1_11comp_targetILNS1_3genE3ELNS1_11target_archE908ELNS1_3gpuE7ELNS1_3repE0EEENS1_36merge_oddeven_config_static_selectorELNS0_4arch9wavefront6targetE1EEEvSH_.has_dyn_sized_stack, 0
	.set _ZN7rocprim17ROCPRIM_400000_NS6detail17trampoline_kernelINS0_14default_configENS1_38merge_sort_block_merge_config_selectorIhlEEZZNS1_27merge_sort_block_merge_implIS3_PhN6thrust23THRUST_200600_302600_NS10device_ptrIlEEjNS1_19radix_merge_compareILb0ELb0EhNS0_19identity_decomposerEEEEE10hipError_tT0_T1_T2_jT3_P12ihipStream_tbPNSt15iterator_traitsISG_E10value_typeEPNSM_ISH_E10value_typeEPSI_NS1_7vsmem_tEENKUlT_SG_SH_SI_E_clIS7_S7_PlSB_EESF_SV_SG_SH_SI_EUlSV_E1_NS1_11comp_targetILNS1_3genE3ELNS1_11target_archE908ELNS1_3gpuE7ELNS1_3repE0EEENS1_36merge_oddeven_config_static_selectorELNS0_4arch9wavefront6targetE1EEEvSH_.has_recursion, 0
	.set _ZN7rocprim17ROCPRIM_400000_NS6detail17trampoline_kernelINS0_14default_configENS1_38merge_sort_block_merge_config_selectorIhlEEZZNS1_27merge_sort_block_merge_implIS3_PhN6thrust23THRUST_200600_302600_NS10device_ptrIlEEjNS1_19radix_merge_compareILb0ELb0EhNS0_19identity_decomposerEEEEE10hipError_tT0_T1_T2_jT3_P12ihipStream_tbPNSt15iterator_traitsISG_E10value_typeEPNSM_ISH_E10value_typeEPSI_NS1_7vsmem_tEENKUlT_SG_SH_SI_E_clIS7_S7_PlSB_EESF_SV_SG_SH_SI_EUlSV_E1_NS1_11comp_targetILNS1_3genE3ELNS1_11target_archE908ELNS1_3gpuE7ELNS1_3repE0EEENS1_36merge_oddeven_config_static_selectorELNS0_4arch9wavefront6targetE1EEEvSH_.has_indirect_call, 0
	.section	.AMDGPU.csdata,"",@progbits
; Kernel info:
; codeLenInByte = 0
; TotalNumSgprs: 4
; NumVgprs: 0
; ScratchSize: 0
; MemoryBound: 0
; FloatMode: 240
; IeeeMode: 1
; LDSByteSize: 0 bytes/workgroup (compile time only)
; SGPRBlocks: 0
; VGPRBlocks: 0
; NumSGPRsForWavesPerEU: 4
; NumVGPRsForWavesPerEU: 1
; Occupancy: 10
; WaveLimiterHint : 0
; COMPUTE_PGM_RSRC2:SCRATCH_EN: 0
; COMPUTE_PGM_RSRC2:USER_SGPR: 6
; COMPUTE_PGM_RSRC2:TRAP_HANDLER: 0
; COMPUTE_PGM_RSRC2:TGID_X_EN: 1
; COMPUTE_PGM_RSRC2:TGID_Y_EN: 0
; COMPUTE_PGM_RSRC2:TGID_Z_EN: 0
; COMPUTE_PGM_RSRC2:TIDIG_COMP_CNT: 0
	.section	.text._ZN7rocprim17ROCPRIM_400000_NS6detail17trampoline_kernelINS0_14default_configENS1_38merge_sort_block_merge_config_selectorIhlEEZZNS1_27merge_sort_block_merge_implIS3_PhN6thrust23THRUST_200600_302600_NS10device_ptrIlEEjNS1_19radix_merge_compareILb0ELb0EhNS0_19identity_decomposerEEEEE10hipError_tT0_T1_T2_jT3_P12ihipStream_tbPNSt15iterator_traitsISG_E10value_typeEPNSM_ISH_E10value_typeEPSI_NS1_7vsmem_tEENKUlT_SG_SH_SI_E_clIS7_S7_PlSB_EESF_SV_SG_SH_SI_EUlSV_E1_NS1_11comp_targetILNS1_3genE2ELNS1_11target_archE906ELNS1_3gpuE6ELNS1_3repE0EEENS1_36merge_oddeven_config_static_selectorELNS0_4arch9wavefront6targetE1EEEvSH_,"axG",@progbits,_ZN7rocprim17ROCPRIM_400000_NS6detail17trampoline_kernelINS0_14default_configENS1_38merge_sort_block_merge_config_selectorIhlEEZZNS1_27merge_sort_block_merge_implIS3_PhN6thrust23THRUST_200600_302600_NS10device_ptrIlEEjNS1_19radix_merge_compareILb0ELb0EhNS0_19identity_decomposerEEEEE10hipError_tT0_T1_T2_jT3_P12ihipStream_tbPNSt15iterator_traitsISG_E10value_typeEPNSM_ISH_E10value_typeEPSI_NS1_7vsmem_tEENKUlT_SG_SH_SI_E_clIS7_S7_PlSB_EESF_SV_SG_SH_SI_EUlSV_E1_NS1_11comp_targetILNS1_3genE2ELNS1_11target_archE906ELNS1_3gpuE6ELNS1_3repE0EEENS1_36merge_oddeven_config_static_selectorELNS0_4arch9wavefront6targetE1EEEvSH_,comdat
	.protected	_ZN7rocprim17ROCPRIM_400000_NS6detail17trampoline_kernelINS0_14default_configENS1_38merge_sort_block_merge_config_selectorIhlEEZZNS1_27merge_sort_block_merge_implIS3_PhN6thrust23THRUST_200600_302600_NS10device_ptrIlEEjNS1_19radix_merge_compareILb0ELb0EhNS0_19identity_decomposerEEEEE10hipError_tT0_T1_T2_jT3_P12ihipStream_tbPNSt15iterator_traitsISG_E10value_typeEPNSM_ISH_E10value_typeEPSI_NS1_7vsmem_tEENKUlT_SG_SH_SI_E_clIS7_S7_PlSB_EESF_SV_SG_SH_SI_EUlSV_E1_NS1_11comp_targetILNS1_3genE2ELNS1_11target_archE906ELNS1_3gpuE6ELNS1_3repE0EEENS1_36merge_oddeven_config_static_selectorELNS0_4arch9wavefront6targetE1EEEvSH_ ; -- Begin function _ZN7rocprim17ROCPRIM_400000_NS6detail17trampoline_kernelINS0_14default_configENS1_38merge_sort_block_merge_config_selectorIhlEEZZNS1_27merge_sort_block_merge_implIS3_PhN6thrust23THRUST_200600_302600_NS10device_ptrIlEEjNS1_19radix_merge_compareILb0ELb0EhNS0_19identity_decomposerEEEEE10hipError_tT0_T1_T2_jT3_P12ihipStream_tbPNSt15iterator_traitsISG_E10value_typeEPNSM_ISH_E10value_typeEPSI_NS1_7vsmem_tEENKUlT_SG_SH_SI_E_clIS7_S7_PlSB_EESF_SV_SG_SH_SI_EUlSV_E1_NS1_11comp_targetILNS1_3genE2ELNS1_11target_archE906ELNS1_3gpuE6ELNS1_3repE0EEENS1_36merge_oddeven_config_static_selectorELNS0_4arch9wavefront6targetE1EEEvSH_
	.globl	_ZN7rocprim17ROCPRIM_400000_NS6detail17trampoline_kernelINS0_14default_configENS1_38merge_sort_block_merge_config_selectorIhlEEZZNS1_27merge_sort_block_merge_implIS3_PhN6thrust23THRUST_200600_302600_NS10device_ptrIlEEjNS1_19radix_merge_compareILb0ELb0EhNS0_19identity_decomposerEEEEE10hipError_tT0_T1_T2_jT3_P12ihipStream_tbPNSt15iterator_traitsISG_E10value_typeEPNSM_ISH_E10value_typeEPSI_NS1_7vsmem_tEENKUlT_SG_SH_SI_E_clIS7_S7_PlSB_EESF_SV_SG_SH_SI_EUlSV_E1_NS1_11comp_targetILNS1_3genE2ELNS1_11target_archE906ELNS1_3gpuE6ELNS1_3repE0EEENS1_36merge_oddeven_config_static_selectorELNS0_4arch9wavefront6targetE1EEEvSH_
	.p2align	8
	.type	_ZN7rocprim17ROCPRIM_400000_NS6detail17trampoline_kernelINS0_14default_configENS1_38merge_sort_block_merge_config_selectorIhlEEZZNS1_27merge_sort_block_merge_implIS3_PhN6thrust23THRUST_200600_302600_NS10device_ptrIlEEjNS1_19radix_merge_compareILb0ELb0EhNS0_19identity_decomposerEEEEE10hipError_tT0_T1_T2_jT3_P12ihipStream_tbPNSt15iterator_traitsISG_E10value_typeEPNSM_ISH_E10value_typeEPSI_NS1_7vsmem_tEENKUlT_SG_SH_SI_E_clIS7_S7_PlSB_EESF_SV_SG_SH_SI_EUlSV_E1_NS1_11comp_targetILNS1_3genE2ELNS1_11target_archE906ELNS1_3gpuE6ELNS1_3repE0EEENS1_36merge_oddeven_config_static_selectorELNS0_4arch9wavefront6targetE1EEEvSH_,@function
_ZN7rocprim17ROCPRIM_400000_NS6detail17trampoline_kernelINS0_14default_configENS1_38merge_sort_block_merge_config_selectorIhlEEZZNS1_27merge_sort_block_merge_implIS3_PhN6thrust23THRUST_200600_302600_NS10device_ptrIlEEjNS1_19radix_merge_compareILb0ELb0EhNS0_19identity_decomposerEEEEE10hipError_tT0_T1_T2_jT3_P12ihipStream_tbPNSt15iterator_traitsISG_E10value_typeEPNSM_ISH_E10value_typeEPSI_NS1_7vsmem_tEENKUlT_SG_SH_SI_E_clIS7_S7_PlSB_EESF_SV_SG_SH_SI_EUlSV_E1_NS1_11comp_targetILNS1_3genE2ELNS1_11target_archE906ELNS1_3gpuE6ELNS1_3repE0EEENS1_36merge_oddeven_config_static_selectorELNS0_4arch9wavefront6targetE1EEEvSH_: ; @_ZN7rocprim17ROCPRIM_400000_NS6detail17trampoline_kernelINS0_14default_configENS1_38merge_sort_block_merge_config_selectorIhlEEZZNS1_27merge_sort_block_merge_implIS3_PhN6thrust23THRUST_200600_302600_NS10device_ptrIlEEjNS1_19radix_merge_compareILb0ELb0EhNS0_19identity_decomposerEEEEE10hipError_tT0_T1_T2_jT3_P12ihipStream_tbPNSt15iterator_traitsISG_E10value_typeEPNSM_ISH_E10value_typeEPSI_NS1_7vsmem_tEENKUlT_SG_SH_SI_E_clIS7_S7_PlSB_EESF_SV_SG_SH_SI_EUlSV_E1_NS1_11comp_targetILNS1_3genE2ELNS1_11target_archE906ELNS1_3gpuE6ELNS1_3repE0EEENS1_36merge_oddeven_config_static_selectorELNS0_4arch9wavefront6targetE1EEEvSH_
; %bb.0:
	s_load_dword s7, s[4:5], 0x20
	s_waitcnt lgkmcnt(0)
	s_lshr_b32 s0, s7, 8
	s_cmp_eq_u32 s6, s0
	s_cselect_b64 s[16:17], -1, 0
	s_cmp_lg_u32 s6, s0
	s_cselect_b64 s[0:1], -1, 0
	s_lshl_b32 s18, s6, 8
	s_sub_i32 s2, s7, s18
	v_cmp_gt_u32_e64 s[2:3], s2, v0
	s_or_b64 s[0:1], s[0:1], s[2:3]
	s_and_saveexec_b64 s[8:9], s[0:1]
	s_cbranch_execz .LBB145_24
; %bb.1:
	s_load_dwordx8 s[8:15], s[4:5], 0x0
	s_mov_b32 s19, 0
	v_lshlrev_b32_e32 v3, 3, v0
	s_waitcnt lgkmcnt(0)
	s_add_u32 s0, s8, s18
	s_addc_u32 s1, s9, 0
	s_lshl_b64 s[20:21], s[18:19], 3
	s_add_u32 s12, s12, s20
	s_addc_u32 s13, s13, s21
	global_load_dwordx2 v[1:2], v3, s[12:13]
	global_load_ubyte v5, v0, s[0:1]
	s_load_dword s13, s[4:5], 0x24
	v_add_u32_e32 v3, s18, v0
	s_waitcnt lgkmcnt(0)
	s_lshr_b32 s0, s13, 8
	s_sub_i32 s1, 0, s0
	s_and_b32 s1, s6, s1
	s_and_b32 s0, s1, s0
	s_lshl_b32 s19, s1, 8
	s_sub_i32 s6, 0, s13
	s_cmp_eq_u32 s0, 0
	s_cselect_b64 s[0:1], -1, 0
	s_and_b64 s[4:5], s[0:1], exec
	s_cselect_b32 s6, s13, s6
	s_add_i32 s6, s6, s19
	s_mov_b64 s[4:5], -1
	s_cmp_gt_u32 s7, s6
	s_cbranch_scc1 .LBB145_9
; %bb.2:
	s_and_b64 vcc, exec, s[16:17]
	s_cbranch_vccz .LBB145_6
; %bb.3:
	v_cmp_gt_u32_e32 vcc, s7, v3
	s_and_saveexec_b64 s[4:5], vcc
	s_cbranch_execz .LBB145_5
; %bb.4:
	v_mov_b32_e32 v4, 0
	v_lshlrev_b64 v[6:7], 3, v[3:4]
	v_mov_b32_e32 v0, s15
	v_add_co_u32_e32 v6, vcc, s14, v6
	v_addc_co_u32_e32 v7, vcc, v0, v7, vcc
	s_waitcnt vmcnt(0)
	global_store_byte v3, v5, s[10:11]
	global_store_dwordx2 v[6:7], v[1:2], off
.LBB145_5:
	s_or_b64 exec, exec, s[4:5]
	s_mov_b64 s[4:5], 0
.LBB145_6:
	s_andn2_b64 vcc, exec, s[4:5]
	s_cbranch_vccnz .LBB145_8
; %bb.7:
	v_mov_b32_e32 v4, 0
	v_lshlrev_b64 v[6:7], 3, v[3:4]
	v_mov_b32_e32 v0, s15
	v_add_co_u32_e32 v6, vcc, s14, v6
	v_addc_co_u32_e32 v7, vcc, v0, v7, vcc
	s_waitcnt vmcnt(0)
	global_store_byte v3, v5, s[10:11]
	global_store_dwordx2 v[6:7], v[1:2], off
.LBB145_8:
	s_mov_b64 s[4:5], 0
.LBB145_9:
	s_andn2_b64 vcc, exec, s[4:5]
	s_cbranch_vccnz .LBB145_24
; %bb.10:
	s_min_u32 s12, s6, s7
	s_add_i32 s4, s12, s13
	s_min_u32 s7, s4, s7
	s_min_u32 s4, s19, s12
	s_add_i32 s19, s19, s12
	v_subrev_u32_e32 v0, s19, v3
	v_add_u32_e32 v0, s4, v0
	s_andn2_b64 vcc, exec, s[16:17]
	s_mov_b64 s[4:5], -1
	s_cbranch_vccnz .LBB145_18
; %bb.11:
	s_and_saveexec_b64 s[4:5], s[2:3]
	s_cbranch_execz .LBB145_17
; %bb.12:
	s_cmp_ge_u32 s6, s7
	v_mov_b32_e32 v3, s12
	s_cbranch_scc1 .LBB145_16
; %bb.13:
	s_mov_b64 s[2:3], 0
	v_mov_b32_e32 v4, s7
	v_mov_b32_e32 v3, s12
.LBB145_14:                             ; =>This Inner Loop Header: Depth=1
	v_add_u32_e32 v6, v3, v4
	v_lshrrev_b32_e32 v6, 1, v6
	global_load_ubyte v7, v6, s[8:9]
	v_add_u32_e32 v8, 1, v6
	s_waitcnt vmcnt(0)
	v_cmp_gt_u16_sdwa s[16:17], v5, v7 src0_sel:BYTE_0 src1_sel:DWORD
	v_cndmask_b32_e64 v9, 0, 1, s[16:17]
	v_cmp_le_u16_sdwa s[16:17], v7, v5 src0_sel:DWORD src1_sel:BYTE_0
	v_cndmask_b32_e64 v7, 0, 1, s[16:17]
	v_cndmask_b32_e64 v7, v7, v9, s[0:1]
	v_and_b32_e32 v7, 1, v7
	v_cmp_eq_u32_e32 vcc, 1, v7
	v_cndmask_b32_e32 v4, v6, v4, vcc
	v_cndmask_b32_e32 v3, v3, v8, vcc
	v_cmp_ge_u32_e32 vcc, v3, v4
	s_or_b64 s[2:3], vcc, s[2:3]
	s_andn2_b64 exec, exec, s[2:3]
	s_cbranch_execnz .LBB145_14
; %bb.15:
	s_or_b64 exec, exec, s[2:3]
.LBB145_16:
	v_add_u32_e32 v3, v3, v0
	v_mov_b32_e32 v4, 0
	s_waitcnt vmcnt(0)
	global_store_byte v3, v5, s[10:11]
	v_lshlrev_b64 v[3:4], 3, v[3:4]
	v_mov_b32_e32 v6, s15
	v_add_co_u32_e32 v3, vcc, s14, v3
	v_addc_co_u32_e32 v4, vcc, v6, v4, vcc
	global_store_dwordx2 v[3:4], v[1:2], off
.LBB145_17:
	s_or_b64 exec, exec, s[4:5]
	s_mov_b64 s[4:5], 0
.LBB145_18:
	s_andn2_b64 vcc, exec, s[4:5]
	s_cbranch_vccnz .LBB145_24
; %bb.19:
	s_cmp_ge_u32 s6, s7
	v_mov_b32_e32 v3, s12
	s_cbranch_scc1 .LBB145_23
; %bb.20:
	s_mov_b64 s[2:3], 0
	v_mov_b32_e32 v4, s7
	v_mov_b32_e32 v3, s12
.LBB145_21:                             ; =>This Inner Loop Header: Depth=1
	v_add_u32_e32 v6, v3, v4
	v_lshrrev_b32_e32 v6, 1, v6
	global_load_ubyte v7, v6, s[8:9]
	v_add_u32_e32 v8, 1, v6
	s_waitcnt vmcnt(0)
	v_cmp_gt_u16_sdwa s[4:5], v5, v7 src0_sel:BYTE_0 src1_sel:DWORD
	v_cndmask_b32_e64 v9, 0, 1, s[4:5]
	v_cmp_le_u16_sdwa s[4:5], v7, v5 src0_sel:DWORD src1_sel:BYTE_0
	v_cndmask_b32_e64 v7, 0, 1, s[4:5]
	v_cndmask_b32_e64 v7, v7, v9, s[0:1]
	v_and_b32_e32 v7, 1, v7
	v_cmp_eq_u32_e32 vcc, 1, v7
	v_cndmask_b32_e32 v4, v6, v4, vcc
	v_cndmask_b32_e32 v3, v3, v8, vcc
	v_cmp_ge_u32_e32 vcc, v3, v4
	s_or_b64 s[2:3], vcc, s[2:3]
	s_andn2_b64 exec, exec, s[2:3]
	s_cbranch_execnz .LBB145_21
; %bb.22:
	s_or_b64 exec, exec, s[2:3]
.LBB145_23:
	v_add_u32_e32 v3, v3, v0
	v_mov_b32_e32 v4, 0
	s_waitcnt vmcnt(0)
	global_store_byte v3, v5, s[10:11]
	v_lshlrev_b64 v[3:4], 3, v[3:4]
	v_mov_b32_e32 v0, s15
	v_add_co_u32_e32 v3, vcc, s14, v3
	v_addc_co_u32_e32 v4, vcc, v0, v4, vcc
	global_store_dwordx2 v[3:4], v[1:2], off
.LBB145_24:
	s_endpgm
	.section	.rodata,"a",@progbits
	.p2align	6, 0x0
	.amdhsa_kernel _ZN7rocprim17ROCPRIM_400000_NS6detail17trampoline_kernelINS0_14default_configENS1_38merge_sort_block_merge_config_selectorIhlEEZZNS1_27merge_sort_block_merge_implIS3_PhN6thrust23THRUST_200600_302600_NS10device_ptrIlEEjNS1_19radix_merge_compareILb0ELb0EhNS0_19identity_decomposerEEEEE10hipError_tT0_T1_T2_jT3_P12ihipStream_tbPNSt15iterator_traitsISG_E10value_typeEPNSM_ISH_E10value_typeEPSI_NS1_7vsmem_tEENKUlT_SG_SH_SI_E_clIS7_S7_PlSB_EESF_SV_SG_SH_SI_EUlSV_E1_NS1_11comp_targetILNS1_3genE2ELNS1_11target_archE906ELNS1_3gpuE6ELNS1_3repE0EEENS1_36merge_oddeven_config_static_selectorELNS0_4arch9wavefront6targetE1EEEvSH_
		.amdhsa_group_segment_fixed_size 0
		.amdhsa_private_segment_fixed_size 0
		.amdhsa_kernarg_size 48
		.amdhsa_user_sgpr_count 6
		.amdhsa_user_sgpr_private_segment_buffer 1
		.amdhsa_user_sgpr_dispatch_ptr 0
		.amdhsa_user_sgpr_queue_ptr 0
		.amdhsa_user_sgpr_kernarg_segment_ptr 1
		.amdhsa_user_sgpr_dispatch_id 0
		.amdhsa_user_sgpr_flat_scratch_init 0
		.amdhsa_user_sgpr_private_segment_size 0
		.amdhsa_uses_dynamic_stack 0
		.amdhsa_system_sgpr_private_segment_wavefront_offset 0
		.amdhsa_system_sgpr_workgroup_id_x 1
		.amdhsa_system_sgpr_workgroup_id_y 0
		.amdhsa_system_sgpr_workgroup_id_z 0
		.amdhsa_system_sgpr_workgroup_info 0
		.amdhsa_system_vgpr_workitem_id 0
		.amdhsa_next_free_vgpr 10
		.amdhsa_next_free_sgpr 22
		.amdhsa_reserve_vcc 1
		.amdhsa_reserve_flat_scratch 0
		.amdhsa_float_round_mode_32 0
		.amdhsa_float_round_mode_16_64 0
		.amdhsa_float_denorm_mode_32 3
		.amdhsa_float_denorm_mode_16_64 3
		.amdhsa_dx10_clamp 1
		.amdhsa_ieee_mode 1
		.amdhsa_fp16_overflow 0
		.amdhsa_exception_fp_ieee_invalid_op 0
		.amdhsa_exception_fp_denorm_src 0
		.amdhsa_exception_fp_ieee_div_zero 0
		.amdhsa_exception_fp_ieee_overflow 0
		.amdhsa_exception_fp_ieee_underflow 0
		.amdhsa_exception_fp_ieee_inexact 0
		.amdhsa_exception_int_div_zero 0
	.end_amdhsa_kernel
	.section	.text._ZN7rocprim17ROCPRIM_400000_NS6detail17trampoline_kernelINS0_14default_configENS1_38merge_sort_block_merge_config_selectorIhlEEZZNS1_27merge_sort_block_merge_implIS3_PhN6thrust23THRUST_200600_302600_NS10device_ptrIlEEjNS1_19radix_merge_compareILb0ELb0EhNS0_19identity_decomposerEEEEE10hipError_tT0_T1_T2_jT3_P12ihipStream_tbPNSt15iterator_traitsISG_E10value_typeEPNSM_ISH_E10value_typeEPSI_NS1_7vsmem_tEENKUlT_SG_SH_SI_E_clIS7_S7_PlSB_EESF_SV_SG_SH_SI_EUlSV_E1_NS1_11comp_targetILNS1_3genE2ELNS1_11target_archE906ELNS1_3gpuE6ELNS1_3repE0EEENS1_36merge_oddeven_config_static_selectorELNS0_4arch9wavefront6targetE1EEEvSH_,"axG",@progbits,_ZN7rocprim17ROCPRIM_400000_NS6detail17trampoline_kernelINS0_14default_configENS1_38merge_sort_block_merge_config_selectorIhlEEZZNS1_27merge_sort_block_merge_implIS3_PhN6thrust23THRUST_200600_302600_NS10device_ptrIlEEjNS1_19radix_merge_compareILb0ELb0EhNS0_19identity_decomposerEEEEE10hipError_tT0_T1_T2_jT3_P12ihipStream_tbPNSt15iterator_traitsISG_E10value_typeEPNSM_ISH_E10value_typeEPSI_NS1_7vsmem_tEENKUlT_SG_SH_SI_E_clIS7_S7_PlSB_EESF_SV_SG_SH_SI_EUlSV_E1_NS1_11comp_targetILNS1_3genE2ELNS1_11target_archE906ELNS1_3gpuE6ELNS1_3repE0EEENS1_36merge_oddeven_config_static_selectorELNS0_4arch9wavefront6targetE1EEEvSH_,comdat
.Lfunc_end145:
	.size	_ZN7rocprim17ROCPRIM_400000_NS6detail17trampoline_kernelINS0_14default_configENS1_38merge_sort_block_merge_config_selectorIhlEEZZNS1_27merge_sort_block_merge_implIS3_PhN6thrust23THRUST_200600_302600_NS10device_ptrIlEEjNS1_19radix_merge_compareILb0ELb0EhNS0_19identity_decomposerEEEEE10hipError_tT0_T1_T2_jT3_P12ihipStream_tbPNSt15iterator_traitsISG_E10value_typeEPNSM_ISH_E10value_typeEPSI_NS1_7vsmem_tEENKUlT_SG_SH_SI_E_clIS7_S7_PlSB_EESF_SV_SG_SH_SI_EUlSV_E1_NS1_11comp_targetILNS1_3genE2ELNS1_11target_archE906ELNS1_3gpuE6ELNS1_3repE0EEENS1_36merge_oddeven_config_static_selectorELNS0_4arch9wavefront6targetE1EEEvSH_, .Lfunc_end145-_ZN7rocprim17ROCPRIM_400000_NS6detail17trampoline_kernelINS0_14default_configENS1_38merge_sort_block_merge_config_selectorIhlEEZZNS1_27merge_sort_block_merge_implIS3_PhN6thrust23THRUST_200600_302600_NS10device_ptrIlEEjNS1_19radix_merge_compareILb0ELb0EhNS0_19identity_decomposerEEEEE10hipError_tT0_T1_T2_jT3_P12ihipStream_tbPNSt15iterator_traitsISG_E10value_typeEPNSM_ISH_E10value_typeEPSI_NS1_7vsmem_tEENKUlT_SG_SH_SI_E_clIS7_S7_PlSB_EESF_SV_SG_SH_SI_EUlSV_E1_NS1_11comp_targetILNS1_3genE2ELNS1_11target_archE906ELNS1_3gpuE6ELNS1_3repE0EEENS1_36merge_oddeven_config_static_selectorELNS0_4arch9wavefront6targetE1EEEvSH_
                                        ; -- End function
	.set _ZN7rocprim17ROCPRIM_400000_NS6detail17trampoline_kernelINS0_14default_configENS1_38merge_sort_block_merge_config_selectorIhlEEZZNS1_27merge_sort_block_merge_implIS3_PhN6thrust23THRUST_200600_302600_NS10device_ptrIlEEjNS1_19radix_merge_compareILb0ELb0EhNS0_19identity_decomposerEEEEE10hipError_tT0_T1_T2_jT3_P12ihipStream_tbPNSt15iterator_traitsISG_E10value_typeEPNSM_ISH_E10value_typeEPSI_NS1_7vsmem_tEENKUlT_SG_SH_SI_E_clIS7_S7_PlSB_EESF_SV_SG_SH_SI_EUlSV_E1_NS1_11comp_targetILNS1_3genE2ELNS1_11target_archE906ELNS1_3gpuE6ELNS1_3repE0EEENS1_36merge_oddeven_config_static_selectorELNS0_4arch9wavefront6targetE1EEEvSH_.num_vgpr, 10
	.set _ZN7rocprim17ROCPRIM_400000_NS6detail17trampoline_kernelINS0_14default_configENS1_38merge_sort_block_merge_config_selectorIhlEEZZNS1_27merge_sort_block_merge_implIS3_PhN6thrust23THRUST_200600_302600_NS10device_ptrIlEEjNS1_19radix_merge_compareILb0ELb0EhNS0_19identity_decomposerEEEEE10hipError_tT0_T1_T2_jT3_P12ihipStream_tbPNSt15iterator_traitsISG_E10value_typeEPNSM_ISH_E10value_typeEPSI_NS1_7vsmem_tEENKUlT_SG_SH_SI_E_clIS7_S7_PlSB_EESF_SV_SG_SH_SI_EUlSV_E1_NS1_11comp_targetILNS1_3genE2ELNS1_11target_archE906ELNS1_3gpuE6ELNS1_3repE0EEENS1_36merge_oddeven_config_static_selectorELNS0_4arch9wavefront6targetE1EEEvSH_.num_agpr, 0
	.set _ZN7rocprim17ROCPRIM_400000_NS6detail17trampoline_kernelINS0_14default_configENS1_38merge_sort_block_merge_config_selectorIhlEEZZNS1_27merge_sort_block_merge_implIS3_PhN6thrust23THRUST_200600_302600_NS10device_ptrIlEEjNS1_19radix_merge_compareILb0ELb0EhNS0_19identity_decomposerEEEEE10hipError_tT0_T1_T2_jT3_P12ihipStream_tbPNSt15iterator_traitsISG_E10value_typeEPNSM_ISH_E10value_typeEPSI_NS1_7vsmem_tEENKUlT_SG_SH_SI_E_clIS7_S7_PlSB_EESF_SV_SG_SH_SI_EUlSV_E1_NS1_11comp_targetILNS1_3genE2ELNS1_11target_archE906ELNS1_3gpuE6ELNS1_3repE0EEENS1_36merge_oddeven_config_static_selectorELNS0_4arch9wavefront6targetE1EEEvSH_.numbered_sgpr, 22
	.set _ZN7rocprim17ROCPRIM_400000_NS6detail17trampoline_kernelINS0_14default_configENS1_38merge_sort_block_merge_config_selectorIhlEEZZNS1_27merge_sort_block_merge_implIS3_PhN6thrust23THRUST_200600_302600_NS10device_ptrIlEEjNS1_19radix_merge_compareILb0ELb0EhNS0_19identity_decomposerEEEEE10hipError_tT0_T1_T2_jT3_P12ihipStream_tbPNSt15iterator_traitsISG_E10value_typeEPNSM_ISH_E10value_typeEPSI_NS1_7vsmem_tEENKUlT_SG_SH_SI_E_clIS7_S7_PlSB_EESF_SV_SG_SH_SI_EUlSV_E1_NS1_11comp_targetILNS1_3genE2ELNS1_11target_archE906ELNS1_3gpuE6ELNS1_3repE0EEENS1_36merge_oddeven_config_static_selectorELNS0_4arch9wavefront6targetE1EEEvSH_.num_named_barrier, 0
	.set _ZN7rocprim17ROCPRIM_400000_NS6detail17trampoline_kernelINS0_14default_configENS1_38merge_sort_block_merge_config_selectorIhlEEZZNS1_27merge_sort_block_merge_implIS3_PhN6thrust23THRUST_200600_302600_NS10device_ptrIlEEjNS1_19radix_merge_compareILb0ELb0EhNS0_19identity_decomposerEEEEE10hipError_tT0_T1_T2_jT3_P12ihipStream_tbPNSt15iterator_traitsISG_E10value_typeEPNSM_ISH_E10value_typeEPSI_NS1_7vsmem_tEENKUlT_SG_SH_SI_E_clIS7_S7_PlSB_EESF_SV_SG_SH_SI_EUlSV_E1_NS1_11comp_targetILNS1_3genE2ELNS1_11target_archE906ELNS1_3gpuE6ELNS1_3repE0EEENS1_36merge_oddeven_config_static_selectorELNS0_4arch9wavefront6targetE1EEEvSH_.private_seg_size, 0
	.set _ZN7rocprim17ROCPRIM_400000_NS6detail17trampoline_kernelINS0_14default_configENS1_38merge_sort_block_merge_config_selectorIhlEEZZNS1_27merge_sort_block_merge_implIS3_PhN6thrust23THRUST_200600_302600_NS10device_ptrIlEEjNS1_19radix_merge_compareILb0ELb0EhNS0_19identity_decomposerEEEEE10hipError_tT0_T1_T2_jT3_P12ihipStream_tbPNSt15iterator_traitsISG_E10value_typeEPNSM_ISH_E10value_typeEPSI_NS1_7vsmem_tEENKUlT_SG_SH_SI_E_clIS7_S7_PlSB_EESF_SV_SG_SH_SI_EUlSV_E1_NS1_11comp_targetILNS1_3genE2ELNS1_11target_archE906ELNS1_3gpuE6ELNS1_3repE0EEENS1_36merge_oddeven_config_static_selectorELNS0_4arch9wavefront6targetE1EEEvSH_.uses_vcc, 1
	.set _ZN7rocprim17ROCPRIM_400000_NS6detail17trampoline_kernelINS0_14default_configENS1_38merge_sort_block_merge_config_selectorIhlEEZZNS1_27merge_sort_block_merge_implIS3_PhN6thrust23THRUST_200600_302600_NS10device_ptrIlEEjNS1_19radix_merge_compareILb0ELb0EhNS0_19identity_decomposerEEEEE10hipError_tT0_T1_T2_jT3_P12ihipStream_tbPNSt15iterator_traitsISG_E10value_typeEPNSM_ISH_E10value_typeEPSI_NS1_7vsmem_tEENKUlT_SG_SH_SI_E_clIS7_S7_PlSB_EESF_SV_SG_SH_SI_EUlSV_E1_NS1_11comp_targetILNS1_3genE2ELNS1_11target_archE906ELNS1_3gpuE6ELNS1_3repE0EEENS1_36merge_oddeven_config_static_selectorELNS0_4arch9wavefront6targetE1EEEvSH_.uses_flat_scratch, 0
	.set _ZN7rocprim17ROCPRIM_400000_NS6detail17trampoline_kernelINS0_14default_configENS1_38merge_sort_block_merge_config_selectorIhlEEZZNS1_27merge_sort_block_merge_implIS3_PhN6thrust23THRUST_200600_302600_NS10device_ptrIlEEjNS1_19radix_merge_compareILb0ELb0EhNS0_19identity_decomposerEEEEE10hipError_tT0_T1_T2_jT3_P12ihipStream_tbPNSt15iterator_traitsISG_E10value_typeEPNSM_ISH_E10value_typeEPSI_NS1_7vsmem_tEENKUlT_SG_SH_SI_E_clIS7_S7_PlSB_EESF_SV_SG_SH_SI_EUlSV_E1_NS1_11comp_targetILNS1_3genE2ELNS1_11target_archE906ELNS1_3gpuE6ELNS1_3repE0EEENS1_36merge_oddeven_config_static_selectorELNS0_4arch9wavefront6targetE1EEEvSH_.has_dyn_sized_stack, 0
	.set _ZN7rocprim17ROCPRIM_400000_NS6detail17trampoline_kernelINS0_14default_configENS1_38merge_sort_block_merge_config_selectorIhlEEZZNS1_27merge_sort_block_merge_implIS3_PhN6thrust23THRUST_200600_302600_NS10device_ptrIlEEjNS1_19radix_merge_compareILb0ELb0EhNS0_19identity_decomposerEEEEE10hipError_tT0_T1_T2_jT3_P12ihipStream_tbPNSt15iterator_traitsISG_E10value_typeEPNSM_ISH_E10value_typeEPSI_NS1_7vsmem_tEENKUlT_SG_SH_SI_E_clIS7_S7_PlSB_EESF_SV_SG_SH_SI_EUlSV_E1_NS1_11comp_targetILNS1_3genE2ELNS1_11target_archE906ELNS1_3gpuE6ELNS1_3repE0EEENS1_36merge_oddeven_config_static_selectorELNS0_4arch9wavefront6targetE1EEEvSH_.has_recursion, 0
	.set _ZN7rocprim17ROCPRIM_400000_NS6detail17trampoline_kernelINS0_14default_configENS1_38merge_sort_block_merge_config_selectorIhlEEZZNS1_27merge_sort_block_merge_implIS3_PhN6thrust23THRUST_200600_302600_NS10device_ptrIlEEjNS1_19radix_merge_compareILb0ELb0EhNS0_19identity_decomposerEEEEE10hipError_tT0_T1_T2_jT3_P12ihipStream_tbPNSt15iterator_traitsISG_E10value_typeEPNSM_ISH_E10value_typeEPSI_NS1_7vsmem_tEENKUlT_SG_SH_SI_E_clIS7_S7_PlSB_EESF_SV_SG_SH_SI_EUlSV_E1_NS1_11comp_targetILNS1_3genE2ELNS1_11target_archE906ELNS1_3gpuE6ELNS1_3repE0EEENS1_36merge_oddeven_config_static_selectorELNS0_4arch9wavefront6targetE1EEEvSH_.has_indirect_call, 0
	.section	.AMDGPU.csdata,"",@progbits
; Kernel info:
; codeLenInByte = 736
; TotalNumSgprs: 26
; NumVgprs: 10
; ScratchSize: 0
; MemoryBound: 0
; FloatMode: 240
; IeeeMode: 1
; LDSByteSize: 0 bytes/workgroup (compile time only)
; SGPRBlocks: 3
; VGPRBlocks: 2
; NumSGPRsForWavesPerEU: 26
; NumVGPRsForWavesPerEU: 10
; Occupancy: 10
; WaveLimiterHint : 0
; COMPUTE_PGM_RSRC2:SCRATCH_EN: 0
; COMPUTE_PGM_RSRC2:USER_SGPR: 6
; COMPUTE_PGM_RSRC2:TRAP_HANDLER: 0
; COMPUTE_PGM_RSRC2:TGID_X_EN: 1
; COMPUTE_PGM_RSRC2:TGID_Y_EN: 0
; COMPUTE_PGM_RSRC2:TGID_Z_EN: 0
; COMPUTE_PGM_RSRC2:TIDIG_COMP_CNT: 0
	.section	.text._ZN7rocprim17ROCPRIM_400000_NS6detail17trampoline_kernelINS0_14default_configENS1_38merge_sort_block_merge_config_selectorIhlEEZZNS1_27merge_sort_block_merge_implIS3_PhN6thrust23THRUST_200600_302600_NS10device_ptrIlEEjNS1_19radix_merge_compareILb0ELb0EhNS0_19identity_decomposerEEEEE10hipError_tT0_T1_T2_jT3_P12ihipStream_tbPNSt15iterator_traitsISG_E10value_typeEPNSM_ISH_E10value_typeEPSI_NS1_7vsmem_tEENKUlT_SG_SH_SI_E_clIS7_S7_PlSB_EESF_SV_SG_SH_SI_EUlSV_E1_NS1_11comp_targetILNS1_3genE9ELNS1_11target_archE1100ELNS1_3gpuE3ELNS1_3repE0EEENS1_36merge_oddeven_config_static_selectorELNS0_4arch9wavefront6targetE1EEEvSH_,"axG",@progbits,_ZN7rocprim17ROCPRIM_400000_NS6detail17trampoline_kernelINS0_14default_configENS1_38merge_sort_block_merge_config_selectorIhlEEZZNS1_27merge_sort_block_merge_implIS3_PhN6thrust23THRUST_200600_302600_NS10device_ptrIlEEjNS1_19radix_merge_compareILb0ELb0EhNS0_19identity_decomposerEEEEE10hipError_tT0_T1_T2_jT3_P12ihipStream_tbPNSt15iterator_traitsISG_E10value_typeEPNSM_ISH_E10value_typeEPSI_NS1_7vsmem_tEENKUlT_SG_SH_SI_E_clIS7_S7_PlSB_EESF_SV_SG_SH_SI_EUlSV_E1_NS1_11comp_targetILNS1_3genE9ELNS1_11target_archE1100ELNS1_3gpuE3ELNS1_3repE0EEENS1_36merge_oddeven_config_static_selectorELNS0_4arch9wavefront6targetE1EEEvSH_,comdat
	.protected	_ZN7rocprim17ROCPRIM_400000_NS6detail17trampoline_kernelINS0_14default_configENS1_38merge_sort_block_merge_config_selectorIhlEEZZNS1_27merge_sort_block_merge_implIS3_PhN6thrust23THRUST_200600_302600_NS10device_ptrIlEEjNS1_19radix_merge_compareILb0ELb0EhNS0_19identity_decomposerEEEEE10hipError_tT0_T1_T2_jT3_P12ihipStream_tbPNSt15iterator_traitsISG_E10value_typeEPNSM_ISH_E10value_typeEPSI_NS1_7vsmem_tEENKUlT_SG_SH_SI_E_clIS7_S7_PlSB_EESF_SV_SG_SH_SI_EUlSV_E1_NS1_11comp_targetILNS1_3genE9ELNS1_11target_archE1100ELNS1_3gpuE3ELNS1_3repE0EEENS1_36merge_oddeven_config_static_selectorELNS0_4arch9wavefront6targetE1EEEvSH_ ; -- Begin function _ZN7rocprim17ROCPRIM_400000_NS6detail17trampoline_kernelINS0_14default_configENS1_38merge_sort_block_merge_config_selectorIhlEEZZNS1_27merge_sort_block_merge_implIS3_PhN6thrust23THRUST_200600_302600_NS10device_ptrIlEEjNS1_19radix_merge_compareILb0ELb0EhNS0_19identity_decomposerEEEEE10hipError_tT0_T1_T2_jT3_P12ihipStream_tbPNSt15iterator_traitsISG_E10value_typeEPNSM_ISH_E10value_typeEPSI_NS1_7vsmem_tEENKUlT_SG_SH_SI_E_clIS7_S7_PlSB_EESF_SV_SG_SH_SI_EUlSV_E1_NS1_11comp_targetILNS1_3genE9ELNS1_11target_archE1100ELNS1_3gpuE3ELNS1_3repE0EEENS1_36merge_oddeven_config_static_selectorELNS0_4arch9wavefront6targetE1EEEvSH_
	.globl	_ZN7rocprim17ROCPRIM_400000_NS6detail17trampoline_kernelINS0_14default_configENS1_38merge_sort_block_merge_config_selectorIhlEEZZNS1_27merge_sort_block_merge_implIS3_PhN6thrust23THRUST_200600_302600_NS10device_ptrIlEEjNS1_19radix_merge_compareILb0ELb0EhNS0_19identity_decomposerEEEEE10hipError_tT0_T1_T2_jT3_P12ihipStream_tbPNSt15iterator_traitsISG_E10value_typeEPNSM_ISH_E10value_typeEPSI_NS1_7vsmem_tEENKUlT_SG_SH_SI_E_clIS7_S7_PlSB_EESF_SV_SG_SH_SI_EUlSV_E1_NS1_11comp_targetILNS1_3genE9ELNS1_11target_archE1100ELNS1_3gpuE3ELNS1_3repE0EEENS1_36merge_oddeven_config_static_selectorELNS0_4arch9wavefront6targetE1EEEvSH_
	.p2align	8
	.type	_ZN7rocprim17ROCPRIM_400000_NS6detail17trampoline_kernelINS0_14default_configENS1_38merge_sort_block_merge_config_selectorIhlEEZZNS1_27merge_sort_block_merge_implIS3_PhN6thrust23THRUST_200600_302600_NS10device_ptrIlEEjNS1_19radix_merge_compareILb0ELb0EhNS0_19identity_decomposerEEEEE10hipError_tT0_T1_T2_jT3_P12ihipStream_tbPNSt15iterator_traitsISG_E10value_typeEPNSM_ISH_E10value_typeEPSI_NS1_7vsmem_tEENKUlT_SG_SH_SI_E_clIS7_S7_PlSB_EESF_SV_SG_SH_SI_EUlSV_E1_NS1_11comp_targetILNS1_3genE9ELNS1_11target_archE1100ELNS1_3gpuE3ELNS1_3repE0EEENS1_36merge_oddeven_config_static_selectorELNS0_4arch9wavefront6targetE1EEEvSH_,@function
_ZN7rocprim17ROCPRIM_400000_NS6detail17trampoline_kernelINS0_14default_configENS1_38merge_sort_block_merge_config_selectorIhlEEZZNS1_27merge_sort_block_merge_implIS3_PhN6thrust23THRUST_200600_302600_NS10device_ptrIlEEjNS1_19radix_merge_compareILb0ELb0EhNS0_19identity_decomposerEEEEE10hipError_tT0_T1_T2_jT3_P12ihipStream_tbPNSt15iterator_traitsISG_E10value_typeEPNSM_ISH_E10value_typeEPSI_NS1_7vsmem_tEENKUlT_SG_SH_SI_E_clIS7_S7_PlSB_EESF_SV_SG_SH_SI_EUlSV_E1_NS1_11comp_targetILNS1_3genE9ELNS1_11target_archE1100ELNS1_3gpuE3ELNS1_3repE0EEENS1_36merge_oddeven_config_static_selectorELNS0_4arch9wavefront6targetE1EEEvSH_: ; @_ZN7rocprim17ROCPRIM_400000_NS6detail17trampoline_kernelINS0_14default_configENS1_38merge_sort_block_merge_config_selectorIhlEEZZNS1_27merge_sort_block_merge_implIS3_PhN6thrust23THRUST_200600_302600_NS10device_ptrIlEEjNS1_19radix_merge_compareILb0ELb0EhNS0_19identity_decomposerEEEEE10hipError_tT0_T1_T2_jT3_P12ihipStream_tbPNSt15iterator_traitsISG_E10value_typeEPNSM_ISH_E10value_typeEPSI_NS1_7vsmem_tEENKUlT_SG_SH_SI_E_clIS7_S7_PlSB_EESF_SV_SG_SH_SI_EUlSV_E1_NS1_11comp_targetILNS1_3genE9ELNS1_11target_archE1100ELNS1_3gpuE3ELNS1_3repE0EEENS1_36merge_oddeven_config_static_selectorELNS0_4arch9wavefront6targetE1EEEvSH_
; %bb.0:
	.section	.rodata,"a",@progbits
	.p2align	6, 0x0
	.amdhsa_kernel _ZN7rocprim17ROCPRIM_400000_NS6detail17trampoline_kernelINS0_14default_configENS1_38merge_sort_block_merge_config_selectorIhlEEZZNS1_27merge_sort_block_merge_implIS3_PhN6thrust23THRUST_200600_302600_NS10device_ptrIlEEjNS1_19radix_merge_compareILb0ELb0EhNS0_19identity_decomposerEEEEE10hipError_tT0_T1_T2_jT3_P12ihipStream_tbPNSt15iterator_traitsISG_E10value_typeEPNSM_ISH_E10value_typeEPSI_NS1_7vsmem_tEENKUlT_SG_SH_SI_E_clIS7_S7_PlSB_EESF_SV_SG_SH_SI_EUlSV_E1_NS1_11comp_targetILNS1_3genE9ELNS1_11target_archE1100ELNS1_3gpuE3ELNS1_3repE0EEENS1_36merge_oddeven_config_static_selectorELNS0_4arch9wavefront6targetE1EEEvSH_
		.amdhsa_group_segment_fixed_size 0
		.amdhsa_private_segment_fixed_size 0
		.amdhsa_kernarg_size 48
		.amdhsa_user_sgpr_count 6
		.amdhsa_user_sgpr_private_segment_buffer 1
		.amdhsa_user_sgpr_dispatch_ptr 0
		.amdhsa_user_sgpr_queue_ptr 0
		.amdhsa_user_sgpr_kernarg_segment_ptr 1
		.amdhsa_user_sgpr_dispatch_id 0
		.amdhsa_user_sgpr_flat_scratch_init 0
		.amdhsa_user_sgpr_private_segment_size 0
		.amdhsa_uses_dynamic_stack 0
		.amdhsa_system_sgpr_private_segment_wavefront_offset 0
		.amdhsa_system_sgpr_workgroup_id_x 1
		.amdhsa_system_sgpr_workgroup_id_y 0
		.amdhsa_system_sgpr_workgroup_id_z 0
		.amdhsa_system_sgpr_workgroup_info 0
		.amdhsa_system_vgpr_workitem_id 0
		.amdhsa_next_free_vgpr 1
		.amdhsa_next_free_sgpr 0
		.amdhsa_reserve_vcc 0
		.amdhsa_reserve_flat_scratch 0
		.amdhsa_float_round_mode_32 0
		.amdhsa_float_round_mode_16_64 0
		.amdhsa_float_denorm_mode_32 3
		.amdhsa_float_denorm_mode_16_64 3
		.amdhsa_dx10_clamp 1
		.amdhsa_ieee_mode 1
		.amdhsa_fp16_overflow 0
		.amdhsa_exception_fp_ieee_invalid_op 0
		.amdhsa_exception_fp_denorm_src 0
		.amdhsa_exception_fp_ieee_div_zero 0
		.amdhsa_exception_fp_ieee_overflow 0
		.amdhsa_exception_fp_ieee_underflow 0
		.amdhsa_exception_fp_ieee_inexact 0
		.amdhsa_exception_int_div_zero 0
	.end_amdhsa_kernel
	.section	.text._ZN7rocprim17ROCPRIM_400000_NS6detail17trampoline_kernelINS0_14default_configENS1_38merge_sort_block_merge_config_selectorIhlEEZZNS1_27merge_sort_block_merge_implIS3_PhN6thrust23THRUST_200600_302600_NS10device_ptrIlEEjNS1_19radix_merge_compareILb0ELb0EhNS0_19identity_decomposerEEEEE10hipError_tT0_T1_T2_jT3_P12ihipStream_tbPNSt15iterator_traitsISG_E10value_typeEPNSM_ISH_E10value_typeEPSI_NS1_7vsmem_tEENKUlT_SG_SH_SI_E_clIS7_S7_PlSB_EESF_SV_SG_SH_SI_EUlSV_E1_NS1_11comp_targetILNS1_3genE9ELNS1_11target_archE1100ELNS1_3gpuE3ELNS1_3repE0EEENS1_36merge_oddeven_config_static_selectorELNS0_4arch9wavefront6targetE1EEEvSH_,"axG",@progbits,_ZN7rocprim17ROCPRIM_400000_NS6detail17trampoline_kernelINS0_14default_configENS1_38merge_sort_block_merge_config_selectorIhlEEZZNS1_27merge_sort_block_merge_implIS3_PhN6thrust23THRUST_200600_302600_NS10device_ptrIlEEjNS1_19radix_merge_compareILb0ELb0EhNS0_19identity_decomposerEEEEE10hipError_tT0_T1_T2_jT3_P12ihipStream_tbPNSt15iterator_traitsISG_E10value_typeEPNSM_ISH_E10value_typeEPSI_NS1_7vsmem_tEENKUlT_SG_SH_SI_E_clIS7_S7_PlSB_EESF_SV_SG_SH_SI_EUlSV_E1_NS1_11comp_targetILNS1_3genE9ELNS1_11target_archE1100ELNS1_3gpuE3ELNS1_3repE0EEENS1_36merge_oddeven_config_static_selectorELNS0_4arch9wavefront6targetE1EEEvSH_,comdat
.Lfunc_end146:
	.size	_ZN7rocprim17ROCPRIM_400000_NS6detail17trampoline_kernelINS0_14default_configENS1_38merge_sort_block_merge_config_selectorIhlEEZZNS1_27merge_sort_block_merge_implIS3_PhN6thrust23THRUST_200600_302600_NS10device_ptrIlEEjNS1_19radix_merge_compareILb0ELb0EhNS0_19identity_decomposerEEEEE10hipError_tT0_T1_T2_jT3_P12ihipStream_tbPNSt15iterator_traitsISG_E10value_typeEPNSM_ISH_E10value_typeEPSI_NS1_7vsmem_tEENKUlT_SG_SH_SI_E_clIS7_S7_PlSB_EESF_SV_SG_SH_SI_EUlSV_E1_NS1_11comp_targetILNS1_3genE9ELNS1_11target_archE1100ELNS1_3gpuE3ELNS1_3repE0EEENS1_36merge_oddeven_config_static_selectorELNS0_4arch9wavefront6targetE1EEEvSH_, .Lfunc_end146-_ZN7rocprim17ROCPRIM_400000_NS6detail17trampoline_kernelINS0_14default_configENS1_38merge_sort_block_merge_config_selectorIhlEEZZNS1_27merge_sort_block_merge_implIS3_PhN6thrust23THRUST_200600_302600_NS10device_ptrIlEEjNS1_19radix_merge_compareILb0ELb0EhNS0_19identity_decomposerEEEEE10hipError_tT0_T1_T2_jT3_P12ihipStream_tbPNSt15iterator_traitsISG_E10value_typeEPNSM_ISH_E10value_typeEPSI_NS1_7vsmem_tEENKUlT_SG_SH_SI_E_clIS7_S7_PlSB_EESF_SV_SG_SH_SI_EUlSV_E1_NS1_11comp_targetILNS1_3genE9ELNS1_11target_archE1100ELNS1_3gpuE3ELNS1_3repE0EEENS1_36merge_oddeven_config_static_selectorELNS0_4arch9wavefront6targetE1EEEvSH_
                                        ; -- End function
	.set _ZN7rocprim17ROCPRIM_400000_NS6detail17trampoline_kernelINS0_14default_configENS1_38merge_sort_block_merge_config_selectorIhlEEZZNS1_27merge_sort_block_merge_implIS3_PhN6thrust23THRUST_200600_302600_NS10device_ptrIlEEjNS1_19radix_merge_compareILb0ELb0EhNS0_19identity_decomposerEEEEE10hipError_tT0_T1_T2_jT3_P12ihipStream_tbPNSt15iterator_traitsISG_E10value_typeEPNSM_ISH_E10value_typeEPSI_NS1_7vsmem_tEENKUlT_SG_SH_SI_E_clIS7_S7_PlSB_EESF_SV_SG_SH_SI_EUlSV_E1_NS1_11comp_targetILNS1_3genE9ELNS1_11target_archE1100ELNS1_3gpuE3ELNS1_3repE0EEENS1_36merge_oddeven_config_static_selectorELNS0_4arch9wavefront6targetE1EEEvSH_.num_vgpr, 0
	.set _ZN7rocprim17ROCPRIM_400000_NS6detail17trampoline_kernelINS0_14default_configENS1_38merge_sort_block_merge_config_selectorIhlEEZZNS1_27merge_sort_block_merge_implIS3_PhN6thrust23THRUST_200600_302600_NS10device_ptrIlEEjNS1_19radix_merge_compareILb0ELb0EhNS0_19identity_decomposerEEEEE10hipError_tT0_T1_T2_jT3_P12ihipStream_tbPNSt15iterator_traitsISG_E10value_typeEPNSM_ISH_E10value_typeEPSI_NS1_7vsmem_tEENKUlT_SG_SH_SI_E_clIS7_S7_PlSB_EESF_SV_SG_SH_SI_EUlSV_E1_NS1_11comp_targetILNS1_3genE9ELNS1_11target_archE1100ELNS1_3gpuE3ELNS1_3repE0EEENS1_36merge_oddeven_config_static_selectorELNS0_4arch9wavefront6targetE1EEEvSH_.num_agpr, 0
	.set _ZN7rocprim17ROCPRIM_400000_NS6detail17trampoline_kernelINS0_14default_configENS1_38merge_sort_block_merge_config_selectorIhlEEZZNS1_27merge_sort_block_merge_implIS3_PhN6thrust23THRUST_200600_302600_NS10device_ptrIlEEjNS1_19radix_merge_compareILb0ELb0EhNS0_19identity_decomposerEEEEE10hipError_tT0_T1_T2_jT3_P12ihipStream_tbPNSt15iterator_traitsISG_E10value_typeEPNSM_ISH_E10value_typeEPSI_NS1_7vsmem_tEENKUlT_SG_SH_SI_E_clIS7_S7_PlSB_EESF_SV_SG_SH_SI_EUlSV_E1_NS1_11comp_targetILNS1_3genE9ELNS1_11target_archE1100ELNS1_3gpuE3ELNS1_3repE0EEENS1_36merge_oddeven_config_static_selectorELNS0_4arch9wavefront6targetE1EEEvSH_.numbered_sgpr, 0
	.set _ZN7rocprim17ROCPRIM_400000_NS6detail17trampoline_kernelINS0_14default_configENS1_38merge_sort_block_merge_config_selectorIhlEEZZNS1_27merge_sort_block_merge_implIS3_PhN6thrust23THRUST_200600_302600_NS10device_ptrIlEEjNS1_19radix_merge_compareILb0ELb0EhNS0_19identity_decomposerEEEEE10hipError_tT0_T1_T2_jT3_P12ihipStream_tbPNSt15iterator_traitsISG_E10value_typeEPNSM_ISH_E10value_typeEPSI_NS1_7vsmem_tEENKUlT_SG_SH_SI_E_clIS7_S7_PlSB_EESF_SV_SG_SH_SI_EUlSV_E1_NS1_11comp_targetILNS1_3genE9ELNS1_11target_archE1100ELNS1_3gpuE3ELNS1_3repE0EEENS1_36merge_oddeven_config_static_selectorELNS0_4arch9wavefront6targetE1EEEvSH_.num_named_barrier, 0
	.set _ZN7rocprim17ROCPRIM_400000_NS6detail17trampoline_kernelINS0_14default_configENS1_38merge_sort_block_merge_config_selectorIhlEEZZNS1_27merge_sort_block_merge_implIS3_PhN6thrust23THRUST_200600_302600_NS10device_ptrIlEEjNS1_19radix_merge_compareILb0ELb0EhNS0_19identity_decomposerEEEEE10hipError_tT0_T1_T2_jT3_P12ihipStream_tbPNSt15iterator_traitsISG_E10value_typeEPNSM_ISH_E10value_typeEPSI_NS1_7vsmem_tEENKUlT_SG_SH_SI_E_clIS7_S7_PlSB_EESF_SV_SG_SH_SI_EUlSV_E1_NS1_11comp_targetILNS1_3genE9ELNS1_11target_archE1100ELNS1_3gpuE3ELNS1_3repE0EEENS1_36merge_oddeven_config_static_selectorELNS0_4arch9wavefront6targetE1EEEvSH_.private_seg_size, 0
	.set _ZN7rocprim17ROCPRIM_400000_NS6detail17trampoline_kernelINS0_14default_configENS1_38merge_sort_block_merge_config_selectorIhlEEZZNS1_27merge_sort_block_merge_implIS3_PhN6thrust23THRUST_200600_302600_NS10device_ptrIlEEjNS1_19radix_merge_compareILb0ELb0EhNS0_19identity_decomposerEEEEE10hipError_tT0_T1_T2_jT3_P12ihipStream_tbPNSt15iterator_traitsISG_E10value_typeEPNSM_ISH_E10value_typeEPSI_NS1_7vsmem_tEENKUlT_SG_SH_SI_E_clIS7_S7_PlSB_EESF_SV_SG_SH_SI_EUlSV_E1_NS1_11comp_targetILNS1_3genE9ELNS1_11target_archE1100ELNS1_3gpuE3ELNS1_3repE0EEENS1_36merge_oddeven_config_static_selectorELNS0_4arch9wavefront6targetE1EEEvSH_.uses_vcc, 0
	.set _ZN7rocprim17ROCPRIM_400000_NS6detail17trampoline_kernelINS0_14default_configENS1_38merge_sort_block_merge_config_selectorIhlEEZZNS1_27merge_sort_block_merge_implIS3_PhN6thrust23THRUST_200600_302600_NS10device_ptrIlEEjNS1_19radix_merge_compareILb0ELb0EhNS0_19identity_decomposerEEEEE10hipError_tT0_T1_T2_jT3_P12ihipStream_tbPNSt15iterator_traitsISG_E10value_typeEPNSM_ISH_E10value_typeEPSI_NS1_7vsmem_tEENKUlT_SG_SH_SI_E_clIS7_S7_PlSB_EESF_SV_SG_SH_SI_EUlSV_E1_NS1_11comp_targetILNS1_3genE9ELNS1_11target_archE1100ELNS1_3gpuE3ELNS1_3repE0EEENS1_36merge_oddeven_config_static_selectorELNS0_4arch9wavefront6targetE1EEEvSH_.uses_flat_scratch, 0
	.set _ZN7rocprim17ROCPRIM_400000_NS6detail17trampoline_kernelINS0_14default_configENS1_38merge_sort_block_merge_config_selectorIhlEEZZNS1_27merge_sort_block_merge_implIS3_PhN6thrust23THRUST_200600_302600_NS10device_ptrIlEEjNS1_19radix_merge_compareILb0ELb0EhNS0_19identity_decomposerEEEEE10hipError_tT0_T1_T2_jT3_P12ihipStream_tbPNSt15iterator_traitsISG_E10value_typeEPNSM_ISH_E10value_typeEPSI_NS1_7vsmem_tEENKUlT_SG_SH_SI_E_clIS7_S7_PlSB_EESF_SV_SG_SH_SI_EUlSV_E1_NS1_11comp_targetILNS1_3genE9ELNS1_11target_archE1100ELNS1_3gpuE3ELNS1_3repE0EEENS1_36merge_oddeven_config_static_selectorELNS0_4arch9wavefront6targetE1EEEvSH_.has_dyn_sized_stack, 0
	.set _ZN7rocprim17ROCPRIM_400000_NS6detail17trampoline_kernelINS0_14default_configENS1_38merge_sort_block_merge_config_selectorIhlEEZZNS1_27merge_sort_block_merge_implIS3_PhN6thrust23THRUST_200600_302600_NS10device_ptrIlEEjNS1_19radix_merge_compareILb0ELb0EhNS0_19identity_decomposerEEEEE10hipError_tT0_T1_T2_jT3_P12ihipStream_tbPNSt15iterator_traitsISG_E10value_typeEPNSM_ISH_E10value_typeEPSI_NS1_7vsmem_tEENKUlT_SG_SH_SI_E_clIS7_S7_PlSB_EESF_SV_SG_SH_SI_EUlSV_E1_NS1_11comp_targetILNS1_3genE9ELNS1_11target_archE1100ELNS1_3gpuE3ELNS1_3repE0EEENS1_36merge_oddeven_config_static_selectorELNS0_4arch9wavefront6targetE1EEEvSH_.has_recursion, 0
	.set _ZN7rocprim17ROCPRIM_400000_NS6detail17trampoline_kernelINS0_14default_configENS1_38merge_sort_block_merge_config_selectorIhlEEZZNS1_27merge_sort_block_merge_implIS3_PhN6thrust23THRUST_200600_302600_NS10device_ptrIlEEjNS1_19radix_merge_compareILb0ELb0EhNS0_19identity_decomposerEEEEE10hipError_tT0_T1_T2_jT3_P12ihipStream_tbPNSt15iterator_traitsISG_E10value_typeEPNSM_ISH_E10value_typeEPSI_NS1_7vsmem_tEENKUlT_SG_SH_SI_E_clIS7_S7_PlSB_EESF_SV_SG_SH_SI_EUlSV_E1_NS1_11comp_targetILNS1_3genE9ELNS1_11target_archE1100ELNS1_3gpuE3ELNS1_3repE0EEENS1_36merge_oddeven_config_static_selectorELNS0_4arch9wavefront6targetE1EEEvSH_.has_indirect_call, 0
	.section	.AMDGPU.csdata,"",@progbits
; Kernel info:
; codeLenInByte = 0
; TotalNumSgprs: 4
; NumVgprs: 0
; ScratchSize: 0
; MemoryBound: 0
; FloatMode: 240
; IeeeMode: 1
; LDSByteSize: 0 bytes/workgroup (compile time only)
; SGPRBlocks: 0
; VGPRBlocks: 0
; NumSGPRsForWavesPerEU: 4
; NumVGPRsForWavesPerEU: 1
; Occupancy: 10
; WaveLimiterHint : 0
; COMPUTE_PGM_RSRC2:SCRATCH_EN: 0
; COMPUTE_PGM_RSRC2:USER_SGPR: 6
; COMPUTE_PGM_RSRC2:TRAP_HANDLER: 0
; COMPUTE_PGM_RSRC2:TGID_X_EN: 1
; COMPUTE_PGM_RSRC2:TGID_Y_EN: 0
; COMPUTE_PGM_RSRC2:TGID_Z_EN: 0
; COMPUTE_PGM_RSRC2:TIDIG_COMP_CNT: 0
	.section	.text._ZN7rocprim17ROCPRIM_400000_NS6detail17trampoline_kernelINS0_14default_configENS1_38merge_sort_block_merge_config_selectorIhlEEZZNS1_27merge_sort_block_merge_implIS3_PhN6thrust23THRUST_200600_302600_NS10device_ptrIlEEjNS1_19radix_merge_compareILb0ELb0EhNS0_19identity_decomposerEEEEE10hipError_tT0_T1_T2_jT3_P12ihipStream_tbPNSt15iterator_traitsISG_E10value_typeEPNSM_ISH_E10value_typeEPSI_NS1_7vsmem_tEENKUlT_SG_SH_SI_E_clIS7_S7_PlSB_EESF_SV_SG_SH_SI_EUlSV_E1_NS1_11comp_targetILNS1_3genE8ELNS1_11target_archE1030ELNS1_3gpuE2ELNS1_3repE0EEENS1_36merge_oddeven_config_static_selectorELNS0_4arch9wavefront6targetE1EEEvSH_,"axG",@progbits,_ZN7rocprim17ROCPRIM_400000_NS6detail17trampoline_kernelINS0_14default_configENS1_38merge_sort_block_merge_config_selectorIhlEEZZNS1_27merge_sort_block_merge_implIS3_PhN6thrust23THRUST_200600_302600_NS10device_ptrIlEEjNS1_19radix_merge_compareILb0ELb0EhNS0_19identity_decomposerEEEEE10hipError_tT0_T1_T2_jT3_P12ihipStream_tbPNSt15iterator_traitsISG_E10value_typeEPNSM_ISH_E10value_typeEPSI_NS1_7vsmem_tEENKUlT_SG_SH_SI_E_clIS7_S7_PlSB_EESF_SV_SG_SH_SI_EUlSV_E1_NS1_11comp_targetILNS1_3genE8ELNS1_11target_archE1030ELNS1_3gpuE2ELNS1_3repE0EEENS1_36merge_oddeven_config_static_selectorELNS0_4arch9wavefront6targetE1EEEvSH_,comdat
	.protected	_ZN7rocprim17ROCPRIM_400000_NS6detail17trampoline_kernelINS0_14default_configENS1_38merge_sort_block_merge_config_selectorIhlEEZZNS1_27merge_sort_block_merge_implIS3_PhN6thrust23THRUST_200600_302600_NS10device_ptrIlEEjNS1_19radix_merge_compareILb0ELb0EhNS0_19identity_decomposerEEEEE10hipError_tT0_T1_T2_jT3_P12ihipStream_tbPNSt15iterator_traitsISG_E10value_typeEPNSM_ISH_E10value_typeEPSI_NS1_7vsmem_tEENKUlT_SG_SH_SI_E_clIS7_S7_PlSB_EESF_SV_SG_SH_SI_EUlSV_E1_NS1_11comp_targetILNS1_3genE8ELNS1_11target_archE1030ELNS1_3gpuE2ELNS1_3repE0EEENS1_36merge_oddeven_config_static_selectorELNS0_4arch9wavefront6targetE1EEEvSH_ ; -- Begin function _ZN7rocprim17ROCPRIM_400000_NS6detail17trampoline_kernelINS0_14default_configENS1_38merge_sort_block_merge_config_selectorIhlEEZZNS1_27merge_sort_block_merge_implIS3_PhN6thrust23THRUST_200600_302600_NS10device_ptrIlEEjNS1_19radix_merge_compareILb0ELb0EhNS0_19identity_decomposerEEEEE10hipError_tT0_T1_T2_jT3_P12ihipStream_tbPNSt15iterator_traitsISG_E10value_typeEPNSM_ISH_E10value_typeEPSI_NS1_7vsmem_tEENKUlT_SG_SH_SI_E_clIS7_S7_PlSB_EESF_SV_SG_SH_SI_EUlSV_E1_NS1_11comp_targetILNS1_3genE8ELNS1_11target_archE1030ELNS1_3gpuE2ELNS1_3repE0EEENS1_36merge_oddeven_config_static_selectorELNS0_4arch9wavefront6targetE1EEEvSH_
	.globl	_ZN7rocprim17ROCPRIM_400000_NS6detail17trampoline_kernelINS0_14default_configENS1_38merge_sort_block_merge_config_selectorIhlEEZZNS1_27merge_sort_block_merge_implIS3_PhN6thrust23THRUST_200600_302600_NS10device_ptrIlEEjNS1_19radix_merge_compareILb0ELb0EhNS0_19identity_decomposerEEEEE10hipError_tT0_T1_T2_jT3_P12ihipStream_tbPNSt15iterator_traitsISG_E10value_typeEPNSM_ISH_E10value_typeEPSI_NS1_7vsmem_tEENKUlT_SG_SH_SI_E_clIS7_S7_PlSB_EESF_SV_SG_SH_SI_EUlSV_E1_NS1_11comp_targetILNS1_3genE8ELNS1_11target_archE1030ELNS1_3gpuE2ELNS1_3repE0EEENS1_36merge_oddeven_config_static_selectorELNS0_4arch9wavefront6targetE1EEEvSH_
	.p2align	8
	.type	_ZN7rocprim17ROCPRIM_400000_NS6detail17trampoline_kernelINS0_14default_configENS1_38merge_sort_block_merge_config_selectorIhlEEZZNS1_27merge_sort_block_merge_implIS3_PhN6thrust23THRUST_200600_302600_NS10device_ptrIlEEjNS1_19radix_merge_compareILb0ELb0EhNS0_19identity_decomposerEEEEE10hipError_tT0_T1_T2_jT3_P12ihipStream_tbPNSt15iterator_traitsISG_E10value_typeEPNSM_ISH_E10value_typeEPSI_NS1_7vsmem_tEENKUlT_SG_SH_SI_E_clIS7_S7_PlSB_EESF_SV_SG_SH_SI_EUlSV_E1_NS1_11comp_targetILNS1_3genE8ELNS1_11target_archE1030ELNS1_3gpuE2ELNS1_3repE0EEENS1_36merge_oddeven_config_static_selectorELNS0_4arch9wavefront6targetE1EEEvSH_,@function
_ZN7rocprim17ROCPRIM_400000_NS6detail17trampoline_kernelINS0_14default_configENS1_38merge_sort_block_merge_config_selectorIhlEEZZNS1_27merge_sort_block_merge_implIS3_PhN6thrust23THRUST_200600_302600_NS10device_ptrIlEEjNS1_19radix_merge_compareILb0ELb0EhNS0_19identity_decomposerEEEEE10hipError_tT0_T1_T2_jT3_P12ihipStream_tbPNSt15iterator_traitsISG_E10value_typeEPNSM_ISH_E10value_typeEPSI_NS1_7vsmem_tEENKUlT_SG_SH_SI_E_clIS7_S7_PlSB_EESF_SV_SG_SH_SI_EUlSV_E1_NS1_11comp_targetILNS1_3genE8ELNS1_11target_archE1030ELNS1_3gpuE2ELNS1_3repE0EEENS1_36merge_oddeven_config_static_selectorELNS0_4arch9wavefront6targetE1EEEvSH_: ; @_ZN7rocprim17ROCPRIM_400000_NS6detail17trampoline_kernelINS0_14default_configENS1_38merge_sort_block_merge_config_selectorIhlEEZZNS1_27merge_sort_block_merge_implIS3_PhN6thrust23THRUST_200600_302600_NS10device_ptrIlEEjNS1_19radix_merge_compareILb0ELb0EhNS0_19identity_decomposerEEEEE10hipError_tT0_T1_T2_jT3_P12ihipStream_tbPNSt15iterator_traitsISG_E10value_typeEPNSM_ISH_E10value_typeEPSI_NS1_7vsmem_tEENKUlT_SG_SH_SI_E_clIS7_S7_PlSB_EESF_SV_SG_SH_SI_EUlSV_E1_NS1_11comp_targetILNS1_3genE8ELNS1_11target_archE1030ELNS1_3gpuE2ELNS1_3repE0EEENS1_36merge_oddeven_config_static_selectorELNS0_4arch9wavefront6targetE1EEEvSH_
; %bb.0:
	.section	.rodata,"a",@progbits
	.p2align	6, 0x0
	.amdhsa_kernel _ZN7rocprim17ROCPRIM_400000_NS6detail17trampoline_kernelINS0_14default_configENS1_38merge_sort_block_merge_config_selectorIhlEEZZNS1_27merge_sort_block_merge_implIS3_PhN6thrust23THRUST_200600_302600_NS10device_ptrIlEEjNS1_19radix_merge_compareILb0ELb0EhNS0_19identity_decomposerEEEEE10hipError_tT0_T1_T2_jT3_P12ihipStream_tbPNSt15iterator_traitsISG_E10value_typeEPNSM_ISH_E10value_typeEPSI_NS1_7vsmem_tEENKUlT_SG_SH_SI_E_clIS7_S7_PlSB_EESF_SV_SG_SH_SI_EUlSV_E1_NS1_11comp_targetILNS1_3genE8ELNS1_11target_archE1030ELNS1_3gpuE2ELNS1_3repE0EEENS1_36merge_oddeven_config_static_selectorELNS0_4arch9wavefront6targetE1EEEvSH_
		.amdhsa_group_segment_fixed_size 0
		.amdhsa_private_segment_fixed_size 0
		.amdhsa_kernarg_size 48
		.amdhsa_user_sgpr_count 6
		.amdhsa_user_sgpr_private_segment_buffer 1
		.amdhsa_user_sgpr_dispatch_ptr 0
		.amdhsa_user_sgpr_queue_ptr 0
		.amdhsa_user_sgpr_kernarg_segment_ptr 1
		.amdhsa_user_sgpr_dispatch_id 0
		.amdhsa_user_sgpr_flat_scratch_init 0
		.amdhsa_user_sgpr_private_segment_size 0
		.amdhsa_uses_dynamic_stack 0
		.amdhsa_system_sgpr_private_segment_wavefront_offset 0
		.amdhsa_system_sgpr_workgroup_id_x 1
		.amdhsa_system_sgpr_workgroup_id_y 0
		.amdhsa_system_sgpr_workgroup_id_z 0
		.amdhsa_system_sgpr_workgroup_info 0
		.amdhsa_system_vgpr_workitem_id 0
		.amdhsa_next_free_vgpr 1
		.amdhsa_next_free_sgpr 0
		.amdhsa_reserve_vcc 0
		.amdhsa_reserve_flat_scratch 0
		.amdhsa_float_round_mode_32 0
		.amdhsa_float_round_mode_16_64 0
		.amdhsa_float_denorm_mode_32 3
		.amdhsa_float_denorm_mode_16_64 3
		.amdhsa_dx10_clamp 1
		.amdhsa_ieee_mode 1
		.amdhsa_fp16_overflow 0
		.amdhsa_exception_fp_ieee_invalid_op 0
		.amdhsa_exception_fp_denorm_src 0
		.amdhsa_exception_fp_ieee_div_zero 0
		.amdhsa_exception_fp_ieee_overflow 0
		.amdhsa_exception_fp_ieee_underflow 0
		.amdhsa_exception_fp_ieee_inexact 0
		.amdhsa_exception_int_div_zero 0
	.end_amdhsa_kernel
	.section	.text._ZN7rocprim17ROCPRIM_400000_NS6detail17trampoline_kernelINS0_14default_configENS1_38merge_sort_block_merge_config_selectorIhlEEZZNS1_27merge_sort_block_merge_implIS3_PhN6thrust23THRUST_200600_302600_NS10device_ptrIlEEjNS1_19radix_merge_compareILb0ELb0EhNS0_19identity_decomposerEEEEE10hipError_tT0_T1_T2_jT3_P12ihipStream_tbPNSt15iterator_traitsISG_E10value_typeEPNSM_ISH_E10value_typeEPSI_NS1_7vsmem_tEENKUlT_SG_SH_SI_E_clIS7_S7_PlSB_EESF_SV_SG_SH_SI_EUlSV_E1_NS1_11comp_targetILNS1_3genE8ELNS1_11target_archE1030ELNS1_3gpuE2ELNS1_3repE0EEENS1_36merge_oddeven_config_static_selectorELNS0_4arch9wavefront6targetE1EEEvSH_,"axG",@progbits,_ZN7rocprim17ROCPRIM_400000_NS6detail17trampoline_kernelINS0_14default_configENS1_38merge_sort_block_merge_config_selectorIhlEEZZNS1_27merge_sort_block_merge_implIS3_PhN6thrust23THRUST_200600_302600_NS10device_ptrIlEEjNS1_19radix_merge_compareILb0ELb0EhNS0_19identity_decomposerEEEEE10hipError_tT0_T1_T2_jT3_P12ihipStream_tbPNSt15iterator_traitsISG_E10value_typeEPNSM_ISH_E10value_typeEPSI_NS1_7vsmem_tEENKUlT_SG_SH_SI_E_clIS7_S7_PlSB_EESF_SV_SG_SH_SI_EUlSV_E1_NS1_11comp_targetILNS1_3genE8ELNS1_11target_archE1030ELNS1_3gpuE2ELNS1_3repE0EEENS1_36merge_oddeven_config_static_selectorELNS0_4arch9wavefront6targetE1EEEvSH_,comdat
.Lfunc_end147:
	.size	_ZN7rocprim17ROCPRIM_400000_NS6detail17trampoline_kernelINS0_14default_configENS1_38merge_sort_block_merge_config_selectorIhlEEZZNS1_27merge_sort_block_merge_implIS3_PhN6thrust23THRUST_200600_302600_NS10device_ptrIlEEjNS1_19radix_merge_compareILb0ELb0EhNS0_19identity_decomposerEEEEE10hipError_tT0_T1_T2_jT3_P12ihipStream_tbPNSt15iterator_traitsISG_E10value_typeEPNSM_ISH_E10value_typeEPSI_NS1_7vsmem_tEENKUlT_SG_SH_SI_E_clIS7_S7_PlSB_EESF_SV_SG_SH_SI_EUlSV_E1_NS1_11comp_targetILNS1_3genE8ELNS1_11target_archE1030ELNS1_3gpuE2ELNS1_3repE0EEENS1_36merge_oddeven_config_static_selectorELNS0_4arch9wavefront6targetE1EEEvSH_, .Lfunc_end147-_ZN7rocprim17ROCPRIM_400000_NS6detail17trampoline_kernelINS0_14default_configENS1_38merge_sort_block_merge_config_selectorIhlEEZZNS1_27merge_sort_block_merge_implIS3_PhN6thrust23THRUST_200600_302600_NS10device_ptrIlEEjNS1_19radix_merge_compareILb0ELb0EhNS0_19identity_decomposerEEEEE10hipError_tT0_T1_T2_jT3_P12ihipStream_tbPNSt15iterator_traitsISG_E10value_typeEPNSM_ISH_E10value_typeEPSI_NS1_7vsmem_tEENKUlT_SG_SH_SI_E_clIS7_S7_PlSB_EESF_SV_SG_SH_SI_EUlSV_E1_NS1_11comp_targetILNS1_3genE8ELNS1_11target_archE1030ELNS1_3gpuE2ELNS1_3repE0EEENS1_36merge_oddeven_config_static_selectorELNS0_4arch9wavefront6targetE1EEEvSH_
                                        ; -- End function
	.set _ZN7rocprim17ROCPRIM_400000_NS6detail17trampoline_kernelINS0_14default_configENS1_38merge_sort_block_merge_config_selectorIhlEEZZNS1_27merge_sort_block_merge_implIS3_PhN6thrust23THRUST_200600_302600_NS10device_ptrIlEEjNS1_19radix_merge_compareILb0ELb0EhNS0_19identity_decomposerEEEEE10hipError_tT0_T1_T2_jT3_P12ihipStream_tbPNSt15iterator_traitsISG_E10value_typeEPNSM_ISH_E10value_typeEPSI_NS1_7vsmem_tEENKUlT_SG_SH_SI_E_clIS7_S7_PlSB_EESF_SV_SG_SH_SI_EUlSV_E1_NS1_11comp_targetILNS1_3genE8ELNS1_11target_archE1030ELNS1_3gpuE2ELNS1_3repE0EEENS1_36merge_oddeven_config_static_selectorELNS0_4arch9wavefront6targetE1EEEvSH_.num_vgpr, 0
	.set _ZN7rocprim17ROCPRIM_400000_NS6detail17trampoline_kernelINS0_14default_configENS1_38merge_sort_block_merge_config_selectorIhlEEZZNS1_27merge_sort_block_merge_implIS3_PhN6thrust23THRUST_200600_302600_NS10device_ptrIlEEjNS1_19radix_merge_compareILb0ELb0EhNS0_19identity_decomposerEEEEE10hipError_tT0_T1_T2_jT3_P12ihipStream_tbPNSt15iterator_traitsISG_E10value_typeEPNSM_ISH_E10value_typeEPSI_NS1_7vsmem_tEENKUlT_SG_SH_SI_E_clIS7_S7_PlSB_EESF_SV_SG_SH_SI_EUlSV_E1_NS1_11comp_targetILNS1_3genE8ELNS1_11target_archE1030ELNS1_3gpuE2ELNS1_3repE0EEENS1_36merge_oddeven_config_static_selectorELNS0_4arch9wavefront6targetE1EEEvSH_.num_agpr, 0
	.set _ZN7rocprim17ROCPRIM_400000_NS6detail17trampoline_kernelINS0_14default_configENS1_38merge_sort_block_merge_config_selectorIhlEEZZNS1_27merge_sort_block_merge_implIS3_PhN6thrust23THRUST_200600_302600_NS10device_ptrIlEEjNS1_19radix_merge_compareILb0ELb0EhNS0_19identity_decomposerEEEEE10hipError_tT0_T1_T2_jT3_P12ihipStream_tbPNSt15iterator_traitsISG_E10value_typeEPNSM_ISH_E10value_typeEPSI_NS1_7vsmem_tEENKUlT_SG_SH_SI_E_clIS7_S7_PlSB_EESF_SV_SG_SH_SI_EUlSV_E1_NS1_11comp_targetILNS1_3genE8ELNS1_11target_archE1030ELNS1_3gpuE2ELNS1_3repE0EEENS1_36merge_oddeven_config_static_selectorELNS0_4arch9wavefront6targetE1EEEvSH_.numbered_sgpr, 0
	.set _ZN7rocprim17ROCPRIM_400000_NS6detail17trampoline_kernelINS0_14default_configENS1_38merge_sort_block_merge_config_selectorIhlEEZZNS1_27merge_sort_block_merge_implIS3_PhN6thrust23THRUST_200600_302600_NS10device_ptrIlEEjNS1_19radix_merge_compareILb0ELb0EhNS0_19identity_decomposerEEEEE10hipError_tT0_T1_T2_jT3_P12ihipStream_tbPNSt15iterator_traitsISG_E10value_typeEPNSM_ISH_E10value_typeEPSI_NS1_7vsmem_tEENKUlT_SG_SH_SI_E_clIS7_S7_PlSB_EESF_SV_SG_SH_SI_EUlSV_E1_NS1_11comp_targetILNS1_3genE8ELNS1_11target_archE1030ELNS1_3gpuE2ELNS1_3repE0EEENS1_36merge_oddeven_config_static_selectorELNS0_4arch9wavefront6targetE1EEEvSH_.num_named_barrier, 0
	.set _ZN7rocprim17ROCPRIM_400000_NS6detail17trampoline_kernelINS0_14default_configENS1_38merge_sort_block_merge_config_selectorIhlEEZZNS1_27merge_sort_block_merge_implIS3_PhN6thrust23THRUST_200600_302600_NS10device_ptrIlEEjNS1_19radix_merge_compareILb0ELb0EhNS0_19identity_decomposerEEEEE10hipError_tT0_T1_T2_jT3_P12ihipStream_tbPNSt15iterator_traitsISG_E10value_typeEPNSM_ISH_E10value_typeEPSI_NS1_7vsmem_tEENKUlT_SG_SH_SI_E_clIS7_S7_PlSB_EESF_SV_SG_SH_SI_EUlSV_E1_NS1_11comp_targetILNS1_3genE8ELNS1_11target_archE1030ELNS1_3gpuE2ELNS1_3repE0EEENS1_36merge_oddeven_config_static_selectorELNS0_4arch9wavefront6targetE1EEEvSH_.private_seg_size, 0
	.set _ZN7rocprim17ROCPRIM_400000_NS6detail17trampoline_kernelINS0_14default_configENS1_38merge_sort_block_merge_config_selectorIhlEEZZNS1_27merge_sort_block_merge_implIS3_PhN6thrust23THRUST_200600_302600_NS10device_ptrIlEEjNS1_19radix_merge_compareILb0ELb0EhNS0_19identity_decomposerEEEEE10hipError_tT0_T1_T2_jT3_P12ihipStream_tbPNSt15iterator_traitsISG_E10value_typeEPNSM_ISH_E10value_typeEPSI_NS1_7vsmem_tEENKUlT_SG_SH_SI_E_clIS7_S7_PlSB_EESF_SV_SG_SH_SI_EUlSV_E1_NS1_11comp_targetILNS1_3genE8ELNS1_11target_archE1030ELNS1_3gpuE2ELNS1_3repE0EEENS1_36merge_oddeven_config_static_selectorELNS0_4arch9wavefront6targetE1EEEvSH_.uses_vcc, 0
	.set _ZN7rocprim17ROCPRIM_400000_NS6detail17trampoline_kernelINS0_14default_configENS1_38merge_sort_block_merge_config_selectorIhlEEZZNS1_27merge_sort_block_merge_implIS3_PhN6thrust23THRUST_200600_302600_NS10device_ptrIlEEjNS1_19radix_merge_compareILb0ELb0EhNS0_19identity_decomposerEEEEE10hipError_tT0_T1_T2_jT3_P12ihipStream_tbPNSt15iterator_traitsISG_E10value_typeEPNSM_ISH_E10value_typeEPSI_NS1_7vsmem_tEENKUlT_SG_SH_SI_E_clIS7_S7_PlSB_EESF_SV_SG_SH_SI_EUlSV_E1_NS1_11comp_targetILNS1_3genE8ELNS1_11target_archE1030ELNS1_3gpuE2ELNS1_3repE0EEENS1_36merge_oddeven_config_static_selectorELNS0_4arch9wavefront6targetE1EEEvSH_.uses_flat_scratch, 0
	.set _ZN7rocprim17ROCPRIM_400000_NS6detail17trampoline_kernelINS0_14default_configENS1_38merge_sort_block_merge_config_selectorIhlEEZZNS1_27merge_sort_block_merge_implIS3_PhN6thrust23THRUST_200600_302600_NS10device_ptrIlEEjNS1_19radix_merge_compareILb0ELb0EhNS0_19identity_decomposerEEEEE10hipError_tT0_T1_T2_jT3_P12ihipStream_tbPNSt15iterator_traitsISG_E10value_typeEPNSM_ISH_E10value_typeEPSI_NS1_7vsmem_tEENKUlT_SG_SH_SI_E_clIS7_S7_PlSB_EESF_SV_SG_SH_SI_EUlSV_E1_NS1_11comp_targetILNS1_3genE8ELNS1_11target_archE1030ELNS1_3gpuE2ELNS1_3repE0EEENS1_36merge_oddeven_config_static_selectorELNS0_4arch9wavefront6targetE1EEEvSH_.has_dyn_sized_stack, 0
	.set _ZN7rocprim17ROCPRIM_400000_NS6detail17trampoline_kernelINS0_14default_configENS1_38merge_sort_block_merge_config_selectorIhlEEZZNS1_27merge_sort_block_merge_implIS3_PhN6thrust23THRUST_200600_302600_NS10device_ptrIlEEjNS1_19radix_merge_compareILb0ELb0EhNS0_19identity_decomposerEEEEE10hipError_tT0_T1_T2_jT3_P12ihipStream_tbPNSt15iterator_traitsISG_E10value_typeEPNSM_ISH_E10value_typeEPSI_NS1_7vsmem_tEENKUlT_SG_SH_SI_E_clIS7_S7_PlSB_EESF_SV_SG_SH_SI_EUlSV_E1_NS1_11comp_targetILNS1_3genE8ELNS1_11target_archE1030ELNS1_3gpuE2ELNS1_3repE0EEENS1_36merge_oddeven_config_static_selectorELNS0_4arch9wavefront6targetE1EEEvSH_.has_recursion, 0
	.set _ZN7rocprim17ROCPRIM_400000_NS6detail17trampoline_kernelINS0_14default_configENS1_38merge_sort_block_merge_config_selectorIhlEEZZNS1_27merge_sort_block_merge_implIS3_PhN6thrust23THRUST_200600_302600_NS10device_ptrIlEEjNS1_19radix_merge_compareILb0ELb0EhNS0_19identity_decomposerEEEEE10hipError_tT0_T1_T2_jT3_P12ihipStream_tbPNSt15iterator_traitsISG_E10value_typeEPNSM_ISH_E10value_typeEPSI_NS1_7vsmem_tEENKUlT_SG_SH_SI_E_clIS7_S7_PlSB_EESF_SV_SG_SH_SI_EUlSV_E1_NS1_11comp_targetILNS1_3genE8ELNS1_11target_archE1030ELNS1_3gpuE2ELNS1_3repE0EEENS1_36merge_oddeven_config_static_selectorELNS0_4arch9wavefront6targetE1EEEvSH_.has_indirect_call, 0
	.section	.AMDGPU.csdata,"",@progbits
; Kernel info:
; codeLenInByte = 0
; TotalNumSgprs: 4
; NumVgprs: 0
; ScratchSize: 0
; MemoryBound: 0
; FloatMode: 240
; IeeeMode: 1
; LDSByteSize: 0 bytes/workgroup (compile time only)
; SGPRBlocks: 0
; VGPRBlocks: 0
; NumSGPRsForWavesPerEU: 4
; NumVGPRsForWavesPerEU: 1
; Occupancy: 10
; WaveLimiterHint : 0
; COMPUTE_PGM_RSRC2:SCRATCH_EN: 0
; COMPUTE_PGM_RSRC2:USER_SGPR: 6
; COMPUTE_PGM_RSRC2:TRAP_HANDLER: 0
; COMPUTE_PGM_RSRC2:TGID_X_EN: 1
; COMPUTE_PGM_RSRC2:TGID_Y_EN: 0
; COMPUTE_PGM_RSRC2:TGID_Z_EN: 0
; COMPUTE_PGM_RSRC2:TIDIG_COMP_CNT: 0
	.section	.text._ZN7rocprim17ROCPRIM_400000_NS6detail17trampoline_kernelINS0_14default_configENS1_38merge_sort_block_merge_config_selectorIhlEEZZNS1_27merge_sort_block_merge_implIS3_PhN6thrust23THRUST_200600_302600_NS10device_ptrIlEEjNS1_19radix_merge_compareILb0ELb0EhNS0_19identity_decomposerEEEEE10hipError_tT0_T1_T2_jT3_P12ihipStream_tbPNSt15iterator_traitsISG_E10value_typeEPNSM_ISH_E10value_typeEPSI_NS1_7vsmem_tEENKUlT_SG_SH_SI_E_clIS7_S7_SB_PlEESF_SV_SG_SH_SI_EUlSV_E_NS1_11comp_targetILNS1_3genE0ELNS1_11target_archE4294967295ELNS1_3gpuE0ELNS1_3repE0EEENS1_48merge_mergepath_partition_config_static_selectorELNS0_4arch9wavefront6targetE1EEEvSH_,"axG",@progbits,_ZN7rocprim17ROCPRIM_400000_NS6detail17trampoline_kernelINS0_14default_configENS1_38merge_sort_block_merge_config_selectorIhlEEZZNS1_27merge_sort_block_merge_implIS3_PhN6thrust23THRUST_200600_302600_NS10device_ptrIlEEjNS1_19radix_merge_compareILb0ELb0EhNS0_19identity_decomposerEEEEE10hipError_tT0_T1_T2_jT3_P12ihipStream_tbPNSt15iterator_traitsISG_E10value_typeEPNSM_ISH_E10value_typeEPSI_NS1_7vsmem_tEENKUlT_SG_SH_SI_E_clIS7_S7_SB_PlEESF_SV_SG_SH_SI_EUlSV_E_NS1_11comp_targetILNS1_3genE0ELNS1_11target_archE4294967295ELNS1_3gpuE0ELNS1_3repE0EEENS1_48merge_mergepath_partition_config_static_selectorELNS0_4arch9wavefront6targetE1EEEvSH_,comdat
	.protected	_ZN7rocprim17ROCPRIM_400000_NS6detail17trampoline_kernelINS0_14default_configENS1_38merge_sort_block_merge_config_selectorIhlEEZZNS1_27merge_sort_block_merge_implIS3_PhN6thrust23THRUST_200600_302600_NS10device_ptrIlEEjNS1_19radix_merge_compareILb0ELb0EhNS0_19identity_decomposerEEEEE10hipError_tT0_T1_T2_jT3_P12ihipStream_tbPNSt15iterator_traitsISG_E10value_typeEPNSM_ISH_E10value_typeEPSI_NS1_7vsmem_tEENKUlT_SG_SH_SI_E_clIS7_S7_SB_PlEESF_SV_SG_SH_SI_EUlSV_E_NS1_11comp_targetILNS1_3genE0ELNS1_11target_archE4294967295ELNS1_3gpuE0ELNS1_3repE0EEENS1_48merge_mergepath_partition_config_static_selectorELNS0_4arch9wavefront6targetE1EEEvSH_ ; -- Begin function _ZN7rocprim17ROCPRIM_400000_NS6detail17trampoline_kernelINS0_14default_configENS1_38merge_sort_block_merge_config_selectorIhlEEZZNS1_27merge_sort_block_merge_implIS3_PhN6thrust23THRUST_200600_302600_NS10device_ptrIlEEjNS1_19radix_merge_compareILb0ELb0EhNS0_19identity_decomposerEEEEE10hipError_tT0_T1_T2_jT3_P12ihipStream_tbPNSt15iterator_traitsISG_E10value_typeEPNSM_ISH_E10value_typeEPSI_NS1_7vsmem_tEENKUlT_SG_SH_SI_E_clIS7_S7_SB_PlEESF_SV_SG_SH_SI_EUlSV_E_NS1_11comp_targetILNS1_3genE0ELNS1_11target_archE4294967295ELNS1_3gpuE0ELNS1_3repE0EEENS1_48merge_mergepath_partition_config_static_selectorELNS0_4arch9wavefront6targetE1EEEvSH_
	.globl	_ZN7rocprim17ROCPRIM_400000_NS6detail17trampoline_kernelINS0_14default_configENS1_38merge_sort_block_merge_config_selectorIhlEEZZNS1_27merge_sort_block_merge_implIS3_PhN6thrust23THRUST_200600_302600_NS10device_ptrIlEEjNS1_19radix_merge_compareILb0ELb0EhNS0_19identity_decomposerEEEEE10hipError_tT0_T1_T2_jT3_P12ihipStream_tbPNSt15iterator_traitsISG_E10value_typeEPNSM_ISH_E10value_typeEPSI_NS1_7vsmem_tEENKUlT_SG_SH_SI_E_clIS7_S7_SB_PlEESF_SV_SG_SH_SI_EUlSV_E_NS1_11comp_targetILNS1_3genE0ELNS1_11target_archE4294967295ELNS1_3gpuE0ELNS1_3repE0EEENS1_48merge_mergepath_partition_config_static_selectorELNS0_4arch9wavefront6targetE1EEEvSH_
	.p2align	8
	.type	_ZN7rocprim17ROCPRIM_400000_NS6detail17trampoline_kernelINS0_14default_configENS1_38merge_sort_block_merge_config_selectorIhlEEZZNS1_27merge_sort_block_merge_implIS3_PhN6thrust23THRUST_200600_302600_NS10device_ptrIlEEjNS1_19radix_merge_compareILb0ELb0EhNS0_19identity_decomposerEEEEE10hipError_tT0_T1_T2_jT3_P12ihipStream_tbPNSt15iterator_traitsISG_E10value_typeEPNSM_ISH_E10value_typeEPSI_NS1_7vsmem_tEENKUlT_SG_SH_SI_E_clIS7_S7_SB_PlEESF_SV_SG_SH_SI_EUlSV_E_NS1_11comp_targetILNS1_3genE0ELNS1_11target_archE4294967295ELNS1_3gpuE0ELNS1_3repE0EEENS1_48merge_mergepath_partition_config_static_selectorELNS0_4arch9wavefront6targetE1EEEvSH_,@function
_ZN7rocprim17ROCPRIM_400000_NS6detail17trampoline_kernelINS0_14default_configENS1_38merge_sort_block_merge_config_selectorIhlEEZZNS1_27merge_sort_block_merge_implIS3_PhN6thrust23THRUST_200600_302600_NS10device_ptrIlEEjNS1_19radix_merge_compareILb0ELb0EhNS0_19identity_decomposerEEEEE10hipError_tT0_T1_T2_jT3_P12ihipStream_tbPNSt15iterator_traitsISG_E10value_typeEPNSM_ISH_E10value_typeEPSI_NS1_7vsmem_tEENKUlT_SG_SH_SI_E_clIS7_S7_SB_PlEESF_SV_SG_SH_SI_EUlSV_E_NS1_11comp_targetILNS1_3genE0ELNS1_11target_archE4294967295ELNS1_3gpuE0ELNS1_3repE0EEENS1_48merge_mergepath_partition_config_static_selectorELNS0_4arch9wavefront6targetE1EEEvSH_: ; @_ZN7rocprim17ROCPRIM_400000_NS6detail17trampoline_kernelINS0_14default_configENS1_38merge_sort_block_merge_config_selectorIhlEEZZNS1_27merge_sort_block_merge_implIS3_PhN6thrust23THRUST_200600_302600_NS10device_ptrIlEEjNS1_19radix_merge_compareILb0ELb0EhNS0_19identity_decomposerEEEEE10hipError_tT0_T1_T2_jT3_P12ihipStream_tbPNSt15iterator_traitsISG_E10value_typeEPNSM_ISH_E10value_typeEPSI_NS1_7vsmem_tEENKUlT_SG_SH_SI_E_clIS7_S7_SB_PlEESF_SV_SG_SH_SI_EUlSV_E_NS1_11comp_targetILNS1_3genE0ELNS1_11target_archE4294967295ELNS1_3gpuE0ELNS1_3repE0EEENS1_48merge_mergepath_partition_config_static_selectorELNS0_4arch9wavefront6targetE1EEEvSH_
; %bb.0:
	.section	.rodata,"a",@progbits
	.p2align	6, 0x0
	.amdhsa_kernel _ZN7rocprim17ROCPRIM_400000_NS6detail17trampoline_kernelINS0_14default_configENS1_38merge_sort_block_merge_config_selectorIhlEEZZNS1_27merge_sort_block_merge_implIS3_PhN6thrust23THRUST_200600_302600_NS10device_ptrIlEEjNS1_19radix_merge_compareILb0ELb0EhNS0_19identity_decomposerEEEEE10hipError_tT0_T1_T2_jT3_P12ihipStream_tbPNSt15iterator_traitsISG_E10value_typeEPNSM_ISH_E10value_typeEPSI_NS1_7vsmem_tEENKUlT_SG_SH_SI_E_clIS7_S7_SB_PlEESF_SV_SG_SH_SI_EUlSV_E_NS1_11comp_targetILNS1_3genE0ELNS1_11target_archE4294967295ELNS1_3gpuE0ELNS1_3repE0EEENS1_48merge_mergepath_partition_config_static_selectorELNS0_4arch9wavefront6targetE1EEEvSH_
		.amdhsa_group_segment_fixed_size 0
		.amdhsa_private_segment_fixed_size 0
		.amdhsa_kernarg_size 40
		.amdhsa_user_sgpr_count 6
		.amdhsa_user_sgpr_private_segment_buffer 1
		.amdhsa_user_sgpr_dispatch_ptr 0
		.amdhsa_user_sgpr_queue_ptr 0
		.amdhsa_user_sgpr_kernarg_segment_ptr 1
		.amdhsa_user_sgpr_dispatch_id 0
		.amdhsa_user_sgpr_flat_scratch_init 0
		.amdhsa_user_sgpr_private_segment_size 0
		.amdhsa_uses_dynamic_stack 0
		.amdhsa_system_sgpr_private_segment_wavefront_offset 0
		.amdhsa_system_sgpr_workgroup_id_x 1
		.amdhsa_system_sgpr_workgroup_id_y 0
		.amdhsa_system_sgpr_workgroup_id_z 0
		.amdhsa_system_sgpr_workgroup_info 0
		.amdhsa_system_vgpr_workitem_id 0
		.amdhsa_next_free_vgpr 1
		.amdhsa_next_free_sgpr 0
		.amdhsa_reserve_vcc 0
		.amdhsa_reserve_flat_scratch 0
		.amdhsa_float_round_mode_32 0
		.amdhsa_float_round_mode_16_64 0
		.amdhsa_float_denorm_mode_32 3
		.amdhsa_float_denorm_mode_16_64 3
		.amdhsa_dx10_clamp 1
		.amdhsa_ieee_mode 1
		.amdhsa_fp16_overflow 0
		.amdhsa_exception_fp_ieee_invalid_op 0
		.amdhsa_exception_fp_denorm_src 0
		.amdhsa_exception_fp_ieee_div_zero 0
		.amdhsa_exception_fp_ieee_overflow 0
		.amdhsa_exception_fp_ieee_underflow 0
		.amdhsa_exception_fp_ieee_inexact 0
		.amdhsa_exception_int_div_zero 0
	.end_amdhsa_kernel
	.section	.text._ZN7rocprim17ROCPRIM_400000_NS6detail17trampoline_kernelINS0_14default_configENS1_38merge_sort_block_merge_config_selectorIhlEEZZNS1_27merge_sort_block_merge_implIS3_PhN6thrust23THRUST_200600_302600_NS10device_ptrIlEEjNS1_19radix_merge_compareILb0ELb0EhNS0_19identity_decomposerEEEEE10hipError_tT0_T1_T2_jT3_P12ihipStream_tbPNSt15iterator_traitsISG_E10value_typeEPNSM_ISH_E10value_typeEPSI_NS1_7vsmem_tEENKUlT_SG_SH_SI_E_clIS7_S7_SB_PlEESF_SV_SG_SH_SI_EUlSV_E_NS1_11comp_targetILNS1_3genE0ELNS1_11target_archE4294967295ELNS1_3gpuE0ELNS1_3repE0EEENS1_48merge_mergepath_partition_config_static_selectorELNS0_4arch9wavefront6targetE1EEEvSH_,"axG",@progbits,_ZN7rocprim17ROCPRIM_400000_NS6detail17trampoline_kernelINS0_14default_configENS1_38merge_sort_block_merge_config_selectorIhlEEZZNS1_27merge_sort_block_merge_implIS3_PhN6thrust23THRUST_200600_302600_NS10device_ptrIlEEjNS1_19radix_merge_compareILb0ELb0EhNS0_19identity_decomposerEEEEE10hipError_tT0_T1_T2_jT3_P12ihipStream_tbPNSt15iterator_traitsISG_E10value_typeEPNSM_ISH_E10value_typeEPSI_NS1_7vsmem_tEENKUlT_SG_SH_SI_E_clIS7_S7_SB_PlEESF_SV_SG_SH_SI_EUlSV_E_NS1_11comp_targetILNS1_3genE0ELNS1_11target_archE4294967295ELNS1_3gpuE0ELNS1_3repE0EEENS1_48merge_mergepath_partition_config_static_selectorELNS0_4arch9wavefront6targetE1EEEvSH_,comdat
.Lfunc_end148:
	.size	_ZN7rocprim17ROCPRIM_400000_NS6detail17trampoline_kernelINS0_14default_configENS1_38merge_sort_block_merge_config_selectorIhlEEZZNS1_27merge_sort_block_merge_implIS3_PhN6thrust23THRUST_200600_302600_NS10device_ptrIlEEjNS1_19radix_merge_compareILb0ELb0EhNS0_19identity_decomposerEEEEE10hipError_tT0_T1_T2_jT3_P12ihipStream_tbPNSt15iterator_traitsISG_E10value_typeEPNSM_ISH_E10value_typeEPSI_NS1_7vsmem_tEENKUlT_SG_SH_SI_E_clIS7_S7_SB_PlEESF_SV_SG_SH_SI_EUlSV_E_NS1_11comp_targetILNS1_3genE0ELNS1_11target_archE4294967295ELNS1_3gpuE0ELNS1_3repE0EEENS1_48merge_mergepath_partition_config_static_selectorELNS0_4arch9wavefront6targetE1EEEvSH_, .Lfunc_end148-_ZN7rocprim17ROCPRIM_400000_NS6detail17trampoline_kernelINS0_14default_configENS1_38merge_sort_block_merge_config_selectorIhlEEZZNS1_27merge_sort_block_merge_implIS3_PhN6thrust23THRUST_200600_302600_NS10device_ptrIlEEjNS1_19radix_merge_compareILb0ELb0EhNS0_19identity_decomposerEEEEE10hipError_tT0_T1_T2_jT3_P12ihipStream_tbPNSt15iterator_traitsISG_E10value_typeEPNSM_ISH_E10value_typeEPSI_NS1_7vsmem_tEENKUlT_SG_SH_SI_E_clIS7_S7_SB_PlEESF_SV_SG_SH_SI_EUlSV_E_NS1_11comp_targetILNS1_3genE0ELNS1_11target_archE4294967295ELNS1_3gpuE0ELNS1_3repE0EEENS1_48merge_mergepath_partition_config_static_selectorELNS0_4arch9wavefront6targetE1EEEvSH_
                                        ; -- End function
	.set _ZN7rocprim17ROCPRIM_400000_NS6detail17trampoline_kernelINS0_14default_configENS1_38merge_sort_block_merge_config_selectorIhlEEZZNS1_27merge_sort_block_merge_implIS3_PhN6thrust23THRUST_200600_302600_NS10device_ptrIlEEjNS1_19radix_merge_compareILb0ELb0EhNS0_19identity_decomposerEEEEE10hipError_tT0_T1_T2_jT3_P12ihipStream_tbPNSt15iterator_traitsISG_E10value_typeEPNSM_ISH_E10value_typeEPSI_NS1_7vsmem_tEENKUlT_SG_SH_SI_E_clIS7_S7_SB_PlEESF_SV_SG_SH_SI_EUlSV_E_NS1_11comp_targetILNS1_3genE0ELNS1_11target_archE4294967295ELNS1_3gpuE0ELNS1_3repE0EEENS1_48merge_mergepath_partition_config_static_selectorELNS0_4arch9wavefront6targetE1EEEvSH_.num_vgpr, 0
	.set _ZN7rocprim17ROCPRIM_400000_NS6detail17trampoline_kernelINS0_14default_configENS1_38merge_sort_block_merge_config_selectorIhlEEZZNS1_27merge_sort_block_merge_implIS3_PhN6thrust23THRUST_200600_302600_NS10device_ptrIlEEjNS1_19radix_merge_compareILb0ELb0EhNS0_19identity_decomposerEEEEE10hipError_tT0_T1_T2_jT3_P12ihipStream_tbPNSt15iterator_traitsISG_E10value_typeEPNSM_ISH_E10value_typeEPSI_NS1_7vsmem_tEENKUlT_SG_SH_SI_E_clIS7_S7_SB_PlEESF_SV_SG_SH_SI_EUlSV_E_NS1_11comp_targetILNS1_3genE0ELNS1_11target_archE4294967295ELNS1_3gpuE0ELNS1_3repE0EEENS1_48merge_mergepath_partition_config_static_selectorELNS0_4arch9wavefront6targetE1EEEvSH_.num_agpr, 0
	.set _ZN7rocprim17ROCPRIM_400000_NS6detail17trampoline_kernelINS0_14default_configENS1_38merge_sort_block_merge_config_selectorIhlEEZZNS1_27merge_sort_block_merge_implIS3_PhN6thrust23THRUST_200600_302600_NS10device_ptrIlEEjNS1_19radix_merge_compareILb0ELb0EhNS0_19identity_decomposerEEEEE10hipError_tT0_T1_T2_jT3_P12ihipStream_tbPNSt15iterator_traitsISG_E10value_typeEPNSM_ISH_E10value_typeEPSI_NS1_7vsmem_tEENKUlT_SG_SH_SI_E_clIS7_S7_SB_PlEESF_SV_SG_SH_SI_EUlSV_E_NS1_11comp_targetILNS1_3genE0ELNS1_11target_archE4294967295ELNS1_3gpuE0ELNS1_3repE0EEENS1_48merge_mergepath_partition_config_static_selectorELNS0_4arch9wavefront6targetE1EEEvSH_.numbered_sgpr, 0
	.set _ZN7rocprim17ROCPRIM_400000_NS6detail17trampoline_kernelINS0_14default_configENS1_38merge_sort_block_merge_config_selectorIhlEEZZNS1_27merge_sort_block_merge_implIS3_PhN6thrust23THRUST_200600_302600_NS10device_ptrIlEEjNS1_19radix_merge_compareILb0ELb0EhNS0_19identity_decomposerEEEEE10hipError_tT0_T1_T2_jT3_P12ihipStream_tbPNSt15iterator_traitsISG_E10value_typeEPNSM_ISH_E10value_typeEPSI_NS1_7vsmem_tEENKUlT_SG_SH_SI_E_clIS7_S7_SB_PlEESF_SV_SG_SH_SI_EUlSV_E_NS1_11comp_targetILNS1_3genE0ELNS1_11target_archE4294967295ELNS1_3gpuE0ELNS1_3repE0EEENS1_48merge_mergepath_partition_config_static_selectorELNS0_4arch9wavefront6targetE1EEEvSH_.num_named_barrier, 0
	.set _ZN7rocprim17ROCPRIM_400000_NS6detail17trampoline_kernelINS0_14default_configENS1_38merge_sort_block_merge_config_selectorIhlEEZZNS1_27merge_sort_block_merge_implIS3_PhN6thrust23THRUST_200600_302600_NS10device_ptrIlEEjNS1_19radix_merge_compareILb0ELb0EhNS0_19identity_decomposerEEEEE10hipError_tT0_T1_T2_jT3_P12ihipStream_tbPNSt15iterator_traitsISG_E10value_typeEPNSM_ISH_E10value_typeEPSI_NS1_7vsmem_tEENKUlT_SG_SH_SI_E_clIS7_S7_SB_PlEESF_SV_SG_SH_SI_EUlSV_E_NS1_11comp_targetILNS1_3genE0ELNS1_11target_archE4294967295ELNS1_3gpuE0ELNS1_3repE0EEENS1_48merge_mergepath_partition_config_static_selectorELNS0_4arch9wavefront6targetE1EEEvSH_.private_seg_size, 0
	.set _ZN7rocprim17ROCPRIM_400000_NS6detail17trampoline_kernelINS0_14default_configENS1_38merge_sort_block_merge_config_selectorIhlEEZZNS1_27merge_sort_block_merge_implIS3_PhN6thrust23THRUST_200600_302600_NS10device_ptrIlEEjNS1_19radix_merge_compareILb0ELb0EhNS0_19identity_decomposerEEEEE10hipError_tT0_T1_T2_jT3_P12ihipStream_tbPNSt15iterator_traitsISG_E10value_typeEPNSM_ISH_E10value_typeEPSI_NS1_7vsmem_tEENKUlT_SG_SH_SI_E_clIS7_S7_SB_PlEESF_SV_SG_SH_SI_EUlSV_E_NS1_11comp_targetILNS1_3genE0ELNS1_11target_archE4294967295ELNS1_3gpuE0ELNS1_3repE0EEENS1_48merge_mergepath_partition_config_static_selectorELNS0_4arch9wavefront6targetE1EEEvSH_.uses_vcc, 0
	.set _ZN7rocprim17ROCPRIM_400000_NS6detail17trampoline_kernelINS0_14default_configENS1_38merge_sort_block_merge_config_selectorIhlEEZZNS1_27merge_sort_block_merge_implIS3_PhN6thrust23THRUST_200600_302600_NS10device_ptrIlEEjNS1_19radix_merge_compareILb0ELb0EhNS0_19identity_decomposerEEEEE10hipError_tT0_T1_T2_jT3_P12ihipStream_tbPNSt15iterator_traitsISG_E10value_typeEPNSM_ISH_E10value_typeEPSI_NS1_7vsmem_tEENKUlT_SG_SH_SI_E_clIS7_S7_SB_PlEESF_SV_SG_SH_SI_EUlSV_E_NS1_11comp_targetILNS1_3genE0ELNS1_11target_archE4294967295ELNS1_3gpuE0ELNS1_3repE0EEENS1_48merge_mergepath_partition_config_static_selectorELNS0_4arch9wavefront6targetE1EEEvSH_.uses_flat_scratch, 0
	.set _ZN7rocprim17ROCPRIM_400000_NS6detail17trampoline_kernelINS0_14default_configENS1_38merge_sort_block_merge_config_selectorIhlEEZZNS1_27merge_sort_block_merge_implIS3_PhN6thrust23THRUST_200600_302600_NS10device_ptrIlEEjNS1_19radix_merge_compareILb0ELb0EhNS0_19identity_decomposerEEEEE10hipError_tT0_T1_T2_jT3_P12ihipStream_tbPNSt15iterator_traitsISG_E10value_typeEPNSM_ISH_E10value_typeEPSI_NS1_7vsmem_tEENKUlT_SG_SH_SI_E_clIS7_S7_SB_PlEESF_SV_SG_SH_SI_EUlSV_E_NS1_11comp_targetILNS1_3genE0ELNS1_11target_archE4294967295ELNS1_3gpuE0ELNS1_3repE0EEENS1_48merge_mergepath_partition_config_static_selectorELNS0_4arch9wavefront6targetE1EEEvSH_.has_dyn_sized_stack, 0
	.set _ZN7rocprim17ROCPRIM_400000_NS6detail17trampoline_kernelINS0_14default_configENS1_38merge_sort_block_merge_config_selectorIhlEEZZNS1_27merge_sort_block_merge_implIS3_PhN6thrust23THRUST_200600_302600_NS10device_ptrIlEEjNS1_19radix_merge_compareILb0ELb0EhNS0_19identity_decomposerEEEEE10hipError_tT0_T1_T2_jT3_P12ihipStream_tbPNSt15iterator_traitsISG_E10value_typeEPNSM_ISH_E10value_typeEPSI_NS1_7vsmem_tEENKUlT_SG_SH_SI_E_clIS7_S7_SB_PlEESF_SV_SG_SH_SI_EUlSV_E_NS1_11comp_targetILNS1_3genE0ELNS1_11target_archE4294967295ELNS1_3gpuE0ELNS1_3repE0EEENS1_48merge_mergepath_partition_config_static_selectorELNS0_4arch9wavefront6targetE1EEEvSH_.has_recursion, 0
	.set _ZN7rocprim17ROCPRIM_400000_NS6detail17trampoline_kernelINS0_14default_configENS1_38merge_sort_block_merge_config_selectorIhlEEZZNS1_27merge_sort_block_merge_implIS3_PhN6thrust23THRUST_200600_302600_NS10device_ptrIlEEjNS1_19radix_merge_compareILb0ELb0EhNS0_19identity_decomposerEEEEE10hipError_tT0_T1_T2_jT3_P12ihipStream_tbPNSt15iterator_traitsISG_E10value_typeEPNSM_ISH_E10value_typeEPSI_NS1_7vsmem_tEENKUlT_SG_SH_SI_E_clIS7_S7_SB_PlEESF_SV_SG_SH_SI_EUlSV_E_NS1_11comp_targetILNS1_3genE0ELNS1_11target_archE4294967295ELNS1_3gpuE0ELNS1_3repE0EEENS1_48merge_mergepath_partition_config_static_selectorELNS0_4arch9wavefront6targetE1EEEvSH_.has_indirect_call, 0
	.section	.AMDGPU.csdata,"",@progbits
; Kernel info:
; codeLenInByte = 0
; TotalNumSgprs: 4
; NumVgprs: 0
; ScratchSize: 0
; MemoryBound: 0
; FloatMode: 240
; IeeeMode: 1
; LDSByteSize: 0 bytes/workgroup (compile time only)
; SGPRBlocks: 0
; VGPRBlocks: 0
; NumSGPRsForWavesPerEU: 4
; NumVGPRsForWavesPerEU: 1
; Occupancy: 10
; WaveLimiterHint : 0
; COMPUTE_PGM_RSRC2:SCRATCH_EN: 0
; COMPUTE_PGM_RSRC2:USER_SGPR: 6
; COMPUTE_PGM_RSRC2:TRAP_HANDLER: 0
; COMPUTE_PGM_RSRC2:TGID_X_EN: 1
; COMPUTE_PGM_RSRC2:TGID_Y_EN: 0
; COMPUTE_PGM_RSRC2:TGID_Z_EN: 0
; COMPUTE_PGM_RSRC2:TIDIG_COMP_CNT: 0
	.section	.text._ZN7rocprim17ROCPRIM_400000_NS6detail17trampoline_kernelINS0_14default_configENS1_38merge_sort_block_merge_config_selectorIhlEEZZNS1_27merge_sort_block_merge_implIS3_PhN6thrust23THRUST_200600_302600_NS10device_ptrIlEEjNS1_19radix_merge_compareILb0ELb0EhNS0_19identity_decomposerEEEEE10hipError_tT0_T1_T2_jT3_P12ihipStream_tbPNSt15iterator_traitsISG_E10value_typeEPNSM_ISH_E10value_typeEPSI_NS1_7vsmem_tEENKUlT_SG_SH_SI_E_clIS7_S7_SB_PlEESF_SV_SG_SH_SI_EUlSV_E_NS1_11comp_targetILNS1_3genE10ELNS1_11target_archE1201ELNS1_3gpuE5ELNS1_3repE0EEENS1_48merge_mergepath_partition_config_static_selectorELNS0_4arch9wavefront6targetE1EEEvSH_,"axG",@progbits,_ZN7rocprim17ROCPRIM_400000_NS6detail17trampoline_kernelINS0_14default_configENS1_38merge_sort_block_merge_config_selectorIhlEEZZNS1_27merge_sort_block_merge_implIS3_PhN6thrust23THRUST_200600_302600_NS10device_ptrIlEEjNS1_19radix_merge_compareILb0ELb0EhNS0_19identity_decomposerEEEEE10hipError_tT0_T1_T2_jT3_P12ihipStream_tbPNSt15iterator_traitsISG_E10value_typeEPNSM_ISH_E10value_typeEPSI_NS1_7vsmem_tEENKUlT_SG_SH_SI_E_clIS7_S7_SB_PlEESF_SV_SG_SH_SI_EUlSV_E_NS1_11comp_targetILNS1_3genE10ELNS1_11target_archE1201ELNS1_3gpuE5ELNS1_3repE0EEENS1_48merge_mergepath_partition_config_static_selectorELNS0_4arch9wavefront6targetE1EEEvSH_,comdat
	.protected	_ZN7rocprim17ROCPRIM_400000_NS6detail17trampoline_kernelINS0_14default_configENS1_38merge_sort_block_merge_config_selectorIhlEEZZNS1_27merge_sort_block_merge_implIS3_PhN6thrust23THRUST_200600_302600_NS10device_ptrIlEEjNS1_19radix_merge_compareILb0ELb0EhNS0_19identity_decomposerEEEEE10hipError_tT0_T1_T2_jT3_P12ihipStream_tbPNSt15iterator_traitsISG_E10value_typeEPNSM_ISH_E10value_typeEPSI_NS1_7vsmem_tEENKUlT_SG_SH_SI_E_clIS7_S7_SB_PlEESF_SV_SG_SH_SI_EUlSV_E_NS1_11comp_targetILNS1_3genE10ELNS1_11target_archE1201ELNS1_3gpuE5ELNS1_3repE0EEENS1_48merge_mergepath_partition_config_static_selectorELNS0_4arch9wavefront6targetE1EEEvSH_ ; -- Begin function _ZN7rocprim17ROCPRIM_400000_NS6detail17trampoline_kernelINS0_14default_configENS1_38merge_sort_block_merge_config_selectorIhlEEZZNS1_27merge_sort_block_merge_implIS3_PhN6thrust23THRUST_200600_302600_NS10device_ptrIlEEjNS1_19radix_merge_compareILb0ELb0EhNS0_19identity_decomposerEEEEE10hipError_tT0_T1_T2_jT3_P12ihipStream_tbPNSt15iterator_traitsISG_E10value_typeEPNSM_ISH_E10value_typeEPSI_NS1_7vsmem_tEENKUlT_SG_SH_SI_E_clIS7_S7_SB_PlEESF_SV_SG_SH_SI_EUlSV_E_NS1_11comp_targetILNS1_3genE10ELNS1_11target_archE1201ELNS1_3gpuE5ELNS1_3repE0EEENS1_48merge_mergepath_partition_config_static_selectorELNS0_4arch9wavefront6targetE1EEEvSH_
	.globl	_ZN7rocprim17ROCPRIM_400000_NS6detail17trampoline_kernelINS0_14default_configENS1_38merge_sort_block_merge_config_selectorIhlEEZZNS1_27merge_sort_block_merge_implIS3_PhN6thrust23THRUST_200600_302600_NS10device_ptrIlEEjNS1_19radix_merge_compareILb0ELb0EhNS0_19identity_decomposerEEEEE10hipError_tT0_T1_T2_jT3_P12ihipStream_tbPNSt15iterator_traitsISG_E10value_typeEPNSM_ISH_E10value_typeEPSI_NS1_7vsmem_tEENKUlT_SG_SH_SI_E_clIS7_S7_SB_PlEESF_SV_SG_SH_SI_EUlSV_E_NS1_11comp_targetILNS1_3genE10ELNS1_11target_archE1201ELNS1_3gpuE5ELNS1_3repE0EEENS1_48merge_mergepath_partition_config_static_selectorELNS0_4arch9wavefront6targetE1EEEvSH_
	.p2align	8
	.type	_ZN7rocprim17ROCPRIM_400000_NS6detail17trampoline_kernelINS0_14default_configENS1_38merge_sort_block_merge_config_selectorIhlEEZZNS1_27merge_sort_block_merge_implIS3_PhN6thrust23THRUST_200600_302600_NS10device_ptrIlEEjNS1_19radix_merge_compareILb0ELb0EhNS0_19identity_decomposerEEEEE10hipError_tT0_T1_T2_jT3_P12ihipStream_tbPNSt15iterator_traitsISG_E10value_typeEPNSM_ISH_E10value_typeEPSI_NS1_7vsmem_tEENKUlT_SG_SH_SI_E_clIS7_S7_SB_PlEESF_SV_SG_SH_SI_EUlSV_E_NS1_11comp_targetILNS1_3genE10ELNS1_11target_archE1201ELNS1_3gpuE5ELNS1_3repE0EEENS1_48merge_mergepath_partition_config_static_selectorELNS0_4arch9wavefront6targetE1EEEvSH_,@function
_ZN7rocprim17ROCPRIM_400000_NS6detail17trampoline_kernelINS0_14default_configENS1_38merge_sort_block_merge_config_selectorIhlEEZZNS1_27merge_sort_block_merge_implIS3_PhN6thrust23THRUST_200600_302600_NS10device_ptrIlEEjNS1_19radix_merge_compareILb0ELb0EhNS0_19identity_decomposerEEEEE10hipError_tT0_T1_T2_jT3_P12ihipStream_tbPNSt15iterator_traitsISG_E10value_typeEPNSM_ISH_E10value_typeEPSI_NS1_7vsmem_tEENKUlT_SG_SH_SI_E_clIS7_S7_SB_PlEESF_SV_SG_SH_SI_EUlSV_E_NS1_11comp_targetILNS1_3genE10ELNS1_11target_archE1201ELNS1_3gpuE5ELNS1_3repE0EEENS1_48merge_mergepath_partition_config_static_selectorELNS0_4arch9wavefront6targetE1EEEvSH_: ; @_ZN7rocprim17ROCPRIM_400000_NS6detail17trampoline_kernelINS0_14default_configENS1_38merge_sort_block_merge_config_selectorIhlEEZZNS1_27merge_sort_block_merge_implIS3_PhN6thrust23THRUST_200600_302600_NS10device_ptrIlEEjNS1_19radix_merge_compareILb0ELb0EhNS0_19identity_decomposerEEEEE10hipError_tT0_T1_T2_jT3_P12ihipStream_tbPNSt15iterator_traitsISG_E10value_typeEPNSM_ISH_E10value_typeEPSI_NS1_7vsmem_tEENKUlT_SG_SH_SI_E_clIS7_S7_SB_PlEESF_SV_SG_SH_SI_EUlSV_E_NS1_11comp_targetILNS1_3genE10ELNS1_11target_archE1201ELNS1_3gpuE5ELNS1_3repE0EEENS1_48merge_mergepath_partition_config_static_selectorELNS0_4arch9wavefront6targetE1EEEvSH_
; %bb.0:
	.section	.rodata,"a",@progbits
	.p2align	6, 0x0
	.amdhsa_kernel _ZN7rocprim17ROCPRIM_400000_NS6detail17trampoline_kernelINS0_14default_configENS1_38merge_sort_block_merge_config_selectorIhlEEZZNS1_27merge_sort_block_merge_implIS3_PhN6thrust23THRUST_200600_302600_NS10device_ptrIlEEjNS1_19radix_merge_compareILb0ELb0EhNS0_19identity_decomposerEEEEE10hipError_tT0_T1_T2_jT3_P12ihipStream_tbPNSt15iterator_traitsISG_E10value_typeEPNSM_ISH_E10value_typeEPSI_NS1_7vsmem_tEENKUlT_SG_SH_SI_E_clIS7_S7_SB_PlEESF_SV_SG_SH_SI_EUlSV_E_NS1_11comp_targetILNS1_3genE10ELNS1_11target_archE1201ELNS1_3gpuE5ELNS1_3repE0EEENS1_48merge_mergepath_partition_config_static_selectorELNS0_4arch9wavefront6targetE1EEEvSH_
		.amdhsa_group_segment_fixed_size 0
		.amdhsa_private_segment_fixed_size 0
		.amdhsa_kernarg_size 40
		.amdhsa_user_sgpr_count 6
		.amdhsa_user_sgpr_private_segment_buffer 1
		.amdhsa_user_sgpr_dispatch_ptr 0
		.amdhsa_user_sgpr_queue_ptr 0
		.amdhsa_user_sgpr_kernarg_segment_ptr 1
		.amdhsa_user_sgpr_dispatch_id 0
		.amdhsa_user_sgpr_flat_scratch_init 0
		.amdhsa_user_sgpr_private_segment_size 0
		.amdhsa_uses_dynamic_stack 0
		.amdhsa_system_sgpr_private_segment_wavefront_offset 0
		.amdhsa_system_sgpr_workgroup_id_x 1
		.amdhsa_system_sgpr_workgroup_id_y 0
		.amdhsa_system_sgpr_workgroup_id_z 0
		.amdhsa_system_sgpr_workgroup_info 0
		.amdhsa_system_vgpr_workitem_id 0
		.amdhsa_next_free_vgpr 1
		.amdhsa_next_free_sgpr 0
		.amdhsa_reserve_vcc 0
		.amdhsa_reserve_flat_scratch 0
		.amdhsa_float_round_mode_32 0
		.amdhsa_float_round_mode_16_64 0
		.amdhsa_float_denorm_mode_32 3
		.amdhsa_float_denorm_mode_16_64 3
		.amdhsa_dx10_clamp 1
		.amdhsa_ieee_mode 1
		.amdhsa_fp16_overflow 0
		.amdhsa_exception_fp_ieee_invalid_op 0
		.amdhsa_exception_fp_denorm_src 0
		.amdhsa_exception_fp_ieee_div_zero 0
		.amdhsa_exception_fp_ieee_overflow 0
		.amdhsa_exception_fp_ieee_underflow 0
		.amdhsa_exception_fp_ieee_inexact 0
		.amdhsa_exception_int_div_zero 0
	.end_amdhsa_kernel
	.section	.text._ZN7rocprim17ROCPRIM_400000_NS6detail17trampoline_kernelINS0_14default_configENS1_38merge_sort_block_merge_config_selectorIhlEEZZNS1_27merge_sort_block_merge_implIS3_PhN6thrust23THRUST_200600_302600_NS10device_ptrIlEEjNS1_19radix_merge_compareILb0ELb0EhNS0_19identity_decomposerEEEEE10hipError_tT0_T1_T2_jT3_P12ihipStream_tbPNSt15iterator_traitsISG_E10value_typeEPNSM_ISH_E10value_typeEPSI_NS1_7vsmem_tEENKUlT_SG_SH_SI_E_clIS7_S7_SB_PlEESF_SV_SG_SH_SI_EUlSV_E_NS1_11comp_targetILNS1_3genE10ELNS1_11target_archE1201ELNS1_3gpuE5ELNS1_3repE0EEENS1_48merge_mergepath_partition_config_static_selectorELNS0_4arch9wavefront6targetE1EEEvSH_,"axG",@progbits,_ZN7rocprim17ROCPRIM_400000_NS6detail17trampoline_kernelINS0_14default_configENS1_38merge_sort_block_merge_config_selectorIhlEEZZNS1_27merge_sort_block_merge_implIS3_PhN6thrust23THRUST_200600_302600_NS10device_ptrIlEEjNS1_19radix_merge_compareILb0ELb0EhNS0_19identity_decomposerEEEEE10hipError_tT0_T1_T2_jT3_P12ihipStream_tbPNSt15iterator_traitsISG_E10value_typeEPNSM_ISH_E10value_typeEPSI_NS1_7vsmem_tEENKUlT_SG_SH_SI_E_clIS7_S7_SB_PlEESF_SV_SG_SH_SI_EUlSV_E_NS1_11comp_targetILNS1_3genE10ELNS1_11target_archE1201ELNS1_3gpuE5ELNS1_3repE0EEENS1_48merge_mergepath_partition_config_static_selectorELNS0_4arch9wavefront6targetE1EEEvSH_,comdat
.Lfunc_end149:
	.size	_ZN7rocprim17ROCPRIM_400000_NS6detail17trampoline_kernelINS0_14default_configENS1_38merge_sort_block_merge_config_selectorIhlEEZZNS1_27merge_sort_block_merge_implIS3_PhN6thrust23THRUST_200600_302600_NS10device_ptrIlEEjNS1_19radix_merge_compareILb0ELb0EhNS0_19identity_decomposerEEEEE10hipError_tT0_T1_T2_jT3_P12ihipStream_tbPNSt15iterator_traitsISG_E10value_typeEPNSM_ISH_E10value_typeEPSI_NS1_7vsmem_tEENKUlT_SG_SH_SI_E_clIS7_S7_SB_PlEESF_SV_SG_SH_SI_EUlSV_E_NS1_11comp_targetILNS1_3genE10ELNS1_11target_archE1201ELNS1_3gpuE5ELNS1_3repE0EEENS1_48merge_mergepath_partition_config_static_selectorELNS0_4arch9wavefront6targetE1EEEvSH_, .Lfunc_end149-_ZN7rocprim17ROCPRIM_400000_NS6detail17trampoline_kernelINS0_14default_configENS1_38merge_sort_block_merge_config_selectorIhlEEZZNS1_27merge_sort_block_merge_implIS3_PhN6thrust23THRUST_200600_302600_NS10device_ptrIlEEjNS1_19radix_merge_compareILb0ELb0EhNS0_19identity_decomposerEEEEE10hipError_tT0_T1_T2_jT3_P12ihipStream_tbPNSt15iterator_traitsISG_E10value_typeEPNSM_ISH_E10value_typeEPSI_NS1_7vsmem_tEENKUlT_SG_SH_SI_E_clIS7_S7_SB_PlEESF_SV_SG_SH_SI_EUlSV_E_NS1_11comp_targetILNS1_3genE10ELNS1_11target_archE1201ELNS1_3gpuE5ELNS1_3repE0EEENS1_48merge_mergepath_partition_config_static_selectorELNS0_4arch9wavefront6targetE1EEEvSH_
                                        ; -- End function
	.set _ZN7rocprim17ROCPRIM_400000_NS6detail17trampoline_kernelINS0_14default_configENS1_38merge_sort_block_merge_config_selectorIhlEEZZNS1_27merge_sort_block_merge_implIS3_PhN6thrust23THRUST_200600_302600_NS10device_ptrIlEEjNS1_19radix_merge_compareILb0ELb0EhNS0_19identity_decomposerEEEEE10hipError_tT0_T1_T2_jT3_P12ihipStream_tbPNSt15iterator_traitsISG_E10value_typeEPNSM_ISH_E10value_typeEPSI_NS1_7vsmem_tEENKUlT_SG_SH_SI_E_clIS7_S7_SB_PlEESF_SV_SG_SH_SI_EUlSV_E_NS1_11comp_targetILNS1_3genE10ELNS1_11target_archE1201ELNS1_3gpuE5ELNS1_3repE0EEENS1_48merge_mergepath_partition_config_static_selectorELNS0_4arch9wavefront6targetE1EEEvSH_.num_vgpr, 0
	.set _ZN7rocprim17ROCPRIM_400000_NS6detail17trampoline_kernelINS0_14default_configENS1_38merge_sort_block_merge_config_selectorIhlEEZZNS1_27merge_sort_block_merge_implIS3_PhN6thrust23THRUST_200600_302600_NS10device_ptrIlEEjNS1_19radix_merge_compareILb0ELb0EhNS0_19identity_decomposerEEEEE10hipError_tT0_T1_T2_jT3_P12ihipStream_tbPNSt15iterator_traitsISG_E10value_typeEPNSM_ISH_E10value_typeEPSI_NS1_7vsmem_tEENKUlT_SG_SH_SI_E_clIS7_S7_SB_PlEESF_SV_SG_SH_SI_EUlSV_E_NS1_11comp_targetILNS1_3genE10ELNS1_11target_archE1201ELNS1_3gpuE5ELNS1_3repE0EEENS1_48merge_mergepath_partition_config_static_selectorELNS0_4arch9wavefront6targetE1EEEvSH_.num_agpr, 0
	.set _ZN7rocprim17ROCPRIM_400000_NS6detail17trampoline_kernelINS0_14default_configENS1_38merge_sort_block_merge_config_selectorIhlEEZZNS1_27merge_sort_block_merge_implIS3_PhN6thrust23THRUST_200600_302600_NS10device_ptrIlEEjNS1_19radix_merge_compareILb0ELb0EhNS0_19identity_decomposerEEEEE10hipError_tT0_T1_T2_jT3_P12ihipStream_tbPNSt15iterator_traitsISG_E10value_typeEPNSM_ISH_E10value_typeEPSI_NS1_7vsmem_tEENKUlT_SG_SH_SI_E_clIS7_S7_SB_PlEESF_SV_SG_SH_SI_EUlSV_E_NS1_11comp_targetILNS1_3genE10ELNS1_11target_archE1201ELNS1_3gpuE5ELNS1_3repE0EEENS1_48merge_mergepath_partition_config_static_selectorELNS0_4arch9wavefront6targetE1EEEvSH_.numbered_sgpr, 0
	.set _ZN7rocprim17ROCPRIM_400000_NS6detail17trampoline_kernelINS0_14default_configENS1_38merge_sort_block_merge_config_selectorIhlEEZZNS1_27merge_sort_block_merge_implIS3_PhN6thrust23THRUST_200600_302600_NS10device_ptrIlEEjNS1_19radix_merge_compareILb0ELb0EhNS0_19identity_decomposerEEEEE10hipError_tT0_T1_T2_jT3_P12ihipStream_tbPNSt15iterator_traitsISG_E10value_typeEPNSM_ISH_E10value_typeEPSI_NS1_7vsmem_tEENKUlT_SG_SH_SI_E_clIS7_S7_SB_PlEESF_SV_SG_SH_SI_EUlSV_E_NS1_11comp_targetILNS1_3genE10ELNS1_11target_archE1201ELNS1_3gpuE5ELNS1_3repE0EEENS1_48merge_mergepath_partition_config_static_selectorELNS0_4arch9wavefront6targetE1EEEvSH_.num_named_barrier, 0
	.set _ZN7rocprim17ROCPRIM_400000_NS6detail17trampoline_kernelINS0_14default_configENS1_38merge_sort_block_merge_config_selectorIhlEEZZNS1_27merge_sort_block_merge_implIS3_PhN6thrust23THRUST_200600_302600_NS10device_ptrIlEEjNS1_19radix_merge_compareILb0ELb0EhNS0_19identity_decomposerEEEEE10hipError_tT0_T1_T2_jT3_P12ihipStream_tbPNSt15iterator_traitsISG_E10value_typeEPNSM_ISH_E10value_typeEPSI_NS1_7vsmem_tEENKUlT_SG_SH_SI_E_clIS7_S7_SB_PlEESF_SV_SG_SH_SI_EUlSV_E_NS1_11comp_targetILNS1_3genE10ELNS1_11target_archE1201ELNS1_3gpuE5ELNS1_3repE0EEENS1_48merge_mergepath_partition_config_static_selectorELNS0_4arch9wavefront6targetE1EEEvSH_.private_seg_size, 0
	.set _ZN7rocprim17ROCPRIM_400000_NS6detail17trampoline_kernelINS0_14default_configENS1_38merge_sort_block_merge_config_selectorIhlEEZZNS1_27merge_sort_block_merge_implIS3_PhN6thrust23THRUST_200600_302600_NS10device_ptrIlEEjNS1_19radix_merge_compareILb0ELb0EhNS0_19identity_decomposerEEEEE10hipError_tT0_T1_T2_jT3_P12ihipStream_tbPNSt15iterator_traitsISG_E10value_typeEPNSM_ISH_E10value_typeEPSI_NS1_7vsmem_tEENKUlT_SG_SH_SI_E_clIS7_S7_SB_PlEESF_SV_SG_SH_SI_EUlSV_E_NS1_11comp_targetILNS1_3genE10ELNS1_11target_archE1201ELNS1_3gpuE5ELNS1_3repE0EEENS1_48merge_mergepath_partition_config_static_selectorELNS0_4arch9wavefront6targetE1EEEvSH_.uses_vcc, 0
	.set _ZN7rocprim17ROCPRIM_400000_NS6detail17trampoline_kernelINS0_14default_configENS1_38merge_sort_block_merge_config_selectorIhlEEZZNS1_27merge_sort_block_merge_implIS3_PhN6thrust23THRUST_200600_302600_NS10device_ptrIlEEjNS1_19radix_merge_compareILb0ELb0EhNS0_19identity_decomposerEEEEE10hipError_tT0_T1_T2_jT3_P12ihipStream_tbPNSt15iterator_traitsISG_E10value_typeEPNSM_ISH_E10value_typeEPSI_NS1_7vsmem_tEENKUlT_SG_SH_SI_E_clIS7_S7_SB_PlEESF_SV_SG_SH_SI_EUlSV_E_NS1_11comp_targetILNS1_3genE10ELNS1_11target_archE1201ELNS1_3gpuE5ELNS1_3repE0EEENS1_48merge_mergepath_partition_config_static_selectorELNS0_4arch9wavefront6targetE1EEEvSH_.uses_flat_scratch, 0
	.set _ZN7rocprim17ROCPRIM_400000_NS6detail17trampoline_kernelINS0_14default_configENS1_38merge_sort_block_merge_config_selectorIhlEEZZNS1_27merge_sort_block_merge_implIS3_PhN6thrust23THRUST_200600_302600_NS10device_ptrIlEEjNS1_19radix_merge_compareILb0ELb0EhNS0_19identity_decomposerEEEEE10hipError_tT0_T1_T2_jT3_P12ihipStream_tbPNSt15iterator_traitsISG_E10value_typeEPNSM_ISH_E10value_typeEPSI_NS1_7vsmem_tEENKUlT_SG_SH_SI_E_clIS7_S7_SB_PlEESF_SV_SG_SH_SI_EUlSV_E_NS1_11comp_targetILNS1_3genE10ELNS1_11target_archE1201ELNS1_3gpuE5ELNS1_3repE0EEENS1_48merge_mergepath_partition_config_static_selectorELNS0_4arch9wavefront6targetE1EEEvSH_.has_dyn_sized_stack, 0
	.set _ZN7rocprim17ROCPRIM_400000_NS6detail17trampoline_kernelINS0_14default_configENS1_38merge_sort_block_merge_config_selectorIhlEEZZNS1_27merge_sort_block_merge_implIS3_PhN6thrust23THRUST_200600_302600_NS10device_ptrIlEEjNS1_19radix_merge_compareILb0ELb0EhNS0_19identity_decomposerEEEEE10hipError_tT0_T1_T2_jT3_P12ihipStream_tbPNSt15iterator_traitsISG_E10value_typeEPNSM_ISH_E10value_typeEPSI_NS1_7vsmem_tEENKUlT_SG_SH_SI_E_clIS7_S7_SB_PlEESF_SV_SG_SH_SI_EUlSV_E_NS1_11comp_targetILNS1_3genE10ELNS1_11target_archE1201ELNS1_3gpuE5ELNS1_3repE0EEENS1_48merge_mergepath_partition_config_static_selectorELNS0_4arch9wavefront6targetE1EEEvSH_.has_recursion, 0
	.set _ZN7rocprim17ROCPRIM_400000_NS6detail17trampoline_kernelINS0_14default_configENS1_38merge_sort_block_merge_config_selectorIhlEEZZNS1_27merge_sort_block_merge_implIS3_PhN6thrust23THRUST_200600_302600_NS10device_ptrIlEEjNS1_19radix_merge_compareILb0ELb0EhNS0_19identity_decomposerEEEEE10hipError_tT0_T1_T2_jT3_P12ihipStream_tbPNSt15iterator_traitsISG_E10value_typeEPNSM_ISH_E10value_typeEPSI_NS1_7vsmem_tEENKUlT_SG_SH_SI_E_clIS7_S7_SB_PlEESF_SV_SG_SH_SI_EUlSV_E_NS1_11comp_targetILNS1_3genE10ELNS1_11target_archE1201ELNS1_3gpuE5ELNS1_3repE0EEENS1_48merge_mergepath_partition_config_static_selectorELNS0_4arch9wavefront6targetE1EEEvSH_.has_indirect_call, 0
	.section	.AMDGPU.csdata,"",@progbits
; Kernel info:
; codeLenInByte = 0
; TotalNumSgprs: 4
; NumVgprs: 0
; ScratchSize: 0
; MemoryBound: 0
; FloatMode: 240
; IeeeMode: 1
; LDSByteSize: 0 bytes/workgroup (compile time only)
; SGPRBlocks: 0
; VGPRBlocks: 0
; NumSGPRsForWavesPerEU: 4
; NumVGPRsForWavesPerEU: 1
; Occupancy: 10
; WaveLimiterHint : 0
; COMPUTE_PGM_RSRC2:SCRATCH_EN: 0
; COMPUTE_PGM_RSRC2:USER_SGPR: 6
; COMPUTE_PGM_RSRC2:TRAP_HANDLER: 0
; COMPUTE_PGM_RSRC2:TGID_X_EN: 1
; COMPUTE_PGM_RSRC2:TGID_Y_EN: 0
; COMPUTE_PGM_RSRC2:TGID_Z_EN: 0
; COMPUTE_PGM_RSRC2:TIDIG_COMP_CNT: 0
	.section	.text._ZN7rocprim17ROCPRIM_400000_NS6detail17trampoline_kernelINS0_14default_configENS1_38merge_sort_block_merge_config_selectorIhlEEZZNS1_27merge_sort_block_merge_implIS3_PhN6thrust23THRUST_200600_302600_NS10device_ptrIlEEjNS1_19radix_merge_compareILb0ELb0EhNS0_19identity_decomposerEEEEE10hipError_tT0_T1_T2_jT3_P12ihipStream_tbPNSt15iterator_traitsISG_E10value_typeEPNSM_ISH_E10value_typeEPSI_NS1_7vsmem_tEENKUlT_SG_SH_SI_E_clIS7_S7_SB_PlEESF_SV_SG_SH_SI_EUlSV_E_NS1_11comp_targetILNS1_3genE5ELNS1_11target_archE942ELNS1_3gpuE9ELNS1_3repE0EEENS1_48merge_mergepath_partition_config_static_selectorELNS0_4arch9wavefront6targetE1EEEvSH_,"axG",@progbits,_ZN7rocprim17ROCPRIM_400000_NS6detail17trampoline_kernelINS0_14default_configENS1_38merge_sort_block_merge_config_selectorIhlEEZZNS1_27merge_sort_block_merge_implIS3_PhN6thrust23THRUST_200600_302600_NS10device_ptrIlEEjNS1_19radix_merge_compareILb0ELb0EhNS0_19identity_decomposerEEEEE10hipError_tT0_T1_T2_jT3_P12ihipStream_tbPNSt15iterator_traitsISG_E10value_typeEPNSM_ISH_E10value_typeEPSI_NS1_7vsmem_tEENKUlT_SG_SH_SI_E_clIS7_S7_SB_PlEESF_SV_SG_SH_SI_EUlSV_E_NS1_11comp_targetILNS1_3genE5ELNS1_11target_archE942ELNS1_3gpuE9ELNS1_3repE0EEENS1_48merge_mergepath_partition_config_static_selectorELNS0_4arch9wavefront6targetE1EEEvSH_,comdat
	.protected	_ZN7rocprim17ROCPRIM_400000_NS6detail17trampoline_kernelINS0_14default_configENS1_38merge_sort_block_merge_config_selectorIhlEEZZNS1_27merge_sort_block_merge_implIS3_PhN6thrust23THRUST_200600_302600_NS10device_ptrIlEEjNS1_19radix_merge_compareILb0ELb0EhNS0_19identity_decomposerEEEEE10hipError_tT0_T1_T2_jT3_P12ihipStream_tbPNSt15iterator_traitsISG_E10value_typeEPNSM_ISH_E10value_typeEPSI_NS1_7vsmem_tEENKUlT_SG_SH_SI_E_clIS7_S7_SB_PlEESF_SV_SG_SH_SI_EUlSV_E_NS1_11comp_targetILNS1_3genE5ELNS1_11target_archE942ELNS1_3gpuE9ELNS1_3repE0EEENS1_48merge_mergepath_partition_config_static_selectorELNS0_4arch9wavefront6targetE1EEEvSH_ ; -- Begin function _ZN7rocprim17ROCPRIM_400000_NS6detail17trampoline_kernelINS0_14default_configENS1_38merge_sort_block_merge_config_selectorIhlEEZZNS1_27merge_sort_block_merge_implIS3_PhN6thrust23THRUST_200600_302600_NS10device_ptrIlEEjNS1_19radix_merge_compareILb0ELb0EhNS0_19identity_decomposerEEEEE10hipError_tT0_T1_T2_jT3_P12ihipStream_tbPNSt15iterator_traitsISG_E10value_typeEPNSM_ISH_E10value_typeEPSI_NS1_7vsmem_tEENKUlT_SG_SH_SI_E_clIS7_S7_SB_PlEESF_SV_SG_SH_SI_EUlSV_E_NS1_11comp_targetILNS1_3genE5ELNS1_11target_archE942ELNS1_3gpuE9ELNS1_3repE0EEENS1_48merge_mergepath_partition_config_static_selectorELNS0_4arch9wavefront6targetE1EEEvSH_
	.globl	_ZN7rocprim17ROCPRIM_400000_NS6detail17trampoline_kernelINS0_14default_configENS1_38merge_sort_block_merge_config_selectorIhlEEZZNS1_27merge_sort_block_merge_implIS3_PhN6thrust23THRUST_200600_302600_NS10device_ptrIlEEjNS1_19radix_merge_compareILb0ELb0EhNS0_19identity_decomposerEEEEE10hipError_tT0_T1_T2_jT3_P12ihipStream_tbPNSt15iterator_traitsISG_E10value_typeEPNSM_ISH_E10value_typeEPSI_NS1_7vsmem_tEENKUlT_SG_SH_SI_E_clIS7_S7_SB_PlEESF_SV_SG_SH_SI_EUlSV_E_NS1_11comp_targetILNS1_3genE5ELNS1_11target_archE942ELNS1_3gpuE9ELNS1_3repE0EEENS1_48merge_mergepath_partition_config_static_selectorELNS0_4arch9wavefront6targetE1EEEvSH_
	.p2align	8
	.type	_ZN7rocprim17ROCPRIM_400000_NS6detail17trampoline_kernelINS0_14default_configENS1_38merge_sort_block_merge_config_selectorIhlEEZZNS1_27merge_sort_block_merge_implIS3_PhN6thrust23THRUST_200600_302600_NS10device_ptrIlEEjNS1_19radix_merge_compareILb0ELb0EhNS0_19identity_decomposerEEEEE10hipError_tT0_T1_T2_jT3_P12ihipStream_tbPNSt15iterator_traitsISG_E10value_typeEPNSM_ISH_E10value_typeEPSI_NS1_7vsmem_tEENKUlT_SG_SH_SI_E_clIS7_S7_SB_PlEESF_SV_SG_SH_SI_EUlSV_E_NS1_11comp_targetILNS1_3genE5ELNS1_11target_archE942ELNS1_3gpuE9ELNS1_3repE0EEENS1_48merge_mergepath_partition_config_static_selectorELNS0_4arch9wavefront6targetE1EEEvSH_,@function
_ZN7rocprim17ROCPRIM_400000_NS6detail17trampoline_kernelINS0_14default_configENS1_38merge_sort_block_merge_config_selectorIhlEEZZNS1_27merge_sort_block_merge_implIS3_PhN6thrust23THRUST_200600_302600_NS10device_ptrIlEEjNS1_19radix_merge_compareILb0ELb0EhNS0_19identity_decomposerEEEEE10hipError_tT0_T1_T2_jT3_P12ihipStream_tbPNSt15iterator_traitsISG_E10value_typeEPNSM_ISH_E10value_typeEPSI_NS1_7vsmem_tEENKUlT_SG_SH_SI_E_clIS7_S7_SB_PlEESF_SV_SG_SH_SI_EUlSV_E_NS1_11comp_targetILNS1_3genE5ELNS1_11target_archE942ELNS1_3gpuE9ELNS1_3repE0EEENS1_48merge_mergepath_partition_config_static_selectorELNS0_4arch9wavefront6targetE1EEEvSH_: ; @_ZN7rocprim17ROCPRIM_400000_NS6detail17trampoline_kernelINS0_14default_configENS1_38merge_sort_block_merge_config_selectorIhlEEZZNS1_27merge_sort_block_merge_implIS3_PhN6thrust23THRUST_200600_302600_NS10device_ptrIlEEjNS1_19radix_merge_compareILb0ELb0EhNS0_19identity_decomposerEEEEE10hipError_tT0_T1_T2_jT3_P12ihipStream_tbPNSt15iterator_traitsISG_E10value_typeEPNSM_ISH_E10value_typeEPSI_NS1_7vsmem_tEENKUlT_SG_SH_SI_E_clIS7_S7_SB_PlEESF_SV_SG_SH_SI_EUlSV_E_NS1_11comp_targetILNS1_3genE5ELNS1_11target_archE942ELNS1_3gpuE9ELNS1_3repE0EEENS1_48merge_mergepath_partition_config_static_selectorELNS0_4arch9wavefront6targetE1EEEvSH_
; %bb.0:
	.section	.rodata,"a",@progbits
	.p2align	6, 0x0
	.amdhsa_kernel _ZN7rocprim17ROCPRIM_400000_NS6detail17trampoline_kernelINS0_14default_configENS1_38merge_sort_block_merge_config_selectorIhlEEZZNS1_27merge_sort_block_merge_implIS3_PhN6thrust23THRUST_200600_302600_NS10device_ptrIlEEjNS1_19radix_merge_compareILb0ELb0EhNS0_19identity_decomposerEEEEE10hipError_tT0_T1_T2_jT3_P12ihipStream_tbPNSt15iterator_traitsISG_E10value_typeEPNSM_ISH_E10value_typeEPSI_NS1_7vsmem_tEENKUlT_SG_SH_SI_E_clIS7_S7_SB_PlEESF_SV_SG_SH_SI_EUlSV_E_NS1_11comp_targetILNS1_3genE5ELNS1_11target_archE942ELNS1_3gpuE9ELNS1_3repE0EEENS1_48merge_mergepath_partition_config_static_selectorELNS0_4arch9wavefront6targetE1EEEvSH_
		.amdhsa_group_segment_fixed_size 0
		.amdhsa_private_segment_fixed_size 0
		.amdhsa_kernarg_size 40
		.amdhsa_user_sgpr_count 6
		.amdhsa_user_sgpr_private_segment_buffer 1
		.amdhsa_user_sgpr_dispatch_ptr 0
		.amdhsa_user_sgpr_queue_ptr 0
		.amdhsa_user_sgpr_kernarg_segment_ptr 1
		.amdhsa_user_sgpr_dispatch_id 0
		.amdhsa_user_sgpr_flat_scratch_init 0
		.amdhsa_user_sgpr_private_segment_size 0
		.amdhsa_uses_dynamic_stack 0
		.amdhsa_system_sgpr_private_segment_wavefront_offset 0
		.amdhsa_system_sgpr_workgroup_id_x 1
		.amdhsa_system_sgpr_workgroup_id_y 0
		.amdhsa_system_sgpr_workgroup_id_z 0
		.amdhsa_system_sgpr_workgroup_info 0
		.amdhsa_system_vgpr_workitem_id 0
		.amdhsa_next_free_vgpr 1
		.amdhsa_next_free_sgpr 0
		.amdhsa_reserve_vcc 0
		.amdhsa_reserve_flat_scratch 0
		.amdhsa_float_round_mode_32 0
		.amdhsa_float_round_mode_16_64 0
		.amdhsa_float_denorm_mode_32 3
		.amdhsa_float_denorm_mode_16_64 3
		.amdhsa_dx10_clamp 1
		.amdhsa_ieee_mode 1
		.amdhsa_fp16_overflow 0
		.amdhsa_exception_fp_ieee_invalid_op 0
		.amdhsa_exception_fp_denorm_src 0
		.amdhsa_exception_fp_ieee_div_zero 0
		.amdhsa_exception_fp_ieee_overflow 0
		.amdhsa_exception_fp_ieee_underflow 0
		.amdhsa_exception_fp_ieee_inexact 0
		.amdhsa_exception_int_div_zero 0
	.end_amdhsa_kernel
	.section	.text._ZN7rocprim17ROCPRIM_400000_NS6detail17trampoline_kernelINS0_14default_configENS1_38merge_sort_block_merge_config_selectorIhlEEZZNS1_27merge_sort_block_merge_implIS3_PhN6thrust23THRUST_200600_302600_NS10device_ptrIlEEjNS1_19radix_merge_compareILb0ELb0EhNS0_19identity_decomposerEEEEE10hipError_tT0_T1_T2_jT3_P12ihipStream_tbPNSt15iterator_traitsISG_E10value_typeEPNSM_ISH_E10value_typeEPSI_NS1_7vsmem_tEENKUlT_SG_SH_SI_E_clIS7_S7_SB_PlEESF_SV_SG_SH_SI_EUlSV_E_NS1_11comp_targetILNS1_3genE5ELNS1_11target_archE942ELNS1_3gpuE9ELNS1_3repE0EEENS1_48merge_mergepath_partition_config_static_selectorELNS0_4arch9wavefront6targetE1EEEvSH_,"axG",@progbits,_ZN7rocprim17ROCPRIM_400000_NS6detail17trampoline_kernelINS0_14default_configENS1_38merge_sort_block_merge_config_selectorIhlEEZZNS1_27merge_sort_block_merge_implIS3_PhN6thrust23THRUST_200600_302600_NS10device_ptrIlEEjNS1_19radix_merge_compareILb0ELb0EhNS0_19identity_decomposerEEEEE10hipError_tT0_T1_T2_jT3_P12ihipStream_tbPNSt15iterator_traitsISG_E10value_typeEPNSM_ISH_E10value_typeEPSI_NS1_7vsmem_tEENKUlT_SG_SH_SI_E_clIS7_S7_SB_PlEESF_SV_SG_SH_SI_EUlSV_E_NS1_11comp_targetILNS1_3genE5ELNS1_11target_archE942ELNS1_3gpuE9ELNS1_3repE0EEENS1_48merge_mergepath_partition_config_static_selectorELNS0_4arch9wavefront6targetE1EEEvSH_,comdat
.Lfunc_end150:
	.size	_ZN7rocprim17ROCPRIM_400000_NS6detail17trampoline_kernelINS0_14default_configENS1_38merge_sort_block_merge_config_selectorIhlEEZZNS1_27merge_sort_block_merge_implIS3_PhN6thrust23THRUST_200600_302600_NS10device_ptrIlEEjNS1_19radix_merge_compareILb0ELb0EhNS0_19identity_decomposerEEEEE10hipError_tT0_T1_T2_jT3_P12ihipStream_tbPNSt15iterator_traitsISG_E10value_typeEPNSM_ISH_E10value_typeEPSI_NS1_7vsmem_tEENKUlT_SG_SH_SI_E_clIS7_S7_SB_PlEESF_SV_SG_SH_SI_EUlSV_E_NS1_11comp_targetILNS1_3genE5ELNS1_11target_archE942ELNS1_3gpuE9ELNS1_3repE0EEENS1_48merge_mergepath_partition_config_static_selectorELNS0_4arch9wavefront6targetE1EEEvSH_, .Lfunc_end150-_ZN7rocprim17ROCPRIM_400000_NS6detail17trampoline_kernelINS0_14default_configENS1_38merge_sort_block_merge_config_selectorIhlEEZZNS1_27merge_sort_block_merge_implIS3_PhN6thrust23THRUST_200600_302600_NS10device_ptrIlEEjNS1_19radix_merge_compareILb0ELb0EhNS0_19identity_decomposerEEEEE10hipError_tT0_T1_T2_jT3_P12ihipStream_tbPNSt15iterator_traitsISG_E10value_typeEPNSM_ISH_E10value_typeEPSI_NS1_7vsmem_tEENKUlT_SG_SH_SI_E_clIS7_S7_SB_PlEESF_SV_SG_SH_SI_EUlSV_E_NS1_11comp_targetILNS1_3genE5ELNS1_11target_archE942ELNS1_3gpuE9ELNS1_3repE0EEENS1_48merge_mergepath_partition_config_static_selectorELNS0_4arch9wavefront6targetE1EEEvSH_
                                        ; -- End function
	.set _ZN7rocprim17ROCPRIM_400000_NS6detail17trampoline_kernelINS0_14default_configENS1_38merge_sort_block_merge_config_selectorIhlEEZZNS1_27merge_sort_block_merge_implIS3_PhN6thrust23THRUST_200600_302600_NS10device_ptrIlEEjNS1_19radix_merge_compareILb0ELb0EhNS0_19identity_decomposerEEEEE10hipError_tT0_T1_T2_jT3_P12ihipStream_tbPNSt15iterator_traitsISG_E10value_typeEPNSM_ISH_E10value_typeEPSI_NS1_7vsmem_tEENKUlT_SG_SH_SI_E_clIS7_S7_SB_PlEESF_SV_SG_SH_SI_EUlSV_E_NS1_11comp_targetILNS1_3genE5ELNS1_11target_archE942ELNS1_3gpuE9ELNS1_3repE0EEENS1_48merge_mergepath_partition_config_static_selectorELNS0_4arch9wavefront6targetE1EEEvSH_.num_vgpr, 0
	.set _ZN7rocprim17ROCPRIM_400000_NS6detail17trampoline_kernelINS0_14default_configENS1_38merge_sort_block_merge_config_selectorIhlEEZZNS1_27merge_sort_block_merge_implIS3_PhN6thrust23THRUST_200600_302600_NS10device_ptrIlEEjNS1_19radix_merge_compareILb0ELb0EhNS0_19identity_decomposerEEEEE10hipError_tT0_T1_T2_jT3_P12ihipStream_tbPNSt15iterator_traitsISG_E10value_typeEPNSM_ISH_E10value_typeEPSI_NS1_7vsmem_tEENKUlT_SG_SH_SI_E_clIS7_S7_SB_PlEESF_SV_SG_SH_SI_EUlSV_E_NS1_11comp_targetILNS1_3genE5ELNS1_11target_archE942ELNS1_3gpuE9ELNS1_3repE0EEENS1_48merge_mergepath_partition_config_static_selectorELNS0_4arch9wavefront6targetE1EEEvSH_.num_agpr, 0
	.set _ZN7rocprim17ROCPRIM_400000_NS6detail17trampoline_kernelINS0_14default_configENS1_38merge_sort_block_merge_config_selectorIhlEEZZNS1_27merge_sort_block_merge_implIS3_PhN6thrust23THRUST_200600_302600_NS10device_ptrIlEEjNS1_19radix_merge_compareILb0ELb0EhNS0_19identity_decomposerEEEEE10hipError_tT0_T1_T2_jT3_P12ihipStream_tbPNSt15iterator_traitsISG_E10value_typeEPNSM_ISH_E10value_typeEPSI_NS1_7vsmem_tEENKUlT_SG_SH_SI_E_clIS7_S7_SB_PlEESF_SV_SG_SH_SI_EUlSV_E_NS1_11comp_targetILNS1_3genE5ELNS1_11target_archE942ELNS1_3gpuE9ELNS1_3repE0EEENS1_48merge_mergepath_partition_config_static_selectorELNS0_4arch9wavefront6targetE1EEEvSH_.numbered_sgpr, 0
	.set _ZN7rocprim17ROCPRIM_400000_NS6detail17trampoline_kernelINS0_14default_configENS1_38merge_sort_block_merge_config_selectorIhlEEZZNS1_27merge_sort_block_merge_implIS3_PhN6thrust23THRUST_200600_302600_NS10device_ptrIlEEjNS1_19radix_merge_compareILb0ELb0EhNS0_19identity_decomposerEEEEE10hipError_tT0_T1_T2_jT3_P12ihipStream_tbPNSt15iterator_traitsISG_E10value_typeEPNSM_ISH_E10value_typeEPSI_NS1_7vsmem_tEENKUlT_SG_SH_SI_E_clIS7_S7_SB_PlEESF_SV_SG_SH_SI_EUlSV_E_NS1_11comp_targetILNS1_3genE5ELNS1_11target_archE942ELNS1_3gpuE9ELNS1_3repE0EEENS1_48merge_mergepath_partition_config_static_selectorELNS0_4arch9wavefront6targetE1EEEvSH_.num_named_barrier, 0
	.set _ZN7rocprim17ROCPRIM_400000_NS6detail17trampoline_kernelINS0_14default_configENS1_38merge_sort_block_merge_config_selectorIhlEEZZNS1_27merge_sort_block_merge_implIS3_PhN6thrust23THRUST_200600_302600_NS10device_ptrIlEEjNS1_19radix_merge_compareILb0ELb0EhNS0_19identity_decomposerEEEEE10hipError_tT0_T1_T2_jT3_P12ihipStream_tbPNSt15iterator_traitsISG_E10value_typeEPNSM_ISH_E10value_typeEPSI_NS1_7vsmem_tEENKUlT_SG_SH_SI_E_clIS7_S7_SB_PlEESF_SV_SG_SH_SI_EUlSV_E_NS1_11comp_targetILNS1_3genE5ELNS1_11target_archE942ELNS1_3gpuE9ELNS1_3repE0EEENS1_48merge_mergepath_partition_config_static_selectorELNS0_4arch9wavefront6targetE1EEEvSH_.private_seg_size, 0
	.set _ZN7rocprim17ROCPRIM_400000_NS6detail17trampoline_kernelINS0_14default_configENS1_38merge_sort_block_merge_config_selectorIhlEEZZNS1_27merge_sort_block_merge_implIS3_PhN6thrust23THRUST_200600_302600_NS10device_ptrIlEEjNS1_19radix_merge_compareILb0ELb0EhNS0_19identity_decomposerEEEEE10hipError_tT0_T1_T2_jT3_P12ihipStream_tbPNSt15iterator_traitsISG_E10value_typeEPNSM_ISH_E10value_typeEPSI_NS1_7vsmem_tEENKUlT_SG_SH_SI_E_clIS7_S7_SB_PlEESF_SV_SG_SH_SI_EUlSV_E_NS1_11comp_targetILNS1_3genE5ELNS1_11target_archE942ELNS1_3gpuE9ELNS1_3repE0EEENS1_48merge_mergepath_partition_config_static_selectorELNS0_4arch9wavefront6targetE1EEEvSH_.uses_vcc, 0
	.set _ZN7rocprim17ROCPRIM_400000_NS6detail17trampoline_kernelINS0_14default_configENS1_38merge_sort_block_merge_config_selectorIhlEEZZNS1_27merge_sort_block_merge_implIS3_PhN6thrust23THRUST_200600_302600_NS10device_ptrIlEEjNS1_19radix_merge_compareILb0ELb0EhNS0_19identity_decomposerEEEEE10hipError_tT0_T1_T2_jT3_P12ihipStream_tbPNSt15iterator_traitsISG_E10value_typeEPNSM_ISH_E10value_typeEPSI_NS1_7vsmem_tEENKUlT_SG_SH_SI_E_clIS7_S7_SB_PlEESF_SV_SG_SH_SI_EUlSV_E_NS1_11comp_targetILNS1_3genE5ELNS1_11target_archE942ELNS1_3gpuE9ELNS1_3repE0EEENS1_48merge_mergepath_partition_config_static_selectorELNS0_4arch9wavefront6targetE1EEEvSH_.uses_flat_scratch, 0
	.set _ZN7rocprim17ROCPRIM_400000_NS6detail17trampoline_kernelINS0_14default_configENS1_38merge_sort_block_merge_config_selectorIhlEEZZNS1_27merge_sort_block_merge_implIS3_PhN6thrust23THRUST_200600_302600_NS10device_ptrIlEEjNS1_19radix_merge_compareILb0ELb0EhNS0_19identity_decomposerEEEEE10hipError_tT0_T1_T2_jT3_P12ihipStream_tbPNSt15iterator_traitsISG_E10value_typeEPNSM_ISH_E10value_typeEPSI_NS1_7vsmem_tEENKUlT_SG_SH_SI_E_clIS7_S7_SB_PlEESF_SV_SG_SH_SI_EUlSV_E_NS1_11comp_targetILNS1_3genE5ELNS1_11target_archE942ELNS1_3gpuE9ELNS1_3repE0EEENS1_48merge_mergepath_partition_config_static_selectorELNS0_4arch9wavefront6targetE1EEEvSH_.has_dyn_sized_stack, 0
	.set _ZN7rocprim17ROCPRIM_400000_NS6detail17trampoline_kernelINS0_14default_configENS1_38merge_sort_block_merge_config_selectorIhlEEZZNS1_27merge_sort_block_merge_implIS3_PhN6thrust23THRUST_200600_302600_NS10device_ptrIlEEjNS1_19radix_merge_compareILb0ELb0EhNS0_19identity_decomposerEEEEE10hipError_tT0_T1_T2_jT3_P12ihipStream_tbPNSt15iterator_traitsISG_E10value_typeEPNSM_ISH_E10value_typeEPSI_NS1_7vsmem_tEENKUlT_SG_SH_SI_E_clIS7_S7_SB_PlEESF_SV_SG_SH_SI_EUlSV_E_NS1_11comp_targetILNS1_3genE5ELNS1_11target_archE942ELNS1_3gpuE9ELNS1_3repE0EEENS1_48merge_mergepath_partition_config_static_selectorELNS0_4arch9wavefront6targetE1EEEvSH_.has_recursion, 0
	.set _ZN7rocprim17ROCPRIM_400000_NS6detail17trampoline_kernelINS0_14default_configENS1_38merge_sort_block_merge_config_selectorIhlEEZZNS1_27merge_sort_block_merge_implIS3_PhN6thrust23THRUST_200600_302600_NS10device_ptrIlEEjNS1_19radix_merge_compareILb0ELb0EhNS0_19identity_decomposerEEEEE10hipError_tT0_T1_T2_jT3_P12ihipStream_tbPNSt15iterator_traitsISG_E10value_typeEPNSM_ISH_E10value_typeEPSI_NS1_7vsmem_tEENKUlT_SG_SH_SI_E_clIS7_S7_SB_PlEESF_SV_SG_SH_SI_EUlSV_E_NS1_11comp_targetILNS1_3genE5ELNS1_11target_archE942ELNS1_3gpuE9ELNS1_3repE0EEENS1_48merge_mergepath_partition_config_static_selectorELNS0_4arch9wavefront6targetE1EEEvSH_.has_indirect_call, 0
	.section	.AMDGPU.csdata,"",@progbits
; Kernel info:
; codeLenInByte = 0
; TotalNumSgprs: 4
; NumVgprs: 0
; ScratchSize: 0
; MemoryBound: 0
; FloatMode: 240
; IeeeMode: 1
; LDSByteSize: 0 bytes/workgroup (compile time only)
; SGPRBlocks: 0
; VGPRBlocks: 0
; NumSGPRsForWavesPerEU: 4
; NumVGPRsForWavesPerEU: 1
; Occupancy: 10
; WaveLimiterHint : 0
; COMPUTE_PGM_RSRC2:SCRATCH_EN: 0
; COMPUTE_PGM_RSRC2:USER_SGPR: 6
; COMPUTE_PGM_RSRC2:TRAP_HANDLER: 0
; COMPUTE_PGM_RSRC2:TGID_X_EN: 1
; COMPUTE_PGM_RSRC2:TGID_Y_EN: 0
; COMPUTE_PGM_RSRC2:TGID_Z_EN: 0
; COMPUTE_PGM_RSRC2:TIDIG_COMP_CNT: 0
	.section	.text._ZN7rocprim17ROCPRIM_400000_NS6detail17trampoline_kernelINS0_14default_configENS1_38merge_sort_block_merge_config_selectorIhlEEZZNS1_27merge_sort_block_merge_implIS3_PhN6thrust23THRUST_200600_302600_NS10device_ptrIlEEjNS1_19radix_merge_compareILb0ELb0EhNS0_19identity_decomposerEEEEE10hipError_tT0_T1_T2_jT3_P12ihipStream_tbPNSt15iterator_traitsISG_E10value_typeEPNSM_ISH_E10value_typeEPSI_NS1_7vsmem_tEENKUlT_SG_SH_SI_E_clIS7_S7_SB_PlEESF_SV_SG_SH_SI_EUlSV_E_NS1_11comp_targetILNS1_3genE4ELNS1_11target_archE910ELNS1_3gpuE8ELNS1_3repE0EEENS1_48merge_mergepath_partition_config_static_selectorELNS0_4arch9wavefront6targetE1EEEvSH_,"axG",@progbits,_ZN7rocprim17ROCPRIM_400000_NS6detail17trampoline_kernelINS0_14default_configENS1_38merge_sort_block_merge_config_selectorIhlEEZZNS1_27merge_sort_block_merge_implIS3_PhN6thrust23THRUST_200600_302600_NS10device_ptrIlEEjNS1_19radix_merge_compareILb0ELb0EhNS0_19identity_decomposerEEEEE10hipError_tT0_T1_T2_jT3_P12ihipStream_tbPNSt15iterator_traitsISG_E10value_typeEPNSM_ISH_E10value_typeEPSI_NS1_7vsmem_tEENKUlT_SG_SH_SI_E_clIS7_S7_SB_PlEESF_SV_SG_SH_SI_EUlSV_E_NS1_11comp_targetILNS1_3genE4ELNS1_11target_archE910ELNS1_3gpuE8ELNS1_3repE0EEENS1_48merge_mergepath_partition_config_static_selectorELNS0_4arch9wavefront6targetE1EEEvSH_,comdat
	.protected	_ZN7rocprim17ROCPRIM_400000_NS6detail17trampoline_kernelINS0_14default_configENS1_38merge_sort_block_merge_config_selectorIhlEEZZNS1_27merge_sort_block_merge_implIS3_PhN6thrust23THRUST_200600_302600_NS10device_ptrIlEEjNS1_19radix_merge_compareILb0ELb0EhNS0_19identity_decomposerEEEEE10hipError_tT0_T1_T2_jT3_P12ihipStream_tbPNSt15iterator_traitsISG_E10value_typeEPNSM_ISH_E10value_typeEPSI_NS1_7vsmem_tEENKUlT_SG_SH_SI_E_clIS7_S7_SB_PlEESF_SV_SG_SH_SI_EUlSV_E_NS1_11comp_targetILNS1_3genE4ELNS1_11target_archE910ELNS1_3gpuE8ELNS1_3repE0EEENS1_48merge_mergepath_partition_config_static_selectorELNS0_4arch9wavefront6targetE1EEEvSH_ ; -- Begin function _ZN7rocprim17ROCPRIM_400000_NS6detail17trampoline_kernelINS0_14default_configENS1_38merge_sort_block_merge_config_selectorIhlEEZZNS1_27merge_sort_block_merge_implIS3_PhN6thrust23THRUST_200600_302600_NS10device_ptrIlEEjNS1_19radix_merge_compareILb0ELb0EhNS0_19identity_decomposerEEEEE10hipError_tT0_T1_T2_jT3_P12ihipStream_tbPNSt15iterator_traitsISG_E10value_typeEPNSM_ISH_E10value_typeEPSI_NS1_7vsmem_tEENKUlT_SG_SH_SI_E_clIS7_S7_SB_PlEESF_SV_SG_SH_SI_EUlSV_E_NS1_11comp_targetILNS1_3genE4ELNS1_11target_archE910ELNS1_3gpuE8ELNS1_3repE0EEENS1_48merge_mergepath_partition_config_static_selectorELNS0_4arch9wavefront6targetE1EEEvSH_
	.globl	_ZN7rocprim17ROCPRIM_400000_NS6detail17trampoline_kernelINS0_14default_configENS1_38merge_sort_block_merge_config_selectorIhlEEZZNS1_27merge_sort_block_merge_implIS3_PhN6thrust23THRUST_200600_302600_NS10device_ptrIlEEjNS1_19radix_merge_compareILb0ELb0EhNS0_19identity_decomposerEEEEE10hipError_tT0_T1_T2_jT3_P12ihipStream_tbPNSt15iterator_traitsISG_E10value_typeEPNSM_ISH_E10value_typeEPSI_NS1_7vsmem_tEENKUlT_SG_SH_SI_E_clIS7_S7_SB_PlEESF_SV_SG_SH_SI_EUlSV_E_NS1_11comp_targetILNS1_3genE4ELNS1_11target_archE910ELNS1_3gpuE8ELNS1_3repE0EEENS1_48merge_mergepath_partition_config_static_selectorELNS0_4arch9wavefront6targetE1EEEvSH_
	.p2align	8
	.type	_ZN7rocprim17ROCPRIM_400000_NS6detail17trampoline_kernelINS0_14default_configENS1_38merge_sort_block_merge_config_selectorIhlEEZZNS1_27merge_sort_block_merge_implIS3_PhN6thrust23THRUST_200600_302600_NS10device_ptrIlEEjNS1_19radix_merge_compareILb0ELb0EhNS0_19identity_decomposerEEEEE10hipError_tT0_T1_T2_jT3_P12ihipStream_tbPNSt15iterator_traitsISG_E10value_typeEPNSM_ISH_E10value_typeEPSI_NS1_7vsmem_tEENKUlT_SG_SH_SI_E_clIS7_S7_SB_PlEESF_SV_SG_SH_SI_EUlSV_E_NS1_11comp_targetILNS1_3genE4ELNS1_11target_archE910ELNS1_3gpuE8ELNS1_3repE0EEENS1_48merge_mergepath_partition_config_static_selectorELNS0_4arch9wavefront6targetE1EEEvSH_,@function
_ZN7rocprim17ROCPRIM_400000_NS6detail17trampoline_kernelINS0_14default_configENS1_38merge_sort_block_merge_config_selectorIhlEEZZNS1_27merge_sort_block_merge_implIS3_PhN6thrust23THRUST_200600_302600_NS10device_ptrIlEEjNS1_19radix_merge_compareILb0ELb0EhNS0_19identity_decomposerEEEEE10hipError_tT0_T1_T2_jT3_P12ihipStream_tbPNSt15iterator_traitsISG_E10value_typeEPNSM_ISH_E10value_typeEPSI_NS1_7vsmem_tEENKUlT_SG_SH_SI_E_clIS7_S7_SB_PlEESF_SV_SG_SH_SI_EUlSV_E_NS1_11comp_targetILNS1_3genE4ELNS1_11target_archE910ELNS1_3gpuE8ELNS1_3repE0EEENS1_48merge_mergepath_partition_config_static_selectorELNS0_4arch9wavefront6targetE1EEEvSH_: ; @_ZN7rocprim17ROCPRIM_400000_NS6detail17trampoline_kernelINS0_14default_configENS1_38merge_sort_block_merge_config_selectorIhlEEZZNS1_27merge_sort_block_merge_implIS3_PhN6thrust23THRUST_200600_302600_NS10device_ptrIlEEjNS1_19radix_merge_compareILb0ELb0EhNS0_19identity_decomposerEEEEE10hipError_tT0_T1_T2_jT3_P12ihipStream_tbPNSt15iterator_traitsISG_E10value_typeEPNSM_ISH_E10value_typeEPSI_NS1_7vsmem_tEENKUlT_SG_SH_SI_E_clIS7_S7_SB_PlEESF_SV_SG_SH_SI_EUlSV_E_NS1_11comp_targetILNS1_3genE4ELNS1_11target_archE910ELNS1_3gpuE8ELNS1_3repE0EEENS1_48merge_mergepath_partition_config_static_selectorELNS0_4arch9wavefront6targetE1EEEvSH_
; %bb.0:
	.section	.rodata,"a",@progbits
	.p2align	6, 0x0
	.amdhsa_kernel _ZN7rocprim17ROCPRIM_400000_NS6detail17trampoline_kernelINS0_14default_configENS1_38merge_sort_block_merge_config_selectorIhlEEZZNS1_27merge_sort_block_merge_implIS3_PhN6thrust23THRUST_200600_302600_NS10device_ptrIlEEjNS1_19radix_merge_compareILb0ELb0EhNS0_19identity_decomposerEEEEE10hipError_tT0_T1_T2_jT3_P12ihipStream_tbPNSt15iterator_traitsISG_E10value_typeEPNSM_ISH_E10value_typeEPSI_NS1_7vsmem_tEENKUlT_SG_SH_SI_E_clIS7_S7_SB_PlEESF_SV_SG_SH_SI_EUlSV_E_NS1_11comp_targetILNS1_3genE4ELNS1_11target_archE910ELNS1_3gpuE8ELNS1_3repE0EEENS1_48merge_mergepath_partition_config_static_selectorELNS0_4arch9wavefront6targetE1EEEvSH_
		.amdhsa_group_segment_fixed_size 0
		.amdhsa_private_segment_fixed_size 0
		.amdhsa_kernarg_size 40
		.amdhsa_user_sgpr_count 6
		.amdhsa_user_sgpr_private_segment_buffer 1
		.amdhsa_user_sgpr_dispatch_ptr 0
		.amdhsa_user_sgpr_queue_ptr 0
		.amdhsa_user_sgpr_kernarg_segment_ptr 1
		.amdhsa_user_sgpr_dispatch_id 0
		.amdhsa_user_sgpr_flat_scratch_init 0
		.amdhsa_user_sgpr_private_segment_size 0
		.amdhsa_uses_dynamic_stack 0
		.amdhsa_system_sgpr_private_segment_wavefront_offset 0
		.amdhsa_system_sgpr_workgroup_id_x 1
		.amdhsa_system_sgpr_workgroup_id_y 0
		.amdhsa_system_sgpr_workgroup_id_z 0
		.amdhsa_system_sgpr_workgroup_info 0
		.amdhsa_system_vgpr_workitem_id 0
		.amdhsa_next_free_vgpr 1
		.amdhsa_next_free_sgpr 0
		.amdhsa_reserve_vcc 0
		.amdhsa_reserve_flat_scratch 0
		.amdhsa_float_round_mode_32 0
		.amdhsa_float_round_mode_16_64 0
		.amdhsa_float_denorm_mode_32 3
		.amdhsa_float_denorm_mode_16_64 3
		.amdhsa_dx10_clamp 1
		.amdhsa_ieee_mode 1
		.amdhsa_fp16_overflow 0
		.amdhsa_exception_fp_ieee_invalid_op 0
		.amdhsa_exception_fp_denorm_src 0
		.amdhsa_exception_fp_ieee_div_zero 0
		.amdhsa_exception_fp_ieee_overflow 0
		.amdhsa_exception_fp_ieee_underflow 0
		.amdhsa_exception_fp_ieee_inexact 0
		.amdhsa_exception_int_div_zero 0
	.end_amdhsa_kernel
	.section	.text._ZN7rocprim17ROCPRIM_400000_NS6detail17trampoline_kernelINS0_14default_configENS1_38merge_sort_block_merge_config_selectorIhlEEZZNS1_27merge_sort_block_merge_implIS3_PhN6thrust23THRUST_200600_302600_NS10device_ptrIlEEjNS1_19radix_merge_compareILb0ELb0EhNS0_19identity_decomposerEEEEE10hipError_tT0_T1_T2_jT3_P12ihipStream_tbPNSt15iterator_traitsISG_E10value_typeEPNSM_ISH_E10value_typeEPSI_NS1_7vsmem_tEENKUlT_SG_SH_SI_E_clIS7_S7_SB_PlEESF_SV_SG_SH_SI_EUlSV_E_NS1_11comp_targetILNS1_3genE4ELNS1_11target_archE910ELNS1_3gpuE8ELNS1_3repE0EEENS1_48merge_mergepath_partition_config_static_selectorELNS0_4arch9wavefront6targetE1EEEvSH_,"axG",@progbits,_ZN7rocprim17ROCPRIM_400000_NS6detail17trampoline_kernelINS0_14default_configENS1_38merge_sort_block_merge_config_selectorIhlEEZZNS1_27merge_sort_block_merge_implIS3_PhN6thrust23THRUST_200600_302600_NS10device_ptrIlEEjNS1_19radix_merge_compareILb0ELb0EhNS0_19identity_decomposerEEEEE10hipError_tT0_T1_T2_jT3_P12ihipStream_tbPNSt15iterator_traitsISG_E10value_typeEPNSM_ISH_E10value_typeEPSI_NS1_7vsmem_tEENKUlT_SG_SH_SI_E_clIS7_S7_SB_PlEESF_SV_SG_SH_SI_EUlSV_E_NS1_11comp_targetILNS1_3genE4ELNS1_11target_archE910ELNS1_3gpuE8ELNS1_3repE0EEENS1_48merge_mergepath_partition_config_static_selectorELNS0_4arch9wavefront6targetE1EEEvSH_,comdat
.Lfunc_end151:
	.size	_ZN7rocprim17ROCPRIM_400000_NS6detail17trampoline_kernelINS0_14default_configENS1_38merge_sort_block_merge_config_selectorIhlEEZZNS1_27merge_sort_block_merge_implIS3_PhN6thrust23THRUST_200600_302600_NS10device_ptrIlEEjNS1_19radix_merge_compareILb0ELb0EhNS0_19identity_decomposerEEEEE10hipError_tT0_T1_T2_jT3_P12ihipStream_tbPNSt15iterator_traitsISG_E10value_typeEPNSM_ISH_E10value_typeEPSI_NS1_7vsmem_tEENKUlT_SG_SH_SI_E_clIS7_S7_SB_PlEESF_SV_SG_SH_SI_EUlSV_E_NS1_11comp_targetILNS1_3genE4ELNS1_11target_archE910ELNS1_3gpuE8ELNS1_3repE0EEENS1_48merge_mergepath_partition_config_static_selectorELNS0_4arch9wavefront6targetE1EEEvSH_, .Lfunc_end151-_ZN7rocprim17ROCPRIM_400000_NS6detail17trampoline_kernelINS0_14default_configENS1_38merge_sort_block_merge_config_selectorIhlEEZZNS1_27merge_sort_block_merge_implIS3_PhN6thrust23THRUST_200600_302600_NS10device_ptrIlEEjNS1_19radix_merge_compareILb0ELb0EhNS0_19identity_decomposerEEEEE10hipError_tT0_T1_T2_jT3_P12ihipStream_tbPNSt15iterator_traitsISG_E10value_typeEPNSM_ISH_E10value_typeEPSI_NS1_7vsmem_tEENKUlT_SG_SH_SI_E_clIS7_S7_SB_PlEESF_SV_SG_SH_SI_EUlSV_E_NS1_11comp_targetILNS1_3genE4ELNS1_11target_archE910ELNS1_3gpuE8ELNS1_3repE0EEENS1_48merge_mergepath_partition_config_static_selectorELNS0_4arch9wavefront6targetE1EEEvSH_
                                        ; -- End function
	.set _ZN7rocprim17ROCPRIM_400000_NS6detail17trampoline_kernelINS0_14default_configENS1_38merge_sort_block_merge_config_selectorIhlEEZZNS1_27merge_sort_block_merge_implIS3_PhN6thrust23THRUST_200600_302600_NS10device_ptrIlEEjNS1_19radix_merge_compareILb0ELb0EhNS0_19identity_decomposerEEEEE10hipError_tT0_T1_T2_jT3_P12ihipStream_tbPNSt15iterator_traitsISG_E10value_typeEPNSM_ISH_E10value_typeEPSI_NS1_7vsmem_tEENKUlT_SG_SH_SI_E_clIS7_S7_SB_PlEESF_SV_SG_SH_SI_EUlSV_E_NS1_11comp_targetILNS1_3genE4ELNS1_11target_archE910ELNS1_3gpuE8ELNS1_3repE0EEENS1_48merge_mergepath_partition_config_static_selectorELNS0_4arch9wavefront6targetE1EEEvSH_.num_vgpr, 0
	.set _ZN7rocprim17ROCPRIM_400000_NS6detail17trampoline_kernelINS0_14default_configENS1_38merge_sort_block_merge_config_selectorIhlEEZZNS1_27merge_sort_block_merge_implIS3_PhN6thrust23THRUST_200600_302600_NS10device_ptrIlEEjNS1_19radix_merge_compareILb0ELb0EhNS0_19identity_decomposerEEEEE10hipError_tT0_T1_T2_jT3_P12ihipStream_tbPNSt15iterator_traitsISG_E10value_typeEPNSM_ISH_E10value_typeEPSI_NS1_7vsmem_tEENKUlT_SG_SH_SI_E_clIS7_S7_SB_PlEESF_SV_SG_SH_SI_EUlSV_E_NS1_11comp_targetILNS1_3genE4ELNS1_11target_archE910ELNS1_3gpuE8ELNS1_3repE0EEENS1_48merge_mergepath_partition_config_static_selectorELNS0_4arch9wavefront6targetE1EEEvSH_.num_agpr, 0
	.set _ZN7rocprim17ROCPRIM_400000_NS6detail17trampoline_kernelINS0_14default_configENS1_38merge_sort_block_merge_config_selectorIhlEEZZNS1_27merge_sort_block_merge_implIS3_PhN6thrust23THRUST_200600_302600_NS10device_ptrIlEEjNS1_19radix_merge_compareILb0ELb0EhNS0_19identity_decomposerEEEEE10hipError_tT0_T1_T2_jT3_P12ihipStream_tbPNSt15iterator_traitsISG_E10value_typeEPNSM_ISH_E10value_typeEPSI_NS1_7vsmem_tEENKUlT_SG_SH_SI_E_clIS7_S7_SB_PlEESF_SV_SG_SH_SI_EUlSV_E_NS1_11comp_targetILNS1_3genE4ELNS1_11target_archE910ELNS1_3gpuE8ELNS1_3repE0EEENS1_48merge_mergepath_partition_config_static_selectorELNS0_4arch9wavefront6targetE1EEEvSH_.numbered_sgpr, 0
	.set _ZN7rocprim17ROCPRIM_400000_NS6detail17trampoline_kernelINS0_14default_configENS1_38merge_sort_block_merge_config_selectorIhlEEZZNS1_27merge_sort_block_merge_implIS3_PhN6thrust23THRUST_200600_302600_NS10device_ptrIlEEjNS1_19radix_merge_compareILb0ELb0EhNS0_19identity_decomposerEEEEE10hipError_tT0_T1_T2_jT3_P12ihipStream_tbPNSt15iterator_traitsISG_E10value_typeEPNSM_ISH_E10value_typeEPSI_NS1_7vsmem_tEENKUlT_SG_SH_SI_E_clIS7_S7_SB_PlEESF_SV_SG_SH_SI_EUlSV_E_NS1_11comp_targetILNS1_3genE4ELNS1_11target_archE910ELNS1_3gpuE8ELNS1_3repE0EEENS1_48merge_mergepath_partition_config_static_selectorELNS0_4arch9wavefront6targetE1EEEvSH_.num_named_barrier, 0
	.set _ZN7rocprim17ROCPRIM_400000_NS6detail17trampoline_kernelINS0_14default_configENS1_38merge_sort_block_merge_config_selectorIhlEEZZNS1_27merge_sort_block_merge_implIS3_PhN6thrust23THRUST_200600_302600_NS10device_ptrIlEEjNS1_19radix_merge_compareILb0ELb0EhNS0_19identity_decomposerEEEEE10hipError_tT0_T1_T2_jT3_P12ihipStream_tbPNSt15iterator_traitsISG_E10value_typeEPNSM_ISH_E10value_typeEPSI_NS1_7vsmem_tEENKUlT_SG_SH_SI_E_clIS7_S7_SB_PlEESF_SV_SG_SH_SI_EUlSV_E_NS1_11comp_targetILNS1_3genE4ELNS1_11target_archE910ELNS1_3gpuE8ELNS1_3repE0EEENS1_48merge_mergepath_partition_config_static_selectorELNS0_4arch9wavefront6targetE1EEEvSH_.private_seg_size, 0
	.set _ZN7rocprim17ROCPRIM_400000_NS6detail17trampoline_kernelINS0_14default_configENS1_38merge_sort_block_merge_config_selectorIhlEEZZNS1_27merge_sort_block_merge_implIS3_PhN6thrust23THRUST_200600_302600_NS10device_ptrIlEEjNS1_19radix_merge_compareILb0ELb0EhNS0_19identity_decomposerEEEEE10hipError_tT0_T1_T2_jT3_P12ihipStream_tbPNSt15iterator_traitsISG_E10value_typeEPNSM_ISH_E10value_typeEPSI_NS1_7vsmem_tEENKUlT_SG_SH_SI_E_clIS7_S7_SB_PlEESF_SV_SG_SH_SI_EUlSV_E_NS1_11comp_targetILNS1_3genE4ELNS1_11target_archE910ELNS1_3gpuE8ELNS1_3repE0EEENS1_48merge_mergepath_partition_config_static_selectorELNS0_4arch9wavefront6targetE1EEEvSH_.uses_vcc, 0
	.set _ZN7rocprim17ROCPRIM_400000_NS6detail17trampoline_kernelINS0_14default_configENS1_38merge_sort_block_merge_config_selectorIhlEEZZNS1_27merge_sort_block_merge_implIS3_PhN6thrust23THRUST_200600_302600_NS10device_ptrIlEEjNS1_19radix_merge_compareILb0ELb0EhNS0_19identity_decomposerEEEEE10hipError_tT0_T1_T2_jT3_P12ihipStream_tbPNSt15iterator_traitsISG_E10value_typeEPNSM_ISH_E10value_typeEPSI_NS1_7vsmem_tEENKUlT_SG_SH_SI_E_clIS7_S7_SB_PlEESF_SV_SG_SH_SI_EUlSV_E_NS1_11comp_targetILNS1_3genE4ELNS1_11target_archE910ELNS1_3gpuE8ELNS1_3repE0EEENS1_48merge_mergepath_partition_config_static_selectorELNS0_4arch9wavefront6targetE1EEEvSH_.uses_flat_scratch, 0
	.set _ZN7rocprim17ROCPRIM_400000_NS6detail17trampoline_kernelINS0_14default_configENS1_38merge_sort_block_merge_config_selectorIhlEEZZNS1_27merge_sort_block_merge_implIS3_PhN6thrust23THRUST_200600_302600_NS10device_ptrIlEEjNS1_19radix_merge_compareILb0ELb0EhNS0_19identity_decomposerEEEEE10hipError_tT0_T1_T2_jT3_P12ihipStream_tbPNSt15iterator_traitsISG_E10value_typeEPNSM_ISH_E10value_typeEPSI_NS1_7vsmem_tEENKUlT_SG_SH_SI_E_clIS7_S7_SB_PlEESF_SV_SG_SH_SI_EUlSV_E_NS1_11comp_targetILNS1_3genE4ELNS1_11target_archE910ELNS1_3gpuE8ELNS1_3repE0EEENS1_48merge_mergepath_partition_config_static_selectorELNS0_4arch9wavefront6targetE1EEEvSH_.has_dyn_sized_stack, 0
	.set _ZN7rocprim17ROCPRIM_400000_NS6detail17trampoline_kernelINS0_14default_configENS1_38merge_sort_block_merge_config_selectorIhlEEZZNS1_27merge_sort_block_merge_implIS3_PhN6thrust23THRUST_200600_302600_NS10device_ptrIlEEjNS1_19radix_merge_compareILb0ELb0EhNS0_19identity_decomposerEEEEE10hipError_tT0_T1_T2_jT3_P12ihipStream_tbPNSt15iterator_traitsISG_E10value_typeEPNSM_ISH_E10value_typeEPSI_NS1_7vsmem_tEENKUlT_SG_SH_SI_E_clIS7_S7_SB_PlEESF_SV_SG_SH_SI_EUlSV_E_NS1_11comp_targetILNS1_3genE4ELNS1_11target_archE910ELNS1_3gpuE8ELNS1_3repE0EEENS1_48merge_mergepath_partition_config_static_selectorELNS0_4arch9wavefront6targetE1EEEvSH_.has_recursion, 0
	.set _ZN7rocprim17ROCPRIM_400000_NS6detail17trampoline_kernelINS0_14default_configENS1_38merge_sort_block_merge_config_selectorIhlEEZZNS1_27merge_sort_block_merge_implIS3_PhN6thrust23THRUST_200600_302600_NS10device_ptrIlEEjNS1_19radix_merge_compareILb0ELb0EhNS0_19identity_decomposerEEEEE10hipError_tT0_T1_T2_jT3_P12ihipStream_tbPNSt15iterator_traitsISG_E10value_typeEPNSM_ISH_E10value_typeEPSI_NS1_7vsmem_tEENKUlT_SG_SH_SI_E_clIS7_S7_SB_PlEESF_SV_SG_SH_SI_EUlSV_E_NS1_11comp_targetILNS1_3genE4ELNS1_11target_archE910ELNS1_3gpuE8ELNS1_3repE0EEENS1_48merge_mergepath_partition_config_static_selectorELNS0_4arch9wavefront6targetE1EEEvSH_.has_indirect_call, 0
	.section	.AMDGPU.csdata,"",@progbits
; Kernel info:
; codeLenInByte = 0
; TotalNumSgprs: 4
; NumVgprs: 0
; ScratchSize: 0
; MemoryBound: 0
; FloatMode: 240
; IeeeMode: 1
; LDSByteSize: 0 bytes/workgroup (compile time only)
; SGPRBlocks: 0
; VGPRBlocks: 0
; NumSGPRsForWavesPerEU: 4
; NumVGPRsForWavesPerEU: 1
; Occupancy: 10
; WaveLimiterHint : 0
; COMPUTE_PGM_RSRC2:SCRATCH_EN: 0
; COMPUTE_PGM_RSRC2:USER_SGPR: 6
; COMPUTE_PGM_RSRC2:TRAP_HANDLER: 0
; COMPUTE_PGM_RSRC2:TGID_X_EN: 1
; COMPUTE_PGM_RSRC2:TGID_Y_EN: 0
; COMPUTE_PGM_RSRC2:TGID_Z_EN: 0
; COMPUTE_PGM_RSRC2:TIDIG_COMP_CNT: 0
	.section	.text._ZN7rocprim17ROCPRIM_400000_NS6detail17trampoline_kernelINS0_14default_configENS1_38merge_sort_block_merge_config_selectorIhlEEZZNS1_27merge_sort_block_merge_implIS3_PhN6thrust23THRUST_200600_302600_NS10device_ptrIlEEjNS1_19radix_merge_compareILb0ELb0EhNS0_19identity_decomposerEEEEE10hipError_tT0_T1_T2_jT3_P12ihipStream_tbPNSt15iterator_traitsISG_E10value_typeEPNSM_ISH_E10value_typeEPSI_NS1_7vsmem_tEENKUlT_SG_SH_SI_E_clIS7_S7_SB_PlEESF_SV_SG_SH_SI_EUlSV_E_NS1_11comp_targetILNS1_3genE3ELNS1_11target_archE908ELNS1_3gpuE7ELNS1_3repE0EEENS1_48merge_mergepath_partition_config_static_selectorELNS0_4arch9wavefront6targetE1EEEvSH_,"axG",@progbits,_ZN7rocprim17ROCPRIM_400000_NS6detail17trampoline_kernelINS0_14default_configENS1_38merge_sort_block_merge_config_selectorIhlEEZZNS1_27merge_sort_block_merge_implIS3_PhN6thrust23THRUST_200600_302600_NS10device_ptrIlEEjNS1_19radix_merge_compareILb0ELb0EhNS0_19identity_decomposerEEEEE10hipError_tT0_T1_T2_jT3_P12ihipStream_tbPNSt15iterator_traitsISG_E10value_typeEPNSM_ISH_E10value_typeEPSI_NS1_7vsmem_tEENKUlT_SG_SH_SI_E_clIS7_S7_SB_PlEESF_SV_SG_SH_SI_EUlSV_E_NS1_11comp_targetILNS1_3genE3ELNS1_11target_archE908ELNS1_3gpuE7ELNS1_3repE0EEENS1_48merge_mergepath_partition_config_static_selectorELNS0_4arch9wavefront6targetE1EEEvSH_,comdat
	.protected	_ZN7rocprim17ROCPRIM_400000_NS6detail17trampoline_kernelINS0_14default_configENS1_38merge_sort_block_merge_config_selectorIhlEEZZNS1_27merge_sort_block_merge_implIS3_PhN6thrust23THRUST_200600_302600_NS10device_ptrIlEEjNS1_19radix_merge_compareILb0ELb0EhNS0_19identity_decomposerEEEEE10hipError_tT0_T1_T2_jT3_P12ihipStream_tbPNSt15iterator_traitsISG_E10value_typeEPNSM_ISH_E10value_typeEPSI_NS1_7vsmem_tEENKUlT_SG_SH_SI_E_clIS7_S7_SB_PlEESF_SV_SG_SH_SI_EUlSV_E_NS1_11comp_targetILNS1_3genE3ELNS1_11target_archE908ELNS1_3gpuE7ELNS1_3repE0EEENS1_48merge_mergepath_partition_config_static_selectorELNS0_4arch9wavefront6targetE1EEEvSH_ ; -- Begin function _ZN7rocprim17ROCPRIM_400000_NS6detail17trampoline_kernelINS0_14default_configENS1_38merge_sort_block_merge_config_selectorIhlEEZZNS1_27merge_sort_block_merge_implIS3_PhN6thrust23THRUST_200600_302600_NS10device_ptrIlEEjNS1_19radix_merge_compareILb0ELb0EhNS0_19identity_decomposerEEEEE10hipError_tT0_T1_T2_jT3_P12ihipStream_tbPNSt15iterator_traitsISG_E10value_typeEPNSM_ISH_E10value_typeEPSI_NS1_7vsmem_tEENKUlT_SG_SH_SI_E_clIS7_S7_SB_PlEESF_SV_SG_SH_SI_EUlSV_E_NS1_11comp_targetILNS1_3genE3ELNS1_11target_archE908ELNS1_3gpuE7ELNS1_3repE0EEENS1_48merge_mergepath_partition_config_static_selectorELNS0_4arch9wavefront6targetE1EEEvSH_
	.globl	_ZN7rocprim17ROCPRIM_400000_NS6detail17trampoline_kernelINS0_14default_configENS1_38merge_sort_block_merge_config_selectorIhlEEZZNS1_27merge_sort_block_merge_implIS3_PhN6thrust23THRUST_200600_302600_NS10device_ptrIlEEjNS1_19radix_merge_compareILb0ELb0EhNS0_19identity_decomposerEEEEE10hipError_tT0_T1_T2_jT3_P12ihipStream_tbPNSt15iterator_traitsISG_E10value_typeEPNSM_ISH_E10value_typeEPSI_NS1_7vsmem_tEENKUlT_SG_SH_SI_E_clIS7_S7_SB_PlEESF_SV_SG_SH_SI_EUlSV_E_NS1_11comp_targetILNS1_3genE3ELNS1_11target_archE908ELNS1_3gpuE7ELNS1_3repE0EEENS1_48merge_mergepath_partition_config_static_selectorELNS0_4arch9wavefront6targetE1EEEvSH_
	.p2align	8
	.type	_ZN7rocprim17ROCPRIM_400000_NS6detail17trampoline_kernelINS0_14default_configENS1_38merge_sort_block_merge_config_selectorIhlEEZZNS1_27merge_sort_block_merge_implIS3_PhN6thrust23THRUST_200600_302600_NS10device_ptrIlEEjNS1_19radix_merge_compareILb0ELb0EhNS0_19identity_decomposerEEEEE10hipError_tT0_T1_T2_jT3_P12ihipStream_tbPNSt15iterator_traitsISG_E10value_typeEPNSM_ISH_E10value_typeEPSI_NS1_7vsmem_tEENKUlT_SG_SH_SI_E_clIS7_S7_SB_PlEESF_SV_SG_SH_SI_EUlSV_E_NS1_11comp_targetILNS1_3genE3ELNS1_11target_archE908ELNS1_3gpuE7ELNS1_3repE0EEENS1_48merge_mergepath_partition_config_static_selectorELNS0_4arch9wavefront6targetE1EEEvSH_,@function
_ZN7rocprim17ROCPRIM_400000_NS6detail17trampoline_kernelINS0_14default_configENS1_38merge_sort_block_merge_config_selectorIhlEEZZNS1_27merge_sort_block_merge_implIS3_PhN6thrust23THRUST_200600_302600_NS10device_ptrIlEEjNS1_19radix_merge_compareILb0ELb0EhNS0_19identity_decomposerEEEEE10hipError_tT0_T1_T2_jT3_P12ihipStream_tbPNSt15iterator_traitsISG_E10value_typeEPNSM_ISH_E10value_typeEPSI_NS1_7vsmem_tEENKUlT_SG_SH_SI_E_clIS7_S7_SB_PlEESF_SV_SG_SH_SI_EUlSV_E_NS1_11comp_targetILNS1_3genE3ELNS1_11target_archE908ELNS1_3gpuE7ELNS1_3repE0EEENS1_48merge_mergepath_partition_config_static_selectorELNS0_4arch9wavefront6targetE1EEEvSH_: ; @_ZN7rocprim17ROCPRIM_400000_NS6detail17trampoline_kernelINS0_14default_configENS1_38merge_sort_block_merge_config_selectorIhlEEZZNS1_27merge_sort_block_merge_implIS3_PhN6thrust23THRUST_200600_302600_NS10device_ptrIlEEjNS1_19radix_merge_compareILb0ELb0EhNS0_19identity_decomposerEEEEE10hipError_tT0_T1_T2_jT3_P12ihipStream_tbPNSt15iterator_traitsISG_E10value_typeEPNSM_ISH_E10value_typeEPSI_NS1_7vsmem_tEENKUlT_SG_SH_SI_E_clIS7_S7_SB_PlEESF_SV_SG_SH_SI_EUlSV_E_NS1_11comp_targetILNS1_3genE3ELNS1_11target_archE908ELNS1_3gpuE7ELNS1_3repE0EEENS1_48merge_mergepath_partition_config_static_selectorELNS0_4arch9wavefront6targetE1EEEvSH_
; %bb.0:
	.section	.rodata,"a",@progbits
	.p2align	6, 0x0
	.amdhsa_kernel _ZN7rocprim17ROCPRIM_400000_NS6detail17trampoline_kernelINS0_14default_configENS1_38merge_sort_block_merge_config_selectorIhlEEZZNS1_27merge_sort_block_merge_implIS3_PhN6thrust23THRUST_200600_302600_NS10device_ptrIlEEjNS1_19radix_merge_compareILb0ELb0EhNS0_19identity_decomposerEEEEE10hipError_tT0_T1_T2_jT3_P12ihipStream_tbPNSt15iterator_traitsISG_E10value_typeEPNSM_ISH_E10value_typeEPSI_NS1_7vsmem_tEENKUlT_SG_SH_SI_E_clIS7_S7_SB_PlEESF_SV_SG_SH_SI_EUlSV_E_NS1_11comp_targetILNS1_3genE3ELNS1_11target_archE908ELNS1_3gpuE7ELNS1_3repE0EEENS1_48merge_mergepath_partition_config_static_selectorELNS0_4arch9wavefront6targetE1EEEvSH_
		.amdhsa_group_segment_fixed_size 0
		.amdhsa_private_segment_fixed_size 0
		.amdhsa_kernarg_size 40
		.amdhsa_user_sgpr_count 6
		.amdhsa_user_sgpr_private_segment_buffer 1
		.amdhsa_user_sgpr_dispatch_ptr 0
		.amdhsa_user_sgpr_queue_ptr 0
		.amdhsa_user_sgpr_kernarg_segment_ptr 1
		.amdhsa_user_sgpr_dispatch_id 0
		.amdhsa_user_sgpr_flat_scratch_init 0
		.amdhsa_user_sgpr_private_segment_size 0
		.amdhsa_uses_dynamic_stack 0
		.amdhsa_system_sgpr_private_segment_wavefront_offset 0
		.amdhsa_system_sgpr_workgroup_id_x 1
		.amdhsa_system_sgpr_workgroup_id_y 0
		.amdhsa_system_sgpr_workgroup_id_z 0
		.amdhsa_system_sgpr_workgroup_info 0
		.amdhsa_system_vgpr_workitem_id 0
		.amdhsa_next_free_vgpr 1
		.amdhsa_next_free_sgpr 0
		.amdhsa_reserve_vcc 0
		.amdhsa_reserve_flat_scratch 0
		.amdhsa_float_round_mode_32 0
		.amdhsa_float_round_mode_16_64 0
		.amdhsa_float_denorm_mode_32 3
		.amdhsa_float_denorm_mode_16_64 3
		.amdhsa_dx10_clamp 1
		.amdhsa_ieee_mode 1
		.amdhsa_fp16_overflow 0
		.amdhsa_exception_fp_ieee_invalid_op 0
		.amdhsa_exception_fp_denorm_src 0
		.amdhsa_exception_fp_ieee_div_zero 0
		.amdhsa_exception_fp_ieee_overflow 0
		.amdhsa_exception_fp_ieee_underflow 0
		.amdhsa_exception_fp_ieee_inexact 0
		.amdhsa_exception_int_div_zero 0
	.end_amdhsa_kernel
	.section	.text._ZN7rocprim17ROCPRIM_400000_NS6detail17trampoline_kernelINS0_14default_configENS1_38merge_sort_block_merge_config_selectorIhlEEZZNS1_27merge_sort_block_merge_implIS3_PhN6thrust23THRUST_200600_302600_NS10device_ptrIlEEjNS1_19radix_merge_compareILb0ELb0EhNS0_19identity_decomposerEEEEE10hipError_tT0_T1_T2_jT3_P12ihipStream_tbPNSt15iterator_traitsISG_E10value_typeEPNSM_ISH_E10value_typeEPSI_NS1_7vsmem_tEENKUlT_SG_SH_SI_E_clIS7_S7_SB_PlEESF_SV_SG_SH_SI_EUlSV_E_NS1_11comp_targetILNS1_3genE3ELNS1_11target_archE908ELNS1_3gpuE7ELNS1_3repE0EEENS1_48merge_mergepath_partition_config_static_selectorELNS0_4arch9wavefront6targetE1EEEvSH_,"axG",@progbits,_ZN7rocprim17ROCPRIM_400000_NS6detail17trampoline_kernelINS0_14default_configENS1_38merge_sort_block_merge_config_selectorIhlEEZZNS1_27merge_sort_block_merge_implIS3_PhN6thrust23THRUST_200600_302600_NS10device_ptrIlEEjNS1_19radix_merge_compareILb0ELb0EhNS0_19identity_decomposerEEEEE10hipError_tT0_T1_T2_jT3_P12ihipStream_tbPNSt15iterator_traitsISG_E10value_typeEPNSM_ISH_E10value_typeEPSI_NS1_7vsmem_tEENKUlT_SG_SH_SI_E_clIS7_S7_SB_PlEESF_SV_SG_SH_SI_EUlSV_E_NS1_11comp_targetILNS1_3genE3ELNS1_11target_archE908ELNS1_3gpuE7ELNS1_3repE0EEENS1_48merge_mergepath_partition_config_static_selectorELNS0_4arch9wavefront6targetE1EEEvSH_,comdat
.Lfunc_end152:
	.size	_ZN7rocprim17ROCPRIM_400000_NS6detail17trampoline_kernelINS0_14default_configENS1_38merge_sort_block_merge_config_selectorIhlEEZZNS1_27merge_sort_block_merge_implIS3_PhN6thrust23THRUST_200600_302600_NS10device_ptrIlEEjNS1_19radix_merge_compareILb0ELb0EhNS0_19identity_decomposerEEEEE10hipError_tT0_T1_T2_jT3_P12ihipStream_tbPNSt15iterator_traitsISG_E10value_typeEPNSM_ISH_E10value_typeEPSI_NS1_7vsmem_tEENKUlT_SG_SH_SI_E_clIS7_S7_SB_PlEESF_SV_SG_SH_SI_EUlSV_E_NS1_11comp_targetILNS1_3genE3ELNS1_11target_archE908ELNS1_3gpuE7ELNS1_3repE0EEENS1_48merge_mergepath_partition_config_static_selectorELNS0_4arch9wavefront6targetE1EEEvSH_, .Lfunc_end152-_ZN7rocprim17ROCPRIM_400000_NS6detail17trampoline_kernelINS0_14default_configENS1_38merge_sort_block_merge_config_selectorIhlEEZZNS1_27merge_sort_block_merge_implIS3_PhN6thrust23THRUST_200600_302600_NS10device_ptrIlEEjNS1_19radix_merge_compareILb0ELb0EhNS0_19identity_decomposerEEEEE10hipError_tT0_T1_T2_jT3_P12ihipStream_tbPNSt15iterator_traitsISG_E10value_typeEPNSM_ISH_E10value_typeEPSI_NS1_7vsmem_tEENKUlT_SG_SH_SI_E_clIS7_S7_SB_PlEESF_SV_SG_SH_SI_EUlSV_E_NS1_11comp_targetILNS1_3genE3ELNS1_11target_archE908ELNS1_3gpuE7ELNS1_3repE0EEENS1_48merge_mergepath_partition_config_static_selectorELNS0_4arch9wavefront6targetE1EEEvSH_
                                        ; -- End function
	.set _ZN7rocprim17ROCPRIM_400000_NS6detail17trampoline_kernelINS0_14default_configENS1_38merge_sort_block_merge_config_selectorIhlEEZZNS1_27merge_sort_block_merge_implIS3_PhN6thrust23THRUST_200600_302600_NS10device_ptrIlEEjNS1_19radix_merge_compareILb0ELb0EhNS0_19identity_decomposerEEEEE10hipError_tT0_T1_T2_jT3_P12ihipStream_tbPNSt15iterator_traitsISG_E10value_typeEPNSM_ISH_E10value_typeEPSI_NS1_7vsmem_tEENKUlT_SG_SH_SI_E_clIS7_S7_SB_PlEESF_SV_SG_SH_SI_EUlSV_E_NS1_11comp_targetILNS1_3genE3ELNS1_11target_archE908ELNS1_3gpuE7ELNS1_3repE0EEENS1_48merge_mergepath_partition_config_static_selectorELNS0_4arch9wavefront6targetE1EEEvSH_.num_vgpr, 0
	.set _ZN7rocprim17ROCPRIM_400000_NS6detail17trampoline_kernelINS0_14default_configENS1_38merge_sort_block_merge_config_selectorIhlEEZZNS1_27merge_sort_block_merge_implIS3_PhN6thrust23THRUST_200600_302600_NS10device_ptrIlEEjNS1_19radix_merge_compareILb0ELb0EhNS0_19identity_decomposerEEEEE10hipError_tT0_T1_T2_jT3_P12ihipStream_tbPNSt15iterator_traitsISG_E10value_typeEPNSM_ISH_E10value_typeEPSI_NS1_7vsmem_tEENKUlT_SG_SH_SI_E_clIS7_S7_SB_PlEESF_SV_SG_SH_SI_EUlSV_E_NS1_11comp_targetILNS1_3genE3ELNS1_11target_archE908ELNS1_3gpuE7ELNS1_3repE0EEENS1_48merge_mergepath_partition_config_static_selectorELNS0_4arch9wavefront6targetE1EEEvSH_.num_agpr, 0
	.set _ZN7rocprim17ROCPRIM_400000_NS6detail17trampoline_kernelINS0_14default_configENS1_38merge_sort_block_merge_config_selectorIhlEEZZNS1_27merge_sort_block_merge_implIS3_PhN6thrust23THRUST_200600_302600_NS10device_ptrIlEEjNS1_19radix_merge_compareILb0ELb0EhNS0_19identity_decomposerEEEEE10hipError_tT0_T1_T2_jT3_P12ihipStream_tbPNSt15iterator_traitsISG_E10value_typeEPNSM_ISH_E10value_typeEPSI_NS1_7vsmem_tEENKUlT_SG_SH_SI_E_clIS7_S7_SB_PlEESF_SV_SG_SH_SI_EUlSV_E_NS1_11comp_targetILNS1_3genE3ELNS1_11target_archE908ELNS1_3gpuE7ELNS1_3repE0EEENS1_48merge_mergepath_partition_config_static_selectorELNS0_4arch9wavefront6targetE1EEEvSH_.numbered_sgpr, 0
	.set _ZN7rocprim17ROCPRIM_400000_NS6detail17trampoline_kernelINS0_14default_configENS1_38merge_sort_block_merge_config_selectorIhlEEZZNS1_27merge_sort_block_merge_implIS3_PhN6thrust23THRUST_200600_302600_NS10device_ptrIlEEjNS1_19radix_merge_compareILb0ELb0EhNS0_19identity_decomposerEEEEE10hipError_tT0_T1_T2_jT3_P12ihipStream_tbPNSt15iterator_traitsISG_E10value_typeEPNSM_ISH_E10value_typeEPSI_NS1_7vsmem_tEENKUlT_SG_SH_SI_E_clIS7_S7_SB_PlEESF_SV_SG_SH_SI_EUlSV_E_NS1_11comp_targetILNS1_3genE3ELNS1_11target_archE908ELNS1_3gpuE7ELNS1_3repE0EEENS1_48merge_mergepath_partition_config_static_selectorELNS0_4arch9wavefront6targetE1EEEvSH_.num_named_barrier, 0
	.set _ZN7rocprim17ROCPRIM_400000_NS6detail17trampoline_kernelINS0_14default_configENS1_38merge_sort_block_merge_config_selectorIhlEEZZNS1_27merge_sort_block_merge_implIS3_PhN6thrust23THRUST_200600_302600_NS10device_ptrIlEEjNS1_19radix_merge_compareILb0ELb0EhNS0_19identity_decomposerEEEEE10hipError_tT0_T1_T2_jT3_P12ihipStream_tbPNSt15iterator_traitsISG_E10value_typeEPNSM_ISH_E10value_typeEPSI_NS1_7vsmem_tEENKUlT_SG_SH_SI_E_clIS7_S7_SB_PlEESF_SV_SG_SH_SI_EUlSV_E_NS1_11comp_targetILNS1_3genE3ELNS1_11target_archE908ELNS1_3gpuE7ELNS1_3repE0EEENS1_48merge_mergepath_partition_config_static_selectorELNS0_4arch9wavefront6targetE1EEEvSH_.private_seg_size, 0
	.set _ZN7rocprim17ROCPRIM_400000_NS6detail17trampoline_kernelINS0_14default_configENS1_38merge_sort_block_merge_config_selectorIhlEEZZNS1_27merge_sort_block_merge_implIS3_PhN6thrust23THRUST_200600_302600_NS10device_ptrIlEEjNS1_19radix_merge_compareILb0ELb0EhNS0_19identity_decomposerEEEEE10hipError_tT0_T1_T2_jT3_P12ihipStream_tbPNSt15iterator_traitsISG_E10value_typeEPNSM_ISH_E10value_typeEPSI_NS1_7vsmem_tEENKUlT_SG_SH_SI_E_clIS7_S7_SB_PlEESF_SV_SG_SH_SI_EUlSV_E_NS1_11comp_targetILNS1_3genE3ELNS1_11target_archE908ELNS1_3gpuE7ELNS1_3repE0EEENS1_48merge_mergepath_partition_config_static_selectorELNS0_4arch9wavefront6targetE1EEEvSH_.uses_vcc, 0
	.set _ZN7rocprim17ROCPRIM_400000_NS6detail17trampoline_kernelINS0_14default_configENS1_38merge_sort_block_merge_config_selectorIhlEEZZNS1_27merge_sort_block_merge_implIS3_PhN6thrust23THRUST_200600_302600_NS10device_ptrIlEEjNS1_19radix_merge_compareILb0ELb0EhNS0_19identity_decomposerEEEEE10hipError_tT0_T1_T2_jT3_P12ihipStream_tbPNSt15iterator_traitsISG_E10value_typeEPNSM_ISH_E10value_typeEPSI_NS1_7vsmem_tEENKUlT_SG_SH_SI_E_clIS7_S7_SB_PlEESF_SV_SG_SH_SI_EUlSV_E_NS1_11comp_targetILNS1_3genE3ELNS1_11target_archE908ELNS1_3gpuE7ELNS1_3repE0EEENS1_48merge_mergepath_partition_config_static_selectorELNS0_4arch9wavefront6targetE1EEEvSH_.uses_flat_scratch, 0
	.set _ZN7rocprim17ROCPRIM_400000_NS6detail17trampoline_kernelINS0_14default_configENS1_38merge_sort_block_merge_config_selectorIhlEEZZNS1_27merge_sort_block_merge_implIS3_PhN6thrust23THRUST_200600_302600_NS10device_ptrIlEEjNS1_19radix_merge_compareILb0ELb0EhNS0_19identity_decomposerEEEEE10hipError_tT0_T1_T2_jT3_P12ihipStream_tbPNSt15iterator_traitsISG_E10value_typeEPNSM_ISH_E10value_typeEPSI_NS1_7vsmem_tEENKUlT_SG_SH_SI_E_clIS7_S7_SB_PlEESF_SV_SG_SH_SI_EUlSV_E_NS1_11comp_targetILNS1_3genE3ELNS1_11target_archE908ELNS1_3gpuE7ELNS1_3repE0EEENS1_48merge_mergepath_partition_config_static_selectorELNS0_4arch9wavefront6targetE1EEEvSH_.has_dyn_sized_stack, 0
	.set _ZN7rocprim17ROCPRIM_400000_NS6detail17trampoline_kernelINS0_14default_configENS1_38merge_sort_block_merge_config_selectorIhlEEZZNS1_27merge_sort_block_merge_implIS3_PhN6thrust23THRUST_200600_302600_NS10device_ptrIlEEjNS1_19radix_merge_compareILb0ELb0EhNS0_19identity_decomposerEEEEE10hipError_tT0_T1_T2_jT3_P12ihipStream_tbPNSt15iterator_traitsISG_E10value_typeEPNSM_ISH_E10value_typeEPSI_NS1_7vsmem_tEENKUlT_SG_SH_SI_E_clIS7_S7_SB_PlEESF_SV_SG_SH_SI_EUlSV_E_NS1_11comp_targetILNS1_3genE3ELNS1_11target_archE908ELNS1_3gpuE7ELNS1_3repE0EEENS1_48merge_mergepath_partition_config_static_selectorELNS0_4arch9wavefront6targetE1EEEvSH_.has_recursion, 0
	.set _ZN7rocprim17ROCPRIM_400000_NS6detail17trampoline_kernelINS0_14default_configENS1_38merge_sort_block_merge_config_selectorIhlEEZZNS1_27merge_sort_block_merge_implIS3_PhN6thrust23THRUST_200600_302600_NS10device_ptrIlEEjNS1_19radix_merge_compareILb0ELb0EhNS0_19identity_decomposerEEEEE10hipError_tT0_T1_T2_jT3_P12ihipStream_tbPNSt15iterator_traitsISG_E10value_typeEPNSM_ISH_E10value_typeEPSI_NS1_7vsmem_tEENKUlT_SG_SH_SI_E_clIS7_S7_SB_PlEESF_SV_SG_SH_SI_EUlSV_E_NS1_11comp_targetILNS1_3genE3ELNS1_11target_archE908ELNS1_3gpuE7ELNS1_3repE0EEENS1_48merge_mergepath_partition_config_static_selectorELNS0_4arch9wavefront6targetE1EEEvSH_.has_indirect_call, 0
	.section	.AMDGPU.csdata,"",@progbits
; Kernel info:
; codeLenInByte = 0
; TotalNumSgprs: 4
; NumVgprs: 0
; ScratchSize: 0
; MemoryBound: 0
; FloatMode: 240
; IeeeMode: 1
; LDSByteSize: 0 bytes/workgroup (compile time only)
; SGPRBlocks: 0
; VGPRBlocks: 0
; NumSGPRsForWavesPerEU: 4
; NumVGPRsForWavesPerEU: 1
; Occupancy: 10
; WaveLimiterHint : 0
; COMPUTE_PGM_RSRC2:SCRATCH_EN: 0
; COMPUTE_PGM_RSRC2:USER_SGPR: 6
; COMPUTE_PGM_RSRC2:TRAP_HANDLER: 0
; COMPUTE_PGM_RSRC2:TGID_X_EN: 1
; COMPUTE_PGM_RSRC2:TGID_Y_EN: 0
; COMPUTE_PGM_RSRC2:TGID_Z_EN: 0
; COMPUTE_PGM_RSRC2:TIDIG_COMP_CNT: 0
	.section	.text._ZN7rocprim17ROCPRIM_400000_NS6detail17trampoline_kernelINS0_14default_configENS1_38merge_sort_block_merge_config_selectorIhlEEZZNS1_27merge_sort_block_merge_implIS3_PhN6thrust23THRUST_200600_302600_NS10device_ptrIlEEjNS1_19radix_merge_compareILb0ELb0EhNS0_19identity_decomposerEEEEE10hipError_tT0_T1_T2_jT3_P12ihipStream_tbPNSt15iterator_traitsISG_E10value_typeEPNSM_ISH_E10value_typeEPSI_NS1_7vsmem_tEENKUlT_SG_SH_SI_E_clIS7_S7_SB_PlEESF_SV_SG_SH_SI_EUlSV_E_NS1_11comp_targetILNS1_3genE2ELNS1_11target_archE906ELNS1_3gpuE6ELNS1_3repE0EEENS1_48merge_mergepath_partition_config_static_selectorELNS0_4arch9wavefront6targetE1EEEvSH_,"axG",@progbits,_ZN7rocprim17ROCPRIM_400000_NS6detail17trampoline_kernelINS0_14default_configENS1_38merge_sort_block_merge_config_selectorIhlEEZZNS1_27merge_sort_block_merge_implIS3_PhN6thrust23THRUST_200600_302600_NS10device_ptrIlEEjNS1_19radix_merge_compareILb0ELb0EhNS0_19identity_decomposerEEEEE10hipError_tT0_T1_T2_jT3_P12ihipStream_tbPNSt15iterator_traitsISG_E10value_typeEPNSM_ISH_E10value_typeEPSI_NS1_7vsmem_tEENKUlT_SG_SH_SI_E_clIS7_S7_SB_PlEESF_SV_SG_SH_SI_EUlSV_E_NS1_11comp_targetILNS1_3genE2ELNS1_11target_archE906ELNS1_3gpuE6ELNS1_3repE0EEENS1_48merge_mergepath_partition_config_static_selectorELNS0_4arch9wavefront6targetE1EEEvSH_,comdat
	.protected	_ZN7rocprim17ROCPRIM_400000_NS6detail17trampoline_kernelINS0_14default_configENS1_38merge_sort_block_merge_config_selectorIhlEEZZNS1_27merge_sort_block_merge_implIS3_PhN6thrust23THRUST_200600_302600_NS10device_ptrIlEEjNS1_19radix_merge_compareILb0ELb0EhNS0_19identity_decomposerEEEEE10hipError_tT0_T1_T2_jT3_P12ihipStream_tbPNSt15iterator_traitsISG_E10value_typeEPNSM_ISH_E10value_typeEPSI_NS1_7vsmem_tEENKUlT_SG_SH_SI_E_clIS7_S7_SB_PlEESF_SV_SG_SH_SI_EUlSV_E_NS1_11comp_targetILNS1_3genE2ELNS1_11target_archE906ELNS1_3gpuE6ELNS1_3repE0EEENS1_48merge_mergepath_partition_config_static_selectorELNS0_4arch9wavefront6targetE1EEEvSH_ ; -- Begin function _ZN7rocprim17ROCPRIM_400000_NS6detail17trampoline_kernelINS0_14default_configENS1_38merge_sort_block_merge_config_selectorIhlEEZZNS1_27merge_sort_block_merge_implIS3_PhN6thrust23THRUST_200600_302600_NS10device_ptrIlEEjNS1_19radix_merge_compareILb0ELb0EhNS0_19identity_decomposerEEEEE10hipError_tT0_T1_T2_jT3_P12ihipStream_tbPNSt15iterator_traitsISG_E10value_typeEPNSM_ISH_E10value_typeEPSI_NS1_7vsmem_tEENKUlT_SG_SH_SI_E_clIS7_S7_SB_PlEESF_SV_SG_SH_SI_EUlSV_E_NS1_11comp_targetILNS1_3genE2ELNS1_11target_archE906ELNS1_3gpuE6ELNS1_3repE0EEENS1_48merge_mergepath_partition_config_static_selectorELNS0_4arch9wavefront6targetE1EEEvSH_
	.globl	_ZN7rocprim17ROCPRIM_400000_NS6detail17trampoline_kernelINS0_14default_configENS1_38merge_sort_block_merge_config_selectorIhlEEZZNS1_27merge_sort_block_merge_implIS3_PhN6thrust23THRUST_200600_302600_NS10device_ptrIlEEjNS1_19radix_merge_compareILb0ELb0EhNS0_19identity_decomposerEEEEE10hipError_tT0_T1_T2_jT3_P12ihipStream_tbPNSt15iterator_traitsISG_E10value_typeEPNSM_ISH_E10value_typeEPSI_NS1_7vsmem_tEENKUlT_SG_SH_SI_E_clIS7_S7_SB_PlEESF_SV_SG_SH_SI_EUlSV_E_NS1_11comp_targetILNS1_3genE2ELNS1_11target_archE906ELNS1_3gpuE6ELNS1_3repE0EEENS1_48merge_mergepath_partition_config_static_selectorELNS0_4arch9wavefront6targetE1EEEvSH_
	.p2align	8
	.type	_ZN7rocprim17ROCPRIM_400000_NS6detail17trampoline_kernelINS0_14default_configENS1_38merge_sort_block_merge_config_selectorIhlEEZZNS1_27merge_sort_block_merge_implIS3_PhN6thrust23THRUST_200600_302600_NS10device_ptrIlEEjNS1_19radix_merge_compareILb0ELb0EhNS0_19identity_decomposerEEEEE10hipError_tT0_T1_T2_jT3_P12ihipStream_tbPNSt15iterator_traitsISG_E10value_typeEPNSM_ISH_E10value_typeEPSI_NS1_7vsmem_tEENKUlT_SG_SH_SI_E_clIS7_S7_SB_PlEESF_SV_SG_SH_SI_EUlSV_E_NS1_11comp_targetILNS1_3genE2ELNS1_11target_archE906ELNS1_3gpuE6ELNS1_3repE0EEENS1_48merge_mergepath_partition_config_static_selectorELNS0_4arch9wavefront6targetE1EEEvSH_,@function
_ZN7rocprim17ROCPRIM_400000_NS6detail17trampoline_kernelINS0_14default_configENS1_38merge_sort_block_merge_config_selectorIhlEEZZNS1_27merge_sort_block_merge_implIS3_PhN6thrust23THRUST_200600_302600_NS10device_ptrIlEEjNS1_19radix_merge_compareILb0ELb0EhNS0_19identity_decomposerEEEEE10hipError_tT0_T1_T2_jT3_P12ihipStream_tbPNSt15iterator_traitsISG_E10value_typeEPNSM_ISH_E10value_typeEPSI_NS1_7vsmem_tEENKUlT_SG_SH_SI_E_clIS7_S7_SB_PlEESF_SV_SG_SH_SI_EUlSV_E_NS1_11comp_targetILNS1_3genE2ELNS1_11target_archE906ELNS1_3gpuE6ELNS1_3repE0EEENS1_48merge_mergepath_partition_config_static_selectorELNS0_4arch9wavefront6targetE1EEEvSH_: ; @_ZN7rocprim17ROCPRIM_400000_NS6detail17trampoline_kernelINS0_14default_configENS1_38merge_sort_block_merge_config_selectorIhlEEZZNS1_27merge_sort_block_merge_implIS3_PhN6thrust23THRUST_200600_302600_NS10device_ptrIlEEjNS1_19radix_merge_compareILb0ELb0EhNS0_19identity_decomposerEEEEE10hipError_tT0_T1_T2_jT3_P12ihipStream_tbPNSt15iterator_traitsISG_E10value_typeEPNSM_ISH_E10value_typeEPSI_NS1_7vsmem_tEENKUlT_SG_SH_SI_E_clIS7_S7_SB_PlEESF_SV_SG_SH_SI_EUlSV_E_NS1_11comp_targetILNS1_3genE2ELNS1_11target_archE906ELNS1_3gpuE6ELNS1_3repE0EEENS1_48merge_mergepath_partition_config_static_selectorELNS0_4arch9wavefront6targetE1EEEvSH_
; %bb.0:
	s_load_dword s0, s[4:5], 0x0
	v_lshl_or_b32 v0, s6, 7, v0
	s_waitcnt lgkmcnt(0)
	v_cmp_gt_u32_e32 vcc, s0, v0
	s_and_saveexec_b64 s[0:1], vcc
	s_cbranch_execz .LBB153_6
; %bb.1:
	s_load_dwordx2 s[2:3], s[4:5], 0x4
	s_load_dwordx2 s[0:1], s[4:5], 0x20
	s_waitcnt lgkmcnt(0)
	s_lshr_b32 s6, s2, 9
	s_and_b32 s6, s6, 0x7ffffe
	s_add_i32 s7, s6, -1
	s_sub_i32 s6, 0, s6
	v_and_b32_e32 v1, s6, v0
	v_lshlrev_b32_e32 v3, 10, v1
	v_min_u32_e32 v1, s3, v3
	v_add_u32_e32 v3, s2, v3
	v_min_u32_e32 v7, s3, v3
	v_add_u32_e32 v3, s2, v7
	v_and_b32_e32 v2, s7, v0
	v_min_u32_e32 v4, s3, v3
	v_sub_u32_e32 v3, v4, v1
	v_lshlrev_b32_e32 v2, 10, v2
	v_min_u32_e32 v3, v3, v2
	v_sub_u32_e32 v5, v7, v1
	v_sub_u32_e32 v2, v4, v7
	v_sub_u32_e64 v2, v3, v2 clamp
	v_min_u32_e32 v4, v3, v5
	v_cmp_lt_u32_e32 vcc, v2, v4
	s_and_saveexec_b64 s[2:3], vcc
	s_cbranch_execz .LBB153_5
; %bb.2:
	s_load_dwordx2 s[4:5], s[4:5], 0x10
	s_waitcnt lgkmcnt(0)
	v_mov_b32_e32 v8, s5
	v_add_co_u32_e32 v5, vcc, s4, v1
	v_addc_co_u32_e32 v6, vcc, 0, v8, vcc
	v_add_co_u32_e32 v7, vcc, s4, v7
	v_addc_co_u32_e32 v8, vcc, 0, v8, vcc
	s_mov_b64 s[4:5], 0
.LBB153_3:                              ; =>This Inner Loop Header: Depth=1
	v_add_u32_e32 v9, v4, v2
	v_lshrrev_b32_e32 v13, 1, v9
	v_add_co_u32_e32 v9, vcc, v5, v13
	v_xad_u32 v11, v13, -1, v3
	v_addc_co_u32_e32 v10, vcc, 0, v6, vcc
	v_add_co_u32_e32 v11, vcc, v7, v11
	v_addc_co_u32_e32 v12, vcc, 0, v8, vcc
	global_load_ubyte v14, v[9:10], off
	global_load_ubyte v15, v[11:12], off
	v_add_u32_e32 v9, 1, v13
	s_waitcnt vmcnt(0)
	v_cmp_gt_u16_e32 vcc, v14, v15
	v_cndmask_b32_e32 v4, v4, v13, vcc
	v_cndmask_b32_e32 v2, v9, v2, vcc
	v_cmp_ge_u32_e32 vcc, v2, v4
	s_or_b64 s[4:5], vcc, s[4:5]
	s_andn2_b64 exec, exec, s[4:5]
	s_cbranch_execnz .LBB153_3
; %bb.4:
	s_or_b64 exec, exec, s[4:5]
.LBB153_5:
	s_or_b64 exec, exec, s[2:3]
	v_add_u32_e32 v2, v2, v1
	v_mov_b32_e32 v1, 0
	v_lshlrev_b64 v[0:1], 2, v[0:1]
	v_mov_b32_e32 v3, s1
	v_add_co_u32_e32 v0, vcc, s0, v0
	v_addc_co_u32_e32 v1, vcc, v3, v1, vcc
	global_store_dword v[0:1], v2, off
.LBB153_6:
	s_endpgm
	.section	.rodata,"a",@progbits
	.p2align	6, 0x0
	.amdhsa_kernel _ZN7rocprim17ROCPRIM_400000_NS6detail17trampoline_kernelINS0_14default_configENS1_38merge_sort_block_merge_config_selectorIhlEEZZNS1_27merge_sort_block_merge_implIS3_PhN6thrust23THRUST_200600_302600_NS10device_ptrIlEEjNS1_19radix_merge_compareILb0ELb0EhNS0_19identity_decomposerEEEEE10hipError_tT0_T1_T2_jT3_P12ihipStream_tbPNSt15iterator_traitsISG_E10value_typeEPNSM_ISH_E10value_typeEPSI_NS1_7vsmem_tEENKUlT_SG_SH_SI_E_clIS7_S7_SB_PlEESF_SV_SG_SH_SI_EUlSV_E_NS1_11comp_targetILNS1_3genE2ELNS1_11target_archE906ELNS1_3gpuE6ELNS1_3repE0EEENS1_48merge_mergepath_partition_config_static_selectorELNS0_4arch9wavefront6targetE1EEEvSH_
		.amdhsa_group_segment_fixed_size 0
		.amdhsa_private_segment_fixed_size 0
		.amdhsa_kernarg_size 40
		.amdhsa_user_sgpr_count 6
		.amdhsa_user_sgpr_private_segment_buffer 1
		.amdhsa_user_sgpr_dispatch_ptr 0
		.amdhsa_user_sgpr_queue_ptr 0
		.amdhsa_user_sgpr_kernarg_segment_ptr 1
		.amdhsa_user_sgpr_dispatch_id 0
		.amdhsa_user_sgpr_flat_scratch_init 0
		.amdhsa_user_sgpr_private_segment_size 0
		.amdhsa_uses_dynamic_stack 0
		.amdhsa_system_sgpr_private_segment_wavefront_offset 0
		.amdhsa_system_sgpr_workgroup_id_x 1
		.amdhsa_system_sgpr_workgroup_id_y 0
		.amdhsa_system_sgpr_workgroup_id_z 0
		.amdhsa_system_sgpr_workgroup_info 0
		.amdhsa_system_vgpr_workitem_id 0
		.amdhsa_next_free_vgpr 16
		.amdhsa_next_free_sgpr 8
		.amdhsa_reserve_vcc 1
		.amdhsa_reserve_flat_scratch 0
		.amdhsa_float_round_mode_32 0
		.amdhsa_float_round_mode_16_64 0
		.amdhsa_float_denorm_mode_32 3
		.amdhsa_float_denorm_mode_16_64 3
		.amdhsa_dx10_clamp 1
		.amdhsa_ieee_mode 1
		.amdhsa_fp16_overflow 0
		.amdhsa_exception_fp_ieee_invalid_op 0
		.amdhsa_exception_fp_denorm_src 0
		.amdhsa_exception_fp_ieee_div_zero 0
		.amdhsa_exception_fp_ieee_overflow 0
		.amdhsa_exception_fp_ieee_underflow 0
		.amdhsa_exception_fp_ieee_inexact 0
		.amdhsa_exception_int_div_zero 0
	.end_amdhsa_kernel
	.section	.text._ZN7rocprim17ROCPRIM_400000_NS6detail17trampoline_kernelINS0_14default_configENS1_38merge_sort_block_merge_config_selectorIhlEEZZNS1_27merge_sort_block_merge_implIS3_PhN6thrust23THRUST_200600_302600_NS10device_ptrIlEEjNS1_19radix_merge_compareILb0ELb0EhNS0_19identity_decomposerEEEEE10hipError_tT0_T1_T2_jT3_P12ihipStream_tbPNSt15iterator_traitsISG_E10value_typeEPNSM_ISH_E10value_typeEPSI_NS1_7vsmem_tEENKUlT_SG_SH_SI_E_clIS7_S7_SB_PlEESF_SV_SG_SH_SI_EUlSV_E_NS1_11comp_targetILNS1_3genE2ELNS1_11target_archE906ELNS1_3gpuE6ELNS1_3repE0EEENS1_48merge_mergepath_partition_config_static_selectorELNS0_4arch9wavefront6targetE1EEEvSH_,"axG",@progbits,_ZN7rocprim17ROCPRIM_400000_NS6detail17trampoline_kernelINS0_14default_configENS1_38merge_sort_block_merge_config_selectorIhlEEZZNS1_27merge_sort_block_merge_implIS3_PhN6thrust23THRUST_200600_302600_NS10device_ptrIlEEjNS1_19radix_merge_compareILb0ELb0EhNS0_19identity_decomposerEEEEE10hipError_tT0_T1_T2_jT3_P12ihipStream_tbPNSt15iterator_traitsISG_E10value_typeEPNSM_ISH_E10value_typeEPSI_NS1_7vsmem_tEENKUlT_SG_SH_SI_E_clIS7_S7_SB_PlEESF_SV_SG_SH_SI_EUlSV_E_NS1_11comp_targetILNS1_3genE2ELNS1_11target_archE906ELNS1_3gpuE6ELNS1_3repE0EEENS1_48merge_mergepath_partition_config_static_selectorELNS0_4arch9wavefront6targetE1EEEvSH_,comdat
.Lfunc_end153:
	.size	_ZN7rocprim17ROCPRIM_400000_NS6detail17trampoline_kernelINS0_14default_configENS1_38merge_sort_block_merge_config_selectorIhlEEZZNS1_27merge_sort_block_merge_implIS3_PhN6thrust23THRUST_200600_302600_NS10device_ptrIlEEjNS1_19radix_merge_compareILb0ELb0EhNS0_19identity_decomposerEEEEE10hipError_tT0_T1_T2_jT3_P12ihipStream_tbPNSt15iterator_traitsISG_E10value_typeEPNSM_ISH_E10value_typeEPSI_NS1_7vsmem_tEENKUlT_SG_SH_SI_E_clIS7_S7_SB_PlEESF_SV_SG_SH_SI_EUlSV_E_NS1_11comp_targetILNS1_3genE2ELNS1_11target_archE906ELNS1_3gpuE6ELNS1_3repE0EEENS1_48merge_mergepath_partition_config_static_selectorELNS0_4arch9wavefront6targetE1EEEvSH_, .Lfunc_end153-_ZN7rocprim17ROCPRIM_400000_NS6detail17trampoline_kernelINS0_14default_configENS1_38merge_sort_block_merge_config_selectorIhlEEZZNS1_27merge_sort_block_merge_implIS3_PhN6thrust23THRUST_200600_302600_NS10device_ptrIlEEjNS1_19radix_merge_compareILb0ELb0EhNS0_19identity_decomposerEEEEE10hipError_tT0_T1_T2_jT3_P12ihipStream_tbPNSt15iterator_traitsISG_E10value_typeEPNSM_ISH_E10value_typeEPSI_NS1_7vsmem_tEENKUlT_SG_SH_SI_E_clIS7_S7_SB_PlEESF_SV_SG_SH_SI_EUlSV_E_NS1_11comp_targetILNS1_3genE2ELNS1_11target_archE906ELNS1_3gpuE6ELNS1_3repE0EEENS1_48merge_mergepath_partition_config_static_selectorELNS0_4arch9wavefront6targetE1EEEvSH_
                                        ; -- End function
	.set _ZN7rocprim17ROCPRIM_400000_NS6detail17trampoline_kernelINS0_14default_configENS1_38merge_sort_block_merge_config_selectorIhlEEZZNS1_27merge_sort_block_merge_implIS3_PhN6thrust23THRUST_200600_302600_NS10device_ptrIlEEjNS1_19radix_merge_compareILb0ELb0EhNS0_19identity_decomposerEEEEE10hipError_tT0_T1_T2_jT3_P12ihipStream_tbPNSt15iterator_traitsISG_E10value_typeEPNSM_ISH_E10value_typeEPSI_NS1_7vsmem_tEENKUlT_SG_SH_SI_E_clIS7_S7_SB_PlEESF_SV_SG_SH_SI_EUlSV_E_NS1_11comp_targetILNS1_3genE2ELNS1_11target_archE906ELNS1_3gpuE6ELNS1_3repE0EEENS1_48merge_mergepath_partition_config_static_selectorELNS0_4arch9wavefront6targetE1EEEvSH_.num_vgpr, 16
	.set _ZN7rocprim17ROCPRIM_400000_NS6detail17trampoline_kernelINS0_14default_configENS1_38merge_sort_block_merge_config_selectorIhlEEZZNS1_27merge_sort_block_merge_implIS3_PhN6thrust23THRUST_200600_302600_NS10device_ptrIlEEjNS1_19radix_merge_compareILb0ELb0EhNS0_19identity_decomposerEEEEE10hipError_tT0_T1_T2_jT3_P12ihipStream_tbPNSt15iterator_traitsISG_E10value_typeEPNSM_ISH_E10value_typeEPSI_NS1_7vsmem_tEENKUlT_SG_SH_SI_E_clIS7_S7_SB_PlEESF_SV_SG_SH_SI_EUlSV_E_NS1_11comp_targetILNS1_3genE2ELNS1_11target_archE906ELNS1_3gpuE6ELNS1_3repE0EEENS1_48merge_mergepath_partition_config_static_selectorELNS0_4arch9wavefront6targetE1EEEvSH_.num_agpr, 0
	.set _ZN7rocprim17ROCPRIM_400000_NS6detail17trampoline_kernelINS0_14default_configENS1_38merge_sort_block_merge_config_selectorIhlEEZZNS1_27merge_sort_block_merge_implIS3_PhN6thrust23THRUST_200600_302600_NS10device_ptrIlEEjNS1_19radix_merge_compareILb0ELb0EhNS0_19identity_decomposerEEEEE10hipError_tT0_T1_T2_jT3_P12ihipStream_tbPNSt15iterator_traitsISG_E10value_typeEPNSM_ISH_E10value_typeEPSI_NS1_7vsmem_tEENKUlT_SG_SH_SI_E_clIS7_S7_SB_PlEESF_SV_SG_SH_SI_EUlSV_E_NS1_11comp_targetILNS1_3genE2ELNS1_11target_archE906ELNS1_3gpuE6ELNS1_3repE0EEENS1_48merge_mergepath_partition_config_static_selectorELNS0_4arch9wavefront6targetE1EEEvSH_.numbered_sgpr, 8
	.set _ZN7rocprim17ROCPRIM_400000_NS6detail17trampoline_kernelINS0_14default_configENS1_38merge_sort_block_merge_config_selectorIhlEEZZNS1_27merge_sort_block_merge_implIS3_PhN6thrust23THRUST_200600_302600_NS10device_ptrIlEEjNS1_19radix_merge_compareILb0ELb0EhNS0_19identity_decomposerEEEEE10hipError_tT0_T1_T2_jT3_P12ihipStream_tbPNSt15iterator_traitsISG_E10value_typeEPNSM_ISH_E10value_typeEPSI_NS1_7vsmem_tEENKUlT_SG_SH_SI_E_clIS7_S7_SB_PlEESF_SV_SG_SH_SI_EUlSV_E_NS1_11comp_targetILNS1_3genE2ELNS1_11target_archE906ELNS1_3gpuE6ELNS1_3repE0EEENS1_48merge_mergepath_partition_config_static_selectorELNS0_4arch9wavefront6targetE1EEEvSH_.num_named_barrier, 0
	.set _ZN7rocprim17ROCPRIM_400000_NS6detail17trampoline_kernelINS0_14default_configENS1_38merge_sort_block_merge_config_selectorIhlEEZZNS1_27merge_sort_block_merge_implIS3_PhN6thrust23THRUST_200600_302600_NS10device_ptrIlEEjNS1_19radix_merge_compareILb0ELb0EhNS0_19identity_decomposerEEEEE10hipError_tT0_T1_T2_jT3_P12ihipStream_tbPNSt15iterator_traitsISG_E10value_typeEPNSM_ISH_E10value_typeEPSI_NS1_7vsmem_tEENKUlT_SG_SH_SI_E_clIS7_S7_SB_PlEESF_SV_SG_SH_SI_EUlSV_E_NS1_11comp_targetILNS1_3genE2ELNS1_11target_archE906ELNS1_3gpuE6ELNS1_3repE0EEENS1_48merge_mergepath_partition_config_static_selectorELNS0_4arch9wavefront6targetE1EEEvSH_.private_seg_size, 0
	.set _ZN7rocprim17ROCPRIM_400000_NS6detail17trampoline_kernelINS0_14default_configENS1_38merge_sort_block_merge_config_selectorIhlEEZZNS1_27merge_sort_block_merge_implIS3_PhN6thrust23THRUST_200600_302600_NS10device_ptrIlEEjNS1_19radix_merge_compareILb0ELb0EhNS0_19identity_decomposerEEEEE10hipError_tT0_T1_T2_jT3_P12ihipStream_tbPNSt15iterator_traitsISG_E10value_typeEPNSM_ISH_E10value_typeEPSI_NS1_7vsmem_tEENKUlT_SG_SH_SI_E_clIS7_S7_SB_PlEESF_SV_SG_SH_SI_EUlSV_E_NS1_11comp_targetILNS1_3genE2ELNS1_11target_archE906ELNS1_3gpuE6ELNS1_3repE0EEENS1_48merge_mergepath_partition_config_static_selectorELNS0_4arch9wavefront6targetE1EEEvSH_.uses_vcc, 1
	.set _ZN7rocprim17ROCPRIM_400000_NS6detail17trampoline_kernelINS0_14default_configENS1_38merge_sort_block_merge_config_selectorIhlEEZZNS1_27merge_sort_block_merge_implIS3_PhN6thrust23THRUST_200600_302600_NS10device_ptrIlEEjNS1_19radix_merge_compareILb0ELb0EhNS0_19identity_decomposerEEEEE10hipError_tT0_T1_T2_jT3_P12ihipStream_tbPNSt15iterator_traitsISG_E10value_typeEPNSM_ISH_E10value_typeEPSI_NS1_7vsmem_tEENKUlT_SG_SH_SI_E_clIS7_S7_SB_PlEESF_SV_SG_SH_SI_EUlSV_E_NS1_11comp_targetILNS1_3genE2ELNS1_11target_archE906ELNS1_3gpuE6ELNS1_3repE0EEENS1_48merge_mergepath_partition_config_static_selectorELNS0_4arch9wavefront6targetE1EEEvSH_.uses_flat_scratch, 0
	.set _ZN7rocprim17ROCPRIM_400000_NS6detail17trampoline_kernelINS0_14default_configENS1_38merge_sort_block_merge_config_selectorIhlEEZZNS1_27merge_sort_block_merge_implIS3_PhN6thrust23THRUST_200600_302600_NS10device_ptrIlEEjNS1_19radix_merge_compareILb0ELb0EhNS0_19identity_decomposerEEEEE10hipError_tT0_T1_T2_jT3_P12ihipStream_tbPNSt15iterator_traitsISG_E10value_typeEPNSM_ISH_E10value_typeEPSI_NS1_7vsmem_tEENKUlT_SG_SH_SI_E_clIS7_S7_SB_PlEESF_SV_SG_SH_SI_EUlSV_E_NS1_11comp_targetILNS1_3genE2ELNS1_11target_archE906ELNS1_3gpuE6ELNS1_3repE0EEENS1_48merge_mergepath_partition_config_static_selectorELNS0_4arch9wavefront6targetE1EEEvSH_.has_dyn_sized_stack, 0
	.set _ZN7rocprim17ROCPRIM_400000_NS6detail17trampoline_kernelINS0_14default_configENS1_38merge_sort_block_merge_config_selectorIhlEEZZNS1_27merge_sort_block_merge_implIS3_PhN6thrust23THRUST_200600_302600_NS10device_ptrIlEEjNS1_19radix_merge_compareILb0ELb0EhNS0_19identity_decomposerEEEEE10hipError_tT0_T1_T2_jT3_P12ihipStream_tbPNSt15iterator_traitsISG_E10value_typeEPNSM_ISH_E10value_typeEPSI_NS1_7vsmem_tEENKUlT_SG_SH_SI_E_clIS7_S7_SB_PlEESF_SV_SG_SH_SI_EUlSV_E_NS1_11comp_targetILNS1_3genE2ELNS1_11target_archE906ELNS1_3gpuE6ELNS1_3repE0EEENS1_48merge_mergepath_partition_config_static_selectorELNS0_4arch9wavefront6targetE1EEEvSH_.has_recursion, 0
	.set _ZN7rocprim17ROCPRIM_400000_NS6detail17trampoline_kernelINS0_14default_configENS1_38merge_sort_block_merge_config_selectorIhlEEZZNS1_27merge_sort_block_merge_implIS3_PhN6thrust23THRUST_200600_302600_NS10device_ptrIlEEjNS1_19radix_merge_compareILb0ELb0EhNS0_19identity_decomposerEEEEE10hipError_tT0_T1_T2_jT3_P12ihipStream_tbPNSt15iterator_traitsISG_E10value_typeEPNSM_ISH_E10value_typeEPSI_NS1_7vsmem_tEENKUlT_SG_SH_SI_E_clIS7_S7_SB_PlEESF_SV_SG_SH_SI_EUlSV_E_NS1_11comp_targetILNS1_3genE2ELNS1_11target_archE906ELNS1_3gpuE6ELNS1_3repE0EEENS1_48merge_mergepath_partition_config_static_selectorELNS0_4arch9wavefront6targetE1EEEvSH_.has_indirect_call, 0
	.section	.AMDGPU.csdata,"",@progbits
; Kernel info:
; codeLenInByte = 316
; TotalNumSgprs: 12
; NumVgprs: 16
; ScratchSize: 0
; MemoryBound: 0
; FloatMode: 240
; IeeeMode: 1
; LDSByteSize: 0 bytes/workgroup (compile time only)
; SGPRBlocks: 1
; VGPRBlocks: 3
; NumSGPRsForWavesPerEU: 12
; NumVGPRsForWavesPerEU: 16
; Occupancy: 10
; WaveLimiterHint : 0
; COMPUTE_PGM_RSRC2:SCRATCH_EN: 0
; COMPUTE_PGM_RSRC2:USER_SGPR: 6
; COMPUTE_PGM_RSRC2:TRAP_HANDLER: 0
; COMPUTE_PGM_RSRC2:TGID_X_EN: 1
; COMPUTE_PGM_RSRC2:TGID_Y_EN: 0
; COMPUTE_PGM_RSRC2:TGID_Z_EN: 0
; COMPUTE_PGM_RSRC2:TIDIG_COMP_CNT: 0
	.section	.text._ZN7rocprim17ROCPRIM_400000_NS6detail17trampoline_kernelINS0_14default_configENS1_38merge_sort_block_merge_config_selectorIhlEEZZNS1_27merge_sort_block_merge_implIS3_PhN6thrust23THRUST_200600_302600_NS10device_ptrIlEEjNS1_19radix_merge_compareILb0ELb0EhNS0_19identity_decomposerEEEEE10hipError_tT0_T1_T2_jT3_P12ihipStream_tbPNSt15iterator_traitsISG_E10value_typeEPNSM_ISH_E10value_typeEPSI_NS1_7vsmem_tEENKUlT_SG_SH_SI_E_clIS7_S7_SB_PlEESF_SV_SG_SH_SI_EUlSV_E_NS1_11comp_targetILNS1_3genE9ELNS1_11target_archE1100ELNS1_3gpuE3ELNS1_3repE0EEENS1_48merge_mergepath_partition_config_static_selectorELNS0_4arch9wavefront6targetE1EEEvSH_,"axG",@progbits,_ZN7rocprim17ROCPRIM_400000_NS6detail17trampoline_kernelINS0_14default_configENS1_38merge_sort_block_merge_config_selectorIhlEEZZNS1_27merge_sort_block_merge_implIS3_PhN6thrust23THRUST_200600_302600_NS10device_ptrIlEEjNS1_19radix_merge_compareILb0ELb0EhNS0_19identity_decomposerEEEEE10hipError_tT0_T1_T2_jT3_P12ihipStream_tbPNSt15iterator_traitsISG_E10value_typeEPNSM_ISH_E10value_typeEPSI_NS1_7vsmem_tEENKUlT_SG_SH_SI_E_clIS7_S7_SB_PlEESF_SV_SG_SH_SI_EUlSV_E_NS1_11comp_targetILNS1_3genE9ELNS1_11target_archE1100ELNS1_3gpuE3ELNS1_3repE0EEENS1_48merge_mergepath_partition_config_static_selectorELNS0_4arch9wavefront6targetE1EEEvSH_,comdat
	.protected	_ZN7rocprim17ROCPRIM_400000_NS6detail17trampoline_kernelINS0_14default_configENS1_38merge_sort_block_merge_config_selectorIhlEEZZNS1_27merge_sort_block_merge_implIS3_PhN6thrust23THRUST_200600_302600_NS10device_ptrIlEEjNS1_19radix_merge_compareILb0ELb0EhNS0_19identity_decomposerEEEEE10hipError_tT0_T1_T2_jT3_P12ihipStream_tbPNSt15iterator_traitsISG_E10value_typeEPNSM_ISH_E10value_typeEPSI_NS1_7vsmem_tEENKUlT_SG_SH_SI_E_clIS7_S7_SB_PlEESF_SV_SG_SH_SI_EUlSV_E_NS1_11comp_targetILNS1_3genE9ELNS1_11target_archE1100ELNS1_3gpuE3ELNS1_3repE0EEENS1_48merge_mergepath_partition_config_static_selectorELNS0_4arch9wavefront6targetE1EEEvSH_ ; -- Begin function _ZN7rocprim17ROCPRIM_400000_NS6detail17trampoline_kernelINS0_14default_configENS1_38merge_sort_block_merge_config_selectorIhlEEZZNS1_27merge_sort_block_merge_implIS3_PhN6thrust23THRUST_200600_302600_NS10device_ptrIlEEjNS1_19radix_merge_compareILb0ELb0EhNS0_19identity_decomposerEEEEE10hipError_tT0_T1_T2_jT3_P12ihipStream_tbPNSt15iterator_traitsISG_E10value_typeEPNSM_ISH_E10value_typeEPSI_NS1_7vsmem_tEENKUlT_SG_SH_SI_E_clIS7_S7_SB_PlEESF_SV_SG_SH_SI_EUlSV_E_NS1_11comp_targetILNS1_3genE9ELNS1_11target_archE1100ELNS1_3gpuE3ELNS1_3repE0EEENS1_48merge_mergepath_partition_config_static_selectorELNS0_4arch9wavefront6targetE1EEEvSH_
	.globl	_ZN7rocprim17ROCPRIM_400000_NS6detail17trampoline_kernelINS0_14default_configENS1_38merge_sort_block_merge_config_selectorIhlEEZZNS1_27merge_sort_block_merge_implIS3_PhN6thrust23THRUST_200600_302600_NS10device_ptrIlEEjNS1_19radix_merge_compareILb0ELb0EhNS0_19identity_decomposerEEEEE10hipError_tT0_T1_T2_jT3_P12ihipStream_tbPNSt15iterator_traitsISG_E10value_typeEPNSM_ISH_E10value_typeEPSI_NS1_7vsmem_tEENKUlT_SG_SH_SI_E_clIS7_S7_SB_PlEESF_SV_SG_SH_SI_EUlSV_E_NS1_11comp_targetILNS1_3genE9ELNS1_11target_archE1100ELNS1_3gpuE3ELNS1_3repE0EEENS1_48merge_mergepath_partition_config_static_selectorELNS0_4arch9wavefront6targetE1EEEvSH_
	.p2align	8
	.type	_ZN7rocprim17ROCPRIM_400000_NS6detail17trampoline_kernelINS0_14default_configENS1_38merge_sort_block_merge_config_selectorIhlEEZZNS1_27merge_sort_block_merge_implIS3_PhN6thrust23THRUST_200600_302600_NS10device_ptrIlEEjNS1_19radix_merge_compareILb0ELb0EhNS0_19identity_decomposerEEEEE10hipError_tT0_T1_T2_jT3_P12ihipStream_tbPNSt15iterator_traitsISG_E10value_typeEPNSM_ISH_E10value_typeEPSI_NS1_7vsmem_tEENKUlT_SG_SH_SI_E_clIS7_S7_SB_PlEESF_SV_SG_SH_SI_EUlSV_E_NS1_11comp_targetILNS1_3genE9ELNS1_11target_archE1100ELNS1_3gpuE3ELNS1_3repE0EEENS1_48merge_mergepath_partition_config_static_selectorELNS0_4arch9wavefront6targetE1EEEvSH_,@function
_ZN7rocprim17ROCPRIM_400000_NS6detail17trampoline_kernelINS0_14default_configENS1_38merge_sort_block_merge_config_selectorIhlEEZZNS1_27merge_sort_block_merge_implIS3_PhN6thrust23THRUST_200600_302600_NS10device_ptrIlEEjNS1_19radix_merge_compareILb0ELb0EhNS0_19identity_decomposerEEEEE10hipError_tT0_T1_T2_jT3_P12ihipStream_tbPNSt15iterator_traitsISG_E10value_typeEPNSM_ISH_E10value_typeEPSI_NS1_7vsmem_tEENKUlT_SG_SH_SI_E_clIS7_S7_SB_PlEESF_SV_SG_SH_SI_EUlSV_E_NS1_11comp_targetILNS1_3genE9ELNS1_11target_archE1100ELNS1_3gpuE3ELNS1_3repE0EEENS1_48merge_mergepath_partition_config_static_selectorELNS0_4arch9wavefront6targetE1EEEvSH_: ; @_ZN7rocprim17ROCPRIM_400000_NS6detail17trampoline_kernelINS0_14default_configENS1_38merge_sort_block_merge_config_selectorIhlEEZZNS1_27merge_sort_block_merge_implIS3_PhN6thrust23THRUST_200600_302600_NS10device_ptrIlEEjNS1_19radix_merge_compareILb0ELb0EhNS0_19identity_decomposerEEEEE10hipError_tT0_T1_T2_jT3_P12ihipStream_tbPNSt15iterator_traitsISG_E10value_typeEPNSM_ISH_E10value_typeEPSI_NS1_7vsmem_tEENKUlT_SG_SH_SI_E_clIS7_S7_SB_PlEESF_SV_SG_SH_SI_EUlSV_E_NS1_11comp_targetILNS1_3genE9ELNS1_11target_archE1100ELNS1_3gpuE3ELNS1_3repE0EEENS1_48merge_mergepath_partition_config_static_selectorELNS0_4arch9wavefront6targetE1EEEvSH_
; %bb.0:
	.section	.rodata,"a",@progbits
	.p2align	6, 0x0
	.amdhsa_kernel _ZN7rocprim17ROCPRIM_400000_NS6detail17trampoline_kernelINS0_14default_configENS1_38merge_sort_block_merge_config_selectorIhlEEZZNS1_27merge_sort_block_merge_implIS3_PhN6thrust23THRUST_200600_302600_NS10device_ptrIlEEjNS1_19radix_merge_compareILb0ELb0EhNS0_19identity_decomposerEEEEE10hipError_tT0_T1_T2_jT3_P12ihipStream_tbPNSt15iterator_traitsISG_E10value_typeEPNSM_ISH_E10value_typeEPSI_NS1_7vsmem_tEENKUlT_SG_SH_SI_E_clIS7_S7_SB_PlEESF_SV_SG_SH_SI_EUlSV_E_NS1_11comp_targetILNS1_3genE9ELNS1_11target_archE1100ELNS1_3gpuE3ELNS1_3repE0EEENS1_48merge_mergepath_partition_config_static_selectorELNS0_4arch9wavefront6targetE1EEEvSH_
		.amdhsa_group_segment_fixed_size 0
		.amdhsa_private_segment_fixed_size 0
		.amdhsa_kernarg_size 40
		.amdhsa_user_sgpr_count 6
		.amdhsa_user_sgpr_private_segment_buffer 1
		.amdhsa_user_sgpr_dispatch_ptr 0
		.amdhsa_user_sgpr_queue_ptr 0
		.amdhsa_user_sgpr_kernarg_segment_ptr 1
		.amdhsa_user_sgpr_dispatch_id 0
		.amdhsa_user_sgpr_flat_scratch_init 0
		.amdhsa_user_sgpr_private_segment_size 0
		.amdhsa_uses_dynamic_stack 0
		.amdhsa_system_sgpr_private_segment_wavefront_offset 0
		.amdhsa_system_sgpr_workgroup_id_x 1
		.amdhsa_system_sgpr_workgroup_id_y 0
		.amdhsa_system_sgpr_workgroup_id_z 0
		.amdhsa_system_sgpr_workgroup_info 0
		.amdhsa_system_vgpr_workitem_id 0
		.amdhsa_next_free_vgpr 1
		.amdhsa_next_free_sgpr 0
		.amdhsa_reserve_vcc 0
		.amdhsa_reserve_flat_scratch 0
		.amdhsa_float_round_mode_32 0
		.amdhsa_float_round_mode_16_64 0
		.amdhsa_float_denorm_mode_32 3
		.amdhsa_float_denorm_mode_16_64 3
		.amdhsa_dx10_clamp 1
		.amdhsa_ieee_mode 1
		.amdhsa_fp16_overflow 0
		.amdhsa_exception_fp_ieee_invalid_op 0
		.amdhsa_exception_fp_denorm_src 0
		.amdhsa_exception_fp_ieee_div_zero 0
		.amdhsa_exception_fp_ieee_overflow 0
		.amdhsa_exception_fp_ieee_underflow 0
		.amdhsa_exception_fp_ieee_inexact 0
		.amdhsa_exception_int_div_zero 0
	.end_amdhsa_kernel
	.section	.text._ZN7rocprim17ROCPRIM_400000_NS6detail17trampoline_kernelINS0_14default_configENS1_38merge_sort_block_merge_config_selectorIhlEEZZNS1_27merge_sort_block_merge_implIS3_PhN6thrust23THRUST_200600_302600_NS10device_ptrIlEEjNS1_19radix_merge_compareILb0ELb0EhNS0_19identity_decomposerEEEEE10hipError_tT0_T1_T2_jT3_P12ihipStream_tbPNSt15iterator_traitsISG_E10value_typeEPNSM_ISH_E10value_typeEPSI_NS1_7vsmem_tEENKUlT_SG_SH_SI_E_clIS7_S7_SB_PlEESF_SV_SG_SH_SI_EUlSV_E_NS1_11comp_targetILNS1_3genE9ELNS1_11target_archE1100ELNS1_3gpuE3ELNS1_3repE0EEENS1_48merge_mergepath_partition_config_static_selectorELNS0_4arch9wavefront6targetE1EEEvSH_,"axG",@progbits,_ZN7rocprim17ROCPRIM_400000_NS6detail17trampoline_kernelINS0_14default_configENS1_38merge_sort_block_merge_config_selectorIhlEEZZNS1_27merge_sort_block_merge_implIS3_PhN6thrust23THRUST_200600_302600_NS10device_ptrIlEEjNS1_19radix_merge_compareILb0ELb0EhNS0_19identity_decomposerEEEEE10hipError_tT0_T1_T2_jT3_P12ihipStream_tbPNSt15iterator_traitsISG_E10value_typeEPNSM_ISH_E10value_typeEPSI_NS1_7vsmem_tEENKUlT_SG_SH_SI_E_clIS7_S7_SB_PlEESF_SV_SG_SH_SI_EUlSV_E_NS1_11comp_targetILNS1_3genE9ELNS1_11target_archE1100ELNS1_3gpuE3ELNS1_3repE0EEENS1_48merge_mergepath_partition_config_static_selectorELNS0_4arch9wavefront6targetE1EEEvSH_,comdat
.Lfunc_end154:
	.size	_ZN7rocprim17ROCPRIM_400000_NS6detail17trampoline_kernelINS0_14default_configENS1_38merge_sort_block_merge_config_selectorIhlEEZZNS1_27merge_sort_block_merge_implIS3_PhN6thrust23THRUST_200600_302600_NS10device_ptrIlEEjNS1_19radix_merge_compareILb0ELb0EhNS0_19identity_decomposerEEEEE10hipError_tT0_T1_T2_jT3_P12ihipStream_tbPNSt15iterator_traitsISG_E10value_typeEPNSM_ISH_E10value_typeEPSI_NS1_7vsmem_tEENKUlT_SG_SH_SI_E_clIS7_S7_SB_PlEESF_SV_SG_SH_SI_EUlSV_E_NS1_11comp_targetILNS1_3genE9ELNS1_11target_archE1100ELNS1_3gpuE3ELNS1_3repE0EEENS1_48merge_mergepath_partition_config_static_selectorELNS0_4arch9wavefront6targetE1EEEvSH_, .Lfunc_end154-_ZN7rocprim17ROCPRIM_400000_NS6detail17trampoline_kernelINS0_14default_configENS1_38merge_sort_block_merge_config_selectorIhlEEZZNS1_27merge_sort_block_merge_implIS3_PhN6thrust23THRUST_200600_302600_NS10device_ptrIlEEjNS1_19radix_merge_compareILb0ELb0EhNS0_19identity_decomposerEEEEE10hipError_tT0_T1_T2_jT3_P12ihipStream_tbPNSt15iterator_traitsISG_E10value_typeEPNSM_ISH_E10value_typeEPSI_NS1_7vsmem_tEENKUlT_SG_SH_SI_E_clIS7_S7_SB_PlEESF_SV_SG_SH_SI_EUlSV_E_NS1_11comp_targetILNS1_3genE9ELNS1_11target_archE1100ELNS1_3gpuE3ELNS1_3repE0EEENS1_48merge_mergepath_partition_config_static_selectorELNS0_4arch9wavefront6targetE1EEEvSH_
                                        ; -- End function
	.set _ZN7rocprim17ROCPRIM_400000_NS6detail17trampoline_kernelINS0_14default_configENS1_38merge_sort_block_merge_config_selectorIhlEEZZNS1_27merge_sort_block_merge_implIS3_PhN6thrust23THRUST_200600_302600_NS10device_ptrIlEEjNS1_19radix_merge_compareILb0ELb0EhNS0_19identity_decomposerEEEEE10hipError_tT0_T1_T2_jT3_P12ihipStream_tbPNSt15iterator_traitsISG_E10value_typeEPNSM_ISH_E10value_typeEPSI_NS1_7vsmem_tEENKUlT_SG_SH_SI_E_clIS7_S7_SB_PlEESF_SV_SG_SH_SI_EUlSV_E_NS1_11comp_targetILNS1_3genE9ELNS1_11target_archE1100ELNS1_3gpuE3ELNS1_3repE0EEENS1_48merge_mergepath_partition_config_static_selectorELNS0_4arch9wavefront6targetE1EEEvSH_.num_vgpr, 0
	.set _ZN7rocprim17ROCPRIM_400000_NS6detail17trampoline_kernelINS0_14default_configENS1_38merge_sort_block_merge_config_selectorIhlEEZZNS1_27merge_sort_block_merge_implIS3_PhN6thrust23THRUST_200600_302600_NS10device_ptrIlEEjNS1_19radix_merge_compareILb0ELb0EhNS0_19identity_decomposerEEEEE10hipError_tT0_T1_T2_jT3_P12ihipStream_tbPNSt15iterator_traitsISG_E10value_typeEPNSM_ISH_E10value_typeEPSI_NS1_7vsmem_tEENKUlT_SG_SH_SI_E_clIS7_S7_SB_PlEESF_SV_SG_SH_SI_EUlSV_E_NS1_11comp_targetILNS1_3genE9ELNS1_11target_archE1100ELNS1_3gpuE3ELNS1_3repE0EEENS1_48merge_mergepath_partition_config_static_selectorELNS0_4arch9wavefront6targetE1EEEvSH_.num_agpr, 0
	.set _ZN7rocprim17ROCPRIM_400000_NS6detail17trampoline_kernelINS0_14default_configENS1_38merge_sort_block_merge_config_selectorIhlEEZZNS1_27merge_sort_block_merge_implIS3_PhN6thrust23THRUST_200600_302600_NS10device_ptrIlEEjNS1_19radix_merge_compareILb0ELb0EhNS0_19identity_decomposerEEEEE10hipError_tT0_T1_T2_jT3_P12ihipStream_tbPNSt15iterator_traitsISG_E10value_typeEPNSM_ISH_E10value_typeEPSI_NS1_7vsmem_tEENKUlT_SG_SH_SI_E_clIS7_S7_SB_PlEESF_SV_SG_SH_SI_EUlSV_E_NS1_11comp_targetILNS1_3genE9ELNS1_11target_archE1100ELNS1_3gpuE3ELNS1_3repE0EEENS1_48merge_mergepath_partition_config_static_selectorELNS0_4arch9wavefront6targetE1EEEvSH_.numbered_sgpr, 0
	.set _ZN7rocprim17ROCPRIM_400000_NS6detail17trampoline_kernelINS0_14default_configENS1_38merge_sort_block_merge_config_selectorIhlEEZZNS1_27merge_sort_block_merge_implIS3_PhN6thrust23THRUST_200600_302600_NS10device_ptrIlEEjNS1_19radix_merge_compareILb0ELb0EhNS0_19identity_decomposerEEEEE10hipError_tT0_T1_T2_jT3_P12ihipStream_tbPNSt15iterator_traitsISG_E10value_typeEPNSM_ISH_E10value_typeEPSI_NS1_7vsmem_tEENKUlT_SG_SH_SI_E_clIS7_S7_SB_PlEESF_SV_SG_SH_SI_EUlSV_E_NS1_11comp_targetILNS1_3genE9ELNS1_11target_archE1100ELNS1_3gpuE3ELNS1_3repE0EEENS1_48merge_mergepath_partition_config_static_selectorELNS0_4arch9wavefront6targetE1EEEvSH_.num_named_barrier, 0
	.set _ZN7rocprim17ROCPRIM_400000_NS6detail17trampoline_kernelINS0_14default_configENS1_38merge_sort_block_merge_config_selectorIhlEEZZNS1_27merge_sort_block_merge_implIS3_PhN6thrust23THRUST_200600_302600_NS10device_ptrIlEEjNS1_19radix_merge_compareILb0ELb0EhNS0_19identity_decomposerEEEEE10hipError_tT0_T1_T2_jT3_P12ihipStream_tbPNSt15iterator_traitsISG_E10value_typeEPNSM_ISH_E10value_typeEPSI_NS1_7vsmem_tEENKUlT_SG_SH_SI_E_clIS7_S7_SB_PlEESF_SV_SG_SH_SI_EUlSV_E_NS1_11comp_targetILNS1_3genE9ELNS1_11target_archE1100ELNS1_3gpuE3ELNS1_3repE0EEENS1_48merge_mergepath_partition_config_static_selectorELNS0_4arch9wavefront6targetE1EEEvSH_.private_seg_size, 0
	.set _ZN7rocprim17ROCPRIM_400000_NS6detail17trampoline_kernelINS0_14default_configENS1_38merge_sort_block_merge_config_selectorIhlEEZZNS1_27merge_sort_block_merge_implIS3_PhN6thrust23THRUST_200600_302600_NS10device_ptrIlEEjNS1_19radix_merge_compareILb0ELb0EhNS0_19identity_decomposerEEEEE10hipError_tT0_T1_T2_jT3_P12ihipStream_tbPNSt15iterator_traitsISG_E10value_typeEPNSM_ISH_E10value_typeEPSI_NS1_7vsmem_tEENKUlT_SG_SH_SI_E_clIS7_S7_SB_PlEESF_SV_SG_SH_SI_EUlSV_E_NS1_11comp_targetILNS1_3genE9ELNS1_11target_archE1100ELNS1_3gpuE3ELNS1_3repE0EEENS1_48merge_mergepath_partition_config_static_selectorELNS0_4arch9wavefront6targetE1EEEvSH_.uses_vcc, 0
	.set _ZN7rocprim17ROCPRIM_400000_NS6detail17trampoline_kernelINS0_14default_configENS1_38merge_sort_block_merge_config_selectorIhlEEZZNS1_27merge_sort_block_merge_implIS3_PhN6thrust23THRUST_200600_302600_NS10device_ptrIlEEjNS1_19radix_merge_compareILb0ELb0EhNS0_19identity_decomposerEEEEE10hipError_tT0_T1_T2_jT3_P12ihipStream_tbPNSt15iterator_traitsISG_E10value_typeEPNSM_ISH_E10value_typeEPSI_NS1_7vsmem_tEENKUlT_SG_SH_SI_E_clIS7_S7_SB_PlEESF_SV_SG_SH_SI_EUlSV_E_NS1_11comp_targetILNS1_3genE9ELNS1_11target_archE1100ELNS1_3gpuE3ELNS1_3repE0EEENS1_48merge_mergepath_partition_config_static_selectorELNS0_4arch9wavefront6targetE1EEEvSH_.uses_flat_scratch, 0
	.set _ZN7rocprim17ROCPRIM_400000_NS6detail17trampoline_kernelINS0_14default_configENS1_38merge_sort_block_merge_config_selectorIhlEEZZNS1_27merge_sort_block_merge_implIS3_PhN6thrust23THRUST_200600_302600_NS10device_ptrIlEEjNS1_19radix_merge_compareILb0ELb0EhNS0_19identity_decomposerEEEEE10hipError_tT0_T1_T2_jT3_P12ihipStream_tbPNSt15iterator_traitsISG_E10value_typeEPNSM_ISH_E10value_typeEPSI_NS1_7vsmem_tEENKUlT_SG_SH_SI_E_clIS7_S7_SB_PlEESF_SV_SG_SH_SI_EUlSV_E_NS1_11comp_targetILNS1_3genE9ELNS1_11target_archE1100ELNS1_3gpuE3ELNS1_3repE0EEENS1_48merge_mergepath_partition_config_static_selectorELNS0_4arch9wavefront6targetE1EEEvSH_.has_dyn_sized_stack, 0
	.set _ZN7rocprim17ROCPRIM_400000_NS6detail17trampoline_kernelINS0_14default_configENS1_38merge_sort_block_merge_config_selectorIhlEEZZNS1_27merge_sort_block_merge_implIS3_PhN6thrust23THRUST_200600_302600_NS10device_ptrIlEEjNS1_19radix_merge_compareILb0ELb0EhNS0_19identity_decomposerEEEEE10hipError_tT0_T1_T2_jT3_P12ihipStream_tbPNSt15iterator_traitsISG_E10value_typeEPNSM_ISH_E10value_typeEPSI_NS1_7vsmem_tEENKUlT_SG_SH_SI_E_clIS7_S7_SB_PlEESF_SV_SG_SH_SI_EUlSV_E_NS1_11comp_targetILNS1_3genE9ELNS1_11target_archE1100ELNS1_3gpuE3ELNS1_3repE0EEENS1_48merge_mergepath_partition_config_static_selectorELNS0_4arch9wavefront6targetE1EEEvSH_.has_recursion, 0
	.set _ZN7rocprim17ROCPRIM_400000_NS6detail17trampoline_kernelINS0_14default_configENS1_38merge_sort_block_merge_config_selectorIhlEEZZNS1_27merge_sort_block_merge_implIS3_PhN6thrust23THRUST_200600_302600_NS10device_ptrIlEEjNS1_19radix_merge_compareILb0ELb0EhNS0_19identity_decomposerEEEEE10hipError_tT0_T1_T2_jT3_P12ihipStream_tbPNSt15iterator_traitsISG_E10value_typeEPNSM_ISH_E10value_typeEPSI_NS1_7vsmem_tEENKUlT_SG_SH_SI_E_clIS7_S7_SB_PlEESF_SV_SG_SH_SI_EUlSV_E_NS1_11comp_targetILNS1_3genE9ELNS1_11target_archE1100ELNS1_3gpuE3ELNS1_3repE0EEENS1_48merge_mergepath_partition_config_static_selectorELNS0_4arch9wavefront6targetE1EEEvSH_.has_indirect_call, 0
	.section	.AMDGPU.csdata,"",@progbits
; Kernel info:
; codeLenInByte = 0
; TotalNumSgprs: 4
; NumVgprs: 0
; ScratchSize: 0
; MemoryBound: 0
; FloatMode: 240
; IeeeMode: 1
; LDSByteSize: 0 bytes/workgroup (compile time only)
; SGPRBlocks: 0
; VGPRBlocks: 0
; NumSGPRsForWavesPerEU: 4
; NumVGPRsForWavesPerEU: 1
; Occupancy: 10
; WaveLimiterHint : 0
; COMPUTE_PGM_RSRC2:SCRATCH_EN: 0
; COMPUTE_PGM_RSRC2:USER_SGPR: 6
; COMPUTE_PGM_RSRC2:TRAP_HANDLER: 0
; COMPUTE_PGM_RSRC2:TGID_X_EN: 1
; COMPUTE_PGM_RSRC2:TGID_Y_EN: 0
; COMPUTE_PGM_RSRC2:TGID_Z_EN: 0
; COMPUTE_PGM_RSRC2:TIDIG_COMP_CNT: 0
	.section	.text._ZN7rocprim17ROCPRIM_400000_NS6detail17trampoline_kernelINS0_14default_configENS1_38merge_sort_block_merge_config_selectorIhlEEZZNS1_27merge_sort_block_merge_implIS3_PhN6thrust23THRUST_200600_302600_NS10device_ptrIlEEjNS1_19radix_merge_compareILb0ELb0EhNS0_19identity_decomposerEEEEE10hipError_tT0_T1_T2_jT3_P12ihipStream_tbPNSt15iterator_traitsISG_E10value_typeEPNSM_ISH_E10value_typeEPSI_NS1_7vsmem_tEENKUlT_SG_SH_SI_E_clIS7_S7_SB_PlEESF_SV_SG_SH_SI_EUlSV_E_NS1_11comp_targetILNS1_3genE8ELNS1_11target_archE1030ELNS1_3gpuE2ELNS1_3repE0EEENS1_48merge_mergepath_partition_config_static_selectorELNS0_4arch9wavefront6targetE1EEEvSH_,"axG",@progbits,_ZN7rocprim17ROCPRIM_400000_NS6detail17trampoline_kernelINS0_14default_configENS1_38merge_sort_block_merge_config_selectorIhlEEZZNS1_27merge_sort_block_merge_implIS3_PhN6thrust23THRUST_200600_302600_NS10device_ptrIlEEjNS1_19radix_merge_compareILb0ELb0EhNS0_19identity_decomposerEEEEE10hipError_tT0_T1_T2_jT3_P12ihipStream_tbPNSt15iterator_traitsISG_E10value_typeEPNSM_ISH_E10value_typeEPSI_NS1_7vsmem_tEENKUlT_SG_SH_SI_E_clIS7_S7_SB_PlEESF_SV_SG_SH_SI_EUlSV_E_NS1_11comp_targetILNS1_3genE8ELNS1_11target_archE1030ELNS1_3gpuE2ELNS1_3repE0EEENS1_48merge_mergepath_partition_config_static_selectorELNS0_4arch9wavefront6targetE1EEEvSH_,comdat
	.protected	_ZN7rocprim17ROCPRIM_400000_NS6detail17trampoline_kernelINS0_14default_configENS1_38merge_sort_block_merge_config_selectorIhlEEZZNS1_27merge_sort_block_merge_implIS3_PhN6thrust23THRUST_200600_302600_NS10device_ptrIlEEjNS1_19radix_merge_compareILb0ELb0EhNS0_19identity_decomposerEEEEE10hipError_tT0_T1_T2_jT3_P12ihipStream_tbPNSt15iterator_traitsISG_E10value_typeEPNSM_ISH_E10value_typeEPSI_NS1_7vsmem_tEENKUlT_SG_SH_SI_E_clIS7_S7_SB_PlEESF_SV_SG_SH_SI_EUlSV_E_NS1_11comp_targetILNS1_3genE8ELNS1_11target_archE1030ELNS1_3gpuE2ELNS1_3repE0EEENS1_48merge_mergepath_partition_config_static_selectorELNS0_4arch9wavefront6targetE1EEEvSH_ ; -- Begin function _ZN7rocprim17ROCPRIM_400000_NS6detail17trampoline_kernelINS0_14default_configENS1_38merge_sort_block_merge_config_selectorIhlEEZZNS1_27merge_sort_block_merge_implIS3_PhN6thrust23THRUST_200600_302600_NS10device_ptrIlEEjNS1_19radix_merge_compareILb0ELb0EhNS0_19identity_decomposerEEEEE10hipError_tT0_T1_T2_jT3_P12ihipStream_tbPNSt15iterator_traitsISG_E10value_typeEPNSM_ISH_E10value_typeEPSI_NS1_7vsmem_tEENKUlT_SG_SH_SI_E_clIS7_S7_SB_PlEESF_SV_SG_SH_SI_EUlSV_E_NS1_11comp_targetILNS1_3genE8ELNS1_11target_archE1030ELNS1_3gpuE2ELNS1_3repE0EEENS1_48merge_mergepath_partition_config_static_selectorELNS0_4arch9wavefront6targetE1EEEvSH_
	.globl	_ZN7rocprim17ROCPRIM_400000_NS6detail17trampoline_kernelINS0_14default_configENS1_38merge_sort_block_merge_config_selectorIhlEEZZNS1_27merge_sort_block_merge_implIS3_PhN6thrust23THRUST_200600_302600_NS10device_ptrIlEEjNS1_19radix_merge_compareILb0ELb0EhNS0_19identity_decomposerEEEEE10hipError_tT0_T1_T2_jT3_P12ihipStream_tbPNSt15iterator_traitsISG_E10value_typeEPNSM_ISH_E10value_typeEPSI_NS1_7vsmem_tEENKUlT_SG_SH_SI_E_clIS7_S7_SB_PlEESF_SV_SG_SH_SI_EUlSV_E_NS1_11comp_targetILNS1_3genE8ELNS1_11target_archE1030ELNS1_3gpuE2ELNS1_3repE0EEENS1_48merge_mergepath_partition_config_static_selectorELNS0_4arch9wavefront6targetE1EEEvSH_
	.p2align	8
	.type	_ZN7rocprim17ROCPRIM_400000_NS6detail17trampoline_kernelINS0_14default_configENS1_38merge_sort_block_merge_config_selectorIhlEEZZNS1_27merge_sort_block_merge_implIS3_PhN6thrust23THRUST_200600_302600_NS10device_ptrIlEEjNS1_19radix_merge_compareILb0ELb0EhNS0_19identity_decomposerEEEEE10hipError_tT0_T1_T2_jT3_P12ihipStream_tbPNSt15iterator_traitsISG_E10value_typeEPNSM_ISH_E10value_typeEPSI_NS1_7vsmem_tEENKUlT_SG_SH_SI_E_clIS7_S7_SB_PlEESF_SV_SG_SH_SI_EUlSV_E_NS1_11comp_targetILNS1_3genE8ELNS1_11target_archE1030ELNS1_3gpuE2ELNS1_3repE0EEENS1_48merge_mergepath_partition_config_static_selectorELNS0_4arch9wavefront6targetE1EEEvSH_,@function
_ZN7rocprim17ROCPRIM_400000_NS6detail17trampoline_kernelINS0_14default_configENS1_38merge_sort_block_merge_config_selectorIhlEEZZNS1_27merge_sort_block_merge_implIS3_PhN6thrust23THRUST_200600_302600_NS10device_ptrIlEEjNS1_19radix_merge_compareILb0ELb0EhNS0_19identity_decomposerEEEEE10hipError_tT0_T1_T2_jT3_P12ihipStream_tbPNSt15iterator_traitsISG_E10value_typeEPNSM_ISH_E10value_typeEPSI_NS1_7vsmem_tEENKUlT_SG_SH_SI_E_clIS7_S7_SB_PlEESF_SV_SG_SH_SI_EUlSV_E_NS1_11comp_targetILNS1_3genE8ELNS1_11target_archE1030ELNS1_3gpuE2ELNS1_3repE0EEENS1_48merge_mergepath_partition_config_static_selectorELNS0_4arch9wavefront6targetE1EEEvSH_: ; @_ZN7rocprim17ROCPRIM_400000_NS6detail17trampoline_kernelINS0_14default_configENS1_38merge_sort_block_merge_config_selectorIhlEEZZNS1_27merge_sort_block_merge_implIS3_PhN6thrust23THRUST_200600_302600_NS10device_ptrIlEEjNS1_19radix_merge_compareILb0ELb0EhNS0_19identity_decomposerEEEEE10hipError_tT0_T1_T2_jT3_P12ihipStream_tbPNSt15iterator_traitsISG_E10value_typeEPNSM_ISH_E10value_typeEPSI_NS1_7vsmem_tEENKUlT_SG_SH_SI_E_clIS7_S7_SB_PlEESF_SV_SG_SH_SI_EUlSV_E_NS1_11comp_targetILNS1_3genE8ELNS1_11target_archE1030ELNS1_3gpuE2ELNS1_3repE0EEENS1_48merge_mergepath_partition_config_static_selectorELNS0_4arch9wavefront6targetE1EEEvSH_
; %bb.0:
	.section	.rodata,"a",@progbits
	.p2align	6, 0x0
	.amdhsa_kernel _ZN7rocprim17ROCPRIM_400000_NS6detail17trampoline_kernelINS0_14default_configENS1_38merge_sort_block_merge_config_selectorIhlEEZZNS1_27merge_sort_block_merge_implIS3_PhN6thrust23THRUST_200600_302600_NS10device_ptrIlEEjNS1_19radix_merge_compareILb0ELb0EhNS0_19identity_decomposerEEEEE10hipError_tT0_T1_T2_jT3_P12ihipStream_tbPNSt15iterator_traitsISG_E10value_typeEPNSM_ISH_E10value_typeEPSI_NS1_7vsmem_tEENKUlT_SG_SH_SI_E_clIS7_S7_SB_PlEESF_SV_SG_SH_SI_EUlSV_E_NS1_11comp_targetILNS1_3genE8ELNS1_11target_archE1030ELNS1_3gpuE2ELNS1_3repE0EEENS1_48merge_mergepath_partition_config_static_selectorELNS0_4arch9wavefront6targetE1EEEvSH_
		.amdhsa_group_segment_fixed_size 0
		.amdhsa_private_segment_fixed_size 0
		.amdhsa_kernarg_size 40
		.amdhsa_user_sgpr_count 6
		.amdhsa_user_sgpr_private_segment_buffer 1
		.amdhsa_user_sgpr_dispatch_ptr 0
		.amdhsa_user_sgpr_queue_ptr 0
		.amdhsa_user_sgpr_kernarg_segment_ptr 1
		.amdhsa_user_sgpr_dispatch_id 0
		.amdhsa_user_sgpr_flat_scratch_init 0
		.amdhsa_user_sgpr_private_segment_size 0
		.amdhsa_uses_dynamic_stack 0
		.amdhsa_system_sgpr_private_segment_wavefront_offset 0
		.amdhsa_system_sgpr_workgroup_id_x 1
		.amdhsa_system_sgpr_workgroup_id_y 0
		.amdhsa_system_sgpr_workgroup_id_z 0
		.amdhsa_system_sgpr_workgroup_info 0
		.amdhsa_system_vgpr_workitem_id 0
		.amdhsa_next_free_vgpr 1
		.amdhsa_next_free_sgpr 0
		.amdhsa_reserve_vcc 0
		.amdhsa_reserve_flat_scratch 0
		.amdhsa_float_round_mode_32 0
		.amdhsa_float_round_mode_16_64 0
		.amdhsa_float_denorm_mode_32 3
		.amdhsa_float_denorm_mode_16_64 3
		.amdhsa_dx10_clamp 1
		.amdhsa_ieee_mode 1
		.amdhsa_fp16_overflow 0
		.amdhsa_exception_fp_ieee_invalid_op 0
		.amdhsa_exception_fp_denorm_src 0
		.amdhsa_exception_fp_ieee_div_zero 0
		.amdhsa_exception_fp_ieee_overflow 0
		.amdhsa_exception_fp_ieee_underflow 0
		.amdhsa_exception_fp_ieee_inexact 0
		.amdhsa_exception_int_div_zero 0
	.end_amdhsa_kernel
	.section	.text._ZN7rocprim17ROCPRIM_400000_NS6detail17trampoline_kernelINS0_14default_configENS1_38merge_sort_block_merge_config_selectorIhlEEZZNS1_27merge_sort_block_merge_implIS3_PhN6thrust23THRUST_200600_302600_NS10device_ptrIlEEjNS1_19radix_merge_compareILb0ELb0EhNS0_19identity_decomposerEEEEE10hipError_tT0_T1_T2_jT3_P12ihipStream_tbPNSt15iterator_traitsISG_E10value_typeEPNSM_ISH_E10value_typeEPSI_NS1_7vsmem_tEENKUlT_SG_SH_SI_E_clIS7_S7_SB_PlEESF_SV_SG_SH_SI_EUlSV_E_NS1_11comp_targetILNS1_3genE8ELNS1_11target_archE1030ELNS1_3gpuE2ELNS1_3repE0EEENS1_48merge_mergepath_partition_config_static_selectorELNS0_4arch9wavefront6targetE1EEEvSH_,"axG",@progbits,_ZN7rocprim17ROCPRIM_400000_NS6detail17trampoline_kernelINS0_14default_configENS1_38merge_sort_block_merge_config_selectorIhlEEZZNS1_27merge_sort_block_merge_implIS3_PhN6thrust23THRUST_200600_302600_NS10device_ptrIlEEjNS1_19radix_merge_compareILb0ELb0EhNS0_19identity_decomposerEEEEE10hipError_tT0_T1_T2_jT3_P12ihipStream_tbPNSt15iterator_traitsISG_E10value_typeEPNSM_ISH_E10value_typeEPSI_NS1_7vsmem_tEENKUlT_SG_SH_SI_E_clIS7_S7_SB_PlEESF_SV_SG_SH_SI_EUlSV_E_NS1_11comp_targetILNS1_3genE8ELNS1_11target_archE1030ELNS1_3gpuE2ELNS1_3repE0EEENS1_48merge_mergepath_partition_config_static_selectorELNS0_4arch9wavefront6targetE1EEEvSH_,comdat
.Lfunc_end155:
	.size	_ZN7rocprim17ROCPRIM_400000_NS6detail17trampoline_kernelINS0_14default_configENS1_38merge_sort_block_merge_config_selectorIhlEEZZNS1_27merge_sort_block_merge_implIS3_PhN6thrust23THRUST_200600_302600_NS10device_ptrIlEEjNS1_19radix_merge_compareILb0ELb0EhNS0_19identity_decomposerEEEEE10hipError_tT0_T1_T2_jT3_P12ihipStream_tbPNSt15iterator_traitsISG_E10value_typeEPNSM_ISH_E10value_typeEPSI_NS1_7vsmem_tEENKUlT_SG_SH_SI_E_clIS7_S7_SB_PlEESF_SV_SG_SH_SI_EUlSV_E_NS1_11comp_targetILNS1_3genE8ELNS1_11target_archE1030ELNS1_3gpuE2ELNS1_3repE0EEENS1_48merge_mergepath_partition_config_static_selectorELNS0_4arch9wavefront6targetE1EEEvSH_, .Lfunc_end155-_ZN7rocprim17ROCPRIM_400000_NS6detail17trampoline_kernelINS0_14default_configENS1_38merge_sort_block_merge_config_selectorIhlEEZZNS1_27merge_sort_block_merge_implIS3_PhN6thrust23THRUST_200600_302600_NS10device_ptrIlEEjNS1_19radix_merge_compareILb0ELb0EhNS0_19identity_decomposerEEEEE10hipError_tT0_T1_T2_jT3_P12ihipStream_tbPNSt15iterator_traitsISG_E10value_typeEPNSM_ISH_E10value_typeEPSI_NS1_7vsmem_tEENKUlT_SG_SH_SI_E_clIS7_S7_SB_PlEESF_SV_SG_SH_SI_EUlSV_E_NS1_11comp_targetILNS1_3genE8ELNS1_11target_archE1030ELNS1_3gpuE2ELNS1_3repE0EEENS1_48merge_mergepath_partition_config_static_selectorELNS0_4arch9wavefront6targetE1EEEvSH_
                                        ; -- End function
	.set _ZN7rocprim17ROCPRIM_400000_NS6detail17trampoline_kernelINS0_14default_configENS1_38merge_sort_block_merge_config_selectorIhlEEZZNS1_27merge_sort_block_merge_implIS3_PhN6thrust23THRUST_200600_302600_NS10device_ptrIlEEjNS1_19radix_merge_compareILb0ELb0EhNS0_19identity_decomposerEEEEE10hipError_tT0_T1_T2_jT3_P12ihipStream_tbPNSt15iterator_traitsISG_E10value_typeEPNSM_ISH_E10value_typeEPSI_NS1_7vsmem_tEENKUlT_SG_SH_SI_E_clIS7_S7_SB_PlEESF_SV_SG_SH_SI_EUlSV_E_NS1_11comp_targetILNS1_3genE8ELNS1_11target_archE1030ELNS1_3gpuE2ELNS1_3repE0EEENS1_48merge_mergepath_partition_config_static_selectorELNS0_4arch9wavefront6targetE1EEEvSH_.num_vgpr, 0
	.set _ZN7rocprim17ROCPRIM_400000_NS6detail17trampoline_kernelINS0_14default_configENS1_38merge_sort_block_merge_config_selectorIhlEEZZNS1_27merge_sort_block_merge_implIS3_PhN6thrust23THRUST_200600_302600_NS10device_ptrIlEEjNS1_19radix_merge_compareILb0ELb0EhNS0_19identity_decomposerEEEEE10hipError_tT0_T1_T2_jT3_P12ihipStream_tbPNSt15iterator_traitsISG_E10value_typeEPNSM_ISH_E10value_typeEPSI_NS1_7vsmem_tEENKUlT_SG_SH_SI_E_clIS7_S7_SB_PlEESF_SV_SG_SH_SI_EUlSV_E_NS1_11comp_targetILNS1_3genE8ELNS1_11target_archE1030ELNS1_3gpuE2ELNS1_3repE0EEENS1_48merge_mergepath_partition_config_static_selectorELNS0_4arch9wavefront6targetE1EEEvSH_.num_agpr, 0
	.set _ZN7rocprim17ROCPRIM_400000_NS6detail17trampoline_kernelINS0_14default_configENS1_38merge_sort_block_merge_config_selectorIhlEEZZNS1_27merge_sort_block_merge_implIS3_PhN6thrust23THRUST_200600_302600_NS10device_ptrIlEEjNS1_19radix_merge_compareILb0ELb0EhNS0_19identity_decomposerEEEEE10hipError_tT0_T1_T2_jT3_P12ihipStream_tbPNSt15iterator_traitsISG_E10value_typeEPNSM_ISH_E10value_typeEPSI_NS1_7vsmem_tEENKUlT_SG_SH_SI_E_clIS7_S7_SB_PlEESF_SV_SG_SH_SI_EUlSV_E_NS1_11comp_targetILNS1_3genE8ELNS1_11target_archE1030ELNS1_3gpuE2ELNS1_3repE0EEENS1_48merge_mergepath_partition_config_static_selectorELNS0_4arch9wavefront6targetE1EEEvSH_.numbered_sgpr, 0
	.set _ZN7rocprim17ROCPRIM_400000_NS6detail17trampoline_kernelINS0_14default_configENS1_38merge_sort_block_merge_config_selectorIhlEEZZNS1_27merge_sort_block_merge_implIS3_PhN6thrust23THRUST_200600_302600_NS10device_ptrIlEEjNS1_19radix_merge_compareILb0ELb0EhNS0_19identity_decomposerEEEEE10hipError_tT0_T1_T2_jT3_P12ihipStream_tbPNSt15iterator_traitsISG_E10value_typeEPNSM_ISH_E10value_typeEPSI_NS1_7vsmem_tEENKUlT_SG_SH_SI_E_clIS7_S7_SB_PlEESF_SV_SG_SH_SI_EUlSV_E_NS1_11comp_targetILNS1_3genE8ELNS1_11target_archE1030ELNS1_3gpuE2ELNS1_3repE0EEENS1_48merge_mergepath_partition_config_static_selectorELNS0_4arch9wavefront6targetE1EEEvSH_.num_named_barrier, 0
	.set _ZN7rocprim17ROCPRIM_400000_NS6detail17trampoline_kernelINS0_14default_configENS1_38merge_sort_block_merge_config_selectorIhlEEZZNS1_27merge_sort_block_merge_implIS3_PhN6thrust23THRUST_200600_302600_NS10device_ptrIlEEjNS1_19radix_merge_compareILb0ELb0EhNS0_19identity_decomposerEEEEE10hipError_tT0_T1_T2_jT3_P12ihipStream_tbPNSt15iterator_traitsISG_E10value_typeEPNSM_ISH_E10value_typeEPSI_NS1_7vsmem_tEENKUlT_SG_SH_SI_E_clIS7_S7_SB_PlEESF_SV_SG_SH_SI_EUlSV_E_NS1_11comp_targetILNS1_3genE8ELNS1_11target_archE1030ELNS1_3gpuE2ELNS1_3repE0EEENS1_48merge_mergepath_partition_config_static_selectorELNS0_4arch9wavefront6targetE1EEEvSH_.private_seg_size, 0
	.set _ZN7rocprim17ROCPRIM_400000_NS6detail17trampoline_kernelINS0_14default_configENS1_38merge_sort_block_merge_config_selectorIhlEEZZNS1_27merge_sort_block_merge_implIS3_PhN6thrust23THRUST_200600_302600_NS10device_ptrIlEEjNS1_19radix_merge_compareILb0ELb0EhNS0_19identity_decomposerEEEEE10hipError_tT0_T1_T2_jT3_P12ihipStream_tbPNSt15iterator_traitsISG_E10value_typeEPNSM_ISH_E10value_typeEPSI_NS1_7vsmem_tEENKUlT_SG_SH_SI_E_clIS7_S7_SB_PlEESF_SV_SG_SH_SI_EUlSV_E_NS1_11comp_targetILNS1_3genE8ELNS1_11target_archE1030ELNS1_3gpuE2ELNS1_3repE0EEENS1_48merge_mergepath_partition_config_static_selectorELNS0_4arch9wavefront6targetE1EEEvSH_.uses_vcc, 0
	.set _ZN7rocprim17ROCPRIM_400000_NS6detail17trampoline_kernelINS0_14default_configENS1_38merge_sort_block_merge_config_selectorIhlEEZZNS1_27merge_sort_block_merge_implIS3_PhN6thrust23THRUST_200600_302600_NS10device_ptrIlEEjNS1_19radix_merge_compareILb0ELb0EhNS0_19identity_decomposerEEEEE10hipError_tT0_T1_T2_jT3_P12ihipStream_tbPNSt15iterator_traitsISG_E10value_typeEPNSM_ISH_E10value_typeEPSI_NS1_7vsmem_tEENKUlT_SG_SH_SI_E_clIS7_S7_SB_PlEESF_SV_SG_SH_SI_EUlSV_E_NS1_11comp_targetILNS1_3genE8ELNS1_11target_archE1030ELNS1_3gpuE2ELNS1_3repE0EEENS1_48merge_mergepath_partition_config_static_selectorELNS0_4arch9wavefront6targetE1EEEvSH_.uses_flat_scratch, 0
	.set _ZN7rocprim17ROCPRIM_400000_NS6detail17trampoline_kernelINS0_14default_configENS1_38merge_sort_block_merge_config_selectorIhlEEZZNS1_27merge_sort_block_merge_implIS3_PhN6thrust23THRUST_200600_302600_NS10device_ptrIlEEjNS1_19radix_merge_compareILb0ELb0EhNS0_19identity_decomposerEEEEE10hipError_tT0_T1_T2_jT3_P12ihipStream_tbPNSt15iterator_traitsISG_E10value_typeEPNSM_ISH_E10value_typeEPSI_NS1_7vsmem_tEENKUlT_SG_SH_SI_E_clIS7_S7_SB_PlEESF_SV_SG_SH_SI_EUlSV_E_NS1_11comp_targetILNS1_3genE8ELNS1_11target_archE1030ELNS1_3gpuE2ELNS1_3repE0EEENS1_48merge_mergepath_partition_config_static_selectorELNS0_4arch9wavefront6targetE1EEEvSH_.has_dyn_sized_stack, 0
	.set _ZN7rocprim17ROCPRIM_400000_NS6detail17trampoline_kernelINS0_14default_configENS1_38merge_sort_block_merge_config_selectorIhlEEZZNS1_27merge_sort_block_merge_implIS3_PhN6thrust23THRUST_200600_302600_NS10device_ptrIlEEjNS1_19radix_merge_compareILb0ELb0EhNS0_19identity_decomposerEEEEE10hipError_tT0_T1_T2_jT3_P12ihipStream_tbPNSt15iterator_traitsISG_E10value_typeEPNSM_ISH_E10value_typeEPSI_NS1_7vsmem_tEENKUlT_SG_SH_SI_E_clIS7_S7_SB_PlEESF_SV_SG_SH_SI_EUlSV_E_NS1_11comp_targetILNS1_3genE8ELNS1_11target_archE1030ELNS1_3gpuE2ELNS1_3repE0EEENS1_48merge_mergepath_partition_config_static_selectorELNS0_4arch9wavefront6targetE1EEEvSH_.has_recursion, 0
	.set _ZN7rocprim17ROCPRIM_400000_NS6detail17trampoline_kernelINS0_14default_configENS1_38merge_sort_block_merge_config_selectorIhlEEZZNS1_27merge_sort_block_merge_implIS3_PhN6thrust23THRUST_200600_302600_NS10device_ptrIlEEjNS1_19radix_merge_compareILb0ELb0EhNS0_19identity_decomposerEEEEE10hipError_tT0_T1_T2_jT3_P12ihipStream_tbPNSt15iterator_traitsISG_E10value_typeEPNSM_ISH_E10value_typeEPSI_NS1_7vsmem_tEENKUlT_SG_SH_SI_E_clIS7_S7_SB_PlEESF_SV_SG_SH_SI_EUlSV_E_NS1_11comp_targetILNS1_3genE8ELNS1_11target_archE1030ELNS1_3gpuE2ELNS1_3repE0EEENS1_48merge_mergepath_partition_config_static_selectorELNS0_4arch9wavefront6targetE1EEEvSH_.has_indirect_call, 0
	.section	.AMDGPU.csdata,"",@progbits
; Kernel info:
; codeLenInByte = 0
; TotalNumSgprs: 4
; NumVgprs: 0
; ScratchSize: 0
; MemoryBound: 0
; FloatMode: 240
; IeeeMode: 1
; LDSByteSize: 0 bytes/workgroup (compile time only)
; SGPRBlocks: 0
; VGPRBlocks: 0
; NumSGPRsForWavesPerEU: 4
; NumVGPRsForWavesPerEU: 1
; Occupancy: 10
; WaveLimiterHint : 0
; COMPUTE_PGM_RSRC2:SCRATCH_EN: 0
; COMPUTE_PGM_RSRC2:USER_SGPR: 6
; COMPUTE_PGM_RSRC2:TRAP_HANDLER: 0
; COMPUTE_PGM_RSRC2:TGID_X_EN: 1
; COMPUTE_PGM_RSRC2:TGID_Y_EN: 0
; COMPUTE_PGM_RSRC2:TGID_Z_EN: 0
; COMPUTE_PGM_RSRC2:TIDIG_COMP_CNT: 0
	.section	.text._ZN7rocprim17ROCPRIM_400000_NS6detail17trampoline_kernelINS0_14default_configENS1_38merge_sort_block_merge_config_selectorIhlEEZZNS1_27merge_sort_block_merge_implIS3_PhN6thrust23THRUST_200600_302600_NS10device_ptrIlEEjNS1_19radix_merge_compareILb0ELb0EhNS0_19identity_decomposerEEEEE10hipError_tT0_T1_T2_jT3_P12ihipStream_tbPNSt15iterator_traitsISG_E10value_typeEPNSM_ISH_E10value_typeEPSI_NS1_7vsmem_tEENKUlT_SG_SH_SI_E_clIS7_S7_SB_PlEESF_SV_SG_SH_SI_EUlSV_E0_NS1_11comp_targetILNS1_3genE0ELNS1_11target_archE4294967295ELNS1_3gpuE0ELNS1_3repE0EEENS1_38merge_mergepath_config_static_selectorELNS0_4arch9wavefront6targetE1EEEvSH_,"axG",@progbits,_ZN7rocprim17ROCPRIM_400000_NS6detail17trampoline_kernelINS0_14default_configENS1_38merge_sort_block_merge_config_selectorIhlEEZZNS1_27merge_sort_block_merge_implIS3_PhN6thrust23THRUST_200600_302600_NS10device_ptrIlEEjNS1_19radix_merge_compareILb0ELb0EhNS0_19identity_decomposerEEEEE10hipError_tT0_T1_T2_jT3_P12ihipStream_tbPNSt15iterator_traitsISG_E10value_typeEPNSM_ISH_E10value_typeEPSI_NS1_7vsmem_tEENKUlT_SG_SH_SI_E_clIS7_S7_SB_PlEESF_SV_SG_SH_SI_EUlSV_E0_NS1_11comp_targetILNS1_3genE0ELNS1_11target_archE4294967295ELNS1_3gpuE0ELNS1_3repE0EEENS1_38merge_mergepath_config_static_selectorELNS0_4arch9wavefront6targetE1EEEvSH_,comdat
	.protected	_ZN7rocprim17ROCPRIM_400000_NS6detail17trampoline_kernelINS0_14default_configENS1_38merge_sort_block_merge_config_selectorIhlEEZZNS1_27merge_sort_block_merge_implIS3_PhN6thrust23THRUST_200600_302600_NS10device_ptrIlEEjNS1_19radix_merge_compareILb0ELb0EhNS0_19identity_decomposerEEEEE10hipError_tT0_T1_T2_jT3_P12ihipStream_tbPNSt15iterator_traitsISG_E10value_typeEPNSM_ISH_E10value_typeEPSI_NS1_7vsmem_tEENKUlT_SG_SH_SI_E_clIS7_S7_SB_PlEESF_SV_SG_SH_SI_EUlSV_E0_NS1_11comp_targetILNS1_3genE0ELNS1_11target_archE4294967295ELNS1_3gpuE0ELNS1_3repE0EEENS1_38merge_mergepath_config_static_selectorELNS0_4arch9wavefront6targetE1EEEvSH_ ; -- Begin function _ZN7rocprim17ROCPRIM_400000_NS6detail17trampoline_kernelINS0_14default_configENS1_38merge_sort_block_merge_config_selectorIhlEEZZNS1_27merge_sort_block_merge_implIS3_PhN6thrust23THRUST_200600_302600_NS10device_ptrIlEEjNS1_19radix_merge_compareILb0ELb0EhNS0_19identity_decomposerEEEEE10hipError_tT0_T1_T2_jT3_P12ihipStream_tbPNSt15iterator_traitsISG_E10value_typeEPNSM_ISH_E10value_typeEPSI_NS1_7vsmem_tEENKUlT_SG_SH_SI_E_clIS7_S7_SB_PlEESF_SV_SG_SH_SI_EUlSV_E0_NS1_11comp_targetILNS1_3genE0ELNS1_11target_archE4294967295ELNS1_3gpuE0ELNS1_3repE0EEENS1_38merge_mergepath_config_static_selectorELNS0_4arch9wavefront6targetE1EEEvSH_
	.globl	_ZN7rocprim17ROCPRIM_400000_NS6detail17trampoline_kernelINS0_14default_configENS1_38merge_sort_block_merge_config_selectorIhlEEZZNS1_27merge_sort_block_merge_implIS3_PhN6thrust23THRUST_200600_302600_NS10device_ptrIlEEjNS1_19radix_merge_compareILb0ELb0EhNS0_19identity_decomposerEEEEE10hipError_tT0_T1_T2_jT3_P12ihipStream_tbPNSt15iterator_traitsISG_E10value_typeEPNSM_ISH_E10value_typeEPSI_NS1_7vsmem_tEENKUlT_SG_SH_SI_E_clIS7_S7_SB_PlEESF_SV_SG_SH_SI_EUlSV_E0_NS1_11comp_targetILNS1_3genE0ELNS1_11target_archE4294967295ELNS1_3gpuE0ELNS1_3repE0EEENS1_38merge_mergepath_config_static_selectorELNS0_4arch9wavefront6targetE1EEEvSH_
	.p2align	8
	.type	_ZN7rocprim17ROCPRIM_400000_NS6detail17trampoline_kernelINS0_14default_configENS1_38merge_sort_block_merge_config_selectorIhlEEZZNS1_27merge_sort_block_merge_implIS3_PhN6thrust23THRUST_200600_302600_NS10device_ptrIlEEjNS1_19radix_merge_compareILb0ELb0EhNS0_19identity_decomposerEEEEE10hipError_tT0_T1_T2_jT3_P12ihipStream_tbPNSt15iterator_traitsISG_E10value_typeEPNSM_ISH_E10value_typeEPSI_NS1_7vsmem_tEENKUlT_SG_SH_SI_E_clIS7_S7_SB_PlEESF_SV_SG_SH_SI_EUlSV_E0_NS1_11comp_targetILNS1_3genE0ELNS1_11target_archE4294967295ELNS1_3gpuE0ELNS1_3repE0EEENS1_38merge_mergepath_config_static_selectorELNS0_4arch9wavefront6targetE1EEEvSH_,@function
_ZN7rocprim17ROCPRIM_400000_NS6detail17trampoline_kernelINS0_14default_configENS1_38merge_sort_block_merge_config_selectorIhlEEZZNS1_27merge_sort_block_merge_implIS3_PhN6thrust23THRUST_200600_302600_NS10device_ptrIlEEjNS1_19radix_merge_compareILb0ELb0EhNS0_19identity_decomposerEEEEE10hipError_tT0_T1_T2_jT3_P12ihipStream_tbPNSt15iterator_traitsISG_E10value_typeEPNSM_ISH_E10value_typeEPSI_NS1_7vsmem_tEENKUlT_SG_SH_SI_E_clIS7_S7_SB_PlEESF_SV_SG_SH_SI_EUlSV_E0_NS1_11comp_targetILNS1_3genE0ELNS1_11target_archE4294967295ELNS1_3gpuE0ELNS1_3repE0EEENS1_38merge_mergepath_config_static_selectorELNS0_4arch9wavefront6targetE1EEEvSH_: ; @_ZN7rocprim17ROCPRIM_400000_NS6detail17trampoline_kernelINS0_14default_configENS1_38merge_sort_block_merge_config_selectorIhlEEZZNS1_27merge_sort_block_merge_implIS3_PhN6thrust23THRUST_200600_302600_NS10device_ptrIlEEjNS1_19radix_merge_compareILb0ELb0EhNS0_19identity_decomposerEEEEE10hipError_tT0_T1_T2_jT3_P12ihipStream_tbPNSt15iterator_traitsISG_E10value_typeEPNSM_ISH_E10value_typeEPSI_NS1_7vsmem_tEENKUlT_SG_SH_SI_E_clIS7_S7_SB_PlEESF_SV_SG_SH_SI_EUlSV_E0_NS1_11comp_targetILNS1_3genE0ELNS1_11target_archE4294967295ELNS1_3gpuE0ELNS1_3repE0EEENS1_38merge_mergepath_config_static_selectorELNS0_4arch9wavefront6targetE1EEEvSH_
; %bb.0:
	.section	.rodata,"a",@progbits
	.p2align	6, 0x0
	.amdhsa_kernel _ZN7rocprim17ROCPRIM_400000_NS6detail17trampoline_kernelINS0_14default_configENS1_38merge_sort_block_merge_config_selectorIhlEEZZNS1_27merge_sort_block_merge_implIS3_PhN6thrust23THRUST_200600_302600_NS10device_ptrIlEEjNS1_19radix_merge_compareILb0ELb0EhNS0_19identity_decomposerEEEEE10hipError_tT0_T1_T2_jT3_P12ihipStream_tbPNSt15iterator_traitsISG_E10value_typeEPNSM_ISH_E10value_typeEPSI_NS1_7vsmem_tEENKUlT_SG_SH_SI_E_clIS7_S7_SB_PlEESF_SV_SG_SH_SI_EUlSV_E0_NS1_11comp_targetILNS1_3genE0ELNS1_11target_archE4294967295ELNS1_3gpuE0ELNS1_3repE0EEENS1_38merge_mergepath_config_static_selectorELNS0_4arch9wavefront6targetE1EEEvSH_
		.amdhsa_group_segment_fixed_size 0
		.amdhsa_private_segment_fixed_size 0
		.amdhsa_kernarg_size 64
		.amdhsa_user_sgpr_count 6
		.amdhsa_user_sgpr_private_segment_buffer 1
		.amdhsa_user_sgpr_dispatch_ptr 0
		.amdhsa_user_sgpr_queue_ptr 0
		.amdhsa_user_sgpr_kernarg_segment_ptr 1
		.amdhsa_user_sgpr_dispatch_id 0
		.amdhsa_user_sgpr_flat_scratch_init 0
		.amdhsa_user_sgpr_private_segment_size 0
		.amdhsa_uses_dynamic_stack 0
		.amdhsa_system_sgpr_private_segment_wavefront_offset 0
		.amdhsa_system_sgpr_workgroup_id_x 1
		.amdhsa_system_sgpr_workgroup_id_y 0
		.amdhsa_system_sgpr_workgroup_id_z 0
		.amdhsa_system_sgpr_workgroup_info 0
		.amdhsa_system_vgpr_workitem_id 0
		.amdhsa_next_free_vgpr 1
		.amdhsa_next_free_sgpr 0
		.amdhsa_reserve_vcc 0
		.amdhsa_reserve_flat_scratch 0
		.amdhsa_float_round_mode_32 0
		.amdhsa_float_round_mode_16_64 0
		.amdhsa_float_denorm_mode_32 3
		.amdhsa_float_denorm_mode_16_64 3
		.amdhsa_dx10_clamp 1
		.amdhsa_ieee_mode 1
		.amdhsa_fp16_overflow 0
		.amdhsa_exception_fp_ieee_invalid_op 0
		.amdhsa_exception_fp_denorm_src 0
		.amdhsa_exception_fp_ieee_div_zero 0
		.amdhsa_exception_fp_ieee_overflow 0
		.amdhsa_exception_fp_ieee_underflow 0
		.amdhsa_exception_fp_ieee_inexact 0
		.amdhsa_exception_int_div_zero 0
	.end_amdhsa_kernel
	.section	.text._ZN7rocprim17ROCPRIM_400000_NS6detail17trampoline_kernelINS0_14default_configENS1_38merge_sort_block_merge_config_selectorIhlEEZZNS1_27merge_sort_block_merge_implIS3_PhN6thrust23THRUST_200600_302600_NS10device_ptrIlEEjNS1_19radix_merge_compareILb0ELb0EhNS0_19identity_decomposerEEEEE10hipError_tT0_T1_T2_jT3_P12ihipStream_tbPNSt15iterator_traitsISG_E10value_typeEPNSM_ISH_E10value_typeEPSI_NS1_7vsmem_tEENKUlT_SG_SH_SI_E_clIS7_S7_SB_PlEESF_SV_SG_SH_SI_EUlSV_E0_NS1_11comp_targetILNS1_3genE0ELNS1_11target_archE4294967295ELNS1_3gpuE0ELNS1_3repE0EEENS1_38merge_mergepath_config_static_selectorELNS0_4arch9wavefront6targetE1EEEvSH_,"axG",@progbits,_ZN7rocprim17ROCPRIM_400000_NS6detail17trampoline_kernelINS0_14default_configENS1_38merge_sort_block_merge_config_selectorIhlEEZZNS1_27merge_sort_block_merge_implIS3_PhN6thrust23THRUST_200600_302600_NS10device_ptrIlEEjNS1_19radix_merge_compareILb0ELb0EhNS0_19identity_decomposerEEEEE10hipError_tT0_T1_T2_jT3_P12ihipStream_tbPNSt15iterator_traitsISG_E10value_typeEPNSM_ISH_E10value_typeEPSI_NS1_7vsmem_tEENKUlT_SG_SH_SI_E_clIS7_S7_SB_PlEESF_SV_SG_SH_SI_EUlSV_E0_NS1_11comp_targetILNS1_3genE0ELNS1_11target_archE4294967295ELNS1_3gpuE0ELNS1_3repE0EEENS1_38merge_mergepath_config_static_selectorELNS0_4arch9wavefront6targetE1EEEvSH_,comdat
.Lfunc_end156:
	.size	_ZN7rocprim17ROCPRIM_400000_NS6detail17trampoline_kernelINS0_14default_configENS1_38merge_sort_block_merge_config_selectorIhlEEZZNS1_27merge_sort_block_merge_implIS3_PhN6thrust23THRUST_200600_302600_NS10device_ptrIlEEjNS1_19radix_merge_compareILb0ELb0EhNS0_19identity_decomposerEEEEE10hipError_tT0_T1_T2_jT3_P12ihipStream_tbPNSt15iterator_traitsISG_E10value_typeEPNSM_ISH_E10value_typeEPSI_NS1_7vsmem_tEENKUlT_SG_SH_SI_E_clIS7_S7_SB_PlEESF_SV_SG_SH_SI_EUlSV_E0_NS1_11comp_targetILNS1_3genE0ELNS1_11target_archE4294967295ELNS1_3gpuE0ELNS1_3repE0EEENS1_38merge_mergepath_config_static_selectorELNS0_4arch9wavefront6targetE1EEEvSH_, .Lfunc_end156-_ZN7rocprim17ROCPRIM_400000_NS6detail17trampoline_kernelINS0_14default_configENS1_38merge_sort_block_merge_config_selectorIhlEEZZNS1_27merge_sort_block_merge_implIS3_PhN6thrust23THRUST_200600_302600_NS10device_ptrIlEEjNS1_19radix_merge_compareILb0ELb0EhNS0_19identity_decomposerEEEEE10hipError_tT0_T1_T2_jT3_P12ihipStream_tbPNSt15iterator_traitsISG_E10value_typeEPNSM_ISH_E10value_typeEPSI_NS1_7vsmem_tEENKUlT_SG_SH_SI_E_clIS7_S7_SB_PlEESF_SV_SG_SH_SI_EUlSV_E0_NS1_11comp_targetILNS1_3genE0ELNS1_11target_archE4294967295ELNS1_3gpuE0ELNS1_3repE0EEENS1_38merge_mergepath_config_static_selectorELNS0_4arch9wavefront6targetE1EEEvSH_
                                        ; -- End function
	.set _ZN7rocprim17ROCPRIM_400000_NS6detail17trampoline_kernelINS0_14default_configENS1_38merge_sort_block_merge_config_selectorIhlEEZZNS1_27merge_sort_block_merge_implIS3_PhN6thrust23THRUST_200600_302600_NS10device_ptrIlEEjNS1_19radix_merge_compareILb0ELb0EhNS0_19identity_decomposerEEEEE10hipError_tT0_T1_T2_jT3_P12ihipStream_tbPNSt15iterator_traitsISG_E10value_typeEPNSM_ISH_E10value_typeEPSI_NS1_7vsmem_tEENKUlT_SG_SH_SI_E_clIS7_S7_SB_PlEESF_SV_SG_SH_SI_EUlSV_E0_NS1_11comp_targetILNS1_3genE0ELNS1_11target_archE4294967295ELNS1_3gpuE0ELNS1_3repE0EEENS1_38merge_mergepath_config_static_selectorELNS0_4arch9wavefront6targetE1EEEvSH_.num_vgpr, 0
	.set _ZN7rocprim17ROCPRIM_400000_NS6detail17trampoline_kernelINS0_14default_configENS1_38merge_sort_block_merge_config_selectorIhlEEZZNS1_27merge_sort_block_merge_implIS3_PhN6thrust23THRUST_200600_302600_NS10device_ptrIlEEjNS1_19radix_merge_compareILb0ELb0EhNS0_19identity_decomposerEEEEE10hipError_tT0_T1_T2_jT3_P12ihipStream_tbPNSt15iterator_traitsISG_E10value_typeEPNSM_ISH_E10value_typeEPSI_NS1_7vsmem_tEENKUlT_SG_SH_SI_E_clIS7_S7_SB_PlEESF_SV_SG_SH_SI_EUlSV_E0_NS1_11comp_targetILNS1_3genE0ELNS1_11target_archE4294967295ELNS1_3gpuE0ELNS1_3repE0EEENS1_38merge_mergepath_config_static_selectorELNS0_4arch9wavefront6targetE1EEEvSH_.num_agpr, 0
	.set _ZN7rocprim17ROCPRIM_400000_NS6detail17trampoline_kernelINS0_14default_configENS1_38merge_sort_block_merge_config_selectorIhlEEZZNS1_27merge_sort_block_merge_implIS3_PhN6thrust23THRUST_200600_302600_NS10device_ptrIlEEjNS1_19radix_merge_compareILb0ELb0EhNS0_19identity_decomposerEEEEE10hipError_tT0_T1_T2_jT3_P12ihipStream_tbPNSt15iterator_traitsISG_E10value_typeEPNSM_ISH_E10value_typeEPSI_NS1_7vsmem_tEENKUlT_SG_SH_SI_E_clIS7_S7_SB_PlEESF_SV_SG_SH_SI_EUlSV_E0_NS1_11comp_targetILNS1_3genE0ELNS1_11target_archE4294967295ELNS1_3gpuE0ELNS1_3repE0EEENS1_38merge_mergepath_config_static_selectorELNS0_4arch9wavefront6targetE1EEEvSH_.numbered_sgpr, 0
	.set _ZN7rocprim17ROCPRIM_400000_NS6detail17trampoline_kernelINS0_14default_configENS1_38merge_sort_block_merge_config_selectorIhlEEZZNS1_27merge_sort_block_merge_implIS3_PhN6thrust23THRUST_200600_302600_NS10device_ptrIlEEjNS1_19radix_merge_compareILb0ELb0EhNS0_19identity_decomposerEEEEE10hipError_tT0_T1_T2_jT3_P12ihipStream_tbPNSt15iterator_traitsISG_E10value_typeEPNSM_ISH_E10value_typeEPSI_NS1_7vsmem_tEENKUlT_SG_SH_SI_E_clIS7_S7_SB_PlEESF_SV_SG_SH_SI_EUlSV_E0_NS1_11comp_targetILNS1_3genE0ELNS1_11target_archE4294967295ELNS1_3gpuE0ELNS1_3repE0EEENS1_38merge_mergepath_config_static_selectorELNS0_4arch9wavefront6targetE1EEEvSH_.num_named_barrier, 0
	.set _ZN7rocprim17ROCPRIM_400000_NS6detail17trampoline_kernelINS0_14default_configENS1_38merge_sort_block_merge_config_selectorIhlEEZZNS1_27merge_sort_block_merge_implIS3_PhN6thrust23THRUST_200600_302600_NS10device_ptrIlEEjNS1_19radix_merge_compareILb0ELb0EhNS0_19identity_decomposerEEEEE10hipError_tT0_T1_T2_jT3_P12ihipStream_tbPNSt15iterator_traitsISG_E10value_typeEPNSM_ISH_E10value_typeEPSI_NS1_7vsmem_tEENKUlT_SG_SH_SI_E_clIS7_S7_SB_PlEESF_SV_SG_SH_SI_EUlSV_E0_NS1_11comp_targetILNS1_3genE0ELNS1_11target_archE4294967295ELNS1_3gpuE0ELNS1_3repE0EEENS1_38merge_mergepath_config_static_selectorELNS0_4arch9wavefront6targetE1EEEvSH_.private_seg_size, 0
	.set _ZN7rocprim17ROCPRIM_400000_NS6detail17trampoline_kernelINS0_14default_configENS1_38merge_sort_block_merge_config_selectorIhlEEZZNS1_27merge_sort_block_merge_implIS3_PhN6thrust23THRUST_200600_302600_NS10device_ptrIlEEjNS1_19radix_merge_compareILb0ELb0EhNS0_19identity_decomposerEEEEE10hipError_tT0_T1_T2_jT3_P12ihipStream_tbPNSt15iterator_traitsISG_E10value_typeEPNSM_ISH_E10value_typeEPSI_NS1_7vsmem_tEENKUlT_SG_SH_SI_E_clIS7_S7_SB_PlEESF_SV_SG_SH_SI_EUlSV_E0_NS1_11comp_targetILNS1_3genE0ELNS1_11target_archE4294967295ELNS1_3gpuE0ELNS1_3repE0EEENS1_38merge_mergepath_config_static_selectorELNS0_4arch9wavefront6targetE1EEEvSH_.uses_vcc, 0
	.set _ZN7rocprim17ROCPRIM_400000_NS6detail17trampoline_kernelINS0_14default_configENS1_38merge_sort_block_merge_config_selectorIhlEEZZNS1_27merge_sort_block_merge_implIS3_PhN6thrust23THRUST_200600_302600_NS10device_ptrIlEEjNS1_19radix_merge_compareILb0ELb0EhNS0_19identity_decomposerEEEEE10hipError_tT0_T1_T2_jT3_P12ihipStream_tbPNSt15iterator_traitsISG_E10value_typeEPNSM_ISH_E10value_typeEPSI_NS1_7vsmem_tEENKUlT_SG_SH_SI_E_clIS7_S7_SB_PlEESF_SV_SG_SH_SI_EUlSV_E0_NS1_11comp_targetILNS1_3genE0ELNS1_11target_archE4294967295ELNS1_3gpuE0ELNS1_3repE0EEENS1_38merge_mergepath_config_static_selectorELNS0_4arch9wavefront6targetE1EEEvSH_.uses_flat_scratch, 0
	.set _ZN7rocprim17ROCPRIM_400000_NS6detail17trampoline_kernelINS0_14default_configENS1_38merge_sort_block_merge_config_selectorIhlEEZZNS1_27merge_sort_block_merge_implIS3_PhN6thrust23THRUST_200600_302600_NS10device_ptrIlEEjNS1_19radix_merge_compareILb0ELb0EhNS0_19identity_decomposerEEEEE10hipError_tT0_T1_T2_jT3_P12ihipStream_tbPNSt15iterator_traitsISG_E10value_typeEPNSM_ISH_E10value_typeEPSI_NS1_7vsmem_tEENKUlT_SG_SH_SI_E_clIS7_S7_SB_PlEESF_SV_SG_SH_SI_EUlSV_E0_NS1_11comp_targetILNS1_3genE0ELNS1_11target_archE4294967295ELNS1_3gpuE0ELNS1_3repE0EEENS1_38merge_mergepath_config_static_selectorELNS0_4arch9wavefront6targetE1EEEvSH_.has_dyn_sized_stack, 0
	.set _ZN7rocprim17ROCPRIM_400000_NS6detail17trampoline_kernelINS0_14default_configENS1_38merge_sort_block_merge_config_selectorIhlEEZZNS1_27merge_sort_block_merge_implIS3_PhN6thrust23THRUST_200600_302600_NS10device_ptrIlEEjNS1_19radix_merge_compareILb0ELb0EhNS0_19identity_decomposerEEEEE10hipError_tT0_T1_T2_jT3_P12ihipStream_tbPNSt15iterator_traitsISG_E10value_typeEPNSM_ISH_E10value_typeEPSI_NS1_7vsmem_tEENKUlT_SG_SH_SI_E_clIS7_S7_SB_PlEESF_SV_SG_SH_SI_EUlSV_E0_NS1_11comp_targetILNS1_3genE0ELNS1_11target_archE4294967295ELNS1_3gpuE0ELNS1_3repE0EEENS1_38merge_mergepath_config_static_selectorELNS0_4arch9wavefront6targetE1EEEvSH_.has_recursion, 0
	.set _ZN7rocprim17ROCPRIM_400000_NS6detail17trampoline_kernelINS0_14default_configENS1_38merge_sort_block_merge_config_selectorIhlEEZZNS1_27merge_sort_block_merge_implIS3_PhN6thrust23THRUST_200600_302600_NS10device_ptrIlEEjNS1_19radix_merge_compareILb0ELb0EhNS0_19identity_decomposerEEEEE10hipError_tT0_T1_T2_jT3_P12ihipStream_tbPNSt15iterator_traitsISG_E10value_typeEPNSM_ISH_E10value_typeEPSI_NS1_7vsmem_tEENKUlT_SG_SH_SI_E_clIS7_S7_SB_PlEESF_SV_SG_SH_SI_EUlSV_E0_NS1_11comp_targetILNS1_3genE0ELNS1_11target_archE4294967295ELNS1_3gpuE0ELNS1_3repE0EEENS1_38merge_mergepath_config_static_selectorELNS0_4arch9wavefront6targetE1EEEvSH_.has_indirect_call, 0
	.section	.AMDGPU.csdata,"",@progbits
; Kernel info:
; codeLenInByte = 0
; TotalNumSgprs: 4
; NumVgprs: 0
; ScratchSize: 0
; MemoryBound: 0
; FloatMode: 240
; IeeeMode: 1
; LDSByteSize: 0 bytes/workgroup (compile time only)
; SGPRBlocks: 0
; VGPRBlocks: 0
; NumSGPRsForWavesPerEU: 4
; NumVGPRsForWavesPerEU: 1
; Occupancy: 10
; WaveLimiterHint : 0
; COMPUTE_PGM_RSRC2:SCRATCH_EN: 0
; COMPUTE_PGM_RSRC2:USER_SGPR: 6
; COMPUTE_PGM_RSRC2:TRAP_HANDLER: 0
; COMPUTE_PGM_RSRC2:TGID_X_EN: 1
; COMPUTE_PGM_RSRC2:TGID_Y_EN: 0
; COMPUTE_PGM_RSRC2:TGID_Z_EN: 0
; COMPUTE_PGM_RSRC2:TIDIG_COMP_CNT: 0
	.section	.text._ZN7rocprim17ROCPRIM_400000_NS6detail17trampoline_kernelINS0_14default_configENS1_38merge_sort_block_merge_config_selectorIhlEEZZNS1_27merge_sort_block_merge_implIS3_PhN6thrust23THRUST_200600_302600_NS10device_ptrIlEEjNS1_19radix_merge_compareILb0ELb0EhNS0_19identity_decomposerEEEEE10hipError_tT0_T1_T2_jT3_P12ihipStream_tbPNSt15iterator_traitsISG_E10value_typeEPNSM_ISH_E10value_typeEPSI_NS1_7vsmem_tEENKUlT_SG_SH_SI_E_clIS7_S7_SB_PlEESF_SV_SG_SH_SI_EUlSV_E0_NS1_11comp_targetILNS1_3genE10ELNS1_11target_archE1201ELNS1_3gpuE5ELNS1_3repE0EEENS1_38merge_mergepath_config_static_selectorELNS0_4arch9wavefront6targetE1EEEvSH_,"axG",@progbits,_ZN7rocprim17ROCPRIM_400000_NS6detail17trampoline_kernelINS0_14default_configENS1_38merge_sort_block_merge_config_selectorIhlEEZZNS1_27merge_sort_block_merge_implIS3_PhN6thrust23THRUST_200600_302600_NS10device_ptrIlEEjNS1_19radix_merge_compareILb0ELb0EhNS0_19identity_decomposerEEEEE10hipError_tT0_T1_T2_jT3_P12ihipStream_tbPNSt15iterator_traitsISG_E10value_typeEPNSM_ISH_E10value_typeEPSI_NS1_7vsmem_tEENKUlT_SG_SH_SI_E_clIS7_S7_SB_PlEESF_SV_SG_SH_SI_EUlSV_E0_NS1_11comp_targetILNS1_3genE10ELNS1_11target_archE1201ELNS1_3gpuE5ELNS1_3repE0EEENS1_38merge_mergepath_config_static_selectorELNS0_4arch9wavefront6targetE1EEEvSH_,comdat
	.protected	_ZN7rocprim17ROCPRIM_400000_NS6detail17trampoline_kernelINS0_14default_configENS1_38merge_sort_block_merge_config_selectorIhlEEZZNS1_27merge_sort_block_merge_implIS3_PhN6thrust23THRUST_200600_302600_NS10device_ptrIlEEjNS1_19radix_merge_compareILb0ELb0EhNS0_19identity_decomposerEEEEE10hipError_tT0_T1_T2_jT3_P12ihipStream_tbPNSt15iterator_traitsISG_E10value_typeEPNSM_ISH_E10value_typeEPSI_NS1_7vsmem_tEENKUlT_SG_SH_SI_E_clIS7_S7_SB_PlEESF_SV_SG_SH_SI_EUlSV_E0_NS1_11comp_targetILNS1_3genE10ELNS1_11target_archE1201ELNS1_3gpuE5ELNS1_3repE0EEENS1_38merge_mergepath_config_static_selectorELNS0_4arch9wavefront6targetE1EEEvSH_ ; -- Begin function _ZN7rocprim17ROCPRIM_400000_NS6detail17trampoline_kernelINS0_14default_configENS1_38merge_sort_block_merge_config_selectorIhlEEZZNS1_27merge_sort_block_merge_implIS3_PhN6thrust23THRUST_200600_302600_NS10device_ptrIlEEjNS1_19radix_merge_compareILb0ELb0EhNS0_19identity_decomposerEEEEE10hipError_tT0_T1_T2_jT3_P12ihipStream_tbPNSt15iterator_traitsISG_E10value_typeEPNSM_ISH_E10value_typeEPSI_NS1_7vsmem_tEENKUlT_SG_SH_SI_E_clIS7_S7_SB_PlEESF_SV_SG_SH_SI_EUlSV_E0_NS1_11comp_targetILNS1_3genE10ELNS1_11target_archE1201ELNS1_3gpuE5ELNS1_3repE0EEENS1_38merge_mergepath_config_static_selectorELNS0_4arch9wavefront6targetE1EEEvSH_
	.globl	_ZN7rocprim17ROCPRIM_400000_NS6detail17trampoline_kernelINS0_14default_configENS1_38merge_sort_block_merge_config_selectorIhlEEZZNS1_27merge_sort_block_merge_implIS3_PhN6thrust23THRUST_200600_302600_NS10device_ptrIlEEjNS1_19radix_merge_compareILb0ELb0EhNS0_19identity_decomposerEEEEE10hipError_tT0_T1_T2_jT3_P12ihipStream_tbPNSt15iterator_traitsISG_E10value_typeEPNSM_ISH_E10value_typeEPSI_NS1_7vsmem_tEENKUlT_SG_SH_SI_E_clIS7_S7_SB_PlEESF_SV_SG_SH_SI_EUlSV_E0_NS1_11comp_targetILNS1_3genE10ELNS1_11target_archE1201ELNS1_3gpuE5ELNS1_3repE0EEENS1_38merge_mergepath_config_static_selectorELNS0_4arch9wavefront6targetE1EEEvSH_
	.p2align	8
	.type	_ZN7rocprim17ROCPRIM_400000_NS6detail17trampoline_kernelINS0_14default_configENS1_38merge_sort_block_merge_config_selectorIhlEEZZNS1_27merge_sort_block_merge_implIS3_PhN6thrust23THRUST_200600_302600_NS10device_ptrIlEEjNS1_19radix_merge_compareILb0ELb0EhNS0_19identity_decomposerEEEEE10hipError_tT0_T1_T2_jT3_P12ihipStream_tbPNSt15iterator_traitsISG_E10value_typeEPNSM_ISH_E10value_typeEPSI_NS1_7vsmem_tEENKUlT_SG_SH_SI_E_clIS7_S7_SB_PlEESF_SV_SG_SH_SI_EUlSV_E0_NS1_11comp_targetILNS1_3genE10ELNS1_11target_archE1201ELNS1_3gpuE5ELNS1_3repE0EEENS1_38merge_mergepath_config_static_selectorELNS0_4arch9wavefront6targetE1EEEvSH_,@function
_ZN7rocprim17ROCPRIM_400000_NS6detail17trampoline_kernelINS0_14default_configENS1_38merge_sort_block_merge_config_selectorIhlEEZZNS1_27merge_sort_block_merge_implIS3_PhN6thrust23THRUST_200600_302600_NS10device_ptrIlEEjNS1_19radix_merge_compareILb0ELb0EhNS0_19identity_decomposerEEEEE10hipError_tT0_T1_T2_jT3_P12ihipStream_tbPNSt15iterator_traitsISG_E10value_typeEPNSM_ISH_E10value_typeEPSI_NS1_7vsmem_tEENKUlT_SG_SH_SI_E_clIS7_S7_SB_PlEESF_SV_SG_SH_SI_EUlSV_E0_NS1_11comp_targetILNS1_3genE10ELNS1_11target_archE1201ELNS1_3gpuE5ELNS1_3repE0EEENS1_38merge_mergepath_config_static_selectorELNS0_4arch9wavefront6targetE1EEEvSH_: ; @_ZN7rocprim17ROCPRIM_400000_NS6detail17trampoline_kernelINS0_14default_configENS1_38merge_sort_block_merge_config_selectorIhlEEZZNS1_27merge_sort_block_merge_implIS3_PhN6thrust23THRUST_200600_302600_NS10device_ptrIlEEjNS1_19radix_merge_compareILb0ELb0EhNS0_19identity_decomposerEEEEE10hipError_tT0_T1_T2_jT3_P12ihipStream_tbPNSt15iterator_traitsISG_E10value_typeEPNSM_ISH_E10value_typeEPSI_NS1_7vsmem_tEENKUlT_SG_SH_SI_E_clIS7_S7_SB_PlEESF_SV_SG_SH_SI_EUlSV_E0_NS1_11comp_targetILNS1_3genE10ELNS1_11target_archE1201ELNS1_3gpuE5ELNS1_3repE0EEENS1_38merge_mergepath_config_static_selectorELNS0_4arch9wavefront6targetE1EEEvSH_
; %bb.0:
	.section	.rodata,"a",@progbits
	.p2align	6, 0x0
	.amdhsa_kernel _ZN7rocprim17ROCPRIM_400000_NS6detail17trampoline_kernelINS0_14default_configENS1_38merge_sort_block_merge_config_selectorIhlEEZZNS1_27merge_sort_block_merge_implIS3_PhN6thrust23THRUST_200600_302600_NS10device_ptrIlEEjNS1_19radix_merge_compareILb0ELb0EhNS0_19identity_decomposerEEEEE10hipError_tT0_T1_T2_jT3_P12ihipStream_tbPNSt15iterator_traitsISG_E10value_typeEPNSM_ISH_E10value_typeEPSI_NS1_7vsmem_tEENKUlT_SG_SH_SI_E_clIS7_S7_SB_PlEESF_SV_SG_SH_SI_EUlSV_E0_NS1_11comp_targetILNS1_3genE10ELNS1_11target_archE1201ELNS1_3gpuE5ELNS1_3repE0EEENS1_38merge_mergepath_config_static_selectorELNS0_4arch9wavefront6targetE1EEEvSH_
		.amdhsa_group_segment_fixed_size 0
		.amdhsa_private_segment_fixed_size 0
		.amdhsa_kernarg_size 64
		.amdhsa_user_sgpr_count 6
		.amdhsa_user_sgpr_private_segment_buffer 1
		.amdhsa_user_sgpr_dispatch_ptr 0
		.amdhsa_user_sgpr_queue_ptr 0
		.amdhsa_user_sgpr_kernarg_segment_ptr 1
		.amdhsa_user_sgpr_dispatch_id 0
		.amdhsa_user_sgpr_flat_scratch_init 0
		.amdhsa_user_sgpr_private_segment_size 0
		.amdhsa_uses_dynamic_stack 0
		.amdhsa_system_sgpr_private_segment_wavefront_offset 0
		.amdhsa_system_sgpr_workgroup_id_x 1
		.amdhsa_system_sgpr_workgroup_id_y 0
		.amdhsa_system_sgpr_workgroup_id_z 0
		.amdhsa_system_sgpr_workgroup_info 0
		.amdhsa_system_vgpr_workitem_id 0
		.amdhsa_next_free_vgpr 1
		.amdhsa_next_free_sgpr 0
		.amdhsa_reserve_vcc 0
		.amdhsa_reserve_flat_scratch 0
		.amdhsa_float_round_mode_32 0
		.amdhsa_float_round_mode_16_64 0
		.amdhsa_float_denorm_mode_32 3
		.amdhsa_float_denorm_mode_16_64 3
		.amdhsa_dx10_clamp 1
		.amdhsa_ieee_mode 1
		.amdhsa_fp16_overflow 0
		.amdhsa_exception_fp_ieee_invalid_op 0
		.amdhsa_exception_fp_denorm_src 0
		.amdhsa_exception_fp_ieee_div_zero 0
		.amdhsa_exception_fp_ieee_overflow 0
		.amdhsa_exception_fp_ieee_underflow 0
		.amdhsa_exception_fp_ieee_inexact 0
		.amdhsa_exception_int_div_zero 0
	.end_amdhsa_kernel
	.section	.text._ZN7rocprim17ROCPRIM_400000_NS6detail17trampoline_kernelINS0_14default_configENS1_38merge_sort_block_merge_config_selectorIhlEEZZNS1_27merge_sort_block_merge_implIS3_PhN6thrust23THRUST_200600_302600_NS10device_ptrIlEEjNS1_19radix_merge_compareILb0ELb0EhNS0_19identity_decomposerEEEEE10hipError_tT0_T1_T2_jT3_P12ihipStream_tbPNSt15iterator_traitsISG_E10value_typeEPNSM_ISH_E10value_typeEPSI_NS1_7vsmem_tEENKUlT_SG_SH_SI_E_clIS7_S7_SB_PlEESF_SV_SG_SH_SI_EUlSV_E0_NS1_11comp_targetILNS1_3genE10ELNS1_11target_archE1201ELNS1_3gpuE5ELNS1_3repE0EEENS1_38merge_mergepath_config_static_selectorELNS0_4arch9wavefront6targetE1EEEvSH_,"axG",@progbits,_ZN7rocprim17ROCPRIM_400000_NS6detail17trampoline_kernelINS0_14default_configENS1_38merge_sort_block_merge_config_selectorIhlEEZZNS1_27merge_sort_block_merge_implIS3_PhN6thrust23THRUST_200600_302600_NS10device_ptrIlEEjNS1_19radix_merge_compareILb0ELb0EhNS0_19identity_decomposerEEEEE10hipError_tT0_T1_T2_jT3_P12ihipStream_tbPNSt15iterator_traitsISG_E10value_typeEPNSM_ISH_E10value_typeEPSI_NS1_7vsmem_tEENKUlT_SG_SH_SI_E_clIS7_S7_SB_PlEESF_SV_SG_SH_SI_EUlSV_E0_NS1_11comp_targetILNS1_3genE10ELNS1_11target_archE1201ELNS1_3gpuE5ELNS1_3repE0EEENS1_38merge_mergepath_config_static_selectorELNS0_4arch9wavefront6targetE1EEEvSH_,comdat
.Lfunc_end157:
	.size	_ZN7rocprim17ROCPRIM_400000_NS6detail17trampoline_kernelINS0_14default_configENS1_38merge_sort_block_merge_config_selectorIhlEEZZNS1_27merge_sort_block_merge_implIS3_PhN6thrust23THRUST_200600_302600_NS10device_ptrIlEEjNS1_19radix_merge_compareILb0ELb0EhNS0_19identity_decomposerEEEEE10hipError_tT0_T1_T2_jT3_P12ihipStream_tbPNSt15iterator_traitsISG_E10value_typeEPNSM_ISH_E10value_typeEPSI_NS1_7vsmem_tEENKUlT_SG_SH_SI_E_clIS7_S7_SB_PlEESF_SV_SG_SH_SI_EUlSV_E0_NS1_11comp_targetILNS1_3genE10ELNS1_11target_archE1201ELNS1_3gpuE5ELNS1_3repE0EEENS1_38merge_mergepath_config_static_selectorELNS0_4arch9wavefront6targetE1EEEvSH_, .Lfunc_end157-_ZN7rocprim17ROCPRIM_400000_NS6detail17trampoline_kernelINS0_14default_configENS1_38merge_sort_block_merge_config_selectorIhlEEZZNS1_27merge_sort_block_merge_implIS3_PhN6thrust23THRUST_200600_302600_NS10device_ptrIlEEjNS1_19radix_merge_compareILb0ELb0EhNS0_19identity_decomposerEEEEE10hipError_tT0_T1_T2_jT3_P12ihipStream_tbPNSt15iterator_traitsISG_E10value_typeEPNSM_ISH_E10value_typeEPSI_NS1_7vsmem_tEENKUlT_SG_SH_SI_E_clIS7_S7_SB_PlEESF_SV_SG_SH_SI_EUlSV_E0_NS1_11comp_targetILNS1_3genE10ELNS1_11target_archE1201ELNS1_3gpuE5ELNS1_3repE0EEENS1_38merge_mergepath_config_static_selectorELNS0_4arch9wavefront6targetE1EEEvSH_
                                        ; -- End function
	.set _ZN7rocprim17ROCPRIM_400000_NS6detail17trampoline_kernelINS0_14default_configENS1_38merge_sort_block_merge_config_selectorIhlEEZZNS1_27merge_sort_block_merge_implIS3_PhN6thrust23THRUST_200600_302600_NS10device_ptrIlEEjNS1_19radix_merge_compareILb0ELb0EhNS0_19identity_decomposerEEEEE10hipError_tT0_T1_T2_jT3_P12ihipStream_tbPNSt15iterator_traitsISG_E10value_typeEPNSM_ISH_E10value_typeEPSI_NS1_7vsmem_tEENKUlT_SG_SH_SI_E_clIS7_S7_SB_PlEESF_SV_SG_SH_SI_EUlSV_E0_NS1_11comp_targetILNS1_3genE10ELNS1_11target_archE1201ELNS1_3gpuE5ELNS1_3repE0EEENS1_38merge_mergepath_config_static_selectorELNS0_4arch9wavefront6targetE1EEEvSH_.num_vgpr, 0
	.set _ZN7rocprim17ROCPRIM_400000_NS6detail17trampoline_kernelINS0_14default_configENS1_38merge_sort_block_merge_config_selectorIhlEEZZNS1_27merge_sort_block_merge_implIS3_PhN6thrust23THRUST_200600_302600_NS10device_ptrIlEEjNS1_19radix_merge_compareILb0ELb0EhNS0_19identity_decomposerEEEEE10hipError_tT0_T1_T2_jT3_P12ihipStream_tbPNSt15iterator_traitsISG_E10value_typeEPNSM_ISH_E10value_typeEPSI_NS1_7vsmem_tEENKUlT_SG_SH_SI_E_clIS7_S7_SB_PlEESF_SV_SG_SH_SI_EUlSV_E0_NS1_11comp_targetILNS1_3genE10ELNS1_11target_archE1201ELNS1_3gpuE5ELNS1_3repE0EEENS1_38merge_mergepath_config_static_selectorELNS0_4arch9wavefront6targetE1EEEvSH_.num_agpr, 0
	.set _ZN7rocprim17ROCPRIM_400000_NS6detail17trampoline_kernelINS0_14default_configENS1_38merge_sort_block_merge_config_selectorIhlEEZZNS1_27merge_sort_block_merge_implIS3_PhN6thrust23THRUST_200600_302600_NS10device_ptrIlEEjNS1_19radix_merge_compareILb0ELb0EhNS0_19identity_decomposerEEEEE10hipError_tT0_T1_T2_jT3_P12ihipStream_tbPNSt15iterator_traitsISG_E10value_typeEPNSM_ISH_E10value_typeEPSI_NS1_7vsmem_tEENKUlT_SG_SH_SI_E_clIS7_S7_SB_PlEESF_SV_SG_SH_SI_EUlSV_E0_NS1_11comp_targetILNS1_3genE10ELNS1_11target_archE1201ELNS1_3gpuE5ELNS1_3repE0EEENS1_38merge_mergepath_config_static_selectorELNS0_4arch9wavefront6targetE1EEEvSH_.numbered_sgpr, 0
	.set _ZN7rocprim17ROCPRIM_400000_NS6detail17trampoline_kernelINS0_14default_configENS1_38merge_sort_block_merge_config_selectorIhlEEZZNS1_27merge_sort_block_merge_implIS3_PhN6thrust23THRUST_200600_302600_NS10device_ptrIlEEjNS1_19radix_merge_compareILb0ELb0EhNS0_19identity_decomposerEEEEE10hipError_tT0_T1_T2_jT3_P12ihipStream_tbPNSt15iterator_traitsISG_E10value_typeEPNSM_ISH_E10value_typeEPSI_NS1_7vsmem_tEENKUlT_SG_SH_SI_E_clIS7_S7_SB_PlEESF_SV_SG_SH_SI_EUlSV_E0_NS1_11comp_targetILNS1_3genE10ELNS1_11target_archE1201ELNS1_3gpuE5ELNS1_3repE0EEENS1_38merge_mergepath_config_static_selectorELNS0_4arch9wavefront6targetE1EEEvSH_.num_named_barrier, 0
	.set _ZN7rocprim17ROCPRIM_400000_NS6detail17trampoline_kernelINS0_14default_configENS1_38merge_sort_block_merge_config_selectorIhlEEZZNS1_27merge_sort_block_merge_implIS3_PhN6thrust23THRUST_200600_302600_NS10device_ptrIlEEjNS1_19radix_merge_compareILb0ELb0EhNS0_19identity_decomposerEEEEE10hipError_tT0_T1_T2_jT3_P12ihipStream_tbPNSt15iterator_traitsISG_E10value_typeEPNSM_ISH_E10value_typeEPSI_NS1_7vsmem_tEENKUlT_SG_SH_SI_E_clIS7_S7_SB_PlEESF_SV_SG_SH_SI_EUlSV_E0_NS1_11comp_targetILNS1_3genE10ELNS1_11target_archE1201ELNS1_3gpuE5ELNS1_3repE0EEENS1_38merge_mergepath_config_static_selectorELNS0_4arch9wavefront6targetE1EEEvSH_.private_seg_size, 0
	.set _ZN7rocprim17ROCPRIM_400000_NS6detail17trampoline_kernelINS0_14default_configENS1_38merge_sort_block_merge_config_selectorIhlEEZZNS1_27merge_sort_block_merge_implIS3_PhN6thrust23THRUST_200600_302600_NS10device_ptrIlEEjNS1_19radix_merge_compareILb0ELb0EhNS0_19identity_decomposerEEEEE10hipError_tT0_T1_T2_jT3_P12ihipStream_tbPNSt15iterator_traitsISG_E10value_typeEPNSM_ISH_E10value_typeEPSI_NS1_7vsmem_tEENKUlT_SG_SH_SI_E_clIS7_S7_SB_PlEESF_SV_SG_SH_SI_EUlSV_E0_NS1_11comp_targetILNS1_3genE10ELNS1_11target_archE1201ELNS1_3gpuE5ELNS1_3repE0EEENS1_38merge_mergepath_config_static_selectorELNS0_4arch9wavefront6targetE1EEEvSH_.uses_vcc, 0
	.set _ZN7rocprim17ROCPRIM_400000_NS6detail17trampoline_kernelINS0_14default_configENS1_38merge_sort_block_merge_config_selectorIhlEEZZNS1_27merge_sort_block_merge_implIS3_PhN6thrust23THRUST_200600_302600_NS10device_ptrIlEEjNS1_19radix_merge_compareILb0ELb0EhNS0_19identity_decomposerEEEEE10hipError_tT0_T1_T2_jT3_P12ihipStream_tbPNSt15iterator_traitsISG_E10value_typeEPNSM_ISH_E10value_typeEPSI_NS1_7vsmem_tEENKUlT_SG_SH_SI_E_clIS7_S7_SB_PlEESF_SV_SG_SH_SI_EUlSV_E0_NS1_11comp_targetILNS1_3genE10ELNS1_11target_archE1201ELNS1_3gpuE5ELNS1_3repE0EEENS1_38merge_mergepath_config_static_selectorELNS0_4arch9wavefront6targetE1EEEvSH_.uses_flat_scratch, 0
	.set _ZN7rocprim17ROCPRIM_400000_NS6detail17trampoline_kernelINS0_14default_configENS1_38merge_sort_block_merge_config_selectorIhlEEZZNS1_27merge_sort_block_merge_implIS3_PhN6thrust23THRUST_200600_302600_NS10device_ptrIlEEjNS1_19radix_merge_compareILb0ELb0EhNS0_19identity_decomposerEEEEE10hipError_tT0_T1_T2_jT3_P12ihipStream_tbPNSt15iterator_traitsISG_E10value_typeEPNSM_ISH_E10value_typeEPSI_NS1_7vsmem_tEENKUlT_SG_SH_SI_E_clIS7_S7_SB_PlEESF_SV_SG_SH_SI_EUlSV_E0_NS1_11comp_targetILNS1_3genE10ELNS1_11target_archE1201ELNS1_3gpuE5ELNS1_3repE0EEENS1_38merge_mergepath_config_static_selectorELNS0_4arch9wavefront6targetE1EEEvSH_.has_dyn_sized_stack, 0
	.set _ZN7rocprim17ROCPRIM_400000_NS6detail17trampoline_kernelINS0_14default_configENS1_38merge_sort_block_merge_config_selectorIhlEEZZNS1_27merge_sort_block_merge_implIS3_PhN6thrust23THRUST_200600_302600_NS10device_ptrIlEEjNS1_19radix_merge_compareILb0ELb0EhNS0_19identity_decomposerEEEEE10hipError_tT0_T1_T2_jT3_P12ihipStream_tbPNSt15iterator_traitsISG_E10value_typeEPNSM_ISH_E10value_typeEPSI_NS1_7vsmem_tEENKUlT_SG_SH_SI_E_clIS7_S7_SB_PlEESF_SV_SG_SH_SI_EUlSV_E0_NS1_11comp_targetILNS1_3genE10ELNS1_11target_archE1201ELNS1_3gpuE5ELNS1_3repE0EEENS1_38merge_mergepath_config_static_selectorELNS0_4arch9wavefront6targetE1EEEvSH_.has_recursion, 0
	.set _ZN7rocprim17ROCPRIM_400000_NS6detail17trampoline_kernelINS0_14default_configENS1_38merge_sort_block_merge_config_selectorIhlEEZZNS1_27merge_sort_block_merge_implIS3_PhN6thrust23THRUST_200600_302600_NS10device_ptrIlEEjNS1_19radix_merge_compareILb0ELb0EhNS0_19identity_decomposerEEEEE10hipError_tT0_T1_T2_jT3_P12ihipStream_tbPNSt15iterator_traitsISG_E10value_typeEPNSM_ISH_E10value_typeEPSI_NS1_7vsmem_tEENKUlT_SG_SH_SI_E_clIS7_S7_SB_PlEESF_SV_SG_SH_SI_EUlSV_E0_NS1_11comp_targetILNS1_3genE10ELNS1_11target_archE1201ELNS1_3gpuE5ELNS1_3repE0EEENS1_38merge_mergepath_config_static_selectorELNS0_4arch9wavefront6targetE1EEEvSH_.has_indirect_call, 0
	.section	.AMDGPU.csdata,"",@progbits
; Kernel info:
; codeLenInByte = 0
; TotalNumSgprs: 4
; NumVgprs: 0
; ScratchSize: 0
; MemoryBound: 0
; FloatMode: 240
; IeeeMode: 1
; LDSByteSize: 0 bytes/workgroup (compile time only)
; SGPRBlocks: 0
; VGPRBlocks: 0
; NumSGPRsForWavesPerEU: 4
; NumVGPRsForWavesPerEU: 1
; Occupancy: 10
; WaveLimiterHint : 0
; COMPUTE_PGM_RSRC2:SCRATCH_EN: 0
; COMPUTE_PGM_RSRC2:USER_SGPR: 6
; COMPUTE_PGM_RSRC2:TRAP_HANDLER: 0
; COMPUTE_PGM_RSRC2:TGID_X_EN: 1
; COMPUTE_PGM_RSRC2:TGID_Y_EN: 0
; COMPUTE_PGM_RSRC2:TGID_Z_EN: 0
; COMPUTE_PGM_RSRC2:TIDIG_COMP_CNT: 0
	.section	.text._ZN7rocprim17ROCPRIM_400000_NS6detail17trampoline_kernelINS0_14default_configENS1_38merge_sort_block_merge_config_selectorIhlEEZZNS1_27merge_sort_block_merge_implIS3_PhN6thrust23THRUST_200600_302600_NS10device_ptrIlEEjNS1_19radix_merge_compareILb0ELb0EhNS0_19identity_decomposerEEEEE10hipError_tT0_T1_T2_jT3_P12ihipStream_tbPNSt15iterator_traitsISG_E10value_typeEPNSM_ISH_E10value_typeEPSI_NS1_7vsmem_tEENKUlT_SG_SH_SI_E_clIS7_S7_SB_PlEESF_SV_SG_SH_SI_EUlSV_E0_NS1_11comp_targetILNS1_3genE5ELNS1_11target_archE942ELNS1_3gpuE9ELNS1_3repE0EEENS1_38merge_mergepath_config_static_selectorELNS0_4arch9wavefront6targetE1EEEvSH_,"axG",@progbits,_ZN7rocprim17ROCPRIM_400000_NS6detail17trampoline_kernelINS0_14default_configENS1_38merge_sort_block_merge_config_selectorIhlEEZZNS1_27merge_sort_block_merge_implIS3_PhN6thrust23THRUST_200600_302600_NS10device_ptrIlEEjNS1_19radix_merge_compareILb0ELb0EhNS0_19identity_decomposerEEEEE10hipError_tT0_T1_T2_jT3_P12ihipStream_tbPNSt15iterator_traitsISG_E10value_typeEPNSM_ISH_E10value_typeEPSI_NS1_7vsmem_tEENKUlT_SG_SH_SI_E_clIS7_S7_SB_PlEESF_SV_SG_SH_SI_EUlSV_E0_NS1_11comp_targetILNS1_3genE5ELNS1_11target_archE942ELNS1_3gpuE9ELNS1_3repE0EEENS1_38merge_mergepath_config_static_selectorELNS0_4arch9wavefront6targetE1EEEvSH_,comdat
	.protected	_ZN7rocprim17ROCPRIM_400000_NS6detail17trampoline_kernelINS0_14default_configENS1_38merge_sort_block_merge_config_selectorIhlEEZZNS1_27merge_sort_block_merge_implIS3_PhN6thrust23THRUST_200600_302600_NS10device_ptrIlEEjNS1_19radix_merge_compareILb0ELb0EhNS0_19identity_decomposerEEEEE10hipError_tT0_T1_T2_jT3_P12ihipStream_tbPNSt15iterator_traitsISG_E10value_typeEPNSM_ISH_E10value_typeEPSI_NS1_7vsmem_tEENKUlT_SG_SH_SI_E_clIS7_S7_SB_PlEESF_SV_SG_SH_SI_EUlSV_E0_NS1_11comp_targetILNS1_3genE5ELNS1_11target_archE942ELNS1_3gpuE9ELNS1_3repE0EEENS1_38merge_mergepath_config_static_selectorELNS0_4arch9wavefront6targetE1EEEvSH_ ; -- Begin function _ZN7rocprim17ROCPRIM_400000_NS6detail17trampoline_kernelINS0_14default_configENS1_38merge_sort_block_merge_config_selectorIhlEEZZNS1_27merge_sort_block_merge_implIS3_PhN6thrust23THRUST_200600_302600_NS10device_ptrIlEEjNS1_19radix_merge_compareILb0ELb0EhNS0_19identity_decomposerEEEEE10hipError_tT0_T1_T2_jT3_P12ihipStream_tbPNSt15iterator_traitsISG_E10value_typeEPNSM_ISH_E10value_typeEPSI_NS1_7vsmem_tEENKUlT_SG_SH_SI_E_clIS7_S7_SB_PlEESF_SV_SG_SH_SI_EUlSV_E0_NS1_11comp_targetILNS1_3genE5ELNS1_11target_archE942ELNS1_3gpuE9ELNS1_3repE0EEENS1_38merge_mergepath_config_static_selectorELNS0_4arch9wavefront6targetE1EEEvSH_
	.globl	_ZN7rocprim17ROCPRIM_400000_NS6detail17trampoline_kernelINS0_14default_configENS1_38merge_sort_block_merge_config_selectorIhlEEZZNS1_27merge_sort_block_merge_implIS3_PhN6thrust23THRUST_200600_302600_NS10device_ptrIlEEjNS1_19radix_merge_compareILb0ELb0EhNS0_19identity_decomposerEEEEE10hipError_tT0_T1_T2_jT3_P12ihipStream_tbPNSt15iterator_traitsISG_E10value_typeEPNSM_ISH_E10value_typeEPSI_NS1_7vsmem_tEENKUlT_SG_SH_SI_E_clIS7_S7_SB_PlEESF_SV_SG_SH_SI_EUlSV_E0_NS1_11comp_targetILNS1_3genE5ELNS1_11target_archE942ELNS1_3gpuE9ELNS1_3repE0EEENS1_38merge_mergepath_config_static_selectorELNS0_4arch9wavefront6targetE1EEEvSH_
	.p2align	8
	.type	_ZN7rocprim17ROCPRIM_400000_NS6detail17trampoline_kernelINS0_14default_configENS1_38merge_sort_block_merge_config_selectorIhlEEZZNS1_27merge_sort_block_merge_implIS3_PhN6thrust23THRUST_200600_302600_NS10device_ptrIlEEjNS1_19radix_merge_compareILb0ELb0EhNS0_19identity_decomposerEEEEE10hipError_tT0_T1_T2_jT3_P12ihipStream_tbPNSt15iterator_traitsISG_E10value_typeEPNSM_ISH_E10value_typeEPSI_NS1_7vsmem_tEENKUlT_SG_SH_SI_E_clIS7_S7_SB_PlEESF_SV_SG_SH_SI_EUlSV_E0_NS1_11comp_targetILNS1_3genE5ELNS1_11target_archE942ELNS1_3gpuE9ELNS1_3repE0EEENS1_38merge_mergepath_config_static_selectorELNS0_4arch9wavefront6targetE1EEEvSH_,@function
_ZN7rocprim17ROCPRIM_400000_NS6detail17trampoline_kernelINS0_14default_configENS1_38merge_sort_block_merge_config_selectorIhlEEZZNS1_27merge_sort_block_merge_implIS3_PhN6thrust23THRUST_200600_302600_NS10device_ptrIlEEjNS1_19radix_merge_compareILb0ELb0EhNS0_19identity_decomposerEEEEE10hipError_tT0_T1_T2_jT3_P12ihipStream_tbPNSt15iterator_traitsISG_E10value_typeEPNSM_ISH_E10value_typeEPSI_NS1_7vsmem_tEENKUlT_SG_SH_SI_E_clIS7_S7_SB_PlEESF_SV_SG_SH_SI_EUlSV_E0_NS1_11comp_targetILNS1_3genE5ELNS1_11target_archE942ELNS1_3gpuE9ELNS1_3repE0EEENS1_38merge_mergepath_config_static_selectorELNS0_4arch9wavefront6targetE1EEEvSH_: ; @_ZN7rocprim17ROCPRIM_400000_NS6detail17trampoline_kernelINS0_14default_configENS1_38merge_sort_block_merge_config_selectorIhlEEZZNS1_27merge_sort_block_merge_implIS3_PhN6thrust23THRUST_200600_302600_NS10device_ptrIlEEjNS1_19radix_merge_compareILb0ELb0EhNS0_19identity_decomposerEEEEE10hipError_tT0_T1_T2_jT3_P12ihipStream_tbPNSt15iterator_traitsISG_E10value_typeEPNSM_ISH_E10value_typeEPSI_NS1_7vsmem_tEENKUlT_SG_SH_SI_E_clIS7_S7_SB_PlEESF_SV_SG_SH_SI_EUlSV_E0_NS1_11comp_targetILNS1_3genE5ELNS1_11target_archE942ELNS1_3gpuE9ELNS1_3repE0EEENS1_38merge_mergepath_config_static_selectorELNS0_4arch9wavefront6targetE1EEEvSH_
; %bb.0:
	.section	.rodata,"a",@progbits
	.p2align	6, 0x0
	.amdhsa_kernel _ZN7rocprim17ROCPRIM_400000_NS6detail17trampoline_kernelINS0_14default_configENS1_38merge_sort_block_merge_config_selectorIhlEEZZNS1_27merge_sort_block_merge_implIS3_PhN6thrust23THRUST_200600_302600_NS10device_ptrIlEEjNS1_19radix_merge_compareILb0ELb0EhNS0_19identity_decomposerEEEEE10hipError_tT0_T1_T2_jT3_P12ihipStream_tbPNSt15iterator_traitsISG_E10value_typeEPNSM_ISH_E10value_typeEPSI_NS1_7vsmem_tEENKUlT_SG_SH_SI_E_clIS7_S7_SB_PlEESF_SV_SG_SH_SI_EUlSV_E0_NS1_11comp_targetILNS1_3genE5ELNS1_11target_archE942ELNS1_3gpuE9ELNS1_3repE0EEENS1_38merge_mergepath_config_static_selectorELNS0_4arch9wavefront6targetE1EEEvSH_
		.amdhsa_group_segment_fixed_size 0
		.amdhsa_private_segment_fixed_size 0
		.amdhsa_kernarg_size 64
		.amdhsa_user_sgpr_count 6
		.amdhsa_user_sgpr_private_segment_buffer 1
		.amdhsa_user_sgpr_dispatch_ptr 0
		.amdhsa_user_sgpr_queue_ptr 0
		.amdhsa_user_sgpr_kernarg_segment_ptr 1
		.amdhsa_user_sgpr_dispatch_id 0
		.amdhsa_user_sgpr_flat_scratch_init 0
		.amdhsa_user_sgpr_private_segment_size 0
		.amdhsa_uses_dynamic_stack 0
		.amdhsa_system_sgpr_private_segment_wavefront_offset 0
		.amdhsa_system_sgpr_workgroup_id_x 1
		.amdhsa_system_sgpr_workgroup_id_y 0
		.amdhsa_system_sgpr_workgroup_id_z 0
		.amdhsa_system_sgpr_workgroup_info 0
		.amdhsa_system_vgpr_workitem_id 0
		.amdhsa_next_free_vgpr 1
		.amdhsa_next_free_sgpr 0
		.amdhsa_reserve_vcc 0
		.amdhsa_reserve_flat_scratch 0
		.amdhsa_float_round_mode_32 0
		.amdhsa_float_round_mode_16_64 0
		.amdhsa_float_denorm_mode_32 3
		.amdhsa_float_denorm_mode_16_64 3
		.amdhsa_dx10_clamp 1
		.amdhsa_ieee_mode 1
		.amdhsa_fp16_overflow 0
		.amdhsa_exception_fp_ieee_invalid_op 0
		.amdhsa_exception_fp_denorm_src 0
		.amdhsa_exception_fp_ieee_div_zero 0
		.amdhsa_exception_fp_ieee_overflow 0
		.amdhsa_exception_fp_ieee_underflow 0
		.amdhsa_exception_fp_ieee_inexact 0
		.amdhsa_exception_int_div_zero 0
	.end_amdhsa_kernel
	.section	.text._ZN7rocprim17ROCPRIM_400000_NS6detail17trampoline_kernelINS0_14default_configENS1_38merge_sort_block_merge_config_selectorIhlEEZZNS1_27merge_sort_block_merge_implIS3_PhN6thrust23THRUST_200600_302600_NS10device_ptrIlEEjNS1_19radix_merge_compareILb0ELb0EhNS0_19identity_decomposerEEEEE10hipError_tT0_T1_T2_jT3_P12ihipStream_tbPNSt15iterator_traitsISG_E10value_typeEPNSM_ISH_E10value_typeEPSI_NS1_7vsmem_tEENKUlT_SG_SH_SI_E_clIS7_S7_SB_PlEESF_SV_SG_SH_SI_EUlSV_E0_NS1_11comp_targetILNS1_3genE5ELNS1_11target_archE942ELNS1_3gpuE9ELNS1_3repE0EEENS1_38merge_mergepath_config_static_selectorELNS0_4arch9wavefront6targetE1EEEvSH_,"axG",@progbits,_ZN7rocprim17ROCPRIM_400000_NS6detail17trampoline_kernelINS0_14default_configENS1_38merge_sort_block_merge_config_selectorIhlEEZZNS1_27merge_sort_block_merge_implIS3_PhN6thrust23THRUST_200600_302600_NS10device_ptrIlEEjNS1_19radix_merge_compareILb0ELb0EhNS0_19identity_decomposerEEEEE10hipError_tT0_T1_T2_jT3_P12ihipStream_tbPNSt15iterator_traitsISG_E10value_typeEPNSM_ISH_E10value_typeEPSI_NS1_7vsmem_tEENKUlT_SG_SH_SI_E_clIS7_S7_SB_PlEESF_SV_SG_SH_SI_EUlSV_E0_NS1_11comp_targetILNS1_3genE5ELNS1_11target_archE942ELNS1_3gpuE9ELNS1_3repE0EEENS1_38merge_mergepath_config_static_selectorELNS0_4arch9wavefront6targetE1EEEvSH_,comdat
.Lfunc_end158:
	.size	_ZN7rocprim17ROCPRIM_400000_NS6detail17trampoline_kernelINS0_14default_configENS1_38merge_sort_block_merge_config_selectorIhlEEZZNS1_27merge_sort_block_merge_implIS3_PhN6thrust23THRUST_200600_302600_NS10device_ptrIlEEjNS1_19radix_merge_compareILb0ELb0EhNS0_19identity_decomposerEEEEE10hipError_tT0_T1_T2_jT3_P12ihipStream_tbPNSt15iterator_traitsISG_E10value_typeEPNSM_ISH_E10value_typeEPSI_NS1_7vsmem_tEENKUlT_SG_SH_SI_E_clIS7_S7_SB_PlEESF_SV_SG_SH_SI_EUlSV_E0_NS1_11comp_targetILNS1_3genE5ELNS1_11target_archE942ELNS1_3gpuE9ELNS1_3repE0EEENS1_38merge_mergepath_config_static_selectorELNS0_4arch9wavefront6targetE1EEEvSH_, .Lfunc_end158-_ZN7rocprim17ROCPRIM_400000_NS6detail17trampoline_kernelINS0_14default_configENS1_38merge_sort_block_merge_config_selectorIhlEEZZNS1_27merge_sort_block_merge_implIS3_PhN6thrust23THRUST_200600_302600_NS10device_ptrIlEEjNS1_19radix_merge_compareILb0ELb0EhNS0_19identity_decomposerEEEEE10hipError_tT0_T1_T2_jT3_P12ihipStream_tbPNSt15iterator_traitsISG_E10value_typeEPNSM_ISH_E10value_typeEPSI_NS1_7vsmem_tEENKUlT_SG_SH_SI_E_clIS7_S7_SB_PlEESF_SV_SG_SH_SI_EUlSV_E0_NS1_11comp_targetILNS1_3genE5ELNS1_11target_archE942ELNS1_3gpuE9ELNS1_3repE0EEENS1_38merge_mergepath_config_static_selectorELNS0_4arch9wavefront6targetE1EEEvSH_
                                        ; -- End function
	.set _ZN7rocprim17ROCPRIM_400000_NS6detail17trampoline_kernelINS0_14default_configENS1_38merge_sort_block_merge_config_selectorIhlEEZZNS1_27merge_sort_block_merge_implIS3_PhN6thrust23THRUST_200600_302600_NS10device_ptrIlEEjNS1_19radix_merge_compareILb0ELb0EhNS0_19identity_decomposerEEEEE10hipError_tT0_T1_T2_jT3_P12ihipStream_tbPNSt15iterator_traitsISG_E10value_typeEPNSM_ISH_E10value_typeEPSI_NS1_7vsmem_tEENKUlT_SG_SH_SI_E_clIS7_S7_SB_PlEESF_SV_SG_SH_SI_EUlSV_E0_NS1_11comp_targetILNS1_3genE5ELNS1_11target_archE942ELNS1_3gpuE9ELNS1_3repE0EEENS1_38merge_mergepath_config_static_selectorELNS0_4arch9wavefront6targetE1EEEvSH_.num_vgpr, 0
	.set _ZN7rocprim17ROCPRIM_400000_NS6detail17trampoline_kernelINS0_14default_configENS1_38merge_sort_block_merge_config_selectorIhlEEZZNS1_27merge_sort_block_merge_implIS3_PhN6thrust23THRUST_200600_302600_NS10device_ptrIlEEjNS1_19radix_merge_compareILb0ELb0EhNS0_19identity_decomposerEEEEE10hipError_tT0_T1_T2_jT3_P12ihipStream_tbPNSt15iterator_traitsISG_E10value_typeEPNSM_ISH_E10value_typeEPSI_NS1_7vsmem_tEENKUlT_SG_SH_SI_E_clIS7_S7_SB_PlEESF_SV_SG_SH_SI_EUlSV_E0_NS1_11comp_targetILNS1_3genE5ELNS1_11target_archE942ELNS1_3gpuE9ELNS1_3repE0EEENS1_38merge_mergepath_config_static_selectorELNS0_4arch9wavefront6targetE1EEEvSH_.num_agpr, 0
	.set _ZN7rocprim17ROCPRIM_400000_NS6detail17trampoline_kernelINS0_14default_configENS1_38merge_sort_block_merge_config_selectorIhlEEZZNS1_27merge_sort_block_merge_implIS3_PhN6thrust23THRUST_200600_302600_NS10device_ptrIlEEjNS1_19radix_merge_compareILb0ELb0EhNS0_19identity_decomposerEEEEE10hipError_tT0_T1_T2_jT3_P12ihipStream_tbPNSt15iterator_traitsISG_E10value_typeEPNSM_ISH_E10value_typeEPSI_NS1_7vsmem_tEENKUlT_SG_SH_SI_E_clIS7_S7_SB_PlEESF_SV_SG_SH_SI_EUlSV_E0_NS1_11comp_targetILNS1_3genE5ELNS1_11target_archE942ELNS1_3gpuE9ELNS1_3repE0EEENS1_38merge_mergepath_config_static_selectorELNS0_4arch9wavefront6targetE1EEEvSH_.numbered_sgpr, 0
	.set _ZN7rocprim17ROCPRIM_400000_NS6detail17trampoline_kernelINS0_14default_configENS1_38merge_sort_block_merge_config_selectorIhlEEZZNS1_27merge_sort_block_merge_implIS3_PhN6thrust23THRUST_200600_302600_NS10device_ptrIlEEjNS1_19radix_merge_compareILb0ELb0EhNS0_19identity_decomposerEEEEE10hipError_tT0_T1_T2_jT3_P12ihipStream_tbPNSt15iterator_traitsISG_E10value_typeEPNSM_ISH_E10value_typeEPSI_NS1_7vsmem_tEENKUlT_SG_SH_SI_E_clIS7_S7_SB_PlEESF_SV_SG_SH_SI_EUlSV_E0_NS1_11comp_targetILNS1_3genE5ELNS1_11target_archE942ELNS1_3gpuE9ELNS1_3repE0EEENS1_38merge_mergepath_config_static_selectorELNS0_4arch9wavefront6targetE1EEEvSH_.num_named_barrier, 0
	.set _ZN7rocprim17ROCPRIM_400000_NS6detail17trampoline_kernelINS0_14default_configENS1_38merge_sort_block_merge_config_selectorIhlEEZZNS1_27merge_sort_block_merge_implIS3_PhN6thrust23THRUST_200600_302600_NS10device_ptrIlEEjNS1_19radix_merge_compareILb0ELb0EhNS0_19identity_decomposerEEEEE10hipError_tT0_T1_T2_jT3_P12ihipStream_tbPNSt15iterator_traitsISG_E10value_typeEPNSM_ISH_E10value_typeEPSI_NS1_7vsmem_tEENKUlT_SG_SH_SI_E_clIS7_S7_SB_PlEESF_SV_SG_SH_SI_EUlSV_E0_NS1_11comp_targetILNS1_3genE5ELNS1_11target_archE942ELNS1_3gpuE9ELNS1_3repE0EEENS1_38merge_mergepath_config_static_selectorELNS0_4arch9wavefront6targetE1EEEvSH_.private_seg_size, 0
	.set _ZN7rocprim17ROCPRIM_400000_NS6detail17trampoline_kernelINS0_14default_configENS1_38merge_sort_block_merge_config_selectorIhlEEZZNS1_27merge_sort_block_merge_implIS3_PhN6thrust23THRUST_200600_302600_NS10device_ptrIlEEjNS1_19radix_merge_compareILb0ELb0EhNS0_19identity_decomposerEEEEE10hipError_tT0_T1_T2_jT3_P12ihipStream_tbPNSt15iterator_traitsISG_E10value_typeEPNSM_ISH_E10value_typeEPSI_NS1_7vsmem_tEENKUlT_SG_SH_SI_E_clIS7_S7_SB_PlEESF_SV_SG_SH_SI_EUlSV_E0_NS1_11comp_targetILNS1_3genE5ELNS1_11target_archE942ELNS1_3gpuE9ELNS1_3repE0EEENS1_38merge_mergepath_config_static_selectorELNS0_4arch9wavefront6targetE1EEEvSH_.uses_vcc, 0
	.set _ZN7rocprim17ROCPRIM_400000_NS6detail17trampoline_kernelINS0_14default_configENS1_38merge_sort_block_merge_config_selectorIhlEEZZNS1_27merge_sort_block_merge_implIS3_PhN6thrust23THRUST_200600_302600_NS10device_ptrIlEEjNS1_19radix_merge_compareILb0ELb0EhNS0_19identity_decomposerEEEEE10hipError_tT0_T1_T2_jT3_P12ihipStream_tbPNSt15iterator_traitsISG_E10value_typeEPNSM_ISH_E10value_typeEPSI_NS1_7vsmem_tEENKUlT_SG_SH_SI_E_clIS7_S7_SB_PlEESF_SV_SG_SH_SI_EUlSV_E0_NS1_11comp_targetILNS1_3genE5ELNS1_11target_archE942ELNS1_3gpuE9ELNS1_3repE0EEENS1_38merge_mergepath_config_static_selectorELNS0_4arch9wavefront6targetE1EEEvSH_.uses_flat_scratch, 0
	.set _ZN7rocprim17ROCPRIM_400000_NS6detail17trampoline_kernelINS0_14default_configENS1_38merge_sort_block_merge_config_selectorIhlEEZZNS1_27merge_sort_block_merge_implIS3_PhN6thrust23THRUST_200600_302600_NS10device_ptrIlEEjNS1_19radix_merge_compareILb0ELb0EhNS0_19identity_decomposerEEEEE10hipError_tT0_T1_T2_jT3_P12ihipStream_tbPNSt15iterator_traitsISG_E10value_typeEPNSM_ISH_E10value_typeEPSI_NS1_7vsmem_tEENKUlT_SG_SH_SI_E_clIS7_S7_SB_PlEESF_SV_SG_SH_SI_EUlSV_E0_NS1_11comp_targetILNS1_3genE5ELNS1_11target_archE942ELNS1_3gpuE9ELNS1_3repE0EEENS1_38merge_mergepath_config_static_selectorELNS0_4arch9wavefront6targetE1EEEvSH_.has_dyn_sized_stack, 0
	.set _ZN7rocprim17ROCPRIM_400000_NS6detail17trampoline_kernelINS0_14default_configENS1_38merge_sort_block_merge_config_selectorIhlEEZZNS1_27merge_sort_block_merge_implIS3_PhN6thrust23THRUST_200600_302600_NS10device_ptrIlEEjNS1_19radix_merge_compareILb0ELb0EhNS0_19identity_decomposerEEEEE10hipError_tT0_T1_T2_jT3_P12ihipStream_tbPNSt15iterator_traitsISG_E10value_typeEPNSM_ISH_E10value_typeEPSI_NS1_7vsmem_tEENKUlT_SG_SH_SI_E_clIS7_S7_SB_PlEESF_SV_SG_SH_SI_EUlSV_E0_NS1_11comp_targetILNS1_3genE5ELNS1_11target_archE942ELNS1_3gpuE9ELNS1_3repE0EEENS1_38merge_mergepath_config_static_selectorELNS0_4arch9wavefront6targetE1EEEvSH_.has_recursion, 0
	.set _ZN7rocprim17ROCPRIM_400000_NS6detail17trampoline_kernelINS0_14default_configENS1_38merge_sort_block_merge_config_selectorIhlEEZZNS1_27merge_sort_block_merge_implIS3_PhN6thrust23THRUST_200600_302600_NS10device_ptrIlEEjNS1_19radix_merge_compareILb0ELb0EhNS0_19identity_decomposerEEEEE10hipError_tT0_T1_T2_jT3_P12ihipStream_tbPNSt15iterator_traitsISG_E10value_typeEPNSM_ISH_E10value_typeEPSI_NS1_7vsmem_tEENKUlT_SG_SH_SI_E_clIS7_S7_SB_PlEESF_SV_SG_SH_SI_EUlSV_E0_NS1_11comp_targetILNS1_3genE5ELNS1_11target_archE942ELNS1_3gpuE9ELNS1_3repE0EEENS1_38merge_mergepath_config_static_selectorELNS0_4arch9wavefront6targetE1EEEvSH_.has_indirect_call, 0
	.section	.AMDGPU.csdata,"",@progbits
; Kernel info:
; codeLenInByte = 0
; TotalNumSgprs: 4
; NumVgprs: 0
; ScratchSize: 0
; MemoryBound: 0
; FloatMode: 240
; IeeeMode: 1
; LDSByteSize: 0 bytes/workgroup (compile time only)
; SGPRBlocks: 0
; VGPRBlocks: 0
; NumSGPRsForWavesPerEU: 4
; NumVGPRsForWavesPerEU: 1
; Occupancy: 10
; WaveLimiterHint : 0
; COMPUTE_PGM_RSRC2:SCRATCH_EN: 0
; COMPUTE_PGM_RSRC2:USER_SGPR: 6
; COMPUTE_PGM_RSRC2:TRAP_HANDLER: 0
; COMPUTE_PGM_RSRC2:TGID_X_EN: 1
; COMPUTE_PGM_RSRC2:TGID_Y_EN: 0
; COMPUTE_PGM_RSRC2:TGID_Z_EN: 0
; COMPUTE_PGM_RSRC2:TIDIG_COMP_CNT: 0
	.section	.text._ZN7rocprim17ROCPRIM_400000_NS6detail17trampoline_kernelINS0_14default_configENS1_38merge_sort_block_merge_config_selectorIhlEEZZNS1_27merge_sort_block_merge_implIS3_PhN6thrust23THRUST_200600_302600_NS10device_ptrIlEEjNS1_19radix_merge_compareILb0ELb0EhNS0_19identity_decomposerEEEEE10hipError_tT0_T1_T2_jT3_P12ihipStream_tbPNSt15iterator_traitsISG_E10value_typeEPNSM_ISH_E10value_typeEPSI_NS1_7vsmem_tEENKUlT_SG_SH_SI_E_clIS7_S7_SB_PlEESF_SV_SG_SH_SI_EUlSV_E0_NS1_11comp_targetILNS1_3genE4ELNS1_11target_archE910ELNS1_3gpuE8ELNS1_3repE0EEENS1_38merge_mergepath_config_static_selectorELNS0_4arch9wavefront6targetE1EEEvSH_,"axG",@progbits,_ZN7rocprim17ROCPRIM_400000_NS6detail17trampoline_kernelINS0_14default_configENS1_38merge_sort_block_merge_config_selectorIhlEEZZNS1_27merge_sort_block_merge_implIS3_PhN6thrust23THRUST_200600_302600_NS10device_ptrIlEEjNS1_19radix_merge_compareILb0ELb0EhNS0_19identity_decomposerEEEEE10hipError_tT0_T1_T2_jT3_P12ihipStream_tbPNSt15iterator_traitsISG_E10value_typeEPNSM_ISH_E10value_typeEPSI_NS1_7vsmem_tEENKUlT_SG_SH_SI_E_clIS7_S7_SB_PlEESF_SV_SG_SH_SI_EUlSV_E0_NS1_11comp_targetILNS1_3genE4ELNS1_11target_archE910ELNS1_3gpuE8ELNS1_3repE0EEENS1_38merge_mergepath_config_static_selectorELNS0_4arch9wavefront6targetE1EEEvSH_,comdat
	.protected	_ZN7rocprim17ROCPRIM_400000_NS6detail17trampoline_kernelINS0_14default_configENS1_38merge_sort_block_merge_config_selectorIhlEEZZNS1_27merge_sort_block_merge_implIS3_PhN6thrust23THRUST_200600_302600_NS10device_ptrIlEEjNS1_19radix_merge_compareILb0ELb0EhNS0_19identity_decomposerEEEEE10hipError_tT0_T1_T2_jT3_P12ihipStream_tbPNSt15iterator_traitsISG_E10value_typeEPNSM_ISH_E10value_typeEPSI_NS1_7vsmem_tEENKUlT_SG_SH_SI_E_clIS7_S7_SB_PlEESF_SV_SG_SH_SI_EUlSV_E0_NS1_11comp_targetILNS1_3genE4ELNS1_11target_archE910ELNS1_3gpuE8ELNS1_3repE0EEENS1_38merge_mergepath_config_static_selectorELNS0_4arch9wavefront6targetE1EEEvSH_ ; -- Begin function _ZN7rocprim17ROCPRIM_400000_NS6detail17trampoline_kernelINS0_14default_configENS1_38merge_sort_block_merge_config_selectorIhlEEZZNS1_27merge_sort_block_merge_implIS3_PhN6thrust23THRUST_200600_302600_NS10device_ptrIlEEjNS1_19radix_merge_compareILb0ELb0EhNS0_19identity_decomposerEEEEE10hipError_tT0_T1_T2_jT3_P12ihipStream_tbPNSt15iterator_traitsISG_E10value_typeEPNSM_ISH_E10value_typeEPSI_NS1_7vsmem_tEENKUlT_SG_SH_SI_E_clIS7_S7_SB_PlEESF_SV_SG_SH_SI_EUlSV_E0_NS1_11comp_targetILNS1_3genE4ELNS1_11target_archE910ELNS1_3gpuE8ELNS1_3repE0EEENS1_38merge_mergepath_config_static_selectorELNS0_4arch9wavefront6targetE1EEEvSH_
	.globl	_ZN7rocprim17ROCPRIM_400000_NS6detail17trampoline_kernelINS0_14default_configENS1_38merge_sort_block_merge_config_selectorIhlEEZZNS1_27merge_sort_block_merge_implIS3_PhN6thrust23THRUST_200600_302600_NS10device_ptrIlEEjNS1_19radix_merge_compareILb0ELb0EhNS0_19identity_decomposerEEEEE10hipError_tT0_T1_T2_jT3_P12ihipStream_tbPNSt15iterator_traitsISG_E10value_typeEPNSM_ISH_E10value_typeEPSI_NS1_7vsmem_tEENKUlT_SG_SH_SI_E_clIS7_S7_SB_PlEESF_SV_SG_SH_SI_EUlSV_E0_NS1_11comp_targetILNS1_3genE4ELNS1_11target_archE910ELNS1_3gpuE8ELNS1_3repE0EEENS1_38merge_mergepath_config_static_selectorELNS0_4arch9wavefront6targetE1EEEvSH_
	.p2align	8
	.type	_ZN7rocprim17ROCPRIM_400000_NS6detail17trampoline_kernelINS0_14default_configENS1_38merge_sort_block_merge_config_selectorIhlEEZZNS1_27merge_sort_block_merge_implIS3_PhN6thrust23THRUST_200600_302600_NS10device_ptrIlEEjNS1_19radix_merge_compareILb0ELb0EhNS0_19identity_decomposerEEEEE10hipError_tT0_T1_T2_jT3_P12ihipStream_tbPNSt15iterator_traitsISG_E10value_typeEPNSM_ISH_E10value_typeEPSI_NS1_7vsmem_tEENKUlT_SG_SH_SI_E_clIS7_S7_SB_PlEESF_SV_SG_SH_SI_EUlSV_E0_NS1_11comp_targetILNS1_3genE4ELNS1_11target_archE910ELNS1_3gpuE8ELNS1_3repE0EEENS1_38merge_mergepath_config_static_selectorELNS0_4arch9wavefront6targetE1EEEvSH_,@function
_ZN7rocprim17ROCPRIM_400000_NS6detail17trampoline_kernelINS0_14default_configENS1_38merge_sort_block_merge_config_selectorIhlEEZZNS1_27merge_sort_block_merge_implIS3_PhN6thrust23THRUST_200600_302600_NS10device_ptrIlEEjNS1_19radix_merge_compareILb0ELb0EhNS0_19identity_decomposerEEEEE10hipError_tT0_T1_T2_jT3_P12ihipStream_tbPNSt15iterator_traitsISG_E10value_typeEPNSM_ISH_E10value_typeEPSI_NS1_7vsmem_tEENKUlT_SG_SH_SI_E_clIS7_S7_SB_PlEESF_SV_SG_SH_SI_EUlSV_E0_NS1_11comp_targetILNS1_3genE4ELNS1_11target_archE910ELNS1_3gpuE8ELNS1_3repE0EEENS1_38merge_mergepath_config_static_selectorELNS0_4arch9wavefront6targetE1EEEvSH_: ; @_ZN7rocprim17ROCPRIM_400000_NS6detail17trampoline_kernelINS0_14default_configENS1_38merge_sort_block_merge_config_selectorIhlEEZZNS1_27merge_sort_block_merge_implIS3_PhN6thrust23THRUST_200600_302600_NS10device_ptrIlEEjNS1_19radix_merge_compareILb0ELb0EhNS0_19identity_decomposerEEEEE10hipError_tT0_T1_T2_jT3_P12ihipStream_tbPNSt15iterator_traitsISG_E10value_typeEPNSM_ISH_E10value_typeEPSI_NS1_7vsmem_tEENKUlT_SG_SH_SI_E_clIS7_S7_SB_PlEESF_SV_SG_SH_SI_EUlSV_E0_NS1_11comp_targetILNS1_3genE4ELNS1_11target_archE910ELNS1_3gpuE8ELNS1_3repE0EEENS1_38merge_mergepath_config_static_selectorELNS0_4arch9wavefront6targetE1EEEvSH_
; %bb.0:
	.section	.rodata,"a",@progbits
	.p2align	6, 0x0
	.amdhsa_kernel _ZN7rocprim17ROCPRIM_400000_NS6detail17trampoline_kernelINS0_14default_configENS1_38merge_sort_block_merge_config_selectorIhlEEZZNS1_27merge_sort_block_merge_implIS3_PhN6thrust23THRUST_200600_302600_NS10device_ptrIlEEjNS1_19radix_merge_compareILb0ELb0EhNS0_19identity_decomposerEEEEE10hipError_tT0_T1_T2_jT3_P12ihipStream_tbPNSt15iterator_traitsISG_E10value_typeEPNSM_ISH_E10value_typeEPSI_NS1_7vsmem_tEENKUlT_SG_SH_SI_E_clIS7_S7_SB_PlEESF_SV_SG_SH_SI_EUlSV_E0_NS1_11comp_targetILNS1_3genE4ELNS1_11target_archE910ELNS1_3gpuE8ELNS1_3repE0EEENS1_38merge_mergepath_config_static_selectorELNS0_4arch9wavefront6targetE1EEEvSH_
		.amdhsa_group_segment_fixed_size 0
		.amdhsa_private_segment_fixed_size 0
		.amdhsa_kernarg_size 64
		.amdhsa_user_sgpr_count 6
		.amdhsa_user_sgpr_private_segment_buffer 1
		.amdhsa_user_sgpr_dispatch_ptr 0
		.amdhsa_user_sgpr_queue_ptr 0
		.amdhsa_user_sgpr_kernarg_segment_ptr 1
		.amdhsa_user_sgpr_dispatch_id 0
		.amdhsa_user_sgpr_flat_scratch_init 0
		.amdhsa_user_sgpr_private_segment_size 0
		.amdhsa_uses_dynamic_stack 0
		.amdhsa_system_sgpr_private_segment_wavefront_offset 0
		.amdhsa_system_sgpr_workgroup_id_x 1
		.amdhsa_system_sgpr_workgroup_id_y 0
		.amdhsa_system_sgpr_workgroup_id_z 0
		.amdhsa_system_sgpr_workgroup_info 0
		.amdhsa_system_vgpr_workitem_id 0
		.amdhsa_next_free_vgpr 1
		.amdhsa_next_free_sgpr 0
		.amdhsa_reserve_vcc 0
		.amdhsa_reserve_flat_scratch 0
		.amdhsa_float_round_mode_32 0
		.amdhsa_float_round_mode_16_64 0
		.amdhsa_float_denorm_mode_32 3
		.amdhsa_float_denorm_mode_16_64 3
		.amdhsa_dx10_clamp 1
		.amdhsa_ieee_mode 1
		.amdhsa_fp16_overflow 0
		.amdhsa_exception_fp_ieee_invalid_op 0
		.amdhsa_exception_fp_denorm_src 0
		.amdhsa_exception_fp_ieee_div_zero 0
		.amdhsa_exception_fp_ieee_overflow 0
		.amdhsa_exception_fp_ieee_underflow 0
		.amdhsa_exception_fp_ieee_inexact 0
		.amdhsa_exception_int_div_zero 0
	.end_amdhsa_kernel
	.section	.text._ZN7rocprim17ROCPRIM_400000_NS6detail17trampoline_kernelINS0_14default_configENS1_38merge_sort_block_merge_config_selectorIhlEEZZNS1_27merge_sort_block_merge_implIS3_PhN6thrust23THRUST_200600_302600_NS10device_ptrIlEEjNS1_19radix_merge_compareILb0ELb0EhNS0_19identity_decomposerEEEEE10hipError_tT0_T1_T2_jT3_P12ihipStream_tbPNSt15iterator_traitsISG_E10value_typeEPNSM_ISH_E10value_typeEPSI_NS1_7vsmem_tEENKUlT_SG_SH_SI_E_clIS7_S7_SB_PlEESF_SV_SG_SH_SI_EUlSV_E0_NS1_11comp_targetILNS1_3genE4ELNS1_11target_archE910ELNS1_3gpuE8ELNS1_3repE0EEENS1_38merge_mergepath_config_static_selectorELNS0_4arch9wavefront6targetE1EEEvSH_,"axG",@progbits,_ZN7rocprim17ROCPRIM_400000_NS6detail17trampoline_kernelINS0_14default_configENS1_38merge_sort_block_merge_config_selectorIhlEEZZNS1_27merge_sort_block_merge_implIS3_PhN6thrust23THRUST_200600_302600_NS10device_ptrIlEEjNS1_19radix_merge_compareILb0ELb0EhNS0_19identity_decomposerEEEEE10hipError_tT0_T1_T2_jT3_P12ihipStream_tbPNSt15iterator_traitsISG_E10value_typeEPNSM_ISH_E10value_typeEPSI_NS1_7vsmem_tEENKUlT_SG_SH_SI_E_clIS7_S7_SB_PlEESF_SV_SG_SH_SI_EUlSV_E0_NS1_11comp_targetILNS1_3genE4ELNS1_11target_archE910ELNS1_3gpuE8ELNS1_3repE0EEENS1_38merge_mergepath_config_static_selectorELNS0_4arch9wavefront6targetE1EEEvSH_,comdat
.Lfunc_end159:
	.size	_ZN7rocprim17ROCPRIM_400000_NS6detail17trampoline_kernelINS0_14default_configENS1_38merge_sort_block_merge_config_selectorIhlEEZZNS1_27merge_sort_block_merge_implIS3_PhN6thrust23THRUST_200600_302600_NS10device_ptrIlEEjNS1_19radix_merge_compareILb0ELb0EhNS0_19identity_decomposerEEEEE10hipError_tT0_T1_T2_jT3_P12ihipStream_tbPNSt15iterator_traitsISG_E10value_typeEPNSM_ISH_E10value_typeEPSI_NS1_7vsmem_tEENKUlT_SG_SH_SI_E_clIS7_S7_SB_PlEESF_SV_SG_SH_SI_EUlSV_E0_NS1_11comp_targetILNS1_3genE4ELNS1_11target_archE910ELNS1_3gpuE8ELNS1_3repE0EEENS1_38merge_mergepath_config_static_selectorELNS0_4arch9wavefront6targetE1EEEvSH_, .Lfunc_end159-_ZN7rocprim17ROCPRIM_400000_NS6detail17trampoline_kernelINS0_14default_configENS1_38merge_sort_block_merge_config_selectorIhlEEZZNS1_27merge_sort_block_merge_implIS3_PhN6thrust23THRUST_200600_302600_NS10device_ptrIlEEjNS1_19radix_merge_compareILb0ELb0EhNS0_19identity_decomposerEEEEE10hipError_tT0_T1_T2_jT3_P12ihipStream_tbPNSt15iterator_traitsISG_E10value_typeEPNSM_ISH_E10value_typeEPSI_NS1_7vsmem_tEENKUlT_SG_SH_SI_E_clIS7_S7_SB_PlEESF_SV_SG_SH_SI_EUlSV_E0_NS1_11comp_targetILNS1_3genE4ELNS1_11target_archE910ELNS1_3gpuE8ELNS1_3repE0EEENS1_38merge_mergepath_config_static_selectorELNS0_4arch9wavefront6targetE1EEEvSH_
                                        ; -- End function
	.set _ZN7rocprim17ROCPRIM_400000_NS6detail17trampoline_kernelINS0_14default_configENS1_38merge_sort_block_merge_config_selectorIhlEEZZNS1_27merge_sort_block_merge_implIS3_PhN6thrust23THRUST_200600_302600_NS10device_ptrIlEEjNS1_19radix_merge_compareILb0ELb0EhNS0_19identity_decomposerEEEEE10hipError_tT0_T1_T2_jT3_P12ihipStream_tbPNSt15iterator_traitsISG_E10value_typeEPNSM_ISH_E10value_typeEPSI_NS1_7vsmem_tEENKUlT_SG_SH_SI_E_clIS7_S7_SB_PlEESF_SV_SG_SH_SI_EUlSV_E0_NS1_11comp_targetILNS1_3genE4ELNS1_11target_archE910ELNS1_3gpuE8ELNS1_3repE0EEENS1_38merge_mergepath_config_static_selectorELNS0_4arch9wavefront6targetE1EEEvSH_.num_vgpr, 0
	.set _ZN7rocprim17ROCPRIM_400000_NS6detail17trampoline_kernelINS0_14default_configENS1_38merge_sort_block_merge_config_selectorIhlEEZZNS1_27merge_sort_block_merge_implIS3_PhN6thrust23THRUST_200600_302600_NS10device_ptrIlEEjNS1_19radix_merge_compareILb0ELb0EhNS0_19identity_decomposerEEEEE10hipError_tT0_T1_T2_jT3_P12ihipStream_tbPNSt15iterator_traitsISG_E10value_typeEPNSM_ISH_E10value_typeEPSI_NS1_7vsmem_tEENKUlT_SG_SH_SI_E_clIS7_S7_SB_PlEESF_SV_SG_SH_SI_EUlSV_E0_NS1_11comp_targetILNS1_3genE4ELNS1_11target_archE910ELNS1_3gpuE8ELNS1_3repE0EEENS1_38merge_mergepath_config_static_selectorELNS0_4arch9wavefront6targetE1EEEvSH_.num_agpr, 0
	.set _ZN7rocprim17ROCPRIM_400000_NS6detail17trampoline_kernelINS0_14default_configENS1_38merge_sort_block_merge_config_selectorIhlEEZZNS1_27merge_sort_block_merge_implIS3_PhN6thrust23THRUST_200600_302600_NS10device_ptrIlEEjNS1_19radix_merge_compareILb0ELb0EhNS0_19identity_decomposerEEEEE10hipError_tT0_T1_T2_jT3_P12ihipStream_tbPNSt15iterator_traitsISG_E10value_typeEPNSM_ISH_E10value_typeEPSI_NS1_7vsmem_tEENKUlT_SG_SH_SI_E_clIS7_S7_SB_PlEESF_SV_SG_SH_SI_EUlSV_E0_NS1_11comp_targetILNS1_3genE4ELNS1_11target_archE910ELNS1_3gpuE8ELNS1_3repE0EEENS1_38merge_mergepath_config_static_selectorELNS0_4arch9wavefront6targetE1EEEvSH_.numbered_sgpr, 0
	.set _ZN7rocprim17ROCPRIM_400000_NS6detail17trampoline_kernelINS0_14default_configENS1_38merge_sort_block_merge_config_selectorIhlEEZZNS1_27merge_sort_block_merge_implIS3_PhN6thrust23THRUST_200600_302600_NS10device_ptrIlEEjNS1_19radix_merge_compareILb0ELb0EhNS0_19identity_decomposerEEEEE10hipError_tT0_T1_T2_jT3_P12ihipStream_tbPNSt15iterator_traitsISG_E10value_typeEPNSM_ISH_E10value_typeEPSI_NS1_7vsmem_tEENKUlT_SG_SH_SI_E_clIS7_S7_SB_PlEESF_SV_SG_SH_SI_EUlSV_E0_NS1_11comp_targetILNS1_3genE4ELNS1_11target_archE910ELNS1_3gpuE8ELNS1_3repE0EEENS1_38merge_mergepath_config_static_selectorELNS0_4arch9wavefront6targetE1EEEvSH_.num_named_barrier, 0
	.set _ZN7rocprim17ROCPRIM_400000_NS6detail17trampoline_kernelINS0_14default_configENS1_38merge_sort_block_merge_config_selectorIhlEEZZNS1_27merge_sort_block_merge_implIS3_PhN6thrust23THRUST_200600_302600_NS10device_ptrIlEEjNS1_19radix_merge_compareILb0ELb0EhNS0_19identity_decomposerEEEEE10hipError_tT0_T1_T2_jT3_P12ihipStream_tbPNSt15iterator_traitsISG_E10value_typeEPNSM_ISH_E10value_typeEPSI_NS1_7vsmem_tEENKUlT_SG_SH_SI_E_clIS7_S7_SB_PlEESF_SV_SG_SH_SI_EUlSV_E0_NS1_11comp_targetILNS1_3genE4ELNS1_11target_archE910ELNS1_3gpuE8ELNS1_3repE0EEENS1_38merge_mergepath_config_static_selectorELNS0_4arch9wavefront6targetE1EEEvSH_.private_seg_size, 0
	.set _ZN7rocprim17ROCPRIM_400000_NS6detail17trampoline_kernelINS0_14default_configENS1_38merge_sort_block_merge_config_selectorIhlEEZZNS1_27merge_sort_block_merge_implIS3_PhN6thrust23THRUST_200600_302600_NS10device_ptrIlEEjNS1_19radix_merge_compareILb0ELb0EhNS0_19identity_decomposerEEEEE10hipError_tT0_T1_T2_jT3_P12ihipStream_tbPNSt15iterator_traitsISG_E10value_typeEPNSM_ISH_E10value_typeEPSI_NS1_7vsmem_tEENKUlT_SG_SH_SI_E_clIS7_S7_SB_PlEESF_SV_SG_SH_SI_EUlSV_E0_NS1_11comp_targetILNS1_3genE4ELNS1_11target_archE910ELNS1_3gpuE8ELNS1_3repE0EEENS1_38merge_mergepath_config_static_selectorELNS0_4arch9wavefront6targetE1EEEvSH_.uses_vcc, 0
	.set _ZN7rocprim17ROCPRIM_400000_NS6detail17trampoline_kernelINS0_14default_configENS1_38merge_sort_block_merge_config_selectorIhlEEZZNS1_27merge_sort_block_merge_implIS3_PhN6thrust23THRUST_200600_302600_NS10device_ptrIlEEjNS1_19radix_merge_compareILb0ELb0EhNS0_19identity_decomposerEEEEE10hipError_tT0_T1_T2_jT3_P12ihipStream_tbPNSt15iterator_traitsISG_E10value_typeEPNSM_ISH_E10value_typeEPSI_NS1_7vsmem_tEENKUlT_SG_SH_SI_E_clIS7_S7_SB_PlEESF_SV_SG_SH_SI_EUlSV_E0_NS1_11comp_targetILNS1_3genE4ELNS1_11target_archE910ELNS1_3gpuE8ELNS1_3repE0EEENS1_38merge_mergepath_config_static_selectorELNS0_4arch9wavefront6targetE1EEEvSH_.uses_flat_scratch, 0
	.set _ZN7rocprim17ROCPRIM_400000_NS6detail17trampoline_kernelINS0_14default_configENS1_38merge_sort_block_merge_config_selectorIhlEEZZNS1_27merge_sort_block_merge_implIS3_PhN6thrust23THRUST_200600_302600_NS10device_ptrIlEEjNS1_19radix_merge_compareILb0ELb0EhNS0_19identity_decomposerEEEEE10hipError_tT0_T1_T2_jT3_P12ihipStream_tbPNSt15iterator_traitsISG_E10value_typeEPNSM_ISH_E10value_typeEPSI_NS1_7vsmem_tEENKUlT_SG_SH_SI_E_clIS7_S7_SB_PlEESF_SV_SG_SH_SI_EUlSV_E0_NS1_11comp_targetILNS1_3genE4ELNS1_11target_archE910ELNS1_3gpuE8ELNS1_3repE0EEENS1_38merge_mergepath_config_static_selectorELNS0_4arch9wavefront6targetE1EEEvSH_.has_dyn_sized_stack, 0
	.set _ZN7rocprim17ROCPRIM_400000_NS6detail17trampoline_kernelINS0_14default_configENS1_38merge_sort_block_merge_config_selectorIhlEEZZNS1_27merge_sort_block_merge_implIS3_PhN6thrust23THRUST_200600_302600_NS10device_ptrIlEEjNS1_19radix_merge_compareILb0ELb0EhNS0_19identity_decomposerEEEEE10hipError_tT0_T1_T2_jT3_P12ihipStream_tbPNSt15iterator_traitsISG_E10value_typeEPNSM_ISH_E10value_typeEPSI_NS1_7vsmem_tEENKUlT_SG_SH_SI_E_clIS7_S7_SB_PlEESF_SV_SG_SH_SI_EUlSV_E0_NS1_11comp_targetILNS1_3genE4ELNS1_11target_archE910ELNS1_3gpuE8ELNS1_3repE0EEENS1_38merge_mergepath_config_static_selectorELNS0_4arch9wavefront6targetE1EEEvSH_.has_recursion, 0
	.set _ZN7rocprim17ROCPRIM_400000_NS6detail17trampoline_kernelINS0_14default_configENS1_38merge_sort_block_merge_config_selectorIhlEEZZNS1_27merge_sort_block_merge_implIS3_PhN6thrust23THRUST_200600_302600_NS10device_ptrIlEEjNS1_19radix_merge_compareILb0ELb0EhNS0_19identity_decomposerEEEEE10hipError_tT0_T1_T2_jT3_P12ihipStream_tbPNSt15iterator_traitsISG_E10value_typeEPNSM_ISH_E10value_typeEPSI_NS1_7vsmem_tEENKUlT_SG_SH_SI_E_clIS7_S7_SB_PlEESF_SV_SG_SH_SI_EUlSV_E0_NS1_11comp_targetILNS1_3genE4ELNS1_11target_archE910ELNS1_3gpuE8ELNS1_3repE0EEENS1_38merge_mergepath_config_static_selectorELNS0_4arch9wavefront6targetE1EEEvSH_.has_indirect_call, 0
	.section	.AMDGPU.csdata,"",@progbits
; Kernel info:
; codeLenInByte = 0
; TotalNumSgprs: 4
; NumVgprs: 0
; ScratchSize: 0
; MemoryBound: 0
; FloatMode: 240
; IeeeMode: 1
; LDSByteSize: 0 bytes/workgroup (compile time only)
; SGPRBlocks: 0
; VGPRBlocks: 0
; NumSGPRsForWavesPerEU: 4
; NumVGPRsForWavesPerEU: 1
; Occupancy: 10
; WaveLimiterHint : 0
; COMPUTE_PGM_RSRC2:SCRATCH_EN: 0
; COMPUTE_PGM_RSRC2:USER_SGPR: 6
; COMPUTE_PGM_RSRC2:TRAP_HANDLER: 0
; COMPUTE_PGM_RSRC2:TGID_X_EN: 1
; COMPUTE_PGM_RSRC2:TGID_Y_EN: 0
; COMPUTE_PGM_RSRC2:TGID_Z_EN: 0
; COMPUTE_PGM_RSRC2:TIDIG_COMP_CNT: 0
	.section	.text._ZN7rocprim17ROCPRIM_400000_NS6detail17trampoline_kernelINS0_14default_configENS1_38merge_sort_block_merge_config_selectorIhlEEZZNS1_27merge_sort_block_merge_implIS3_PhN6thrust23THRUST_200600_302600_NS10device_ptrIlEEjNS1_19radix_merge_compareILb0ELb0EhNS0_19identity_decomposerEEEEE10hipError_tT0_T1_T2_jT3_P12ihipStream_tbPNSt15iterator_traitsISG_E10value_typeEPNSM_ISH_E10value_typeEPSI_NS1_7vsmem_tEENKUlT_SG_SH_SI_E_clIS7_S7_SB_PlEESF_SV_SG_SH_SI_EUlSV_E0_NS1_11comp_targetILNS1_3genE3ELNS1_11target_archE908ELNS1_3gpuE7ELNS1_3repE0EEENS1_38merge_mergepath_config_static_selectorELNS0_4arch9wavefront6targetE1EEEvSH_,"axG",@progbits,_ZN7rocprim17ROCPRIM_400000_NS6detail17trampoline_kernelINS0_14default_configENS1_38merge_sort_block_merge_config_selectorIhlEEZZNS1_27merge_sort_block_merge_implIS3_PhN6thrust23THRUST_200600_302600_NS10device_ptrIlEEjNS1_19radix_merge_compareILb0ELb0EhNS0_19identity_decomposerEEEEE10hipError_tT0_T1_T2_jT3_P12ihipStream_tbPNSt15iterator_traitsISG_E10value_typeEPNSM_ISH_E10value_typeEPSI_NS1_7vsmem_tEENKUlT_SG_SH_SI_E_clIS7_S7_SB_PlEESF_SV_SG_SH_SI_EUlSV_E0_NS1_11comp_targetILNS1_3genE3ELNS1_11target_archE908ELNS1_3gpuE7ELNS1_3repE0EEENS1_38merge_mergepath_config_static_selectorELNS0_4arch9wavefront6targetE1EEEvSH_,comdat
	.protected	_ZN7rocprim17ROCPRIM_400000_NS6detail17trampoline_kernelINS0_14default_configENS1_38merge_sort_block_merge_config_selectorIhlEEZZNS1_27merge_sort_block_merge_implIS3_PhN6thrust23THRUST_200600_302600_NS10device_ptrIlEEjNS1_19radix_merge_compareILb0ELb0EhNS0_19identity_decomposerEEEEE10hipError_tT0_T1_T2_jT3_P12ihipStream_tbPNSt15iterator_traitsISG_E10value_typeEPNSM_ISH_E10value_typeEPSI_NS1_7vsmem_tEENKUlT_SG_SH_SI_E_clIS7_S7_SB_PlEESF_SV_SG_SH_SI_EUlSV_E0_NS1_11comp_targetILNS1_3genE3ELNS1_11target_archE908ELNS1_3gpuE7ELNS1_3repE0EEENS1_38merge_mergepath_config_static_selectorELNS0_4arch9wavefront6targetE1EEEvSH_ ; -- Begin function _ZN7rocprim17ROCPRIM_400000_NS6detail17trampoline_kernelINS0_14default_configENS1_38merge_sort_block_merge_config_selectorIhlEEZZNS1_27merge_sort_block_merge_implIS3_PhN6thrust23THRUST_200600_302600_NS10device_ptrIlEEjNS1_19radix_merge_compareILb0ELb0EhNS0_19identity_decomposerEEEEE10hipError_tT0_T1_T2_jT3_P12ihipStream_tbPNSt15iterator_traitsISG_E10value_typeEPNSM_ISH_E10value_typeEPSI_NS1_7vsmem_tEENKUlT_SG_SH_SI_E_clIS7_S7_SB_PlEESF_SV_SG_SH_SI_EUlSV_E0_NS1_11comp_targetILNS1_3genE3ELNS1_11target_archE908ELNS1_3gpuE7ELNS1_3repE0EEENS1_38merge_mergepath_config_static_selectorELNS0_4arch9wavefront6targetE1EEEvSH_
	.globl	_ZN7rocprim17ROCPRIM_400000_NS6detail17trampoline_kernelINS0_14default_configENS1_38merge_sort_block_merge_config_selectorIhlEEZZNS1_27merge_sort_block_merge_implIS3_PhN6thrust23THRUST_200600_302600_NS10device_ptrIlEEjNS1_19radix_merge_compareILb0ELb0EhNS0_19identity_decomposerEEEEE10hipError_tT0_T1_T2_jT3_P12ihipStream_tbPNSt15iterator_traitsISG_E10value_typeEPNSM_ISH_E10value_typeEPSI_NS1_7vsmem_tEENKUlT_SG_SH_SI_E_clIS7_S7_SB_PlEESF_SV_SG_SH_SI_EUlSV_E0_NS1_11comp_targetILNS1_3genE3ELNS1_11target_archE908ELNS1_3gpuE7ELNS1_3repE0EEENS1_38merge_mergepath_config_static_selectorELNS0_4arch9wavefront6targetE1EEEvSH_
	.p2align	8
	.type	_ZN7rocprim17ROCPRIM_400000_NS6detail17trampoline_kernelINS0_14default_configENS1_38merge_sort_block_merge_config_selectorIhlEEZZNS1_27merge_sort_block_merge_implIS3_PhN6thrust23THRUST_200600_302600_NS10device_ptrIlEEjNS1_19radix_merge_compareILb0ELb0EhNS0_19identity_decomposerEEEEE10hipError_tT0_T1_T2_jT3_P12ihipStream_tbPNSt15iterator_traitsISG_E10value_typeEPNSM_ISH_E10value_typeEPSI_NS1_7vsmem_tEENKUlT_SG_SH_SI_E_clIS7_S7_SB_PlEESF_SV_SG_SH_SI_EUlSV_E0_NS1_11comp_targetILNS1_3genE3ELNS1_11target_archE908ELNS1_3gpuE7ELNS1_3repE0EEENS1_38merge_mergepath_config_static_selectorELNS0_4arch9wavefront6targetE1EEEvSH_,@function
_ZN7rocprim17ROCPRIM_400000_NS6detail17trampoline_kernelINS0_14default_configENS1_38merge_sort_block_merge_config_selectorIhlEEZZNS1_27merge_sort_block_merge_implIS3_PhN6thrust23THRUST_200600_302600_NS10device_ptrIlEEjNS1_19radix_merge_compareILb0ELb0EhNS0_19identity_decomposerEEEEE10hipError_tT0_T1_T2_jT3_P12ihipStream_tbPNSt15iterator_traitsISG_E10value_typeEPNSM_ISH_E10value_typeEPSI_NS1_7vsmem_tEENKUlT_SG_SH_SI_E_clIS7_S7_SB_PlEESF_SV_SG_SH_SI_EUlSV_E0_NS1_11comp_targetILNS1_3genE3ELNS1_11target_archE908ELNS1_3gpuE7ELNS1_3repE0EEENS1_38merge_mergepath_config_static_selectorELNS0_4arch9wavefront6targetE1EEEvSH_: ; @_ZN7rocprim17ROCPRIM_400000_NS6detail17trampoline_kernelINS0_14default_configENS1_38merge_sort_block_merge_config_selectorIhlEEZZNS1_27merge_sort_block_merge_implIS3_PhN6thrust23THRUST_200600_302600_NS10device_ptrIlEEjNS1_19radix_merge_compareILb0ELb0EhNS0_19identity_decomposerEEEEE10hipError_tT0_T1_T2_jT3_P12ihipStream_tbPNSt15iterator_traitsISG_E10value_typeEPNSM_ISH_E10value_typeEPSI_NS1_7vsmem_tEENKUlT_SG_SH_SI_E_clIS7_S7_SB_PlEESF_SV_SG_SH_SI_EUlSV_E0_NS1_11comp_targetILNS1_3genE3ELNS1_11target_archE908ELNS1_3gpuE7ELNS1_3repE0EEENS1_38merge_mergepath_config_static_selectorELNS0_4arch9wavefront6targetE1EEEvSH_
; %bb.0:
	.section	.rodata,"a",@progbits
	.p2align	6, 0x0
	.amdhsa_kernel _ZN7rocprim17ROCPRIM_400000_NS6detail17trampoline_kernelINS0_14default_configENS1_38merge_sort_block_merge_config_selectorIhlEEZZNS1_27merge_sort_block_merge_implIS3_PhN6thrust23THRUST_200600_302600_NS10device_ptrIlEEjNS1_19radix_merge_compareILb0ELb0EhNS0_19identity_decomposerEEEEE10hipError_tT0_T1_T2_jT3_P12ihipStream_tbPNSt15iterator_traitsISG_E10value_typeEPNSM_ISH_E10value_typeEPSI_NS1_7vsmem_tEENKUlT_SG_SH_SI_E_clIS7_S7_SB_PlEESF_SV_SG_SH_SI_EUlSV_E0_NS1_11comp_targetILNS1_3genE3ELNS1_11target_archE908ELNS1_3gpuE7ELNS1_3repE0EEENS1_38merge_mergepath_config_static_selectorELNS0_4arch9wavefront6targetE1EEEvSH_
		.amdhsa_group_segment_fixed_size 0
		.amdhsa_private_segment_fixed_size 0
		.amdhsa_kernarg_size 64
		.amdhsa_user_sgpr_count 6
		.amdhsa_user_sgpr_private_segment_buffer 1
		.amdhsa_user_sgpr_dispatch_ptr 0
		.amdhsa_user_sgpr_queue_ptr 0
		.amdhsa_user_sgpr_kernarg_segment_ptr 1
		.amdhsa_user_sgpr_dispatch_id 0
		.amdhsa_user_sgpr_flat_scratch_init 0
		.amdhsa_user_sgpr_private_segment_size 0
		.amdhsa_uses_dynamic_stack 0
		.amdhsa_system_sgpr_private_segment_wavefront_offset 0
		.amdhsa_system_sgpr_workgroup_id_x 1
		.amdhsa_system_sgpr_workgroup_id_y 0
		.amdhsa_system_sgpr_workgroup_id_z 0
		.amdhsa_system_sgpr_workgroup_info 0
		.amdhsa_system_vgpr_workitem_id 0
		.amdhsa_next_free_vgpr 1
		.amdhsa_next_free_sgpr 0
		.amdhsa_reserve_vcc 0
		.amdhsa_reserve_flat_scratch 0
		.amdhsa_float_round_mode_32 0
		.amdhsa_float_round_mode_16_64 0
		.amdhsa_float_denorm_mode_32 3
		.amdhsa_float_denorm_mode_16_64 3
		.amdhsa_dx10_clamp 1
		.amdhsa_ieee_mode 1
		.amdhsa_fp16_overflow 0
		.amdhsa_exception_fp_ieee_invalid_op 0
		.amdhsa_exception_fp_denorm_src 0
		.amdhsa_exception_fp_ieee_div_zero 0
		.amdhsa_exception_fp_ieee_overflow 0
		.amdhsa_exception_fp_ieee_underflow 0
		.amdhsa_exception_fp_ieee_inexact 0
		.amdhsa_exception_int_div_zero 0
	.end_amdhsa_kernel
	.section	.text._ZN7rocprim17ROCPRIM_400000_NS6detail17trampoline_kernelINS0_14default_configENS1_38merge_sort_block_merge_config_selectorIhlEEZZNS1_27merge_sort_block_merge_implIS3_PhN6thrust23THRUST_200600_302600_NS10device_ptrIlEEjNS1_19radix_merge_compareILb0ELb0EhNS0_19identity_decomposerEEEEE10hipError_tT0_T1_T2_jT3_P12ihipStream_tbPNSt15iterator_traitsISG_E10value_typeEPNSM_ISH_E10value_typeEPSI_NS1_7vsmem_tEENKUlT_SG_SH_SI_E_clIS7_S7_SB_PlEESF_SV_SG_SH_SI_EUlSV_E0_NS1_11comp_targetILNS1_3genE3ELNS1_11target_archE908ELNS1_3gpuE7ELNS1_3repE0EEENS1_38merge_mergepath_config_static_selectorELNS0_4arch9wavefront6targetE1EEEvSH_,"axG",@progbits,_ZN7rocprim17ROCPRIM_400000_NS6detail17trampoline_kernelINS0_14default_configENS1_38merge_sort_block_merge_config_selectorIhlEEZZNS1_27merge_sort_block_merge_implIS3_PhN6thrust23THRUST_200600_302600_NS10device_ptrIlEEjNS1_19radix_merge_compareILb0ELb0EhNS0_19identity_decomposerEEEEE10hipError_tT0_T1_T2_jT3_P12ihipStream_tbPNSt15iterator_traitsISG_E10value_typeEPNSM_ISH_E10value_typeEPSI_NS1_7vsmem_tEENKUlT_SG_SH_SI_E_clIS7_S7_SB_PlEESF_SV_SG_SH_SI_EUlSV_E0_NS1_11comp_targetILNS1_3genE3ELNS1_11target_archE908ELNS1_3gpuE7ELNS1_3repE0EEENS1_38merge_mergepath_config_static_selectorELNS0_4arch9wavefront6targetE1EEEvSH_,comdat
.Lfunc_end160:
	.size	_ZN7rocprim17ROCPRIM_400000_NS6detail17trampoline_kernelINS0_14default_configENS1_38merge_sort_block_merge_config_selectorIhlEEZZNS1_27merge_sort_block_merge_implIS3_PhN6thrust23THRUST_200600_302600_NS10device_ptrIlEEjNS1_19radix_merge_compareILb0ELb0EhNS0_19identity_decomposerEEEEE10hipError_tT0_T1_T2_jT3_P12ihipStream_tbPNSt15iterator_traitsISG_E10value_typeEPNSM_ISH_E10value_typeEPSI_NS1_7vsmem_tEENKUlT_SG_SH_SI_E_clIS7_S7_SB_PlEESF_SV_SG_SH_SI_EUlSV_E0_NS1_11comp_targetILNS1_3genE3ELNS1_11target_archE908ELNS1_3gpuE7ELNS1_3repE0EEENS1_38merge_mergepath_config_static_selectorELNS0_4arch9wavefront6targetE1EEEvSH_, .Lfunc_end160-_ZN7rocprim17ROCPRIM_400000_NS6detail17trampoline_kernelINS0_14default_configENS1_38merge_sort_block_merge_config_selectorIhlEEZZNS1_27merge_sort_block_merge_implIS3_PhN6thrust23THRUST_200600_302600_NS10device_ptrIlEEjNS1_19radix_merge_compareILb0ELb0EhNS0_19identity_decomposerEEEEE10hipError_tT0_T1_T2_jT3_P12ihipStream_tbPNSt15iterator_traitsISG_E10value_typeEPNSM_ISH_E10value_typeEPSI_NS1_7vsmem_tEENKUlT_SG_SH_SI_E_clIS7_S7_SB_PlEESF_SV_SG_SH_SI_EUlSV_E0_NS1_11comp_targetILNS1_3genE3ELNS1_11target_archE908ELNS1_3gpuE7ELNS1_3repE0EEENS1_38merge_mergepath_config_static_selectorELNS0_4arch9wavefront6targetE1EEEvSH_
                                        ; -- End function
	.set _ZN7rocprim17ROCPRIM_400000_NS6detail17trampoline_kernelINS0_14default_configENS1_38merge_sort_block_merge_config_selectorIhlEEZZNS1_27merge_sort_block_merge_implIS3_PhN6thrust23THRUST_200600_302600_NS10device_ptrIlEEjNS1_19radix_merge_compareILb0ELb0EhNS0_19identity_decomposerEEEEE10hipError_tT0_T1_T2_jT3_P12ihipStream_tbPNSt15iterator_traitsISG_E10value_typeEPNSM_ISH_E10value_typeEPSI_NS1_7vsmem_tEENKUlT_SG_SH_SI_E_clIS7_S7_SB_PlEESF_SV_SG_SH_SI_EUlSV_E0_NS1_11comp_targetILNS1_3genE3ELNS1_11target_archE908ELNS1_3gpuE7ELNS1_3repE0EEENS1_38merge_mergepath_config_static_selectorELNS0_4arch9wavefront6targetE1EEEvSH_.num_vgpr, 0
	.set _ZN7rocprim17ROCPRIM_400000_NS6detail17trampoline_kernelINS0_14default_configENS1_38merge_sort_block_merge_config_selectorIhlEEZZNS1_27merge_sort_block_merge_implIS3_PhN6thrust23THRUST_200600_302600_NS10device_ptrIlEEjNS1_19radix_merge_compareILb0ELb0EhNS0_19identity_decomposerEEEEE10hipError_tT0_T1_T2_jT3_P12ihipStream_tbPNSt15iterator_traitsISG_E10value_typeEPNSM_ISH_E10value_typeEPSI_NS1_7vsmem_tEENKUlT_SG_SH_SI_E_clIS7_S7_SB_PlEESF_SV_SG_SH_SI_EUlSV_E0_NS1_11comp_targetILNS1_3genE3ELNS1_11target_archE908ELNS1_3gpuE7ELNS1_3repE0EEENS1_38merge_mergepath_config_static_selectorELNS0_4arch9wavefront6targetE1EEEvSH_.num_agpr, 0
	.set _ZN7rocprim17ROCPRIM_400000_NS6detail17trampoline_kernelINS0_14default_configENS1_38merge_sort_block_merge_config_selectorIhlEEZZNS1_27merge_sort_block_merge_implIS3_PhN6thrust23THRUST_200600_302600_NS10device_ptrIlEEjNS1_19radix_merge_compareILb0ELb0EhNS0_19identity_decomposerEEEEE10hipError_tT0_T1_T2_jT3_P12ihipStream_tbPNSt15iterator_traitsISG_E10value_typeEPNSM_ISH_E10value_typeEPSI_NS1_7vsmem_tEENKUlT_SG_SH_SI_E_clIS7_S7_SB_PlEESF_SV_SG_SH_SI_EUlSV_E0_NS1_11comp_targetILNS1_3genE3ELNS1_11target_archE908ELNS1_3gpuE7ELNS1_3repE0EEENS1_38merge_mergepath_config_static_selectorELNS0_4arch9wavefront6targetE1EEEvSH_.numbered_sgpr, 0
	.set _ZN7rocprim17ROCPRIM_400000_NS6detail17trampoline_kernelINS0_14default_configENS1_38merge_sort_block_merge_config_selectorIhlEEZZNS1_27merge_sort_block_merge_implIS3_PhN6thrust23THRUST_200600_302600_NS10device_ptrIlEEjNS1_19radix_merge_compareILb0ELb0EhNS0_19identity_decomposerEEEEE10hipError_tT0_T1_T2_jT3_P12ihipStream_tbPNSt15iterator_traitsISG_E10value_typeEPNSM_ISH_E10value_typeEPSI_NS1_7vsmem_tEENKUlT_SG_SH_SI_E_clIS7_S7_SB_PlEESF_SV_SG_SH_SI_EUlSV_E0_NS1_11comp_targetILNS1_3genE3ELNS1_11target_archE908ELNS1_3gpuE7ELNS1_3repE0EEENS1_38merge_mergepath_config_static_selectorELNS0_4arch9wavefront6targetE1EEEvSH_.num_named_barrier, 0
	.set _ZN7rocprim17ROCPRIM_400000_NS6detail17trampoline_kernelINS0_14default_configENS1_38merge_sort_block_merge_config_selectorIhlEEZZNS1_27merge_sort_block_merge_implIS3_PhN6thrust23THRUST_200600_302600_NS10device_ptrIlEEjNS1_19radix_merge_compareILb0ELb0EhNS0_19identity_decomposerEEEEE10hipError_tT0_T1_T2_jT3_P12ihipStream_tbPNSt15iterator_traitsISG_E10value_typeEPNSM_ISH_E10value_typeEPSI_NS1_7vsmem_tEENKUlT_SG_SH_SI_E_clIS7_S7_SB_PlEESF_SV_SG_SH_SI_EUlSV_E0_NS1_11comp_targetILNS1_3genE3ELNS1_11target_archE908ELNS1_3gpuE7ELNS1_3repE0EEENS1_38merge_mergepath_config_static_selectorELNS0_4arch9wavefront6targetE1EEEvSH_.private_seg_size, 0
	.set _ZN7rocprim17ROCPRIM_400000_NS6detail17trampoline_kernelINS0_14default_configENS1_38merge_sort_block_merge_config_selectorIhlEEZZNS1_27merge_sort_block_merge_implIS3_PhN6thrust23THRUST_200600_302600_NS10device_ptrIlEEjNS1_19radix_merge_compareILb0ELb0EhNS0_19identity_decomposerEEEEE10hipError_tT0_T1_T2_jT3_P12ihipStream_tbPNSt15iterator_traitsISG_E10value_typeEPNSM_ISH_E10value_typeEPSI_NS1_7vsmem_tEENKUlT_SG_SH_SI_E_clIS7_S7_SB_PlEESF_SV_SG_SH_SI_EUlSV_E0_NS1_11comp_targetILNS1_3genE3ELNS1_11target_archE908ELNS1_3gpuE7ELNS1_3repE0EEENS1_38merge_mergepath_config_static_selectorELNS0_4arch9wavefront6targetE1EEEvSH_.uses_vcc, 0
	.set _ZN7rocprim17ROCPRIM_400000_NS6detail17trampoline_kernelINS0_14default_configENS1_38merge_sort_block_merge_config_selectorIhlEEZZNS1_27merge_sort_block_merge_implIS3_PhN6thrust23THRUST_200600_302600_NS10device_ptrIlEEjNS1_19radix_merge_compareILb0ELb0EhNS0_19identity_decomposerEEEEE10hipError_tT0_T1_T2_jT3_P12ihipStream_tbPNSt15iterator_traitsISG_E10value_typeEPNSM_ISH_E10value_typeEPSI_NS1_7vsmem_tEENKUlT_SG_SH_SI_E_clIS7_S7_SB_PlEESF_SV_SG_SH_SI_EUlSV_E0_NS1_11comp_targetILNS1_3genE3ELNS1_11target_archE908ELNS1_3gpuE7ELNS1_3repE0EEENS1_38merge_mergepath_config_static_selectorELNS0_4arch9wavefront6targetE1EEEvSH_.uses_flat_scratch, 0
	.set _ZN7rocprim17ROCPRIM_400000_NS6detail17trampoline_kernelINS0_14default_configENS1_38merge_sort_block_merge_config_selectorIhlEEZZNS1_27merge_sort_block_merge_implIS3_PhN6thrust23THRUST_200600_302600_NS10device_ptrIlEEjNS1_19radix_merge_compareILb0ELb0EhNS0_19identity_decomposerEEEEE10hipError_tT0_T1_T2_jT3_P12ihipStream_tbPNSt15iterator_traitsISG_E10value_typeEPNSM_ISH_E10value_typeEPSI_NS1_7vsmem_tEENKUlT_SG_SH_SI_E_clIS7_S7_SB_PlEESF_SV_SG_SH_SI_EUlSV_E0_NS1_11comp_targetILNS1_3genE3ELNS1_11target_archE908ELNS1_3gpuE7ELNS1_3repE0EEENS1_38merge_mergepath_config_static_selectorELNS0_4arch9wavefront6targetE1EEEvSH_.has_dyn_sized_stack, 0
	.set _ZN7rocprim17ROCPRIM_400000_NS6detail17trampoline_kernelINS0_14default_configENS1_38merge_sort_block_merge_config_selectorIhlEEZZNS1_27merge_sort_block_merge_implIS3_PhN6thrust23THRUST_200600_302600_NS10device_ptrIlEEjNS1_19radix_merge_compareILb0ELb0EhNS0_19identity_decomposerEEEEE10hipError_tT0_T1_T2_jT3_P12ihipStream_tbPNSt15iterator_traitsISG_E10value_typeEPNSM_ISH_E10value_typeEPSI_NS1_7vsmem_tEENKUlT_SG_SH_SI_E_clIS7_S7_SB_PlEESF_SV_SG_SH_SI_EUlSV_E0_NS1_11comp_targetILNS1_3genE3ELNS1_11target_archE908ELNS1_3gpuE7ELNS1_3repE0EEENS1_38merge_mergepath_config_static_selectorELNS0_4arch9wavefront6targetE1EEEvSH_.has_recursion, 0
	.set _ZN7rocprim17ROCPRIM_400000_NS6detail17trampoline_kernelINS0_14default_configENS1_38merge_sort_block_merge_config_selectorIhlEEZZNS1_27merge_sort_block_merge_implIS3_PhN6thrust23THRUST_200600_302600_NS10device_ptrIlEEjNS1_19radix_merge_compareILb0ELb0EhNS0_19identity_decomposerEEEEE10hipError_tT0_T1_T2_jT3_P12ihipStream_tbPNSt15iterator_traitsISG_E10value_typeEPNSM_ISH_E10value_typeEPSI_NS1_7vsmem_tEENKUlT_SG_SH_SI_E_clIS7_S7_SB_PlEESF_SV_SG_SH_SI_EUlSV_E0_NS1_11comp_targetILNS1_3genE3ELNS1_11target_archE908ELNS1_3gpuE7ELNS1_3repE0EEENS1_38merge_mergepath_config_static_selectorELNS0_4arch9wavefront6targetE1EEEvSH_.has_indirect_call, 0
	.section	.AMDGPU.csdata,"",@progbits
; Kernel info:
; codeLenInByte = 0
; TotalNumSgprs: 4
; NumVgprs: 0
; ScratchSize: 0
; MemoryBound: 0
; FloatMode: 240
; IeeeMode: 1
; LDSByteSize: 0 bytes/workgroup (compile time only)
; SGPRBlocks: 0
; VGPRBlocks: 0
; NumSGPRsForWavesPerEU: 4
; NumVGPRsForWavesPerEU: 1
; Occupancy: 10
; WaveLimiterHint : 0
; COMPUTE_PGM_RSRC2:SCRATCH_EN: 0
; COMPUTE_PGM_RSRC2:USER_SGPR: 6
; COMPUTE_PGM_RSRC2:TRAP_HANDLER: 0
; COMPUTE_PGM_RSRC2:TGID_X_EN: 1
; COMPUTE_PGM_RSRC2:TGID_Y_EN: 0
; COMPUTE_PGM_RSRC2:TGID_Z_EN: 0
; COMPUTE_PGM_RSRC2:TIDIG_COMP_CNT: 0
	.section	.text._ZN7rocprim17ROCPRIM_400000_NS6detail17trampoline_kernelINS0_14default_configENS1_38merge_sort_block_merge_config_selectorIhlEEZZNS1_27merge_sort_block_merge_implIS3_PhN6thrust23THRUST_200600_302600_NS10device_ptrIlEEjNS1_19radix_merge_compareILb0ELb0EhNS0_19identity_decomposerEEEEE10hipError_tT0_T1_T2_jT3_P12ihipStream_tbPNSt15iterator_traitsISG_E10value_typeEPNSM_ISH_E10value_typeEPSI_NS1_7vsmem_tEENKUlT_SG_SH_SI_E_clIS7_S7_SB_PlEESF_SV_SG_SH_SI_EUlSV_E0_NS1_11comp_targetILNS1_3genE2ELNS1_11target_archE906ELNS1_3gpuE6ELNS1_3repE0EEENS1_38merge_mergepath_config_static_selectorELNS0_4arch9wavefront6targetE1EEEvSH_,"axG",@progbits,_ZN7rocprim17ROCPRIM_400000_NS6detail17trampoline_kernelINS0_14default_configENS1_38merge_sort_block_merge_config_selectorIhlEEZZNS1_27merge_sort_block_merge_implIS3_PhN6thrust23THRUST_200600_302600_NS10device_ptrIlEEjNS1_19radix_merge_compareILb0ELb0EhNS0_19identity_decomposerEEEEE10hipError_tT0_T1_T2_jT3_P12ihipStream_tbPNSt15iterator_traitsISG_E10value_typeEPNSM_ISH_E10value_typeEPSI_NS1_7vsmem_tEENKUlT_SG_SH_SI_E_clIS7_S7_SB_PlEESF_SV_SG_SH_SI_EUlSV_E0_NS1_11comp_targetILNS1_3genE2ELNS1_11target_archE906ELNS1_3gpuE6ELNS1_3repE0EEENS1_38merge_mergepath_config_static_selectorELNS0_4arch9wavefront6targetE1EEEvSH_,comdat
	.protected	_ZN7rocprim17ROCPRIM_400000_NS6detail17trampoline_kernelINS0_14default_configENS1_38merge_sort_block_merge_config_selectorIhlEEZZNS1_27merge_sort_block_merge_implIS3_PhN6thrust23THRUST_200600_302600_NS10device_ptrIlEEjNS1_19radix_merge_compareILb0ELb0EhNS0_19identity_decomposerEEEEE10hipError_tT0_T1_T2_jT3_P12ihipStream_tbPNSt15iterator_traitsISG_E10value_typeEPNSM_ISH_E10value_typeEPSI_NS1_7vsmem_tEENKUlT_SG_SH_SI_E_clIS7_S7_SB_PlEESF_SV_SG_SH_SI_EUlSV_E0_NS1_11comp_targetILNS1_3genE2ELNS1_11target_archE906ELNS1_3gpuE6ELNS1_3repE0EEENS1_38merge_mergepath_config_static_selectorELNS0_4arch9wavefront6targetE1EEEvSH_ ; -- Begin function _ZN7rocprim17ROCPRIM_400000_NS6detail17trampoline_kernelINS0_14default_configENS1_38merge_sort_block_merge_config_selectorIhlEEZZNS1_27merge_sort_block_merge_implIS3_PhN6thrust23THRUST_200600_302600_NS10device_ptrIlEEjNS1_19radix_merge_compareILb0ELb0EhNS0_19identity_decomposerEEEEE10hipError_tT0_T1_T2_jT3_P12ihipStream_tbPNSt15iterator_traitsISG_E10value_typeEPNSM_ISH_E10value_typeEPSI_NS1_7vsmem_tEENKUlT_SG_SH_SI_E_clIS7_S7_SB_PlEESF_SV_SG_SH_SI_EUlSV_E0_NS1_11comp_targetILNS1_3genE2ELNS1_11target_archE906ELNS1_3gpuE6ELNS1_3repE0EEENS1_38merge_mergepath_config_static_selectorELNS0_4arch9wavefront6targetE1EEEvSH_
	.globl	_ZN7rocprim17ROCPRIM_400000_NS6detail17trampoline_kernelINS0_14default_configENS1_38merge_sort_block_merge_config_selectorIhlEEZZNS1_27merge_sort_block_merge_implIS3_PhN6thrust23THRUST_200600_302600_NS10device_ptrIlEEjNS1_19radix_merge_compareILb0ELb0EhNS0_19identity_decomposerEEEEE10hipError_tT0_T1_T2_jT3_P12ihipStream_tbPNSt15iterator_traitsISG_E10value_typeEPNSM_ISH_E10value_typeEPSI_NS1_7vsmem_tEENKUlT_SG_SH_SI_E_clIS7_S7_SB_PlEESF_SV_SG_SH_SI_EUlSV_E0_NS1_11comp_targetILNS1_3genE2ELNS1_11target_archE906ELNS1_3gpuE6ELNS1_3repE0EEENS1_38merge_mergepath_config_static_selectorELNS0_4arch9wavefront6targetE1EEEvSH_
	.p2align	8
	.type	_ZN7rocprim17ROCPRIM_400000_NS6detail17trampoline_kernelINS0_14default_configENS1_38merge_sort_block_merge_config_selectorIhlEEZZNS1_27merge_sort_block_merge_implIS3_PhN6thrust23THRUST_200600_302600_NS10device_ptrIlEEjNS1_19radix_merge_compareILb0ELb0EhNS0_19identity_decomposerEEEEE10hipError_tT0_T1_T2_jT3_P12ihipStream_tbPNSt15iterator_traitsISG_E10value_typeEPNSM_ISH_E10value_typeEPSI_NS1_7vsmem_tEENKUlT_SG_SH_SI_E_clIS7_S7_SB_PlEESF_SV_SG_SH_SI_EUlSV_E0_NS1_11comp_targetILNS1_3genE2ELNS1_11target_archE906ELNS1_3gpuE6ELNS1_3repE0EEENS1_38merge_mergepath_config_static_selectorELNS0_4arch9wavefront6targetE1EEEvSH_,@function
_ZN7rocprim17ROCPRIM_400000_NS6detail17trampoline_kernelINS0_14default_configENS1_38merge_sort_block_merge_config_selectorIhlEEZZNS1_27merge_sort_block_merge_implIS3_PhN6thrust23THRUST_200600_302600_NS10device_ptrIlEEjNS1_19radix_merge_compareILb0ELb0EhNS0_19identity_decomposerEEEEE10hipError_tT0_T1_T2_jT3_P12ihipStream_tbPNSt15iterator_traitsISG_E10value_typeEPNSM_ISH_E10value_typeEPSI_NS1_7vsmem_tEENKUlT_SG_SH_SI_E_clIS7_S7_SB_PlEESF_SV_SG_SH_SI_EUlSV_E0_NS1_11comp_targetILNS1_3genE2ELNS1_11target_archE906ELNS1_3gpuE6ELNS1_3repE0EEENS1_38merge_mergepath_config_static_selectorELNS0_4arch9wavefront6targetE1EEEvSH_: ; @_ZN7rocprim17ROCPRIM_400000_NS6detail17trampoline_kernelINS0_14default_configENS1_38merge_sort_block_merge_config_selectorIhlEEZZNS1_27merge_sort_block_merge_implIS3_PhN6thrust23THRUST_200600_302600_NS10device_ptrIlEEjNS1_19radix_merge_compareILb0ELb0EhNS0_19identity_decomposerEEEEE10hipError_tT0_T1_T2_jT3_P12ihipStream_tbPNSt15iterator_traitsISG_E10value_typeEPNSM_ISH_E10value_typeEPSI_NS1_7vsmem_tEENKUlT_SG_SH_SI_E_clIS7_S7_SB_PlEESF_SV_SG_SH_SI_EUlSV_E0_NS1_11comp_targetILNS1_3genE2ELNS1_11target_archE906ELNS1_3gpuE6ELNS1_3repE0EEENS1_38merge_mergepath_config_static_selectorELNS0_4arch9wavefront6targetE1EEEvSH_
; %bb.0:
	s_load_dwordx2 s[22:23], s[4:5], 0x40
	s_load_dword s1, s[4:5], 0x30
	s_add_u32 s20, s4, 64
	s_addc_u32 s21, s5, 0
	s_waitcnt lgkmcnt(0)
	s_mul_i32 s0, s23, s8
	s_add_i32 s0, s0, s7
	s_mul_i32 s0, s0, s22
	s_add_i32 s0, s0, s6
	s_cmp_ge_u32 s0, s1
	s_cbranch_scc1 .LBB161_46
; %bb.1:
	s_load_dwordx8 s[8:15], s[4:5], 0x10
	s_load_dwordx2 s[26:27], s[4:5], 0x8
	s_load_dwordx2 s[2:3], s[4:5], 0x38
	s_mov_b32 s1, 0
	v_mov_b32_e32 v1, 0
	s_waitcnt lgkmcnt(0)
	s_lshr_b32 s28, s14, 10
	s_cmp_lg_u32 s0, s28
	s_cselect_b64 s[18:19], -1, 0
	s_lshl_b64 s[4:5], s[0:1], 2
	s_add_u32 s4, s2, s4
	s_addc_u32 s5, s3, s5
	s_load_dwordx2 s[2:3], s[4:5], 0x0
	s_lshr_b32 s4, s15, 9
	s_and_b32 s4, s4, 0x7ffffe
	s_sub_i32 s5, 0, s4
	s_and_b32 s4, s0, s5
	s_lshl_b32 s7, s4, 10
	s_lshl_b32 s16, s0, 10
	;; [unrolled: 1-line block ×3, first 2 shown]
	s_sub_i32 s17, s16, s7
	s_add_i32 s23, s4, s15
	s_add_i32 s17, s23, s17
	s_waitcnt lgkmcnt(0)
	s_sub_i32 s4, s17, s2
	s_sub_i32 s17, s17, s3
	;; [unrolled: 1-line block ×3, first 2 shown]
	s_min_u32 s4, s14, s4
	s_addk_i32 s17, 0x400
	s_or_b32 s5, s0, s5
	s_min_u32 s23, s14, s7
	s_add_i32 s7, s7, s15
	s_cmp_eq_u32 s5, -1
	s_cselect_b32 s5, s7, s17
	s_cselect_b32 s3, s23, s3
	s_min_u32 s17, s5, s14
	s_sub_i32 s15, s3, s2
	s_add_u32 s24, s26, s2
	s_addc_u32 s25, s27, 0
	s_add_u32 s23, s26, s4
	global_load_dword v2, v1, s[20:21] offset:14
	s_addc_u32 s26, s27, 0
	s_cmp_lt_u32 s6, s22
	s_cselect_b32 s3, 12, 18
	s_add_u32 s6, s20, s3
	s_addc_u32 s7, s21, 0
	global_load_ushort v1, v1, s[6:7]
	s_mov_b32 s3, s1
	s_mov_b32 s5, s1
	s_cmp_eq_u32 s0, s28
	s_waitcnt vmcnt(1)
	v_lshrrev_b32_e32 v3, 16, v2
	v_and_b32_e32 v2, 0xffff, v2
	v_mul_lo_u32 v2, v2, v3
	s_waitcnt vmcnt(0)
	v_mul_lo_u32 v15, v2, v1
	v_add_u32_e32 v11, v15, v0
	v_add_u32_e32 v9, v11, v15
	s_cbranch_scc1 .LBB161_3
; %bb.2:
	v_mov_b32_e32 v1, s25
	v_add_co_u32_e32 v3, vcc, s24, v0
	v_addc_co_u32_e32 v1, vcc, 0, v1, vcc
	v_subrev_co_u32_e32 v2, vcc, s15, v0
	v_mov_b32_e32 v4, s26
	v_add_co_u32_e64 v5, s[0:1], s23, v2
	v_addc_co_u32_e64 v2, s[0:1], 0, v4, s[0:1]
	v_cndmask_b32_e32 v2, v2, v1, vcc
	v_cndmask_b32_e32 v1, v5, v3, vcc
	v_mov_b32_e32 v3, s25
	v_add_co_u32_e32 v5, vcc, s24, v11
	v_addc_co_u32_e32 v3, vcc, 0, v3, vcc
	v_subrev_co_u32_e32 v4, vcc, s15, v11
	v_mov_b32_e32 v6, s26
	v_add_co_u32_e64 v7, s[0:1], s23, v4
	v_addc_co_u32_e64 v4, s[0:1], 0, v6, s[0:1]
	v_cndmask_b32_e32 v4, v4, v3, vcc
	v_cndmask_b32_e32 v3, v7, v5, vcc
	v_mov_b32_e32 v5, s25
	v_add_co_u32_e32 v7, vcc, s24, v9
	v_addc_co_u32_e32 v5, vcc, 0, v5, vcc
	v_subrev_co_u32_e32 v6, vcc, s15, v9
	v_mov_b32_e32 v8, s26
	v_add_co_u32_e64 v10, s[0:1], s23, v6
	v_addc_co_u32_e64 v6, s[0:1], 0, v8, s[0:1]
	v_cndmask_b32_e32 v6, v6, v5, vcc
	v_cndmask_b32_e32 v5, v10, v7, vcc
	global_load_ubyte v7, v[1:2], off
	global_load_ubyte v8, v[3:4], off
	;; [unrolled: 1-line block ×3, first 2 shown]
	s_mov_b32 s0, 0xc0c0004
	v_add_u32_e32 v1, v9, v15
	s_waitcnt vmcnt(1)
	v_perm_b32 v2, v7, v8, s0
	s_waitcnt vmcnt(0)
	v_lshl_or_b32 v14, v10, 16, v2
	s_mov_b64 s[0:1], -1
	s_sub_i32 s17, s17, s4
	s_cbranch_execz .LBB161_4
	s_branch .LBB161_9
.LBB161_3:
	s_mov_b64 s[0:1], 0
                                        ; implicit-def: $vgpr1
                                        ; implicit-def: $vgpr14
	s_sub_i32 s17, s17, s4
.LBB161_4:
	s_add_i32 s20, s17, s15
	v_cmp_gt_u32_e32 vcc, s20, v0
	v_mov_b32_e32 v14, 0
	s_and_saveexec_b64 s[6:7], vcc
	s_cbranch_execnz .LBB161_47
; %bb.5:
	s_or_b64 exec, exec, s[6:7]
	v_cmp_gt_u32_e32 vcc, s20, v11
	s_and_saveexec_b64 s[6:7], vcc
	s_cbranch_execnz .LBB161_48
.LBB161_6:
	s_or_b64 exec, exec, s[6:7]
	v_cmp_gt_u32_e32 vcc, s20, v9
	s_and_saveexec_b64 s[6:7], vcc
	s_cbranch_execz .LBB161_8
.LBB161_7:
	v_mov_b32_e32 v1, s25
	v_add_co_u32_e32 v3, vcc, s24, v9
	v_addc_co_u32_e32 v1, vcc, 0, v1, vcc
	v_subrev_co_u32_e32 v2, vcc, s15, v9
	v_mov_b32_e32 v4, s26
	v_add_co_u32_e64 v5, s[0:1], s23, v2
	v_addc_co_u32_e64 v2, s[0:1], 0, v4, s[0:1]
	v_cndmask_b32_e32 v2, v2, v1, vcc
	v_cndmask_b32_e32 v1, v5, v3, vcc
	global_load_ubyte v1, v[1:2], off
	s_waitcnt vmcnt(0)
	v_lshl_or_b32 v14, v1, 16, v14
.LBB161_8:
	s_or_b64 exec, exec, s[6:7]
	v_add_u32_e32 v1, v9, v15
	v_cmp_gt_u32_e64 s[0:1], s20, v1
.LBB161_9:
	s_and_saveexec_b64 s[6:7], s[0:1]
	s_cbranch_execz .LBB161_11
; %bb.10:
	v_mov_b32_e32 v2, s25
	v_add_co_u32_e32 v3, vcc, s24, v1
	v_addc_co_u32_e32 v2, vcc, 0, v2, vcc
	v_subrev_co_u32_e32 v1, vcc, s15, v1
	v_mov_b32_e32 v4, s26
	v_add_co_u32_e64 v1, s[0:1], s23, v1
	v_addc_co_u32_e64 v4, s[0:1], 0, v4, s[0:1]
	v_cndmask_b32_e32 v2, v4, v2, vcc
	v_cndmask_b32_e32 v1, v1, v3, vcc
	global_load_ubyte v1, v[1:2], off
	s_mov_b32 s0, 0x60504
	s_waitcnt vmcnt(0)
	v_perm_b32 v14, v14, v1, s0
.LBB161_11:
	s_or_b64 exec, exec, s[6:7]
	s_lshl_b64 s[0:1], s[2:3], 3
	s_add_u32 s6, s10, s0
	s_addc_u32 s7, s11, s1
	s_lshl_b64 s[0:1], s[4:5], 3
	s_add_u32 s4, s10, s0
	s_waitcnt vmcnt(0)
	v_lshrrev_b32_e32 v16, 16, v14
	v_mov_b32_e32 v7, 0
	v_lshrrev_b32_e32 v17, 8, v14
	v_lshrrev_b32_e32 v18, 24, v14
	s_addc_u32 s5, s11, s1
	s_andn2_b64 vcc, exec, s[18:19]
	v_lshlrev_b32_e32 v13, 3, v0
	ds_write_b8 v0, v14
	ds_write_b8 v0, v17 offset:256
	ds_write_b8 v0, v16 offset:512
	;; [unrolled: 1-line block ×3, first 2 shown]
	s_cbranch_vccnz .LBB161_13
; %bb.12:
	v_mov_b32_e32 v1, s7
	v_add_co_u32_e32 v3, vcc, s6, v13
	v_addc_co_u32_e32 v4, vcc, 0, v1, vcc
	v_subrev_co_u32_e32 v6, vcc, s15, v0
	v_lshlrev_b64 v[1:2], 3, v[6:7]
	v_mov_b32_e32 v5, s5
	v_add_co_u32_e64 v1, s[0:1], s4, v1
	v_addc_co_u32_e64 v2, s[0:1], v5, v2, s[0:1]
	v_mov_b32_e32 v12, v7
	v_cndmask_b32_e32 v2, v2, v4, vcc
	v_cndmask_b32_e32 v1, v1, v3, vcc
	v_lshlrev_b64 v[3:4], 3, v[11:12]
	v_mov_b32_e32 v5, s7
	v_add_co_u32_e32 v8, vcc, s6, v3
	v_addc_co_u32_e32 v5, vcc, v5, v4, vcc
	v_subrev_co_u32_e32 v6, vcc, s15, v11
	v_lshlrev_b64 v[3:4], 3, v[6:7]
	v_mov_b32_e32 v6, s5
	v_add_co_u32_e64 v3, s[0:1], s4, v3
	v_addc_co_u32_e64 v4, s[0:1], v6, v4, s[0:1]
	v_mov_b32_e32 v10, v7
	v_cndmask_b32_e32 v4, v4, v5, vcc
	v_lshlrev_b64 v[5:6], 3, v[9:10]
	v_cndmask_b32_e32 v3, v3, v8, vcc
	v_mov_b32_e32 v8, s7
	v_add_co_u32_e32 v10, vcc, s6, v5
	v_addc_co_u32_e32 v8, vcc, v8, v6, vcc
	v_subrev_co_u32_e32 v6, vcc, s15, v9
	v_lshlrev_b64 v[5:6], 3, v[6:7]
	v_mov_b32_e32 v12, s5
	v_add_co_u32_e64 v5, s[0:1], s4, v5
	v_addc_co_u32_e64 v6, s[0:1], v12, v6, s[0:1]
	v_cndmask_b32_e32 v6, v6, v8, vcc
	v_cndmask_b32_e32 v5, v5, v10, vcc
	global_load_dwordx2 v[1:2], v[1:2], off
	s_add_i32 s10, s17, s15
	global_load_dwordx2 v[3:4], v[3:4], off
	v_mov_b32_e32 v8, v7
	global_load_dwordx2 v[5:6], v[5:6], off
	v_add_u32_e32 v10, v9, v15
	s_mov_b64 s[0:1], -1
	v_mov_b32_e32 v12, s10
	s_cbranch_execz .LBB161_14
	s_branch .LBB161_19
.LBB161_13:
	s_mov_b64 s[0:1], 0
                                        ; implicit-def: $vgpr10
                                        ; implicit-def: $vgpr1_vgpr2_vgpr3_vgpr4_vgpr5_vgpr6_vgpr7_vgpr8
                                        ; implicit-def: $vgpr12
.LBB161_14:
	s_add_i32 s10, s17, s15
	s_waitcnt vmcnt(2)
	v_mov_b32_e32 v1, 0
	v_cmp_gt_u32_e32 vcc, s10, v0
	v_mov_b32_e32 v2, v1
	s_waitcnt vmcnt(1)
	v_mov_b32_e32 v3, v1
	v_mov_b32_e32 v4, v1
	s_waitcnt vmcnt(0)
	v_mov_b32_e32 v5, v1
	v_mov_b32_e32 v6, v1
	;; [unrolled: 1-line block ×4, first 2 shown]
	s_and_saveexec_b64 s[2:3], vcc
	s_cbranch_execnz .LBB161_49
; %bb.15:
	s_or_b64 exec, exec, s[2:3]
	v_cmp_gt_u32_e32 vcc, s10, v11
	s_and_saveexec_b64 s[2:3], vcc
	s_cbranch_execnz .LBB161_50
.LBB161_16:
	s_or_b64 exec, exec, s[2:3]
	v_cmp_gt_u32_e32 vcc, s10, v9
	s_and_saveexec_b64 s[2:3], vcc
	s_cbranch_execz .LBB161_18
.LBB161_17:
	v_mov_b32_e32 v10, 0
	v_lshlrev_b64 v[5:6], 3, v[9:10]
	v_mov_b32_e32 v11, s7
	v_add_co_u32_e32 v12, vcc, s6, v5
	v_addc_co_u32_e32 v11, vcc, v11, v6, vcc
	v_subrev_co_u32_e32 v5, vcc, s15, v9
	v_mov_b32_e32 v6, v10
	v_lshlrev_b64 v[5:6], 3, v[5:6]
	v_mov_b32_e32 v10, s5
	v_add_co_u32_e64 v5, s[0:1], s4, v5
	v_addc_co_u32_e64 v6, s[0:1], v10, v6, s[0:1]
	v_cndmask_b32_e32 v6, v6, v11, vcc
	v_cndmask_b32_e32 v5, v5, v12, vcc
	global_load_dwordx2 v[5:6], v[5:6], off
.LBB161_18:
	s_or_b64 exec, exec, s[2:3]
	v_add_u32_e32 v10, v9, v15
	v_cmp_gt_u32_e64 s[0:1], s10, v10
	v_mov_b32_e32 v12, s10
.LBB161_19:
	s_and_saveexec_b64 s[2:3], s[0:1]
	s_cbranch_execz .LBB161_21
; %bb.20:
	v_mov_b32_e32 v8, 0
	v_mov_b32_e32 v11, v8
	v_lshlrev_b64 v[19:20], 3, v[10:11]
	v_mov_b32_e32 v7, s7
	v_add_co_u32_e32 v9, vcc, s6, v19
	v_addc_co_u32_e32 v11, vcc, v7, v20, vcc
	v_subrev_co_u32_e32 v7, vcc, s15, v10
	v_lshlrev_b64 v[7:8], 3, v[7:8]
	v_mov_b32_e32 v10, s5
	v_add_co_u32_e64 v7, s[0:1], s4, v7
	v_addc_co_u32_e64 v8, s[0:1], v10, v8, s[0:1]
	v_cndmask_b32_e32 v8, v8, v11, vcc
	v_cndmask_b32_e32 v7, v7, v9, vcc
	global_load_dwordx2 v[7:8], v[7:8], off
.LBB161_21:
	s_or_b64 exec, exec, s[2:3]
	v_lshlrev_b32_e32 v11, 2, v0
	v_min_u32_e32 v10, v12, v11
	v_sub_u32_e64 v9, v10, s17 clamp
	v_min_u32_e32 v15, s15, v10
	v_cmp_lt_u32_e32 vcc, v9, v15
	s_waitcnt vmcnt(0) lgkmcnt(0)
	s_barrier
	s_and_saveexec_b64 s[0:1], vcc
	s_cbranch_execz .LBB161_25
; %bb.22:
	v_add_u32_e32 v19, s15, v10
	s_mov_b64 s[2:3], 0
.LBB161_23:                             ; =>This Inner Loop Header: Depth=1
	v_add_u32_e32 v20, v15, v9
	v_lshrrev_b32_e32 v20, 1, v20
	v_xad_u32 v21, v20, -1, v19
	ds_read_u8 v22, v20
	ds_read_u8 v21, v21
	v_add_u32_e32 v23, 1, v20
	s_waitcnt lgkmcnt(0)
	v_cmp_gt_u16_e32 vcc, v22, v21
	v_cndmask_b32_e32 v15, v15, v20, vcc
	v_cndmask_b32_e32 v9, v23, v9, vcc
	v_cmp_ge_u32_e32 vcc, v9, v15
	s_or_b64 s[2:3], vcc, s[2:3]
	s_andn2_b64 exec, exec, s[2:3]
	s_cbranch_execnz .LBB161_23
; %bb.24:
	s_or_b64 exec, exec, s[2:3]
.LBB161_25:
	s_or_b64 exec, exec, s[0:1]
	v_sub_u32_e32 v10, v10, v9
	v_add_u32_e32 v20, s15, v10
	v_cmp_ge_u32_e32 vcc, s15, v9
	v_cmp_le_u32_e64 s[0:1], v20, v12
	s_or_b64 s[0:1], vcc, s[0:1]
	v_mov_b32_e32 v21, 0
	v_mov_b32_e32 v19, 0
	;; [unrolled: 1-line block ×4, first 2 shown]
	s_and_saveexec_b64 s[6:7], s[0:1]
	s_cbranch_execz .LBB161_31
; %bb.26:
	v_cmp_gt_u32_e32 vcc, s15, v9
                                        ; implicit-def: $vgpr14
	s_and_saveexec_b64 s[0:1], vcc
; %bb.27:
	ds_read_u8 v14, v9
; %bb.28:
	s_or_b64 exec, exec, s[0:1]
	v_cmp_ge_u32_e64 s[0:1], v20, v12
	v_cmp_lt_u32_e64 s[2:3], v20, v12
                                        ; implicit-def: $vgpr16
	s_and_saveexec_b64 s[4:5], s[2:3]
; %bb.29:
	ds_read_u8 v16, v20
; %bb.30:
	s_or_b64 exec, exec, s[4:5]
	s_waitcnt lgkmcnt(0)
	v_cmp_le_u16_sdwa s[2:3], v14, v16 src0_sel:BYTE_0 src1_sel:BYTE_0
	s_and_b64 s[2:3], vcc, s[2:3]
	s_or_b64 vcc, s[0:1], s[2:3]
	v_mov_b32_e32 v17, s15
	v_cndmask_b32_e32 v10, v20, v9, vcc
	v_cndmask_b32_e32 v15, v12, v17, vcc
	v_add_u32_e32 v18, 1, v10
	v_add_u32_e32 v15, -1, v15
	v_min_u32_e32 v15, v18, v15
	ds_read_u8 v15, v15
	v_cndmask_b32_e32 v9, v9, v18, vcc
	v_cndmask_b32_e32 v19, v18, v20, vcc
	v_cmp_gt_u32_e64 s[2:3], s15, v9
	v_cmp_ge_u32_e64 s[0:1], v19, v12
	s_waitcnt lgkmcnt(0)
	v_cndmask_b32_e32 v21, v15, v16, vcc
	v_cndmask_b32_e32 v22, v14, v15, vcc
	v_cmp_le_u16_sdwa s[4:5], v22, v21 src0_sel:BYTE_0 src1_sel:BYTE_0
	s_and_b64 s[2:3], s[2:3], s[4:5]
	s_or_b64 s[0:1], s[0:1], s[2:3]
	v_cndmask_b32_e64 v15, v19, v9, s[0:1]
	v_cndmask_b32_e64 v18, v12, v17, s[0:1]
	v_add_u32_e32 v20, 1, v15
	v_add_u32_e32 v18, -1, v18
	v_min_u32_e32 v18, v20, v18
	ds_read_u8 v18, v18
	v_cndmask_b32_e64 v9, v9, v20, s[0:1]
	v_cndmask_b32_e64 v24, v20, v19, s[0:1]
	v_cmp_gt_u32_e64 s[4:5], s15, v9
	v_cmp_ge_u32_e64 s[2:3], v24, v12
	s_waitcnt lgkmcnt(0)
	v_cndmask_b32_e64 v23, v18, v21, s[0:1]
	v_cndmask_b32_e64 v18, v22, v18, s[0:1]
	v_cmp_le_u16_sdwa s[10:11], v18, v23 src0_sel:BYTE_0 src1_sel:BYTE_0
	s_and_b64 s[4:5], s[4:5], s[10:11]
	s_or_b64 s[2:3], s[2:3], s[4:5]
	v_cndmask_b32_e64 v19, v24, v9, s[2:3]
	v_cndmask_b32_e64 v17, v12, v17, s[2:3]
	v_add_u32_e32 v20, 1, v19
	v_add_u32_e32 v17, -1, v17
	v_min_u32_e32 v17, v20, v17
	ds_read_u8 v25, v17
	v_cndmask_b32_e32 v14, v16, v14, vcc
	v_cndmask_b32_e64 v17, v21, v22, s[0:1]
	v_cndmask_b32_e64 v16, v23, v18, s[2:3]
	;; [unrolled: 1-line block ×3, first 2 shown]
	s_waitcnt lgkmcnt(0)
	v_cndmask_b32_e64 v22, v25, v23, s[2:3]
	v_cndmask_b32_e64 v18, v18, v25, s[2:3]
	v_cndmask_b32_e64 v21, v20, v24, s[2:3]
	v_cmp_gt_u32_e64 s[0:1], s15, v9
	v_cmp_le_u16_sdwa s[2:3], v18, v22 src0_sel:BYTE_0 src1_sel:BYTE_0
	v_cmp_ge_u32_e32 vcc, v21, v12
	s_and_b64 s[0:1], s[0:1], s[2:3]
	s_or_b64 vcc, vcc, s[0:1]
	v_cndmask_b32_e32 v21, v21, v9, vcc
	v_cndmask_b32_e32 v18, v22, v18, vcc
.LBB161_31:
	s_or_b64 exec, exec, s[6:7]
	v_mad_u32_u24 v9, v0, 7, v0
	s_barrier
	ds_write2st64_b64 v9, v[1:2], v[3:4] offset1:4
	ds_write2st64_b64 v9, v[5:6], v[7:8] offset0:8 offset1:12
	v_lshlrev_b32_e32 v1, 3, v10
	v_lshlrev_b32_e32 v2, 3, v15
	;; [unrolled: 1-line block ×4, first 2 shown]
	s_waitcnt lgkmcnt(0)
	s_barrier
	ds_read_b64 v[5:6], v1
	ds_read_b64 v[7:8], v2
	;; [unrolled: 1-line block ×4, first 2 shown]
	v_lshrrev_b32_e32 v19, 3, v0
	s_mov_b32 s2, 0xc0c0004
	s_add_u32 s0, s8, s16
	v_and_b32_e32 v9, 28, v19
	v_perm_b32 v10, v14, v17, s2
	v_perm_b32 v12, v16, v18, s2
	s_addc_u32 s1, s9, 0
	v_add_u32_e32 v9, v9, v11
	v_lshl_or_b32 v10, v12, 16, v10
	v_or_b32_e32 v22, 0x100, v0
	v_or_b32_e32 v21, 0x200, v0
	;; [unrolled: 1-line block ×3, first 2 shown]
	s_waitcnt lgkmcnt(0)
	s_barrier
	s_barrier
	ds_write_b32 v9, v10
	v_lshrrev_b32_e32 v15, 5, v22
	v_lshrrev_b32_e32 v16, 5, v21
	;; [unrolled: 1-line block ×3, first 2 shown]
	v_mov_b32_e32 v10, s1
	v_add_co_u32_e32 v9, vcc, s0, v0
	v_lshrrev_b32_e32 v14, 5, v0
	v_and_b32_e32 v12, 12, v15
	v_and_b32_e32 v18, 20, v16
	;; [unrolled: 1-line block ×3, first 2 shown]
	v_addc_co_u32_e32 v10, vcc, 0, v10, vcc
	s_mov_b32 s17, 0
	v_and_b32_e32 v23, 4, v14
	s_and_b64 vcc, exec, s[18:19]
	v_add_u32_e32 v24, v12, v0
	v_add_u32_e32 v25, v18, v0
	;; [unrolled: 1-line block ×3, first 2 shown]
	v_lshlrev_b32_e32 v18, 3, v11
	s_waitcnt lgkmcnt(0)
	s_cbranch_vccz .LBB161_33
; %bb.32:
	v_add_u32_e32 v11, v23, v0
	s_barrier
	ds_read_u8 v11, v11
	ds_read_u8 v12, v24 offset:256
	ds_read_u8 v27, v25 offset:512
	ds_read_u8 v28, v26 offset:768
	s_lshl_b64 s[0:1], s[16:17], 3
	s_add_u32 s0, s12, s0
	s_waitcnt lgkmcnt(3)
	global_store_byte v[9:10], v11, off
	s_waitcnt lgkmcnt(2)
	global_store_byte v[9:10], v12, off offset:256
	s_waitcnt lgkmcnt(1)
	global_store_byte v[9:10], v27, off offset:512
	;; [unrolled: 2-line block ×3, first 2 shown]
	v_lshl_add_u32 v11, v19, 3, v18
	s_waitcnt vmcnt(0)
	s_barrier
	ds_write2_b64 v11, v[5:6], v[7:8] offset1:1
	ds_write2_b64 v11, v[1:2], v[3:4] offset0:2 offset1:3
	v_lshl_add_u32 v11, v14, 3, v13
	v_lshl_add_u32 v12, v15, 3, v13
	;; [unrolled: 1-line block ×3, first 2 shown]
	s_addc_u32 s1, s13, s1
	s_waitcnt lgkmcnt(0)
	s_barrier
	v_lshl_add_u32 v33, v17, 3, v13
	ds_read_b64 v[27:28], v11
	ds_read_b64 v[29:30], v12 offset:2048
	ds_read_b64 v[31:32], v31 offset:4096
	;; [unrolled: 1-line block ×3, first 2 shown]
	v_mov_b32_e32 v33, s1
	v_add_co_u32_e32 v34, vcc, s0, v13
	v_addc_co_u32_e32 v33, vcc, 0, v33, vcc
	s_waitcnt lgkmcnt(3)
	global_store_dwordx2 v13, v[27:28], s[0:1]
	s_waitcnt lgkmcnt(2)
	global_store_dwordx2 v13, v[29:30], s[0:1] offset:2048
	v_add_co_u32_e32 v27, vcc, 0x1000, v34
	v_addc_co_u32_e32 v28, vcc, 0, v33, vcc
	s_waitcnt lgkmcnt(1)
	global_store_dwordx2 v[27:28], v[31:32], off
	s_mov_b64 s[6:7], -1
	s_cbranch_execz .LBB161_34
	s_branch .LBB161_44
.LBB161_33:
	s_mov_b64 s[6:7], 0
                                        ; implicit-def: $vgpr11_vgpr12
.LBB161_34:
	s_waitcnt vmcnt(0) lgkmcnt(0)
	s_barrier
	ds_read_u8 v24, v24 offset:256
	ds_read_u8 v12, v25 offset:512
	;; [unrolled: 1-line block ×3, first 2 shown]
	s_sub_i32 s6, s14, s16
	v_cmp_gt_u32_e32 vcc, s6, v0
	s_and_saveexec_b64 s[0:1], vcc
	s_cbranch_execnz .LBB161_51
; %bb.35:
	s_or_b64 exec, exec, s[0:1]
	v_cmp_gt_u32_e64 s[0:1], s6, v22
	s_and_saveexec_b64 s[2:3], s[0:1]
	s_cbranch_execnz .LBB161_52
.LBB161_36:
	s_or_b64 exec, exec, s[2:3]
	v_cmp_gt_u32_e64 s[2:3], s6, v21
	s_and_saveexec_b64 s[4:5], s[2:3]
	s_cbranch_execnz .LBB161_53
.LBB161_37:
	s_or_b64 exec, exec, s[4:5]
	v_cmp_gt_u32_e64 s[6:7], s6, v20
	s_and_saveexec_b64 s[4:5], s[6:7]
	s_cbranch_execz .LBB161_39
.LBB161_38:
	s_waitcnt lgkmcnt(0)
	global_store_byte v[9:10], v11, off offset:768
.LBB161_39:
	s_or_b64 exec, exec, s[4:5]
	v_lshl_add_u32 v0, v19, 3, v18
	s_waitcnt vmcnt(0) lgkmcnt(0)
	s_barrier
	ds_write2_b64 v0, v[5:6], v[7:8] offset1:1
	ds_write2_b64 v0, v[1:2], v[3:4] offset0:2 offset1:3
	v_lshl_add_u32 v0, v15, 3, v13
	v_lshl_add_u32 v1, v16, 3, v13
	s_waitcnt lgkmcnt(0)
	s_barrier
	v_lshl_add_u32 v2, v17, 3, v13
	ds_read_b64 v[4:5], v0 offset:2048
	ds_read_b64 v[0:1], v1 offset:4096
	;; [unrolled: 1-line block ×3, first 2 shown]
	s_lshl_b64 s[4:5], s[16:17], 3
	s_add_u32 s4, s12, s4
	s_addc_u32 s5, s13, s5
	v_mov_b32_e32 v3, s5
	v_add_co_u32_e64 v2, s[4:5], s4, v13
	v_addc_co_u32_e64 v3, s[4:5], 0, v3, s[4:5]
	s_and_saveexec_b64 s[4:5], vcc
	s_cbranch_execnz .LBB161_54
; %bb.40:
	s_or_b64 exec, exec, s[4:5]
	s_and_saveexec_b64 s[4:5], s[0:1]
	s_cbranch_execnz .LBB161_55
.LBB161_41:
	s_or_b64 exec, exec, s[4:5]
	s_and_saveexec_b64 s[0:1], s[2:3]
	s_cbranch_execz .LBB161_43
.LBB161_42:
	v_add_co_u32_e32 v2, vcc, 0x1000, v2
	v_addc_co_u32_e32 v3, vcc, 0, v3, vcc
	s_waitcnt lgkmcnt(1)
	global_store_dwordx2 v[2:3], v[0:1], off
.LBB161_43:
	s_or_b64 exec, exec, s[0:1]
.LBB161_44:
	s_and_saveexec_b64 s[0:1], s[6:7]
	s_cbranch_execz .LBB161_46
; %bb.45:
	s_lshl_b64 s[0:1], s[16:17], 3
	s_add_u32 s0, s12, s0
	s_addc_u32 s1, s13, s1
	s_waitcnt lgkmcnt(1)
	v_mov_b32_e32 v0, s1
	v_add_co_u32_e32 v1, vcc, s0, v13
	v_addc_co_u32_e32 v2, vcc, 0, v0, vcc
	v_add_co_u32_e32 v0, vcc, 0x1000, v1
	v_addc_co_u32_e32 v1, vcc, 0, v2, vcc
	s_waitcnt lgkmcnt(0)
	global_store_dwordx2 v[0:1], v[11:12], off offset:2048
.LBB161_46:
	s_endpgm
.LBB161_47:
	v_mov_b32_e32 v1, s25
	v_add_co_u32_e32 v3, vcc, s24, v0
	v_addc_co_u32_e32 v1, vcc, 0, v1, vcc
	v_subrev_co_u32_e32 v2, vcc, s15, v0
	v_mov_b32_e32 v4, s26
	v_add_co_u32_e64 v5, s[0:1], s23, v2
	v_addc_co_u32_e64 v2, s[0:1], 0, v4, s[0:1]
	v_cndmask_b32_e32 v2, v2, v1, vcc
	v_cndmask_b32_e32 v1, v5, v3, vcc
	global_load_ubyte v14, v[1:2], off
	s_or_b64 exec, exec, s[6:7]
	v_cmp_gt_u32_e32 vcc, s20, v11
	s_and_saveexec_b64 s[6:7], vcc
	s_cbranch_execz .LBB161_6
.LBB161_48:
	v_mov_b32_e32 v1, s25
	v_add_co_u32_e32 v3, vcc, s24, v11
	v_addc_co_u32_e32 v1, vcc, 0, v1, vcc
	v_subrev_co_u32_e32 v2, vcc, s15, v11
	v_mov_b32_e32 v4, s26
	v_add_co_u32_e64 v5, s[0:1], s23, v2
	v_addc_co_u32_e64 v2, s[0:1], 0, v4, s[0:1]
	v_cndmask_b32_e32 v2, v2, v1, vcc
	v_cndmask_b32_e32 v1, v5, v3, vcc
	global_load_ubyte v1, v[1:2], off
	s_waitcnt vmcnt(0)
	v_lshlrev_b16_e32 v1, 8, v1
	v_or_b32_e32 v1, v14, v1
	v_and_b32_e32 v14, 0xffff, v1
	s_or_b64 exec, exec, s[6:7]
	v_cmp_gt_u32_e32 vcc, s20, v9
	s_and_saveexec_b64 s[6:7], vcc
	s_cbranch_execnz .LBB161_7
	s_branch .LBB161_8
.LBB161_49:
	v_mov_b32_e32 v2, s7
	v_add_co_u32_e32 v4, vcc, s6, v13
	v_addc_co_u32_e32 v5, vcc, 0, v2, vcc
	v_subrev_co_u32_e32 v2, vcc, s15, v0
	v_mov_b32_e32 v3, v1
	v_lshlrev_b64 v[2:3], 3, v[2:3]
	v_mov_b32_e32 v6, s5
	v_add_co_u32_e64 v2, s[0:1], s4, v2
	v_addc_co_u32_e64 v3, s[0:1], v6, v3, s[0:1]
	v_cndmask_b32_e32 v3, v3, v5, vcc
	v_cndmask_b32_e32 v2, v2, v4, vcc
	global_load_dwordx2 v[19:20], v[2:3], off
	v_mov_b32_e32 v21, v1
	v_mov_b32_e32 v22, v1
	;; [unrolled: 1-line block ×6, first 2 shown]
	s_waitcnt vmcnt(0)
	v_mov_b32_e32 v1, v19
	v_mov_b32_e32 v2, v20
	v_mov_b32_e32 v3, v21
	v_mov_b32_e32 v4, v22
	v_mov_b32_e32 v5, v23
	v_mov_b32_e32 v6, v24
	v_mov_b32_e32 v7, v25
	v_mov_b32_e32 v8, v26
	s_or_b64 exec, exec, s[2:3]
	v_cmp_gt_u32_e32 vcc, s10, v11
	s_and_saveexec_b64 s[2:3], vcc
	s_cbranch_execz .LBB161_16
.LBB161_50:
	v_mov_b32_e32 v12, 0
	v_lshlrev_b64 v[3:4], 3, v[11:12]
	v_mov_b32_e32 v10, s7
	v_add_co_u32_e32 v19, vcc, s6, v3
	v_addc_co_u32_e32 v10, vcc, v10, v4, vcc
	v_subrev_co_u32_e32 v11, vcc, s15, v11
	v_lshlrev_b64 v[3:4], 3, v[11:12]
	v_mov_b32_e32 v11, s5
	v_add_co_u32_e64 v3, s[0:1], s4, v3
	v_addc_co_u32_e64 v4, s[0:1], v11, v4, s[0:1]
	v_cndmask_b32_e32 v4, v4, v10, vcc
	v_cndmask_b32_e32 v3, v3, v19, vcc
	global_load_dwordx2 v[3:4], v[3:4], off
	s_or_b64 exec, exec, s[2:3]
	v_cmp_gt_u32_e32 vcc, s10, v9
	s_and_saveexec_b64 s[2:3], vcc
	s_cbranch_execnz .LBB161_17
	s_branch .LBB161_18
.LBB161_51:
	v_add_u32_e32 v0, v23, v0
	ds_read_u8 v0, v0
	s_waitcnt lgkmcnt(0)
	global_store_byte v[9:10], v0, off
	s_or_b64 exec, exec, s[0:1]
	v_cmp_gt_u32_e64 s[0:1], s6, v22
	s_and_saveexec_b64 s[2:3], s[0:1]
	s_cbranch_execz .LBB161_36
.LBB161_52:
	s_waitcnt lgkmcnt(2)
	global_store_byte v[9:10], v24, off offset:256
	s_or_b64 exec, exec, s[2:3]
	v_cmp_gt_u32_e64 s[2:3], s6, v21
	s_and_saveexec_b64 s[4:5], s[2:3]
	s_cbranch_execz .LBB161_37
.LBB161_53:
	s_waitcnt lgkmcnt(1)
	global_store_byte v[9:10], v12, off offset:512
	s_or_b64 exec, exec, s[4:5]
	v_cmp_gt_u32_e64 s[6:7], s6, v20
	s_and_saveexec_b64 s[4:5], s[6:7]
	s_cbranch_execnz .LBB161_38
	s_branch .LBB161_39
.LBB161_54:
	v_lshl_add_u32 v6, v14, 3, v13
	ds_read_b64 v[6:7], v6
	s_waitcnt lgkmcnt(0)
	global_store_dwordx2 v[2:3], v[6:7], off
	s_or_b64 exec, exec, s[4:5]
	s_and_saveexec_b64 s[4:5], s[0:1]
	s_cbranch_execz .LBB161_41
.LBB161_55:
	s_waitcnt lgkmcnt(2)
	global_store_dwordx2 v[2:3], v[4:5], off offset:2048
	s_or_b64 exec, exec, s[4:5]
	s_and_saveexec_b64 s[0:1], s[2:3]
	s_cbranch_execnz .LBB161_42
	s_branch .LBB161_43
	.section	.rodata,"a",@progbits
	.p2align	6, 0x0
	.amdhsa_kernel _ZN7rocprim17ROCPRIM_400000_NS6detail17trampoline_kernelINS0_14default_configENS1_38merge_sort_block_merge_config_selectorIhlEEZZNS1_27merge_sort_block_merge_implIS3_PhN6thrust23THRUST_200600_302600_NS10device_ptrIlEEjNS1_19radix_merge_compareILb0ELb0EhNS0_19identity_decomposerEEEEE10hipError_tT0_T1_T2_jT3_P12ihipStream_tbPNSt15iterator_traitsISG_E10value_typeEPNSM_ISH_E10value_typeEPSI_NS1_7vsmem_tEENKUlT_SG_SH_SI_E_clIS7_S7_SB_PlEESF_SV_SG_SH_SI_EUlSV_E0_NS1_11comp_targetILNS1_3genE2ELNS1_11target_archE906ELNS1_3gpuE6ELNS1_3repE0EEENS1_38merge_mergepath_config_static_selectorELNS0_4arch9wavefront6targetE1EEEvSH_
		.amdhsa_group_segment_fixed_size 8448
		.amdhsa_private_segment_fixed_size 0
		.amdhsa_kernarg_size 320
		.amdhsa_user_sgpr_count 6
		.amdhsa_user_sgpr_private_segment_buffer 1
		.amdhsa_user_sgpr_dispatch_ptr 0
		.amdhsa_user_sgpr_queue_ptr 0
		.amdhsa_user_sgpr_kernarg_segment_ptr 1
		.amdhsa_user_sgpr_dispatch_id 0
		.amdhsa_user_sgpr_flat_scratch_init 0
		.amdhsa_user_sgpr_private_segment_size 0
		.amdhsa_uses_dynamic_stack 0
		.amdhsa_system_sgpr_private_segment_wavefront_offset 0
		.amdhsa_system_sgpr_workgroup_id_x 1
		.amdhsa_system_sgpr_workgroup_id_y 1
		.amdhsa_system_sgpr_workgroup_id_z 1
		.amdhsa_system_sgpr_workgroup_info 0
		.amdhsa_system_vgpr_workitem_id 0
		.amdhsa_next_free_vgpr 35
		.amdhsa_next_free_sgpr 77
		.amdhsa_reserve_vcc 1
		.amdhsa_reserve_flat_scratch 0
		.amdhsa_float_round_mode_32 0
		.amdhsa_float_round_mode_16_64 0
		.amdhsa_float_denorm_mode_32 3
		.amdhsa_float_denorm_mode_16_64 3
		.amdhsa_dx10_clamp 1
		.amdhsa_ieee_mode 1
		.amdhsa_fp16_overflow 0
		.amdhsa_exception_fp_ieee_invalid_op 0
		.amdhsa_exception_fp_denorm_src 0
		.amdhsa_exception_fp_ieee_div_zero 0
		.amdhsa_exception_fp_ieee_overflow 0
		.amdhsa_exception_fp_ieee_underflow 0
		.amdhsa_exception_fp_ieee_inexact 0
		.amdhsa_exception_int_div_zero 0
	.end_amdhsa_kernel
	.section	.text._ZN7rocprim17ROCPRIM_400000_NS6detail17trampoline_kernelINS0_14default_configENS1_38merge_sort_block_merge_config_selectorIhlEEZZNS1_27merge_sort_block_merge_implIS3_PhN6thrust23THRUST_200600_302600_NS10device_ptrIlEEjNS1_19radix_merge_compareILb0ELb0EhNS0_19identity_decomposerEEEEE10hipError_tT0_T1_T2_jT3_P12ihipStream_tbPNSt15iterator_traitsISG_E10value_typeEPNSM_ISH_E10value_typeEPSI_NS1_7vsmem_tEENKUlT_SG_SH_SI_E_clIS7_S7_SB_PlEESF_SV_SG_SH_SI_EUlSV_E0_NS1_11comp_targetILNS1_3genE2ELNS1_11target_archE906ELNS1_3gpuE6ELNS1_3repE0EEENS1_38merge_mergepath_config_static_selectorELNS0_4arch9wavefront6targetE1EEEvSH_,"axG",@progbits,_ZN7rocprim17ROCPRIM_400000_NS6detail17trampoline_kernelINS0_14default_configENS1_38merge_sort_block_merge_config_selectorIhlEEZZNS1_27merge_sort_block_merge_implIS3_PhN6thrust23THRUST_200600_302600_NS10device_ptrIlEEjNS1_19radix_merge_compareILb0ELb0EhNS0_19identity_decomposerEEEEE10hipError_tT0_T1_T2_jT3_P12ihipStream_tbPNSt15iterator_traitsISG_E10value_typeEPNSM_ISH_E10value_typeEPSI_NS1_7vsmem_tEENKUlT_SG_SH_SI_E_clIS7_S7_SB_PlEESF_SV_SG_SH_SI_EUlSV_E0_NS1_11comp_targetILNS1_3genE2ELNS1_11target_archE906ELNS1_3gpuE6ELNS1_3repE0EEENS1_38merge_mergepath_config_static_selectorELNS0_4arch9wavefront6targetE1EEEvSH_,comdat
.Lfunc_end161:
	.size	_ZN7rocprim17ROCPRIM_400000_NS6detail17trampoline_kernelINS0_14default_configENS1_38merge_sort_block_merge_config_selectorIhlEEZZNS1_27merge_sort_block_merge_implIS3_PhN6thrust23THRUST_200600_302600_NS10device_ptrIlEEjNS1_19radix_merge_compareILb0ELb0EhNS0_19identity_decomposerEEEEE10hipError_tT0_T1_T2_jT3_P12ihipStream_tbPNSt15iterator_traitsISG_E10value_typeEPNSM_ISH_E10value_typeEPSI_NS1_7vsmem_tEENKUlT_SG_SH_SI_E_clIS7_S7_SB_PlEESF_SV_SG_SH_SI_EUlSV_E0_NS1_11comp_targetILNS1_3genE2ELNS1_11target_archE906ELNS1_3gpuE6ELNS1_3repE0EEENS1_38merge_mergepath_config_static_selectorELNS0_4arch9wavefront6targetE1EEEvSH_, .Lfunc_end161-_ZN7rocprim17ROCPRIM_400000_NS6detail17trampoline_kernelINS0_14default_configENS1_38merge_sort_block_merge_config_selectorIhlEEZZNS1_27merge_sort_block_merge_implIS3_PhN6thrust23THRUST_200600_302600_NS10device_ptrIlEEjNS1_19radix_merge_compareILb0ELb0EhNS0_19identity_decomposerEEEEE10hipError_tT0_T1_T2_jT3_P12ihipStream_tbPNSt15iterator_traitsISG_E10value_typeEPNSM_ISH_E10value_typeEPSI_NS1_7vsmem_tEENKUlT_SG_SH_SI_E_clIS7_S7_SB_PlEESF_SV_SG_SH_SI_EUlSV_E0_NS1_11comp_targetILNS1_3genE2ELNS1_11target_archE906ELNS1_3gpuE6ELNS1_3repE0EEENS1_38merge_mergepath_config_static_selectorELNS0_4arch9wavefront6targetE1EEEvSH_
                                        ; -- End function
	.set _ZN7rocprim17ROCPRIM_400000_NS6detail17trampoline_kernelINS0_14default_configENS1_38merge_sort_block_merge_config_selectorIhlEEZZNS1_27merge_sort_block_merge_implIS3_PhN6thrust23THRUST_200600_302600_NS10device_ptrIlEEjNS1_19radix_merge_compareILb0ELb0EhNS0_19identity_decomposerEEEEE10hipError_tT0_T1_T2_jT3_P12ihipStream_tbPNSt15iterator_traitsISG_E10value_typeEPNSM_ISH_E10value_typeEPSI_NS1_7vsmem_tEENKUlT_SG_SH_SI_E_clIS7_S7_SB_PlEESF_SV_SG_SH_SI_EUlSV_E0_NS1_11comp_targetILNS1_3genE2ELNS1_11target_archE906ELNS1_3gpuE6ELNS1_3repE0EEENS1_38merge_mergepath_config_static_selectorELNS0_4arch9wavefront6targetE1EEEvSH_.num_vgpr, 35
	.set _ZN7rocprim17ROCPRIM_400000_NS6detail17trampoline_kernelINS0_14default_configENS1_38merge_sort_block_merge_config_selectorIhlEEZZNS1_27merge_sort_block_merge_implIS3_PhN6thrust23THRUST_200600_302600_NS10device_ptrIlEEjNS1_19radix_merge_compareILb0ELb0EhNS0_19identity_decomposerEEEEE10hipError_tT0_T1_T2_jT3_P12ihipStream_tbPNSt15iterator_traitsISG_E10value_typeEPNSM_ISH_E10value_typeEPSI_NS1_7vsmem_tEENKUlT_SG_SH_SI_E_clIS7_S7_SB_PlEESF_SV_SG_SH_SI_EUlSV_E0_NS1_11comp_targetILNS1_3genE2ELNS1_11target_archE906ELNS1_3gpuE6ELNS1_3repE0EEENS1_38merge_mergepath_config_static_selectorELNS0_4arch9wavefront6targetE1EEEvSH_.num_agpr, 0
	.set _ZN7rocprim17ROCPRIM_400000_NS6detail17trampoline_kernelINS0_14default_configENS1_38merge_sort_block_merge_config_selectorIhlEEZZNS1_27merge_sort_block_merge_implIS3_PhN6thrust23THRUST_200600_302600_NS10device_ptrIlEEjNS1_19radix_merge_compareILb0ELb0EhNS0_19identity_decomposerEEEEE10hipError_tT0_T1_T2_jT3_P12ihipStream_tbPNSt15iterator_traitsISG_E10value_typeEPNSM_ISH_E10value_typeEPSI_NS1_7vsmem_tEENKUlT_SG_SH_SI_E_clIS7_S7_SB_PlEESF_SV_SG_SH_SI_EUlSV_E0_NS1_11comp_targetILNS1_3genE2ELNS1_11target_archE906ELNS1_3gpuE6ELNS1_3repE0EEENS1_38merge_mergepath_config_static_selectorELNS0_4arch9wavefront6targetE1EEEvSH_.numbered_sgpr, 29
	.set _ZN7rocprim17ROCPRIM_400000_NS6detail17trampoline_kernelINS0_14default_configENS1_38merge_sort_block_merge_config_selectorIhlEEZZNS1_27merge_sort_block_merge_implIS3_PhN6thrust23THRUST_200600_302600_NS10device_ptrIlEEjNS1_19radix_merge_compareILb0ELb0EhNS0_19identity_decomposerEEEEE10hipError_tT0_T1_T2_jT3_P12ihipStream_tbPNSt15iterator_traitsISG_E10value_typeEPNSM_ISH_E10value_typeEPSI_NS1_7vsmem_tEENKUlT_SG_SH_SI_E_clIS7_S7_SB_PlEESF_SV_SG_SH_SI_EUlSV_E0_NS1_11comp_targetILNS1_3genE2ELNS1_11target_archE906ELNS1_3gpuE6ELNS1_3repE0EEENS1_38merge_mergepath_config_static_selectorELNS0_4arch9wavefront6targetE1EEEvSH_.num_named_barrier, 0
	.set _ZN7rocprim17ROCPRIM_400000_NS6detail17trampoline_kernelINS0_14default_configENS1_38merge_sort_block_merge_config_selectorIhlEEZZNS1_27merge_sort_block_merge_implIS3_PhN6thrust23THRUST_200600_302600_NS10device_ptrIlEEjNS1_19radix_merge_compareILb0ELb0EhNS0_19identity_decomposerEEEEE10hipError_tT0_T1_T2_jT3_P12ihipStream_tbPNSt15iterator_traitsISG_E10value_typeEPNSM_ISH_E10value_typeEPSI_NS1_7vsmem_tEENKUlT_SG_SH_SI_E_clIS7_S7_SB_PlEESF_SV_SG_SH_SI_EUlSV_E0_NS1_11comp_targetILNS1_3genE2ELNS1_11target_archE906ELNS1_3gpuE6ELNS1_3repE0EEENS1_38merge_mergepath_config_static_selectorELNS0_4arch9wavefront6targetE1EEEvSH_.private_seg_size, 0
	.set _ZN7rocprim17ROCPRIM_400000_NS6detail17trampoline_kernelINS0_14default_configENS1_38merge_sort_block_merge_config_selectorIhlEEZZNS1_27merge_sort_block_merge_implIS3_PhN6thrust23THRUST_200600_302600_NS10device_ptrIlEEjNS1_19radix_merge_compareILb0ELb0EhNS0_19identity_decomposerEEEEE10hipError_tT0_T1_T2_jT3_P12ihipStream_tbPNSt15iterator_traitsISG_E10value_typeEPNSM_ISH_E10value_typeEPSI_NS1_7vsmem_tEENKUlT_SG_SH_SI_E_clIS7_S7_SB_PlEESF_SV_SG_SH_SI_EUlSV_E0_NS1_11comp_targetILNS1_3genE2ELNS1_11target_archE906ELNS1_3gpuE6ELNS1_3repE0EEENS1_38merge_mergepath_config_static_selectorELNS0_4arch9wavefront6targetE1EEEvSH_.uses_vcc, 1
	.set _ZN7rocprim17ROCPRIM_400000_NS6detail17trampoline_kernelINS0_14default_configENS1_38merge_sort_block_merge_config_selectorIhlEEZZNS1_27merge_sort_block_merge_implIS3_PhN6thrust23THRUST_200600_302600_NS10device_ptrIlEEjNS1_19radix_merge_compareILb0ELb0EhNS0_19identity_decomposerEEEEE10hipError_tT0_T1_T2_jT3_P12ihipStream_tbPNSt15iterator_traitsISG_E10value_typeEPNSM_ISH_E10value_typeEPSI_NS1_7vsmem_tEENKUlT_SG_SH_SI_E_clIS7_S7_SB_PlEESF_SV_SG_SH_SI_EUlSV_E0_NS1_11comp_targetILNS1_3genE2ELNS1_11target_archE906ELNS1_3gpuE6ELNS1_3repE0EEENS1_38merge_mergepath_config_static_selectorELNS0_4arch9wavefront6targetE1EEEvSH_.uses_flat_scratch, 0
	.set _ZN7rocprim17ROCPRIM_400000_NS6detail17trampoline_kernelINS0_14default_configENS1_38merge_sort_block_merge_config_selectorIhlEEZZNS1_27merge_sort_block_merge_implIS3_PhN6thrust23THRUST_200600_302600_NS10device_ptrIlEEjNS1_19radix_merge_compareILb0ELb0EhNS0_19identity_decomposerEEEEE10hipError_tT0_T1_T2_jT3_P12ihipStream_tbPNSt15iterator_traitsISG_E10value_typeEPNSM_ISH_E10value_typeEPSI_NS1_7vsmem_tEENKUlT_SG_SH_SI_E_clIS7_S7_SB_PlEESF_SV_SG_SH_SI_EUlSV_E0_NS1_11comp_targetILNS1_3genE2ELNS1_11target_archE906ELNS1_3gpuE6ELNS1_3repE0EEENS1_38merge_mergepath_config_static_selectorELNS0_4arch9wavefront6targetE1EEEvSH_.has_dyn_sized_stack, 0
	.set _ZN7rocprim17ROCPRIM_400000_NS6detail17trampoline_kernelINS0_14default_configENS1_38merge_sort_block_merge_config_selectorIhlEEZZNS1_27merge_sort_block_merge_implIS3_PhN6thrust23THRUST_200600_302600_NS10device_ptrIlEEjNS1_19radix_merge_compareILb0ELb0EhNS0_19identity_decomposerEEEEE10hipError_tT0_T1_T2_jT3_P12ihipStream_tbPNSt15iterator_traitsISG_E10value_typeEPNSM_ISH_E10value_typeEPSI_NS1_7vsmem_tEENKUlT_SG_SH_SI_E_clIS7_S7_SB_PlEESF_SV_SG_SH_SI_EUlSV_E0_NS1_11comp_targetILNS1_3genE2ELNS1_11target_archE906ELNS1_3gpuE6ELNS1_3repE0EEENS1_38merge_mergepath_config_static_selectorELNS0_4arch9wavefront6targetE1EEEvSH_.has_recursion, 0
	.set _ZN7rocprim17ROCPRIM_400000_NS6detail17trampoline_kernelINS0_14default_configENS1_38merge_sort_block_merge_config_selectorIhlEEZZNS1_27merge_sort_block_merge_implIS3_PhN6thrust23THRUST_200600_302600_NS10device_ptrIlEEjNS1_19radix_merge_compareILb0ELb0EhNS0_19identity_decomposerEEEEE10hipError_tT0_T1_T2_jT3_P12ihipStream_tbPNSt15iterator_traitsISG_E10value_typeEPNSM_ISH_E10value_typeEPSI_NS1_7vsmem_tEENKUlT_SG_SH_SI_E_clIS7_S7_SB_PlEESF_SV_SG_SH_SI_EUlSV_E0_NS1_11comp_targetILNS1_3genE2ELNS1_11target_archE906ELNS1_3gpuE6ELNS1_3repE0EEENS1_38merge_mergepath_config_static_selectorELNS0_4arch9wavefront6targetE1EEEvSH_.has_indirect_call, 0
	.section	.AMDGPU.csdata,"",@progbits
; Kernel info:
; codeLenInByte = 3400
; TotalNumSgprs: 33
; NumVgprs: 35
; ScratchSize: 0
; MemoryBound: 0
; FloatMode: 240
; IeeeMode: 1
; LDSByteSize: 8448 bytes/workgroup (compile time only)
; SGPRBlocks: 10
; VGPRBlocks: 8
; NumSGPRsForWavesPerEU: 81
; NumVGPRsForWavesPerEU: 35
; Occupancy: 7
; WaveLimiterHint : 1
; COMPUTE_PGM_RSRC2:SCRATCH_EN: 0
; COMPUTE_PGM_RSRC2:USER_SGPR: 6
; COMPUTE_PGM_RSRC2:TRAP_HANDLER: 0
; COMPUTE_PGM_RSRC2:TGID_X_EN: 1
; COMPUTE_PGM_RSRC2:TGID_Y_EN: 1
; COMPUTE_PGM_RSRC2:TGID_Z_EN: 1
; COMPUTE_PGM_RSRC2:TIDIG_COMP_CNT: 0
	.section	.text._ZN7rocprim17ROCPRIM_400000_NS6detail17trampoline_kernelINS0_14default_configENS1_38merge_sort_block_merge_config_selectorIhlEEZZNS1_27merge_sort_block_merge_implIS3_PhN6thrust23THRUST_200600_302600_NS10device_ptrIlEEjNS1_19radix_merge_compareILb0ELb0EhNS0_19identity_decomposerEEEEE10hipError_tT0_T1_T2_jT3_P12ihipStream_tbPNSt15iterator_traitsISG_E10value_typeEPNSM_ISH_E10value_typeEPSI_NS1_7vsmem_tEENKUlT_SG_SH_SI_E_clIS7_S7_SB_PlEESF_SV_SG_SH_SI_EUlSV_E0_NS1_11comp_targetILNS1_3genE9ELNS1_11target_archE1100ELNS1_3gpuE3ELNS1_3repE0EEENS1_38merge_mergepath_config_static_selectorELNS0_4arch9wavefront6targetE1EEEvSH_,"axG",@progbits,_ZN7rocprim17ROCPRIM_400000_NS6detail17trampoline_kernelINS0_14default_configENS1_38merge_sort_block_merge_config_selectorIhlEEZZNS1_27merge_sort_block_merge_implIS3_PhN6thrust23THRUST_200600_302600_NS10device_ptrIlEEjNS1_19radix_merge_compareILb0ELb0EhNS0_19identity_decomposerEEEEE10hipError_tT0_T1_T2_jT3_P12ihipStream_tbPNSt15iterator_traitsISG_E10value_typeEPNSM_ISH_E10value_typeEPSI_NS1_7vsmem_tEENKUlT_SG_SH_SI_E_clIS7_S7_SB_PlEESF_SV_SG_SH_SI_EUlSV_E0_NS1_11comp_targetILNS1_3genE9ELNS1_11target_archE1100ELNS1_3gpuE3ELNS1_3repE0EEENS1_38merge_mergepath_config_static_selectorELNS0_4arch9wavefront6targetE1EEEvSH_,comdat
	.protected	_ZN7rocprim17ROCPRIM_400000_NS6detail17trampoline_kernelINS0_14default_configENS1_38merge_sort_block_merge_config_selectorIhlEEZZNS1_27merge_sort_block_merge_implIS3_PhN6thrust23THRUST_200600_302600_NS10device_ptrIlEEjNS1_19radix_merge_compareILb0ELb0EhNS0_19identity_decomposerEEEEE10hipError_tT0_T1_T2_jT3_P12ihipStream_tbPNSt15iterator_traitsISG_E10value_typeEPNSM_ISH_E10value_typeEPSI_NS1_7vsmem_tEENKUlT_SG_SH_SI_E_clIS7_S7_SB_PlEESF_SV_SG_SH_SI_EUlSV_E0_NS1_11comp_targetILNS1_3genE9ELNS1_11target_archE1100ELNS1_3gpuE3ELNS1_3repE0EEENS1_38merge_mergepath_config_static_selectorELNS0_4arch9wavefront6targetE1EEEvSH_ ; -- Begin function _ZN7rocprim17ROCPRIM_400000_NS6detail17trampoline_kernelINS0_14default_configENS1_38merge_sort_block_merge_config_selectorIhlEEZZNS1_27merge_sort_block_merge_implIS3_PhN6thrust23THRUST_200600_302600_NS10device_ptrIlEEjNS1_19radix_merge_compareILb0ELb0EhNS0_19identity_decomposerEEEEE10hipError_tT0_T1_T2_jT3_P12ihipStream_tbPNSt15iterator_traitsISG_E10value_typeEPNSM_ISH_E10value_typeEPSI_NS1_7vsmem_tEENKUlT_SG_SH_SI_E_clIS7_S7_SB_PlEESF_SV_SG_SH_SI_EUlSV_E0_NS1_11comp_targetILNS1_3genE9ELNS1_11target_archE1100ELNS1_3gpuE3ELNS1_3repE0EEENS1_38merge_mergepath_config_static_selectorELNS0_4arch9wavefront6targetE1EEEvSH_
	.globl	_ZN7rocprim17ROCPRIM_400000_NS6detail17trampoline_kernelINS0_14default_configENS1_38merge_sort_block_merge_config_selectorIhlEEZZNS1_27merge_sort_block_merge_implIS3_PhN6thrust23THRUST_200600_302600_NS10device_ptrIlEEjNS1_19radix_merge_compareILb0ELb0EhNS0_19identity_decomposerEEEEE10hipError_tT0_T1_T2_jT3_P12ihipStream_tbPNSt15iterator_traitsISG_E10value_typeEPNSM_ISH_E10value_typeEPSI_NS1_7vsmem_tEENKUlT_SG_SH_SI_E_clIS7_S7_SB_PlEESF_SV_SG_SH_SI_EUlSV_E0_NS1_11comp_targetILNS1_3genE9ELNS1_11target_archE1100ELNS1_3gpuE3ELNS1_3repE0EEENS1_38merge_mergepath_config_static_selectorELNS0_4arch9wavefront6targetE1EEEvSH_
	.p2align	8
	.type	_ZN7rocprim17ROCPRIM_400000_NS6detail17trampoline_kernelINS0_14default_configENS1_38merge_sort_block_merge_config_selectorIhlEEZZNS1_27merge_sort_block_merge_implIS3_PhN6thrust23THRUST_200600_302600_NS10device_ptrIlEEjNS1_19radix_merge_compareILb0ELb0EhNS0_19identity_decomposerEEEEE10hipError_tT0_T1_T2_jT3_P12ihipStream_tbPNSt15iterator_traitsISG_E10value_typeEPNSM_ISH_E10value_typeEPSI_NS1_7vsmem_tEENKUlT_SG_SH_SI_E_clIS7_S7_SB_PlEESF_SV_SG_SH_SI_EUlSV_E0_NS1_11comp_targetILNS1_3genE9ELNS1_11target_archE1100ELNS1_3gpuE3ELNS1_3repE0EEENS1_38merge_mergepath_config_static_selectorELNS0_4arch9wavefront6targetE1EEEvSH_,@function
_ZN7rocprim17ROCPRIM_400000_NS6detail17trampoline_kernelINS0_14default_configENS1_38merge_sort_block_merge_config_selectorIhlEEZZNS1_27merge_sort_block_merge_implIS3_PhN6thrust23THRUST_200600_302600_NS10device_ptrIlEEjNS1_19radix_merge_compareILb0ELb0EhNS0_19identity_decomposerEEEEE10hipError_tT0_T1_T2_jT3_P12ihipStream_tbPNSt15iterator_traitsISG_E10value_typeEPNSM_ISH_E10value_typeEPSI_NS1_7vsmem_tEENKUlT_SG_SH_SI_E_clIS7_S7_SB_PlEESF_SV_SG_SH_SI_EUlSV_E0_NS1_11comp_targetILNS1_3genE9ELNS1_11target_archE1100ELNS1_3gpuE3ELNS1_3repE0EEENS1_38merge_mergepath_config_static_selectorELNS0_4arch9wavefront6targetE1EEEvSH_: ; @_ZN7rocprim17ROCPRIM_400000_NS6detail17trampoline_kernelINS0_14default_configENS1_38merge_sort_block_merge_config_selectorIhlEEZZNS1_27merge_sort_block_merge_implIS3_PhN6thrust23THRUST_200600_302600_NS10device_ptrIlEEjNS1_19radix_merge_compareILb0ELb0EhNS0_19identity_decomposerEEEEE10hipError_tT0_T1_T2_jT3_P12ihipStream_tbPNSt15iterator_traitsISG_E10value_typeEPNSM_ISH_E10value_typeEPSI_NS1_7vsmem_tEENKUlT_SG_SH_SI_E_clIS7_S7_SB_PlEESF_SV_SG_SH_SI_EUlSV_E0_NS1_11comp_targetILNS1_3genE9ELNS1_11target_archE1100ELNS1_3gpuE3ELNS1_3repE0EEENS1_38merge_mergepath_config_static_selectorELNS0_4arch9wavefront6targetE1EEEvSH_
; %bb.0:
	.section	.rodata,"a",@progbits
	.p2align	6, 0x0
	.amdhsa_kernel _ZN7rocprim17ROCPRIM_400000_NS6detail17trampoline_kernelINS0_14default_configENS1_38merge_sort_block_merge_config_selectorIhlEEZZNS1_27merge_sort_block_merge_implIS3_PhN6thrust23THRUST_200600_302600_NS10device_ptrIlEEjNS1_19radix_merge_compareILb0ELb0EhNS0_19identity_decomposerEEEEE10hipError_tT0_T1_T2_jT3_P12ihipStream_tbPNSt15iterator_traitsISG_E10value_typeEPNSM_ISH_E10value_typeEPSI_NS1_7vsmem_tEENKUlT_SG_SH_SI_E_clIS7_S7_SB_PlEESF_SV_SG_SH_SI_EUlSV_E0_NS1_11comp_targetILNS1_3genE9ELNS1_11target_archE1100ELNS1_3gpuE3ELNS1_3repE0EEENS1_38merge_mergepath_config_static_selectorELNS0_4arch9wavefront6targetE1EEEvSH_
		.amdhsa_group_segment_fixed_size 0
		.amdhsa_private_segment_fixed_size 0
		.amdhsa_kernarg_size 64
		.amdhsa_user_sgpr_count 6
		.amdhsa_user_sgpr_private_segment_buffer 1
		.amdhsa_user_sgpr_dispatch_ptr 0
		.amdhsa_user_sgpr_queue_ptr 0
		.amdhsa_user_sgpr_kernarg_segment_ptr 1
		.amdhsa_user_sgpr_dispatch_id 0
		.amdhsa_user_sgpr_flat_scratch_init 0
		.amdhsa_user_sgpr_private_segment_size 0
		.amdhsa_uses_dynamic_stack 0
		.amdhsa_system_sgpr_private_segment_wavefront_offset 0
		.amdhsa_system_sgpr_workgroup_id_x 1
		.amdhsa_system_sgpr_workgroup_id_y 0
		.amdhsa_system_sgpr_workgroup_id_z 0
		.amdhsa_system_sgpr_workgroup_info 0
		.amdhsa_system_vgpr_workitem_id 0
		.amdhsa_next_free_vgpr 1
		.amdhsa_next_free_sgpr 0
		.amdhsa_reserve_vcc 0
		.amdhsa_reserve_flat_scratch 0
		.amdhsa_float_round_mode_32 0
		.amdhsa_float_round_mode_16_64 0
		.amdhsa_float_denorm_mode_32 3
		.amdhsa_float_denorm_mode_16_64 3
		.amdhsa_dx10_clamp 1
		.amdhsa_ieee_mode 1
		.amdhsa_fp16_overflow 0
		.amdhsa_exception_fp_ieee_invalid_op 0
		.amdhsa_exception_fp_denorm_src 0
		.amdhsa_exception_fp_ieee_div_zero 0
		.amdhsa_exception_fp_ieee_overflow 0
		.amdhsa_exception_fp_ieee_underflow 0
		.amdhsa_exception_fp_ieee_inexact 0
		.amdhsa_exception_int_div_zero 0
	.end_amdhsa_kernel
	.section	.text._ZN7rocprim17ROCPRIM_400000_NS6detail17trampoline_kernelINS0_14default_configENS1_38merge_sort_block_merge_config_selectorIhlEEZZNS1_27merge_sort_block_merge_implIS3_PhN6thrust23THRUST_200600_302600_NS10device_ptrIlEEjNS1_19radix_merge_compareILb0ELb0EhNS0_19identity_decomposerEEEEE10hipError_tT0_T1_T2_jT3_P12ihipStream_tbPNSt15iterator_traitsISG_E10value_typeEPNSM_ISH_E10value_typeEPSI_NS1_7vsmem_tEENKUlT_SG_SH_SI_E_clIS7_S7_SB_PlEESF_SV_SG_SH_SI_EUlSV_E0_NS1_11comp_targetILNS1_3genE9ELNS1_11target_archE1100ELNS1_3gpuE3ELNS1_3repE0EEENS1_38merge_mergepath_config_static_selectorELNS0_4arch9wavefront6targetE1EEEvSH_,"axG",@progbits,_ZN7rocprim17ROCPRIM_400000_NS6detail17trampoline_kernelINS0_14default_configENS1_38merge_sort_block_merge_config_selectorIhlEEZZNS1_27merge_sort_block_merge_implIS3_PhN6thrust23THRUST_200600_302600_NS10device_ptrIlEEjNS1_19radix_merge_compareILb0ELb0EhNS0_19identity_decomposerEEEEE10hipError_tT0_T1_T2_jT3_P12ihipStream_tbPNSt15iterator_traitsISG_E10value_typeEPNSM_ISH_E10value_typeEPSI_NS1_7vsmem_tEENKUlT_SG_SH_SI_E_clIS7_S7_SB_PlEESF_SV_SG_SH_SI_EUlSV_E0_NS1_11comp_targetILNS1_3genE9ELNS1_11target_archE1100ELNS1_3gpuE3ELNS1_3repE0EEENS1_38merge_mergepath_config_static_selectorELNS0_4arch9wavefront6targetE1EEEvSH_,comdat
.Lfunc_end162:
	.size	_ZN7rocprim17ROCPRIM_400000_NS6detail17trampoline_kernelINS0_14default_configENS1_38merge_sort_block_merge_config_selectorIhlEEZZNS1_27merge_sort_block_merge_implIS3_PhN6thrust23THRUST_200600_302600_NS10device_ptrIlEEjNS1_19radix_merge_compareILb0ELb0EhNS0_19identity_decomposerEEEEE10hipError_tT0_T1_T2_jT3_P12ihipStream_tbPNSt15iterator_traitsISG_E10value_typeEPNSM_ISH_E10value_typeEPSI_NS1_7vsmem_tEENKUlT_SG_SH_SI_E_clIS7_S7_SB_PlEESF_SV_SG_SH_SI_EUlSV_E0_NS1_11comp_targetILNS1_3genE9ELNS1_11target_archE1100ELNS1_3gpuE3ELNS1_3repE0EEENS1_38merge_mergepath_config_static_selectorELNS0_4arch9wavefront6targetE1EEEvSH_, .Lfunc_end162-_ZN7rocprim17ROCPRIM_400000_NS6detail17trampoline_kernelINS0_14default_configENS1_38merge_sort_block_merge_config_selectorIhlEEZZNS1_27merge_sort_block_merge_implIS3_PhN6thrust23THRUST_200600_302600_NS10device_ptrIlEEjNS1_19radix_merge_compareILb0ELb0EhNS0_19identity_decomposerEEEEE10hipError_tT0_T1_T2_jT3_P12ihipStream_tbPNSt15iterator_traitsISG_E10value_typeEPNSM_ISH_E10value_typeEPSI_NS1_7vsmem_tEENKUlT_SG_SH_SI_E_clIS7_S7_SB_PlEESF_SV_SG_SH_SI_EUlSV_E0_NS1_11comp_targetILNS1_3genE9ELNS1_11target_archE1100ELNS1_3gpuE3ELNS1_3repE0EEENS1_38merge_mergepath_config_static_selectorELNS0_4arch9wavefront6targetE1EEEvSH_
                                        ; -- End function
	.set _ZN7rocprim17ROCPRIM_400000_NS6detail17trampoline_kernelINS0_14default_configENS1_38merge_sort_block_merge_config_selectorIhlEEZZNS1_27merge_sort_block_merge_implIS3_PhN6thrust23THRUST_200600_302600_NS10device_ptrIlEEjNS1_19radix_merge_compareILb0ELb0EhNS0_19identity_decomposerEEEEE10hipError_tT0_T1_T2_jT3_P12ihipStream_tbPNSt15iterator_traitsISG_E10value_typeEPNSM_ISH_E10value_typeEPSI_NS1_7vsmem_tEENKUlT_SG_SH_SI_E_clIS7_S7_SB_PlEESF_SV_SG_SH_SI_EUlSV_E0_NS1_11comp_targetILNS1_3genE9ELNS1_11target_archE1100ELNS1_3gpuE3ELNS1_3repE0EEENS1_38merge_mergepath_config_static_selectorELNS0_4arch9wavefront6targetE1EEEvSH_.num_vgpr, 0
	.set _ZN7rocprim17ROCPRIM_400000_NS6detail17trampoline_kernelINS0_14default_configENS1_38merge_sort_block_merge_config_selectorIhlEEZZNS1_27merge_sort_block_merge_implIS3_PhN6thrust23THRUST_200600_302600_NS10device_ptrIlEEjNS1_19radix_merge_compareILb0ELb0EhNS0_19identity_decomposerEEEEE10hipError_tT0_T1_T2_jT3_P12ihipStream_tbPNSt15iterator_traitsISG_E10value_typeEPNSM_ISH_E10value_typeEPSI_NS1_7vsmem_tEENKUlT_SG_SH_SI_E_clIS7_S7_SB_PlEESF_SV_SG_SH_SI_EUlSV_E0_NS1_11comp_targetILNS1_3genE9ELNS1_11target_archE1100ELNS1_3gpuE3ELNS1_3repE0EEENS1_38merge_mergepath_config_static_selectorELNS0_4arch9wavefront6targetE1EEEvSH_.num_agpr, 0
	.set _ZN7rocprim17ROCPRIM_400000_NS6detail17trampoline_kernelINS0_14default_configENS1_38merge_sort_block_merge_config_selectorIhlEEZZNS1_27merge_sort_block_merge_implIS3_PhN6thrust23THRUST_200600_302600_NS10device_ptrIlEEjNS1_19radix_merge_compareILb0ELb0EhNS0_19identity_decomposerEEEEE10hipError_tT0_T1_T2_jT3_P12ihipStream_tbPNSt15iterator_traitsISG_E10value_typeEPNSM_ISH_E10value_typeEPSI_NS1_7vsmem_tEENKUlT_SG_SH_SI_E_clIS7_S7_SB_PlEESF_SV_SG_SH_SI_EUlSV_E0_NS1_11comp_targetILNS1_3genE9ELNS1_11target_archE1100ELNS1_3gpuE3ELNS1_3repE0EEENS1_38merge_mergepath_config_static_selectorELNS0_4arch9wavefront6targetE1EEEvSH_.numbered_sgpr, 0
	.set _ZN7rocprim17ROCPRIM_400000_NS6detail17trampoline_kernelINS0_14default_configENS1_38merge_sort_block_merge_config_selectorIhlEEZZNS1_27merge_sort_block_merge_implIS3_PhN6thrust23THRUST_200600_302600_NS10device_ptrIlEEjNS1_19radix_merge_compareILb0ELb0EhNS0_19identity_decomposerEEEEE10hipError_tT0_T1_T2_jT3_P12ihipStream_tbPNSt15iterator_traitsISG_E10value_typeEPNSM_ISH_E10value_typeEPSI_NS1_7vsmem_tEENKUlT_SG_SH_SI_E_clIS7_S7_SB_PlEESF_SV_SG_SH_SI_EUlSV_E0_NS1_11comp_targetILNS1_3genE9ELNS1_11target_archE1100ELNS1_3gpuE3ELNS1_3repE0EEENS1_38merge_mergepath_config_static_selectorELNS0_4arch9wavefront6targetE1EEEvSH_.num_named_barrier, 0
	.set _ZN7rocprim17ROCPRIM_400000_NS6detail17trampoline_kernelINS0_14default_configENS1_38merge_sort_block_merge_config_selectorIhlEEZZNS1_27merge_sort_block_merge_implIS3_PhN6thrust23THRUST_200600_302600_NS10device_ptrIlEEjNS1_19radix_merge_compareILb0ELb0EhNS0_19identity_decomposerEEEEE10hipError_tT0_T1_T2_jT3_P12ihipStream_tbPNSt15iterator_traitsISG_E10value_typeEPNSM_ISH_E10value_typeEPSI_NS1_7vsmem_tEENKUlT_SG_SH_SI_E_clIS7_S7_SB_PlEESF_SV_SG_SH_SI_EUlSV_E0_NS1_11comp_targetILNS1_3genE9ELNS1_11target_archE1100ELNS1_3gpuE3ELNS1_3repE0EEENS1_38merge_mergepath_config_static_selectorELNS0_4arch9wavefront6targetE1EEEvSH_.private_seg_size, 0
	.set _ZN7rocprim17ROCPRIM_400000_NS6detail17trampoline_kernelINS0_14default_configENS1_38merge_sort_block_merge_config_selectorIhlEEZZNS1_27merge_sort_block_merge_implIS3_PhN6thrust23THRUST_200600_302600_NS10device_ptrIlEEjNS1_19radix_merge_compareILb0ELb0EhNS0_19identity_decomposerEEEEE10hipError_tT0_T1_T2_jT3_P12ihipStream_tbPNSt15iterator_traitsISG_E10value_typeEPNSM_ISH_E10value_typeEPSI_NS1_7vsmem_tEENKUlT_SG_SH_SI_E_clIS7_S7_SB_PlEESF_SV_SG_SH_SI_EUlSV_E0_NS1_11comp_targetILNS1_3genE9ELNS1_11target_archE1100ELNS1_3gpuE3ELNS1_3repE0EEENS1_38merge_mergepath_config_static_selectorELNS0_4arch9wavefront6targetE1EEEvSH_.uses_vcc, 0
	.set _ZN7rocprim17ROCPRIM_400000_NS6detail17trampoline_kernelINS0_14default_configENS1_38merge_sort_block_merge_config_selectorIhlEEZZNS1_27merge_sort_block_merge_implIS3_PhN6thrust23THRUST_200600_302600_NS10device_ptrIlEEjNS1_19radix_merge_compareILb0ELb0EhNS0_19identity_decomposerEEEEE10hipError_tT0_T1_T2_jT3_P12ihipStream_tbPNSt15iterator_traitsISG_E10value_typeEPNSM_ISH_E10value_typeEPSI_NS1_7vsmem_tEENKUlT_SG_SH_SI_E_clIS7_S7_SB_PlEESF_SV_SG_SH_SI_EUlSV_E0_NS1_11comp_targetILNS1_3genE9ELNS1_11target_archE1100ELNS1_3gpuE3ELNS1_3repE0EEENS1_38merge_mergepath_config_static_selectorELNS0_4arch9wavefront6targetE1EEEvSH_.uses_flat_scratch, 0
	.set _ZN7rocprim17ROCPRIM_400000_NS6detail17trampoline_kernelINS0_14default_configENS1_38merge_sort_block_merge_config_selectorIhlEEZZNS1_27merge_sort_block_merge_implIS3_PhN6thrust23THRUST_200600_302600_NS10device_ptrIlEEjNS1_19radix_merge_compareILb0ELb0EhNS0_19identity_decomposerEEEEE10hipError_tT0_T1_T2_jT3_P12ihipStream_tbPNSt15iterator_traitsISG_E10value_typeEPNSM_ISH_E10value_typeEPSI_NS1_7vsmem_tEENKUlT_SG_SH_SI_E_clIS7_S7_SB_PlEESF_SV_SG_SH_SI_EUlSV_E0_NS1_11comp_targetILNS1_3genE9ELNS1_11target_archE1100ELNS1_3gpuE3ELNS1_3repE0EEENS1_38merge_mergepath_config_static_selectorELNS0_4arch9wavefront6targetE1EEEvSH_.has_dyn_sized_stack, 0
	.set _ZN7rocprim17ROCPRIM_400000_NS6detail17trampoline_kernelINS0_14default_configENS1_38merge_sort_block_merge_config_selectorIhlEEZZNS1_27merge_sort_block_merge_implIS3_PhN6thrust23THRUST_200600_302600_NS10device_ptrIlEEjNS1_19radix_merge_compareILb0ELb0EhNS0_19identity_decomposerEEEEE10hipError_tT0_T1_T2_jT3_P12ihipStream_tbPNSt15iterator_traitsISG_E10value_typeEPNSM_ISH_E10value_typeEPSI_NS1_7vsmem_tEENKUlT_SG_SH_SI_E_clIS7_S7_SB_PlEESF_SV_SG_SH_SI_EUlSV_E0_NS1_11comp_targetILNS1_3genE9ELNS1_11target_archE1100ELNS1_3gpuE3ELNS1_3repE0EEENS1_38merge_mergepath_config_static_selectorELNS0_4arch9wavefront6targetE1EEEvSH_.has_recursion, 0
	.set _ZN7rocprim17ROCPRIM_400000_NS6detail17trampoline_kernelINS0_14default_configENS1_38merge_sort_block_merge_config_selectorIhlEEZZNS1_27merge_sort_block_merge_implIS3_PhN6thrust23THRUST_200600_302600_NS10device_ptrIlEEjNS1_19radix_merge_compareILb0ELb0EhNS0_19identity_decomposerEEEEE10hipError_tT0_T1_T2_jT3_P12ihipStream_tbPNSt15iterator_traitsISG_E10value_typeEPNSM_ISH_E10value_typeEPSI_NS1_7vsmem_tEENKUlT_SG_SH_SI_E_clIS7_S7_SB_PlEESF_SV_SG_SH_SI_EUlSV_E0_NS1_11comp_targetILNS1_3genE9ELNS1_11target_archE1100ELNS1_3gpuE3ELNS1_3repE0EEENS1_38merge_mergepath_config_static_selectorELNS0_4arch9wavefront6targetE1EEEvSH_.has_indirect_call, 0
	.section	.AMDGPU.csdata,"",@progbits
; Kernel info:
; codeLenInByte = 0
; TotalNumSgprs: 4
; NumVgprs: 0
; ScratchSize: 0
; MemoryBound: 0
; FloatMode: 240
; IeeeMode: 1
; LDSByteSize: 0 bytes/workgroup (compile time only)
; SGPRBlocks: 0
; VGPRBlocks: 0
; NumSGPRsForWavesPerEU: 4
; NumVGPRsForWavesPerEU: 1
; Occupancy: 10
; WaveLimiterHint : 0
; COMPUTE_PGM_RSRC2:SCRATCH_EN: 0
; COMPUTE_PGM_RSRC2:USER_SGPR: 6
; COMPUTE_PGM_RSRC2:TRAP_HANDLER: 0
; COMPUTE_PGM_RSRC2:TGID_X_EN: 1
; COMPUTE_PGM_RSRC2:TGID_Y_EN: 0
; COMPUTE_PGM_RSRC2:TGID_Z_EN: 0
; COMPUTE_PGM_RSRC2:TIDIG_COMP_CNT: 0
	.section	.text._ZN7rocprim17ROCPRIM_400000_NS6detail17trampoline_kernelINS0_14default_configENS1_38merge_sort_block_merge_config_selectorIhlEEZZNS1_27merge_sort_block_merge_implIS3_PhN6thrust23THRUST_200600_302600_NS10device_ptrIlEEjNS1_19radix_merge_compareILb0ELb0EhNS0_19identity_decomposerEEEEE10hipError_tT0_T1_T2_jT3_P12ihipStream_tbPNSt15iterator_traitsISG_E10value_typeEPNSM_ISH_E10value_typeEPSI_NS1_7vsmem_tEENKUlT_SG_SH_SI_E_clIS7_S7_SB_PlEESF_SV_SG_SH_SI_EUlSV_E0_NS1_11comp_targetILNS1_3genE8ELNS1_11target_archE1030ELNS1_3gpuE2ELNS1_3repE0EEENS1_38merge_mergepath_config_static_selectorELNS0_4arch9wavefront6targetE1EEEvSH_,"axG",@progbits,_ZN7rocprim17ROCPRIM_400000_NS6detail17trampoline_kernelINS0_14default_configENS1_38merge_sort_block_merge_config_selectorIhlEEZZNS1_27merge_sort_block_merge_implIS3_PhN6thrust23THRUST_200600_302600_NS10device_ptrIlEEjNS1_19radix_merge_compareILb0ELb0EhNS0_19identity_decomposerEEEEE10hipError_tT0_T1_T2_jT3_P12ihipStream_tbPNSt15iterator_traitsISG_E10value_typeEPNSM_ISH_E10value_typeEPSI_NS1_7vsmem_tEENKUlT_SG_SH_SI_E_clIS7_S7_SB_PlEESF_SV_SG_SH_SI_EUlSV_E0_NS1_11comp_targetILNS1_3genE8ELNS1_11target_archE1030ELNS1_3gpuE2ELNS1_3repE0EEENS1_38merge_mergepath_config_static_selectorELNS0_4arch9wavefront6targetE1EEEvSH_,comdat
	.protected	_ZN7rocprim17ROCPRIM_400000_NS6detail17trampoline_kernelINS0_14default_configENS1_38merge_sort_block_merge_config_selectorIhlEEZZNS1_27merge_sort_block_merge_implIS3_PhN6thrust23THRUST_200600_302600_NS10device_ptrIlEEjNS1_19radix_merge_compareILb0ELb0EhNS0_19identity_decomposerEEEEE10hipError_tT0_T1_T2_jT3_P12ihipStream_tbPNSt15iterator_traitsISG_E10value_typeEPNSM_ISH_E10value_typeEPSI_NS1_7vsmem_tEENKUlT_SG_SH_SI_E_clIS7_S7_SB_PlEESF_SV_SG_SH_SI_EUlSV_E0_NS1_11comp_targetILNS1_3genE8ELNS1_11target_archE1030ELNS1_3gpuE2ELNS1_3repE0EEENS1_38merge_mergepath_config_static_selectorELNS0_4arch9wavefront6targetE1EEEvSH_ ; -- Begin function _ZN7rocprim17ROCPRIM_400000_NS6detail17trampoline_kernelINS0_14default_configENS1_38merge_sort_block_merge_config_selectorIhlEEZZNS1_27merge_sort_block_merge_implIS3_PhN6thrust23THRUST_200600_302600_NS10device_ptrIlEEjNS1_19radix_merge_compareILb0ELb0EhNS0_19identity_decomposerEEEEE10hipError_tT0_T1_T2_jT3_P12ihipStream_tbPNSt15iterator_traitsISG_E10value_typeEPNSM_ISH_E10value_typeEPSI_NS1_7vsmem_tEENKUlT_SG_SH_SI_E_clIS7_S7_SB_PlEESF_SV_SG_SH_SI_EUlSV_E0_NS1_11comp_targetILNS1_3genE8ELNS1_11target_archE1030ELNS1_3gpuE2ELNS1_3repE0EEENS1_38merge_mergepath_config_static_selectorELNS0_4arch9wavefront6targetE1EEEvSH_
	.globl	_ZN7rocprim17ROCPRIM_400000_NS6detail17trampoline_kernelINS0_14default_configENS1_38merge_sort_block_merge_config_selectorIhlEEZZNS1_27merge_sort_block_merge_implIS3_PhN6thrust23THRUST_200600_302600_NS10device_ptrIlEEjNS1_19radix_merge_compareILb0ELb0EhNS0_19identity_decomposerEEEEE10hipError_tT0_T1_T2_jT3_P12ihipStream_tbPNSt15iterator_traitsISG_E10value_typeEPNSM_ISH_E10value_typeEPSI_NS1_7vsmem_tEENKUlT_SG_SH_SI_E_clIS7_S7_SB_PlEESF_SV_SG_SH_SI_EUlSV_E0_NS1_11comp_targetILNS1_3genE8ELNS1_11target_archE1030ELNS1_3gpuE2ELNS1_3repE0EEENS1_38merge_mergepath_config_static_selectorELNS0_4arch9wavefront6targetE1EEEvSH_
	.p2align	8
	.type	_ZN7rocprim17ROCPRIM_400000_NS6detail17trampoline_kernelINS0_14default_configENS1_38merge_sort_block_merge_config_selectorIhlEEZZNS1_27merge_sort_block_merge_implIS3_PhN6thrust23THRUST_200600_302600_NS10device_ptrIlEEjNS1_19radix_merge_compareILb0ELb0EhNS0_19identity_decomposerEEEEE10hipError_tT0_T1_T2_jT3_P12ihipStream_tbPNSt15iterator_traitsISG_E10value_typeEPNSM_ISH_E10value_typeEPSI_NS1_7vsmem_tEENKUlT_SG_SH_SI_E_clIS7_S7_SB_PlEESF_SV_SG_SH_SI_EUlSV_E0_NS1_11comp_targetILNS1_3genE8ELNS1_11target_archE1030ELNS1_3gpuE2ELNS1_3repE0EEENS1_38merge_mergepath_config_static_selectorELNS0_4arch9wavefront6targetE1EEEvSH_,@function
_ZN7rocprim17ROCPRIM_400000_NS6detail17trampoline_kernelINS0_14default_configENS1_38merge_sort_block_merge_config_selectorIhlEEZZNS1_27merge_sort_block_merge_implIS3_PhN6thrust23THRUST_200600_302600_NS10device_ptrIlEEjNS1_19radix_merge_compareILb0ELb0EhNS0_19identity_decomposerEEEEE10hipError_tT0_T1_T2_jT3_P12ihipStream_tbPNSt15iterator_traitsISG_E10value_typeEPNSM_ISH_E10value_typeEPSI_NS1_7vsmem_tEENKUlT_SG_SH_SI_E_clIS7_S7_SB_PlEESF_SV_SG_SH_SI_EUlSV_E0_NS1_11comp_targetILNS1_3genE8ELNS1_11target_archE1030ELNS1_3gpuE2ELNS1_3repE0EEENS1_38merge_mergepath_config_static_selectorELNS0_4arch9wavefront6targetE1EEEvSH_: ; @_ZN7rocprim17ROCPRIM_400000_NS6detail17trampoline_kernelINS0_14default_configENS1_38merge_sort_block_merge_config_selectorIhlEEZZNS1_27merge_sort_block_merge_implIS3_PhN6thrust23THRUST_200600_302600_NS10device_ptrIlEEjNS1_19radix_merge_compareILb0ELb0EhNS0_19identity_decomposerEEEEE10hipError_tT0_T1_T2_jT3_P12ihipStream_tbPNSt15iterator_traitsISG_E10value_typeEPNSM_ISH_E10value_typeEPSI_NS1_7vsmem_tEENKUlT_SG_SH_SI_E_clIS7_S7_SB_PlEESF_SV_SG_SH_SI_EUlSV_E0_NS1_11comp_targetILNS1_3genE8ELNS1_11target_archE1030ELNS1_3gpuE2ELNS1_3repE0EEENS1_38merge_mergepath_config_static_selectorELNS0_4arch9wavefront6targetE1EEEvSH_
; %bb.0:
	.section	.rodata,"a",@progbits
	.p2align	6, 0x0
	.amdhsa_kernel _ZN7rocprim17ROCPRIM_400000_NS6detail17trampoline_kernelINS0_14default_configENS1_38merge_sort_block_merge_config_selectorIhlEEZZNS1_27merge_sort_block_merge_implIS3_PhN6thrust23THRUST_200600_302600_NS10device_ptrIlEEjNS1_19radix_merge_compareILb0ELb0EhNS0_19identity_decomposerEEEEE10hipError_tT0_T1_T2_jT3_P12ihipStream_tbPNSt15iterator_traitsISG_E10value_typeEPNSM_ISH_E10value_typeEPSI_NS1_7vsmem_tEENKUlT_SG_SH_SI_E_clIS7_S7_SB_PlEESF_SV_SG_SH_SI_EUlSV_E0_NS1_11comp_targetILNS1_3genE8ELNS1_11target_archE1030ELNS1_3gpuE2ELNS1_3repE0EEENS1_38merge_mergepath_config_static_selectorELNS0_4arch9wavefront6targetE1EEEvSH_
		.amdhsa_group_segment_fixed_size 0
		.amdhsa_private_segment_fixed_size 0
		.amdhsa_kernarg_size 64
		.amdhsa_user_sgpr_count 6
		.amdhsa_user_sgpr_private_segment_buffer 1
		.amdhsa_user_sgpr_dispatch_ptr 0
		.amdhsa_user_sgpr_queue_ptr 0
		.amdhsa_user_sgpr_kernarg_segment_ptr 1
		.amdhsa_user_sgpr_dispatch_id 0
		.amdhsa_user_sgpr_flat_scratch_init 0
		.amdhsa_user_sgpr_private_segment_size 0
		.amdhsa_uses_dynamic_stack 0
		.amdhsa_system_sgpr_private_segment_wavefront_offset 0
		.amdhsa_system_sgpr_workgroup_id_x 1
		.amdhsa_system_sgpr_workgroup_id_y 0
		.amdhsa_system_sgpr_workgroup_id_z 0
		.amdhsa_system_sgpr_workgroup_info 0
		.amdhsa_system_vgpr_workitem_id 0
		.amdhsa_next_free_vgpr 1
		.amdhsa_next_free_sgpr 0
		.amdhsa_reserve_vcc 0
		.amdhsa_reserve_flat_scratch 0
		.amdhsa_float_round_mode_32 0
		.amdhsa_float_round_mode_16_64 0
		.amdhsa_float_denorm_mode_32 3
		.amdhsa_float_denorm_mode_16_64 3
		.amdhsa_dx10_clamp 1
		.amdhsa_ieee_mode 1
		.amdhsa_fp16_overflow 0
		.amdhsa_exception_fp_ieee_invalid_op 0
		.amdhsa_exception_fp_denorm_src 0
		.amdhsa_exception_fp_ieee_div_zero 0
		.amdhsa_exception_fp_ieee_overflow 0
		.amdhsa_exception_fp_ieee_underflow 0
		.amdhsa_exception_fp_ieee_inexact 0
		.amdhsa_exception_int_div_zero 0
	.end_amdhsa_kernel
	.section	.text._ZN7rocprim17ROCPRIM_400000_NS6detail17trampoline_kernelINS0_14default_configENS1_38merge_sort_block_merge_config_selectorIhlEEZZNS1_27merge_sort_block_merge_implIS3_PhN6thrust23THRUST_200600_302600_NS10device_ptrIlEEjNS1_19radix_merge_compareILb0ELb0EhNS0_19identity_decomposerEEEEE10hipError_tT0_T1_T2_jT3_P12ihipStream_tbPNSt15iterator_traitsISG_E10value_typeEPNSM_ISH_E10value_typeEPSI_NS1_7vsmem_tEENKUlT_SG_SH_SI_E_clIS7_S7_SB_PlEESF_SV_SG_SH_SI_EUlSV_E0_NS1_11comp_targetILNS1_3genE8ELNS1_11target_archE1030ELNS1_3gpuE2ELNS1_3repE0EEENS1_38merge_mergepath_config_static_selectorELNS0_4arch9wavefront6targetE1EEEvSH_,"axG",@progbits,_ZN7rocprim17ROCPRIM_400000_NS6detail17trampoline_kernelINS0_14default_configENS1_38merge_sort_block_merge_config_selectorIhlEEZZNS1_27merge_sort_block_merge_implIS3_PhN6thrust23THRUST_200600_302600_NS10device_ptrIlEEjNS1_19radix_merge_compareILb0ELb0EhNS0_19identity_decomposerEEEEE10hipError_tT0_T1_T2_jT3_P12ihipStream_tbPNSt15iterator_traitsISG_E10value_typeEPNSM_ISH_E10value_typeEPSI_NS1_7vsmem_tEENKUlT_SG_SH_SI_E_clIS7_S7_SB_PlEESF_SV_SG_SH_SI_EUlSV_E0_NS1_11comp_targetILNS1_3genE8ELNS1_11target_archE1030ELNS1_3gpuE2ELNS1_3repE0EEENS1_38merge_mergepath_config_static_selectorELNS0_4arch9wavefront6targetE1EEEvSH_,comdat
.Lfunc_end163:
	.size	_ZN7rocprim17ROCPRIM_400000_NS6detail17trampoline_kernelINS0_14default_configENS1_38merge_sort_block_merge_config_selectorIhlEEZZNS1_27merge_sort_block_merge_implIS3_PhN6thrust23THRUST_200600_302600_NS10device_ptrIlEEjNS1_19radix_merge_compareILb0ELb0EhNS0_19identity_decomposerEEEEE10hipError_tT0_T1_T2_jT3_P12ihipStream_tbPNSt15iterator_traitsISG_E10value_typeEPNSM_ISH_E10value_typeEPSI_NS1_7vsmem_tEENKUlT_SG_SH_SI_E_clIS7_S7_SB_PlEESF_SV_SG_SH_SI_EUlSV_E0_NS1_11comp_targetILNS1_3genE8ELNS1_11target_archE1030ELNS1_3gpuE2ELNS1_3repE0EEENS1_38merge_mergepath_config_static_selectorELNS0_4arch9wavefront6targetE1EEEvSH_, .Lfunc_end163-_ZN7rocprim17ROCPRIM_400000_NS6detail17trampoline_kernelINS0_14default_configENS1_38merge_sort_block_merge_config_selectorIhlEEZZNS1_27merge_sort_block_merge_implIS3_PhN6thrust23THRUST_200600_302600_NS10device_ptrIlEEjNS1_19radix_merge_compareILb0ELb0EhNS0_19identity_decomposerEEEEE10hipError_tT0_T1_T2_jT3_P12ihipStream_tbPNSt15iterator_traitsISG_E10value_typeEPNSM_ISH_E10value_typeEPSI_NS1_7vsmem_tEENKUlT_SG_SH_SI_E_clIS7_S7_SB_PlEESF_SV_SG_SH_SI_EUlSV_E0_NS1_11comp_targetILNS1_3genE8ELNS1_11target_archE1030ELNS1_3gpuE2ELNS1_3repE0EEENS1_38merge_mergepath_config_static_selectorELNS0_4arch9wavefront6targetE1EEEvSH_
                                        ; -- End function
	.set _ZN7rocprim17ROCPRIM_400000_NS6detail17trampoline_kernelINS0_14default_configENS1_38merge_sort_block_merge_config_selectorIhlEEZZNS1_27merge_sort_block_merge_implIS3_PhN6thrust23THRUST_200600_302600_NS10device_ptrIlEEjNS1_19radix_merge_compareILb0ELb0EhNS0_19identity_decomposerEEEEE10hipError_tT0_T1_T2_jT3_P12ihipStream_tbPNSt15iterator_traitsISG_E10value_typeEPNSM_ISH_E10value_typeEPSI_NS1_7vsmem_tEENKUlT_SG_SH_SI_E_clIS7_S7_SB_PlEESF_SV_SG_SH_SI_EUlSV_E0_NS1_11comp_targetILNS1_3genE8ELNS1_11target_archE1030ELNS1_3gpuE2ELNS1_3repE0EEENS1_38merge_mergepath_config_static_selectorELNS0_4arch9wavefront6targetE1EEEvSH_.num_vgpr, 0
	.set _ZN7rocprim17ROCPRIM_400000_NS6detail17trampoline_kernelINS0_14default_configENS1_38merge_sort_block_merge_config_selectorIhlEEZZNS1_27merge_sort_block_merge_implIS3_PhN6thrust23THRUST_200600_302600_NS10device_ptrIlEEjNS1_19radix_merge_compareILb0ELb0EhNS0_19identity_decomposerEEEEE10hipError_tT0_T1_T2_jT3_P12ihipStream_tbPNSt15iterator_traitsISG_E10value_typeEPNSM_ISH_E10value_typeEPSI_NS1_7vsmem_tEENKUlT_SG_SH_SI_E_clIS7_S7_SB_PlEESF_SV_SG_SH_SI_EUlSV_E0_NS1_11comp_targetILNS1_3genE8ELNS1_11target_archE1030ELNS1_3gpuE2ELNS1_3repE0EEENS1_38merge_mergepath_config_static_selectorELNS0_4arch9wavefront6targetE1EEEvSH_.num_agpr, 0
	.set _ZN7rocprim17ROCPRIM_400000_NS6detail17trampoline_kernelINS0_14default_configENS1_38merge_sort_block_merge_config_selectorIhlEEZZNS1_27merge_sort_block_merge_implIS3_PhN6thrust23THRUST_200600_302600_NS10device_ptrIlEEjNS1_19radix_merge_compareILb0ELb0EhNS0_19identity_decomposerEEEEE10hipError_tT0_T1_T2_jT3_P12ihipStream_tbPNSt15iterator_traitsISG_E10value_typeEPNSM_ISH_E10value_typeEPSI_NS1_7vsmem_tEENKUlT_SG_SH_SI_E_clIS7_S7_SB_PlEESF_SV_SG_SH_SI_EUlSV_E0_NS1_11comp_targetILNS1_3genE8ELNS1_11target_archE1030ELNS1_3gpuE2ELNS1_3repE0EEENS1_38merge_mergepath_config_static_selectorELNS0_4arch9wavefront6targetE1EEEvSH_.numbered_sgpr, 0
	.set _ZN7rocprim17ROCPRIM_400000_NS6detail17trampoline_kernelINS0_14default_configENS1_38merge_sort_block_merge_config_selectorIhlEEZZNS1_27merge_sort_block_merge_implIS3_PhN6thrust23THRUST_200600_302600_NS10device_ptrIlEEjNS1_19radix_merge_compareILb0ELb0EhNS0_19identity_decomposerEEEEE10hipError_tT0_T1_T2_jT3_P12ihipStream_tbPNSt15iterator_traitsISG_E10value_typeEPNSM_ISH_E10value_typeEPSI_NS1_7vsmem_tEENKUlT_SG_SH_SI_E_clIS7_S7_SB_PlEESF_SV_SG_SH_SI_EUlSV_E0_NS1_11comp_targetILNS1_3genE8ELNS1_11target_archE1030ELNS1_3gpuE2ELNS1_3repE0EEENS1_38merge_mergepath_config_static_selectorELNS0_4arch9wavefront6targetE1EEEvSH_.num_named_barrier, 0
	.set _ZN7rocprim17ROCPRIM_400000_NS6detail17trampoline_kernelINS0_14default_configENS1_38merge_sort_block_merge_config_selectorIhlEEZZNS1_27merge_sort_block_merge_implIS3_PhN6thrust23THRUST_200600_302600_NS10device_ptrIlEEjNS1_19radix_merge_compareILb0ELb0EhNS0_19identity_decomposerEEEEE10hipError_tT0_T1_T2_jT3_P12ihipStream_tbPNSt15iterator_traitsISG_E10value_typeEPNSM_ISH_E10value_typeEPSI_NS1_7vsmem_tEENKUlT_SG_SH_SI_E_clIS7_S7_SB_PlEESF_SV_SG_SH_SI_EUlSV_E0_NS1_11comp_targetILNS1_3genE8ELNS1_11target_archE1030ELNS1_3gpuE2ELNS1_3repE0EEENS1_38merge_mergepath_config_static_selectorELNS0_4arch9wavefront6targetE1EEEvSH_.private_seg_size, 0
	.set _ZN7rocprim17ROCPRIM_400000_NS6detail17trampoline_kernelINS0_14default_configENS1_38merge_sort_block_merge_config_selectorIhlEEZZNS1_27merge_sort_block_merge_implIS3_PhN6thrust23THRUST_200600_302600_NS10device_ptrIlEEjNS1_19radix_merge_compareILb0ELb0EhNS0_19identity_decomposerEEEEE10hipError_tT0_T1_T2_jT3_P12ihipStream_tbPNSt15iterator_traitsISG_E10value_typeEPNSM_ISH_E10value_typeEPSI_NS1_7vsmem_tEENKUlT_SG_SH_SI_E_clIS7_S7_SB_PlEESF_SV_SG_SH_SI_EUlSV_E0_NS1_11comp_targetILNS1_3genE8ELNS1_11target_archE1030ELNS1_3gpuE2ELNS1_3repE0EEENS1_38merge_mergepath_config_static_selectorELNS0_4arch9wavefront6targetE1EEEvSH_.uses_vcc, 0
	.set _ZN7rocprim17ROCPRIM_400000_NS6detail17trampoline_kernelINS0_14default_configENS1_38merge_sort_block_merge_config_selectorIhlEEZZNS1_27merge_sort_block_merge_implIS3_PhN6thrust23THRUST_200600_302600_NS10device_ptrIlEEjNS1_19radix_merge_compareILb0ELb0EhNS0_19identity_decomposerEEEEE10hipError_tT0_T1_T2_jT3_P12ihipStream_tbPNSt15iterator_traitsISG_E10value_typeEPNSM_ISH_E10value_typeEPSI_NS1_7vsmem_tEENKUlT_SG_SH_SI_E_clIS7_S7_SB_PlEESF_SV_SG_SH_SI_EUlSV_E0_NS1_11comp_targetILNS1_3genE8ELNS1_11target_archE1030ELNS1_3gpuE2ELNS1_3repE0EEENS1_38merge_mergepath_config_static_selectorELNS0_4arch9wavefront6targetE1EEEvSH_.uses_flat_scratch, 0
	.set _ZN7rocprim17ROCPRIM_400000_NS6detail17trampoline_kernelINS0_14default_configENS1_38merge_sort_block_merge_config_selectorIhlEEZZNS1_27merge_sort_block_merge_implIS3_PhN6thrust23THRUST_200600_302600_NS10device_ptrIlEEjNS1_19radix_merge_compareILb0ELb0EhNS0_19identity_decomposerEEEEE10hipError_tT0_T1_T2_jT3_P12ihipStream_tbPNSt15iterator_traitsISG_E10value_typeEPNSM_ISH_E10value_typeEPSI_NS1_7vsmem_tEENKUlT_SG_SH_SI_E_clIS7_S7_SB_PlEESF_SV_SG_SH_SI_EUlSV_E0_NS1_11comp_targetILNS1_3genE8ELNS1_11target_archE1030ELNS1_3gpuE2ELNS1_3repE0EEENS1_38merge_mergepath_config_static_selectorELNS0_4arch9wavefront6targetE1EEEvSH_.has_dyn_sized_stack, 0
	.set _ZN7rocprim17ROCPRIM_400000_NS6detail17trampoline_kernelINS0_14default_configENS1_38merge_sort_block_merge_config_selectorIhlEEZZNS1_27merge_sort_block_merge_implIS3_PhN6thrust23THRUST_200600_302600_NS10device_ptrIlEEjNS1_19radix_merge_compareILb0ELb0EhNS0_19identity_decomposerEEEEE10hipError_tT0_T1_T2_jT3_P12ihipStream_tbPNSt15iterator_traitsISG_E10value_typeEPNSM_ISH_E10value_typeEPSI_NS1_7vsmem_tEENKUlT_SG_SH_SI_E_clIS7_S7_SB_PlEESF_SV_SG_SH_SI_EUlSV_E0_NS1_11comp_targetILNS1_3genE8ELNS1_11target_archE1030ELNS1_3gpuE2ELNS1_3repE0EEENS1_38merge_mergepath_config_static_selectorELNS0_4arch9wavefront6targetE1EEEvSH_.has_recursion, 0
	.set _ZN7rocprim17ROCPRIM_400000_NS6detail17trampoline_kernelINS0_14default_configENS1_38merge_sort_block_merge_config_selectorIhlEEZZNS1_27merge_sort_block_merge_implIS3_PhN6thrust23THRUST_200600_302600_NS10device_ptrIlEEjNS1_19radix_merge_compareILb0ELb0EhNS0_19identity_decomposerEEEEE10hipError_tT0_T1_T2_jT3_P12ihipStream_tbPNSt15iterator_traitsISG_E10value_typeEPNSM_ISH_E10value_typeEPSI_NS1_7vsmem_tEENKUlT_SG_SH_SI_E_clIS7_S7_SB_PlEESF_SV_SG_SH_SI_EUlSV_E0_NS1_11comp_targetILNS1_3genE8ELNS1_11target_archE1030ELNS1_3gpuE2ELNS1_3repE0EEENS1_38merge_mergepath_config_static_selectorELNS0_4arch9wavefront6targetE1EEEvSH_.has_indirect_call, 0
	.section	.AMDGPU.csdata,"",@progbits
; Kernel info:
; codeLenInByte = 0
; TotalNumSgprs: 4
; NumVgprs: 0
; ScratchSize: 0
; MemoryBound: 0
; FloatMode: 240
; IeeeMode: 1
; LDSByteSize: 0 bytes/workgroup (compile time only)
; SGPRBlocks: 0
; VGPRBlocks: 0
; NumSGPRsForWavesPerEU: 4
; NumVGPRsForWavesPerEU: 1
; Occupancy: 10
; WaveLimiterHint : 0
; COMPUTE_PGM_RSRC2:SCRATCH_EN: 0
; COMPUTE_PGM_RSRC2:USER_SGPR: 6
; COMPUTE_PGM_RSRC2:TRAP_HANDLER: 0
; COMPUTE_PGM_RSRC2:TGID_X_EN: 1
; COMPUTE_PGM_RSRC2:TGID_Y_EN: 0
; COMPUTE_PGM_RSRC2:TGID_Z_EN: 0
; COMPUTE_PGM_RSRC2:TIDIG_COMP_CNT: 0
	.section	.text._ZN7rocprim17ROCPRIM_400000_NS6detail17trampoline_kernelINS0_14default_configENS1_38merge_sort_block_merge_config_selectorIhlEEZZNS1_27merge_sort_block_merge_implIS3_PhN6thrust23THRUST_200600_302600_NS10device_ptrIlEEjNS1_19radix_merge_compareILb0ELb0EhNS0_19identity_decomposerEEEEE10hipError_tT0_T1_T2_jT3_P12ihipStream_tbPNSt15iterator_traitsISG_E10value_typeEPNSM_ISH_E10value_typeEPSI_NS1_7vsmem_tEENKUlT_SG_SH_SI_E_clIS7_S7_SB_PlEESF_SV_SG_SH_SI_EUlSV_E1_NS1_11comp_targetILNS1_3genE0ELNS1_11target_archE4294967295ELNS1_3gpuE0ELNS1_3repE0EEENS1_36merge_oddeven_config_static_selectorELNS0_4arch9wavefront6targetE1EEEvSH_,"axG",@progbits,_ZN7rocprim17ROCPRIM_400000_NS6detail17trampoline_kernelINS0_14default_configENS1_38merge_sort_block_merge_config_selectorIhlEEZZNS1_27merge_sort_block_merge_implIS3_PhN6thrust23THRUST_200600_302600_NS10device_ptrIlEEjNS1_19radix_merge_compareILb0ELb0EhNS0_19identity_decomposerEEEEE10hipError_tT0_T1_T2_jT3_P12ihipStream_tbPNSt15iterator_traitsISG_E10value_typeEPNSM_ISH_E10value_typeEPSI_NS1_7vsmem_tEENKUlT_SG_SH_SI_E_clIS7_S7_SB_PlEESF_SV_SG_SH_SI_EUlSV_E1_NS1_11comp_targetILNS1_3genE0ELNS1_11target_archE4294967295ELNS1_3gpuE0ELNS1_3repE0EEENS1_36merge_oddeven_config_static_selectorELNS0_4arch9wavefront6targetE1EEEvSH_,comdat
	.protected	_ZN7rocprim17ROCPRIM_400000_NS6detail17trampoline_kernelINS0_14default_configENS1_38merge_sort_block_merge_config_selectorIhlEEZZNS1_27merge_sort_block_merge_implIS3_PhN6thrust23THRUST_200600_302600_NS10device_ptrIlEEjNS1_19radix_merge_compareILb0ELb0EhNS0_19identity_decomposerEEEEE10hipError_tT0_T1_T2_jT3_P12ihipStream_tbPNSt15iterator_traitsISG_E10value_typeEPNSM_ISH_E10value_typeEPSI_NS1_7vsmem_tEENKUlT_SG_SH_SI_E_clIS7_S7_SB_PlEESF_SV_SG_SH_SI_EUlSV_E1_NS1_11comp_targetILNS1_3genE0ELNS1_11target_archE4294967295ELNS1_3gpuE0ELNS1_3repE0EEENS1_36merge_oddeven_config_static_selectorELNS0_4arch9wavefront6targetE1EEEvSH_ ; -- Begin function _ZN7rocprim17ROCPRIM_400000_NS6detail17trampoline_kernelINS0_14default_configENS1_38merge_sort_block_merge_config_selectorIhlEEZZNS1_27merge_sort_block_merge_implIS3_PhN6thrust23THRUST_200600_302600_NS10device_ptrIlEEjNS1_19radix_merge_compareILb0ELb0EhNS0_19identity_decomposerEEEEE10hipError_tT0_T1_T2_jT3_P12ihipStream_tbPNSt15iterator_traitsISG_E10value_typeEPNSM_ISH_E10value_typeEPSI_NS1_7vsmem_tEENKUlT_SG_SH_SI_E_clIS7_S7_SB_PlEESF_SV_SG_SH_SI_EUlSV_E1_NS1_11comp_targetILNS1_3genE0ELNS1_11target_archE4294967295ELNS1_3gpuE0ELNS1_3repE0EEENS1_36merge_oddeven_config_static_selectorELNS0_4arch9wavefront6targetE1EEEvSH_
	.globl	_ZN7rocprim17ROCPRIM_400000_NS6detail17trampoline_kernelINS0_14default_configENS1_38merge_sort_block_merge_config_selectorIhlEEZZNS1_27merge_sort_block_merge_implIS3_PhN6thrust23THRUST_200600_302600_NS10device_ptrIlEEjNS1_19radix_merge_compareILb0ELb0EhNS0_19identity_decomposerEEEEE10hipError_tT0_T1_T2_jT3_P12ihipStream_tbPNSt15iterator_traitsISG_E10value_typeEPNSM_ISH_E10value_typeEPSI_NS1_7vsmem_tEENKUlT_SG_SH_SI_E_clIS7_S7_SB_PlEESF_SV_SG_SH_SI_EUlSV_E1_NS1_11comp_targetILNS1_3genE0ELNS1_11target_archE4294967295ELNS1_3gpuE0ELNS1_3repE0EEENS1_36merge_oddeven_config_static_selectorELNS0_4arch9wavefront6targetE1EEEvSH_
	.p2align	8
	.type	_ZN7rocprim17ROCPRIM_400000_NS6detail17trampoline_kernelINS0_14default_configENS1_38merge_sort_block_merge_config_selectorIhlEEZZNS1_27merge_sort_block_merge_implIS3_PhN6thrust23THRUST_200600_302600_NS10device_ptrIlEEjNS1_19radix_merge_compareILb0ELb0EhNS0_19identity_decomposerEEEEE10hipError_tT0_T1_T2_jT3_P12ihipStream_tbPNSt15iterator_traitsISG_E10value_typeEPNSM_ISH_E10value_typeEPSI_NS1_7vsmem_tEENKUlT_SG_SH_SI_E_clIS7_S7_SB_PlEESF_SV_SG_SH_SI_EUlSV_E1_NS1_11comp_targetILNS1_3genE0ELNS1_11target_archE4294967295ELNS1_3gpuE0ELNS1_3repE0EEENS1_36merge_oddeven_config_static_selectorELNS0_4arch9wavefront6targetE1EEEvSH_,@function
_ZN7rocprim17ROCPRIM_400000_NS6detail17trampoline_kernelINS0_14default_configENS1_38merge_sort_block_merge_config_selectorIhlEEZZNS1_27merge_sort_block_merge_implIS3_PhN6thrust23THRUST_200600_302600_NS10device_ptrIlEEjNS1_19radix_merge_compareILb0ELb0EhNS0_19identity_decomposerEEEEE10hipError_tT0_T1_T2_jT3_P12ihipStream_tbPNSt15iterator_traitsISG_E10value_typeEPNSM_ISH_E10value_typeEPSI_NS1_7vsmem_tEENKUlT_SG_SH_SI_E_clIS7_S7_SB_PlEESF_SV_SG_SH_SI_EUlSV_E1_NS1_11comp_targetILNS1_3genE0ELNS1_11target_archE4294967295ELNS1_3gpuE0ELNS1_3repE0EEENS1_36merge_oddeven_config_static_selectorELNS0_4arch9wavefront6targetE1EEEvSH_: ; @_ZN7rocprim17ROCPRIM_400000_NS6detail17trampoline_kernelINS0_14default_configENS1_38merge_sort_block_merge_config_selectorIhlEEZZNS1_27merge_sort_block_merge_implIS3_PhN6thrust23THRUST_200600_302600_NS10device_ptrIlEEjNS1_19radix_merge_compareILb0ELb0EhNS0_19identity_decomposerEEEEE10hipError_tT0_T1_T2_jT3_P12ihipStream_tbPNSt15iterator_traitsISG_E10value_typeEPNSM_ISH_E10value_typeEPSI_NS1_7vsmem_tEENKUlT_SG_SH_SI_E_clIS7_S7_SB_PlEESF_SV_SG_SH_SI_EUlSV_E1_NS1_11comp_targetILNS1_3genE0ELNS1_11target_archE4294967295ELNS1_3gpuE0ELNS1_3repE0EEENS1_36merge_oddeven_config_static_selectorELNS0_4arch9wavefront6targetE1EEEvSH_
; %bb.0:
	.section	.rodata,"a",@progbits
	.p2align	6, 0x0
	.amdhsa_kernel _ZN7rocprim17ROCPRIM_400000_NS6detail17trampoline_kernelINS0_14default_configENS1_38merge_sort_block_merge_config_selectorIhlEEZZNS1_27merge_sort_block_merge_implIS3_PhN6thrust23THRUST_200600_302600_NS10device_ptrIlEEjNS1_19radix_merge_compareILb0ELb0EhNS0_19identity_decomposerEEEEE10hipError_tT0_T1_T2_jT3_P12ihipStream_tbPNSt15iterator_traitsISG_E10value_typeEPNSM_ISH_E10value_typeEPSI_NS1_7vsmem_tEENKUlT_SG_SH_SI_E_clIS7_S7_SB_PlEESF_SV_SG_SH_SI_EUlSV_E1_NS1_11comp_targetILNS1_3genE0ELNS1_11target_archE4294967295ELNS1_3gpuE0ELNS1_3repE0EEENS1_36merge_oddeven_config_static_selectorELNS0_4arch9wavefront6targetE1EEEvSH_
		.amdhsa_group_segment_fixed_size 0
		.amdhsa_private_segment_fixed_size 0
		.amdhsa_kernarg_size 48
		.amdhsa_user_sgpr_count 6
		.amdhsa_user_sgpr_private_segment_buffer 1
		.amdhsa_user_sgpr_dispatch_ptr 0
		.amdhsa_user_sgpr_queue_ptr 0
		.amdhsa_user_sgpr_kernarg_segment_ptr 1
		.amdhsa_user_sgpr_dispatch_id 0
		.amdhsa_user_sgpr_flat_scratch_init 0
		.amdhsa_user_sgpr_private_segment_size 0
		.amdhsa_uses_dynamic_stack 0
		.amdhsa_system_sgpr_private_segment_wavefront_offset 0
		.amdhsa_system_sgpr_workgroup_id_x 1
		.amdhsa_system_sgpr_workgroup_id_y 0
		.amdhsa_system_sgpr_workgroup_id_z 0
		.amdhsa_system_sgpr_workgroup_info 0
		.amdhsa_system_vgpr_workitem_id 0
		.amdhsa_next_free_vgpr 1
		.amdhsa_next_free_sgpr 0
		.amdhsa_reserve_vcc 0
		.amdhsa_reserve_flat_scratch 0
		.amdhsa_float_round_mode_32 0
		.amdhsa_float_round_mode_16_64 0
		.amdhsa_float_denorm_mode_32 3
		.amdhsa_float_denorm_mode_16_64 3
		.amdhsa_dx10_clamp 1
		.amdhsa_ieee_mode 1
		.amdhsa_fp16_overflow 0
		.amdhsa_exception_fp_ieee_invalid_op 0
		.amdhsa_exception_fp_denorm_src 0
		.amdhsa_exception_fp_ieee_div_zero 0
		.amdhsa_exception_fp_ieee_overflow 0
		.amdhsa_exception_fp_ieee_underflow 0
		.amdhsa_exception_fp_ieee_inexact 0
		.amdhsa_exception_int_div_zero 0
	.end_amdhsa_kernel
	.section	.text._ZN7rocprim17ROCPRIM_400000_NS6detail17trampoline_kernelINS0_14default_configENS1_38merge_sort_block_merge_config_selectorIhlEEZZNS1_27merge_sort_block_merge_implIS3_PhN6thrust23THRUST_200600_302600_NS10device_ptrIlEEjNS1_19radix_merge_compareILb0ELb0EhNS0_19identity_decomposerEEEEE10hipError_tT0_T1_T2_jT3_P12ihipStream_tbPNSt15iterator_traitsISG_E10value_typeEPNSM_ISH_E10value_typeEPSI_NS1_7vsmem_tEENKUlT_SG_SH_SI_E_clIS7_S7_SB_PlEESF_SV_SG_SH_SI_EUlSV_E1_NS1_11comp_targetILNS1_3genE0ELNS1_11target_archE4294967295ELNS1_3gpuE0ELNS1_3repE0EEENS1_36merge_oddeven_config_static_selectorELNS0_4arch9wavefront6targetE1EEEvSH_,"axG",@progbits,_ZN7rocprim17ROCPRIM_400000_NS6detail17trampoline_kernelINS0_14default_configENS1_38merge_sort_block_merge_config_selectorIhlEEZZNS1_27merge_sort_block_merge_implIS3_PhN6thrust23THRUST_200600_302600_NS10device_ptrIlEEjNS1_19radix_merge_compareILb0ELb0EhNS0_19identity_decomposerEEEEE10hipError_tT0_T1_T2_jT3_P12ihipStream_tbPNSt15iterator_traitsISG_E10value_typeEPNSM_ISH_E10value_typeEPSI_NS1_7vsmem_tEENKUlT_SG_SH_SI_E_clIS7_S7_SB_PlEESF_SV_SG_SH_SI_EUlSV_E1_NS1_11comp_targetILNS1_3genE0ELNS1_11target_archE4294967295ELNS1_3gpuE0ELNS1_3repE0EEENS1_36merge_oddeven_config_static_selectorELNS0_4arch9wavefront6targetE1EEEvSH_,comdat
.Lfunc_end164:
	.size	_ZN7rocprim17ROCPRIM_400000_NS6detail17trampoline_kernelINS0_14default_configENS1_38merge_sort_block_merge_config_selectorIhlEEZZNS1_27merge_sort_block_merge_implIS3_PhN6thrust23THRUST_200600_302600_NS10device_ptrIlEEjNS1_19radix_merge_compareILb0ELb0EhNS0_19identity_decomposerEEEEE10hipError_tT0_T1_T2_jT3_P12ihipStream_tbPNSt15iterator_traitsISG_E10value_typeEPNSM_ISH_E10value_typeEPSI_NS1_7vsmem_tEENKUlT_SG_SH_SI_E_clIS7_S7_SB_PlEESF_SV_SG_SH_SI_EUlSV_E1_NS1_11comp_targetILNS1_3genE0ELNS1_11target_archE4294967295ELNS1_3gpuE0ELNS1_3repE0EEENS1_36merge_oddeven_config_static_selectorELNS0_4arch9wavefront6targetE1EEEvSH_, .Lfunc_end164-_ZN7rocprim17ROCPRIM_400000_NS6detail17trampoline_kernelINS0_14default_configENS1_38merge_sort_block_merge_config_selectorIhlEEZZNS1_27merge_sort_block_merge_implIS3_PhN6thrust23THRUST_200600_302600_NS10device_ptrIlEEjNS1_19radix_merge_compareILb0ELb0EhNS0_19identity_decomposerEEEEE10hipError_tT0_T1_T2_jT3_P12ihipStream_tbPNSt15iterator_traitsISG_E10value_typeEPNSM_ISH_E10value_typeEPSI_NS1_7vsmem_tEENKUlT_SG_SH_SI_E_clIS7_S7_SB_PlEESF_SV_SG_SH_SI_EUlSV_E1_NS1_11comp_targetILNS1_3genE0ELNS1_11target_archE4294967295ELNS1_3gpuE0ELNS1_3repE0EEENS1_36merge_oddeven_config_static_selectorELNS0_4arch9wavefront6targetE1EEEvSH_
                                        ; -- End function
	.set _ZN7rocprim17ROCPRIM_400000_NS6detail17trampoline_kernelINS0_14default_configENS1_38merge_sort_block_merge_config_selectorIhlEEZZNS1_27merge_sort_block_merge_implIS3_PhN6thrust23THRUST_200600_302600_NS10device_ptrIlEEjNS1_19radix_merge_compareILb0ELb0EhNS0_19identity_decomposerEEEEE10hipError_tT0_T1_T2_jT3_P12ihipStream_tbPNSt15iterator_traitsISG_E10value_typeEPNSM_ISH_E10value_typeEPSI_NS1_7vsmem_tEENKUlT_SG_SH_SI_E_clIS7_S7_SB_PlEESF_SV_SG_SH_SI_EUlSV_E1_NS1_11comp_targetILNS1_3genE0ELNS1_11target_archE4294967295ELNS1_3gpuE0ELNS1_3repE0EEENS1_36merge_oddeven_config_static_selectorELNS0_4arch9wavefront6targetE1EEEvSH_.num_vgpr, 0
	.set _ZN7rocprim17ROCPRIM_400000_NS6detail17trampoline_kernelINS0_14default_configENS1_38merge_sort_block_merge_config_selectorIhlEEZZNS1_27merge_sort_block_merge_implIS3_PhN6thrust23THRUST_200600_302600_NS10device_ptrIlEEjNS1_19radix_merge_compareILb0ELb0EhNS0_19identity_decomposerEEEEE10hipError_tT0_T1_T2_jT3_P12ihipStream_tbPNSt15iterator_traitsISG_E10value_typeEPNSM_ISH_E10value_typeEPSI_NS1_7vsmem_tEENKUlT_SG_SH_SI_E_clIS7_S7_SB_PlEESF_SV_SG_SH_SI_EUlSV_E1_NS1_11comp_targetILNS1_3genE0ELNS1_11target_archE4294967295ELNS1_3gpuE0ELNS1_3repE0EEENS1_36merge_oddeven_config_static_selectorELNS0_4arch9wavefront6targetE1EEEvSH_.num_agpr, 0
	.set _ZN7rocprim17ROCPRIM_400000_NS6detail17trampoline_kernelINS0_14default_configENS1_38merge_sort_block_merge_config_selectorIhlEEZZNS1_27merge_sort_block_merge_implIS3_PhN6thrust23THRUST_200600_302600_NS10device_ptrIlEEjNS1_19radix_merge_compareILb0ELb0EhNS0_19identity_decomposerEEEEE10hipError_tT0_T1_T2_jT3_P12ihipStream_tbPNSt15iterator_traitsISG_E10value_typeEPNSM_ISH_E10value_typeEPSI_NS1_7vsmem_tEENKUlT_SG_SH_SI_E_clIS7_S7_SB_PlEESF_SV_SG_SH_SI_EUlSV_E1_NS1_11comp_targetILNS1_3genE0ELNS1_11target_archE4294967295ELNS1_3gpuE0ELNS1_3repE0EEENS1_36merge_oddeven_config_static_selectorELNS0_4arch9wavefront6targetE1EEEvSH_.numbered_sgpr, 0
	.set _ZN7rocprim17ROCPRIM_400000_NS6detail17trampoline_kernelINS0_14default_configENS1_38merge_sort_block_merge_config_selectorIhlEEZZNS1_27merge_sort_block_merge_implIS3_PhN6thrust23THRUST_200600_302600_NS10device_ptrIlEEjNS1_19radix_merge_compareILb0ELb0EhNS0_19identity_decomposerEEEEE10hipError_tT0_T1_T2_jT3_P12ihipStream_tbPNSt15iterator_traitsISG_E10value_typeEPNSM_ISH_E10value_typeEPSI_NS1_7vsmem_tEENKUlT_SG_SH_SI_E_clIS7_S7_SB_PlEESF_SV_SG_SH_SI_EUlSV_E1_NS1_11comp_targetILNS1_3genE0ELNS1_11target_archE4294967295ELNS1_3gpuE0ELNS1_3repE0EEENS1_36merge_oddeven_config_static_selectorELNS0_4arch9wavefront6targetE1EEEvSH_.num_named_barrier, 0
	.set _ZN7rocprim17ROCPRIM_400000_NS6detail17trampoline_kernelINS0_14default_configENS1_38merge_sort_block_merge_config_selectorIhlEEZZNS1_27merge_sort_block_merge_implIS3_PhN6thrust23THRUST_200600_302600_NS10device_ptrIlEEjNS1_19radix_merge_compareILb0ELb0EhNS0_19identity_decomposerEEEEE10hipError_tT0_T1_T2_jT3_P12ihipStream_tbPNSt15iterator_traitsISG_E10value_typeEPNSM_ISH_E10value_typeEPSI_NS1_7vsmem_tEENKUlT_SG_SH_SI_E_clIS7_S7_SB_PlEESF_SV_SG_SH_SI_EUlSV_E1_NS1_11comp_targetILNS1_3genE0ELNS1_11target_archE4294967295ELNS1_3gpuE0ELNS1_3repE0EEENS1_36merge_oddeven_config_static_selectorELNS0_4arch9wavefront6targetE1EEEvSH_.private_seg_size, 0
	.set _ZN7rocprim17ROCPRIM_400000_NS6detail17trampoline_kernelINS0_14default_configENS1_38merge_sort_block_merge_config_selectorIhlEEZZNS1_27merge_sort_block_merge_implIS3_PhN6thrust23THRUST_200600_302600_NS10device_ptrIlEEjNS1_19radix_merge_compareILb0ELb0EhNS0_19identity_decomposerEEEEE10hipError_tT0_T1_T2_jT3_P12ihipStream_tbPNSt15iterator_traitsISG_E10value_typeEPNSM_ISH_E10value_typeEPSI_NS1_7vsmem_tEENKUlT_SG_SH_SI_E_clIS7_S7_SB_PlEESF_SV_SG_SH_SI_EUlSV_E1_NS1_11comp_targetILNS1_3genE0ELNS1_11target_archE4294967295ELNS1_3gpuE0ELNS1_3repE0EEENS1_36merge_oddeven_config_static_selectorELNS0_4arch9wavefront6targetE1EEEvSH_.uses_vcc, 0
	.set _ZN7rocprim17ROCPRIM_400000_NS6detail17trampoline_kernelINS0_14default_configENS1_38merge_sort_block_merge_config_selectorIhlEEZZNS1_27merge_sort_block_merge_implIS3_PhN6thrust23THRUST_200600_302600_NS10device_ptrIlEEjNS1_19radix_merge_compareILb0ELb0EhNS0_19identity_decomposerEEEEE10hipError_tT0_T1_T2_jT3_P12ihipStream_tbPNSt15iterator_traitsISG_E10value_typeEPNSM_ISH_E10value_typeEPSI_NS1_7vsmem_tEENKUlT_SG_SH_SI_E_clIS7_S7_SB_PlEESF_SV_SG_SH_SI_EUlSV_E1_NS1_11comp_targetILNS1_3genE0ELNS1_11target_archE4294967295ELNS1_3gpuE0ELNS1_3repE0EEENS1_36merge_oddeven_config_static_selectorELNS0_4arch9wavefront6targetE1EEEvSH_.uses_flat_scratch, 0
	.set _ZN7rocprim17ROCPRIM_400000_NS6detail17trampoline_kernelINS0_14default_configENS1_38merge_sort_block_merge_config_selectorIhlEEZZNS1_27merge_sort_block_merge_implIS3_PhN6thrust23THRUST_200600_302600_NS10device_ptrIlEEjNS1_19radix_merge_compareILb0ELb0EhNS0_19identity_decomposerEEEEE10hipError_tT0_T1_T2_jT3_P12ihipStream_tbPNSt15iterator_traitsISG_E10value_typeEPNSM_ISH_E10value_typeEPSI_NS1_7vsmem_tEENKUlT_SG_SH_SI_E_clIS7_S7_SB_PlEESF_SV_SG_SH_SI_EUlSV_E1_NS1_11comp_targetILNS1_3genE0ELNS1_11target_archE4294967295ELNS1_3gpuE0ELNS1_3repE0EEENS1_36merge_oddeven_config_static_selectorELNS0_4arch9wavefront6targetE1EEEvSH_.has_dyn_sized_stack, 0
	.set _ZN7rocprim17ROCPRIM_400000_NS6detail17trampoline_kernelINS0_14default_configENS1_38merge_sort_block_merge_config_selectorIhlEEZZNS1_27merge_sort_block_merge_implIS3_PhN6thrust23THRUST_200600_302600_NS10device_ptrIlEEjNS1_19radix_merge_compareILb0ELb0EhNS0_19identity_decomposerEEEEE10hipError_tT0_T1_T2_jT3_P12ihipStream_tbPNSt15iterator_traitsISG_E10value_typeEPNSM_ISH_E10value_typeEPSI_NS1_7vsmem_tEENKUlT_SG_SH_SI_E_clIS7_S7_SB_PlEESF_SV_SG_SH_SI_EUlSV_E1_NS1_11comp_targetILNS1_3genE0ELNS1_11target_archE4294967295ELNS1_3gpuE0ELNS1_3repE0EEENS1_36merge_oddeven_config_static_selectorELNS0_4arch9wavefront6targetE1EEEvSH_.has_recursion, 0
	.set _ZN7rocprim17ROCPRIM_400000_NS6detail17trampoline_kernelINS0_14default_configENS1_38merge_sort_block_merge_config_selectorIhlEEZZNS1_27merge_sort_block_merge_implIS3_PhN6thrust23THRUST_200600_302600_NS10device_ptrIlEEjNS1_19radix_merge_compareILb0ELb0EhNS0_19identity_decomposerEEEEE10hipError_tT0_T1_T2_jT3_P12ihipStream_tbPNSt15iterator_traitsISG_E10value_typeEPNSM_ISH_E10value_typeEPSI_NS1_7vsmem_tEENKUlT_SG_SH_SI_E_clIS7_S7_SB_PlEESF_SV_SG_SH_SI_EUlSV_E1_NS1_11comp_targetILNS1_3genE0ELNS1_11target_archE4294967295ELNS1_3gpuE0ELNS1_3repE0EEENS1_36merge_oddeven_config_static_selectorELNS0_4arch9wavefront6targetE1EEEvSH_.has_indirect_call, 0
	.section	.AMDGPU.csdata,"",@progbits
; Kernel info:
; codeLenInByte = 0
; TotalNumSgprs: 4
; NumVgprs: 0
; ScratchSize: 0
; MemoryBound: 0
; FloatMode: 240
; IeeeMode: 1
; LDSByteSize: 0 bytes/workgroup (compile time only)
; SGPRBlocks: 0
; VGPRBlocks: 0
; NumSGPRsForWavesPerEU: 4
; NumVGPRsForWavesPerEU: 1
; Occupancy: 10
; WaveLimiterHint : 0
; COMPUTE_PGM_RSRC2:SCRATCH_EN: 0
; COMPUTE_PGM_RSRC2:USER_SGPR: 6
; COMPUTE_PGM_RSRC2:TRAP_HANDLER: 0
; COMPUTE_PGM_RSRC2:TGID_X_EN: 1
; COMPUTE_PGM_RSRC2:TGID_Y_EN: 0
; COMPUTE_PGM_RSRC2:TGID_Z_EN: 0
; COMPUTE_PGM_RSRC2:TIDIG_COMP_CNT: 0
	.section	.text._ZN7rocprim17ROCPRIM_400000_NS6detail17trampoline_kernelINS0_14default_configENS1_38merge_sort_block_merge_config_selectorIhlEEZZNS1_27merge_sort_block_merge_implIS3_PhN6thrust23THRUST_200600_302600_NS10device_ptrIlEEjNS1_19radix_merge_compareILb0ELb0EhNS0_19identity_decomposerEEEEE10hipError_tT0_T1_T2_jT3_P12ihipStream_tbPNSt15iterator_traitsISG_E10value_typeEPNSM_ISH_E10value_typeEPSI_NS1_7vsmem_tEENKUlT_SG_SH_SI_E_clIS7_S7_SB_PlEESF_SV_SG_SH_SI_EUlSV_E1_NS1_11comp_targetILNS1_3genE10ELNS1_11target_archE1201ELNS1_3gpuE5ELNS1_3repE0EEENS1_36merge_oddeven_config_static_selectorELNS0_4arch9wavefront6targetE1EEEvSH_,"axG",@progbits,_ZN7rocprim17ROCPRIM_400000_NS6detail17trampoline_kernelINS0_14default_configENS1_38merge_sort_block_merge_config_selectorIhlEEZZNS1_27merge_sort_block_merge_implIS3_PhN6thrust23THRUST_200600_302600_NS10device_ptrIlEEjNS1_19radix_merge_compareILb0ELb0EhNS0_19identity_decomposerEEEEE10hipError_tT0_T1_T2_jT3_P12ihipStream_tbPNSt15iterator_traitsISG_E10value_typeEPNSM_ISH_E10value_typeEPSI_NS1_7vsmem_tEENKUlT_SG_SH_SI_E_clIS7_S7_SB_PlEESF_SV_SG_SH_SI_EUlSV_E1_NS1_11comp_targetILNS1_3genE10ELNS1_11target_archE1201ELNS1_3gpuE5ELNS1_3repE0EEENS1_36merge_oddeven_config_static_selectorELNS0_4arch9wavefront6targetE1EEEvSH_,comdat
	.protected	_ZN7rocprim17ROCPRIM_400000_NS6detail17trampoline_kernelINS0_14default_configENS1_38merge_sort_block_merge_config_selectorIhlEEZZNS1_27merge_sort_block_merge_implIS3_PhN6thrust23THRUST_200600_302600_NS10device_ptrIlEEjNS1_19radix_merge_compareILb0ELb0EhNS0_19identity_decomposerEEEEE10hipError_tT0_T1_T2_jT3_P12ihipStream_tbPNSt15iterator_traitsISG_E10value_typeEPNSM_ISH_E10value_typeEPSI_NS1_7vsmem_tEENKUlT_SG_SH_SI_E_clIS7_S7_SB_PlEESF_SV_SG_SH_SI_EUlSV_E1_NS1_11comp_targetILNS1_3genE10ELNS1_11target_archE1201ELNS1_3gpuE5ELNS1_3repE0EEENS1_36merge_oddeven_config_static_selectorELNS0_4arch9wavefront6targetE1EEEvSH_ ; -- Begin function _ZN7rocprim17ROCPRIM_400000_NS6detail17trampoline_kernelINS0_14default_configENS1_38merge_sort_block_merge_config_selectorIhlEEZZNS1_27merge_sort_block_merge_implIS3_PhN6thrust23THRUST_200600_302600_NS10device_ptrIlEEjNS1_19radix_merge_compareILb0ELb0EhNS0_19identity_decomposerEEEEE10hipError_tT0_T1_T2_jT3_P12ihipStream_tbPNSt15iterator_traitsISG_E10value_typeEPNSM_ISH_E10value_typeEPSI_NS1_7vsmem_tEENKUlT_SG_SH_SI_E_clIS7_S7_SB_PlEESF_SV_SG_SH_SI_EUlSV_E1_NS1_11comp_targetILNS1_3genE10ELNS1_11target_archE1201ELNS1_3gpuE5ELNS1_3repE0EEENS1_36merge_oddeven_config_static_selectorELNS0_4arch9wavefront6targetE1EEEvSH_
	.globl	_ZN7rocprim17ROCPRIM_400000_NS6detail17trampoline_kernelINS0_14default_configENS1_38merge_sort_block_merge_config_selectorIhlEEZZNS1_27merge_sort_block_merge_implIS3_PhN6thrust23THRUST_200600_302600_NS10device_ptrIlEEjNS1_19radix_merge_compareILb0ELb0EhNS0_19identity_decomposerEEEEE10hipError_tT0_T1_T2_jT3_P12ihipStream_tbPNSt15iterator_traitsISG_E10value_typeEPNSM_ISH_E10value_typeEPSI_NS1_7vsmem_tEENKUlT_SG_SH_SI_E_clIS7_S7_SB_PlEESF_SV_SG_SH_SI_EUlSV_E1_NS1_11comp_targetILNS1_3genE10ELNS1_11target_archE1201ELNS1_3gpuE5ELNS1_3repE0EEENS1_36merge_oddeven_config_static_selectorELNS0_4arch9wavefront6targetE1EEEvSH_
	.p2align	8
	.type	_ZN7rocprim17ROCPRIM_400000_NS6detail17trampoline_kernelINS0_14default_configENS1_38merge_sort_block_merge_config_selectorIhlEEZZNS1_27merge_sort_block_merge_implIS3_PhN6thrust23THRUST_200600_302600_NS10device_ptrIlEEjNS1_19radix_merge_compareILb0ELb0EhNS0_19identity_decomposerEEEEE10hipError_tT0_T1_T2_jT3_P12ihipStream_tbPNSt15iterator_traitsISG_E10value_typeEPNSM_ISH_E10value_typeEPSI_NS1_7vsmem_tEENKUlT_SG_SH_SI_E_clIS7_S7_SB_PlEESF_SV_SG_SH_SI_EUlSV_E1_NS1_11comp_targetILNS1_3genE10ELNS1_11target_archE1201ELNS1_3gpuE5ELNS1_3repE0EEENS1_36merge_oddeven_config_static_selectorELNS0_4arch9wavefront6targetE1EEEvSH_,@function
_ZN7rocprim17ROCPRIM_400000_NS6detail17trampoline_kernelINS0_14default_configENS1_38merge_sort_block_merge_config_selectorIhlEEZZNS1_27merge_sort_block_merge_implIS3_PhN6thrust23THRUST_200600_302600_NS10device_ptrIlEEjNS1_19radix_merge_compareILb0ELb0EhNS0_19identity_decomposerEEEEE10hipError_tT0_T1_T2_jT3_P12ihipStream_tbPNSt15iterator_traitsISG_E10value_typeEPNSM_ISH_E10value_typeEPSI_NS1_7vsmem_tEENKUlT_SG_SH_SI_E_clIS7_S7_SB_PlEESF_SV_SG_SH_SI_EUlSV_E1_NS1_11comp_targetILNS1_3genE10ELNS1_11target_archE1201ELNS1_3gpuE5ELNS1_3repE0EEENS1_36merge_oddeven_config_static_selectorELNS0_4arch9wavefront6targetE1EEEvSH_: ; @_ZN7rocprim17ROCPRIM_400000_NS6detail17trampoline_kernelINS0_14default_configENS1_38merge_sort_block_merge_config_selectorIhlEEZZNS1_27merge_sort_block_merge_implIS3_PhN6thrust23THRUST_200600_302600_NS10device_ptrIlEEjNS1_19radix_merge_compareILb0ELb0EhNS0_19identity_decomposerEEEEE10hipError_tT0_T1_T2_jT3_P12ihipStream_tbPNSt15iterator_traitsISG_E10value_typeEPNSM_ISH_E10value_typeEPSI_NS1_7vsmem_tEENKUlT_SG_SH_SI_E_clIS7_S7_SB_PlEESF_SV_SG_SH_SI_EUlSV_E1_NS1_11comp_targetILNS1_3genE10ELNS1_11target_archE1201ELNS1_3gpuE5ELNS1_3repE0EEENS1_36merge_oddeven_config_static_selectorELNS0_4arch9wavefront6targetE1EEEvSH_
; %bb.0:
	.section	.rodata,"a",@progbits
	.p2align	6, 0x0
	.amdhsa_kernel _ZN7rocprim17ROCPRIM_400000_NS6detail17trampoline_kernelINS0_14default_configENS1_38merge_sort_block_merge_config_selectorIhlEEZZNS1_27merge_sort_block_merge_implIS3_PhN6thrust23THRUST_200600_302600_NS10device_ptrIlEEjNS1_19radix_merge_compareILb0ELb0EhNS0_19identity_decomposerEEEEE10hipError_tT0_T1_T2_jT3_P12ihipStream_tbPNSt15iterator_traitsISG_E10value_typeEPNSM_ISH_E10value_typeEPSI_NS1_7vsmem_tEENKUlT_SG_SH_SI_E_clIS7_S7_SB_PlEESF_SV_SG_SH_SI_EUlSV_E1_NS1_11comp_targetILNS1_3genE10ELNS1_11target_archE1201ELNS1_3gpuE5ELNS1_3repE0EEENS1_36merge_oddeven_config_static_selectorELNS0_4arch9wavefront6targetE1EEEvSH_
		.amdhsa_group_segment_fixed_size 0
		.amdhsa_private_segment_fixed_size 0
		.amdhsa_kernarg_size 48
		.amdhsa_user_sgpr_count 6
		.amdhsa_user_sgpr_private_segment_buffer 1
		.amdhsa_user_sgpr_dispatch_ptr 0
		.amdhsa_user_sgpr_queue_ptr 0
		.amdhsa_user_sgpr_kernarg_segment_ptr 1
		.amdhsa_user_sgpr_dispatch_id 0
		.amdhsa_user_sgpr_flat_scratch_init 0
		.amdhsa_user_sgpr_private_segment_size 0
		.amdhsa_uses_dynamic_stack 0
		.amdhsa_system_sgpr_private_segment_wavefront_offset 0
		.amdhsa_system_sgpr_workgroup_id_x 1
		.amdhsa_system_sgpr_workgroup_id_y 0
		.amdhsa_system_sgpr_workgroup_id_z 0
		.amdhsa_system_sgpr_workgroup_info 0
		.amdhsa_system_vgpr_workitem_id 0
		.amdhsa_next_free_vgpr 1
		.amdhsa_next_free_sgpr 0
		.amdhsa_reserve_vcc 0
		.amdhsa_reserve_flat_scratch 0
		.amdhsa_float_round_mode_32 0
		.amdhsa_float_round_mode_16_64 0
		.amdhsa_float_denorm_mode_32 3
		.amdhsa_float_denorm_mode_16_64 3
		.amdhsa_dx10_clamp 1
		.amdhsa_ieee_mode 1
		.amdhsa_fp16_overflow 0
		.amdhsa_exception_fp_ieee_invalid_op 0
		.amdhsa_exception_fp_denorm_src 0
		.amdhsa_exception_fp_ieee_div_zero 0
		.amdhsa_exception_fp_ieee_overflow 0
		.amdhsa_exception_fp_ieee_underflow 0
		.amdhsa_exception_fp_ieee_inexact 0
		.amdhsa_exception_int_div_zero 0
	.end_amdhsa_kernel
	.section	.text._ZN7rocprim17ROCPRIM_400000_NS6detail17trampoline_kernelINS0_14default_configENS1_38merge_sort_block_merge_config_selectorIhlEEZZNS1_27merge_sort_block_merge_implIS3_PhN6thrust23THRUST_200600_302600_NS10device_ptrIlEEjNS1_19radix_merge_compareILb0ELb0EhNS0_19identity_decomposerEEEEE10hipError_tT0_T1_T2_jT3_P12ihipStream_tbPNSt15iterator_traitsISG_E10value_typeEPNSM_ISH_E10value_typeEPSI_NS1_7vsmem_tEENKUlT_SG_SH_SI_E_clIS7_S7_SB_PlEESF_SV_SG_SH_SI_EUlSV_E1_NS1_11comp_targetILNS1_3genE10ELNS1_11target_archE1201ELNS1_3gpuE5ELNS1_3repE0EEENS1_36merge_oddeven_config_static_selectorELNS0_4arch9wavefront6targetE1EEEvSH_,"axG",@progbits,_ZN7rocprim17ROCPRIM_400000_NS6detail17trampoline_kernelINS0_14default_configENS1_38merge_sort_block_merge_config_selectorIhlEEZZNS1_27merge_sort_block_merge_implIS3_PhN6thrust23THRUST_200600_302600_NS10device_ptrIlEEjNS1_19radix_merge_compareILb0ELb0EhNS0_19identity_decomposerEEEEE10hipError_tT0_T1_T2_jT3_P12ihipStream_tbPNSt15iterator_traitsISG_E10value_typeEPNSM_ISH_E10value_typeEPSI_NS1_7vsmem_tEENKUlT_SG_SH_SI_E_clIS7_S7_SB_PlEESF_SV_SG_SH_SI_EUlSV_E1_NS1_11comp_targetILNS1_3genE10ELNS1_11target_archE1201ELNS1_3gpuE5ELNS1_3repE0EEENS1_36merge_oddeven_config_static_selectorELNS0_4arch9wavefront6targetE1EEEvSH_,comdat
.Lfunc_end165:
	.size	_ZN7rocprim17ROCPRIM_400000_NS6detail17trampoline_kernelINS0_14default_configENS1_38merge_sort_block_merge_config_selectorIhlEEZZNS1_27merge_sort_block_merge_implIS3_PhN6thrust23THRUST_200600_302600_NS10device_ptrIlEEjNS1_19radix_merge_compareILb0ELb0EhNS0_19identity_decomposerEEEEE10hipError_tT0_T1_T2_jT3_P12ihipStream_tbPNSt15iterator_traitsISG_E10value_typeEPNSM_ISH_E10value_typeEPSI_NS1_7vsmem_tEENKUlT_SG_SH_SI_E_clIS7_S7_SB_PlEESF_SV_SG_SH_SI_EUlSV_E1_NS1_11comp_targetILNS1_3genE10ELNS1_11target_archE1201ELNS1_3gpuE5ELNS1_3repE0EEENS1_36merge_oddeven_config_static_selectorELNS0_4arch9wavefront6targetE1EEEvSH_, .Lfunc_end165-_ZN7rocprim17ROCPRIM_400000_NS6detail17trampoline_kernelINS0_14default_configENS1_38merge_sort_block_merge_config_selectorIhlEEZZNS1_27merge_sort_block_merge_implIS3_PhN6thrust23THRUST_200600_302600_NS10device_ptrIlEEjNS1_19radix_merge_compareILb0ELb0EhNS0_19identity_decomposerEEEEE10hipError_tT0_T1_T2_jT3_P12ihipStream_tbPNSt15iterator_traitsISG_E10value_typeEPNSM_ISH_E10value_typeEPSI_NS1_7vsmem_tEENKUlT_SG_SH_SI_E_clIS7_S7_SB_PlEESF_SV_SG_SH_SI_EUlSV_E1_NS1_11comp_targetILNS1_3genE10ELNS1_11target_archE1201ELNS1_3gpuE5ELNS1_3repE0EEENS1_36merge_oddeven_config_static_selectorELNS0_4arch9wavefront6targetE1EEEvSH_
                                        ; -- End function
	.set _ZN7rocprim17ROCPRIM_400000_NS6detail17trampoline_kernelINS0_14default_configENS1_38merge_sort_block_merge_config_selectorIhlEEZZNS1_27merge_sort_block_merge_implIS3_PhN6thrust23THRUST_200600_302600_NS10device_ptrIlEEjNS1_19radix_merge_compareILb0ELb0EhNS0_19identity_decomposerEEEEE10hipError_tT0_T1_T2_jT3_P12ihipStream_tbPNSt15iterator_traitsISG_E10value_typeEPNSM_ISH_E10value_typeEPSI_NS1_7vsmem_tEENKUlT_SG_SH_SI_E_clIS7_S7_SB_PlEESF_SV_SG_SH_SI_EUlSV_E1_NS1_11comp_targetILNS1_3genE10ELNS1_11target_archE1201ELNS1_3gpuE5ELNS1_3repE0EEENS1_36merge_oddeven_config_static_selectorELNS0_4arch9wavefront6targetE1EEEvSH_.num_vgpr, 0
	.set _ZN7rocprim17ROCPRIM_400000_NS6detail17trampoline_kernelINS0_14default_configENS1_38merge_sort_block_merge_config_selectorIhlEEZZNS1_27merge_sort_block_merge_implIS3_PhN6thrust23THRUST_200600_302600_NS10device_ptrIlEEjNS1_19radix_merge_compareILb0ELb0EhNS0_19identity_decomposerEEEEE10hipError_tT0_T1_T2_jT3_P12ihipStream_tbPNSt15iterator_traitsISG_E10value_typeEPNSM_ISH_E10value_typeEPSI_NS1_7vsmem_tEENKUlT_SG_SH_SI_E_clIS7_S7_SB_PlEESF_SV_SG_SH_SI_EUlSV_E1_NS1_11comp_targetILNS1_3genE10ELNS1_11target_archE1201ELNS1_3gpuE5ELNS1_3repE0EEENS1_36merge_oddeven_config_static_selectorELNS0_4arch9wavefront6targetE1EEEvSH_.num_agpr, 0
	.set _ZN7rocprim17ROCPRIM_400000_NS6detail17trampoline_kernelINS0_14default_configENS1_38merge_sort_block_merge_config_selectorIhlEEZZNS1_27merge_sort_block_merge_implIS3_PhN6thrust23THRUST_200600_302600_NS10device_ptrIlEEjNS1_19radix_merge_compareILb0ELb0EhNS0_19identity_decomposerEEEEE10hipError_tT0_T1_T2_jT3_P12ihipStream_tbPNSt15iterator_traitsISG_E10value_typeEPNSM_ISH_E10value_typeEPSI_NS1_7vsmem_tEENKUlT_SG_SH_SI_E_clIS7_S7_SB_PlEESF_SV_SG_SH_SI_EUlSV_E1_NS1_11comp_targetILNS1_3genE10ELNS1_11target_archE1201ELNS1_3gpuE5ELNS1_3repE0EEENS1_36merge_oddeven_config_static_selectorELNS0_4arch9wavefront6targetE1EEEvSH_.numbered_sgpr, 0
	.set _ZN7rocprim17ROCPRIM_400000_NS6detail17trampoline_kernelINS0_14default_configENS1_38merge_sort_block_merge_config_selectorIhlEEZZNS1_27merge_sort_block_merge_implIS3_PhN6thrust23THRUST_200600_302600_NS10device_ptrIlEEjNS1_19radix_merge_compareILb0ELb0EhNS0_19identity_decomposerEEEEE10hipError_tT0_T1_T2_jT3_P12ihipStream_tbPNSt15iterator_traitsISG_E10value_typeEPNSM_ISH_E10value_typeEPSI_NS1_7vsmem_tEENKUlT_SG_SH_SI_E_clIS7_S7_SB_PlEESF_SV_SG_SH_SI_EUlSV_E1_NS1_11comp_targetILNS1_3genE10ELNS1_11target_archE1201ELNS1_3gpuE5ELNS1_3repE0EEENS1_36merge_oddeven_config_static_selectorELNS0_4arch9wavefront6targetE1EEEvSH_.num_named_barrier, 0
	.set _ZN7rocprim17ROCPRIM_400000_NS6detail17trampoline_kernelINS0_14default_configENS1_38merge_sort_block_merge_config_selectorIhlEEZZNS1_27merge_sort_block_merge_implIS3_PhN6thrust23THRUST_200600_302600_NS10device_ptrIlEEjNS1_19radix_merge_compareILb0ELb0EhNS0_19identity_decomposerEEEEE10hipError_tT0_T1_T2_jT3_P12ihipStream_tbPNSt15iterator_traitsISG_E10value_typeEPNSM_ISH_E10value_typeEPSI_NS1_7vsmem_tEENKUlT_SG_SH_SI_E_clIS7_S7_SB_PlEESF_SV_SG_SH_SI_EUlSV_E1_NS1_11comp_targetILNS1_3genE10ELNS1_11target_archE1201ELNS1_3gpuE5ELNS1_3repE0EEENS1_36merge_oddeven_config_static_selectorELNS0_4arch9wavefront6targetE1EEEvSH_.private_seg_size, 0
	.set _ZN7rocprim17ROCPRIM_400000_NS6detail17trampoline_kernelINS0_14default_configENS1_38merge_sort_block_merge_config_selectorIhlEEZZNS1_27merge_sort_block_merge_implIS3_PhN6thrust23THRUST_200600_302600_NS10device_ptrIlEEjNS1_19radix_merge_compareILb0ELb0EhNS0_19identity_decomposerEEEEE10hipError_tT0_T1_T2_jT3_P12ihipStream_tbPNSt15iterator_traitsISG_E10value_typeEPNSM_ISH_E10value_typeEPSI_NS1_7vsmem_tEENKUlT_SG_SH_SI_E_clIS7_S7_SB_PlEESF_SV_SG_SH_SI_EUlSV_E1_NS1_11comp_targetILNS1_3genE10ELNS1_11target_archE1201ELNS1_3gpuE5ELNS1_3repE0EEENS1_36merge_oddeven_config_static_selectorELNS0_4arch9wavefront6targetE1EEEvSH_.uses_vcc, 0
	.set _ZN7rocprim17ROCPRIM_400000_NS6detail17trampoline_kernelINS0_14default_configENS1_38merge_sort_block_merge_config_selectorIhlEEZZNS1_27merge_sort_block_merge_implIS3_PhN6thrust23THRUST_200600_302600_NS10device_ptrIlEEjNS1_19radix_merge_compareILb0ELb0EhNS0_19identity_decomposerEEEEE10hipError_tT0_T1_T2_jT3_P12ihipStream_tbPNSt15iterator_traitsISG_E10value_typeEPNSM_ISH_E10value_typeEPSI_NS1_7vsmem_tEENKUlT_SG_SH_SI_E_clIS7_S7_SB_PlEESF_SV_SG_SH_SI_EUlSV_E1_NS1_11comp_targetILNS1_3genE10ELNS1_11target_archE1201ELNS1_3gpuE5ELNS1_3repE0EEENS1_36merge_oddeven_config_static_selectorELNS0_4arch9wavefront6targetE1EEEvSH_.uses_flat_scratch, 0
	.set _ZN7rocprim17ROCPRIM_400000_NS6detail17trampoline_kernelINS0_14default_configENS1_38merge_sort_block_merge_config_selectorIhlEEZZNS1_27merge_sort_block_merge_implIS3_PhN6thrust23THRUST_200600_302600_NS10device_ptrIlEEjNS1_19radix_merge_compareILb0ELb0EhNS0_19identity_decomposerEEEEE10hipError_tT0_T1_T2_jT3_P12ihipStream_tbPNSt15iterator_traitsISG_E10value_typeEPNSM_ISH_E10value_typeEPSI_NS1_7vsmem_tEENKUlT_SG_SH_SI_E_clIS7_S7_SB_PlEESF_SV_SG_SH_SI_EUlSV_E1_NS1_11comp_targetILNS1_3genE10ELNS1_11target_archE1201ELNS1_3gpuE5ELNS1_3repE0EEENS1_36merge_oddeven_config_static_selectorELNS0_4arch9wavefront6targetE1EEEvSH_.has_dyn_sized_stack, 0
	.set _ZN7rocprim17ROCPRIM_400000_NS6detail17trampoline_kernelINS0_14default_configENS1_38merge_sort_block_merge_config_selectorIhlEEZZNS1_27merge_sort_block_merge_implIS3_PhN6thrust23THRUST_200600_302600_NS10device_ptrIlEEjNS1_19radix_merge_compareILb0ELb0EhNS0_19identity_decomposerEEEEE10hipError_tT0_T1_T2_jT3_P12ihipStream_tbPNSt15iterator_traitsISG_E10value_typeEPNSM_ISH_E10value_typeEPSI_NS1_7vsmem_tEENKUlT_SG_SH_SI_E_clIS7_S7_SB_PlEESF_SV_SG_SH_SI_EUlSV_E1_NS1_11comp_targetILNS1_3genE10ELNS1_11target_archE1201ELNS1_3gpuE5ELNS1_3repE0EEENS1_36merge_oddeven_config_static_selectorELNS0_4arch9wavefront6targetE1EEEvSH_.has_recursion, 0
	.set _ZN7rocprim17ROCPRIM_400000_NS6detail17trampoline_kernelINS0_14default_configENS1_38merge_sort_block_merge_config_selectorIhlEEZZNS1_27merge_sort_block_merge_implIS3_PhN6thrust23THRUST_200600_302600_NS10device_ptrIlEEjNS1_19radix_merge_compareILb0ELb0EhNS0_19identity_decomposerEEEEE10hipError_tT0_T1_T2_jT3_P12ihipStream_tbPNSt15iterator_traitsISG_E10value_typeEPNSM_ISH_E10value_typeEPSI_NS1_7vsmem_tEENKUlT_SG_SH_SI_E_clIS7_S7_SB_PlEESF_SV_SG_SH_SI_EUlSV_E1_NS1_11comp_targetILNS1_3genE10ELNS1_11target_archE1201ELNS1_3gpuE5ELNS1_3repE0EEENS1_36merge_oddeven_config_static_selectorELNS0_4arch9wavefront6targetE1EEEvSH_.has_indirect_call, 0
	.section	.AMDGPU.csdata,"",@progbits
; Kernel info:
; codeLenInByte = 0
; TotalNumSgprs: 4
; NumVgprs: 0
; ScratchSize: 0
; MemoryBound: 0
; FloatMode: 240
; IeeeMode: 1
; LDSByteSize: 0 bytes/workgroup (compile time only)
; SGPRBlocks: 0
; VGPRBlocks: 0
; NumSGPRsForWavesPerEU: 4
; NumVGPRsForWavesPerEU: 1
; Occupancy: 10
; WaveLimiterHint : 0
; COMPUTE_PGM_RSRC2:SCRATCH_EN: 0
; COMPUTE_PGM_RSRC2:USER_SGPR: 6
; COMPUTE_PGM_RSRC2:TRAP_HANDLER: 0
; COMPUTE_PGM_RSRC2:TGID_X_EN: 1
; COMPUTE_PGM_RSRC2:TGID_Y_EN: 0
; COMPUTE_PGM_RSRC2:TGID_Z_EN: 0
; COMPUTE_PGM_RSRC2:TIDIG_COMP_CNT: 0
	.section	.text._ZN7rocprim17ROCPRIM_400000_NS6detail17trampoline_kernelINS0_14default_configENS1_38merge_sort_block_merge_config_selectorIhlEEZZNS1_27merge_sort_block_merge_implIS3_PhN6thrust23THRUST_200600_302600_NS10device_ptrIlEEjNS1_19radix_merge_compareILb0ELb0EhNS0_19identity_decomposerEEEEE10hipError_tT0_T1_T2_jT3_P12ihipStream_tbPNSt15iterator_traitsISG_E10value_typeEPNSM_ISH_E10value_typeEPSI_NS1_7vsmem_tEENKUlT_SG_SH_SI_E_clIS7_S7_SB_PlEESF_SV_SG_SH_SI_EUlSV_E1_NS1_11comp_targetILNS1_3genE5ELNS1_11target_archE942ELNS1_3gpuE9ELNS1_3repE0EEENS1_36merge_oddeven_config_static_selectorELNS0_4arch9wavefront6targetE1EEEvSH_,"axG",@progbits,_ZN7rocprim17ROCPRIM_400000_NS6detail17trampoline_kernelINS0_14default_configENS1_38merge_sort_block_merge_config_selectorIhlEEZZNS1_27merge_sort_block_merge_implIS3_PhN6thrust23THRUST_200600_302600_NS10device_ptrIlEEjNS1_19radix_merge_compareILb0ELb0EhNS0_19identity_decomposerEEEEE10hipError_tT0_T1_T2_jT3_P12ihipStream_tbPNSt15iterator_traitsISG_E10value_typeEPNSM_ISH_E10value_typeEPSI_NS1_7vsmem_tEENKUlT_SG_SH_SI_E_clIS7_S7_SB_PlEESF_SV_SG_SH_SI_EUlSV_E1_NS1_11comp_targetILNS1_3genE5ELNS1_11target_archE942ELNS1_3gpuE9ELNS1_3repE0EEENS1_36merge_oddeven_config_static_selectorELNS0_4arch9wavefront6targetE1EEEvSH_,comdat
	.protected	_ZN7rocprim17ROCPRIM_400000_NS6detail17trampoline_kernelINS0_14default_configENS1_38merge_sort_block_merge_config_selectorIhlEEZZNS1_27merge_sort_block_merge_implIS3_PhN6thrust23THRUST_200600_302600_NS10device_ptrIlEEjNS1_19radix_merge_compareILb0ELb0EhNS0_19identity_decomposerEEEEE10hipError_tT0_T1_T2_jT3_P12ihipStream_tbPNSt15iterator_traitsISG_E10value_typeEPNSM_ISH_E10value_typeEPSI_NS1_7vsmem_tEENKUlT_SG_SH_SI_E_clIS7_S7_SB_PlEESF_SV_SG_SH_SI_EUlSV_E1_NS1_11comp_targetILNS1_3genE5ELNS1_11target_archE942ELNS1_3gpuE9ELNS1_3repE0EEENS1_36merge_oddeven_config_static_selectorELNS0_4arch9wavefront6targetE1EEEvSH_ ; -- Begin function _ZN7rocprim17ROCPRIM_400000_NS6detail17trampoline_kernelINS0_14default_configENS1_38merge_sort_block_merge_config_selectorIhlEEZZNS1_27merge_sort_block_merge_implIS3_PhN6thrust23THRUST_200600_302600_NS10device_ptrIlEEjNS1_19radix_merge_compareILb0ELb0EhNS0_19identity_decomposerEEEEE10hipError_tT0_T1_T2_jT3_P12ihipStream_tbPNSt15iterator_traitsISG_E10value_typeEPNSM_ISH_E10value_typeEPSI_NS1_7vsmem_tEENKUlT_SG_SH_SI_E_clIS7_S7_SB_PlEESF_SV_SG_SH_SI_EUlSV_E1_NS1_11comp_targetILNS1_3genE5ELNS1_11target_archE942ELNS1_3gpuE9ELNS1_3repE0EEENS1_36merge_oddeven_config_static_selectorELNS0_4arch9wavefront6targetE1EEEvSH_
	.globl	_ZN7rocprim17ROCPRIM_400000_NS6detail17trampoline_kernelINS0_14default_configENS1_38merge_sort_block_merge_config_selectorIhlEEZZNS1_27merge_sort_block_merge_implIS3_PhN6thrust23THRUST_200600_302600_NS10device_ptrIlEEjNS1_19radix_merge_compareILb0ELb0EhNS0_19identity_decomposerEEEEE10hipError_tT0_T1_T2_jT3_P12ihipStream_tbPNSt15iterator_traitsISG_E10value_typeEPNSM_ISH_E10value_typeEPSI_NS1_7vsmem_tEENKUlT_SG_SH_SI_E_clIS7_S7_SB_PlEESF_SV_SG_SH_SI_EUlSV_E1_NS1_11comp_targetILNS1_3genE5ELNS1_11target_archE942ELNS1_3gpuE9ELNS1_3repE0EEENS1_36merge_oddeven_config_static_selectorELNS0_4arch9wavefront6targetE1EEEvSH_
	.p2align	8
	.type	_ZN7rocprim17ROCPRIM_400000_NS6detail17trampoline_kernelINS0_14default_configENS1_38merge_sort_block_merge_config_selectorIhlEEZZNS1_27merge_sort_block_merge_implIS3_PhN6thrust23THRUST_200600_302600_NS10device_ptrIlEEjNS1_19radix_merge_compareILb0ELb0EhNS0_19identity_decomposerEEEEE10hipError_tT0_T1_T2_jT3_P12ihipStream_tbPNSt15iterator_traitsISG_E10value_typeEPNSM_ISH_E10value_typeEPSI_NS1_7vsmem_tEENKUlT_SG_SH_SI_E_clIS7_S7_SB_PlEESF_SV_SG_SH_SI_EUlSV_E1_NS1_11comp_targetILNS1_3genE5ELNS1_11target_archE942ELNS1_3gpuE9ELNS1_3repE0EEENS1_36merge_oddeven_config_static_selectorELNS0_4arch9wavefront6targetE1EEEvSH_,@function
_ZN7rocprim17ROCPRIM_400000_NS6detail17trampoline_kernelINS0_14default_configENS1_38merge_sort_block_merge_config_selectorIhlEEZZNS1_27merge_sort_block_merge_implIS3_PhN6thrust23THRUST_200600_302600_NS10device_ptrIlEEjNS1_19radix_merge_compareILb0ELb0EhNS0_19identity_decomposerEEEEE10hipError_tT0_T1_T2_jT3_P12ihipStream_tbPNSt15iterator_traitsISG_E10value_typeEPNSM_ISH_E10value_typeEPSI_NS1_7vsmem_tEENKUlT_SG_SH_SI_E_clIS7_S7_SB_PlEESF_SV_SG_SH_SI_EUlSV_E1_NS1_11comp_targetILNS1_3genE5ELNS1_11target_archE942ELNS1_3gpuE9ELNS1_3repE0EEENS1_36merge_oddeven_config_static_selectorELNS0_4arch9wavefront6targetE1EEEvSH_: ; @_ZN7rocprim17ROCPRIM_400000_NS6detail17trampoline_kernelINS0_14default_configENS1_38merge_sort_block_merge_config_selectorIhlEEZZNS1_27merge_sort_block_merge_implIS3_PhN6thrust23THRUST_200600_302600_NS10device_ptrIlEEjNS1_19radix_merge_compareILb0ELb0EhNS0_19identity_decomposerEEEEE10hipError_tT0_T1_T2_jT3_P12ihipStream_tbPNSt15iterator_traitsISG_E10value_typeEPNSM_ISH_E10value_typeEPSI_NS1_7vsmem_tEENKUlT_SG_SH_SI_E_clIS7_S7_SB_PlEESF_SV_SG_SH_SI_EUlSV_E1_NS1_11comp_targetILNS1_3genE5ELNS1_11target_archE942ELNS1_3gpuE9ELNS1_3repE0EEENS1_36merge_oddeven_config_static_selectorELNS0_4arch9wavefront6targetE1EEEvSH_
; %bb.0:
	.section	.rodata,"a",@progbits
	.p2align	6, 0x0
	.amdhsa_kernel _ZN7rocprim17ROCPRIM_400000_NS6detail17trampoline_kernelINS0_14default_configENS1_38merge_sort_block_merge_config_selectorIhlEEZZNS1_27merge_sort_block_merge_implIS3_PhN6thrust23THRUST_200600_302600_NS10device_ptrIlEEjNS1_19radix_merge_compareILb0ELb0EhNS0_19identity_decomposerEEEEE10hipError_tT0_T1_T2_jT3_P12ihipStream_tbPNSt15iterator_traitsISG_E10value_typeEPNSM_ISH_E10value_typeEPSI_NS1_7vsmem_tEENKUlT_SG_SH_SI_E_clIS7_S7_SB_PlEESF_SV_SG_SH_SI_EUlSV_E1_NS1_11comp_targetILNS1_3genE5ELNS1_11target_archE942ELNS1_3gpuE9ELNS1_3repE0EEENS1_36merge_oddeven_config_static_selectorELNS0_4arch9wavefront6targetE1EEEvSH_
		.amdhsa_group_segment_fixed_size 0
		.amdhsa_private_segment_fixed_size 0
		.amdhsa_kernarg_size 48
		.amdhsa_user_sgpr_count 6
		.amdhsa_user_sgpr_private_segment_buffer 1
		.amdhsa_user_sgpr_dispatch_ptr 0
		.amdhsa_user_sgpr_queue_ptr 0
		.amdhsa_user_sgpr_kernarg_segment_ptr 1
		.amdhsa_user_sgpr_dispatch_id 0
		.amdhsa_user_sgpr_flat_scratch_init 0
		.amdhsa_user_sgpr_private_segment_size 0
		.amdhsa_uses_dynamic_stack 0
		.amdhsa_system_sgpr_private_segment_wavefront_offset 0
		.amdhsa_system_sgpr_workgroup_id_x 1
		.amdhsa_system_sgpr_workgroup_id_y 0
		.amdhsa_system_sgpr_workgroup_id_z 0
		.amdhsa_system_sgpr_workgroup_info 0
		.amdhsa_system_vgpr_workitem_id 0
		.amdhsa_next_free_vgpr 1
		.amdhsa_next_free_sgpr 0
		.amdhsa_reserve_vcc 0
		.amdhsa_reserve_flat_scratch 0
		.amdhsa_float_round_mode_32 0
		.amdhsa_float_round_mode_16_64 0
		.amdhsa_float_denorm_mode_32 3
		.amdhsa_float_denorm_mode_16_64 3
		.amdhsa_dx10_clamp 1
		.amdhsa_ieee_mode 1
		.amdhsa_fp16_overflow 0
		.amdhsa_exception_fp_ieee_invalid_op 0
		.amdhsa_exception_fp_denorm_src 0
		.amdhsa_exception_fp_ieee_div_zero 0
		.amdhsa_exception_fp_ieee_overflow 0
		.amdhsa_exception_fp_ieee_underflow 0
		.amdhsa_exception_fp_ieee_inexact 0
		.amdhsa_exception_int_div_zero 0
	.end_amdhsa_kernel
	.section	.text._ZN7rocprim17ROCPRIM_400000_NS6detail17trampoline_kernelINS0_14default_configENS1_38merge_sort_block_merge_config_selectorIhlEEZZNS1_27merge_sort_block_merge_implIS3_PhN6thrust23THRUST_200600_302600_NS10device_ptrIlEEjNS1_19radix_merge_compareILb0ELb0EhNS0_19identity_decomposerEEEEE10hipError_tT0_T1_T2_jT3_P12ihipStream_tbPNSt15iterator_traitsISG_E10value_typeEPNSM_ISH_E10value_typeEPSI_NS1_7vsmem_tEENKUlT_SG_SH_SI_E_clIS7_S7_SB_PlEESF_SV_SG_SH_SI_EUlSV_E1_NS1_11comp_targetILNS1_3genE5ELNS1_11target_archE942ELNS1_3gpuE9ELNS1_3repE0EEENS1_36merge_oddeven_config_static_selectorELNS0_4arch9wavefront6targetE1EEEvSH_,"axG",@progbits,_ZN7rocprim17ROCPRIM_400000_NS6detail17trampoline_kernelINS0_14default_configENS1_38merge_sort_block_merge_config_selectorIhlEEZZNS1_27merge_sort_block_merge_implIS3_PhN6thrust23THRUST_200600_302600_NS10device_ptrIlEEjNS1_19radix_merge_compareILb0ELb0EhNS0_19identity_decomposerEEEEE10hipError_tT0_T1_T2_jT3_P12ihipStream_tbPNSt15iterator_traitsISG_E10value_typeEPNSM_ISH_E10value_typeEPSI_NS1_7vsmem_tEENKUlT_SG_SH_SI_E_clIS7_S7_SB_PlEESF_SV_SG_SH_SI_EUlSV_E1_NS1_11comp_targetILNS1_3genE5ELNS1_11target_archE942ELNS1_3gpuE9ELNS1_3repE0EEENS1_36merge_oddeven_config_static_selectorELNS0_4arch9wavefront6targetE1EEEvSH_,comdat
.Lfunc_end166:
	.size	_ZN7rocprim17ROCPRIM_400000_NS6detail17trampoline_kernelINS0_14default_configENS1_38merge_sort_block_merge_config_selectorIhlEEZZNS1_27merge_sort_block_merge_implIS3_PhN6thrust23THRUST_200600_302600_NS10device_ptrIlEEjNS1_19radix_merge_compareILb0ELb0EhNS0_19identity_decomposerEEEEE10hipError_tT0_T1_T2_jT3_P12ihipStream_tbPNSt15iterator_traitsISG_E10value_typeEPNSM_ISH_E10value_typeEPSI_NS1_7vsmem_tEENKUlT_SG_SH_SI_E_clIS7_S7_SB_PlEESF_SV_SG_SH_SI_EUlSV_E1_NS1_11comp_targetILNS1_3genE5ELNS1_11target_archE942ELNS1_3gpuE9ELNS1_3repE0EEENS1_36merge_oddeven_config_static_selectorELNS0_4arch9wavefront6targetE1EEEvSH_, .Lfunc_end166-_ZN7rocprim17ROCPRIM_400000_NS6detail17trampoline_kernelINS0_14default_configENS1_38merge_sort_block_merge_config_selectorIhlEEZZNS1_27merge_sort_block_merge_implIS3_PhN6thrust23THRUST_200600_302600_NS10device_ptrIlEEjNS1_19radix_merge_compareILb0ELb0EhNS0_19identity_decomposerEEEEE10hipError_tT0_T1_T2_jT3_P12ihipStream_tbPNSt15iterator_traitsISG_E10value_typeEPNSM_ISH_E10value_typeEPSI_NS1_7vsmem_tEENKUlT_SG_SH_SI_E_clIS7_S7_SB_PlEESF_SV_SG_SH_SI_EUlSV_E1_NS1_11comp_targetILNS1_3genE5ELNS1_11target_archE942ELNS1_3gpuE9ELNS1_3repE0EEENS1_36merge_oddeven_config_static_selectorELNS0_4arch9wavefront6targetE1EEEvSH_
                                        ; -- End function
	.set _ZN7rocprim17ROCPRIM_400000_NS6detail17trampoline_kernelINS0_14default_configENS1_38merge_sort_block_merge_config_selectorIhlEEZZNS1_27merge_sort_block_merge_implIS3_PhN6thrust23THRUST_200600_302600_NS10device_ptrIlEEjNS1_19radix_merge_compareILb0ELb0EhNS0_19identity_decomposerEEEEE10hipError_tT0_T1_T2_jT3_P12ihipStream_tbPNSt15iterator_traitsISG_E10value_typeEPNSM_ISH_E10value_typeEPSI_NS1_7vsmem_tEENKUlT_SG_SH_SI_E_clIS7_S7_SB_PlEESF_SV_SG_SH_SI_EUlSV_E1_NS1_11comp_targetILNS1_3genE5ELNS1_11target_archE942ELNS1_3gpuE9ELNS1_3repE0EEENS1_36merge_oddeven_config_static_selectorELNS0_4arch9wavefront6targetE1EEEvSH_.num_vgpr, 0
	.set _ZN7rocprim17ROCPRIM_400000_NS6detail17trampoline_kernelINS0_14default_configENS1_38merge_sort_block_merge_config_selectorIhlEEZZNS1_27merge_sort_block_merge_implIS3_PhN6thrust23THRUST_200600_302600_NS10device_ptrIlEEjNS1_19radix_merge_compareILb0ELb0EhNS0_19identity_decomposerEEEEE10hipError_tT0_T1_T2_jT3_P12ihipStream_tbPNSt15iterator_traitsISG_E10value_typeEPNSM_ISH_E10value_typeEPSI_NS1_7vsmem_tEENKUlT_SG_SH_SI_E_clIS7_S7_SB_PlEESF_SV_SG_SH_SI_EUlSV_E1_NS1_11comp_targetILNS1_3genE5ELNS1_11target_archE942ELNS1_3gpuE9ELNS1_3repE0EEENS1_36merge_oddeven_config_static_selectorELNS0_4arch9wavefront6targetE1EEEvSH_.num_agpr, 0
	.set _ZN7rocprim17ROCPRIM_400000_NS6detail17trampoline_kernelINS0_14default_configENS1_38merge_sort_block_merge_config_selectorIhlEEZZNS1_27merge_sort_block_merge_implIS3_PhN6thrust23THRUST_200600_302600_NS10device_ptrIlEEjNS1_19radix_merge_compareILb0ELb0EhNS0_19identity_decomposerEEEEE10hipError_tT0_T1_T2_jT3_P12ihipStream_tbPNSt15iterator_traitsISG_E10value_typeEPNSM_ISH_E10value_typeEPSI_NS1_7vsmem_tEENKUlT_SG_SH_SI_E_clIS7_S7_SB_PlEESF_SV_SG_SH_SI_EUlSV_E1_NS1_11comp_targetILNS1_3genE5ELNS1_11target_archE942ELNS1_3gpuE9ELNS1_3repE0EEENS1_36merge_oddeven_config_static_selectorELNS0_4arch9wavefront6targetE1EEEvSH_.numbered_sgpr, 0
	.set _ZN7rocprim17ROCPRIM_400000_NS6detail17trampoline_kernelINS0_14default_configENS1_38merge_sort_block_merge_config_selectorIhlEEZZNS1_27merge_sort_block_merge_implIS3_PhN6thrust23THRUST_200600_302600_NS10device_ptrIlEEjNS1_19radix_merge_compareILb0ELb0EhNS0_19identity_decomposerEEEEE10hipError_tT0_T1_T2_jT3_P12ihipStream_tbPNSt15iterator_traitsISG_E10value_typeEPNSM_ISH_E10value_typeEPSI_NS1_7vsmem_tEENKUlT_SG_SH_SI_E_clIS7_S7_SB_PlEESF_SV_SG_SH_SI_EUlSV_E1_NS1_11comp_targetILNS1_3genE5ELNS1_11target_archE942ELNS1_3gpuE9ELNS1_3repE0EEENS1_36merge_oddeven_config_static_selectorELNS0_4arch9wavefront6targetE1EEEvSH_.num_named_barrier, 0
	.set _ZN7rocprim17ROCPRIM_400000_NS6detail17trampoline_kernelINS0_14default_configENS1_38merge_sort_block_merge_config_selectorIhlEEZZNS1_27merge_sort_block_merge_implIS3_PhN6thrust23THRUST_200600_302600_NS10device_ptrIlEEjNS1_19radix_merge_compareILb0ELb0EhNS0_19identity_decomposerEEEEE10hipError_tT0_T1_T2_jT3_P12ihipStream_tbPNSt15iterator_traitsISG_E10value_typeEPNSM_ISH_E10value_typeEPSI_NS1_7vsmem_tEENKUlT_SG_SH_SI_E_clIS7_S7_SB_PlEESF_SV_SG_SH_SI_EUlSV_E1_NS1_11comp_targetILNS1_3genE5ELNS1_11target_archE942ELNS1_3gpuE9ELNS1_3repE0EEENS1_36merge_oddeven_config_static_selectorELNS0_4arch9wavefront6targetE1EEEvSH_.private_seg_size, 0
	.set _ZN7rocprim17ROCPRIM_400000_NS6detail17trampoline_kernelINS0_14default_configENS1_38merge_sort_block_merge_config_selectorIhlEEZZNS1_27merge_sort_block_merge_implIS3_PhN6thrust23THRUST_200600_302600_NS10device_ptrIlEEjNS1_19radix_merge_compareILb0ELb0EhNS0_19identity_decomposerEEEEE10hipError_tT0_T1_T2_jT3_P12ihipStream_tbPNSt15iterator_traitsISG_E10value_typeEPNSM_ISH_E10value_typeEPSI_NS1_7vsmem_tEENKUlT_SG_SH_SI_E_clIS7_S7_SB_PlEESF_SV_SG_SH_SI_EUlSV_E1_NS1_11comp_targetILNS1_3genE5ELNS1_11target_archE942ELNS1_3gpuE9ELNS1_3repE0EEENS1_36merge_oddeven_config_static_selectorELNS0_4arch9wavefront6targetE1EEEvSH_.uses_vcc, 0
	.set _ZN7rocprim17ROCPRIM_400000_NS6detail17trampoline_kernelINS0_14default_configENS1_38merge_sort_block_merge_config_selectorIhlEEZZNS1_27merge_sort_block_merge_implIS3_PhN6thrust23THRUST_200600_302600_NS10device_ptrIlEEjNS1_19radix_merge_compareILb0ELb0EhNS0_19identity_decomposerEEEEE10hipError_tT0_T1_T2_jT3_P12ihipStream_tbPNSt15iterator_traitsISG_E10value_typeEPNSM_ISH_E10value_typeEPSI_NS1_7vsmem_tEENKUlT_SG_SH_SI_E_clIS7_S7_SB_PlEESF_SV_SG_SH_SI_EUlSV_E1_NS1_11comp_targetILNS1_3genE5ELNS1_11target_archE942ELNS1_3gpuE9ELNS1_3repE0EEENS1_36merge_oddeven_config_static_selectorELNS0_4arch9wavefront6targetE1EEEvSH_.uses_flat_scratch, 0
	.set _ZN7rocprim17ROCPRIM_400000_NS6detail17trampoline_kernelINS0_14default_configENS1_38merge_sort_block_merge_config_selectorIhlEEZZNS1_27merge_sort_block_merge_implIS3_PhN6thrust23THRUST_200600_302600_NS10device_ptrIlEEjNS1_19radix_merge_compareILb0ELb0EhNS0_19identity_decomposerEEEEE10hipError_tT0_T1_T2_jT3_P12ihipStream_tbPNSt15iterator_traitsISG_E10value_typeEPNSM_ISH_E10value_typeEPSI_NS1_7vsmem_tEENKUlT_SG_SH_SI_E_clIS7_S7_SB_PlEESF_SV_SG_SH_SI_EUlSV_E1_NS1_11comp_targetILNS1_3genE5ELNS1_11target_archE942ELNS1_3gpuE9ELNS1_3repE0EEENS1_36merge_oddeven_config_static_selectorELNS0_4arch9wavefront6targetE1EEEvSH_.has_dyn_sized_stack, 0
	.set _ZN7rocprim17ROCPRIM_400000_NS6detail17trampoline_kernelINS0_14default_configENS1_38merge_sort_block_merge_config_selectorIhlEEZZNS1_27merge_sort_block_merge_implIS3_PhN6thrust23THRUST_200600_302600_NS10device_ptrIlEEjNS1_19radix_merge_compareILb0ELb0EhNS0_19identity_decomposerEEEEE10hipError_tT0_T1_T2_jT3_P12ihipStream_tbPNSt15iterator_traitsISG_E10value_typeEPNSM_ISH_E10value_typeEPSI_NS1_7vsmem_tEENKUlT_SG_SH_SI_E_clIS7_S7_SB_PlEESF_SV_SG_SH_SI_EUlSV_E1_NS1_11comp_targetILNS1_3genE5ELNS1_11target_archE942ELNS1_3gpuE9ELNS1_3repE0EEENS1_36merge_oddeven_config_static_selectorELNS0_4arch9wavefront6targetE1EEEvSH_.has_recursion, 0
	.set _ZN7rocprim17ROCPRIM_400000_NS6detail17trampoline_kernelINS0_14default_configENS1_38merge_sort_block_merge_config_selectorIhlEEZZNS1_27merge_sort_block_merge_implIS3_PhN6thrust23THRUST_200600_302600_NS10device_ptrIlEEjNS1_19radix_merge_compareILb0ELb0EhNS0_19identity_decomposerEEEEE10hipError_tT0_T1_T2_jT3_P12ihipStream_tbPNSt15iterator_traitsISG_E10value_typeEPNSM_ISH_E10value_typeEPSI_NS1_7vsmem_tEENKUlT_SG_SH_SI_E_clIS7_S7_SB_PlEESF_SV_SG_SH_SI_EUlSV_E1_NS1_11comp_targetILNS1_3genE5ELNS1_11target_archE942ELNS1_3gpuE9ELNS1_3repE0EEENS1_36merge_oddeven_config_static_selectorELNS0_4arch9wavefront6targetE1EEEvSH_.has_indirect_call, 0
	.section	.AMDGPU.csdata,"",@progbits
; Kernel info:
; codeLenInByte = 0
; TotalNumSgprs: 4
; NumVgprs: 0
; ScratchSize: 0
; MemoryBound: 0
; FloatMode: 240
; IeeeMode: 1
; LDSByteSize: 0 bytes/workgroup (compile time only)
; SGPRBlocks: 0
; VGPRBlocks: 0
; NumSGPRsForWavesPerEU: 4
; NumVGPRsForWavesPerEU: 1
; Occupancy: 10
; WaveLimiterHint : 0
; COMPUTE_PGM_RSRC2:SCRATCH_EN: 0
; COMPUTE_PGM_RSRC2:USER_SGPR: 6
; COMPUTE_PGM_RSRC2:TRAP_HANDLER: 0
; COMPUTE_PGM_RSRC2:TGID_X_EN: 1
; COMPUTE_PGM_RSRC2:TGID_Y_EN: 0
; COMPUTE_PGM_RSRC2:TGID_Z_EN: 0
; COMPUTE_PGM_RSRC2:TIDIG_COMP_CNT: 0
	.section	.text._ZN7rocprim17ROCPRIM_400000_NS6detail17trampoline_kernelINS0_14default_configENS1_38merge_sort_block_merge_config_selectorIhlEEZZNS1_27merge_sort_block_merge_implIS3_PhN6thrust23THRUST_200600_302600_NS10device_ptrIlEEjNS1_19radix_merge_compareILb0ELb0EhNS0_19identity_decomposerEEEEE10hipError_tT0_T1_T2_jT3_P12ihipStream_tbPNSt15iterator_traitsISG_E10value_typeEPNSM_ISH_E10value_typeEPSI_NS1_7vsmem_tEENKUlT_SG_SH_SI_E_clIS7_S7_SB_PlEESF_SV_SG_SH_SI_EUlSV_E1_NS1_11comp_targetILNS1_3genE4ELNS1_11target_archE910ELNS1_3gpuE8ELNS1_3repE0EEENS1_36merge_oddeven_config_static_selectorELNS0_4arch9wavefront6targetE1EEEvSH_,"axG",@progbits,_ZN7rocprim17ROCPRIM_400000_NS6detail17trampoline_kernelINS0_14default_configENS1_38merge_sort_block_merge_config_selectorIhlEEZZNS1_27merge_sort_block_merge_implIS3_PhN6thrust23THRUST_200600_302600_NS10device_ptrIlEEjNS1_19radix_merge_compareILb0ELb0EhNS0_19identity_decomposerEEEEE10hipError_tT0_T1_T2_jT3_P12ihipStream_tbPNSt15iterator_traitsISG_E10value_typeEPNSM_ISH_E10value_typeEPSI_NS1_7vsmem_tEENKUlT_SG_SH_SI_E_clIS7_S7_SB_PlEESF_SV_SG_SH_SI_EUlSV_E1_NS1_11comp_targetILNS1_3genE4ELNS1_11target_archE910ELNS1_3gpuE8ELNS1_3repE0EEENS1_36merge_oddeven_config_static_selectorELNS0_4arch9wavefront6targetE1EEEvSH_,comdat
	.protected	_ZN7rocprim17ROCPRIM_400000_NS6detail17trampoline_kernelINS0_14default_configENS1_38merge_sort_block_merge_config_selectorIhlEEZZNS1_27merge_sort_block_merge_implIS3_PhN6thrust23THRUST_200600_302600_NS10device_ptrIlEEjNS1_19radix_merge_compareILb0ELb0EhNS0_19identity_decomposerEEEEE10hipError_tT0_T1_T2_jT3_P12ihipStream_tbPNSt15iterator_traitsISG_E10value_typeEPNSM_ISH_E10value_typeEPSI_NS1_7vsmem_tEENKUlT_SG_SH_SI_E_clIS7_S7_SB_PlEESF_SV_SG_SH_SI_EUlSV_E1_NS1_11comp_targetILNS1_3genE4ELNS1_11target_archE910ELNS1_3gpuE8ELNS1_3repE0EEENS1_36merge_oddeven_config_static_selectorELNS0_4arch9wavefront6targetE1EEEvSH_ ; -- Begin function _ZN7rocprim17ROCPRIM_400000_NS6detail17trampoline_kernelINS0_14default_configENS1_38merge_sort_block_merge_config_selectorIhlEEZZNS1_27merge_sort_block_merge_implIS3_PhN6thrust23THRUST_200600_302600_NS10device_ptrIlEEjNS1_19radix_merge_compareILb0ELb0EhNS0_19identity_decomposerEEEEE10hipError_tT0_T1_T2_jT3_P12ihipStream_tbPNSt15iterator_traitsISG_E10value_typeEPNSM_ISH_E10value_typeEPSI_NS1_7vsmem_tEENKUlT_SG_SH_SI_E_clIS7_S7_SB_PlEESF_SV_SG_SH_SI_EUlSV_E1_NS1_11comp_targetILNS1_3genE4ELNS1_11target_archE910ELNS1_3gpuE8ELNS1_3repE0EEENS1_36merge_oddeven_config_static_selectorELNS0_4arch9wavefront6targetE1EEEvSH_
	.globl	_ZN7rocprim17ROCPRIM_400000_NS6detail17trampoline_kernelINS0_14default_configENS1_38merge_sort_block_merge_config_selectorIhlEEZZNS1_27merge_sort_block_merge_implIS3_PhN6thrust23THRUST_200600_302600_NS10device_ptrIlEEjNS1_19radix_merge_compareILb0ELb0EhNS0_19identity_decomposerEEEEE10hipError_tT0_T1_T2_jT3_P12ihipStream_tbPNSt15iterator_traitsISG_E10value_typeEPNSM_ISH_E10value_typeEPSI_NS1_7vsmem_tEENKUlT_SG_SH_SI_E_clIS7_S7_SB_PlEESF_SV_SG_SH_SI_EUlSV_E1_NS1_11comp_targetILNS1_3genE4ELNS1_11target_archE910ELNS1_3gpuE8ELNS1_3repE0EEENS1_36merge_oddeven_config_static_selectorELNS0_4arch9wavefront6targetE1EEEvSH_
	.p2align	8
	.type	_ZN7rocprim17ROCPRIM_400000_NS6detail17trampoline_kernelINS0_14default_configENS1_38merge_sort_block_merge_config_selectorIhlEEZZNS1_27merge_sort_block_merge_implIS3_PhN6thrust23THRUST_200600_302600_NS10device_ptrIlEEjNS1_19radix_merge_compareILb0ELb0EhNS0_19identity_decomposerEEEEE10hipError_tT0_T1_T2_jT3_P12ihipStream_tbPNSt15iterator_traitsISG_E10value_typeEPNSM_ISH_E10value_typeEPSI_NS1_7vsmem_tEENKUlT_SG_SH_SI_E_clIS7_S7_SB_PlEESF_SV_SG_SH_SI_EUlSV_E1_NS1_11comp_targetILNS1_3genE4ELNS1_11target_archE910ELNS1_3gpuE8ELNS1_3repE0EEENS1_36merge_oddeven_config_static_selectorELNS0_4arch9wavefront6targetE1EEEvSH_,@function
_ZN7rocprim17ROCPRIM_400000_NS6detail17trampoline_kernelINS0_14default_configENS1_38merge_sort_block_merge_config_selectorIhlEEZZNS1_27merge_sort_block_merge_implIS3_PhN6thrust23THRUST_200600_302600_NS10device_ptrIlEEjNS1_19radix_merge_compareILb0ELb0EhNS0_19identity_decomposerEEEEE10hipError_tT0_T1_T2_jT3_P12ihipStream_tbPNSt15iterator_traitsISG_E10value_typeEPNSM_ISH_E10value_typeEPSI_NS1_7vsmem_tEENKUlT_SG_SH_SI_E_clIS7_S7_SB_PlEESF_SV_SG_SH_SI_EUlSV_E1_NS1_11comp_targetILNS1_3genE4ELNS1_11target_archE910ELNS1_3gpuE8ELNS1_3repE0EEENS1_36merge_oddeven_config_static_selectorELNS0_4arch9wavefront6targetE1EEEvSH_: ; @_ZN7rocprim17ROCPRIM_400000_NS6detail17trampoline_kernelINS0_14default_configENS1_38merge_sort_block_merge_config_selectorIhlEEZZNS1_27merge_sort_block_merge_implIS3_PhN6thrust23THRUST_200600_302600_NS10device_ptrIlEEjNS1_19radix_merge_compareILb0ELb0EhNS0_19identity_decomposerEEEEE10hipError_tT0_T1_T2_jT3_P12ihipStream_tbPNSt15iterator_traitsISG_E10value_typeEPNSM_ISH_E10value_typeEPSI_NS1_7vsmem_tEENKUlT_SG_SH_SI_E_clIS7_S7_SB_PlEESF_SV_SG_SH_SI_EUlSV_E1_NS1_11comp_targetILNS1_3genE4ELNS1_11target_archE910ELNS1_3gpuE8ELNS1_3repE0EEENS1_36merge_oddeven_config_static_selectorELNS0_4arch9wavefront6targetE1EEEvSH_
; %bb.0:
	.section	.rodata,"a",@progbits
	.p2align	6, 0x0
	.amdhsa_kernel _ZN7rocprim17ROCPRIM_400000_NS6detail17trampoline_kernelINS0_14default_configENS1_38merge_sort_block_merge_config_selectorIhlEEZZNS1_27merge_sort_block_merge_implIS3_PhN6thrust23THRUST_200600_302600_NS10device_ptrIlEEjNS1_19radix_merge_compareILb0ELb0EhNS0_19identity_decomposerEEEEE10hipError_tT0_T1_T2_jT3_P12ihipStream_tbPNSt15iterator_traitsISG_E10value_typeEPNSM_ISH_E10value_typeEPSI_NS1_7vsmem_tEENKUlT_SG_SH_SI_E_clIS7_S7_SB_PlEESF_SV_SG_SH_SI_EUlSV_E1_NS1_11comp_targetILNS1_3genE4ELNS1_11target_archE910ELNS1_3gpuE8ELNS1_3repE0EEENS1_36merge_oddeven_config_static_selectorELNS0_4arch9wavefront6targetE1EEEvSH_
		.amdhsa_group_segment_fixed_size 0
		.amdhsa_private_segment_fixed_size 0
		.amdhsa_kernarg_size 48
		.amdhsa_user_sgpr_count 6
		.amdhsa_user_sgpr_private_segment_buffer 1
		.amdhsa_user_sgpr_dispatch_ptr 0
		.amdhsa_user_sgpr_queue_ptr 0
		.amdhsa_user_sgpr_kernarg_segment_ptr 1
		.amdhsa_user_sgpr_dispatch_id 0
		.amdhsa_user_sgpr_flat_scratch_init 0
		.amdhsa_user_sgpr_private_segment_size 0
		.amdhsa_uses_dynamic_stack 0
		.amdhsa_system_sgpr_private_segment_wavefront_offset 0
		.amdhsa_system_sgpr_workgroup_id_x 1
		.amdhsa_system_sgpr_workgroup_id_y 0
		.amdhsa_system_sgpr_workgroup_id_z 0
		.amdhsa_system_sgpr_workgroup_info 0
		.amdhsa_system_vgpr_workitem_id 0
		.amdhsa_next_free_vgpr 1
		.amdhsa_next_free_sgpr 0
		.amdhsa_reserve_vcc 0
		.amdhsa_reserve_flat_scratch 0
		.amdhsa_float_round_mode_32 0
		.amdhsa_float_round_mode_16_64 0
		.amdhsa_float_denorm_mode_32 3
		.amdhsa_float_denorm_mode_16_64 3
		.amdhsa_dx10_clamp 1
		.amdhsa_ieee_mode 1
		.amdhsa_fp16_overflow 0
		.amdhsa_exception_fp_ieee_invalid_op 0
		.amdhsa_exception_fp_denorm_src 0
		.amdhsa_exception_fp_ieee_div_zero 0
		.amdhsa_exception_fp_ieee_overflow 0
		.amdhsa_exception_fp_ieee_underflow 0
		.amdhsa_exception_fp_ieee_inexact 0
		.amdhsa_exception_int_div_zero 0
	.end_amdhsa_kernel
	.section	.text._ZN7rocprim17ROCPRIM_400000_NS6detail17trampoline_kernelINS0_14default_configENS1_38merge_sort_block_merge_config_selectorIhlEEZZNS1_27merge_sort_block_merge_implIS3_PhN6thrust23THRUST_200600_302600_NS10device_ptrIlEEjNS1_19radix_merge_compareILb0ELb0EhNS0_19identity_decomposerEEEEE10hipError_tT0_T1_T2_jT3_P12ihipStream_tbPNSt15iterator_traitsISG_E10value_typeEPNSM_ISH_E10value_typeEPSI_NS1_7vsmem_tEENKUlT_SG_SH_SI_E_clIS7_S7_SB_PlEESF_SV_SG_SH_SI_EUlSV_E1_NS1_11comp_targetILNS1_3genE4ELNS1_11target_archE910ELNS1_3gpuE8ELNS1_3repE0EEENS1_36merge_oddeven_config_static_selectorELNS0_4arch9wavefront6targetE1EEEvSH_,"axG",@progbits,_ZN7rocprim17ROCPRIM_400000_NS6detail17trampoline_kernelINS0_14default_configENS1_38merge_sort_block_merge_config_selectorIhlEEZZNS1_27merge_sort_block_merge_implIS3_PhN6thrust23THRUST_200600_302600_NS10device_ptrIlEEjNS1_19radix_merge_compareILb0ELb0EhNS0_19identity_decomposerEEEEE10hipError_tT0_T1_T2_jT3_P12ihipStream_tbPNSt15iterator_traitsISG_E10value_typeEPNSM_ISH_E10value_typeEPSI_NS1_7vsmem_tEENKUlT_SG_SH_SI_E_clIS7_S7_SB_PlEESF_SV_SG_SH_SI_EUlSV_E1_NS1_11comp_targetILNS1_3genE4ELNS1_11target_archE910ELNS1_3gpuE8ELNS1_3repE0EEENS1_36merge_oddeven_config_static_selectorELNS0_4arch9wavefront6targetE1EEEvSH_,comdat
.Lfunc_end167:
	.size	_ZN7rocprim17ROCPRIM_400000_NS6detail17trampoline_kernelINS0_14default_configENS1_38merge_sort_block_merge_config_selectorIhlEEZZNS1_27merge_sort_block_merge_implIS3_PhN6thrust23THRUST_200600_302600_NS10device_ptrIlEEjNS1_19radix_merge_compareILb0ELb0EhNS0_19identity_decomposerEEEEE10hipError_tT0_T1_T2_jT3_P12ihipStream_tbPNSt15iterator_traitsISG_E10value_typeEPNSM_ISH_E10value_typeEPSI_NS1_7vsmem_tEENKUlT_SG_SH_SI_E_clIS7_S7_SB_PlEESF_SV_SG_SH_SI_EUlSV_E1_NS1_11comp_targetILNS1_3genE4ELNS1_11target_archE910ELNS1_3gpuE8ELNS1_3repE0EEENS1_36merge_oddeven_config_static_selectorELNS0_4arch9wavefront6targetE1EEEvSH_, .Lfunc_end167-_ZN7rocprim17ROCPRIM_400000_NS6detail17trampoline_kernelINS0_14default_configENS1_38merge_sort_block_merge_config_selectorIhlEEZZNS1_27merge_sort_block_merge_implIS3_PhN6thrust23THRUST_200600_302600_NS10device_ptrIlEEjNS1_19radix_merge_compareILb0ELb0EhNS0_19identity_decomposerEEEEE10hipError_tT0_T1_T2_jT3_P12ihipStream_tbPNSt15iterator_traitsISG_E10value_typeEPNSM_ISH_E10value_typeEPSI_NS1_7vsmem_tEENKUlT_SG_SH_SI_E_clIS7_S7_SB_PlEESF_SV_SG_SH_SI_EUlSV_E1_NS1_11comp_targetILNS1_3genE4ELNS1_11target_archE910ELNS1_3gpuE8ELNS1_3repE0EEENS1_36merge_oddeven_config_static_selectorELNS0_4arch9wavefront6targetE1EEEvSH_
                                        ; -- End function
	.set _ZN7rocprim17ROCPRIM_400000_NS6detail17trampoline_kernelINS0_14default_configENS1_38merge_sort_block_merge_config_selectorIhlEEZZNS1_27merge_sort_block_merge_implIS3_PhN6thrust23THRUST_200600_302600_NS10device_ptrIlEEjNS1_19radix_merge_compareILb0ELb0EhNS0_19identity_decomposerEEEEE10hipError_tT0_T1_T2_jT3_P12ihipStream_tbPNSt15iterator_traitsISG_E10value_typeEPNSM_ISH_E10value_typeEPSI_NS1_7vsmem_tEENKUlT_SG_SH_SI_E_clIS7_S7_SB_PlEESF_SV_SG_SH_SI_EUlSV_E1_NS1_11comp_targetILNS1_3genE4ELNS1_11target_archE910ELNS1_3gpuE8ELNS1_3repE0EEENS1_36merge_oddeven_config_static_selectorELNS0_4arch9wavefront6targetE1EEEvSH_.num_vgpr, 0
	.set _ZN7rocprim17ROCPRIM_400000_NS6detail17trampoline_kernelINS0_14default_configENS1_38merge_sort_block_merge_config_selectorIhlEEZZNS1_27merge_sort_block_merge_implIS3_PhN6thrust23THRUST_200600_302600_NS10device_ptrIlEEjNS1_19radix_merge_compareILb0ELb0EhNS0_19identity_decomposerEEEEE10hipError_tT0_T1_T2_jT3_P12ihipStream_tbPNSt15iterator_traitsISG_E10value_typeEPNSM_ISH_E10value_typeEPSI_NS1_7vsmem_tEENKUlT_SG_SH_SI_E_clIS7_S7_SB_PlEESF_SV_SG_SH_SI_EUlSV_E1_NS1_11comp_targetILNS1_3genE4ELNS1_11target_archE910ELNS1_3gpuE8ELNS1_3repE0EEENS1_36merge_oddeven_config_static_selectorELNS0_4arch9wavefront6targetE1EEEvSH_.num_agpr, 0
	.set _ZN7rocprim17ROCPRIM_400000_NS6detail17trampoline_kernelINS0_14default_configENS1_38merge_sort_block_merge_config_selectorIhlEEZZNS1_27merge_sort_block_merge_implIS3_PhN6thrust23THRUST_200600_302600_NS10device_ptrIlEEjNS1_19radix_merge_compareILb0ELb0EhNS0_19identity_decomposerEEEEE10hipError_tT0_T1_T2_jT3_P12ihipStream_tbPNSt15iterator_traitsISG_E10value_typeEPNSM_ISH_E10value_typeEPSI_NS1_7vsmem_tEENKUlT_SG_SH_SI_E_clIS7_S7_SB_PlEESF_SV_SG_SH_SI_EUlSV_E1_NS1_11comp_targetILNS1_3genE4ELNS1_11target_archE910ELNS1_3gpuE8ELNS1_3repE0EEENS1_36merge_oddeven_config_static_selectorELNS0_4arch9wavefront6targetE1EEEvSH_.numbered_sgpr, 0
	.set _ZN7rocprim17ROCPRIM_400000_NS6detail17trampoline_kernelINS0_14default_configENS1_38merge_sort_block_merge_config_selectorIhlEEZZNS1_27merge_sort_block_merge_implIS3_PhN6thrust23THRUST_200600_302600_NS10device_ptrIlEEjNS1_19radix_merge_compareILb0ELb0EhNS0_19identity_decomposerEEEEE10hipError_tT0_T1_T2_jT3_P12ihipStream_tbPNSt15iterator_traitsISG_E10value_typeEPNSM_ISH_E10value_typeEPSI_NS1_7vsmem_tEENKUlT_SG_SH_SI_E_clIS7_S7_SB_PlEESF_SV_SG_SH_SI_EUlSV_E1_NS1_11comp_targetILNS1_3genE4ELNS1_11target_archE910ELNS1_3gpuE8ELNS1_3repE0EEENS1_36merge_oddeven_config_static_selectorELNS0_4arch9wavefront6targetE1EEEvSH_.num_named_barrier, 0
	.set _ZN7rocprim17ROCPRIM_400000_NS6detail17trampoline_kernelINS0_14default_configENS1_38merge_sort_block_merge_config_selectorIhlEEZZNS1_27merge_sort_block_merge_implIS3_PhN6thrust23THRUST_200600_302600_NS10device_ptrIlEEjNS1_19radix_merge_compareILb0ELb0EhNS0_19identity_decomposerEEEEE10hipError_tT0_T1_T2_jT3_P12ihipStream_tbPNSt15iterator_traitsISG_E10value_typeEPNSM_ISH_E10value_typeEPSI_NS1_7vsmem_tEENKUlT_SG_SH_SI_E_clIS7_S7_SB_PlEESF_SV_SG_SH_SI_EUlSV_E1_NS1_11comp_targetILNS1_3genE4ELNS1_11target_archE910ELNS1_3gpuE8ELNS1_3repE0EEENS1_36merge_oddeven_config_static_selectorELNS0_4arch9wavefront6targetE1EEEvSH_.private_seg_size, 0
	.set _ZN7rocprim17ROCPRIM_400000_NS6detail17trampoline_kernelINS0_14default_configENS1_38merge_sort_block_merge_config_selectorIhlEEZZNS1_27merge_sort_block_merge_implIS3_PhN6thrust23THRUST_200600_302600_NS10device_ptrIlEEjNS1_19radix_merge_compareILb0ELb0EhNS0_19identity_decomposerEEEEE10hipError_tT0_T1_T2_jT3_P12ihipStream_tbPNSt15iterator_traitsISG_E10value_typeEPNSM_ISH_E10value_typeEPSI_NS1_7vsmem_tEENKUlT_SG_SH_SI_E_clIS7_S7_SB_PlEESF_SV_SG_SH_SI_EUlSV_E1_NS1_11comp_targetILNS1_3genE4ELNS1_11target_archE910ELNS1_3gpuE8ELNS1_3repE0EEENS1_36merge_oddeven_config_static_selectorELNS0_4arch9wavefront6targetE1EEEvSH_.uses_vcc, 0
	.set _ZN7rocprim17ROCPRIM_400000_NS6detail17trampoline_kernelINS0_14default_configENS1_38merge_sort_block_merge_config_selectorIhlEEZZNS1_27merge_sort_block_merge_implIS3_PhN6thrust23THRUST_200600_302600_NS10device_ptrIlEEjNS1_19radix_merge_compareILb0ELb0EhNS0_19identity_decomposerEEEEE10hipError_tT0_T1_T2_jT3_P12ihipStream_tbPNSt15iterator_traitsISG_E10value_typeEPNSM_ISH_E10value_typeEPSI_NS1_7vsmem_tEENKUlT_SG_SH_SI_E_clIS7_S7_SB_PlEESF_SV_SG_SH_SI_EUlSV_E1_NS1_11comp_targetILNS1_3genE4ELNS1_11target_archE910ELNS1_3gpuE8ELNS1_3repE0EEENS1_36merge_oddeven_config_static_selectorELNS0_4arch9wavefront6targetE1EEEvSH_.uses_flat_scratch, 0
	.set _ZN7rocprim17ROCPRIM_400000_NS6detail17trampoline_kernelINS0_14default_configENS1_38merge_sort_block_merge_config_selectorIhlEEZZNS1_27merge_sort_block_merge_implIS3_PhN6thrust23THRUST_200600_302600_NS10device_ptrIlEEjNS1_19radix_merge_compareILb0ELb0EhNS0_19identity_decomposerEEEEE10hipError_tT0_T1_T2_jT3_P12ihipStream_tbPNSt15iterator_traitsISG_E10value_typeEPNSM_ISH_E10value_typeEPSI_NS1_7vsmem_tEENKUlT_SG_SH_SI_E_clIS7_S7_SB_PlEESF_SV_SG_SH_SI_EUlSV_E1_NS1_11comp_targetILNS1_3genE4ELNS1_11target_archE910ELNS1_3gpuE8ELNS1_3repE0EEENS1_36merge_oddeven_config_static_selectorELNS0_4arch9wavefront6targetE1EEEvSH_.has_dyn_sized_stack, 0
	.set _ZN7rocprim17ROCPRIM_400000_NS6detail17trampoline_kernelINS0_14default_configENS1_38merge_sort_block_merge_config_selectorIhlEEZZNS1_27merge_sort_block_merge_implIS3_PhN6thrust23THRUST_200600_302600_NS10device_ptrIlEEjNS1_19radix_merge_compareILb0ELb0EhNS0_19identity_decomposerEEEEE10hipError_tT0_T1_T2_jT3_P12ihipStream_tbPNSt15iterator_traitsISG_E10value_typeEPNSM_ISH_E10value_typeEPSI_NS1_7vsmem_tEENKUlT_SG_SH_SI_E_clIS7_S7_SB_PlEESF_SV_SG_SH_SI_EUlSV_E1_NS1_11comp_targetILNS1_3genE4ELNS1_11target_archE910ELNS1_3gpuE8ELNS1_3repE0EEENS1_36merge_oddeven_config_static_selectorELNS0_4arch9wavefront6targetE1EEEvSH_.has_recursion, 0
	.set _ZN7rocprim17ROCPRIM_400000_NS6detail17trampoline_kernelINS0_14default_configENS1_38merge_sort_block_merge_config_selectorIhlEEZZNS1_27merge_sort_block_merge_implIS3_PhN6thrust23THRUST_200600_302600_NS10device_ptrIlEEjNS1_19radix_merge_compareILb0ELb0EhNS0_19identity_decomposerEEEEE10hipError_tT0_T1_T2_jT3_P12ihipStream_tbPNSt15iterator_traitsISG_E10value_typeEPNSM_ISH_E10value_typeEPSI_NS1_7vsmem_tEENKUlT_SG_SH_SI_E_clIS7_S7_SB_PlEESF_SV_SG_SH_SI_EUlSV_E1_NS1_11comp_targetILNS1_3genE4ELNS1_11target_archE910ELNS1_3gpuE8ELNS1_3repE0EEENS1_36merge_oddeven_config_static_selectorELNS0_4arch9wavefront6targetE1EEEvSH_.has_indirect_call, 0
	.section	.AMDGPU.csdata,"",@progbits
; Kernel info:
; codeLenInByte = 0
; TotalNumSgprs: 4
; NumVgprs: 0
; ScratchSize: 0
; MemoryBound: 0
; FloatMode: 240
; IeeeMode: 1
; LDSByteSize: 0 bytes/workgroup (compile time only)
; SGPRBlocks: 0
; VGPRBlocks: 0
; NumSGPRsForWavesPerEU: 4
; NumVGPRsForWavesPerEU: 1
; Occupancy: 10
; WaveLimiterHint : 0
; COMPUTE_PGM_RSRC2:SCRATCH_EN: 0
; COMPUTE_PGM_RSRC2:USER_SGPR: 6
; COMPUTE_PGM_RSRC2:TRAP_HANDLER: 0
; COMPUTE_PGM_RSRC2:TGID_X_EN: 1
; COMPUTE_PGM_RSRC2:TGID_Y_EN: 0
; COMPUTE_PGM_RSRC2:TGID_Z_EN: 0
; COMPUTE_PGM_RSRC2:TIDIG_COMP_CNT: 0
	.section	.text._ZN7rocprim17ROCPRIM_400000_NS6detail17trampoline_kernelINS0_14default_configENS1_38merge_sort_block_merge_config_selectorIhlEEZZNS1_27merge_sort_block_merge_implIS3_PhN6thrust23THRUST_200600_302600_NS10device_ptrIlEEjNS1_19radix_merge_compareILb0ELb0EhNS0_19identity_decomposerEEEEE10hipError_tT0_T1_T2_jT3_P12ihipStream_tbPNSt15iterator_traitsISG_E10value_typeEPNSM_ISH_E10value_typeEPSI_NS1_7vsmem_tEENKUlT_SG_SH_SI_E_clIS7_S7_SB_PlEESF_SV_SG_SH_SI_EUlSV_E1_NS1_11comp_targetILNS1_3genE3ELNS1_11target_archE908ELNS1_3gpuE7ELNS1_3repE0EEENS1_36merge_oddeven_config_static_selectorELNS0_4arch9wavefront6targetE1EEEvSH_,"axG",@progbits,_ZN7rocprim17ROCPRIM_400000_NS6detail17trampoline_kernelINS0_14default_configENS1_38merge_sort_block_merge_config_selectorIhlEEZZNS1_27merge_sort_block_merge_implIS3_PhN6thrust23THRUST_200600_302600_NS10device_ptrIlEEjNS1_19radix_merge_compareILb0ELb0EhNS0_19identity_decomposerEEEEE10hipError_tT0_T1_T2_jT3_P12ihipStream_tbPNSt15iterator_traitsISG_E10value_typeEPNSM_ISH_E10value_typeEPSI_NS1_7vsmem_tEENKUlT_SG_SH_SI_E_clIS7_S7_SB_PlEESF_SV_SG_SH_SI_EUlSV_E1_NS1_11comp_targetILNS1_3genE3ELNS1_11target_archE908ELNS1_3gpuE7ELNS1_3repE0EEENS1_36merge_oddeven_config_static_selectorELNS0_4arch9wavefront6targetE1EEEvSH_,comdat
	.protected	_ZN7rocprim17ROCPRIM_400000_NS6detail17trampoline_kernelINS0_14default_configENS1_38merge_sort_block_merge_config_selectorIhlEEZZNS1_27merge_sort_block_merge_implIS3_PhN6thrust23THRUST_200600_302600_NS10device_ptrIlEEjNS1_19radix_merge_compareILb0ELb0EhNS0_19identity_decomposerEEEEE10hipError_tT0_T1_T2_jT3_P12ihipStream_tbPNSt15iterator_traitsISG_E10value_typeEPNSM_ISH_E10value_typeEPSI_NS1_7vsmem_tEENKUlT_SG_SH_SI_E_clIS7_S7_SB_PlEESF_SV_SG_SH_SI_EUlSV_E1_NS1_11comp_targetILNS1_3genE3ELNS1_11target_archE908ELNS1_3gpuE7ELNS1_3repE0EEENS1_36merge_oddeven_config_static_selectorELNS0_4arch9wavefront6targetE1EEEvSH_ ; -- Begin function _ZN7rocprim17ROCPRIM_400000_NS6detail17trampoline_kernelINS0_14default_configENS1_38merge_sort_block_merge_config_selectorIhlEEZZNS1_27merge_sort_block_merge_implIS3_PhN6thrust23THRUST_200600_302600_NS10device_ptrIlEEjNS1_19radix_merge_compareILb0ELb0EhNS0_19identity_decomposerEEEEE10hipError_tT0_T1_T2_jT3_P12ihipStream_tbPNSt15iterator_traitsISG_E10value_typeEPNSM_ISH_E10value_typeEPSI_NS1_7vsmem_tEENKUlT_SG_SH_SI_E_clIS7_S7_SB_PlEESF_SV_SG_SH_SI_EUlSV_E1_NS1_11comp_targetILNS1_3genE3ELNS1_11target_archE908ELNS1_3gpuE7ELNS1_3repE0EEENS1_36merge_oddeven_config_static_selectorELNS0_4arch9wavefront6targetE1EEEvSH_
	.globl	_ZN7rocprim17ROCPRIM_400000_NS6detail17trampoline_kernelINS0_14default_configENS1_38merge_sort_block_merge_config_selectorIhlEEZZNS1_27merge_sort_block_merge_implIS3_PhN6thrust23THRUST_200600_302600_NS10device_ptrIlEEjNS1_19radix_merge_compareILb0ELb0EhNS0_19identity_decomposerEEEEE10hipError_tT0_T1_T2_jT3_P12ihipStream_tbPNSt15iterator_traitsISG_E10value_typeEPNSM_ISH_E10value_typeEPSI_NS1_7vsmem_tEENKUlT_SG_SH_SI_E_clIS7_S7_SB_PlEESF_SV_SG_SH_SI_EUlSV_E1_NS1_11comp_targetILNS1_3genE3ELNS1_11target_archE908ELNS1_3gpuE7ELNS1_3repE0EEENS1_36merge_oddeven_config_static_selectorELNS0_4arch9wavefront6targetE1EEEvSH_
	.p2align	8
	.type	_ZN7rocprim17ROCPRIM_400000_NS6detail17trampoline_kernelINS0_14default_configENS1_38merge_sort_block_merge_config_selectorIhlEEZZNS1_27merge_sort_block_merge_implIS3_PhN6thrust23THRUST_200600_302600_NS10device_ptrIlEEjNS1_19radix_merge_compareILb0ELb0EhNS0_19identity_decomposerEEEEE10hipError_tT0_T1_T2_jT3_P12ihipStream_tbPNSt15iterator_traitsISG_E10value_typeEPNSM_ISH_E10value_typeEPSI_NS1_7vsmem_tEENKUlT_SG_SH_SI_E_clIS7_S7_SB_PlEESF_SV_SG_SH_SI_EUlSV_E1_NS1_11comp_targetILNS1_3genE3ELNS1_11target_archE908ELNS1_3gpuE7ELNS1_3repE0EEENS1_36merge_oddeven_config_static_selectorELNS0_4arch9wavefront6targetE1EEEvSH_,@function
_ZN7rocprim17ROCPRIM_400000_NS6detail17trampoline_kernelINS0_14default_configENS1_38merge_sort_block_merge_config_selectorIhlEEZZNS1_27merge_sort_block_merge_implIS3_PhN6thrust23THRUST_200600_302600_NS10device_ptrIlEEjNS1_19radix_merge_compareILb0ELb0EhNS0_19identity_decomposerEEEEE10hipError_tT0_T1_T2_jT3_P12ihipStream_tbPNSt15iterator_traitsISG_E10value_typeEPNSM_ISH_E10value_typeEPSI_NS1_7vsmem_tEENKUlT_SG_SH_SI_E_clIS7_S7_SB_PlEESF_SV_SG_SH_SI_EUlSV_E1_NS1_11comp_targetILNS1_3genE3ELNS1_11target_archE908ELNS1_3gpuE7ELNS1_3repE0EEENS1_36merge_oddeven_config_static_selectorELNS0_4arch9wavefront6targetE1EEEvSH_: ; @_ZN7rocprim17ROCPRIM_400000_NS6detail17trampoline_kernelINS0_14default_configENS1_38merge_sort_block_merge_config_selectorIhlEEZZNS1_27merge_sort_block_merge_implIS3_PhN6thrust23THRUST_200600_302600_NS10device_ptrIlEEjNS1_19radix_merge_compareILb0ELb0EhNS0_19identity_decomposerEEEEE10hipError_tT0_T1_T2_jT3_P12ihipStream_tbPNSt15iterator_traitsISG_E10value_typeEPNSM_ISH_E10value_typeEPSI_NS1_7vsmem_tEENKUlT_SG_SH_SI_E_clIS7_S7_SB_PlEESF_SV_SG_SH_SI_EUlSV_E1_NS1_11comp_targetILNS1_3genE3ELNS1_11target_archE908ELNS1_3gpuE7ELNS1_3repE0EEENS1_36merge_oddeven_config_static_selectorELNS0_4arch9wavefront6targetE1EEEvSH_
; %bb.0:
	.section	.rodata,"a",@progbits
	.p2align	6, 0x0
	.amdhsa_kernel _ZN7rocprim17ROCPRIM_400000_NS6detail17trampoline_kernelINS0_14default_configENS1_38merge_sort_block_merge_config_selectorIhlEEZZNS1_27merge_sort_block_merge_implIS3_PhN6thrust23THRUST_200600_302600_NS10device_ptrIlEEjNS1_19radix_merge_compareILb0ELb0EhNS0_19identity_decomposerEEEEE10hipError_tT0_T1_T2_jT3_P12ihipStream_tbPNSt15iterator_traitsISG_E10value_typeEPNSM_ISH_E10value_typeEPSI_NS1_7vsmem_tEENKUlT_SG_SH_SI_E_clIS7_S7_SB_PlEESF_SV_SG_SH_SI_EUlSV_E1_NS1_11comp_targetILNS1_3genE3ELNS1_11target_archE908ELNS1_3gpuE7ELNS1_3repE0EEENS1_36merge_oddeven_config_static_selectorELNS0_4arch9wavefront6targetE1EEEvSH_
		.amdhsa_group_segment_fixed_size 0
		.amdhsa_private_segment_fixed_size 0
		.amdhsa_kernarg_size 48
		.amdhsa_user_sgpr_count 6
		.amdhsa_user_sgpr_private_segment_buffer 1
		.amdhsa_user_sgpr_dispatch_ptr 0
		.amdhsa_user_sgpr_queue_ptr 0
		.amdhsa_user_sgpr_kernarg_segment_ptr 1
		.amdhsa_user_sgpr_dispatch_id 0
		.amdhsa_user_sgpr_flat_scratch_init 0
		.amdhsa_user_sgpr_private_segment_size 0
		.amdhsa_uses_dynamic_stack 0
		.amdhsa_system_sgpr_private_segment_wavefront_offset 0
		.amdhsa_system_sgpr_workgroup_id_x 1
		.amdhsa_system_sgpr_workgroup_id_y 0
		.amdhsa_system_sgpr_workgroup_id_z 0
		.amdhsa_system_sgpr_workgroup_info 0
		.amdhsa_system_vgpr_workitem_id 0
		.amdhsa_next_free_vgpr 1
		.amdhsa_next_free_sgpr 0
		.amdhsa_reserve_vcc 0
		.amdhsa_reserve_flat_scratch 0
		.amdhsa_float_round_mode_32 0
		.amdhsa_float_round_mode_16_64 0
		.amdhsa_float_denorm_mode_32 3
		.amdhsa_float_denorm_mode_16_64 3
		.amdhsa_dx10_clamp 1
		.amdhsa_ieee_mode 1
		.amdhsa_fp16_overflow 0
		.amdhsa_exception_fp_ieee_invalid_op 0
		.amdhsa_exception_fp_denorm_src 0
		.amdhsa_exception_fp_ieee_div_zero 0
		.amdhsa_exception_fp_ieee_overflow 0
		.amdhsa_exception_fp_ieee_underflow 0
		.amdhsa_exception_fp_ieee_inexact 0
		.amdhsa_exception_int_div_zero 0
	.end_amdhsa_kernel
	.section	.text._ZN7rocprim17ROCPRIM_400000_NS6detail17trampoline_kernelINS0_14default_configENS1_38merge_sort_block_merge_config_selectorIhlEEZZNS1_27merge_sort_block_merge_implIS3_PhN6thrust23THRUST_200600_302600_NS10device_ptrIlEEjNS1_19radix_merge_compareILb0ELb0EhNS0_19identity_decomposerEEEEE10hipError_tT0_T1_T2_jT3_P12ihipStream_tbPNSt15iterator_traitsISG_E10value_typeEPNSM_ISH_E10value_typeEPSI_NS1_7vsmem_tEENKUlT_SG_SH_SI_E_clIS7_S7_SB_PlEESF_SV_SG_SH_SI_EUlSV_E1_NS1_11comp_targetILNS1_3genE3ELNS1_11target_archE908ELNS1_3gpuE7ELNS1_3repE0EEENS1_36merge_oddeven_config_static_selectorELNS0_4arch9wavefront6targetE1EEEvSH_,"axG",@progbits,_ZN7rocprim17ROCPRIM_400000_NS6detail17trampoline_kernelINS0_14default_configENS1_38merge_sort_block_merge_config_selectorIhlEEZZNS1_27merge_sort_block_merge_implIS3_PhN6thrust23THRUST_200600_302600_NS10device_ptrIlEEjNS1_19radix_merge_compareILb0ELb0EhNS0_19identity_decomposerEEEEE10hipError_tT0_T1_T2_jT3_P12ihipStream_tbPNSt15iterator_traitsISG_E10value_typeEPNSM_ISH_E10value_typeEPSI_NS1_7vsmem_tEENKUlT_SG_SH_SI_E_clIS7_S7_SB_PlEESF_SV_SG_SH_SI_EUlSV_E1_NS1_11comp_targetILNS1_3genE3ELNS1_11target_archE908ELNS1_3gpuE7ELNS1_3repE0EEENS1_36merge_oddeven_config_static_selectorELNS0_4arch9wavefront6targetE1EEEvSH_,comdat
.Lfunc_end168:
	.size	_ZN7rocprim17ROCPRIM_400000_NS6detail17trampoline_kernelINS0_14default_configENS1_38merge_sort_block_merge_config_selectorIhlEEZZNS1_27merge_sort_block_merge_implIS3_PhN6thrust23THRUST_200600_302600_NS10device_ptrIlEEjNS1_19radix_merge_compareILb0ELb0EhNS0_19identity_decomposerEEEEE10hipError_tT0_T1_T2_jT3_P12ihipStream_tbPNSt15iterator_traitsISG_E10value_typeEPNSM_ISH_E10value_typeEPSI_NS1_7vsmem_tEENKUlT_SG_SH_SI_E_clIS7_S7_SB_PlEESF_SV_SG_SH_SI_EUlSV_E1_NS1_11comp_targetILNS1_3genE3ELNS1_11target_archE908ELNS1_3gpuE7ELNS1_3repE0EEENS1_36merge_oddeven_config_static_selectorELNS0_4arch9wavefront6targetE1EEEvSH_, .Lfunc_end168-_ZN7rocprim17ROCPRIM_400000_NS6detail17trampoline_kernelINS0_14default_configENS1_38merge_sort_block_merge_config_selectorIhlEEZZNS1_27merge_sort_block_merge_implIS3_PhN6thrust23THRUST_200600_302600_NS10device_ptrIlEEjNS1_19radix_merge_compareILb0ELb0EhNS0_19identity_decomposerEEEEE10hipError_tT0_T1_T2_jT3_P12ihipStream_tbPNSt15iterator_traitsISG_E10value_typeEPNSM_ISH_E10value_typeEPSI_NS1_7vsmem_tEENKUlT_SG_SH_SI_E_clIS7_S7_SB_PlEESF_SV_SG_SH_SI_EUlSV_E1_NS1_11comp_targetILNS1_3genE3ELNS1_11target_archE908ELNS1_3gpuE7ELNS1_3repE0EEENS1_36merge_oddeven_config_static_selectorELNS0_4arch9wavefront6targetE1EEEvSH_
                                        ; -- End function
	.set _ZN7rocprim17ROCPRIM_400000_NS6detail17trampoline_kernelINS0_14default_configENS1_38merge_sort_block_merge_config_selectorIhlEEZZNS1_27merge_sort_block_merge_implIS3_PhN6thrust23THRUST_200600_302600_NS10device_ptrIlEEjNS1_19radix_merge_compareILb0ELb0EhNS0_19identity_decomposerEEEEE10hipError_tT0_T1_T2_jT3_P12ihipStream_tbPNSt15iterator_traitsISG_E10value_typeEPNSM_ISH_E10value_typeEPSI_NS1_7vsmem_tEENKUlT_SG_SH_SI_E_clIS7_S7_SB_PlEESF_SV_SG_SH_SI_EUlSV_E1_NS1_11comp_targetILNS1_3genE3ELNS1_11target_archE908ELNS1_3gpuE7ELNS1_3repE0EEENS1_36merge_oddeven_config_static_selectorELNS0_4arch9wavefront6targetE1EEEvSH_.num_vgpr, 0
	.set _ZN7rocprim17ROCPRIM_400000_NS6detail17trampoline_kernelINS0_14default_configENS1_38merge_sort_block_merge_config_selectorIhlEEZZNS1_27merge_sort_block_merge_implIS3_PhN6thrust23THRUST_200600_302600_NS10device_ptrIlEEjNS1_19radix_merge_compareILb0ELb0EhNS0_19identity_decomposerEEEEE10hipError_tT0_T1_T2_jT3_P12ihipStream_tbPNSt15iterator_traitsISG_E10value_typeEPNSM_ISH_E10value_typeEPSI_NS1_7vsmem_tEENKUlT_SG_SH_SI_E_clIS7_S7_SB_PlEESF_SV_SG_SH_SI_EUlSV_E1_NS1_11comp_targetILNS1_3genE3ELNS1_11target_archE908ELNS1_3gpuE7ELNS1_3repE0EEENS1_36merge_oddeven_config_static_selectorELNS0_4arch9wavefront6targetE1EEEvSH_.num_agpr, 0
	.set _ZN7rocprim17ROCPRIM_400000_NS6detail17trampoline_kernelINS0_14default_configENS1_38merge_sort_block_merge_config_selectorIhlEEZZNS1_27merge_sort_block_merge_implIS3_PhN6thrust23THRUST_200600_302600_NS10device_ptrIlEEjNS1_19radix_merge_compareILb0ELb0EhNS0_19identity_decomposerEEEEE10hipError_tT0_T1_T2_jT3_P12ihipStream_tbPNSt15iterator_traitsISG_E10value_typeEPNSM_ISH_E10value_typeEPSI_NS1_7vsmem_tEENKUlT_SG_SH_SI_E_clIS7_S7_SB_PlEESF_SV_SG_SH_SI_EUlSV_E1_NS1_11comp_targetILNS1_3genE3ELNS1_11target_archE908ELNS1_3gpuE7ELNS1_3repE0EEENS1_36merge_oddeven_config_static_selectorELNS0_4arch9wavefront6targetE1EEEvSH_.numbered_sgpr, 0
	.set _ZN7rocprim17ROCPRIM_400000_NS6detail17trampoline_kernelINS0_14default_configENS1_38merge_sort_block_merge_config_selectorIhlEEZZNS1_27merge_sort_block_merge_implIS3_PhN6thrust23THRUST_200600_302600_NS10device_ptrIlEEjNS1_19radix_merge_compareILb0ELb0EhNS0_19identity_decomposerEEEEE10hipError_tT0_T1_T2_jT3_P12ihipStream_tbPNSt15iterator_traitsISG_E10value_typeEPNSM_ISH_E10value_typeEPSI_NS1_7vsmem_tEENKUlT_SG_SH_SI_E_clIS7_S7_SB_PlEESF_SV_SG_SH_SI_EUlSV_E1_NS1_11comp_targetILNS1_3genE3ELNS1_11target_archE908ELNS1_3gpuE7ELNS1_3repE0EEENS1_36merge_oddeven_config_static_selectorELNS0_4arch9wavefront6targetE1EEEvSH_.num_named_barrier, 0
	.set _ZN7rocprim17ROCPRIM_400000_NS6detail17trampoline_kernelINS0_14default_configENS1_38merge_sort_block_merge_config_selectorIhlEEZZNS1_27merge_sort_block_merge_implIS3_PhN6thrust23THRUST_200600_302600_NS10device_ptrIlEEjNS1_19radix_merge_compareILb0ELb0EhNS0_19identity_decomposerEEEEE10hipError_tT0_T1_T2_jT3_P12ihipStream_tbPNSt15iterator_traitsISG_E10value_typeEPNSM_ISH_E10value_typeEPSI_NS1_7vsmem_tEENKUlT_SG_SH_SI_E_clIS7_S7_SB_PlEESF_SV_SG_SH_SI_EUlSV_E1_NS1_11comp_targetILNS1_3genE3ELNS1_11target_archE908ELNS1_3gpuE7ELNS1_3repE0EEENS1_36merge_oddeven_config_static_selectorELNS0_4arch9wavefront6targetE1EEEvSH_.private_seg_size, 0
	.set _ZN7rocprim17ROCPRIM_400000_NS6detail17trampoline_kernelINS0_14default_configENS1_38merge_sort_block_merge_config_selectorIhlEEZZNS1_27merge_sort_block_merge_implIS3_PhN6thrust23THRUST_200600_302600_NS10device_ptrIlEEjNS1_19radix_merge_compareILb0ELb0EhNS0_19identity_decomposerEEEEE10hipError_tT0_T1_T2_jT3_P12ihipStream_tbPNSt15iterator_traitsISG_E10value_typeEPNSM_ISH_E10value_typeEPSI_NS1_7vsmem_tEENKUlT_SG_SH_SI_E_clIS7_S7_SB_PlEESF_SV_SG_SH_SI_EUlSV_E1_NS1_11comp_targetILNS1_3genE3ELNS1_11target_archE908ELNS1_3gpuE7ELNS1_3repE0EEENS1_36merge_oddeven_config_static_selectorELNS0_4arch9wavefront6targetE1EEEvSH_.uses_vcc, 0
	.set _ZN7rocprim17ROCPRIM_400000_NS6detail17trampoline_kernelINS0_14default_configENS1_38merge_sort_block_merge_config_selectorIhlEEZZNS1_27merge_sort_block_merge_implIS3_PhN6thrust23THRUST_200600_302600_NS10device_ptrIlEEjNS1_19radix_merge_compareILb0ELb0EhNS0_19identity_decomposerEEEEE10hipError_tT0_T1_T2_jT3_P12ihipStream_tbPNSt15iterator_traitsISG_E10value_typeEPNSM_ISH_E10value_typeEPSI_NS1_7vsmem_tEENKUlT_SG_SH_SI_E_clIS7_S7_SB_PlEESF_SV_SG_SH_SI_EUlSV_E1_NS1_11comp_targetILNS1_3genE3ELNS1_11target_archE908ELNS1_3gpuE7ELNS1_3repE0EEENS1_36merge_oddeven_config_static_selectorELNS0_4arch9wavefront6targetE1EEEvSH_.uses_flat_scratch, 0
	.set _ZN7rocprim17ROCPRIM_400000_NS6detail17trampoline_kernelINS0_14default_configENS1_38merge_sort_block_merge_config_selectorIhlEEZZNS1_27merge_sort_block_merge_implIS3_PhN6thrust23THRUST_200600_302600_NS10device_ptrIlEEjNS1_19radix_merge_compareILb0ELb0EhNS0_19identity_decomposerEEEEE10hipError_tT0_T1_T2_jT3_P12ihipStream_tbPNSt15iterator_traitsISG_E10value_typeEPNSM_ISH_E10value_typeEPSI_NS1_7vsmem_tEENKUlT_SG_SH_SI_E_clIS7_S7_SB_PlEESF_SV_SG_SH_SI_EUlSV_E1_NS1_11comp_targetILNS1_3genE3ELNS1_11target_archE908ELNS1_3gpuE7ELNS1_3repE0EEENS1_36merge_oddeven_config_static_selectorELNS0_4arch9wavefront6targetE1EEEvSH_.has_dyn_sized_stack, 0
	.set _ZN7rocprim17ROCPRIM_400000_NS6detail17trampoline_kernelINS0_14default_configENS1_38merge_sort_block_merge_config_selectorIhlEEZZNS1_27merge_sort_block_merge_implIS3_PhN6thrust23THRUST_200600_302600_NS10device_ptrIlEEjNS1_19radix_merge_compareILb0ELb0EhNS0_19identity_decomposerEEEEE10hipError_tT0_T1_T2_jT3_P12ihipStream_tbPNSt15iterator_traitsISG_E10value_typeEPNSM_ISH_E10value_typeEPSI_NS1_7vsmem_tEENKUlT_SG_SH_SI_E_clIS7_S7_SB_PlEESF_SV_SG_SH_SI_EUlSV_E1_NS1_11comp_targetILNS1_3genE3ELNS1_11target_archE908ELNS1_3gpuE7ELNS1_3repE0EEENS1_36merge_oddeven_config_static_selectorELNS0_4arch9wavefront6targetE1EEEvSH_.has_recursion, 0
	.set _ZN7rocprim17ROCPRIM_400000_NS6detail17trampoline_kernelINS0_14default_configENS1_38merge_sort_block_merge_config_selectorIhlEEZZNS1_27merge_sort_block_merge_implIS3_PhN6thrust23THRUST_200600_302600_NS10device_ptrIlEEjNS1_19radix_merge_compareILb0ELb0EhNS0_19identity_decomposerEEEEE10hipError_tT0_T1_T2_jT3_P12ihipStream_tbPNSt15iterator_traitsISG_E10value_typeEPNSM_ISH_E10value_typeEPSI_NS1_7vsmem_tEENKUlT_SG_SH_SI_E_clIS7_S7_SB_PlEESF_SV_SG_SH_SI_EUlSV_E1_NS1_11comp_targetILNS1_3genE3ELNS1_11target_archE908ELNS1_3gpuE7ELNS1_3repE0EEENS1_36merge_oddeven_config_static_selectorELNS0_4arch9wavefront6targetE1EEEvSH_.has_indirect_call, 0
	.section	.AMDGPU.csdata,"",@progbits
; Kernel info:
; codeLenInByte = 0
; TotalNumSgprs: 4
; NumVgprs: 0
; ScratchSize: 0
; MemoryBound: 0
; FloatMode: 240
; IeeeMode: 1
; LDSByteSize: 0 bytes/workgroup (compile time only)
; SGPRBlocks: 0
; VGPRBlocks: 0
; NumSGPRsForWavesPerEU: 4
; NumVGPRsForWavesPerEU: 1
; Occupancy: 10
; WaveLimiterHint : 0
; COMPUTE_PGM_RSRC2:SCRATCH_EN: 0
; COMPUTE_PGM_RSRC2:USER_SGPR: 6
; COMPUTE_PGM_RSRC2:TRAP_HANDLER: 0
; COMPUTE_PGM_RSRC2:TGID_X_EN: 1
; COMPUTE_PGM_RSRC2:TGID_Y_EN: 0
; COMPUTE_PGM_RSRC2:TGID_Z_EN: 0
; COMPUTE_PGM_RSRC2:TIDIG_COMP_CNT: 0
	.section	.text._ZN7rocprim17ROCPRIM_400000_NS6detail17trampoline_kernelINS0_14default_configENS1_38merge_sort_block_merge_config_selectorIhlEEZZNS1_27merge_sort_block_merge_implIS3_PhN6thrust23THRUST_200600_302600_NS10device_ptrIlEEjNS1_19radix_merge_compareILb0ELb0EhNS0_19identity_decomposerEEEEE10hipError_tT0_T1_T2_jT3_P12ihipStream_tbPNSt15iterator_traitsISG_E10value_typeEPNSM_ISH_E10value_typeEPSI_NS1_7vsmem_tEENKUlT_SG_SH_SI_E_clIS7_S7_SB_PlEESF_SV_SG_SH_SI_EUlSV_E1_NS1_11comp_targetILNS1_3genE2ELNS1_11target_archE906ELNS1_3gpuE6ELNS1_3repE0EEENS1_36merge_oddeven_config_static_selectorELNS0_4arch9wavefront6targetE1EEEvSH_,"axG",@progbits,_ZN7rocprim17ROCPRIM_400000_NS6detail17trampoline_kernelINS0_14default_configENS1_38merge_sort_block_merge_config_selectorIhlEEZZNS1_27merge_sort_block_merge_implIS3_PhN6thrust23THRUST_200600_302600_NS10device_ptrIlEEjNS1_19radix_merge_compareILb0ELb0EhNS0_19identity_decomposerEEEEE10hipError_tT0_T1_T2_jT3_P12ihipStream_tbPNSt15iterator_traitsISG_E10value_typeEPNSM_ISH_E10value_typeEPSI_NS1_7vsmem_tEENKUlT_SG_SH_SI_E_clIS7_S7_SB_PlEESF_SV_SG_SH_SI_EUlSV_E1_NS1_11comp_targetILNS1_3genE2ELNS1_11target_archE906ELNS1_3gpuE6ELNS1_3repE0EEENS1_36merge_oddeven_config_static_selectorELNS0_4arch9wavefront6targetE1EEEvSH_,comdat
	.protected	_ZN7rocprim17ROCPRIM_400000_NS6detail17trampoline_kernelINS0_14default_configENS1_38merge_sort_block_merge_config_selectorIhlEEZZNS1_27merge_sort_block_merge_implIS3_PhN6thrust23THRUST_200600_302600_NS10device_ptrIlEEjNS1_19radix_merge_compareILb0ELb0EhNS0_19identity_decomposerEEEEE10hipError_tT0_T1_T2_jT3_P12ihipStream_tbPNSt15iterator_traitsISG_E10value_typeEPNSM_ISH_E10value_typeEPSI_NS1_7vsmem_tEENKUlT_SG_SH_SI_E_clIS7_S7_SB_PlEESF_SV_SG_SH_SI_EUlSV_E1_NS1_11comp_targetILNS1_3genE2ELNS1_11target_archE906ELNS1_3gpuE6ELNS1_3repE0EEENS1_36merge_oddeven_config_static_selectorELNS0_4arch9wavefront6targetE1EEEvSH_ ; -- Begin function _ZN7rocprim17ROCPRIM_400000_NS6detail17trampoline_kernelINS0_14default_configENS1_38merge_sort_block_merge_config_selectorIhlEEZZNS1_27merge_sort_block_merge_implIS3_PhN6thrust23THRUST_200600_302600_NS10device_ptrIlEEjNS1_19radix_merge_compareILb0ELb0EhNS0_19identity_decomposerEEEEE10hipError_tT0_T1_T2_jT3_P12ihipStream_tbPNSt15iterator_traitsISG_E10value_typeEPNSM_ISH_E10value_typeEPSI_NS1_7vsmem_tEENKUlT_SG_SH_SI_E_clIS7_S7_SB_PlEESF_SV_SG_SH_SI_EUlSV_E1_NS1_11comp_targetILNS1_3genE2ELNS1_11target_archE906ELNS1_3gpuE6ELNS1_3repE0EEENS1_36merge_oddeven_config_static_selectorELNS0_4arch9wavefront6targetE1EEEvSH_
	.globl	_ZN7rocprim17ROCPRIM_400000_NS6detail17trampoline_kernelINS0_14default_configENS1_38merge_sort_block_merge_config_selectorIhlEEZZNS1_27merge_sort_block_merge_implIS3_PhN6thrust23THRUST_200600_302600_NS10device_ptrIlEEjNS1_19radix_merge_compareILb0ELb0EhNS0_19identity_decomposerEEEEE10hipError_tT0_T1_T2_jT3_P12ihipStream_tbPNSt15iterator_traitsISG_E10value_typeEPNSM_ISH_E10value_typeEPSI_NS1_7vsmem_tEENKUlT_SG_SH_SI_E_clIS7_S7_SB_PlEESF_SV_SG_SH_SI_EUlSV_E1_NS1_11comp_targetILNS1_3genE2ELNS1_11target_archE906ELNS1_3gpuE6ELNS1_3repE0EEENS1_36merge_oddeven_config_static_selectorELNS0_4arch9wavefront6targetE1EEEvSH_
	.p2align	8
	.type	_ZN7rocprim17ROCPRIM_400000_NS6detail17trampoline_kernelINS0_14default_configENS1_38merge_sort_block_merge_config_selectorIhlEEZZNS1_27merge_sort_block_merge_implIS3_PhN6thrust23THRUST_200600_302600_NS10device_ptrIlEEjNS1_19radix_merge_compareILb0ELb0EhNS0_19identity_decomposerEEEEE10hipError_tT0_T1_T2_jT3_P12ihipStream_tbPNSt15iterator_traitsISG_E10value_typeEPNSM_ISH_E10value_typeEPSI_NS1_7vsmem_tEENKUlT_SG_SH_SI_E_clIS7_S7_SB_PlEESF_SV_SG_SH_SI_EUlSV_E1_NS1_11comp_targetILNS1_3genE2ELNS1_11target_archE906ELNS1_3gpuE6ELNS1_3repE0EEENS1_36merge_oddeven_config_static_selectorELNS0_4arch9wavefront6targetE1EEEvSH_,@function
_ZN7rocprim17ROCPRIM_400000_NS6detail17trampoline_kernelINS0_14default_configENS1_38merge_sort_block_merge_config_selectorIhlEEZZNS1_27merge_sort_block_merge_implIS3_PhN6thrust23THRUST_200600_302600_NS10device_ptrIlEEjNS1_19radix_merge_compareILb0ELb0EhNS0_19identity_decomposerEEEEE10hipError_tT0_T1_T2_jT3_P12ihipStream_tbPNSt15iterator_traitsISG_E10value_typeEPNSM_ISH_E10value_typeEPSI_NS1_7vsmem_tEENKUlT_SG_SH_SI_E_clIS7_S7_SB_PlEESF_SV_SG_SH_SI_EUlSV_E1_NS1_11comp_targetILNS1_3genE2ELNS1_11target_archE906ELNS1_3gpuE6ELNS1_3repE0EEENS1_36merge_oddeven_config_static_selectorELNS0_4arch9wavefront6targetE1EEEvSH_: ; @_ZN7rocprim17ROCPRIM_400000_NS6detail17trampoline_kernelINS0_14default_configENS1_38merge_sort_block_merge_config_selectorIhlEEZZNS1_27merge_sort_block_merge_implIS3_PhN6thrust23THRUST_200600_302600_NS10device_ptrIlEEjNS1_19radix_merge_compareILb0ELb0EhNS0_19identity_decomposerEEEEE10hipError_tT0_T1_T2_jT3_P12ihipStream_tbPNSt15iterator_traitsISG_E10value_typeEPNSM_ISH_E10value_typeEPSI_NS1_7vsmem_tEENKUlT_SG_SH_SI_E_clIS7_S7_SB_PlEESF_SV_SG_SH_SI_EUlSV_E1_NS1_11comp_targetILNS1_3genE2ELNS1_11target_archE906ELNS1_3gpuE6ELNS1_3repE0EEENS1_36merge_oddeven_config_static_selectorELNS0_4arch9wavefront6targetE1EEEvSH_
; %bb.0:
	s_load_dword s7, s[4:5], 0x20
	s_waitcnt lgkmcnt(0)
	s_lshr_b32 s0, s7, 8
	s_cmp_eq_u32 s6, s0
	s_cselect_b64 s[16:17], -1, 0
	s_cmp_lg_u32 s6, s0
	s_cselect_b64 s[0:1], -1, 0
	s_lshl_b32 s18, s6, 8
	s_sub_i32 s2, s7, s18
	v_cmp_gt_u32_e64 s[2:3], s2, v0
	s_or_b64 s[0:1], s[0:1], s[2:3]
	s_and_saveexec_b64 s[8:9], s[0:1]
	s_cbranch_execz .LBB169_24
; %bb.1:
	s_load_dwordx8 s[8:15], s[4:5], 0x0
	s_mov_b32 s19, 0
	v_lshlrev_b32_e32 v3, 3, v0
	s_waitcnt lgkmcnt(0)
	s_add_u32 s0, s8, s18
	s_addc_u32 s1, s9, 0
	s_lshl_b64 s[20:21], s[18:19], 3
	s_add_u32 s12, s12, s20
	s_addc_u32 s13, s13, s21
	global_load_dwordx2 v[1:2], v3, s[12:13]
	global_load_ubyte v5, v0, s[0:1]
	s_load_dword s13, s[4:5], 0x24
	v_add_u32_e32 v3, s18, v0
	s_waitcnt lgkmcnt(0)
	s_lshr_b32 s0, s13, 8
	s_sub_i32 s1, 0, s0
	s_and_b32 s1, s6, s1
	s_and_b32 s0, s1, s0
	s_lshl_b32 s19, s1, 8
	s_sub_i32 s6, 0, s13
	s_cmp_eq_u32 s0, 0
	s_cselect_b64 s[0:1], -1, 0
	s_and_b64 s[4:5], s[0:1], exec
	s_cselect_b32 s6, s13, s6
	s_add_i32 s6, s6, s19
	s_mov_b64 s[4:5], -1
	s_cmp_gt_u32 s7, s6
	s_cbranch_scc1 .LBB169_9
; %bb.2:
	s_and_b64 vcc, exec, s[16:17]
	s_cbranch_vccz .LBB169_6
; %bb.3:
	v_cmp_gt_u32_e32 vcc, s7, v3
	s_and_saveexec_b64 s[4:5], vcc
	s_cbranch_execz .LBB169_5
; %bb.4:
	v_mov_b32_e32 v4, 0
	v_lshlrev_b64 v[6:7], 3, v[3:4]
	v_mov_b32_e32 v0, s15
	v_add_co_u32_e32 v6, vcc, s14, v6
	v_addc_co_u32_e32 v7, vcc, v0, v7, vcc
	s_waitcnt vmcnt(0)
	global_store_byte v3, v5, s[10:11]
	global_store_dwordx2 v[6:7], v[1:2], off
.LBB169_5:
	s_or_b64 exec, exec, s[4:5]
	s_mov_b64 s[4:5], 0
.LBB169_6:
	s_andn2_b64 vcc, exec, s[4:5]
	s_cbranch_vccnz .LBB169_8
; %bb.7:
	v_mov_b32_e32 v4, 0
	v_lshlrev_b64 v[6:7], 3, v[3:4]
	v_mov_b32_e32 v0, s15
	v_add_co_u32_e32 v6, vcc, s14, v6
	v_addc_co_u32_e32 v7, vcc, v0, v7, vcc
	s_waitcnt vmcnt(0)
	global_store_byte v3, v5, s[10:11]
	global_store_dwordx2 v[6:7], v[1:2], off
.LBB169_8:
	s_mov_b64 s[4:5], 0
.LBB169_9:
	s_andn2_b64 vcc, exec, s[4:5]
	s_cbranch_vccnz .LBB169_24
; %bb.10:
	s_min_u32 s12, s6, s7
	s_add_i32 s4, s12, s13
	s_min_u32 s7, s4, s7
	s_min_u32 s4, s19, s12
	s_add_i32 s19, s19, s12
	v_subrev_u32_e32 v0, s19, v3
	v_add_u32_e32 v0, s4, v0
	s_andn2_b64 vcc, exec, s[16:17]
	s_mov_b64 s[4:5], -1
	s_cbranch_vccnz .LBB169_18
; %bb.11:
	s_and_saveexec_b64 s[4:5], s[2:3]
	s_cbranch_execz .LBB169_17
; %bb.12:
	s_cmp_ge_u32 s6, s7
	v_mov_b32_e32 v3, s12
	s_cbranch_scc1 .LBB169_16
; %bb.13:
	s_mov_b64 s[2:3], 0
	v_mov_b32_e32 v4, s7
	v_mov_b32_e32 v3, s12
.LBB169_14:                             ; =>This Inner Loop Header: Depth=1
	v_add_u32_e32 v6, v3, v4
	v_lshrrev_b32_e32 v6, 1, v6
	global_load_ubyte v7, v6, s[8:9]
	v_add_u32_e32 v8, 1, v6
	s_waitcnt vmcnt(0)
	v_cmp_gt_u16_sdwa s[16:17], v5, v7 src0_sel:BYTE_0 src1_sel:DWORD
	v_cndmask_b32_e64 v9, 0, 1, s[16:17]
	v_cmp_le_u16_sdwa s[16:17], v7, v5 src0_sel:DWORD src1_sel:BYTE_0
	v_cndmask_b32_e64 v7, 0, 1, s[16:17]
	v_cndmask_b32_e64 v7, v7, v9, s[0:1]
	v_and_b32_e32 v7, 1, v7
	v_cmp_eq_u32_e32 vcc, 1, v7
	v_cndmask_b32_e32 v4, v6, v4, vcc
	v_cndmask_b32_e32 v3, v3, v8, vcc
	v_cmp_ge_u32_e32 vcc, v3, v4
	s_or_b64 s[2:3], vcc, s[2:3]
	s_andn2_b64 exec, exec, s[2:3]
	s_cbranch_execnz .LBB169_14
; %bb.15:
	s_or_b64 exec, exec, s[2:3]
.LBB169_16:
	v_add_u32_e32 v3, v3, v0
	v_mov_b32_e32 v4, 0
	s_waitcnt vmcnt(0)
	global_store_byte v3, v5, s[10:11]
	v_lshlrev_b64 v[3:4], 3, v[3:4]
	v_mov_b32_e32 v6, s15
	v_add_co_u32_e32 v3, vcc, s14, v3
	v_addc_co_u32_e32 v4, vcc, v6, v4, vcc
	global_store_dwordx2 v[3:4], v[1:2], off
.LBB169_17:
	s_or_b64 exec, exec, s[4:5]
	s_mov_b64 s[4:5], 0
.LBB169_18:
	s_andn2_b64 vcc, exec, s[4:5]
	s_cbranch_vccnz .LBB169_24
; %bb.19:
	s_cmp_ge_u32 s6, s7
	v_mov_b32_e32 v3, s12
	s_cbranch_scc1 .LBB169_23
; %bb.20:
	s_mov_b64 s[2:3], 0
	v_mov_b32_e32 v4, s7
	v_mov_b32_e32 v3, s12
.LBB169_21:                             ; =>This Inner Loop Header: Depth=1
	v_add_u32_e32 v6, v3, v4
	v_lshrrev_b32_e32 v6, 1, v6
	global_load_ubyte v7, v6, s[8:9]
	v_add_u32_e32 v8, 1, v6
	s_waitcnt vmcnt(0)
	v_cmp_gt_u16_sdwa s[4:5], v5, v7 src0_sel:BYTE_0 src1_sel:DWORD
	v_cndmask_b32_e64 v9, 0, 1, s[4:5]
	v_cmp_le_u16_sdwa s[4:5], v7, v5 src0_sel:DWORD src1_sel:BYTE_0
	v_cndmask_b32_e64 v7, 0, 1, s[4:5]
	v_cndmask_b32_e64 v7, v7, v9, s[0:1]
	v_and_b32_e32 v7, 1, v7
	v_cmp_eq_u32_e32 vcc, 1, v7
	v_cndmask_b32_e32 v4, v6, v4, vcc
	v_cndmask_b32_e32 v3, v3, v8, vcc
	v_cmp_ge_u32_e32 vcc, v3, v4
	s_or_b64 s[2:3], vcc, s[2:3]
	s_andn2_b64 exec, exec, s[2:3]
	s_cbranch_execnz .LBB169_21
; %bb.22:
	s_or_b64 exec, exec, s[2:3]
.LBB169_23:
	v_add_u32_e32 v3, v3, v0
	v_mov_b32_e32 v4, 0
	s_waitcnt vmcnt(0)
	global_store_byte v3, v5, s[10:11]
	v_lshlrev_b64 v[3:4], 3, v[3:4]
	v_mov_b32_e32 v0, s15
	v_add_co_u32_e32 v3, vcc, s14, v3
	v_addc_co_u32_e32 v4, vcc, v0, v4, vcc
	global_store_dwordx2 v[3:4], v[1:2], off
.LBB169_24:
	s_endpgm
	.section	.rodata,"a",@progbits
	.p2align	6, 0x0
	.amdhsa_kernel _ZN7rocprim17ROCPRIM_400000_NS6detail17trampoline_kernelINS0_14default_configENS1_38merge_sort_block_merge_config_selectorIhlEEZZNS1_27merge_sort_block_merge_implIS3_PhN6thrust23THRUST_200600_302600_NS10device_ptrIlEEjNS1_19radix_merge_compareILb0ELb0EhNS0_19identity_decomposerEEEEE10hipError_tT0_T1_T2_jT3_P12ihipStream_tbPNSt15iterator_traitsISG_E10value_typeEPNSM_ISH_E10value_typeEPSI_NS1_7vsmem_tEENKUlT_SG_SH_SI_E_clIS7_S7_SB_PlEESF_SV_SG_SH_SI_EUlSV_E1_NS1_11comp_targetILNS1_3genE2ELNS1_11target_archE906ELNS1_3gpuE6ELNS1_3repE0EEENS1_36merge_oddeven_config_static_selectorELNS0_4arch9wavefront6targetE1EEEvSH_
		.amdhsa_group_segment_fixed_size 0
		.amdhsa_private_segment_fixed_size 0
		.amdhsa_kernarg_size 48
		.amdhsa_user_sgpr_count 6
		.amdhsa_user_sgpr_private_segment_buffer 1
		.amdhsa_user_sgpr_dispatch_ptr 0
		.amdhsa_user_sgpr_queue_ptr 0
		.amdhsa_user_sgpr_kernarg_segment_ptr 1
		.amdhsa_user_sgpr_dispatch_id 0
		.amdhsa_user_sgpr_flat_scratch_init 0
		.amdhsa_user_sgpr_private_segment_size 0
		.amdhsa_uses_dynamic_stack 0
		.amdhsa_system_sgpr_private_segment_wavefront_offset 0
		.amdhsa_system_sgpr_workgroup_id_x 1
		.amdhsa_system_sgpr_workgroup_id_y 0
		.amdhsa_system_sgpr_workgroup_id_z 0
		.amdhsa_system_sgpr_workgroup_info 0
		.amdhsa_system_vgpr_workitem_id 0
		.amdhsa_next_free_vgpr 10
		.amdhsa_next_free_sgpr 22
		.amdhsa_reserve_vcc 1
		.amdhsa_reserve_flat_scratch 0
		.amdhsa_float_round_mode_32 0
		.amdhsa_float_round_mode_16_64 0
		.amdhsa_float_denorm_mode_32 3
		.amdhsa_float_denorm_mode_16_64 3
		.amdhsa_dx10_clamp 1
		.amdhsa_ieee_mode 1
		.amdhsa_fp16_overflow 0
		.amdhsa_exception_fp_ieee_invalid_op 0
		.amdhsa_exception_fp_denorm_src 0
		.amdhsa_exception_fp_ieee_div_zero 0
		.amdhsa_exception_fp_ieee_overflow 0
		.amdhsa_exception_fp_ieee_underflow 0
		.amdhsa_exception_fp_ieee_inexact 0
		.amdhsa_exception_int_div_zero 0
	.end_amdhsa_kernel
	.section	.text._ZN7rocprim17ROCPRIM_400000_NS6detail17trampoline_kernelINS0_14default_configENS1_38merge_sort_block_merge_config_selectorIhlEEZZNS1_27merge_sort_block_merge_implIS3_PhN6thrust23THRUST_200600_302600_NS10device_ptrIlEEjNS1_19radix_merge_compareILb0ELb0EhNS0_19identity_decomposerEEEEE10hipError_tT0_T1_T2_jT3_P12ihipStream_tbPNSt15iterator_traitsISG_E10value_typeEPNSM_ISH_E10value_typeEPSI_NS1_7vsmem_tEENKUlT_SG_SH_SI_E_clIS7_S7_SB_PlEESF_SV_SG_SH_SI_EUlSV_E1_NS1_11comp_targetILNS1_3genE2ELNS1_11target_archE906ELNS1_3gpuE6ELNS1_3repE0EEENS1_36merge_oddeven_config_static_selectorELNS0_4arch9wavefront6targetE1EEEvSH_,"axG",@progbits,_ZN7rocprim17ROCPRIM_400000_NS6detail17trampoline_kernelINS0_14default_configENS1_38merge_sort_block_merge_config_selectorIhlEEZZNS1_27merge_sort_block_merge_implIS3_PhN6thrust23THRUST_200600_302600_NS10device_ptrIlEEjNS1_19radix_merge_compareILb0ELb0EhNS0_19identity_decomposerEEEEE10hipError_tT0_T1_T2_jT3_P12ihipStream_tbPNSt15iterator_traitsISG_E10value_typeEPNSM_ISH_E10value_typeEPSI_NS1_7vsmem_tEENKUlT_SG_SH_SI_E_clIS7_S7_SB_PlEESF_SV_SG_SH_SI_EUlSV_E1_NS1_11comp_targetILNS1_3genE2ELNS1_11target_archE906ELNS1_3gpuE6ELNS1_3repE0EEENS1_36merge_oddeven_config_static_selectorELNS0_4arch9wavefront6targetE1EEEvSH_,comdat
.Lfunc_end169:
	.size	_ZN7rocprim17ROCPRIM_400000_NS6detail17trampoline_kernelINS0_14default_configENS1_38merge_sort_block_merge_config_selectorIhlEEZZNS1_27merge_sort_block_merge_implIS3_PhN6thrust23THRUST_200600_302600_NS10device_ptrIlEEjNS1_19radix_merge_compareILb0ELb0EhNS0_19identity_decomposerEEEEE10hipError_tT0_T1_T2_jT3_P12ihipStream_tbPNSt15iterator_traitsISG_E10value_typeEPNSM_ISH_E10value_typeEPSI_NS1_7vsmem_tEENKUlT_SG_SH_SI_E_clIS7_S7_SB_PlEESF_SV_SG_SH_SI_EUlSV_E1_NS1_11comp_targetILNS1_3genE2ELNS1_11target_archE906ELNS1_3gpuE6ELNS1_3repE0EEENS1_36merge_oddeven_config_static_selectorELNS0_4arch9wavefront6targetE1EEEvSH_, .Lfunc_end169-_ZN7rocprim17ROCPRIM_400000_NS6detail17trampoline_kernelINS0_14default_configENS1_38merge_sort_block_merge_config_selectorIhlEEZZNS1_27merge_sort_block_merge_implIS3_PhN6thrust23THRUST_200600_302600_NS10device_ptrIlEEjNS1_19radix_merge_compareILb0ELb0EhNS0_19identity_decomposerEEEEE10hipError_tT0_T1_T2_jT3_P12ihipStream_tbPNSt15iterator_traitsISG_E10value_typeEPNSM_ISH_E10value_typeEPSI_NS1_7vsmem_tEENKUlT_SG_SH_SI_E_clIS7_S7_SB_PlEESF_SV_SG_SH_SI_EUlSV_E1_NS1_11comp_targetILNS1_3genE2ELNS1_11target_archE906ELNS1_3gpuE6ELNS1_3repE0EEENS1_36merge_oddeven_config_static_selectorELNS0_4arch9wavefront6targetE1EEEvSH_
                                        ; -- End function
	.set _ZN7rocprim17ROCPRIM_400000_NS6detail17trampoline_kernelINS0_14default_configENS1_38merge_sort_block_merge_config_selectorIhlEEZZNS1_27merge_sort_block_merge_implIS3_PhN6thrust23THRUST_200600_302600_NS10device_ptrIlEEjNS1_19radix_merge_compareILb0ELb0EhNS0_19identity_decomposerEEEEE10hipError_tT0_T1_T2_jT3_P12ihipStream_tbPNSt15iterator_traitsISG_E10value_typeEPNSM_ISH_E10value_typeEPSI_NS1_7vsmem_tEENKUlT_SG_SH_SI_E_clIS7_S7_SB_PlEESF_SV_SG_SH_SI_EUlSV_E1_NS1_11comp_targetILNS1_3genE2ELNS1_11target_archE906ELNS1_3gpuE6ELNS1_3repE0EEENS1_36merge_oddeven_config_static_selectorELNS0_4arch9wavefront6targetE1EEEvSH_.num_vgpr, 10
	.set _ZN7rocprim17ROCPRIM_400000_NS6detail17trampoline_kernelINS0_14default_configENS1_38merge_sort_block_merge_config_selectorIhlEEZZNS1_27merge_sort_block_merge_implIS3_PhN6thrust23THRUST_200600_302600_NS10device_ptrIlEEjNS1_19radix_merge_compareILb0ELb0EhNS0_19identity_decomposerEEEEE10hipError_tT0_T1_T2_jT3_P12ihipStream_tbPNSt15iterator_traitsISG_E10value_typeEPNSM_ISH_E10value_typeEPSI_NS1_7vsmem_tEENKUlT_SG_SH_SI_E_clIS7_S7_SB_PlEESF_SV_SG_SH_SI_EUlSV_E1_NS1_11comp_targetILNS1_3genE2ELNS1_11target_archE906ELNS1_3gpuE6ELNS1_3repE0EEENS1_36merge_oddeven_config_static_selectorELNS0_4arch9wavefront6targetE1EEEvSH_.num_agpr, 0
	.set _ZN7rocprim17ROCPRIM_400000_NS6detail17trampoline_kernelINS0_14default_configENS1_38merge_sort_block_merge_config_selectorIhlEEZZNS1_27merge_sort_block_merge_implIS3_PhN6thrust23THRUST_200600_302600_NS10device_ptrIlEEjNS1_19radix_merge_compareILb0ELb0EhNS0_19identity_decomposerEEEEE10hipError_tT0_T1_T2_jT3_P12ihipStream_tbPNSt15iterator_traitsISG_E10value_typeEPNSM_ISH_E10value_typeEPSI_NS1_7vsmem_tEENKUlT_SG_SH_SI_E_clIS7_S7_SB_PlEESF_SV_SG_SH_SI_EUlSV_E1_NS1_11comp_targetILNS1_3genE2ELNS1_11target_archE906ELNS1_3gpuE6ELNS1_3repE0EEENS1_36merge_oddeven_config_static_selectorELNS0_4arch9wavefront6targetE1EEEvSH_.numbered_sgpr, 22
	.set _ZN7rocprim17ROCPRIM_400000_NS6detail17trampoline_kernelINS0_14default_configENS1_38merge_sort_block_merge_config_selectorIhlEEZZNS1_27merge_sort_block_merge_implIS3_PhN6thrust23THRUST_200600_302600_NS10device_ptrIlEEjNS1_19radix_merge_compareILb0ELb0EhNS0_19identity_decomposerEEEEE10hipError_tT0_T1_T2_jT3_P12ihipStream_tbPNSt15iterator_traitsISG_E10value_typeEPNSM_ISH_E10value_typeEPSI_NS1_7vsmem_tEENKUlT_SG_SH_SI_E_clIS7_S7_SB_PlEESF_SV_SG_SH_SI_EUlSV_E1_NS1_11comp_targetILNS1_3genE2ELNS1_11target_archE906ELNS1_3gpuE6ELNS1_3repE0EEENS1_36merge_oddeven_config_static_selectorELNS0_4arch9wavefront6targetE1EEEvSH_.num_named_barrier, 0
	.set _ZN7rocprim17ROCPRIM_400000_NS6detail17trampoline_kernelINS0_14default_configENS1_38merge_sort_block_merge_config_selectorIhlEEZZNS1_27merge_sort_block_merge_implIS3_PhN6thrust23THRUST_200600_302600_NS10device_ptrIlEEjNS1_19radix_merge_compareILb0ELb0EhNS0_19identity_decomposerEEEEE10hipError_tT0_T1_T2_jT3_P12ihipStream_tbPNSt15iterator_traitsISG_E10value_typeEPNSM_ISH_E10value_typeEPSI_NS1_7vsmem_tEENKUlT_SG_SH_SI_E_clIS7_S7_SB_PlEESF_SV_SG_SH_SI_EUlSV_E1_NS1_11comp_targetILNS1_3genE2ELNS1_11target_archE906ELNS1_3gpuE6ELNS1_3repE0EEENS1_36merge_oddeven_config_static_selectorELNS0_4arch9wavefront6targetE1EEEvSH_.private_seg_size, 0
	.set _ZN7rocprim17ROCPRIM_400000_NS6detail17trampoline_kernelINS0_14default_configENS1_38merge_sort_block_merge_config_selectorIhlEEZZNS1_27merge_sort_block_merge_implIS3_PhN6thrust23THRUST_200600_302600_NS10device_ptrIlEEjNS1_19radix_merge_compareILb0ELb0EhNS0_19identity_decomposerEEEEE10hipError_tT0_T1_T2_jT3_P12ihipStream_tbPNSt15iterator_traitsISG_E10value_typeEPNSM_ISH_E10value_typeEPSI_NS1_7vsmem_tEENKUlT_SG_SH_SI_E_clIS7_S7_SB_PlEESF_SV_SG_SH_SI_EUlSV_E1_NS1_11comp_targetILNS1_3genE2ELNS1_11target_archE906ELNS1_3gpuE6ELNS1_3repE0EEENS1_36merge_oddeven_config_static_selectorELNS0_4arch9wavefront6targetE1EEEvSH_.uses_vcc, 1
	.set _ZN7rocprim17ROCPRIM_400000_NS6detail17trampoline_kernelINS0_14default_configENS1_38merge_sort_block_merge_config_selectorIhlEEZZNS1_27merge_sort_block_merge_implIS3_PhN6thrust23THRUST_200600_302600_NS10device_ptrIlEEjNS1_19radix_merge_compareILb0ELb0EhNS0_19identity_decomposerEEEEE10hipError_tT0_T1_T2_jT3_P12ihipStream_tbPNSt15iterator_traitsISG_E10value_typeEPNSM_ISH_E10value_typeEPSI_NS1_7vsmem_tEENKUlT_SG_SH_SI_E_clIS7_S7_SB_PlEESF_SV_SG_SH_SI_EUlSV_E1_NS1_11comp_targetILNS1_3genE2ELNS1_11target_archE906ELNS1_3gpuE6ELNS1_3repE0EEENS1_36merge_oddeven_config_static_selectorELNS0_4arch9wavefront6targetE1EEEvSH_.uses_flat_scratch, 0
	.set _ZN7rocprim17ROCPRIM_400000_NS6detail17trampoline_kernelINS0_14default_configENS1_38merge_sort_block_merge_config_selectorIhlEEZZNS1_27merge_sort_block_merge_implIS3_PhN6thrust23THRUST_200600_302600_NS10device_ptrIlEEjNS1_19radix_merge_compareILb0ELb0EhNS0_19identity_decomposerEEEEE10hipError_tT0_T1_T2_jT3_P12ihipStream_tbPNSt15iterator_traitsISG_E10value_typeEPNSM_ISH_E10value_typeEPSI_NS1_7vsmem_tEENKUlT_SG_SH_SI_E_clIS7_S7_SB_PlEESF_SV_SG_SH_SI_EUlSV_E1_NS1_11comp_targetILNS1_3genE2ELNS1_11target_archE906ELNS1_3gpuE6ELNS1_3repE0EEENS1_36merge_oddeven_config_static_selectorELNS0_4arch9wavefront6targetE1EEEvSH_.has_dyn_sized_stack, 0
	.set _ZN7rocprim17ROCPRIM_400000_NS6detail17trampoline_kernelINS0_14default_configENS1_38merge_sort_block_merge_config_selectorIhlEEZZNS1_27merge_sort_block_merge_implIS3_PhN6thrust23THRUST_200600_302600_NS10device_ptrIlEEjNS1_19radix_merge_compareILb0ELb0EhNS0_19identity_decomposerEEEEE10hipError_tT0_T1_T2_jT3_P12ihipStream_tbPNSt15iterator_traitsISG_E10value_typeEPNSM_ISH_E10value_typeEPSI_NS1_7vsmem_tEENKUlT_SG_SH_SI_E_clIS7_S7_SB_PlEESF_SV_SG_SH_SI_EUlSV_E1_NS1_11comp_targetILNS1_3genE2ELNS1_11target_archE906ELNS1_3gpuE6ELNS1_3repE0EEENS1_36merge_oddeven_config_static_selectorELNS0_4arch9wavefront6targetE1EEEvSH_.has_recursion, 0
	.set _ZN7rocprim17ROCPRIM_400000_NS6detail17trampoline_kernelINS0_14default_configENS1_38merge_sort_block_merge_config_selectorIhlEEZZNS1_27merge_sort_block_merge_implIS3_PhN6thrust23THRUST_200600_302600_NS10device_ptrIlEEjNS1_19radix_merge_compareILb0ELb0EhNS0_19identity_decomposerEEEEE10hipError_tT0_T1_T2_jT3_P12ihipStream_tbPNSt15iterator_traitsISG_E10value_typeEPNSM_ISH_E10value_typeEPSI_NS1_7vsmem_tEENKUlT_SG_SH_SI_E_clIS7_S7_SB_PlEESF_SV_SG_SH_SI_EUlSV_E1_NS1_11comp_targetILNS1_3genE2ELNS1_11target_archE906ELNS1_3gpuE6ELNS1_3repE0EEENS1_36merge_oddeven_config_static_selectorELNS0_4arch9wavefront6targetE1EEEvSH_.has_indirect_call, 0
	.section	.AMDGPU.csdata,"",@progbits
; Kernel info:
; codeLenInByte = 736
; TotalNumSgprs: 26
; NumVgprs: 10
; ScratchSize: 0
; MemoryBound: 0
; FloatMode: 240
; IeeeMode: 1
; LDSByteSize: 0 bytes/workgroup (compile time only)
; SGPRBlocks: 3
; VGPRBlocks: 2
; NumSGPRsForWavesPerEU: 26
; NumVGPRsForWavesPerEU: 10
; Occupancy: 10
; WaveLimiterHint : 0
; COMPUTE_PGM_RSRC2:SCRATCH_EN: 0
; COMPUTE_PGM_RSRC2:USER_SGPR: 6
; COMPUTE_PGM_RSRC2:TRAP_HANDLER: 0
; COMPUTE_PGM_RSRC2:TGID_X_EN: 1
; COMPUTE_PGM_RSRC2:TGID_Y_EN: 0
; COMPUTE_PGM_RSRC2:TGID_Z_EN: 0
; COMPUTE_PGM_RSRC2:TIDIG_COMP_CNT: 0
	.section	.text._ZN7rocprim17ROCPRIM_400000_NS6detail17trampoline_kernelINS0_14default_configENS1_38merge_sort_block_merge_config_selectorIhlEEZZNS1_27merge_sort_block_merge_implIS3_PhN6thrust23THRUST_200600_302600_NS10device_ptrIlEEjNS1_19radix_merge_compareILb0ELb0EhNS0_19identity_decomposerEEEEE10hipError_tT0_T1_T2_jT3_P12ihipStream_tbPNSt15iterator_traitsISG_E10value_typeEPNSM_ISH_E10value_typeEPSI_NS1_7vsmem_tEENKUlT_SG_SH_SI_E_clIS7_S7_SB_PlEESF_SV_SG_SH_SI_EUlSV_E1_NS1_11comp_targetILNS1_3genE9ELNS1_11target_archE1100ELNS1_3gpuE3ELNS1_3repE0EEENS1_36merge_oddeven_config_static_selectorELNS0_4arch9wavefront6targetE1EEEvSH_,"axG",@progbits,_ZN7rocprim17ROCPRIM_400000_NS6detail17trampoline_kernelINS0_14default_configENS1_38merge_sort_block_merge_config_selectorIhlEEZZNS1_27merge_sort_block_merge_implIS3_PhN6thrust23THRUST_200600_302600_NS10device_ptrIlEEjNS1_19radix_merge_compareILb0ELb0EhNS0_19identity_decomposerEEEEE10hipError_tT0_T1_T2_jT3_P12ihipStream_tbPNSt15iterator_traitsISG_E10value_typeEPNSM_ISH_E10value_typeEPSI_NS1_7vsmem_tEENKUlT_SG_SH_SI_E_clIS7_S7_SB_PlEESF_SV_SG_SH_SI_EUlSV_E1_NS1_11comp_targetILNS1_3genE9ELNS1_11target_archE1100ELNS1_3gpuE3ELNS1_3repE0EEENS1_36merge_oddeven_config_static_selectorELNS0_4arch9wavefront6targetE1EEEvSH_,comdat
	.protected	_ZN7rocprim17ROCPRIM_400000_NS6detail17trampoline_kernelINS0_14default_configENS1_38merge_sort_block_merge_config_selectorIhlEEZZNS1_27merge_sort_block_merge_implIS3_PhN6thrust23THRUST_200600_302600_NS10device_ptrIlEEjNS1_19radix_merge_compareILb0ELb0EhNS0_19identity_decomposerEEEEE10hipError_tT0_T1_T2_jT3_P12ihipStream_tbPNSt15iterator_traitsISG_E10value_typeEPNSM_ISH_E10value_typeEPSI_NS1_7vsmem_tEENKUlT_SG_SH_SI_E_clIS7_S7_SB_PlEESF_SV_SG_SH_SI_EUlSV_E1_NS1_11comp_targetILNS1_3genE9ELNS1_11target_archE1100ELNS1_3gpuE3ELNS1_3repE0EEENS1_36merge_oddeven_config_static_selectorELNS0_4arch9wavefront6targetE1EEEvSH_ ; -- Begin function _ZN7rocprim17ROCPRIM_400000_NS6detail17trampoline_kernelINS0_14default_configENS1_38merge_sort_block_merge_config_selectorIhlEEZZNS1_27merge_sort_block_merge_implIS3_PhN6thrust23THRUST_200600_302600_NS10device_ptrIlEEjNS1_19radix_merge_compareILb0ELb0EhNS0_19identity_decomposerEEEEE10hipError_tT0_T1_T2_jT3_P12ihipStream_tbPNSt15iterator_traitsISG_E10value_typeEPNSM_ISH_E10value_typeEPSI_NS1_7vsmem_tEENKUlT_SG_SH_SI_E_clIS7_S7_SB_PlEESF_SV_SG_SH_SI_EUlSV_E1_NS1_11comp_targetILNS1_3genE9ELNS1_11target_archE1100ELNS1_3gpuE3ELNS1_3repE0EEENS1_36merge_oddeven_config_static_selectorELNS0_4arch9wavefront6targetE1EEEvSH_
	.globl	_ZN7rocprim17ROCPRIM_400000_NS6detail17trampoline_kernelINS0_14default_configENS1_38merge_sort_block_merge_config_selectorIhlEEZZNS1_27merge_sort_block_merge_implIS3_PhN6thrust23THRUST_200600_302600_NS10device_ptrIlEEjNS1_19radix_merge_compareILb0ELb0EhNS0_19identity_decomposerEEEEE10hipError_tT0_T1_T2_jT3_P12ihipStream_tbPNSt15iterator_traitsISG_E10value_typeEPNSM_ISH_E10value_typeEPSI_NS1_7vsmem_tEENKUlT_SG_SH_SI_E_clIS7_S7_SB_PlEESF_SV_SG_SH_SI_EUlSV_E1_NS1_11comp_targetILNS1_3genE9ELNS1_11target_archE1100ELNS1_3gpuE3ELNS1_3repE0EEENS1_36merge_oddeven_config_static_selectorELNS0_4arch9wavefront6targetE1EEEvSH_
	.p2align	8
	.type	_ZN7rocprim17ROCPRIM_400000_NS6detail17trampoline_kernelINS0_14default_configENS1_38merge_sort_block_merge_config_selectorIhlEEZZNS1_27merge_sort_block_merge_implIS3_PhN6thrust23THRUST_200600_302600_NS10device_ptrIlEEjNS1_19radix_merge_compareILb0ELb0EhNS0_19identity_decomposerEEEEE10hipError_tT0_T1_T2_jT3_P12ihipStream_tbPNSt15iterator_traitsISG_E10value_typeEPNSM_ISH_E10value_typeEPSI_NS1_7vsmem_tEENKUlT_SG_SH_SI_E_clIS7_S7_SB_PlEESF_SV_SG_SH_SI_EUlSV_E1_NS1_11comp_targetILNS1_3genE9ELNS1_11target_archE1100ELNS1_3gpuE3ELNS1_3repE0EEENS1_36merge_oddeven_config_static_selectorELNS0_4arch9wavefront6targetE1EEEvSH_,@function
_ZN7rocprim17ROCPRIM_400000_NS6detail17trampoline_kernelINS0_14default_configENS1_38merge_sort_block_merge_config_selectorIhlEEZZNS1_27merge_sort_block_merge_implIS3_PhN6thrust23THRUST_200600_302600_NS10device_ptrIlEEjNS1_19radix_merge_compareILb0ELb0EhNS0_19identity_decomposerEEEEE10hipError_tT0_T1_T2_jT3_P12ihipStream_tbPNSt15iterator_traitsISG_E10value_typeEPNSM_ISH_E10value_typeEPSI_NS1_7vsmem_tEENKUlT_SG_SH_SI_E_clIS7_S7_SB_PlEESF_SV_SG_SH_SI_EUlSV_E1_NS1_11comp_targetILNS1_3genE9ELNS1_11target_archE1100ELNS1_3gpuE3ELNS1_3repE0EEENS1_36merge_oddeven_config_static_selectorELNS0_4arch9wavefront6targetE1EEEvSH_: ; @_ZN7rocprim17ROCPRIM_400000_NS6detail17trampoline_kernelINS0_14default_configENS1_38merge_sort_block_merge_config_selectorIhlEEZZNS1_27merge_sort_block_merge_implIS3_PhN6thrust23THRUST_200600_302600_NS10device_ptrIlEEjNS1_19radix_merge_compareILb0ELb0EhNS0_19identity_decomposerEEEEE10hipError_tT0_T1_T2_jT3_P12ihipStream_tbPNSt15iterator_traitsISG_E10value_typeEPNSM_ISH_E10value_typeEPSI_NS1_7vsmem_tEENKUlT_SG_SH_SI_E_clIS7_S7_SB_PlEESF_SV_SG_SH_SI_EUlSV_E1_NS1_11comp_targetILNS1_3genE9ELNS1_11target_archE1100ELNS1_3gpuE3ELNS1_3repE0EEENS1_36merge_oddeven_config_static_selectorELNS0_4arch9wavefront6targetE1EEEvSH_
; %bb.0:
	.section	.rodata,"a",@progbits
	.p2align	6, 0x0
	.amdhsa_kernel _ZN7rocprim17ROCPRIM_400000_NS6detail17trampoline_kernelINS0_14default_configENS1_38merge_sort_block_merge_config_selectorIhlEEZZNS1_27merge_sort_block_merge_implIS3_PhN6thrust23THRUST_200600_302600_NS10device_ptrIlEEjNS1_19radix_merge_compareILb0ELb0EhNS0_19identity_decomposerEEEEE10hipError_tT0_T1_T2_jT3_P12ihipStream_tbPNSt15iterator_traitsISG_E10value_typeEPNSM_ISH_E10value_typeEPSI_NS1_7vsmem_tEENKUlT_SG_SH_SI_E_clIS7_S7_SB_PlEESF_SV_SG_SH_SI_EUlSV_E1_NS1_11comp_targetILNS1_3genE9ELNS1_11target_archE1100ELNS1_3gpuE3ELNS1_3repE0EEENS1_36merge_oddeven_config_static_selectorELNS0_4arch9wavefront6targetE1EEEvSH_
		.amdhsa_group_segment_fixed_size 0
		.amdhsa_private_segment_fixed_size 0
		.amdhsa_kernarg_size 48
		.amdhsa_user_sgpr_count 6
		.amdhsa_user_sgpr_private_segment_buffer 1
		.amdhsa_user_sgpr_dispatch_ptr 0
		.amdhsa_user_sgpr_queue_ptr 0
		.amdhsa_user_sgpr_kernarg_segment_ptr 1
		.amdhsa_user_sgpr_dispatch_id 0
		.amdhsa_user_sgpr_flat_scratch_init 0
		.amdhsa_user_sgpr_private_segment_size 0
		.amdhsa_uses_dynamic_stack 0
		.amdhsa_system_sgpr_private_segment_wavefront_offset 0
		.amdhsa_system_sgpr_workgroup_id_x 1
		.amdhsa_system_sgpr_workgroup_id_y 0
		.amdhsa_system_sgpr_workgroup_id_z 0
		.amdhsa_system_sgpr_workgroup_info 0
		.amdhsa_system_vgpr_workitem_id 0
		.amdhsa_next_free_vgpr 1
		.amdhsa_next_free_sgpr 0
		.amdhsa_reserve_vcc 0
		.amdhsa_reserve_flat_scratch 0
		.amdhsa_float_round_mode_32 0
		.amdhsa_float_round_mode_16_64 0
		.amdhsa_float_denorm_mode_32 3
		.amdhsa_float_denorm_mode_16_64 3
		.amdhsa_dx10_clamp 1
		.amdhsa_ieee_mode 1
		.amdhsa_fp16_overflow 0
		.amdhsa_exception_fp_ieee_invalid_op 0
		.amdhsa_exception_fp_denorm_src 0
		.amdhsa_exception_fp_ieee_div_zero 0
		.amdhsa_exception_fp_ieee_overflow 0
		.amdhsa_exception_fp_ieee_underflow 0
		.amdhsa_exception_fp_ieee_inexact 0
		.amdhsa_exception_int_div_zero 0
	.end_amdhsa_kernel
	.section	.text._ZN7rocprim17ROCPRIM_400000_NS6detail17trampoline_kernelINS0_14default_configENS1_38merge_sort_block_merge_config_selectorIhlEEZZNS1_27merge_sort_block_merge_implIS3_PhN6thrust23THRUST_200600_302600_NS10device_ptrIlEEjNS1_19radix_merge_compareILb0ELb0EhNS0_19identity_decomposerEEEEE10hipError_tT0_T1_T2_jT3_P12ihipStream_tbPNSt15iterator_traitsISG_E10value_typeEPNSM_ISH_E10value_typeEPSI_NS1_7vsmem_tEENKUlT_SG_SH_SI_E_clIS7_S7_SB_PlEESF_SV_SG_SH_SI_EUlSV_E1_NS1_11comp_targetILNS1_3genE9ELNS1_11target_archE1100ELNS1_3gpuE3ELNS1_3repE0EEENS1_36merge_oddeven_config_static_selectorELNS0_4arch9wavefront6targetE1EEEvSH_,"axG",@progbits,_ZN7rocprim17ROCPRIM_400000_NS6detail17trampoline_kernelINS0_14default_configENS1_38merge_sort_block_merge_config_selectorIhlEEZZNS1_27merge_sort_block_merge_implIS3_PhN6thrust23THRUST_200600_302600_NS10device_ptrIlEEjNS1_19radix_merge_compareILb0ELb0EhNS0_19identity_decomposerEEEEE10hipError_tT0_T1_T2_jT3_P12ihipStream_tbPNSt15iterator_traitsISG_E10value_typeEPNSM_ISH_E10value_typeEPSI_NS1_7vsmem_tEENKUlT_SG_SH_SI_E_clIS7_S7_SB_PlEESF_SV_SG_SH_SI_EUlSV_E1_NS1_11comp_targetILNS1_3genE9ELNS1_11target_archE1100ELNS1_3gpuE3ELNS1_3repE0EEENS1_36merge_oddeven_config_static_selectorELNS0_4arch9wavefront6targetE1EEEvSH_,comdat
.Lfunc_end170:
	.size	_ZN7rocprim17ROCPRIM_400000_NS6detail17trampoline_kernelINS0_14default_configENS1_38merge_sort_block_merge_config_selectorIhlEEZZNS1_27merge_sort_block_merge_implIS3_PhN6thrust23THRUST_200600_302600_NS10device_ptrIlEEjNS1_19radix_merge_compareILb0ELb0EhNS0_19identity_decomposerEEEEE10hipError_tT0_T1_T2_jT3_P12ihipStream_tbPNSt15iterator_traitsISG_E10value_typeEPNSM_ISH_E10value_typeEPSI_NS1_7vsmem_tEENKUlT_SG_SH_SI_E_clIS7_S7_SB_PlEESF_SV_SG_SH_SI_EUlSV_E1_NS1_11comp_targetILNS1_3genE9ELNS1_11target_archE1100ELNS1_3gpuE3ELNS1_3repE0EEENS1_36merge_oddeven_config_static_selectorELNS0_4arch9wavefront6targetE1EEEvSH_, .Lfunc_end170-_ZN7rocprim17ROCPRIM_400000_NS6detail17trampoline_kernelINS0_14default_configENS1_38merge_sort_block_merge_config_selectorIhlEEZZNS1_27merge_sort_block_merge_implIS3_PhN6thrust23THRUST_200600_302600_NS10device_ptrIlEEjNS1_19radix_merge_compareILb0ELb0EhNS0_19identity_decomposerEEEEE10hipError_tT0_T1_T2_jT3_P12ihipStream_tbPNSt15iterator_traitsISG_E10value_typeEPNSM_ISH_E10value_typeEPSI_NS1_7vsmem_tEENKUlT_SG_SH_SI_E_clIS7_S7_SB_PlEESF_SV_SG_SH_SI_EUlSV_E1_NS1_11comp_targetILNS1_3genE9ELNS1_11target_archE1100ELNS1_3gpuE3ELNS1_3repE0EEENS1_36merge_oddeven_config_static_selectorELNS0_4arch9wavefront6targetE1EEEvSH_
                                        ; -- End function
	.set _ZN7rocprim17ROCPRIM_400000_NS6detail17trampoline_kernelINS0_14default_configENS1_38merge_sort_block_merge_config_selectorIhlEEZZNS1_27merge_sort_block_merge_implIS3_PhN6thrust23THRUST_200600_302600_NS10device_ptrIlEEjNS1_19radix_merge_compareILb0ELb0EhNS0_19identity_decomposerEEEEE10hipError_tT0_T1_T2_jT3_P12ihipStream_tbPNSt15iterator_traitsISG_E10value_typeEPNSM_ISH_E10value_typeEPSI_NS1_7vsmem_tEENKUlT_SG_SH_SI_E_clIS7_S7_SB_PlEESF_SV_SG_SH_SI_EUlSV_E1_NS1_11comp_targetILNS1_3genE9ELNS1_11target_archE1100ELNS1_3gpuE3ELNS1_3repE0EEENS1_36merge_oddeven_config_static_selectorELNS0_4arch9wavefront6targetE1EEEvSH_.num_vgpr, 0
	.set _ZN7rocprim17ROCPRIM_400000_NS6detail17trampoline_kernelINS0_14default_configENS1_38merge_sort_block_merge_config_selectorIhlEEZZNS1_27merge_sort_block_merge_implIS3_PhN6thrust23THRUST_200600_302600_NS10device_ptrIlEEjNS1_19radix_merge_compareILb0ELb0EhNS0_19identity_decomposerEEEEE10hipError_tT0_T1_T2_jT3_P12ihipStream_tbPNSt15iterator_traitsISG_E10value_typeEPNSM_ISH_E10value_typeEPSI_NS1_7vsmem_tEENKUlT_SG_SH_SI_E_clIS7_S7_SB_PlEESF_SV_SG_SH_SI_EUlSV_E1_NS1_11comp_targetILNS1_3genE9ELNS1_11target_archE1100ELNS1_3gpuE3ELNS1_3repE0EEENS1_36merge_oddeven_config_static_selectorELNS0_4arch9wavefront6targetE1EEEvSH_.num_agpr, 0
	.set _ZN7rocprim17ROCPRIM_400000_NS6detail17trampoline_kernelINS0_14default_configENS1_38merge_sort_block_merge_config_selectorIhlEEZZNS1_27merge_sort_block_merge_implIS3_PhN6thrust23THRUST_200600_302600_NS10device_ptrIlEEjNS1_19radix_merge_compareILb0ELb0EhNS0_19identity_decomposerEEEEE10hipError_tT0_T1_T2_jT3_P12ihipStream_tbPNSt15iterator_traitsISG_E10value_typeEPNSM_ISH_E10value_typeEPSI_NS1_7vsmem_tEENKUlT_SG_SH_SI_E_clIS7_S7_SB_PlEESF_SV_SG_SH_SI_EUlSV_E1_NS1_11comp_targetILNS1_3genE9ELNS1_11target_archE1100ELNS1_3gpuE3ELNS1_3repE0EEENS1_36merge_oddeven_config_static_selectorELNS0_4arch9wavefront6targetE1EEEvSH_.numbered_sgpr, 0
	.set _ZN7rocprim17ROCPRIM_400000_NS6detail17trampoline_kernelINS0_14default_configENS1_38merge_sort_block_merge_config_selectorIhlEEZZNS1_27merge_sort_block_merge_implIS3_PhN6thrust23THRUST_200600_302600_NS10device_ptrIlEEjNS1_19radix_merge_compareILb0ELb0EhNS0_19identity_decomposerEEEEE10hipError_tT0_T1_T2_jT3_P12ihipStream_tbPNSt15iterator_traitsISG_E10value_typeEPNSM_ISH_E10value_typeEPSI_NS1_7vsmem_tEENKUlT_SG_SH_SI_E_clIS7_S7_SB_PlEESF_SV_SG_SH_SI_EUlSV_E1_NS1_11comp_targetILNS1_3genE9ELNS1_11target_archE1100ELNS1_3gpuE3ELNS1_3repE0EEENS1_36merge_oddeven_config_static_selectorELNS0_4arch9wavefront6targetE1EEEvSH_.num_named_barrier, 0
	.set _ZN7rocprim17ROCPRIM_400000_NS6detail17trampoline_kernelINS0_14default_configENS1_38merge_sort_block_merge_config_selectorIhlEEZZNS1_27merge_sort_block_merge_implIS3_PhN6thrust23THRUST_200600_302600_NS10device_ptrIlEEjNS1_19radix_merge_compareILb0ELb0EhNS0_19identity_decomposerEEEEE10hipError_tT0_T1_T2_jT3_P12ihipStream_tbPNSt15iterator_traitsISG_E10value_typeEPNSM_ISH_E10value_typeEPSI_NS1_7vsmem_tEENKUlT_SG_SH_SI_E_clIS7_S7_SB_PlEESF_SV_SG_SH_SI_EUlSV_E1_NS1_11comp_targetILNS1_3genE9ELNS1_11target_archE1100ELNS1_3gpuE3ELNS1_3repE0EEENS1_36merge_oddeven_config_static_selectorELNS0_4arch9wavefront6targetE1EEEvSH_.private_seg_size, 0
	.set _ZN7rocprim17ROCPRIM_400000_NS6detail17trampoline_kernelINS0_14default_configENS1_38merge_sort_block_merge_config_selectorIhlEEZZNS1_27merge_sort_block_merge_implIS3_PhN6thrust23THRUST_200600_302600_NS10device_ptrIlEEjNS1_19radix_merge_compareILb0ELb0EhNS0_19identity_decomposerEEEEE10hipError_tT0_T1_T2_jT3_P12ihipStream_tbPNSt15iterator_traitsISG_E10value_typeEPNSM_ISH_E10value_typeEPSI_NS1_7vsmem_tEENKUlT_SG_SH_SI_E_clIS7_S7_SB_PlEESF_SV_SG_SH_SI_EUlSV_E1_NS1_11comp_targetILNS1_3genE9ELNS1_11target_archE1100ELNS1_3gpuE3ELNS1_3repE0EEENS1_36merge_oddeven_config_static_selectorELNS0_4arch9wavefront6targetE1EEEvSH_.uses_vcc, 0
	.set _ZN7rocprim17ROCPRIM_400000_NS6detail17trampoline_kernelINS0_14default_configENS1_38merge_sort_block_merge_config_selectorIhlEEZZNS1_27merge_sort_block_merge_implIS3_PhN6thrust23THRUST_200600_302600_NS10device_ptrIlEEjNS1_19radix_merge_compareILb0ELb0EhNS0_19identity_decomposerEEEEE10hipError_tT0_T1_T2_jT3_P12ihipStream_tbPNSt15iterator_traitsISG_E10value_typeEPNSM_ISH_E10value_typeEPSI_NS1_7vsmem_tEENKUlT_SG_SH_SI_E_clIS7_S7_SB_PlEESF_SV_SG_SH_SI_EUlSV_E1_NS1_11comp_targetILNS1_3genE9ELNS1_11target_archE1100ELNS1_3gpuE3ELNS1_3repE0EEENS1_36merge_oddeven_config_static_selectorELNS0_4arch9wavefront6targetE1EEEvSH_.uses_flat_scratch, 0
	.set _ZN7rocprim17ROCPRIM_400000_NS6detail17trampoline_kernelINS0_14default_configENS1_38merge_sort_block_merge_config_selectorIhlEEZZNS1_27merge_sort_block_merge_implIS3_PhN6thrust23THRUST_200600_302600_NS10device_ptrIlEEjNS1_19radix_merge_compareILb0ELb0EhNS0_19identity_decomposerEEEEE10hipError_tT0_T1_T2_jT3_P12ihipStream_tbPNSt15iterator_traitsISG_E10value_typeEPNSM_ISH_E10value_typeEPSI_NS1_7vsmem_tEENKUlT_SG_SH_SI_E_clIS7_S7_SB_PlEESF_SV_SG_SH_SI_EUlSV_E1_NS1_11comp_targetILNS1_3genE9ELNS1_11target_archE1100ELNS1_3gpuE3ELNS1_3repE0EEENS1_36merge_oddeven_config_static_selectorELNS0_4arch9wavefront6targetE1EEEvSH_.has_dyn_sized_stack, 0
	.set _ZN7rocprim17ROCPRIM_400000_NS6detail17trampoline_kernelINS0_14default_configENS1_38merge_sort_block_merge_config_selectorIhlEEZZNS1_27merge_sort_block_merge_implIS3_PhN6thrust23THRUST_200600_302600_NS10device_ptrIlEEjNS1_19radix_merge_compareILb0ELb0EhNS0_19identity_decomposerEEEEE10hipError_tT0_T1_T2_jT3_P12ihipStream_tbPNSt15iterator_traitsISG_E10value_typeEPNSM_ISH_E10value_typeEPSI_NS1_7vsmem_tEENKUlT_SG_SH_SI_E_clIS7_S7_SB_PlEESF_SV_SG_SH_SI_EUlSV_E1_NS1_11comp_targetILNS1_3genE9ELNS1_11target_archE1100ELNS1_3gpuE3ELNS1_3repE0EEENS1_36merge_oddeven_config_static_selectorELNS0_4arch9wavefront6targetE1EEEvSH_.has_recursion, 0
	.set _ZN7rocprim17ROCPRIM_400000_NS6detail17trampoline_kernelINS0_14default_configENS1_38merge_sort_block_merge_config_selectorIhlEEZZNS1_27merge_sort_block_merge_implIS3_PhN6thrust23THRUST_200600_302600_NS10device_ptrIlEEjNS1_19radix_merge_compareILb0ELb0EhNS0_19identity_decomposerEEEEE10hipError_tT0_T1_T2_jT3_P12ihipStream_tbPNSt15iterator_traitsISG_E10value_typeEPNSM_ISH_E10value_typeEPSI_NS1_7vsmem_tEENKUlT_SG_SH_SI_E_clIS7_S7_SB_PlEESF_SV_SG_SH_SI_EUlSV_E1_NS1_11comp_targetILNS1_3genE9ELNS1_11target_archE1100ELNS1_3gpuE3ELNS1_3repE0EEENS1_36merge_oddeven_config_static_selectorELNS0_4arch9wavefront6targetE1EEEvSH_.has_indirect_call, 0
	.section	.AMDGPU.csdata,"",@progbits
; Kernel info:
; codeLenInByte = 0
; TotalNumSgprs: 4
; NumVgprs: 0
; ScratchSize: 0
; MemoryBound: 0
; FloatMode: 240
; IeeeMode: 1
; LDSByteSize: 0 bytes/workgroup (compile time only)
; SGPRBlocks: 0
; VGPRBlocks: 0
; NumSGPRsForWavesPerEU: 4
; NumVGPRsForWavesPerEU: 1
; Occupancy: 10
; WaveLimiterHint : 0
; COMPUTE_PGM_RSRC2:SCRATCH_EN: 0
; COMPUTE_PGM_RSRC2:USER_SGPR: 6
; COMPUTE_PGM_RSRC2:TRAP_HANDLER: 0
; COMPUTE_PGM_RSRC2:TGID_X_EN: 1
; COMPUTE_PGM_RSRC2:TGID_Y_EN: 0
; COMPUTE_PGM_RSRC2:TGID_Z_EN: 0
; COMPUTE_PGM_RSRC2:TIDIG_COMP_CNT: 0
	.section	.text._ZN7rocprim17ROCPRIM_400000_NS6detail17trampoline_kernelINS0_14default_configENS1_38merge_sort_block_merge_config_selectorIhlEEZZNS1_27merge_sort_block_merge_implIS3_PhN6thrust23THRUST_200600_302600_NS10device_ptrIlEEjNS1_19radix_merge_compareILb0ELb0EhNS0_19identity_decomposerEEEEE10hipError_tT0_T1_T2_jT3_P12ihipStream_tbPNSt15iterator_traitsISG_E10value_typeEPNSM_ISH_E10value_typeEPSI_NS1_7vsmem_tEENKUlT_SG_SH_SI_E_clIS7_S7_SB_PlEESF_SV_SG_SH_SI_EUlSV_E1_NS1_11comp_targetILNS1_3genE8ELNS1_11target_archE1030ELNS1_3gpuE2ELNS1_3repE0EEENS1_36merge_oddeven_config_static_selectorELNS0_4arch9wavefront6targetE1EEEvSH_,"axG",@progbits,_ZN7rocprim17ROCPRIM_400000_NS6detail17trampoline_kernelINS0_14default_configENS1_38merge_sort_block_merge_config_selectorIhlEEZZNS1_27merge_sort_block_merge_implIS3_PhN6thrust23THRUST_200600_302600_NS10device_ptrIlEEjNS1_19radix_merge_compareILb0ELb0EhNS0_19identity_decomposerEEEEE10hipError_tT0_T1_T2_jT3_P12ihipStream_tbPNSt15iterator_traitsISG_E10value_typeEPNSM_ISH_E10value_typeEPSI_NS1_7vsmem_tEENKUlT_SG_SH_SI_E_clIS7_S7_SB_PlEESF_SV_SG_SH_SI_EUlSV_E1_NS1_11comp_targetILNS1_3genE8ELNS1_11target_archE1030ELNS1_3gpuE2ELNS1_3repE0EEENS1_36merge_oddeven_config_static_selectorELNS0_4arch9wavefront6targetE1EEEvSH_,comdat
	.protected	_ZN7rocprim17ROCPRIM_400000_NS6detail17trampoline_kernelINS0_14default_configENS1_38merge_sort_block_merge_config_selectorIhlEEZZNS1_27merge_sort_block_merge_implIS3_PhN6thrust23THRUST_200600_302600_NS10device_ptrIlEEjNS1_19radix_merge_compareILb0ELb0EhNS0_19identity_decomposerEEEEE10hipError_tT0_T1_T2_jT3_P12ihipStream_tbPNSt15iterator_traitsISG_E10value_typeEPNSM_ISH_E10value_typeEPSI_NS1_7vsmem_tEENKUlT_SG_SH_SI_E_clIS7_S7_SB_PlEESF_SV_SG_SH_SI_EUlSV_E1_NS1_11comp_targetILNS1_3genE8ELNS1_11target_archE1030ELNS1_3gpuE2ELNS1_3repE0EEENS1_36merge_oddeven_config_static_selectorELNS0_4arch9wavefront6targetE1EEEvSH_ ; -- Begin function _ZN7rocprim17ROCPRIM_400000_NS6detail17trampoline_kernelINS0_14default_configENS1_38merge_sort_block_merge_config_selectorIhlEEZZNS1_27merge_sort_block_merge_implIS3_PhN6thrust23THRUST_200600_302600_NS10device_ptrIlEEjNS1_19radix_merge_compareILb0ELb0EhNS0_19identity_decomposerEEEEE10hipError_tT0_T1_T2_jT3_P12ihipStream_tbPNSt15iterator_traitsISG_E10value_typeEPNSM_ISH_E10value_typeEPSI_NS1_7vsmem_tEENKUlT_SG_SH_SI_E_clIS7_S7_SB_PlEESF_SV_SG_SH_SI_EUlSV_E1_NS1_11comp_targetILNS1_3genE8ELNS1_11target_archE1030ELNS1_3gpuE2ELNS1_3repE0EEENS1_36merge_oddeven_config_static_selectorELNS0_4arch9wavefront6targetE1EEEvSH_
	.globl	_ZN7rocprim17ROCPRIM_400000_NS6detail17trampoline_kernelINS0_14default_configENS1_38merge_sort_block_merge_config_selectorIhlEEZZNS1_27merge_sort_block_merge_implIS3_PhN6thrust23THRUST_200600_302600_NS10device_ptrIlEEjNS1_19radix_merge_compareILb0ELb0EhNS0_19identity_decomposerEEEEE10hipError_tT0_T1_T2_jT3_P12ihipStream_tbPNSt15iterator_traitsISG_E10value_typeEPNSM_ISH_E10value_typeEPSI_NS1_7vsmem_tEENKUlT_SG_SH_SI_E_clIS7_S7_SB_PlEESF_SV_SG_SH_SI_EUlSV_E1_NS1_11comp_targetILNS1_3genE8ELNS1_11target_archE1030ELNS1_3gpuE2ELNS1_3repE0EEENS1_36merge_oddeven_config_static_selectorELNS0_4arch9wavefront6targetE1EEEvSH_
	.p2align	8
	.type	_ZN7rocprim17ROCPRIM_400000_NS6detail17trampoline_kernelINS0_14default_configENS1_38merge_sort_block_merge_config_selectorIhlEEZZNS1_27merge_sort_block_merge_implIS3_PhN6thrust23THRUST_200600_302600_NS10device_ptrIlEEjNS1_19radix_merge_compareILb0ELb0EhNS0_19identity_decomposerEEEEE10hipError_tT0_T1_T2_jT3_P12ihipStream_tbPNSt15iterator_traitsISG_E10value_typeEPNSM_ISH_E10value_typeEPSI_NS1_7vsmem_tEENKUlT_SG_SH_SI_E_clIS7_S7_SB_PlEESF_SV_SG_SH_SI_EUlSV_E1_NS1_11comp_targetILNS1_3genE8ELNS1_11target_archE1030ELNS1_3gpuE2ELNS1_3repE0EEENS1_36merge_oddeven_config_static_selectorELNS0_4arch9wavefront6targetE1EEEvSH_,@function
_ZN7rocprim17ROCPRIM_400000_NS6detail17trampoline_kernelINS0_14default_configENS1_38merge_sort_block_merge_config_selectorIhlEEZZNS1_27merge_sort_block_merge_implIS3_PhN6thrust23THRUST_200600_302600_NS10device_ptrIlEEjNS1_19radix_merge_compareILb0ELb0EhNS0_19identity_decomposerEEEEE10hipError_tT0_T1_T2_jT3_P12ihipStream_tbPNSt15iterator_traitsISG_E10value_typeEPNSM_ISH_E10value_typeEPSI_NS1_7vsmem_tEENKUlT_SG_SH_SI_E_clIS7_S7_SB_PlEESF_SV_SG_SH_SI_EUlSV_E1_NS1_11comp_targetILNS1_3genE8ELNS1_11target_archE1030ELNS1_3gpuE2ELNS1_3repE0EEENS1_36merge_oddeven_config_static_selectorELNS0_4arch9wavefront6targetE1EEEvSH_: ; @_ZN7rocprim17ROCPRIM_400000_NS6detail17trampoline_kernelINS0_14default_configENS1_38merge_sort_block_merge_config_selectorIhlEEZZNS1_27merge_sort_block_merge_implIS3_PhN6thrust23THRUST_200600_302600_NS10device_ptrIlEEjNS1_19radix_merge_compareILb0ELb0EhNS0_19identity_decomposerEEEEE10hipError_tT0_T1_T2_jT3_P12ihipStream_tbPNSt15iterator_traitsISG_E10value_typeEPNSM_ISH_E10value_typeEPSI_NS1_7vsmem_tEENKUlT_SG_SH_SI_E_clIS7_S7_SB_PlEESF_SV_SG_SH_SI_EUlSV_E1_NS1_11comp_targetILNS1_3genE8ELNS1_11target_archE1030ELNS1_3gpuE2ELNS1_3repE0EEENS1_36merge_oddeven_config_static_selectorELNS0_4arch9wavefront6targetE1EEEvSH_
; %bb.0:
	.section	.rodata,"a",@progbits
	.p2align	6, 0x0
	.amdhsa_kernel _ZN7rocprim17ROCPRIM_400000_NS6detail17trampoline_kernelINS0_14default_configENS1_38merge_sort_block_merge_config_selectorIhlEEZZNS1_27merge_sort_block_merge_implIS3_PhN6thrust23THRUST_200600_302600_NS10device_ptrIlEEjNS1_19radix_merge_compareILb0ELb0EhNS0_19identity_decomposerEEEEE10hipError_tT0_T1_T2_jT3_P12ihipStream_tbPNSt15iterator_traitsISG_E10value_typeEPNSM_ISH_E10value_typeEPSI_NS1_7vsmem_tEENKUlT_SG_SH_SI_E_clIS7_S7_SB_PlEESF_SV_SG_SH_SI_EUlSV_E1_NS1_11comp_targetILNS1_3genE8ELNS1_11target_archE1030ELNS1_3gpuE2ELNS1_3repE0EEENS1_36merge_oddeven_config_static_selectorELNS0_4arch9wavefront6targetE1EEEvSH_
		.amdhsa_group_segment_fixed_size 0
		.amdhsa_private_segment_fixed_size 0
		.amdhsa_kernarg_size 48
		.amdhsa_user_sgpr_count 6
		.amdhsa_user_sgpr_private_segment_buffer 1
		.amdhsa_user_sgpr_dispatch_ptr 0
		.amdhsa_user_sgpr_queue_ptr 0
		.amdhsa_user_sgpr_kernarg_segment_ptr 1
		.amdhsa_user_sgpr_dispatch_id 0
		.amdhsa_user_sgpr_flat_scratch_init 0
		.amdhsa_user_sgpr_private_segment_size 0
		.amdhsa_uses_dynamic_stack 0
		.amdhsa_system_sgpr_private_segment_wavefront_offset 0
		.amdhsa_system_sgpr_workgroup_id_x 1
		.amdhsa_system_sgpr_workgroup_id_y 0
		.amdhsa_system_sgpr_workgroup_id_z 0
		.amdhsa_system_sgpr_workgroup_info 0
		.amdhsa_system_vgpr_workitem_id 0
		.amdhsa_next_free_vgpr 1
		.amdhsa_next_free_sgpr 0
		.amdhsa_reserve_vcc 0
		.amdhsa_reserve_flat_scratch 0
		.amdhsa_float_round_mode_32 0
		.amdhsa_float_round_mode_16_64 0
		.amdhsa_float_denorm_mode_32 3
		.amdhsa_float_denorm_mode_16_64 3
		.amdhsa_dx10_clamp 1
		.amdhsa_ieee_mode 1
		.amdhsa_fp16_overflow 0
		.amdhsa_exception_fp_ieee_invalid_op 0
		.amdhsa_exception_fp_denorm_src 0
		.amdhsa_exception_fp_ieee_div_zero 0
		.amdhsa_exception_fp_ieee_overflow 0
		.amdhsa_exception_fp_ieee_underflow 0
		.amdhsa_exception_fp_ieee_inexact 0
		.amdhsa_exception_int_div_zero 0
	.end_amdhsa_kernel
	.section	.text._ZN7rocprim17ROCPRIM_400000_NS6detail17trampoline_kernelINS0_14default_configENS1_38merge_sort_block_merge_config_selectorIhlEEZZNS1_27merge_sort_block_merge_implIS3_PhN6thrust23THRUST_200600_302600_NS10device_ptrIlEEjNS1_19radix_merge_compareILb0ELb0EhNS0_19identity_decomposerEEEEE10hipError_tT0_T1_T2_jT3_P12ihipStream_tbPNSt15iterator_traitsISG_E10value_typeEPNSM_ISH_E10value_typeEPSI_NS1_7vsmem_tEENKUlT_SG_SH_SI_E_clIS7_S7_SB_PlEESF_SV_SG_SH_SI_EUlSV_E1_NS1_11comp_targetILNS1_3genE8ELNS1_11target_archE1030ELNS1_3gpuE2ELNS1_3repE0EEENS1_36merge_oddeven_config_static_selectorELNS0_4arch9wavefront6targetE1EEEvSH_,"axG",@progbits,_ZN7rocprim17ROCPRIM_400000_NS6detail17trampoline_kernelINS0_14default_configENS1_38merge_sort_block_merge_config_selectorIhlEEZZNS1_27merge_sort_block_merge_implIS3_PhN6thrust23THRUST_200600_302600_NS10device_ptrIlEEjNS1_19radix_merge_compareILb0ELb0EhNS0_19identity_decomposerEEEEE10hipError_tT0_T1_T2_jT3_P12ihipStream_tbPNSt15iterator_traitsISG_E10value_typeEPNSM_ISH_E10value_typeEPSI_NS1_7vsmem_tEENKUlT_SG_SH_SI_E_clIS7_S7_SB_PlEESF_SV_SG_SH_SI_EUlSV_E1_NS1_11comp_targetILNS1_3genE8ELNS1_11target_archE1030ELNS1_3gpuE2ELNS1_3repE0EEENS1_36merge_oddeven_config_static_selectorELNS0_4arch9wavefront6targetE1EEEvSH_,comdat
.Lfunc_end171:
	.size	_ZN7rocprim17ROCPRIM_400000_NS6detail17trampoline_kernelINS0_14default_configENS1_38merge_sort_block_merge_config_selectorIhlEEZZNS1_27merge_sort_block_merge_implIS3_PhN6thrust23THRUST_200600_302600_NS10device_ptrIlEEjNS1_19radix_merge_compareILb0ELb0EhNS0_19identity_decomposerEEEEE10hipError_tT0_T1_T2_jT3_P12ihipStream_tbPNSt15iterator_traitsISG_E10value_typeEPNSM_ISH_E10value_typeEPSI_NS1_7vsmem_tEENKUlT_SG_SH_SI_E_clIS7_S7_SB_PlEESF_SV_SG_SH_SI_EUlSV_E1_NS1_11comp_targetILNS1_3genE8ELNS1_11target_archE1030ELNS1_3gpuE2ELNS1_3repE0EEENS1_36merge_oddeven_config_static_selectorELNS0_4arch9wavefront6targetE1EEEvSH_, .Lfunc_end171-_ZN7rocprim17ROCPRIM_400000_NS6detail17trampoline_kernelINS0_14default_configENS1_38merge_sort_block_merge_config_selectorIhlEEZZNS1_27merge_sort_block_merge_implIS3_PhN6thrust23THRUST_200600_302600_NS10device_ptrIlEEjNS1_19radix_merge_compareILb0ELb0EhNS0_19identity_decomposerEEEEE10hipError_tT0_T1_T2_jT3_P12ihipStream_tbPNSt15iterator_traitsISG_E10value_typeEPNSM_ISH_E10value_typeEPSI_NS1_7vsmem_tEENKUlT_SG_SH_SI_E_clIS7_S7_SB_PlEESF_SV_SG_SH_SI_EUlSV_E1_NS1_11comp_targetILNS1_3genE8ELNS1_11target_archE1030ELNS1_3gpuE2ELNS1_3repE0EEENS1_36merge_oddeven_config_static_selectorELNS0_4arch9wavefront6targetE1EEEvSH_
                                        ; -- End function
	.set _ZN7rocprim17ROCPRIM_400000_NS6detail17trampoline_kernelINS0_14default_configENS1_38merge_sort_block_merge_config_selectorIhlEEZZNS1_27merge_sort_block_merge_implIS3_PhN6thrust23THRUST_200600_302600_NS10device_ptrIlEEjNS1_19radix_merge_compareILb0ELb0EhNS0_19identity_decomposerEEEEE10hipError_tT0_T1_T2_jT3_P12ihipStream_tbPNSt15iterator_traitsISG_E10value_typeEPNSM_ISH_E10value_typeEPSI_NS1_7vsmem_tEENKUlT_SG_SH_SI_E_clIS7_S7_SB_PlEESF_SV_SG_SH_SI_EUlSV_E1_NS1_11comp_targetILNS1_3genE8ELNS1_11target_archE1030ELNS1_3gpuE2ELNS1_3repE0EEENS1_36merge_oddeven_config_static_selectorELNS0_4arch9wavefront6targetE1EEEvSH_.num_vgpr, 0
	.set _ZN7rocprim17ROCPRIM_400000_NS6detail17trampoline_kernelINS0_14default_configENS1_38merge_sort_block_merge_config_selectorIhlEEZZNS1_27merge_sort_block_merge_implIS3_PhN6thrust23THRUST_200600_302600_NS10device_ptrIlEEjNS1_19radix_merge_compareILb0ELb0EhNS0_19identity_decomposerEEEEE10hipError_tT0_T1_T2_jT3_P12ihipStream_tbPNSt15iterator_traitsISG_E10value_typeEPNSM_ISH_E10value_typeEPSI_NS1_7vsmem_tEENKUlT_SG_SH_SI_E_clIS7_S7_SB_PlEESF_SV_SG_SH_SI_EUlSV_E1_NS1_11comp_targetILNS1_3genE8ELNS1_11target_archE1030ELNS1_3gpuE2ELNS1_3repE0EEENS1_36merge_oddeven_config_static_selectorELNS0_4arch9wavefront6targetE1EEEvSH_.num_agpr, 0
	.set _ZN7rocprim17ROCPRIM_400000_NS6detail17trampoline_kernelINS0_14default_configENS1_38merge_sort_block_merge_config_selectorIhlEEZZNS1_27merge_sort_block_merge_implIS3_PhN6thrust23THRUST_200600_302600_NS10device_ptrIlEEjNS1_19radix_merge_compareILb0ELb0EhNS0_19identity_decomposerEEEEE10hipError_tT0_T1_T2_jT3_P12ihipStream_tbPNSt15iterator_traitsISG_E10value_typeEPNSM_ISH_E10value_typeEPSI_NS1_7vsmem_tEENKUlT_SG_SH_SI_E_clIS7_S7_SB_PlEESF_SV_SG_SH_SI_EUlSV_E1_NS1_11comp_targetILNS1_3genE8ELNS1_11target_archE1030ELNS1_3gpuE2ELNS1_3repE0EEENS1_36merge_oddeven_config_static_selectorELNS0_4arch9wavefront6targetE1EEEvSH_.numbered_sgpr, 0
	.set _ZN7rocprim17ROCPRIM_400000_NS6detail17trampoline_kernelINS0_14default_configENS1_38merge_sort_block_merge_config_selectorIhlEEZZNS1_27merge_sort_block_merge_implIS3_PhN6thrust23THRUST_200600_302600_NS10device_ptrIlEEjNS1_19radix_merge_compareILb0ELb0EhNS0_19identity_decomposerEEEEE10hipError_tT0_T1_T2_jT3_P12ihipStream_tbPNSt15iterator_traitsISG_E10value_typeEPNSM_ISH_E10value_typeEPSI_NS1_7vsmem_tEENKUlT_SG_SH_SI_E_clIS7_S7_SB_PlEESF_SV_SG_SH_SI_EUlSV_E1_NS1_11comp_targetILNS1_3genE8ELNS1_11target_archE1030ELNS1_3gpuE2ELNS1_3repE0EEENS1_36merge_oddeven_config_static_selectorELNS0_4arch9wavefront6targetE1EEEvSH_.num_named_barrier, 0
	.set _ZN7rocprim17ROCPRIM_400000_NS6detail17trampoline_kernelINS0_14default_configENS1_38merge_sort_block_merge_config_selectorIhlEEZZNS1_27merge_sort_block_merge_implIS3_PhN6thrust23THRUST_200600_302600_NS10device_ptrIlEEjNS1_19radix_merge_compareILb0ELb0EhNS0_19identity_decomposerEEEEE10hipError_tT0_T1_T2_jT3_P12ihipStream_tbPNSt15iterator_traitsISG_E10value_typeEPNSM_ISH_E10value_typeEPSI_NS1_7vsmem_tEENKUlT_SG_SH_SI_E_clIS7_S7_SB_PlEESF_SV_SG_SH_SI_EUlSV_E1_NS1_11comp_targetILNS1_3genE8ELNS1_11target_archE1030ELNS1_3gpuE2ELNS1_3repE0EEENS1_36merge_oddeven_config_static_selectorELNS0_4arch9wavefront6targetE1EEEvSH_.private_seg_size, 0
	.set _ZN7rocprim17ROCPRIM_400000_NS6detail17trampoline_kernelINS0_14default_configENS1_38merge_sort_block_merge_config_selectorIhlEEZZNS1_27merge_sort_block_merge_implIS3_PhN6thrust23THRUST_200600_302600_NS10device_ptrIlEEjNS1_19radix_merge_compareILb0ELb0EhNS0_19identity_decomposerEEEEE10hipError_tT0_T1_T2_jT3_P12ihipStream_tbPNSt15iterator_traitsISG_E10value_typeEPNSM_ISH_E10value_typeEPSI_NS1_7vsmem_tEENKUlT_SG_SH_SI_E_clIS7_S7_SB_PlEESF_SV_SG_SH_SI_EUlSV_E1_NS1_11comp_targetILNS1_3genE8ELNS1_11target_archE1030ELNS1_3gpuE2ELNS1_3repE0EEENS1_36merge_oddeven_config_static_selectorELNS0_4arch9wavefront6targetE1EEEvSH_.uses_vcc, 0
	.set _ZN7rocprim17ROCPRIM_400000_NS6detail17trampoline_kernelINS0_14default_configENS1_38merge_sort_block_merge_config_selectorIhlEEZZNS1_27merge_sort_block_merge_implIS3_PhN6thrust23THRUST_200600_302600_NS10device_ptrIlEEjNS1_19radix_merge_compareILb0ELb0EhNS0_19identity_decomposerEEEEE10hipError_tT0_T1_T2_jT3_P12ihipStream_tbPNSt15iterator_traitsISG_E10value_typeEPNSM_ISH_E10value_typeEPSI_NS1_7vsmem_tEENKUlT_SG_SH_SI_E_clIS7_S7_SB_PlEESF_SV_SG_SH_SI_EUlSV_E1_NS1_11comp_targetILNS1_3genE8ELNS1_11target_archE1030ELNS1_3gpuE2ELNS1_3repE0EEENS1_36merge_oddeven_config_static_selectorELNS0_4arch9wavefront6targetE1EEEvSH_.uses_flat_scratch, 0
	.set _ZN7rocprim17ROCPRIM_400000_NS6detail17trampoline_kernelINS0_14default_configENS1_38merge_sort_block_merge_config_selectorIhlEEZZNS1_27merge_sort_block_merge_implIS3_PhN6thrust23THRUST_200600_302600_NS10device_ptrIlEEjNS1_19radix_merge_compareILb0ELb0EhNS0_19identity_decomposerEEEEE10hipError_tT0_T1_T2_jT3_P12ihipStream_tbPNSt15iterator_traitsISG_E10value_typeEPNSM_ISH_E10value_typeEPSI_NS1_7vsmem_tEENKUlT_SG_SH_SI_E_clIS7_S7_SB_PlEESF_SV_SG_SH_SI_EUlSV_E1_NS1_11comp_targetILNS1_3genE8ELNS1_11target_archE1030ELNS1_3gpuE2ELNS1_3repE0EEENS1_36merge_oddeven_config_static_selectorELNS0_4arch9wavefront6targetE1EEEvSH_.has_dyn_sized_stack, 0
	.set _ZN7rocprim17ROCPRIM_400000_NS6detail17trampoline_kernelINS0_14default_configENS1_38merge_sort_block_merge_config_selectorIhlEEZZNS1_27merge_sort_block_merge_implIS3_PhN6thrust23THRUST_200600_302600_NS10device_ptrIlEEjNS1_19radix_merge_compareILb0ELb0EhNS0_19identity_decomposerEEEEE10hipError_tT0_T1_T2_jT3_P12ihipStream_tbPNSt15iterator_traitsISG_E10value_typeEPNSM_ISH_E10value_typeEPSI_NS1_7vsmem_tEENKUlT_SG_SH_SI_E_clIS7_S7_SB_PlEESF_SV_SG_SH_SI_EUlSV_E1_NS1_11comp_targetILNS1_3genE8ELNS1_11target_archE1030ELNS1_3gpuE2ELNS1_3repE0EEENS1_36merge_oddeven_config_static_selectorELNS0_4arch9wavefront6targetE1EEEvSH_.has_recursion, 0
	.set _ZN7rocprim17ROCPRIM_400000_NS6detail17trampoline_kernelINS0_14default_configENS1_38merge_sort_block_merge_config_selectorIhlEEZZNS1_27merge_sort_block_merge_implIS3_PhN6thrust23THRUST_200600_302600_NS10device_ptrIlEEjNS1_19radix_merge_compareILb0ELb0EhNS0_19identity_decomposerEEEEE10hipError_tT0_T1_T2_jT3_P12ihipStream_tbPNSt15iterator_traitsISG_E10value_typeEPNSM_ISH_E10value_typeEPSI_NS1_7vsmem_tEENKUlT_SG_SH_SI_E_clIS7_S7_SB_PlEESF_SV_SG_SH_SI_EUlSV_E1_NS1_11comp_targetILNS1_3genE8ELNS1_11target_archE1030ELNS1_3gpuE2ELNS1_3repE0EEENS1_36merge_oddeven_config_static_selectorELNS0_4arch9wavefront6targetE1EEEvSH_.has_indirect_call, 0
	.section	.AMDGPU.csdata,"",@progbits
; Kernel info:
; codeLenInByte = 0
; TotalNumSgprs: 4
; NumVgprs: 0
; ScratchSize: 0
; MemoryBound: 0
; FloatMode: 240
; IeeeMode: 1
; LDSByteSize: 0 bytes/workgroup (compile time only)
; SGPRBlocks: 0
; VGPRBlocks: 0
; NumSGPRsForWavesPerEU: 4
; NumVGPRsForWavesPerEU: 1
; Occupancy: 10
; WaveLimiterHint : 0
; COMPUTE_PGM_RSRC2:SCRATCH_EN: 0
; COMPUTE_PGM_RSRC2:USER_SGPR: 6
; COMPUTE_PGM_RSRC2:TRAP_HANDLER: 0
; COMPUTE_PGM_RSRC2:TGID_X_EN: 1
; COMPUTE_PGM_RSRC2:TGID_Y_EN: 0
; COMPUTE_PGM_RSRC2:TGID_Z_EN: 0
; COMPUTE_PGM_RSRC2:TIDIG_COMP_CNT: 0
	.section	.text._ZN7rocprim17ROCPRIM_400000_NS6detail17trampoline_kernelINS0_14default_configENS1_25transform_config_selectorIhLb1EEEZNS1_14transform_implILb1ES3_S5_PhS7_NS0_8identityIhEEEE10hipError_tT2_T3_mT4_P12ihipStream_tbEUlT_E_NS1_11comp_targetILNS1_3genE0ELNS1_11target_archE4294967295ELNS1_3gpuE0ELNS1_3repE0EEENS1_30default_config_static_selectorELNS0_4arch9wavefront6targetE1EEEvT1_,"axG",@progbits,_ZN7rocprim17ROCPRIM_400000_NS6detail17trampoline_kernelINS0_14default_configENS1_25transform_config_selectorIhLb1EEEZNS1_14transform_implILb1ES3_S5_PhS7_NS0_8identityIhEEEE10hipError_tT2_T3_mT4_P12ihipStream_tbEUlT_E_NS1_11comp_targetILNS1_3genE0ELNS1_11target_archE4294967295ELNS1_3gpuE0ELNS1_3repE0EEENS1_30default_config_static_selectorELNS0_4arch9wavefront6targetE1EEEvT1_,comdat
	.protected	_ZN7rocprim17ROCPRIM_400000_NS6detail17trampoline_kernelINS0_14default_configENS1_25transform_config_selectorIhLb1EEEZNS1_14transform_implILb1ES3_S5_PhS7_NS0_8identityIhEEEE10hipError_tT2_T3_mT4_P12ihipStream_tbEUlT_E_NS1_11comp_targetILNS1_3genE0ELNS1_11target_archE4294967295ELNS1_3gpuE0ELNS1_3repE0EEENS1_30default_config_static_selectorELNS0_4arch9wavefront6targetE1EEEvT1_ ; -- Begin function _ZN7rocprim17ROCPRIM_400000_NS6detail17trampoline_kernelINS0_14default_configENS1_25transform_config_selectorIhLb1EEEZNS1_14transform_implILb1ES3_S5_PhS7_NS0_8identityIhEEEE10hipError_tT2_T3_mT4_P12ihipStream_tbEUlT_E_NS1_11comp_targetILNS1_3genE0ELNS1_11target_archE4294967295ELNS1_3gpuE0ELNS1_3repE0EEENS1_30default_config_static_selectorELNS0_4arch9wavefront6targetE1EEEvT1_
	.globl	_ZN7rocprim17ROCPRIM_400000_NS6detail17trampoline_kernelINS0_14default_configENS1_25transform_config_selectorIhLb1EEEZNS1_14transform_implILb1ES3_S5_PhS7_NS0_8identityIhEEEE10hipError_tT2_T3_mT4_P12ihipStream_tbEUlT_E_NS1_11comp_targetILNS1_3genE0ELNS1_11target_archE4294967295ELNS1_3gpuE0ELNS1_3repE0EEENS1_30default_config_static_selectorELNS0_4arch9wavefront6targetE1EEEvT1_
	.p2align	8
	.type	_ZN7rocprim17ROCPRIM_400000_NS6detail17trampoline_kernelINS0_14default_configENS1_25transform_config_selectorIhLb1EEEZNS1_14transform_implILb1ES3_S5_PhS7_NS0_8identityIhEEEE10hipError_tT2_T3_mT4_P12ihipStream_tbEUlT_E_NS1_11comp_targetILNS1_3genE0ELNS1_11target_archE4294967295ELNS1_3gpuE0ELNS1_3repE0EEENS1_30default_config_static_selectorELNS0_4arch9wavefront6targetE1EEEvT1_,@function
_ZN7rocprim17ROCPRIM_400000_NS6detail17trampoline_kernelINS0_14default_configENS1_25transform_config_selectorIhLb1EEEZNS1_14transform_implILb1ES3_S5_PhS7_NS0_8identityIhEEEE10hipError_tT2_T3_mT4_P12ihipStream_tbEUlT_E_NS1_11comp_targetILNS1_3genE0ELNS1_11target_archE4294967295ELNS1_3gpuE0ELNS1_3repE0EEENS1_30default_config_static_selectorELNS0_4arch9wavefront6targetE1EEEvT1_: ; @_ZN7rocprim17ROCPRIM_400000_NS6detail17trampoline_kernelINS0_14default_configENS1_25transform_config_selectorIhLb1EEEZNS1_14transform_implILb1ES3_S5_PhS7_NS0_8identityIhEEEE10hipError_tT2_T3_mT4_P12ihipStream_tbEUlT_E_NS1_11comp_targetILNS1_3genE0ELNS1_11target_archE4294967295ELNS1_3gpuE0ELNS1_3repE0EEENS1_30default_config_static_selectorELNS0_4arch9wavefront6targetE1EEEvT1_
; %bb.0:
	.section	.rodata,"a",@progbits
	.p2align	6, 0x0
	.amdhsa_kernel _ZN7rocprim17ROCPRIM_400000_NS6detail17trampoline_kernelINS0_14default_configENS1_25transform_config_selectorIhLb1EEEZNS1_14transform_implILb1ES3_S5_PhS7_NS0_8identityIhEEEE10hipError_tT2_T3_mT4_P12ihipStream_tbEUlT_E_NS1_11comp_targetILNS1_3genE0ELNS1_11target_archE4294967295ELNS1_3gpuE0ELNS1_3repE0EEENS1_30default_config_static_selectorELNS0_4arch9wavefront6targetE1EEEvT1_
		.amdhsa_group_segment_fixed_size 0
		.amdhsa_private_segment_fixed_size 0
		.amdhsa_kernarg_size 40
		.amdhsa_user_sgpr_count 6
		.amdhsa_user_sgpr_private_segment_buffer 1
		.amdhsa_user_sgpr_dispatch_ptr 0
		.amdhsa_user_sgpr_queue_ptr 0
		.amdhsa_user_sgpr_kernarg_segment_ptr 1
		.amdhsa_user_sgpr_dispatch_id 0
		.amdhsa_user_sgpr_flat_scratch_init 0
		.amdhsa_user_sgpr_private_segment_size 0
		.amdhsa_uses_dynamic_stack 0
		.amdhsa_system_sgpr_private_segment_wavefront_offset 0
		.amdhsa_system_sgpr_workgroup_id_x 1
		.amdhsa_system_sgpr_workgroup_id_y 0
		.amdhsa_system_sgpr_workgroup_id_z 0
		.amdhsa_system_sgpr_workgroup_info 0
		.amdhsa_system_vgpr_workitem_id 0
		.amdhsa_next_free_vgpr 1
		.amdhsa_next_free_sgpr 0
		.amdhsa_reserve_vcc 0
		.amdhsa_reserve_flat_scratch 0
		.amdhsa_float_round_mode_32 0
		.amdhsa_float_round_mode_16_64 0
		.amdhsa_float_denorm_mode_32 3
		.amdhsa_float_denorm_mode_16_64 3
		.amdhsa_dx10_clamp 1
		.amdhsa_ieee_mode 1
		.amdhsa_fp16_overflow 0
		.amdhsa_exception_fp_ieee_invalid_op 0
		.amdhsa_exception_fp_denorm_src 0
		.amdhsa_exception_fp_ieee_div_zero 0
		.amdhsa_exception_fp_ieee_overflow 0
		.amdhsa_exception_fp_ieee_underflow 0
		.amdhsa_exception_fp_ieee_inexact 0
		.amdhsa_exception_int_div_zero 0
	.end_amdhsa_kernel
	.section	.text._ZN7rocprim17ROCPRIM_400000_NS6detail17trampoline_kernelINS0_14default_configENS1_25transform_config_selectorIhLb1EEEZNS1_14transform_implILb1ES3_S5_PhS7_NS0_8identityIhEEEE10hipError_tT2_T3_mT4_P12ihipStream_tbEUlT_E_NS1_11comp_targetILNS1_3genE0ELNS1_11target_archE4294967295ELNS1_3gpuE0ELNS1_3repE0EEENS1_30default_config_static_selectorELNS0_4arch9wavefront6targetE1EEEvT1_,"axG",@progbits,_ZN7rocprim17ROCPRIM_400000_NS6detail17trampoline_kernelINS0_14default_configENS1_25transform_config_selectorIhLb1EEEZNS1_14transform_implILb1ES3_S5_PhS7_NS0_8identityIhEEEE10hipError_tT2_T3_mT4_P12ihipStream_tbEUlT_E_NS1_11comp_targetILNS1_3genE0ELNS1_11target_archE4294967295ELNS1_3gpuE0ELNS1_3repE0EEENS1_30default_config_static_selectorELNS0_4arch9wavefront6targetE1EEEvT1_,comdat
.Lfunc_end172:
	.size	_ZN7rocprim17ROCPRIM_400000_NS6detail17trampoline_kernelINS0_14default_configENS1_25transform_config_selectorIhLb1EEEZNS1_14transform_implILb1ES3_S5_PhS7_NS0_8identityIhEEEE10hipError_tT2_T3_mT4_P12ihipStream_tbEUlT_E_NS1_11comp_targetILNS1_3genE0ELNS1_11target_archE4294967295ELNS1_3gpuE0ELNS1_3repE0EEENS1_30default_config_static_selectorELNS0_4arch9wavefront6targetE1EEEvT1_, .Lfunc_end172-_ZN7rocprim17ROCPRIM_400000_NS6detail17trampoline_kernelINS0_14default_configENS1_25transform_config_selectorIhLb1EEEZNS1_14transform_implILb1ES3_S5_PhS7_NS0_8identityIhEEEE10hipError_tT2_T3_mT4_P12ihipStream_tbEUlT_E_NS1_11comp_targetILNS1_3genE0ELNS1_11target_archE4294967295ELNS1_3gpuE0ELNS1_3repE0EEENS1_30default_config_static_selectorELNS0_4arch9wavefront6targetE1EEEvT1_
                                        ; -- End function
	.set _ZN7rocprim17ROCPRIM_400000_NS6detail17trampoline_kernelINS0_14default_configENS1_25transform_config_selectorIhLb1EEEZNS1_14transform_implILb1ES3_S5_PhS7_NS0_8identityIhEEEE10hipError_tT2_T3_mT4_P12ihipStream_tbEUlT_E_NS1_11comp_targetILNS1_3genE0ELNS1_11target_archE4294967295ELNS1_3gpuE0ELNS1_3repE0EEENS1_30default_config_static_selectorELNS0_4arch9wavefront6targetE1EEEvT1_.num_vgpr, 0
	.set _ZN7rocprim17ROCPRIM_400000_NS6detail17trampoline_kernelINS0_14default_configENS1_25transform_config_selectorIhLb1EEEZNS1_14transform_implILb1ES3_S5_PhS7_NS0_8identityIhEEEE10hipError_tT2_T3_mT4_P12ihipStream_tbEUlT_E_NS1_11comp_targetILNS1_3genE0ELNS1_11target_archE4294967295ELNS1_3gpuE0ELNS1_3repE0EEENS1_30default_config_static_selectorELNS0_4arch9wavefront6targetE1EEEvT1_.num_agpr, 0
	.set _ZN7rocprim17ROCPRIM_400000_NS6detail17trampoline_kernelINS0_14default_configENS1_25transform_config_selectorIhLb1EEEZNS1_14transform_implILb1ES3_S5_PhS7_NS0_8identityIhEEEE10hipError_tT2_T3_mT4_P12ihipStream_tbEUlT_E_NS1_11comp_targetILNS1_3genE0ELNS1_11target_archE4294967295ELNS1_3gpuE0ELNS1_3repE0EEENS1_30default_config_static_selectorELNS0_4arch9wavefront6targetE1EEEvT1_.numbered_sgpr, 0
	.set _ZN7rocprim17ROCPRIM_400000_NS6detail17trampoline_kernelINS0_14default_configENS1_25transform_config_selectorIhLb1EEEZNS1_14transform_implILb1ES3_S5_PhS7_NS0_8identityIhEEEE10hipError_tT2_T3_mT4_P12ihipStream_tbEUlT_E_NS1_11comp_targetILNS1_3genE0ELNS1_11target_archE4294967295ELNS1_3gpuE0ELNS1_3repE0EEENS1_30default_config_static_selectorELNS0_4arch9wavefront6targetE1EEEvT1_.num_named_barrier, 0
	.set _ZN7rocprim17ROCPRIM_400000_NS6detail17trampoline_kernelINS0_14default_configENS1_25transform_config_selectorIhLb1EEEZNS1_14transform_implILb1ES3_S5_PhS7_NS0_8identityIhEEEE10hipError_tT2_T3_mT4_P12ihipStream_tbEUlT_E_NS1_11comp_targetILNS1_3genE0ELNS1_11target_archE4294967295ELNS1_3gpuE0ELNS1_3repE0EEENS1_30default_config_static_selectorELNS0_4arch9wavefront6targetE1EEEvT1_.private_seg_size, 0
	.set _ZN7rocprim17ROCPRIM_400000_NS6detail17trampoline_kernelINS0_14default_configENS1_25transform_config_selectorIhLb1EEEZNS1_14transform_implILb1ES3_S5_PhS7_NS0_8identityIhEEEE10hipError_tT2_T3_mT4_P12ihipStream_tbEUlT_E_NS1_11comp_targetILNS1_3genE0ELNS1_11target_archE4294967295ELNS1_3gpuE0ELNS1_3repE0EEENS1_30default_config_static_selectorELNS0_4arch9wavefront6targetE1EEEvT1_.uses_vcc, 0
	.set _ZN7rocprim17ROCPRIM_400000_NS6detail17trampoline_kernelINS0_14default_configENS1_25transform_config_selectorIhLb1EEEZNS1_14transform_implILb1ES3_S5_PhS7_NS0_8identityIhEEEE10hipError_tT2_T3_mT4_P12ihipStream_tbEUlT_E_NS1_11comp_targetILNS1_3genE0ELNS1_11target_archE4294967295ELNS1_3gpuE0ELNS1_3repE0EEENS1_30default_config_static_selectorELNS0_4arch9wavefront6targetE1EEEvT1_.uses_flat_scratch, 0
	.set _ZN7rocprim17ROCPRIM_400000_NS6detail17trampoline_kernelINS0_14default_configENS1_25transform_config_selectorIhLb1EEEZNS1_14transform_implILb1ES3_S5_PhS7_NS0_8identityIhEEEE10hipError_tT2_T3_mT4_P12ihipStream_tbEUlT_E_NS1_11comp_targetILNS1_3genE0ELNS1_11target_archE4294967295ELNS1_3gpuE0ELNS1_3repE0EEENS1_30default_config_static_selectorELNS0_4arch9wavefront6targetE1EEEvT1_.has_dyn_sized_stack, 0
	.set _ZN7rocprim17ROCPRIM_400000_NS6detail17trampoline_kernelINS0_14default_configENS1_25transform_config_selectorIhLb1EEEZNS1_14transform_implILb1ES3_S5_PhS7_NS0_8identityIhEEEE10hipError_tT2_T3_mT4_P12ihipStream_tbEUlT_E_NS1_11comp_targetILNS1_3genE0ELNS1_11target_archE4294967295ELNS1_3gpuE0ELNS1_3repE0EEENS1_30default_config_static_selectorELNS0_4arch9wavefront6targetE1EEEvT1_.has_recursion, 0
	.set _ZN7rocprim17ROCPRIM_400000_NS6detail17trampoline_kernelINS0_14default_configENS1_25transform_config_selectorIhLb1EEEZNS1_14transform_implILb1ES3_S5_PhS7_NS0_8identityIhEEEE10hipError_tT2_T3_mT4_P12ihipStream_tbEUlT_E_NS1_11comp_targetILNS1_3genE0ELNS1_11target_archE4294967295ELNS1_3gpuE0ELNS1_3repE0EEENS1_30default_config_static_selectorELNS0_4arch9wavefront6targetE1EEEvT1_.has_indirect_call, 0
	.section	.AMDGPU.csdata,"",@progbits
; Kernel info:
; codeLenInByte = 0
; TotalNumSgprs: 4
; NumVgprs: 0
; ScratchSize: 0
; MemoryBound: 0
; FloatMode: 240
; IeeeMode: 1
; LDSByteSize: 0 bytes/workgroup (compile time only)
; SGPRBlocks: 0
; VGPRBlocks: 0
; NumSGPRsForWavesPerEU: 4
; NumVGPRsForWavesPerEU: 1
; Occupancy: 10
; WaveLimiterHint : 0
; COMPUTE_PGM_RSRC2:SCRATCH_EN: 0
; COMPUTE_PGM_RSRC2:USER_SGPR: 6
; COMPUTE_PGM_RSRC2:TRAP_HANDLER: 0
; COMPUTE_PGM_RSRC2:TGID_X_EN: 1
; COMPUTE_PGM_RSRC2:TGID_Y_EN: 0
; COMPUTE_PGM_RSRC2:TGID_Z_EN: 0
; COMPUTE_PGM_RSRC2:TIDIG_COMP_CNT: 0
	.section	.text._ZN7rocprim17ROCPRIM_400000_NS6detail17trampoline_kernelINS0_14default_configENS1_25transform_config_selectorIhLb1EEEZNS1_14transform_implILb1ES3_S5_PhS7_NS0_8identityIhEEEE10hipError_tT2_T3_mT4_P12ihipStream_tbEUlT_E_NS1_11comp_targetILNS1_3genE10ELNS1_11target_archE1201ELNS1_3gpuE5ELNS1_3repE0EEENS1_30default_config_static_selectorELNS0_4arch9wavefront6targetE1EEEvT1_,"axG",@progbits,_ZN7rocprim17ROCPRIM_400000_NS6detail17trampoline_kernelINS0_14default_configENS1_25transform_config_selectorIhLb1EEEZNS1_14transform_implILb1ES3_S5_PhS7_NS0_8identityIhEEEE10hipError_tT2_T3_mT4_P12ihipStream_tbEUlT_E_NS1_11comp_targetILNS1_3genE10ELNS1_11target_archE1201ELNS1_3gpuE5ELNS1_3repE0EEENS1_30default_config_static_selectorELNS0_4arch9wavefront6targetE1EEEvT1_,comdat
	.protected	_ZN7rocprim17ROCPRIM_400000_NS6detail17trampoline_kernelINS0_14default_configENS1_25transform_config_selectorIhLb1EEEZNS1_14transform_implILb1ES3_S5_PhS7_NS0_8identityIhEEEE10hipError_tT2_T3_mT4_P12ihipStream_tbEUlT_E_NS1_11comp_targetILNS1_3genE10ELNS1_11target_archE1201ELNS1_3gpuE5ELNS1_3repE0EEENS1_30default_config_static_selectorELNS0_4arch9wavefront6targetE1EEEvT1_ ; -- Begin function _ZN7rocprim17ROCPRIM_400000_NS6detail17trampoline_kernelINS0_14default_configENS1_25transform_config_selectorIhLb1EEEZNS1_14transform_implILb1ES3_S5_PhS7_NS0_8identityIhEEEE10hipError_tT2_T3_mT4_P12ihipStream_tbEUlT_E_NS1_11comp_targetILNS1_3genE10ELNS1_11target_archE1201ELNS1_3gpuE5ELNS1_3repE0EEENS1_30default_config_static_selectorELNS0_4arch9wavefront6targetE1EEEvT1_
	.globl	_ZN7rocprim17ROCPRIM_400000_NS6detail17trampoline_kernelINS0_14default_configENS1_25transform_config_selectorIhLb1EEEZNS1_14transform_implILb1ES3_S5_PhS7_NS0_8identityIhEEEE10hipError_tT2_T3_mT4_P12ihipStream_tbEUlT_E_NS1_11comp_targetILNS1_3genE10ELNS1_11target_archE1201ELNS1_3gpuE5ELNS1_3repE0EEENS1_30default_config_static_selectorELNS0_4arch9wavefront6targetE1EEEvT1_
	.p2align	8
	.type	_ZN7rocprim17ROCPRIM_400000_NS6detail17trampoline_kernelINS0_14default_configENS1_25transform_config_selectorIhLb1EEEZNS1_14transform_implILb1ES3_S5_PhS7_NS0_8identityIhEEEE10hipError_tT2_T3_mT4_P12ihipStream_tbEUlT_E_NS1_11comp_targetILNS1_3genE10ELNS1_11target_archE1201ELNS1_3gpuE5ELNS1_3repE0EEENS1_30default_config_static_selectorELNS0_4arch9wavefront6targetE1EEEvT1_,@function
_ZN7rocprim17ROCPRIM_400000_NS6detail17trampoline_kernelINS0_14default_configENS1_25transform_config_selectorIhLb1EEEZNS1_14transform_implILb1ES3_S5_PhS7_NS0_8identityIhEEEE10hipError_tT2_T3_mT4_P12ihipStream_tbEUlT_E_NS1_11comp_targetILNS1_3genE10ELNS1_11target_archE1201ELNS1_3gpuE5ELNS1_3repE0EEENS1_30default_config_static_selectorELNS0_4arch9wavefront6targetE1EEEvT1_: ; @_ZN7rocprim17ROCPRIM_400000_NS6detail17trampoline_kernelINS0_14default_configENS1_25transform_config_selectorIhLb1EEEZNS1_14transform_implILb1ES3_S5_PhS7_NS0_8identityIhEEEE10hipError_tT2_T3_mT4_P12ihipStream_tbEUlT_E_NS1_11comp_targetILNS1_3genE10ELNS1_11target_archE1201ELNS1_3gpuE5ELNS1_3repE0EEENS1_30default_config_static_selectorELNS0_4arch9wavefront6targetE1EEEvT1_
; %bb.0:
	.section	.rodata,"a",@progbits
	.p2align	6, 0x0
	.amdhsa_kernel _ZN7rocprim17ROCPRIM_400000_NS6detail17trampoline_kernelINS0_14default_configENS1_25transform_config_selectorIhLb1EEEZNS1_14transform_implILb1ES3_S5_PhS7_NS0_8identityIhEEEE10hipError_tT2_T3_mT4_P12ihipStream_tbEUlT_E_NS1_11comp_targetILNS1_3genE10ELNS1_11target_archE1201ELNS1_3gpuE5ELNS1_3repE0EEENS1_30default_config_static_selectorELNS0_4arch9wavefront6targetE1EEEvT1_
		.amdhsa_group_segment_fixed_size 0
		.amdhsa_private_segment_fixed_size 0
		.amdhsa_kernarg_size 40
		.amdhsa_user_sgpr_count 6
		.amdhsa_user_sgpr_private_segment_buffer 1
		.amdhsa_user_sgpr_dispatch_ptr 0
		.amdhsa_user_sgpr_queue_ptr 0
		.amdhsa_user_sgpr_kernarg_segment_ptr 1
		.amdhsa_user_sgpr_dispatch_id 0
		.amdhsa_user_sgpr_flat_scratch_init 0
		.amdhsa_user_sgpr_private_segment_size 0
		.amdhsa_uses_dynamic_stack 0
		.amdhsa_system_sgpr_private_segment_wavefront_offset 0
		.amdhsa_system_sgpr_workgroup_id_x 1
		.amdhsa_system_sgpr_workgroup_id_y 0
		.amdhsa_system_sgpr_workgroup_id_z 0
		.amdhsa_system_sgpr_workgroup_info 0
		.amdhsa_system_vgpr_workitem_id 0
		.amdhsa_next_free_vgpr 1
		.amdhsa_next_free_sgpr 0
		.amdhsa_reserve_vcc 0
		.amdhsa_reserve_flat_scratch 0
		.amdhsa_float_round_mode_32 0
		.amdhsa_float_round_mode_16_64 0
		.amdhsa_float_denorm_mode_32 3
		.amdhsa_float_denorm_mode_16_64 3
		.amdhsa_dx10_clamp 1
		.amdhsa_ieee_mode 1
		.amdhsa_fp16_overflow 0
		.amdhsa_exception_fp_ieee_invalid_op 0
		.amdhsa_exception_fp_denorm_src 0
		.amdhsa_exception_fp_ieee_div_zero 0
		.amdhsa_exception_fp_ieee_overflow 0
		.amdhsa_exception_fp_ieee_underflow 0
		.amdhsa_exception_fp_ieee_inexact 0
		.amdhsa_exception_int_div_zero 0
	.end_amdhsa_kernel
	.section	.text._ZN7rocprim17ROCPRIM_400000_NS6detail17trampoline_kernelINS0_14default_configENS1_25transform_config_selectorIhLb1EEEZNS1_14transform_implILb1ES3_S5_PhS7_NS0_8identityIhEEEE10hipError_tT2_T3_mT4_P12ihipStream_tbEUlT_E_NS1_11comp_targetILNS1_3genE10ELNS1_11target_archE1201ELNS1_3gpuE5ELNS1_3repE0EEENS1_30default_config_static_selectorELNS0_4arch9wavefront6targetE1EEEvT1_,"axG",@progbits,_ZN7rocprim17ROCPRIM_400000_NS6detail17trampoline_kernelINS0_14default_configENS1_25transform_config_selectorIhLb1EEEZNS1_14transform_implILb1ES3_S5_PhS7_NS0_8identityIhEEEE10hipError_tT2_T3_mT4_P12ihipStream_tbEUlT_E_NS1_11comp_targetILNS1_3genE10ELNS1_11target_archE1201ELNS1_3gpuE5ELNS1_3repE0EEENS1_30default_config_static_selectorELNS0_4arch9wavefront6targetE1EEEvT1_,comdat
.Lfunc_end173:
	.size	_ZN7rocprim17ROCPRIM_400000_NS6detail17trampoline_kernelINS0_14default_configENS1_25transform_config_selectorIhLb1EEEZNS1_14transform_implILb1ES3_S5_PhS7_NS0_8identityIhEEEE10hipError_tT2_T3_mT4_P12ihipStream_tbEUlT_E_NS1_11comp_targetILNS1_3genE10ELNS1_11target_archE1201ELNS1_3gpuE5ELNS1_3repE0EEENS1_30default_config_static_selectorELNS0_4arch9wavefront6targetE1EEEvT1_, .Lfunc_end173-_ZN7rocprim17ROCPRIM_400000_NS6detail17trampoline_kernelINS0_14default_configENS1_25transform_config_selectorIhLb1EEEZNS1_14transform_implILb1ES3_S5_PhS7_NS0_8identityIhEEEE10hipError_tT2_T3_mT4_P12ihipStream_tbEUlT_E_NS1_11comp_targetILNS1_3genE10ELNS1_11target_archE1201ELNS1_3gpuE5ELNS1_3repE0EEENS1_30default_config_static_selectorELNS0_4arch9wavefront6targetE1EEEvT1_
                                        ; -- End function
	.set _ZN7rocprim17ROCPRIM_400000_NS6detail17trampoline_kernelINS0_14default_configENS1_25transform_config_selectorIhLb1EEEZNS1_14transform_implILb1ES3_S5_PhS7_NS0_8identityIhEEEE10hipError_tT2_T3_mT4_P12ihipStream_tbEUlT_E_NS1_11comp_targetILNS1_3genE10ELNS1_11target_archE1201ELNS1_3gpuE5ELNS1_3repE0EEENS1_30default_config_static_selectorELNS0_4arch9wavefront6targetE1EEEvT1_.num_vgpr, 0
	.set _ZN7rocprim17ROCPRIM_400000_NS6detail17trampoline_kernelINS0_14default_configENS1_25transform_config_selectorIhLb1EEEZNS1_14transform_implILb1ES3_S5_PhS7_NS0_8identityIhEEEE10hipError_tT2_T3_mT4_P12ihipStream_tbEUlT_E_NS1_11comp_targetILNS1_3genE10ELNS1_11target_archE1201ELNS1_3gpuE5ELNS1_3repE0EEENS1_30default_config_static_selectorELNS0_4arch9wavefront6targetE1EEEvT1_.num_agpr, 0
	.set _ZN7rocprim17ROCPRIM_400000_NS6detail17trampoline_kernelINS0_14default_configENS1_25transform_config_selectorIhLb1EEEZNS1_14transform_implILb1ES3_S5_PhS7_NS0_8identityIhEEEE10hipError_tT2_T3_mT4_P12ihipStream_tbEUlT_E_NS1_11comp_targetILNS1_3genE10ELNS1_11target_archE1201ELNS1_3gpuE5ELNS1_3repE0EEENS1_30default_config_static_selectorELNS0_4arch9wavefront6targetE1EEEvT1_.numbered_sgpr, 0
	.set _ZN7rocprim17ROCPRIM_400000_NS6detail17trampoline_kernelINS0_14default_configENS1_25transform_config_selectorIhLb1EEEZNS1_14transform_implILb1ES3_S5_PhS7_NS0_8identityIhEEEE10hipError_tT2_T3_mT4_P12ihipStream_tbEUlT_E_NS1_11comp_targetILNS1_3genE10ELNS1_11target_archE1201ELNS1_3gpuE5ELNS1_3repE0EEENS1_30default_config_static_selectorELNS0_4arch9wavefront6targetE1EEEvT1_.num_named_barrier, 0
	.set _ZN7rocprim17ROCPRIM_400000_NS6detail17trampoline_kernelINS0_14default_configENS1_25transform_config_selectorIhLb1EEEZNS1_14transform_implILb1ES3_S5_PhS7_NS0_8identityIhEEEE10hipError_tT2_T3_mT4_P12ihipStream_tbEUlT_E_NS1_11comp_targetILNS1_3genE10ELNS1_11target_archE1201ELNS1_3gpuE5ELNS1_3repE0EEENS1_30default_config_static_selectorELNS0_4arch9wavefront6targetE1EEEvT1_.private_seg_size, 0
	.set _ZN7rocprim17ROCPRIM_400000_NS6detail17trampoline_kernelINS0_14default_configENS1_25transform_config_selectorIhLb1EEEZNS1_14transform_implILb1ES3_S5_PhS7_NS0_8identityIhEEEE10hipError_tT2_T3_mT4_P12ihipStream_tbEUlT_E_NS1_11comp_targetILNS1_3genE10ELNS1_11target_archE1201ELNS1_3gpuE5ELNS1_3repE0EEENS1_30default_config_static_selectorELNS0_4arch9wavefront6targetE1EEEvT1_.uses_vcc, 0
	.set _ZN7rocprim17ROCPRIM_400000_NS6detail17trampoline_kernelINS0_14default_configENS1_25transform_config_selectorIhLb1EEEZNS1_14transform_implILb1ES3_S5_PhS7_NS0_8identityIhEEEE10hipError_tT2_T3_mT4_P12ihipStream_tbEUlT_E_NS1_11comp_targetILNS1_3genE10ELNS1_11target_archE1201ELNS1_3gpuE5ELNS1_3repE0EEENS1_30default_config_static_selectorELNS0_4arch9wavefront6targetE1EEEvT1_.uses_flat_scratch, 0
	.set _ZN7rocprim17ROCPRIM_400000_NS6detail17trampoline_kernelINS0_14default_configENS1_25transform_config_selectorIhLb1EEEZNS1_14transform_implILb1ES3_S5_PhS7_NS0_8identityIhEEEE10hipError_tT2_T3_mT4_P12ihipStream_tbEUlT_E_NS1_11comp_targetILNS1_3genE10ELNS1_11target_archE1201ELNS1_3gpuE5ELNS1_3repE0EEENS1_30default_config_static_selectorELNS0_4arch9wavefront6targetE1EEEvT1_.has_dyn_sized_stack, 0
	.set _ZN7rocprim17ROCPRIM_400000_NS6detail17trampoline_kernelINS0_14default_configENS1_25transform_config_selectorIhLb1EEEZNS1_14transform_implILb1ES3_S5_PhS7_NS0_8identityIhEEEE10hipError_tT2_T3_mT4_P12ihipStream_tbEUlT_E_NS1_11comp_targetILNS1_3genE10ELNS1_11target_archE1201ELNS1_3gpuE5ELNS1_3repE0EEENS1_30default_config_static_selectorELNS0_4arch9wavefront6targetE1EEEvT1_.has_recursion, 0
	.set _ZN7rocprim17ROCPRIM_400000_NS6detail17trampoline_kernelINS0_14default_configENS1_25transform_config_selectorIhLb1EEEZNS1_14transform_implILb1ES3_S5_PhS7_NS0_8identityIhEEEE10hipError_tT2_T3_mT4_P12ihipStream_tbEUlT_E_NS1_11comp_targetILNS1_3genE10ELNS1_11target_archE1201ELNS1_3gpuE5ELNS1_3repE0EEENS1_30default_config_static_selectorELNS0_4arch9wavefront6targetE1EEEvT1_.has_indirect_call, 0
	.section	.AMDGPU.csdata,"",@progbits
; Kernel info:
; codeLenInByte = 0
; TotalNumSgprs: 4
; NumVgprs: 0
; ScratchSize: 0
; MemoryBound: 0
; FloatMode: 240
; IeeeMode: 1
; LDSByteSize: 0 bytes/workgroup (compile time only)
; SGPRBlocks: 0
; VGPRBlocks: 0
; NumSGPRsForWavesPerEU: 4
; NumVGPRsForWavesPerEU: 1
; Occupancy: 10
; WaveLimiterHint : 0
; COMPUTE_PGM_RSRC2:SCRATCH_EN: 0
; COMPUTE_PGM_RSRC2:USER_SGPR: 6
; COMPUTE_PGM_RSRC2:TRAP_HANDLER: 0
; COMPUTE_PGM_RSRC2:TGID_X_EN: 1
; COMPUTE_PGM_RSRC2:TGID_Y_EN: 0
; COMPUTE_PGM_RSRC2:TGID_Z_EN: 0
; COMPUTE_PGM_RSRC2:TIDIG_COMP_CNT: 0
	.section	.text._ZN7rocprim17ROCPRIM_400000_NS6detail17trampoline_kernelINS0_14default_configENS1_25transform_config_selectorIhLb1EEEZNS1_14transform_implILb1ES3_S5_PhS7_NS0_8identityIhEEEE10hipError_tT2_T3_mT4_P12ihipStream_tbEUlT_E_NS1_11comp_targetILNS1_3genE5ELNS1_11target_archE942ELNS1_3gpuE9ELNS1_3repE0EEENS1_30default_config_static_selectorELNS0_4arch9wavefront6targetE1EEEvT1_,"axG",@progbits,_ZN7rocprim17ROCPRIM_400000_NS6detail17trampoline_kernelINS0_14default_configENS1_25transform_config_selectorIhLb1EEEZNS1_14transform_implILb1ES3_S5_PhS7_NS0_8identityIhEEEE10hipError_tT2_T3_mT4_P12ihipStream_tbEUlT_E_NS1_11comp_targetILNS1_3genE5ELNS1_11target_archE942ELNS1_3gpuE9ELNS1_3repE0EEENS1_30default_config_static_selectorELNS0_4arch9wavefront6targetE1EEEvT1_,comdat
	.protected	_ZN7rocprim17ROCPRIM_400000_NS6detail17trampoline_kernelINS0_14default_configENS1_25transform_config_selectorIhLb1EEEZNS1_14transform_implILb1ES3_S5_PhS7_NS0_8identityIhEEEE10hipError_tT2_T3_mT4_P12ihipStream_tbEUlT_E_NS1_11comp_targetILNS1_3genE5ELNS1_11target_archE942ELNS1_3gpuE9ELNS1_3repE0EEENS1_30default_config_static_selectorELNS0_4arch9wavefront6targetE1EEEvT1_ ; -- Begin function _ZN7rocprim17ROCPRIM_400000_NS6detail17trampoline_kernelINS0_14default_configENS1_25transform_config_selectorIhLb1EEEZNS1_14transform_implILb1ES3_S5_PhS7_NS0_8identityIhEEEE10hipError_tT2_T3_mT4_P12ihipStream_tbEUlT_E_NS1_11comp_targetILNS1_3genE5ELNS1_11target_archE942ELNS1_3gpuE9ELNS1_3repE0EEENS1_30default_config_static_selectorELNS0_4arch9wavefront6targetE1EEEvT1_
	.globl	_ZN7rocprim17ROCPRIM_400000_NS6detail17trampoline_kernelINS0_14default_configENS1_25transform_config_selectorIhLb1EEEZNS1_14transform_implILb1ES3_S5_PhS7_NS0_8identityIhEEEE10hipError_tT2_T3_mT4_P12ihipStream_tbEUlT_E_NS1_11comp_targetILNS1_3genE5ELNS1_11target_archE942ELNS1_3gpuE9ELNS1_3repE0EEENS1_30default_config_static_selectorELNS0_4arch9wavefront6targetE1EEEvT1_
	.p2align	8
	.type	_ZN7rocprim17ROCPRIM_400000_NS6detail17trampoline_kernelINS0_14default_configENS1_25transform_config_selectorIhLb1EEEZNS1_14transform_implILb1ES3_S5_PhS7_NS0_8identityIhEEEE10hipError_tT2_T3_mT4_P12ihipStream_tbEUlT_E_NS1_11comp_targetILNS1_3genE5ELNS1_11target_archE942ELNS1_3gpuE9ELNS1_3repE0EEENS1_30default_config_static_selectorELNS0_4arch9wavefront6targetE1EEEvT1_,@function
_ZN7rocprim17ROCPRIM_400000_NS6detail17trampoline_kernelINS0_14default_configENS1_25transform_config_selectorIhLb1EEEZNS1_14transform_implILb1ES3_S5_PhS7_NS0_8identityIhEEEE10hipError_tT2_T3_mT4_P12ihipStream_tbEUlT_E_NS1_11comp_targetILNS1_3genE5ELNS1_11target_archE942ELNS1_3gpuE9ELNS1_3repE0EEENS1_30default_config_static_selectorELNS0_4arch9wavefront6targetE1EEEvT1_: ; @_ZN7rocprim17ROCPRIM_400000_NS6detail17trampoline_kernelINS0_14default_configENS1_25transform_config_selectorIhLb1EEEZNS1_14transform_implILb1ES3_S5_PhS7_NS0_8identityIhEEEE10hipError_tT2_T3_mT4_P12ihipStream_tbEUlT_E_NS1_11comp_targetILNS1_3genE5ELNS1_11target_archE942ELNS1_3gpuE9ELNS1_3repE0EEENS1_30default_config_static_selectorELNS0_4arch9wavefront6targetE1EEEvT1_
; %bb.0:
	.section	.rodata,"a",@progbits
	.p2align	6, 0x0
	.amdhsa_kernel _ZN7rocprim17ROCPRIM_400000_NS6detail17trampoline_kernelINS0_14default_configENS1_25transform_config_selectorIhLb1EEEZNS1_14transform_implILb1ES3_S5_PhS7_NS0_8identityIhEEEE10hipError_tT2_T3_mT4_P12ihipStream_tbEUlT_E_NS1_11comp_targetILNS1_3genE5ELNS1_11target_archE942ELNS1_3gpuE9ELNS1_3repE0EEENS1_30default_config_static_selectorELNS0_4arch9wavefront6targetE1EEEvT1_
		.amdhsa_group_segment_fixed_size 0
		.amdhsa_private_segment_fixed_size 0
		.amdhsa_kernarg_size 40
		.amdhsa_user_sgpr_count 6
		.amdhsa_user_sgpr_private_segment_buffer 1
		.amdhsa_user_sgpr_dispatch_ptr 0
		.amdhsa_user_sgpr_queue_ptr 0
		.amdhsa_user_sgpr_kernarg_segment_ptr 1
		.amdhsa_user_sgpr_dispatch_id 0
		.amdhsa_user_sgpr_flat_scratch_init 0
		.amdhsa_user_sgpr_private_segment_size 0
		.amdhsa_uses_dynamic_stack 0
		.amdhsa_system_sgpr_private_segment_wavefront_offset 0
		.amdhsa_system_sgpr_workgroup_id_x 1
		.amdhsa_system_sgpr_workgroup_id_y 0
		.amdhsa_system_sgpr_workgroup_id_z 0
		.amdhsa_system_sgpr_workgroup_info 0
		.amdhsa_system_vgpr_workitem_id 0
		.amdhsa_next_free_vgpr 1
		.amdhsa_next_free_sgpr 0
		.amdhsa_reserve_vcc 0
		.amdhsa_reserve_flat_scratch 0
		.amdhsa_float_round_mode_32 0
		.amdhsa_float_round_mode_16_64 0
		.amdhsa_float_denorm_mode_32 3
		.amdhsa_float_denorm_mode_16_64 3
		.amdhsa_dx10_clamp 1
		.amdhsa_ieee_mode 1
		.amdhsa_fp16_overflow 0
		.amdhsa_exception_fp_ieee_invalid_op 0
		.amdhsa_exception_fp_denorm_src 0
		.amdhsa_exception_fp_ieee_div_zero 0
		.amdhsa_exception_fp_ieee_overflow 0
		.amdhsa_exception_fp_ieee_underflow 0
		.amdhsa_exception_fp_ieee_inexact 0
		.amdhsa_exception_int_div_zero 0
	.end_amdhsa_kernel
	.section	.text._ZN7rocprim17ROCPRIM_400000_NS6detail17trampoline_kernelINS0_14default_configENS1_25transform_config_selectorIhLb1EEEZNS1_14transform_implILb1ES3_S5_PhS7_NS0_8identityIhEEEE10hipError_tT2_T3_mT4_P12ihipStream_tbEUlT_E_NS1_11comp_targetILNS1_3genE5ELNS1_11target_archE942ELNS1_3gpuE9ELNS1_3repE0EEENS1_30default_config_static_selectorELNS0_4arch9wavefront6targetE1EEEvT1_,"axG",@progbits,_ZN7rocprim17ROCPRIM_400000_NS6detail17trampoline_kernelINS0_14default_configENS1_25transform_config_selectorIhLb1EEEZNS1_14transform_implILb1ES3_S5_PhS7_NS0_8identityIhEEEE10hipError_tT2_T3_mT4_P12ihipStream_tbEUlT_E_NS1_11comp_targetILNS1_3genE5ELNS1_11target_archE942ELNS1_3gpuE9ELNS1_3repE0EEENS1_30default_config_static_selectorELNS0_4arch9wavefront6targetE1EEEvT1_,comdat
.Lfunc_end174:
	.size	_ZN7rocprim17ROCPRIM_400000_NS6detail17trampoline_kernelINS0_14default_configENS1_25transform_config_selectorIhLb1EEEZNS1_14transform_implILb1ES3_S5_PhS7_NS0_8identityIhEEEE10hipError_tT2_T3_mT4_P12ihipStream_tbEUlT_E_NS1_11comp_targetILNS1_3genE5ELNS1_11target_archE942ELNS1_3gpuE9ELNS1_3repE0EEENS1_30default_config_static_selectorELNS0_4arch9wavefront6targetE1EEEvT1_, .Lfunc_end174-_ZN7rocprim17ROCPRIM_400000_NS6detail17trampoline_kernelINS0_14default_configENS1_25transform_config_selectorIhLb1EEEZNS1_14transform_implILb1ES3_S5_PhS7_NS0_8identityIhEEEE10hipError_tT2_T3_mT4_P12ihipStream_tbEUlT_E_NS1_11comp_targetILNS1_3genE5ELNS1_11target_archE942ELNS1_3gpuE9ELNS1_3repE0EEENS1_30default_config_static_selectorELNS0_4arch9wavefront6targetE1EEEvT1_
                                        ; -- End function
	.set _ZN7rocprim17ROCPRIM_400000_NS6detail17trampoline_kernelINS0_14default_configENS1_25transform_config_selectorIhLb1EEEZNS1_14transform_implILb1ES3_S5_PhS7_NS0_8identityIhEEEE10hipError_tT2_T3_mT4_P12ihipStream_tbEUlT_E_NS1_11comp_targetILNS1_3genE5ELNS1_11target_archE942ELNS1_3gpuE9ELNS1_3repE0EEENS1_30default_config_static_selectorELNS0_4arch9wavefront6targetE1EEEvT1_.num_vgpr, 0
	.set _ZN7rocprim17ROCPRIM_400000_NS6detail17trampoline_kernelINS0_14default_configENS1_25transform_config_selectorIhLb1EEEZNS1_14transform_implILb1ES3_S5_PhS7_NS0_8identityIhEEEE10hipError_tT2_T3_mT4_P12ihipStream_tbEUlT_E_NS1_11comp_targetILNS1_3genE5ELNS1_11target_archE942ELNS1_3gpuE9ELNS1_3repE0EEENS1_30default_config_static_selectorELNS0_4arch9wavefront6targetE1EEEvT1_.num_agpr, 0
	.set _ZN7rocprim17ROCPRIM_400000_NS6detail17trampoline_kernelINS0_14default_configENS1_25transform_config_selectorIhLb1EEEZNS1_14transform_implILb1ES3_S5_PhS7_NS0_8identityIhEEEE10hipError_tT2_T3_mT4_P12ihipStream_tbEUlT_E_NS1_11comp_targetILNS1_3genE5ELNS1_11target_archE942ELNS1_3gpuE9ELNS1_3repE0EEENS1_30default_config_static_selectorELNS0_4arch9wavefront6targetE1EEEvT1_.numbered_sgpr, 0
	.set _ZN7rocprim17ROCPRIM_400000_NS6detail17trampoline_kernelINS0_14default_configENS1_25transform_config_selectorIhLb1EEEZNS1_14transform_implILb1ES3_S5_PhS7_NS0_8identityIhEEEE10hipError_tT2_T3_mT4_P12ihipStream_tbEUlT_E_NS1_11comp_targetILNS1_3genE5ELNS1_11target_archE942ELNS1_3gpuE9ELNS1_3repE0EEENS1_30default_config_static_selectorELNS0_4arch9wavefront6targetE1EEEvT1_.num_named_barrier, 0
	.set _ZN7rocprim17ROCPRIM_400000_NS6detail17trampoline_kernelINS0_14default_configENS1_25transform_config_selectorIhLb1EEEZNS1_14transform_implILb1ES3_S5_PhS7_NS0_8identityIhEEEE10hipError_tT2_T3_mT4_P12ihipStream_tbEUlT_E_NS1_11comp_targetILNS1_3genE5ELNS1_11target_archE942ELNS1_3gpuE9ELNS1_3repE0EEENS1_30default_config_static_selectorELNS0_4arch9wavefront6targetE1EEEvT1_.private_seg_size, 0
	.set _ZN7rocprim17ROCPRIM_400000_NS6detail17trampoline_kernelINS0_14default_configENS1_25transform_config_selectorIhLb1EEEZNS1_14transform_implILb1ES3_S5_PhS7_NS0_8identityIhEEEE10hipError_tT2_T3_mT4_P12ihipStream_tbEUlT_E_NS1_11comp_targetILNS1_3genE5ELNS1_11target_archE942ELNS1_3gpuE9ELNS1_3repE0EEENS1_30default_config_static_selectorELNS0_4arch9wavefront6targetE1EEEvT1_.uses_vcc, 0
	.set _ZN7rocprim17ROCPRIM_400000_NS6detail17trampoline_kernelINS0_14default_configENS1_25transform_config_selectorIhLb1EEEZNS1_14transform_implILb1ES3_S5_PhS7_NS0_8identityIhEEEE10hipError_tT2_T3_mT4_P12ihipStream_tbEUlT_E_NS1_11comp_targetILNS1_3genE5ELNS1_11target_archE942ELNS1_3gpuE9ELNS1_3repE0EEENS1_30default_config_static_selectorELNS0_4arch9wavefront6targetE1EEEvT1_.uses_flat_scratch, 0
	.set _ZN7rocprim17ROCPRIM_400000_NS6detail17trampoline_kernelINS0_14default_configENS1_25transform_config_selectorIhLb1EEEZNS1_14transform_implILb1ES3_S5_PhS7_NS0_8identityIhEEEE10hipError_tT2_T3_mT4_P12ihipStream_tbEUlT_E_NS1_11comp_targetILNS1_3genE5ELNS1_11target_archE942ELNS1_3gpuE9ELNS1_3repE0EEENS1_30default_config_static_selectorELNS0_4arch9wavefront6targetE1EEEvT1_.has_dyn_sized_stack, 0
	.set _ZN7rocprim17ROCPRIM_400000_NS6detail17trampoline_kernelINS0_14default_configENS1_25transform_config_selectorIhLb1EEEZNS1_14transform_implILb1ES3_S5_PhS7_NS0_8identityIhEEEE10hipError_tT2_T3_mT4_P12ihipStream_tbEUlT_E_NS1_11comp_targetILNS1_3genE5ELNS1_11target_archE942ELNS1_3gpuE9ELNS1_3repE0EEENS1_30default_config_static_selectorELNS0_4arch9wavefront6targetE1EEEvT1_.has_recursion, 0
	.set _ZN7rocprim17ROCPRIM_400000_NS6detail17trampoline_kernelINS0_14default_configENS1_25transform_config_selectorIhLb1EEEZNS1_14transform_implILb1ES3_S5_PhS7_NS0_8identityIhEEEE10hipError_tT2_T3_mT4_P12ihipStream_tbEUlT_E_NS1_11comp_targetILNS1_3genE5ELNS1_11target_archE942ELNS1_3gpuE9ELNS1_3repE0EEENS1_30default_config_static_selectorELNS0_4arch9wavefront6targetE1EEEvT1_.has_indirect_call, 0
	.section	.AMDGPU.csdata,"",@progbits
; Kernel info:
; codeLenInByte = 0
; TotalNumSgprs: 4
; NumVgprs: 0
; ScratchSize: 0
; MemoryBound: 0
; FloatMode: 240
; IeeeMode: 1
; LDSByteSize: 0 bytes/workgroup (compile time only)
; SGPRBlocks: 0
; VGPRBlocks: 0
; NumSGPRsForWavesPerEU: 4
; NumVGPRsForWavesPerEU: 1
; Occupancy: 10
; WaveLimiterHint : 0
; COMPUTE_PGM_RSRC2:SCRATCH_EN: 0
; COMPUTE_PGM_RSRC2:USER_SGPR: 6
; COMPUTE_PGM_RSRC2:TRAP_HANDLER: 0
; COMPUTE_PGM_RSRC2:TGID_X_EN: 1
; COMPUTE_PGM_RSRC2:TGID_Y_EN: 0
; COMPUTE_PGM_RSRC2:TGID_Z_EN: 0
; COMPUTE_PGM_RSRC2:TIDIG_COMP_CNT: 0
	.section	.text._ZN7rocprim17ROCPRIM_400000_NS6detail17trampoline_kernelINS0_14default_configENS1_25transform_config_selectorIhLb1EEEZNS1_14transform_implILb1ES3_S5_PhS7_NS0_8identityIhEEEE10hipError_tT2_T3_mT4_P12ihipStream_tbEUlT_E_NS1_11comp_targetILNS1_3genE4ELNS1_11target_archE910ELNS1_3gpuE8ELNS1_3repE0EEENS1_30default_config_static_selectorELNS0_4arch9wavefront6targetE1EEEvT1_,"axG",@progbits,_ZN7rocprim17ROCPRIM_400000_NS6detail17trampoline_kernelINS0_14default_configENS1_25transform_config_selectorIhLb1EEEZNS1_14transform_implILb1ES3_S5_PhS7_NS0_8identityIhEEEE10hipError_tT2_T3_mT4_P12ihipStream_tbEUlT_E_NS1_11comp_targetILNS1_3genE4ELNS1_11target_archE910ELNS1_3gpuE8ELNS1_3repE0EEENS1_30default_config_static_selectorELNS0_4arch9wavefront6targetE1EEEvT1_,comdat
	.protected	_ZN7rocprim17ROCPRIM_400000_NS6detail17trampoline_kernelINS0_14default_configENS1_25transform_config_selectorIhLb1EEEZNS1_14transform_implILb1ES3_S5_PhS7_NS0_8identityIhEEEE10hipError_tT2_T3_mT4_P12ihipStream_tbEUlT_E_NS1_11comp_targetILNS1_3genE4ELNS1_11target_archE910ELNS1_3gpuE8ELNS1_3repE0EEENS1_30default_config_static_selectorELNS0_4arch9wavefront6targetE1EEEvT1_ ; -- Begin function _ZN7rocprim17ROCPRIM_400000_NS6detail17trampoline_kernelINS0_14default_configENS1_25transform_config_selectorIhLb1EEEZNS1_14transform_implILb1ES3_S5_PhS7_NS0_8identityIhEEEE10hipError_tT2_T3_mT4_P12ihipStream_tbEUlT_E_NS1_11comp_targetILNS1_3genE4ELNS1_11target_archE910ELNS1_3gpuE8ELNS1_3repE0EEENS1_30default_config_static_selectorELNS0_4arch9wavefront6targetE1EEEvT1_
	.globl	_ZN7rocprim17ROCPRIM_400000_NS6detail17trampoline_kernelINS0_14default_configENS1_25transform_config_selectorIhLb1EEEZNS1_14transform_implILb1ES3_S5_PhS7_NS0_8identityIhEEEE10hipError_tT2_T3_mT4_P12ihipStream_tbEUlT_E_NS1_11comp_targetILNS1_3genE4ELNS1_11target_archE910ELNS1_3gpuE8ELNS1_3repE0EEENS1_30default_config_static_selectorELNS0_4arch9wavefront6targetE1EEEvT1_
	.p2align	8
	.type	_ZN7rocprim17ROCPRIM_400000_NS6detail17trampoline_kernelINS0_14default_configENS1_25transform_config_selectorIhLb1EEEZNS1_14transform_implILb1ES3_S5_PhS7_NS0_8identityIhEEEE10hipError_tT2_T3_mT4_P12ihipStream_tbEUlT_E_NS1_11comp_targetILNS1_3genE4ELNS1_11target_archE910ELNS1_3gpuE8ELNS1_3repE0EEENS1_30default_config_static_selectorELNS0_4arch9wavefront6targetE1EEEvT1_,@function
_ZN7rocprim17ROCPRIM_400000_NS6detail17trampoline_kernelINS0_14default_configENS1_25transform_config_selectorIhLb1EEEZNS1_14transform_implILb1ES3_S5_PhS7_NS0_8identityIhEEEE10hipError_tT2_T3_mT4_P12ihipStream_tbEUlT_E_NS1_11comp_targetILNS1_3genE4ELNS1_11target_archE910ELNS1_3gpuE8ELNS1_3repE0EEENS1_30default_config_static_selectorELNS0_4arch9wavefront6targetE1EEEvT1_: ; @_ZN7rocprim17ROCPRIM_400000_NS6detail17trampoline_kernelINS0_14default_configENS1_25transform_config_selectorIhLb1EEEZNS1_14transform_implILb1ES3_S5_PhS7_NS0_8identityIhEEEE10hipError_tT2_T3_mT4_P12ihipStream_tbEUlT_E_NS1_11comp_targetILNS1_3genE4ELNS1_11target_archE910ELNS1_3gpuE8ELNS1_3repE0EEENS1_30default_config_static_selectorELNS0_4arch9wavefront6targetE1EEEvT1_
; %bb.0:
	.section	.rodata,"a",@progbits
	.p2align	6, 0x0
	.amdhsa_kernel _ZN7rocprim17ROCPRIM_400000_NS6detail17trampoline_kernelINS0_14default_configENS1_25transform_config_selectorIhLb1EEEZNS1_14transform_implILb1ES3_S5_PhS7_NS0_8identityIhEEEE10hipError_tT2_T3_mT4_P12ihipStream_tbEUlT_E_NS1_11comp_targetILNS1_3genE4ELNS1_11target_archE910ELNS1_3gpuE8ELNS1_3repE0EEENS1_30default_config_static_selectorELNS0_4arch9wavefront6targetE1EEEvT1_
		.amdhsa_group_segment_fixed_size 0
		.amdhsa_private_segment_fixed_size 0
		.amdhsa_kernarg_size 40
		.amdhsa_user_sgpr_count 6
		.amdhsa_user_sgpr_private_segment_buffer 1
		.amdhsa_user_sgpr_dispatch_ptr 0
		.amdhsa_user_sgpr_queue_ptr 0
		.amdhsa_user_sgpr_kernarg_segment_ptr 1
		.amdhsa_user_sgpr_dispatch_id 0
		.amdhsa_user_sgpr_flat_scratch_init 0
		.amdhsa_user_sgpr_private_segment_size 0
		.amdhsa_uses_dynamic_stack 0
		.amdhsa_system_sgpr_private_segment_wavefront_offset 0
		.amdhsa_system_sgpr_workgroup_id_x 1
		.amdhsa_system_sgpr_workgroup_id_y 0
		.amdhsa_system_sgpr_workgroup_id_z 0
		.amdhsa_system_sgpr_workgroup_info 0
		.amdhsa_system_vgpr_workitem_id 0
		.amdhsa_next_free_vgpr 1
		.amdhsa_next_free_sgpr 0
		.amdhsa_reserve_vcc 0
		.amdhsa_reserve_flat_scratch 0
		.amdhsa_float_round_mode_32 0
		.amdhsa_float_round_mode_16_64 0
		.amdhsa_float_denorm_mode_32 3
		.amdhsa_float_denorm_mode_16_64 3
		.amdhsa_dx10_clamp 1
		.amdhsa_ieee_mode 1
		.amdhsa_fp16_overflow 0
		.amdhsa_exception_fp_ieee_invalid_op 0
		.amdhsa_exception_fp_denorm_src 0
		.amdhsa_exception_fp_ieee_div_zero 0
		.amdhsa_exception_fp_ieee_overflow 0
		.amdhsa_exception_fp_ieee_underflow 0
		.amdhsa_exception_fp_ieee_inexact 0
		.amdhsa_exception_int_div_zero 0
	.end_amdhsa_kernel
	.section	.text._ZN7rocprim17ROCPRIM_400000_NS6detail17trampoline_kernelINS0_14default_configENS1_25transform_config_selectorIhLb1EEEZNS1_14transform_implILb1ES3_S5_PhS7_NS0_8identityIhEEEE10hipError_tT2_T3_mT4_P12ihipStream_tbEUlT_E_NS1_11comp_targetILNS1_3genE4ELNS1_11target_archE910ELNS1_3gpuE8ELNS1_3repE0EEENS1_30default_config_static_selectorELNS0_4arch9wavefront6targetE1EEEvT1_,"axG",@progbits,_ZN7rocprim17ROCPRIM_400000_NS6detail17trampoline_kernelINS0_14default_configENS1_25transform_config_selectorIhLb1EEEZNS1_14transform_implILb1ES3_S5_PhS7_NS0_8identityIhEEEE10hipError_tT2_T3_mT4_P12ihipStream_tbEUlT_E_NS1_11comp_targetILNS1_3genE4ELNS1_11target_archE910ELNS1_3gpuE8ELNS1_3repE0EEENS1_30default_config_static_selectorELNS0_4arch9wavefront6targetE1EEEvT1_,comdat
.Lfunc_end175:
	.size	_ZN7rocprim17ROCPRIM_400000_NS6detail17trampoline_kernelINS0_14default_configENS1_25transform_config_selectorIhLb1EEEZNS1_14transform_implILb1ES3_S5_PhS7_NS0_8identityIhEEEE10hipError_tT2_T3_mT4_P12ihipStream_tbEUlT_E_NS1_11comp_targetILNS1_3genE4ELNS1_11target_archE910ELNS1_3gpuE8ELNS1_3repE0EEENS1_30default_config_static_selectorELNS0_4arch9wavefront6targetE1EEEvT1_, .Lfunc_end175-_ZN7rocprim17ROCPRIM_400000_NS6detail17trampoline_kernelINS0_14default_configENS1_25transform_config_selectorIhLb1EEEZNS1_14transform_implILb1ES3_S5_PhS7_NS0_8identityIhEEEE10hipError_tT2_T3_mT4_P12ihipStream_tbEUlT_E_NS1_11comp_targetILNS1_3genE4ELNS1_11target_archE910ELNS1_3gpuE8ELNS1_3repE0EEENS1_30default_config_static_selectorELNS0_4arch9wavefront6targetE1EEEvT1_
                                        ; -- End function
	.set _ZN7rocprim17ROCPRIM_400000_NS6detail17trampoline_kernelINS0_14default_configENS1_25transform_config_selectorIhLb1EEEZNS1_14transform_implILb1ES3_S5_PhS7_NS0_8identityIhEEEE10hipError_tT2_T3_mT4_P12ihipStream_tbEUlT_E_NS1_11comp_targetILNS1_3genE4ELNS1_11target_archE910ELNS1_3gpuE8ELNS1_3repE0EEENS1_30default_config_static_selectorELNS0_4arch9wavefront6targetE1EEEvT1_.num_vgpr, 0
	.set _ZN7rocprim17ROCPRIM_400000_NS6detail17trampoline_kernelINS0_14default_configENS1_25transform_config_selectorIhLb1EEEZNS1_14transform_implILb1ES3_S5_PhS7_NS0_8identityIhEEEE10hipError_tT2_T3_mT4_P12ihipStream_tbEUlT_E_NS1_11comp_targetILNS1_3genE4ELNS1_11target_archE910ELNS1_3gpuE8ELNS1_3repE0EEENS1_30default_config_static_selectorELNS0_4arch9wavefront6targetE1EEEvT1_.num_agpr, 0
	.set _ZN7rocprim17ROCPRIM_400000_NS6detail17trampoline_kernelINS0_14default_configENS1_25transform_config_selectorIhLb1EEEZNS1_14transform_implILb1ES3_S5_PhS7_NS0_8identityIhEEEE10hipError_tT2_T3_mT4_P12ihipStream_tbEUlT_E_NS1_11comp_targetILNS1_3genE4ELNS1_11target_archE910ELNS1_3gpuE8ELNS1_3repE0EEENS1_30default_config_static_selectorELNS0_4arch9wavefront6targetE1EEEvT1_.numbered_sgpr, 0
	.set _ZN7rocprim17ROCPRIM_400000_NS6detail17trampoline_kernelINS0_14default_configENS1_25transform_config_selectorIhLb1EEEZNS1_14transform_implILb1ES3_S5_PhS7_NS0_8identityIhEEEE10hipError_tT2_T3_mT4_P12ihipStream_tbEUlT_E_NS1_11comp_targetILNS1_3genE4ELNS1_11target_archE910ELNS1_3gpuE8ELNS1_3repE0EEENS1_30default_config_static_selectorELNS0_4arch9wavefront6targetE1EEEvT1_.num_named_barrier, 0
	.set _ZN7rocprim17ROCPRIM_400000_NS6detail17trampoline_kernelINS0_14default_configENS1_25transform_config_selectorIhLb1EEEZNS1_14transform_implILb1ES3_S5_PhS7_NS0_8identityIhEEEE10hipError_tT2_T3_mT4_P12ihipStream_tbEUlT_E_NS1_11comp_targetILNS1_3genE4ELNS1_11target_archE910ELNS1_3gpuE8ELNS1_3repE0EEENS1_30default_config_static_selectorELNS0_4arch9wavefront6targetE1EEEvT1_.private_seg_size, 0
	.set _ZN7rocprim17ROCPRIM_400000_NS6detail17trampoline_kernelINS0_14default_configENS1_25transform_config_selectorIhLb1EEEZNS1_14transform_implILb1ES3_S5_PhS7_NS0_8identityIhEEEE10hipError_tT2_T3_mT4_P12ihipStream_tbEUlT_E_NS1_11comp_targetILNS1_3genE4ELNS1_11target_archE910ELNS1_3gpuE8ELNS1_3repE0EEENS1_30default_config_static_selectorELNS0_4arch9wavefront6targetE1EEEvT1_.uses_vcc, 0
	.set _ZN7rocprim17ROCPRIM_400000_NS6detail17trampoline_kernelINS0_14default_configENS1_25transform_config_selectorIhLb1EEEZNS1_14transform_implILb1ES3_S5_PhS7_NS0_8identityIhEEEE10hipError_tT2_T3_mT4_P12ihipStream_tbEUlT_E_NS1_11comp_targetILNS1_3genE4ELNS1_11target_archE910ELNS1_3gpuE8ELNS1_3repE0EEENS1_30default_config_static_selectorELNS0_4arch9wavefront6targetE1EEEvT1_.uses_flat_scratch, 0
	.set _ZN7rocprim17ROCPRIM_400000_NS6detail17trampoline_kernelINS0_14default_configENS1_25transform_config_selectorIhLb1EEEZNS1_14transform_implILb1ES3_S5_PhS7_NS0_8identityIhEEEE10hipError_tT2_T3_mT4_P12ihipStream_tbEUlT_E_NS1_11comp_targetILNS1_3genE4ELNS1_11target_archE910ELNS1_3gpuE8ELNS1_3repE0EEENS1_30default_config_static_selectorELNS0_4arch9wavefront6targetE1EEEvT1_.has_dyn_sized_stack, 0
	.set _ZN7rocprim17ROCPRIM_400000_NS6detail17trampoline_kernelINS0_14default_configENS1_25transform_config_selectorIhLb1EEEZNS1_14transform_implILb1ES3_S5_PhS7_NS0_8identityIhEEEE10hipError_tT2_T3_mT4_P12ihipStream_tbEUlT_E_NS1_11comp_targetILNS1_3genE4ELNS1_11target_archE910ELNS1_3gpuE8ELNS1_3repE0EEENS1_30default_config_static_selectorELNS0_4arch9wavefront6targetE1EEEvT1_.has_recursion, 0
	.set _ZN7rocprim17ROCPRIM_400000_NS6detail17trampoline_kernelINS0_14default_configENS1_25transform_config_selectorIhLb1EEEZNS1_14transform_implILb1ES3_S5_PhS7_NS0_8identityIhEEEE10hipError_tT2_T3_mT4_P12ihipStream_tbEUlT_E_NS1_11comp_targetILNS1_3genE4ELNS1_11target_archE910ELNS1_3gpuE8ELNS1_3repE0EEENS1_30default_config_static_selectorELNS0_4arch9wavefront6targetE1EEEvT1_.has_indirect_call, 0
	.section	.AMDGPU.csdata,"",@progbits
; Kernel info:
; codeLenInByte = 0
; TotalNumSgprs: 4
; NumVgprs: 0
; ScratchSize: 0
; MemoryBound: 0
; FloatMode: 240
; IeeeMode: 1
; LDSByteSize: 0 bytes/workgroup (compile time only)
; SGPRBlocks: 0
; VGPRBlocks: 0
; NumSGPRsForWavesPerEU: 4
; NumVGPRsForWavesPerEU: 1
; Occupancy: 10
; WaveLimiterHint : 0
; COMPUTE_PGM_RSRC2:SCRATCH_EN: 0
; COMPUTE_PGM_RSRC2:USER_SGPR: 6
; COMPUTE_PGM_RSRC2:TRAP_HANDLER: 0
; COMPUTE_PGM_RSRC2:TGID_X_EN: 1
; COMPUTE_PGM_RSRC2:TGID_Y_EN: 0
; COMPUTE_PGM_RSRC2:TGID_Z_EN: 0
; COMPUTE_PGM_RSRC2:TIDIG_COMP_CNT: 0
	.section	.text._ZN7rocprim17ROCPRIM_400000_NS6detail17trampoline_kernelINS0_14default_configENS1_25transform_config_selectorIhLb1EEEZNS1_14transform_implILb1ES3_S5_PhS7_NS0_8identityIhEEEE10hipError_tT2_T3_mT4_P12ihipStream_tbEUlT_E_NS1_11comp_targetILNS1_3genE3ELNS1_11target_archE908ELNS1_3gpuE7ELNS1_3repE0EEENS1_30default_config_static_selectorELNS0_4arch9wavefront6targetE1EEEvT1_,"axG",@progbits,_ZN7rocprim17ROCPRIM_400000_NS6detail17trampoline_kernelINS0_14default_configENS1_25transform_config_selectorIhLb1EEEZNS1_14transform_implILb1ES3_S5_PhS7_NS0_8identityIhEEEE10hipError_tT2_T3_mT4_P12ihipStream_tbEUlT_E_NS1_11comp_targetILNS1_3genE3ELNS1_11target_archE908ELNS1_3gpuE7ELNS1_3repE0EEENS1_30default_config_static_selectorELNS0_4arch9wavefront6targetE1EEEvT1_,comdat
	.protected	_ZN7rocprim17ROCPRIM_400000_NS6detail17trampoline_kernelINS0_14default_configENS1_25transform_config_selectorIhLb1EEEZNS1_14transform_implILb1ES3_S5_PhS7_NS0_8identityIhEEEE10hipError_tT2_T3_mT4_P12ihipStream_tbEUlT_E_NS1_11comp_targetILNS1_3genE3ELNS1_11target_archE908ELNS1_3gpuE7ELNS1_3repE0EEENS1_30default_config_static_selectorELNS0_4arch9wavefront6targetE1EEEvT1_ ; -- Begin function _ZN7rocprim17ROCPRIM_400000_NS6detail17trampoline_kernelINS0_14default_configENS1_25transform_config_selectorIhLb1EEEZNS1_14transform_implILb1ES3_S5_PhS7_NS0_8identityIhEEEE10hipError_tT2_T3_mT4_P12ihipStream_tbEUlT_E_NS1_11comp_targetILNS1_3genE3ELNS1_11target_archE908ELNS1_3gpuE7ELNS1_3repE0EEENS1_30default_config_static_selectorELNS0_4arch9wavefront6targetE1EEEvT1_
	.globl	_ZN7rocprim17ROCPRIM_400000_NS6detail17trampoline_kernelINS0_14default_configENS1_25transform_config_selectorIhLb1EEEZNS1_14transform_implILb1ES3_S5_PhS7_NS0_8identityIhEEEE10hipError_tT2_T3_mT4_P12ihipStream_tbEUlT_E_NS1_11comp_targetILNS1_3genE3ELNS1_11target_archE908ELNS1_3gpuE7ELNS1_3repE0EEENS1_30default_config_static_selectorELNS0_4arch9wavefront6targetE1EEEvT1_
	.p2align	8
	.type	_ZN7rocprim17ROCPRIM_400000_NS6detail17trampoline_kernelINS0_14default_configENS1_25transform_config_selectorIhLb1EEEZNS1_14transform_implILb1ES3_S5_PhS7_NS0_8identityIhEEEE10hipError_tT2_T3_mT4_P12ihipStream_tbEUlT_E_NS1_11comp_targetILNS1_3genE3ELNS1_11target_archE908ELNS1_3gpuE7ELNS1_3repE0EEENS1_30default_config_static_selectorELNS0_4arch9wavefront6targetE1EEEvT1_,@function
_ZN7rocprim17ROCPRIM_400000_NS6detail17trampoline_kernelINS0_14default_configENS1_25transform_config_selectorIhLb1EEEZNS1_14transform_implILb1ES3_S5_PhS7_NS0_8identityIhEEEE10hipError_tT2_T3_mT4_P12ihipStream_tbEUlT_E_NS1_11comp_targetILNS1_3genE3ELNS1_11target_archE908ELNS1_3gpuE7ELNS1_3repE0EEENS1_30default_config_static_selectorELNS0_4arch9wavefront6targetE1EEEvT1_: ; @_ZN7rocprim17ROCPRIM_400000_NS6detail17trampoline_kernelINS0_14default_configENS1_25transform_config_selectorIhLb1EEEZNS1_14transform_implILb1ES3_S5_PhS7_NS0_8identityIhEEEE10hipError_tT2_T3_mT4_P12ihipStream_tbEUlT_E_NS1_11comp_targetILNS1_3genE3ELNS1_11target_archE908ELNS1_3gpuE7ELNS1_3repE0EEENS1_30default_config_static_selectorELNS0_4arch9wavefront6targetE1EEEvT1_
; %bb.0:
	.section	.rodata,"a",@progbits
	.p2align	6, 0x0
	.amdhsa_kernel _ZN7rocprim17ROCPRIM_400000_NS6detail17trampoline_kernelINS0_14default_configENS1_25transform_config_selectorIhLb1EEEZNS1_14transform_implILb1ES3_S5_PhS7_NS0_8identityIhEEEE10hipError_tT2_T3_mT4_P12ihipStream_tbEUlT_E_NS1_11comp_targetILNS1_3genE3ELNS1_11target_archE908ELNS1_3gpuE7ELNS1_3repE0EEENS1_30default_config_static_selectorELNS0_4arch9wavefront6targetE1EEEvT1_
		.amdhsa_group_segment_fixed_size 0
		.amdhsa_private_segment_fixed_size 0
		.amdhsa_kernarg_size 40
		.amdhsa_user_sgpr_count 6
		.amdhsa_user_sgpr_private_segment_buffer 1
		.amdhsa_user_sgpr_dispatch_ptr 0
		.amdhsa_user_sgpr_queue_ptr 0
		.amdhsa_user_sgpr_kernarg_segment_ptr 1
		.amdhsa_user_sgpr_dispatch_id 0
		.amdhsa_user_sgpr_flat_scratch_init 0
		.amdhsa_user_sgpr_private_segment_size 0
		.amdhsa_uses_dynamic_stack 0
		.amdhsa_system_sgpr_private_segment_wavefront_offset 0
		.amdhsa_system_sgpr_workgroup_id_x 1
		.amdhsa_system_sgpr_workgroup_id_y 0
		.amdhsa_system_sgpr_workgroup_id_z 0
		.amdhsa_system_sgpr_workgroup_info 0
		.amdhsa_system_vgpr_workitem_id 0
		.amdhsa_next_free_vgpr 1
		.amdhsa_next_free_sgpr 0
		.amdhsa_reserve_vcc 0
		.amdhsa_reserve_flat_scratch 0
		.amdhsa_float_round_mode_32 0
		.amdhsa_float_round_mode_16_64 0
		.amdhsa_float_denorm_mode_32 3
		.amdhsa_float_denorm_mode_16_64 3
		.amdhsa_dx10_clamp 1
		.amdhsa_ieee_mode 1
		.amdhsa_fp16_overflow 0
		.amdhsa_exception_fp_ieee_invalid_op 0
		.amdhsa_exception_fp_denorm_src 0
		.amdhsa_exception_fp_ieee_div_zero 0
		.amdhsa_exception_fp_ieee_overflow 0
		.amdhsa_exception_fp_ieee_underflow 0
		.amdhsa_exception_fp_ieee_inexact 0
		.amdhsa_exception_int_div_zero 0
	.end_amdhsa_kernel
	.section	.text._ZN7rocprim17ROCPRIM_400000_NS6detail17trampoline_kernelINS0_14default_configENS1_25transform_config_selectorIhLb1EEEZNS1_14transform_implILb1ES3_S5_PhS7_NS0_8identityIhEEEE10hipError_tT2_T3_mT4_P12ihipStream_tbEUlT_E_NS1_11comp_targetILNS1_3genE3ELNS1_11target_archE908ELNS1_3gpuE7ELNS1_3repE0EEENS1_30default_config_static_selectorELNS0_4arch9wavefront6targetE1EEEvT1_,"axG",@progbits,_ZN7rocprim17ROCPRIM_400000_NS6detail17trampoline_kernelINS0_14default_configENS1_25transform_config_selectorIhLb1EEEZNS1_14transform_implILb1ES3_S5_PhS7_NS0_8identityIhEEEE10hipError_tT2_T3_mT4_P12ihipStream_tbEUlT_E_NS1_11comp_targetILNS1_3genE3ELNS1_11target_archE908ELNS1_3gpuE7ELNS1_3repE0EEENS1_30default_config_static_selectorELNS0_4arch9wavefront6targetE1EEEvT1_,comdat
.Lfunc_end176:
	.size	_ZN7rocprim17ROCPRIM_400000_NS6detail17trampoline_kernelINS0_14default_configENS1_25transform_config_selectorIhLb1EEEZNS1_14transform_implILb1ES3_S5_PhS7_NS0_8identityIhEEEE10hipError_tT2_T3_mT4_P12ihipStream_tbEUlT_E_NS1_11comp_targetILNS1_3genE3ELNS1_11target_archE908ELNS1_3gpuE7ELNS1_3repE0EEENS1_30default_config_static_selectorELNS0_4arch9wavefront6targetE1EEEvT1_, .Lfunc_end176-_ZN7rocprim17ROCPRIM_400000_NS6detail17trampoline_kernelINS0_14default_configENS1_25transform_config_selectorIhLb1EEEZNS1_14transform_implILb1ES3_S5_PhS7_NS0_8identityIhEEEE10hipError_tT2_T3_mT4_P12ihipStream_tbEUlT_E_NS1_11comp_targetILNS1_3genE3ELNS1_11target_archE908ELNS1_3gpuE7ELNS1_3repE0EEENS1_30default_config_static_selectorELNS0_4arch9wavefront6targetE1EEEvT1_
                                        ; -- End function
	.set _ZN7rocprim17ROCPRIM_400000_NS6detail17trampoline_kernelINS0_14default_configENS1_25transform_config_selectorIhLb1EEEZNS1_14transform_implILb1ES3_S5_PhS7_NS0_8identityIhEEEE10hipError_tT2_T3_mT4_P12ihipStream_tbEUlT_E_NS1_11comp_targetILNS1_3genE3ELNS1_11target_archE908ELNS1_3gpuE7ELNS1_3repE0EEENS1_30default_config_static_selectorELNS0_4arch9wavefront6targetE1EEEvT1_.num_vgpr, 0
	.set _ZN7rocprim17ROCPRIM_400000_NS6detail17trampoline_kernelINS0_14default_configENS1_25transform_config_selectorIhLb1EEEZNS1_14transform_implILb1ES3_S5_PhS7_NS0_8identityIhEEEE10hipError_tT2_T3_mT4_P12ihipStream_tbEUlT_E_NS1_11comp_targetILNS1_3genE3ELNS1_11target_archE908ELNS1_3gpuE7ELNS1_3repE0EEENS1_30default_config_static_selectorELNS0_4arch9wavefront6targetE1EEEvT1_.num_agpr, 0
	.set _ZN7rocprim17ROCPRIM_400000_NS6detail17trampoline_kernelINS0_14default_configENS1_25transform_config_selectorIhLb1EEEZNS1_14transform_implILb1ES3_S5_PhS7_NS0_8identityIhEEEE10hipError_tT2_T3_mT4_P12ihipStream_tbEUlT_E_NS1_11comp_targetILNS1_3genE3ELNS1_11target_archE908ELNS1_3gpuE7ELNS1_3repE0EEENS1_30default_config_static_selectorELNS0_4arch9wavefront6targetE1EEEvT1_.numbered_sgpr, 0
	.set _ZN7rocprim17ROCPRIM_400000_NS6detail17trampoline_kernelINS0_14default_configENS1_25transform_config_selectorIhLb1EEEZNS1_14transform_implILb1ES3_S5_PhS7_NS0_8identityIhEEEE10hipError_tT2_T3_mT4_P12ihipStream_tbEUlT_E_NS1_11comp_targetILNS1_3genE3ELNS1_11target_archE908ELNS1_3gpuE7ELNS1_3repE0EEENS1_30default_config_static_selectorELNS0_4arch9wavefront6targetE1EEEvT1_.num_named_barrier, 0
	.set _ZN7rocprim17ROCPRIM_400000_NS6detail17trampoline_kernelINS0_14default_configENS1_25transform_config_selectorIhLb1EEEZNS1_14transform_implILb1ES3_S5_PhS7_NS0_8identityIhEEEE10hipError_tT2_T3_mT4_P12ihipStream_tbEUlT_E_NS1_11comp_targetILNS1_3genE3ELNS1_11target_archE908ELNS1_3gpuE7ELNS1_3repE0EEENS1_30default_config_static_selectorELNS0_4arch9wavefront6targetE1EEEvT1_.private_seg_size, 0
	.set _ZN7rocprim17ROCPRIM_400000_NS6detail17trampoline_kernelINS0_14default_configENS1_25transform_config_selectorIhLb1EEEZNS1_14transform_implILb1ES3_S5_PhS7_NS0_8identityIhEEEE10hipError_tT2_T3_mT4_P12ihipStream_tbEUlT_E_NS1_11comp_targetILNS1_3genE3ELNS1_11target_archE908ELNS1_3gpuE7ELNS1_3repE0EEENS1_30default_config_static_selectorELNS0_4arch9wavefront6targetE1EEEvT1_.uses_vcc, 0
	.set _ZN7rocprim17ROCPRIM_400000_NS6detail17trampoline_kernelINS0_14default_configENS1_25transform_config_selectorIhLb1EEEZNS1_14transform_implILb1ES3_S5_PhS7_NS0_8identityIhEEEE10hipError_tT2_T3_mT4_P12ihipStream_tbEUlT_E_NS1_11comp_targetILNS1_3genE3ELNS1_11target_archE908ELNS1_3gpuE7ELNS1_3repE0EEENS1_30default_config_static_selectorELNS0_4arch9wavefront6targetE1EEEvT1_.uses_flat_scratch, 0
	.set _ZN7rocprim17ROCPRIM_400000_NS6detail17trampoline_kernelINS0_14default_configENS1_25transform_config_selectorIhLb1EEEZNS1_14transform_implILb1ES3_S5_PhS7_NS0_8identityIhEEEE10hipError_tT2_T3_mT4_P12ihipStream_tbEUlT_E_NS1_11comp_targetILNS1_3genE3ELNS1_11target_archE908ELNS1_3gpuE7ELNS1_3repE0EEENS1_30default_config_static_selectorELNS0_4arch9wavefront6targetE1EEEvT1_.has_dyn_sized_stack, 0
	.set _ZN7rocprim17ROCPRIM_400000_NS6detail17trampoline_kernelINS0_14default_configENS1_25transform_config_selectorIhLb1EEEZNS1_14transform_implILb1ES3_S5_PhS7_NS0_8identityIhEEEE10hipError_tT2_T3_mT4_P12ihipStream_tbEUlT_E_NS1_11comp_targetILNS1_3genE3ELNS1_11target_archE908ELNS1_3gpuE7ELNS1_3repE0EEENS1_30default_config_static_selectorELNS0_4arch9wavefront6targetE1EEEvT1_.has_recursion, 0
	.set _ZN7rocprim17ROCPRIM_400000_NS6detail17trampoline_kernelINS0_14default_configENS1_25transform_config_selectorIhLb1EEEZNS1_14transform_implILb1ES3_S5_PhS7_NS0_8identityIhEEEE10hipError_tT2_T3_mT4_P12ihipStream_tbEUlT_E_NS1_11comp_targetILNS1_3genE3ELNS1_11target_archE908ELNS1_3gpuE7ELNS1_3repE0EEENS1_30default_config_static_selectorELNS0_4arch9wavefront6targetE1EEEvT1_.has_indirect_call, 0
	.section	.AMDGPU.csdata,"",@progbits
; Kernel info:
; codeLenInByte = 0
; TotalNumSgprs: 4
; NumVgprs: 0
; ScratchSize: 0
; MemoryBound: 0
; FloatMode: 240
; IeeeMode: 1
; LDSByteSize: 0 bytes/workgroup (compile time only)
; SGPRBlocks: 0
; VGPRBlocks: 0
; NumSGPRsForWavesPerEU: 4
; NumVGPRsForWavesPerEU: 1
; Occupancy: 10
; WaveLimiterHint : 0
; COMPUTE_PGM_RSRC2:SCRATCH_EN: 0
; COMPUTE_PGM_RSRC2:USER_SGPR: 6
; COMPUTE_PGM_RSRC2:TRAP_HANDLER: 0
; COMPUTE_PGM_RSRC2:TGID_X_EN: 1
; COMPUTE_PGM_RSRC2:TGID_Y_EN: 0
; COMPUTE_PGM_RSRC2:TGID_Z_EN: 0
; COMPUTE_PGM_RSRC2:TIDIG_COMP_CNT: 0
	.section	.text._ZN7rocprim17ROCPRIM_400000_NS6detail17trampoline_kernelINS0_14default_configENS1_25transform_config_selectorIhLb1EEEZNS1_14transform_implILb1ES3_S5_PhS7_NS0_8identityIhEEEE10hipError_tT2_T3_mT4_P12ihipStream_tbEUlT_E_NS1_11comp_targetILNS1_3genE2ELNS1_11target_archE906ELNS1_3gpuE6ELNS1_3repE0EEENS1_30default_config_static_selectorELNS0_4arch9wavefront6targetE1EEEvT1_,"axG",@progbits,_ZN7rocprim17ROCPRIM_400000_NS6detail17trampoline_kernelINS0_14default_configENS1_25transform_config_selectorIhLb1EEEZNS1_14transform_implILb1ES3_S5_PhS7_NS0_8identityIhEEEE10hipError_tT2_T3_mT4_P12ihipStream_tbEUlT_E_NS1_11comp_targetILNS1_3genE2ELNS1_11target_archE906ELNS1_3gpuE6ELNS1_3repE0EEENS1_30default_config_static_selectorELNS0_4arch9wavefront6targetE1EEEvT1_,comdat
	.protected	_ZN7rocprim17ROCPRIM_400000_NS6detail17trampoline_kernelINS0_14default_configENS1_25transform_config_selectorIhLb1EEEZNS1_14transform_implILb1ES3_S5_PhS7_NS0_8identityIhEEEE10hipError_tT2_T3_mT4_P12ihipStream_tbEUlT_E_NS1_11comp_targetILNS1_3genE2ELNS1_11target_archE906ELNS1_3gpuE6ELNS1_3repE0EEENS1_30default_config_static_selectorELNS0_4arch9wavefront6targetE1EEEvT1_ ; -- Begin function _ZN7rocprim17ROCPRIM_400000_NS6detail17trampoline_kernelINS0_14default_configENS1_25transform_config_selectorIhLb1EEEZNS1_14transform_implILb1ES3_S5_PhS7_NS0_8identityIhEEEE10hipError_tT2_T3_mT4_P12ihipStream_tbEUlT_E_NS1_11comp_targetILNS1_3genE2ELNS1_11target_archE906ELNS1_3gpuE6ELNS1_3repE0EEENS1_30default_config_static_selectorELNS0_4arch9wavefront6targetE1EEEvT1_
	.globl	_ZN7rocprim17ROCPRIM_400000_NS6detail17trampoline_kernelINS0_14default_configENS1_25transform_config_selectorIhLb1EEEZNS1_14transform_implILb1ES3_S5_PhS7_NS0_8identityIhEEEE10hipError_tT2_T3_mT4_P12ihipStream_tbEUlT_E_NS1_11comp_targetILNS1_3genE2ELNS1_11target_archE906ELNS1_3gpuE6ELNS1_3repE0EEENS1_30default_config_static_selectorELNS0_4arch9wavefront6targetE1EEEvT1_
	.p2align	8
	.type	_ZN7rocprim17ROCPRIM_400000_NS6detail17trampoline_kernelINS0_14default_configENS1_25transform_config_selectorIhLb1EEEZNS1_14transform_implILb1ES3_S5_PhS7_NS0_8identityIhEEEE10hipError_tT2_T3_mT4_P12ihipStream_tbEUlT_E_NS1_11comp_targetILNS1_3genE2ELNS1_11target_archE906ELNS1_3gpuE6ELNS1_3repE0EEENS1_30default_config_static_selectorELNS0_4arch9wavefront6targetE1EEEvT1_,@function
_ZN7rocprim17ROCPRIM_400000_NS6detail17trampoline_kernelINS0_14default_configENS1_25transform_config_selectorIhLb1EEEZNS1_14transform_implILb1ES3_S5_PhS7_NS0_8identityIhEEEE10hipError_tT2_T3_mT4_P12ihipStream_tbEUlT_E_NS1_11comp_targetILNS1_3genE2ELNS1_11target_archE906ELNS1_3gpuE6ELNS1_3repE0EEENS1_30default_config_static_selectorELNS0_4arch9wavefront6targetE1EEEvT1_: ; @_ZN7rocprim17ROCPRIM_400000_NS6detail17trampoline_kernelINS0_14default_configENS1_25transform_config_selectorIhLb1EEEZNS1_14transform_implILb1ES3_S5_PhS7_NS0_8identityIhEEEE10hipError_tT2_T3_mT4_P12ihipStream_tbEUlT_E_NS1_11comp_targetILNS1_3genE2ELNS1_11target_archE906ELNS1_3gpuE6ELNS1_3repE0EEENS1_30default_config_static_selectorELNS0_4arch9wavefront6targetE1EEEvT1_
; %bb.0:
	s_load_dwordx8 s[8:15], s[4:5], 0x0
	s_load_dword s0, s[4:5], 0x28
	s_waitcnt lgkmcnt(0)
	s_add_u32 s1, s8, s10
	s_addc_u32 s2, s9, s11
	s_add_u32 s20, s14, s10
	s_addc_u32 s21, s15, s11
	s_lshl_b32 s22, s6, 12
	s_add_i32 s0, s0, -1
	s_add_u32 s16, s1, s22
	s_addc_u32 s17, s2, 0
	s_cmp_lg_u32 s6, s0
	s_mov_b64 s[0:1], -1
	s_cbranch_scc0 .LBB177_2
; %bb.1:
	v_lshlrev_b32_e32 v3, 3, v0
	global_load_dwordx2 v[1:2], v3, s[16:17] glc slc
	s_add_u32 s0, s20, s22
	s_addc_u32 s1, s21, 0
	s_waitcnt vmcnt(0)
	global_store_dwordx2 v3, v[1:2], s[0:1]
	s_mov_b64 s[0:1], 0
.LBB177_2:
	s_andn2_b64 vcc, exec, s[0:1]
	s_cbranch_vccnz .LBB177_33
; %bb.3:
	s_sub_i32 s14, s12, s22
	v_cmp_gt_u32_e32 vcc, s14, v0
	v_mov_b32_e32 v9, 0
	v_mov_b32_e32 v10, 0
	;; [unrolled: 1-line block ×7, first 2 shown]
	s_and_saveexec_b64 s[0:1], vcc
	s_cbranch_execz .LBB177_5
; %bb.4:
	global_load_ubyte v10, v0, s[16:17]
	v_mov_b32_e32 v11, 0
	v_mov_b32_e32 v5, 0
	;; [unrolled: 1-line block ×5, first 2 shown]
.LBB177_5:
	s_or_b64 exec, exec, s[0:1]
	v_or_b32_e32 v1, 0x200, v0
	v_cmp_gt_u32_e64 s[0:1], s14, v1
	v_mov_b32_e32 v12, v9
	s_and_saveexec_b64 s[2:3], s[0:1]
	s_cbranch_execz .LBB177_7
; %bb.6:
	global_load_ubyte v12, v0, s[16:17] offset:512
.LBB177_7:
	s_or_b64 exec, exec, s[2:3]
	v_or_b32_e32 v1, 0x400, v0
	v_cmp_gt_u32_e64 s[2:3], s14, v1
	s_and_saveexec_b64 s[4:5], s[2:3]
	s_cbranch_execz .LBB177_9
; %bb.8:
	global_load_ubyte v9, v0, s[16:17] offset:1024
.LBB177_9:
	s_or_b64 exec, exec, s[4:5]
	v_or_b32_e32 v1, 0x600, v0
	v_cmp_gt_u32_e64 s[4:5], s14, v1
	s_and_saveexec_b64 s[6:7], s[4:5]
	s_cbranch_execz .LBB177_11
; %bb.10:
	global_load_ubyte v11, v0, s[16:17] offset:1536
.LBB177_11:
	s_or_b64 exec, exec, s[6:7]
	v_or_b32_e32 v1, 0x800, v0
	v_cmp_gt_u32_e64 s[6:7], s14, v1
	s_and_saveexec_b64 s[8:9], s[6:7]
	s_cbranch_execz .LBB177_13
; %bb.12:
	global_load_ubyte v5, v0, s[16:17] offset:2048
.LBB177_13:
	s_or_b64 exec, exec, s[8:9]
	v_or_b32_e32 v1, 0xa00, v0
	v_cmp_gt_u32_e64 s[8:9], s14, v1
	s_and_saveexec_b64 s[10:11], s[8:9]
	s_cbranch_execz .LBB177_15
; %bb.14:
	global_load_ubyte v6, v0, s[16:17] offset:2560
.LBB177_15:
	s_or_b64 exec, exec, s[10:11]
	v_or_b32_e32 v1, 0xc00, v0
	v_cmp_gt_u32_e64 s[10:11], s14, v1
	s_and_saveexec_b64 s[12:13], s[10:11]
	s_cbranch_execz .LBB177_17
; %bb.16:
	global_load_ubyte v7, v0, s[16:17] offset:3072
.LBB177_17:
	s_or_b64 exec, exec, s[12:13]
	v_or_b32_e32 v1, 0xe00, v0
	v_cmp_gt_u32_e64 s[12:13], s14, v1
	v_cmp_le_u32_e64 s[14:15], s14, v1
	v_mov_b32_e32 v1, 0
	s_and_saveexec_b64 s[18:19], s[14:15]
	s_xor_b64 s[14:15], exec, s[18:19]
	s_andn2_saveexec_b64 s[18:19], s[14:15]
	s_cbranch_execz .LBB177_19
; %bb.18:
	v_mov_b32_e32 v3, s17
	v_add_co_u32_e64 v2, s[14:15], s16, v0
	v_addc_co_u32_e64 v3, s[14:15], 0, v3, s[14:15]
	global_load_ubyte v8, v[2:3], off offset:3584
.LBB177_19:
	s_or_b64 exec, exec, s[18:19]
	s_mov_b32 s14, 0xffff
	s_waitcnt vmcnt(0)
	v_and_b32_sdwa v2, s14, v10 dst_sel:DWORD dst_unused:UNUSED_PAD src0_sel:DWORD src1_sel:BYTE_0
	s_add_u32 s14, s20, s22
	s_addc_u32 s15, s21, 0
	v_mov_b32_e32 v4, s15
	v_add_co_u32_e64 v0, s[14:15], s14, v0
	v_mov_b32_e32 v3, 0
	v_cndmask_b32_e32 v2, 0, v2, vcc
	v_addc_co_u32_e64 v1, s[14:15], v4, v1, s[14:15]
	s_and_saveexec_b64 s[14:15], vcc
	s_cbranch_execz .LBB177_21
; %bb.20:
	global_store_byte v[0:1], v2, off
.LBB177_21:
	s_or_b64 exec, exec, s[14:15]
	s_mov_b32 s14, 0xc0c0004
	v_perm_b32 v4, v10, v12, s14
	v_perm_b32 v13, v9, v11, s14
	v_lshl_or_b32 v13, v13, 16, v4
	v_cndmask_b32_e64 v14, v2, v13, s[0:1]
	s_and_saveexec_b64 s[14:15], s[0:1]
	s_cbranch_execz .LBB177_23
; %bb.22:
	v_lshrrev_b32_e32 v4, 8, v14
	global_store_byte v[0:1], v4, off offset:512
.LBB177_23:
	s_or_b64 exec, exec, s[14:15]
	v_and_b32_e32 v4, 0xffffff00, v14
	v_or_b32_e32 v15, v2, v4
	v_lshrrev_b64 v[3:4], 24, v[2:3]
	s_mov_b64 vcc, s[2:3]
	v_mov_b32_e32 v4, 8
	v_lshrrev_b32_sdwa v4, v4, v14 dst_sel:BYTE_1 dst_unused:UNUSED_PAD src0_sel:DWORD src1_sel:DWORD
	v_cndmask_b32_sdwa v13, v15, v13, vcc dst_sel:DWORD dst_unused:UNUSED_PAD src0_sel:WORD_0 src1_sel:DWORD
	s_and_saveexec_b64 s[0:1], s[2:3]
	s_cbranch_execz .LBB177_25
; %bb.24:
	global_store_byte_d16_hi v[0:1], v13, off offset:1024
.LBB177_25:
	s_or_b64 exec, exec, s[0:1]
	s_mov_b32 s0, 0xc0c0006
	v_or_b32_e32 v2, v2, v4
	v_perm_b32 v3, v13, v3, s0
	v_and_b32_e32 v2, 0xffff, v2
	s_mov_b32 s0, 0xc0c0004
	v_lshl_or_b32 v2, v3, 16, v2
	v_perm_b32 v3, v10, v12, s0
	v_perm_b32 v4, v9, v11, s0
	v_lshl_or_b32 v3, v4, 16, v3
	v_cndmask_b32_e64 v3, v2, v3, s[4:5]
	v_perm_b32 v2, v5, v6, s0
	v_perm_b32 v4, v7, v8, s0
	v_lshl_or_b32 v2, v4, 16, v2
	s_and_saveexec_b64 s[0:1], s[4:5]
	s_cbranch_execz .LBB177_27
; %bb.26:
	v_lshrrev_b32_e32 v3, 24, v3
	global_store_byte v[0:1], v3, off offset:1536
.LBB177_27:
	s_or_b64 exec, exec, s[0:1]
	v_cndmask_b32_e64 v2, 0, v2, s[6:7]
	s_and_saveexec_b64 s[0:1], s[6:7]
	s_cbranch_execz .LBB177_29
; %bb.28:
	global_store_byte v[0:1], v2, off offset:2048
.LBB177_29:
	s_or_b64 exec, exec, s[0:1]
	s_mov_b32 s0, 0xc0c0004
	v_perm_b32 v3, v5, v6, s0
	v_perm_b32 v4, v7, v8, s0
	v_lshl_or_b32 v3, v4, 16, v3
	s_mov_b64 vcc, s[8:9]
	v_cndmask_b32_sdwa v3, v2, v3, vcc dst_sel:DWORD dst_unused:UNUSED_PAD src0_sel:BYTE_0 src1_sel:DWORD
	v_lshrrev_b32_e32 v3, 8, v3
	s_and_saveexec_b64 s[0:1], s[8:9]
	s_cbranch_execnz .LBB177_34
; %bb.30:
	s_or_b64 exec, exec, s[0:1]
	s_and_saveexec_b64 s[0:1], s[10:11]
	s_cbranch_execnz .LBB177_35
.LBB177_31:
	s_or_b64 exec, exec, s[0:1]
	s_and_saveexec_b64 s[0:1], s[12:13]
	s_cbranch_execz .LBB177_33
.LBB177_32:
	s_mov_b32 s0, 0xc0c0004
	v_perm_b32 v4, v5, v6, s0
	v_perm_b32 v5, v7, v8, s0
	v_lshl_or_b32 v4, v5, 16, v4
	v_perm_b32 v2, v2, v3, s0
	v_cndmask_b32_e64 v2, v2, v4, s[12:13]
	v_lshrrev_b32_e32 v2, 24, v2
	global_store_byte v[0:1], v2, off offset:3584
.LBB177_33:
	s_endpgm
.LBB177_34:
	global_store_byte v[0:1], v3, off offset:2560
	s_or_b64 exec, exec, s[0:1]
	s_and_saveexec_b64 s[0:1], s[10:11]
	s_cbranch_execz .LBB177_31
.LBB177_35:
	s_mov_b32 s2, 0xc0c0004
	v_perm_b32 v4, v5, v6, s2
	v_perm_b32 v9, v7, v8, s2
	v_lshl_or_b32 v4, v9, 16, v4
	v_perm_b32 v9, v2, v3, s2
	v_cndmask_b32_e64 v4, v9, v4, s[10:11]
	global_store_byte_d16_hi v[0:1], v4, off offset:3072
	s_or_b64 exec, exec, s[0:1]
	s_and_saveexec_b64 s[0:1], s[12:13]
	s_cbranch_execnz .LBB177_32
	s_branch .LBB177_33
	.section	.rodata,"a",@progbits
	.p2align	6, 0x0
	.amdhsa_kernel _ZN7rocprim17ROCPRIM_400000_NS6detail17trampoline_kernelINS0_14default_configENS1_25transform_config_selectorIhLb1EEEZNS1_14transform_implILb1ES3_S5_PhS7_NS0_8identityIhEEEE10hipError_tT2_T3_mT4_P12ihipStream_tbEUlT_E_NS1_11comp_targetILNS1_3genE2ELNS1_11target_archE906ELNS1_3gpuE6ELNS1_3repE0EEENS1_30default_config_static_selectorELNS0_4arch9wavefront6targetE1EEEvT1_
		.amdhsa_group_segment_fixed_size 0
		.amdhsa_private_segment_fixed_size 0
		.amdhsa_kernarg_size 296
		.amdhsa_user_sgpr_count 6
		.amdhsa_user_sgpr_private_segment_buffer 1
		.amdhsa_user_sgpr_dispatch_ptr 0
		.amdhsa_user_sgpr_queue_ptr 0
		.amdhsa_user_sgpr_kernarg_segment_ptr 1
		.amdhsa_user_sgpr_dispatch_id 0
		.amdhsa_user_sgpr_flat_scratch_init 0
		.amdhsa_user_sgpr_private_segment_size 0
		.amdhsa_uses_dynamic_stack 0
		.amdhsa_system_sgpr_private_segment_wavefront_offset 0
		.amdhsa_system_sgpr_workgroup_id_x 1
		.amdhsa_system_sgpr_workgroup_id_y 0
		.amdhsa_system_sgpr_workgroup_id_z 0
		.amdhsa_system_sgpr_workgroup_info 0
		.amdhsa_system_vgpr_workitem_id 0
		.amdhsa_next_free_vgpr 16
		.amdhsa_next_free_sgpr 23
		.amdhsa_reserve_vcc 1
		.amdhsa_reserve_flat_scratch 0
		.amdhsa_float_round_mode_32 0
		.amdhsa_float_round_mode_16_64 0
		.amdhsa_float_denorm_mode_32 3
		.amdhsa_float_denorm_mode_16_64 3
		.amdhsa_dx10_clamp 1
		.amdhsa_ieee_mode 1
		.amdhsa_fp16_overflow 0
		.amdhsa_exception_fp_ieee_invalid_op 0
		.amdhsa_exception_fp_denorm_src 0
		.amdhsa_exception_fp_ieee_div_zero 0
		.amdhsa_exception_fp_ieee_overflow 0
		.amdhsa_exception_fp_ieee_underflow 0
		.amdhsa_exception_fp_ieee_inexact 0
		.amdhsa_exception_int_div_zero 0
	.end_amdhsa_kernel
	.section	.text._ZN7rocprim17ROCPRIM_400000_NS6detail17trampoline_kernelINS0_14default_configENS1_25transform_config_selectorIhLb1EEEZNS1_14transform_implILb1ES3_S5_PhS7_NS0_8identityIhEEEE10hipError_tT2_T3_mT4_P12ihipStream_tbEUlT_E_NS1_11comp_targetILNS1_3genE2ELNS1_11target_archE906ELNS1_3gpuE6ELNS1_3repE0EEENS1_30default_config_static_selectorELNS0_4arch9wavefront6targetE1EEEvT1_,"axG",@progbits,_ZN7rocprim17ROCPRIM_400000_NS6detail17trampoline_kernelINS0_14default_configENS1_25transform_config_selectorIhLb1EEEZNS1_14transform_implILb1ES3_S5_PhS7_NS0_8identityIhEEEE10hipError_tT2_T3_mT4_P12ihipStream_tbEUlT_E_NS1_11comp_targetILNS1_3genE2ELNS1_11target_archE906ELNS1_3gpuE6ELNS1_3repE0EEENS1_30default_config_static_selectorELNS0_4arch9wavefront6targetE1EEEvT1_,comdat
.Lfunc_end177:
	.size	_ZN7rocprim17ROCPRIM_400000_NS6detail17trampoline_kernelINS0_14default_configENS1_25transform_config_selectorIhLb1EEEZNS1_14transform_implILb1ES3_S5_PhS7_NS0_8identityIhEEEE10hipError_tT2_T3_mT4_P12ihipStream_tbEUlT_E_NS1_11comp_targetILNS1_3genE2ELNS1_11target_archE906ELNS1_3gpuE6ELNS1_3repE0EEENS1_30default_config_static_selectorELNS0_4arch9wavefront6targetE1EEEvT1_, .Lfunc_end177-_ZN7rocprim17ROCPRIM_400000_NS6detail17trampoline_kernelINS0_14default_configENS1_25transform_config_selectorIhLb1EEEZNS1_14transform_implILb1ES3_S5_PhS7_NS0_8identityIhEEEE10hipError_tT2_T3_mT4_P12ihipStream_tbEUlT_E_NS1_11comp_targetILNS1_3genE2ELNS1_11target_archE906ELNS1_3gpuE6ELNS1_3repE0EEENS1_30default_config_static_selectorELNS0_4arch9wavefront6targetE1EEEvT1_
                                        ; -- End function
	.set _ZN7rocprim17ROCPRIM_400000_NS6detail17trampoline_kernelINS0_14default_configENS1_25transform_config_selectorIhLb1EEEZNS1_14transform_implILb1ES3_S5_PhS7_NS0_8identityIhEEEE10hipError_tT2_T3_mT4_P12ihipStream_tbEUlT_E_NS1_11comp_targetILNS1_3genE2ELNS1_11target_archE906ELNS1_3gpuE6ELNS1_3repE0EEENS1_30default_config_static_selectorELNS0_4arch9wavefront6targetE1EEEvT1_.num_vgpr, 16
	.set _ZN7rocprim17ROCPRIM_400000_NS6detail17trampoline_kernelINS0_14default_configENS1_25transform_config_selectorIhLb1EEEZNS1_14transform_implILb1ES3_S5_PhS7_NS0_8identityIhEEEE10hipError_tT2_T3_mT4_P12ihipStream_tbEUlT_E_NS1_11comp_targetILNS1_3genE2ELNS1_11target_archE906ELNS1_3gpuE6ELNS1_3repE0EEENS1_30default_config_static_selectorELNS0_4arch9wavefront6targetE1EEEvT1_.num_agpr, 0
	.set _ZN7rocprim17ROCPRIM_400000_NS6detail17trampoline_kernelINS0_14default_configENS1_25transform_config_selectorIhLb1EEEZNS1_14transform_implILb1ES3_S5_PhS7_NS0_8identityIhEEEE10hipError_tT2_T3_mT4_P12ihipStream_tbEUlT_E_NS1_11comp_targetILNS1_3genE2ELNS1_11target_archE906ELNS1_3gpuE6ELNS1_3repE0EEENS1_30default_config_static_selectorELNS0_4arch9wavefront6targetE1EEEvT1_.numbered_sgpr, 23
	.set _ZN7rocprim17ROCPRIM_400000_NS6detail17trampoline_kernelINS0_14default_configENS1_25transform_config_selectorIhLb1EEEZNS1_14transform_implILb1ES3_S5_PhS7_NS0_8identityIhEEEE10hipError_tT2_T3_mT4_P12ihipStream_tbEUlT_E_NS1_11comp_targetILNS1_3genE2ELNS1_11target_archE906ELNS1_3gpuE6ELNS1_3repE0EEENS1_30default_config_static_selectorELNS0_4arch9wavefront6targetE1EEEvT1_.num_named_barrier, 0
	.set _ZN7rocprim17ROCPRIM_400000_NS6detail17trampoline_kernelINS0_14default_configENS1_25transform_config_selectorIhLb1EEEZNS1_14transform_implILb1ES3_S5_PhS7_NS0_8identityIhEEEE10hipError_tT2_T3_mT4_P12ihipStream_tbEUlT_E_NS1_11comp_targetILNS1_3genE2ELNS1_11target_archE906ELNS1_3gpuE6ELNS1_3repE0EEENS1_30default_config_static_selectorELNS0_4arch9wavefront6targetE1EEEvT1_.private_seg_size, 0
	.set _ZN7rocprim17ROCPRIM_400000_NS6detail17trampoline_kernelINS0_14default_configENS1_25transform_config_selectorIhLb1EEEZNS1_14transform_implILb1ES3_S5_PhS7_NS0_8identityIhEEEE10hipError_tT2_T3_mT4_P12ihipStream_tbEUlT_E_NS1_11comp_targetILNS1_3genE2ELNS1_11target_archE906ELNS1_3gpuE6ELNS1_3repE0EEENS1_30default_config_static_selectorELNS0_4arch9wavefront6targetE1EEEvT1_.uses_vcc, 1
	.set _ZN7rocprim17ROCPRIM_400000_NS6detail17trampoline_kernelINS0_14default_configENS1_25transform_config_selectorIhLb1EEEZNS1_14transform_implILb1ES3_S5_PhS7_NS0_8identityIhEEEE10hipError_tT2_T3_mT4_P12ihipStream_tbEUlT_E_NS1_11comp_targetILNS1_3genE2ELNS1_11target_archE906ELNS1_3gpuE6ELNS1_3repE0EEENS1_30default_config_static_selectorELNS0_4arch9wavefront6targetE1EEEvT1_.uses_flat_scratch, 0
	.set _ZN7rocprim17ROCPRIM_400000_NS6detail17trampoline_kernelINS0_14default_configENS1_25transform_config_selectorIhLb1EEEZNS1_14transform_implILb1ES3_S5_PhS7_NS0_8identityIhEEEE10hipError_tT2_T3_mT4_P12ihipStream_tbEUlT_E_NS1_11comp_targetILNS1_3genE2ELNS1_11target_archE906ELNS1_3gpuE6ELNS1_3repE0EEENS1_30default_config_static_selectorELNS0_4arch9wavefront6targetE1EEEvT1_.has_dyn_sized_stack, 0
	.set _ZN7rocprim17ROCPRIM_400000_NS6detail17trampoline_kernelINS0_14default_configENS1_25transform_config_selectorIhLb1EEEZNS1_14transform_implILb1ES3_S5_PhS7_NS0_8identityIhEEEE10hipError_tT2_T3_mT4_P12ihipStream_tbEUlT_E_NS1_11comp_targetILNS1_3genE2ELNS1_11target_archE906ELNS1_3gpuE6ELNS1_3repE0EEENS1_30default_config_static_selectorELNS0_4arch9wavefront6targetE1EEEvT1_.has_recursion, 0
	.set _ZN7rocprim17ROCPRIM_400000_NS6detail17trampoline_kernelINS0_14default_configENS1_25transform_config_selectorIhLb1EEEZNS1_14transform_implILb1ES3_S5_PhS7_NS0_8identityIhEEEE10hipError_tT2_T3_mT4_P12ihipStream_tbEUlT_E_NS1_11comp_targetILNS1_3genE2ELNS1_11target_archE906ELNS1_3gpuE6ELNS1_3repE0EEENS1_30default_config_static_selectorELNS0_4arch9wavefront6targetE1EEEvT1_.has_indirect_call, 0
	.section	.AMDGPU.csdata,"",@progbits
; Kernel info:
; codeLenInByte = 1072
; TotalNumSgprs: 27
; NumVgprs: 16
; ScratchSize: 0
; MemoryBound: 0
; FloatMode: 240
; IeeeMode: 1
; LDSByteSize: 0 bytes/workgroup (compile time only)
; SGPRBlocks: 3
; VGPRBlocks: 3
; NumSGPRsForWavesPerEU: 27
; NumVGPRsForWavesPerEU: 16
; Occupancy: 10
; WaveLimiterHint : 0
; COMPUTE_PGM_RSRC2:SCRATCH_EN: 0
; COMPUTE_PGM_RSRC2:USER_SGPR: 6
; COMPUTE_PGM_RSRC2:TRAP_HANDLER: 0
; COMPUTE_PGM_RSRC2:TGID_X_EN: 1
; COMPUTE_PGM_RSRC2:TGID_Y_EN: 0
; COMPUTE_PGM_RSRC2:TGID_Z_EN: 0
; COMPUTE_PGM_RSRC2:TIDIG_COMP_CNT: 0
	.section	.text._ZN7rocprim17ROCPRIM_400000_NS6detail17trampoline_kernelINS0_14default_configENS1_25transform_config_selectorIhLb1EEEZNS1_14transform_implILb1ES3_S5_PhS7_NS0_8identityIhEEEE10hipError_tT2_T3_mT4_P12ihipStream_tbEUlT_E_NS1_11comp_targetILNS1_3genE9ELNS1_11target_archE1100ELNS1_3gpuE3ELNS1_3repE0EEENS1_30default_config_static_selectorELNS0_4arch9wavefront6targetE1EEEvT1_,"axG",@progbits,_ZN7rocprim17ROCPRIM_400000_NS6detail17trampoline_kernelINS0_14default_configENS1_25transform_config_selectorIhLb1EEEZNS1_14transform_implILb1ES3_S5_PhS7_NS0_8identityIhEEEE10hipError_tT2_T3_mT4_P12ihipStream_tbEUlT_E_NS1_11comp_targetILNS1_3genE9ELNS1_11target_archE1100ELNS1_3gpuE3ELNS1_3repE0EEENS1_30default_config_static_selectorELNS0_4arch9wavefront6targetE1EEEvT1_,comdat
	.protected	_ZN7rocprim17ROCPRIM_400000_NS6detail17trampoline_kernelINS0_14default_configENS1_25transform_config_selectorIhLb1EEEZNS1_14transform_implILb1ES3_S5_PhS7_NS0_8identityIhEEEE10hipError_tT2_T3_mT4_P12ihipStream_tbEUlT_E_NS1_11comp_targetILNS1_3genE9ELNS1_11target_archE1100ELNS1_3gpuE3ELNS1_3repE0EEENS1_30default_config_static_selectorELNS0_4arch9wavefront6targetE1EEEvT1_ ; -- Begin function _ZN7rocprim17ROCPRIM_400000_NS6detail17trampoline_kernelINS0_14default_configENS1_25transform_config_selectorIhLb1EEEZNS1_14transform_implILb1ES3_S5_PhS7_NS0_8identityIhEEEE10hipError_tT2_T3_mT4_P12ihipStream_tbEUlT_E_NS1_11comp_targetILNS1_3genE9ELNS1_11target_archE1100ELNS1_3gpuE3ELNS1_3repE0EEENS1_30default_config_static_selectorELNS0_4arch9wavefront6targetE1EEEvT1_
	.globl	_ZN7rocprim17ROCPRIM_400000_NS6detail17trampoline_kernelINS0_14default_configENS1_25transform_config_selectorIhLb1EEEZNS1_14transform_implILb1ES3_S5_PhS7_NS0_8identityIhEEEE10hipError_tT2_T3_mT4_P12ihipStream_tbEUlT_E_NS1_11comp_targetILNS1_3genE9ELNS1_11target_archE1100ELNS1_3gpuE3ELNS1_3repE0EEENS1_30default_config_static_selectorELNS0_4arch9wavefront6targetE1EEEvT1_
	.p2align	8
	.type	_ZN7rocprim17ROCPRIM_400000_NS6detail17trampoline_kernelINS0_14default_configENS1_25transform_config_selectorIhLb1EEEZNS1_14transform_implILb1ES3_S5_PhS7_NS0_8identityIhEEEE10hipError_tT2_T3_mT4_P12ihipStream_tbEUlT_E_NS1_11comp_targetILNS1_3genE9ELNS1_11target_archE1100ELNS1_3gpuE3ELNS1_3repE0EEENS1_30default_config_static_selectorELNS0_4arch9wavefront6targetE1EEEvT1_,@function
_ZN7rocprim17ROCPRIM_400000_NS6detail17trampoline_kernelINS0_14default_configENS1_25transform_config_selectorIhLb1EEEZNS1_14transform_implILb1ES3_S5_PhS7_NS0_8identityIhEEEE10hipError_tT2_T3_mT4_P12ihipStream_tbEUlT_E_NS1_11comp_targetILNS1_3genE9ELNS1_11target_archE1100ELNS1_3gpuE3ELNS1_3repE0EEENS1_30default_config_static_selectorELNS0_4arch9wavefront6targetE1EEEvT1_: ; @_ZN7rocprim17ROCPRIM_400000_NS6detail17trampoline_kernelINS0_14default_configENS1_25transform_config_selectorIhLb1EEEZNS1_14transform_implILb1ES3_S5_PhS7_NS0_8identityIhEEEE10hipError_tT2_T3_mT4_P12ihipStream_tbEUlT_E_NS1_11comp_targetILNS1_3genE9ELNS1_11target_archE1100ELNS1_3gpuE3ELNS1_3repE0EEENS1_30default_config_static_selectorELNS0_4arch9wavefront6targetE1EEEvT1_
; %bb.0:
	.section	.rodata,"a",@progbits
	.p2align	6, 0x0
	.amdhsa_kernel _ZN7rocprim17ROCPRIM_400000_NS6detail17trampoline_kernelINS0_14default_configENS1_25transform_config_selectorIhLb1EEEZNS1_14transform_implILb1ES3_S5_PhS7_NS0_8identityIhEEEE10hipError_tT2_T3_mT4_P12ihipStream_tbEUlT_E_NS1_11comp_targetILNS1_3genE9ELNS1_11target_archE1100ELNS1_3gpuE3ELNS1_3repE0EEENS1_30default_config_static_selectorELNS0_4arch9wavefront6targetE1EEEvT1_
		.amdhsa_group_segment_fixed_size 0
		.amdhsa_private_segment_fixed_size 0
		.amdhsa_kernarg_size 40
		.amdhsa_user_sgpr_count 6
		.amdhsa_user_sgpr_private_segment_buffer 1
		.amdhsa_user_sgpr_dispatch_ptr 0
		.amdhsa_user_sgpr_queue_ptr 0
		.amdhsa_user_sgpr_kernarg_segment_ptr 1
		.amdhsa_user_sgpr_dispatch_id 0
		.amdhsa_user_sgpr_flat_scratch_init 0
		.amdhsa_user_sgpr_private_segment_size 0
		.amdhsa_uses_dynamic_stack 0
		.amdhsa_system_sgpr_private_segment_wavefront_offset 0
		.amdhsa_system_sgpr_workgroup_id_x 1
		.amdhsa_system_sgpr_workgroup_id_y 0
		.amdhsa_system_sgpr_workgroup_id_z 0
		.amdhsa_system_sgpr_workgroup_info 0
		.amdhsa_system_vgpr_workitem_id 0
		.amdhsa_next_free_vgpr 1
		.amdhsa_next_free_sgpr 0
		.amdhsa_reserve_vcc 0
		.amdhsa_reserve_flat_scratch 0
		.amdhsa_float_round_mode_32 0
		.amdhsa_float_round_mode_16_64 0
		.amdhsa_float_denorm_mode_32 3
		.amdhsa_float_denorm_mode_16_64 3
		.amdhsa_dx10_clamp 1
		.amdhsa_ieee_mode 1
		.amdhsa_fp16_overflow 0
		.amdhsa_exception_fp_ieee_invalid_op 0
		.amdhsa_exception_fp_denorm_src 0
		.amdhsa_exception_fp_ieee_div_zero 0
		.amdhsa_exception_fp_ieee_overflow 0
		.amdhsa_exception_fp_ieee_underflow 0
		.amdhsa_exception_fp_ieee_inexact 0
		.amdhsa_exception_int_div_zero 0
	.end_amdhsa_kernel
	.section	.text._ZN7rocprim17ROCPRIM_400000_NS6detail17trampoline_kernelINS0_14default_configENS1_25transform_config_selectorIhLb1EEEZNS1_14transform_implILb1ES3_S5_PhS7_NS0_8identityIhEEEE10hipError_tT2_T3_mT4_P12ihipStream_tbEUlT_E_NS1_11comp_targetILNS1_3genE9ELNS1_11target_archE1100ELNS1_3gpuE3ELNS1_3repE0EEENS1_30default_config_static_selectorELNS0_4arch9wavefront6targetE1EEEvT1_,"axG",@progbits,_ZN7rocprim17ROCPRIM_400000_NS6detail17trampoline_kernelINS0_14default_configENS1_25transform_config_selectorIhLb1EEEZNS1_14transform_implILb1ES3_S5_PhS7_NS0_8identityIhEEEE10hipError_tT2_T3_mT4_P12ihipStream_tbEUlT_E_NS1_11comp_targetILNS1_3genE9ELNS1_11target_archE1100ELNS1_3gpuE3ELNS1_3repE0EEENS1_30default_config_static_selectorELNS0_4arch9wavefront6targetE1EEEvT1_,comdat
.Lfunc_end178:
	.size	_ZN7rocprim17ROCPRIM_400000_NS6detail17trampoline_kernelINS0_14default_configENS1_25transform_config_selectorIhLb1EEEZNS1_14transform_implILb1ES3_S5_PhS7_NS0_8identityIhEEEE10hipError_tT2_T3_mT4_P12ihipStream_tbEUlT_E_NS1_11comp_targetILNS1_3genE9ELNS1_11target_archE1100ELNS1_3gpuE3ELNS1_3repE0EEENS1_30default_config_static_selectorELNS0_4arch9wavefront6targetE1EEEvT1_, .Lfunc_end178-_ZN7rocprim17ROCPRIM_400000_NS6detail17trampoline_kernelINS0_14default_configENS1_25transform_config_selectorIhLb1EEEZNS1_14transform_implILb1ES3_S5_PhS7_NS0_8identityIhEEEE10hipError_tT2_T3_mT4_P12ihipStream_tbEUlT_E_NS1_11comp_targetILNS1_3genE9ELNS1_11target_archE1100ELNS1_3gpuE3ELNS1_3repE0EEENS1_30default_config_static_selectorELNS0_4arch9wavefront6targetE1EEEvT1_
                                        ; -- End function
	.set _ZN7rocprim17ROCPRIM_400000_NS6detail17trampoline_kernelINS0_14default_configENS1_25transform_config_selectorIhLb1EEEZNS1_14transform_implILb1ES3_S5_PhS7_NS0_8identityIhEEEE10hipError_tT2_T3_mT4_P12ihipStream_tbEUlT_E_NS1_11comp_targetILNS1_3genE9ELNS1_11target_archE1100ELNS1_3gpuE3ELNS1_3repE0EEENS1_30default_config_static_selectorELNS0_4arch9wavefront6targetE1EEEvT1_.num_vgpr, 0
	.set _ZN7rocprim17ROCPRIM_400000_NS6detail17trampoline_kernelINS0_14default_configENS1_25transform_config_selectorIhLb1EEEZNS1_14transform_implILb1ES3_S5_PhS7_NS0_8identityIhEEEE10hipError_tT2_T3_mT4_P12ihipStream_tbEUlT_E_NS1_11comp_targetILNS1_3genE9ELNS1_11target_archE1100ELNS1_3gpuE3ELNS1_3repE0EEENS1_30default_config_static_selectorELNS0_4arch9wavefront6targetE1EEEvT1_.num_agpr, 0
	.set _ZN7rocprim17ROCPRIM_400000_NS6detail17trampoline_kernelINS0_14default_configENS1_25transform_config_selectorIhLb1EEEZNS1_14transform_implILb1ES3_S5_PhS7_NS0_8identityIhEEEE10hipError_tT2_T3_mT4_P12ihipStream_tbEUlT_E_NS1_11comp_targetILNS1_3genE9ELNS1_11target_archE1100ELNS1_3gpuE3ELNS1_3repE0EEENS1_30default_config_static_selectorELNS0_4arch9wavefront6targetE1EEEvT1_.numbered_sgpr, 0
	.set _ZN7rocprim17ROCPRIM_400000_NS6detail17trampoline_kernelINS0_14default_configENS1_25transform_config_selectorIhLb1EEEZNS1_14transform_implILb1ES3_S5_PhS7_NS0_8identityIhEEEE10hipError_tT2_T3_mT4_P12ihipStream_tbEUlT_E_NS1_11comp_targetILNS1_3genE9ELNS1_11target_archE1100ELNS1_3gpuE3ELNS1_3repE0EEENS1_30default_config_static_selectorELNS0_4arch9wavefront6targetE1EEEvT1_.num_named_barrier, 0
	.set _ZN7rocprim17ROCPRIM_400000_NS6detail17trampoline_kernelINS0_14default_configENS1_25transform_config_selectorIhLb1EEEZNS1_14transform_implILb1ES3_S5_PhS7_NS0_8identityIhEEEE10hipError_tT2_T3_mT4_P12ihipStream_tbEUlT_E_NS1_11comp_targetILNS1_3genE9ELNS1_11target_archE1100ELNS1_3gpuE3ELNS1_3repE0EEENS1_30default_config_static_selectorELNS0_4arch9wavefront6targetE1EEEvT1_.private_seg_size, 0
	.set _ZN7rocprim17ROCPRIM_400000_NS6detail17trampoline_kernelINS0_14default_configENS1_25transform_config_selectorIhLb1EEEZNS1_14transform_implILb1ES3_S5_PhS7_NS0_8identityIhEEEE10hipError_tT2_T3_mT4_P12ihipStream_tbEUlT_E_NS1_11comp_targetILNS1_3genE9ELNS1_11target_archE1100ELNS1_3gpuE3ELNS1_3repE0EEENS1_30default_config_static_selectorELNS0_4arch9wavefront6targetE1EEEvT1_.uses_vcc, 0
	.set _ZN7rocprim17ROCPRIM_400000_NS6detail17trampoline_kernelINS0_14default_configENS1_25transform_config_selectorIhLb1EEEZNS1_14transform_implILb1ES3_S5_PhS7_NS0_8identityIhEEEE10hipError_tT2_T3_mT4_P12ihipStream_tbEUlT_E_NS1_11comp_targetILNS1_3genE9ELNS1_11target_archE1100ELNS1_3gpuE3ELNS1_3repE0EEENS1_30default_config_static_selectorELNS0_4arch9wavefront6targetE1EEEvT1_.uses_flat_scratch, 0
	.set _ZN7rocprim17ROCPRIM_400000_NS6detail17trampoline_kernelINS0_14default_configENS1_25transform_config_selectorIhLb1EEEZNS1_14transform_implILb1ES3_S5_PhS7_NS0_8identityIhEEEE10hipError_tT2_T3_mT4_P12ihipStream_tbEUlT_E_NS1_11comp_targetILNS1_3genE9ELNS1_11target_archE1100ELNS1_3gpuE3ELNS1_3repE0EEENS1_30default_config_static_selectorELNS0_4arch9wavefront6targetE1EEEvT1_.has_dyn_sized_stack, 0
	.set _ZN7rocprim17ROCPRIM_400000_NS6detail17trampoline_kernelINS0_14default_configENS1_25transform_config_selectorIhLb1EEEZNS1_14transform_implILb1ES3_S5_PhS7_NS0_8identityIhEEEE10hipError_tT2_T3_mT4_P12ihipStream_tbEUlT_E_NS1_11comp_targetILNS1_3genE9ELNS1_11target_archE1100ELNS1_3gpuE3ELNS1_3repE0EEENS1_30default_config_static_selectorELNS0_4arch9wavefront6targetE1EEEvT1_.has_recursion, 0
	.set _ZN7rocprim17ROCPRIM_400000_NS6detail17trampoline_kernelINS0_14default_configENS1_25transform_config_selectorIhLb1EEEZNS1_14transform_implILb1ES3_S5_PhS7_NS0_8identityIhEEEE10hipError_tT2_T3_mT4_P12ihipStream_tbEUlT_E_NS1_11comp_targetILNS1_3genE9ELNS1_11target_archE1100ELNS1_3gpuE3ELNS1_3repE0EEENS1_30default_config_static_selectorELNS0_4arch9wavefront6targetE1EEEvT1_.has_indirect_call, 0
	.section	.AMDGPU.csdata,"",@progbits
; Kernel info:
; codeLenInByte = 0
; TotalNumSgprs: 4
; NumVgprs: 0
; ScratchSize: 0
; MemoryBound: 0
; FloatMode: 240
; IeeeMode: 1
; LDSByteSize: 0 bytes/workgroup (compile time only)
; SGPRBlocks: 0
; VGPRBlocks: 0
; NumSGPRsForWavesPerEU: 4
; NumVGPRsForWavesPerEU: 1
; Occupancy: 10
; WaveLimiterHint : 0
; COMPUTE_PGM_RSRC2:SCRATCH_EN: 0
; COMPUTE_PGM_RSRC2:USER_SGPR: 6
; COMPUTE_PGM_RSRC2:TRAP_HANDLER: 0
; COMPUTE_PGM_RSRC2:TGID_X_EN: 1
; COMPUTE_PGM_RSRC2:TGID_Y_EN: 0
; COMPUTE_PGM_RSRC2:TGID_Z_EN: 0
; COMPUTE_PGM_RSRC2:TIDIG_COMP_CNT: 0
	.section	.text._ZN7rocprim17ROCPRIM_400000_NS6detail17trampoline_kernelINS0_14default_configENS1_25transform_config_selectorIhLb1EEEZNS1_14transform_implILb1ES3_S5_PhS7_NS0_8identityIhEEEE10hipError_tT2_T3_mT4_P12ihipStream_tbEUlT_E_NS1_11comp_targetILNS1_3genE8ELNS1_11target_archE1030ELNS1_3gpuE2ELNS1_3repE0EEENS1_30default_config_static_selectorELNS0_4arch9wavefront6targetE1EEEvT1_,"axG",@progbits,_ZN7rocprim17ROCPRIM_400000_NS6detail17trampoline_kernelINS0_14default_configENS1_25transform_config_selectorIhLb1EEEZNS1_14transform_implILb1ES3_S5_PhS7_NS0_8identityIhEEEE10hipError_tT2_T3_mT4_P12ihipStream_tbEUlT_E_NS1_11comp_targetILNS1_3genE8ELNS1_11target_archE1030ELNS1_3gpuE2ELNS1_3repE0EEENS1_30default_config_static_selectorELNS0_4arch9wavefront6targetE1EEEvT1_,comdat
	.protected	_ZN7rocprim17ROCPRIM_400000_NS6detail17trampoline_kernelINS0_14default_configENS1_25transform_config_selectorIhLb1EEEZNS1_14transform_implILb1ES3_S5_PhS7_NS0_8identityIhEEEE10hipError_tT2_T3_mT4_P12ihipStream_tbEUlT_E_NS1_11comp_targetILNS1_3genE8ELNS1_11target_archE1030ELNS1_3gpuE2ELNS1_3repE0EEENS1_30default_config_static_selectorELNS0_4arch9wavefront6targetE1EEEvT1_ ; -- Begin function _ZN7rocprim17ROCPRIM_400000_NS6detail17trampoline_kernelINS0_14default_configENS1_25transform_config_selectorIhLb1EEEZNS1_14transform_implILb1ES3_S5_PhS7_NS0_8identityIhEEEE10hipError_tT2_T3_mT4_P12ihipStream_tbEUlT_E_NS1_11comp_targetILNS1_3genE8ELNS1_11target_archE1030ELNS1_3gpuE2ELNS1_3repE0EEENS1_30default_config_static_selectorELNS0_4arch9wavefront6targetE1EEEvT1_
	.globl	_ZN7rocprim17ROCPRIM_400000_NS6detail17trampoline_kernelINS0_14default_configENS1_25transform_config_selectorIhLb1EEEZNS1_14transform_implILb1ES3_S5_PhS7_NS0_8identityIhEEEE10hipError_tT2_T3_mT4_P12ihipStream_tbEUlT_E_NS1_11comp_targetILNS1_3genE8ELNS1_11target_archE1030ELNS1_3gpuE2ELNS1_3repE0EEENS1_30default_config_static_selectorELNS0_4arch9wavefront6targetE1EEEvT1_
	.p2align	8
	.type	_ZN7rocprim17ROCPRIM_400000_NS6detail17trampoline_kernelINS0_14default_configENS1_25transform_config_selectorIhLb1EEEZNS1_14transform_implILb1ES3_S5_PhS7_NS0_8identityIhEEEE10hipError_tT2_T3_mT4_P12ihipStream_tbEUlT_E_NS1_11comp_targetILNS1_3genE8ELNS1_11target_archE1030ELNS1_3gpuE2ELNS1_3repE0EEENS1_30default_config_static_selectorELNS0_4arch9wavefront6targetE1EEEvT1_,@function
_ZN7rocprim17ROCPRIM_400000_NS6detail17trampoline_kernelINS0_14default_configENS1_25transform_config_selectorIhLb1EEEZNS1_14transform_implILb1ES3_S5_PhS7_NS0_8identityIhEEEE10hipError_tT2_T3_mT4_P12ihipStream_tbEUlT_E_NS1_11comp_targetILNS1_3genE8ELNS1_11target_archE1030ELNS1_3gpuE2ELNS1_3repE0EEENS1_30default_config_static_selectorELNS0_4arch9wavefront6targetE1EEEvT1_: ; @_ZN7rocprim17ROCPRIM_400000_NS6detail17trampoline_kernelINS0_14default_configENS1_25transform_config_selectorIhLb1EEEZNS1_14transform_implILb1ES3_S5_PhS7_NS0_8identityIhEEEE10hipError_tT2_T3_mT4_P12ihipStream_tbEUlT_E_NS1_11comp_targetILNS1_3genE8ELNS1_11target_archE1030ELNS1_3gpuE2ELNS1_3repE0EEENS1_30default_config_static_selectorELNS0_4arch9wavefront6targetE1EEEvT1_
; %bb.0:
	.section	.rodata,"a",@progbits
	.p2align	6, 0x0
	.amdhsa_kernel _ZN7rocprim17ROCPRIM_400000_NS6detail17trampoline_kernelINS0_14default_configENS1_25transform_config_selectorIhLb1EEEZNS1_14transform_implILb1ES3_S5_PhS7_NS0_8identityIhEEEE10hipError_tT2_T3_mT4_P12ihipStream_tbEUlT_E_NS1_11comp_targetILNS1_3genE8ELNS1_11target_archE1030ELNS1_3gpuE2ELNS1_3repE0EEENS1_30default_config_static_selectorELNS0_4arch9wavefront6targetE1EEEvT1_
		.amdhsa_group_segment_fixed_size 0
		.amdhsa_private_segment_fixed_size 0
		.amdhsa_kernarg_size 40
		.amdhsa_user_sgpr_count 6
		.amdhsa_user_sgpr_private_segment_buffer 1
		.amdhsa_user_sgpr_dispatch_ptr 0
		.amdhsa_user_sgpr_queue_ptr 0
		.amdhsa_user_sgpr_kernarg_segment_ptr 1
		.amdhsa_user_sgpr_dispatch_id 0
		.amdhsa_user_sgpr_flat_scratch_init 0
		.amdhsa_user_sgpr_private_segment_size 0
		.amdhsa_uses_dynamic_stack 0
		.amdhsa_system_sgpr_private_segment_wavefront_offset 0
		.amdhsa_system_sgpr_workgroup_id_x 1
		.amdhsa_system_sgpr_workgroup_id_y 0
		.amdhsa_system_sgpr_workgroup_id_z 0
		.amdhsa_system_sgpr_workgroup_info 0
		.amdhsa_system_vgpr_workitem_id 0
		.amdhsa_next_free_vgpr 1
		.amdhsa_next_free_sgpr 0
		.amdhsa_reserve_vcc 0
		.amdhsa_reserve_flat_scratch 0
		.amdhsa_float_round_mode_32 0
		.amdhsa_float_round_mode_16_64 0
		.amdhsa_float_denorm_mode_32 3
		.amdhsa_float_denorm_mode_16_64 3
		.amdhsa_dx10_clamp 1
		.amdhsa_ieee_mode 1
		.amdhsa_fp16_overflow 0
		.amdhsa_exception_fp_ieee_invalid_op 0
		.amdhsa_exception_fp_denorm_src 0
		.amdhsa_exception_fp_ieee_div_zero 0
		.amdhsa_exception_fp_ieee_overflow 0
		.amdhsa_exception_fp_ieee_underflow 0
		.amdhsa_exception_fp_ieee_inexact 0
		.amdhsa_exception_int_div_zero 0
	.end_amdhsa_kernel
	.section	.text._ZN7rocprim17ROCPRIM_400000_NS6detail17trampoline_kernelINS0_14default_configENS1_25transform_config_selectorIhLb1EEEZNS1_14transform_implILb1ES3_S5_PhS7_NS0_8identityIhEEEE10hipError_tT2_T3_mT4_P12ihipStream_tbEUlT_E_NS1_11comp_targetILNS1_3genE8ELNS1_11target_archE1030ELNS1_3gpuE2ELNS1_3repE0EEENS1_30default_config_static_selectorELNS0_4arch9wavefront6targetE1EEEvT1_,"axG",@progbits,_ZN7rocprim17ROCPRIM_400000_NS6detail17trampoline_kernelINS0_14default_configENS1_25transform_config_selectorIhLb1EEEZNS1_14transform_implILb1ES3_S5_PhS7_NS0_8identityIhEEEE10hipError_tT2_T3_mT4_P12ihipStream_tbEUlT_E_NS1_11comp_targetILNS1_3genE8ELNS1_11target_archE1030ELNS1_3gpuE2ELNS1_3repE0EEENS1_30default_config_static_selectorELNS0_4arch9wavefront6targetE1EEEvT1_,comdat
.Lfunc_end179:
	.size	_ZN7rocprim17ROCPRIM_400000_NS6detail17trampoline_kernelINS0_14default_configENS1_25transform_config_selectorIhLb1EEEZNS1_14transform_implILb1ES3_S5_PhS7_NS0_8identityIhEEEE10hipError_tT2_T3_mT4_P12ihipStream_tbEUlT_E_NS1_11comp_targetILNS1_3genE8ELNS1_11target_archE1030ELNS1_3gpuE2ELNS1_3repE0EEENS1_30default_config_static_selectorELNS0_4arch9wavefront6targetE1EEEvT1_, .Lfunc_end179-_ZN7rocprim17ROCPRIM_400000_NS6detail17trampoline_kernelINS0_14default_configENS1_25transform_config_selectorIhLb1EEEZNS1_14transform_implILb1ES3_S5_PhS7_NS0_8identityIhEEEE10hipError_tT2_T3_mT4_P12ihipStream_tbEUlT_E_NS1_11comp_targetILNS1_3genE8ELNS1_11target_archE1030ELNS1_3gpuE2ELNS1_3repE0EEENS1_30default_config_static_selectorELNS0_4arch9wavefront6targetE1EEEvT1_
                                        ; -- End function
	.set _ZN7rocprim17ROCPRIM_400000_NS6detail17trampoline_kernelINS0_14default_configENS1_25transform_config_selectorIhLb1EEEZNS1_14transform_implILb1ES3_S5_PhS7_NS0_8identityIhEEEE10hipError_tT2_T3_mT4_P12ihipStream_tbEUlT_E_NS1_11comp_targetILNS1_3genE8ELNS1_11target_archE1030ELNS1_3gpuE2ELNS1_3repE0EEENS1_30default_config_static_selectorELNS0_4arch9wavefront6targetE1EEEvT1_.num_vgpr, 0
	.set _ZN7rocprim17ROCPRIM_400000_NS6detail17trampoline_kernelINS0_14default_configENS1_25transform_config_selectorIhLb1EEEZNS1_14transform_implILb1ES3_S5_PhS7_NS0_8identityIhEEEE10hipError_tT2_T3_mT4_P12ihipStream_tbEUlT_E_NS1_11comp_targetILNS1_3genE8ELNS1_11target_archE1030ELNS1_3gpuE2ELNS1_3repE0EEENS1_30default_config_static_selectorELNS0_4arch9wavefront6targetE1EEEvT1_.num_agpr, 0
	.set _ZN7rocprim17ROCPRIM_400000_NS6detail17trampoline_kernelINS0_14default_configENS1_25transform_config_selectorIhLb1EEEZNS1_14transform_implILb1ES3_S5_PhS7_NS0_8identityIhEEEE10hipError_tT2_T3_mT4_P12ihipStream_tbEUlT_E_NS1_11comp_targetILNS1_3genE8ELNS1_11target_archE1030ELNS1_3gpuE2ELNS1_3repE0EEENS1_30default_config_static_selectorELNS0_4arch9wavefront6targetE1EEEvT1_.numbered_sgpr, 0
	.set _ZN7rocprim17ROCPRIM_400000_NS6detail17trampoline_kernelINS0_14default_configENS1_25transform_config_selectorIhLb1EEEZNS1_14transform_implILb1ES3_S5_PhS7_NS0_8identityIhEEEE10hipError_tT2_T3_mT4_P12ihipStream_tbEUlT_E_NS1_11comp_targetILNS1_3genE8ELNS1_11target_archE1030ELNS1_3gpuE2ELNS1_3repE0EEENS1_30default_config_static_selectorELNS0_4arch9wavefront6targetE1EEEvT1_.num_named_barrier, 0
	.set _ZN7rocprim17ROCPRIM_400000_NS6detail17trampoline_kernelINS0_14default_configENS1_25transform_config_selectorIhLb1EEEZNS1_14transform_implILb1ES3_S5_PhS7_NS0_8identityIhEEEE10hipError_tT2_T3_mT4_P12ihipStream_tbEUlT_E_NS1_11comp_targetILNS1_3genE8ELNS1_11target_archE1030ELNS1_3gpuE2ELNS1_3repE0EEENS1_30default_config_static_selectorELNS0_4arch9wavefront6targetE1EEEvT1_.private_seg_size, 0
	.set _ZN7rocprim17ROCPRIM_400000_NS6detail17trampoline_kernelINS0_14default_configENS1_25transform_config_selectorIhLb1EEEZNS1_14transform_implILb1ES3_S5_PhS7_NS0_8identityIhEEEE10hipError_tT2_T3_mT4_P12ihipStream_tbEUlT_E_NS1_11comp_targetILNS1_3genE8ELNS1_11target_archE1030ELNS1_3gpuE2ELNS1_3repE0EEENS1_30default_config_static_selectorELNS0_4arch9wavefront6targetE1EEEvT1_.uses_vcc, 0
	.set _ZN7rocprim17ROCPRIM_400000_NS6detail17trampoline_kernelINS0_14default_configENS1_25transform_config_selectorIhLb1EEEZNS1_14transform_implILb1ES3_S5_PhS7_NS0_8identityIhEEEE10hipError_tT2_T3_mT4_P12ihipStream_tbEUlT_E_NS1_11comp_targetILNS1_3genE8ELNS1_11target_archE1030ELNS1_3gpuE2ELNS1_3repE0EEENS1_30default_config_static_selectorELNS0_4arch9wavefront6targetE1EEEvT1_.uses_flat_scratch, 0
	.set _ZN7rocprim17ROCPRIM_400000_NS6detail17trampoline_kernelINS0_14default_configENS1_25transform_config_selectorIhLb1EEEZNS1_14transform_implILb1ES3_S5_PhS7_NS0_8identityIhEEEE10hipError_tT2_T3_mT4_P12ihipStream_tbEUlT_E_NS1_11comp_targetILNS1_3genE8ELNS1_11target_archE1030ELNS1_3gpuE2ELNS1_3repE0EEENS1_30default_config_static_selectorELNS0_4arch9wavefront6targetE1EEEvT1_.has_dyn_sized_stack, 0
	.set _ZN7rocprim17ROCPRIM_400000_NS6detail17trampoline_kernelINS0_14default_configENS1_25transform_config_selectorIhLb1EEEZNS1_14transform_implILb1ES3_S5_PhS7_NS0_8identityIhEEEE10hipError_tT2_T3_mT4_P12ihipStream_tbEUlT_E_NS1_11comp_targetILNS1_3genE8ELNS1_11target_archE1030ELNS1_3gpuE2ELNS1_3repE0EEENS1_30default_config_static_selectorELNS0_4arch9wavefront6targetE1EEEvT1_.has_recursion, 0
	.set _ZN7rocprim17ROCPRIM_400000_NS6detail17trampoline_kernelINS0_14default_configENS1_25transform_config_selectorIhLb1EEEZNS1_14transform_implILb1ES3_S5_PhS7_NS0_8identityIhEEEE10hipError_tT2_T3_mT4_P12ihipStream_tbEUlT_E_NS1_11comp_targetILNS1_3genE8ELNS1_11target_archE1030ELNS1_3gpuE2ELNS1_3repE0EEENS1_30default_config_static_selectorELNS0_4arch9wavefront6targetE1EEEvT1_.has_indirect_call, 0
	.section	.AMDGPU.csdata,"",@progbits
; Kernel info:
; codeLenInByte = 0
; TotalNumSgprs: 4
; NumVgprs: 0
; ScratchSize: 0
; MemoryBound: 0
; FloatMode: 240
; IeeeMode: 1
; LDSByteSize: 0 bytes/workgroup (compile time only)
; SGPRBlocks: 0
; VGPRBlocks: 0
; NumSGPRsForWavesPerEU: 4
; NumVGPRsForWavesPerEU: 1
; Occupancy: 10
; WaveLimiterHint : 0
; COMPUTE_PGM_RSRC2:SCRATCH_EN: 0
; COMPUTE_PGM_RSRC2:USER_SGPR: 6
; COMPUTE_PGM_RSRC2:TRAP_HANDLER: 0
; COMPUTE_PGM_RSRC2:TGID_X_EN: 1
; COMPUTE_PGM_RSRC2:TGID_Y_EN: 0
; COMPUTE_PGM_RSRC2:TGID_Z_EN: 0
; COMPUTE_PGM_RSRC2:TIDIG_COMP_CNT: 0
	.section	.text._ZN7rocprim17ROCPRIM_400000_NS6detail17trampoline_kernelINS0_14default_configENS1_25transform_config_selectorIlLb0EEEZNS1_14transform_implILb0ES3_S5_PlN6thrust23THRUST_200600_302600_NS10device_ptrIlEENS0_8identityIlEEEE10hipError_tT2_T3_mT4_P12ihipStream_tbEUlT_E_NS1_11comp_targetILNS1_3genE0ELNS1_11target_archE4294967295ELNS1_3gpuE0ELNS1_3repE0EEENS1_30default_config_static_selectorELNS0_4arch9wavefront6targetE1EEEvT1_,"axG",@progbits,_ZN7rocprim17ROCPRIM_400000_NS6detail17trampoline_kernelINS0_14default_configENS1_25transform_config_selectorIlLb0EEEZNS1_14transform_implILb0ES3_S5_PlN6thrust23THRUST_200600_302600_NS10device_ptrIlEENS0_8identityIlEEEE10hipError_tT2_T3_mT4_P12ihipStream_tbEUlT_E_NS1_11comp_targetILNS1_3genE0ELNS1_11target_archE4294967295ELNS1_3gpuE0ELNS1_3repE0EEENS1_30default_config_static_selectorELNS0_4arch9wavefront6targetE1EEEvT1_,comdat
	.protected	_ZN7rocprim17ROCPRIM_400000_NS6detail17trampoline_kernelINS0_14default_configENS1_25transform_config_selectorIlLb0EEEZNS1_14transform_implILb0ES3_S5_PlN6thrust23THRUST_200600_302600_NS10device_ptrIlEENS0_8identityIlEEEE10hipError_tT2_T3_mT4_P12ihipStream_tbEUlT_E_NS1_11comp_targetILNS1_3genE0ELNS1_11target_archE4294967295ELNS1_3gpuE0ELNS1_3repE0EEENS1_30default_config_static_selectorELNS0_4arch9wavefront6targetE1EEEvT1_ ; -- Begin function _ZN7rocprim17ROCPRIM_400000_NS6detail17trampoline_kernelINS0_14default_configENS1_25transform_config_selectorIlLb0EEEZNS1_14transform_implILb0ES3_S5_PlN6thrust23THRUST_200600_302600_NS10device_ptrIlEENS0_8identityIlEEEE10hipError_tT2_T3_mT4_P12ihipStream_tbEUlT_E_NS1_11comp_targetILNS1_3genE0ELNS1_11target_archE4294967295ELNS1_3gpuE0ELNS1_3repE0EEENS1_30default_config_static_selectorELNS0_4arch9wavefront6targetE1EEEvT1_
	.globl	_ZN7rocprim17ROCPRIM_400000_NS6detail17trampoline_kernelINS0_14default_configENS1_25transform_config_selectorIlLb0EEEZNS1_14transform_implILb0ES3_S5_PlN6thrust23THRUST_200600_302600_NS10device_ptrIlEENS0_8identityIlEEEE10hipError_tT2_T3_mT4_P12ihipStream_tbEUlT_E_NS1_11comp_targetILNS1_3genE0ELNS1_11target_archE4294967295ELNS1_3gpuE0ELNS1_3repE0EEENS1_30default_config_static_selectorELNS0_4arch9wavefront6targetE1EEEvT1_
	.p2align	8
	.type	_ZN7rocprim17ROCPRIM_400000_NS6detail17trampoline_kernelINS0_14default_configENS1_25transform_config_selectorIlLb0EEEZNS1_14transform_implILb0ES3_S5_PlN6thrust23THRUST_200600_302600_NS10device_ptrIlEENS0_8identityIlEEEE10hipError_tT2_T3_mT4_P12ihipStream_tbEUlT_E_NS1_11comp_targetILNS1_3genE0ELNS1_11target_archE4294967295ELNS1_3gpuE0ELNS1_3repE0EEENS1_30default_config_static_selectorELNS0_4arch9wavefront6targetE1EEEvT1_,@function
_ZN7rocprim17ROCPRIM_400000_NS6detail17trampoline_kernelINS0_14default_configENS1_25transform_config_selectorIlLb0EEEZNS1_14transform_implILb0ES3_S5_PlN6thrust23THRUST_200600_302600_NS10device_ptrIlEENS0_8identityIlEEEE10hipError_tT2_T3_mT4_P12ihipStream_tbEUlT_E_NS1_11comp_targetILNS1_3genE0ELNS1_11target_archE4294967295ELNS1_3gpuE0ELNS1_3repE0EEENS1_30default_config_static_selectorELNS0_4arch9wavefront6targetE1EEEvT1_: ; @_ZN7rocprim17ROCPRIM_400000_NS6detail17trampoline_kernelINS0_14default_configENS1_25transform_config_selectorIlLb0EEEZNS1_14transform_implILb0ES3_S5_PlN6thrust23THRUST_200600_302600_NS10device_ptrIlEENS0_8identityIlEEEE10hipError_tT2_T3_mT4_P12ihipStream_tbEUlT_E_NS1_11comp_targetILNS1_3genE0ELNS1_11target_archE4294967295ELNS1_3gpuE0ELNS1_3repE0EEENS1_30default_config_static_selectorELNS0_4arch9wavefront6targetE1EEEvT1_
; %bb.0:
	.section	.rodata,"a",@progbits
	.p2align	6, 0x0
	.amdhsa_kernel _ZN7rocprim17ROCPRIM_400000_NS6detail17trampoline_kernelINS0_14default_configENS1_25transform_config_selectorIlLb0EEEZNS1_14transform_implILb0ES3_S5_PlN6thrust23THRUST_200600_302600_NS10device_ptrIlEENS0_8identityIlEEEE10hipError_tT2_T3_mT4_P12ihipStream_tbEUlT_E_NS1_11comp_targetILNS1_3genE0ELNS1_11target_archE4294967295ELNS1_3gpuE0ELNS1_3repE0EEENS1_30default_config_static_selectorELNS0_4arch9wavefront6targetE1EEEvT1_
		.amdhsa_group_segment_fixed_size 0
		.amdhsa_private_segment_fixed_size 0
		.amdhsa_kernarg_size 40
		.amdhsa_user_sgpr_count 6
		.amdhsa_user_sgpr_private_segment_buffer 1
		.amdhsa_user_sgpr_dispatch_ptr 0
		.amdhsa_user_sgpr_queue_ptr 0
		.amdhsa_user_sgpr_kernarg_segment_ptr 1
		.amdhsa_user_sgpr_dispatch_id 0
		.amdhsa_user_sgpr_flat_scratch_init 0
		.amdhsa_user_sgpr_private_segment_size 0
		.amdhsa_uses_dynamic_stack 0
		.amdhsa_system_sgpr_private_segment_wavefront_offset 0
		.amdhsa_system_sgpr_workgroup_id_x 1
		.amdhsa_system_sgpr_workgroup_id_y 0
		.amdhsa_system_sgpr_workgroup_id_z 0
		.amdhsa_system_sgpr_workgroup_info 0
		.amdhsa_system_vgpr_workitem_id 0
		.amdhsa_next_free_vgpr 1
		.amdhsa_next_free_sgpr 0
		.amdhsa_reserve_vcc 0
		.amdhsa_reserve_flat_scratch 0
		.amdhsa_float_round_mode_32 0
		.amdhsa_float_round_mode_16_64 0
		.amdhsa_float_denorm_mode_32 3
		.amdhsa_float_denorm_mode_16_64 3
		.amdhsa_dx10_clamp 1
		.amdhsa_ieee_mode 1
		.amdhsa_fp16_overflow 0
		.amdhsa_exception_fp_ieee_invalid_op 0
		.amdhsa_exception_fp_denorm_src 0
		.amdhsa_exception_fp_ieee_div_zero 0
		.amdhsa_exception_fp_ieee_overflow 0
		.amdhsa_exception_fp_ieee_underflow 0
		.amdhsa_exception_fp_ieee_inexact 0
		.amdhsa_exception_int_div_zero 0
	.end_amdhsa_kernel
	.section	.text._ZN7rocprim17ROCPRIM_400000_NS6detail17trampoline_kernelINS0_14default_configENS1_25transform_config_selectorIlLb0EEEZNS1_14transform_implILb0ES3_S5_PlN6thrust23THRUST_200600_302600_NS10device_ptrIlEENS0_8identityIlEEEE10hipError_tT2_T3_mT4_P12ihipStream_tbEUlT_E_NS1_11comp_targetILNS1_3genE0ELNS1_11target_archE4294967295ELNS1_3gpuE0ELNS1_3repE0EEENS1_30default_config_static_selectorELNS0_4arch9wavefront6targetE1EEEvT1_,"axG",@progbits,_ZN7rocprim17ROCPRIM_400000_NS6detail17trampoline_kernelINS0_14default_configENS1_25transform_config_selectorIlLb0EEEZNS1_14transform_implILb0ES3_S5_PlN6thrust23THRUST_200600_302600_NS10device_ptrIlEENS0_8identityIlEEEE10hipError_tT2_T3_mT4_P12ihipStream_tbEUlT_E_NS1_11comp_targetILNS1_3genE0ELNS1_11target_archE4294967295ELNS1_3gpuE0ELNS1_3repE0EEENS1_30default_config_static_selectorELNS0_4arch9wavefront6targetE1EEEvT1_,comdat
.Lfunc_end180:
	.size	_ZN7rocprim17ROCPRIM_400000_NS6detail17trampoline_kernelINS0_14default_configENS1_25transform_config_selectorIlLb0EEEZNS1_14transform_implILb0ES3_S5_PlN6thrust23THRUST_200600_302600_NS10device_ptrIlEENS0_8identityIlEEEE10hipError_tT2_T3_mT4_P12ihipStream_tbEUlT_E_NS1_11comp_targetILNS1_3genE0ELNS1_11target_archE4294967295ELNS1_3gpuE0ELNS1_3repE0EEENS1_30default_config_static_selectorELNS0_4arch9wavefront6targetE1EEEvT1_, .Lfunc_end180-_ZN7rocprim17ROCPRIM_400000_NS6detail17trampoline_kernelINS0_14default_configENS1_25transform_config_selectorIlLb0EEEZNS1_14transform_implILb0ES3_S5_PlN6thrust23THRUST_200600_302600_NS10device_ptrIlEENS0_8identityIlEEEE10hipError_tT2_T3_mT4_P12ihipStream_tbEUlT_E_NS1_11comp_targetILNS1_3genE0ELNS1_11target_archE4294967295ELNS1_3gpuE0ELNS1_3repE0EEENS1_30default_config_static_selectorELNS0_4arch9wavefront6targetE1EEEvT1_
                                        ; -- End function
	.set _ZN7rocprim17ROCPRIM_400000_NS6detail17trampoline_kernelINS0_14default_configENS1_25transform_config_selectorIlLb0EEEZNS1_14transform_implILb0ES3_S5_PlN6thrust23THRUST_200600_302600_NS10device_ptrIlEENS0_8identityIlEEEE10hipError_tT2_T3_mT4_P12ihipStream_tbEUlT_E_NS1_11comp_targetILNS1_3genE0ELNS1_11target_archE4294967295ELNS1_3gpuE0ELNS1_3repE0EEENS1_30default_config_static_selectorELNS0_4arch9wavefront6targetE1EEEvT1_.num_vgpr, 0
	.set _ZN7rocprim17ROCPRIM_400000_NS6detail17trampoline_kernelINS0_14default_configENS1_25transform_config_selectorIlLb0EEEZNS1_14transform_implILb0ES3_S5_PlN6thrust23THRUST_200600_302600_NS10device_ptrIlEENS0_8identityIlEEEE10hipError_tT2_T3_mT4_P12ihipStream_tbEUlT_E_NS1_11comp_targetILNS1_3genE0ELNS1_11target_archE4294967295ELNS1_3gpuE0ELNS1_3repE0EEENS1_30default_config_static_selectorELNS0_4arch9wavefront6targetE1EEEvT1_.num_agpr, 0
	.set _ZN7rocprim17ROCPRIM_400000_NS6detail17trampoline_kernelINS0_14default_configENS1_25transform_config_selectorIlLb0EEEZNS1_14transform_implILb0ES3_S5_PlN6thrust23THRUST_200600_302600_NS10device_ptrIlEENS0_8identityIlEEEE10hipError_tT2_T3_mT4_P12ihipStream_tbEUlT_E_NS1_11comp_targetILNS1_3genE0ELNS1_11target_archE4294967295ELNS1_3gpuE0ELNS1_3repE0EEENS1_30default_config_static_selectorELNS0_4arch9wavefront6targetE1EEEvT1_.numbered_sgpr, 0
	.set _ZN7rocprim17ROCPRIM_400000_NS6detail17trampoline_kernelINS0_14default_configENS1_25transform_config_selectorIlLb0EEEZNS1_14transform_implILb0ES3_S5_PlN6thrust23THRUST_200600_302600_NS10device_ptrIlEENS0_8identityIlEEEE10hipError_tT2_T3_mT4_P12ihipStream_tbEUlT_E_NS1_11comp_targetILNS1_3genE0ELNS1_11target_archE4294967295ELNS1_3gpuE0ELNS1_3repE0EEENS1_30default_config_static_selectorELNS0_4arch9wavefront6targetE1EEEvT1_.num_named_barrier, 0
	.set _ZN7rocprim17ROCPRIM_400000_NS6detail17trampoline_kernelINS0_14default_configENS1_25transform_config_selectorIlLb0EEEZNS1_14transform_implILb0ES3_S5_PlN6thrust23THRUST_200600_302600_NS10device_ptrIlEENS0_8identityIlEEEE10hipError_tT2_T3_mT4_P12ihipStream_tbEUlT_E_NS1_11comp_targetILNS1_3genE0ELNS1_11target_archE4294967295ELNS1_3gpuE0ELNS1_3repE0EEENS1_30default_config_static_selectorELNS0_4arch9wavefront6targetE1EEEvT1_.private_seg_size, 0
	.set _ZN7rocprim17ROCPRIM_400000_NS6detail17trampoline_kernelINS0_14default_configENS1_25transform_config_selectorIlLb0EEEZNS1_14transform_implILb0ES3_S5_PlN6thrust23THRUST_200600_302600_NS10device_ptrIlEENS0_8identityIlEEEE10hipError_tT2_T3_mT4_P12ihipStream_tbEUlT_E_NS1_11comp_targetILNS1_3genE0ELNS1_11target_archE4294967295ELNS1_3gpuE0ELNS1_3repE0EEENS1_30default_config_static_selectorELNS0_4arch9wavefront6targetE1EEEvT1_.uses_vcc, 0
	.set _ZN7rocprim17ROCPRIM_400000_NS6detail17trampoline_kernelINS0_14default_configENS1_25transform_config_selectorIlLb0EEEZNS1_14transform_implILb0ES3_S5_PlN6thrust23THRUST_200600_302600_NS10device_ptrIlEENS0_8identityIlEEEE10hipError_tT2_T3_mT4_P12ihipStream_tbEUlT_E_NS1_11comp_targetILNS1_3genE0ELNS1_11target_archE4294967295ELNS1_3gpuE0ELNS1_3repE0EEENS1_30default_config_static_selectorELNS0_4arch9wavefront6targetE1EEEvT1_.uses_flat_scratch, 0
	.set _ZN7rocprim17ROCPRIM_400000_NS6detail17trampoline_kernelINS0_14default_configENS1_25transform_config_selectorIlLb0EEEZNS1_14transform_implILb0ES3_S5_PlN6thrust23THRUST_200600_302600_NS10device_ptrIlEENS0_8identityIlEEEE10hipError_tT2_T3_mT4_P12ihipStream_tbEUlT_E_NS1_11comp_targetILNS1_3genE0ELNS1_11target_archE4294967295ELNS1_3gpuE0ELNS1_3repE0EEENS1_30default_config_static_selectorELNS0_4arch9wavefront6targetE1EEEvT1_.has_dyn_sized_stack, 0
	.set _ZN7rocprim17ROCPRIM_400000_NS6detail17trampoline_kernelINS0_14default_configENS1_25transform_config_selectorIlLb0EEEZNS1_14transform_implILb0ES3_S5_PlN6thrust23THRUST_200600_302600_NS10device_ptrIlEENS0_8identityIlEEEE10hipError_tT2_T3_mT4_P12ihipStream_tbEUlT_E_NS1_11comp_targetILNS1_3genE0ELNS1_11target_archE4294967295ELNS1_3gpuE0ELNS1_3repE0EEENS1_30default_config_static_selectorELNS0_4arch9wavefront6targetE1EEEvT1_.has_recursion, 0
	.set _ZN7rocprim17ROCPRIM_400000_NS6detail17trampoline_kernelINS0_14default_configENS1_25transform_config_selectorIlLb0EEEZNS1_14transform_implILb0ES3_S5_PlN6thrust23THRUST_200600_302600_NS10device_ptrIlEENS0_8identityIlEEEE10hipError_tT2_T3_mT4_P12ihipStream_tbEUlT_E_NS1_11comp_targetILNS1_3genE0ELNS1_11target_archE4294967295ELNS1_3gpuE0ELNS1_3repE0EEENS1_30default_config_static_selectorELNS0_4arch9wavefront6targetE1EEEvT1_.has_indirect_call, 0
	.section	.AMDGPU.csdata,"",@progbits
; Kernel info:
; codeLenInByte = 0
; TotalNumSgprs: 4
; NumVgprs: 0
; ScratchSize: 0
; MemoryBound: 0
; FloatMode: 240
; IeeeMode: 1
; LDSByteSize: 0 bytes/workgroup (compile time only)
; SGPRBlocks: 0
; VGPRBlocks: 0
; NumSGPRsForWavesPerEU: 4
; NumVGPRsForWavesPerEU: 1
; Occupancy: 10
; WaveLimiterHint : 0
; COMPUTE_PGM_RSRC2:SCRATCH_EN: 0
; COMPUTE_PGM_RSRC2:USER_SGPR: 6
; COMPUTE_PGM_RSRC2:TRAP_HANDLER: 0
; COMPUTE_PGM_RSRC2:TGID_X_EN: 1
; COMPUTE_PGM_RSRC2:TGID_Y_EN: 0
; COMPUTE_PGM_RSRC2:TGID_Z_EN: 0
; COMPUTE_PGM_RSRC2:TIDIG_COMP_CNT: 0
	.section	.text._ZN7rocprim17ROCPRIM_400000_NS6detail17trampoline_kernelINS0_14default_configENS1_25transform_config_selectorIlLb0EEEZNS1_14transform_implILb0ES3_S5_PlN6thrust23THRUST_200600_302600_NS10device_ptrIlEENS0_8identityIlEEEE10hipError_tT2_T3_mT4_P12ihipStream_tbEUlT_E_NS1_11comp_targetILNS1_3genE5ELNS1_11target_archE942ELNS1_3gpuE9ELNS1_3repE0EEENS1_30default_config_static_selectorELNS0_4arch9wavefront6targetE1EEEvT1_,"axG",@progbits,_ZN7rocprim17ROCPRIM_400000_NS6detail17trampoline_kernelINS0_14default_configENS1_25transform_config_selectorIlLb0EEEZNS1_14transform_implILb0ES3_S5_PlN6thrust23THRUST_200600_302600_NS10device_ptrIlEENS0_8identityIlEEEE10hipError_tT2_T3_mT4_P12ihipStream_tbEUlT_E_NS1_11comp_targetILNS1_3genE5ELNS1_11target_archE942ELNS1_3gpuE9ELNS1_3repE0EEENS1_30default_config_static_selectorELNS0_4arch9wavefront6targetE1EEEvT1_,comdat
	.protected	_ZN7rocprim17ROCPRIM_400000_NS6detail17trampoline_kernelINS0_14default_configENS1_25transform_config_selectorIlLb0EEEZNS1_14transform_implILb0ES3_S5_PlN6thrust23THRUST_200600_302600_NS10device_ptrIlEENS0_8identityIlEEEE10hipError_tT2_T3_mT4_P12ihipStream_tbEUlT_E_NS1_11comp_targetILNS1_3genE5ELNS1_11target_archE942ELNS1_3gpuE9ELNS1_3repE0EEENS1_30default_config_static_selectorELNS0_4arch9wavefront6targetE1EEEvT1_ ; -- Begin function _ZN7rocprim17ROCPRIM_400000_NS6detail17trampoline_kernelINS0_14default_configENS1_25transform_config_selectorIlLb0EEEZNS1_14transform_implILb0ES3_S5_PlN6thrust23THRUST_200600_302600_NS10device_ptrIlEENS0_8identityIlEEEE10hipError_tT2_T3_mT4_P12ihipStream_tbEUlT_E_NS1_11comp_targetILNS1_3genE5ELNS1_11target_archE942ELNS1_3gpuE9ELNS1_3repE0EEENS1_30default_config_static_selectorELNS0_4arch9wavefront6targetE1EEEvT1_
	.globl	_ZN7rocprim17ROCPRIM_400000_NS6detail17trampoline_kernelINS0_14default_configENS1_25transform_config_selectorIlLb0EEEZNS1_14transform_implILb0ES3_S5_PlN6thrust23THRUST_200600_302600_NS10device_ptrIlEENS0_8identityIlEEEE10hipError_tT2_T3_mT4_P12ihipStream_tbEUlT_E_NS1_11comp_targetILNS1_3genE5ELNS1_11target_archE942ELNS1_3gpuE9ELNS1_3repE0EEENS1_30default_config_static_selectorELNS0_4arch9wavefront6targetE1EEEvT1_
	.p2align	8
	.type	_ZN7rocprim17ROCPRIM_400000_NS6detail17trampoline_kernelINS0_14default_configENS1_25transform_config_selectorIlLb0EEEZNS1_14transform_implILb0ES3_S5_PlN6thrust23THRUST_200600_302600_NS10device_ptrIlEENS0_8identityIlEEEE10hipError_tT2_T3_mT4_P12ihipStream_tbEUlT_E_NS1_11comp_targetILNS1_3genE5ELNS1_11target_archE942ELNS1_3gpuE9ELNS1_3repE0EEENS1_30default_config_static_selectorELNS0_4arch9wavefront6targetE1EEEvT1_,@function
_ZN7rocprim17ROCPRIM_400000_NS6detail17trampoline_kernelINS0_14default_configENS1_25transform_config_selectorIlLb0EEEZNS1_14transform_implILb0ES3_S5_PlN6thrust23THRUST_200600_302600_NS10device_ptrIlEENS0_8identityIlEEEE10hipError_tT2_T3_mT4_P12ihipStream_tbEUlT_E_NS1_11comp_targetILNS1_3genE5ELNS1_11target_archE942ELNS1_3gpuE9ELNS1_3repE0EEENS1_30default_config_static_selectorELNS0_4arch9wavefront6targetE1EEEvT1_: ; @_ZN7rocprim17ROCPRIM_400000_NS6detail17trampoline_kernelINS0_14default_configENS1_25transform_config_selectorIlLb0EEEZNS1_14transform_implILb0ES3_S5_PlN6thrust23THRUST_200600_302600_NS10device_ptrIlEENS0_8identityIlEEEE10hipError_tT2_T3_mT4_P12ihipStream_tbEUlT_E_NS1_11comp_targetILNS1_3genE5ELNS1_11target_archE942ELNS1_3gpuE9ELNS1_3repE0EEENS1_30default_config_static_selectorELNS0_4arch9wavefront6targetE1EEEvT1_
; %bb.0:
	.section	.rodata,"a",@progbits
	.p2align	6, 0x0
	.amdhsa_kernel _ZN7rocprim17ROCPRIM_400000_NS6detail17trampoline_kernelINS0_14default_configENS1_25transform_config_selectorIlLb0EEEZNS1_14transform_implILb0ES3_S5_PlN6thrust23THRUST_200600_302600_NS10device_ptrIlEENS0_8identityIlEEEE10hipError_tT2_T3_mT4_P12ihipStream_tbEUlT_E_NS1_11comp_targetILNS1_3genE5ELNS1_11target_archE942ELNS1_3gpuE9ELNS1_3repE0EEENS1_30default_config_static_selectorELNS0_4arch9wavefront6targetE1EEEvT1_
		.amdhsa_group_segment_fixed_size 0
		.amdhsa_private_segment_fixed_size 0
		.amdhsa_kernarg_size 40
		.amdhsa_user_sgpr_count 6
		.amdhsa_user_sgpr_private_segment_buffer 1
		.amdhsa_user_sgpr_dispatch_ptr 0
		.amdhsa_user_sgpr_queue_ptr 0
		.amdhsa_user_sgpr_kernarg_segment_ptr 1
		.amdhsa_user_sgpr_dispatch_id 0
		.amdhsa_user_sgpr_flat_scratch_init 0
		.amdhsa_user_sgpr_private_segment_size 0
		.amdhsa_uses_dynamic_stack 0
		.amdhsa_system_sgpr_private_segment_wavefront_offset 0
		.amdhsa_system_sgpr_workgroup_id_x 1
		.amdhsa_system_sgpr_workgroup_id_y 0
		.amdhsa_system_sgpr_workgroup_id_z 0
		.amdhsa_system_sgpr_workgroup_info 0
		.amdhsa_system_vgpr_workitem_id 0
		.amdhsa_next_free_vgpr 1
		.amdhsa_next_free_sgpr 0
		.amdhsa_reserve_vcc 0
		.amdhsa_reserve_flat_scratch 0
		.amdhsa_float_round_mode_32 0
		.amdhsa_float_round_mode_16_64 0
		.amdhsa_float_denorm_mode_32 3
		.amdhsa_float_denorm_mode_16_64 3
		.amdhsa_dx10_clamp 1
		.amdhsa_ieee_mode 1
		.amdhsa_fp16_overflow 0
		.amdhsa_exception_fp_ieee_invalid_op 0
		.amdhsa_exception_fp_denorm_src 0
		.amdhsa_exception_fp_ieee_div_zero 0
		.amdhsa_exception_fp_ieee_overflow 0
		.amdhsa_exception_fp_ieee_underflow 0
		.amdhsa_exception_fp_ieee_inexact 0
		.amdhsa_exception_int_div_zero 0
	.end_amdhsa_kernel
	.section	.text._ZN7rocprim17ROCPRIM_400000_NS6detail17trampoline_kernelINS0_14default_configENS1_25transform_config_selectorIlLb0EEEZNS1_14transform_implILb0ES3_S5_PlN6thrust23THRUST_200600_302600_NS10device_ptrIlEENS0_8identityIlEEEE10hipError_tT2_T3_mT4_P12ihipStream_tbEUlT_E_NS1_11comp_targetILNS1_3genE5ELNS1_11target_archE942ELNS1_3gpuE9ELNS1_3repE0EEENS1_30default_config_static_selectorELNS0_4arch9wavefront6targetE1EEEvT1_,"axG",@progbits,_ZN7rocprim17ROCPRIM_400000_NS6detail17trampoline_kernelINS0_14default_configENS1_25transform_config_selectorIlLb0EEEZNS1_14transform_implILb0ES3_S5_PlN6thrust23THRUST_200600_302600_NS10device_ptrIlEENS0_8identityIlEEEE10hipError_tT2_T3_mT4_P12ihipStream_tbEUlT_E_NS1_11comp_targetILNS1_3genE5ELNS1_11target_archE942ELNS1_3gpuE9ELNS1_3repE0EEENS1_30default_config_static_selectorELNS0_4arch9wavefront6targetE1EEEvT1_,comdat
.Lfunc_end181:
	.size	_ZN7rocprim17ROCPRIM_400000_NS6detail17trampoline_kernelINS0_14default_configENS1_25transform_config_selectorIlLb0EEEZNS1_14transform_implILb0ES3_S5_PlN6thrust23THRUST_200600_302600_NS10device_ptrIlEENS0_8identityIlEEEE10hipError_tT2_T3_mT4_P12ihipStream_tbEUlT_E_NS1_11comp_targetILNS1_3genE5ELNS1_11target_archE942ELNS1_3gpuE9ELNS1_3repE0EEENS1_30default_config_static_selectorELNS0_4arch9wavefront6targetE1EEEvT1_, .Lfunc_end181-_ZN7rocprim17ROCPRIM_400000_NS6detail17trampoline_kernelINS0_14default_configENS1_25transform_config_selectorIlLb0EEEZNS1_14transform_implILb0ES3_S5_PlN6thrust23THRUST_200600_302600_NS10device_ptrIlEENS0_8identityIlEEEE10hipError_tT2_T3_mT4_P12ihipStream_tbEUlT_E_NS1_11comp_targetILNS1_3genE5ELNS1_11target_archE942ELNS1_3gpuE9ELNS1_3repE0EEENS1_30default_config_static_selectorELNS0_4arch9wavefront6targetE1EEEvT1_
                                        ; -- End function
	.set _ZN7rocprim17ROCPRIM_400000_NS6detail17trampoline_kernelINS0_14default_configENS1_25transform_config_selectorIlLb0EEEZNS1_14transform_implILb0ES3_S5_PlN6thrust23THRUST_200600_302600_NS10device_ptrIlEENS0_8identityIlEEEE10hipError_tT2_T3_mT4_P12ihipStream_tbEUlT_E_NS1_11comp_targetILNS1_3genE5ELNS1_11target_archE942ELNS1_3gpuE9ELNS1_3repE0EEENS1_30default_config_static_selectorELNS0_4arch9wavefront6targetE1EEEvT1_.num_vgpr, 0
	.set _ZN7rocprim17ROCPRIM_400000_NS6detail17trampoline_kernelINS0_14default_configENS1_25transform_config_selectorIlLb0EEEZNS1_14transform_implILb0ES3_S5_PlN6thrust23THRUST_200600_302600_NS10device_ptrIlEENS0_8identityIlEEEE10hipError_tT2_T3_mT4_P12ihipStream_tbEUlT_E_NS1_11comp_targetILNS1_3genE5ELNS1_11target_archE942ELNS1_3gpuE9ELNS1_3repE0EEENS1_30default_config_static_selectorELNS0_4arch9wavefront6targetE1EEEvT1_.num_agpr, 0
	.set _ZN7rocprim17ROCPRIM_400000_NS6detail17trampoline_kernelINS0_14default_configENS1_25transform_config_selectorIlLb0EEEZNS1_14transform_implILb0ES3_S5_PlN6thrust23THRUST_200600_302600_NS10device_ptrIlEENS0_8identityIlEEEE10hipError_tT2_T3_mT4_P12ihipStream_tbEUlT_E_NS1_11comp_targetILNS1_3genE5ELNS1_11target_archE942ELNS1_3gpuE9ELNS1_3repE0EEENS1_30default_config_static_selectorELNS0_4arch9wavefront6targetE1EEEvT1_.numbered_sgpr, 0
	.set _ZN7rocprim17ROCPRIM_400000_NS6detail17trampoline_kernelINS0_14default_configENS1_25transform_config_selectorIlLb0EEEZNS1_14transform_implILb0ES3_S5_PlN6thrust23THRUST_200600_302600_NS10device_ptrIlEENS0_8identityIlEEEE10hipError_tT2_T3_mT4_P12ihipStream_tbEUlT_E_NS1_11comp_targetILNS1_3genE5ELNS1_11target_archE942ELNS1_3gpuE9ELNS1_3repE0EEENS1_30default_config_static_selectorELNS0_4arch9wavefront6targetE1EEEvT1_.num_named_barrier, 0
	.set _ZN7rocprim17ROCPRIM_400000_NS6detail17trampoline_kernelINS0_14default_configENS1_25transform_config_selectorIlLb0EEEZNS1_14transform_implILb0ES3_S5_PlN6thrust23THRUST_200600_302600_NS10device_ptrIlEENS0_8identityIlEEEE10hipError_tT2_T3_mT4_P12ihipStream_tbEUlT_E_NS1_11comp_targetILNS1_3genE5ELNS1_11target_archE942ELNS1_3gpuE9ELNS1_3repE0EEENS1_30default_config_static_selectorELNS0_4arch9wavefront6targetE1EEEvT1_.private_seg_size, 0
	.set _ZN7rocprim17ROCPRIM_400000_NS6detail17trampoline_kernelINS0_14default_configENS1_25transform_config_selectorIlLb0EEEZNS1_14transform_implILb0ES3_S5_PlN6thrust23THRUST_200600_302600_NS10device_ptrIlEENS0_8identityIlEEEE10hipError_tT2_T3_mT4_P12ihipStream_tbEUlT_E_NS1_11comp_targetILNS1_3genE5ELNS1_11target_archE942ELNS1_3gpuE9ELNS1_3repE0EEENS1_30default_config_static_selectorELNS0_4arch9wavefront6targetE1EEEvT1_.uses_vcc, 0
	.set _ZN7rocprim17ROCPRIM_400000_NS6detail17trampoline_kernelINS0_14default_configENS1_25transform_config_selectorIlLb0EEEZNS1_14transform_implILb0ES3_S5_PlN6thrust23THRUST_200600_302600_NS10device_ptrIlEENS0_8identityIlEEEE10hipError_tT2_T3_mT4_P12ihipStream_tbEUlT_E_NS1_11comp_targetILNS1_3genE5ELNS1_11target_archE942ELNS1_3gpuE9ELNS1_3repE0EEENS1_30default_config_static_selectorELNS0_4arch9wavefront6targetE1EEEvT1_.uses_flat_scratch, 0
	.set _ZN7rocprim17ROCPRIM_400000_NS6detail17trampoline_kernelINS0_14default_configENS1_25transform_config_selectorIlLb0EEEZNS1_14transform_implILb0ES3_S5_PlN6thrust23THRUST_200600_302600_NS10device_ptrIlEENS0_8identityIlEEEE10hipError_tT2_T3_mT4_P12ihipStream_tbEUlT_E_NS1_11comp_targetILNS1_3genE5ELNS1_11target_archE942ELNS1_3gpuE9ELNS1_3repE0EEENS1_30default_config_static_selectorELNS0_4arch9wavefront6targetE1EEEvT1_.has_dyn_sized_stack, 0
	.set _ZN7rocprim17ROCPRIM_400000_NS6detail17trampoline_kernelINS0_14default_configENS1_25transform_config_selectorIlLb0EEEZNS1_14transform_implILb0ES3_S5_PlN6thrust23THRUST_200600_302600_NS10device_ptrIlEENS0_8identityIlEEEE10hipError_tT2_T3_mT4_P12ihipStream_tbEUlT_E_NS1_11comp_targetILNS1_3genE5ELNS1_11target_archE942ELNS1_3gpuE9ELNS1_3repE0EEENS1_30default_config_static_selectorELNS0_4arch9wavefront6targetE1EEEvT1_.has_recursion, 0
	.set _ZN7rocprim17ROCPRIM_400000_NS6detail17trampoline_kernelINS0_14default_configENS1_25transform_config_selectorIlLb0EEEZNS1_14transform_implILb0ES3_S5_PlN6thrust23THRUST_200600_302600_NS10device_ptrIlEENS0_8identityIlEEEE10hipError_tT2_T3_mT4_P12ihipStream_tbEUlT_E_NS1_11comp_targetILNS1_3genE5ELNS1_11target_archE942ELNS1_3gpuE9ELNS1_3repE0EEENS1_30default_config_static_selectorELNS0_4arch9wavefront6targetE1EEEvT1_.has_indirect_call, 0
	.section	.AMDGPU.csdata,"",@progbits
; Kernel info:
; codeLenInByte = 0
; TotalNumSgprs: 4
; NumVgprs: 0
; ScratchSize: 0
; MemoryBound: 0
; FloatMode: 240
; IeeeMode: 1
; LDSByteSize: 0 bytes/workgroup (compile time only)
; SGPRBlocks: 0
; VGPRBlocks: 0
; NumSGPRsForWavesPerEU: 4
; NumVGPRsForWavesPerEU: 1
; Occupancy: 10
; WaveLimiterHint : 0
; COMPUTE_PGM_RSRC2:SCRATCH_EN: 0
; COMPUTE_PGM_RSRC2:USER_SGPR: 6
; COMPUTE_PGM_RSRC2:TRAP_HANDLER: 0
; COMPUTE_PGM_RSRC2:TGID_X_EN: 1
; COMPUTE_PGM_RSRC2:TGID_Y_EN: 0
; COMPUTE_PGM_RSRC2:TGID_Z_EN: 0
; COMPUTE_PGM_RSRC2:TIDIG_COMP_CNT: 0
	.section	.text._ZN7rocprim17ROCPRIM_400000_NS6detail17trampoline_kernelINS0_14default_configENS1_25transform_config_selectorIlLb0EEEZNS1_14transform_implILb0ES3_S5_PlN6thrust23THRUST_200600_302600_NS10device_ptrIlEENS0_8identityIlEEEE10hipError_tT2_T3_mT4_P12ihipStream_tbEUlT_E_NS1_11comp_targetILNS1_3genE4ELNS1_11target_archE910ELNS1_3gpuE8ELNS1_3repE0EEENS1_30default_config_static_selectorELNS0_4arch9wavefront6targetE1EEEvT1_,"axG",@progbits,_ZN7rocprim17ROCPRIM_400000_NS6detail17trampoline_kernelINS0_14default_configENS1_25transform_config_selectorIlLb0EEEZNS1_14transform_implILb0ES3_S5_PlN6thrust23THRUST_200600_302600_NS10device_ptrIlEENS0_8identityIlEEEE10hipError_tT2_T3_mT4_P12ihipStream_tbEUlT_E_NS1_11comp_targetILNS1_3genE4ELNS1_11target_archE910ELNS1_3gpuE8ELNS1_3repE0EEENS1_30default_config_static_selectorELNS0_4arch9wavefront6targetE1EEEvT1_,comdat
	.protected	_ZN7rocprim17ROCPRIM_400000_NS6detail17trampoline_kernelINS0_14default_configENS1_25transform_config_selectorIlLb0EEEZNS1_14transform_implILb0ES3_S5_PlN6thrust23THRUST_200600_302600_NS10device_ptrIlEENS0_8identityIlEEEE10hipError_tT2_T3_mT4_P12ihipStream_tbEUlT_E_NS1_11comp_targetILNS1_3genE4ELNS1_11target_archE910ELNS1_3gpuE8ELNS1_3repE0EEENS1_30default_config_static_selectorELNS0_4arch9wavefront6targetE1EEEvT1_ ; -- Begin function _ZN7rocprim17ROCPRIM_400000_NS6detail17trampoline_kernelINS0_14default_configENS1_25transform_config_selectorIlLb0EEEZNS1_14transform_implILb0ES3_S5_PlN6thrust23THRUST_200600_302600_NS10device_ptrIlEENS0_8identityIlEEEE10hipError_tT2_T3_mT4_P12ihipStream_tbEUlT_E_NS1_11comp_targetILNS1_3genE4ELNS1_11target_archE910ELNS1_3gpuE8ELNS1_3repE0EEENS1_30default_config_static_selectorELNS0_4arch9wavefront6targetE1EEEvT1_
	.globl	_ZN7rocprim17ROCPRIM_400000_NS6detail17trampoline_kernelINS0_14default_configENS1_25transform_config_selectorIlLb0EEEZNS1_14transform_implILb0ES3_S5_PlN6thrust23THRUST_200600_302600_NS10device_ptrIlEENS0_8identityIlEEEE10hipError_tT2_T3_mT4_P12ihipStream_tbEUlT_E_NS1_11comp_targetILNS1_3genE4ELNS1_11target_archE910ELNS1_3gpuE8ELNS1_3repE0EEENS1_30default_config_static_selectorELNS0_4arch9wavefront6targetE1EEEvT1_
	.p2align	8
	.type	_ZN7rocprim17ROCPRIM_400000_NS6detail17trampoline_kernelINS0_14default_configENS1_25transform_config_selectorIlLb0EEEZNS1_14transform_implILb0ES3_S5_PlN6thrust23THRUST_200600_302600_NS10device_ptrIlEENS0_8identityIlEEEE10hipError_tT2_T3_mT4_P12ihipStream_tbEUlT_E_NS1_11comp_targetILNS1_3genE4ELNS1_11target_archE910ELNS1_3gpuE8ELNS1_3repE0EEENS1_30default_config_static_selectorELNS0_4arch9wavefront6targetE1EEEvT1_,@function
_ZN7rocprim17ROCPRIM_400000_NS6detail17trampoline_kernelINS0_14default_configENS1_25transform_config_selectorIlLb0EEEZNS1_14transform_implILb0ES3_S5_PlN6thrust23THRUST_200600_302600_NS10device_ptrIlEENS0_8identityIlEEEE10hipError_tT2_T3_mT4_P12ihipStream_tbEUlT_E_NS1_11comp_targetILNS1_3genE4ELNS1_11target_archE910ELNS1_3gpuE8ELNS1_3repE0EEENS1_30default_config_static_selectorELNS0_4arch9wavefront6targetE1EEEvT1_: ; @_ZN7rocprim17ROCPRIM_400000_NS6detail17trampoline_kernelINS0_14default_configENS1_25transform_config_selectorIlLb0EEEZNS1_14transform_implILb0ES3_S5_PlN6thrust23THRUST_200600_302600_NS10device_ptrIlEENS0_8identityIlEEEE10hipError_tT2_T3_mT4_P12ihipStream_tbEUlT_E_NS1_11comp_targetILNS1_3genE4ELNS1_11target_archE910ELNS1_3gpuE8ELNS1_3repE0EEENS1_30default_config_static_selectorELNS0_4arch9wavefront6targetE1EEEvT1_
; %bb.0:
	.section	.rodata,"a",@progbits
	.p2align	6, 0x0
	.amdhsa_kernel _ZN7rocprim17ROCPRIM_400000_NS6detail17trampoline_kernelINS0_14default_configENS1_25transform_config_selectorIlLb0EEEZNS1_14transform_implILb0ES3_S5_PlN6thrust23THRUST_200600_302600_NS10device_ptrIlEENS0_8identityIlEEEE10hipError_tT2_T3_mT4_P12ihipStream_tbEUlT_E_NS1_11comp_targetILNS1_3genE4ELNS1_11target_archE910ELNS1_3gpuE8ELNS1_3repE0EEENS1_30default_config_static_selectorELNS0_4arch9wavefront6targetE1EEEvT1_
		.amdhsa_group_segment_fixed_size 0
		.amdhsa_private_segment_fixed_size 0
		.amdhsa_kernarg_size 40
		.amdhsa_user_sgpr_count 6
		.amdhsa_user_sgpr_private_segment_buffer 1
		.amdhsa_user_sgpr_dispatch_ptr 0
		.amdhsa_user_sgpr_queue_ptr 0
		.amdhsa_user_sgpr_kernarg_segment_ptr 1
		.amdhsa_user_sgpr_dispatch_id 0
		.amdhsa_user_sgpr_flat_scratch_init 0
		.amdhsa_user_sgpr_private_segment_size 0
		.amdhsa_uses_dynamic_stack 0
		.amdhsa_system_sgpr_private_segment_wavefront_offset 0
		.amdhsa_system_sgpr_workgroup_id_x 1
		.amdhsa_system_sgpr_workgroup_id_y 0
		.amdhsa_system_sgpr_workgroup_id_z 0
		.amdhsa_system_sgpr_workgroup_info 0
		.amdhsa_system_vgpr_workitem_id 0
		.amdhsa_next_free_vgpr 1
		.amdhsa_next_free_sgpr 0
		.amdhsa_reserve_vcc 0
		.amdhsa_reserve_flat_scratch 0
		.amdhsa_float_round_mode_32 0
		.amdhsa_float_round_mode_16_64 0
		.amdhsa_float_denorm_mode_32 3
		.amdhsa_float_denorm_mode_16_64 3
		.amdhsa_dx10_clamp 1
		.amdhsa_ieee_mode 1
		.amdhsa_fp16_overflow 0
		.amdhsa_exception_fp_ieee_invalid_op 0
		.amdhsa_exception_fp_denorm_src 0
		.amdhsa_exception_fp_ieee_div_zero 0
		.amdhsa_exception_fp_ieee_overflow 0
		.amdhsa_exception_fp_ieee_underflow 0
		.amdhsa_exception_fp_ieee_inexact 0
		.amdhsa_exception_int_div_zero 0
	.end_amdhsa_kernel
	.section	.text._ZN7rocprim17ROCPRIM_400000_NS6detail17trampoline_kernelINS0_14default_configENS1_25transform_config_selectorIlLb0EEEZNS1_14transform_implILb0ES3_S5_PlN6thrust23THRUST_200600_302600_NS10device_ptrIlEENS0_8identityIlEEEE10hipError_tT2_T3_mT4_P12ihipStream_tbEUlT_E_NS1_11comp_targetILNS1_3genE4ELNS1_11target_archE910ELNS1_3gpuE8ELNS1_3repE0EEENS1_30default_config_static_selectorELNS0_4arch9wavefront6targetE1EEEvT1_,"axG",@progbits,_ZN7rocprim17ROCPRIM_400000_NS6detail17trampoline_kernelINS0_14default_configENS1_25transform_config_selectorIlLb0EEEZNS1_14transform_implILb0ES3_S5_PlN6thrust23THRUST_200600_302600_NS10device_ptrIlEENS0_8identityIlEEEE10hipError_tT2_T3_mT4_P12ihipStream_tbEUlT_E_NS1_11comp_targetILNS1_3genE4ELNS1_11target_archE910ELNS1_3gpuE8ELNS1_3repE0EEENS1_30default_config_static_selectorELNS0_4arch9wavefront6targetE1EEEvT1_,comdat
.Lfunc_end182:
	.size	_ZN7rocprim17ROCPRIM_400000_NS6detail17trampoline_kernelINS0_14default_configENS1_25transform_config_selectorIlLb0EEEZNS1_14transform_implILb0ES3_S5_PlN6thrust23THRUST_200600_302600_NS10device_ptrIlEENS0_8identityIlEEEE10hipError_tT2_T3_mT4_P12ihipStream_tbEUlT_E_NS1_11comp_targetILNS1_3genE4ELNS1_11target_archE910ELNS1_3gpuE8ELNS1_3repE0EEENS1_30default_config_static_selectorELNS0_4arch9wavefront6targetE1EEEvT1_, .Lfunc_end182-_ZN7rocprim17ROCPRIM_400000_NS6detail17trampoline_kernelINS0_14default_configENS1_25transform_config_selectorIlLb0EEEZNS1_14transform_implILb0ES3_S5_PlN6thrust23THRUST_200600_302600_NS10device_ptrIlEENS0_8identityIlEEEE10hipError_tT2_T3_mT4_P12ihipStream_tbEUlT_E_NS1_11comp_targetILNS1_3genE4ELNS1_11target_archE910ELNS1_3gpuE8ELNS1_3repE0EEENS1_30default_config_static_selectorELNS0_4arch9wavefront6targetE1EEEvT1_
                                        ; -- End function
	.set _ZN7rocprim17ROCPRIM_400000_NS6detail17trampoline_kernelINS0_14default_configENS1_25transform_config_selectorIlLb0EEEZNS1_14transform_implILb0ES3_S5_PlN6thrust23THRUST_200600_302600_NS10device_ptrIlEENS0_8identityIlEEEE10hipError_tT2_T3_mT4_P12ihipStream_tbEUlT_E_NS1_11comp_targetILNS1_3genE4ELNS1_11target_archE910ELNS1_3gpuE8ELNS1_3repE0EEENS1_30default_config_static_selectorELNS0_4arch9wavefront6targetE1EEEvT1_.num_vgpr, 0
	.set _ZN7rocprim17ROCPRIM_400000_NS6detail17trampoline_kernelINS0_14default_configENS1_25transform_config_selectorIlLb0EEEZNS1_14transform_implILb0ES3_S5_PlN6thrust23THRUST_200600_302600_NS10device_ptrIlEENS0_8identityIlEEEE10hipError_tT2_T3_mT4_P12ihipStream_tbEUlT_E_NS1_11comp_targetILNS1_3genE4ELNS1_11target_archE910ELNS1_3gpuE8ELNS1_3repE0EEENS1_30default_config_static_selectorELNS0_4arch9wavefront6targetE1EEEvT1_.num_agpr, 0
	.set _ZN7rocprim17ROCPRIM_400000_NS6detail17trampoline_kernelINS0_14default_configENS1_25transform_config_selectorIlLb0EEEZNS1_14transform_implILb0ES3_S5_PlN6thrust23THRUST_200600_302600_NS10device_ptrIlEENS0_8identityIlEEEE10hipError_tT2_T3_mT4_P12ihipStream_tbEUlT_E_NS1_11comp_targetILNS1_3genE4ELNS1_11target_archE910ELNS1_3gpuE8ELNS1_3repE0EEENS1_30default_config_static_selectorELNS0_4arch9wavefront6targetE1EEEvT1_.numbered_sgpr, 0
	.set _ZN7rocprim17ROCPRIM_400000_NS6detail17trampoline_kernelINS0_14default_configENS1_25transform_config_selectorIlLb0EEEZNS1_14transform_implILb0ES3_S5_PlN6thrust23THRUST_200600_302600_NS10device_ptrIlEENS0_8identityIlEEEE10hipError_tT2_T3_mT4_P12ihipStream_tbEUlT_E_NS1_11comp_targetILNS1_3genE4ELNS1_11target_archE910ELNS1_3gpuE8ELNS1_3repE0EEENS1_30default_config_static_selectorELNS0_4arch9wavefront6targetE1EEEvT1_.num_named_barrier, 0
	.set _ZN7rocprim17ROCPRIM_400000_NS6detail17trampoline_kernelINS0_14default_configENS1_25transform_config_selectorIlLb0EEEZNS1_14transform_implILb0ES3_S5_PlN6thrust23THRUST_200600_302600_NS10device_ptrIlEENS0_8identityIlEEEE10hipError_tT2_T3_mT4_P12ihipStream_tbEUlT_E_NS1_11comp_targetILNS1_3genE4ELNS1_11target_archE910ELNS1_3gpuE8ELNS1_3repE0EEENS1_30default_config_static_selectorELNS0_4arch9wavefront6targetE1EEEvT1_.private_seg_size, 0
	.set _ZN7rocprim17ROCPRIM_400000_NS6detail17trampoline_kernelINS0_14default_configENS1_25transform_config_selectorIlLb0EEEZNS1_14transform_implILb0ES3_S5_PlN6thrust23THRUST_200600_302600_NS10device_ptrIlEENS0_8identityIlEEEE10hipError_tT2_T3_mT4_P12ihipStream_tbEUlT_E_NS1_11comp_targetILNS1_3genE4ELNS1_11target_archE910ELNS1_3gpuE8ELNS1_3repE0EEENS1_30default_config_static_selectorELNS0_4arch9wavefront6targetE1EEEvT1_.uses_vcc, 0
	.set _ZN7rocprim17ROCPRIM_400000_NS6detail17trampoline_kernelINS0_14default_configENS1_25transform_config_selectorIlLb0EEEZNS1_14transform_implILb0ES3_S5_PlN6thrust23THRUST_200600_302600_NS10device_ptrIlEENS0_8identityIlEEEE10hipError_tT2_T3_mT4_P12ihipStream_tbEUlT_E_NS1_11comp_targetILNS1_3genE4ELNS1_11target_archE910ELNS1_3gpuE8ELNS1_3repE0EEENS1_30default_config_static_selectorELNS0_4arch9wavefront6targetE1EEEvT1_.uses_flat_scratch, 0
	.set _ZN7rocprim17ROCPRIM_400000_NS6detail17trampoline_kernelINS0_14default_configENS1_25transform_config_selectorIlLb0EEEZNS1_14transform_implILb0ES3_S5_PlN6thrust23THRUST_200600_302600_NS10device_ptrIlEENS0_8identityIlEEEE10hipError_tT2_T3_mT4_P12ihipStream_tbEUlT_E_NS1_11comp_targetILNS1_3genE4ELNS1_11target_archE910ELNS1_3gpuE8ELNS1_3repE0EEENS1_30default_config_static_selectorELNS0_4arch9wavefront6targetE1EEEvT1_.has_dyn_sized_stack, 0
	.set _ZN7rocprim17ROCPRIM_400000_NS6detail17trampoline_kernelINS0_14default_configENS1_25transform_config_selectorIlLb0EEEZNS1_14transform_implILb0ES3_S5_PlN6thrust23THRUST_200600_302600_NS10device_ptrIlEENS0_8identityIlEEEE10hipError_tT2_T3_mT4_P12ihipStream_tbEUlT_E_NS1_11comp_targetILNS1_3genE4ELNS1_11target_archE910ELNS1_3gpuE8ELNS1_3repE0EEENS1_30default_config_static_selectorELNS0_4arch9wavefront6targetE1EEEvT1_.has_recursion, 0
	.set _ZN7rocprim17ROCPRIM_400000_NS6detail17trampoline_kernelINS0_14default_configENS1_25transform_config_selectorIlLb0EEEZNS1_14transform_implILb0ES3_S5_PlN6thrust23THRUST_200600_302600_NS10device_ptrIlEENS0_8identityIlEEEE10hipError_tT2_T3_mT4_P12ihipStream_tbEUlT_E_NS1_11comp_targetILNS1_3genE4ELNS1_11target_archE910ELNS1_3gpuE8ELNS1_3repE0EEENS1_30default_config_static_selectorELNS0_4arch9wavefront6targetE1EEEvT1_.has_indirect_call, 0
	.section	.AMDGPU.csdata,"",@progbits
; Kernel info:
; codeLenInByte = 0
; TotalNumSgprs: 4
; NumVgprs: 0
; ScratchSize: 0
; MemoryBound: 0
; FloatMode: 240
; IeeeMode: 1
; LDSByteSize: 0 bytes/workgroup (compile time only)
; SGPRBlocks: 0
; VGPRBlocks: 0
; NumSGPRsForWavesPerEU: 4
; NumVGPRsForWavesPerEU: 1
; Occupancy: 10
; WaveLimiterHint : 0
; COMPUTE_PGM_RSRC2:SCRATCH_EN: 0
; COMPUTE_PGM_RSRC2:USER_SGPR: 6
; COMPUTE_PGM_RSRC2:TRAP_HANDLER: 0
; COMPUTE_PGM_RSRC2:TGID_X_EN: 1
; COMPUTE_PGM_RSRC2:TGID_Y_EN: 0
; COMPUTE_PGM_RSRC2:TGID_Z_EN: 0
; COMPUTE_PGM_RSRC2:TIDIG_COMP_CNT: 0
	.section	.text._ZN7rocprim17ROCPRIM_400000_NS6detail17trampoline_kernelINS0_14default_configENS1_25transform_config_selectorIlLb0EEEZNS1_14transform_implILb0ES3_S5_PlN6thrust23THRUST_200600_302600_NS10device_ptrIlEENS0_8identityIlEEEE10hipError_tT2_T3_mT4_P12ihipStream_tbEUlT_E_NS1_11comp_targetILNS1_3genE3ELNS1_11target_archE908ELNS1_3gpuE7ELNS1_3repE0EEENS1_30default_config_static_selectorELNS0_4arch9wavefront6targetE1EEEvT1_,"axG",@progbits,_ZN7rocprim17ROCPRIM_400000_NS6detail17trampoline_kernelINS0_14default_configENS1_25transform_config_selectorIlLb0EEEZNS1_14transform_implILb0ES3_S5_PlN6thrust23THRUST_200600_302600_NS10device_ptrIlEENS0_8identityIlEEEE10hipError_tT2_T3_mT4_P12ihipStream_tbEUlT_E_NS1_11comp_targetILNS1_3genE3ELNS1_11target_archE908ELNS1_3gpuE7ELNS1_3repE0EEENS1_30default_config_static_selectorELNS0_4arch9wavefront6targetE1EEEvT1_,comdat
	.protected	_ZN7rocprim17ROCPRIM_400000_NS6detail17trampoline_kernelINS0_14default_configENS1_25transform_config_selectorIlLb0EEEZNS1_14transform_implILb0ES3_S5_PlN6thrust23THRUST_200600_302600_NS10device_ptrIlEENS0_8identityIlEEEE10hipError_tT2_T3_mT4_P12ihipStream_tbEUlT_E_NS1_11comp_targetILNS1_3genE3ELNS1_11target_archE908ELNS1_3gpuE7ELNS1_3repE0EEENS1_30default_config_static_selectorELNS0_4arch9wavefront6targetE1EEEvT1_ ; -- Begin function _ZN7rocprim17ROCPRIM_400000_NS6detail17trampoline_kernelINS0_14default_configENS1_25transform_config_selectorIlLb0EEEZNS1_14transform_implILb0ES3_S5_PlN6thrust23THRUST_200600_302600_NS10device_ptrIlEENS0_8identityIlEEEE10hipError_tT2_T3_mT4_P12ihipStream_tbEUlT_E_NS1_11comp_targetILNS1_3genE3ELNS1_11target_archE908ELNS1_3gpuE7ELNS1_3repE0EEENS1_30default_config_static_selectorELNS0_4arch9wavefront6targetE1EEEvT1_
	.globl	_ZN7rocprim17ROCPRIM_400000_NS6detail17trampoline_kernelINS0_14default_configENS1_25transform_config_selectorIlLb0EEEZNS1_14transform_implILb0ES3_S5_PlN6thrust23THRUST_200600_302600_NS10device_ptrIlEENS0_8identityIlEEEE10hipError_tT2_T3_mT4_P12ihipStream_tbEUlT_E_NS1_11comp_targetILNS1_3genE3ELNS1_11target_archE908ELNS1_3gpuE7ELNS1_3repE0EEENS1_30default_config_static_selectorELNS0_4arch9wavefront6targetE1EEEvT1_
	.p2align	8
	.type	_ZN7rocprim17ROCPRIM_400000_NS6detail17trampoline_kernelINS0_14default_configENS1_25transform_config_selectorIlLb0EEEZNS1_14transform_implILb0ES3_S5_PlN6thrust23THRUST_200600_302600_NS10device_ptrIlEENS0_8identityIlEEEE10hipError_tT2_T3_mT4_P12ihipStream_tbEUlT_E_NS1_11comp_targetILNS1_3genE3ELNS1_11target_archE908ELNS1_3gpuE7ELNS1_3repE0EEENS1_30default_config_static_selectorELNS0_4arch9wavefront6targetE1EEEvT1_,@function
_ZN7rocprim17ROCPRIM_400000_NS6detail17trampoline_kernelINS0_14default_configENS1_25transform_config_selectorIlLb0EEEZNS1_14transform_implILb0ES3_S5_PlN6thrust23THRUST_200600_302600_NS10device_ptrIlEENS0_8identityIlEEEE10hipError_tT2_T3_mT4_P12ihipStream_tbEUlT_E_NS1_11comp_targetILNS1_3genE3ELNS1_11target_archE908ELNS1_3gpuE7ELNS1_3repE0EEENS1_30default_config_static_selectorELNS0_4arch9wavefront6targetE1EEEvT1_: ; @_ZN7rocprim17ROCPRIM_400000_NS6detail17trampoline_kernelINS0_14default_configENS1_25transform_config_selectorIlLb0EEEZNS1_14transform_implILb0ES3_S5_PlN6thrust23THRUST_200600_302600_NS10device_ptrIlEENS0_8identityIlEEEE10hipError_tT2_T3_mT4_P12ihipStream_tbEUlT_E_NS1_11comp_targetILNS1_3genE3ELNS1_11target_archE908ELNS1_3gpuE7ELNS1_3repE0EEENS1_30default_config_static_selectorELNS0_4arch9wavefront6targetE1EEEvT1_
; %bb.0:
	.section	.rodata,"a",@progbits
	.p2align	6, 0x0
	.amdhsa_kernel _ZN7rocprim17ROCPRIM_400000_NS6detail17trampoline_kernelINS0_14default_configENS1_25transform_config_selectorIlLb0EEEZNS1_14transform_implILb0ES3_S5_PlN6thrust23THRUST_200600_302600_NS10device_ptrIlEENS0_8identityIlEEEE10hipError_tT2_T3_mT4_P12ihipStream_tbEUlT_E_NS1_11comp_targetILNS1_3genE3ELNS1_11target_archE908ELNS1_3gpuE7ELNS1_3repE0EEENS1_30default_config_static_selectorELNS0_4arch9wavefront6targetE1EEEvT1_
		.amdhsa_group_segment_fixed_size 0
		.amdhsa_private_segment_fixed_size 0
		.amdhsa_kernarg_size 40
		.amdhsa_user_sgpr_count 6
		.amdhsa_user_sgpr_private_segment_buffer 1
		.amdhsa_user_sgpr_dispatch_ptr 0
		.amdhsa_user_sgpr_queue_ptr 0
		.amdhsa_user_sgpr_kernarg_segment_ptr 1
		.amdhsa_user_sgpr_dispatch_id 0
		.amdhsa_user_sgpr_flat_scratch_init 0
		.amdhsa_user_sgpr_private_segment_size 0
		.amdhsa_uses_dynamic_stack 0
		.amdhsa_system_sgpr_private_segment_wavefront_offset 0
		.amdhsa_system_sgpr_workgroup_id_x 1
		.amdhsa_system_sgpr_workgroup_id_y 0
		.amdhsa_system_sgpr_workgroup_id_z 0
		.amdhsa_system_sgpr_workgroup_info 0
		.amdhsa_system_vgpr_workitem_id 0
		.amdhsa_next_free_vgpr 1
		.amdhsa_next_free_sgpr 0
		.amdhsa_reserve_vcc 0
		.amdhsa_reserve_flat_scratch 0
		.amdhsa_float_round_mode_32 0
		.amdhsa_float_round_mode_16_64 0
		.amdhsa_float_denorm_mode_32 3
		.amdhsa_float_denorm_mode_16_64 3
		.amdhsa_dx10_clamp 1
		.amdhsa_ieee_mode 1
		.amdhsa_fp16_overflow 0
		.amdhsa_exception_fp_ieee_invalid_op 0
		.amdhsa_exception_fp_denorm_src 0
		.amdhsa_exception_fp_ieee_div_zero 0
		.amdhsa_exception_fp_ieee_overflow 0
		.amdhsa_exception_fp_ieee_underflow 0
		.amdhsa_exception_fp_ieee_inexact 0
		.amdhsa_exception_int_div_zero 0
	.end_amdhsa_kernel
	.section	.text._ZN7rocprim17ROCPRIM_400000_NS6detail17trampoline_kernelINS0_14default_configENS1_25transform_config_selectorIlLb0EEEZNS1_14transform_implILb0ES3_S5_PlN6thrust23THRUST_200600_302600_NS10device_ptrIlEENS0_8identityIlEEEE10hipError_tT2_T3_mT4_P12ihipStream_tbEUlT_E_NS1_11comp_targetILNS1_3genE3ELNS1_11target_archE908ELNS1_3gpuE7ELNS1_3repE0EEENS1_30default_config_static_selectorELNS0_4arch9wavefront6targetE1EEEvT1_,"axG",@progbits,_ZN7rocprim17ROCPRIM_400000_NS6detail17trampoline_kernelINS0_14default_configENS1_25transform_config_selectorIlLb0EEEZNS1_14transform_implILb0ES3_S5_PlN6thrust23THRUST_200600_302600_NS10device_ptrIlEENS0_8identityIlEEEE10hipError_tT2_T3_mT4_P12ihipStream_tbEUlT_E_NS1_11comp_targetILNS1_3genE3ELNS1_11target_archE908ELNS1_3gpuE7ELNS1_3repE0EEENS1_30default_config_static_selectorELNS0_4arch9wavefront6targetE1EEEvT1_,comdat
.Lfunc_end183:
	.size	_ZN7rocprim17ROCPRIM_400000_NS6detail17trampoline_kernelINS0_14default_configENS1_25transform_config_selectorIlLb0EEEZNS1_14transform_implILb0ES3_S5_PlN6thrust23THRUST_200600_302600_NS10device_ptrIlEENS0_8identityIlEEEE10hipError_tT2_T3_mT4_P12ihipStream_tbEUlT_E_NS1_11comp_targetILNS1_3genE3ELNS1_11target_archE908ELNS1_3gpuE7ELNS1_3repE0EEENS1_30default_config_static_selectorELNS0_4arch9wavefront6targetE1EEEvT1_, .Lfunc_end183-_ZN7rocprim17ROCPRIM_400000_NS6detail17trampoline_kernelINS0_14default_configENS1_25transform_config_selectorIlLb0EEEZNS1_14transform_implILb0ES3_S5_PlN6thrust23THRUST_200600_302600_NS10device_ptrIlEENS0_8identityIlEEEE10hipError_tT2_T3_mT4_P12ihipStream_tbEUlT_E_NS1_11comp_targetILNS1_3genE3ELNS1_11target_archE908ELNS1_3gpuE7ELNS1_3repE0EEENS1_30default_config_static_selectorELNS0_4arch9wavefront6targetE1EEEvT1_
                                        ; -- End function
	.set _ZN7rocprim17ROCPRIM_400000_NS6detail17trampoline_kernelINS0_14default_configENS1_25transform_config_selectorIlLb0EEEZNS1_14transform_implILb0ES3_S5_PlN6thrust23THRUST_200600_302600_NS10device_ptrIlEENS0_8identityIlEEEE10hipError_tT2_T3_mT4_P12ihipStream_tbEUlT_E_NS1_11comp_targetILNS1_3genE3ELNS1_11target_archE908ELNS1_3gpuE7ELNS1_3repE0EEENS1_30default_config_static_selectorELNS0_4arch9wavefront6targetE1EEEvT1_.num_vgpr, 0
	.set _ZN7rocprim17ROCPRIM_400000_NS6detail17trampoline_kernelINS0_14default_configENS1_25transform_config_selectorIlLb0EEEZNS1_14transform_implILb0ES3_S5_PlN6thrust23THRUST_200600_302600_NS10device_ptrIlEENS0_8identityIlEEEE10hipError_tT2_T3_mT4_P12ihipStream_tbEUlT_E_NS1_11comp_targetILNS1_3genE3ELNS1_11target_archE908ELNS1_3gpuE7ELNS1_3repE0EEENS1_30default_config_static_selectorELNS0_4arch9wavefront6targetE1EEEvT1_.num_agpr, 0
	.set _ZN7rocprim17ROCPRIM_400000_NS6detail17trampoline_kernelINS0_14default_configENS1_25transform_config_selectorIlLb0EEEZNS1_14transform_implILb0ES3_S5_PlN6thrust23THRUST_200600_302600_NS10device_ptrIlEENS0_8identityIlEEEE10hipError_tT2_T3_mT4_P12ihipStream_tbEUlT_E_NS1_11comp_targetILNS1_3genE3ELNS1_11target_archE908ELNS1_3gpuE7ELNS1_3repE0EEENS1_30default_config_static_selectorELNS0_4arch9wavefront6targetE1EEEvT1_.numbered_sgpr, 0
	.set _ZN7rocprim17ROCPRIM_400000_NS6detail17trampoline_kernelINS0_14default_configENS1_25transform_config_selectorIlLb0EEEZNS1_14transform_implILb0ES3_S5_PlN6thrust23THRUST_200600_302600_NS10device_ptrIlEENS0_8identityIlEEEE10hipError_tT2_T3_mT4_P12ihipStream_tbEUlT_E_NS1_11comp_targetILNS1_3genE3ELNS1_11target_archE908ELNS1_3gpuE7ELNS1_3repE0EEENS1_30default_config_static_selectorELNS0_4arch9wavefront6targetE1EEEvT1_.num_named_barrier, 0
	.set _ZN7rocprim17ROCPRIM_400000_NS6detail17trampoline_kernelINS0_14default_configENS1_25transform_config_selectorIlLb0EEEZNS1_14transform_implILb0ES3_S5_PlN6thrust23THRUST_200600_302600_NS10device_ptrIlEENS0_8identityIlEEEE10hipError_tT2_T3_mT4_P12ihipStream_tbEUlT_E_NS1_11comp_targetILNS1_3genE3ELNS1_11target_archE908ELNS1_3gpuE7ELNS1_3repE0EEENS1_30default_config_static_selectorELNS0_4arch9wavefront6targetE1EEEvT1_.private_seg_size, 0
	.set _ZN7rocprim17ROCPRIM_400000_NS6detail17trampoline_kernelINS0_14default_configENS1_25transform_config_selectorIlLb0EEEZNS1_14transform_implILb0ES3_S5_PlN6thrust23THRUST_200600_302600_NS10device_ptrIlEENS0_8identityIlEEEE10hipError_tT2_T3_mT4_P12ihipStream_tbEUlT_E_NS1_11comp_targetILNS1_3genE3ELNS1_11target_archE908ELNS1_3gpuE7ELNS1_3repE0EEENS1_30default_config_static_selectorELNS0_4arch9wavefront6targetE1EEEvT1_.uses_vcc, 0
	.set _ZN7rocprim17ROCPRIM_400000_NS6detail17trampoline_kernelINS0_14default_configENS1_25transform_config_selectorIlLb0EEEZNS1_14transform_implILb0ES3_S5_PlN6thrust23THRUST_200600_302600_NS10device_ptrIlEENS0_8identityIlEEEE10hipError_tT2_T3_mT4_P12ihipStream_tbEUlT_E_NS1_11comp_targetILNS1_3genE3ELNS1_11target_archE908ELNS1_3gpuE7ELNS1_3repE0EEENS1_30default_config_static_selectorELNS0_4arch9wavefront6targetE1EEEvT1_.uses_flat_scratch, 0
	.set _ZN7rocprim17ROCPRIM_400000_NS6detail17trampoline_kernelINS0_14default_configENS1_25transform_config_selectorIlLb0EEEZNS1_14transform_implILb0ES3_S5_PlN6thrust23THRUST_200600_302600_NS10device_ptrIlEENS0_8identityIlEEEE10hipError_tT2_T3_mT4_P12ihipStream_tbEUlT_E_NS1_11comp_targetILNS1_3genE3ELNS1_11target_archE908ELNS1_3gpuE7ELNS1_3repE0EEENS1_30default_config_static_selectorELNS0_4arch9wavefront6targetE1EEEvT1_.has_dyn_sized_stack, 0
	.set _ZN7rocprim17ROCPRIM_400000_NS6detail17trampoline_kernelINS0_14default_configENS1_25transform_config_selectorIlLb0EEEZNS1_14transform_implILb0ES3_S5_PlN6thrust23THRUST_200600_302600_NS10device_ptrIlEENS0_8identityIlEEEE10hipError_tT2_T3_mT4_P12ihipStream_tbEUlT_E_NS1_11comp_targetILNS1_3genE3ELNS1_11target_archE908ELNS1_3gpuE7ELNS1_3repE0EEENS1_30default_config_static_selectorELNS0_4arch9wavefront6targetE1EEEvT1_.has_recursion, 0
	.set _ZN7rocprim17ROCPRIM_400000_NS6detail17trampoline_kernelINS0_14default_configENS1_25transform_config_selectorIlLb0EEEZNS1_14transform_implILb0ES3_S5_PlN6thrust23THRUST_200600_302600_NS10device_ptrIlEENS0_8identityIlEEEE10hipError_tT2_T3_mT4_P12ihipStream_tbEUlT_E_NS1_11comp_targetILNS1_3genE3ELNS1_11target_archE908ELNS1_3gpuE7ELNS1_3repE0EEENS1_30default_config_static_selectorELNS0_4arch9wavefront6targetE1EEEvT1_.has_indirect_call, 0
	.section	.AMDGPU.csdata,"",@progbits
; Kernel info:
; codeLenInByte = 0
; TotalNumSgprs: 4
; NumVgprs: 0
; ScratchSize: 0
; MemoryBound: 0
; FloatMode: 240
; IeeeMode: 1
; LDSByteSize: 0 bytes/workgroup (compile time only)
; SGPRBlocks: 0
; VGPRBlocks: 0
; NumSGPRsForWavesPerEU: 4
; NumVGPRsForWavesPerEU: 1
; Occupancy: 10
; WaveLimiterHint : 0
; COMPUTE_PGM_RSRC2:SCRATCH_EN: 0
; COMPUTE_PGM_RSRC2:USER_SGPR: 6
; COMPUTE_PGM_RSRC2:TRAP_HANDLER: 0
; COMPUTE_PGM_RSRC2:TGID_X_EN: 1
; COMPUTE_PGM_RSRC2:TGID_Y_EN: 0
; COMPUTE_PGM_RSRC2:TGID_Z_EN: 0
; COMPUTE_PGM_RSRC2:TIDIG_COMP_CNT: 0
	.section	.text._ZN7rocprim17ROCPRIM_400000_NS6detail17trampoline_kernelINS0_14default_configENS1_25transform_config_selectorIlLb0EEEZNS1_14transform_implILb0ES3_S5_PlN6thrust23THRUST_200600_302600_NS10device_ptrIlEENS0_8identityIlEEEE10hipError_tT2_T3_mT4_P12ihipStream_tbEUlT_E_NS1_11comp_targetILNS1_3genE2ELNS1_11target_archE906ELNS1_3gpuE6ELNS1_3repE0EEENS1_30default_config_static_selectorELNS0_4arch9wavefront6targetE1EEEvT1_,"axG",@progbits,_ZN7rocprim17ROCPRIM_400000_NS6detail17trampoline_kernelINS0_14default_configENS1_25transform_config_selectorIlLb0EEEZNS1_14transform_implILb0ES3_S5_PlN6thrust23THRUST_200600_302600_NS10device_ptrIlEENS0_8identityIlEEEE10hipError_tT2_T3_mT4_P12ihipStream_tbEUlT_E_NS1_11comp_targetILNS1_3genE2ELNS1_11target_archE906ELNS1_3gpuE6ELNS1_3repE0EEENS1_30default_config_static_selectorELNS0_4arch9wavefront6targetE1EEEvT1_,comdat
	.protected	_ZN7rocprim17ROCPRIM_400000_NS6detail17trampoline_kernelINS0_14default_configENS1_25transform_config_selectorIlLb0EEEZNS1_14transform_implILb0ES3_S5_PlN6thrust23THRUST_200600_302600_NS10device_ptrIlEENS0_8identityIlEEEE10hipError_tT2_T3_mT4_P12ihipStream_tbEUlT_E_NS1_11comp_targetILNS1_3genE2ELNS1_11target_archE906ELNS1_3gpuE6ELNS1_3repE0EEENS1_30default_config_static_selectorELNS0_4arch9wavefront6targetE1EEEvT1_ ; -- Begin function _ZN7rocprim17ROCPRIM_400000_NS6detail17trampoline_kernelINS0_14default_configENS1_25transform_config_selectorIlLb0EEEZNS1_14transform_implILb0ES3_S5_PlN6thrust23THRUST_200600_302600_NS10device_ptrIlEENS0_8identityIlEEEE10hipError_tT2_T3_mT4_P12ihipStream_tbEUlT_E_NS1_11comp_targetILNS1_3genE2ELNS1_11target_archE906ELNS1_3gpuE6ELNS1_3repE0EEENS1_30default_config_static_selectorELNS0_4arch9wavefront6targetE1EEEvT1_
	.globl	_ZN7rocprim17ROCPRIM_400000_NS6detail17trampoline_kernelINS0_14default_configENS1_25transform_config_selectorIlLb0EEEZNS1_14transform_implILb0ES3_S5_PlN6thrust23THRUST_200600_302600_NS10device_ptrIlEENS0_8identityIlEEEE10hipError_tT2_T3_mT4_P12ihipStream_tbEUlT_E_NS1_11comp_targetILNS1_3genE2ELNS1_11target_archE906ELNS1_3gpuE6ELNS1_3repE0EEENS1_30default_config_static_selectorELNS0_4arch9wavefront6targetE1EEEvT1_
	.p2align	8
	.type	_ZN7rocprim17ROCPRIM_400000_NS6detail17trampoline_kernelINS0_14default_configENS1_25transform_config_selectorIlLb0EEEZNS1_14transform_implILb0ES3_S5_PlN6thrust23THRUST_200600_302600_NS10device_ptrIlEENS0_8identityIlEEEE10hipError_tT2_T3_mT4_P12ihipStream_tbEUlT_E_NS1_11comp_targetILNS1_3genE2ELNS1_11target_archE906ELNS1_3gpuE6ELNS1_3repE0EEENS1_30default_config_static_selectorELNS0_4arch9wavefront6targetE1EEEvT1_,@function
_ZN7rocprim17ROCPRIM_400000_NS6detail17trampoline_kernelINS0_14default_configENS1_25transform_config_selectorIlLb0EEEZNS1_14transform_implILb0ES3_S5_PlN6thrust23THRUST_200600_302600_NS10device_ptrIlEENS0_8identityIlEEEE10hipError_tT2_T3_mT4_P12ihipStream_tbEUlT_E_NS1_11comp_targetILNS1_3genE2ELNS1_11target_archE906ELNS1_3gpuE6ELNS1_3repE0EEENS1_30default_config_static_selectorELNS0_4arch9wavefront6targetE1EEEvT1_: ; @_ZN7rocprim17ROCPRIM_400000_NS6detail17trampoline_kernelINS0_14default_configENS1_25transform_config_selectorIlLb0EEEZNS1_14transform_implILb0ES3_S5_PlN6thrust23THRUST_200600_302600_NS10device_ptrIlEENS0_8identityIlEEEE10hipError_tT2_T3_mT4_P12ihipStream_tbEUlT_E_NS1_11comp_targetILNS1_3genE2ELNS1_11target_archE906ELNS1_3gpuE6ELNS1_3repE0EEENS1_30default_config_static_selectorELNS0_4arch9wavefront6targetE1EEEvT1_
; %bb.0:
	s_load_dword s1, s[4:5], 0x28
	s_load_dword s7, s[4:5], 0x10
	s_lshl_b32 s0, s6, 9
	s_waitcnt lgkmcnt(0)
	s_add_i32 s1, s1, -1
	s_cmp_lg_u32 s6, s1
	s_cselect_b64 s[2:3], -1, 0
	s_sub_i32 s1, s7, s0
	v_cmp_gt_u32_e32 vcc, s1, v0
	s_or_b64 s[2:3], vcc, s[2:3]
	s_and_saveexec_b64 s[6:7], s[2:3]
	s_cbranch_execz .LBB184_2
; %bb.1:
	s_load_dwordx4 s[8:11], s[4:5], 0x0
	s_load_dwordx2 s[2:3], s[4:5], 0x18
	s_mov_b32 s1, 0
	v_lshlrev_b32_e32 v2, 3, v0
	s_waitcnt lgkmcnt(0)
	s_lshl_b64 s[4:5], s[10:11], 3
	s_add_u32 s6, s8, s4
	s_addc_u32 s7, s9, s5
	s_lshl_b64 s[0:1], s[0:1], 3
	s_add_u32 s6, s6, s0
	s_addc_u32 s7, s7, s1
	global_load_dwordx2 v[0:1], v2, s[6:7]
	s_add_u32 s2, s2, s4
	s_addc_u32 s3, s3, s5
	s_add_u32 s0, s2, s0
	s_addc_u32 s1, s3, s1
	v_mov_b32_e32 v3, s1
	v_add_co_u32_e32 v2, vcc, s0, v2
	v_addc_co_u32_e32 v3, vcc, 0, v3, vcc
	s_waitcnt vmcnt(0)
	flat_store_dwordx2 v[2:3], v[0:1]
.LBB184_2:
	s_endpgm
	.section	.rodata,"a",@progbits
	.p2align	6, 0x0
	.amdhsa_kernel _ZN7rocprim17ROCPRIM_400000_NS6detail17trampoline_kernelINS0_14default_configENS1_25transform_config_selectorIlLb0EEEZNS1_14transform_implILb0ES3_S5_PlN6thrust23THRUST_200600_302600_NS10device_ptrIlEENS0_8identityIlEEEE10hipError_tT2_T3_mT4_P12ihipStream_tbEUlT_E_NS1_11comp_targetILNS1_3genE2ELNS1_11target_archE906ELNS1_3gpuE6ELNS1_3repE0EEENS1_30default_config_static_selectorELNS0_4arch9wavefront6targetE1EEEvT1_
		.amdhsa_group_segment_fixed_size 0
		.amdhsa_private_segment_fixed_size 0
		.amdhsa_kernarg_size 296
		.amdhsa_user_sgpr_count 6
		.amdhsa_user_sgpr_private_segment_buffer 1
		.amdhsa_user_sgpr_dispatch_ptr 0
		.amdhsa_user_sgpr_queue_ptr 0
		.amdhsa_user_sgpr_kernarg_segment_ptr 1
		.amdhsa_user_sgpr_dispatch_id 0
		.amdhsa_user_sgpr_flat_scratch_init 0
		.amdhsa_user_sgpr_private_segment_size 0
		.amdhsa_uses_dynamic_stack 0
		.amdhsa_system_sgpr_private_segment_wavefront_offset 0
		.amdhsa_system_sgpr_workgroup_id_x 1
		.amdhsa_system_sgpr_workgroup_id_y 0
		.amdhsa_system_sgpr_workgroup_id_z 0
		.amdhsa_system_sgpr_workgroup_info 0
		.amdhsa_system_vgpr_workitem_id 0
		.amdhsa_next_free_vgpr 4
		.amdhsa_next_free_sgpr 12
		.amdhsa_reserve_vcc 1
		.amdhsa_reserve_flat_scratch 0
		.amdhsa_float_round_mode_32 0
		.amdhsa_float_round_mode_16_64 0
		.amdhsa_float_denorm_mode_32 3
		.amdhsa_float_denorm_mode_16_64 3
		.amdhsa_dx10_clamp 1
		.amdhsa_ieee_mode 1
		.amdhsa_fp16_overflow 0
		.amdhsa_exception_fp_ieee_invalid_op 0
		.amdhsa_exception_fp_denorm_src 0
		.amdhsa_exception_fp_ieee_div_zero 0
		.amdhsa_exception_fp_ieee_overflow 0
		.amdhsa_exception_fp_ieee_underflow 0
		.amdhsa_exception_fp_ieee_inexact 0
		.amdhsa_exception_int_div_zero 0
	.end_amdhsa_kernel
	.section	.text._ZN7rocprim17ROCPRIM_400000_NS6detail17trampoline_kernelINS0_14default_configENS1_25transform_config_selectorIlLb0EEEZNS1_14transform_implILb0ES3_S5_PlN6thrust23THRUST_200600_302600_NS10device_ptrIlEENS0_8identityIlEEEE10hipError_tT2_T3_mT4_P12ihipStream_tbEUlT_E_NS1_11comp_targetILNS1_3genE2ELNS1_11target_archE906ELNS1_3gpuE6ELNS1_3repE0EEENS1_30default_config_static_selectorELNS0_4arch9wavefront6targetE1EEEvT1_,"axG",@progbits,_ZN7rocprim17ROCPRIM_400000_NS6detail17trampoline_kernelINS0_14default_configENS1_25transform_config_selectorIlLb0EEEZNS1_14transform_implILb0ES3_S5_PlN6thrust23THRUST_200600_302600_NS10device_ptrIlEENS0_8identityIlEEEE10hipError_tT2_T3_mT4_P12ihipStream_tbEUlT_E_NS1_11comp_targetILNS1_3genE2ELNS1_11target_archE906ELNS1_3gpuE6ELNS1_3repE0EEENS1_30default_config_static_selectorELNS0_4arch9wavefront6targetE1EEEvT1_,comdat
.Lfunc_end184:
	.size	_ZN7rocprim17ROCPRIM_400000_NS6detail17trampoline_kernelINS0_14default_configENS1_25transform_config_selectorIlLb0EEEZNS1_14transform_implILb0ES3_S5_PlN6thrust23THRUST_200600_302600_NS10device_ptrIlEENS0_8identityIlEEEE10hipError_tT2_T3_mT4_P12ihipStream_tbEUlT_E_NS1_11comp_targetILNS1_3genE2ELNS1_11target_archE906ELNS1_3gpuE6ELNS1_3repE0EEENS1_30default_config_static_selectorELNS0_4arch9wavefront6targetE1EEEvT1_, .Lfunc_end184-_ZN7rocprim17ROCPRIM_400000_NS6detail17trampoline_kernelINS0_14default_configENS1_25transform_config_selectorIlLb0EEEZNS1_14transform_implILb0ES3_S5_PlN6thrust23THRUST_200600_302600_NS10device_ptrIlEENS0_8identityIlEEEE10hipError_tT2_T3_mT4_P12ihipStream_tbEUlT_E_NS1_11comp_targetILNS1_3genE2ELNS1_11target_archE906ELNS1_3gpuE6ELNS1_3repE0EEENS1_30default_config_static_selectorELNS0_4arch9wavefront6targetE1EEEvT1_
                                        ; -- End function
	.set _ZN7rocprim17ROCPRIM_400000_NS6detail17trampoline_kernelINS0_14default_configENS1_25transform_config_selectorIlLb0EEEZNS1_14transform_implILb0ES3_S5_PlN6thrust23THRUST_200600_302600_NS10device_ptrIlEENS0_8identityIlEEEE10hipError_tT2_T3_mT4_P12ihipStream_tbEUlT_E_NS1_11comp_targetILNS1_3genE2ELNS1_11target_archE906ELNS1_3gpuE6ELNS1_3repE0EEENS1_30default_config_static_selectorELNS0_4arch9wavefront6targetE1EEEvT1_.num_vgpr, 4
	.set _ZN7rocprim17ROCPRIM_400000_NS6detail17trampoline_kernelINS0_14default_configENS1_25transform_config_selectorIlLb0EEEZNS1_14transform_implILb0ES3_S5_PlN6thrust23THRUST_200600_302600_NS10device_ptrIlEENS0_8identityIlEEEE10hipError_tT2_T3_mT4_P12ihipStream_tbEUlT_E_NS1_11comp_targetILNS1_3genE2ELNS1_11target_archE906ELNS1_3gpuE6ELNS1_3repE0EEENS1_30default_config_static_selectorELNS0_4arch9wavefront6targetE1EEEvT1_.num_agpr, 0
	.set _ZN7rocprim17ROCPRIM_400000_NS6detail17trampoline_kernelINS0_14default_configENS1_25transform_config_selectorIlLb0EEEZNS1_14transform_implILb0ES3_S5_PlN6thrust23THRUST_200600_302600_NS10device_ptrIlEENS0_8identityIlEEEE10hipError_tT2_T3_mT4_P12ihipStream_tbEUlT_E_NS1_11comp_targetILNS1_3genE2ELNS1_11target_archE906ELNS1_3gpuE6ELNS1_3repE0EEENS1_30default_config_static_selectorELNS0_4arch9wavefront6targetE1EEEvT1_.numbered_sgpr, 12
	.set _ZN7rocprim17ROCPRIM_400000_NS6detail17trampoline_kernelINS0_14default_configENS1_25transform_config_selectorIlLb0EEEZNS1_14transform_implILb0ES3_S5_PlN6thrust23THRUST_200600_302600_NS10device_ptrIlEENS0_8identityIlEEEE10hipError_tT2_T3_mT4_P12ihipStream_tbEUlT_E_NS1_11comp_targetILNS1_3genE2ELNS1_11target_archE906ELNS1_3gpuE6ELNS1_3repE0EEENS1_30default_config_static_selectorELNS0_4arch9wavefront6targetE1EEEvT1_.num_named_barrier, 0
	.set _ZN7rocprim17ROCPRIM_400000_NS6detail17trampoline_kernelINS0_14default_configENS1_25transform_config_selectorIlLb0EEEZNS1_14transform_implILb0ES3_S5_PlN6thrust23THRUST_200600_302600_NS10device_ptrIlEENS0_8identityIlEEEE10hipError_tT2_T3_mT4_P12ihipStream_tbEUlT_E_NS1_11comp_targetILNS1_3genE2ELNS1_11target_archE906ELNS1_3gpuE6ELNS1_3repE0EEENS1_30default_config_static_selectorELNS0_4arch9wavefront6targetE1EEEvT1_.private_seg_size, 0
	.set _ZN7rocprim17ROCPRIM_400000_NS6detail17trampoline_kernelINS0_14default_configENS1_25transform_config_selectorIlLb0EEEZNS1_14transform_implILb0ES3_S5_PlN6thrust23THRUST_200600_302600_NS10device_ptrIlEENS0_8identityIlEEEE10hipError_tT2_T3_mT4_P12ihipStream_tbEUlT_E_NS1_11comp_targetILNS1_3genE2ELNS1_11target_archE906ELNS1_3gpuE6ELNS1_3repE0EEENS1_30default_config_static_selectorELNS0_4arch9wavefront6targetE1EEEvT1_.uses_vcc, 1
	.set _ZN7rocprim17ROCPRIM_400000_NS6detail17trampoline_kernelINS0_14default_configENS1_25transform_config_selectorIlLb0EEEZNS1_14transform_implILb0ES3_S5_PlN6thrust23THRUST_200600_302600_NS10device_ptrIlEENS0_8identityIlEEEE10hipError_tT2_T3_mT4_P12ihipStream_tbEUlT_E_NS1_11comp_targetILNS1_3genE2ELNS1_11target_archE906ELNS1_3gpuE6ELNS1_3repE0EEENS1_30default_config_static_selectorELNS0_4arch9wavefront6targetE1EEEvT1_.uses_flat_scratch, 0
	.set _ZN7rocprim17ROCPRIM_400000_NS6detail17trampoline_kernelINS0_14default_configENS1_25transform_config_selectorIlLb0EEEZNS1_14transform_implILb0ES3_S5_PlN6thrust23THRUST_200600_302600_NS10device_ptrIlEENS0_8identityIlEEEE10hipError_tT2_T3_mT4_P12ihipStream_tbEUlT_E_NS1_11comp_targetILNS1_3genE2ELNS1_11target_archE906ELNS1_3gpuE6ELNS1_3repE0EEENS1_30default_config_static_selectorELNS0_4arch9wavefront6targetE1EEEvT1_.has_dyn_sized_stack, 0
	.set _ZN7rocprim17ROCPRIM_400000_NS6detail17trampoline_kernelINS0_14default_configENS1_25transform_config_selectorIlLb0EEEZNS1_14transform_implILb0ES3_S5_PlN6thrust23THRUST_200600_302600_NS10device_ptrIlEENS0_8identityIlEEEE10hipError_tT2_T3_mT4_P12ihipStream_tbEUlT_E_NS1_11comp_targetILNS1_3genE2ELNS1_11target_archE906ELNS1_3gpuE6ELNS1_3repE0EEENS1_30default_config_static_selectorELNS0_4arch9wavefront6targetE1EEEvT1_.has_recursion, 0
	.set _ZN7rocprim17ROCPRIM_400000_NS6detail17trampoline_kernelINS0_14default_configENS1_25transform_config_selectorIlLb0EEEZNS1_14transform_implILb0ES3_S5_PlN6thrust23THRUST_200600_302600_NS10device_ptrIlEENS0_8identityIlEEEE10hipError_tT2_T3_mT4_P12ihipStream_tbEUlT_E_NS1_11comp_targetILNS1_3genE2ELNS1_11target_archE906ELNS1_3gpuE6ELNS1_3repE0EEENS1_30default_config_static_selectorELNS0_4arch9wavefront6targetE1EEEvT1_.has_indirect_call, 0
	.section	.AMDGPU.csdata,"",@progbits
; Kernel info:
; codeLenInByte = 160
; TotalNumSgprs: 16
; NumVgprs: 4
; ScratchSize: 0
; MemoryBound: 0
; FloatMode: 240
; IeeeMode: 1
; LDSByteSize: 0 bytes/workgroup (compile time only)
; SGPRBlocks: 1
; VGPRBlocks: 0
; NumSGPRsForWavesPerEU: 16
; NumVGPRsForWavesPerEU: 4
; Occupancy: 10
; WaveLimiterHint : 0
; COMPUTE_PGM_RSRC2:SCRATCH_EN: 0
; COMPUTE_PGM_RSRC2:USER_SGPR: 6
; COMPUTE_PGM_RSRC2:TRAP_HANDLER: 0
; COMPUTE_PGM_RSRC2:TGID_X_EN: 1
; COMPUTE_PGM_RSRC2:TGID_Y_EN: 0
; COMPUTE_PGM_RSRC2:TGID_Z_EN: 0
; COMPUTE_PGM_RSRC2:TIDIG_COMP_CNT: 0
	.section	.text._ZN7rocprim17ROCPRIM_400000_NS6detail17trampoline_kernelINS0_14default_configENS1_25transform_config_selectorIlLb0EEEZNS1_14transform_implILb0ES3_S5_PlN6thrust23THRUST_200600_302600_NS10device_ptrIlEENS0_8identityIlEEEE10hipError_tT2_T3_mT4_P12ihipStream_tbEUlT_E_NS1_11comp_targetILNS1_3genE10ELNS1_11target_archE1201ELNS1_3gpuE5ELNS1_3repE0EEENS1_30default_config_static_selectorELNS0_4arch9wavefront6targetE1EEEvT1_,"axG",@progbits,_ZN7rocprim17ROCPRIM_400000_NS6detail17trampoline_kernelINS0_14default_configENS1_25transform_config_selectorIlLb0EEEZNS1_14transform_implILb0ES3_S5_PlN6thrust23THRUST_200600_302600_NS10device_ptrIlEENS0_8identityIlEEEE10hipError_tT2_T3_mT4_P12ihipStream_tbEUlT_E_NS1_11comp_targetILNS1_3genE10ELNS1_11target_archE1201ELNS1_3gpuE5ELNS1_3repE0EEENS1_30default_config_static_selectorELNS0_4arch9wavefront6targetE1EEEvT1_,comdat
	.protected	_ZN7rocprim17ROCPRIM_400000_NS6detail17trampoline_kernelINS0_14default_configENS1_25transform_config_selectorIlLb0EEEZNS1_14transform_implILb0ES3_S5_PlN6thrust23THRUST_200600_302600_NS10device_ptrIlEENS0_8identityIlEEEE10hipError_tT2_T3_mT4_P12ihipStream_tbEUlT_E_NS1_11comp_targetILNS1_3genE10ELNS1_11target_archE1201ELNS1_3gpuE5ELNS1_3repE0EEENS1_30default_config_static_selectorELNS0_4arch9wavefront6targetE1EEEvT1_ ; -- Begin function _ZN7rocprim17ROCPRIM_400000_NS6detail17trampoline_kernelINS0_14default_configENS1_25transform_config_selectorIlLb0EEEZNS1_14transform_implILb0ES3_S5_PlN6thrust23THRUST_200600_302600_NS10device_ptrIlEENS0_8identityIlEEEE10hipError_tT2_T3_mT4_P12ihipStream_tbEUlT_E_NS1_11comp_targetILNS1_3genE10ELNS1_11target_archE1201ELNS1_3gpuE5ELNS1_3repE0EEENS1_30default_config_static_selectorELNS0_4arch9wavefront6targetE1EEEvT1_
	.globl	_ZN7rocprim17ROCPRIM_400000_NS6detail17trampoline_kernelINS0_14default_configENS1_25transform_config_selectorIlLb0EEEZNS1_14transform_implILb0ES3_S5_PlN6thrust23THRUST_200600_302600_NS10device_ptrIlEENS0_8identityIlEEEE10hipError_tT2_T3_mT4_P12ihipStream_tbEUlT_E_NS1_11comp_targetILNS1_3genE10ELNS1_11target_archE1201ELNS1_3gpuE5ELNS1_3repE0EEENS1_30default_config_static_selectorELNS0_4arch9wavefront6targetE1EEEvT1_
	.p2align	8
	.type	_ZN7rocprim17ROCPRIM_400000_NS6detail17trampoline_kernelINS0_14default_configENS1_25transform_config_selectorIlLb0EEEZNS1_14transform_implILb0ES3_S5_PlN6thrust23THRUST_200600_302600_NS10device_ptrIlEENS0_8identityIlEEEE10hipError_tT2_T3_mT4_P12ihipStream_tbEUlT_E_NS1_11comp_targetILNS1_3genE10ELNS1_11target_archE1201ELNS1_3gpuE5ELNS1_3repE0EEENS1_30default_config_static_selectorELNS0_4arch9wavefront6targetE1EEEvT1_,@function
_ZN7rocprim17ROCPRIM_400000_NS6detail17trampoline_kernelINS0_14default_configENS1_25transform_config_selectorIlLb0EEEZNS1_14transform_implILb0ES3_S5_PlN6thrust23THRUST_200600_302600_NS10device_ptrIlEENS0_8identityIlEEEE10hipError_tT2_T3_mT4_P12ihipStream_tbEUlT_E_NS1_11comp_targetILNS1_3genE10ELNS1_11target_archE1201ELNS1_3gpuE5ELNS1_3repE0EEENS1_30default_config_static_selectorELNS0_4arch9wavefront6targetE1EEEvT1_: ; @_ZN7rocprim17ROCPRIM_400000_NS6detail17trampoline_kernelINS0_14default_configENS1_25transform_config_selectorIlLb0EEEZNS1_14transform_implILb0ES3_S5_PlN6thrust23THRUST_200600_302600_NS10device_ptrIlEENS0_8identityIlEEEE10hipError_tT2_T3_mT4_P12ihipStream_tbEUlT_E_NS1_11comp_targetILNS1_3genE10ELNS1_11target_archE1201ELNS1_3gpuE5ELNS1_3repE0EEENS1_30default_config_static_selectorELNS0_4arch9wavefront6targetE1EEEvT1_
; %bb.0:
	.section	.rodata,"a",@progbits
	.p2align	6, 0x0
	.amdhsa_kernel _ZN7rocprim17ROCPRIM_400000_NS6detail17trampoline_kernelINS0_14default_configENS1_25transform_config_selectorIlLb0EEEZNS1_14transform_implILb0ES3_S5_PlN6thrust23THRUST_200600_302600_NS10device_ptrIlEENS0_8identityIlEEEE10hipError_tT2_T3_mT4_P12ihipStream_tbEUlT_E_NS1_11comp_targetILNS1_3genE10ELNS1_11target_archE1201ELNS1_3gpuE5ELNS1_3repE0EEENS1_30default_config_static_selectorELNS0_4arch9wavefront6targetE1EEEvT1_
		.amdhsa_group_segment_fixed_size 0
		.amdhsa_private_segment_fixed_size 0
		.amdhsa_kernarg_size 40
		.amdhsa_user_sgpr_count 6
		.amdhsa_user_sgpr_private_segment_buffer 1
		.amdhsa_user_sgpr_dispatch_ptr 0
		.amdhsa_user_sgpr_queue_ptr 0
		.amdhsa_user_sgpr_kernarg_segment_ptr 1
		.amdhsa_user_sgpr_dispatch_id 0
		.amdhsa_user_sgpr_flat_scratch_init 0
		.amdhsa_user_sgpr_private_segment_size 0
		.amdhsa_uses_dynamic_stack 0
		.amdhsa_system_sgpr_private_segment_wavefront_offset 0
		.amdhsa_system_sgpr_workgroup_id_x 1
		.amdhsa_system_sgpr_workgroup_id_y 0
		.amdhsa_system_sgpr_workgroup_id_z 0
		.amdhsa_system_sgpr_workgroup_info 0
		.amdhsa_system_vgpr_workitem_id 0
		.amdhsa_next_free_vgpr 1
		.amdhsa_next_free_sgpr 0
		.amdhsa_reserve_vcc 0
		.amdhsa_reserve_flat_scratch 0
		.amdhsa_float_round_mode_32 0
		.amdhsa_float_round_mode_16_64 0
		.amdhsa_float_denorm_mode_32 3
		.amdhsa_float_denorm_mode_16_64 3
		.amdhsa_dx10_clamp 1
		.amdhsa_ieee_mode 1
		.amdhsa_fp16_overflow 0
		.amdhsa_exception_fp_ieee_invalid_op 0
		.amdhsa_exception_fp_denorm_src 0
		.amdhsa_exception_fp_ieee_div_zero 0
		.amdhsa_exception_fp_ieee_overflow 0
		.amdhsa_exception_fp_ieee_underflow 0
		.amdhsa_exception_fp_ieee_inexact 0
		.amdhsa_exception_int_div_zero 0
	.end_amdhsa_kernel
	.section	.text._ZN7rocprim17ROCPRIM_400000_NS6detail17trampoline_kernelINS0_14default_configENS1_25transform_config_selectorIlLb0EEEZNS1_14transform_implILb0ES3_S5_PlN6thrust23THRUST_200600_302600_NS10device_ptrIlEENS0_8identityIlEEEE10hipError_tT2_T3_mT4_P12ihipStream_tbEUlT_E_NS1_11comp_targetILNS1_3genE10ELNS1_11target_archE1201ELNS1_3gpuE5ELNS1_3repE0EEENS1_30default_config_static_selectorELNS0_4arch9wavefront6targetE1EEEvT1_,"axG",@progbits,_ZN7rocprim17ROCPRIM_400000_NS6detail17trampoline_kernelINS0_14default_configENS1_25transform_config_selectorIlLb0EEEZNS1_14transform_implILb0ES3_S5_PlN6thrust23THRUST_200600_302600_NS10device_ptrIlEENS0_8identityIlEEEE10hipError_tT2_T3_mT4_P12ihipStream_tbEUlT_E_NS1_11comp_targetILNS1_3genE10ELNS1_11target_archE1201ELNS1_3gpuE5ELNS1_3repE0EEENS1_30default_config_static_selectorELNS0_4arch9wavefront6targetE1EEEvT1_,comdat
.Lfunc_end185:
	.size	_ZN7rocprim17ROCPRIM_400000_NS6detail17trampoline_kernelINS0_14default_configENS1_25transform_config_selectorIlLb0EEEZNS1_14transform_implILb0ES3_S5_PlN6thrust23THRUST_200600_302600_NS10device_ptrIlEENS0_8identityIlEEEE10hipError_tT2_T3_mT4_P12ihipStream_tbEUlT_E_NS1_11comp_targetILNS1_3genE10ELNS1_11target_archE1201ELNS1_3gpuE5ELNS1_3repE0EEENS1_30default_config_static_selectorELNS0_4arch9wavefront6targetE1EEEvT1_, .Lfunc_end185-_ZN7rocprim17ROCPRIM_400000_NS6detail17trampoline_kernelINS0_14default_configENS1_25transform_config_selectorIlLb0EEEZNS1_14transform_implILb0ES3_S5_PlN6thrust23THRUST_200600_302600_NS10device_ptrIlEENS0_8identityIlEEEE10hipError_tT2_T3_mT4_P12ihipStream_tbEUlT_E_NS1_11comp_targetILNS1_3genE10ELNS1_11target_archE1201ELNS1_3gpuE5ELNS1_3repE0EEENS1_30default_config_static_selectorELNS0_4arch9wavefront6targetE1EEEvT1_
                                        ; -- End function
	.set _ZN7rocprim17ROCPRIM_400000_NS6detail17trampoline_kernelINS0_14default_configENS1_25transform_config_selectorIlLb0EEEZNS1_14transform_implILb0ES3_S5_PlN6thrust23THRUST_200600_302600_NS10device_ptrIlEENS0_8identityIlEEEE10hipError_tT2_T3_mT4_P12ihipStream_tbEUlT_E_NS1_11comp_targetILNS1_3genE10ELNS1_11target_archE1201ELNS1_3gpuE5ELNS1_3repE0EEENS1_30default_config_static_selectorELNS0_4arch9wavefront6targetE1EEEvT1_.num_vgpr, 0
	.set _ZN7rocprim17ROCPRIM_400000_NS6detail17trampoline_kernelINS0_14default_configENS1_25transform_config_selectorIlLb0EEEZNS1_14transform_implILb0ES3_S5_PlN6thrust23THRUST_200600_302600_NS10device_ptrIlEENS0_8identityIlEEEE10hipError_tT2_T3_mT4_P12ihipStream_tbEUlT_E_NS1_11comp_targetILNS1_3genE10ELNS1_11target_archE1201ELNS1_3gpuE5ELNS1_3repE0EEENS1_30default_config_static_selectorELNS0_4arch9wavefront6targetE1EEEvT1_.num_agpr, 0
	.set _ZN7rocprim17ROCPRIM_400000_NS6detail17trampoline_kernelINS0_14default_configENS1_25transform_config_selectorIlLb0EEEZNS1_14transform_implILb0ES3_S5_PlN6thrust23THRUST_200600_302600_NS10device_ptrIlEENS0_8identityIlEEEE10hipError_tT2_T3_mT4_P12ihipStream_tbEUlT_E_NS1_11comp_targetILNS1_3genE10ELNS1_11target_archE1201ELNS1_3gpuE5ELNS1_3repE0EEENS1_30default_config_static_selectorELNS0_4arch9wavefront6targetE1EEEvT1_.numbered_sgpr, 0
	.set _ZN7rocprim17ROCPRIM_400000_NS6detail17trampoline_kernelINS0_14default_configENS1_25transform_config_selectorIlLb0EEEZNS1_14transform_implILb0ES3_S5_PlN6thrust23THRUST_200600_302600_NS10device_ptrIlEENS0_8identityIlEEEE10hipError_tT2_T3_mT4_P12ihipStream_tbEUlT_E_NS1_11comp_targetILNS1_3genE10ELNS1_11target_archE1201ELNS1_3gpuE5ELNS1_3repE0EEENS1_30default_config_static_selectorELNS0_4arch9wavefront6targetE1EEEvT1_.num_named_barrier, 0
	.set _ZN7rocprim17ROCPRIM_400000_NS6detail17trampoline_kernelINS0_14default_configENS1_25transform_config_selectorIlLb0EEEZNS1_14transform_implILb0ES3_S5_PlN6thrust23THRUST_200600_302600_NS10device_ptrIlEENS0_8identityIlEEEE10hipError_tT2_T3_mT4_P12ihipStream_tbEUlT_E_NS1_11comp_targetILNS1_3genE10ELNS1_11target_archE1201ELNS1_3gpuE5ELNS1_3repE0EEENS1_30default_config_static_selectorELNS0_4arch9wavefront6targetE1EEEvT1_.private_seg_size, 0
	.set _ZN7rocprim17ROCPRIM_400000_NS6detail17trampoline_kernelINS0_14default_configENS1_25transform_config_selectorIlLb0EEEZNS1_14transform_implILb0ES3_S5_PlN6thrust23THRUST_200600_302600_NS10device_ptrIlEENS0_8identityIlEEEE10hipError_tT2_T3_mT4_P12ihipStream_tbEUlT_E_NS1_11comp_targetILNS1_3genE10ELNS1_11target_archE1201ELNS1_3gpuE5ELNS1_3repE0EEENS1_30default_config_static_selectorELNS0_4arch9wavefront6targetE1EEEvT1_.uses_vcc, 0
	.set _ZN7rocprim17ROCPRIM_400000_NS6detail17trampoline_kernelINS0_14default_configENS1_25transform_config_selectorIlLb0EEEZNS1_14transform_implILb0ES3_S5_PlN6thrust23THRUST_200600_302600_NS10device_ptrIlEENS0_8identityIlEEEE10hipError_tT2_T3_mT4_P12ihipStream_tbEUlT_E_NS1_11comp_targetILNS1_3genE10ELNS1_11target_archE1201ELNS1_3gpuE5ELNS1_3repE0EEENS1_30default_config_static_selectorELNS0_4arch9wavefront6targetE1EEEvT1_.uses_flat_scratch, 0
	.set _ZN7rocprim17ROCPRIM_400000_NS6detail17trampoline_kernelINS0_14default_configENS1_25transform_config_selectorIlLb0EEEZNS1_14transform_implILb0ES3_S5_PlN6thrust23THRUST_200600_302600_NS10device_ptrIlEENS0_8identityIlEEEE10hipError_tT2_T3_mT4_P12ihipStream_tbEUlT_E_NS1_11comp_targetILNS1_3genE10ELNS1_11target_archE1201ELNS1_3gpuE5ELNS1_3repE0EEENS1_30default_config_static_selectorELNS0_4arch9wavefront6targetE1EEEvT1_.has_dyn_sized_stack, 0
	.set _ZN7rocprim17ROCPRIM_400000_NS6detail17trampoline_kernelINS0_14default_configENS1_25transform_config_selectorIlLb0EEEZNS1_14transform_implILb0ES3_S5_PlN6thrust23THRUST_200600_302600_NS10device_ptrIlEENS0_8identityIlEEEE10hipError_tT2_T3_mT4_P12ihipStream_tbEUlT_E_NS1_11comp_targetILNS1_3genE10ELNS1_11target_archE1201ELNS1_3gpuE5ELNS1_3repE0EEENS1_30default_config_static_selectorELNS0_4arch9wavefront6targetE1EEEvT1_.has_recursion, 0
	.set _ZN7rocprim17ROCPRIM_400000_NS6detail17trampoline_kernelINS0_14default_configENS1_25transform_config_selectorIlLb0EEEZNS1_14transform_implILb0ES3_S5_PlN6thrust23THRUST_200600_302600_NS10device_ptrIlEENS0_8identityIlEEEE10hipError_tT2_T3_mT4_P12ihipStream_tbEUlT_E_NS1_11comp_targetILNS1_3genE10ELNS1_11target_archE1201ELNS1_3gpuE5ELNS1_3repE0EEENS1_30default_config_static_selectorELNS0_4arch9wavefront6targetE1EEEvT1_.has_indirect_call, 0
	.section	.AMDGPU.csdata,"",@progbits
; Kernel info:
; codeLenInByte = 0
; TotalNumSgprs: 4
; NumVgprs: 0
; ScratchSize: 0
; MemoryBound: 0
; FloatMode: 240
; IeeeMode: 1
; LDSByteSize: 0 bytes/workgroup (compile time only)
; SGPRBlocks: 0
; VGPRBlocks: 0
; NumSGPRsForWavesPerEU: 4
; NumVGPRsForWavesPerEU: 1
; Occupancy: 10
; WaveLimiterHint : 0
; COMPUTE_PGM_RSRC2:SCRATCH_EN: 0
; COMPUTE_PGM_RSRC2:USER_SGPR: 6
; COMPUTE_PGM_RSRC2:TRAP_HANDLER: 0
; COMPUTE_PGM_RSRC2:TGID_X_EN: 1
; COMPUTE_PGM_RSRC2:TGID_Y_EN: 0
; COMPUTE_PGM_RSRC2:TGID_Z_EN: 0
; COMPUTE_PGM_RSRC2:TIDIG_COMP_CNT: 0
	.section	.text._ZN7rocprim17ROCPRIM_400000_NS6detail17trampoline_kernelINS0_14default_configENS1_25transform_config_selectorIlLb0EEEZNS1_14transform_implILb0ES3_S5_PlN6thrust23THRUST_200600_302600_NS10device_ptrIlEENS0_8identityIlEEEE10hipError_tT2_T3_mT4_P12ihipStream_tbEUlT_E_NS1_11comp_targetILNS1_3genE10ELNS1_11target_archE1200ELNS1_3gpuE4ELNS1_3repE0EEENS1_30default_config_static_selectorELNS0_4arch9wavefront6targetE1EEEvT1_,"axG",@progbits,_ZN7rocprim17ROCPRIM_400000_NS6detail17trampoline_kernelINS0_14default_configENS1_25transform_config_selectorIlLb0EEEZNS1_14transform_implILb0ES3_S5_PlN6thrust23THRUST_200600_302600_NS10device_ptrIlEENS0_8identityIlEEEE10hipError_tT2_T3_mT4_P12ihipStream_tbEUlT_E_NS1_11comp_targetILNS1_3genE10ELNS1_11target_archE1200ELNS1_3gpuE4ELNS1_3repE0EEENS1_30default_config_static_selectorELNS0_4arch9wavefront6targetE1EEEvT1_,comdat
	.protected	_ZN7rocprim17ROCPRIM_400000_NS6detail17trampoline_kernelINS0_14default_configENS1_25transform_config_selectorIlLb0EEEZNS1_14transform_implILb0ES3_S5_PlN6thrust23THRUST_200600_302600_NS10device_ptrIlEENS0_8identityIlEEEE10hipError_tT2_T3_mT4_P12ihipStream_tbEUlT_E_NS1_11comp_targetILNS1_3genE10ELNS1_11target_archE1200ELNS1_3gpuE4ELNS1_3repE0EEENS1_30default_config_static_selectorELNS0_4arch9wavefront6targetE1EEEvT1_ ; -- Begin function _ZN7rocprim17ROCPRIM_400000_NS6detail17trampoline_kernelINS0_14default_configENS1_25transform_config_selectorIlLb0EEEZNS1_14transform_implILb0ES3_S5_PlN6thrust23THRUST_200600_302600_NS10device_ptrIlEENS0_8identityIlEEEE10hipError_tT2_T3_mT4_P12ihipStream_tbEUlT_E_NS1_11comp_targetILNS1_3genE10ELNS1_11target_archE1200ELNS1_3gpuE4ELNS1_3repE0EEENS1_30default_config_static_selectorELNS0_4arch9wavefront6targetE1EEEvT1_
	.globl	_ZN7rocprim17ROCPRIM_400000_NS6detail17trampoline_kernelINS0_14default_configENS1_25transform_config_selectorIlLb0EEEZNS1_14transform_implILb0ES3_S5_PlN6thrust23THRUST_200600_302600_NS10device_ptrIlEENS0_8identityIlEEEE10hipError_tT2_T3_mT4_P12ihipStream_tbEUlT_E_NS1_11comp_targetILNS1_3genE10ELNS1_11target_archE1200ELNS1_3gpuE4ELNS1_3repE0EEENS1_30default_config_static_selectorELNS0_4arch9wavefront6targetE1EEEvT1_
	.p2align	8
	.type	_ZN7rocprim17ROCPRIM_400000_NS6detail17trampoline_kernelINS0_14default_configENS1_25transform_config_selectorIlLb0EEEZNS1_14transform_implILb0ES3_S5_PlN6thrust23THRUST_200600_302600_NS10device_ptrIlEENS0_8identityIlEEEE10hipError_tT2_T3_mT4_P12ihipStream_tbEUlT_E_NS1_11comp_targetILNS1_3genE10ELNS1_11target_archE1200ELNS1_3gpuE4ELNS1_3repE0EEENS1_30default_config_static_selectorELNS0_4arch9wavefront6targetE1EEEvT1_,@function
_ZN7rocprim17ROCPRIM_400000_NS6detail17trampoline_kernelINS0_14default_configENS1_25transform_config_selectorIlLb0EEEZNS1_14transform_implILb0ES3_S5_PlN6thrust23THRUST_200600_302600_NS10device_ptrIlEENS0_8identityIlEEEE10hipError_tT2_T3_mT4_P12ihipStream_tbEUlT_E_NS1_11comp_targetILNS1_3genE10ELNS1_11target_archE1200ELNS1_3gpuE4ELNS1_3repE0EEENS1_30default_config_static_selectorELNS0_4arch9wavefront6targetE1EEEvT1_: ; @_ZN7rocprim17ROCPRIM_400000_NS6detail17trampoline_kernelINS0_14default_configENS1_25transform_config_selectorIlLb0EEEZNS1_14transform_implILb0ES3_S5_PlN6thrust23THRUST_200600_302600_NS10device_ptrIlEENS0_8identityIlEEEE10hipError_tT2_T3_mT4_P12ihipStream_tbEUlT_E_NS1_11comp_targetILNS1_3genE10ELNS1_11target_archE1200ELNS1_3gpuE4ELNS1_3repE0EEENS1_30default_config_static_selectorELNS0_4arch9wavefront6targetE1EEEvT1_
; %bb.0:
	.section	.rodata,"a",@progbits
	.p2align	6, 0x0
	.amdhsa_kernel _ZN7rocprim17ROCPRIM_400000_NS6detail17trampoline_kernelINS0_14default_configENS1_25transform_config_selectorIlLb0EEEZNS1_14transform_implILb0ES3_S5_PlN6thrust23THRUST_200600_302600_NS10device_ptrIlEENS0_8identityIlEEEE10hipError_tT2_T3_mT4_P12ihipStream_tbEUlT_E_NS1_11comp_targetILNS1_3genE10ELNS1_11target_archE1200ELNS1_3gpuE4ELNS1_3repE0EEENS1_30default_config_static_selectorELNS0_4arch9wavefront6targetE1EEEvT1_
		.amdhsa_group_segment_fixed_size 0
		.amdhsa_private_segment_fixed_size 0
		.amdhsa_kernarg_size 40
		.amdhsa_user_sgpr_count 6
		.amdhsa_user_sgpr_private_segment_buffer 1
		.amdhsa_user_sgpr_dispatch_ptr 0
		.amdhsa_user_sgpr_queue_ptr 0
		.amdhsa_user_sgpr_kernarg_segment_ptr 1
		.amdhsa_user_sgpr_dispatch_id 0
		.amdhsa_user_sgpr_flat_scratch_init 0
		.amdhsa_user_sgpr_private_segment_size 0
		.amdhsa_uses_dynamic_stack 0
		.amdhsa_system_sgpr_private_segment_wavefront_offset 0
		.amdhsa_system_sgpr_workgroup_id_x 1
		.amdhsa_system_sgpr_workgroup_id_y 0
		.amdhsa_system_sgpr_workgroup_id_z 0
		.amdhsa_system_sgpr_workgroup_info 0
		.amdhsa_system_vgpr_workitem_id 0
		.amdhsa_next_free_vgpr 1
		.amdhsa_next_free_sgpr 0
		.amdhsa_reserve_vcc 0
		.amdhsa_reserve_flat_scratch 0
		.amdhsa_float_round_mode_32 0
		.amdhsa_float_round_mode_16_64 0
		.amdhsa_float_denorm_mode_32 3
		.amdhsa_float_denorm_mode_16_64 3
		.amdhsa_dx10_clamp 1
		.amdhsa_ieee_mode 1
		.amdhsa_fp16_overflow 0
		.amdhsa_exception_fp_ieee_invalid_op 0
		.amdhsa_exception_fp_denorm_src 0
		.amdhsa_exception_fp_ieee_div_zero 0
		.amdhsa_exception_fp_ieee_overflow 0
		.amdhsa_exception_fp_ieee_underflow 0
		.amdhsa_exception_fp_ieee_inexact 0
		.amdhsa_exception_int_div_zero 0
	.end_amdhsa_kernel
	.section	.text._ZN7rocprim17ROCPRIM_400000_NS6detail17trampoline_kernelINS0_14default_configENS1_25transform_config_selectorIlLb0EEEZNS1_14transform_implILb0ES3_S5_PlN6thrust23THRUST_200600_302600_NS10device_ptrIlEENS0_8identityIlEEEE10hipError_tT2_T3_mT4_P12ihipStream_tbEUlT_E_NS1_11comp_targetILNS1_3genE10ELNS1_11target_archE1200ELNS1_3gpuE4ELNS1_3repE0EEENS1_30default_config_static_selectorELNS0_4arch9wavefront6targetE1EEEvT1_,"axG",@progbits,_ZN7rocprim17ROCPRIM_400000_NS6detail17trampoline_kernelINS0_14default_configENS1_25transform_config_selectorIlLb0EEEZNS1_14transform_implILb0ES3_S5_PlN6thrust23THRUST_200600_302600_NS10device_ptrIlEENS0_8identityIlEEEE10hipError_tT2_T3_mT4_P12ihipStream_tbEUlT_E_NS1_11comp_targetILNS1_3genE10ELNS1_11target_archE1200ELNS1_3gpuE4ELNS1_3repE0EEENS1_30default_config_static_selectorELNS0_4arch9wavefront6targetE1EEEvT1_,comdat
.Lfunc_end186:
	.size	_ZN7rocprim17ROCPRIM_400000_NS6detail17trampoline_kernelINS0_14default_configENS1_25transform_config_selectorIlLb0EEEZNS1_14transform_implILb0ES3_S5_PlN6thrust23THRUST_200600_302600_NS10device_ptrIlEENS0_8identityIlEEEE10hipError_tT2_T3_mT4_P12ihipStream_tbEUlT_E_NS1_11comp_targetILNS1_3genE10ELNS1_11target_archE1200ELNS1_3gpuE4ELNS1_3repE0EEENS1_30default_config_static_selectorELNS0_4arch9wavefront6targetE1EEEvT1_, .Lfunc_end186-_ZN7rocprim17ROCPRIM_400000_NS6detail17trampoline_kernelINS0_14default_configENS1_25transform_config_selectorIlLb0EEEZNS1_14transform_implILb0ES3_S5_PlN6thrust23THRUST_200600_302600_NS10device_ptrIlEENS0_8identityIlEEEE10hipError_tT2_T3_mT4_P12ihipStream_tbEUlT_E_NS1_11comp_targetILNS1_3genE10ELNS1_11target_archE1200ELNS1_3gpuE4ELNS1_3repE0EEENS1_30default_config_static_selectorELNS0_4arch9wavefront6targetE1EEEvT1_
                                        ; -- End function
	.set _ZN7rocprim17ROCPRIM_400000_NS6detail17trampoline_kernelINS0_14default_configENS1_25transform_config_selectorIlLb0EEEZNS1_14transform_implILb0ES3_S5_PlN6thrust23THRUST_200600_302600_NS10device_ptrIlEENS0_8identityIlEEEE10hipError_tT2_T3_mT4_P12ihipStream_tbEUlT_E_NS1_11comp_targetILNS1_3genE10ELNS1_11target_archE1200ELNS1_3gpuE4ELNS1_3repE0EEENS1_30default_config_static_selectorELNS0_4arch9wavefront6targetE1EEEvT1_.num_vgpr, 0
	.set _ZN7rocprim17ROCPRIM_400000_NS6detail17trampoline_kernelINS0_14default_configENS1_25transform_config_selectorIlLb0EEEZNS1_14transform_implILb0ES3_S5_PlN6thrust23THRUST_200600_302600_NS10device_ptrIlEENS0_8identityIlEEEE10hipError_tT2_T3_mT4_P12ihipStream_tbEUlT_E_NS1_11comp_targetILNS1_3genE10ELNS1_11target_archE1200ELNS1_3gpuE4ELNS1_3repE0EEENS1_30default_config_static_selectorELNS0_4arch9wavefront6targetE1EEEvT1_.num_agpr, 0
	.set _ZN7rocprim17ROCPRIM_400000_NS6detail17trampoline_kernelINS0_14default_configENS1_25transform_config_selectorIlLb0EEEZNS1_14transform_implILb0ES3_S5_PlN6thrust23THRUST_200600_302600_NS10device_ptrIlEENS0_8identityIlEEEE10hipError_tT2_T3_mT4_P12ihipStream_tbEUlT_E_NS1_11comp_targetILNS1_3genE10ELNS1_11target_archE1200ELNS1_3gpuE4ELNS1_3repE0EEENS1_30default_config_static_selectorELNS0_4arch9wavefront6targetE1EEEvT1_.numbered_sgpr, 0
	.set _ZN7rocprim17ROCPRIM_400000_NS6detail17trampoline_kernelINS0_14default_configENS1_25transform_config_selectorIlLb0EEEZNS1_14transform_implILb0ES3_S5_PlN6thrust23THRUST_200600_302600_NS10device_ptrIlEENS0_8identityIlEEEE10hipError_tT2_T3_mT4_P12ihipStream_tbEUlT_E_NS1_11comp_targetILNS1_3genE10ELNS1_11target_archE1200ELNS1_3gpuE4ELNS1_3repE0EEENS1_30default_config_static_selectorELNS0_4arch9wavefront6targetE1EEEvT1_.num_named_barrier, 0
	.set _ZN7rocprim17ROCPRIM_400000_NS6detail17trampoline_kernelINS0_14default_configENS1_25transform_config_selectorIlLb0EEEZNS1_14transform_implILb0ES3_S5_PlN6thrust23THRUST_200600_302600_NS10device_ptrIlEENS0_8identityIlEEEE10hipError_tT2_T3_mT4_P12ihipStream_tbEUlT_E_NS1_11comp_targetILNS1_3genE10ELNS1_11target_archE1200ELNS1_3gpuE4ELNS1_3repE0EEENS1_30default_config_static_selectorELNS0_4arch9wavefront6targetE1EEEvT1_.private_seg_size, 0
	.set _ZN7rocprim17ROCPRIM_400000_NS6detail17trampoline_kernelINS0_14default_configENS1_25transform_config_selectorIlLb0EEEZNS1_14transform_implILb0ES3_S5_PlN6thrust23THRUST_200600_302600_NS10device_ptrIlEENS0_8identityIlEEEE10hipError_tT2_T3_mT4_P12ihipStream_tbEUlT_E_NS1_11comp_targetILNS1_3genE10ELNS1_11target_archE1200ELNS1_3gpuE4ELNS1_3repE0EEENS1_30default_config_static_selectorELNS0_4arch9wavefront6targetE1EEEvT1_.uses_vcc, 0
	.set _ZN7rocprim17ROCPRIM_400000_NS6detail17trampoline_kernelINS0_14default_configENS1_25transform_config_selectorIlLb0EEEZNS1_14transform_implILb0ES3_S5_PlN6thrust23THRUST_200600_302600_NS10device_ptrIlEENS0_8identityIlEEEE10hipError_tT2_T3_mT4_P12ihipStream_tbEUlT_E_NS1_11comp_targetILNS1_3genE10ELNS1_11target_archE1200ELNS1_3gpuE4ELNS1_3repE0EEENS1_30default_config_static_selectorELNS0_4arch9wavefront6targetE1EEEvT1_.uses_flat_scratch, 0
	.set _ZN7rocprim17ROCPRIM_400000_NS6detail17trampoline_kernelINS0_14default_configENS1_25transform_config_selectorIlLb0EEEZNS1_14transform_implILb0ES3_S5_PlN6thrust23THRUST_200600_302600_NS10device_ptrIlEENS0_8identityIlEEEE10hipError_tT2_T3_mT4_P12ihipStream_tbEUlT_E_NS1_11comp_targetILNS1_3genE10ELNS1_11target_archE1200ELNS1_3gpuE4ELNS1_3repE0EEENS1_30default_config_static_selectorELNS0_4arch9wavefront6targetE1EEEvT1_.has_dyn_sized_stack, 0
	.set _ZN7rocprim17ROCPRIM_400000_NS6detail17trampoline_kernelINS0_14default_configENS1_25transform_config_selectorIlLb0EEEZNS1_14transform_implILb0ES3_S5_PlN6thrust23THRUST_200600_302600_NS10device_ptrIlEENS0_8identityIlEEEE10hipError_tT2_T3_mT4_P12ihipStream_tbEUlT_E_NS1_11comp_targetILNS1_3genE10ELNS1_11target_archE1200ELNS1_3gpuE4ELNS1_3repE0EEENS1_30default_config_static_selectorELNS0_4arch9wavefront6targetE1EEEvT1_.has_recursion, 0
	.set _ZN7rocprim17ROCPRIM_400000_NS6detail17trampoline_kernelINS0_14default_configENS1_25transform_config_selectorIlLb0EEEZNS1_14transform_implILb0ES3_S5_PlN6thrust23THRUST_200600_302600_NS10device_ptrIlEENS0_8identityIlEEEE10hipError_tT2_T3_mT4_P12ihipStream_tbEUlT_E_NS1_11comp_targetILNS1_3genE10ELNS1_11target_archE1200ELNS1_3gpuE4ELNS1_3repE0EEENS1_30default_config_static_selectorELNS0_4arch9wavefront6targetE1EEEvT1_.has_indirect_call, 0
	.section	.AMDGPU.csdata,"",@progbits
; Kernel info:
; codeLenInByte = 0
; TotalNumSgprs: 4
; NumVgprs: 0
; ScratchSize: 0
; MemoryBound: 0
; FloatMode: 240
; IeeeMode: 1
; LDSByteSize: 0 bytes/workgroup (compile time only)
; SGPRBlocks: 0
; VGPRBlocks: 0
; NumSGPRsForWavesPerEU: 4
; NumVGPRsForWavesPerEU: 1
; Occupancy: 10
; WaveLimiterHint : 0
; COMPUTE_PGM_RSRC2:SCRATCH_EN: 0
; COMPUTE_PGM_RSRC2:USER_SGPR: 6
; COMPUTE_PGM_RSRC2:TRAP_HANDLER: 0
; COMPUTE_PGM_RSRC2:TGID_X_EN: 1
; COMPUTE_PGM_RSRC2:TGID_Y_EN: 0
; COMPUTE_PGM_RSRC2:TGID_Z_EN: 0
; COMPUTE_PGM_RSRC2:TIDIG_COMP_CNT: 0
	.section	.text._ZN7rocprim17ROCPRIM_400000_NS6detail17trampoline_kernelINS0_14default_configENS1_25transform_config_selectorIlLb0EEEZNS1_14transform_implILb0ES3_S5_PlN6thrust23THRUST_200600_302600_NS10device_ptrIlEENS0_8identityIlEEEE10hipError_tT2_T3_mT4_P12ihipStream_tbEUlT_E_NS1_11comp_targetILNS1_3genE9ELNS1_11target_archE1100ELNS1_3gpuE3ELNS1_3repE0EEENS1_30default_config_static_selectorELNS0_4arch9wavefront6targetE1EEEvT1_,"axG",@progbits,_ZN7rocprim17ROCPRIM_400000_NS6detail17trampoline_kernelINS0_14default_configENS1_25transform_config_selectorIlLb0EEEZNS1_14transform_implILb0ES3_S5_PlN6thrust23THRUST_200600_302600_NS10device_ptrIlEENS0_8identityIlEEEE10hipError_tT2_T3_mT4_P12ihipStream_tbEUlT_E_NS1_11comp_targetILNS1_3genE9ELNS1_11target_archE1100ELNS1_3gpuE3ELNS1_3repE0EEENS1_30default_config_static_selectorELNS0_4arch9wavefront6targetE1EEEvT1_,comdat
	.protected	_ZN7rocprim17ROCPRIM_400000_NS6detail17trampoline_kernelINS0_14default_configENS1_25transform_config_selectorIlLb0EEEZNS1_14transform_implILb0ES3_S5_PlN6thrust23THRUST_200600_302600_NS10device_ptrIlEENS0_8identityIlEEEE10hipError_tT2_T3_mT4_P12ihipStream_tbEUlT_E_NS1_11comp_targetILNS1_3genE9ELNS1_11target_archE1100ELNS1_3gpuE3ELNS1_3repE0EEENS1_30default_config_static_selectorELNS0_4arch9wavefront6targetE1EEEvT1_ ; -- Begin function _ZN7rocprim17ROCPRIM_400000_NS6detail17trampoline_kernelINS0_14default_configENS1_25transform_config_selectorIlLb0EEEZNS1_14transform_implILb0ES3_S5_PlN6thrust23THRUST_200600_302600_NS10device_ptrIlEENS0_8identityIlEEEE10hipError_tT2_T3_mT4_P12ihipStream_tbEUlT_E_NS1_11comp_targetILNS1_3genE9ELNS1_11target_archE1100ELNS1_3gpuE3ELNS1_3repE0EEENS1_30default_config_static_selectorELNS0_4arch9wavefront6targetE1EEEvT1_
	.globl	_ZN7rocprim17ROCPRIM_400000_NS6detail17trampoline_kernelINS0_14default_configENS1_25transform_config_selectorIlLb0EEEZNS1_14transform_implILb0ES3_S5_PlN6thrust23THRUST_200600_302600_NS10device_ptrIlEENS0_8identityIlEEEE10hipError_tT2_T3_mT4_P12ihipStream_tbEUlT_E_NS1_11comp_targetILNS1_3genE9ELNS1_11target_archE1100ELNS1_3gpuE3ELNS1_3repE0EEENS1_30default_config_static_selectorELNS0_4arch9wavefront6targetE1EEEvT1_
	.p2align	8
	.type	_ZN7rocprim17ROCPRIM_400000_NS6detail17trampoline_kernelINS0_14default_configENS1_25transform_config_selectorIlLb0EEEZNS1_14transform_implILb0ES3_S5_PlN6thrust23THRUST_200600_302600_NS10device_ptrIlEENS0_8identityIlEEEE10hipError_tT2_T3_mT4_P12ihipStream_tbEUlT_E_NS1_11comp_targetILNS1_3genE9ELNS1_11target_archE1100ELNS1_3gpuE3ELNS1_3repE0EEENS1_30default_config_static_selectorELNS0_4arch9wavefront6targetE1EEEvT1_,@function
_ZN7rocprim17ROCPRIM_400000_NS6detail17trampoline_kernelINS0_14default_configENS1_25transform_config_selectorIlLb0EEEZNS1_14transform_implILb0ES3_S5_PlN6thrust23THRUST_200600_302600_NS10device_ptrIlEENS0_8identityIlEEEE10hipError_tT2_T3_mT4_P12ihipStream_tbEUlT_E_NS1_11comp_targetILNS1_3genE9ELNS1_11target_archE1100ELNS1_3gpuE3ELNS1_3repE0EEENS1_30default_config_static_selectorELNS0_4arch9wavefront6targetE1EEEvT1_: ; @_ZN7rocprim17ROCPRIM_400000_NS6detail17trampoline_kernelINS0_14default_configENS1_25transform_config_selectorIlLb0EEEZNS1_14transform_implILb0ES3_S5_PlN6thrust23THRUST_200600_302600_NS10device_ptrIlEENS0_8identityIlEEEE10hipError_tT2_T3_mT4_P12ihipStream_tbEUlT_E_NS1_11comp_targetILNS1_3genE9ELNS1_11target_archE1100ELNS1_3gpuE3ELNS1_3repE0EEENS1_30default_config_static_selectorELNS0_4arch9wavefront6targetE1EEEvT1_
; %bb.0:
	.section	.rodata,"a",@progbits
	.p2align	6, 0x0
	.amdhsa_kernel _ZN7rocprim17ROCPRIM_400000_NS6detail17trampoline_kernelINS0_14default_configENS1_25transform_config_selectorIlLb0EEEZNS1_14transform_implILb0ES3_S5_PlN6thrust23THRUST_200600_302600_NS10device_ptrIlEENS0_8identityIlEEEE10hipError_tT2_T3_mT4_P12ihipStream_tbEUlT_E_NS1_11comp_targetILNS1_3genE9ELNS1_11target_archE1100ELNS1_3gpuE3ELNS1_3repE0EEENS1_30default_config_static_selectorELNS0_4arch9wavefront6targetE1EEEvT1_
		.amdhsa_group_segment_fixed_size 0
		.amdhsa_private_segment_fixed_size 0
		.amdhsa_kernarg_size 40
		.amdhsa_user_sgpr_count 6
		.amdhsa_user_sgpr_private_segment_buffer 1
		.amdhsa_user_sgpr_dispatch_ptr 0
		.amdhsa_user_sgpr_queue_ptr 0
		.amdhsa_user_sgpr_kernarg_segment_ptr 1
		.amdhsa_user_sgpr_dispatch_id 0
		.amdhsa_user_sgpr_flat_scratch_init 0
		.amdhsa_user_sgpr_private_segment_size 0
		.amdhsa_uses_dynamic_stack 0
		.amdhsa_system_sgpr_private_segment_wavefront_offset 0
		.amdhsa_system_sgpr_workgroup_id_x 1
		.amdhsa_system_sgpr_workgroup_id_y 0
		.amdhsa_system_sgpr_workgroup_id_z 0
		.amdhsa_system_sgpr_workgroup_info 0
		.amdhsa_system_vgpr_workitem_id 0
		.amdhsa_next_free_vgpr 1
		.amdhsa_next_free_sgpr 0
		.amdhsa_reserve_vcc 0
		.amdhsa_reserve_flat_scratch 0
		.amdhsa_float_round_mode_32 0
		.amdhsa_float_round_mode_16_64 0
		.amdhsa_float_denorm_mode_32 3
		.amdhsa_float_denorm_mode_16_64 3
		.amdhsa_dx10_clamp 1
		.amdhsa_ieee_mode 1
		.amdhsa_fp16_overflow 0
		.amdhsa_exception_fp_ieee_invalid_op 0
		.amdhsa_exception_fp_denorm_src 0
		.amdhsa_exception_fp_ieee_div_zero 0
		.amdhsa_exception_fp_ieee_overflow 0
		.amdhsa_exception_fp_ieee_underflow 0
		.amdhsa_exception_fp_ieee_inexact 0
		.amdhsa_exception_int_div_zero 0
	.end_amdhsa_kernel
	.section	.text._ZN7rocprim17ROCPRIM_400000_NS6detail17trampoline_kernelINS0_14default_configENS1_25transform_config_selectorIlLb0EEEZNS1_14transform_implILb0ES3_S5_PlN6thrust23THRUST_200600_302600_NS10device_ptrIlEENS0_8identityIlEEEE10hipError_tT2_T3_mT4_P12ihipStream_tbEUlT_E_NS1_11comp_targetILNS1_3genE9ELNS1_11target_archE1100ELNS1_3gpuE3ELNS1_3repE0EEENS1_30default_config_static_selectorELNS0_4arch9wavefront6targetE1EEEvT1_,"axG",@progbits,_ZN7rocprim17ROCPRIM_400000_NS6detail17trampoline_kernelINS0_14default_configENS1_25transform_config_selectorIlLb0EEEZNS1_14transform_implILb0ES3_S5_PlN6thrust23THRUST_200600_302600_NS10device_ptrIlEENS0_8identityIlEEEE10hipError_tT2_T3_mT4_P12ihipStream_tbEUlT_E_NS1_11comp_targetILNS1_3genE9ELNS1_11target_archE1100ELNS1_3gpuE3ELNS1_3repE0EEENS1_30default_config_static_selectorELNS0_4arch9wavefront6targetE1EEEvT1_,comdat
.Lfunc_end187:
	.size	_ZN7rocprim17ROCPRIM_400000_NS6detail17trampoline_kernelINS0_14default_configENS1_25transform_config_selectorIlLb0EEEZNS1_14transform_implILb0ES3_S5_PlN6thrust23THRUST_200600_302600_NS10device_ptrIlEENS0_8identityIlEEEE10hipError_tT2_T3_mT4_P12ihipStream_tbEUlT_E_NS1_11comp_targetILNS1_3genE9ELNS1_11target_archE1100ELNS1_3gpuE3ELNS1_3repE0EEENS1_30default_config_static_selectorELNS0_4arch9wavefront6targetE1EEEvT1_, .Lfunc_end187-_ZN7rocprim17ROCPRIM_400000_NS6detail17trampoline_kernelINS0_14default_configENS1_25transform_config_selectorIlLb0EEEZNS1_14transform_implILb0ES3_S5_PlN6thrust23THRUST_200600_302600_NS10device_ptrIlEENS0_8identityIlEEEE10hipError_tT2_T3_mT4_P12ihipStream_tbEUlT_E_NS1_11comp_targetILNS1_3genE9ELNS1_11target_archE1100ELNS1_3gpuE3ELNS1_3repE0EEENS1_30default_config_static_selectorELNS0_4arch9wavefront6targetE1EEEvT1_
                                        ; -- End function
	.set _ZN7rocprim17ROCPRIM_400000_NS6detail17trampoline_kernelINS0_14default_configENS1_25transform_config_selectorIlLb0EEEZNS1_14transform_implILb0ES3_S5_PlN6thrust23THRUST_200600_302600_NS10device_ptrIlEENS0_8identityIlEEEE10hipError_tT2_T3_mT4_P12ihipStream_tbEUlT_E_NS1_11comp_targetILNS1_3genE9ELNS1_11target_archE1100ELNS1_3gpuE3ELNS1_3repE0EEENS1_30default_config_static_selectorELNS0_4arch9wavefront6targetE1EEEvT1_.num_vgpr, 0
	.set _ZN7rocprim17ROCPRIM_400000_NS6detail17trampoline_kernelINS0_14default_configENS1_25transform_config_selectorIlLb0EEEZNS1_14transform_implILb0ES3_S5_PlN6thrust23THRUST_200600_302600_NS10device_ptrIlEENS0_8identityIlEEEE10hipError_tT2_T3_mT4_P12ihipStream_tbEUlT_E_NS1_11comp_targetILNS1_3genE9ELNS1_11target_archE1100ELNS1_3gpuE3ELNS1_3repE0EEENS1_30default_config_static_selectorELNS0_4arch9wavefront6targetE1EEEvT1_.num_agpr, 0
	.set _ZN7rocprim17ROCPRIM_400000_NS6detail17trampoline_kernelINS0_14default_configENS1_25transform_config_selectorIlLb0EEEZNS1_14transform_implILb0ES3_S5_PlN6thrust23THRUST_200600_302600_NS10device_ptrIlEENS0_8identityIlEEEE10hipError_tT2_T3_mT4_P12ihipStream_tbEUlT_E_NS1_11comp_targetILNS1_3genE9ELNS1_11target_archE1100ELNS1_3gpuE3ELNS1_3repE0EEENS1_30default_config_static_selectorELNS0_4arch9wavefront6targetE1EEEvT1_.numbered_sgpr, 0
	.set _ZN7rocprim17ROCPRIM_400000_NS6detail17trampoline_kernelINS0_14default_configENS1_25transform_config_selectorIlLb0EEEZNS1_14transform_implILb0ES3_S5_PlN6thrust23THRUST_200600_302600_NS10device_ptrIlEENS0_8identityIlEEEE10hipError_tT2_T3_mT4_P12ihipStream_tbEUlT_E_NS1_11comp_targetILNS1_3genE9ELNS1_11target_archE1100ELNS1_3gpuE3ELNS1_3repE0EEENS1_30default_config_static_selectorELNS0_4arch9wavefront6targetE1EEEvT1_.num_named_barrier, 0
	.set _ZN7rocprim17ROCPRIM_400000_NS6detail17trampoline_kernelINS0_14default_configENS1_25transform_config_selectorIlLb0EEEZNS1_14transform_implILb0ES3_S5_PlN6thrust23THRUST_200600_302600_NS10device_ptrIlEENS0_8identityIlEEEE10hipError_tT2_T3_mT4_P12ihipStream_tbEUlT_E_NS1_11comp_targetILNS1_3genE9ELNS1_11target_archE1100ELNS1_3gpuE3ELNS1_3repE0EEENS1_30default_config_static_selectorELNS0_4arch9wavefront6targetE1EEEvT1_.private_seg_size, 0
	.set _ZN7rocprim17ROCPRIM_400000_NS6detail17trampoline_kernelINS0_14default_configENS1_25transform_config_selectorIlLb0EEEZNS1_14transform_implILb0ES3_S5_PlN6thrust23THRUST_200600_302600_NS10device_ptrIlEENS0_8identityIlEEEE10hipError_tT2_T3_mT4_P12ihipStream_tbEUlT_E_NS1_11comp_targetILNS1_3genE9ELNS1_11target_archE1100ELNS1_3gpuE3ELNS1_3repE0EEENS1_30default_config_static_selectorELNS0_4arch9wavefront6targetE1EEEvT1_.uses_vcc, 0
	.set _ZN7rocprim17ROCPRIM_400000_NS6detail17trampoline_kernelINS0_14default_configENS1_25transform_config_selectorIlLb0EEEZNS1_14transform_implILb0ES3_S5_PlN6thrust23THRUST_200600_302600_NS10device_ptrIlEENS0_8identityIlEEEE10hipError_tT2_T3_mT4_P12ihipStream_tbEUlT_E_NS1_11comp_targetILNS1_3genE9ELNS1_11target_archE1100ELNS1_3gpuE3ELNS1_3repE0EEENS1_30default_config_static_selectorELNS0_4arch9wavefront6targetE1EEEvT1_.uses_flat_scratch, 0
	.set _ZN7rocprim17ROCPRIM_400000_NS6detail17trampoline_kernelINS0_14default_configENS1_25transform_config_selectorIlLb0EEEZNS1_14transform_implILb0ES3_S5_PlN6thrust23THRUST_200600_302600_NS10device_ptrIlEENS0_8identityIlEEEE10hipError_tT2_T3_mT4_P12ihipStream_tbEUlT_E_NS1_11comp_targetILNS1_3genE9ELNS1_11target_archE1100ELNS1_3gpuE3ELNS1_3repE0EEENS1_30default_config_static_selectorELNS0_4arch9wavefront6targetE1EEEvT1_.has_dyn_sized_stack, 0
	.set _ZN7rocprim17ROCPRIM_400000_NS6detail17trampoline_kernelINS0_14default_configENS1_25transform_config_selectorIlLb0EEEZNS1_14transform_implILb0ES3_S5_PlN6thrust23THRUST_200600_302600_NS10device_ptrIlEENS0_8identityIlEEEE10hipError_tT2_T3_mT4_P12ihipStream_tbEUlT_E_NS1_11comp_targetILNS1_3genE9ELNS1_11target_archE1100ELNS1_3gpuE3ELNS1_3repE0EEENS1_30default_config_static_selectorELNS0_4arch9wavefront6targetE1EEEvT1_.has_recursion, 0
	.set _ZN7rocprim17ROCPRIM_400000_NS6detail17trampoline_kernelINS0_14default_configENS1_25transform_config_selectorIlLb0EEEZNS1_14transform_implILb0ES3_S5_PlN6thrust23THRUST_200600_302600_NS10device_ptrIlEENS0_8identityIlEEEE10hipError_tT2_T3_mT4_P12ihipStream_tbEUlT_E_NS1_11comp_targetILNS1_3genE9ELNS1_11target_archE1100ELNS1_3gpuE3ELNS1_3repE0EEENS1_30default_config_static_selectorELNS0_4arch9wavefront6targetE1EEEvT1_.has_indirect_call, 0
	.section	.AMDGPU.csdata,"",@progbits
; Kernel info:
; codeLenInByte = 0
; TotalNumSgprs: 4
; NumVgprs: 0
; ScratchSize: 0
; MemoryBound: 0
; FloatMode: 240
; IeeeMode: 1
; LDSByteSize: 0 bytes/workgroup (compile time only)
; SGPRBlocks: 0
; VGPRBlocks: 0
; NumSGPRsForWavesPerEU: 4
; NumVGPRsForWavesPerEU: 1
; Occupancy: 10
; WaveLimiterHint : 0
; COMPUTE_PGM_RSRC2:SCRATCH_EN: 0
; COMPUTE_PGM_RSRC2:USER_SGPR: 6
; COMPUTE_PGM_RSRC2:TRAP_HANDLER: 0
; COMPUTE_PGM_RSRC2:TGID_X_EN: 1
; COMPUTE_PGM_RSRC2:TGID_Y_EN: 0
; COMPUTE_PGM_RSRC2:TGID_Z_EN: 0
; COMPUTE_PGM_RSRC2:TIDIG_COMP_CNT: 0
	.section	.text._ZN7rocprim17ROCPRIM_400000_NS6detail17trampoline_kernelINS0_14default_configENS1_25transform_config_selectorIlLb0EEEZNS1_14transform_implILb0ES3_S5_PlN6thrust23THRUST_200600_302600_NS10device_ptrIlEENS0_8identityIlEEEE10hipError_tT2_T3_mT4_P12ihipStream_tbEUlT_E_NS1_11comp_targetILNS1_3genE8ELNS1_11target_archE1030ELNS1_3gpuE2ELNS1_3repE0EEENS1_30default_config_static_selectorELNS0_4arch9wavefront6targetE1EEEvT1_,"axG",@progbits,_ZN7rocprim17ROCPRIM_400000_NS6detail17trampoline_kernelINS0_14default_configENS1_25transform_config_selectorIlLb0EEEZNS1_14transform_implILb0ES3_S5_PlN6thrust23THRUST_200600_302600_NS10device_ptrIlEENS0_8identityIlEEEE10hipError_tT2_T3_mT4_P12ihipStream_tbEUlT_E_NS1_11comp_targetILNS1_3genE8ELNS1_11target_archE1030ELNS1_3gpuE2ELNS1_3repE0EEENS1_30default_config_static_selectorELNS0_4arch9wavefront6targetE1EEEvT1_,comdat
	.protected	_ZN7rocprim17ROCPRIM_400000_NS6detail17trampoline_kernelINS0_14default_configENS1_25transform_config_selectorIlLb0EEEZNS1_14transform_implILb0ES3_S5_PlN6thrust23THRUST_200600_302600_NS10device_ptrIlEENS0_8identityIlEEEE10hipError_tT2_T3_mT4_P12ihipStream_tbEUlT_E_NS1_11comp_targetILNS1_3genE8ELNS1_11target_archE1030ELNS1_3gpuE2ELNS1_3repE0EEENS1_30default_config_static_selectorELNS0_4arch9wavefront6targetE1EEEvT1_ ; -- Begin function _ZN7rocprim17ROCPRIM_400000_NS6detail17trampoline_kernelINS0_14default_configENS1_25transform_config_selectorIlLb0EEEZNS1_14transform_implILb0ES3_S5_PlN6thrust23THRUST_200600_302600_NS10device_ptrIlEENS0_8identityIlEEEE10hipError_tT2_T3_mT4_P12ihipStream_tbEUlT_E_NS1_11comp_targetILNS1_3genE8ELNS1_11target_archE1030ELNS1_3gpuE2ELNS1_3repE0EEENS1_30default_config_static_selectorELNS0_4arch9wavefront6targetE1EEEvT1_
	.globl	_ZN7rocprim17ROCPRIM_400000_NS6detail17trampoline_kernelINS0_14default_configENS1_25transform_config_selectorIlLb0EEEZNS1_14transform_implILb0ES3_S5_PlN6thrust23THRUST_200600_302600_NS10device_ptrIlEENS0_8identityIlEEEE10hipError_tT2_T3_mT4_P12ihipStream_tbEUlT_E_NS1_11comp_targetILNS1_3genE8ELNS1_11target_archE1030ELNS1_3gpuE2ELNS1_3repE0EEENS1_30default_config_static_selectorELNS0_4arch9wavefront6targetE1EEEvT1_
	.p2align	8
	.type	_ZN7rocprim17ROCPRIM_400000_NS6detail17trampoline_kernelINS0_14default_configENS1_25transform_config_selectorIlLb0EEEZNS1_14transform_implILb0ES3_S5_PlN6thrust23THRUST_200600_302600_NS10device_ptrIlEENS0_8identityIlEEEE10hipError_tT2_T3_mT4_P12ihipStream_tbEUlT_E_NS1_11comp_targetILNS1_3genE8ELNS1_11target_archE1030ELNS1_3gpuE2ELNS1_3repE0EEENS1_30default_config_static_selectorELNS0_4arch9wavefront6targetE1EEEvT1_,@function
_ZN7rocprim17ROCPRIM_400000_NS6detail17trampoline_kernelINS0_14default_configENS1_25transform_config_selectorIlLb0EEEZNS1_14transform_implILb0ES3_S5_PlN6thrust23THRUST_200600_302600_NS10device_ptrIlEENS0_8identityIlEEEE10hipError_tT2_T3_mT4_P12ihipStream_tbEUlT_E_NS1_11comp_targetILNS1_3genE8ELNS1_11target_archE1030ELNS1_3gpuE2ELNS1_3repE0EEENS1_30default_config_static_selectorELNS0_4arch9wavefront6targetE1EEEvT1_: ; @_ZN7rocprim17ROCPRIM_400000_NS6detail17trampoline_kernelINS0_14default_configENS1_25transform_config_selectorIlLb0EEEZNS1_14transform_implILb0ES3_S5_PlN6thrust23THRUST_200600_302600_NS10device_ptrIlEENS0_8identityIlEEEE10hipError_tT2_T3_mT4_P12ihipStream_tbEUlT_E_NS1_11comp_targetILNS1_3genE8ELNS1_11target_archE1030ELNS1_3gpuE2ELNS1_3repE0EEENS1_30default_config_static_selectorELNS0_4arch9wavefront6targetE1EEEvT1_
; %bb.0:
	.section	.rodata,"a",@progbits
	.p2align	6, 0x0
	.amdhsa_kernel _ZN7rocprim17ROCPRIM_400000_NS6detail17trampoline_kernelINS0_14default_configENS1_25transform_config_selectorIlLb0EEEZNS1_14transform_implILb0ES3_S5_PlN6thrust23THRUST_200600_302600_NS10device_ptrIlEENS0_8identityIlEEEE10hipError_tT2_T3_mT4_P12ihipStream_tbEUlT_E_NS1_11comp_targetILNS1_3genE8ELNS1_11target_archE1030ELNS1_3gpuE2ELNS1_3repE0EEENS1_30default_config_static_selectorELNS0_4arch9wavefront6targetE1EEEvT1_
		.amdhsa_group_segment_fixed_size 0
		.amdhsa_private_segment_fixed_size 0
		.amdhsa_kernarg_size 40
		.amdhsa_user_sgpr_count 6
		.amdhsa_user_sgpr_private_segment_buffer 1
		.amdhsa_user_sgpr_dispatch_ptr 0
		.amdhsa_user_sgpr_queue_ptr 0
		.amdhsa_user_sgpr_kernarg_segment_ptr 1
		.amdhsa_user_sgpr_dispatch_id 0
		.amdhsa_user_sgpr_flat_scratch_init 0
		.amdhsa_user_sgpr_private_segment_size 0
		.amdhsa_uses_dynamic_stack 0
		.amdhsa_system_sgpr_private_segment_wavefront_offset 0
		.amdhsa_system_sgpr_workgroup_id_x 1
		.amdhsa_system_sgpr_workgroup_id_y 0
		.amdhsa_system_sgpr_workgroup_id_z 0
		.amdhsa_system_sgpr_workgroup_info 0
		.amdhsa_system_vgpr_workitem_id 0
		.amdhsa_next_free_vgpr 1
		.amdhsa_next_free_sgpr 0
		.amdhsa_reserve_vcc 0
		.amdhsa_reserve_flat_scratch 0
		.amdhsa_float_round_mode_32 0
		.amdhsa_float_round_mode_16_64 0
		.amdhsa_float_denorm_mode_32 3
		.amdhsa_float_denorm_mode_16_64 3
		.amdhsa_dx10_clamp 1
		.amdhsa_ieee_mode 1
		.amdhsa_fp16_overflow 0
		.amdhsa_exception_fp_ieee_invalid_op 0
		.amdhsa_exception_fp_denorm_src 0
		.amdhsa_exception_fp_ieee_div_zero 0
		.amdhsa_exception_fp_ieee_overflow 0
		.amdhsa_exception_fp_ieee_underflow 0
		.amdhsa_exception_fp_ieee_inexact 0
		.amdhsa_exception_int_div_zero 0
	.end_amdhsa_kernel
	.section	.text._ZN7rocprim17ROCPRIM_400000_NS6detail17trampoline_kernelINS0_14default_configENS1_25transform_config_selectorIlLb0EEEZNS1_14transform_implILb0ES3_S5_PlN6thrust23THRUST_200600_302600_NS10device_ptrIlEENS0_8identityIlEEEE10hipError_tT2_T3_mT4_P12ihipStream_tbEUlT_E_NS1_11comp_targetILNS1_3genE8ELNS1_11target_archE1030ELNS1_3gpuE2ELNS1_3repE0EEENS1_30default_config_static_selectorELNS0_4arch9wavefront6targetE1EEEvT1_,"axG",@progbits,_ZN7rocprim17ROCPRIM_400000_NS6detail17trampoline_kernelINS0_14default_configENS1_25transform_config_selectorIlLb0EEEZNS1_14transform_implILb0ES3_S5_PlN6thrust23THRUST_200600_302600_NS10device_ptrIlEENS0_8identityIlEEEE10hipError_tT2_T3_mT4_P12ihipStream_tbEUlT_E_NS1_11comp_targetILNS1_3genE8ELNS1_11target_archE1030ELNS1_3gpuE2ELNS1_3repE0EEENS1_30default_config_static_selectorELNS0_4arch9wavefront6targetE1EEEvT1_,comdat
.Lfunc_end188:
	.size	_ZN7rocprim17ROCPRIM_400000_NS6detail17trampoline_kernelINS0_14default_configENS1_25transform_config_selectorIlLb0EEEZNS1_14transform_implILb0ES3_S5_PlN6thrust23THRUST_200600_302600_NS10device_ptrIlEENS0_8identityIlEEEE10hipError_tT2_T3_mT4_P12ihipStream_tbEUlT_E_NS1_11comp_targetILNS1_3genE8ELNS1_11target_archE1030ELNS1_3gpuE2ELNS1_3repE0EEENS1_30default_config_static_selectorELNS0_4arch9wavefront6targetE1EEEvT1_, .Lfunc_end188-_ZN7rocprim17ROCPRIM_400000_NS6detail17trampoline_kernelINS0_14default_configENS1_25transform_config_selectorIlLb0EEEZNS1_14transform_implILb0ES3_S5_PlN6thrust23THRUST_200600_302600_NS10device_ptrIlEENS0_8identityIlEEEE10hipError_tT2_T3_mT4_P12ihipStream_tbEUlT_E_NS1_11comp_targetILNS1_3genE8ELNS1_11target_archE1030ELNS1_3gpuE2ELNS1_3repE0EEENS1_30default_config_static_selectorELNS0_4arch9wavefront6targetE1EEEvT1_
                                        ; -- End function
	.set _ZN7rocprim17ROCPRIM_400000_NS6detail17trampoline_kernelINS0_14default_configENS1_25transform_config_selectorIlLb0EEEZNS1_14transform_implILb0ES3_S5_PlN6thrust23THRUST_200600_302600_NS10device_ptrIlEENS0_8identityIlEEEE10hipError_tT2_T3_mT4_P12ihipStream_tbEUlT_E_NS1_11comp_targetILNS1_3genE8ELNS1_11target_archE1030ELNS1_3gpuE2ELNS1_3repE0EEENS1_30default_config_static_selectorELNS0_4arch9wavefront6targetE1EEEvT1_.num_vgpr, 0
	.set _ZN7rocprim17ROCPRIM_400000_NS6detail17trampoline_kernelINS0_14default_configENS1_25transform_config_selectorIlLb0EEEZNS1_14transform_implILb0ES3_S5_PlN6thrust23THRUST_200600_302600_NS10device_ptrIlEENS0_8identityIlEEEE10hipError_tT2_T3_mT4_P12ihipStream_tbEUlT_E_NS1_11comp_targetILNS1_3genE8ELNS1_11target_archE1030ELNS1_3gpuE2ELNS1_3repE0EEENS1_30default_config_static_selectorELNS0_4arch9wavefront6targetE1EEEvT1_.num_agpr, 0
	.set _ZN7rocprim17ROCPRIM_400000_NS6detail17trampoline_kernelINS0_14default_configENS1_25transform_config_selectorIlLb0EEEZNS1_14transform_implILb0ES3_S5_PlN6thrust23THRUST_200600_302600_NS10device_ptrIlEENS0_8identityIlEEEE10hipError_tT2_T3_mT4_P12ihipStream_tbEUlT_E_NS1_11comp_targetILNS1_3genE8ELNS1_11target_archE1030ELNS1_3gpuE2ELNS1_3repE0EEENS1_30default_config_static_selectorELNS0_4arch9wavefront6targetE1EEEvT1_.numbered_sgpr, 0
	.set _ZN7rocprim17ROCPRIM_400000_NS6detail17trampoline_kernelINS0_14default_configENS1_25transform_config_selectorIlLb0EEEZNS1_14transform_implILb0ES3_S5_PlN6thrust23THRUST_200600_302600_NS10device_ptrIlEENS0_8identityIlEEEE10hipError_tT2_T3_mT4_P12ihipStream_tbEUlT_E_NS1_11comp_targetILNS1_3genE8ELNS1_11target_archE1030ELNS1_3gpuE2ELNS1_3repE0EEENS1_30default_config_static_selectorELNS0_4arch9wavefront6targetE1EEEvT1_.num_named_barrier, 0
	.set _ZN7rocprim17ROCPRIM_400000_NS6detail17trampoline_kernelINS0_14default_configENS1_25transform_config_selectorIlLb0EEEZNS1_14transform_implILb0ES3_S5_PlN6thrust23THRUST_200600_302600_NS10device_ptrIlEENS0_8identityIlEEEE10hipError_tT2_T3_mT4_P12ihipStream_tbEUlT_E_NS1_11comp_targetILNS1_3genE8ELNS1_11target_archE1030ELNS1_3gpuE2ELNS1_3repE0EEENS1_30default_config_static_selectorELNS0_4arch9wavefront6targetE1EEEvT1_.private_seg_size, 0
	.set _ZN7rocprim17ROCPRIM_400000_NS6detail17trampoline_kernelINS0_14default_configENS1_25transform_config_selectorIlLb0EEEZNS1_14transform_implILb0ES3_S5_PlN6thrust23THRUST_200600_302600_NS10device_ptrIlEENS0_8identityIlEEEE10hipError_tT2_T3_mT4_P12ihipStream_tbEUlT_E_NS1_11comp_targetILNS1_3genE8ELNS1_11target_archE1030ELNS1_3gpuE2ELNS1_3repE0EEENS1_30default_config_static_selectorELNS0_4arch9wavefront6targetE1EEEvT1_.uses_vcc, 0
	.set _ZN7rocprim17ROCPRIM_400000_NS6detail17trampoline_kernelINS0_14default_configENS1_25transform_config_selectorIlLb0EEEZNS1_14transform_implILb0ES3_S5_PlN6thrust23THRUST_200600_302600_NS10device_ptrIlEENS0_8identityIlEEEE10hipError_tT2_T3_mT4_P12ihipStream_tbEUlT_E_NS1_11comp_targetILNS1_3genE8ELNS1_11target_archE1030ELNS1_3gpuE2ELNS1_3repE0EEENS1_30default_config_static_selectorELNS0_4arch9wavefront6targetE1EEEvT1_.uses_flat_scratch, 0
	.set _ZN7rocprim17ROCPRIM_400000_NS6detail17trampoline_kernelINS0_14default_configENS1_25transform_config_selectorIlLb0EEEZNS1_14transform_implILb0ES3_S5_PlN6thrust23THRUST_200600_302600_NS10device_ptrIlEENS0_8identityIlEEEE10hipError_tT2_T3_mT4_P12ihipStream_tbEUlT_E_NS1_11comp_targetILNS1_3genE8ELNS1_11target_archE1030ELNS1_3gpuE2ELNS1_3repE0EEENS1_30default_config_static_selectorELNS0_4arch9wavefront6targetE1EEEvT1_.has_dyn_sized_stack, 0
	.set _ZN7rocprim17ROCPRIM_400000_NS6detail17trampoline_kernelINS0_14default_configENS1_25transform_config_selectorIlLb0EEEZNS1_14transform_implILb0ES3_S5_PlN6thrust23THRUST_200600_302600_NS10device_ptrIlEENS0_8identityIlEEEE10hipError_tT2_T3_mT4_P12ihipStream_tbEUlT_E_NS1_11comp_targetILNS1_3genE8ELNS1_11target_archE1030ELNS1_3gpuE2ELNS1_3repE0EEENS1_30default_config_static_selectorELNS0_4arch9wavefront6targetE1EEEvT1_.has_recursion, 0
	.set _ZN7rocprim17ROCPRIM_400000_NS6detail17trampoline_kernelINS0_14default_configENS1_25transform_config_selectorIlLb0EEEZNS1_14transform_implILb0ES3_S5_PlN6thrust23THRUST_200600_302600_NS10device_ptrIlEENS0_8identityIlEEEE10hipError_tT2_T3_mT4_P12ihipStream_tbEUlT_E_NS1_11comp_targetILNS1_3genE8ELNS1_11target_archE1030ELNS1_3gpuE2ELNS1_3repE0EEENS1_30default_config_static_selectorELNS0_4arch9wavefront6targetE1EEEvT1_.has_indirect_call, 0
	.section	.AMDGPU.csdata,"",@progbits
; Kernel info:
; codeLenInByte = 0
; TotalNumSgprs: 4
; NumVgprs: 0
; ScratchSize: 0
; MemoryBound: 0
; FloatMode: 240
; IeeeMode: 1
; LDSByteSize: 0 bytes/workgroup (compile time only)
; SGPRBlocks: 0
; VGPRBlocks: 0
; NumSGPRsForWavesPerEU: 4
; NumVGPRsForWavesPerEU: 1
; Occupancy: 10
; WaveLimiterHint : 0
; COMPUTE_PGM_RSRC2:SCRATCH_EN: 0
; COMPUTE_PGM_RSRC2:USER_SGPR: 6
; COMPUTE_PGM_RSRC2:TRAP_HANDLER: 0
; COMPUTE_PGM_RSRC2:TGID_X_EN: 1
; COMPUTE_PGM_RSRC2:TGID_Y_EN: 0
; COMPUTE_PGM_RSRC2:TGID_Z_EN: 0
; COMPUTE_PGM_RSRC2:TIDIG_COMP_CNT: 0
	.section	.text._ZN7rocprim17ROCPRIM_400000_NS6detail17trampoline_kernelINS0_14default_configENS1_38merge_sort_block_merge_config_selectorIhlEEZZNS1_27merge_sort_block_merge_implIS3_PhN6thrust23THRUST_200600_302600_NS10device_ptrIlEEjNS1_19radix_merge_compareILb0ELb1EhNS0_19identity_decomposerEEEEE10hipError_tT0_T1_T2_jT3_P12ihipStream_tbPNSt15iterator_traitsISG_E10value_typeEPNSM_ISH_E10value_typeEPSI_NS1_7vsmem_tEENKUlT_SG_SH_SI_E_clIS7_S7_PlSB_EESF_SV_SG_SH_SI_EUlSV_E_NS1_11comp_targetILNS1_3genE0ELNS1_11target_archE4294967295ELNS1_3gpuE0ELNS1_3repE0EEENS1_48merge_mergepath_partition_config_static_selectorELNS0_4arch9wavefront6targetE1EEEvSH_,"axG",@progbits,_ZN7rocprim17ROCPRIM_400000_NS6detail17trampoline_kernelINS0_14default_configENS1_38merge_sort_block_merge_config_selectorIhlEEZZNS1_27merge_sort_block_merge_implIS3_PhN6thrust23THRUST_200600_302600_NS10device_ptrIlEEjNS1_19radix_merge_compareILb0ELb1EhNS0_19identity_decomposerEEEEE10hipError_tT0_T1_T2_jT3_P12ihipStream_tbPNSt15iterator_traitsISG_E10value_typeEPNSM_ISH_E10value_typeEPSI_NS1_7vsmem_tEENKUlT_SG_SH_SI_E_clIS7_S7_PlSB_EESF_SV_SG_SH_SI_EUlSV_E_NS1_11comp_targetILNS1_3genE0ELNS1_11target_archE4294967295ELNS1_3gpuE0ELNS1_3repE0EEENS1_48merge_mergepath_partition_config_static_selectorELNS0_4arch9wavefront6targetE1EEEvSH_,comdat
	.protected	_ZN7rocprim17ROCPRIM_400000_NS6detail17trampoline_kernelINS0_14default_configENS1_38merge_sort_block_merge_config_selectorIhlEEZZNS1_27merge_sort_block_merge_implIS3_PhN6thrust23THRUST_200600_302600_NS10device_ptrIlEEjNS1_19radix_merge_compareILb0ELb1EhNS0_19identity_decomposerEEEEE10hipError_tT0_T1_T2_jT3_P12ihipStream_tbPNSt15iterator_traitsISG_E10value_typeEPNSM_ISH_E10value_typeEPSI_NS1_7vsmem_tEENKUlT_SG_SH_SI_E_clIS7_S7_PlSB_EESF_SV_SG_SH_SI_EUlSV_E_NS1_11comp_targetILNS1_3genE0ELNS1_11target_archE4294967295ELNS1_3gpuE0ELNS1_3repE0EEENS1_48merge_mergepath_partition_config_static_selectorELNS0_4arch9wavefront6targetE1EEEvSH_ ; -- Begin function _ZN7rocprim17ROCPRIM_400000_NS6detail17trampoline_kernelINS0_14default_configENS1_38merge_sort_block_merge_config_selectorIhlEEZZNS1_27merge_sort_block_merge_implIS3_PhN6thrust23THRUST_200600_302600_NS10device_ptrIlEEjNS1_19radix_merge_compareILb0ELb1EhNS0_19identity_decomposerEEEEE10hipError_tT0_T1_T2_jT3_P12ihipStream_tbPNSt15iterator_traitsISG_E10value_typeEPNSM_ISH_E10value_typeEPSI_NS1_7vsmem_tEENKUlT_SG_SH_SI_E_clIS7_S7_PlSB_EESF_SV_SG_SH_SI_EUlSV_E_NS1_11comp_targetILNS1_3genE0ELNS1_11target_archE4294967295ELNS1_3gpuE0ELNS1_3repE0EEENS1_48merge_mergepath_partition_config_static_selectorELNS0_4arch9wavefront6targetE1EEEvSH_
	.globl	_ZN7rocprim17ROCPRIM_400000_NS6detail17trampoline_kernelINS0_14default_configENS1_38merge_sort_block_merge_config_selectorIhlEEZZNS1_27merge_sort_block_merge_implIS3_PhN6thrust23THRUST_200600_302600_NS10device_ptrIlEEjNS1_19radix_merge_compareILb0ELb1EhNS0_19identity_decomposerEEEEE10hipError_tT0_T1_T2_jT3_P12ihipStream_tbPNSt15iterator_traitsISG_E10value_typeEPNSM_ISH_E10value_typeEPSI_NS1_7vsmem_tEENKUlT_SG_SH_SI_E_clIS7_S7_PlSB_EESF_SV_SG_SH_SI_EUlSV_E_NS1_11comp_targetILNS1_3genE0ELNS1_11target_archE4294967295ELNS1_3gpuE0ELNS1_3repE0EEENS1_48merge_mergepath_partition_config_static_selectorELNS0_4arch9wavefront6targetE1EEEvSH_
	.p2align	8
	.type	_ZN7rocprim17ROCPRIM_400000_NS6detail17trampoline_kernelINS0_14default_configENS1_38merge_sort_block_merge_config_selectorIhlEEZZNS1_27merge_sort_block_merge_implIS3_PhN6thrust23THRUST_200600_302600_NS10device_ptrIlEEjNS1_19radix_merge_compareILb0ELb1EhNS0_19identity_decomposerEEEEE10hipError_tT0_T1_T2_jT3_P12ihipStream_tbPNSt15iterator_traitsISG_E10value_typeEPNSM_ISH_E10value_typeEPSI_NS1_7vsmem_tEENKUlT_SG_SH_SI_E_clIS7_S7_PlSB_EESF_SV_SG_SH_SI_EUlSV_E_NS1_11comp_targetILNS1_3genE0ELNS1_11target_archE4294967295ELNS1_3gpuE0ELNS1_3repE0EEENS1_48merge_mergepath_partition_config_static_selectorELNS0_4arch9wavefront6targetE1EEEvSH_,@function
_ZN7rocprim17ROCPRIM_400000_NS6detail17trampoline_kernelINS0_14default_configENS1_38merge_sort_block_merge_config_selectorIhlEEZZNS1_27merge_sort_block_merge_implIS3_PhN6thrust23THRUST_200600_302600_NS10device_ptrIlEEjNS1_19radix_merge_compareILb0ELb1EhNS0_19identity_decomposerEEEEE10hipError_tT0_T1_T2_jT3_P12ihipStream_tbPNSt15iterator_traitsISG_E10value_typeEPNSM_ISH_E10value_typeEPSI_NS1_7vsmem_tEENKUlT_SG_SH_SI_E_clIS7_S7_PlSB_EESF_SV_SG_SH_SI_EUlSV_E_NS1_11comp_targetILNS1_3genE0ELNS1_11target_archE4294967295ELNS1_3gpuE0ELNS1_3repE0EEENS1_48merge_mergepath_partition_config_static_selectorELNS0_4arch9wavefront6targetE1EEEvSH_: ; @_ZN7rocprim17ROCPRIM_400000_NS6detail17trampoline_kernelINS0_14default_configENS1_38merge_sort_block_merge_config_selectorIhlEEZZNS1_27merge_sort_block_merge_implIS3_PhN6thrust23THRUST_200600_302600_NS10device_ptrIlEEjNS1_19radix_merge_compareILb0ELb1EhNS0_19identity_decomposerEEEEE10hipError_tT0_T1_T2_jT3_P12ihipStream_tbPNSt15iterator_traitsISG_E10value_typeEPNSM_ISH_E10value_typeEPSI_NS1_7vsmem_tEENKUlT_SG_SH_SI_E_clIS7_S7_PlSB_EESF_SV_SG_SH_SI_EUlSV_E_NS1_11comp_targetILNS1_3genE0ELNS1_11target_archE4294967295ELNS1_3gpuE0ELNS1_3repE0EEENS1_48merge_mergepath_partition_config_static_selectorELNS0_4arch9wavefront6targetE1EEEvSH_
; %bb.0:
	.section	.rodata,"a",@progbits
	.p2align	6, 0x0
	.amdhsa_kernel _ZN7rocprim17ROCPRIM_400000_NS6detail17trampoline_kernelINS0_14default_configENS1_38merge_sort_block_merge_config_selectorIhlEEZZNS1_27merge_sort_block_merge_implIS3_PhN6thrust23THRUST_200600_302600_NS10device_ptrIlEEjNS1_19radix_merge_compareILb0ELb1EhNS0_19identity_decomposerEEEEE10hipError_tT0_T1_T2_jT3_P12ihipStream_tbPNSt15iterator_traitsISG_E10value_typeEPNSM_ISH_E10value_typeEPSI_NS1_7vsmem_tEENKUlT_SG_SH_SI_E_clIS7_S7_PlSB_EESF_SV_SG_SH_SI_EUlSV_E_NS1_11comp_targetILNS1_3genE0ELNS1_11target_archE4294967295ELNS1_3gpuE0ELNS1_3repE0EEENS1_48merge_mergepath_partition_config_static_selectorELNS0_4arch9wavefront6targetE1EEEvSH_
		.amdhsa_group_segment_fixed_size 0
		.amdhsa_private_segment_fixed_size 0
		.amdhsa_kernarg_size 40
		.amdhsa_user_sgpr_count 6
		.amdhsa_user_sgpr_private_segment_buffer 1
		.amdhsa_user_sgpr_dispatch_ptr 0
		.amdhsa_user_sgpr_queue_ptr 0
		.amdhsa_user_sgpr_kernarg_segment_ptr 1
		.amdhsa_user_sgpr_dispatch_id 0
		.amdhsa_user_sgpr_flat_scratch_init 0
		.amdhsa_user_sgpr_private_segment_size 0
		.amdhsa_uses_dynamic_stack 0
		.amdhsa_system_sgpr_private_segment_wavefront_offset 0
		.amdhsa_system_sgpr_workgroup_id_x 1
		.amdhsa_system_sgpr_workgroup_id_y 0
		.amdhsa_system_sgpr_workgroup_id_z 0
		.amdhsa_system_sgpr_workgroup_info 0
		.amdhsa_system_vgpr_workitem_id 0
		.amdhsa_next_free_vgpr 1
		.amdhsa_next_free_sgpr 0
		.amdhsa_reserve_vcc 0
		.amdhsa_reserve_flat_scratch 0
		.amdhsa_float_round_mode_32 0
		.amdhsa_float_round_mode_16_64 0
		.amdhsa_float_denorm_mode_32 3
		.amdhsa_float_denorm_mode_16_64 3
		.amdhsa_dx10_clamp 1
		.amdhsa_ieee_mode 1
		.amdhsa_fp16_overflow 0
		.amdhsa_exception_fp_ieee_invalid_op 0
		.amdhsa_exception_fp_denorm_src 0
		.amdhsa_exception_fp_ieee_div_zero 0
		.amdhsa_exception_fp_ieee_overflow 0
		.amdhsa_exception_fp_ieee_underflow 0
		.amdhsa_exception_fp_ieee_inexact 0
		.amdhsa_exception_int_div_zero 0
	.end_amdhsa_kernel
	.section	.text._ZN7rocprim17ROCPRIM_400000_NS6detail17trampoline_kernelINS0_14default_configENS1_38merge_sort_block_merge_config_selectorIhlEEZZNS1_27merge_sort_block_merge_implIS3_PhN6thrust23THRUST_200600_302600_NS10device_ptrIlEEjNS1_19radix_merge_compareILb0ELb1EhNS0_19identity_decomposerEEEEE10hipError_tT0_T1_T2_jT3_P12ihipStream_tbPNSt15iterator_traitsISG_E10value_typeEPNSM_ISH_E10value_typeEPSI_NS1_7vsmem_tEENKUlT_SG_SH_SI_E_clIS7_S7_PlSB_EESF_SV_SG_SH_SI_EUlSV_E_NS1_11comp_targetILNS1_3genE0ELNS1_11target_archE4294967295ELNS1_3gpuE0ELNS1_3repE0EEENS1_48merge_mergepath_partition_config_static_selectorELNS0_4arch9wavefront6targetE1EEEvSH_,"axG",@progbits,_ZN7rocprim17ROCPRIM_400000_NS6detail17trampoline_kernelINS0_14default_configENS1_38merge_sort_block_merge_config_selectorIhlEEZZNS1_27merge_sort_block_merge_implIS3_PhN6thrust23THRUST_200600_302600_NS10device_ptrIlEEjNS1_19radix_merge_compareILb0ELb1EhNS0_19identity_decomposerEEEEE10hipError_tT0_T1_T2_jT3_P12ihipStream_tbPNSt15iterator_traitsISG_E10value_typeEPNSM_ISH_E10value_typeEPSI_NS1_7vsmem_tEENKUlT_SG_SH_SI_E_clIS7_S7_PlSB_EESF_SV_SG_SH_SI_EUlSV_E_NS1_11comp_targetILNS1_3genE0ELNS1_11target_archE4294967295ELNS1_3gpuE0ELNS1_3repE0EEENS1_48merge_mergepath_partition_config_static_selectorELNS0_4arch9wavefront6targetE1EEEvSH_,comdat
.Lfunc_end189:
	.size	_ZN7rocprim17ROCPRIM_400000_NS6detail17trampoline_kernelINS0_14default_configENS1_38merge_sort_block_merge_config_selectorIhlEEZZNS1_27merge_sort_block_merge_implIS3_PhN6thrust23THRUST_200600_302600_NS10device_ptrIlEEjNS1_19radix_merge_compareILb0ELb1EhNS0_19identity_decomposerEEEEE10hipError_tT0_T1_T2_jT3_P12ihipStream_tbPNSt15iterator_traitsISG_E10value_typeEPNSM_ISH_E10value_typeEPSI_NS1_7vsmem_tEENKUlT_SG_SH_SI_E_clIS7_S7_PlSB_EESF_SV_SG_SH_SI_EUlSV_E_NS1_11comp_targetILNS1_3genE0ELNS1_11target_archE4294967295ELNS1_3gpuE0ELNS1_3repE0EEENS1_48merge_mergepath_partition_config_static_selectorELNS0_4arch9wavefront6targetE1EEEvSH_, .Lfunc_end189-_ZN7rocprim17ROCPRIM_400000_NS6detail17trampoline_kernelINS0_14default_configENS1_38merge_sort_block_merge_config_selectorIhlEEZZNS1_27merge_sort_block_merge_implIS3_PhN6thrust23THRUST_200600_302600_NS10device_ptrIlEEjNS1_19radix_merge_compareILb0ELb1EhNS0_19identity_decomposerEEEEE10hipError_tT0_T1_T2_jT3_P12ihipStream_tbPNSt15iterator_traitsISG_E10value_typeEPNSM_ISH_E10value_typeEPSI_NS1_7vsmem_tEENKUlT_SG_SH_SI_E_clIS7_S7_PlSB_EESF_SV_SG_SH_SI_EUlSV_E_NS1_11comp_targetILNS1_3genE0ELNS1_11target_archE4294967295ELNS1_3gpuE0ELNS1_3repE0EEENS1_48merge_mergepath_partition_config_static_selectorELNS0_4arch9wavefront6targetE1EEEvSH_
                                        ; -- End function
	.set _ZN7rocprim17ROCPRIM_400000_NS6detail17trampoline_kernelINS0_14default_configENS1_38merge_sort_block_merge_config_selectorIhlEEZZNS1_27merge_sort_block_merge_implIS3_PhN6thrust23THRUST_200600_302600_NS10device_ptrIlEEjNS1_19radix_merge_compareILb0ELb1EhNS0_19identity_decomposerEEEEE10hipError_tT0_T1_T2_jT3_P12ihipStream_tbPNSt15iterator_traitsISG_E10value_typeEPNSM_ISH_E10value_typeEPSI_NS1_7vsmem_tEENKUlT_SG_SH_SI_E_clIS7_S7_PlSB_EESF_SV_SG_SH_SI_EUlSV_E_NS1_11comp_targetILNS1_3genE0ELNS1_11target_archE4294967295ELNS1_3gpuE0ELNS1_3repE0EEENS1_48merge_mergepath_partition_config_static_selectorELNS0_4arch9wavefront6targetE1EEEvSH_.num_vgpr, 0
	.set _ZN7rocprim17ROCPRIM_400000_NS6detail17trampoline_kernelINS0_14default_configENS1_38merge_sort_block_merge_config_selectorIhlEEZZNS1_27merge_sort_block_merge_implIS3_PhN6thrust23THRUST_200600_302600_NS10device_ptrIlEEjNS1_19radix_merge_compareILb0ELb1EhNS0_19identity_decomposerEEEEE10hipError_tT0_T1_T2_jT3_P12ihipStream_tbPNSt15iterator_traitsISG_E10value_typeEPNSM_ISH_E10value_typeEPSI_NS1_7vsmem_tEENKUlT_SG_SH_SI_E_clIS7_S7_PlSB_EESF_SV_SG_SH_SI_EUlSV_E_NS1_11comp_targetILNS1_3genE0ELNS1_11target_archE4294967295ELNS1_3gpuE0ELNS1_3repE0EEENS1_48merge_mergepath_partition_config_static_selectorELNS0_4arch9wavefront6targetE1EEEvSH_.num_agpr, 0
	.set _ZN7rocprim17ROCPRIM_400000_NS6detail17trampoline_kernelINS0_14default_configENS1_38merge_sort_block_merge_config_selectorIhlEEZZNS1_27merge_sort_block_merge_implIS3_PhN6thrust23THRUST_200600_302600_NS10device_ptrIlEEjNS1_19radix_merge_compareILb0ELb1EhNS0_19identity_decomposerEEEEE10hipError_tT0_T1_T2_jT3_P12ihipStream_tbPNSt15iterator_traitsISG_E10value_typeEPNSM_ISH_E10value_typeEPSI_NS1_7vsmem_tEENKUlT_SG_SH_SI_E_clIS7_S7_PlSB_EESF_SV_SG_SH_SI_EUlSV_E_NS1_11comp_targetILNS1_3genE0ELNS1_11target_archE4294967295ELNS1_3gpuE0ELNS1_3repE0EEENS1_48merge_mergepath_partition_config_static_selectorELNS0_4arch9wavefront6targetE1EEEvSH_.numbered_sgpr, 0
	.set _ZN7rocprim17ROCPRIM_400000_NS6detail17trampoline_kernelINS0_14default_configENS1_38merge_sort_block_merge_config_selectorIhlEEZZNS1_27merge_sort_block_merge_implIS3_PhN6thrust23THRUST_200600_302600_NS10device_ptrIlEEjNS1_19radix_merge_compareILb0ELb1EhNS0_19identity_decomposerEEEEE10hipError_tT0_T1_T2_jT3_P12ihipStream_tbPNSt15iterator_traitsISG_E10value_typeEPNSM_ISH_E10value_typeEPSI_NS1_7vsmem_tEENKUlT_SG_SH_SI_E_clIS7_S7_PlSB_EESF_SV_SG_SH_SI_EUlSV_E_NS1_11comp_targetILNS1_3genE0ELNS1_11target_archE4294967295ELNS1_3gpuE0ELNS1_3repE0EEENS1_48merge_mergepath_partition_config_static_selectorELNS0_4arch9wavefront6targetE1EEEvSH_.num_named_barrier, 0
	.set _ZN7rocprim17ROCPRIM_400000_NS6detail17trampoline_kernelINS0_14default_configENS1_38merge_sort_block_merge_config_selectorIhlEEZZNS1_27merge_sort_block_merge_implIS3_PhN6thrust23THRUST_200600_302600_NS10device_ptrIlEEjNS1_19radix_merge_compareILb0ELb1EhNS0_19identity_decomposerEEEEE10hipError_tT0_T1_T2_jT3_P12ihipStream_tbPNSt15iterator_traitsISG_E10value_typeEPNSM_ISH_E10value_typeEPSI_NS1_7vsmem_tEENKUlT_SG_SH_SI_E_clIS7_S7_PlSB_EESF_SV_SG_SH_SI_EUlSV_E_NS1_11comp_targetILNS1_3genE0ELNS1_11target_archE4294967295ELNS1_3gpuE0ELNS1_3repE0EEENS1_48merge_mergepath_partition_config_static_selectorELNS0_4arch9wavefront6targetE1EEEvSH_.private_seg_size, 0
	.set _ZN7rocprim17ROCPRIM_400000_NS6detail17trampoline_kernelINS0_14default_configENS1_38merge_sort_block_merge_config_selectorIhlEEZZNS1_27merge_sort_block_merge_implIS3_PhN6thrust23THRUST_200600_302600_NS10device_ptrIlEEjNS1_19radix_merge_compareILb0ELb1EhNS0_19identity_decomposerEEEEE10hipError_tT0_T1_T2_jT3_P12ihipStream_tbPNSt15iterator_traitsISG_E10value_typeEPNSM_ISH_E10value_typeEPSI_NS1_7vsmem_tEENKUlT_SG_SH_SI_E_clIS7_S7_PlSB_EESF_SV_SG_SH_SI_EUlSV_E_NS1_11comp_targetILNS1_3genE0ELNS1_11target_archE4294967295ELNS1_3gpuE0ELNS1_3repE0EEENS1_48merge_mergepath_partition_config_static_selectorELNS0_4arch9wavefront6targetE1EEEvSH_.uses_vcc, 0
	.set _ZN7rocprim17ROCPRIM_400000_NS6detail17trampoline_kernelINS0_14default_configENS1_38merge_sort_block_merge_config_selectorIhlEEZZNS1_27merge_sort_block_merge_implIS3_PhN6thrust23THRUST_200600_302600_NS10device_ptrIlEEjNS1_19radix_merge_compareILb0ELb1EhNS0_19identity_decomposerEEEEE10hipError_tT0_T1_T2_jT3_P12ihipStream_tbPNSt15iterator_traitsISG_E10value_typeEPNSM_ISH_E10value_typeEPSI_NS1_7vsmem_tEENKUlT_SG_SH_SI_E_clIS7_S7_PlSB_EESF_SV_SG_SH_SI_EUlSV_E_NS1_11comp_targetILNS1_3genE0ELNS1_11target_archE4294967295ELNS1_3gpuE0ELNS1_3repE0EEENS1_48merge_mergepath_partition_config_static_selectorELNS0_4arch9wavefront6targetE1EEEvSH_.uses_flat_scratch, 0
	.set _ZN7rocprim17ROCPRIM_400000_NS6detail17trampoline_kernelINS0_14default_configENS1_38merge_sort_block_merge_config_selectorIhlEEZZNS1_27merge_sort_block_merge_implIS3_PhN6thrust23THRUST_200600_302600_NS10device_ptrIlEEjNS1_19radix_merge_compareILb0ELb1EhNS0_19identity_decomposerEEEEE10hipError_tT0_T1_T2_jT3_P12ihipStream_tbPNSt15iterator_traitsISG_E10value_typeEPNSM_ISH_E10value_typeEPSI_NS1_7vsmem_tEENKUlT_SG_SH_SI_E_clIS7_S7_PlSB_EESF_SV_SG_SH_SI_EUlSV_E_NS1_11comp_targetILNS1_3genE0ELNS1_11target_archE4294967295ELNS1_3gpuE0ELNS1_3repE0EEENS1_48merge_mergepath_partition_config_static_selectorELNS0_4arch9wavefront6targetE1EEEvSH_.has_dyn_sized_stack, 0
	.set _ZN7rocprim17ROCPRIM_400000_NS6detail17trampoline_kernelINS0_14default_configENS1_38merge_sort_block_merge_config_selectorIhlEEZZNS1_27merge_sort_block_merge_implIS3_PhN6thrust23THRUST_200600_302600_NS10device_ptrIlEEjNS1_19radix_merge_compareILb0ELb1EhNS0_19identity_decomposerEEEEE10hipError_tT0_T1_T2_jT3_P12ihipStream_tbPNSt15iterator_traitsISG_E10value_typeEPNSM_ISH_E10value_typeEPSI_NS1_7vsmem_tEENKUlT_SG_SH_SI_E_clIS7_S7_PlSB_EESF_SV_SG_SH_SI_EUlSV_E_NS1_11comp_targetILNS1_3genE0ELNS1_11target_archE4294967295ELNS1_3gpuE0ELNS1_3repE0EEENS1_48merge_mergepath_partition_config_static_selectorELNS0_4arch9wavefront6targetE1EEEvSH_.has_recursion, 0
	.set _ZN7rocprim17ROCPRIM_400000_NS6detail17trampoline_kernelINS0_14default_configENS1_38merge_sort_block_merge_config_selectorIhlEEZZNS1_27merge_sort_block_merge_implIS3_PhN6thrust23THRUST_200600_302600_NS10device_ptrIlEEjNS1_19radix_merge_compareILb0ELb1EhNS0_19identity_decomposerEEEEE10hipError_tT0_T1_T2_jT3_P12ihipStream_tbPNSt15iterator_traitsISG_E10value_typeEPNSM_ISH_E10value_typeEPSI_NS1_7vsmem_tEENKUlT_SG_SH_SI_E_clIS7_S7_PlSB_EESF_SV_SG_SH_SI_EUlSV_E_NS1_11comp_targetILNS1_3genE0ELNS1_11target_archE4294967295ELNS1_3gpuE0ELNS1_3repE0EEENS1_48merge_mergepath_partition_config_static_selectorELNS0_4arch9wavefront6targetE1EEEvSH_.has_indirect_call, 0
	.section	.AMDGPU.csdata,"",@progbits
; Kernel info:
; codeLenInByte = 0
; TotalNumSgprs: 4
; NumVgprs: 0
; ScratchSize: 0
; MemoryBound: 0
; FloatMode: 240
; IeeeMode: 1
; LDSByteSize: 0 bytes/workgroup (compile time only)
; SGPRBlocks: 0
; VGPRBlocks: 0
; NumSGPRsForWavesPerEU: 4
; NumVGPRsForWavesPerEU: 1
; Occupancy: 10
; WaveLimiterHint : 0
; COMPUTE_PGM_RSRC2:SCRATCH_EN: 0
; COMPUTE_PGM_RSRC2:USER_SGPR: 6
; COMPUTE_PGM_RSRC2:TRAP_HANDLER: 0
; COMPUTE_PGM_RSRC2:TGID_X_EN: 1
; COMPUTE_PGM_RSRC2:TGID_Y_EN: 0
; COMPUTE_PGM_RSRC2:TGID_Z_EN: 0
; COMPUTE_PGM_RSRC2:TIDIG_COMP_CNT: 0
	.section	.text._ZN7rocprim17ROCPRIM_400000_NS6detail17trampoline_kernelINS0_14default_configENS1_38merge_sort_block_merge_config_selectorIhlEEZZNS1_27merge_sort_block_merge_implIS3_PhN6thrust23THRUST_200600_302600_NS10device_ptrIlEEjNS1_19radix_merge_compareILb0ELb1EhNS0_19identity_decomposerEEEEE10hipError_tT0_T1_T2_jT3_P12ihipStream_tbPNSt15iterator_traitsISG_E10value_typeEPNSM_ISH_E10value_typeEPSI_NS1_7vsmem_tEENKUlT_SG_SH_SI_E_clIS7_S7_PlSB_EESF_SV_SG_SH_SI_EUlSV_E_NS1_11comp_targetILNS1_3genE10ELNS1_11target_archE1201ELNS1_3gpuE5ELNS1_3repE0EEENS1_48merge_mergepath_partition_config_static_selectorELNS0_4arch9wavefront6targetE1EEEvSH_,"axG",@progbits,_ZN7rocprim17ROCPRIM_400000_NS6detail17trampoline_kernelINS0_14default_configENS1_38merge_sort_block_merge_config_selectorIhlEEZZNS1_27merge_sort_block_merge_implIS3_PhN6thrust23THRUST_200600_302600_NS10device_ptrIlEEjNS1_19radix_merge_compareILb0ELb1EhNS0_19identity_decomposerEEEEE10hipError_tT0_T1_T2_jT3_P12ihipStream_tbPNSt15iterator_traitsISG_E10value_typeEPNSM_ISH_E10value_typeEPSI_NS1_7vsmem_tEENKUlT_SG_SH_SI_E_clIS7_S7_PlSB_EESF_SV_SG_SH_SI_EUlSV_E_NS1_11comp_targetILNS1_3genE10ELNS1_11target_archE1201ELNS1_3gpuE5ELNS1_3repE0EEENS1_48merge_mergepath_partition_config_static_selectorELNS0_4arch9wavefront6targetE1EEEvSH_,comdat
	.protected	_ZN7rocprim17ROCPRIM_400000_NS6detail17trampoline_kernelINS0_14default_configENS1_38merge_sort_block_merge_config_selectorIhlEEZZNS1_27merge_sort_block_merge_implIS3_PhN6thrust23THRUST_200600_302600_NS10device_ptrIlEEjNS1_19radix_merge_compareILb0ELb1EhNS0_19identity_decomposerEEEEE10hipError_tT0_T1_T2_jT3_P12ihipStream_tbPNSt15iterator_traitsISG_E10value_typeEPNSM_ISH_E10value_typeEPSI_NS1_7vsmem_tEENKUlT_SG_SH_SI_E_clIS7_S7_PlSB_EESF_SV_SG_SH_SI_EUlSV_E_NS1_11comp_targetILNS1_3genE10ELNS1_11target_archE1201ELNS1_3gpuE5ELNS1_3repE0EEENS1_48merge_mergepath_partition_config_static_selectorELNS0_4arch9wavefront6targetE1EEEvSH_ ; -- Begin function _ZN7rocprim17ROCPRIM_400000_NS6detail17trampoline_kernelINS0_14default_configENS1_38merge_sort_block_merge_config_selectorIhlEEZZNS1_27merge_sort_block_merge_implIS3_PhN6thrust23THRUST_200600_302600_NS10device_ptrIlEEjNS1_19radix_merge_compareILb0ELb1EhNS0_19identity_decomposerEEEEE10hipError_tT0_T1_T2_jT3_P12ihipStream_tbPNSt15iterator_traitsISG_E10value_typeEPNSM_ISH_E10value_typeEPSI_NS1_7vsmem_tEENKUlT_SG_SH_SI_E_clIS7_S7_PlSB_EESF_SV_SG_SH_SI_EUlSV_E_NS1_11comp_targetILNS1_3genE10ELNS1_11target_archE1201ELNS1_3gpuE5ELNS1_3repE0EEENS1_48merge_mergepath_partition_config_static_selectorELNS0_4arch9wavefront6targetE1EEEvSH_
	.globl	_ZN7rocprim17ROCPRIM_400000_NS6detail17trampoline_kernelINS0_14default_configENS1_38merge_sort_block_merge_config_selectorIhlEEZZNS1_27merge_sort_block_merge_implIS3_PhN6thrust23THRUST_200600_302600_NS10device_ptrIlEEjNS1_19radix_merge_compareILb0ELb1EhNS0_19identity_decomposerEEEEE10hipError_tT0_T1_T2_jT3_P12ihipStream_tbPNSt15iterator_traitsISG_E10value_typeEPNSM_ISH_E10value_typeEPSI_NS1_7vsmem_tEENKUlT_SG_SH_SI_E_clIS7_S7_PlSB_EESF_SV_SG_SH_SI_EUlSV_E_NS1_11comp_targetILNS1_3genE10ELNS1_11target_archE1201ELNS1_3gpuE5ELNS1_3repE0EEENS1_48merge_mergepath_partition_config_static_selectorELNS0_4arch9wavefront6targetE1EEEvSH_
	.p2align	8
	.type	_ZN7rocprim17ROCPRIM_400000_NS6detail17trampoline_kernelINS0_14default_configENS1_38merge_sort_block_merge_config_selectorIhlEEZZNS1_27merge_sort_block_merge_implIS3_PhN6thrust23THRUST_200600_302600_NS10device_ptrIlEEjNS1_19radix_merge_compareILb0ELb1EhNS0_19identity_decomposerEEEEE10hipError_tT0_T1_T2_jT3_P12ihipStream_tbPNSt15iterator_traitsISG_E10value_typeEPNSM_ISH_E10value_typeEPSI_NS1_7vsmem_tEENKUlT_SG_SH_SI_E_clIS7_S7_PlSB_EESF_SV_SG_SH_SI_EUlSV_E_NS1_11comp_targetILNS1_3genE10ELNS1_11target_archE1201ELNS1_3gpuE5ELNS1_3repE0EEENS1_48merge_mergepath_partition_config_static_selectorELNS0_4arch9wavefront6targetE1EEEvSH_,@function
_ZN7rocprim17ROCPRIM_400000_NS6detail17trampoline_kernelINS0_14default_configENS1_38merge_sort_block_merge_config_selectorIhlEEZZNS1_27merge_sort_block_merge_implIS3_PhN6thrust23THRUST_200600_302600_NS10device_ptrIlEEjNS1_19radix_merge_compareILb0ELb1EhNS0_19identity_decomposerEEEEE10hipError_tT0_T1_T2_jT3_P12ihipStream_tbPNSt15iterator_traitsISG_E10value_typeEPNSM_ISH_E10value_typeEPSI_NS1_7vsmem_tEENKUlT_SG_SH_SI_E_clIS7_S7_PlSB_EESF_SV_SG_SH_SI_EUlSV_E_NS1_11comp_targetILNS1_3genE10ELNS1_11target_archE1201ELNS1_3gpuE5ELNS1_3repE0EEENS1_48merge_mergepath_partition_config_static_selectorELNS0_4arch9wavefront6targetE1EEEvSH_: ; @_ZN7rocprim17ROCPRIM_400000_NS6detail17trampoline_kernelINS0_14default_configENS1_38merge_sort_block_merge_config_selectorIhlEEZZNS1_27merge_sort_block_merge_implIS3_PhN6thrust23THRUST_200600_302600_NS10device_ptrIlEEjNS1_19radix_merge_compareILb0ELb1EhNS0_19identity_decomposerEEEEE10hipError_tT0_T1_T2_jT3_P12ihipStream_tbPNSt15iterator_traitsISG_E10value_typeEPNSM_ISH_E10value_typeEPSI_NS1_7vsmem_tEENKUlT_SG_SH_SI_E_clIS7_S7_PlSB_EESF_SV_SG_SH_SI_EUlSV_E_NS1_11comp_targetILNS1_3genE10ELNS1_11target_archE1201ELNS1_3gpuE5ELNS1_3repE0EEENS1_48merge_mergepath_partition_config_static_selectorELNS0_4arch9wavefront6targetE1EEEvSH_
; %bb.0:
	.section	.rodata,"a",@progbits
	.p2align	6, 0x0
	.amdhsa_kernel _ZN7rocprim17ROCPRIM_400000_NS6detail17trampoline_kernelINS0_14default_configENS1_38merge_sort_block_merge_config_selectorIhlEEZZNS1_27merge_sort_block_merge_implIS3_PhN6thrust23THRUST_200600_302600_NS10device_ptrIlEEjNS1_19radix_merge_compareILb0ELb1EhNS0_19identity_decomposerEEEEE10hipError_tT0_T1_T2_jT3_P12ihipStream_tbPNSt15iterator_traitsISG_E10value_typeEPNSM_ISH_E10value_typeEPSI_NS1_7vsmem_tEENKUlT_SG_SH_SI_E_clIS7_S7_PlSB_EESF_SV_SG_SH_SI_EUlSV_E_NS1_11comp_targetILNS1_3genE10ELNS1_11target_archE1201ELNS1_3gpuE5ELNS1_3repE0EEENS1_48merge_mergepath_partition_config_static_selectorELNS0_4arch9wavefront6targetE1EEEvSH_
		.amdhsa_group_segment_fixed_size 0
		.amdhsa_private_segment_fixed_size 0
		.amdhsa_kernarg_size 40
		.amdhsa_user_sgpr_count 6
		.amdhsa_user_sgpr_private_segment_buffer 1
		.amdhsa_user_sgpr_dispatch_ptr 0
		.amdhsa_user_sgpr_queue_ptr 0
		.amdhsa_user_sgpr_kernarg_segment_ptr 1
		.amdhsa_user_sgpr_dispatch_id 0
		.amdhsa_user_sgpr_flat_scratch_init 0
		.amdhsa_user_sgpr_private_segment_size 0
		.amdhsa_uses_dynamic_stack 0
		.amdhsa_system_sgpr_private_segment_wavefront_offset 0
		.amdhsa_system_sgpr_workgroup_id_x 1
		.amdhsa_system_sgpr_workgroup_id_y 0
		.amdhsa_system_sgpr_workgroup_id_z 0
		.amdhsa_system_sgpr_workgroup_info 0
		.amdhsa_system_vgpr_workitem_id 0
		.amdhsa_next_free_vgpr 1
		.amdhsa_next_free_sgpr 0
		.amdhsa_reserve_vcc 0
		.amdhsa_reserve_flat_scratch 0
		.amdhsa_float_round_mode_32 0
		.amdhsa_float_round_mode_16_64 0
		.amdhsa_float_denorm_mode_32 3
		.amdhsa_float_denorm_mode_16_64 3
		.amdhsa_dx10_clamp 1
		.amdhsa_ieee_mode 1
		.amdhsa_fp16_overflow 0
		.amdhsa_exception_fp_ieee_invalid_op 0
		.amdhsa_exception_fp_denorm_src 0
		.amdhsa_exception_fp_ieee_div_zero 0
		.amdhsa_exception_fp_ieee_overflow 0
		.amdhsa_exception_fp_ieee_underflow 0
		.amdhsa_exception_fp_ieee_inexact 0
		.amdhsa_exception_int_div_zero 0
	.end_amdhsa_kernel
	.section	.text._ZN7rocprim17ROCPRIM_400000_NS6detail17trampoline_kernelINS0_14default_configENS1_38merge_sort_block_merge_config_selectorIhlEEZZNS1_27merge_sort_block_merge_implIS3_PhN6thrust23THRUST_200600_302600_NS10device_ptrIlEEjNS1_19radix_merge_compareILb0ELb1EhNS0_19identity_decomposerEEEEE10hipError_tT0_T1_T2_jT3_P12ihipStream_tbPNSt15iterator_traitsISG_E10value_typeEPNSM_ISH_E10value_typeEPSI_NS1_7vsmem_tEENKUlT_SG_SH_SI_E_clIS7_S7_PlSB_EESF_SV_SG_SH_SI_EUlSV_E_NS1_11comp_targetILNS1_3genE10ELNS1_11target_archE1201ELNS1_3gpuE5ELNS1_3repE0EEENS1_48merge_mergepath_partition_config_static_selectorELNS0_4arch9wavefront6targetE1EEEvSH_,"axG",@progbits,_ZN7rocprim17ROCPRIM_400000_NS6detail17trampoline_kernelINS0_14default_configENS1_38merge_sort_block_merge_config_selectorIhlEEZZNS1_27merge_sort_block_merge_implIS3_PhN6thrust23THRUST_200600_302600_NS10device_ptrIlEEjNS1_19radix_merge_compareILb0ELb1EhNS0_19identity_decomposerEEEEE10hipError_tT0_T1_T2_jT3_P12ihipStream_tbPNSt15iterator_traitsISG_E10value_typeEPNSM_ISH_E10value_typeEPSI_NS1_7vsmem_tEENKUlT_SG_SH_SI_E_clIS7_S7_PlSB_EESF_SV_SG_SH_SI_EUlSV_E_NS1_11comp_targetILNS1_3genE10ELNS1_11target_archE1201ELNS1_3gpuE5ELNS1_3repE0EEENS1_48merge_mergepath_partition_config_static_selectorELNS0_4arch9wavefront6targetE1EEEvSH_,comdat
.Lfunc_end190:
	.size	_ZN7rocprim17ROCPRIM_400000_NS6detail17trampoline_kernelINS0_14default_configENS1_38merge_sort_block_merge_config_selectorIhlEEZZNS1_27merge_sort_block_merge_implIS3_PhN6thrust23THRUST_200600_302600_NS10device_ptrIlEEjNS1_19radix_merge_compareILb0ELb1EhNS0_19identity_decomposerEEEEE10hipError_tT0_T1_T2_jT3_P12ihipStream_tbPNSt15iterator_traitsISG_E10value_typeEPNSM_ISH_E10value_typeEPSI_NS1_7vsmem_tEENKUlT_SG_SH_SI_E_clIS7_S7_PlSB_EESF_SV_SG_SH_SI_EUlSV_E_NS1_11comp_targetILNS1_3genE10ELNS1_11target_archE1201ELNS1_3gpuE5ELNS1_3repE0EEENS1_48merge_mergepath_partition_config_static_selectorELNS0_4arch9wavefront6targetE1EEEvSH_, .Lfunc_end190-_ZN7rocprim17ROCPRIM_400000_NS6detail17trampoline_kernelINS0_14default_configENS1_38merge_sort_block_merge_config_selectorIhlEEZZNS1_27merge_sort_block_merge_implIS3_PhN6thrust23THRUST_200600_302600_NS10device_ptrIlEEjNS1_19radix_merge_compareILb0ELb1EhNS0_19identity_decomposerEEEEE10hipError_tT0_T1_T2_jT3_P12ihipStream_tbPNSt15iterator_traitsISG_E10value_typeEPNSM_ISH_E10value_typeEPSI_NS1_7vsmem_tEENKUlT_SG_SH_SI_E_clIS7_S7_PlSB_EESF_SV_SG_SH_SI_EUlSV_E_NS1_11comp_targetILNS1_3genE10ELNS1_11target_archE1201ELNS1_3gpuE5ELNS1_3repE0EEENS1_48merge_mergepath_partition_config_static_selectorELNS0_4arch9wavefront6targetE1EEEvSH_
                                        ; -- End function
	.set _ZN7rocprim17ROCPRIM_400000_NS6detail17trampoline_kernelINS0_14default_configENS1_38merge_sort_block_merge_config_selectorIhlEEZZNS1_27merge_sort_block_merge_implIS3_PhN6thrust23THRUST_200600_302600_NS10device_ptrIlEEjNS1_19radix_merge_compareILb0ELb1EhNS0_19identity_decomposerEEEEE10hipError_tT0_T1_T2_jT3_P12ihipStream_tbPNSt15iterator_traitsISG_E10value_typeEPNSM_ISH_E10value_typeEPSI_NS1_7vsmem_tEENKUlT_SG_SH_SI_E_clIS7_S7_PlSB_EESF_SV_SG_SH_SI_EUlSV_E_NS1_11comp_targetILNS1_3genE10ELNS1_11target_archE1201ELNS1_3gpuE5ELNS1_3repE0EEENS1_48merge_mergepath_partition_config_static_selectorELNS0_4arch9wavefront6targetE1EEEvSH_.num_vgpr, 0
	.set _ZN7rocprim17ROCPRIM_400000_NS6detail17trampoline_kernelINS0_14default_configENS1_38merge_sort_block_merge_config_selectorIhlEEZZNS1_27merge_sort_block_merge_implIS3_PhN6thrust23THRUST_200600_302600_NS10device_ptrIlEEjNS1_19radix_merge_compareILb0ELb1EhNS0_19identity_decomposerEEEEE10hipError_tT0_T1_T2_jT3_P12ihipStream_tbPNSt15iterator_traitsISG_E10value_typeEPNSM_ISH_E10value_typeEPSI_NS1_7vsmem_tEENKUlT_SG_SH_SI_E_clIS7_S7_PlSB_EESF_SV_SG_SH_SI_EUlSV_E_NS1_11comp_targetILNS1_3genE10ELNS1_11target_archE1201ELNS1_3gpuE5ELNS1_3repE0EEENS1_48merge_mergepath_partition_config_static_selectorELNS0_4arch9wavefront6targetE1EEEvSH_.num_agpr, 0
	.set _ZN7rocprim17ROCPRIM_400000_NS6detail17trampoline_kernelINS0_14default_configENS1_38merge_sort_block_merge_config_selectorIhlEEZZNS1_27merge_sort_block_merge_implIS3_PhN6thrust23THRUST_200600_302600_NS10device_ptrIlEEjNS1_19radix_merge_compareILb0ELb1EhNS0_19identity_decomposerEEEEE10hipError_tT0_T1_T2_jT3_P12ihipStream_tbPNSt15iterator_traitsISG_E10value_typeEPNSM_ISH_E10value_typeEPSI_NS1_7vsmem_tEENKUlT_SG_SH_SI_E_clIS7_S7_PlSB_EESF_SV_SG_SH_SI_EUlSV_E_NS1_11comp_targetILNS1_3genE10ELNS1_11target_archE1201ELNS1_3gpuE5ELNS1_3repE0EEENS1_48merge_mergepath_partition_config_static_selectorELNS0_4arch9wavefront6targetE1EEEvSH_.numbered_sgpr, 0
	.set _ZN7rocprim17ROCPRIM_400000_NS6detail17trampoline_kernelINS0_14default_configENS1_38merge_sort_block_merge_config_selectorIhlEEZZNS1_27merge_sort_block_merge_implIS3_PhN6thrust23THRUST_200600_302600_NS10device_ptrIlEEjNS1_19radix_merge_compareILb0ELb1EhNS0_19identity_decomposerEEEEE10hipError_tT0_T1_T2_jT3_P12ihipStream_tbPNSt15iterator_traitsISG_E10value_typeEPNSM_ISH_E10value_typeEPSI_NS1_7vsmem_tEENKUlT_SG_SH_SI_E_clIS7_S7_PlSB_EESF_SV_SG_SH_SI_EUlSV_E_NS1_11comp_targetILNS1_3genE10ELNS1_11target_archE1201ELNS1_3gpuE5ELNS1_3repE0EEENS1_48merge_mergepath_partition_config_static_selectorELNS0_4arch9wavefront6targetE1EEEvSH_.num_named_barrier, 0
	.set _ZN7rocprim17ROCPRIM_400000_NS6detail17trampoline_kernelINS0_14default_configENS1_38merge_sort_block_merge_config_selectorIhlEEZZNS1_27merge_sort_block_merge_implIS3_PhN6thrust23THRUST_200600_302600_NS10device_ptrIlEEjNS1_19radix_merge_compareILb0ELb1EhNS0_19identity_decomposerEEEEE10hipError_tT0_T1_T2_jT3_P12ihipStream_tbPNSt15iterator_traitsISG_E10value_typeEPNSM_ISH_E10value_typeEPSI_NS1_7vsmem_tEENKUlT_SG_SH_SI_E_clIS7_S7_PlSB_EESF_SV_SG_SH_SI_EUlSV_E_NS1_11comp_targetILNS1_3genE10ELNS1_11target_archE1201ELNS1_3gpuE5ELNS1_3repE0EEENS1_48merge_mergepath_partition_config_static_selectorELNS0_4arch9wavefront6targetE1EEEvSH_.private_seg_size, 0
	.set _ZN7rocprim17ROCPRIM_400000_NS6detail17trampoline_kernelINS0_14default_configENS1_38merge_sort_block_merge_config_selectorIhlEEZZNS1_27merge_sort_block_merge_implIS3_PhN6thrust23THRUST_200600_302600_NS10device_ptrIlEEjNS1_19radix_merge_compareILb0ELb1EhNS0_19identity_decomposerEEEEE10hipError_tT0_T1_T2_jT3_P12ihipStream_tbPNSt15iterator_traitsISG_E10value_typeEPNSM_ISH_E10value_typeEPSI_NS1_7vsmem_tEENKUlT_SG_SH_SI_E_clIS7_S7_PlSB_EESF_SV_SG_SH_SI_EUlSV_E_NS1_11comp_targetILNS1_3genE10ELNS1_11target_archE1201ELNS1_3gpuE5ELNS1_3repE0EEENS1_48merge_mergepath_partition_config_static_selectorELNS0_4arch9wavefront6targetE1EEEvSH_.uses_vcc, 0
	.set _ZN7rocprim17ROCPRIM_400000_NS6detail17trampoline_kernelINS0_14default_configENS1_38merge_sort_block_merge_config_selectorIhlEEZZNS1_27merge_sort_block_merge_implIS3_PhN6thrust23THRUST_200600_302600_NS10device_ptrIlEEjNS1_19radix_merge_compareILb0ELb1EhNS0_19identity_decomposerEEEEE10hipError_tT0_T1_T2_jT3_P12ihipStream_tbPNSt15iterator_traitsISG_E10value_typeEPNSM_ISH_E10value_typeEPSI_NS1_7vsmem_tEENKUlT_SG_SH_SI_E_clIS7_S7_PlSB_EESF_SV_SG_SH_SI_EUlSV_E_NS1_11comp_targetILNS1_3genE10ELNS1_11target_archE1201ELNS1_3gpuE5ELNS1_3repE0EEENS1_48merge_mergepath_partition_config_static_selectorELNS0_4arch9wavefront6targetE1EEEvSH_.uses_flat_scratch, 0
	.set _ZN7rocprim17ROCPRIM_400000_NS6detail17trampoline_kernelINS0_14default_configENS1_38merge_sort_block_merge_config_selectorIhlEEZZNS1_27merge_sort_block_merge_implIS3_PhN6thrust23THRUST_200600_302600_NS10device_ptrIlEEjNS1_19radix_merge_compareILb0ELb1EhNS0_19identity_decomposerEEEEE10hipError_tT0_T1_T2_jT3_P12ihipStream_tbPNSt15iterator_traitsISG_E10value_typeEPNSM_ISH_E10value_typeEPSI_NS1_7vsmem_tEENKUlT_SG_SH_SI_E_clIS7_S7_PlSB_EESF_SV_SG_SH_SI_EUlSV_E_NS1_11comp_targetILNS1_3genE10ELNS1_11target_archE1201ELNS1_3gpuE5ELNS1_3repE0EEENS1_48merge_mergepath_partition_config_static_selectorELNS0_4arch9wavefront6targetE1EEEvSH_.has_dyn_sized_stack, 0
	.set _ZN7rocprim17ROCPRIM_400000_NS6detail17trampoline_kernelINS0_14default_configENS1_38merge_sort_block_merge_config_selectorIhlEEZZNS1_27merge_sort_block_merge_implIS3_PhN6thrust23THRUST_200600_302600_NS10device_ptrIlEEjNS1_19radix_merge_compareILb0ELb1EhNS0_19identity_decomposerEEEEE10hipError_tT0_T1_T2_jT3_P12ihipStream_tbPNSt15iterator_traitsISG_E10value_typeEPNSM_ISH_E10value_typeEPSI_NS1_7vsmem_tEENKUlT_SG_SH_SI_E_clIS7_S7_PlSB_EESF_SV_SG_SH_SI_EUlSV_E_NS1_11comp_targetILNS1_3genE10ELNS1_11target_archE1201ELNS1_3gpuE5ELNS1_3repE0EEENS1_48merge_mergepath_partition_config_static_selectorELNS0_4arch9wavefront6targetE1EEEvSH_.has_recursion, 0
	.set _ZN7rocprim17ROCPRIM_400000_NS6detail17trampoline_kernelINS0_14default_configENS1_38merge_sort_block_merge_config_selectorIhlEEZZNS1_27merge_sort_block_merge_implIS3_PhN6thrust23THRUST_200600_302600_NS10device_ptrIlEEjNS1_19radix_merge_compareILb0ELb1EhNS0_19identity_decomposerEEEEE10hipError_tT0_T1_T2_jT3_P12ihipStream_tbPNSt15iterator_traitsISG_E10value_typeEPNSM_ISH_E10value_typeEPSI_NS1_7vsmem_tEENKUlT_SG_SH_SI_E_clIS7_S7_PlSB_EESF_SV_SG_SH_SI_EUlSV_E_NS1_11comp_targetILNS1_3genE10ELNS1_11target_archE1201ELNS1_3gpuE5ELNS1_3repE0EEENS1_48merge_mergepath_partition_config_static_selectorELNS0_4arch9wavefront6targetE1EEEvSH_.has_indirect_call, 0
	.section	.AMDGPU.csdata,"",@progbits
; Kernel info:
; codeLenInByte = 0
; TotalNumSgprs: 4
; NumVgprs: 0
; ScratchSize: 0
; MemoryBound: 0
; FloatMode: 240
; IeeeMode: 1
; LDSByteSize: 0 bytes/workgroup (compile time only)
; SGPRBlocks: 0
; VGPRBlocks: 0
; NumSGPRsForWavesPerEU: 4
; NumVGPRsForWavesPerEU: 1
; Occupancy: 10
; WaveLimiterHint : 0
; COMPUTE_PGM_RSRC2:SCRATCH_EN: 0
; COMPUTE_PGM_RSRC2:USER_SGPR: 6
; COMPUTE_PGM_RSRC2:TRAP_HANDLER: 0
; COMPUTE_PGM_RSRC2:TGID_X_EN: 1
; COMPUTE_PGM_RSRC2:TGID_Y_EN: 0
; COMPUTE_PGM_RSRC2:TGID_Z_EN: 0
; COMPUTE_PGM_RSRC2:TIDIG_COMP_CNT: 0
	.section	.text._ZN7rocprim17ROCPRIM_400000_NS6detail17trampoline_kernelINS0_14default_configENS1_38merge_sort_block_merge_config_selectorIhlEEZZNS1_27merge_sort_block_merge_implIS3_PhN6thrust23THRUST_200600_302600_NS10device_ptrIlEEjNS1_19radix_merge_compareILb0ELb1EhNS0_19identity_decomposerEEEEE10hipError_tT0_T1_T2_jT3_P12ihipStream_tbPNSt15iterator_traitsISG_E10value_typeEPNSM_ISH_E10value_typeEPSI_NS1_7vsmem_tEENKUlT_SG_SH_SI_E_clIS7_S7_PlSB_EESF_SV_SG_SH_SI_EUlSV_E_NS1_11comp_targetILNS1_3genE5ELNS1_11target_archE942ELNS1_3gpuE9ELNS1_3repE0EEENS1_48merge_mergepath_partition_config_static_selectorELNS0_4arch9wavefront6targetE1EEEvSH_,"axG",@progbits,_ZN7rocprim17ROCPRIM_400000_NS6detail17trampoline_kernelINS0_14default_configENS1_38merge_sort_block_merge_config_selectorIhlEEZZNS1_27merge_sort_block_merge_implIS3_PhN6thrust23THRUST_200600_302600_NS10device_ptrIlEEjNS1_19radix_merge_compareILb0ELb1EhNS0_19identity_decomposerEEEEE10hipError_tT0_T1_T2_jT3_P12ihipStream_tbPNSt15iterator_traitsISG_E10value_typeEPNSM_ISH_E10value_typeEPSI_NS1_7vsmem_tEENKUlT_SG_SH_SI_E_clIS7_S7_PlSB_EESF_SV_SG_SH_SI_EUlSV_E_NS1_11comp_targetILNS1_3genE5ELNS1_11target_archE942ELNS1_3gpuE9ELNS1_3repE0EEENS1_48merge_mergepath_partition_config_static_selectorELNS0_4arch9wavefront6targetE1EEEvSH_,comdat
	.protected	_ZN7rocprim17ROCPRIM_400000_NS6detail17trampoline_kernelINS0_14default_configENS1_38merge_sort_block_merge_config_selectorIhlEEZZNS1_27merge_sort_block_merge_implIS3_PhN6thrust23THRUST_200600_302600_NS10device_ptrIlEEjNS1_19radix_merge_compareILb0ELb1EhNS0_19identity_decomposerEEEEE10hipError_tT0_T1_T2_jT3_P12ihipStream_tbPNSt15iterator_traitsISG_E10value_typeEPNSM_ISH_E10value_typeEPSI_NS1_7vsmem_tEENKUlT_SG_SH_SI_E_clIS7_S7_PlSB_EESF_SV_SG_SH_SI_EUlSV_E_NS1_11comp_targetILNS1_3genE5ELNS1_11target_archE942ELNS1_3gpuE9ELNS1_3repE0EEENS1_48merge_mergepath_partition_config_static_selectorELNS0_4arch9wavefront6targetE1EEEvSH_ ; -- Begin function _ZN7rocprim17ROCPRIM_400000_NS6detail17trampoline_kernelINS0_14default_configENS1_38merge_sort_block_merge_config_selectorIhlEEZZNS1_27merge_sort_block_merge_implIS3_PhN6thrust23THRUST_200600_302600_NS10device_ptrIlEEjNS1_19radix_merge_compareILb0ELb1EhNS0_19identity_decomposerEEEEE10hipError_tT0_T1_T2_jT3_P12ihipStream_tbPNSt15iterator_traitsISG_E10value_typeEPNSM_ISH_E10value_typeEPSI_NS1_7vsmem_tEENKUlT_SG_SH_SI_E_clIS7_S7_PlSB_EESF_SV_SG_SH_SI_EUlSV_E_NS1_11comp_targetILNS1_3genE5ELNS1_11target_archE942ELNS1_3gpuE9ELNS1_3repE0EEENS1_48merge_mergepath_partition_config_static_selectorELNS0_4arch9wavefront6targetE1EEEvSH_
	.globl	_ZN7rocprim17ROCPRIM_400000_NS6detail17trampoline_kernelINS0_14default_configENS1_38merge_sort_block_merge_config_selectorIhlEEZZNS1_27merge_sort_block_merge_implIS3_PhN6thrust23THRUST_200600_302600_NS10device_ptrIlEEjNS1_19radix_merge_compareILb0ELb1EhNS0_19identity_decomposerEEEEE10hipError_tT0_T1_T2_jT3_P12ihipStream_tbPNSt15iterator_traitsISG_E10value_typeEPNSM_ISH_E10value_typeEPSI_NS1_7vsmem_tEENKUlT_SG_SH_SI_E_clIS7_S7_PlSB_EESF_SV_SG_SH_SI_EUlSV_E_NS1_11comp_targetILNS1_3genE5ELNS1_11target_archE942ELNS1_3gpuE9ELNS1_3repE0EEENS1_48merge_mergepath_partition_config_static_selectorELNS0_4arch9wavefront6targetE1EEEvSH_
	.p2align	8
	.type	_ZN7rocprim17ROCPRIM_400000_NS6detail17trampoline_kernelINS0_14default_configENS1_38merge_sort_block_merge_config_selectorIhlEEZZNS1_27merge_sort_block_merge_implIS3_PhN6thrust23THRUST_200600_302600_NS10device_ptrIlEEjNS1_19radix_merge_compareILb0ELb1EhNS0_19identity_decomposerEEEEE10hipError_tT0_T1_T2_jT3_P12ihipStream_tbPNSt15iterator_traitsISG_E10value_typeEPNSM_ISH_E10value_typeEPSI_NS1_7vsmem_tEENKUlT_SG_SH_SI_E_clIS7_S7_PlSB_EESF_SV_SG_SH_SI_EUlSV_E_NS1_11comp_targetILNS1_3genE5ELNS1_11target_archE942ELNS1_3gpuE9ELNS1_3repE0EEENS1_48merge_mergepath_partition_config_static_selectorELNS0_4arch9wavefront6targetE1EEEvSH_,@function
_ZN7rocprim17ROCPRIM_400000_NS6detail17trampoline_kernelINS0_14default_configENS1_38merge_sort_block_merge_config_selectorIhlEEZZNS1_27merge_sort_block_merge_implIS3_PhN6thrust23THRUST_200600_302600_NS10device_ptrIlEEjNS1_19radix_merge_compareILb0ELb1EhNS0_19identity_decomposerEEEEE10hipError_tT0_T1_T2_jT3_P12ihipStream_tbPNSt15iterator_traitsISG_E10value_typeEPNSM_ISH_E10value_typeEPSI_NS1_7vsmem_tEENKUlT_SG_SH_SI_E_clIS7_S7_PlSB_EESF_SV_SG_SH_SI_EUlSV_E_NS1_11comp_targetILNS1_3genE5ELNS1_11target_archE942ELNS1_3gpuE9ELNS1_3repE0EEENS1_48merge_mergepath_partition_config_static_selectorELNS0_4arch9wavefront6targetE1EEEvSH_: ; @_ZN7rocprim17ROCPRIM_400000_NS6detail17trampoline_kernelINS0_14default_configENS1_38merge_sort_block_merge_config_selectorIhlEEZZNS1_27merge_sort_block_merge_implIS3_PhN6thrust23THRUST_200600_302600_NS10device_ptrIlEEjNS1_19radix_merge_compareILb0ELb1EhNS0_19identity_decomposerEEEEE10hipError_tT0_T1_T2_jT3_P12ihipStream_tbPNSt15iterator_traitsISG_E10value_typeEPNSM_ISH_E10value_typeEPSI_NS1_7vsmem_tEENKUlT_SG_SH_SI_E_clIS7_S7_PlSB_EESF_SV_SG_SH_SI_EUlSV_E_NS1_11comp_targetILNS1_3genE5ELNS1_11target_archE942ELNS1_3gpuE9ELNS1_3repE0EEENS1_48merge_mergepath_partition_config_static_selectorELNS0_4arch9wavefront6targetE1EEEvSH_
; %bb.0:
	.section	.rodata,"a",@progbits
	.p2align	6, 0x0
	.amdhsa_kernel _ZN7rocprim17ROCPRIM_400000_NS6detail17trampoline_kernelINS0_14default_configENS1_38merge_sort_block_merge_config_selectorIhlEEZZNS1_27merge_sort_block_merge_implIS3_PhN6thrust23THRUST_200600_302600_NS10device_ptrIlEEjNS1_19radix_merge_compareILb0ELb1EhNS0_19identity_decomposerEEEEE10hipError_tT0_T1_T2_jT3_P12ihipStream_tbPNSt15iterator_traitsISG_E10value_typeEPNSM_ISH_E10value_typeEPSI_NS1_7vsmem_tEENKUlT_SG_SH_SI_E_clIS7_S7_PlSB_EESF_SV_SG_SH_SI_EUlSV_E_NS1_11comp_targetILNS1_3genE5ELNS1_11target_archE942ELNS1_3gpuE9ELNS1_3repE0EEENS1_48merge_mergepath_partition_config_static_selectorELNS0_4arch9wavefront6targetE1EEEvSH_
		.amdhsa_group_segment_fixed_size 0
		.amdhsa_private_segment_fixed_size 0
		.amdhsa_kernarg_size 40
		.amdhsa_user_sgpr_count 6
		.amdhsa_user_sgpr_private_segment_buffer 1
		.amdhsa_user_sgpr_dispatch_ptr 0
		.amdhsa_user_sgpr_queue_ptr 0
		.amdhsa_user_sgpr_kernarg_segment_ptr 1
		.amdhsa_user_sgpr_dispatch_id 0
		.amdhsa_user_sgpr_flat_scratch_init 0
		.amdhsa_user_sgpr_private_segment_size 0
		.amdhsa_uses_dynamic_stack 0
		.amdhsa_system_sgpr_private_segment_wavefront_offset 0
		.amdhsa_system_sgpr_workgroup_id_x 1
		.amdhsa_system_sgpr_workgroup_id_y 0
		.amdhsa_system_sgpr_workgroup_id_z 0
		.amdhsa_system_sgpr_workgroup_info 0
		.amdhsa_system_vgpr_workitem_id 0
		.amdhsa_next_free_vgpr 1
		.amdhsa_next_free_sgpr 0
		.amdhsa_reserve_vcc 0
		.amdhsa_reserve_flat_scratch 0
		.amdhsa_float_round_mode_32 0
		.amdhsa_float_round_mode_16_64 0
		.amdhsa_float_denorm_mode_32 3
		.amdhsa_float_denorm_mode_16_64 3
		.amdhsa_dx10_clamp 1
		.amdhsa_ieee_mode 1
		.amdhsa_fp16_overflow 0
		.amdhsa_exception_fp_ieee_invalid_op 0
		.amdhsa_exception_fp_denorm_src 0
		.amdhsa_exception_fp_ieee_div_zero 0
		.amdhsa_exception_fp_ieee_overflow 0
		.amdhsa_exception_fp_ieee_underflow 0
		.amdhsa_exception_fp_ieee_inexact 0
		.amdhsa_exception_int_div_zero 0
	.end_amdhsa_kernel
	.section	.text._ZN7rocprim17ROCPRIM_400000_NS6detail17trampoline_kernelINS0_14default_configENS1_38merge_sort_block_merge_config_selectorIhlEEZZNS1_27merge_sort_block_merge_implIS3_PhN6thrust23THRUST_200600_302600_NS10device_ptrIlEEjNS1_19radix_merge_compareILb0ELb1EhNS0_19identity_decomposerEEEEE10hipError_tT0_T1_T2_jT3_P12ihipStream_tbPNSt15iterator_traitsISG_E10value_typeEPNSM_ISH_E10value_typeEPSI_NS1_7vsmem_tEENKUlT_SG_SH_SI_E_clIS7_S7_PlSB_EESF_SV_SG_SH_SI_EUlSV_E_NS1_11comp_targetILNS1_3genE5ELNS1_11target_archE942ELNS1_3gpuE9ELNS1_3repE0EEENS1_48merge_mergepath_partition_config_static_selectorELNS0_4arch9wavefront6targetE1EEEvSH_,"axG",@progbits,_ZN7rocprim17ROCPRIM_400000_NS6detail17trampoline_kernelINS0_14default_configENS1_38merge_sort_block_merge_config_selectorIhlEEZZNS1_27merge_sort_block_merge_implIS3_PhN6thrust23THRUST_200600_302600_NS10device_ptrIlEEjNS1_19radix_merge_compareILb0ELb1EhNS0_19identity_decomposerEEEEE10hipError_tT0_T1_T2_jT3_P12ihipStream_tbPNSt15iterator_traitsISG_E10value_typeEPNSM_ISH_E10value_typeEPSI_NS1_7vsmem_tEENKUlT_SG_SH_SI_E_clIS7_S7_PlSB_EESF_SV_SG_SH_SI_EUlSV_E_NS1_11comp_targetILNS1_3genE5ELNS1_11target_archE942ELNS1_3gpuE9ELNS1_3repE0EEENS1_48merge_mergepath_partition_config_static_selectorELNS0_4arch9wavefront6targetE1EEEvSH_,comdat
.Lfunc_end191:
	.size	_ZN7rocprim17ROCPRIM_400000_NS6detail17trampoline_kernelINS0_14default_configENS1_38merge_sort_block_merge_config_selectorIhlEEZZNS1_27merge_sort_block_merge_implIS3_PhN6thrust23THRUST_200600_302600_NS10device_ptrIlEEjNS1_19radix_merge_compareILb0ELb1EhNS0_19identity_decomposerEEEEE10hipError_tT0_T1_T2_jT3_P12ihipStream_tbPNSt15iterator_traitsISG_E10value_typeEPNSM_ISH_E10value_typeEPSI_NS1_7vsmem_tEENKUlT_SG_SH_SI_E_clIS7_S7_PlSB_EESF_SV_SG_SH_SI_EUlSV_E_NS1_11comp_targetILNS1_3genE5ELNS1_11target_archE942ELNS1_3gpuE9ELNS1_3repE0EEENS1_48merge_mergepath_partition_config_static_selectorELNS0_4arch9wavefront6targetE1EEEvSH_, .Lfunc_end191-_ZN7rocprim17ROCPRIM_400000_NS6detail17trampoline_kernelINS0_14default_configENS1_38merge_sort_block_merge_config_selectorIhlEEZZNS1_27merge_sort_block_merge_implIS3_PhN6thrust23THRUST_200600_302600_NS10device_ptrIlEEjNS1_19radix_merge_compareILb0ELb1EhNS0_19identity_decomposerEEEEE10hipError_tT0_T1_T2_jT3_P12ihipStream_tbPNSt15iterator_traitsISG_E10value_typeEPNSM_ISH_E10value_typeEPSI_NS1_7vsmem_tEENKUlT_SG_SH_SI_E_clIS7_S7_PlSB_EESF_SV_SG_SH_SI_EUlSV_E_NS1_11comp_targetILNS1_3genE5ELNS1_11target_archE942ELNS1_3gpuE9ELNS1_3repE0EEENS1_48merge_mergepath_partition_config_static_selectorELNS0_4arch9wavefront6targetE1EEEvSH_
                                        ; -- End function
	.set _ZN7rocprim17ROCPRIM_400000_NS6detail17trampoline_kernelINS0_14default_configENS1_38merge_sort_block_merge_config_selectorIhlEEZZNS1_27merge_sort_block_merge_implIS3_PhN6thrust23THRUST_200600_302600_NS10device_ptrIlEEjNS1_19radix_merge_compareILb0ELb1EhNS0_19identity_decomposerEEEEE10hipError_tT0_T1_T2_jT3_P12ihipStream_tbPNSt15iterator_traitsISG_E10value_typeEPNSM_ISH_E10value_typeEPSI_NS1_7vsmem_tEENKUlT_SG_SH_SI_E_clIS7_S7_PlSB_EESF_SV_SG_SH_SI_EUlSV_E_NS1_11comp_targetILNS1_3genE5ELNS1_11target_archE942ELNS1_3gpuE9ELNS1_3repE0EEENS1_48merge_mergepath_partition_config_static_selectorELNS0_4arch9wavefront6targetE1EEEvSH_.num_vgpr, 0
	.set _ZN7rocprim17ROCPRIM_400000_NS6detail17trampoline_kernelINS0_14default_configENS1_38merge_sort_block_merge_config_selectorIhlEEZZNS1_27merge_sort_block_merge_implIS3_PhN6thrust23THRUST_200600_302600_NS10device_ptrIlEEjNS1_19radix_merge_compareILb0ELb1EhNS0_19identity_decomposerEEEEE10hipError_tT0_T1_T2_jT3_P12ihipStream_tbPNSt15iterator_traitsISG_E10value_typeEPNSM_ISH_E10value_typeEPSI_NS1_7vsmem_tEENKUlT_SG_SH_SI_E_clIS7_S7_PlSB_EESF_SV_SG_SH_SI_EUlSV_E_NS1_11comp_targetILNS1_3genE5ELNS1_11target_archE942ELNS1_3gpuE9ELNS1_3repE0EEENS1_48merge_mergepath_partition_config_static_selectorELNS0_4arch9wavefront6targetE1EEEvSH_.num_agpr, 0
	.set _ZN7rocprim17ROCPRIM_400000_NS6detail17trampoline_kernelINS0_14default_configENS1_38merge_sort_block_merge_config_selectorIhlEEZZNS1_27merge_sort_block_merge_implIS3_PhN6thrust23THRUST_200600_302600_NS10device_ptrIlEEjNS1_19radix_merge_compareILb0ELb1EhNS0_19identity_decomposerEEEEE10hipError_tT0_T1_T2_jT3_P12ihipStream_tbPNSt15iterator_traitsISG_E10value_typeEPNSM_ISH_E10value_typeEPSI_NS1_7vsmem_tEENKUlT_SG_SH_SI_E_clIS7_S7_PlSB_EESF_SV_SG_SH_SI_EUlSV_E_NS1_11comp_targetILNS1_3genE5ELNS1_11target_archE942ELNS1_3gpuE9ELNS1_3repE0EEENS1_48merge_mergepath_partition_config_static_selectorELNS0_4arch9wavefront6targetE1EEEvSH_.numbered_sgpr, 0
	.set _ZN7rocprim17ROCPRIM_400000_NS6detail17trampoline_kernelINS0_14default_configENS1_38merge_sort_block_merge_config_selectorIhlEEZZNS1_27merge_sort_block_merge_implIS3_PhN6thrust23THRUST_200600_302600_NS10device_ptrIlEEjNS1_19radix_merge_compareILb0ELb1EhNS0_19identity_decomposerEEEEE10hipError_tT0_T1_T2_jT3_P12ihipStream_tbPNSt15iterator_traitsISG_E10value_typeEPNSM_ISH_E10value_typeEPSI_NS1_7vsmem_tEENKUlT_SG_SH_SI_E_clIS7_S7_PlSB_EESF_SV_SG_SH_SI_EUlSV_E_NS1_11comp_targetILNS1_3genE5ELNS1_11target_archE942ELNS1_3gpuE9ELNS1_3repE0EEENS1_48merge_mergepath_partition_config_static_selectorELNS0_4arch9wavefront6targetE1EEEvSH_.num_named_barrier, 0
	.set _ZN7rocprim17ROCPRIM_400000_NS6detail17trampoline_kernelINS0_14default_configENS1_38merge_sort_block_merge_config_selectorIhlEEZZNS1_27merge_sort_block_merge_implIS3_PhN6thrust23THRUST_200600_302600_NS10device_ptrIlEEjNS1_19radix_merge_compareILb0ELb1EhNS0_19identity_decomposerEEEEE10hipError_tT0_T1_T2_jT3_P12ihipStream_tbPNSt15iterator_traitsISG_E10value_typeEPNSM_ISH_E10value_typeEPSI_NS1_7vsmem_tEENKUlT_SG_SH_SI_E_clIS7_S7_PlSB_EESF_SV_SG_SH_SI_EUlSV_E_NS1_11comp_targetILNS1_3genE5ELNS1_11target_archE942ELNS1_3gpuE9ELNS1_3repE0EEENS1_48merge_mergepath_partition_config_static_selectorELNS0_4arch9wavefront6targetE1EEEvSH_.private_seg_size, 0
	.set _ZN7rocprim17ROCPRIM_400000_NS6detail17trampoline_kernelINS0_14default_configENS1_38merge_sort_block_merge_config_selectorIhlEEZZNS1_27merge_sort_block_merge_implIS3_PhN6thrust23THRUST_200600_302600_NS10device_ptrIlEEjNS1_19radix_merge_compareILb0ELb1EhNS0_19identity_decomposerEEEEE10hipError_tT0_T1_T2_jT3_P12ihipStream_tbPNSt15iterator_traitsISG_E10value_typeEPNSM_ISH_E10value_typeEPSI_NS1_7vsmem_tEENKUlT_SG_SH_SI_E_clIS7_S7_PlSB_EESF_SV_SG_SH_SI_EUlSV_E_NS1_11comp_targetILNS1_3genE5ELNS1_11target_archE942ELNS1_3gpuE9ELNS1_3repE0EEENS1_48merge_mergepath_partition_config_static_selectorELNS0_4arch9wavefront6targetE1EEEvSH_.uses_vcc, 0
	.set _ZN7rocprim17ROCPRIM_400000_NS6detail17trampoline_kernelINS0_14default_configENS1_38merge_sort_block_merge_config_selectorIhlEEZZNS1_27merge_sort_block_merge_implIS3_PhN6thrust23THRUST_200600_302600_NS10device_ptrIlEEjNS1_19radix_merge_compareILb0ELb1EhNS0_19identity_decomposerEEEEE10hipError_tT0_T1_T2_jT3_P12ihipStream_tbPNSt15iterator_traitsISG_E10value_typeEPNSM_ISH_E10value_typeEPSI_NS1_7vsmem_tEENKUlT_SG_SH_SI_E_clIS7_S7_PlSB_EESF_SV_SG_SH_SI_EUlSV_E_NS1_11comp_targetILNS1_3genE5ELNS1_11target_archE942ELNS1_3gpuE9ELNS1_3repE0EEENS1_48merge_mergepath_partition_config_static_selectorELNS0_4arch9wavefront6targetE1EEEvSH_.uses_flat_scratch, 0
	.set _ZN7rocprim17ROCPRIM_400000_NS6detail17trampoline_kernelINS0_14default_configENS1_38merge_sort_block_merge_config_selectorIhlEEZZNS1_27merge_sort_block_merge_implIS3_PhN6thrust23THRUST_200600_302600_NS10device_ptrIlEEjNS1_19radix_merge_compareILb0ELb1EhNS0_19identity_decomposerEEEEE10hipError_tT0_T1_T2_jT3_P12ihipStream_tbPNSt15iterator_traitsISG_E10value_typeEPNSM_ISH_E10value_typeEPSI_NS1_7vsmem_tEENKUlT_SG_SH_SI_E_clIS7_S7_PlSB_EESF_SV_SG_SH_SI_EUlSV_E_NS1_11comp_targetILNS1_3genE5ELNS1_11target_archE942ELNS1_3gpuE9ELNS1_3repE0EEENS1_48merge_mergepath_partition_config_static_selectorELNS0_4arch9wavefront6targetE1EEEvSH_.has_dyn_sized_stack, 0
	.set _ZN7rocprim17ROCPRIM_400000_NS6detail17trampoline_kernelINS0_14default_configENS1_38merge_sort_block_merge_config_selectorIhlEEZZNS1_27merge_sort_block_merge_implIS3_PhN6thrust23THRUST_200600_302600_NS10device_ptrIlEEjNS1_19radix_merge_compareILb0ELb1EhNS0_19identity_decomposerEEEEE10hipError_tT0_T1_T2_jT3_P12ihipStream_tbPNSt15iterator_traitsISG_E10value_typeEPNSM_ISH_E10value_typeEPSI_NS1_7vsmem_tEENKUlT_SG_SH_SI_E_clIS7_S7_PlSB_EESF_SV_SG_SH_SI_EUlSV_E_NS1_11comp_targetILNS1_3genE5ELNS1_11target_archE942ELNS1_3gpuE9ELNS1_3repE0EEENS1_48merge_mergepath_partition_config_static_selectorELNS0_4arch9wavefront6targetE1EEEvSH_.has_recursion, 0
	.set _ZN7rocprim17ROCPRIM_400000_NS6detail17trampoline_kernelINS0_14default_configENS1_38merge_sort_block_merge_config_selectorIhlEEZZNS1_27merge_sort_block_merge_implIS3_PhN6thrust23THRUST_200600_302600_NS10device_ptrIlEEjNS1_19radix_merge_compareILb0ELb1EhNS0_19identity_decomposerEEEEE10hipError_tT0_T1_T2_jT3_P12ihipStream_tbPNSt15iterator_traitsISG_E10value_typeEPNSM_ISH_E10value_typeEPSI_NS1_7vsmem_tEENKUlT_SG_SH_SI_E_clIS7_S7_PlSB_EESF_SV_SG_SH_SI_EUlSV_E_NS1_11comp_targetILNS1_3genE5ELNS1_11target_archE942ELNS1_3gpuE9ELNS1_3repE0EEENS1_48merge_mergepath_partition_config_static_selectorELNS0_4arch9wavefront6targetE1EEEvSH_.has_indirect_call, 0
	.section	.AMDGPU.csdata,"",@progbits
; Kernel info:
; codeLenInByte = 0
; TotalNumSgprs: 4
; NumVgprs: 0
; ScratchSize: 0
; MemoryBound: 0
; FloatMode: 240
; IeeeMode: 1
; LDSByteSize: 0 bytes/workgroup (compile time only)
; SGPRBlocks: 0
; VGPRBlocks: 0
; NumSGPRsForWavesPerEU: 4
; NumVGPRsForWavesPerEU: 1
; Occupancy: 10
; WaveLimiterHint : 0
; COMPUTE_PGM_RSRC2:SCRATCH_EN: 0
; COMPUTE_PGM_RSRC2:USER_SGPR: 6
; COMPUTE_PGM_RSRC2:TRAP_HANDLER: 0
; COMPUTE_PGM_RSRC2:TGID_X_EN: 1
; COMPUTE_PGM_RSRC2:TGID_Y_EN: 0
; COMPUTE_PGM_RSRC2:TGID_Z_EN: 0
; COMPUTE_PGM_RSRC2:TIDIG_COMP_CNT: 0
	.section	.text._ZN7rocprim17ROCPRIM_400000_NS6detail17trampoline_kernelINS0_14default_configENS1_38merge_sort_block_merge_config_selectorIhlEEZZNS1_27merge_sort_block_merge_implIS3_PhN6thrust23THRUST_200600_302600_NS10device_ptrIlEEjNS1_19radix_merge_compareILb0ELb1EhNS0_19identity_decomposerEEEEE10hipError_tT0_T1_T2_jT3_P12ihipStream_tbPNSt15iterator_traitsISG_E10value_typeEPNSM_ISH_E10value_typeEPSI_NS1_7vsmem_tEENKUlT_SG_SH_SI_E_clIS7_S7_PlSB_EESF_SV_SG_SH_SI_EUlSV_E_NS1_11comp_targetILNS1_3genE4ELNS1_11target_archE910ELNS1_3gpuE8ELNS1_3repE0EEENS1_48merge_mergepath_partition_config_static_selectorELNS0_4arch9wavefront6targetE1EEEvSH_,"axG",@progbits,_ZN7rocprim17ROCPRIM_400000_NS6detail17trampoline_kernelINS0_14default_configENS1_38merge_sort_block_merge_config_selectorIhlEEZZNS1_27merge_sort_block_merge_implIS3_PhN6thrust23THRUST_200600_302600_NS10device_ptrIlEEjNS1_19radix_merge_compareILb0ELb1EhNS0_19identity_decomposerEEEEE10hipError_tT0_T1_T2_jT3_P12ihipStream_tbPNSt15iterator_traitsISG_E10value_typeEPNSM_ISH_E10value_typeEPSI_NS1_7vsmem_tEENKUlT_SG_SH_SI_E_clIS7_S7_PlSB_EESF_SV_SG_SH_SI_EUlSV_E_NS1_11comp_targetILNS1_3genE4ELNS1_11target_archE910ELNS1_3gpuE8ELNS1_3repE0EEENS1_48merge_mergepath_partition_config_static_selectorELNS0_4arch9wavefront6targetE1EEEvSH_,comdat
	.protected	_ZN7rocprim17ROCPRIM_400000_NS6detail17trampoline_kernelINS0_14default_configENS1_38merge_sort_block_merge_config_selectorIhlEEZZNS1_27merge_sort_block_merge_implIS3_PhN6thrust23THRUST_200600_302600_NS10device_ptrIlEEjNS1_19radix_merge_compareILb0ELb1EhNS0_19identity_decomposerEEEEE10hipError_tT0_T1_T2_jT3_P12ihipStream_tbPNSt15iterator_traitsISG_E10value_typeEPNSM_ISH_E10value_typeEPSI_NS1_7vsmem_tEENKUlT_SG_SH_SI_E_clIS7_S7_PlSB_EESF_SV_SG_SH_SI_EUlSV_E_NS1_11comp_targetILNS1_3genE4ELNS1_11target_archE910ELNS1_3gpuE8ELNS1_3repE0EEENS1_48merge_mergepath_partition_config_static_selectorELNS0_4arch9wavefront6targetE1EEEvSH_ ; -- Begin function _ZN7rocprim17ROCPRIM_400000_NS6detail17trampoline_kernelINS0_14default_configENS1_38merge_sort_block_merge_config_selectorIhlEEZZNS1_27merge_sort_block_merge_implIS3_PhN6thrust23THRUST_200600_302600_NS10device_ptrIlEEjNS1_19radix_merge_compareILb0ELb1EhNS0_19identity_decomposerEEEEE10hipError_tT0_T1_T2_jT3_P12ihipStream_tbPNSt15iterator_traitsISG_E10value_typeEPNSM_ISH_E10value_typeEPSI_NS1_7vsmem_tEENKUlT_SG_SH_SI_E_clIS7_S7_PlSB_EESF_SV_SG_SH_SI_EUlSV_E_NS1_11comp_targetILNS1_3genE4ELNS1_11target_archE910ELNS1_3gpuE8ELNS1_3repE0EEENS1_48merge_mergepath_partition_config_static_selectorELNS0_4arch9wavefront6targetE1EEEvSH_
	.globl	_ZN7rocprim17ROCPRIM_400000_NS6detail17trampoline_kernelINS0_14default_configENS1_38merge_sort_block_merge_config_selectorIhlEEZZNS1_27merge_sort_block_merge_implIS3_PhN6thrust23THRUST_200600_302600_NS10device_ptrIlEEjNS1_19radix_merge_compareILb0ELb1EhNS0_19identity_decomposerEEEEE10hipError_tT0_T1_T2_jT3_P12ihipStream_tbPNSt15iterator_traitsISG_E10value_typeEPNSM_ISH_E10value_typeEPSI_NS1_7vsmem_tEENKUlT_SG_SH_SI_E_clIS7_S7_PlSB_EESF_SV_SG_SH_SI_EUlSV_E_NS1_11comp_targetILNS1_3genE4ELNS1_11target_archE910ELNS1_3gpuE8ELNS1_3repE0EEENS1_48merge_mergepath_partition_config_static_selectorELNS0_4arch9wavefront6targetE1EEEvSH_
	.p2align	8
	.type	_ZN7rocprim17ROCPRIM_400000_NS6detail17trampoline_kernelINS0_14default_configENS1_38merge_sort_block_merge_config_selectorIhlEEZZNS1_27merge_sort_block_merge_implIS3_PhN6thrust23THRUST_200600_302600_NS10device_ptrIlEEjNS1_19radix_merge_compareILb0ELb1EhNS0_19identity_decomposerEEEEE10hipError_tT0_T1_T2_jT3_P12ihipStream_tbPNSt15iterator_traitsISG_E10value_typeEPNSM_ISH_E10value_typeEPSI_NS1_7vsmem_tEENKUlT_SG_SH_SI_E_clIS7_S7_PlSB_EESF_SV_SG_SH_SI_EUlSV_E_NS1_11comp_targetILNS1_3genE4ELNS1_11target_archE910ELNS1_3gpuE8ELNS1_3repE0EEENS1_48merge_mergepath_partition_config_static_selectorELNS0_4arch9wavefront6targetE1EEEvSH_,@function
_ZN7rocprim17ROCPRIM_400000_NS6detail17trampoline_kernelINS0_14default_configENS1_38merge_sort_block_merge_config_selectorIhlEEZZNS1_27merge_sort_block_merge_implIS3_PhN6thrust23THRUST_200600_302600_NS10device_ptrIlEEjNS1_19radix_merge_compareILb0ELb1EhNS0_19identity_decomposerEEEEE10hipError_tT0_T1_T2_jT3_P12ihipStream_tbPNSt15iterator_traitsISG_E10value_typeEPNSM_ISH_E10value_typeEPSI_NS1_7vsmem_tEENKUlT_SG_SH_SI_E_clIS7_S7_PlSB_EESF_SV_SG_SH_SI_EUlSV_E_NS1_11comp_targetILNS1_3genE4ELNS1_11target_archE910ELNS1_3gpuE8ELNS1_3repE0EEENS1_48merge_mergepath_partition_config_static_selectorELNS0_4arch9wavefront6targetE1EEEvSH_: ; @_ZN7rocprim17ROCPRIM_400000_NS6detail17trampoline_kernelINS0_14default_configENS1_38merge_sort_block_merge_config_selectorIhlEEZZNS1_27merge_sort_block_merge_implIS3_PhN6thrust23THRUST_200600_302600_NS10device_ptrIlEEjNS1_19radix_merge_compareILb0ELb1EhNS0_19identity_decomposerEEEEE10hipError_tT0_T1_T2_jT3_P12ihipStream_tbPNSt15iterator_traitsISG_E10value_typeEPNSM_ISH_E10value_typeEPSI_NS1_7vsmem_tEENKUlT_SG_SH_SI_E_clIS7_S7_PlSB_EESF_SV_SG_SH_SI_EUlSV_E_NS1_11comp_targetILNS1_3genE4ELNS1_11target_archE910ELNS1_3gpuE8ELNS1_3repE0EEENS1_48merge_mergepath_partition_config_static_selectorELNS0_4arch9wavefront6targetE1EEEvSH_
; %bb.0:
	.section	.rodata,"a",@progbits
	.p2align	6, 0x0
	.amdhsa_kernel _ZN7rocprim17ROCPRIM_400000_NS6detail17trampoline_kernelINS0_14default_configENS1_38merge_sort_block_merge_config_selectorIhlEEZZNS1_27merge_sort_block_merge_implIS3_PhN6thrust23THRUST_200600_302600_NS10device_ptrIlEEjNS1_19radix_merge_compareILb0ELb1EhNS0_19identity_decomposerEEEEE10hipError_tT0_T1_T2_jT3_P12ihipStream_tbPNSt15iterator_traitsISG_E10value_typeEPNSM_ISH_E10value_typeEPSI_NS1_7vsmem_tEENKUlT_SG_SH_SI_E_clIS7_S7_PlSB_EESF_SV_SG_SH_SI_EUlSV_E_NS1_11comp_targetILNS1_3genE4ELNS1_11target_archE910ELNS1_3gpuE8ELNS1_3repE0EEENS1_48merge_mergepath_partition_config_static_selectorELNS0_4arch9wavefront6targetE1EEEvSH_
		.amdhsa_group_segment_fixed_size 0
		.amdhsa_private_segment_fixed_size 0
		.amdhsa_kernarg_size 40
		.amdhsa_user_sgpr_count 6
		.amdhsa_user_sgpr_private_segment_buffer 1
		.amdhsa_user_sgpr_dispatch_ptr 0
		.amdhsa_user_sgpr_queue_ptr 0
		.amdhsa_user_sgpr_kernarg_segment_ptr 1
		.amdhsa_user_sgpr_dispatch_id 0
		.amdhsa_user_sgpr_flat_scratch_init 0
		.amdhsa_user_sgpr_private_segment_size 0
		.amdhsa_uses_dynamic_stack 0
		.amdhsa_system_sgpr_private_segment_wavefront_offset 0
		.amdhsa_system_sgpr_workgroup_id_x 1
		.amdhsa_system_sgpr_workgroup_id_y 0
		.amdhsa_system_sgpr_workgroup_id_z 0
		.amdhsa_system_sgpr_workgroup_info 0
		.amdhsa_system_vgpr_workitem_id 0
		.amdhsa_next_free_vgpr 1
		.amdhsa_next_free_sgpr 0
		.amdhsa_reserve_vcc 0
		.amdhsa_reserve_flat_scratch 0
		.amdhsa_float_round_mode_32 0
		.amdhsa_float_round_mode_16_64 0
		.amdhsa_float_denorm_mode_32 3
		.amdhsa_float_denorm_mode_16_64 3
		.amdhsa_dx10_clamp 1
		.amdhsa_ieee_mode 1
		.amdhsa_fp16_overflow 0
		.amdhsa_exception_fp_ieee_invalid_op 0
		.amdhsa_exception_fp_denorm_src 0
		.amdhsa_exception_fp_ieee_div_zero 0
		.amdhsa_exception_fp_ieee_overflow 0
		.amdhsa_exception_fp_ieee_underflow 0
		.amdhsa_exception_fp_ieee_inexact 0
		.amdhsa_exception_int_div_zero 0
	.end_amdhsa_kernel
	.section	.text._ZN7rocprim17ROCPRIM_400000_NS6detail17trampoline_kernelINS0_14default_configENS1_38merge_sort_block_merge_config_selectorIhlEEZZNS1_27merge_sort_block_merge_implIS3_PhN6thrust23THRUST_200600_302600_NS10device_ptrIlEEjNS1_19radix_merge_compareILb0ELb1EhNS0_19identity_decomposerEEEEE10hipError_tT0_T1_T2_jT3_P12ihipStream_tbPNSt15iterator_traitsISG_E10value_typeEPNSM_ISH_E10value_typeEPSI_NS1_7vsmem_tEENKUlT_SG_SH_SI_E_clIS7_S7_PlSB_EESF_SV_SG_SH_SI_EUlSV_E_NS1_11comp_targetILNS1_3genE4ELNS1_11target_archE910ELNS1_3gpuE8ELNS1_3repE0EEENS1_48merge_mergepath_partition_config_static_selectorELNS0_4arch9wavefront6targetE1EEEvSH_,"axG",@progbits,_ZN7rocprim17ROCPRIM_400000_NS6detail17trampoline_kernelINS0_14default_configENS1_38merge_sort_block_merge_config_selectorIhlEEZZNS1_27merge_sort_block_merge_implIS3_PhN6thrust23THRUST_200600_302600_NS10device_ptrIlEEjNS1_19radix_merge_compareILb0ELb1EhNS0_19identity_decomposerEEEEE10hipError_tT0_T1_T2_jT3_P12ihipStream_tbPNSt15iterator_traitsISG_E10value_typeEPNSM_ISH_E10value_typeEPSI_NS1_7vsmem_tEENKUlT_SG_SH_SI_E_clIS7_S7_PlSB_EESF_SV_SG_SH_SI_EUlSV_E_NS1_11comp_targetILNS1_3genE4ELNS1_11target_archE910ELNS1_3gpuE8ELNS1_3repE0EEENS1_48merge_mergepath_partition_config_static_selectorELNS0_4arch9wavefront6targetE1EEEvSH_,comdat
.Lfunc_end192:
	.size	_ZN7rocprim17ROCPRIM_400000_NS6detail17trampoline_kernelINS0_14default_configENS1_38merge_sort_block_merge_config_selectorIhlEEZZNS1_27merge_sort_block_merge_implIS3_PhN6thrust23THRUST_200600_302600_NS10device_ptrIlEEjNS1_19radix_merge_compareILb0ELb1EhNS0_19identity_decomposerEEEEE10hipError_tT0_T1_T2_jT3_P12ihipStream_tbPNSt15iterator_traitsISG_E10value_typeEPNSM_ISH_E10value_typeEPSI_NS1_7vsmem_tEENKUlT_SG_SH_SI_E_clIS7_S7_PlSB_EESF_SV_SG_SH_SI_EUlSV_E_NS1_11comp_targetILNS1_3genE4ELNS1_11target_archE910ELNS1_3gpuE8ELNS1_3repE0EEENS1_48merge_mergepath_partition_config_static_selectorELNS0_4arch9wavefront6targetE1EEEvSH_, .Lfunc_end192-_ZN7rocprim17ROCPRIM_400000_NS6detail17trampoline_kernelINS0_14default_configENS1_38merge_sort_block_merge_config_selectorIhlEEZZNS1_27merge_sort_block_merge_implIS3_PhN6thrust23THRUST_200600_302600_NS10device_ptrIlEEjNS1_19radix_merge_compareILb0ELb1EhNS0_19identity_decomposerEEEEE10hipError_tT0_T1_T2_jT3_P12ihipStream_tbPNSt15iterator_traitsISG_E10value_typeEPNSM_ISH_E10value_typeEPSI_NS1_7vsmem_tEENKUlT_SG_SH_SI_E_clIS7_S7_PlSB_EESF_SV_SG_SH_SI_EUlSV_E_NS1_11comp_targetILNS1_3genE4ELNS1_11target_archE910ELNS1_3gpuE8ELNS1_3repE0EEENS1_48merge_mergepath_partition_config_static_selectorELNS0_4arch9wavefront6targetE1EEEvSH_
                                        ; -- End function
	.set _ZN7rocprim17ROCPRIM_400000_NS6detail17trampoline_kernelINS0_14default_configENS1_38merge_sort_block_merge_config_selectorIhlEEZZNS1_27merge_sort_block_merge_implIS3_PhN6thrust23THRUST_200600_302600_NS10device_ptrIlEEjNS1_19radix_merge_compareILb0ELb1EhNS0_19identity_decomposerEEEEE10hipError_tT0_T1_T2_jT3_P12ihipStream_tbPNSt15iterator_traitsISG_E10value_typeEPNSM_ISH_E10value_typeEPSI_NS1_7vsmem_tEENKUlT_SG_SH_SI_E_clIS7_S7_PlSB_EESF_SV_SG_SH_SI_EUlSV_E_NS1_11comp_targetILNS1_3genE4ELNS1_11target_archE910ELNS1_3gpuE8ELNS1_3repE0EEENS1_48merge_mergepath_partition_config_static_selectorELNS0_4arch9wavefront6targetE1EEEvSH_.num_vgpr, 0
	.set _ZN7rocprim17ROCPRIM_400000_NS6detail17trampoline_kernelINS0_14default_configENS1_38merge_sort_block_merge_config_selectorIhlEEZZNS1_27merge_sort_block_merge_implIS3_PhN6thrust23THRUST_200600_302600_NS10device_ptrIlEEjNS1_19radix_merge_compareILb0ELb1EhNS0_19identity_decomposerEEEEE10hipError_tT0_T1_T2_jT3_P12ihipStream_tbPNSt15iterator_traitsISG_E10value_typeEPNSM_ISH_E10value_typeEPSI_NS1_7vsmem_tEENKUlT_SG_SH_SI_E_clIS7_S7_PlSB_EESF_SV_SG_SH_SI_EUlSV_E_NS1_11comp_targetILNS1_3genE4ELNS1_11target_archE910ELNS1_3gpuE8ELNS1_3repE0EEENS1_48merge_mergepath_partition_config_static_selectorELNS0_4arch9wavefront6targetE1EEEvSH_.num_agpr, 0
	.set _ZN7rocprim17ROCPRIM_400000_NS6detail17trampoline_kernelINS0_14default_configENS1_38merge_sort_block_merge_config_selectorIhlEEZZNS1_27merge_sort_block_merge_implIS3_PhN6thrust23THRUST_200600_302600_NS10device_ptrIlEEjNS1_19radix_merge_compareILb0ELb1EhNS0_19identity_decomposerEEEEE10hipError_tT0_T1_T2_jT3_P12ihipStream_tbPNSt15iterator_traitsISG_E10value_typeEPNSM_ISH_E10value_typeEPSI_NS1_7vsmem_tEENKUlT_SG_SH_SI_E_clIS7_S7_PlSB_EESF_SV_SG_SH_SI_EUlSV_E_NS1_11comp_targetILNS1_3genE4ELNS1_11target_archE910ELNS1_3gpuE8ELNS1_3repE0EEENS1_48merge_mergepath_partition_config_static_selectorELNS0_4arch9wavefront6targetE1EEEvSH_.numbered_sgpr, 0
	.set _ZN7rocprim17ROCPRIM_400000_NS6detail17trampoline_kernelINS0_14default_configENS1_38merge_sort_block_merge_config_selectorIhlEEZZNS1_27merge_sort_block_merge_implIS3_PhN6thrust23THRUST_200600_302600_NS10device_ptrIlEEjNS1_19radix_merge_compareILb0ELb1EhNS0_19identity_decomposerEEEEE10hipError_tT0_T1_T2_jT3_P12ihipStream_tbPNSt15iterator_traitsISG_E10value_typeEPNSM_ISH_E10value_typeEPSI_NS1_7vsmem_tEENKUlT_SG_SH_SI_E_clIS7_S7_PlSB_EESF_SV_SG_SH_SI_EUlSV_E_NS1_11comp_targetILNS1_3genE4ELNS1_11target_archE910ELNS1_3gpuE8ELNS1_3repE0EEENS1_48merge_mergepath_partition_config_static_selectorELNS0_4arch9wavefront6targetE1EEEvSH_.num_named_barrier, 0
	.set _ZN7rocprim17ROCPRIM_400000_NS6detail17trampoline_kernelINS0_14default_configENS1_38merge_sort_block_merge_config_selectorIhlEEZZNS1_27merge_sort_block_merge_implIS3_PhN6thrust23THRUST_200600_302600_NS10device_ptrIlEEjNS1_19radix_merge_compareILb0ELb1EhNS0_19identity_decomposerEEEEE10hipError_tT0_T1_T2_jT3_P12ihipStream_tbPNSt15iterator_traitsISG_E10value_typeEPNSM_ISH_E10value_typeEPSI_NS1_7vsmem_tEENKUlT_SG_SH_SI_E_clIS7_S7_PlSB_EESF_SV_SG_SH_SI_EUlSV_E_NS1_11comp_targetILNS1_3genE4ELNS1_11target_archE910ELNS1_3gpuE8ELNS1_3repE0EEENS1_48merge_mergepath_partition_config_static_selectorELNS0_4arch9wavefront6targetE1EEEvSH_.private_seg_size, 0
	.set _ZN7rocprim17ROCPRIM_400000_NS6detail17trampoline_kernelINS0_14default_configENS1_38merge_sort_block_merge_config_selectorIhlEEZZNS1_27merge_sort_block_merge_implIS3_PhN6thrust23THRUST_200600_302600_NS10device_ptrIlEEjNS1_19radix_merge_compareILb0ELb1EhNS0_19identity_decomposerEEEEE10hipError_tT0_T1_T2_jT3_P12ihipStream_tbPNSt15iterator_traitsISG_E10value_typeEPNSM_ISH_E10value_typeEPSI_NS1_7vsmem_tEENKUlT_SG_SH_SI_E_clIS7_S7_PlSB_EESF_SV_SG_SH_SI_EUlSV_E_NS1_11comp_targetILNS1_3genE4ELNS1_11target_archE910ELNS1_3gpuE8ELNS1_3repE0EEENS1_48merge_mergepath_partition_config_static_selectorELNS0_4arch9wavefront6targetE1EEEvSH_.uses_vcc, 0
	.set _ZN7rocprim17ROCPRIM_400000_NS6detail17trampoline_kernelINS0_14default_configENS1_38merge_sort_block_merge_config_selectorIhlEEZZNS1_27merge_sort_block_merge_implIS3_PhN6thrust23THRUST_200600_302600_NS10device_ptrIlEEjNS1_19radix_merge_compareILb0ELb1EhNS0_19identity_decomposerEEEEE10hipError_tT0_T1_T2_jT3_P12ihipStream_tbPNSt15iterator_traitsISG_E10value_typeEPNSM_ISH_E10value_typeEPSI_NS1_7vsmem_tEENKUlT_SG_SH_SI_E_clIS7_S7_PlSB_EESF_SV_SG_SH_SI_EUlSV_E_NS1_11comp_targetILNS1_3genE4ELNS1_11target_archE910ELNS1_3gpuE8ELNS1_3repE0EEENS1_48merge_mergepath_partition_config_static_selectorELNS0_4arch9wavefront6targetE1EEEvSH_.uses_flat_scratch, 0
	.set _ZN7rocprim17ROCPRIM_400000_NS6detail17trampoline_kernelINS0_14default_configENS1_38merge_sort_block_merge_config_selectorIhlEEZZNS1_27merge_sort_block_merge_implIS3_PhN6thrust23THRUST_200600_302600_NS10device_ptrIlEEjNS1_19radix_merge_compareILb0ELb1EhNS0_19identity_decomposerEEEEE10hipError_tT0_T1_T2_jT3_P12ihipStream_tbPNSt15iterator_traitsISG_E10value_typeEPNSM_ISH_E10value_typeEPSI_NS1_7vsmem_tEENKUlT_SG_SH_SI_E_clIS7_S7_PlSB_EESF_SV_SG_SH_SI_EUlSV_E_NS1_11comp_targetILNS1_3genE4ELNS1_11target_archE910ELNS1_3gpuE8ELNS1_3repE0EEENS1_48merge_mergepath_partition_config_static_selectorELNS0_4arch9wavefront6targetE1EEEvSH_.has_dyn_sized_stack, 0
	.set _ZN7rocprim17ROCPRIM_400000_NS6detail17trampoline_kernelINS0_14default_configENS1_38merge_sort_block_merge_config_selectorIhlEEZZNS1_27merge_sort_block_merge_implIS3_PhN6thrust23THRUST_200600_302600_NS10device_ptrIlEEjNS1_19radix_merge_compareILb0ELb1EhNS0_19identity_decomposerEEEEE10hipError_tT0_T1_T2_jT3_P12ihipStream_tbPNSt15iterator_traitsISG_E10value_typeEPNSM_ISH_E10value_typeEPSI_NS1_7vsmem_tEENKUlT_SG_SH_SI_E_clIS7_S7_PlSB_EESF_SV_SG_SH_SI_EUlSV_E_NS1_11comp_targetILNS1_3genE4ELNS1_11target_archE910ELNS1_3gpuE8ELNS1_3repE0EEENS1_48merge_mergepath_partition_config_static_selectorELNS0_4arch9wavefront6targetE1EEEvSH_.has_recursion, 0
	.set _ZN7rocprim17ROCPRIM_400000_NS6detail17trampoline_kernelINS0_14default_configENS1_38merge_sort_block_merge_config_selectorIhlEEZZNS1_27merge_sort_block_merge_implIS3_PhN6thrust23THRUST_200600_302600_NS10device_ptrIlEEjNS1_19radix_merge_compareILb0ELb1EhNS0_19identity_decomposerEEEEE10hipError_tT0_T1_T2_jT3_P12ihipStream_tbPNSt15iterator_traitsISG_E10value_typeEPNSM_ISH_E10value_typeEPSI_NS1_7vsmem_tEENKUlT_SG_SH_SI_E_clIS7_S7_PlSB_EESF_SV_SG_SH_SI_EUlSV_E_NS1_11comp_targetILNS1_3genE4ELNS1_11target_archE910ELNS1_3gpuE8ELNS1_3repE0EEENS1_48merge_mergepath_partition_config_static_selectorELNS0_4arch9wavefront6targetE1EEEvSH_.has_indirect_call, 0
	.section	.AMDGPU.csdata,"",@progbits
; Kernel info:
; codeLenInByte = 0
; TotalNumSgprs: 4
; NumVgprs: 0
; ScratchSize: 0
; MemoryBound: 0
; FloatMode: 240
; IeeeMode: 1
; LDSByteSize: 0 bytes/workgroup (compile time only)
; SGPRBlocks: 0
; VGPRBlocks: 0
; NumSGPRsForWavesPerEU: 4
; NumVGPRsForWavesPerEU: 1
; Occupancy: 10
; WaveLimiterHint : 0
; COMPUTE_PGM_RSRC2:SCRATCH_EN: 0
; COMPUTE_PGM_RSRC2:USER_SGPR: 6
; COMPUTE_PGM_RSRC2:TRAP_HANDLER: 0
; COMPUTE_PGM_RSRC2:TGID_X_EN: 1
; COMPUTE_PGM_RSRC2:TGID_Y_EN: 0
; COMPUTE_PGM_RSRC2:TGID_Z_EN: 0
; COMPUTE_PGM_RSRC2:TIDIG_COMP_CNT: 0
	.section	.text._ZN7rocprim17ROCPRIM_400000_NS6detail17trampoline_kernelINS0_14default_configENS1_38merge_sort_block_merge_config_selectorIhlEEZZNS1_27merge_sort_block_merge_implIS3_PhN6thrust23THRUST_200600_302600_NS10device_ptrIlEEjNS1_19radix_merge_compareILb0ELb1EhNS0_19identity_decomposerEEEEE10hipError_tT0_T1_T2_jT3_P12ihipStream_tbPNSt15iterator_traitsISG_E10value_typeEPNSM_ISH_E10value_typeEPSI_NS1_7vsmem_tEENKUlT_SG_SH_SI_E_clIS7_S7_PlSB_EESF_SV_SG_SH_SI_EUlSV_E_NS1_11comp_targetILNS1_3genE3ELNS1_11target_archE908ELNS1_3gpuE7ELNS1_3repE0EEENS1_48merge_mergepath_partition_config_static_selectorELNS0_4arch9wavefront6targetE1EEEvSH_,"axG",@progbits,_ZN7rocprim17ROCPRIM_400000_NS6detail17trampoline_kernelINS0_14default_configENS1_38merge_sort_block_merge_config_selectorIhlEEZZNS1_27merge_sort_block_merge_implIS3_PhN6thrust23THRUST_200600_302600_NS10device_ptrIlEEjNS1_19radix_merge_compareILb0ELb1EhNS0_19identity_decomposerEEEEE10hipError_tT0_T1_T2_jT3_P12ihipStream_tbPNSt15iterator_traitsISG_E10value_typeEPNSM_ISH_E10value_typeEPSI_NS1_7vsmem_tEENKUlT_SG_SH_SI_E_clIS7_S7_PlSB_EESF_SV_SG_SH_SI_EUlSV_E_NS1_11comp_targetILNS1_3genE3ELNS1_11target_archE908ELNS1_3gpuE7ELNS1_3repE0EEENS1_48merge_mergepath_partition_config_static_selectorELNS0_4arch9wavefront6targetE1EEEvSH_,comdat
	.protected	_ZN7rocprim17ROCPRIM_400000_NS6detail17trampoline_kernelINS0_14default_configENS1_38merge_sort_block_merge_config_selectorIhlEEZZNS1_27merge_sort_block_merge_implIS3_PhN6thrust23THRUST_200600_302600_NS10device_ptrIlEEjNS1_19radix_merge_compareILb0ELb1EhNS0_19identity_decomposerEEEEE10hipError_tT0_T1_T2_jT3_P12ihipStream_tbPNSt15iterator_traitsISG_E10value_typeEPNSM_ISH_E10value_typeEPSI_NS1_7vsmem_tEENKUlT_SG_SH_SI_E_clIS7_S7_PlSB_EESF_SV_SG_SH_SI_EUlSV_E_NS1_11comp_targetILNS1_3genE3ELNS1_11target_archE908ELNS1_3gpuE7ELNS1_3repE0EEENS1_48merge_mergepath_partition_config_static_selectorELNS0_4arch9wavefront6targetE1EEEvSH_ ; -- Begin function _ZN7rocprim17ROCPRIM_400000_NS6detail17trampoline_kernelINS0_14default_configENS1_38merge_sort_block_merge_config_selectorIhlEEZZNS1_27merge_sort_block_merge_implIS3_PhN6thrust23THRUST_200600_302600_NS10device_ptrIlEEjNS1_19radix_merge_compareILb0ELb1EhNS0_19identity_decomposerEEEEE10hipError_tT0_T1_T2_jT3_P12ihipStream_tbPNSt15iterator_traitsISG_E10value_typeEPNSM_ISH_E10value_typeEPSI_NS1_7vsmem_tEENKUlT_SG_SH_SI_E_clIS7_S7_PlSB_EESF_SV_SG_SH_SI_EUlSV_E_NS1_11comp_targetILNS1_3genE3ELNS1_11target_archE908ELNS1_3gpuE7ELNS1_3repE0EEENS1_48merge_mergepath_partition_config_static_selectorELNS0_4arch9wavefront6targetE1EEEvSH_
	.globl	_ZN7rocprim17ROCPRIM_400000_NS6detail17trampoline_kernelINS0_14default_configENS1_38merge_sort_block_merge_config_selectorIhlEEZZNS1_27merge_sort_block_merge_implIS3_PhN6thrust23THRUST_200600_302600_NS10device_ptrIlEEjNS1_19radix_merge_compareILb0ELb1EhNS0_19identity_decomposerEEEEE10hipError_tT0_T1_T2_jT3_P12ihipStream_tbPNSt15iterator_traitsISG_E10value_typeEPNSM_ISH_E10value_typeEPSI_NS1_7vsmem_tEENKUlT_SG_SH_SI_E_clIS7_S7_PlSB_EESF_SV_SG_SH_SI_EUlSV_E_NS1_11comp_targetILNS1_3genE3ELNS1_11target_archE908ELNS1_3gpuE7ELNS1_3repE0EEENS1_48merge_mergepath_partition_config_static_selectorELNS0_4arch9wavefront6targetE1EEEvSH_
	.p2align	8
	.type	_ZN7rocprim17ROCPRIM_400000_NS6detail17trampoline_kernelINS0_14default_configENS1_38merge_sort_block_merge_config_selectorIhlEEZZNS1_27merge_sort_block_merge_implIS3_PhN6thrust23THRUST_200600_302600_NS10device_ptrIlEEjNS1_19radix_merge_compareILb0ELb1EhNS0_19identity_decomposerEEEEE10hipError_tT0_T1_T2_jT3_P12ihipStream_tbPNSt15iterator_traitsISG_E10value_typeEPNSM_ISH_E10value_typeEPSI_NS1_7vsmem_tEENKUlT_SG_SH_SI_E_clIS7_S7_PlSB_EESF_SV_SG_SH_SI_EUlSV_E_NS1_11comp_targetILNS1_3genE3ELNS1_11target_archE908ELNS1_3gpuE7ELNS1_3repE0EEENS1_48merge_mergepath_partition_config_static_selectorELNS0_4arch9wavefront6targetE1EEEvSH_,@function
_ZN7rocprim17ROCPRIM_400000_NS6detail17trampoline_kernelINS0_14default_configENS1_38merge_sort_block_merge_config_selectorIhlEEZZNS1_27merge_sort_block_merge_implIS3_PhN6thrust23THRUST_200600_302600_NS10device_ptrIlEEjNS1_19radix_merge_compareILb0ELb1EhNS0_19identity_decomposerEEEEE10hipError_tT0_T1_T2_jT3_P12ihipStream_tbPNSt15iterator_traitsISG_E10value_typeEPNSM_ISH_E10value_typeEPSI_NS1_7vsmem_tEENKUlT_SG_SH_SI_E_clIS7_S7_PlSB_EESF_SV_SG_SH_SI_EUlSV_E_NS1_11comp_targetILNS1_3genE3ELNS1_11target_archE908ELNS1_3gpuE7ELNS1_3repE0EEENS1_48merge_mergepath_partition_config_static_selectorELNS0_4arch9wavefront6targetE1EEEvSH_: ; @_ZN7rocprim17ROCPRIM_400000_NS6detail17trampoline_kernelINS0_14default_configENS1_38merge_sort_block_merge_config_selectorIhlEEZZNS1_27merge_sort_block_merge_implIS3_PhN6thrust23THRUST_200600_302600_NS10device_ptrIlEEjNS1_19radix_merge_compareILb0ELb1EhNS0_19identity_decomposerEEEEE10hipError_tT0_T1_T2_jT3_P12ihipStream_tbPNSt15iterator_traitsISG_E10value_typeEPNSM_ISH_E10value_typeEPSI_NS1_7vsmem_tEENKUlT_SG_SH_SI_E_clIS7_S7_PlSB_EESF_SV_SG_SH_SI_EUlSV_E_NS1_11comp_targetILNS1_3genE3ELNS1_11target_archE908ELNS1_3gpuE7ELNS1_3repE0EEENS1_48merge_mergepath_partition_config_static_selectorELNS0_4arch9wavefront6targetE1EEEvSH_
; %bb.0:
	.section	.rodata,"a",@progbits
	.p2align	6, 0x0
	.amdhsa_kernel _ZN7rocprim17ROCPRIM_400000_NS6detail17trampoline_kernelINS0_14default_configENS1_38merge_sort_block_merge_config_selectorIhlEEZZNS1_27merge_sort_block_merge_implIS3_PhN6thrust23THRUST_200600_302600_NS10device_ptrIlEEjNS1_19radix_merge_compareILb0ELb1EhNS0_19identity_decomposerEEEEE10hipError_tT0_T1_T2_jT3_P12ihipStream_tbPNSt15iterator_traitsISG_E10value_typeEPNSM_ISH_E10value_typeEPSI_NS1_7vsmem_tEENKUlT_SG_SH_SI_E_clIS7_S7_PlSB_EESF_SV_SG_SH_SI_EUlSV_E_NS1_11comp_targetILNS1_3genE3ELNS1_11target_archE908ELNS1_3gpuE7ELNS1_3repE0EEENS1_48merge_mergepath_partition_config_static_selectorELNS0_4arch9wavefront6targetE1EEEvSH_
		.amdhsa_group_segment_fixed_size 0
		.amdhsa_private_segment_fixed_size 0
		.amdhsa_kernarg_size 40
		.amdhsa_user_sgpr_count 6
		.amdhsa_user_sgpr_private_segment_buffer 1
		.amdhsa_user_sgpr_dispatch_ptr 0
		.amdhsa_user_sgpr_queue_ptr 0
		.amdhsa_user_sgpr_kernarg_segment_ptr 1
		.amdhsa_user_sgpr_dispatch_id 0
		.amdhsa_user_sgpr_flat_scratch_init 0
		.amdhsa_user_sgpr_private_segment_size 0
		.amdhsa_uses_dynamic_stack 0
		.amdhsa_system_sgpr_private_segment_wavefront_offset 0
		.amdhsa_system_sgpr_workgroup_id_x 1
		.amdhsa_system_sgpr_workgroup_id_y 0
		.amdhsa_system_sgpr_workgroup_id_z 0
		.amdhsa_system_sgpr_workgroup_info 0
		.amdhsa_system_vgpr_workitem_id 0
		.amdhsa_next_free_vgpr 1
		.amdhsa_next_free_sgpr 0
		.amdhsa_reserve_vcc 0
		.amdhsa_reserve_flat_scratch 0
		.amdhsa_float_round_mode_32 0
		.amdhsa_float_round_mode_16_64 0
		.amdhsa_float_denorm_mode_32 3
		.amdhsa_float_denorm_mode_16_64 3
		.amdhsa_dx10_clamp 1
		.amdhsa_ieee_mode 1
		.amdhsa_fp16_overflow 0
		.amdhsa_exception_fp_ieee_invalid_op 0
		.amdhsa_exception_fp_denorm_src 0
		.amdhsa_exception_fp_ieee_div_zero 0
		.amdhsa_exception_fp_ieee_overflow 0
		.amdhsa_exception_fp_ieee_underflow 0
		.amdhsa_exception_fp_ieee_inexact 0
		.amdhsa_exception_int_div_zero 0
	.end_amdhsa_kernel
	.section	.text._ZN7rocprim17ROCPRIM_400000_NS6detail17trampoline_kernelINS0_14default_configENS1_38merge_sort_block_merge_config_selectorIhlEEZZNS1_27merge_sort_block_merge_implIS3_PhN6thrust23THRUST_200600_302600_NS10device_ptrIlEEjNS1_19radix_merge_compareILb0ELb1EhNS0_19identity_decomposerEEEEE10hipError_tT0_T1_T2_jT3_P12ihipStream_tbPNSt15iterator_traitsISG_E10value_typeEPNSM_ISH_E10value_typeEPSI_NS1_7vsmem_tEENKUlT_SG_SH_SI_E_clIS7_S7_PlSB_EESF_SV_SG_SH_SI_EUlSV_E_NS1_11comp_targetILNS1_3genE3ELNS1_11target_archE908ELNS1_3gpuE7ELNS1_3repE0EEENS1_48merge_mergepath_partition_config_static_selectorELNS0_4arch9wavefront6targetE1EEEvSH_,"axG",@progbits,_ZN7rocprim17ROCPRIM_400000_NS6detail17trampoline_kernelINS0_14default_configENS1_38merge_sort_block_merge_config_selectorIhlEEZZNS1_27merge_sort_block_merge_implIS3_PhN6thrust23THRUST_200600_302600_NS10device_ptrIlEEjNS1_19radix_merge_compareILb0ELb1EhNS0_19identity_decomposerEEEEE10hipError_tT0_T1_T2_jT3_P12ihipStream_tbPNSt15iterator_traitsISG_E10value_typeEPNSM_ISH_E10value_typeEPSI_NS1_7vsmem_tEENKUlT_SG_SH_SI_E_clIS7_S7_PlSB_EESF_SV_SG_SH_SI_EUlSV_E_NS1_11comp_targetILNS1_3genE3ELNS1_11target_archE908ELNS1_3gpuE7ELNS1_3repE0EEENS1_48merge_mergepath_partition_config_static_selectorELNS0_4arch9wavefront6targetE1EEEvSH_,comdat
.Lfunc_end193:
	.size	_ZN7rocprim17ROCPRIM_400000_NS6detail17trampoline_kernelINS0_14default_configENS1_38merge_sort_block_merge_config_selectorIhlEEZZNS1_27merge_sort_block_merge_implIS3_PhN6thrust23THRUST_200600_302600_NS10device_ptrIlEEjNS1_19radix_merge_compareILb0ELb1EhNS0_19identity_decomposerEEEEE10hipError_tT0_T1_T2_jT3_P12ihipStream_tbPNSt15iterator_traitsISG_E10value_typeEPNSM_ISH_E10value_typeEPSI_NS1_7vsmem_tEENKUlT_SG_SH_SI_E_clIS7_S7_PlSB_EESF_SV_SG_SH_SI_EUlSV_E_NS1_11comp_targetILNS1_3genE3ELNS1_11target_archE908ELNS1_3gpuE7ELNS1_3repE0EEENS1_48merge_mergepath_partition_config_static_selectorELNS0_4arch9wavefront6targetE1EEEvSH_, .Lfunc_end193-_ZN7rocprim17ROCPRIM_400000_NS6detail17trampoline_kernelINS0_14default_configENS1_38merge_sort_block_merge_config_selectorIhlEEZZNS1_27merge_sort_block_merge_implIS3_PhN6thrust23THRUST_200600_302600_NS10device_ptrIlEEjNS1_19radix_merge_compareILb0ELb1EhNS0_19identity_decomposerEEEEE10hipError_tT0_T1_T2_jT3_P12ihipStream_tbPNSt15iterator_traitsISG_E10value_typeEPNSM_ISH_E10value_typeEPSI_NS1_7vsmem_tEENKUlT_SG_SH_SI_E_clIS7_S7_PlSB_EESF_SV_SG_SH_SI_EUlSV_E_NS1_11comp_targetILNS1_3genE3ELNS1_11target_archE908ELNS1_3gpuE7ELNS1_3repE0EEENS1_48merge_mergepath_partition_config_static_selectorELNS0_4arch9wavefront6targetE1EEEvSH_
                                        ; -- End function
	.set _ZN7rocprim17ROCPRIM_400000_NS6detail17trampoline_kernelINS0_14default_configENS1_38merge_sort_block_merge_config_selectorIhlEEZZNS1_27merge_sort_block_merge_implIS3_PhN6thrust23THRUST_200600_302600_NS10device_ptrIlEEjNS1_19radix_merge_compareILb0ELb1EhNS0_19identity_decomposerEEEEE10hipError_tT0_T1_T2_jT3_P12ihipStream_tbPNSt15iterator_traitsISG_E10value_typeEPNSM_ISH_E10value_typeEPSI_NS1_7vsmem_tEENKUlT_SG_SH_SI_E_clIS7_S7_PlSB_EESF_SV_SG_SH_SI_EUlSV_E_NS1_11comp_targetILNS1_3genE3ELNS1_11target_archE908ELNS1_3gpuE7ELNS1_3repE0EEENS1_48merge_mergepath_partition_config_static_selectorELNS0_4arch9wavefront6targetE1EEEvSH_.num_vgpr, 0
	.set _ZN7rocprim17ROCPRIM_400000_NS6detail17trampoline_kernelINS0_14default_configENS1_38merge_sort_block_merge_config_selectorIhlEEZZNS1_27merge_sort_block_merge_implIS3_PhN6thrust23THRUST_200600_302600_NS10device_ptrIlEEjNS1_19radix_merge_compareILb0ELb1EhNS0_19identity_decomposerEEEEE10hipError_tT0_T1_T2_jT3_P12ihipStream_tbPNSt15iterator_traitsISG_E10value_typeEPNSM_ISH_E10value_typeEPSI_NS1_7vsmem_tEENKUlT_SG_SH_SI_E_clIS7_S7_PlSB_EESF_SV_SG_SH_SI_EUlSV_E_NS1_11comp_targetILNS1_3genE3ELNS1_11target_archE908ELNS1_3gpuE7ELNS1_3repE0EEENS1_48merge_mergepath_partition_config_static_selectorELNS0_4arch9wavefront6targetE1EEEvSH_.num_agpr, 0
	.set _ZN7rocprim17ROCPRIM_400000_NS6detail17trampoline_kernelINS0_14default_configENS1_38merge_sort_block_merge_config_selectorIhlEEZZNS1_27merge_sort_block_merge_implIS3_PhN6thrust23THRUST_200600_302600_NS10device_ptrIlEEjNS1_19radix_merge_compareILb0ELb1EhNS0_19identity_decomposerEEEEE10hipError_tT0_T1_T2_jT3_P12ihipStream_tbPNSt15iterator_traitsISG_E10value_typeEPNSM_ISH_E10value_typeEPSI_NS1_7vsmem_tEENKUlT_SG_SH_SI_E_clIS7_S7_PlSB_EESF_SV_SG_SH_SI_EUlSV_E_NS1_11comp_targetILNS1_3genE3ELNS1_11target_archE908ELNS1_3gpuE7ELNS1_3repE0EEENS1_48merge_mergepath_partition_config_static_selectorELNS0_4arch9wavefront6targetE1EEEvSH_.numbered_sgpr, 0
	.set _ZN7rocprim17ROCPRIM_400000_NS6detail17trampoline_kernelINS0_14default_configENS1_38merge_sort_block_merge_config_selectorIhlEEZZNS1_27merge_sort_block_merge_implIS3_PhN6thrust23THRUST_200600_302600_NS10device_ptrIlEEjNS1_19radix_merge_compareILb0ELb1EhNS0_19identity_decomposerEEEEE10hipError_tT0_T1_T2_jT3_P12ihipStream_tbPNSt15iterator_traitsISG_E10value_typeEPNSM_ISH_E10value_typeEPSI_NS1_7vsmem_tEENKUlT_SG_SH_SI_E_clIS7_S7_PlSB_EESF_SV_SG_SH_SI_EUlSV_E_NS1_11comp_targetILNS1_3genE3ELNS1_11target_archE908ELNS1_3gpuE7ELNS1_3repE0EEENS1_48merge_mergepath_partition_config_static_selectorELNS0_4arch9wavefront6targetE1EEEvSH_.num_named_barrier, 0
	.set _ZN7rocprim17ROCPRIM_400000_NS6detail17trampoline_kernelINS0_14default_configENS1_38merge_sort_block_merge_config_selectorIhlEEZZNS1_27merge_sort_block_merge_implIS3_PhN6thrust23THRUST_200600_302600_NS10device_ptrIlEEjNS1_19radix_merge_compareILb0ELb1EhNS0_19identity_decomposerEEEEE10hipError_tT0_T1_T2_jT3_P12ihipStream_tbPNSt15iterator_traitsISG_E10value_typeEPNSM_ISH_E10value_typeEPSI_NS1_7vsmem_tEENKUlT_SG_SH_SI_E_clIS7_S7_PlSB_EESF_SV_SG_SH_SI_EUlSV_E_NS1_11comp_targetILNS1_3genE3ELNS1_11target_archE908ELNS1_3gpuE7ELNS1_3repE0EEENS1_48merge_mergepath_partition_config_static_selectorELNS0_4arch9wavefront6targetE1EEEvSH_.private_seg_size, 0
	.set _ZN7rocprim17ROCPRIM_400000_NS6detail17trampoline_kernelINS0_14default_configENS1_38merge_sort_block_merge_config_selectorIhlEEZZNS1_27merge_sort_block_merge_implIS3_PhN6thrust23THRUST_200600_302600_NS10device_ptrIlEEjNS1_19radix_merge_compareILb0ELb1EhNS0_19identity_decomposerEEEEE10hipError_tT0_T1_T2_jT3_P12ihipStream_tbPNSt15iterator_traitsISG_E10value_typeEPNSM_ISH_E10value_typeEPSI_NS1_7vsmem_tEENKUlT_SG_SH_SI_E_clIS7_S7_PlSB_EESF_SV_SG_SH_SI_EUlSV_E_NS1_11comp_targetILNS1_3genE3ELNS1_11target_archE908ELNS1_3gpuE7ELNS1_3repE0EEENS1_48merge_mergepath_partition_config_static_selectorELNS0_4arch9wavefront6targetE1EEEvSH_.uses_vcc, 0
	.set _ZN7rocprim17ROCPRIM_400000_NS6detail17trampoline_kernelINS0_14default_configENS1_38merge_sort_block_merge_config_selectorIhlEEZZNS1_27merge_sort_block_merge_implIS3_PhN6thrust23THRUST_200600_302600_NS10device_ptrIlEEjNS1_19radix_merge_compareILb0ELb1EhNS0_19identity_decomposerEEEEE10hipError_tT0_T1_T2_jT3_P12ihipStream_tbPNSt15iterator_traitsISG_E10value_typeEPNSM_ISH_E10value_typeEPSI_NS1_7vsmem_tEENKUlT_SG_SH_SI_E_clIS7_S7_PlSB_EESF_SV_SG_SH_SI_EUlSV_E_NS1_11comp_targetILNS1_3genE3ELNS1_11target_archE908ELNS1_3gpuE7ELNS1_3repE0EEENS1_48merge_mergepath_partition_config_static_selectorELNS0_4arch9wavefront6targetE1EEEvSH_.uses_flat_scratch, 0
	.set _ZN7rocprim17ROCPRIM_400000_NS6detail17trampoline_kernelINS0_14default_configENS1_38merge_sort_block_merge_config_selectorIhlEEZZNS1_27merge_sort_block_merge_implIS3_PhN6thrust23THRUST_200600_302600_NS10device_ptrIlEEjNS1_19radix_merge_compareILb0ELb1EhNS0_19identity_decomposerEEEEE10hipError_tT0_T1_T2_jT3_P12ihipStream_tbPNSt15iterator_traitsISG_E10value_typeEPNSM_ISH_E10value_typeEPSI_NS1_7vsmem_tEENKUlT_SG_SH_SI_E_clIS7_S7_PlSB_EESF_SV_SG_SH_SI_EUlSV_E_NS1_11comp_targetILNS1_3genE3ELNS1_11target_archE908ELNS1_3gpuE7ELNS1_3repE0EEENS1_48merge_mergepath_partition_config_static_selectorELNS0_4arch9wavefront6targetE1EEEvSH_.has_dyn_sized_stack, 0
	.set _ZN7rocprim17ROCPRIM_400000_NS6detail17trampoline_kernelINS0_14default_configENS1_38merge_sort_block_merge_config_selectorIhlEEZZNS1_27merge_sort_block_merge_implIS3_PhN6thrust23THRUST_200600_302600_NS10device_ptrIlEEjNS1_19radix_merge_compareILb0ELb1EhNS0_19identity_decomposerEEEEE10hipError_tT0_T1_T2_jT3_P12ihipStream_tbPNSt15iterator_traitsISG_E10value_typeEPNSM_ISH_E10value_typeEPSI_NS1_7vsmem_tEENKUlT_SG_SH_SI_E_clIS7_S7_PlSB_EESF_SV_SG_SH_SI_EUlSV_E_NS1_11comp_targetILNS1_3genE3ELNS1_11target_archE908ELNS1_3gpuE7ELNS1_3repE0EEENS1_48merge_mergepath_partition_config_static_selectorELNS0_4arch9wavefront6targetE1EEEvSH_.has_recursion, 0
	.set _ZN7rocprim17ROCPRIM_400000_NS6detail17trampoline_kernelINS0_14default_configENS1_38merge_sort_block_merge_config_selectorIhlEEZZNS1_27merge_sort_block_merge_implIS3_PhN6thrust23THRUST_200600_302600_NS10device_ptrIlEEjNS1_19radix_merge_compareILb0ELb1EhNS0_19identity_decomposerEEEEE10hipError_tT0_T1_T2_jT3_P12ihipStream_tbPNSt15iterator_traitsISG_E10value_typeEPNSM_ISH_E10value_typeEPSI_NS1_7vsmem_tEENKUlT_SG_SH_SI_E_clIS7_S7_PlSB_EESF_SV_SG_SH_SI_EUlSV_E_NS1_11comp_targetILNS1_3genE3ELNS1_11target_archE908ELNS1_3gpuE7ELNS1_3repE0EEENS1_48merge_mergepath_partition_config_static_selectorELNS0_4arch9wavefront6targetE1EEEvSH_.has_indirect_call, 0
	.section	.AMDGPU.csdata,"",@progbits
; Kernel info:
; codeLenInByte = 0
; TotalNumSgprs: 4
; NumVgprs: 0
; ScratchSize: 0
; MemoryBound: 0
; FloatMode: 240
; IeeeMode: 1
; LDSByteSize: 0 bytes/workgroup (compile time only)
; SGPRBlocks: 0
; VGPRBlocks: 0
; NumSGPRsForWavesPerEU: 4
; NumVGPRsForWavesPerEU: 1
; Occupancy: 10
; WaveLimiterHint : 0
; COMPUTE_PGM_RSRC2:SCRATCH_EN: 0
; COMPUTE_PGM_RSRC2:USER_SGPR: 6
; COMPUTE_PGM_RSRC2:TRAP_HANDLER: 0
; COMPUTE_PGM_RSRC2:TGID_X_EN: 1
; COMPUTE_PGM_RSRC2:TGID_Y_EN: 0
; COMPUTE_PGM_RSRC2:TGID_Z_EN: 0
; COMPUTE_PGM_RSRC2:TIDIG_COMP_CNT: 0
	.section	.text._ZN7rocprim17ROCPRIM_400000_NS6detail17trampoline_kernelINS0_14default_configENS1_38merge_sort_block_merge_config_selectorIhlEEZZNS1_27merge_sort_block_merge_implIS3_PhN6thrust23THRUST_200600_302600_NS10device_ptrIlEEjNS1_19radix_merge_compareILb0ELb1EhNS0_19identity_decomposerEEEEE10hipError_tT0_T1_T2_jT3_P12ihipStream_tbPNSt15iterator_traitsISG_E10value_typeEPNSM_ISH_E10value_typeEPSI_NS1_7vsmem_tEENKUlT_SG_SH_SI_E_clIS7_S7_PlSB_EESF_SV_SG_SH_SI_EUlSV_E_NS1_11comp_targetILNS1_3genE2ELNS1_11target_archE906ELNS1_3gpuE6ELNS1_3repE0EEENS1_48merge_mergepath_partition_config_static_selectorELNS0_4arch9wavefront6targetE1EEEvSH_,"axG",@progbits,_ZN7rocprim17ROCPRIM_400000_NS6detail17trampoline_kernelINS0_14default_configENS1_38merge_sort_block_merge_config_selectorIhlEEZZNS1_27merge_sort_block_merge_implIS3_PhN6thrust23THRUST_200600_302600_NS10device_ptrIlEEjNS1_19radix_merge_compareILb0ELb1EhNS0_19identity_decomposerEEEEE10hipError_tT0_T1_T2_jT3_P12ihipStream_tbPNSt15iterator_traitsISG_E10value_typeEPNSM_ISH_E10value_typeEPSI_NS1_7vsmem_tEENKUlT_SG_SH_SI_E_clIS7_S7_PlSB_EESF_SV_SG_SH_SI_EUlSV_E_NS1_11comp_targetILNS1_3genE2ELNS1_11target_archE906ELNS1_3gpuE6ELNS1_3repE0EEENS1_48merge_mergepath_partition_config_static_selectorELNS0_4arch9wavefront6targetE1EEEvSH_,comdat
	.protected	_ZN7rocprim17ROCPRIM_400000_NS6detail17trampoline_kernelINS0_14default_configENS1_38merge_sort_block_merge_config_selectorIhlEEZZNS1_27merge_sort_block_merge_implIS3_PhN6thrust23THRUST_200600_302600_NS10device_ptrIlEEjNS1_19radix_merge_compareILb0ELb1EhNS0_19identity_decomposerEEEEE10hipError_tT0_T1_T2_jT3_P12ihipStream_tbPNSt15iterator_traitsISG_E10value_typeEPNSM_ISH_E10value_typeEPSI_NS1_7vsmem_tEENKUlT_SG_SH_SI_E_clIS7_S7_PlSB_EESF_SV_SG_SH_SI_EUlSV_E_NS1_11comp_targetILNS1_3genE2ELNS1_11target_archE906ELNS1_3gpuE6ELNS1_3repE0EEENS1_48merge_mergepath_partition_config_static_selectorELNS0_4arch9wavefront6targetE1EEEvSH_ ; -- Begin function _ZN7rocprim17ROCPRIM_400000_NS6detail17trampoline_kernelINS0_14default_configENS1_38merge_sort_block_merge_config_selectorIhlEEZZNS1_27merge_sort_block_merge_implIS3_PhN6thrust23THRUST_200600_302600_NS10device_ptrIlEEjNS1_19radix_merge_compareILb0ELb1EhNS0_19identity_decomposerEEEEE10hipError_tT0_T1_T2_jT3_P12ihipStream_tbPNSt15iterator_traitsISG_E10value_typeEPNSM_ISH_E10value_typeEPSI_NS1_7vsmem_tEENKUlT_SG_SH_SI_E_clIS7_S7_PlSB_EESF_SV_SG_SH_SI_EUlSV_E_NS1_11comp_targetILNS1_3genE2ELNS1_11target_archE906ELNS1_3gpuE6ELNS1_3repE0EEENS1_48merge_mergepath_partition_config_static_selectorELNS0_4arch9wavefront6targetE1EEEvSH_
	.globl	_ZN7rocprim17ROCPRIM_400000_NS6detail17trampoline_kernelINS0_14default_configENS1_38merge_sort_block_merge_config_selectorIhlEEZZNS1_27merge_sort_block_merge_implIS3_PhN6thrust23THRUST_200600_302600_NS10device_ptrIlEEjNS1_19radix_merge_compareILb0ELb1EhNS0_19identity_decomposerEEEEE10hipError_tT0_T1_T2_jT3_P12ihipStream_tbPNSt15iterator_traitsISG_E10value_typeEPNSM_ISH_E10value_typeEPSI_NS1_7vsmem_tEENKUlT_SG_SH_SI_E_clIS7_S7_PlSB_EESF_SV_SG_SH_SI_EUlSV_E_NS1_11comp_targetILNS1_3genE2ELNS1_11target_archE906ELNS1_3gpuE6ELNS1_3repE0EEENS1_48merge_mergepath_partition_config_static_selectorELNS0_4arch9wavefront6targetE1EEEvSH_
	.p2align	8
	.type	_ZN7rocprim17ROCPRIM_400000_NS6detail17trampoline_kernelINS0_14default_configENS1_38merge_sort_block_merge_config_selectorIhlEEZZNS1_27merge_sort_block_merge_implIS3_PhN6thrust23THRUST_200600_302600_NS10device_ptrIlEEjNS1_19radix_merge_compareILb0ELb1EhNS0_19identity_decomposerEEEEE10hipError_tT0_T1_T2_jT3_P12ihipStream_tbPNSt15iterator_traitsISG_E10value_typeEPNSM_ISH_E10value_typeEPSI_NS1_7vsmem_tEENKUlT_SG_SH_SI_E_clIS7_S7_PlSB_EESF_SV_SG_SH_SI_EUlSV_E_NS1_11comp_targetILNS1_3genE2ELNS1_11target_archE906ELNS1_3gpuE6ELNS1_3repE0EEENS1_48merge_mergepath_partition_config_static_selectorELNS0_4arch9wavefront6targetE1EEEvSH_,@function
_ZN7rocprim17ROCPRIM_400000_NS6detail17trampoline_kernelINS0_14default_configENS1_38merge_sort_block_merge_config_selectorIhlEEZZNS1_27merge_sort_block_merge_implIS3_PhN6thrust23THRUST_200600_302600_NS10device_ptrIlEEjNS1_19radix_merge_compareILb0ELb1EhNS0_19identity_decomposerEEEEE10hipError_tT0_T1_T2_jT3_P12ihipStream_tbPNSt15iterator_traitsISG_E10value_typeEPNSM_ISH_E10value_typeEPSI_NS1_7vsmem_tEENKUlT_SG_SH_SI_E_clIS7_S7_PlSB_EESF_SV_SG_SH_SI_EUlSV_E_NS1_11comp_targetILNS1_3genE2ELNS1_11target_archE906ELNS1_3gpuE6ELNS1_3repE0EEENS1_48merge_mergepath_partition_config_static_selectorELNS0_4arch9wavefront6targetE1EEEvSH_: ; @_ZN7rocprim17ROCPRIM_400000_NS6detail17trampoline_kernelINS0_14default_configENS1_38merge_sort_block_merge_config_selectorIhlEEZZNS1_27merge_sort_block_merge_implIS3_PhN6thrust23THRUST_200600_302600_NS10device_ptrIlEEjNS1_19radix_merge_compareILb0ELb1EhNS0_19identity_decomposerEEEEE10hipError_tT0_T1_T2_jT3_P12ihipStream_tbPNSt15iterator_traitsISG_E10value_typeEPNSM_ISH_E10value_typeEPSI_NS1_7vsmem_tEENKUlT_SG_SH_SI_E_clIS7_S7_PlSB_EESF_SV_SG_SH_SI_EUlSV_E_NS1_11comp_targetILNS1_3genE2ELNS1_11target_archE906ELNS1_3gpuE6ELNS1_3repE0EEENS1_48merge_mergepath_partition_config_static_selectorELNS0_4arch9wavefront6targetE1EEEvSH_
; %bb.0:
	s_load_dword s0, s[4:5], 0x0
	v_lshl_or_b32 v0, s6, 7, v0
	s_waitcnt lgkmcnt(0)
	v_cmp_gt_u32_e32 vcc, s0, v0
	s_and_saveexec_b64 s[0:1], vcc
	s_cbranch_execz .LBB194_6
; %bb.1:
	s_load_dwordx2 s[2:3], s[4:5], 0x4
	s_load_dwordx2 s[0:1], s[4:5], 0x20
	s_waitcnt lgkmcnt(0)
	s_lshr_b32 s6, s2, 9
	s_and_b32 s6, s6, 0x7ffffe
	s_add_i32 s7, s6, -1
	s_sub_i32 s6, 0, s6
	v_and_b32_e32 v1, s6, v0
	v_lshlrev_b32_e32 v3, 10, v1
	v_min_u32_e32 v1, s3, v3
	v_add_u32_e32 v3, s2, v3
	v_min_u32_e32 v7, s3, v3
	v_add_u32_e32 v3, s2, v7
	v_and_b32_e32 v2, s7, v0
	v_min_u32_e32 v4, s3, v3
	v_sub_u32_e32 v3, v4, v1
	v_lshlrev_b32_e32 v2, 10, v2
	v_min_u32_e32 v3, v3, v2
	v_sub_u32_e32 v5, v7, v1
	v_sub_u32_e32 v2, v4, v7
	v_sub_u32_e64 v2, v3, v2 clamp
	v_min_u32_e32 v4, v3, v5
	v_cmp_lt_u32_e32 vcc, v2, v4
	s_and_saveexec_b64 s[2:3], vcc
	s_cbranch_execz .LBB194_5
; %bb.2:
	s_load_dwordx2 s[8:9], s[4:5], 0x10
	s_load_dword s6, s[4:5], 0x18
	s_mov_b64 s[4:5], 0
	s_waitcnt lgkmcnt(0)
	v_mov_b32_e32 v8, s9
	v_add_co_u32_e32 v5, vcc, s8, v1
	v_addc_co_u32_e32 v6, vcc, 0, v8, vcc
	v_add_co_u32_e32 v7, vcc, s8, v7
	v_addc_co_u32_e32 v8, vcc, 0, v8, vcc
.LBB194_3:                              ; =>This Inner Loop Header: Depth=1
	v_add_u32_e32 v9, v4, v2
	v_lshrrev_b32_e32 v13, 1, v9
	v_add_co_u32_e32 v9, vcc, v5, v13
	v_xad_u32 v11, v13, -1, v3
	v_addc_co_u32_e32 v10, vcc, 0, v6, vcc
	v_add_co_u32_e32 v11, vcc, v7, v11
	v_addc_co_u32_e32 v12, vcc, 0, v8, vcc
	global_load_ubyte v14, v[9:10], off
	global_load_ubyte v15, v[11:12], off
	v_add_u32_e32 v9, 1, v13
	s_waitcnt vmcnt(1)
	v_and_b32_e32 v10, s6, v14
	s_waitcnt vmcnt(0)
	v_and_b32_e32 v11, s6, v15
	v_cmp_gt_u16_sdwa vcc, v10, v11 src0_sel:BYTE_0 src1_sel:BYTE_0
	v_cndmask_b32_e32 v4, v4, v13, vcc
	v_cndmask_b32_e32 v2, v9, v2, vcc
	v_cmp_ge_u32_e32 vcc, v2, v4
	s_or_b64 s[4:5], vcc, s[4:5]
	s_andn2_b64 exec, exec, s[4:5]
	s_cbranch_execnz .LBB194_3
; %bb.4:
	s_or_b64 exec, exec, s[4:5]
.LBB194_5:
	s_or_b64 exec, exec, s[2:3]
	v_add_u32_e32 v2, v2, v1
	v_mov_b32_e32 v1, 0
	v_lshlrev_b64 v[0:1], 2, v[0:1]
	v_mov_b32_e32 v3, s1
	v_add_co_u32_e32 v0, vcc, s0, v0
	v_addc_co_u32_e32 v1, vcc, v3, v1, vcc
	global_store_dword v[0:1], v2, off
.LBB194_6:
	s_endpgm
	.section	.rodata,"a",@progbits
	.p2align	6, 0x0
	.amdhsa_kernel _ZN7rocprim17ROCPRIM_400000_NS6detail17trampoline_kernelINS0_14default_configENS1_38merge_sort_block_merge_config_selectorIhlEEZZNS1_27merge_sort_block_merge_implIS3_PhN6thrust23THRUST_200600_302600_NS10device_ptrIlEEjNS1_19radix_merge_compareILb0ELb1EhNS0_19identity_decomposerEEEEE10hipError_tT0_T1_T2_jT3_P12ihipStream_tbPNSt15iterator_traitsISG_E10value_typeEPNSM_ISH_E10value_typeEPSI_NS1_7vsmem_tEENKUlT_SG_SH_SI_E_clIS7_S7_PlSB_EESF_SV_SG_SH_SI_EUlSV_E_NS1_11comp_targetILNS1_3genE2ELNS1_11target_archE906ELNS1_3gpuE6ELNS1_3repE0EEENS1_48merge_mergepath_partition_config_static_selectorELNS0_4arch9wavefront6targetE1EEEvSH_
		.amdhsa_group_segment_fixed_size 0
		.amdhsa_private_segment_fixed_size 0
		.amdhsa_kernarg_size 40
		.amdhsa_user_sgpr_count 6
		.amdhsa_user_sgpr_private_segment_buffer 1
		.amdhsa_user_sgpr_dispatch_ptr 0
		.amdhsa_user_sgpr_queue_ptr 0
		.amdhsa_user_sgpr_kernarg_segment_ptr 1
		.amdhsa_user_sgpr_dispatch_id 0
		.amdhsa_user_sgpr_flat_scratch_init 0
		.amdhsa_user_sgpr_private_segment_size 0
		.amdhsa_uses_dynamic_stack 0
		.amdhsa_system_sgpr_private_segment_wavefront_offset 0
		.amdhsa_system_sgpr_workgroup_id_x 1
		.amdhsa_system_sgpr_workgroup_id_y 0
		.amdhsa_system_sgpr_workgroup_id_z 0
		.amdhsa_system_sgpr_workgroup_info 0
		.amdhsa_system_vgpr_workitem_id 0
		.amdhsa_next_free_vgpr 16
		.amdhsa_next_free_sgpr 10
		.amdhsa_reserve_vcc 1
		.amdhsa_reserve_flat_scratch 0
		.amdhsa_float_round_mode_32 0
		.amdhsa_float_round_mode_16_64 0
		.amdhsa_float_denorm_mode_32 3
		.amdhsa_float_denorm_mode_16_64 3
		.amdhsa_dx10_clamp 1
		.amdhsa_ieee_mode 1
		.amdhsa_fp16_overflow 0
		.amdhsa_exception_fp_ieee_invalid_op 0
		.amdhsa_exception_fp_denorm_src 0
		.amdhsa_exception_fp_ieee_div_zero 0
		.amdhsa_exception_fp_ieee_overflow 0
		.amdhsa_exception_fp_ieee_underflow 0
		.amdhsa_exception_fp_ieee_inexact 0
		.amdhsa_exception_int_div_zero 0
	.end_amdhsa_kernel
	.section	.text._ZN7rocprim17ROCPRIM_400000_NS6detail17trampoline_kernelINS0_14default_configENS1_38merge_sort_block_merge_config_selectorIhlEEZZNS1_27merge_sort_block_merge_implIS3_PhN6thrust23THRUST_200600_302600_NS10device_ptrIlEEjNS1_19radix_merge_compareILb0ELb1EhNS0_19identity_decomposerEEEEE10hipError_tT0_T1_T2_jT3_P12ihipStream_tbPNSt15iterator_traitsISG_E10value_typeEPNSM_ISH_E10value_typeEPSI_NS1_7vsmem_tEENKUlT_SG_SH_SI_E_clIS7_S7_PlSB_EESF_SV_SG_SH_SI_EUlSV_E_NS1_11comp_targetILNS1_3genE2ELNS1_11target_archE906ELNS1_3gpuE6ELNS1_3repE0EEENS1_48merge_mergepath_partition_config_static_selectorELNS0_4arch9wavefront6targetE1EEEvSH_,"axG",@progbits,_ZN7rocprim17ROCPRIM_400000_NS6detail17trampoline_kernelINS0_14default_configENS1_38merge_sort_block_merge_config_selectorIhlEEZZNS1_27merge_sort_block_merge_implIS3_PhN6thrust23THRUST_200600_302600_NS10device_ptrIlEEjNS1_19radix_merge_compareILb0ELb1EhNS0_19identity_decomposerEEEEE10hipError_tT0_T1_T2_jT3_P12ihipStream_tbPNSt15iterator_traitsISG_E10value_typeEPNSM_ISH_E10value_typeEPSI_NS1_7vsmem_tEENKUlT_SG_SH_SI_E_clIS7_S7_PlSB_EESF_SV_SG_SH_SI_EUlSV_E_NS1_11comp_targetILNS1_3genE2ELNS1_11target_archE906ELNS1_3gpuE6ELNS1_3repE0EEENS1_48merge_mergepath_partition_config_static_selectorELNS0_4arch9wavefront6targetE1EEEvSH_,comdat
.Lfunc_end194:
	.size	_ZN7rocprim17ROCPRIM_400000_NS6detail17trampoline_kernelINS0_14default_configENS1_38merge_sort_block_merge_config_selectorIhlEEZZNS1_27merge_sort_block_merge_implIS3_PhN6thrust23THRUST_200600_302600_NS10device_ptrIlEEjNS1_19radix_merge_compareILb0ELb1EhNS0_19identity_decomposerEEEEE10hipError_tT0_T1_T2_jT3_P12ihipStream_tbPNSt15iterator_traitsISG_E10value_typeEPNSM_ISH_E10value_typeEPSI_NS1_7vsmem_tEENKUlT_SG_SH_SI_E_clIS7_S7_PlSB_EESF_SV_SG_SH_SI_EUlSV_E_NS1_11comp_targetILNS1_3genE2ELNS1_11target_archE906ELNS1_3gpuE6ELNS1_3repE0EEENS1_48merge_mergepath_partition_config_static_selectorELNS0_4arch9wavefront6targetE1EEEvSH_, .Lfunc_end194-_ZN7rocprim17ROCPRIM_400000_NS6detail17trampoline_kernelINS0_14default_configENS1_38merge_sort_block_merge_config_selectorIhlEEZZNS1_27merge_sort_block_merge_implIS3_PhN6thrust23THRUST_200600_302600_NS10device_ptrIlEEjNS1_19radix_merge_compareILb0ELb1EhNS0_19identity_decomposerEEEEE10hipError_tT0_T1_T2_jT3_P12ihipStream_tbPNSt15iterator_traitsISG_E10value_typeEPNSM_ISH_E10value_typeEPSI_NS1_7vsmem_tEENKUlT_SG_SH_SI_E_clIS7_S7_PlSB_EESF_SV_SG_SH_SI_EUlSV_E_NS1_11comp_targetILNS1_3genE2ELNS1_11target_archE906ELNS1_3gpuE6ELNS1_3repE0EEENS1_48merge_mergepath_partition_config_static_selectorELNS0_4arch9wavefront6targetE1EEEvSH_
                                        ; -- End function
	.set _ZN7rocprim17ROCPRIM_400000_NS6detail17trampoline_kernelINS0_14default_configENS1_38merge_sort_block_merge_config_selectorIhlEEZZNS1_27merge_sort_block_merge_implIS3_PhN6thrust23THRUST_200600_302600_NS10device_ptrIlEEjNS1_19radix_merge_compareILb0ELb1EhNS0_19identity_decomposerEEEEE10hipError_tT0_T1_T2_jT3_P12ihipStream_tbPNSt15iterator_traitsISG_E10value_typeEPNSM_ISH_E10value_typeEPSI_NS1_7vsmem_tEENKUlT_SG_SH_SI_E_clIS7_S7_PlSB_EESF_SV_SG_SH_SI_EUlSV_E_NS1_11comp_targetILNS1_3genE2ELNS1_11target_archE906ELNS1_3gpuE6ELNS1_3repE0EEENS1_48merge_mergepath_partition_config_static_selectorELNS0_4arch9wavefront6targetE1EEEvSH_.num_vgpr, 16
	.set _ZN7rocprim17ROCPRIM_400000_NS6detail17trampoline_kernelINS0_14default_configENS1_38merge_sort_block_merge_config_selectorIhlEEZZNS1_27merge_sort_block_merge_implIS3_PhN6thrust23THRUST_200600_302600_NS10device_ptrIlEEjNS1_19radix_merge_compareILb0ELb1EhNS0_19identity_decomposerEEEEE10hipError_tT0_T1_T2_jT3_P12ihipStream_tbPNSt15iterator_traitsISG_E10value_typeEPNSM_ISH_E10value_typeEPSI_NS1_7vsmem_tEENKUlT_SG_SH_SI_E_clIS7_S7_PlSB_EESF_SV_SG_SH_SI_EUlSV_E_NS1_11comp_targetILNS1_3genE2ELNS1_11target_archE906ELNS1_3gpuE6ELNS1_3repE0EEENS1_48merge_mergepath_partition_config_static_selectorELNS0_4arch9wavefront6targetE1EEEvSH_.num_agpr, 0
	.set _ZN7rocprim17ROCPRIM_400000_NS6detail17trampoline_kernelINS0_14default_configENS1_38merge_sort_block_merge_config_selectorIhlEEZZNS1_27merge_sort_block_merge_implIS3_PhN6thrust23THRUST_200600_302600_NS10device_ptrIlEEjNS1_19radix_merge_compareILb0ELb1EhNS0_19identity_decomposerEEEEE10hipError_tT0_T1_T2_jT3_P12ihipStream_tbPNSt15iterator_traitsISG_E10value_typeEPNSM_ISH_E10value_typeEPSI_NS1_7vsmem_tEENKUlT_SG_SH_SI_E_clIS7_S7_PlSB_EESF_SV_SG_SH_SI_EUlSV_E_NS1_11comp_targetILNS1_3genE2ELNS1_11target_archE906ELNS1_3gpuE6ELNS1_3repE0EEENS1_48merge_mergepath_partition_config_static_selectorELNS0_4arch9wavefront6targetE1EEEvSH_.numbered_sgpr, 10
	.set _ZN7rocprim17ROCPRIM_400000_NS6detail17trampoline_kernelINS0_14default_configENS1_38merge_sort_block_merge_config_selectorIhlEEZZNS1_27merge_sort_block_merge_implIS3_PhN6thrust23THRUST_200600_302600_NS10device_ptrIlEEjNS1_19radix_merge_compareILb0ELb1EhNS0_19identity_decomposerEEEEE10hipError_tT0_T1_T2_jT3_P12ihipStream_tbPNSt15iterator_traitsISG_E10value_typeEPNSM_ISH_E10value_typeEPSI_NS1_7vsmem_tEENKUlT_SG_SH_SI_E_clIS7_S7_PlSB_EESF_SV_SG_SH_SI_EUlSV_E_NS1_11comp_targetILNS1_3genE2ELNS1_11target_archE906ELNS1_3gpuE6ELNS1_3repE0EEENS1_48merge_mergepath_partition_config_static_selectorELNS0_4arch9wavefront6targetE1EEEvSH_.num_named_barrier, 0
	.set _ZN7rocprim17ROCPRIM_400000_NS6detail17trampoline_kernelINS0_14default_configENS1_38merge_sort_block_merge_config_selectorIhlEEZZNS1_27merge_sort_block_merge_implIS3_PhN6thrust23THRUST_200600_302600_NS10device_ptrIlEEjNS1_19radix_merge_compareILb0ELb1EhNS0_19identity_decomposerEEEEE10hipError_tT0_T1_T2_jT3_P12ihipStream_tbPNSt15iterator_traitsISG_E10value_typeEPNSM_ISH_E10value_typeEPSI_NS1_7vsmem_tEENKUlT_SG_SH_SI_E_clIS7_S7_PlSB_EESF_SV_SG_SH_SI_EUlSV_E_NS1_11comp_targetILNS1_3genE2ELNS1_11target_archE906ELNS1_3gpuE6ELNS1_3repE0EEENS1_48merge_mergepath_partition_config_static_selectorELNS0_4arch9wavefront6targetE1EEEvSH_.private_seg_size, 0
	.set _ZN7rocprim17ROCPRIM_400000_NS6detail17trampoline_kernelINS0_14default_configENS1_38merge_sort_block_merge_config_selectorIhlEEZZNS1_27merge_sort_block_merge_implIS3_PhN6thrust23THRUST_200600_302600_NS10device_ptrIlEEjNS1_19radix_merge_compareILb0ELb1EhNS0_19identity_decomposerEEEEE10hipError_tT0_T1_T2_jT3_P12ihipStream_tbPNSt15iterator_traitsISG_E10value_typeEPNSM_ISH_E10value_typeEPSI_NS1_7vsmem_tEENKUlT_SG_SH_SI_E_clIS7_S7_PlSB_EESF_SV_SG_SH_SI_EUlSV_E_NS1_11comp_targetILNS1_3genE2ELNS1_11target_archE906ELNS1_3gpuE6ELNS1_3repE0EEENS1_48merge_mergepath_partition_config_static_selectorELNS0_4arch9wavefront6targetE1EEEvSH_.uses_vcc, 1
	.set _ZN7rocprim17ROCPRIM_400000_NS6detail17trampoline_kernelINS0_14default_configENS1_38merge_sort_block_merge_config_selectorIhlEEZZNS1_27merge_sort_block_merge_implIS3_PhN6thrust23THRUST_200600_302600_NS10device_ptrIlEEjNS1_19radix_merge_compareILb0ELb1EhNS0_19identity_decomposerEEEEE10hipError_tT0_T1_T2_jT3_P12ihipStream_tbPNSt15iterator_traitsISG_E10value_typeEPNSM_ISH_E10value_typeEPSI_NS1_7vsmem_tEENKUlT_SG_SH_SI_E_clIS7_S7_PlSB_EESF_SV_SG_SH_SI_EUlSV_E_NS1_11comp_targetILNS1_3genE2ELNS1_11target_archE906ELNS1_3gpuE6ELNS1_3repE0EEENS1_48merge_mergepath_partition_config_static_selectorELNS0_4arch9wavefront6targetE1EEEvSH_.uses_flat_scratch, 0
	.set _ZN7rocprim17ROCPRIM_400000_NS6detail17trampoline_kernelINS0_14default_configENS1_38merge_sort_block_merge_config_selectorIhlEEZZNS1_27merge_sort_block_merge_implIS3_PhN6thrust23THRUST_200600_302600_NS10device_ptrIlEEjNS1_19radix_merge_compareILb0ELb1EhNS0_19identity_decomposerEEEEE10hipError_tT0_T1_T2_jT3_P12ihipStream_tbPNSt15iterator_traitsISG_E10value_typeEPNSM_ISH_E10value_typeEPSI_NS1_7vsmem_tEENKUlT_SG_SH_SI_E_clIS7_S7_PlSB_EESF_SV_SG_SH_SI_EUlSV_E_NS1_11comp_targetILNS1_3genE2ELNS1_11target_archE906ELNS1_3gpuE6ELNS1_3repE0EEENS1_48merge_mergepath_partition_config_static_selectorELNS0_4arch9wavefront6targetE1EEEvSH_.has_dyn_sized_stack, 0
	.set _ZN7rocprim17ROCPRIM_400000_NS6detail17trampoline_kernelINS0_14default_configENS1_38merge_sort_block_merge_config_selectorIhlEEZZNS1_27merge_sort_block_merge_implIS3_PhN6thrust23THRUST_200600_302600_NS10device_ptrIlEEjNS1_19radix_merge_compareILb0ELb1EhNS0_19identity_decomposerEEEEE10hipError_tT0_T1_T2_jT3_P12ihipStream_tbPNSt15iterator_traitsISG_E10value_typeEPNSM_ISH_E10value_typeEPSI_NS1_7vsmem_tEENKUlT_SG_SH_SI_E_clIS7_S7_PlSB_EESF_SV_SG_SH_SI_EUlSV_E_NS1_11comp_targetILNS1_3genE2ELNS1_11target_archE906ELNS1_3gpuE6ELNS1_3repE0EEENS1_48merge_mergepath_partition_config_static_selectorELNS0_4arch9wavefront6targetE1EEEvSH_.has_recursion, 0
	.set _ZN7rocprim17ROCPRIM_400000_NS6detail17trampoline_kernelINS0_14default_configENS1_38merge_sort_block_merge_config_selectorIhlEEZZNS1_27merge_sort_block_merge_implIS3_PhN6thrust23THRUST_200600_302600_NS10device_ptrIlEEjNS1_19radix_merge_compareILb0ELb1EhNS0_19identity_decomposerEEEEE10hipError_tT0_T1_T2_jT3_P12ihipStream_tbPNSt15iterator_traitsISG_E10value_typeEPNSM_ISH_E10value_typeEPSI_NS1_7vsmem_tEENKUlT_SG_SH_SI_E_clIS7_S7_PlSB_EESF_SV_SG_SH_SI_EUlSV_E_NS1_11comp_targetILNS1_3genE2ELNS1_11target_archE906ELNS1_3gpuE6ELNS1_3repE0EEENS1_48merge_mergepath_partition_config_static_selectorELNS0_4arch9wavefront6targetE1EEEvSH_.has_indirect_call, 0
	.section	.AMDGPU.csdata,"",@progbits
; Kernel info:
; codeLenInByte = 340
; TotalNumSgprs: 14
; NumVgprs: 16
; ScratchSize: 0
; MemoryBound: 0
; FloatMode: 240
; IeeeMode: 1
; LDSByteSize: 0 bytes/workgroup (compile time only)
; SGPRBlocks: 1
; VGPRBlocks: 3
; NumSGPRsForWavesPerEU: 14
; NumVGPRsForWavesPerEU: 16
; Occupancy: 10
; WaveLimiterHint : 0
; COMPUTE_PGM_RSRC2:SCRATCH_EN: 0
; COMPUTE_PGM_RSRC2:USER_SGPR: 6
; COMPUTE_PGM_RSRC2:TRAP_HANDLER: 0
; COMPUTE_PGM_RSRC2:TGID_X_EN: 1
; COMPUTE_PGM_RSRC2:TGID_Y_EN: 0
; COMPUTE_PGM_RSRC2:TGID_Z_EN: 0
; COMPUTE_PGM_RSRC2:TIDIG_COMP_CNT: 0
	.section	.text._ZN7rocprim17ROCPRIM_400000_NS6detail17trampoline_kernelINS0_14default_configENS1_38merge_sort_block_merge_config_selectorIhlEEZZNS1_27merge_sort_block_merge_implIS3_PhN6thrust23THRUST_200600_302600_NS10device_ptrIlEEjNS1_19radix_merge_compareILb0ELb1EhNS0_19identity_decomposerEEEEE10hipError_tT0_T1_T2_jT3_P12ihipStream_tbPNSt15iterator_traitsISG_E10value_typeEPNSM_ISH_E10value_typeEPSI_NS1_7vsmem_tEENKUlT_SG_SH_SI_E_clIS7_S7_PlSB_EESF_SV_SG_SH_SI_EUlSV_E_NS1_11comp_targetILNS1_3genE9ELNS1_11target_archE1100ELNS1_3gpuE3ELNS1_3repE0EEENS1_48merge_mergepath_partition_config_static_selectorELNS0_4arch9wavefront6targetE1EEEvSH_,"axG",@progbits,_ZN7rocprim17ROCPRIM_400000_NS6detail17trampoline_kernelINS0_14default_configENS1_38merge_sort_block_merge_config_selectorIhlEEZZNS1_27merge_sort_block_merge_implIS3_PhN6thrust23THRUST_200600_302600_NS10device_ptrIlEEjNS1_19radix_merge_compareILb0ELb1EhNS0_19identity_decomposerEEEEE10hipError_tT0_T1_T2_jT3_P12ihipStream_tbPNSt15iterator_traitsISG_E10value_typeEPNSM_ISH_E10value_typeEPSI_NS1_7vsmem_tEENKUlT_SG_SH_SI_E_clIS7_S7_PlSB_EESF_SV_SG_SH_SI_EUlSV_E_NS1_11comp_targetILNS1_3genE9ELNS1_11target_archE1100ELNS1_3gpuE3ELNS1_3repE0EEENS1_48merge_mergepath_partition_config_static_selectorELNS0_4arch9wavefront6targetE1EEEvSH_,comdat
	.protected	_ZN7rocprim17ROCPRIM_400000_NS6detail17trampoline_kernelINS0_14default_configENS1_38merge_sort_block_merge_config_selectorIhlEEZZNS1_27merge_sort_block_merge_implIS3_PhN6thrust23THRUST_200600_302600_NS10device_ptrIlEEjNS1_19radix_merge_compareILb0ELb1EhNS0_19identity_decomposerEEEEE10hipError_tT0_T1_T2_jT3_P12ihipStream_tbPNSt15iterator_traitsISG_E10value_typeEPNSM_ISH_E10value_typeEPSI_NS1_7vsmem_tEENKUlT_SG_SH_SI_E_clIS7_S7_PlSB_EESF_SV_SG_SH_SI_EUlSV_E_NS1_11comp_targetILNS1_3genE9ELNS1_11target_archE1100ELNS1_3gpuE3ELNS1_3repE0EEENS1_48merge_mergepath_partition_config_static_selectorELNS0_4arch9wavefront6targetE1EEEvSH_ ; -- Begin function _ZN7rocprim17ROCPRIM_400000_NS6detail17trampoline_kernelINS0_14default_configENS1_38merge_sort_block_merge_config_selectorIhlEEZZNS1_27merge_sort_block_merge_implIS3_PhN6thrust23THRUST_200600_302600_NS10device_ptrIlEEjNS1_19radix_merge_compareILb0ELb1EhNS0_19identity_decomposerEEEEE10hipError_tT0_T1_T2_jT3_P12ihipStream_tbPNSt15iterator_traitsISG_E10value_typeEPNSM_ISH_E10value_typeEPSI_NS1_7vsmem_tEENKUlT_SG_SH_SI_E_clIS7_S7_PlSB_EESF_SV_SG_SH_SI_EUlSV_E_NS1_11comp_targetILNS1_3genE9ELNS1_11target_archE1100ELNS1_3gpuE3ELNS1_3repE0EEENS1_48merge_mergepath_partition_config_static_selectorELNS0_4arch9wavefront6targetE1EEEvSH_
	.globl	_ZN7rocprim17ROCPRIM_400000_NS6detail17trampoline_kernelINS0_14default_configENS1_38merge_sort_block_merge_config_selectorIhlEEZZNS1_27merge_sort_block_merge_implIS3_PhN6thrust23THRUST_200600_302600_NS10device_ptrIlEEjNS1_19radix_merge_compareILb0ELb1EhNS0_19identity_decomposerEEEEE10hipError_tT0_T1_T2_jT3_P12ihipStream_tbPNSt15iterator_traitsISG_E10value_typeEPNSM_ISH_E10value_typeEPSI_NS1_7vsmem_tEENKUlT_SG_SH_SI_E_clIS7_S7_PlSB_EESF_SV_SG_SH_SI_EUlSV_E_NS1_11comp_targetILNS1_3genE9ELNS1_11target_archE1100ELNS1_3gpuE3ELNS1_3repE0EEENS1_48merge_mergepath_partition_config_static_selectorELNS0_4arch9wavefront6targetE1EEEvSH_
	.p2align	8
	.type	_ZN7rocprim17ROCPRIM_400000_NS6detail17trampoline_kernelINS0_14default_configENS1_38merge_sort_block_merge_config_selectorIhlEEZZNS1_27merge_sort_block_merge_implIS3_PhN6thrust23THRUST_200600_302600_NS10device_ptrIlEEjNS1_19radix_merge_compareILb0ELb1EhNS0_19identity_decomposerEEEEE10hipError_tT0_T1_T2_jT3_P12ihipStream_tbPNSt15iterator_traitsISG_E10value_typeEPNSM_ISH_E10value_typeEPSI_NS1_7vsmem_tEENKUlT_SG_SH_SI_E_clIS7_S7_PlSB_EESF_SV_SG_SH_SI_EUlSV_E_NS1_11comp_targetILNS1_3genE9ELNS1_11target_archE1100ELNS1_3gpuE3ELNS1_3repE0EEENS1_48merge_mergepath_partition_config_static_selectorELNS0_4arch9wavefront6targetE1EEEvSH_,@function
_ZN7rocprim17ROCPRIM_400000_NS6detail17trampoline_kernelINS0_14default_configENS1_38merge_sort_block_merge_config_selectorIhlEEZZNS1_27merge_sort_block_merge_implIS3_PhN6thrust23THRUST_200600_302600_NS10device_ptrIlEEjNS1_19radix_merge_compareILb0ELb1EhNS0_19identity_decomposerEEEEE10hipError_tT0_T1_T2_jT3_P12ihipStream_tbPNSt15iterator_traitsISG_E10value_typeEPNSM_ISH_E10value_typeEPSI_NS1_7vsmem_tEENKUlT_SG_SH_SI_E_clIS7_S7_PlSB_EESF_SV_SG_SH_SI_EUlSV_E_NS1_11comp_targetILNS1_3genE9ELNS1_11target_archE1100ELNS1_3gpuE3ELNS1_3repE0EEENS1_48merge_mergepath_partition_config_static_selectorELNS0_4arch9wavefront6targetE1EEEvSH_: ; @_ZN7rocprim17ROCPRIM_400000_NS6detail17trampoline_kernelINS0_14default_configENS1_38merge_sort_block_merge_config_selectorIhlEEZZNS1_27merge_sort_block_merge_implIS3_PhN6thrust23THRUST_200600_302600_NS10device_ptrIlEEjNS1_19radix_merge_compareILb0ELb1EhNS0_19identity_decomposerEEEEE10hipError_tT0_T1_T2_jT3_P12ihipStream_tbPNSt15iterator_traitsISG_E10value_typeEPNSM_ISH_E10value_typeEPSI_NS1_7vsmem_tEENKUlT_SG_SH_SI_E_clIS7_S7_PlSB_EESF_SV_SG_SH_SI_EUlSV_E_NS1_11comp_targetILNS1_3genE9ELNS1_11target_archE1100ELNS1_3gpuE3ELNS1_3repE0EEENS1_48merge_mergepath_partition_config_static_selectorELNS0_4arch9wavefront6targetE1EEEvSH_
; %bb.0:
	.section	.rodata,"a",@progbits
	.p2align	6, 0x0
	.amdhsa_kernel _ZN7rocprim17ROCPRIM_400000_NS6detail17trampoline_kernelINS0_14default_configENS1_38merge_sort_block_merge_config_selectorIhlEEZZNS1_27merge_sort_block_merge_implIS3_PhN6thrust23THRUST_200600_302600_NS10device_ptrIlEEjNS1_19radix_merge_compareILb0ELb1EhNS0_19identity_decomposerEEEEE10hipError_tT0_T1_T2_jT3_P12ihipStream_tbPNSt15iterator_traitsISG_E10value_typeEPNSM_ISH_E10value_typeEPSI_NS1_7vsmem_tEENKUlT_SG_SH_SI_E_clIS7_S7_PlSB_EESF_SV_SG_SH_SI_EUlSV_E_NS1_11comp_targetILNS1_3genE9ELNS1_11target_archE1100ELNS1_3gpuE3ELNS1_3repE0EEENS1_48merge_mergepath_partition_config_static_selectorELNS0_4arch9wavefront6targetE1EEEvSH_
		.amdhsa_group_segment_fixed_size 0
		.amdhsa_private_segment_fixed_size 0
		.amdhsa_kernarg_size 40
		.amdhsa_user_sgpr_count 6
		.amdhsa_user_sgpr_private_segment_buffer 1
		.amdhsa_user_sgpr_dispatch_ptr 0
		.amdhsa_user_sgpr_queue_ptr 0
		.amdhsa_user_sgpr_kernarg_segment_ptr 1
		.amdhsa_user_sgpr_dispatch_id 0
		.amdhsa_user_sgpr_flat_scratch_init 0
		.amdhsa_user_sgpr_private_segment_size 0
		.amdhsa_uses_dynamic_stack 0
		.amdhsa_system_sgpr_private_segment_wavefront_offset 0
		.amdhsa_system_sgpr_workgroup_id_x 1
		.amdhsa_system_sgpr_workgroup_id_y 0
		.amdhsa_system_sgpr_workgroup_id_z 0
		.amdhsa_system_sgpr_workgroup_info 0
		.amdhsa_system_vgpr_workitem_id 0
		.amdhsa_next_free_vgpr 1
		.amdhsa_next_free_sgpr 0
		.amdhsa_reserve_vcc 0
		.amdhsa_reserve_flat_scratch 0
		.amdhsa_float_round_mode_32 0
		.amdhsa_float_round_mode_16_64 0
		.amdhsa_float_denorm_mode_32 3
		.amdhsa_float_denorm_mode_16_64 3
		.amdhsa_dx10_clamp 1
		.amdhsa_ieee_mode 1
		.amdhsa_fp16_overflow 0
		.amdhsa_exception_fp_ieee_invalid_op 0
		.amdhsa_exception_fp_denorm_src 0
		.amdhsa_exception_fp_ieee_div_zero 0
		.amdhsa_exception_fp_ieee_overflow 0
		.amdhsa_exception_fp_ieee_underflow 0
		.amdhsa_exception_fp_ieee_inexact 0
		.amdhsa_exception_int_div_zero 0
	.end_amdhsa_kernel
	.section	.text._ZN7rocprim17ROCPRIM_400000_NS6detail17trampoline_kernelINS0_14default_configENS1_38merge_sort_block_merge_config_selectorIhlEEZZNS1_27merge_sort_block_merge_implIS3_PhN6thrust23THRUST_200600_302600_NS10device_ptrIlEEjNS1_19radix_merge_compareILb0ELb1EhNS0_19identity_decomposerEEEEE10hipError_tT0_T1_T2_jT3_P12ihipStream_tbPNSt15iterator_traitsISG_E10value_typeEPNSM_ISH_E10value_typeEPSI_NS1_7vsmem_tEENKUlT_SG_SH_SI_E_clIS7_S7_PlSB_EESF_SV_SG_SH_SI_EUlSV_E_NS1_11comp_targetILNS1_3genE9ELNS1_11target_archE1100ELNS1_3gpuE3ELNS1_3repE0EEENS1_48merge_mergepath_partition_config_static_selectorELNS0_4arch9wavefront6targetE1EEEvSH_,"axG",@progbits,_ZN7rocprim17ROCPRIM_400000_NS6detail17trampoline_kernelINS0_14default_configENS1_38merge_sort_block_merge_config_selectorIhlEEZZNS1_27merge_sort_block_merge_implIS3_PhN6thrust23THRUST_200600_302600_NS10device_ptrIlEEjNS1_19radix_merge_compareILb0ELb1EhNS0_19identity_decomposerEEEEE10hipError_tT0_T1_T2_jT3_P12ihipStream_tbPNSt15iterator_traitsISG_E10value_typeEPNSM_ISH_E10value_typeEPSI_NS1_7vsmem_tEENKUlT_SG_SH_SI_E_clIS7_S7_PlSB_EESF_SV_SG_SH_SI_EUlSV_E_NS1_11comp_targetILNS1_3genE9ELNS1_11target_archE1100ELNS1_3gpuE3ELNS1_3repE0EEENS1_48merge_mergepath_partition_config_static_selectorELNS0_4arch9wavefront6targetE1EEEvSH_,comdat
.Lfunc_end195:
	.size	_ZN7rocprim17ROCPRIM_400000_NS6detail17trampoline_kernelINS0_14default_configENS1_38merge_sort_block_merge_config_selectorIhlEEZZNS1_27merge_sort_block_merge_implIS3_PhN6thrust23THRUST_200600_302600_NS10device_ptrIlEEjNS1_19radix_merge_compareILb0ELb1EhNS0_19identity_decomposerEEEEE10hipError_tT0_T1_T2_jT3_P12ihipStream_tbPNSt15iterator_traitsISG_E10value_typeEPNSM_ISH_E10value_typeEPSI_NS1_7vsmem_tEENKUlT_SG_SH_SI_E_clIS7_S7_PlSB_EESF_SV_SG_SH_SI_EUlSV_E_NS1_11comp_targetILNS1_3genE9ELNS1_11target_archE1100ELNS1_3gpuE3ELNS1_3repE0EEENS1_48merge_mergepath_partition_config_static_selectorELNS0_4arch9wavefront6targetE1EEEvSH_, .Lfunc_end195-_ZN7rocprim17ROCPRIM_400000_NS6detail17trampoline_kernelINS0_14default_configENS1_38merge_sort_block_merge_config_selectorIhlEEZZNS1_27merge_sort_block_merge_implIS3_PhN6thrust23THRUST_200600_302600_NS10device_ptrIlEEjNS1_19radix_merge_compareILb0ELb1EhNS0_19identity_decomposerEEEEE10hipError_tT0_T1_T2_jT3_P12ihipStream_tbPNSt15iterator_traitsISG_E10value_typeEPNSM_ISH_E10value_typeEPSI_NS1_7vsmem_tEENKUlT_SG_SH_SI_E_clIS7_S7_PlSB_EESF_SV_SG_SH_SI_EUlSV_E_NS1_11comp_targetILNS1_3genE9ELNS1_11target_archE1100ELNS1_3gpuE3ELNS1_3repE0EEENS1_48merge_mergepath_partition_config_static_selectorELNS0_4arch9wavefront6targetE1EEEvSH_
                                        ; -- End function
	.set _ZN7rocprim17ROCPRIM_400000_NS6detail17trampoline_kernelINS0_14default_configENS1_38merge_sort_block_merge_config_selectorIhlEEZZNS1_27merge_sort_block_merge_implIS3_PhN6thrust23THRUST_200600_302600_NS10device_ptrIlEEjNS1_19radix_merge_compareILb0ELb1EhNS0_19identity_decomposerEEEEE10hipError_tT0_T1_T2_jT3_P12ihipStream_tbPNSt15iterator_traitsISG_E10value_typeEPNSM_ISH_E10value_typeEPSI_NS1_7vsmem_tEENKUlT_SG_SH_SI_E_clIS7_S7_PlSB_EESF_SV_SG_SH_SI_EUlSV_E_NS1_11comp_targetILNS1_3genE9ELNS1_11target_archE1100ELNS1_3gpuE3ELNS1_3repE0EEENS1_48merge_mergepath_partition_config_static_selectorELNS0_4arch9wavefront6targetE1EEEvSH_.num_vgpr, 0
	.set _ZN7rocprim17ROCPRIM_400000_NS6detail17trampoline_kernelINS0_14default_configENS1_38merge_sort_block_merge_config_selectorIhlEEZZNS1_27merge_sort_block_merge_implIS3_PhN6thrust23THRUST_200600_302600_NS10device_ptrIlEEjNS1_19radix_merge_compareILb0ELb1EhNS0_19identity_decomposerEEEEE10hipError_tT0_T1_T2_jT3_P12ihipStream_tbPNSt15iterator_traitsISG_E10value_typeEPNSM_ISH_E10value_typeEPSI_NS1_7vsmem_tEENKUlT_SG_SH_SI_E_clIS7_S7_PlSB_EESF_SV_SG_SH_SI_EUlSV_E_NS1_11comp_targetILNS1_3genE9ELNS1_11target_archE1100ELNS1_3gpuE3ELNS1_3repE0EEENS1_48merge_mergepath_partition_config_static_selectorELNS0_4arch9wavefront6targetE1EEEvSH_.num_agpr, 0
	.set _ZN7rocprim17ROCPRIM_400000_NS6detail17trampoline_kernelINS0_14default_configENS1_38merge_sort_block_merge_config_selectorIhlEEZZNS1_27merge_sort_block_merge_implIS3_PhN6thrust23THRUST_200600_302600_NS10device_ptrIlEEjNS1_19radix_merge_compareILb0ELb1EhNS0_19identity_decomposerEEEEE10hipError_tT0_T1_T2_jT3_P12ihipStream_tbPNSt15iterator_traitsISG_E10value_typeEPNSM_ISH_E10value_typeEPSI_NS1_7vsmem_tEENKUlT_SG_SH_SI_E_clIS7_S7_PlSB_EESF_SV_SG_SH_SI_EUlSV_E_NS1_11comp_targetILNS1_3genE9ELNS1_11target_archE1100ELNS1_3gpuE3ELNS1_3repE0EEENS1_48merge_mergepath_partition_config_static_selectorELNS0_4arch9wavefront6targetE1EEEvSH_.numbered_sgpr, 0
	.set _ZN7rocprim17ROCPRIM_400000_NS6detail17trampoline_kernelINS0_14default_configENS1_38merge_sort_block_merge_config_selectorIhlEEZZNS1_27merge_sort_block_merge_implIS3_PhN6thrust23THRUST_200600_302600_NS10device_ptrIlEEjNS1_19radix_merge_compareILb0ELb1EhNS0_19identity_decomposerEEEEE10hipError_tT0_T1_T2_jT3_P12ihipStream_tbPNSt15iterator_traitsISG_E10value_typeEPNSM_ISH_E10value_typeEPSI_NS1_7vsmem_tEENKUlT_SG_SH_SI_E_clIS7_S7_PlSB_EESF_SV_SG_SH_SI_EUlSV_E_NS1_11comp_targetILNS1_3genE9ELNS1_11target_archE1100ELNS1_3gpuE3ELNS1_3repE0EEENS1_48merge_mergepath_partition_config_static_selectorELNS0_4arch9wavefront6targetE1EEEvSH_.num_named_barrier, 0
	.set _ZN7rocprim17ROCPRIM_400000_NS6detail17trampoline_kernelINS0_14default_configENS1_38merge_sort_block_merge_config_selectorIhlEEZZNS1_27merge_sort_block_merge_implIS3_PhN6thrust23THRUST_200600_302600_NS10device_ptrIlEEjNS1_19radix_merge_compareILb0ELb1EhNS0_19identity_decomposerEEEEE10hipError_tT0_T1_T2_jT3_P12ihipStream_tbPNSt15iterator_traitsISG_E10value_typeEPNSM_ISH_E10value_typeEPSI_NS1_7vsmem_tEENKUlT_SG_SH_SI_E_clIS7_S7_PlSB_EESF_SV_SG_SH_SI_EUlSV_E_NS1_11comp_targetILNS1_3genE9ELNS1_11target_archE1100ELNS1_3gpuE3ELNS1_3repE0EEENS1_48merge_mergepath_partition_config_static_selectorELNS0_4arch9wavefront6targetE1EEEvSH_.private_seg_size, 0
	.set _ZN7rocprim17ROCPRIM_400000_NS6detail17trampoline_kernelINS0_14default_configENS1_38merge_sort_block_merge_config_selectorIhlEEZZNS1_27merge_sort_block_merge_implIS3_PhN6thrust23THRUST_200600_302600_NS10device_ptrIlEEjNS1_19radix_merge_compareILb0ELb1EhNS0_19identity_decomposerEEEEE10hipError_tT0_T1_T2_jT3_P12ihipStream_tbPNSt15iterator_traitsISG_E10value_typeEPNSM_ISH_E10value_typeEPSI_NS1_7vsmem_tEENKUlT_SG_SH_SI_E_clIS7_S7_PlSB_EESF_SV_SG_SH_SI_EUlSV_E_NS1_11comp_targetILNS1_3genE9ELNS1_11target_archE1100ELNS1_3gpuE3ELNS1_3repE0EEENS1_48merge_mergepath_partition_config_static_selectorELNS0_4arch9wavefront6targetE1EEEvSH_.uses_vcc, 0
	.set _ZN7rocprim17ROCPRIM_400000_NS6detail17trampoline_kernelINS0_14default_configENS1_38merge_sort_block_merge_config_selectorIhlEEZZNS1_27merge_sort_block_merge_implIS3_PhN6thrust23THRUST_200600_302600_NS10device_ptrIlEEjNS1_19radix_merge_compareILb0ELb1EhNS0_19identity_decomposerEEEEE10hipError_tT0_T1_T2_jT3_P12ihipStream_tbPNSt15iterator_traitsISG_E10value_typeEPNSM_ISH_E10value_typeEPSI_NS1_7vsmem_tEENKUlT_SG_SH_SI_E_clIS7_S7_PlSB_EESF_SV_SG_SH_SI_EUlSV_E_NS1_11comp_targetILNS1_3genE9ELNS1_11target_archE1100ELNS1_3gpuE3ELNS1_3repE0EEENS1_48merge_mergepath_partition_config_static_selectorELNS0_4arch9wavefront6targetE1EEEvSH_.uses_flat_scratch, 0
	.set _ZN7rocprim17ROCPRIM_400000_NS6detail17trampoline_kernelINS0_14default_configENS1_38merge_sort_block_merge_config_selectorIhlEEZZNS1_27merge_sort_block_merge_implIS3_PhN6thrust23THRUST_200600_302600_NS10device_ptrIlEEjNS1_19radix_merge_compareILb0ELb1EhNS0_19identity_decomposerEEEEE10hipError_tT0_T1_T2_jT3_P12ihipStream_tbPNSt15iterator_traitsISG_E10value_typeEPNSM_ISH_E10value_typeEPSI_NS1_7vsmem_tEENKUlT_SG_SH_SI_E_clIS7_S7_PlSB_EESF_SV_SG_SH_SI_EUlSV_E_NS1_11comp_targetILNS1_3genE9ELNS1_11target_archE1100ELNS1_3gpuE3ELNS1_3repE0EEENS1_48merge_mergepath_partition_config_static_selectorELNS0_4arch9wavefront6targetE1EEEvSH_.has_dyn_sized_stack, 0
	.set _ZN7rocprim17ROCPRIM_400000_NS6detail17trampoline_kernelINS0_14default_configENS1_38merge_sort_block_merge_config_selectorIhlEEZZNS1_27merge_sort_block_merge_implIS3_PhN6thrust23THRUST_200600_302600_NS10device_ptrIlEEjNS1_19radix_merge_compareILb0ELb1EhNS0_19identity_decomposerEEEEE10hipError_tT0_T1_T2_jT3_P12ihipStream_tbPNSt15iterator_traitsISG_E10value_typeEPNSM_ISH_E10value_typeEPSI_NS1_7vsmem_tEENKUlT_SG_SH_SI_E_clIS7_S7_PlSB_EESF_SV_SG_SH_SI_EUlSV_E_NS1_11comp_targetILNS1_3genE9ELNS1_11target_archE1100ELNS1_3gpuE3ELNS1_3repE0EEENS1_48merge_mergepath_partition_config_static_selectorELNS0_4arch9wavefront6targetE1EEEvSH_.has_recursion, 0
	.set _ZN7rocprim17ROCPRIM_400000_NS6detail17trampoline_kernelINS0_14default_configENS1_38merge_sort_block_merge_config_selectorIhlEEZZNS1_27merge_sort_block_merge_implIS3_PhN6thrust23THRUST_200600_302600_NS10device_ptrIlEEjNS1_19radix_merge_compareILb0ELb1EhNS0_19identity_decomposerEEEEE10hipError_tT0_T1_T2_jT3_P12ihipStream_tbPNSt15iterator_traitsISG_E10value_typeEPNSM_ISH_E10value_typeEPSI_NS1_7vsmem_tEENKUlT_SG_SH_SI_E_clIS7_S7_PlSB_EESF_SV_SG_SH_SI_EUlSV_E_NS1_11comp_targetILNS1_3genE9ELNS1_11target_archE1100ELNS1_3gpuE3ELNS1_3repE0EEENS1_48merge_mergepath_partition_config_static_selectorELNS0_4arch9wavefront6targetE1EEEvSH_.has_indirect_call, 0
	.section	.AMDGPU.csdata,"",@progbits
; Kernel info:
; codeLenInByte = 0
; TotalNumSgprs: 4
; NumVgprs: 0
; ScratchSize: 0
; MemoryBound: 0
; FloatMode: 240
; IeeeMode: 1
; LDSByteSize: 0 bytes/workgroup (compile time only)
; SGPRBlocks: 0
; VGPRBlocks: 0
; NumSGPRsForWavesPerEU: 4
; NumVGPRsForWavesPerEU: 1
; Occupancy: 10
; WaveLimiterHint : 0
; COMPUTE_PGM_RSRC2:SCRATCH_EN: 0
; COMPUTE_PGM_RSRC2:USER_SGPR: 6
; COMPUTE_PGM_RSRC2:TRAP_HANDLER: 0
; COMPUTE_PGM_RSRC2:TGID_X_EN: 1
; COMPUTE_PGM_RSRC2:TGID_Y_EN: 0
; COMPUTE_PGM_RSRC2:TGID_Z_EN: 0
; COMPUTE_PGM_RSRC2:TIDIG_COMP_CNT: 0
	.section	.text._ZN7rocprim17ROCPRIM_400000_NS6detail17trampoline_kernelINS0_14default_configENS1_38merge_sort_block_merge_config_selectorIhlEEZZNS1_27merge_sort_block_merge_implIS3_PhN6thrust23THRUST_200600_302600_NS10device_ptrIlEEjNS1_19radix_merge_compareILb0ELb1EhNS0_19identity_decomposerEEEEE10hipError_tT0_T1_T2_jT3_P12ihipStream_tbPNSt15iterator_traitsISG_E10value_typeEPNSM_ISH_E10value_typeEPSI_NS1_7vsmem_tEENKUlT_SG_SH_SI_E_clIS7_S7_PlSB_EESF_SV_SG_SH_SI_EUlSV_E_NS1_11comp_targetILNS1_3genE8ELNS1_11target_archE1030ELNS1_3gpuE2ELNS1_3repE0EEENS1_48merge_mergepath_partition_config_static_selectorELNS0_4arch9wavefront6targetE1EEEvSH_,"axG",@progbits,_ZN7rocprim17ROCPRIM_400000_NS6detail17trampoline_kernelINS0_14default_configENS1_38merge_sort_block_merge_config_selectorIhlEEZZNS1_27merge_sort_block_merge_implIS3_PhN6thrust23THRUST_200600_302600_NS10device_ptrIlEEjNS1_19radix_merge_compareILb0ELb1EhNS0_19identity_decomposerEEEEE10hipError_tT0_T1_T2_jT3_P12ihipStream_tbPNSt15iterator_traitsISG_E10value_typeEPNSM_ISH_E10value_typeEPSI_NS1_7vsmem_tEENKUlT_SG_SH_SI_E_clIS7_S7_PlSB_EESF_SV_SG_SH_SI_EUlSV_E_NS1_11comp_targetILNS1_3genE8ELNS1_11target_archE1030ELNS1_3gpuE2ELNS1_3repE0EEENS1_48merge_mergepath_partition_config_static_selectorELNS0_4arch9wavefront6targetE1EEEvSH_,comdat
	.protected	_ZN7rocprim17ROCPRIM_400000_NS6detail17trampoline_kernelINS0_14default_configENS1_38merge_sort_block_merge_config_selectorIhlEEZZNS1_27merge_sort_block_merge_implIS3_PhN6thrust23THRUST_200600_302600_NS10device_ptrIlEEjNS1_19radix_merge_compareILb0ELb1EhNS0_19identity_decomposerEEEEE10hipError_tT0_T1_T2_jT3_P12ihipStream_tbPNSt15iterator_traitsISG_E10value_typeEPNSM_ISH_E10value_typeEPSI_NS1_7vsmem_tEENKUlT_SG_SH_SI_E_clIS7_S7_PlSB_EESF_SV_SG_SH_SI_EUlSV_E_NS1_11comp_targetILNS1_3genE8ELNS1_11target_archE1030ELNS1_3gpuE2ELNS1_3repE0EEENS1_48merge_mergepath_partition_config_static_selectorELNS0_4arch9wavefront6targetE1EEEvSH_ ; -- Begin function _ZN7rocprim17ROCPRIM_400000_NS6detail17trampoline_kernelINS0_14default_configENS1_38merge_sort_block_merge_config_selectorIhlEEZZNS1_27merge_sort_block_merge_implIS3_PhN6thrust23THRUST_200600_302600_NS10device_ptrIlEEjNS1_19radix_merge_compareILb0ELb1EhNS0_19identity_decomposerEEEEE10hipError_tT0_T1_T2_jT3_P12ihipStream_tbPNSt15iterator_traitsISG_E10value_typeEPNSM_ISH_E10value_typeEPSI_NS1_7vsmem_tEENKUlT_SG_SH_SI_E_clIS7_S7_PlSB_EESF_SV_SG_SH_SI_EUlSV_E_NS1_11comp_targetILNS1_3genE8ELNS1_11target_archE1030ELNS1_3gpuE2ELNS1_3repE0EEENS1_48merge_mergepath_partition_config_static_selectorELNS0_4arch9wavefront6targetE1EEEvSH_
	.globl	_ZN7rocprim17ROCPRIM_400000_NS6detail17trampoline_kernelINS0_14default_configENS1_38merge_sort_block_merge_config_selectorIhlEEZZNS1_27merge_sort_block_merge_implIS3_PhN6thrust23THRUST_200600_302600_NS10device_ptrIlEEjNS1_19radix_merge_compareILb0ELb1EhNS0_19identity_decomposerEEEEE10hipError_tT0_T1_T2_jT3_P12ihipStream_tbPNSt15iterator_traitsISG_E10value_typeEPNSM_ISH_E10value_typeEPSI_NS1_7vsmem_tEENKUlT_SG_SH_SI_E_clIS7_S7_PlSB_EESF_SV_SG_SH_SI_EUlSV_E_NS1_11comp_targetILNS1_3genE8ELNS1_11target_archE1030ELNS1_3gpuE2ELNS1_3repE0EEENS1_48merge_mergepath_partition_config_static_selectorELNS0_4arch9wavefront6targetE1EEEvSH_
	.p2align	8
	.type	_ZN7rocprim17ROCPRIM_400000_NS6detail17trampoline_kernelINS0_14default_configENS1_38merge_sort_block_merge_config_selectorIhlEEZZNS1_27merge_sort_block_merge_implIS3_PhN6thrust23THRUST_200600_302600_NS10device_ptrIlEEjNS1_19radix_merge_compareILb0ELb1EhNS0_19identity_decomposerEEEEE10hipError_tT0_T1_T2_jT3_P12ihipStream_tbPNSt15iterator_traitsISG_E10value_typeEPNSM_ISH_E10value_typeEPSI_NS1_7vsmem_tEENKUlT_SG_SH_SI_E_clIS7_S7_PlSB_EESF_SV_SG_SH_SI_EUlSV_E_NS1_11comp_targetILNS1_3genE8ELNS1_11target_archE1030ELNS1_3gpuE2ELNS1_3repE0EEENS1_48merge_mergepath_partition_config_static_selectorELNS0_4arch9wavefront6targetE1EEEvSH_,@function
_ZN7rocprim17ROCPRIM_400000_NS6detail17trampoline_kernelINS0_14default_configENS1_38merge_sort_block_merge_config_selectorIhlEEZZNS1_27merge_sort_block_merge_implIS3_PhN6thrust23THRUST_200600_302600_NS10device_ptrIlEEjNS1_19radix_merge_compareILb0ELb1EhNS0_19identity_decomposerEEEEE10hipError_tT0_T1_T2_jT3_P12ihipStream_tbPNSt15iterator_traitsISG_E10value_typeEPNSM_ISH_E10value_typeEPSI_NS1_7vsmem_tEENKUlT_SG_SH_SI_E_clIS7_S7_PlSB_EESF_SV_SG_SH_SI_EUlSV_E_NS1_11comp_targetILNS1_3genE8ELNS1_11target_archE1030ELNS1_3gpuE2ELNS1_3repE0EEENS1_48merge_mergepath_partition_config_static_selectorELNS0_4arch9wavefront6targetE1EEEvSH_: ; @_ZN7rocprim17ROCPRIM_400000_NS6detail17trampoline_kernelINS0_14default_configENS1_38merge_sort_block_merge_config_selectorIhlEEZZNS1_27merge_sort_block_merge_implIS3_PhN6thrust23THRUST_200600_302600_NS10device_ptrIlEEjNS1_19radix_merge_compareILb0ELb1EhNS0_19identity_decomposerEEEEE10hipError_tT0_T1_T2_jT3_P12ihipStream_tbPNSt15iterator_traitsISG_E10value_typeEPNSM_ISH_E10value_typeEPSI_NS1_7vsmem_tEENKUlT_SG_SH_SI_E_clIS7_S7_PlSB_EESF_SV_SG_SH_SI_EUlSV_E_NS1_11comp_targetILNS1_3genE8ELNS1_11target_archE1030ELNS1_3gpuE2ELNS1_3repE0EEENS1_48merge_mergepath_partition_config_static_selectorELNS0_4arch9wavefront6targetE1EEEvSH_
; %bb.0:
	.section	.rodata,"a",@progbits
	.p2align	6, 0x0
	.amdhsa_kernel _ZN7rocprim17ROCPRIM_400000_NS6detail17trampoline_kernelINS0_14default_configENS1_38merge_sort_block_merge_config_selectorIhlEEZZNS1_27merge_sort_block_merge_implIS3_PhN6thrust23THRUST_200600_302600_NS10device_ptrIlEEjNS1_19radix_merge_compareILb0ELb1EhNS0_19identity_decomposerEEEEE10hipError_tT0_T1_T2_jT3_P12ihipStream_tbPNSt15iterator_traitsISG_E10value_typeEPNSM_ISH_E10value_typeEPSI_NS1_7vsmem_tEENKUlT_SG_SH_SI_E_clIS7_S7_PlSB_EESF_SV_SG_SH_SI_EUlSV_E_NS1_11comp_targetILNS1_3genE8ELNS1_11target_archE1030ELNS1_3gpuE2ELNS1_3repE0EEENS1_48merge_mergepath_partition_config_static_selectorELNS0_4arch9wavefront6targetE1EEEvSH_
		.amdhsa_group_segment_fixed_size 0
		.amdhsa_private_segment_fixed_size 0
		.amdhsa_kernarg_size 40
		.amdhsa_user_sgpr_count 6
		.amdhsa_user_sgpr_private_segment_buffer 1
		.amdhsa_user_sgpr_dispatch_ptr 0
		.amdhsa_user_sgpr_queue_ptr 0
		.amdhsa_user_sgpr_kernarg_segment_ptr 1
		.amdhsa_user_sgpr_dispatch_id 0
		.amdhsa_user_sgpr_flat_scratch_init 0
		.amdhsa_user_sgpr_private_segment_size 0
		.amdhsa_uses_dynamic_stack 0
		.amdhsa_system_sgpr_private_segment_wavefront_offset 0
		.amdhsa_system_sgpr_workgroup_id_x 1
		.amdhsa_system_sgpr_workgroup_id_y 0
		.amdhsa_system_sgpr_workgroup_id_z 0
		.amdhsa_system_sgpr_workgroup_info 0
		.amdhsa_system_vgpr_workitem_id 0
		.amdhsa_next_free_vgpr 1
		.amdhsa_next_free_sgpr 0
		.amdhsa_reserve_vcc 0
		.amdhsa_reserve_flat_scratch 0
		.amdhsa_float_round_mode_32 0
		.amdhsa_float_round_mode_16_64 0
		.amdhsa_float_denorm_mode_32 3
		.amdhsa_float_denorm_mode_16_64 3
		.amdhsa_dx10_clamp 1
		.amdhsa_ieee_mode 1
		.amdhsa_fp16_overflow 0
		.amdhsa_exception_fp_ieee_invalid_op 0
		.amdhsa_exception_fp_denorm_src 0
		.amdhsa_exception_fp_ieee_div_zero 0
		.amdhsa_exception_fp_ieee_overflow 0
		.amdhsa_exception_fp_ieee_underflow 0
		.amdhsa_exception_fp_ieee_inexact 0
		.amdhsa_exception_int_div_zero 0
	.end_amdhsa_kernel
	.section	.text._ZN7rocprim17ROCPRIM_400000_NS6detail17trampoline_kernelINS0_14default_configENS1_38merge_sort_block_merge_config_selectorIhlEEZZNS1_27merge_sort_block_merge_implIS3_PhN6thrust23THRUST_200600_302600_NS10device_ptrIlEEjNS1_19radix_merge_compareILb0ELb1EhNS0_19identity_decomposerEEEEE10hipError_tT0_T1_T2_jT3_P12ihipStream_tbPNSt15iterator_traitsISG_E10value_typeEPNSM_ISH_E10value_typeEPSI_NS1_7vsmem_tEENKUlT_SG_SH_SI_E_clIS7_S7_PlSB_EESF_SV_SG_SH_SI_EUlSV_E_NS1_11comp_targetILNS1_3genE8ELNS1_11target_archE1030ELNS1_3gpuE2ELNS1_3repE0EEENS1_48merge_mergepath_partition_config_static_selectorELNS0_4arch9wavefront6targetE1EEEvSH_,"axG",@progbits,_ZN7rocprim17ROCPRIM_400000_NS6detail17trampoline_kernelINS0_14default_configENS1_38merge_sort_block_merge_config_selectorIhlEEZZNS1_27merge_sort_block_merge_implIS3_PhN6thrust23THRUST_200600_302600_NS10device_ptrIlEEjNS1_19radix_merge_compareILb0ELb1EhNS0_19identity_decomposerEEEEE10hipError_tT0_T1_T2_jT3_P12ihipStream_tbPNSt15iterator_traitsISG_E10value_typeEPNSM_ISH_E10value_typeEPSI_NS1_7vsmem_tEENKUlT_SG_SH_SI_E_clIS7_S7_PlSB_EESF_SV_SG_SH_SI_EUlSV_E_NS1_11comp_targetILNS1_3genE8ELNS1_11target_archE1030ELNS1_3gpuE2ELNS1_3repE0EEENS1_48merge_mergepath_partition_config_static_selectorELNS0_4arch9wavefront6targetE1EEEvSH_,comdat
.Lfunc_end196:
	.size	_ZN7rocprim17ROCPRIM_400000_NS6detail17trampoline_kernelINS0_14default_configENS1_38merge_sort_block_merge_config_selectorIhlEEZZNS1_27merge_sort_block_merge_implIS3_PhN6thrust23THRUST_200600_302600_NS10device_ptrIlEEjNS1_19radix_merge_compareILb0ELb1EhNS0_19identity_decomposerEEEEE10hipError_tT0_T1_T2_jT3_P12ihipStream_tbPNSt15iterator_traitsISG_E10value_typeEPNSM_ISH_E10value_typeEPSI_NS1_7vsmem_tEENKUlT_SG_SH_SI_E_clIS7_S7_PlSB_EESF_SV_SG_SH_SI_EUlSV_E_NS1_11comp_targetILNS1_3genE8ELNS1_11target_archE1030ELNS1_3gpuE2ELNS1_3repE0EEENS1_48merge_mergepath_partition_config_static_selectorELNS0_4arch9wavefront6targetE1EEEvSH_, .Lfunc_end196-_ZN7rocprim17ROCPRIM_400000_NS6detail17trampoline_kernelINS0_14default_configENS1_38merge_sort_block_merge_config_selectorIhlEEZZNS1_27merge_sort_block_merge_implIS3_PhN6thrust23THRUST_200600_302600_NS10device_ptrIlEEjNS1_19radix_merge_compareILb0ELb1EhNS0_19identity_decomposerEEEEE10hipError_tT0_T1_T2_jT3_P12ihipStream_tbPNSt15iterator_traitsISG_E10value_typeEPNSM_ISH_E10value_typeEPSI_NS1_7vsmem_tEENKUlT_SG_SH_SI_E_clIS7_S7_PlSB_EESF_SV_SG_SH_SI_EUlSV_E_NS1_11comp_targetILNS1_3genE8ELNS1_11target_archE1030ELNS1_3gpuE2ELNS1_3repE0EEENS1_48merge_mergepath_partition_config_static_selectorELNS0_4arch9wavefront6targetE1EEEvSH_
                                        ; -- End function
	.set _ZN7rocprim17ROCPRIM_400000_NS6detail17trampoline_kernelINS0_14default_configENS1_38merge_sort_block_merge_config_selectorIhlEEZZNS1_27merge_sort_block_merge_implIS3_PhN6thrust23THRUST_200600_302600_NS10device_ptrIlEEjNS1_19radix_merge_compareILb0ELb1EhNS0_19identity_decomposerEEEEE10hipError_tT0_T1_T2_jT3_P12ihipStream_tbPNSt15iterator_traitsISG_E10value_typeEPNSM_ISH_E10value_typeEPSI_NS1_7vsmem_tEENKUlT_SG_SH_SI_E_clIS7_S7_PlSB_EESF_SV_SG_SH_SI_EUlSV_E_NS1_11comp_targetILNS1_3genE8ELNS1_11target_archE1030ELNS1_3gpuE2ELNS1_3repE0EEENS1_48merge_mergepath_partition_config_static_selectorELNS0_4arch9wavefront6targetE1EEEvSH_.num_vgpr, 0
	.set _ZN7rocprim17ROCPRIM_400000_NS6detail17trampoline_kernelINS0_14default_configENS1_38merge_sort_block_merge_config_selectorIhlEEZZNS1_27merge_sort_block_merge_implIS3_PhN6thrust23THRUST_200600_302600_NS10device_ptrIlEEjNS1_19radix_merge_compareILb0ELb1EhNS0_19identity_decomposerEEEEE10hipError_tT0_T1_T2_jT3_P12ihipStream_tbPNSt15iterator_traitsISG_E10value_typeEPNSM_ISH_E10value_typeEPSI_NS1_7vsmem_tEENKUlT_SG_SH_SI_E_clIS7_S7_PlSB_EESF_SV_SG_SH_SI_EUlSV_E_NS1_11comp_targetILNS1_3genE8ELNS1_11target_archE1030ELNS1_3gpuE2ELNS1_3repE0EEENS1_48merge_mergepath_partition_config_static_selectorELNS0_4arch9wavefront6targetE1EEEvSH_.num_agpr, 0
	.set _ZN7rocprim17ROCPRIM_400000_NS6detail17trampoline_kernelINS0_14default_configENS1_38merge_sort_block_merge_config_selectorIhlEEZZNS1_27merge_sort_block_merge_implIS3_PhN6thrust23THRUST_200600_302600_NS10device_ptrIlEEjNS1_19radix_merge_compareILb0ELb1EhNS0_19identity_decomposerEEEEE10hipError_tT0_T1_T2_jT3_P12ihipStream_tbPNSt15iterator_traitsISG_E10value_typeEPNSM_ISH_E10value_typeEPSI_NS1_7vsmem_tEENKUlT_SG_SH_SI_E_clIS7_S7_PlSB_EESF_SV_SG_SH_SI_EUlSV_E_NS1_11comp_targetILNS1_3genE8ELNS1_11target_archE1030ELNS1_3gpuE2ELNS1_3repE0EEENS1_48merge_mergepath_partition_config_static_selectorELNS0_4arch9wavefront6targetE1EEEvSH_.numbered_sgpr, 0
	.set _ZN7rocprim17ROCPRIM_400000_NS6detail17trampoline_kernelINS0_14default_configENS1_38merge_sort_block_merge_config_selectorIhlEEZZNS1_27merge_sort_block_merge_implIS3_PhN6thrust23THRUST_200600_302600_NS10device_ptrIlEEjNS1_19radix_merge_compareILb0ELb1EhNS0_19identity_decomposerEEEEE10hipError_tT0_T1_T2_jT3_P12ihipStream_tbPNSt15iterator_traitsISG_E10value_typeEPNSM_ISH_E10value_typeEPSI_NS1_7vsmem_tEENKUlT_SG_SH_SI_E_clIS7_S7_PlSB_EESF_SV_SG_SH_SI_EUlSV_E_NS1_11comp_targetILNS1_3genE8ELNS1_11target_archE1030ELNS1_3gpuE2ELNS1_3repE0EEENS1_48merge_mergepath_partition_config_static_selectorELNS0_4arch9wavefront6targetE1EEEvSH_.num_named_barrier, 0
	.set _ZN7rocprim17ROCPRIM_400000_NS6detail17trampoline_kernelINS0_14default_configENS1_38merge_sort_block_merge_config_selectorIhlEEZZNS1_27merge_sort_block_merge_implIS3_PhN6thrust23THRUST_200600_302600_NS10device_ptrIlEEjNS1_19radix_merge_compareILb0ELb1EhNS0_19identity_decomposerEEEEE10hipError_tT0_T1_T2_jT3_P12ihipStream_tbPNSt15iterator_traitsISG_E10value_typeEPNSM_ISH_E10value_typeEPSI_NS1_7vsmem_tEENKUlT_SG_SH_SI_E_clIS7_S7_PlSB_EESF_SV_SG_SH_SI_EUlSV_E_NS1_11comp_targetILNS1_3genE8ELNS1_11target_archE1030ELNS1_3gpuE2ELNS1_3repE0EEENS1_48merge_mergepath_partition_config_static_selectorELNS0_4arch9wavefront6targetE1EEEvSH_.private_seg_size, 0
	.set _ZN7rocprim17ROCPRIM_400000_NS6detail17trampoline_kernelINS0_14default_configENS1_38merge_sort_block_merge_config_selectorIhlEEZZNS1_27merge_sort_block_merge_implIS3_PhN6thrust23THRUST_200600_302600_NS10device_ptrIlEEjNS1_19radix_merge_compareILb0ELb1EhNS0_19identity_decomposerEEEEE10hipError_tT0_T1_T2_jT3_P12ihipStream_tbPNSt15iterator_traitsISG_E10value_typeEPNSM_ISH_E10value_typeEPSI_NS1_7vsmem_tEENKUlT_SG_SH_SI_E_clIS7_S7_PlSB_EESF_SV_SG_SH_SI_EUlSV_E_NS1_11comp_targetILNS1_3genE8ELNS1_11target_archE1030ELNS1_3gpuE2ELNS1_3repE0EEENS1_48merge_mergepath_partition_config_static_selectorELNS0_4arch9wavefront6targetE1EEEvSH_.uses_vcc, 0
	.set _ZN7rocprim17ROCPRIM_400000_NS6detail17trampoline_kernelINS0_14default_configENS1_38merge_sort_block_merge_config_selectorIhlEEZZNS1_27merge_sort_block_merge_implIS3_PhN6thrust23THRUST_200600_302600_NS10device_ptrIlEEjNS1_19radix_merge_compareILb0ELb1EhNS0_19identity_decomposerEEEEE10hipError_tT0_T1_T2_jT3_P12ihipStream_tbPNSt15iterator_traitsISG_E10value_typeEPNSM_ISH_E10value_typeEPSI_NS1_7vsmem_tEENKUlT_SG_SH_SI_E_clIS7_S7_PlSB_EESF_SV_SG_SH_SI_EUlSV_E_NS1_11comp_targetILNS1_3genE8ELNS1_11target_archE1030ELNS1_3gpuE2ELNS1_3repE0EEENS1_48merge_mergepath_partition_config_static_selectorELNS0_4arch9wavefront6targetE1EEEvSH_.uses_flat_scratch, 0
	.set _ZN7rocprim17ROCPRIM_400000_NS6detail17trampoline_kernelINS0_14default_configENS1_38merge_sort_block_merge_config_selectorIhlEEZZNS1_27merge_sort_block_merge_implIS3_PhN6thrust23THRUST_200600_302600_NS10device_ptrIlEEjNS1_19radix_merge_compareILb0ELb1EhNS0_19identity_decomposerEEEEE10hipError_tT0_T1_T2_jT3_P12ihipStream_tbPNSt15iterator_traitsISG_E10value_typeEPNSM_ISH_E10value_typeEPSI_NS1_7vsmem_tEENKUlT_SG_SH_SI_E_clIS7_S7_PlSB_EESF_SV_SG_SH_SI_EUlSV_E_NS1_11comp_targetILNS1_3genE8ELNS1_11target_archE1030ELNS1_3gpuE2ELNS1_3repE0EEENS1_48merge_mergepath_partition_config_static_selectorELNS0_4arch9wavefront6targetE1EEEvSH_.has_dyn_sized_stack, 0
	.set _ZN7rocprim17ROCPRIM_400000_NS6detail17trampoline_kernelINS0_14default_configENS1_38merge_sort_block_merge_config_selectorIhlEEZZNS1_27merge_sort_block_merge_implIS3_PhN6thrust23THRUST_200600_302600_NS10device_ptrIlEEjNS1_19radix_merge_compareILb0ELb1EhNS0_19identity_decomposerEEEEE10hipError_tT0_T1_T2_jT3_P12ihipStream_tbPNSt15iterator_traitsISG_E10value_typeEPNSM_ISH_E10value_typeEPSI_NS1_7vsmem_tEENKUlT_SG_SH_SI_E_clIS7_S7_PlSB_EESF_SV_SG_SH_SI_EUlSV_E_NS1_11comp_targetILNS1_3genE8ELNS1_11target_archE1030ELNS1_3gpuE2ELNS1_3repE0EEENS1_48merge_mergepath_partition_config_static_selectorELNS0_4arch9wavefront6targetE1EEEvSH_.has_recursion, 0
	.set _ZN7rocprim17ROCPRIM_400000_NS6detail17trampoline_kernelINS0_14default_configENS1_38merge_sort_block_merge_config_selectorIhlEEZZNS1_27merge_sort_block_merge_implIS3_PhN6thrust23THRUST_200600_302600_NS10device_ptrIlEEjNS1_19radix_merge_compareILb0ELb1EhNS0_19identity_decomposerEEEEE10hipError_tT0_T1_T2_jT3_P12ihipStream_tbPNSt15iterator_traitsISG_E10value_typeEPNSM_ISH_E10value_typeEPSI_NS1_7vsmem_tEENKUlT_SG_SH_SI_E_clIS7_S7_PlSB_EESF_SV_SG_SH_SI_EUlSV_E_NS1_11comp_targetILNS1_3genE8ELNS1_11target_archE1030ELNS1_3gpuE2ELNS1_3repE0EEENS1_48merge_mergepath_partition_config_static_selectorELNS0_4arch9wavefront6targetE1EEEvSH_.has_indirect_call, 0
	.section	.AMDGPU.csdata,"",@progbits
; Kernel info:
; codeLenInByte = 0
; TotalNumSgprs: 4
; NumVgprs: 0
; ScratchSize: 0
; MemoryBound: 0
; FloatMode: 240
; IeeeMode: 1
; LDSByteSize: 0 bytes/workgroup (compile time only)
; SGPRBlocks: 0
; VGPRBlocks: 0
; NumSGPRsForWavesPerEU: 4
; NumVGPRsForWavesPerEU: 1
; Occupancy: 10
; WaveLimiterHint : 0
; COMPUTE_PGM_RSRC2:SCRATCH_EN: 0
; COMPUTE_PGM_RSRC2:USER_SGPR: 6
; COMPUTE_PGM_RSRC2:TRAP_HANDLER: 0
; COMPUTE_PGM_RSRC2:TGID_X_EN: 1
; COMPUTE_PGM_RSRC2:TGID_Y_EN: 0
; COMPUTE_PGM_RSRC2:TGID_Z_EN: 0
; COMPUTE_PGM_RSRC2:TIDIG_COMP_CNT: 0
	.section	.text._ZN7rocprim17ROCPRIM_400000_NS6detail17trampoline_kernelINS0_14default_configENS1_38merge_sort_block_merge_config_selectorIhlEEZZNS1_27merge_sort_block_merge_implIS3_PhN6thrust23THRUST_200600_302600_NS10device_ptrIlEEjNS1_19radix_merge_compareILb0ELb1EhNS0_19identity_decomposerEEEEE10hipError_tT0_T1_T2_jT3_P12ihipStream_tbPNSt15iterator_traitsISG_E10value_typeEPNSM_ISH_E10value_typeEPSI_NS1_7vsmem_tEENKUlT_SG_SH_SI_E_clIS7_S7_PlSB_EESF_SV_SG_SH_SI_EUlSV_E0_NS1_11comp_targetILNS1_3genE0ELNS1_11target_archE4294967295ELNS1_3gpuE0ELNS1_3repE0EEENS1_38merge_mergepath_config_static_selectorELNS0_4arch9wavefront6targetE1EEEvSH_,"axG",@progbits,_ZN7rocprim17ROCPRIM_400000_NS6detail17trampoline_kernelINS0_14default_configENS1_38merge_sort_block_merge_config_selectorIhlEEZZNS1_27merge_sort_block_merge_implIS3_PhN6thrust23THRUST_200600_302600_NS10device_ptrIlEEjNS1_19radix_merge_compareILb0ELb1EhNS0_19identity_decomposerEEEEE10hipError_tT0_T1_T2_jT3_P12ihipStream_tbPNSt15iterator_traitsISG_E10value_typeEPNSM_ISH_E10value_typeEPSI_NS1_7vsmem_tEENKUlT_SG_SH_SI_E_clIS7_S7_PlSB_EESF_SV_SG_SH_SI_EUlSV_E0_NS1_11comp_targetILNS1_3genE0ELNS1_11target_archE4294967295ELNS1_3gpuE0ELNS1_3repE0EEENS1_38merge_mergepath_config_static_selectorELNS0_4arch9wavefront6targetE1EEEvSH_,comdat
	.protected	_ZN7rocprim17ROCPRIM_400000_NS6detail17trampoline_kernelINS0_14default_configENS1_38merge_sort_block_merge_config_selectorIhlEEZZNS1_27merge_sort_block_merge_implIS3_PhN6thrust23THRUST_200600_302600_NS10device_ptrIlEEjNS1_19radix_merge_compareILb0ELb1EhNS0_19identity_decomposerEEEEE10hipError_tT0_T1_T2_jT3_P12ihipStream_tbPNSt15iterator_traitsISG_E10value_typeEPNSM_ISH_E10value_typeEPSI_NS1_7vsmem_tEENKUlT_SG_SH_SI_E_clIS7_S7_PlSB_EESF_SV_SG_SH_SI_EUlSV_E0_NS1_11comp_targetILNS1_3genE0ELNS1_11target_archE4294967295ELNS1_3gpuE0ELNS1_3repE0EEENS1_38merge_mergepath_config_static_selectorELNS0_4arch9wavefront6targetE1EEEvSH_ ; -- Begin function _ZN7rocprim17ROCPRIM_400000_NS6detail17trampoline_kernelINS0_14default_configENS1_38merge_sort_block_merge_config_selectorIhlEEZZNS1_27merge_sort_block_merge_implIS3_PhN6thrust23THRUST_200600_302600_NS10device_ptrIlEEjNS1_19radix_merge_compareILb0ELb1EhNS0_19identity_decomposerEEEEE10hipError_tT0_T1_T2_jT3_P12ihipStream_tbPNSt15iterator_traitsISG_E10value_typeEPNSM_ISH_E10value_typeEPSI_NS1_7vsmem_tEENKUlT_SG_SH_SI_E_clIS7_S7_PlSB_EESF_SV_SG_SH_SI_EUlSV_E0_NS1_11comp_targetILNS1_3genE0ELNS1_11target_archE4294967295ELNS1_3gpuE0ELNS1_3repE0EEENS1_38merge_mergepath_config_static_selectorELNS0_4arch9wavefront6targetE1EEEvSH_
	.globl	_ZN7rocprim17ROCPRIM_400000_NS6detail17trampoline_kernelINS0_14default_configENS1_38merge_sort_block_merge_config_selectorIhlEEZZNS1_27merge_sort_block_merge_implIS3_PhN6thrust23THRUST_200600_302600_NS10device_ptrIlEEjNS1_19radix_merge_compareILb0ELb1EhNS0_19identity_decomposerEEEEE10hipError_tT0_T1_T2_jT3_P12ihipStream_tbPNSt15iterator_traitsISG_E10value_typeEPNSM_ISH_E10value_typeEPSI_NS1_7vsmem_tEENKUlT_SG_SH_SI_E_clIS7_S7_PlSB_EESF_SV_SG_SH_SI_EUlSV_E0_NS1_11comp_targetILNS1_3genE0ELNS1_11target_archE4294967295ELNS1_3gpuE0ELNS1_3repE0EEENS1_38merge_mergepath_config_static_selectorELNS0_4arch9wavefront6targetE1EEEvSH_
	.p2align	8
	.type	_ZN7rocprim17ROCPRIM_400000_NS6detail17trampoline_kernelINS0_14default_configENS1_38merge_sort_block_merge_config_selectorIhlEEZZNS1_27merge_sort_block_merge_implIS3_PhN6thrust23THRUST_200600_302600_NS10device_ptrIlEEjNS1_19radix_merge_compareILb0ELb1EhNS0_19identity_decomposerEEEEE10hipError_tT0_T1_T2_jT3_P12ihipStream_tbPNSt15iterator_traitsISG_E10value_typeEPNSM_ISH_E10value_typeEPSI_NS1_7vsmem_tEENKUlT_SG_SH_SI_E_clIS7_S7_PlSB_EESF_SV_SG_SH_SI_EUlSV_E0_NS1_11comp_targetILNS1_3genE0ELNS1_11target_archE4294967295ELNS1_3gpuE0ELNS1_3repE0EEENS1_38merge_mergepath_config_static_selectorELNS0_4arch9wavefront6targetE1EEEvSH_,@function
_ZN7rocprim17ROCPRIM_400000_NS6detail17trampoline_kernelINS0_14default_configENS1_38merge_sort_block_merge_config_selectorIhlEEZZNS1_27merge_sort_block_merge_implIS3_PhN6thrust23THRUST_200600_302600_NS10device_ptrIlEEjNS1_19radix_merge_compareILb0ELb1EhNS0_19identity_decomposerEEEEE10hipError_tT0_T1_T2_jT3_P12ihipStream_tbPNSt15iterator_traitsISG_E10value_typeEPNSM_ISH_E10value_typeEPSI_NS1_7vsmem_tEENKUlT_SG_SH_SI_E_clIS7_S7_PlSB_EESF_SV_SG_SH_SI_EUlSV_E0_NS1_11comp_targetILNS1_3genE0ELNS1_11target_archE4294967295ELNS1_3gpuE0ELNS1_3repE0EEENS1_38merge_mergepath_config_static_selectorELNS0_4arch9wavefront6targetE1EEEvSH_: ; @_ZN7rocprim17ROCPRIM_400000_NS6detail17trampoline_kernelINS0_14default_configENS1_38merge_sort_block_merge_config_selectorIhlEEZZNS1_27merge_sort_block_merge_implIS3_PhN6thrust23THRUST_200600_302600_NS10device_ptrIlEEjNS1_19radix_merge_compareILb0ELb1EhNS0_19identity_decomposerEEEEE10hipError_tT0_T1_T2_jT3_P12ihipStream_tbPNSt15iterator_traitsISG_E10value_typeEPNSM_ISH_E10value_typeEPSI_NS1_7vsmem_tEENKUlT_SG_SH_SI_E_clIS7_S7_PlSB_EESF_SV_SG_SH_SI_EUlSV_E0_NS1_11comp_targetILNS1_3genE0ELNS1_11target_archE4294967295ELNS1_3gpuE0ELNS1_3repE0EEENS1_38merge_mergepath_config_static_selectorELNS0_4arch9wavefront6targetE1EEEvSH_
; %bb.0:
	.section	.rodata,"a",@progbits
	.p2align	6, 0x0
	.amdhsa_kernel _ZN7rocprim17ROCPRIM_400000_NS6detail17trampoline_kernelINS0_14default_configENS1_38merge_sort_block_merge_config_selectorIhlEEZZNS1_27merge_sort_block_merge_implIS3_PhN6thrust23THRUST_200600_302600_NS10device_ptrIlEEjNS1_19radix_merge_compareILb0ELb1EhNS0_19identity_decomposerEEEEE10hipError_tT0_T1_T2_jT3_P12ihipStream_tbPNSt15iterator_traitsISG_E10value_typeEPNSM_ISH_E10value_typeEPSI_NS1_7vsmem_tEENKUlT_SG_SH_SI_E_clIS7_S7_PlSB_EESF_SV_SG_SH_SI_EUlSV_E0_NS1_11comp_targetILNS1_3genE0ELNS1_11target_archE4294967295ELNS1_3gpuE0ELNS1_3repE0EEENS1_38merge_mergepath_config_static_selectorELNS0_4arch9wavefront6targetE1EEEvSH_
		.amdhsa_group_segment_fixed_size 0
		.amdhsa_private_segment_fixed_size 0
		.amdhsa_kernarg_size 64
		.amdhsa_user_sgpr_count 6
		.amdhsa_user_sgpr_private_segment_buffer 1
		.amdhsa_user_sgpr_dispatch_ptr 0
		.amdhsa_user_sgpr_queue_ptr 0
		.amdhsa_user_sgpr_kernarg_segment_ptr 1
		.amdhsa_user_sgpr_dispatch_id 0
		.amdhsa_user_sgpr_flat_scratch_init 0
		.amdhsa_user_sgpr_private_segment_size 0
		.amdhsa_uses_dynamic_stack 0
		.amdhsa_system_sgpr_private_segment_wavefront_offset 0
		.amdhsa_system_sgpr_workgroup_id_x 1
		.amdhsa_system_sgpr_workgroup_id_y 0
		.amdhsa_system_sgpr_workgroup_id_z 0
		.amdhsa_system_sgpr_workgroup_info 0
		.amdhsa_system_vgpr_workitem_id 0
		.amdhsa_next_free_vgpr 1
		.amdhsa_next_free_sgpr 0
		.amdhsa_reserve_vcc 0
		.amdhsa_reserve_flat_scratch 0
		.amdhsa_float_round_mode_32 0
		.amdhsa_float_round_mode_16_64 0
		.amdhsa_float_denorm_mode_32 3
		.amdhsa_float_denorm_mode_16_64 3
		.amdhsa_dx10_clamp 1
		.amdhsa_ieee_mode 1
		.amdhsa_fp16_overflow 0
		.amdhsa_exception_fp_ieee_invalid_op 0
		.amdhsa_exception_fp_denorm_src 0
		.amdhsa_exception_fp_ieee_div_zero 0
		.amdhsa_exception_fp_ieee_overflow 0
		.amdhsa_exception_fp_ieee_underflow 0
		.amdhsa_exception_fp_ieee_inexact 0
		.amdhsa_exception_int_div_zero 0
	.end_amdhsa_kernel
	.section	.text._ZN7rocprim17ROCPRIM_400000_NS6detail17trampoline_kernelINS0_14default_configENS1_38merge_sort_block_merge_config_selectorIhlEEZZNS1_27merge_sort_block_merge_implIS3_PhN6thrust23THRUST_200600_302600_NS10device_ptrIlEEjNS1_19radix_merge_compareILb0ELb1EhNS0_19identity_decomposerEEEEE10hipError_tT0_T1_T2_jT3_P12ihipStream_tbPNSt15iterator_traitsISG_E10value_typeEPNSM_ISH_E10value_typeEPSI_NS1_7vsmem_tEENKUlT_SG_SH_SI_E_clIS7_S7_PlSB_EESF_SV_SG_SH_SI_EUlSV_E0_NS1_11comp_targetILNS1_3genE0ELNS1_11target_archE4294967295ELNS1_3gpuE0ELNS1_3repE0EEENS1_38merge_mergepath_config_static_selectorELNS0_4arch9wavefront6targetE1EEEvSH_,"axG",@progbits,_ZN7rocprim17ROCPRIM_400000_NS6detail17trampoline_kernelINS0_14default_configENS1_38merge_sort_block_merge_config_selectorIhlEEZZNS1_27merge_sort_block_merge_implIS3_PhN6thrust23THRUST_200600_302600_NS10device_ptrIlEEjNS1_19radix_merge_compareILb0ELb1EhNS0_19identity_decomposerEEEEE10hipError_tT0_T1_T2_jT3_P12ihipStream_tbPNSt15iterator_traitsISG_E10value_typeEPNSM_ISH_E10value_typeEPSI_NS1_7vsmem_tEENKUlT_SG_SH_SI_E_clIS7_S7_PlSB_EESF_SV_SG_SH_SI_EUlSV_E0_NS1_11comp_targetILNS1_3genE0ELNS1_11target_archE4294967295ELNS1_3gpuE0ELNS1_3repE0EEENS1_38merge_mergepath_config_static_selectorELNS0_4arch9wavefront6targetE1EEEvSH_,comdat
.Lfunc_end197:
	.size	_ZN7rocprim17ROCPRIM_400000_NS6detail17trampoline_kernelINS0_14default_configENS1_38merge_sort_block_merge_config_selectorIhlEEZZNS1_27merge_sort_block_merge_implIS3_PhN6thrust23THRUST_200600_302600_NS10device_ptrIlEEjNS1_19radix_merge_compareILb0ELb1EhNS0_19identity_decomposerEEEEE10hipError_tT0_T1_T2_jT3_P12ihipStream_tbPNSt15iterator_traitsISG_E10value_typeEPNSM_ISH_E10value_typeEPSI_NS1_7vsmem_tEENKUlT_SG_SH_SI_E_clIS7_S7_PlSB_EESF_SV_SG_SH_SI_EUlSV_E0_NS1_11comp_targetILNS1_3genE0ELNS1_11target_archE4294967295ELNS1_3gpuE0ELNS1_3repE0EEENS1_38merge_mergepath_config_static_selectorELNS0_4arch9wavefront6targetE1EEEvSH_, .Lfunc_end197-_ZN7rocprim17ROCPRIM_400000_NS6detail17trampoline_kernelINS0_14default_configENS1_38merge_sort_block_merge_config_selectorIhlEEZZNS1_27merge_sort_block_merge_implIS3_PhN6thrust23THRUST_200600_302600_NS10device_ptrIlEEjNS1_19radix_merge_compareILb0ELb1EhNS0_19identity_decomposerEEEEE10hipError_tT0_T1_T2_jT3_P12ihipStream_tbPNSt15iterator_traitsISG_E10value_typeEPNSM_ISH_E10value_typeEPSI_NS1_7vsmem_tEENKUlT_SG_SH_SI_E_clIS7_S7_PlSB_EESF_SV_SG_SH_SI_EUlSV_E0_NS1_11comp_targetILNS1_3genE0ELNS1_11target_archE4294967295ELNS1_3gpuE0ELNS1_3repE0EEENS1_38merge_mergepath_config_static_selectorELNS0_4arch9wavefront6targetE1EEEvSH_
                                        ; -- End function
	.set _ZN7rocprim17ROCPRIM_400000_NS6detail17trampoline_kernelINS0_14default_configENS1_38merge_sort_block_merge_config_selectorIhlEEZZNS1_27merge_sort_block_merge_implIS3_PhN6thrust23THRUST_200600_302600_NS10device_ptrIlEEjNS1_19radix_merge_compareILb0ELb1EhNS0_19identity_decomposerEEEEE10hipError_tT0_T1_T2_jT3_P12ihipStream_tbPNSt15iterator_traitsISG_E10value_typeEPNSM_ISH_E10value_typeEPSI_NS1_7vsmem_tEENKUlT_SG_SH_SI_E_clIS7_S7_PlSB_EESF_SV_SG_SH_SI_EUlSV_E0_NS1_11comp_targetILNS1_3genE0ELNS1_11target_archE4294967295ELNS1_3gpuE0ELNS1_3repE0EEENS1_38merge_mergepath_config_static_selectorELNS0_4arch9wavefront6targetE1EEEvSH_.num_vgpr, 0
	.set _ZN7rocprim17ROCPRIM_400000_NS6detail17trampoline_kernelINS0_14default_configENS1_38merge_sort_block_merge_config_selectorIhlEEZZNS1_27merge_sort_block_merge_implIS3_PhN6thrust23THRUST_200600_302600_NS10device_ptrIlEEjNS1_19radix_merge_compareILb0ELb1EhNS0_19identity_decomposerEEEEE10hipError_tT0_T1_T2_jT3_P12ihipStream_tbPNSt15iterator_traitsISG_E10value_typeEPNSM_ISH_E10value_typeEPSI_NS1_7vsmem_tEENKUlT_SG_SH_SI_E_clIS7_S7_PlSB_EESF_SV_SG_SH_SI_EUlSV_E0_NS1_11comp_targetILNS1_3genE0ELNS1_11target_archE4294967295ELNS1_3gpuE0ELNS1_3repE0EEENS1_38merge_mergepath_config_static_selectorELNS0_4arch9wavefront6targetE1EEEvSH_.num_agpr, 0
	.set _ZN7rocprim17ROCPRIM_400000_NS6detail17trampoline_kernelINS0_14default_configENS1_38merge_sort_block_merge_config_selectorIhlEEZZNS1_27merge_sort_block_merge_implIS3_PhN6thrust23THRUST_200600_302600_NS10device_ptrIlEEjNS1_19radix_merge_compareILb0ELb1EhNS0_19identity_decomposerEEEEE10hipError_tT0_T1_T2_jT3_P12ihipStream_tbPNSt15iterator_traitsISG_E10value_typeEPNSM_ISH_E10value_typeEPSI_NS1_7vsmem_tEENKUlT_SG_SH_SI_E_clIS7_S7_PlSB_EESF_SV_SG_SH_SI_EUlSV_E0_NS1_11comp_targetILNS1_3genE0ELNS1_11target_archE4294967295ELNS1_3gpuE0ELNS1_3repE0EEENS1_38merge_mergepath_config_static_selectorELNS0_4arch9wavefront6targetE1EEEvSH_.numbered_sgpr, 0
	.set _ZN7rocprim17ROCPRIM_400000_NS6detail17trampoline_kernelINS0_14default_configENS1_38merge_sort_block_merge_config_selectorIhlEEZZNS1_27merge_sort_block_merge_implIS3_PhN6thrust23THRUST_200600_302600_NS10device_ptrIlEEjNS1_19radix_merge_compareILb0ELb1EhNS0_19identity_decomposerEEEEE10hipError_tT0_T1_T2_jT3_P12ihipStream_tbPNSt15iterator_traitsISG_E10value_typeEPNSM_ISH_E10value_typeEPSI_NS1_7vsmem_tEENKUlT_SG_SH_SI_E_clIS7_S7_PlSB_EESF_SV_SG_SH_SI_EUlSV_E0_NS1_11comp_targetILNS1_3genE0ELNS1_11target_archE4294967295ELNS1_3gpuE0ELNS1_3repE0EEENS1_38merge_mergepath_config_static_selectorELNS0_4arch9wavefront6targetE1EEEvSH_.num_named_barrier, 0
	.set _ZN7rocprim17ROCPRIM_400000_NS6detail17trampoline_kernelINS0_14default_configENS1_38merge_sort_block_merge_config_selectorIhlEEZZNS1_27merge_sort_block_merge_implIS3_PhN6thrust23THRUST_200600_302600_NS10device_ptrIlEEjNS1_19radix_merge_compareILb0ELb1EhNS0_19identity_decomposerEEEEE10hipError_tT0_T1_T2_jT3_P12ihipStream_tbPNSt15iterator_traitsISG_E10value_typeEPNSM_ISH_E10value_typeEPSI_NS1_7vsmem_tEENKUlT_SG_SH_SI_E_clIS7_S7_PlSB_EESF_SV_SG_SH_SI_EUlSV_E0_NS1_11comp_targetILNS1_3genE0ELNS1_11target_archE4294967295ELNS1_3gpuE0ELNS1_3repE0EEENS1_38merge_mergepath_config_static_selectorELNS0_4arch9wavefront6targetE1EEEvSH_.private_seg_size, 0
	.set _ZN7rocprim17ROCPRIM_400000_NS6detail17trampoline_kernelINS0_14default_configENS1_38merge_sort_block_merge_config_selectorIhlEEZZNS1_27merge_sort_block_merge_implIS3_PhN6thrust23THRUST_200600_302600_NS10device_ptrIlEEjNS1_19radix_merge_compareILb0ELb1EhNS0_19identity_decomposerEEEEE10hipError_tT0_T1_T2_jT3_P12ihipStream_tbPNSt15iterator_traitsISG_E10value_typeEPNSM_ISH_E10value_typeEPSI_NS1_7vsmem_tEENKUlT_SG_SH_SI_E_clIS7_S7_PlSB_EESF_SV_SG_SH_SI_EUlSV_E0_NS1_11comp_targetILNS1_3genE0ELNS1_11target_archE4294967295ELNS1_3gpuE0ELNS1_3repE0EEENS1_38merge_mergepath_config_static_selectorELNS0_4arch9wavefront6targetE1EEEvSH_.uses_vcc, 0
	.set _ZN7rocprim17ROCPRIM_400000_NS6detail17trampoline_kernelINS0_14default_configENS1_38merge_sort_block_merge_config_selectorIhlEEZZNS1_27merge_sort_block_merge_implIS3_PhN6thrust23THRUST_200600_302600_NS10device_ptrIlEEjNS1_19radix_merge_compareILb0ELb1EhNS0_19identity_decomposerEEEEE10hipError_tT0_T1_T2_jT3_P12ihipStream_tbPNSt15iterator_traitsISG_E10value_typeEPNSM_ISH_E10value_typeEPSI_NS1_7vsmem_tEENKUlT_SG_SH_SI_E_clIS7_S7_PlSB_EESF_SV_SG_SH_SI_EUlSV_E0_NS1_11comp_targetILNS1_3genE0ELNS1_11target_archE4294967295ELNS1_3gpuE0ELNS1_3repE0EEENS1_38merge_mergepath_config_static_selectorELNS0_4arch9wavefront6targetE1EEEvSH_.uses_flat_scratch, 0
	.set _ZN7rocprim17ROCPRIM_400000_NS6detail17trampoline_kernelINS0_14default_configENS1_38merge_sort_block_merge_config_selectorIhlEEZZNS1_27merge_sort_block_merge_implIS3_PhN6thrust23THRUST_200600_302600_NS10device_ptrIlEEjNS1_19radix_merge_compareILb0ELb1EhNS0_19identity_decomposerEEEEE10hipError_tT0_T1_T2_jT3_P12ihipStream_tbPNSt15iterator_traitsISG_E10value_typeEPNSM_ISH_E10value_typeEPSI_NS1_7vsmem_tEENKUlT_SG_SH_SI_E_clIS7_S7_PlSB_EESF_SV_SG_SH_SI_EUlSV_E0_NS1_11comp_targetILNS1_3genE0ELNS1_11target_archE4294967295ELNS1_3gpuE0ELNS1_3repE0EEENS1_38merge_mergepath_config_static_selectorELNS0_4arch9wavefront6targetE1EEEvSH_.has_dyn_sized_stack, 0
	.set _ZN7rocprim17ROCPRIM_400000_NS6detail17trampoline_kernelINS0_14default_configENS1_38merge_sort_block_merge_config_selectorIhlEEZZNS1_27merge_sort_block_merge_implIS3_PhN6thrust23THRUST_200600_302600_NS10device_ptrIlEEjNS1_19radix_merge_compareILb0ELb1EhNS0_19identity_decomposerEEEEE10hipError_tT0_T1_T2_jT3_P12ihipStream_tbPNSt15iterator_traitsISG_E10value_typeEPNSM_ISH_E10value_typeEPSI_NS1_7vsmem_tEENKUlT_SG_SH_SI_E_clIS7_S7_PlSB_EESF_SV_SG_SH_SI_EUlSV_E0_NS1_11comp_targetILNS1_3genE0ELNS1_11target_archE4294967295ELNS1_3gpuE0ELNS1_3repE0EEENS1_38merge_mergepath_config_static_selectorELNS0_4arch9wavefront6targetE1EEEvSH_.has_recursion, 0
	.set _ZN7rocprim17ROCPRIM_400000_NS6detail17trampoline_kernelINS0_14default_configENS1_38merge_sort_block_merge_config_selectorIhlEEZZNS1_27merge_sort_block_merge_implIS3_PhN6thrust23THRUST_200600_302600_NS10device_ptrIlEEjNS1_19radix_merge_compareILb0ELb1EhNS0_19identity_decomposerEEEEE10hipError_tT0_T1_T2_jT3_P12ihipStream_tbPNSt15iterator_traitsISG_E10value_typeEPNSM_ISH_E10value_typeEPSI_NS1_7vsmem_tEENKUlT_SG_SH_SI_E_clIS7_S7_PlSB_EESF_SV_SG_SH_SI_EUlSV_E0_NS1_11comp_targetILNS1_3genE0ELNS1_11target_archE4294967295ELNS1_3gpuE0ELNS1_3repE0EEENS1_38merge_mergepath_config_static_selectorELNS0_4arch9wavefront6targetE1EEEvSH_.has_indirect_call, 0
	.section	.AMDGPU.csdata,"",@progbits
; Kernel info:
; codeLenInByte = 0
; TotalNumSgprs: 4
; NumVgprs: 0
; ScratchSize: 0
; MemoryBound: 0
; FloatMode: 240
; IeeeMode: 1
; LDSByteSize: 0 bytes/workgroup (compile time only)
; SGPRBlocks: 0
; VGPRBlocks: 0
; NumSGPRsForWavesPerEU: 4
; NumVGPRsForWavesPerEU: 1
; Occupancy: 10
; WaveLimiterHint : 0
; COMPUTE_PGM_RSRC2:SCRATCH_EN: 0
; COMPUTE_PGM_RSRC2:USER_SGPR: 6
; COMPUTE_PGM_RSRC2:TRAP_HANDLER: 0
; COMPUTE_PGM_RSRC2:TGID_X_EN: 1
; COMPUTE_PGM_RSRC2:TGID_Y_EN: 0
; COMPUTE_PGM_RSRC2:TGID_Z_EN: 0
; COMPUTE_PGM_RSRC2:TIDIG_COMP_CNT: 0
	.section	.text._ZN7rocprim17ROCPRIM_400000_NS6detail17trampoline_kernelINS0_14default_configENS1_38merge_sort_block_merge_config_selectorIhlEEZZNS1_27merge_sort_block_merge_implIS3_PhN6thrust23THRUST_200600_302600_NS10device_ptrIlEEjNS1_19radix_merge_compareILb0ELb1EhNS0_19identity_decomposerEEEEE10hipError_tT0_T1_T2_jT3_P12ihipStream_tbPNSt15iterator_traitsISG_E10value_typeEPNSM_ISH_E10value_typeEPSI_NS1_7vsmem_tEENKUlT_SG_SH_SI_E_clIS7_S7_PlSB_EESF_SV_SG_SH_SI_EUlSV_E0_NS1_11comp_targetILNS1_3genE10ELNS1_11target_archE1201ELNS1_3gpuE5ELNS1_3repE0EEENS1_38merge_mergepath_config_static_selectorELNS0_4arch9wavefront6targetE1EEEvSH_,"axG",@progbits,_ZN7rocprim17ROCPRIM_400000_NS6detail17trampoline_kernelINS0_14default_configENS1_38merge_sort_block_merge_config_selectorIhlEEZZNS1_27merge_sort_block_merge_implIS3_PhN6thrust23THRUST_200600_302600_NS10device_ptrIlEEjNS1_19radix_merge_compareILb0ELb1EhNS0_19identity_decomposerEEEEE10hipError_tT0_T1_T2_jT3_P12ihipStream_tbPNSt15iterator_traitsISG_E10value_typeEPNSM_ISH_E10value_typeEPSI_NS1_7vsmem_tEENKUlT_SG_SH_SI_E_clIS7_S7_PlSB_EESF_SV_SG_SH_SI_EUlSV_E0_NS1_11comp_targetILNS1_3genE10ELNS1_11target_archE1201ELNS1_3gpuE5ELNS1_3repE0EEENS1_38merge_mergepath_config_static_selectorELNS0_4arch9wavefront6targetE1EEEvSH_,comdat
	.protected	_ZN7rocprim17ROCPRIM_400000_NS6detail17trampoline_kernelINS0_14default_configENS1_38merge_sort_block_merge_config_selectorIhlEEZZNS1_27merge_sort_block_merge_implIS3_PhN6thrust23THRUST_200600_302600_NS10device_ptrIlEEjNS1_19radix_merge_compareILb0ELb1EhNS0_19identity_decomposerEEEEE10hipError_tT0_T1_T2_jT3_P12ihipStream_tbPNSt15iterator_traitsISG_E10value_typeEPNSM_ISH_E10value_typeEPSI_NS1_7vsmem_tEENKUlT_SG_SH_SI_E_clIS7_S7_PlSB_EESF_SV_SG_SH_SI_EUlSV_E0_NS1_11comp_targetILNS1_3genE10ELNS1_11target_archE1201ELNS1_3gpuE5ELNS1_3repE0EEENS1_38merge_mergepath_config_static_selectorELNS0_4arch9wavefront6targetE1EEEvSH_ ; -- Begin function _ZN7rocprim17ROCPRIM_400000_NS6detail17trampoline_kernelINS0_14default_configENS1_38merge_sort_block_merge_config_selectorIhlEEZZNS1_27merge_sort_block_merge_implIS3_PhN6thrust23THRUST_200600_302600_NS10device_ptrIlEEjNS1_19radix_merge_compareILb0ELb1EhNS0_19identity_decomposerEEEEE10hipError_tT0_T1_T2_jT3_P12ihipStream_tbPNSt15iterator_traitsISG_E10value_typeEPNSM_ISH_E10value_typeEPSI_NS1_7vsmem_tEENKUlT_SG_SH_SI_E_clIS7_S7_PlSB_EESF_SV_SG_SH_SI_EUlSV_E0_NS1_11comp_targetILNS1_3genE10ELNS1_11target_archE1201ELNS1_3gpuE5ELNS1_3repE0EEENS1_38merge_mergepath_config_static_selectorELNS0_4arch9wavefront6targetE1EEEvSH_
	.globl	_ZN7rocprim17ROCPRIM_400000_NS6detail17trampoline_kernelINS0_14default_configENS1_38merge_sort_block_merge_config_selectorIhlEEZZNS1_27merge_sort_block_merge_implIS3_PhN6thrust23THRUST_200600_302600_NS10device_ptrIlEEjNS1_19radix_merge_compareILb0ELb1EhNS0_19identity_decomposerEEEEE10hipError_tT0_T1_T2_jT3_P12ihipStream_tbPNSt15iterator_traitsISG_E10value_typeEPNSM_ISH_E10value_typeEPSI_NS1_7vsmem_tEENKUlT_SG_SH_SI_E_clIS7_S7_PlSB_EESF_SV_SG_SH_SI_EUlSV_E0_NS1_11comp_targetILNS1_3genE10ELNS1_11target_archE1201ELNS1_3gpuE5ELNS1_3repE0EEENS1_38merge_mergepath_config_static_selectorELNS0_4arch9wavefront6targetE1EEEvSH_
	.p2align	8
	.type	_ZN7rocprim17ROCPRIM_400000_NS6detail17trampoline_kernelINS0_14default_configENS1_38merge_sort_block_merge_config_selectorIhlEEZZNS1_27merge_sort_block_merge_implIS3_PhN6thrust23THRUST_200600_302600_NS10device_ptrIlEEjNS1_19radix_merge_compareILb0ELb1EhNS0_19identity_decomposerEEEEE10hipError_tT0_T1_T2_jT3_P12ihipStream_tbPNSt15iterator_traitsISG_E10value_typeEPNSM_ISH_E10value_typeEPSI_NS1_7vsmem_tEENKUlT_SG_SH_SI_E_clIS7_S7_PlSB_EESF_SV_SG_SH_SI_EUlSV_E0_NS1_11comp_targetILNS1_3genE10ELNS1_11target_archE1201ELNS1_3gpuE5ELNS1_3repE0EEENS1_38merge_mergepath_config_static_selectorELNS0_4arch9wavefront6targetE1EEEvSH_,@function
_ZN7rocprim17ROCPRIM_400000_NS6detail17trampoline_kernelINS0_14default_configENS1_38merge_sort_block_merge_config_selectorIhlEEZZNS1_27merge_sort_block_merge_implIS3_PhN6thrust23THRUST_200600_302600_NS10device_ptrIlEEjNS1_19radix_merge_compareILb0ELb1EhNS0_19identity_decomposerEEEEE10hipError_tT0_T1_T2_jT3_P12ihipStream_tbPNSt15iterator_traitsISG_E10value_typeEPNSM_ISH_E10value_typeEPSI_NS1_7vsmem_tEENKUlT_SG_SH_SI_E_clIS7_S7_PlSB_EESF_SV_SG_SH_SI_EUlSV_E0_NS1_11comp_targetILNS1_3genE10ELNS1_11target_archE1201ELNS1_3gpuE5ELNS1_3repE0EEENS1_38merge_mergepath_config_static_selectorELNS0_4arch9wavefront6targetE1EEEvSH_: ; @_ZN7rocprim17ROCPRIM_400000_NS6detail17trampoline_kernelINS0_14default_configENS1_38merge_sort_block_merge_config_selectorIhlEEZZNS1_27merge_sort_block_merge_implIS3_PhN6thrust23THRUST_200600_302600_NS10device_ptrIlEEjNS1_19radix_merge_compareILb0ELb1EhNS0_19identity_decomposerEEEEE10hipError_tT0_T1_T2_jT3_P12ihipStream_tbPNSt15iterator_traitsISG_E10value_typeEPNSM_ISH_E10value_typeEPSI_NS1_7vsmem_tEENKUlT_SG_SH_SI_E_clIS7_S7_PlSB_EESF_SV_SG_SH_SI_EUlSV_E0_NS1_11comp_targetILNS1_3genE10ELNS1_11target_archE1201ELNS1_3gpuE5ELNS1_3repE0EEENS1_38merge_mergepath_config_static_selectorELNS0_4arch9wavefront6targetE1EEEvSH_
; %bb.0:
	.section	.rodata,"a",@progbits
	.p2align	6, 0x0
	.amdhsa_kernel _ZN7rocprim17ROCPRIM_400000_NS6detail17trampoline_kernelINS0_14default_configENS1_38merge_sort_block_merge_config_selectorIhlEEZZNS1_27merge_sort_block_merge_implIS3_PhN6thrust23THRUST_200600_302600_NS10device_ptrIlEEjNS1_19radix_merge_compareILb0ELb1EhNS0_19identity_decomposerEEEEE10hipError_tT0_T1_T2_jT3_P12ihipStream_tbPNSt15iterator_traitsISG_E10value_typeEPNSM_ISH_E10value_typeEPSI_NS1_7vsmem_tEENKUlT_SG_SH_SI_E_clIS7_S7_PlSB_EESF_SV_SG_SH_SI_EUlSV_E0_NS1_11comp_targetILNS1_3genE10ELNS1_11target_archE1201ELNS1_3gpuE5ELNS1_3repE0EEENS1_38merge_mergepath_config_static_selectorELNS0_4arch9wavefront6targetE1EEEvSH_
		.amdhsa_group_segment_fixed_size 0
		.amdhsa_private_segment_fixed_size 0
		.amdhsa_kernarg_size 64
		.amdhsa_user_sgpr_count 6
		.amdhsa_user_sgpr_private_segment_buffer 1
		.amdhsa_user_sgpr_dispatch_ptr 0
		.amdhsa_user_sgpr_queue_ptr 0
		.amdhsa_user_sgpr_kernarg_segment_ptr 1
		.amdhsa_user_sgpr_dispatch_id 0
		.amdhsa_user_sgpr_flat_scratch_init 0
		.amdhsa_user_sgpr_private_segment_size 0
		.amdhsa_uses_dynamic_stack 0
		.amdhsa_system_sgpr_private_segment_wavefront_offset 0
		.amdhsa_system_sgpr_workgroup_id_x 1
		.amdhsa_system_sgpr_workgroup_id_y 0
		.amdhsa_system_sgpr_workgroup_id_z 0
		.amdhsa_system_sgpr_workgroup_info 0
		.amdhsa_system_vgpr_workitem_id 0
		.amdhsa_next_free_vgpr 1
		.amdhsa_next_free_sgpr 0
		.amdhsa_reserve_vcc 0
		.amdhsa_reserve_flat_scratch 0
		.amdhsa_float_round_mode_32 0
		.amdhsa_float_round_mode_16_64 0
		.amdhsa_float_denorm_mode_32 3
		.amdhsa_float_denorm_mode_16_64 3
		.amdhsa_dx10_clamp 1
		.amdhsa_ieee_mode 1
		.amdhsa_fp16_overflow 0
		.amdhsa_exception_fp_ieee_invalid_op 0
		.amdhsa_exception_fp_denorm_src 0
		.amdhsa_exception_fp_ieee_div_zero 0
		.amdhsa_exception_fp_ieee_overflow 0
		.amdhsa_exception_fp_ieee_underflow 0
		.amdhsa_exception_fp_ieee_inexact 0
		.amdhsa_exception_int_div_zero 0
	.end_amdhsa_kernel
	.section	.text._ZN7rocprim17ROCPRIM_400000_NS6detail17trampoline_kernelINS0_14default_configENS1_38merge_sort_block_merge_config_selectorIhlEEZZNS1_27merge_sort_block_merge_implIS3_PhN6thrust23THRUST_200600_302600_NS10device_ptrIlEEjNS1_19radix_merge_compareILb0ELb1EhNS0_19identity_decomposerEEEEE10hipError_tT0_T1_T2_jT3_P12ihipStream_tbPNSt15iterator_traitsISG_E10value_typeEPNSM_ISH_E10value_typeEPSI_NS1_7vsmem_tEENKUlT_SG_SH_SI_E_clIS7_S7_PlSB_EESF_SV_SG_SH_SI_EUlSV_E0_NS1_11comp_targetILNS1_3genE10ELNS1_11target_archE1201ELNS1_3gpuE5ELNS1_3repE0EEENS1_38merge_mergepath_config_static_selectorELNS0_4arch9wavefront6targetE1EEEvSH_,"axG",@progbits,_ZN7rocprim17ROCPRIM_400000_NS6detail17trampoline_kernelINS0_14default_configENS1_38merge_sort_block_merge_config_selectorIhlEEZZNS1_27merge_sort_block_merge_implIS3_PhN6thrust23THRUST_200600_302600_NS10device_ptrIlEEjNS1_19radix_merge_compareILb0ELb1EhNS0_19identity_decomposerEEEEE10hipError_tT0_T1_T2_jT3_P12ihipStream_tbPNSt15iterator_traitsISG_E10value_typeEPNSM_ISH_E10value_typeEPSI_NS1_7vsmem_tEENKUlT_SG_SH_SI_E_clIS7_S7_PlSB_EESF_SV_SG_SH_SI_EUlSV_E0_NS1_11comp_targetILNS1_3genE10ELNS1_11target_archE1201ELNS1_3gpuE5ELNS1_3repE0EEENS1_38merge_mergepath_config_static_selectorELNS0_4arch9wavefront6targetE1EEEvSH_,comdat
.Lfunc_end198:
	.size	_ZN7rocprim17ROCPRIM_400000_NS6detail17trampoline_kernelINS0_14default_configENS1_38merge_sort_block_merge_config_selectorIhlEEZZNS1_27merge_sort_block_merge_implIS3_PhN6thrust23THRUST_200600_302600_NS10device_ptrIlEEjNS1_19radix_merge_compareILb0ELb1EhNS0_19identity_decomposerEEEEE10hipError_tT0_T1_T2_jT3_P12ihipStream_tbPNSt15iterator_traitsISG_E10value_typeEPNSM_ISH_E10value_typeEPSI_NS1_7vsmem_tEENKUlT_SG_SH_SI_E_clIS7_S7_PlSB_EESF_SV_SG_SH_SI_EUlSV_E0_NS1_11comp_targetILNS1_3genE10ELNS1_11target_archE1201ELNS1_3gpuE5ELNS1_3repE0EEENS1_38merge_mergepath_config_static_selectorELNS0_4arch9wavefront6targetE1EEEvSH_, .Lfunc_end198-_ZN7rocprim17ROCPRIM_400000_NS6detail17trampoline_kernelINS0_14default_configENS1_38merge_sort_block_merge_config_selectorIhlEEZZNS1_27merge_sort_block_merge_implIS3_PhN6thrust23THRUST_200600_302600_NS10device_ptrIlEEjNS1_19radix_merge_compareILb0ELb1EhNS0_19identity_decomposerEEEEE10hipError_tT0_T1_T2_jT3_P12ihipStream_tbPNSt15iterator_traitsISG_E10value_typeEPNSM_ISH_E10value_typeEPSI_NS1_7vsmem_tEENKUlT_SG_SH_SI_E_clIS7_S7_PlSB_EESF_SV_SG_SH_SI_EUlSV_E0_NS1_11comp_targetILNS1_3genE10ELNS1_11target_archE1201ELNS1_3gpuE5ELNS1_3repE0EEENS1_38merge_mergepath_config_static_selectorELNS0_4arch9wavefront6targetE1EEEvSH_
                                        ; -- End function
	.set _ZN7rocprim17ROCPRIM_400000_NS6detail17trampoline_kernelINS0_14default_configENS1_38merge_sort_block_merge_config_selectorIhlEEZZNS1_27merge_sort_block_merge_implIS3_PhN6thrust23THRUST_200600_302600_NS10device_ptrIlEEjNS1_19radix_merge_compareILb0ELb1EhNS0_19identity_decomposerEEEEE10hipError_tT0_T1_T2_jT3_P12ihipStream_tbPNSt15iterator_traitsISG_E10value_typeEPNSM_ISH_E10value_typeEPSI_NS1_7vsmem_tEENKUlT_SG_SH_SI_E_clIS7_S7_PlSB_EESF_SV_SG_SH_SI_EUlSV_E0_NS1_11comp_targetILNS1_3genE10ELNS1_11target_archE1201ELNS1_3gpuE5ELNS1_3repE0EEENS1_38merge_mergepath_config_static_selectorELNS0_4arch9wavefront6targetE1EEEvSH_.num_vgpr, 0
	.set _ZN7rocprim17ROCPRIM_400000_NS6detail17trampoline_kernelINS0_14default_configENS1_38merge_sort_block_merge_config_selectorIhlEEZZNS1_27merge_sort_block_merge_implIS3_PhN6thrust23THRUST_200600_302600_NS10device_ptrIlEEjNS1_19radix_merge_compareILb0ELb1EhNS0_19identity_decomposerEEEEE10hipError_tT0_T1_T2_jT3_P12ihipStream_tbPNSt15iterator_traitsISG_E10value_typeEPNSM_ISH_E10value_typeEPSI_NS1_7vsmem_tEENKUlT_SG_SH_SI_E_clIS7_S7_PlSB_EESF_SV_SG_SH_SI_EUlSV_E0_NS1_11comp_targetILNS1_3genE10ELNS1_11target_archE1201ELNS1_3gpuE5ELNS1_3repE0EEENS1_38merge_mergepath_config_static_selectorELNS0_4arch9wavefront6targetE1EEEvSH_.num_agpr, 0
	.set _ZN7rocprim17ROCPRIM_400000_NS6detail17trampoline_kernelINS0_14default_configENS1_38merge_sort_block_merge_config_selectorIhlEEZZNS1_27merge_sort_block_merge_implIS3_PhN6thrust23THRUST_200600_302600_NS10device_ptrIlEEjNS1_19radix_merge_compareILb0ELb1EhNS0_19identity_decomposerEEEEE10hipError_tT0_T1_T2_jT3_P12ihipStream_tbPNSt15iterator_traitsISG_E10value_typeEPNSM_ISH_E10value_typeEPSI_NS1_7vsmem_tEENKUlT_SG_SH_SI_E_clIS7_S7_PlSB_EESF_SV_SG_SH_SI_EUlSV_E0_NS1_11comp_targetILNS1_3genE10ELNS1_11target_archE1201ELNS1_3gpuE5ELNS1_3repE0EEENS1_38merge_mergepath_config_static_selectorELNS0_4arch9wavefront6targetE1EEEvSH_.numbered_sgpr, 0
	.set _ZN7rocprim17ROCPRIM_400000_NS6detail17trampoline_kernelINS0_14default_configENS1_38merge_sort_block_merge_config_selectorIhlEEZZNS1_27merge_sort_block_merge_implIS3_PhN6thrust23THRUST_200600_302600_NS10device_ptrIlEEjNS1_19radix_merge_compareILb0ELb1EhNS0_19identity_decomposerEEEEE10hipError_tT0_T1_T2_jT3_P12ihipStream_tbPNSt15iterator_traitsISG_E10value_typeEPNSM_ISH_E10value_typeEPSI_NS1_7vsmem_tEENKUlT_SG_SH_SI_E_clIS7_S7_PlSB_EESF_SV_SG_SH_SI_EUlSV_E0_NS1_11comp_targetILNS1_3genE10ELNS1_11target_archE1201ELNS1_3gpuE5ELNS1_3repE0EEENS1_38merge_mergepath_config_static_selectorELNS0_4arch9wavefront6targetE1EEEvSH_.num_named_barrier, 0
	.set _ZN7rocprim17ROCPRIM_400000_NS6detail17trampoline_kernelINS0_14default_configENS1_38merge_sort_block_merge_config_selectorIhlEEZZNS1_27merge_sort_block_merge_implIS3_PhN6thrust23THRUST_200600_302600_NS10device_ptrIlEEjNS1_19radix_merge_compareILb0ELb1EhNS0_19identity_decomposerEEEEE10hipError_tT0_T1_T2_jT3_P12ihipStream_tbPNSt15iterator_traitsISG_E10value_typeEPNSM_ISH_E10value_typeEPSI_NS1_7vsmem_tEENKUlT_SG_SH_SI_E_clIS7_S7_PlSB_EESF_SV_SG_SH_SI_EUlSV_E0_NS1_11comp_targetILNS1_3genE10ELNS1_11target_archE1201ELNS1_3gpuE5ELNS1_3repE0EEENS1_38merge_mergepath_config_static_selectorELNS0_4arch9wavefront6targetE1EEEvSH_.private_seg_size, 0
	.set _ZN7rocprim17ROCPRIM_400000_NS6detail17trampoline_kernelINS0_14default_configENS1_38merge_sort_block_merge_config_selectorIhlEEZZNS1_27merge_sort_block_merge_implIS3_PhN6thrust23THRUST_200600_302600_NS10device_ptrIlEEjNS1_19radix_merge_compareILb0ELb1EhNS0_19identity_decomposerEEEEE10hipError_tT0_T1_T2_jT3_P12ihipStream_tbPNSt15iterator_traitsISG_E10value_typeEPNSM_ISH_E10value_typeEPSI_NS1_7vsmem_tEENKUlT_SG_SH_SI_E_clIS7_S7_PlSB_EESF_SV_SG_SH_SI_EUlSV_E0_NS1_11comp_targetILNS1_3genE10ELNS1_11target_archE1201ELNS1_3gpuE5ELNS1_3repE0EEENS1_38merge_mergepath_config_static_selectorELNS0_4arch9wavefront6targetE1EEEvSH_.uses_vcc, 0
	.set _ZN7rocprim17ROCPRIM_400000_NS6detail17trampoline_kernelINS0_14default_configENS1_38merge_sort_block_merge_config_selectorIhlEEZZNS1_27merge_sort_block_merge_implIS3_PhN6thrust23THRUST_200600_302600_NS10device_ptrIlEEjNS1_19radix_merge_compareILb0ELb1EhNS0_19identity_decomposerEEEEE10hipError_tT0_T1_T2_jT3_P12ihipStream_tbPNSt15iterator_traitsISG_E10value_typeEPNSM_ISH_E10value_typeEPSI_NS1_7vsmem_tEENKUlT_SG_SH_SI_E_clIS7_S7_PlSB_EESF_SV_SG_SH_SI_EUlSV_E0_NS1_11comp_targetILNS1_3genE10ELNS1_11target_archE1201ELNS1_3gpuE5ELNS1_3repE0EEENS1_38merge_mergepath_config_static_selectorELNS0_4arch9wavefront6targetE1EEEvSH_.uses_flat_scratch, 0
	.set _ZN7rocprim17ROCPRIM_400000_NS6detail17trampoline_kernelINS0_14default_configENS1_38merge_sort_block_merge_config_selectorIhlEEZZNS1_27merge_sort_block_merge_implIS3_PhN6thrust23THRUST_200600_302600_NS10device_ptrIlEEjNS1_19radix_merge_compareILb0ELb1EhNS0_19identity_decomposerEEEEE10hipError_tT0_T1_T2_jT3_P12ihipStream_tbPNSt15iterator_traitsISG_E10value_typeEPNSM_ISH_E10value_typeEPSI_NS1_7vsmem_tEENKUlT_SG_SH_SI_E_clIS7_S7_PlSB_EESF_SV_SG_SH_SI_EUlSV_E0_NS1_11comp_targetILNS1_3genE10ELNS1_11target_archE1201ELNS1_3gpuE5ELNS1_3repE0EEENS1_38merge_mergepath_config_static_selectorELNS0_4arch9wavefront6targetE1EEEvSH_.has_dyn_sized_stack, 0
	.set _ZN7rocprim17ROCPRIM_400000_NS6detail17trampoline_kernelINS0_14default_configENS1_38merge_sort_block_merge_config_selectorIhlEEZZNS1_27merge_sort_block_merge_implIS3_PhN6thrust23THRUST_200600_302600_NS10device_ptrIlEEjNS1_19radix_merge_compareILb0ELb1EhNS0_19identity_decomposerEEEEE10hipError_tT0_T1_T2_jT3_P12ihipStream_tbPNSt15iterator_traitsISG_E10value_typeEPNSM_ISH_E10value_typeEPSI_NS1_7vsmem_tEENKUlT_SG_SH_SI_E_clIS7_S7_PlSB_EESF_SV_SG_SH_SI_EUlSV_E0_NS1_11comp_targetILNS1_3genE10ELNS1_11target_archE1201ELNS1_3gpuE5ELNS1_3repE0EEENS1_38merge_mergepath_config_static_selectorELNS0_4arch9wavefront6targetE1EEEvSH_.has_recursion, 0
	.set _ZN7rocprim17ROCPRIM_400000_NS6detail17trampoline_kernelINS0_14default_configENS1_38merge_sort_block_merge_config_selectorIhlEEZZNS1_27merge_sort_block_merge_implIS3_PhN6thrust23THRUST_200600_302600_NS10device_ptrIlEEjNS1_19radix_merge_compareILb0ELb1EhNS0_19identity_decomposerEEEEE10hipError_tT0_T1_T2_jT3_P12ihipStream_tbPNSt15iterator_traitsISG_E10value_typeEPNSM_ISH_E10value_typeEPSI_NS1_7vsmem_tEENKUlT_SG_SH_SI_E_clIS7_S7_PlSB_EESF_SV_SG_SH_SI_EUlSV_E0_NS1_11comp_targetILNS1_3genE10ELNS1_11target_archE1201ELNS1_3gpuE5ELNS1_3repE0EEENS1_38merge_mergepath_config_static_selectorELNS0_4arch9wavefront6targetE1EEEvSH_.has_indirect_call, 0
	.section	.AMDGPU.csdata,"",@progbits
; Kernel info:
; codeLenInByte = 0
; TotalNumSgprs: 4
; NumVgprs: 0
; ScratchSize: 0
; MemoryBound: 0
; FloatMode: 240
; IeeeMode: 1
; LDSByteSize: 0 bytes/workgroup (compile time only)
; SGPRBlocks: 0
; VGPRBlocks: 0
; NumSGPRsForWavesPerEU: 4
; NumVGPRsForWavesPerEU: 1
; Occupancy: 10
; WaveLimiterHint : 0
; COMPUTE_PGM_RSRC2:SCRATCH_EN: 0
; COMPUTE_PGM_RSRC2:USER_SGPR: 6
; COMPUTE_PGM_RSRC2:TRAP_HANDLER: 0
; COMPUTE_PGM_RSRC2:TGID_X_EN: 1
; COMPUTE_PGM_RSRC2:TGID_Y_EN: 0
; COMPUTE_PGM_RSRC2:TGID_Z_EN: 0
; COMPUTE_PGM_RSRC2:TIDIG_COMP_CNT: 0
	.section	.text._ZN7rocprim17ROCPRIM_400000_NS6detail17trampoline_kernelINS0_14default_configENS1_38merge_sort_block_merge_config_selectorIhlEEZZNS1_27merge_sort_block_merge_implIS3_PhN6thrust23THRUST_200600_302600_NS10device_ptrIlEEjNS1_19radix_merge_compareILb0ELb1EhNS0_19identity_decomposerEEEEE10hipError_tT0_T1_T2_jT3_P12ihipStream_tbPNSt15iterator_traitsISG_E10value_typeEPNSM_ISH_E10value_typeEPSI_NS1_7vsmem_tEENKUlT_SG_SH_SI_E_clIS7_S7_PlSB_EESF_SV_SG_SH_SI_EUlSV_E0_NS1_11comp_targetILNS1_3genE5ELNS1_11target_archE942ELNS1_3gpuE9ELNS1_3repE0EEENS1_38merge_mergepath_config_static_selectorELNS0_4arch9wavefront6targetE1EEEvSH_,"axG",@progbits,_ZN7rocprim17ROCPRIM_400000_NS6detail17trampoline_kernelINS0_14default_configENS1_38merge_sort_block_merge_config_selectorIhlEEZZNS1_27merge_sort_block_merge_implIS3_PhN6thrust23THRUST_200600_302600_NS10device_ptrIlEEjNS1_19radix_merge_compareILb0ELb1EhNS0_19identity_decomposerEEEEE10hipError_tT0_T1_T2_jT3_P12ihipStream_tbPNSt15iterator_traitsISG_E10value_typeEPNSM_ISH_E10value_typeEPSI_NS1_7vsmem_tEENKUlT_SG_SH_SI_E_clIS7_S7_PlSB_EESF_SV_SG_SH_SI_EUlSV_E0_NS1_11comp_targetILNS1_3genE5ELNS1_11target_archE942ELNS1_3gpuE9ELNS1_3repE0EEENS1_38merge_mergepath_config_static_selectorELNS0_4arch9wavefront6targetE1EEEvSH_,comdat
	.protected	_ZN7rocprim17ROCPRIM_400000_NS6detail17trampoline_kernelINS0_14default_configENS1_38merge_sort_block_merge_config_selectorIhlEEZZNS1_27merge_sort_block_merge_implIS3_PhN6thrust23THRUST_200600_302600_NS10device_ptrIlEEjNS1_19radix_merge_compareILb0ELb1EhNS0_19identity_decomposerEEEEE10hipError_tT0_T1_T2_jT3_P12ihipStream_tbPNSt15iterator_traitsISG_E10value_typeEPNSM_ISH_E10value_typeEPSI_NS1_7vsmem_tEENKUlT_SG_SH_SI_E_clIS7_S7_PlSB_EESF_SV_SG_SH_SI_EUlSV_E0_NS1_11comp_targetILNS1_3genE5ELNS1_11target_archE942ELNS1_3gpuE9ELNS1_3repE0EEENS1_38merge_mergepath_config_static_selectorELNS0_4arch9wavefront6targetE1EEEvSH_ ; -- Begin function _ZN7rocprim17ROCPRIM_400000_NS6detail17trampoline_kernelINS0_14default_configENS1_38merge_sort_block_merge_config_selectorIhlEEZZNS1_27merge_sort_block_merge_implIS3_PhN6thrust23THRUST_200600_302600_NS10device_ptrIlEEjNS1_19radix_merge_compareILb0ELb1EhNS0_19identity_decomposerEEEEE10hipError_tT0_T1_T2_jT3_P12ihipStream_tbPNSt15iterator_traitsISG_E10value_typeEPNSM_ISH_E10value_typeEPSI_NS1_7vsmem_tEENKUlT_SG_SH_SI_E_clIS7_S7_PlSB_EESF_SV_SG_SH_SI_EUlSV_E0_NS1_11comp_targetILNS1_3genE5ELNS1_11target_archE942ELNS1_3gpuE9ELNS1_3repE0EEENS1_38merge_mergepath_config_static_selectorELNS0_4arch9wavefront6targetE1EEEvSH_
	.globl	_ZN7rocprim17ROCPRIM_400000_NS6detail17trampoline_kernelINS0_14default_configENS1_38merge_sort_block_merge_config_selectorIhlEEZZNS1_27merge_sort_block_merge_implIS3_PhN6thrust23THRUST_200600_302600_NS10device_ptrIlEEjNS1_19radix_merge_compareILb0ELb1EhNS0_19identity_decomposerEEEEE10hipError_tT0_T1_T2_jT3_P12ihipStream_tbPNSt15iterator_traitsISG_E10value_typeEPNSM_ISH_E10value_typeEPSI_NS1_7vsmem_tEENKUlT_SG_SH_SI_E_clIS7_S7_PlSB_EESF_SV_SG_SH_SI_EUlSV_E0_NS1_11comp_targetILNS1_3genE5ELNS1_11target_archE942ELNS1_3gpuE9ELNS1_3repE0EEENS1_38merge_mergepath_config_static_selectorELNS0_4arch9wavefront6targetE1EEEvSH_
	.p2align	8
	.type	_ZN7rocprim17ROCPRIM_400000_NS6detail17trampoline_kernelINS0_14default_configENS1_38merge_sort_block_merge_config_selectorIhlEEZZNS1_27merge_sort_block_merge_implIS3_PhN6thrust23THRUST_200600_302600_NS10device_ptrIlEEjNS1_19radix_merge_compareILb0ELb1EhNS0_19identity_decomposerEEEEE10hipError_tT0_T1_T2_jT3_P12ihipStream_tbPNSt15iterator_traitsISG_E10value_typeEPNSM_ISH_E10value_typeEPSI_NS1_7vsmem_tEENKUlT_SG_SH_SI_E_clIS7_S7_PlSB_EESF_SV_SG_SH_SI_EUlSV_E0_NS1_11comp_targetILNS1_3genE5ELNS1_11target_archE942ELNS1_3gpuE9ELNS1_3repE0EEENS1_38merge_mergepath_config_static_selectorELNS0_4arch9wavefront6targetE1EEEvSH_,@function
_ZN7rocprim17ROCPRIM_400000_NS6detail17trampoline_kernelINS0_14default_configENS1_38merge_sort_block_merge_config_selectorIhlEEZZNS1_27merge_sort_block_merge_implIS3_PhN6thrust23THRUST_200600_302600_NS10device_ptrIlEEjNS1_19radix_merge_compareILb0ELb1EhNS0_19identity_decomposerEEEEE10hipError_tT0_T1_T2_jT3_P12ihipStream_tbPNSt15iterator_traitsISG_E10value_typeEPNSM_ISH_E10value_typeEPSI_NS1_7vsmem_tEENKUlT_SG_SH_SI_E_clIS7_S7_PlSB_EESF_SV_SG_SH_SI_EUlSV_E0_NS1_11comp_targetILNS1_3genE5ELNS1_11target_archE942ELNS1_3gpuE9ELNS1_3repE0EEENS1_38merge_mergepath_config_static_selectorELNS0_4arch9wavefront6targetE1EEEvSH_: ; @_ZN7rocprim17ROCPRIM_400000_NS6detail17trampoline_kernelINS0_14default_configENS1_38merge_sort_block_merge_config_selectorIhlEEZZNS1_27merge_sort_block_merge_implIS3_PhN6thrust23THRUST_200600_302600_NS10device_ptrIlEEjNS1_19radix_merge_compareILb0ELb1EhNS0_19identity_decomposerEEEEE10hipError_tT0_T1_T2_jT3_P12ihipStream_tbPNSt15iterator_traitsISG_E10value_typeEPNSM_ISH_E10value_typeEPSI_NS1_7vsmem_tEENKUlT_SG_SH_SI_E_clIS7_S7_PlSB_EESF_SV_SG_SH_SI_EUlSV_E0_NS1_11comp_targetILNS1_3genE5ELNS1_11target_archE942ELNS1_3gpuE9ELNS1_3repE0EEENS1_38merge_mergepath_config_static_selectorELNS0_4arch9wavefront6targetE1EEEvSH_
; %bb.0:
	.section	.rodata,"a",@progbits
	.p2align	6, 0x0
	.amdhsa_kernel _ZN7rocprim17ROCPRIM_400000_NS6detail17trampoline_kernelINS0_14default_configENS1_38merge_sort_block_merge_config_selectorIhlEEZZNS1_27merge_sort_block_merge_implIS3_PhN6thrust23THRUST_200600_302600_NS10device_ptrIlEEjNS1_19radix_merge_compareILb0ELb1EhNS0_19identity_decomposerEEEEE10hipError_tT0_T1_T2_jT3_P12ihipStream_tbPNSt15iterator_traitsISG_E10value_typeEPNSM_ISH_E10value_typeEPSI_NS1_7vsmem_tEENKUlT_SG_SH_SI_E_clIS7_S7_PlSB_EESF_SV_SG_SH_SI_EUlSV_E0_NS1_11comp_targetILNS1_3genE5ELNS1_11target_archE942ELNS1_3gpuE9ELNS1_3repE0EEENS1_38merge_mergepath_config_static_selectorELNS0_4arch9wavefront6targetE1EEEvSH_
		.amdhsa_group_segment_fixed_size 0
		.amdhsa_private_segment_fixed_size 0
		.amdhsa_kernarg_size 64
		.amdhsa_user_sgpr_count 6
		.amdhsa_user_sgpr_private_segment_buffer 1
		.amdhsa_user_sgpr_dispatch_ptr 0
		.amdhsa_user_sgpr_queue_ptr 0
		.amdhsa_user_sgpr_kernarg_segment_ptr 1
		.amdhsa_user_sgpr_dispatch_id 0
		.amdhsa_user_sgpr_flat_scratch_init 0
		.amdhsa_user_sgpr_private_segment_size 0
		.amdhsa_uses_dynamic_stack 0
		.amdhsa_system_sgpr_private_segment_wavefront_offset 0
		.amdhsa_system_sgpr_workgroup_id_x 1
		.amdhsa_system_sgpr_workgroup_id_y 0
		.amdhsa_system_sgpr_workgroup_id_z 0
		.amdhsa_system_sgpr_workgroup_info 0
		.amdhsa_system_vgpr_workitem_id 0
		.amdhsa_next_free_vgpr 1
		.amdhsa_next_free_sgpr 0
		.amdhsa_reserve_vcc 0
		.amdhsa_reserve_flat_scratch 0
		.amdhsa_float_round_mode_32 0
		.amdhsa_float_round_mode_16_64 0
		.amdhsa_float_denorm_mode_32 3
		.amdhsa_float_denorm_mode_16_64 3
		.amdhsa_dx10_clamp 1
		.amdhsa_ieee_mode 1
		.amdhsa_fp16_overflow 0
		.amdhsa_exception_fp_ieee_invalid_op 0
		.amdhsa_exception_fp_denorm_src 0
		.amdhsa_exception_fp_ieee_div_zero 0
		.amdhsa_exception_fp_ieee_overflow 0
		.amdhsa_exception_fp_ieee_underflow 0
		.amdhsa_exception_fp_ieee_inexact 0
		.amdhsa_exception_int_div_zero 0
	.end_amdhsa_kernel
	.section	.text._ZN7rocprim17ROCPRIM_400000_NS6detail17trampoline_kernelINS0_14default_configENS1_38merge_sort_block_merge_config_selectorIhlEEZZNS1_27merge_sort_block_merge_implIS3_PhN6thrust23THRUST_200600_302600_NS10device_ptrIlEEjNS1_19radix_merge_compareILb0ELb1EhNS0_19identity_decomposerEEEEE10hipError_tT0_T1_T2_jT3_P12ihipStream_tbPNSt15iterator_traitsISG_E10value_typeEPNSM_ISH_E10value_typeEPSI_NS1_7vsmem_tEENKUlT_SG_SH_SI_E_clIS7_S7_PlSB_EESF_SV_SG_SH_SI_EUlSV_E0_NS1_11comp_targetILNS1_3genE5ELNS1_11target_archE942ELNS1_3gpuE9ELNS1_3repE0EEENS1_38merge_mergepath_config_static_selectorELNS0_4arch9wavefront6targetE1EEEvSH_,"axG",@progbits,_ZN7rocprim17ROCPRIM_400000_NS6detail17trampoline_kernelINS0_14default_configENS1_38merge_sort_block_merge_config_selectorIhlEEZZNS1_27merge_sort_block_merge_implIS3_PhN6thrust23THRUST_200600_302600_NS10device_ptrIlEEjNS1_19radix_merge_compareILb0ELb1EhNS0_19identity_decomposerEEEEE10hipError_tT0_T1_T2_jT3_P12ihipStream_tbPNSt15iterator_traitsISG_E10value_typeEPNSM_ISH_E10value_typeEPSI_NS1_7vsmem_tEENKUlT_SG_SH_SI_E_clIS7_S7_PlSB_EESF_SV_SG_SH_SI_EUlSV_E0_NS1_11comp_targetILNS1_3genE5ELNS1_11target_archE942ELNS1_3gpuE9ELNS1_3repE0EEENS1_38merge_mergepath_config_static_selectorELNS0_4arch9wavefront6targetE1EEEvSH_,comdat
.Lfunc_end199:
	.size	_ZN7rocprim17ROCPRIM_400000_NS6detail17trampoline_kernelINS0_14default_configENS1_38merge_sort_block_merge_config_selectorIhlEEZZNS1_27merge_sort_block_merge_implIS3_PhN6thrust23THRUST_200600_302600_NS10device_ptrIlEEjNS1_19radix_merge_compareILb0ELb1EhNS0_19identity_decomposerEEEEE10hipError_tT0_T1_T2_jT3_P12ihipStream_tbPNSt15iterator_traitsISG_E10value_typeEPNSM_ISH_E10value_typeEPSI_NS1_7vsmem_tEENKUlT_SG_SH_SI_E_clIS7_S7_PlSB_EESF_SV_SG_SH_SI_EUlSV_E0_NS1_11comp_targetILNS1_3genE5ELNS1_11target_archE942ELNS1_3gpuE9ELNS1_3repE0EEENS1_38merge_mergepath_config_static_selectorELNS0_4arch9wavefront6targetE1EEEvSH_, .Lfunc_end199-_ZN7rocprim17ROCPRIM_400000_NS6detail17trampoline_kernelINS0_14default_configENS1_38merge_sort_block_merge_config_selectorIhlEEZZNS1_27merge_sort_block_merge_implIS3_PhN6thrust23THRUST_200600_302600_NS10device_ptrIlEEjNS1_19radix_merge_compareILb0ELb1EhNS0_19identity_decomposerEEEEE10hipError_tT0_T1_T2_jT3_P12ihipStream_tbPNSt15iterator_traitsISG_E10value_typeEPNSM_ISH_E10value_typeEPSI_NS1_7vsmem_tEENKUlT_SG_SH_SI_E_clIS7_S7_PlSB_EESF_SV_SG_SH_SI_EUlSV_E0_NS1_11comp_targetILNS1_3genE5ELNS1_11target_archE942ELNS1_3gpuE9ELNS1_3repE0EEENS1_38merge_mergepath_config_static_selectorELNS0_4arch9wavefront6targetE1EEEvSH_
                                        ; -- End function
	.set _ZN7rocprim17ROCPRIM_400000_NS6detail17trampoline_kernelINS0_14default_configENS1_38merge_sort_block_merge_config_selectorIhlEEZZNS1_27merge_sort_block_merge_implIS3_PhN6thrust23THRUST_200600_302600_NS10device_ptrIlEEjNS1_19radix_merge_compareILb0ELb1EhNS0_19identity_decomposerEEEEE10hipError_tT0_T1_T2_jT3_P12ihipStream_tbPNSt15iterator_traitsISG_E10value_typeEPNSM_ISH_E10value_typeEPSI_NS1_7vsmem_tEENKUlT_SG_SH_SI_E_clIS7_S7_PlSB_EESF_SV_SG_SH_SI_EUlSV_E0_NS1_11comp_targetILNS1_3genE5ELNS1_11target_archE942ELNS1_3gpuE9ELNS1_3repE0EEENS1_38merge_mergepath_config_static_selectorELNS0_4arch9wavefront6targetE1EEEvSH_.num_vgpr, 0
	.set _ZN7rocprim17ROCPRIM_400000_NS6detail17trampoline_kernelINS0_14default_configENS1_38merge_sort_block_merge_config_selectorIhlEEZZNS1_27merge_sort_block_merge_implIS3_PhN6thrust23THRUST_200600_302600_NS10device_ptrIlEEjNS1_19radix_merge_compareILb0ELb1EhNS0_19identity_decomposerEEEEE10hipError_tT0_T1_T2_jT3_P12ihipStream_tbPNSt15iterator_traitsISG_E10value_typeEPNSM_ISH_E10value_typeEPSI_NS1_7vsmem_tEENKUlT_SG_SH_SI_E_clIS7_S7_PlSB_EESF_SV_SG_SH_SI_EUlSV_E0_NS1_11comp_targetILNS1_3genE5ELNS1_11target_archE942ELNS1_3gpuE9ELNS1_3repE0EEENS1_38merge_mergepath_config_static_selectorELNS0_4arch9wavefront6targetE1EEEvSH_.num_agpr, 0
	.set _ZN7rocprim17ROCPRIM_400000_NS6detail17trampoline_kernelINS0_14default_configENS1_38merge_sort_block_merge_config_selectorIhlEEZZNS1_27merge_sort_block_merge_implIS3_PhN6thrust23THRUST_200600_302600_NS10device_ptrIlEEjNS1_19radix_merge_compareILb0ELb1EhNS0_19identity_decomposerEEEEE10hipError_tT0_T1_T2_jT3_P12ihipStream_tbPNSt15iterator_traitsISG_E10value_typeEPNSM_ISH_E10value_typeEPSI_NS1_7vsmem_tEENKUlT_SG_SH_SI_E_clIS7_S7_PlSB_EESF_SV_SG_SH_SI_EUlSV_E0_NS1_11comp_targetILNS1_3genE5ELNS1_11target_archE942ELNS1_3gpuE9ELNS1_3repE0EEENS1_38merge_mergepath_config_static_selectorELNS0_4arch9wavefront6targetE1EEEvSH_.numbered_sgpr, 0
	.set _ZN7rocprim17ROCPRIM_400000_NS6detail17trampoline_kernelINS0_14default_configENS1_38merge_sort_block_merge_config_selectorIhlEEZZNS1_27merge_sort_block_merge_implIS3_PhN6thrust23THRUST_200600_302600_NS10device_ptrIlEEjNS1_19radix_merge_compareILb0ELb1EhNS0_19identity_decomposerEEEEE10hipError_tT0_T1_T2_jT3_P12ihipStream_tbPNSt15iterator_traitsISG_E10value_typeEPNSM_ISH_E10value_typeEPSI_NS1_7vsmem_tEENKUlT_SG_SH_SI_E_clIS7_S7_PlSB_EESF_SV_SG_SH_SI_EUlSV_E0_NS1_11comp_targetILNS1_3genE5ELNS1_11target_archE942ELNS1_3gpuE9ELNS1_3repE0EEENS1_38merge_mergepath_config_static_selectorELNS0_4arch9wavefront6targetE1EEEvSH_.num_named_barrier, 0
	.set _ZN7rocprim17ROCPRIM_400000_NS6detail17trampoline_kernelINS0_14default_configENS1_38merge_sort_block_merge_config_selectorIhlEEZZNS1_27merge_sort_block_merge_implIS3_PhN6thrust23THRUST_200600_302600_NS10device_ptrIlEEjNS1_19radix_merge_compareILb0ELb1EhNS0_19identity_decomposerEEEEE10hipError_tT0_T1_T2_jT3_P12ihipStream_tbPNSt15iterator_traitsISG_E10value_typeEPNSM_ISH_E10value_typeEPSI_NS1_7vsmem_tEENKUlT_SG_SH_SI_E_clIS7_S7_PlSB_EESF_SV_SG_SH_SI_EUlSV_E0_NS1_11comp_targetILNS1_3genE5ELNS1_11target_archE942ELNS1_3gpuE9ELNS1_3repE0EEENS1_38merge_mergepath_config_static_selectorELNS0_4arch9wavefront6targetE1EEEvSH_.private_seg_size, 0
	.set _ZN7rocprim17ROCPRIM_400000_NS6detail17trampoline_kernelINS0_14default_configENS1_38merge_sort_block_merge_config_selectorIhlEEZZNS1_27merge_sort_block_merge_implIS3_PhN6thrust23THRUST_200600_302600_NS10device_ptrIlEEjNS1_19radix_merge_compareILb0ELb1EhNS0_19identity_decomposerEEEEE10hipError_tT0_T1_T2_jT3_P12ihipStream_tbPNSt15iterator_traitsISG_E10value_typeEPNSM_ISH_E10value_typeEPSI_NS1_7vsmem_tEENKUlT_SG_SH_SI_E_clIS7_S7_PlSB_EESF_SV_SG_SH_SI_EUlSV_E0_NS1_11comp_targetILNS1_3genE5ELNS1_11target_archE942ELNS1_3gpuE9ELNS1_3repE0EEENS1_38merge_mergepath_config_static_selectorELNS0_4arch9wavefront6targetE1EEEvSH_.uses_vcc, 0
	.set _ZN7rocprim17ROCPRIM_400000_NS6detail17trampoline_kernelINS0_14default_configENS1_38merge_sort_block_merge_config_selectorIhlEEZZNS1_27merge_sort_block_merge_implIS3_PhN6thrust23THRUST_200600_302600_NS10device_ptrIlEEjNS1_19radix_merge_compareILb0ELb1EhNS0_19identity_decomposerEEEEE10hipError_tT0_T1_T2_jT3_P12ihipStream_tbPNSt15iterator_traitsISG_E10value_typeEPNSM_ISH_E10value_typeEPSI_NS1_7vsmem_tEENKUlT_SG_SH_SI_E_clIS7_S7_PlSB_EESF_SV_SG_SH_SI_EUlSV_E0_NS1_11comp_targetILNS1_3genE5ELNS1_11target_archE942ELNS1_3gpuE9ELNS1_3repE0EEENS1_38merge_mergepath_config_static_selectorELNS0_4arch9wavefront6targetE1EEEvSH_.uses_flat_scratch, 0
	.set _ZN7rocprim17ROCPRIM_400000_NS6detail17trampoline_kernelINS0_14default_configENS1_38merge_sort_block_merge_config_selectorIhlEEZZNS1_27merge_sort_block_merge_implIS3_PhN6thrust23THRUST_200600_302600_NS10device_ptrIlEEjNS1_19radix_merge_compareILb0ELb1EhNS0_19identity_decomposerEEEEE10hipError_tT0_T1_T2_jT3_P12ihipStream_tbPNSt15iterator_traitsISG_E10value_typeEPNSM_ISH_E10value_typeEPSI_NS1_7vsmem_tEENKUlT_SG_SH_SI_E_clIS7_S7_PlSB_EESF_SV_SG_SH_SI_EUlSV_E0_NS1_11comp_targetILNS1_3genE5ELNS1_11target_archE942ELNS1_3gpuE9ELNS1_3repE0EEENS1_38merge_mergepath_config_static_selectorELNS0_4arch9wavefront6targetE1EEEvSH_.has_dyn_sized_stack, 0
	.set _ZN7rocprim17ROCPRIM_400000_NS6detail17trampoline_kernelINS0_14default_configENS1_38merge_sort_block_merge_config_selectorIhlEEZZNS1_27merge_sort_block_merge_implIS3_PhN6thrust23THRUST_200600_302600_NS10device_ptrIlEEjNS1_19radix_merge_compareILb0ELb1EhNS0_19identity_decomposerEEEEE10hipError_tT0_T1_T2_jT3_P12ihipStream_tbPNSt15iterator_traitsISG_E10value_typeEPNSM_ISH_E10value_typeEPSI_NS1_7vsmem_tEENKUlT_SG_SH_SI_E_clIS7_S7_PlSB_EESF_SV_SG_SH_SI_EUlSV_E0_NS1_11comp_targetILNS1_3genE5ELNS1_11target_archE942ELNS1_3gpuE9ELNS1_3repE0EEENS1_38merge_mergepath_config_static_selectorELNS0_4arch9wavefront6targetE1EEEvSH_.has_recursion, 0
	.set _ZN7rocprim17ROCPRIM_400000_NS6detail17trampoline_kernelINS0_14default_configENS1_38merge_sort_block_merge_config_selectorIhlEEZZNS1_27merge_sort_block_merge_implIS3_PhN6thrust23THRUST_200600_302600_NS10device_ptrIlEEjNS1_19radix_merge_compareILb0ELb1EhNS0_19identity_decomposerEEEEE10hipError_tT0_T1_T2_jT3_P12ihipStream_tbPNSt15iterator_traitsISG_E10value_typeEPNSM_ISH_E10value_typeEPSI_NS1_7vsmem_tEENKUlT_SG_SH_SI_E_clIS7_S7_PlSB_EESF_SV_SG_SH_SI_EUlSV_E0_NS1_11comp_targetILNS1_3genE5ELNS1_11target_archE942ELNS1_3gpuE9ELNS1_3repE0EEENS1_38merge_mergepath_config_static_selectorELNS0_4arch9wavefront6targetE1EEEvSH_.has_indirect_call, 0
	.section	.AMDGPU.csdata,"",@progbits
; Kernel info:
; codeLenInByte = 0
; TotalNumSgprs: 4
; NumVgprs: 0
; ScratchSize: 0
; MemoryBound: 0
; FloatMode: 240
; IeeeMode: 1
; LDSByteSize: 0 bytes/workgroup (compile time only)
; SGPRBlocks: 0
; VGPRBlocks: 0
; NumSGPRsForWavesPerEU: 4
; NumVGPRsForWavesPerEU: 1
; Occupancy: 10
; WaveLimiterHint : 0
; COMPUTE_PGM_RSRC2:SCRATCH_EN: 0
; COMPUTE_PGM_RSRC2:USER_SGPR: 6
; COMPUTE_PGM_RSRC2:TRAP_HANDLER: 0
; COMPUTE_PGM_RSRC2:TGID_X_EN: 1
; COMPUTE_PGM_RSRC2:TGID_Y_EN: 0
; COMPUTE_PGM_RSRC2:TGID_Z_EN: 0
; COMPUTE_PGM_RSRC2:TIDIG_COMP_CNT: 0
	.section	.text._ZN7rocprim17ROCPRIM_400000_NS6detail17trampoline_kernelINS0_14default_configENS1_38merge_sort_block_merge_config_selectorIhlEEZZNS1_27merge_sort_block_merge_implIS3_PhN6thrust23THRUST_200600_302600_NS10device_ptrIlEEjNS1_19radix_merge_compareILb0ELb1EhNS0_19identity_decomposerEEEEE10hipError_tT0_T1_T2_jT3_P12ihipStream_tbPNSt15iterator_traitsISG_E10value_typeEPNSM_ISH_E10value_typeEPSI_NS1_7vsmem_tEENKUlT_SG_SH_SI_E_clIS7_S7_PlSB_EESF_SV_SG_SH_SI_EUlSV_E0_NS1_11comp_targetILNS1_3genE4ELNS1_11target_archE910ELNS1_3gpuE8ELNS1_3repE0EEENS1_38merge_mergepath_config_static_selectorELNS0_4arch9wavefront6targetE1EEEvSH_,"axG",@progbits,_ZN7rocprim17ROCPRIM_400000_NS6detail17trampoline_kernelINS0_14default_configENS1_38merge_sort_block_merge_config_selectorIhlEEZZNS1_27merge_sort_block_merge_implIS3_PhN6thrust23THRUST_200600_302600_NS10device_ptrIlEEjNS1_19radix_merge_compareILb0ELb1EhNS0_19identity_decomposerEEEEE10hipError_tT0_T1_T2_jT3_P12ihipStream_tbPNSt15iterator_traitsISG_E10value_typeEPNSM_ISH_E10value_typeEPSI_NS1_7vsmem_tEENKUlT_SG_SH_SI_E_clIS7_S7_PlSB_EESF_SV_SG_SH_SI_EUlSV_E0_NS1_11comp_targetILNS1_3genE4ELNS1_11target_archE910ELNS1_3gpuE8ELNS1_3repE0EEENS1_38merge_mergepath_config_static_selectorELNS0_4arch9wavefront6targetE1EEEvSH_,comdat
	.protected	_ZN7rocprim17ROCPRIM_400000_NS6detail17trampoline_kernelINS0_14default_configENS1_38merge_sort_block_merge_config_selectorIhlEEZZNS1_27merge_sort_block_merge_implIS3_PhN6thrust23THRUST_200600_302600_NS10device_ptrIlEEjNS1_19radix_merge_compareILb0ELb1EhNS0_19identity_decomposerEEEEE10hipError_tT0_T1_T2_jT3_P12ihipStream_tbPNSt15iterator_traitsISG_E10value_typeEPNSM_ISH_E10value_typeEPSI_NS1_7vsmem_tEENKUlT_SG_SH_SI_E_clIS7_S7_PlSB_EESF_SV_SG_SH_SI_EUlSV_E0_NS1_11comp_targetILNS1_3genE4ELNS1_11target_archE910ELNS1_3gpuE8ELNS1_3repE0EEENS1_38merge_mergepath_config_static_selectorELNS0_4arch9wavefront6targetE1EEEvSH_ ; -- Begin function _ZN7rocprim17ROCPRIM_400000_NS6detail17trampoline_kernelINS0_14default_configENS1_38merge_sort_block_merge_config_selectorIhlEEZZNS1_27merge_sort_block_merge_implIS3_PhN6thrust23THRUST_200600_302600_NS10device_ptrIlEEjNS1_19radix_merge_compareILb0ELb1EhNS0_19identity_decomposerEEEEE10hipError_tT0_T1_T2_jT3_P12ihipStream_tbPNSt15iterator_traitsISG_E10value_typeEPNSM_ISH_E10value_typeEPSI_NS1_7vsmem_tEENKUlT_SG_SH_SI_E_clIS7_S7_PlSB_EESF_SV_SG_SH_SI_EUlSV_E0_NS1_11comp_targetILNS1_3genE4ELNS1_11target_archE910ELNS1_3gpuE8ELNS1_3repE0EEENS1_38merge_mergepath_config_static_selectorELNS0_4arch9wavefront6targetE1EEEvSH_
	.globl	_ZN7rocprim17ROCPRIM_400000_NS6detail17trampoline_kernelINS0_14default_configENS1_38merge_sort_block_merge_config_selectorIhlEEZZNS1_27merge_sort_block_merge_implIS3_PhN6thrust23THRUST_200600_302600_NS10device_ptrIlEEjNS1_19radix_merge_compareILb0ELb1EhNS0_19identity_decomposerEEEEE10hipError_tT0_T1_T2_jT3_P12ihipStream_tbPNSt15iterator_traitsISG_E10value_typeEPNSM_ISH_E10value_typeEPSI_NS1_7vsmem_tEENKUlT_SG_SH_SI_E_clIS7_S7_PlSB_EESF_SV_SG_SH_SI_EUlSV_E0_NS1_11comp_targetILNS1_3genE4ELNS1_11target_archE910ELNS1_3gpuE8ELNS1_3repE0EEENS1_38merge_mergepath_config_static_selectorELNS0_4arch9wavefront6targetE1EEEvSH_
	.p2align	8
	.type	_ZN7rocprim17ROCPRIM_400000_NS6detail17trampoline_kernelINS0_14default_configENS1_38merge_sort_block_merge_config_selectorIhlEEZZNS1_27merge_sort_block_merge_implIS3_PhN6thrust23THRUST_200600_302600_NS10device_ptrIlEEjNS1_19radix_merge_compareILb0ELb1EhNS0_19identity_decomposerEEEEE10hipError_tT0_T1_T2_jT3_P12ihipStream_tbPNSt15iterator_traitsISG_E10value_typeEPNSM_ISH_E10value_typeEPSI_NS1_7vsmem_tEENKUlT_SG_SH_SI_E_clIS7_S7_PlSB_EESF_SV_SG_SH_SI_EUlSV_E0_NS1_11comp_targetILNS1_3genE4ELNS1_11target_archE910ELNS1_3gpuE8ELNS1_3repE0EEENS1_38merge_mergepath_config_static_selectorELNS0_4arch9wavefront6targetE1EEEvSH_,@function
_ZN7rocprim17ROCPRIM_400000_NS6detail17trampoline_kernelINS0_14default_configENS1_38merge_sort_block_merge_config_selectorIhlEEZZNS1_27merge_sort_block_merge_implIS3_PhN6thrust23THRUST_200600_302600_NS10device_ptrIlEEjNS1_19radix_merge_compareILb0ELb1EhNS0_19identity_decomposerEEEEE10hipError_tT0_T1_T2_jT3_P12ihipStream_tbPNSt15iterator_traitsISG_E10value_typeEPNSM_ISH_E10value_typeEPSI_NS1_7vsmem_tEENKUlT_SG_SH_SI_E_clIS7_S7_PlSB_EESF_SV_SG_SH_SI_EUlSV_E0_NS1_11comp_targetILNS1_3genE4ELNS1_11target_archE910ELNS1_3gpuE8ELNS1_3repE0EEENS1_38merge_mergepath_config_static_selectorELNS0_4arch9wavefront6targetE1EEEvSH_: ; @_ZN7rocprim17ROCPRIM_400000_NS6detail17trampoline_kernelINS0_14default_configENS1_38merge_sort_block_merge_config_selectorIhlEEZZNS1_27merge_sort_block_merge_implIS3_PhN6thrust23THRUST_200600_302600_NS10device_ptrIlEEjNS1_19radix_merge_compareILb0ELb1EhNS0_19identity_decomposerEEEEE10hipError_tT0_T1_T2_jT3_P12ihipStream_tbPNSt15iterator_traitsISG_E10value_typeEPNSM_ISH_E10value_typeEPSI_NS1_7vsmem_tEENKUlT_SG_SH_SI_E_clIS7_S7_PlSB_EESF_SV_SG_SH_SI_EUlSV_E0_NS1_11comp_targetILNS1_3genE4ELNS1_11target_archE910ELNS1_3gpuE8ELNS1_3repE0EEENS1_38merge_mergepath_config_static_selectorELNS0_4arch9wavefront6targetE1EEEvSH_
; %bb.0:
	.section	.rodata,"a",@progbits
	.p2align	6, 0x0
	.amdhsa_kernel _ZN7rocprim17ROCPRIM_400000_NS6detail17trampoline_kernelINS0_14default_configENS1_38merge_sort_block_merge_config_selectorIhlEEZZNS1_27merge_sort_block_merge_implIS3_PhN6thrust23THRUST_200600_302600_NS10device_ptrIlEEjNS1_19radix_merge_compareILb0ELb1EhNS0_19identity_decomposerEEEEE10hipError_tT0_T1_T2_jT3_P12ihipStream_tbPNSt15iterator_traitsISG_E10value_typeEPNSM_ISH_E10value_typeEPSI_NS1_7vsmem_tEENKUlT_SG_SH_SI_E_clIS7_S7_PlSB_EESF_SV_SG_SH_SI_EUlSV_E0_NS1_11comp_targetILNS1_3genE4ELNS1_11target_archE910ELNS1_3gpuE8ELNS1_3repE0EEENS1_38merge_mergepath_config_static_selectorELNS0_4arch9wavefront6targetE1EEEvSH_
		.amdhsa_group_segment_fixed_size 0
		.amdhsa_private_segment_fixed_size 0
		.amdhsa_kernarg_size 64
		.amdhsa_user_sgpr_count 6
		.amdhsa_user_sgpr_private_segment_buffer 1
		.amdhsa_user_sgpr_dispatch_ptr 0
		.amdhsa_user_sgpr_queue_ptr 0
		.amdhsa_user_sgpr_kernarg_segment_ptr 1
		.amdhsa_user_sgpr_dispatch_id 0
		.amdhsa_user_sgpr_flat_scratch_init 0
		.amdhsa_user_sgpr_private_segment_size 0
		.amdhsa_uses_dynamic_stack 0
		.amdhsa_system_sgpr_private_segment_wavefront_offset 0
		.amdhsa_system_sgpr_workgroup_id_x 1
		.amdhsa_system_sgpr_workgroup_id_y 0
		.amdhsa_system_sgpr_workgroup_id_z 0
		.amdhsa_system_sgpr_workgroup_info 0
		.amdhsa_system_vgpr_workitem_id 0
		.amdhsa_next_free_vgpr 1
		.amdhsa_next_free_sgpr 0
		.amdhsa_reserve_vcc 0
		.amdhsa_reserve_flat_scratch 0
		.amdhsa_float_round_mode_32 0
		.amdhsa_float_round_mode_16_64 0
		.amdhsa_float_denorm_mode_32 3
		.amdhsa_float_denorm_mode_16_64 3
		.amdhsa_dx10_clamp 1
		.amdhsa_ieee_mode 1
		.amdhsa_fp16_overflow 0
		.amdhsa_exception_fp_ieee_invalid_op 0
		.amdhsa_exception_fp_denorm_src 0
		.amdhsa_exception_fp_ieee_div_zero 0
		.amdhsa_exception_fp_ieee_overflow 0
		.amdhsa_exception_fp_ieee_underflow 0
		.amdhsa_exception_fp_ieee_inexact 0
		.amdhsa_exception_int_div_zero 0
	.end_amdhsa_kernel
	.section	.text._ZN7rocprim17ROCPRIM_400000_NS6detail17trampoline_kernelINS0_14default_configENS1_38merge_sort_block_merge_config_selectorIhlEEZZNS1_27merge_sort_block_merge_implIS3_PhN6thrust23THRUST_200600_302600_NS10device_ptrIlEEjNS1_19radix_merge_compareILb0ELb1EhNS0_19identity_decomposerEEEEE10hipError_tT0_T1_T2_jT3_P12ihipStream_tbPNSt15iterator_traitsISG_E10value_typeEPNSM_ISH_E10value_typeEPSI_NS1_7vsmem_tEENKUlT_SG_SH_SI_E_clIS7_S7_PlSB_EESF_SV_SG_SH_SI_EUlSV_E0_NS1_11comp_targetILNS1_3genE4ELNS1_11target_archE910ELNS1_3gpuE8ELNS1_3repE0EEENS1_38merge_mergepath_config_static_selectorELNS0_4arch9wavefront6targetE1EEEvSH_,"axG",@progbits,_ZN7rocprim17ROCPRIM_400000_NS6detail17trampoline_kernelINS0_14default_configENS1_38merge_sort_block_merge_config_selectorIhlEEZZNS1_27merge_sort_block_merge_implIS3_PhN6thrust23THRUST_200600_302600_NS10device_ptrIlEEjNS1_19radix_merge_compareILb0ELb1EhNS0_19identity_decomposerEEEEE10hipError_tT0_T1_T2_jT3_P12ihipStream_tbPNSt15iterator_traitsISG_E10value_typeEPNSM_ISH_E10value_typeEPSI_NS1_7vsmem_tEENKUlT_SG_SH_SI_E_clIS7_S7_PlSB_EESF_SV_SG_SH_SI_EUlSV_E0_NS1_11comp_targetILNS1_3genE4ELNS1_11target_archE910ELNS1_3gpuE8ELNS1_3repE0EEENS1_38merge_mergepath_config_static_selectorELNS0_4arch9wavefront6targetE1EEEvSH_,comdat
.Lfunc_end200:
	.size	_ZN7rocprim17ROCPRIM_400000_NS6detail17trampoline_kernelINS0_14default_configENS1_38merge_sort_block_merge_config_selectorIhlEEZZNS1_27merge_sort_block_merge_implIS3_PhN6thrust23THRUST_200600_302600_NS10device_ptrIlEEjNS1_19radix_merge_compareILb0ELb1EhNS0_19identity_decomposerEEEEE10hipError_tT0_T1_T2_jT3_P12ihipStream_tbPNSt15iterator_traitsISG_E10value_typeEPNSM_ISH_E10value_typeEPSI_NS1_7vsmem_tEENKUlT_SG_SH_SI_E_clIS7_S7_PlSB_EESF_SV_SG_SH_SI_EUlSV_E0_NS1_11comp_targetILNS1_3genE4ELNS1_11target_archE910ELNS1_3gpuE8ELNS1_3repE0EEENS1_38merge_mergepath_config_static_selectorELNS0_4arch9wavefront6targetE1EEEvSH_, .Lfunc_end200-_ZN7rocprim17ROCPRIM_400000_NS6detail17trampoline_kernelINS0_14default_configENS1_38merge_sort_block_merge_config_selectorIhlEEZZNS1_27merge_sort_block_merge_implIS3_PhN6thrust23THRUST_200600_302600_NS10device_ptrIlEEjNS1_19radix_merge_compareILb0ELb1EhNS0_19identity_decomposerEEEEE10hipError_tT0_T1_T2_jT3_P12ihipStream_tbPNSt15iterator_traitsISG_E10value_typeEPNSM_ISH_E10value_typeEPSI_NS1_7vsmem_tEENKUlT_SG_SH_SI_E_clIS7_S7_PlSB_EESF_SV_SG_SH_SI_EUlSV_E0_NS1_11comp_targetILNS1_3genE4ELNS1_11target_archE910ELNS1_3gpuE8ELNS1_3repE0EEENS1_38merge_mergepath_config_static_selectorELNS0_4arch9wavefront6targetE1EEEvSH_
                                        ; -- End function
	.set _ZN7rocprim17ROCPRIM_400000_NS6detail17trampoline_kernelINS0_14default_configENS1_38merge_sort_block_merge_config_selectorIhlEEZZNS1_27merge_sort_block_merge_implIS3_PhN6thrust23THRUST_200600_302600_NS10device_ptrIlEEjNS1_19radix_merge_compareILb0ELb1EhNS0_19identity_decomposerEEEEE10hipError_tT0_T1_T2_jT3_P12ihipStream_tbPNSt15iterator_traitsISG_E10value_typeEPNSM_ISH_E10value_typeEPSI_NS1_7vsmem_tEENKUlT_SG_SH_SI_E_clIS7_S7_PlSB_EESF_SV_SG_SH_SI_EUlSV_E0_NS1_11comp_targetILNS1_3genE4ELNS1_11target_archE910ELNS1_3gpuE8ELNS1_3repE0EEENS1_38merge_mergepath_config_static_selectorELNS0_4arch9wavefront6targetE1EEEvSH_.num_vgpr, 0
	.set _ZN7rocprim17ROCPRIM_400000_NS6detail17trampoline_kernelINS0_14default_configENS1_38merge_sort_block_merge_config_selectorIhlEEZZNS1_27merge_sort_block_merge_implIS3_PhN6thrust23THRUST_200600_302600_NS10device_ptrIlEEjNS1_19radix_merge_compareILb0ELb1EhNS0_19identity_decomposerEEEEE10hipError_tT0_T1_T2_jT3_P12ihipStream_tbPNSt15iterator_traitsISG_E10value_typeEPNSM_ISH_E10value_typeEPSI_NS1_7vsmem_tEENKUlT_SG_SH_SI_E_clIS7_S7_PlSB_EESF_SV_SG_SH_SI_EUlSV_E0_NS1_11comp_targetILNS1_3genE4ELNS1_11target_archE910ELNS1_3gpuE8ELNS1_3repE0EEENS1_38merge_mergepath_config_static_selectorELNS0_4arch9wavefront6targetE1EEEvSH_.num_agpr, 0
	.set _ZN7rocprim17ROCPRIM_400000_NS6detail17trampoline_kernelINS0_14default_configENS1_38merge_sort_block_merge_config_selectorIhlEEZZNS1_27merge_sort_block_merge_implIS3_PhN6thrust23THRUST_200600_302600_NS10device_ptrIlEEjNS1_19radix_merge_compareILb0ELb1EhNS0_19identity_decomposerEEEEE10hipError_tT0_T1_T2_jT3_P12ihipStream_tbPNSt15iterator_traitsISG_E10value_typeEPNSM_ISH_E10value_typeEPSI_NS1_7vsmem_tEENKUlT_SG_SH_SI_E_clIS7_S7_PlSB_EESF_SV_SG_SH_SI_EUlSV_E0_NS1_11comp_targetILNS1_3genE4ELNS1_11target_archE910ELNS1_3gpuE8ELNS1_3repE0EEENS1_38merge_mergepath_config_static_selectorELNS0_4arch9wavefront6targetE1EEEvSH_.numbered_sgpr, 0
	.set _ZN7rocprim17ROCPRIM_400000_NS6detail17trampoline_kernelINS0_14default_configENS1_38merge_sort_block_merge_config_selectorIhlEEZZNS1_27merge_sort_block_merge_implIS3_PhN6thrust23THRUST_200600_302600_NS10device_ptrIlEEjNS1_19radix_merge_compareILb0ELb1EhNS0_19identity_decomposerEEEEE10hipError_tT0_T1_T2_jT3_P12ihipStream_tbPNSt15iterator_traitsISG_E10value_typeEPNSM_ISH_E10value_typeEPSI_NS1_7vsmem_tEENKUlT_SG_SH_SI_E_clIS7_S7_PlSB_EESF_SV_SG_SH_SI_EUlSV_E0_NS1_11comp_targetILNS1_3genE4ELNS1_11target_archE910ELNS1_3gpuE8ELNS1_3repE0EEENS1_38merge_mergepath_config_static_selectorELNS0_4arch9wavefront6targetE1EEEvSH_.num_named_barrier, 0
	.set _ZN7rocprim17ROCPRIM_400000_NS6detail17trampoline_kernelINS0_14default_configENS1_38merge_sort_block_merge_config_selectorIhlEEZZNS1_27merge_sort_block_merge_implIS3_PhN6thrust23THRUST_200600_302600_NS10device_ptrIlEEjNS1_19radix_merge_compareILb0ELb1EhNS0_19identity_decomposerEEEEE10hipError_tT0_T1_T2_jT3_P12ihipStream_tbPNSt15iterator_traitsISG_E10value_typeEPNSM_ISH_E10value_typeEPSI_NS1_7vsmem_tEENKUlT_SG_SH_SI_E_clIS7_S7_PlSB_EESF_SV_SG_SH_SI_EUlSV_E0_NS1_11comp_targetILNS1_3genE4ELNS1_11target_archE910ELNS1_3gpuE8ELNS1_3repE0EEENS1_38merge_mergepath_config_static_selectorELNS0_4arch9wavefront6targetE1EEEvSH_.private_seg_size, 0
	.set _ZN7rocprim17ROCPRIM_400000_NS6detail17trampoline_kernelINS0_14default_configENS1_38merge_sort_block_merge_config_selectorIhlEEZZNS1_27merge_sort_block_merge_implIS3_PhN6thrust23THRUST_200600_302600_NS10device_ptrIlEEjNS1_19radix_merge_compareILb0ELb1EhNS0_19identity_decomposerEEEEE10hipError_tT0_T1_T2_jT3_P12ihipStream_tbPNSt15iterator_traitsISG_E10value_typeEPNSM_ISH_E10value_typeEPSI_NS1_7vsmem_tEENKUlT_SG_SH_SI_E_clIS7_S7_PlSB_EESF_SV_SG_SH_SI_EUlSV_E0_NS1_11comp_targetILNS1_3genE4ELNS1_11target_archE910ELNS1_3gpuE8ELNS1_3repE0EEENS1_38merge_mergepath_config_static_selectorELNS0_4arch9wavefront6targetE1EEEvSH_.uses_vcc, 0
	.set _ZN7rocprim17ROCPRIM_400000_NS6detail17trampoline_kernelINS0_14default_configENS1_38merge_sort_block_merge_config_selectorIhlEEZZNS1_27merge_sort_block_merge_implIS3_PhN6thrust23THRUST_200600_302600_NS10device_ptrIlEEjNS1_19radix_merge_compareILb0ELb1EhNS0_19identity_decomposerEEEEE10hipError_tT0_T1_T2_jT3_P12ihipStream_tbPNSt15iterator_traitsISG_E10value_typeEPNSM_ISH_E10value_typeEPSI_NS1_7vsmem_tEENKUlT_SG_SH_SI_E_clIS7_S7_PlSB_EESF_SV_SG_SH_SI_EUlSV_E0_NS1_11comp_targetILNS1_3genE4ELNS1_11target_archE910ELNS1_3gpuE8ELNS1_3repE0EEENS1_38merge_mergepath_config_static_selectorELNS0_4arch9wavefront6targetE1EEEvSH_.uses_flat_scratch, 0
	.set _ZN7rocprim17ROCPRIM_400000_NS6detail17trampoline_kernelINS0_14default_configENS1_38merge_sort_block_merge_config_selectorIhlEEZZNS1_27merge_sort_block_merge_implIS3_PhN6thrust23THRUST_200600_302600_NS10device_ptrIlEEjNS1_19radix_merge_compareILb0ELb1EhNS0_19identity_decomposerEEEEE10hipError_tT0_T1_T2_jT3_P12ihipStream_tbPNSt15iterator_traitsISG_E10value_typeEPNSM_ISH_E10value_typeEPSI_NS1_7vsmem_tEENKUlT_SG_SH_SI_E_clIS7_S7_PlSB_EESF_SV_SG_SH_SI_EUlSV_E0_NS1_11comp_targetILNS1_3genE4ELNS1_11target_archE910ELNS1_3gpuE8ELNS1_3repE0EEENS1_38merge_mergepath_config_static_selectorELNS0_4arch9wavefront6targetE1EEEvSH_.has_dyn_sized_stack, 0
	.set _ZN7rocprim17ROCPRIM_400000_NS6detail17trampoline_kernelINS0_14default_configENS1_38merge_sort_block_merge_config_selectorIhlEEZZNS1_27merge_sort_block_merge_implIS3_PhN6thrust23THRUST_200600_302600_NS10device_ptrIlEEjNS1_19radix_merge_compareILb0ELb1EhNS0_19identity_decomposerEEEEE10hipError_tT0_T1_T2_jT3_P12ihipStream_tbPNSt15iterator_traitsISG_E10value_typeEPNSM_ISH_E10value_typeEPSI_NS1_7vsmem_tEENKUlT_SG_SH_SI_E_clIS7_S7_PlSB_EESF_SV_SG_SH_SI_EUlSV_E0_NS1_11comp_targetILNS1_3genE4ELNS1_11target_archE910ELNS1_3gpuE8ELNS1_3repE0EEENS1_38merge_mergepath_config_static_selectorELNS0_4arch9wavefront6targetE1EEEvSH_.has_recursion, 0
	.set _ZN7rocprim17ROCPRIM_400000_NS6detail17trampoline_kernelINS0_14default_configENS1_38merge_sort_block_merge_config_selectorIhlEEZZNS1_27merge_sort_block_merge_implIS3_PhN6thrust23THRUST_200600_302600_NS10device_ptrIlEEjNS1_19radix_merge_compareILb0ELb1EhNS0_19identity_decomposerEEEEE10hipError_tT0_T1_T2_jT3_P12ihipStream_tbPNSt15iterator_traitsISG_E10value_typeEPNSM_ISH_E10value_typeEPSI_NS1_7vsmem_tEENKUlT_SG_SH_SI_E_clIS7_S7_PlSB_EESF_SV_SG_SH_SI_EUlSV_E0_NS1_11comp_targetILNS1_3genE4ELNS1_11target_archE910ELNS1_3gpuE8ELNS1_3repE0EEENS1_38merge_mergepath_config_static_selectorELNS0_4arch9wavefront6targetE1EEEvSH_.has_indirect_call, 0
	.section	.AMDGPU.csdata,"",@progbits
; Kernel info:
; codeLenInByte = 0
; TotalNumSgprs: 4
; NumVgprs: 0
; ScratchSize: 0
; MemoryBound: 0
; FloatMode: 240
; IeeeMode: 1
; LDSByteSize: 0 bytes/workgroup (compile time only)
; SGPRBlocks: 0
; VGPRBlocks: 0
; NumSGPRsForWavesPerEU: 4
; NumVGPRsForWavesPerEU: 1
; Occupancy: 10
; WaveLimiterHint : 0
; COMPUTE_PGM_RSRC2:SCRATCH_EN: 0
; COMPUTE_PGM_RSRC2:USER_SGPR: 6
; COMPUTE_PGM_RSRC2:TRAP_HANDLER: 0
; COMPUTE_PGM_RSRC2:TGID_X_EN: 1
; COMPUTE_PGM_RSRC2:TGID_Y_EN: 0
; COMPUTE_PGM_RSRC2:TGID_Z_EN: 0
; COMPUTE_PGM_RSRC2:TIDIG_COMP_CNT: 0
	.section	.text._ZN7rocprim17ROCPRIM_400000_NS6detail17trampoline_kernelINS0_14default_configENS1_38merge_sort_block_merge_config_selectorIhlEEZZNS1_27merge_sort_block_merge_implIS3_PhN6thrust23THRUST_200600_302600_NS10device_ptrIlEEjNS1_19radix_merge_compareILb0ELb1EhNS0_19identity_decomposerEEEEE10hipError_tT0_T1_T2_jT3_P12ihipStream_tbPNSt15iterator_traitsISG_E10value_typeEPNSM_ISH_E10value_typeEPSI_NS1_7vsmem_tEENKUlT_SG_SH_SI_E_clIS7_S7_PlSB_EESF_SV_SG_SH_SI_EUlSV_E0_NS1_11comp_targetILNS1_3genE3ELNS1_11target_archE908ELNS1_3gpuE7ELNS1_3repE0EEENS1_38merge_mergepath_config_static_selectorELNS0_4arch9wavefront6targetE1EEEvSH_,"axG",@progbits,_ZN7rocprim17ROCPRIM_400000_NS6detail17trampoline_kernelINS0_14default_configENS1_38merge_sort_block_merge_config_selectorIhlEEZZNS1_27merge_sort_block_merge_implIS3_PhN6thrust23THRUST_200600_302600_NS10device_ptrIlEEjNS1_19radix_merge_compareILb0ELb1EhNS0_19identity_decomposerEEEEE10hipError_tT0_T1_T2_jT3_P12ihipStream_tbPNSt15iterator_traitsISG_E10value_typeEPNSM_ISH_E10value_typeEPSI_NS1_7vsmem_tEENKUlT_SG_SH_SI_E_clIS7_S7_PlSB_EESF_SV_SG_SH_SI_EUlSV_E0_NS1_11comp_targetILNS1_3genE3ELNS1_11target_archE908ELNS1_3gpuE7ELNS1_3repE0EEENS1_38merge_mergepath_config_static_selectorELNS0_4arch9wavefront6targetE1EEEvSH_,comdat
	.protected	_ZN7rocprim17ROCPRIM_400000_NS6detail17trampoline_kernelINS0_14default_configENS1_38merge_sort_block_merge_config_selectorIhlEEZZNS1_27merge_sort_block_merge_implIS3_PhN6thrust23THRUST_200600_302600_NS10device_ptrIlEEjNS1_19radix_merge_compareILb0ELb1EhNS0_19identity_decomposerEEEEE10hipError_tT0_T1_T2_jT3_P12ihipStream_tbPNSt15iterator_traitsISG_E10value_typeEPNSM_ISH_E10value_typeEPSI_NS1_7vsmem_tEENKUlT_SG_SH_SI_E_clIS7_S7_PlSB_EESF_SV_SG_SH_SI_EUlSV_E0_NS1_11comp_targetILNS1_3genE3ELNS1_11target_archE908ELNS1_3gpuE7ELNS1_3repE0EEENS1_38merge_mergepath_config_static_selectorELNS0_4arch9wavefront6targetE1EEEvSH_ ; -- Begin function _ZN7rocprim17ROCPRIM_400000_NS6detail17trampoline_kernelINS0_14default_configENS1_38merge_sort_block_merge_config_selectorIhlEEZZNS1_27merge_sort_block_merge_implIS3_PhN6thrust23THRUST_200600_302600_NS10device_ptrIlEEjNS1_19radix_merge_compareILb0ELb1EhNS0_19identity_decomposerEEEEE10hipError_tT0_T1_T2_jT3_P12ihipStream_tbPNSt15iterator_traitsISG_E10value_typeEPNSM_ISH_E10value_typeEPSI_NS1_7vsmem_tEENKUlT_SG_SH_SI_E_clIS7_S7_PlSB_EESF_SV_SG_SH_SI_EUlSV_E0_NS1_11comp_targetILNS1_3genE3ELNS1_11target_archE908ELNS1_3gpuE7ELNS1_3repE0EEENS1_38merge_mergepath_config_static_selectorELNS0_4arch9wavefront6targetE1EEEvSH_
	.globl	_ZN7rocprim17ROCPRIM_400000_NS6detail17trampoline_kernelINS0_14default_configENS1_38merge_sort_block_merge_config_selectorIhlEEZZNS1_27merge_sort_block_merge_implIS3_PhN6thrust23THRUST_200600_302600_NS10device_ptrIlEEjNS1_19radix_merge_compareILb0ELb1EhNS0_19identity_decomposerEEEEE10hipError_tT0_T1_T2_jT3_P12ihipStream_tbPNSt15iterator_traitsISG_E10value_typeEPNSM_ISH_E10value_typeEPSI_NS1_7vsmem_tEENKUlT_SG_SH_SI_E_clIS7_S7_PlSB_EESF_SV_SG_SH_SI_EUlSV_E0_NS1_11comp_targetILNS1_3genE3ELNS1_11target_archE908ELNS1_3gpuE7ELNS1_3repE0EEENS1_38merge_mergepath_config_static_selectorELNS0_4arch9wavefront6targetE1EEEvSH_
	.p2align	8
	.type	_ZN7rocprim17ROCPRIM_400000_NS6detail17trampoline_kernelINS0_14default_configENS1_38merge_sort_block_merge_config_selectorIhlEEZZNS1_27merge_sort_block_merge_implIS3_PhN6thrust23THRUST_200600_302600_NS10device_ptrIlEEjNS1_19radix_merge_compareILb0ELb1EhNS0_19identity_decomposerEEEEE10hipError_tT0_T1_T2_jT3_P12ihipStream_tbPNSt15iterator_traitsISG_E10value_typeEPNSM_ISH_E10value_typeEPSI_NS1_7vsmem_tEENKUlT_SG_SH_SI_E_clIS7_S7_PlSB_EESF_SV_SG_SH_SI_EUlSV_E0_NS1_11comp_targetILNS1_3genE3ELNS1_11target_archE908ELNS1_3gpuE7ELNS1_3repE0EEENS1_38merge_mergepath_config_static_selectorELNS0_4arch9wavefront6targetE1EEEvSH_,@function
_ZN7rocprim17ROCPRIM_400000_NS6detail17trampoline_kernelINS0_14default_configENS1_38merge_sort_block_merge_config_selectorIhlEEZZNS1_27merge_sort_block_merge_implIS3_PhN6thrust23THRUST_200600_302600_NS10device_ptrIlEEjNS1_19radix_merge_compareILb0ELb1EhNS0_19identity_decomposerEEEEE10hipError_tT0_T1_T2_jT3_P12ihipStream_tbPNSt15iterator_traitsISG_E10value_typeEPNSM_ISH_E10value_typeEPSI_NS1_7vsmem_tEENKUlT_SG_SH_SI_E_clIS7_S7_PlSB_EESF_SV_SG_SH_SI_EUlSV_E0_NS1_11comp_targetILNS1_3genE3ELNS1_11target_archE908ELNS1_3gpuE7ELNS1_3repE0EEENS1_38merge_mergepath_config_static_selectorELNS0_4arch9wavefront6targetE1EEEvSH_: ; @_ZN7rocprim17ROCPRIM_400000_NS6detail17trampoline_kernelINS0_14default_configENS1_38merge_sort_block_merge_config_selectorIhlEEZZNS1_27merge_sort_block_merge_implIS3_PhN6thrust23THRUST_200600_302600_NS10device_ptrIlEEjNS1_19radix_merge_compareILb0ELb1EhNS0_19identity_decomposerEEEEE10hipError_tT0_T1_T2_jT3_P12ihipStream_tbPNSt15iterator_traitsISG_E10value_typeEPNSM_ISH_E10value_typeEPSI_NS1_7vsmem_tEENKUlT_SG_SH_SI_E_clIS7_S7_PlSB_EESF_SV_SG_SH_SI_EUlSV_E0_NS1_11comp_targetILNS1_3genE3ELNS1_11target_archE908ELNS1_3gpuE7ELNS1_3repE0EEENS1_38merge_mergepath_config_static_selectorELNS0_4arch9wavefront6targetE1EEEvSH_
; %bb.0:
	.section	.rodata,"a",@progbits
	.p2align	6, 0x0
	.amdhsa_kernel _ZN7rocprim17ROCPRIM_400000_NS6detail17trampoline_kernelINS0_14default_configENS1_38merge_sort_block_merge_config_selectorIhlEEZZNS1_27merge_sort_block_merge_implIS3_PhN6thrust23THRUST_200600_302600_NS10device_ptrIlEEjNS1_19radix_merge_compareILb0ELb1EhNS0_19identity_decomposerEEEEE10hipError_tT0_T1_T2_jT3_P12ihipStream_tbPNSt15iterator_traitsISG_E10value_typeEPNSM_ISH_E10value_typeEPSI_NS1_7vsmem_tEENKUlT_SG_SH_SI_E_clIS7_S7_PlSB_EESF_SV_SG_SH_SI_EUlSV_E0_NS1_11comp_targetILNS1_3genE3ELNS1_11target_archE908ELNS1_3gpuE7ELNS1_3repE0EEENS1_38merge_mergepath_config_static_selectorELNS0_4arch9wavefront6targetE1EEEvSH_
		.amdhsa_group_segment_fixed_size 0
		.amdhsa_private_segment_fixed_size 0
		.amdhsa_kernarg_size 64
		.amdhsa_user_sgpr_count 6
		.amdhsa_user_sgpr_private_segment_buffer 1
		.amdhsa_user_sgpr_dispatch_ptr 0
		.amdhsa_user_sgpr_queue_ptr 0
		.amdhsa_user_sgpr_kernarg_segment_ptr 1
		.amdhsa_user_sgpr_dispatch_id 0
		.amdhsa_user_sgpr_flat_scratch_init 0
		.amdhsa_user_sgpr_private_segment_size 0
		.amdhsa_uses_dynamic_stack 0
		.amdhsa_system_sgpr_private_segment_wavefront_offset 0
		.amdhsa_system_sgpr_workgroup_id_x 1
		.amdhsa_system_sgpr_workgroup_id_y 0
		.amdhsa_system_sgpr_workgroup_id_z 0
		.amdhsa_system_sgpr_workgroup_info 0
		.amdhsa_system_vgpr_workitem_id 0
		.amdhsa_next_free_vgpr 1
		.amdhsa_next_free_sgpr 0
		.amdhsa_reserve_vcc 0
		.amdhsa_reserve_flat_scratch 0
		.amdhsa_float_round_mode_32 0
		.amdhsa_float_round_mode_16_64 0
		.amdhsa_float_denorm_mode_32 3
		.amdhsa_float_denorm_mode_16_64 3
		.amdhsa_dx10_clamp 1
		.amdhsa_ieee_mode 1
		.amdhsa_fp16_overflow 0
		.amdhsa_exception_fp_ieee_invalid_op 0
		.amdhsa_exception_fp_denorm_src 0
		.amdhsa_exception_fp_ieee_div_zero 0
		.amdhsa_exception_fp_ieee_overflow 0
		.amdhsa_exception_fp_ieee_underflow 0
		.amdhsa_exception_fp_ieee_inexact 0
		.amdhsa_exception_int_div_zero 0
	.end_amdhsa_kernel
	.section	.text._ZN7rocprim17ROCPRIM_400000_NS6detail17trampoline_kernelINS0_14default_configENS1_38merge_sort_block_merge_config_selectorIhlEEZZNS1_27merge_sort_block_merge_implIS3_PhN6thrust23THRUST_200600_302600_NS10device_ptrIlEEjNS1_19radix_merge_compareILb0ELb1EhNS0_19identity_decomposerEEEEE10hipError_tT0_T1_T2_jT3_P12ihipStream_tbPNSt15iterator_traitsISG_E10value_typeEPNSM_ISH_E10value_typeEPSI_NS1_7vsmem_tEENKUlT_SG_SH_SI_E_clIS7_S7_PlSB_EESF_SV_SG_SH_SI_EUlSV_E0_NS1_11comp_targetILNS1_3genE3ELNS1_11target_archE908ELNS1_3gpuE7ELNS1_3repE0EEENS1_38merge_mergepath_config_static_selectorELNS0_4arch9wavefront6targetE1EEEvSH_,"axG",@progbits,_ZN7rocprim17ROCPRIM_400000_NS6detail17trampoline_kernelINS0_14default_configENS1_38merge_sort_block_merge_config_selectorIhlEEZZNS1_27merge_sort_block_merge_implIS3_PhN6thrust23THRUST_200600_302600_NS10device_ptrIlEEjNS1_19radix_merge_compareILb0ELb1EhNS0_19identity_decomposerEEEEE10hipError_tT0_T1_T2_jT3_P12ihipStream_tbPNSt15iterator_traitsISG_E10value_typeEPNSM_ISH_E10value_typeEPSI_NS1_7vsmem_tEENKUlT_SG_SH_SI_E_clIS7_S7_PlSB_EESF_SV_SG_SH_SI_EUlSV_E0_NS1_11comp_targetILNS1_3genE3ELNS1_11target_archE908ELNS1_3gpuE7ELNS1_3repE0EEENS1_38merge_mergepath_config_static_selectorELNS0_4arch9wavefront6targetE1EEEvSH_,comdat
.Lfunc_end201:
	.size	_ZN7rocprim17ROCPRIM_400000_NS6detail17trampoline_kernelINS0_14default_configENS1_38merge_sort_block_merge_config_selectorIhlEEZZNS1_27merge_sort_block_merge_implIS3_PhN6thrust23THRUST_200600_302600_NS10device_ptrIlEEjNS1_19radix_merge_compareILb0ELb1EhNS0_19identity_decomposerEEEEE10hipError_tT0_T1_T2_jT3_P12ihipStream_tbPNSt15iterator_traitsISG_E10value_typeEPNSM_ISH_E10value_typeEPSI_NS1_7vsmem_tEENKUlT_SG_SH_SI_E_clIS7_S7_PlSB_EESF_SV_SG_SH_SI_EUlSV_E0_NS1_11comp_targetILNS1_3genE3ELNS1_11target_archE908ELNS1_3gpuE7ELNS1_3repE0EEENS1_38merge_mergepath_config_static_selectorELNS0_4arch9wavefront6targetE1EEEvSH_, .Lfunc_end201-_ZN7rocprim17ROCPRIM_400000_NS6detail17trampoline_kernelINS0_14default_configENS1_38merge_sort_block_merge_config_selectorIhlEEZZNS1_27merge_sort_block_merge_implIS3_PhN6thrust23THRUST_200600_302600_NS10device_ptrIlEEjNS1_19radix_merge_compareILb0ELb1EhNS0_19identity_decomposerEEEEE10hipError_tT0_T1_T2_jT3_P12ihipStream_tbPNSt15iterator_traitsISG_E10value_typeEPNSM_ISH_E10value_typeEPSI_NS1_7vsmem_tEENKUlT_SG_SH_SI_E_clIS7_S7_PlSB_EESF_SV_SG_SH_SI_EUlSV_E0_NS1_11comp_targetILNS1_3genE3ELNS1_11target_archE908ELNS1_3gpuE7ELNS1_3repE0EEENS1_38merge_mergepath_config_static_selectorELNS0_4arch9wavefront6targetE1EEEvSH_
                                        ; -- End function
	.set _ZN7rocprim17ROCPRIM_400000_NS6detail17trampoline_kernelINS0_14default_configENS1_38merge_sort_block_merge_config_selectorIhlEEZZNS1_27merge_sort_block_merge_implIS3_PhN6thrust23THRUST_200600_302600_NS10device_ptrIlEEjNS1_19radix_merge_compareILb0ELb1EhNS0_19identity_decomposerEEEEE10hipError_tT0_T1_T2_jT3_P12ihipStream_tbPNSt15iterator_traitsISG_E10value_typeEPNSM_ISH_E10value_typeEPSI_NS1_7vsmem_tEENKUlT_SG_SH_SI_E_clIS7_S7_PlSB_EESF_SV_SG_SH_SI_EUlSV_E0_NS1_11comp_targetILNS1_3genE3ELNS1_11target_archE908ELNS1_3gpuE7ELNS1_3repE0EEENS1_38merge_mergepath_config_static_selectorELNS0_4arch9wavefront6targetE1EEEvSH_.num_vgpr, 0
	.set _ZN7rocprim17ROCPRIM_400000_NS6detail17trampoline_kernelINS0_14default_configENS1_38merge_sort_block_merge_config_selectorIhlEEZZNS1_27merge_sort_block_merge_implIS3_PhN6thrust23THRUST_200600_302600_NS10device_ptrIlEEjNS1_19radix_merge_compareILb0ELb1EhNS0_19identity_decomposerEEEEE10hipError_tT0_T1_T2_jT3_P12ihipStream_tbPNSt15iterator_traitsISG_E10value_typeEPNSM_ISH_E10value_typeEPSI_NS1_7vsmem_tEENKUlT_SG_SH_SI_E_clIS7_S7_PlSB_EESF_SV_SG_SH_SI_EUlSV_E0_NS1_11comp_targetILNS1_3genE3ELNS1_11target_archE908ELNS1_3gpuE7ELNS1_3repE0EEENS1_38merge_mergepath_config_static_selectorELNS0_4arch9wavefront6targetE1EEEvSH_.num_agpr, 0
	.set _ZN7rocprim17ROCPRIM_400000_NS6detail17trampoline_kernelINS0_14default_configENS1_38merge_sort_block_merge_config_selectorIhlEEZZNS1_27merge_sort_block_merge_implIS3_PhN6thrust23THRUST_200600_302600_NS10device_ptrIlEEjNS1_19radix_merge_compareILb0ELb1EhNS0_19identity_decomposerEEEEE10hipError_tT0_T1_T2_jT3_P12ihipStream_tbPNSt15iterator_traitsISG_E10value_typeEPNSM_ISH_E10value_typeEPSI_NS1_7vsmem_tEENKUlT_SG_SH_SI_E_clIS7_S7_PlSB_EESF_SV_SG_SH_SI_EUlSV_E0_NS1_11comp_targetILNS1_3genE3ELNS1_11target_archE908ELNS1_3gpuE7ELNS1_3repE0EEENS1_38merge_mergepath_config_static_selectorELNS0_4arch9wavefront6targetE1EEEvSH_.numbered_sgpr, 0
	.set _ZN7rocprim17ROCPRIM_400000_NS6detail17trampoline_kernelINS0_14default_configENS1_38merge_sort_block_merge_config_selectorIhlEEZZNS1_27merge_sort_block_merge_implIS3_PhN6thrust23THRUST_200600_302600_NS10device_ptrIlEEjNS1_19radix_merge_compareILb0ELb1EhNS0_19identity_decomposerEEEEE10hipError_tT0_T1_T2_jT3_P12ihipStream_tbPNSt15iterator_traitsISG_E10value_typeEPNSM_ISH_E10value_typeEPSI_NS1_7vsmem_tEENKUlT_SG_SH_SI_E_clIS7_S7_PlSB_EESF_SV_SG_SH_SI_EUlSV_E0_NS1_11comp_targetILNS1_3genE3ELNS1_11target_archE908ELNS1_3gpuE7ELNS1_3repE0EEENS1_38merge_mergepath_config_static_selectorELNS0_4arch9wavefront6targetE1EEEvSH_.num_named_barrier, 0
	.set _ZN7rocprim17ROCPRIM_400000_NS6detail17trampoline_kernelINS0_14default_configENS1_38merge_sort_block_merge_config_selectorIhlEEZZNS1_27merge_sort_block_merge_implIS3_PhN6thrust23THRUST_200600_302600_NS10device_ptrIlEEjNS1_19radix_merge_compareILb0ELb1EhNS0_19identity_decomposerEEEEE10hipError_tT0_T1_T2_jT3_P12ihipStream_tbPNSt15iterator_traitsISG_E10value_typeEPNSM_ISH_E10value_typeEPSI_NS1_7vsmem_tEENKUlT_SG_SH_SI_E_clIS7_S7_PlSB_EESF_SV_SG_SH_SI_EUlSV_E0_NS1_11comp_targetILNS1_3genE3ELNS1_11target_archE908ELNS1_3gpuE7ELNS1_3repE0EEENS1_38merge_mergepath_config_static_selectorELNS0_4arch9wavefront6targetE1EEEvSH_.private_seg_size, 0
	.set _ZN7rocprim17ROCPRIM_400000_NS6detail17trampoline_kernelINS0_14default_configENS1_38merge_sort_block_merge_config_selectorIhlEEZZNS1_27merge_sort_block_merge_implIS3_PhN6thrust23THRUST_200600_302600_NS10device_ptrIlEEjNS1_19radix_merge_compareILb0ELb1EhNS0_19identity_decomposerEEEEE10hipError_tT0_T1_T2_jT3_P12ihipStream_tbPNSt15iterator_traitsISG_E10value_typeEPNSM_ISH_E10value_typeEPSI_NS1_7vsmem_tEENKUlT_SG_SH_SI_E_clIS7_S7_PlSB_EESF_SV_SG_SH_SI_EUlSV_E0_NS1_11comp_targetILNS1_3genE3ELNS1_11target_archE908ELNS1_3gpuE7ELNS1_3repE0EEENS1_38merge_mergepath_config_static_selectorELNS0_4arch9wavefront6targetE1EEEvSH_.uses_vcc, 0
	.set _ZN7rocprim17ROCPRIM_400000_NS6detail17trampoline_kernelINS0_14default_configENS1_38merge_sort_block_merge_config_selectorIhlEEZZNS1_27merge_sort_block_merge_implIS3_PhN6thrust23THRUST_200600_302600_NS10device_ptrIlEEjNS1_19radix_merge_compareILb0ELb1EhNS0_19identity_decomposerEEEEE10hipError_tT0_T1_T2_jT3_P12ihipStream_tbPNSt15iterator_traitsISG_E10value_typeEPNSM_ISH_E10value_typeEPSI_NS1_7vsmem_tEENKUlT_SG_SH_SI_E_clIS7_S7_PlSB_EESF_SV_SG_SH_SI_EUlSV_E0_NS1_11comp_targetILNS1_3genE3ELNS1_11target_archE908ELNS1_3gpuE7ELNS1_3repE0EEENS1_38merge_mergepath_config_static_selectorELNS0_4arch9wavefront6targetE1EEEvSH_.uses_flat_scratch, 0
	.set _ZN7rocprim17ROCPRIM_400000_NS6detail17trampoline_kernelINS0_14default_configENS1_38merge_sort_block_merge_config_selectorIhlEEZZNS1_27merge_sort_block_merge_implIS3_PhN6thrust23THRUST_200600_302600_NS10device_ptrIlEEjNS1_19radix_merge_compareILb0ELb1EhNS0_19identity_decomposerEEEEE10hipError_tT0_T1_T2_jT3_P12ihipStream_tbPNSt15iterator_traitsISG_E10value_typeEPNSM_ISH_E10value_typeEPSI_NS1_7vsmem_tEENKUlT_SG_SH_SI_E_clIS7_S7_PlSB_EESF_SV_SG_SH_SI_EUlSV_E0_NS1_11comp_targetILNS1_3genE3ELNS1_11target_archE908ELNS1_3gpuE7ELNS1_3repE0EEENS1_38merge_mergepath_config_static_selectorELNS0_4arch9wavefront6targetE1EEEvSH_.has_dyn_sized_stack, 0
	.set _ZN7rocprim17ROCPRIM_400000_NS6detail17trampoline_kernelINS0_14default_configENS1_38merge_sort_block_merge_config_selectorIhlEEZZNS1_27merge_sort_block_merge_implIS3_PhN6thrust23THRUST_200600_302600_NS10device_ptrIlEEjNS1_19radix_merge_compareILb0ELb1EhNS0_19identity_decomposerEEEEE10hipError_tT0_T1_T2_jT3_P12ihipStream_tbPNSt15iterator_traitsISG_E10value_typeEPNSM_ISH_E10value_typeEPSI_NS1_7vsmem_tEENKUlT_SG_SH_SI_E_clIS7_S7_PlSB_EESF_SV_SG_SH_SI_EUlSV_E0_NS1_11comp_targetILNS1_3genE3ELNS1_11target_archE908ELNS1_3gpuE7ELNS1_3repE0EEENS1_38merge_mergepath_config_static_selectorELNS0_4arch9wavefront6targetE1EEEvSH_.has_recursion, 0
	.set _ZN7rocprim17ROCPRIM_400000_NS6detail17trampoline_kernelINS0_14default_configENS1_38merge_sort_block_merge_config_selectorIhlEEZZNS1_27merge_sort_block_merge_implIS3_PhN6thrust23THRUST_200600_302600_NS10device_ptrIlEEjNS1_19radix_merge_compareILb0ELb1EhNS0_19identity_decomposerEEEEE10hipError_tT0_T1_T2_jT3_P12ihipStream_tbPNSt15iterator_traitsISG_E10value_typeEPNSM_ISH_E10value_typeEPSI_NS1_7vsmem_tEENKUlT_SG_SH_SI_E_clIS7_S7_PlSB_EESF_SV_SG_SH_SI_EUlSV_E0_NS1_11comp_targetILNS1_3genE3ELNS1_11target_archE908ELNS1_3gpuE7ELNS1_3repE0EEENS1_38merge_mergepath_config_static_selectorELNS0_4arch9wavefront6targetE1EEEvSH_.has_indirect_call, 0
	.section	.AMDGPU.csdata,"",@progbits
; Kernel info:
; codeLenInByte = 0
; TotalNumSgprs: 4
; NumVgprs: 0
; ScratchSize: 0
; MemoryBound: 0
; FloatMode: 240
; IeeeMode: 1
; LDSByteSize: 0 bytes/workgroup (compile time only)
; SGPRBlocks: 0
; VGPRBlocks: 0
; NumSGPRsForWavesPerEU: 4
; NumVGPRsForWavesPerEU: 1
; Occupancy: 10
; WaveLimiterHint : 0
; COMPUTE_PGM_RSRC2:SCRATCH_EN: 0
; COMPUTE_PGM_RSRC2:USER_SGPR: 6
; COMPUTE_PGM_RSRC2:TRAP_HANDLER: 0
; COMPUTE_PGM_RSRC2:TGID_X_EN: 1
; COMPUTE_PGM_RSRC2:TGID_Y_EN: 0
; COMPUTE_PGM_RSRC2:TGID_Z_EN: 0
; COMPUTE_PGM_RSRC2:TIDIG_COMP_CNT: 0
	.section	.text._ZN7rocprim17ROCPRIM_400000_NS6detail17trampoline_kernelINS0_14default_configENS1_38merge_sort_block_merge_config_selectorIhlEEZZNS1_27merge_sort_block_merge_implIS3_PhN6thrust23THRUST_200600_302600_NS10device_ptrIlEEjNS1_19radix_merge_compareILb0ELb1EhNS0_19identity_decomposerEEEEE10hipError_tT0_T1_T2_jT3_P12ihipStream_tbPNSt15iterator_traitsISG_E10value_typeEPNSM_ISH_E10value_typeEPSI_NS1_7vsmem_tEENKUlT_SG_SH_SI_E_clIS7_S7_PlSB_EESF_SV_SG_SH_SI_EUlSV_E0_NS1_11comp_targetILNS1_3genE2ELNS1_11target_archE906ELNS1_3gpuE6ELNS1_3repE0EEENS1_38merge_mergepath_config_static_selectorELNS0_4arch9wavefront6targetE1EEEvSH_,"axG",@progbits,_ZN7rocprim17ROCPRIM_400000_NS6detail17trampoline_kernelINS0_14default_configENS1_38merge_sort_block_merge_config_selectorIhlEEZZNS1_27merge_sort_block_merge_implIS3_PhN6thrust23THRUST_200600_302600_NS10device_ptrIlEEjNS1_19radix_merge_compareILb0ELb1EhNS0_19identity_decomposerEEEEE10hipError_tT0_T1_T2_jT3_P12ihipStream_tbPNSt15iterator_traitsISG_E10value_typeEPNSM_ISH_E10value_typeEPSI_NS1_7vsmem_tEENKUlT_SG_SH_SI_E_clIS7_S7_PlSB_EESF_SV_SG_SH_SI_EUlSV_E0_NS1_11comp_targetILNS1_3genE2ELNS1_11target_archE906ELNS1_3gpuE6ELNS1_3repE0EEENS1_38merge_mergepath_config_static_selectorELNS0_4arch9wavefront6targetE1EEEvSH_,comdat
	.protected	_ZN7rocprim17ROCPRIM_400000_NS6detail17trampoline_kernelINS0_14default_configENS1_38merge_sort_block_merge_config_selectorIhlEEZZNS1_27merge_sort_block_merge_implIS3_PhN6thrust23THRUST_200600_302600_NS10device_ptrIlEEjNS1_19radix_merge_compareILb0ELb1EhNS0_19identity_decomposerEEEEE10hipError_tT0_T1_T2_jT3_P12ihipStream_tbPNSt15iterator_traitsISG_E10value_typeEPNSM_ISH_E10value_typeEPSI_NS1_7vsmem_tEENKUlT_SG_SH_SI_E_clIS7_S7_PlSB_EESF_SV_SG_SH_SI_EUlSV_E0_NS1_11comp_targetILNS1_3genE2ELNS1_11target_archE906ELNS1_3gpuE6ELNS1_3repE0EEENS1_38merge_mergepath_config_static_selectorELNS0_4arch9wavefront6targetE1EEEvSH_ ; -- Begin function _ZN7rocprim17ROCPRIM_400000_NS6detail17trampoline_kernelINS0_14default_configENS1_38merge_sort_block_merge_config_selectorIhlEEZZNS1_27merge_sort_block_merge_implIS3_PhN6thrust23THRUST_200600_302600_NS10device_ptrIlEEjNS1_19radix_merge_compareILb0ELb1EhNS0_19identity_decomposerEEEEE10hipError_tT0_T1_T2_jT3_P12ihipStream_tbPNSt15iterator_traitsISG_E10value_typeEPNSM_ISH_E10value_typeEPSI_NS1_7vsmem_tEENKUlT_SG_SH_SI_E_clIS7_S7_PlSB_EESF_SV_SG_SH_SI_EUlSV_E0_NS1_11comp_targetILNS1_3genE2ELNS1_11target_archE906ELNS1_3gpuE6ELNS1_3repE0EEENS1_38merge_mergepath_config_static_selectorELNS0_4arch9wavefront6targetE1EEEvSH_
	.globl	_ZN7rocprim17ROCPRIM_400000_NS6detail17trampoline_kernelINS0_14default_configENS1_38merge_sort_block_merge_config_selectorIhlEEZZNS1_27merge_sort_block_merge_implIS3_PhN6thrust23THRUST_200600_302600_NS10device_ptrIlEEjNS1_19radix_merge_compareILb0ELb1EhNS0_19identity_decomposerEEEEE10hipError_tT0_T1_T2_jT3_P12ihipStream_tbPNSt15iterator_traitsISG_E10value_typeEPNSM_ISH_E10value_typeEPSI_NS1_7vsmem_tEENKUlT_SG_SH_SI_E_clIS7_S7_PlSB_EESF_SV_SG_SH_SI_EUlSV_E0_NS1_11comp_targetILNS1_3genE2ELNS1_11target_archE906ELNS1_3gpuE6ELNS1_3repE0EEENS1_38merge_mergepath_config_static_selectorELNS0_4arch9wavefront6targetE1EEEvSH_
	.p2align	8
	.type	_ZN7rocprim17ROCPRIM_400000_NS6detail17trampoline_kernelINS0_14default_configENS1_38merge_sort_block_merge_config_selectorIhlEEZZNS1_27merge_sort_block_merge_implIS3_PhN6thrust23THRUST_200600_302600_NS10device_ptrIlEEjNS1_19radix_merge_compareILb0ELb1EhNS0_19identity_decomposerEEEEE10hipError_tT0_T1_T2_jT3_P12ihipStream_tbPNSt15iterator_traitsISG_E10value_typeEPNSM_ISH_E10value_typeEPSI_NS1_7vsmem_tEENKUlT_SG_SH_SI_E_clIS7_S7_PlSB_EESF_SV_SG_SH_SI_EUlSV_E0_NS1_11comp_targetILNS1_3genE2ELNS1_11target_archE906ELNS1_3gpuE6ELNS1_3repE0EEENS1_38merge_mergepath_config_static_selectorELNS0_4arch9wavefront6targetE1EEEvSH_,@function
_ZN7rocprim17ROCPRIM_400000_NS6detail17trampoline_kernelINS0_14default_configENS1_38merge_sort_block_merge_config_selectorIhlEEZZNS1_27merge_sort_block_merge_implIS3_PhN6thrust23THRUST_200600_302600_NS10device_ptrIlEEjNS1_19radix_merge_compareILb0ELb1EhNS0_19identity_decomposerEEEEE10hipError_tT0_T1_T2_jT3_P12ihipStream_tbPNSt15iterator_traitsISG_E10value_typeEPNSM_ISH_E10value_typeEPSI_NS1_7vsmem_tEENKUlT_SG_SH_SI_E_clIS7_S7_PlSB_EESF_SV_SG_SH_SI_EUlSV_E0_NS1_11comp_targetILNS1_3genE2ELNS1_11target_archE906ELNS1_3gpuE6ELNS1_3repE0EEENS1_38merge_mergepath_config_static_selectorELNS0_4arch9wavefront6targetE1EEEvSH_: ; @_ZN7rocprim17ROCPRIM_400000_NS6detail17trampoline_kernelINS0_14default_configENS1_38merge_sort_block_merge_config_selectorIhlEEZZNS1_27merge_sort_block_merge_implIS3_PhN6thrust23THRUST_200600_302600_NS10device_ptrIlEEjNS1_19radix_merge_compareILb0ELb1EhNS0_19identity_decomposerEEEEE10hipError_tT0_T1_T2_jT3_P12ihipStream_tbPNSt15iterator_traitsISG_E10value_typeEPNSM_ISH_E10value_typeEPSI_NS1_7vsmem_tEENKUlT_SG_SH_SI_E_clIS7_S7_PlSB_EESF_SV_SG_SH_SI_EUlSV_E0_NS1_11comp_targetILNS1_3genE2ELNS1_11target_archE906ELNS1_3gpuE6ELNS1_3repE0EEENS1_38merge_mergepath_config_static_selectorELNS0_4arch9wavefront6targetE1EEEvSH_
; %bb.0:
	s_load_dwordx2 s[24:25], s[4:5], 0x40
	s_load_dword s1, s[4:5], 0x30
	s_add_u32 s22, s4, 64
	s_addc_u32 s23, s5, 0
	s_waitcnt lgkmcnt(0)
	s_mul_i32 s0, s25, s8
	s_add_i32 s0, s0, s7
	s_mul_i32 s0, s0, s24
	s_add_i32 s0, s0, s6
	s_cmp_ge_u32 s0, s1
	s_cbranch_scc1 .LBB202_46
; %bb.1:
	s_load_dwordx8 s[8:15], s[4:5], 0x10
	s_load_dwordx2 s[28:29], s[4:5], 0x8
	s_load_dwordx2 s[2:3], s[4:5], 0x38
	s_mov_b32 s1, 0
	v_mov_b32_e32 v1, 0
	s_waitcnt lgkmcnt(0)
	s_lshr_b32 s30, s14, 10
	s_cmp_lg_u32 s0, s30
	s_cselect_b64 s[18:19], -1, 0
	s_lshl_b64 s[16:17], s[0:1], 2
	s_add_u32 s16, s2, s16
	s_addc_u32 s17, s3, s17
	s_lshr_b32 s7, s15, 9
	s_and_b32 s7, s7, 0x7ffffe
	s_load_dwordx2 s[2:3], s[16:17], 0x0
	s_sub_i32 s7, 0, s7
	s_and_b32 s17, s0, s7
	s_lshl_b32 s21, s17, 10
	s_lshl_b32 s16, s0, 10
	;; [unrolled: 1-line block ×3, first 2 shown]
	s_sub_i32 s20, s16, s21
	s_add_i32 s17, s17, s15
	s_add_i32 s25, s17, s20
	s_waitcnt lgkmcnt(0)
	s_sub_i32 s20, s25, s2
	s_sub_i32 s25, s25, s3
	;; [unrolled: 1-line block ×3, first 2 shown]
	s_min_u32 s20, s14, s20
	s_addk_i32 s25, 0x400
	s_or_b32 s7, s0, s7
	s_min_u32 s21, s14, s17
	s_add_i32 s17, s17, s15
	s_cmp_eq_u32 s7, -1
	s_cselect_b32 s7, s17, s25
	s_cselect_b32 s3, s21, s3
	s_min_u32 s17, s7, s14
	s_sub_i32 s15, s3, s2
	s_add_u32 s26, s28, s2
	s_addc_u32 s27, s29, 0
	s_add_u32 s25, s28, s20
	global_load_dword v2, v1, s[22:23] offset:14
	s_addc_u32 s28, s29, 0
	s_cmp_lt_u32 s6, s24
	s_cselect_b32 s3, 12, 18
	s_add_u32 s6, s22, s3
	s_addc_u32 s7, s23, 0
	global_load_ushort v1, v1, s[6:7]
	s_mov_b32 s3, s1
	s_mov_b32 s21, s1
	s_cmp_eq_u32 s0, s30
	s_waitcnt vmcnt(1)
	v_lshrrev_b32_e32 v3, 16, v2
	v_and_b32_e32 v2, 0xffff, v2
	v_mul_lo_u32 v2, v2, v3
	s_waitcnt vmcnt(0)
	v_mul_lo_u32 v15, v2, v1
	v_add_u32_e32 v11, v15, v0
	v_add_u32_e32 v9, v11, v15
	s_cbranch_scc1 .LBB202_3
; %bb.2:
	v_mov_b32_e32 v1, s27
	v_add_co_u32_e32 v3, vcc, s26, v0
	v_addc_co_u32_e32 v1, vcc, 0, v1, vcc
	v_subrev_co_u32_e32 v2, vcc, s15, v0
	v_mov_b32_e32 v4, s28
	v_add_co_u32_e64 v5, s[0:1], s25, v2
	v_addc_co_u32_e64 v2, s[0:1], 0, v4, s[0:1]
	v_cndmask_b32_e32 v2, v2, v1, vcc
	v_cndmask_b32_e32 v1, v5, v3, vcc
	v_mov_b32_e32 v3, s27
	v_add_co_u32_e32 v5, vcc, s26, v11
	v_addc_co_u32_e32 v3, vcc, 0, v3, vcc
	v_subrev_co_u32_e32 v4, vcc, s15, v11
	v_mov_b32_e32 v6, s28
	v_add_co_u32_e64 v7, s[0:1], s25, v4
	v_addc_co_u32_e64 v4, s[0:1], 0, v6, s[0:1]
	v_cndmask_b32_e32 v4, v4, v3, vcc
	v_cndmask_b32_e32 v3, v7, v5, vcc
	;; [unrolled: 9-line block ×3, first 2 shown]
	global_load_ubyte v7, v[1:2], off
	global_load_ubyte v8, v[3:4], off
	;; [unrolled: 1-line block ×3, first 2 shown]
	s_mov_b32 s0, 0xc0c0004
	v_add_u32_e32 v1, v9, v15
	s_waitcnt vmcnt(1)
	v_perm_b32 v2, v7, v8, s0
	s_waitcnt vmcnt(0)
	v_lshl_or_b32 v14, v10, 16, v2
	s_mov_b64 s[0:1], -1
	s_sub_i32 s17, s17, s20
	s_cbranch_execz .LBB202_4
	s_branch .LBB202_9
.LBB202_3:
	s_mov_b64 s[0:1], 0
                                        ; implicit-def: $vgpr1
                                        ; implicit-def: $vgpr14
	s_sub_i32 s17, s17, s20
.LBB202_4:
	s_add_i32 s22, s17, s15
	v_cmp_gt_u32_e32 vcc, s22, v0
	v_mov_b32_e32 v14, 0
	s_and_saveexec_b64 s[6:7], vcc
	s_cbranch_execnz .LBB202_47
; %bb.5:
	s_or_b64 exec, exec, s[6:7]
	v_cmp_gt_u32_e32 vcc, s22, v11
	s_and_saveexec_b64 s[6:7], vcc
	s_cbranch_execnz .LBB202_48
.LBB202_6:
	s_or_b64 exec, exec, s[6:7]
	v_cmp_gt_u32_e32 vcc, s22, v9
	s_and_saveexec_b64 s[6:7], vcc
	s_cbranch_execz .LBB202_8
.LBB202_7:
	v_mov_b32_e32 v1, s27
	v_add_co_u32_e32 v3, vcc, s26, v9
	v_addc_co_u32_e32 v1, vcc, 0, v1, vcc
	v_subrev_co_u32_e32 v2, vcc, s15, v9
	v_mov_b32_e32 v4, s28
	v_add_co_u32_e64 v5, s[0:1], s25, v2
	v_addc_co_u32_e64 v2, s[0:1], 0, v4, s[0:1]
	v_cndmask_b32_e32 v2, v2, v1, vcc
	v_cndmask_b32_e32 v1, v5, v3, vcc
	global_load_ubyte v1, v[1:2], off
	s_waitcnt vmcnt(0)
	v_lshl_or_b32 v14, v1, 16, v14
.LBB202_8:
	s_or_b64 exec, exec, s[6:7]
	v_add_u32_e32 v1, v9, v15
	v_cmp_gt_u32_e64 s[0:1], s22, v1
.LBB202_9:
	s_and_saveexec_b64 s[6:7], s[0:1]
	s_cbranch_execz .LBB202_11
; %bb.10:
	v_mov_b32_e32 v2, s27
	v_add_co_u32_e32 v3, vcc, s26, v1
	v_addc_co_u32_e32 v2, vcc, 0, v2, vcc
	v_subrev_co_u32_e32 v1, vcc, s15, v1
	v_mov_b32_e32 v4, s28
	v_add_co_u32_e64 v1, s[0:1], s25, v1
	v_addc_co_u32_e64 v4, s[0:1], 0, v4, s[0:1]
	v_cndmask_b32_e32 v2, v4, v2, vcc
	v_cndmask_b32_e32 v1, v1, v3, vcc
	global_load_ubyte v1, v[1:2], off
	s_mov_b32 s0, 0x60504
	s_waitcnt vmcnt(0)
	v_perm_b32 v14, v14, v1, s0
.LBB202_11:
	s_or_b64 exec, exec, s[6:7]
	s_lshl_b64 s[0:1], s[2:3], 3
	s_add_u32 s22, s10, s0
	s_addc_u32 s23, s11, s1
	s_lshl_b64 s[0:1], s[20:21], 3
	s_add_u32 s6, s10, s0
	s_waitcnt vmcnt(0)
	v_lshrrev_b32_e32 v16, 16, v14
	v_mov_b32_e32 v8, 0
	v_lshrrev_b32_e32 v17, 8, v14
	v_lshrrev_b32_e32 v18, 24, v14
	s_addc_u32 s7, s11, s1
	s_andn2_b64 vcc, exec, s[18:19]
	v_lshlrev_b32_e32 v13, 3, v0
	ds_write_b8 v0, v14
	ds_write_b8 v0, v17 offset:256
	ds_write_b8 v0, v16 offset:512
	;; [unrolled: 1-line block ×3, first 2 shown]
	s_cbranch_vccnz .LBB202_13
; %bb.12:
	v_mov_b32_e32 v1, s23
	v_add_co_u32_e32 v3, vcc, s22, v13
	v_addc_co_u32_e32 v4, vcc, 0, v1, vcc
	v_subrev_co_u32_e32 v7, vcc, s15, v0
	v_lshlrev_b64 v[1:2], 3, v[7:8]
	v_mov_b32_e32 v5, s7
	v_add_co_u32_e64 v1, s[0:1], s6, v1
	v_addc_co_u32_e64 v2, s[0:1], v5, v2, s[0:1]
	v_mov_b32_e32 v12, v8
	v_cndmask_b32_e32 v2, v2, v4, vcc
	v_cndmask_b32_e32 v1, v1, v3, vcc
	v_lshlrev_b64 v[3:4], 3, v[11:12]
	v_mov_b32_e32 v5, s23
	v_add_co_u32_e32 v6, vcc, s22, v3
	v_addc_co_u32_e32 v5, vcc, v5, v4, vcc
	v_subrev_co_u32_e32 v7, vcc, s15, v11
	v_lshlrev_b64 v[3:4], 3, v[7:8]
	v_mov_b32_e32 v7, s7
	v_add_co_u32_e64 v3, s[0:1], s6, v3
	v_addc_co_u32_e64 v4, s[0:1], v7, v4, s[0:1]
	v_mov_b32_e32 v10, v8
	v_cndmask_b32_e32 v4, v4, v5, vcc
	v_cndmask_b32_e32 v3, v3, v6, vcc
	v_lshlrev_b64 v[5:6], 3, v[9:10]
	v_mov_b32_e32 v7, s23
	v_add_co_u32_e32 v10, vcc, s22, v5
	v_addc_co_u32_e32 v12, vcc, v7, v6, vcc
	v_subrev_co_u32_e32 v7, vcc, s15, v9
	v_lshlrev_b64 v[5:6], 3, v[7:8]
	v_mov_b32_e32 v7, s7
	v_add_co_u32_e64 v5, s[0:1], s6, v5
	v_addc_co_u32_e64 v6, s[0:1], v7, v6, s[0:1]
	v_add_u32_e32 v7, v9, v15
	v_lshlrev_b64 v[19:20], 3, v[7:8]
	v_cndmask_b32_e32 v6, v6, v12, vcc
	v_cndmask_b32_e32 v5, v5, v10, vcc
	v_mov_b32_e32 v10, s23
	v_add_co_u32_e32 v12, vcc, s22, v19
	v_addc_co_u32_e32 v10, vcc, v10, v20, vcc
	v_subrev_co_u32_e32 v7, vcc, s15, v7
	v_lshlrev_b64 v[7:8], 3, v[7:8]
	v_mov_b32_e32 v19, s7
	v_add_co_u32_e64 v7, s[0:1], s6, v7
	v_addc_co_u32_e64 v8, s[0:1], v19, v8, s[0:1]
	v_cndmask_b32_e32 v8, v8, v10, vcc
	v_cndmask_b32_e32 v7, v7, v12, vcc
	global_load_dwordx2 v[1:2], v[1:2], off
	s_add_i32 s10, s17, s15
	global_load_dwordx2 v[3:4], v[3:4], off
	s_nop 0
	global_load_dwordx2 v[5:6], v[5:6], off
	s_nop 0
	global_load_dwordx2 v[7:8], v[7:8], off
	s_cbranch_execz .LBB202_14
	s_branch .LBB202_21
.LBB202_13:
                                        ; implicit-def: $vgpr1_vgpr2_vgpr3_vgpr4_vgpr5_vgpr6_vgpr7_vgpr8
                                        ; implicit-def: $sgpr10
.LBB202_14:
	s_add_i32 s10, s17, s15
	s_waitcnt vmcnt(3)
	v_mov_b32_e32 v1, 0
	v_cmp_gt_u32_e32 vcc, s10, v0
	v_mov_b32_e32 v2, v1
	s_waitcnt vmcnt(2)
	v_mov_b32_e32 v3, v1
	v_mov_b32_e32 v4, v1
	s_waitcnt vmcnt(1)
	v_mov_b32_e32 v5, v1
	;; [unrolled: 3-line block ×3, first 2 shown]
	v_mov_b32_e32 v8, v1
	s_and_saveexec_b64 s[2:3], vcc
	s_cbranch_execnz .LBB202_49
; %bb.15:
	s_or_b64 exec, exec, s[2:3]
	v_cmp_gt_u32_e32 vcc, s10, v11
	s_and_saveexec_b64 s[2:3], vcc
	s_cbranch_execnz .LBB202_50
.LBB202_16:
	s_or_b64 exec, exec, s[2:3]
	v_cmp_gt_u32_e32 vcc, s10, v9
	s_and_saveexec_b64 s[2:3], vcc
	s_cbranch_execz .LBB202_18
.LBB202_17:
	v_mov_b32_e32 v10, 0
	v_lshlrev_b64 v[5:6], 3, v[9:10]
	v_mov_b32_e32 v11, s23
	v_add_co_u32_e32 v12, vcc, s22, v5
	v_addc_co_u32_e32 v11, vcc, v11, v6, vcc
	v_subrev_co_u32_e32 v5, vcc, s15, v9
	v_mov_b32_e32 v6, v10
	v_lshlrev_b64 v[5:6], 3, v[5:6]
	v_mov_b32_e32 v10, s7
	v_add_co_u32_e64 v5, s[0:1], s6, v5
	v_addc_co_u32_e64 v6, s[0:1], v10, v6, s[0:1]
	v_cndmask_b32_e32 v6, v6, v11, vcc
	v_cndmask_b32_e32 v5, v5, v12, vcc
	global_load_dwordx2 v[5:6], v[5:6], off
.LBB202_18:
	s_or_b64 exec, exec, s[2:3]
	v_add_u32_e32 v9, v9, v15
	v_cmp_gt_u32_e32 vcc, s10, v9
	s_and_saveexec_b64 s[2:3], vcc
	s_cbranch_execz .LBB202_20
; %bb.19:
	v_mov_b32_e32 v10, 0
	v_lshlrev_b64 v[7:8], 3, v[9:10]
	v_mov_b32_e32 v11, s23
	v_add_co_u32_e32 v12, vcc, s22, v7
	v_addc_co_u32_e32 v11, vcc, v11, v8, vcc
	v_subrev_co_u32_e32 v9, vcc, s15, v9
	v_lshlrev_b64 v[7:8], 3, v[9:10]
	v_mov_b32_e32 v9, s7
	v_add_co_u32_e64 v7, s[0:1], s6, v7
	v_addc_co_u32_e64 v8, s[0:1], v9, v8, s[0:1]
	v_cndmask_b32_e32 v8, v8, v11, vcc
	v_cndmask_b32_e32 v7, v7, v12, vcc
	global_load_dwordx2 v[7:8], v[7:8], off
.LBB202_20:
	s_or_b64 exec, exec, s[2:3]
.LBB202_21:
	s_load_dword s11, s[4:5], 0x34
	v_lshlrev_b32_e32 v11, 2, v0
	v_min_u32_e32 v10, s10, v11
	v_sub_u32_e64 v9, v10, s17 clamp
	v_min_u32_e32 v12, s15, v10
	v_cmp_lt_u32_e32 vcc, v9, v12
	s_waitcnt vmcnt(0) lgkmcnt(0)
	s_barrier
	s_and_saveexec_b64 s[0:1], vcc
	s_cbranch_execz .LBB202_25
; %bb.22:
	v_add_u32_e32 v15, s15, v10
	s_mov_b64 s[2:3], 0
.LBB202_23:                             ; =>This Inner Loop Header: Depth=1
	v_add_u32_e32 v19, v12, v9
	v_lshrrev_b32_e32 v19, 1, v19
	v_xad_u32 v20, v19, -1, v15
	ds_read_u8 v21, v19
	ds_read_u8 v20, v20
	v_add_u32_e32 v22, 1, v19
	s_waitcnt lgkmcnt(1)
	v_and_b32_e32 v21, s11, v21
	s_waitcnt lgkmcnt(0)
	v_and_b32_e32 v20, s11, v20
	v_cmp_gt_u16_sdwa vcc, v21, v20 src0_sel:BYTE_0 src1_sel:BYTE_0
	v_cndmask_b32_e32 v12, v12, v19, vcc
	v_cndmask_b32_e32 v9, v22, v9, vcc
	v_cmp_ge_u32_e32 vcc, v9, v12
	s_or_b64 s[2:3], vcc, s[2:3]
	s_andn2_b64 exec, exec, s[2:3]
	s_cbranch_execnz .LBB202_23
; %bb.24:
	s_or_b64 exec, exec, s[2:3]
.LBB202_25:
	s_or_b64 exec, exec, s[0:1]
	v_sub_u32_e32 v10, v10, v9
	v_add_u32_e32 v19, s15, v10
	v_cmp_ge_u32_e32 vcc, s15, v9
	v_cmp_ge_u32_e64 s[0:1], s10, v19
	s_or_b64 s[0:1], vcc, s[0:1]
	v_mov_b32_e32 v20, 0
	v_mov_b32_e32 v15, 0
	;; [unrolled: 1-line block ×4, first 2 shown]
	s_and_saveexec_b64 s[6:7], s[0:1]
	s_cbranch_execz .LBB202_31
; %bb.26:
	v_cmp_gt_u32_e32 vcc, s15, v9
                                        ; implicit-def: $vgpr14
	s_and_saveexec_b64 s[0:1], vcc
; %bb.27:
	ds_read_u8 v14, v9
; %bb.28:
	s_or_b64 exec, exec, s[0:1]
	v_cmp_le_u32_e64 s[0:1], s10, v19
	v_cmp_gt_u32_e64 s[2:3], s10, v19
                                        ; implicit-def: $vgpr16
	s_and_saveexec_b64 s[4:5], s[2:3]
; %bb.29:
	ds_read_u8 v16, v19
; %bb.30:
	s_or_b64 exec, exec, s[4:5]
	s_waitcnt lgkmcnt(0)
	v_and_b32_e32 v10, s11, v16
	v_and_b32_e32 v12, s11, v14
	v_cmp_le_u16_sdwa s[2:3], v12, v10 src0_sel:BYTE_0 src1_sel:BYTE_0
	s_and_b64 s[2:3], vcc, s[2:3]
	s_or_b64 vcc, s[0:1], s[2:3]
	v_mov_b32_e32 v17, s10
	v_mov_b32_e32 v18, s15
	v_cndmask_b32_e32 v10, v19, v9, vcc
	v_cndmask_b32_e32 v12, v17, v18, vcc
	v_add_u32_e32 v15, 1, v10
	v_add_u32_e32 v12, -1, v12
	v_min_u32_e32 v12, v15, v12
	ds_read_u8 v12, v12
	v_cndmask_b32_e32 v19, v15, v19, vcc
	v_cndmask_b32_e32 v9, v9, v15, vcc
	v_cmp_gt_u32_e64 s[2:3], s15, v9
	v_cmp_le_u32_e64 s[0:1], s10, v19
	s_waitcnt lgkmcnt(0)
	v_cndmask_b32_e32 v20, v12, v16, vcc
	v_cndmask_b32_e32 v21, v14, v12, vcc
	v_and_b32_e32 v12, s11, v20
	v_and_b32_e32 v15, s11, v21
	v_cmp_le_u16_sdwa s[4:5], v15, v12 src0_sel:BYTE_0 src1_sel:BYTE_0
	s_and_b64 s[2:3], s[2:3], s[4:5]
	s_or_b64 s[0:1], s[0:1], s[2:3]
	v_cndmask_b32_e64 v12, v19, v9, s[0:1]
	v_cndmask_b32_e64 v15, v17, v18, s[0:1]
	v_add_u32_e32 v22, 1, v12
	v_add_u32_e32 v15, -1, v15
	v_min_u32_e32 v15, v22, v15
	ds_read_u8 v15, v15
	v_cndmask_b32_e64 v19, v22, v19, s[0:1]
	v_cndmask_b32_e64 v9, v9, v22, s[0:1]
	v_cmp_gt_u32_e64 s[4:5], s15, v9
	v_cmp_le_u32_e64 s[2:3], s10, v19
	s_waitcnt lgkmcnt(0)
	v_cndmask_b32_e64 v23, v15, v20, s[0:1]
	v_cndmask_b32_e64 v24, v21, v15, s[0:1]
	v_and_b32_e32 v15, s11, v23
	v_and_b32_e32 v22, s11, v24
	v_cmp_le_u16_sdwa s[20:21], v22, v15 src0_sel:BYTE_0 src1_sel:BYTE_0
	s_and_b64 s[4:5], s[4:5], s[20:21]
	s_or_b64 s[2:3], s[2:3], s[4:5]
	v_cndmask_b32_e64 v15, v19, v9, s[2:3]
	v_cndmask_b32_e64 v17, v17, v18, s[2:3]
	v_add_u32_e32 v18, 1, v15
	v_add_u32_e32 v17, -1, v17
	v_min_u32_e32 v17, v18, v17
	ds_read_u8 v22, v17
	v_cndmask_b32_e64 v17, v20, v21, s[0:1]
	v_cndmask_b32_e64 v19, v18, v19, s[2:3]
	;; [unrolled: 1-line block ×3, first 2 shown]
	v_cndmask_b32_e32 v14, v16, v14, vcc
	s_waitcnt lgkmcnt(0)
	v_cndmask_b32_e64 v21, v22, v23, s[2:3]
	v_cndmask_b32_e64 v22, v24, v22, s[2:3]
	v_and_b32_e32 v18, s11, v21
	v_and_b32_e32 v20, s11, v22
	v_cndmask_b32_e64 v16, v23, v24, s[2:3]
	v_cmp_gt_u32_e64 s[0:1], s15, v9
	v_cmp_le_u16_sdwa s[2:3], v20, v18 src0_sel:BYTE_0 src1_sel:BYTE_0
	v_cmp_le_u32_e32 vcc, s10, v19
	s_and_b64 s[0:1], s[0:1], s[2:3]
	s_or_b64 vcc, vcc, s[0:1]
	v_cndmask_b32_e32 v20, v19, v9, vcc
	v_cndmask_b32_e32 v18, v21, v22, vcc
.LBB202_31:
	s_or_b64 exec, exec, s[6:7]
	v_mad_u32_u24 v9, v0, 7, v0
	s_barrier
	ds_write2st64_b64 v9, v[1:2], v[3:4] offset1:4
	ds_write2st64_b64 v9, v[5:6], v[7:8] offset0:8 offset1:12
	v_lshlrev_b32_e32 v1, 3, v10
	v_lshlrev_b32_e32 v2, 3, v12
	v_lshlrev_b32_e32 v3, 3, v15
	v_lshlrev_b32_e32 v4, 3, v20
	s_waitcnt lgkmcnt(0)
	s_barrier
	ds_read_b64 v[5:6], v1
	ds_read_b64 v[7:8], v2
	;; [unrolled: 1-line block ×4, first 2 shown]
	v_lshrrev_b32_e32 v19, 3, v0
	s_mov_b32 s2, 0xc0c0004
	s_add_u32 s0, s8, s16
	v_and_b32_e32 v9, 28, v19
	v_perm_b32 v10, v14, v17, s2
	v_perm_b32 v12, v16, v18, s2
	s_addc_u32 s1, s9, 0
	v_add_u32_e32 v9, v9, v11
	v_lshl_or_b32 v10, v12, 16, v10
	v_or_b32_e32 v22, 0x100, v0
	v_or_b32_e32 v21, 0x200, v0
	;; [unrolled: 1-line block ×3, first 2 shown]
	s_waitcnt lgkmcnt(0)
	s_barrier
	s_barrier
	ds_write_b32 v9, v10
	v_lshrrev_b32_e32 v15, 5, v22
	v_lshrrev_b32_e32 v16, 5, v21
	;; [unrolled: 1-line block ×3, first 2 shown]
	v_mov_b32_e32 v10, s1
	v_add_co_u32_e32 v9, vcc, s0, v0
	v_lshrrev_b32_e32 v14, 5, v0
	v_and_b32_e32 v12, 12, v15
	v_and_b32_e32 v18, 20, v16
	;; [unrolled: 1-line block ×3, first 2 shown]
	v_addc_co_u32_e32 v10, vcc, 0, v10, vcc
	s_mov_b32 s17, 0
	v_and_b32_e32 v23, 4, v14
	s_and_b64 vcc, exec, s[18:19]
	v_add_u32_e32 v24, v12, v0
	v_add_u32_e32 v25, v18, v0
	v_add_u32_e32 v26, v26, v0
	v_lshlrev_b32_e32 v18, 3, v11
	s_waitcnt lgkmcnt(0)
	s_cbranch_vccz .LBB202_33
; %bb.32:
	v_add_u32_e32 v11, v23, v0
	s_barrier
	ds_read_u8 v11, v11
	ds_read_u8 v12, v24 offset:256
	ds_read_u8 v27, v25 offset:512
	;; [unrolled: 1-line block ×3, first 2 shown]
	s_lshl_b64 s[0:1], s[16:17], 3
	s_add_u32 s0, s12, s0
	s_waitcnt lgkmcnt(3)
	global_store_byte v[9:10], v11, off
	s_waitcnt lgkmcnt(2)
	global_store_byte v[9:10], v12, off offset:256
	s_waitcnt lgkmcnt(1)
	global_store_byte v[9:10], v27, off offset:512
	;; [unrolled: 2-line block ×3, first 2 shown]
	v_lshl_add_u32 v11, v19, 3, v18
	s_waitcnt vmcnt(0)
	s_barrier
	ds_write2_b64 v11, v[5:6], v[7:8] offset1:1
	ds_write2_b64 v11, v[1:2], v[3:4] offset0:2 offset1:3
	v_lshl_add_u32 v11, v14, 3, v13
	v_lshl_add_u32 v12, v15, 3, v13
	;; [unrolled: 1-line block ×3, first 2 shown]
	s_addc_u32 s1, s13, s1
	s_waitcnt lgkmcnt(0)
	s_barrier
	v_lshl_add_u32 v33, v17, 3, v13
	ds_read_b64 v[27:28], v11
	ds_read_b64 v[29:30], v12 offset:2048
	ds_read_b64 v[31:32], v31 offset:4096
	;; [unrolled: 1-line block ×3, first 2 shown]
	v_mov_b32_e32 v33, s1
	v_add_co_u32_e32 v34, vcc, s0, v13
	v_addc_co_u32_e32 v33, vcc, 0, v33, vcc
	s_waitcnt lgkmcnt(3)
	global_store_dwordx2 v13, v[27:28], s[0:1]
	s_waitcnt lgkmcnt(2)
	global_store_dwordx2 v13, v[29:30], s[0:1] offset:2048
	v_add_co_u32_e32 v27, vcc, 0x1000, v34
	v_addc_co_u32_e32 v28, vcc, 0, v33, vcc
	s_waitcnt lgkmcnt(1)
	global_store_dwordx2 v[27:28], v[31:32], off
	s_mov_b64 s[6:7], -1
	s_cbranch_execz .LBB202_34
	s_branch .LBB202_44
.LBB202_33:
	s_mov_b64 s[6:7], 0
                                        ; implicit-def: $vgpr11_vgpr12
.LBB202_34:
	s_waitcnt vmcnt(0) lgkmcnt(0)
	s_barrier
	ds_read_u8 v24, v24 offset:256
	ds_read_u8 v12, v25 offset:512
	;; [unrolled: 1-line block ×3, first 2 shown]
	s_sub_i32 s6, s14, s16
	v_cmp_gt_u32_e32 vcc, s6, v0
	s_and_saveexec_b64 s[0:1], vcc
	s_cbranch_execnz .LBB202_51
; %bb.35:
	s_or_b64 exec, exec, s[0:1]
	v_cmp_gt_u32_e64 s[0:1], s6, v22
	s_and_saveexec_b64 s[2:3], s[0:1]
	s_cbranch_execnz .LBB202_52
.LBB202_36:
	s_or_b64 exec, exec, s[2:3]
	v_cmp_gt_u32_e64 s[2:3], s6, v21
	s_and_saveexec_b64 s[4:5], s[2:3]
	s_cbranch_execnz .LBB202_53
.LBB202_37:
	s_or_b64 exec, exec, s[4:5]
	v_cmp_gt_u32_e64 s[6:7], s6, v20
	s_and_saveexec_b64 s[4:5], s[6:7]
	s_cbranch_execz .LBB202_39
.LBB202_38:
	s_waitcnt lgkmcnt(0)
	global_store_byte v[9:10], v11, off offset:768
.LBB202_39:
	s_or_b64 exec, exec, s[4:5]
	v_lshl_add_u32 v0, v19, 3, v18
	s_waitcnt vmcnt(0) lgkmcnt(0)
	s_barrier
	ds_write2_b64 v0, v[5:6], v[7:8] offset1:1
	ds_write2_b64 v0, v[1:2], v[3:4] offset0:2 offset1:3
	v_lshl_add_u32 v0, v15, 3, v13
	v_lshl_add_u32 v1, v16, 3, v13
	s_waitcnt lgkmcnt(0)
	s_barrier
	v_lshl_add_u32 v2, v17, 3, v13
	ds_read_b64 v[4:5], v0 offset:2048
	ds_read_b64 v[0:1], v1 offset:4096
	ds_read_b64 v[11:12], v2 offset:6144
	s_lshl_b64 s[4:5], s[16:17], 3
	s_add_u32 s4, s12, s4
	s_addc_u32 s5, s13, s5
	v_mov_b32_e32 v3, s5
	v_add_co_u32_e64 v2, s[4:5], s4, v13
	v_addc_co_u32_e64 v3, s[4:5], 0, v3, s[4:5]
	s_and_saveexec_b64 s[4:5], vcc
	s_cbranch_execnz .LBB202_54
; %bb.40:
	s_or_b64 exec, exec, s[4:5]
	s_and_saveexec_b64 s[4:5], s[0:1]
	s_cbranch_execnz .LBB202_55
.LBB202_41:
	s_or_b64 exec, exec, s[4:5]
	s_and_saveexec_b64 s[0:1], s[2:3]
	s_cbranch_execz .LBB202_43
.LBB202_42:
	v_add_co_u32_e32 v2, vcc, 0x1000, v2
	v_addc_co_u32_e32 v3, vcc, 0, v3, vcc
	s_waitcnt lgkmcnt(1)
	global_store_dwordx2 v[2:3], v[0:1], off
.LBB202_43:
	s_or_b64 exec, exec, s[0:1]
.LBB202_44:
	s_and_saveexec_b64 s[0:1], s[6:7]
	s_cbranch_execz .LBB202_46
; %bb.45:
	s_lshl_b64 s[0:1], s[16:17], 3
	s_add_u32 s0, s12, s0
	s_addc_u32 s1, s13, s1
	s_waitcnt lgkmcnt(1)
	v_mov_b32_e32 v0, s1
	v_add_co_u32_e32 v1, vcc, s0, v13
	v_addc_co_u32_e32 v2, vcc, 0, v0, vcc
	v_add_co_u32_e32 v0, vcc, 0x1000, v1
	v_addc_co_u32_e32 v1, vcc, 0, v2, vcc
	s_waitcnt lgkmcnt(0)
	global_store_dwordx2 v[0:1], v[11:12], off offset:2048
.LBB202_46:
	s_endpgm
.LBB202_47:
	v_mov_b32_e32 v1, s27
	v_add_co_u32_e32 v3, vcc, s26, v0
	v_addc_co_u32_e32 v1, vcc, 0, v1, vcc
	v_subrev_co_u32_e32 v2, vcc, s15, v0
	v_mov_b32_e32 v4, s28
	v_add_co_u32_e64 v5, s[0:1], s25, v2
	v_addc_co_u32_e64 v2, s[0:1], 0, v4, s[0:1]
	v_cndmask_b32_e32 v2, v2, v1, vcc
	v_cndmask_b32_e32 v1, v5, v3, vcc
	global_load_ubyte v14, v[1:2], off
	s_or_b64 exec, exec, s[6:7]
	v_cmp_gt_u32_e32 vcc, s22, v11
	s_and_saveexec_b64 s[6:7], vcc
	s_cbranch_execz .LBB202_6
.LBB202_48:
	v_mov_b32_e32 v1, s27
	v_add_co_u32_e32 v3, vcc, s26, v11
	v_addc_co_u32_e32 v1, vcc, 0, v1, vcc
	v_subrev_co_u32_e32 v2, vcc, s15, v11
	v_mov_b32_e32 v4, s28
	v_add_co_u32_e64 v5, s[0:1], s25, v2
	v_addc_co_u32_e64 v2, s[0:1], 0, v4, s[0:1]
	v_cndmask_b32_e32 v2, v2, v1, vcc
	v_cndmask_b32_e32 v1, v5, v3, vcc
	global_load_ubyte v1, v[1:2], off
	s_waitcnt vmcnt(0)
	v_lshlrev_b16_e32 v1, 8, v1
	v_or_b32_e32 v1, v14, v1
	v_and_b32_e32 v14, 0xffff, v1
	s_or_b64 exec, exec, s[6:7]
	v_cmp_gt_u32_e32 vcc, s22, v9
	s_and_saveexec_b64 s[6:7], vcc
	s_cbranch_execnz .LBB202_7
	s_branch .LBB202_8
.LBB202_49:
	v_mov_b32_e32 v2, s23
	v_add_co_u32_e32 v4, vcc, s22, v13
	v_addc_co_u32_e32 v5, vcc, 0, v2, vcc
	v_subrev_co_u32_e32 v2, vcc, s15, v0
	v_mov_b32_e32 v3, v1
	v_lshlrev_b64 v[2:3], 3, v[2:3]
	v_mov_b32_e32 v6, s7
	v_add_co_u32_e64 v2, s[0:1], s6, v2
	v_addc_co_u32_e64 v3, s[0:1], v6, v3, s[0:1]
	v_cndmask_b32_e32 v3, v3, v5, vcc
	v_cndmask_b32_e32 v2, v2, v4, vcc
	global_load_dwordx2 v[19:20], v[2:3], off
	v_mov_b32_e32 v21, v1
	v_mov_b32_e32 v22, v1
	;; [unrolled: 1-line block ×6, first 2 shown]
	s_waitcnt vmcnt(0)
	v_mov_b32_e32 v1, v19
	v_mov_b32_e32 v2, v20
	v_mov_b32_e32 v3, v21
	v_mov_b32_e32 v4, v22
	v_mov_b32_e32 v5, v23
	v_mov_b32_e32 v6, v24
	v_mov_b32_e32 v7, v25
	v_mov_b32_e32 v8, v26
	s_or_b64 exec, exec, s[2:3]
	v_cmp_gt_u32_e32 vcc, s10, v11
	s_and_saveexec_b64 s[2:3], vcc
	s_cbranch_execz .LBB202_16
.LBB202_50:
	v_mov_b32_e32 v12, 0
	v_lshlrev_b64 v[3:4], 3, v[11:12]
	v_mov_b32_e32 v10, s23
	v_add_co_u32_e32 v19, vcc, s22, v3
	v_addc_co_u32_e32 v10, vcc, v10, v4, vcc
	v_subrev_co_u32_e32 v11, vcc, s15, v11
	v_lshlrev_b64 v[3:4], 3, v[11:12]
	v_mov_b32_e32 v11, s7
	v_add_co_u32_e64 v3, s[0:1], s6, v3
	v_addc_co_u32_e64 v4, s[0:1], v11, v4, s[0:1]
	v_cndmask_b32_e32 v4, v4, v10, vcc
	v_cndmask_b32_e32 v3, v3, v19, vcc
	global_load_dwordx2 v[3:4], v[3:4], off
	s_or_b64 exec, exec, s[2:3]
	v_cmp_gt_u32_e32 vcc, s10, v9
	s_and_saveexec_b64 s[2:3], vcc
	s_cbranch_execnz .LBB202_17
	s_branch .LBB202_18
.LBB202_51:
	v_add_u32_e32 v0, v23, v0
	ds_read_u8 v0, v0
	s_waitcnt lgkmcnt(0)
	global_store_byte v[9:10], v0, off
	s_or_b64 exec, exec, s[0:1]
	v_cmp_gt_u32_e64 s[0:1], s6, v22
	s_and_saveexec_b64 s[2:3], s[0:1]
	s_cbranch_execz .LBB202_36
.LBB202_52:
	s_waitcnt lgkmcnt(2)
	global_store_byte v[9:10], v24, off offset:256
	s_or_b64 exec, exec, s[2:3]
	v_cmp_gt_u32_e64 s[2:3], s6, v21
	s_and_saveexec_b64 s[4:5], s[2:3]
	s_cbranch_execz .LBB202_37
.LBB202_53:
	s_waitcnt lgkmcnt(1)
	global_store_byte v[9:10], v12, off offset:512
	s_or_b64 exec, exec, s[4:5]
	v_cmp_gt_u32_e64 s[6:7], s6, v20
	s_and_saveexec_b64 s[4:5], s[6:7]
	s_cbranch_execnz .LBB202_38
	s_branch .LBB202_39
.LBB202_54:
	v_lshl_add_u32 v6, v14, 3, v13
	ds_read_b64 v[6:7], v6
	s_waitcnt lgkmcnt(0)
	global_store_dwordx2 v[2:3], v[6:7], off
	s_or_b64 exec, exec, s[4:5]
	s_and_saveexec_b64 s[4:5], s[0:1]
	s_cbranch_execz .LBB202_41
.LBB202_55:
	s_waitcnt lgkmcnt(2)
	global_store_dwordx2 v[2:3], v[4:5], off offset:2048
	s_or_b64 exec, exec, s[4:5]
	s_and_saveexec_b64 s[0:1], s[2:3]
	s_cbranch_execnz .LBB202_42
	s_branch .LBB202_43
	.section	.rodata,"a",@progbits
	.p2align	6, 0x0
	.amdhsa_kernel _ZN7rocprim17ROCPRIM_400000_NS6detail17trampoline_kernelINS0_14default_configENS1_38merge_sort_block_merge_config_selectorIhlEEZZNS1_27merge_sort_block_merge_implIS3_PhN6thrust23THRUST_200600_302600_NS10device_ptrIlEEjNS1_19radix_merge_compareILb0ELb1EhNS0_19identity_decomposerEEEEE10hipError_tT0_T1_T2_jT3_P12ihipStream_tbPNSt15iterator_traitsISG_E10value_typeEPNSM_ISH_E10value_typeEPSI_NS1_7vsmem_tEENKUlT_SG_SH_SI_E_clIS7_S7_PlSB_EESF_SV_SG_SH_SI_EUlSV_E0_NS1_11comp_targetILNS1_3genE2ELNS1_11target_archE906ELNS1_3gpuE6ELNS1_3repE0EEENS1_38merge_mergepath_config_static_selectorELNS0_4arch9wavefront6targetE1EEEvSH_
		.amdhsa_group_segment_fixed_size 8448
		.amdhsa_private_segment_fixed_size 0
		.amdhsa_kernarg_size 320
		.amdhsa_user_sgpr_count 6
		.amdhsa_user_sgpr_private_segment_buffer 1
		.amdhsa_user_sgpr_dispatch_ptr 0
		.amdhsa_user_sgpr_queue_ptr 0
		.amdhsa_user_sgpr_kernarg_segment_ptr 1
		.amdhsa_user_sgpr_dispatch_id 0
		.amdhsa_user_sgpr_flat_scratch_init 0
		.amdhsa_user_sgpr_private_segment_size 0
		.amdhsa_uses_dynamic_stack 0
		.amdhsa_system_sgpr_private_segment_wavefront_offset 0
		.amdhsa_system_sgpr_workgroup_id_x 1
		.amdhsa_system_sgpr_workgroup_id_y 1
		.amdhsa_system_sgpr_workgroup_id_z 1
		.amdhsa_system_sgpr_workgroup_info 0
		.amdhsa_system_vgpr_workitem_id 0
		.amdhsa_next_free_vgpr 35
		.amdhsa_next_free_sgpr 77
		.amdhsa_reserve_vcc 1
		.amdhsa_reserve_flat_scratch 0
		.amdhsa_float_round_mode_32 0
		.amdhsa_float_round_mode_16_64 0
		.amdhsa_float_denorm_mode_32 3
		.amdhsa_float_denorm_mode_16_64 3
		.amdhsa_dx10_clamp 1
		.amdhsa_ieee_mode 1
		.amdhsa_fp16_overflow 0
		.amdhsa_exception_fp_ieee_invalid_op 0
		.amdhsa_exception_fp_denorm_src 0
		.amdhsa_exception_fp_ieee_div_zero 0
		.amdhsa_exception_fp_ieee_overflow 0
		.amdhsa_exception_fp_ieee_underflow 0
		.amdhsa_exception_fp_ieee_inexact 0
		.amdhsa_exception_int_div_zero 0
	.end_amdhsa_kernel
	.section	.text._ZN7rocprim17ROCPRIM_400000_NS6detail17trampoline_kernelINS0_14default_configENS1_38merge_sort_block_merge_config_selectorIhlEEZZNS1_27merge_sort_block_merge_implIS3_PhN6thrust23THRUST_200600_302600_NS10device_ptrIlEEjNS1_19radix_merge_compareILb0ELb1EhNS0_19identity_decomposerEEEEE10hipError_tT0_T1_T2_jT3_P12ihipStream_tbPNSt15iterator_traitsISG_E10value_typeEPNSM_ISH_E10value_typeEPSI_NS1_7vsmem_tEENKUlT_SG_SH_SI_E_clIS7_S7_PlSB_EESF_SV_SG_SH_SI_EUlSV_E0_NS1_11comp_targetILNS1_3genE2ELNS1_11target_archE906ELNS1_3gpuE6ELNS1_3repE0EEENS1_38merge_mergepath_config_static_selectorELNS0_4arch9wavefront6targetE1EEEvSH_,"axG",@progbits,_ZN7rocprim17ROCPRIM_400000_NS6detail17trampoline_kernelINS0_14default_configENS1_38merge_sort_block_merge_config_selectorIhlEEZZNS1_27merge_sort_block_merge_implIS3_PhN6thrust23THRUST_200600_302600_NS10device_ptrIlEEjNS1_19radix_merge_compareILb0ELb1EhNS0_19identity_decomposerEEEEE10hipError_tT0_T1_T2_jT3_P12ihipStream_tbPNSt15iterator_traitsISG_E10value_typeEPNSM_ISH_E10value_typeEPSI_NS1_7vsmem_tEENKUlT_SG_SH_SI_E_clIS7_S7_PlSB_EESF_SV_SG_SH_SI_EUlSV_E0_NS1_11comp_targetILNS1_3genE2ELNS1_11target_archE906ELNS1_3gpuE6ELNS1_3repE0EEENS1_38merge_mergepath_config_static_selectorELNS0_4arch9wavefront6targetE1EEEvSH_,comdat
.Lfunc_end202:
	.size	_ZN7rocprim17ROCPRIM_400000_NS6detail17trampoline_kernelINS0_14default_configENS1_38merge_sort_block_merge_config_selectorIhlEEZZNS1_27merge_sort_block_merge_implIS3_PhN6thrust23THRUST_200600_302600_NS10device_ptrIlEEjNS1_19radix_merge_compareILb0ELb1EhNS0_19identity_decomposerEEEEE10hipError_tT0_T1_T2_jT3_P12ihipStream_tbPNSt15iterator_traitsISG_E10value_typeEPNSM_ISH_E10value_typeEPSI_NS1_7vsmem_tEENKUlT_SG_SH_SI_E_clIS7_S7_PlSB_EESF_SV_SG_SH_SI_EUlSV_E0_NS1_11comp_targetILNS1_3genE2ELNS1_11target_archE906ELNS1_3gpuE6ELNS1_3repE0EEENS1_38merge_mergepath_config_static_selectorELNS0_4arch9wavefront6targetE1EEEvSH_, .Lfunc_end202-_ZN7rocprim17ROCPRIM_400000_NS6detail17trampoline_kernelINS0_14default_configENS1_38merge_sort_block_merge_config_selectorIhlEEZZNS1_27merge_sort_block_merge_implIS3_PhN6thrust23THRUST_200600_302600_NS10device_ptrIlEEjNS1_19radix_merge_compareILb0ELb1EhNS0_19identity_decomposerEEEEE10hipError_tT0_T1_T2_jT3_P12ihipStream_tbPNSt15iterator_traitsISG_E10value_typeEPNSM_ISH_E10value_typeEPSI_NS1_7vsmem_tEENKUlT_SG_SH_SI_E_clIS7_S7_PlSB_EESF_SV_SG_SH_SI_EUlSV_E0_NS1_11comp_targetILNS1_3genE2ELNS1_11target_archE906ELNS1_3gpuE6ELNS1_3repE0EEENS1_38merge_mergepath_config_static_selectorELNS0_4arch9wavefront6targetE1EEEvSH_
                                        ; -- End function
	.set _ZN7rocprim17ROCPRIM_400000_NS6detail17trampoline_kernelINS0_14default_configENS1_38merge_sort_block_merge_config_selectorIhlEEZZNS1_27merge_sort_block_merge_implIS3_PhN6thrust23THRUST_200600_302600_NS10device_ptrIlEEjNS1_19radix_merge_compareILb0ELb1EhNS0_19identity_decomposerEEEEE10hipError_tT0_T1_T2_jT3_P12ihipStream_tbPNSt15iterator_traitsISG_E10value_typeEPNSM_ISH_E10value_typeEPSI_NS1_7vsmem_tEENKUlT_SG_SH_SI_E_clIS7_S7_PlSB_EESF_SV_SG_SH_SI_EUlSV_E0_NS1_11comp_targetILNS1_3genE2ELNS1_11target_archE906ELNS1_3gpuE6ELNS1_3repE0EEENS1_38merge_mergepath_config_static_selectorELNS0_4arch9wavefront6targetE1EEEvSH_.num_vgpr, 35
	.set _ZN7rocprim17ROCPRIM_400000_NS6detail17trampoline_kernelINS0_14default_configENS1_38merge_sort_block_merge_config_selectorIhlEEZZNS1_27merge_sort_block_merge_implIS3_PhN6thrust23THRUST_200600_302600_NS10device_ptrIlEEjNS1_19radix_merge_compareILb0ELb1EhNS0_19identity_decomposerEEEEE10hipError_tT0_T1_T2_jT3_P12ihipStream_tbPNSt15iterator_traitsISG_E10value_typeEPNSM_ISH_E10value_typeEPSI_NS1_7vsmem_tEENKUlT_SG_SH_SI_E_clIS7_S7_PlSB_EESF_SV_SG_SH_SI_EUlSV_E0_NS1_11comp_targetILNS1_3genE2ELNS1_11target_archE906ELNS1_3gpuE6ELNS1_3repE0EEENS1_38merge_mergepath_config_static_selectorELNS0_4arch9wavefront6targetE1EEEvSH_.num_agpr, 0
	.set _ZN7rocprim17ROCPRIM_400000_NS6detail17trampoline_kernelINS0_14default_configENS1_38merge_sort_block_merge_config_selectorIhlEEZZNS1_27merge_sort_block_merge_implIS3_PhN6thrust23THRUST_200600_302600_NS10device_ptrIlEEjNS1_19radix_merge_compareILb0ELb1EhNS0_19identity_decomposerEEEEE10hipError_tT0_T1_T2_jT3_P12ihipStream_tbPNSt15iterator_traitsISG_E10value_typeEPNSM_ISH_E10value_typeEPSI_NS1_7vsmem_tEENKUlT_SG_SH_SI_E_clIS7_S7_PlSB_EESF_SV_SG_SH_SI_EUlSV_E0_NS1_11comp_targetILNS1_3genE2ELNS1_11target_archE906ELNS1_3gpuE6ELNS1_3repE0EEENS1_38merge_mergepath_config_static_selectorELNS0_4arch9wavefront6targetE1EEEvSH_.numbered_sgpr, 31
	.set _ZN7rocprim17ROCPRIM_400000_NS6detail17trampoline_kernelINS0_14default_configENS1_38merge_sort_block_merge_config_selectorIhlEEZZNS1_27merge_sort_block_merge_implIS3_PhN6thrust23THRUST_200600_302600_NS10device_ptrIlEEjNS1_19radix_merge_compareILb0ELb1EhNS0_19identity_decomposerEEEEE10hipError_tT0_T1_T2_jT3_P12ihipStream_tbPNSt15iterator_traitsISG_E10value_typeEPNSM_ISH_E10value_typeEPSI_NS1_7vsmem_tEENKUlT_SG_SH_SI_E_clIS7_S7_PlSB_EESF_SV_SG_SH_SI_EUlSV_E0_NS1_11comp_targetILNS1_3genE2ELNS1_11target_archE906ELNS1_3gpuE6ELNS1_3repE0EEENS1_38merge_mergepath_config_static_selectorELNS0_4arch9wavefront6targetE1EEEvSH_.num_named_barrier, 0
	.set _ZN7rocprim17ROCPRIM_400000_NS6detail17trampoline_kernelINS0_14default_configENS1_38merge_sort_block_merge_config_selectorIhlEEZZNS1_27merge_sort_block_merge_implIS3_PhN6thrust23THRUST_200600_302600_NS10device_ptrIlEEjNS1_19radix_merge_compareILb0ELb1EhNS0_19identity_decomposerEEEEE10hipError_tT0_T1_T2_jT3_P12ihipStream_tbPNSt15iterator_traitsISG_E10value_typeEPNSM_ISH_E10value_typeEPSI_NS1_7vsmem_tEENKUlT_SG_SH_SI_E_clIS7_S7_PlSB_EESF_SV_SG_SH_SI_EUlSV_E0_NS1_11comp_targetILNS1_3genE2ELNS1_11target_archE906ELNS1_3gpuE6ELNS1_3repE0EEENS1_38merge_mergepath_config_static_selectorELNS0_4arch9wavefront6targetE1EEEvSH_.private_seg_size, 0
	.set _ZN7rocprim17ROCPRIM_400000_NS6detail17trampoline_kernelINS0_14default_configENS1_38merge_sort_block_merge_config_selectorIhlEEZZNS1_27merge_sort_block_merge_implIS3_PhN6thrust23THRUST_200600_302600_NS10device_ptrIlEEjNS1_19radix_merge_compareILb0ELb1EhNS0_19identity_decomposerEEEEE10hipError_tT0_T1_T2_jT3_P12ihipStream_tbPNSt15iterator_traitsISG_E10value_typeEPNSM_ISH_E10value_typeEPSI_NS1_7vsmem_tEENKUlT_SG_SH_SI_E_clIS7_S7_PlSB_EESF_SV_SG_SH_SI_EUlSV_E0_NS1_11comp_targetILNS1_3genE2ELNS1_11target_archE906ELNS1_3gpuE6ELNS1_3repE0EEENS1_38merge_mergepath_config_static_selectorELNS0_4arch9wavefront6targetE1EEEvSH_.uses_vcc, 1
	.set _ZN7rocprim17ROCPRIM_400000_NS6detail17trampoline_kernelINS0_14default_configENS1_38merge_sort_block_merge_config_selectorIhlEEZZNS1_27merge_sort_block_merge_implIS3_PhN6thrust23THRUST_200600_302600_NS10device_ptrIlEEjNS1_19radix_merge_compareILb0ELb1EhNS0_19identity_decomposerEEEEE10hipError_tT0_T1_T2_jT3_P12ihipStream_tbPNSt15iterator_traitsISG_E10value_typeEPNSM_ISH_E10value_typeEPSI_NS1_7vsmem_tEENKUlT_SG_SH_SI_E_clIS7_S7_PlSB_EESF_SV_SG_SH_SI_EUlSV_E0_NS1_11comp_targetILNS1_3genE2ELNS1_11target_archE906ELNS1_3gpuE6ELNS1_3repE0EEENS1_38merge_mergepath_config_static_selectorELNS0_4arch9wavefront6targetE1EEEvSH_.uses_flat_scratch, 0
	.set _ZN7rocprim17ROCPRIM_400000_NS6detail17trampoline_kernelINS0_14default_configENS1_38merge_sort_block_merge_config_selectorIhlEEZZNS1_27merge_sort_block_merge_implIS3_PhN6thrust23THRUST_200600_302600_NS10device_ptrIlEEjNS1_19radix_merge_compareILb0ELb1EhNS0_19identity_decomposerEEEEE10hipError_tT0_T1_T2_jT3_P12ihipStream_tbPNSt15iterator_traitsISG_E10value_typeEPNSM_ISH_E10value_typeEPSI_NS1_7vsmem_tEENKUlT_SG_SH_SI_E_clIS7_S7_PlSB_EESF_SV_SG_SH_SI_EUlSV_E0_NS1_11comp_targetILNS1_3genE2ELNS1_11target_archE906ELNS1_3gpuE6ELNS1_3repE0EEENS1_38merge_mergepath_config_static_selectorELNS0_4arch9wavefront6targetE1EEEvSH_.has_dyn_sized_stack, 0
	.set _ZN7rocprim17ROCPRIM_400000_NS6detail17trampoline_kernelINS0_14default_configENS1_38merge_sort_block_merge_config_selectorIhlEEZZNS1_27merge_sort_block_merge_implIS3_PhN6thrust23THRUST_200600_302600_NS10device_ptrIlEEjNS1_19radix_merge_compareILb0ELb1EhNS0_19identity_decomposerEEEEE10hipError_tT0_T1_T2_jT3_P12ihipStream_tbPNSt15iterator_traitsISG_E10value_typeEPNSM_ISH_E10value_typeEPSI_NS1_7vsmem_tEENKUlT_SG_SH_SI_E_clIS7_S7_PlSB_EESF_SV_SG_SH_SI_EUlSV_E0_NS1_11comp_targetILNS1_3genE2ELNS1_11target_archE906ELNS1_3gpuE6ELNS1_3repE0EEENS1_38merge_mergepath_config_static_selectorELNS0_4arch9wavefront6targetE1EEEvSH_.has_recursion, 0
	.set _ZN7rocprim17ROCPRIM_400000_NS6detail17trampoline_kernelINS0_14default_configENS1_38merge_sort_block_merge_config_selectorIhlEEZZNS1_27merge_sort_block_merge_implIS3_PhN6thrust23THRUST_200600_302600_NS10device_ptrIlEEjNS1_19radix_merge_compareILb0ELb1EhNS0_19identity_decomposerEEEEE10hipError_tT0_T1_T2_jT3_P12ihipStream_tbPNSt15iterator_traitsISG_E10value_typeEPNSM_ISH_E10value_typeEPSI_NS1_7vsmem_tEENKUlT_SG_SH_SI_E_clIS7_S7_PlSB_EESF_SV_SG_SH_SI_EUlSV_E0_NS1_11comp_targetILNS1_3genE2ELNS1_11target_archE906ELNS1_3gpuE6ELNS1_3repE0EEENS1_38merge_mergepath_config_static_selectorELNS0_4arch9wavefront6targetE1EEEvSH_.has_indirect_call, 0
	.section	.AMDGPU.csdata,"",@progbits
; Kernel info:
; codeLenInByte = 3512
; TotalNumSgprs: 35
; NumVgprs: 35
; ScratchSize: 0
; MemoryBound: 0
; FloatMode: 240
; IeeeMode: 1
; LDSByteSize: 8448 bytes/workgroup (compile time only)
; SGPRBlocks: 10
; VGPRBlocks: 8
; NumSGPRsForWavesPerEU: 81
; NumVGPRsForWavesPerEU: 35
; Occupancy: 7
; WaveLimiterHint : 1
; COMPUTE_PGM_RSRC2:SCRATCH_EN: 0
; COMPUTE_PGM_RSRC2:USER_SGPR: 6
; COMPUTE_PGM_RSRC2:TRAP_HANDLER: 0
; COMPUTE_PGM_RSRC2:TGID_X_EN: 1
; COMPUTE_PGM_RSRC2:TGID_Y_EN: 1
; COMPUTE_PGM_RSRC2:TGID_Z_EN: 1
; COMPUTE_PGM_RSRC2:TIDIG_COMP_CNT: 0
	.section	.text._ZN7rocprim17ROCPRIM_400000_NS6detail17trampoline_kernelINS0_14default_configENS1_38merge_sort_block_merge_config_selectorIhlEEZZNS1_27merge_sort_block_merge_implIS3_PhN6thrust23THRUST_200600_302600_NS10device_ptrIlEEjNS1_19radix_merge_compareILb0ELb1EhNS0_19identity_decomposerEEEEE10hipError_tT0_T1_T2_jT3_P12ihipStream_tbPNSt15iterator_traitsISG_E10value_typeEPNSM_ISH_E10value_typeEPSI_NS1_7vsmem_tEENKUlT_SG_SH_SI_E_clIS7_S7_PlSB_EESF_SV_SG_SH_SI_EUlSV_E0_NS1_11comp_targetILNS1_3genE9ELNS1_11target_archE1100ELNS1_3gpuE3ELNS1_3repE0EEENS1_38merge_mergepath_config_static_selectorELNS0_4arch9wavefront6targetE1EEEvSH_,"axG",@progbits,_ZN7rocprim17ROCPRIM_400000_NS6detail17trampoline_kernelINS0_14default_configENS1_38merge_sort_block_merge_config_selectorIhlEEZZNS1_27merge_sort_block_merge_implIS3_PhN6thrust23THRUST_200600_302600_NS10device_ptrIlEEjNS1_19radix_merge_compareILb0ELb1EhNS0_19identity_decomposerEEEEE10hipError_tT0_T1_T2_jT3_P12ihipStream_tbPNSt15iterator_traitsISG_E10value_typeEPNSM_ISH_E10value_typeEPSI_NS1_7vsmem_tEENKUlT_SG_SH_SI_E_clIS7_S7_PlSB_EESF_SV_SG_SH_SI_EUlSV_E0_NS1_11comp_targetILNS1_3genE9ELNS1_11target_archE1100ELNS1_3gpuE3ELNS1_3repE0EEENS1_38merge_mergepath_config_static_selectorELNS0_4arch9wavefront6targetE1EEEvSH_,comdat
	.protected	_ZN7rocprim17ROCPRIM_400000_NS6detail17trampoline_kernelINS0_14default_configENS1_38merge_sort_block_merge_config_selectorIhlEEZZNS1_27merge_sort_block_merge_implIS3_PhN6thrust23THRUST_200600_302600_NS10device_ptrIlEEjNS1_19radix_merge_compareILb0ELb1EhNS0_19identity_decomposerEEEEE10hipError_tT0_T1_T2_jT3_P12ihipStream_tbPNSt15iterator_traitsISG_E10value_typeEPNSM_ISH_E10value_typeEPSI_NS1_7vsmem_tEENKUlT_SG_SH_SI_E_clIS7_S7_PlSB_EESF_SV_SG_SH_SI_EUlSV_E0_NS1_11comp_targetILNS1_3genE9ELNS1_11target_archE1100ELNS1_3gpuE3ELNS1_3repE0EEENS1_38merge_mergepath_config_static_selectorELNS0_4arch9wavefront6targetE1EEEvSH_ ; -- Begin function _ZN7rocprim17ROCPRIM_400000_NS6detail17trampoline_kernelINS0_14default_configENS1_38merge_sort_block_merge_config_selectorIhlEEZZNS1_27merge_sort_block_merge_implIS3_PhN6thrust23THRUST_200600_302600_NS10device_ptrIlEEjNS1_19radix_merge_compareILb0ELb1EhNS0_19identity_decomposerEEEEE10hipError_tT0_T1_T2_jT3_P12ihipStream_tbPNSt15iterator_traitsISG_E10value_typeEPNSM_ISH_E10value_typeEPSI_NS1_7vsmem_tEENKUlT_SG_SH_SI_E_clIS7_S7_PlSB_EESF_SV_SG_SH_SI_EUlSV_E0_NS1_11comp_targetILNS1_3genE9ELNS1_11target_archE1100ELNS1_3gpuE3ELNS1_3repE0EEENS1_38merge_mergepath_config_static_selectorELNS0_4arch9wavefront6targetE1EEEvSH_
	.globl	_ZN7rocprim17ROCPRIM_400000_NS6detail17trampoline_kernelINS0_14default_configENS1_38merge_sort_block_merge_config_selectorIhlEEZZNS1_27merge_sort_block_merge_implIS3_PhN6thrust23THRUST_200600_302600_NS10device_ptrIlEEjNS1_19radix_merge_compareILb0ELb1EhNS0_19identity_decomposerEEEEE10hipError_tT0_T1_T2_jT3_P12ihipStream_tbPNSt15iterator_traitsISG_E10value_typeEPNSM_ISH_E10value_typeEPSI_NS1_7vsmem_tEENKUlT_SG_SH_SI_E_clIS7_S7_PlSB_EESF_SV_SG_SH_SI_EUlSV_E0_NS1_11comp_targetILNS1_3genE9ELNS1_11target_archE1100ELNS1_3gpuE3ELNS1_3repE0EEENS1_38merge_mergepath_config_static_selectorELNS0_4arch9wavefront6targetE1EEEvSH_
	.p2align	8
	.type	_ZN7rocprim17ROCPRIM_400000_NS6detail17trampoline_kernelINS0_14default_configENS1_38merge_sort_block_merge_config_selectorIhlEEZZNS1_27merge_sort_block_merge_implIS3_PhN6thrust23THRUST_200600_302600_NS10device_ptrIlEEjNS1_19radix_merge_compareILb0ELb1EhNS0_19identity_decomposerEEEEE10hipError_tT0_T1_T2_jT3_P12ihipStream_tbPNSt15iterator_traitsISG_E10value_typeEPNSM_ISH_E10value_typeEPSI_NS1_7vsmem_tEENKUlT_SG_SH_SI_E_clIS7_S7_PlSB_EESF_SV_SG_SH_SI_EUlSV_E0_NS1_11comp_targetILNS1_3genE9ELNS1_11target_archE1100ELNS1_3gpuE3ELNS1_3repE0EEENS1_38merge_mergepath_config_static_selectorELNS0_4arch9wavefront6targetE1EEEvSH_,@function
_ZN7rocprim17ROCPRIM_400000_NS6detail17trampoline_kernelINS0_14default_configENS1_38merge_sort_block_merge_config_selectorIhlEEZZNS1_27merge_sort_block_merge_implIS3_PhN6thrust23THRUST_200600_302600_NS10device_ptrIlEEjNS1_19radix_merge_compareILb0ELb1EhNS0_19identity_decomposerEEEEE10hipError_tT0_T1_T2_jT3_P12ihipStream_tbPNSt15iterator_traitsISG_E10value_typeEPNSM_ISH_E10value_typeEPSI_NS1_7vsmem_tEENKUlT_SG_SH_SI_E_clIS7_S7_PlSB_EESF_SV_SG_SH_SI_EUlSV_E0_NS1_11comp_targetILNS1_3genE9ELNS1_11target_archE1100ELNS1_3gpuE3ELNS1_3repE0EEENS1_38merge_mergepath_config_static_selectorELNS0_4arch9wavefront6targetE1EEEvSH_: ; @_ZN7rocprim17ROCPRIM_400000_NS6detail17trampoline_kernelINS0_14default_configENS1_38merge_sort_block_merge_config_selectorIhlEEZZNS1_27merge_sort_block_merge_implIS3_PhN6thrust23THRUST_200600_302600_NS10device_ptrIlEEjNS1_19radix_merge_compareILb0ELb1EhNS0_19identity_decomposerEEEEE10hipError_tT0_T1_T2_jT3_P12ihipStream_tbPNSt15iterator_traitsISG_E10value_typeEPNSM_ISH_E10value_typeEPSI_NS1_7vsmem_tEENKUlT_SG_SH_SI_E_clIS7_S7_PlSB_EESF_SV_SG_SH_SI_EUlSV_E0_NS1_11comp_targetILNS1_3genE9ELNS1_11target_archE1100ELNS1_3gpuE3ELNS1_3repE0EEENS1_38merge_mergepath_config_static_selectorELNS0_4arch9wavefront6targetE1EEEvSH_
; %bb.0:
	.section	.rodata,"a",@progbits
	.p2align	6, 0x0
	.amdhsa_kernel _ZN7rocprim17ROCPRIM_400000_NS6detail17trampoline_kernelINS0_14default_configENS1_38merge_sort_block_merge_config_selectorIhlEEZZNS1_27merge_sort_block_merge_implIS3_PhN6thrust23THRUST_200600_302600_NS10device_ptrIlEEjNS1_19radix_merge_compareILb0ELb1EhNS0_19identity_decomposerEEEEE10hipError_tT0_T1_T2_jT3_P12ihipStream_tbPNSt15iterator_traitsISG_E10value_typeEPNSM_ISH_E10value_typeEPSI_NS1_7vsmem_tEENKUlT_SG_SH_SI_E_clIS7_S7_PlSB_EESF_SV_SG_SH_SI_EUlSV_E0_NS1_11comp_targetILNS1_3genE9ELNS1_11target_archE1100ELNS1_3gpuE3ELNS1_3repE0EEENS1_38merge_mergepath_config_static_selectorELNS0_4arch9wavefront6targetE1EEEvSH_
		.amdhsa_group_segment_fixed_size 0
		.amdhsa_private_segment_fixed_size 0
		.amdhsa_kernarg_size 64
		.amdhsa_user_sgpr_count 6
		.amdhsa_user_sgpr_private_segment_buffer 1
		.amdhsa_user_sgpr_dispatch_ptr 0
		.amdhsa_user_sgpr_queue_ptr 0
		.amdhsa_user_sgpr_kernarg_segment_ptr 1
		.amdhsa_user_sgpr_dispatch_id 0
		.amdhsa_user_sgpr_flat_scratch_init 0
		.amdhsa_user_sgpr_private_segment_size 0
		.amdhsa_uses_dynamic_stack 0
		.amdhsa_system_sgpr_private_segment_wavefront_offset 0
		.amdhsa_system_sgpr_workgroup_id_x 1
		.amdhsa_system_sgpr_workgroup_id_y 0
		.amdhsa_system_sgpr_workgroup_id_z 0
		.amdhsa_system_sgpr_workgroup_info 0
		.amdhsa_system_vgpr_workitem_id 0
		.amdhsa_next_free_vgpr 1
		.amdhsa_next_free_sgpr 0
		.amdhsa_reserve_vcc 0
		.amdhsa_reserve_flat_scratch 0
		.amdhsa_float_round_mode_32 0
		.amdhsa_float_round_mode_16_64 0
		.amdhsa_float_denorm_mode_32 3
		.amdhsa_float_denorm_mode_16_64 3
		.amdhsa_dx10_clamp 1
		.amdhsa_ieee_mode 1
		.amdhsa_fp16_overflow 0
		.amdhsa_exception_fp_ieee_invalid_op 0
		.amdhsa_exception_fp_denorm_src 0
		.amdhsa_exception_fp_ieee_div_zero 0
		.amdhsa_exception_fp_ieee_overflow 0
		.amdhsa_exception_fp_ieee_underflow 0
		.amdhsa_exception_fp_ieee_inexact 0
		.amdhsa_exception_int_div_zero 0
	.end_amdhsa_kernel
	.section	.text._ZN7rocprim17ROCPRIM_400000_NS6detail17trampoline_kernelINS0_14default_configENS1_38merge_sort_block_merge_config_selectorIhlEEZZNS1_27merge_sort_block_merge_implIS3_PhN6thrust23THRUST_200600_302600_NS10device_ptrIlEEjNS1_19radix_merge_compareILb0ELb1EhNS0_19identity_decomposerEEEEE10hipError_tT0_T1_T2_jT3_P12ihipStream_tbPNSt15iterator_traitsISG_E10value_typeEPNSM_ISH_E10value_typeEPSI_NS1_7vsmem_tEENKUlT_SG_SH_SI_E_clIS7_S7_PlSB_EESF_SV_SG_SH_SI_EUlSV_E0_NS1_11comp_targetILNS1_3genE9ELNS1_11target_archE1100ELNS1_3gpuE3ELNS1_3repE0EEENS1_38merge_mergepath_config_static_selectorELNS0_4arch9wavefront6targetE1EEEvSH_,"axG",@progbits,_ZN7rocprim17ROCPRIM_400000_NS6detail17trampoline_kernelINS0_14default_configENS1_38merge_sort_block_merge_config_selectorIhlEEZZNS1_27merge_sort_block_merge_implIS3_PhN6thrust23THRUST_200600_302600_NS10device_ptrIlEEjNS1_19radix_merge_compareILb0ELb1EhNS0_19identity_decomposerEEEEE10hipError_tT0_T1_T2_jT3_P12ihipStream_tbPNSt15iterator_traitsISG_E10value_typeEPNSM_ISH_E10value_typeEPSI_NS1_7vsmem_tEENKUlT_SG_SH_SI_E_clIS7_S7_PlSB_EESF_SV_SG_SH_SI_EUlSV_E0_NS1_11comp_targetILNS1_3genE9ELNS1_11target_archE1100ELNS1_3gpuE3ELNS1_3repE0EEENS1_38merge_mergepath_config_static_selectorELNS0_4arch9wavefront6targetE1EEEvSH_,comdat
.Lfunc_end203:
	.size	_ZN7rocprim17ROCPRIM_400000_NS6detail17trampoline_kernelINS0_14default_configENS1_38merge_sort_block_merge_config_selectorIhlEEZZNS1_27merge_sort_block_merge_implIS3_PhN6thrust23THRUST_200600_302600_NS10device_ptrIlEEjNS1_19radix_merge_compareILb0ELb1EhNS0_19identity_decomposerEEEEE10hipError_tT0_T1_T2_jT3_P12ihipStream_tbPNSt15iterator_traitsISG_E10value_typeEPNSM_ISH_E10value_typeEPSI_NS1_7vsmem_tEENKUlT_SG_SH_SI_E_clIS7_S7_PlSB_EESF_SV_SG_SH_SI_EUlSV_E0_NS1_11comp_targetILNS1_3genE9ELNS1_11target_archE1100ELNS1_3gpuE3ELNS1_3repE0EEENS1_38merge_mergepath_config_static_selectorELNS0_4arch9wavefront6targetE1EEEvSH_, .Lfunc_end203-_ZN7rocprim17ROCPRIM_400000_NS6detail17trampoline_kernelINS0_14default_configENS1_38merge_sort_block_merge_config_selectorIhlEEZZNS1_27merge_sort_block_merge_implIS3_PhN6thrust23THRUST_200600_302600_NS10device_ptrIlEEjNS1_19radix_merge_compareILb0ELb1EhNS0_19identity_decomposerEEEEE10hipError_tT0_T1_T2_jT3_P12ihipStream_tbPNSt15iterator_traitsISG_E10value_typeEPNSM_ISH_E10value_typeEPSI_NS1_7vsmem_tEENKUlT_SG_SH_SI_E_clIS7_S7_PlSB_EESF_SV_SG_SH_SI_EUlSV_E0_NS1_11comp_targetILNS1_3genE9ELNS1_11target_archE1100ELNS1_3gpuE3ELNS1_3repE0EEENS1_38merge_mergepath_config_static_selectorELNS0_4arch9wavefront6targetE1EEEvSH_
                                        ; -- End function
	.set _ZN7rocprim17ROCPRIM_400000_NS6detail17trampoline_kernelINS0_14default_configENS1_38merge_sort_block_merge_config_selectorIhlEEZZNS1_27merge_sort_block_merge_implIS3_PhN6thrust23THRUST_200600_302600_NS10device_ptrIlEEjNS1_19radix_merge_compareILb0ELb1EhNS0_19identity_decomposerEEEEE10hipError_tT0_T1_T2_jT3_P12ihipStream_tbPNSt15iterator_traitsISG_E10value_typeEPNSM_ISH_E10value_typeEPSI_NS1_7vsmem_tEENKUlT_SG_SH_SI_E_clIS7_S7_PlSB_EESF_SV_SG_SH_SI_EUlSV_E0_NS1_11comp_targetILNS1_3genE9ELNS1_11target_archE1100ELNS1_3gpuE3ELNS1_3repE0EEENS1_38merge_mergepath_config_static_selectorELNS0_4arch9wavefront6targetE1EEEvSH_.num_vgpr, 0
	.set _ZN7rocprim17ROCPRIM_400000_NS6detail17trampoline_kernelINS0_14default_configENS1_38merge_sort_block_merge_config_selectorIhlEEZZNS1_27merge_sort_block_merge_implIS3_PhN6thrust23THRUST_200600_302600_NS10device_ptrIlEEjNS1_19radix_merge_compareILb0ELb1EhNS0_19identity_decomposerEEEEE10hipError_tT0_T1_T2_jT3_P12ihipStream_tbPNSt15iterator_traitsISG_E10value_typeEPNSM_ISH_E10value_typeEPSI_NS1_7vsmem_tEENKUlT_SG_SH_SI_E_clIS7_S7_PlSB_EESF_SV_SG_SH_SI_EUlSV_E0_NS1_11comp_targetILNS1_3genE9ELNS1_11target_archE1100ELNS1_3gpuE3ELNS1_3repE0EEENS1_38merge_mergepath_config_static_selectorELNS0_4arch9wavefront6targetE1EEEvSH_.num_agpr, 0
	.set _ZN7rocprim17ROCPRIM_400000_NS6detail17trampoline_kernelINS0_14default_configENS1_38merge_sort_block_merge_config_selectorIhlEEZZNS1_27merge_sort_block_merge_implIS3_PhN6thrust23THRUST_200600_302600_NS10device_ptrIlEEjNS1_19radix_merge_compareILb0ELb1EhNS0_19identity_decomposerEEEEE10hipError_tT0_T1_T2_jT3_P12ihipStream_tbPNSt15iterator_traitsISG_E10value_typeEPNSM_ISH_E10value_typeEPSI_NS1_7vsmem_tEENKUlT_SG_SH_SI_E_clIS7_S7_PlSB_EESF_SV_SG_SH_SI_EUlSV_E0_NS1_11comp_targetILNS1_3genE9ELNS1_11target_archE1100ELNS1_3gpuE3ELNS1_3repE0EEENS1_38merge_mergepath_config_static_selectorELNS0_4arch9wavefront6targetE1EEEvSH_.numbered_sgpr, 0
	.set _ZN7rocprim17ROCPRIM_400000_NS6detail17trampoline_kernelINS0_14default_configENS1_38merge_sort_block_merge_config_selectorIhlEEZZNS1_27merge_sort_block_merge_implIS3_PhN6thrust23THRUST_200600_302600_NS10device_ptrIlEEjNS1_19radix_merge_compareILb0ELb1EhNS0_19identity_decomposerEEEEE10hipError_tT0_T1_T2_jT3_P12ihipStream_tbPNSt15iterator_traitsISG_E10value_typeEPNSM_ISH_E10value_typeEPSI_NS1_7vsmem_tEENKUlT_SG_SH_SI_E_clIS7_S7_PlSB_EESF_SV_SG_SH_SI_EUlSV_E0_NS1_11comp_targetILNS1_3genE9ELNS1_11target_archE1100ELNS1_3gpuE3ELNS1_3repE0EEENS1_38merge_mergepath_config_static_selectorELNS0_4arch9wavefront6targetE1EEEvSH_.num_named_barrier, 0
	.set _ZN7rocprim17ROCPRIM_400000_NS6detail17trampoline_kernelINS0_14default_configENS1_38merge_sort_block_merge_config_selectorIhlEEZZNS1_27merge_sort_block_merge_implIS3_PhN6thrust23THRUST_200600_302600_NS10device_ptrIlEEjNS1_19radix_merge_compareILb0ELb1EhNS0_19identity_decomposerEEEEE10hipError_tT0_T1_T2_jT3_P12ihipStream_tbPNSt15iterator_traitsISG_E10value_typeEPNSM_ISH_E10value_typeEPSI_NS1_7vsmem_tEENKUlT_SG_SH_SI_E_clIS7_S7_PlSB_EESF_SV_SG_SH_SI_EUlSV_E0_NS1_11comp_targetILNS1_3genE9ELNS1_11target_archE1100ELNS1_3gpuE3ELNS1_3repE0EEENS1_38merge_mergepath_config_static_selectorELNS0_4arch9wavefront6targetE1EEEvSH_.private_seg_size, 0
	.set _ZN7rocprim17ROCPRIM_400000_NS6detail17trampoline_kernelINS0_14default_configENS1_38merge_sort_block_merge_config_selectorIhlEEZZNS1_27merge_sort_block_merge_implIS3_PhN6thrust23THRUST_200600_302600_NS10device_ptrIlEEjNS1_19radix_merge_compareILb0ELb1EhNS0_19identity_decomposerEEEEE10hipError_tT0_T1_T2_jT3_P12ihipStream_tbPNSt15iterator_traitsISG_E10value_typeEPNSM_ISH_E10value_typeEPSI_NS1_7vsmem_tEENKUlT_SG_SH_SI_E_clIS7_S7_PlSB_EESF_SV_SG_SH_SI_EUlSV_E0_NS1_11comp_targetILNS1_3genE9ELNS1_11target_archE1100ELNS1_3gpuE3ELNS1_3repE0EEENS1_38merge_mergepath_config_static_selectorELNS0_4arch9wavefront6targetE1EEEvSH_.uses_vcc, 0
	.set _ZN7rocprim17ROCPRIM_400000_NS6detail17trampoline_kernelINS0_14default_configENS1_38merge_sort_block_merge_config_selectorIhlEEZZNS1_27merge_sort_block_merge_implIS3_PhN6thrust23THRUST_200600_302600_NS10device_ptrIlEEjNS1_19radix_merge_compareILb0ELb1EhNS0_19identity_decomposerEEEEE10hipError_tT0_T1_T2_jT3_P12ihipStream_tbPNSt15iterator_traitsISG_E10value_typeEPNSM_ISH_E10value_typeEPSI_NS1_7vsmem_tEENKUlT_SG_SH_SI_E_clIS7_S7_PlSB_EESF_SV_SG_SH_SI_EUlSV_E0_NS1_11comp_targetILNS1_3genE9ELNS1_11target_archE1100ELNS1_3gpuE3ELNS1_3repE0EEENS1_38merge_mergepath_config_static_selectorELNS0_4arch9wavefront6targetE1EEEvSH_.uses_flat_scratch, 0
	.set _ZN7rocprim17ROCPRIM_400000_NS6detail17trampoline_kernelINS0_14default_configENS1_38merge_sort_block_merge_config_selectorIhlEEZZNS1_27merge_sort_block_merge_implIS3_PhN6thrust23THRUST_200600_302600_NS10device_ptrIlEEjNS1_19radix_merge_compareILb0ELb1EhNS0_19identity_decomposerEEEEE10hipError_tT0_T1_T2_jT3_P12ihipStream_tbPNSt15iterator_traitsISG_E10value_typeEPNSM_ISH_E10value_typeEPSI_NS1_7vsmem_tEENKUlT_SG_SH_SI_E_clIS7_S7_PlSB_EESF_SV_SG_SH_SI_EUlSV_E0_NS1_11comp_targetILNS1_3genE9ELNS1_11target_archE1100ELNS1_3gpuE3ELNS1_3repE0EEENS1_38merge_mergepath_config_static_selectorELNS0_4arch9wavefront6targetE1EEEvSH_.has_dyn_sized_stack, 0
	.set _ZN7rocprim17ROCPRIM_400000_NS6detail17trampoline_kernelINS0_14default_configENS1_38merge_sort_block_merge_config_selectorIhlEEZZNS1_27merge_sort_block_merge_implIS3_PhN6thrust23THRUST_200600_302600_NS10device_ptrIlEEjNS1_19radix_merge_compareILb0ELb1EhNS0_19identity_decomposerEEEEE10hipError_tT0_T1_T2_jT3_P12ihipStream_tbPNSt15iterator_traitsISG_E10value_typeEPNSM_ISH_E10value_typeEPSI_NS1_7vsmem_tEENKUlT_SG_SH_SI_E_clIS7_S7_PlSB_EESF_SV_SG_SH_SI_EUlSV_E0_NS1_11comp_targetILNS1_3genE9ELNS1_11target_archE1100ELNS1_3gpuE3ELNS1_3repE0EEENS1_38merge_mergepath_config_static_selectorELNS0_4arch9wavefront6targetE1EEEvSH_.has_recursion, 0
	.set _ZN7rocprim17ROCPRIM_400000_NS6detail17trampoline_kernelINS0_14default_configENS1_38merge_sort_block_merge_config_selectorIhlEEZZNS1_27merge_sort_block_merge_implIS3_PhN6thrust23THRUST_200600_302600_NS10device_ptrIlEEjNS1_19radix_merge_compareILb0ELb1EhNS0_19identity_decomposerEEEEE10hipError_tT0_T1_T2_jT3_P12ihipStream_tbPNSt15iterator_traitsISG_E10value_typeEPNSM_ISH_E10value_typeEPSI_NS1_7vsmem_tEENKUlT_SG_SH_SI_E_clIS7_S7_PlSB_EESF_SV_SG_SH_SI_EUlSV_E0_NS1_11comp_targetILNS1_3genE9ELNS1_11target_archE1100ELNS1_3gpuE3ELNS1_3repE0EEENS1_38merge_mergepath_config_static_selectorELNS0_4arch9wavefront6targetE1EEEvSH_.has_indirect_call, 0
	.section	.AMDGPU.csdata,"",@progbits
; Kernel info:
; codeLenInByte = 0
; TotalNumSgprs: 4
; NumVgprs: 0
; ScratchSize: 0
; MemoryBound: 0
; FloatMode: 240
; IeeeMode: 1
; LDSByteSize: 0 bytes/workgroup (compile time only)
; SGPRBlocks: 0
; VGPRBlocks: 0
; NumSGPRsForWavesPerEU: 4
; NumVGPRsForWavesPerEU: 1
; Occupancy: 10
; WaveLimiterHint : 0
; COMPUTE_PGM_RSRC2:SCRATCH_EN: 0
; COMPUTE_PGM_RSRC2:USER_SGPR: 6
; COMPUTE_PGM_RSRC2:TRAP_HANDLER: 0
; COMPUTE_PGM_RSRC2:TGID_X_EN: 1
; COMPUTE_PGM_RSRC2:TGID_Y_EN: 0
; COMPUTE_PGM_RSRC2:TGID_Z_EN: 0
; COMPUTE_PGM_RSRC2:TIDIG_COMP_CNT: 0
	.section	.text._ZN7rocprim17ROCPRIM_400000_NS6detail17trampoline_kernelINS0_14default_configENS1_38merge_sort_block_merge_config_selectorIhlEEZZNS1_27merge_sort_block_merge_implIS3_PhN6thrust23THRUST_200600_302600_NS10device_ptrIlEEjNS1_19radix_merge_compareILb0ELb1EhNS0_19identity_decomposerEEEEE10hipError_tT0_T1_T2_jT3_P12ihipStream_tbPNSt15iterator_traitsISG_E10value_typeEPNSM_ISH_E10value_typeEPSI_NS1_7vsmem_tEENKUlT_SG_SH_SI_E_clIS7_S7_PlSB_EESF_SV_SG_SH_SI_EUlSV_E0_NS1_11comp_targetILNS1_3genE8ELNS1_11target_archE1030ELNS1_3gpuE2ELNS1_3repE0EEENS1_38merge_mergepath_config_static_selectorELNS0_4arch9wavefront6targetE1EEEvSH_,"axG",@progbits,_ZN7rocprim17ROCPRIM_400000_NS6detail17trampoline_kernelINS0_14default_configENS1_38merge_sort_block_merge_config_selectorIhlEEZZNS1_27merge_sort_block_merge_implIS3_PhN6thrust23THRUST_200600_302600_NS10device_ptrIlEEjNS1_19radix_merge_compareILb0ELb1EhNS0_19identity_decomposerEEEEE10hipError_tT0_T1_T2_jT3_P12ihipStream_tbPNSt15iterator_traitsISG_E10value_typeEPNSM_ISH_E10value_typeEPSI_NS1_7vsmem_tEENKUlT_SG_SH_SI_E_clIS7_S7_PlSB_EESF_SV_SG_SH_SI_EUlSV_E0_NS1_11comp_targetILNS1_3genE8ELNS1_11target_archE1030ELNS1_3gpuE2ELNS1_3repE0EEENS1_38merge_mergepath_config_static_selectorELNS0_4arch9wavefront6targetE1EEEvSH_,comdat
	.protected	_ZN7rocprim17ROCPRIM_400000_NS6detail17trampoline_kernelINS0_14default_configENS1_38merge_sort_block_merge_config_selectorIhlEEZZNS1_27merge_sort_block_merge_implIS3_PhN6thrust23THRUST_200600_302600_NS10device_ptrIlEEjNS1_19radix_merge_compareILb0ELb1EhNS0_19identity_decomposerEEEEE10hipError_tT0_T1_T2_jT3_P12ihipStream_tbPNSt15iterator_traitsISG_E10value_typeEPNSM_ISH_E10value_typeEPSI_NS1_7vsmem_tEENKUlT_SG_SH_SI_E_clIS7_S7_PlSB_EESF_SV_SG_SH_SI_EUlSV_E0_NS1_11comp_targetILNS1_3genE8ELNS1_11target_archE1030ELNS1_3gpuE2ELNS1_3repE0EEENS1_38merge_mergepath_config_static_selectorELNS0_4arch9wavefront6targetE1EEEvSH_ ; -- Begin function _ZN7rocprim17ROCPRIM_400000_NS6detail17trampoline_kernelINS0_14default_configENS1_38merge_sort_block_merge_config_selectorIhlEEZZNS1_27merge_sort_block_merge_implIS3_PhN6thrust23THRUST_200600_302600_NS10device_ptrIlEEjNS1_19radix_merge_compareILb0ELb1EhNS0_19identity_decomposerEEEEE10hipError_tT0_T1_T2_jT3_P12ihipStream_tbPNSt15iterator_traitsISG_E10value_typeEPNSM_ISH_E10value_typeEPSI_NS1_7vsmem_tEENKUlT_SG_SH_SI_E_clIS7_S7_PlSB_EESF_SV_SG_SH_SI_EUlSV_E0_NS1_11comp_targetILNS1_3genE8ELNS1_11target_archE1030ELNS1_3gpuE2ELNS1_3repE0EEENS1_38merge_mergepath_config_static_selectorELNS0_4arch9wavefront6targetE1EEEvSH_
	.globl	_ZN7rocprim17ROCPRIM_400000_NS6detail17trampoline_kernelINS0_14default_configENS1_38merge_sort_block_merge_config_selectorIhlEEZZNS1_27merge_sort_block_merge_implIS3_PhN6thrust23THRUST_200600_302600_NS10device_ptrIlEEjNS1_19radix_merge_compareILb0ELb1EhNS0_19identity_decomposerEEEEE10hipError_tT0_T1_T2_jT3_P12ihipStream_tbPNSt15iterator_traitsISG_E10value_typeEPNSM_ISH_E10value_typeEPSI_NS1_7vsmem_tEENKUlT_SG_SH_SI_E_clIS7_S7_PlSB_EESF_SV_SG_SH_SI_EUlSV_E0_NS1_11comp_targetILNS1_3genE8ELNS1_11target_archE1030ELNS1_3gpuE2ELNS1_3repE0EEENS1_38merge_mergepath_config_static_selectorELNS0_4arch9wavefront6targetE1EEEvSH_
	.p2align	8
	.type	_ZN7rocprim17ROCPRIM_400000_NS6detail17trampoline_kernelINS0_14default_configENS1_38merge_sort_block_merge_config_selectorIhlEEZZNS1_27merge_sort_block_merge_implIS3_PhN6thrust23THRUST_200600_302600_NS10device_ptrIlEEjNS1_19radix_merge_compareILb0ELb1EhNS0_19identity_decomposerEEEEE10hipError_tT0_T1_T2_jT3_P12ihipStream_tbPNSt15iterator_traitsISG_E10value_typeEPNSM_ISH_E10value_typeEPSI_NS1_7vsmem_tEENKUlT_SG_SH_SI_E_clIS7_S7_PlSB_EESF_SV_SG_SH_SI_EUlSV_E0_NS1_11comp_targetILNS1_3genE8ELNS1_11target_archE1030ELNS1_3gpuE2ELNS1_3repE0EEENS1_38merge_mergepath_config_static_selectorELNS0_4arch9wavefront6targetE1EEEvSH_,@function
_ZN7rocprim17ROCPRIM_400000_NS6detail17trampoline_kernelINS0_14default_configENS1_38merge_sort_block_merge_config_selectorIhlEEZZNS1_27merge_sort_block_merge_implIS3_PhN6thrust23THRUST_200600_302600_NS10device_ptrIlEEjNS1_19radix_merge_compareILb0ELb1EhNS0_19identity_decomposerEEEEE10hipError_tT0_T1_T2_jT3_P12ihipStream_tbPNSt15iterator_traitsISG_E10value_typeEPNSM_ISH_E10value_typeEPSI_NS1_7vsmem_tEENKUlT_SG_SH_SI_E_clIS7_S7_PlSB_EESF_SV_SG_SH_SI_EUlSV_E0_NS1_11comp_targetILNS1_3genE8ELNS1_11target_archE1030ELNS1_3gpuE2ELNS1_3repE0EEENS1_38merge_mergepath_config_static_selectorELNS0_4arch9wavefront6targetE1EEEvSH_: ; @_ZN7rocprim17ROCPRIM_400000_NS6detail17trampoline_kernelINS0_14default_configENS1_38merge_sort_block_merge_config_selectorIhlEEZZNS1_27merge_sort_block_merge_implIS3_PhN6thrust23THRUST_200600_302600_NS10device_ptrIlEEjNS1_19radix_merge_compareILb0ELb1EhNS0_19identity_decomposerEEEEE10hipError_tT0_T1_T2_jT3_P12ihipStream_tbPNSt15iterator_traitsISG_E10value_typeEPNSM_ISH_E10value_typeEPSI_NS1_7vsmem_tEENKUlT_SG_SH_SI_E_clIS7_S7_PlSB_EESF_SV_SG_SH_SI_EUlSV_E0_NS1_11comp_targetILNS1_3genE8ELNS1_11target_archE1030ELNS1_3gpuE2ELNS1_3repE0EEENS1_38merge_mergepath_config_static_selectorELNS0_4arch9wavefront6targetE1EEEvSH_
; %bb.0:
	.section	.rodata,"a",@progbits
	.p2align	6, 0x0
	.amdhsa_kernel _ZN7rocprim17ROCPRIM_400000_NS6detail17trampoline_kernelINS0_14default_configENS1_38merge_sort_block_merge_config_selectorIhlEEZZNS1_27merge_sort_block_merge_implIS3_PhN6thrust23THRUST_200600_302600_NS10device_ptrIlEEjNS1_19radix_merge_compareILb0ELb1EhNS0_19identity_decomposerEEEEE10hipError_tT0_T1_T2_jT3_P12ihipStream_tbPNSt15iterator_traitsISG_E10value_typeEPNSM_ISH_E10value_typeEPSI_NS1_7vsmem_tEENKUlT_SG_SH_SI_E_clIS7_S7_PlSB_EESF_SV_SG_SH_SI_EUlSV_E0_NS1_11comp_targetILNS1_3genE8ELNS1_11target_archE1030ELNS1_3gpuE2ELNS1_3repE0EEENS1_38merge_mergepath_config_static_selectorELNS0_4arch9wavefront6targetE1EEEvSH_
		.amdhsa_group_segment_fixed_size 0
		.amdhsa_private_segment_fixed_size 0
		.amdhsa_kernarg_size 64
		.amdhsa_user_sgpr_count 6
		.amdhsa_user_sgpr_private_segment_buffer 1
		.amdhsa_user_sgpr_dispatch_ptr 0
		.amdhsa_user_sgpr_queue_ptr 0
		.amdhsa_user_sgpr_kernarg_segment_ptr 1
		.amdhsa_user_sgpr_dispatch_id 0
		.amdhsa_user_sgpr_flat_scratch_init 0
		.amdhsa_user_sgpr_private_segment_size 0
		.amdhsa_uses_dynamic_stack 0
		.amdhsa_system_sgpr_private_segment_wavefront_offset 0
		.amdhsa_system_sgpr_workgroup_id_x 1
		.amdhsa_system_sgpr_workgroup_id_y 0
		.amdhsa_system_sgpr_workgroup_id_z 0
		.amdhsa_system_sgpr_workgroup_info 0
		.amdhsa_system_vgpr_workitem_id 0
		.amdhsa_next_free_vgpr 1
		.amdhsa_next_free_sgpr 0
		.amdhsa_reserve_vcc 0
		.amdhsa_reserve_flat_scratch 0
		.amdhsa_float_round_mode_32 0
		.amdhsa_float_round_mode_16_64 0
		.amdhsa_float_denorm_mode_32 3
		.amdhsa_float_denorm_mode_16_64 3
		.amdhsa_dx10_clamp 1
		.amdhsa_ieee_mode 1
		.amdhsa_fp16_overflow 0
		.amdhsa_exception_fp_ieee_invalid_op 0
		.amdhsa_exception_fp_denorm_src 0
		.amdhsa_exception_fp_ieee_div_zero 0
		.amdhsa_exception_fp_ieee_overflow 0
		.amdhsa_exception_fp_ieee_underflow 0
		.amdhsa_exception_fp_ieee_inexact 0
		.amdhsa_exception_int_div_zero 0
	.end_amdhsa_kernel
	.section	.text._ZN7rocprim17ROCPRIM_400000_NS6detail17trampoline_kernelINS0_14default_configENS1_38merge_sort_block_merge_config_selectorIhlEEZZNS1_27merge_sort_block_merge_implIS3_PhN6thrust23THRUST_200600_302600_NS10device_ptrIlEEjNS1_19radix_merge_compareILb0ELb1EhNS0_19identity_decomposerEEEEE10hipError_tT0_T1_T2_jT3_P12ihipStream_tbPNSt15iterator_traitsISG_E10value_typeEPNSM_ISH_E10value_typeEPSI_NS1_7vsmem_tEENKUlT_SG_SH_SI_E_clIS7_S7_PlSB_EESF_SV_SG_SH_SI_EUlSV_E0_NS1_11comp_targetILNS1_3genE8ELNS1_11target_archE1030ELNS1_3gpuE2ELNS1_3repE0EEENS1_38merge_mergepath_config_static_selectorELNS0_4arch9wavefront6targetE1EEEvSH_,"axG",@progbits,_ZN7rocprim17ROCPRIM_400000_NS6detail17trampoline_kernelINS0_14default_configENS1_38merge_sort_block_merge_config_selectorIhlEEZZNS1_27merge_sort_block_merge_implIS3_PhN6thrust23THRUST_200600_302600_NS10device_ptrIlEEjNS1_19radix_merge_compareILb0ELb1EhNS0_19identity_decomposerEEEEE10hipError_tT0_T1_T2_jT3_P12ihipStream_tbPNSt15iterator_traitsISG_E10value_typeEPNSM_ISH_E10value_typeEPSI_NS1_7vsmem_tEENKUlT_SG_SH_SI_E_clIS7_S7_PlSB_EESF_SV_SG_SH_SI_EUlSV_E0_NS1_11comp_targetILNS1_3genE8ELNS1_11target_archE1030ELNS1_3gpuE2ELNS1_3repE0EEENS1_38merge_mergepath_config_static_selectorELNS0_4arch9wavefront6targetE1EEEvSH_,comdat
.Lfunc_end204:
	.size	_ZN7rocprim17ROCPRIM_400000_NS6detail17trampoline_kernelINS0_14default_configENS1_38merge_sort_block_merge_config_selectorIhlEEZZNS1_27merge_sort_block_merge_implIS3_PhN6thrust23THRUST_200600_302600_NS10device_ptrIlEEjNS1_19radix_merge_compareILb0ELb1EhNS0_19identity_decomposerEEEEE10hipError_tT0_T1_T2_jT3_P12ihipStream_tbPNSt15iterator_traitsISG_E10value_typeEPNSM_ISH_E10value_typeEPSI_NS1_7vsmem_tEENKUlT_SG_SH_SI_E_clIS7_S7_PlSB_EESF_SV_SG_SH_SI_EUlSV_E0_NS1_11comp_targetILNS1_3genE8ELNS1_11target_archE1030ELNS1_3gpuE2ELNS1_3repE0EEENS1_38merge_mergepath_config_static_selectorELNS0_4arch9wavefront6targetE1EEEvSH_, .Lfunc_end204-_ZN7rocprim17ROCPRIM_400000_NS6detail17trampoline_kernelINS0_14default_configENS1_38merge_sort_block_merge_config_selectorIhlEEZZNS1_27merge_sort_block_merge_implIS3_PhN6thrust23THRUST_200600_302600_NS10device_ptrIlEEjNS1_19radix_merge_compareILb0ELb1EhNS0_19identity_decomposerEEEEE10hipError_tT0_T1_T2_jT3_P12ihipStream_tbPNSt15iterator_traitsISG_E10value_typeEPNSM_ISH_E10value_typeEPSI_NS1_7vsmem_tEENKUlT_SG_SH_SI_E_clIS7_S7_PlSB_EESF_SV_SG_SH_SI_EUlSV_E0_NS1_11comp_targetILNS1_3genE8ELNS1_11target_archE1030ELNS1_3gpuE2ELNS1_3repE0EEENS1_38merge_mergepath_config_static_selectorELNS0_4arch9wavefront6targetE1EEEvSH_
                                        ; -- End function
	.set _ZN7rocprim17ROCPRIM_400000_NS6detail17trampoline_kernelINS0_14default_configENS1_38merge_sort_block_merge_config_selectorIhlEEZZNS1_27merge_sort_block_merge_implIS3_PhN6thrust23THRUST_200600_302600_NS10device_ptrIlEEjNS1_19radix_merge_compareILb0ELb1EhNS0_19identity_decomposerEEEEE10hipError_tT0_T1_T2_jT3_P12ihipStream_tbPNSt15iterator_traitsISG_E10value_typeEPNSM_ISH_E10value_typeEPSI_NS1_7vsmem_tEENKUlT_SG_SH_SI_E_clIS7_S7_PlSB_EESF_SV_SG_SH_SI_EUlSV_E0_NS1_11comp_targetILNS1_3genE8ELNS1_11target_archE1030ELNS1_3gpuE2ELNS1_3repE0EEENS1_38merge_mergepath_config_static_selectorELNS0_4arch9wavefront6targetE1EEEvSH_.num_vgpr, 0
	.set _ZN7rocprim17ROCPRIM_400000_NS6detail17trampoline_kernelINS0_14default_configENS1_38merge_sort_block_merge_config_selectorIhlEEZZNS1_27merge_sort_block_merge_implIS3_PhN6thrust23THRUST_200600_302600_NS10device_ptrIlEEjNS1_19radix_merge_compareILb0ELb1EhNS0_19identity_decomposerEEEEE10hipError_tT0_T1_T2_jT3_P12ihipStream_tbPNSt15iterator_traitsISG_E10value_typeEPNSM_ISH_E10value_typeEPSI_NS1_7vsmem_tEENKUlT_SG_SH_SI_E_clIS7_S7_PlSB_EESF_SV_SG_SH_SI_EUlSV_E0_NS1_11comp_targetILNS1_3genE8ELNS1_11target_archE1030ELNS1_3gpuE2ELNS1_3repE0EEENS1_38merge_mergepath_config_static_selectorELNS0_4arch9wavefront6targetE1EEEvSH_.num_agpr, 0
	.set _ZN7rocprim17ROCPRIM_400000_NS6detail17trampoline_kernelINS0_14default_configENS1_38merge_sort_block_merge_config_selectorIhlEEZZNS1_27merge_sort_block_merge_implIS3_PhN6thrust23THRUST_200600_302600_NS10device_ptrIlEEjNS1_19radix_merge_compareILb0ELb1EhNS0_19identity_decomposerEEEEE10hipError_tT0_T1_T2_jT3_P12ihipStream_tbPNSt15iterator_traitsISG_E10value_typeEPNSM_ISH_E10value_typeEPSI_NS1_7vsmem_tEENKUlT_SG_SH_SI_E_clIS7_S7_PlSB_EESF_SV_SG_SH_SI_EUlSV_E0_NS1_11comp_targetILNS1_3genE8ELNS1_11target_archE1030ELNS1_3gpuE2ELNS1_3repE0EEENS1_38merge_mergepath_config_static_selectorELNS0_4arch9wavefront6targetE1EEEvSH_.numbered_sgpr, 0
	.set _ZN7rocprim17ROCPRIM_400000_NS6detail17trampoline_kernelINS0_14default_configENS1_38merge_sort_block_merge_config_selectorIhlEEZZNS1_27merge_sort_block_merge_implIS3_PhN6thrust23THRUST_200600_302600_NS10device_ptrIlEEjNS1_19radix_merge_compareILb0ELb1EhNS0_19identity_decomposerEEEEE10hipError_tT0_T1_T2_jT3_P12ihipStream_tbPNSt15iterator_traitsISG_E10value_typeEPNSM_ISH_E10value_typeEPSI_NS1_7vsmem_tEENKUlT_SG_SH_SI_E_clIS7_S7_PlSB_EESF_SV_SG_SH_SI_EUlSV_E0_NS1_11comp_targetILNS1_3genE8ELNS1_11target_archE1030ELNS1_3gpuE2ELNS1_3repE0EEENS1_38merge_mergepath_config_static_selectorELNS0_4arch9wavefront6targetE1EEEvSH_.num_named_barrier, 0
	.set _ZN7rocprim17ROCPRIM_400000_NS6detail17trampoline_kernelINS0_14default_configENS1_38merge_sort_block_merge_config_selectorIhlEEZZNS1_27merge_sort_block_merge_implIS3_PhN6thrust23THRUST_200600_302600_NS10device_ptrIlEEjNS1_19radix_merge_compareILb0ELb1EhNS0_19identity_decomposerEEEEE10hipError_tT0_T1_T2_jT3_P12ihipStream_tbPNSt15iterator_traitsISG_E10value_typeEPNSM_ISH_E10value_typeEPSI_NS1_7vsmem_tEENKUlT_SG_SH_SI_E_clIS7_S7_PlSB_EESF_SV_SG_SH_SI_EUlSV_E0_NS1_11comp_targetILNS1_3genE8ELNS1_11target_archE1030ELNS1_3gpuE2ELNS1_3repE0EEENS1_38merge_mergepath_config_static_selectorELNS0_4arch9wavefront6targetE1EEEvSH_.private_seg_size, 0
	.set _ZN7rocprim17ROCPRIM_400000_NS6detail17trampoline_kernelINS0_14default_configENS1_38merge_sort_block_merge_config_selectorIhlEEZZNS1_27merge_sort_block_merge_implIS3_PhN6thrust23THRUST_200600_302600_NS10device_ptrIlEEjNS1_19radix_merge_compareILb0ELb1EhNS0_19identity_decomposerEEEEE10hipError_tT0_T1_T2_jT3_P12ihipStream_tbPNSt15iterator_traitsISG_E10value_typeEPNSM_ISH_E10value_typeEPSI_NS1_7vsmem_tEENKUlT_SG_SH_SI_E_clIS7_S7_PlSB_EESF_SV_SG_SH_SI_EUlSV_E0_NS1_11comp_targetILNS1_3genE8ELNS1_11target_archE1030ELNS1_3gpuE2ELNS1_3repE0EEENS1_38merge_mergepath_config_static_selectorELNS0_4arch9wavefront6targetE1EEEvSH_.uses_vcc, 0
	.set _ZN7rocprim17ROCPRIM_400000_NS6detail17trampoline_kernelINS0_14default_configENS1_38merge_sort_block_merge_config_selectorIhlEEZZNS1_27merge_sort_block_merge_implIS3_PhN6thrust23THRUST_200600_302600_NS10device_ptrIlEEjNS1_19radix_merge_compareILb0ELb1EhNS0_19identity_decomposerEEEEE10hipError_tT0_T1_T2_jT3_P12ihipStream_tbPNSt15iterator_traitsISG_E10value_typeEPNSM_ISH_E10value_typeEPSI_NS1_7vsmem_tEENKUlT_SG_SH_SI_E_clIS7_S7_PlSB_EESF_SV_SG_SH_SI_EUlSV_E0_NS1_11comp_targetILNS1_3genE8ELNS1_11target_archE1030ELNS1_3gpuE2ELNS1_3repE0EEENS1_38merge_mergepath_config_static_selectorELNS0_4arch9wavefront6targetE1EEEvSH_.uses_flat_scratch, 0
	.set _ZN7rocprim17ROCPRIM_400000_NS6detail17trampoline_kernelINS0_14default_configENS1_38merge_sort_block_merge_config_selectorIhlEEZZNS1_27merge_sort_block_merge_implIS3_PhN6thrust23THRUST_200600_302600_NS10device_ptrIlEEjNS1_19radix_merge_compareILb0ELb1EhNS0_19identity_decomposerEEEEE10hipError_tT0_T1_T2_jT3_P12ihipStream_tbPNSt15iterator_traitsISG_E10value_typeEPNSM_ISH_E10value_typeEPSI_NS1_7vsmem_tEENKUlT_SG_SH_SI_E_clIS7_S7_PlSB_EESF_SV_SG_SH_SI_EUlSV_E0_NS1_11comp_targetILNS1_3genE8ELNS1_11target_archE1030ELNS1_3gpuE2ELNS1_3repE0EEENS1_38merge_mergepath_config_static_selectorELNS0_4arch9wavefront6targetE1EEEvSH_.has_dyn_sized_stack, 0
	.set _ZN7rocprim17ROCPRIM_400000_NS6detail17trampoline_kernelINS0_14default_configENS1_38merge_sort_block_merge_config_selectorIhlEEZZNS1_27merge_sort_block_merge_implIS3_PhN6thrust23THRUST_200600_302600_NS10device_ptrIlEEjNS1_19radix_merge_compareILb0ELb1EhNS0_19identity_decomposerEEEEE10hipError_tT0_T1_T2_jT3_P12ihipStream_tbPNSt15iterator_traitsISG_E10value_typeEPNSM_ISH_E10value_typeEPSI_NS1_7vsmem_tEENKUlT_SG_SH_SI_E_clIS7_S7_PlSB_EESF_SV_SG_SH_SI_EUlSV_E0_NS1_11comp_targetILNS1_3genE8ELNS1_11target_archE1030ELNS1_3gpuE2ELNS1_3repE0EEENS1_38merge_mergepath_config_static_selectorELNS0_4arch9wavefront6targetE1EEEvSH_.has_recursion, 0
	.set _ZN7rocprim17ROCPRIM_400000_NS6detail17trampoline_kernelINS0_14default_configENS1_38merge_sort_block_merge_config_selectorIhlEEZZNS1_27merge_sort_block_merge_implIS3_PhN6thrust23THRUST_200600_302600_NS10device_ptrIlEEjNS1_19radix_merge_compareILb0ELb1EhNS0_19identity_decomposerEEEEE10hipError_tT0_T1_T2_jT3_P12ihipStream_tbPNSt15iterator_traitsISG_E10value_typeEPNSM_ISH_E10value_typeEPSI_NS1_7vsmem_tEENKUlT_SG_SH_SI_E_clIS7_S7_PlSB_EESF_SV_SG_SH_SI_EUlSV_E0_NS1_11comp_targetILNS1_3genE8ELNS1_11target_archE1030ELNS1_3gpuE2ELNS1_3repE0EEENS1_38merge_mergepath_config_static_selectorELNS0_4arch9wavefront6targetE1EEEvSH_.has_indirect_call, 0
	.section	.AMDGPU.csdata,"",@progbits
; Kernel info:
; codeLenInByte = 0
; TotalNumSgprs: 4
; NumVgprs: 0
; ScratchSize: 0
; MemoryBound: 0
; FloatMode: 240
; IeeeMode: 1
; LDSByteSize: 0 bytes/workgroup (compile time only)
; SGPRBlocks: 0
; VGPRBlocks: 0
; NumSGPRsForWavesPerEU: 4
; NumVGPRsForWavesPerEU: 1
; Occupancy: 10
; WaveLimiterHint : 0
; COMPUTE_PGM_RSRC2:SCRATCH_EN: 0
; COMPUTE_PGM_RSRC2:USER_SGPR: 6
; COMPUTE_PGM_RSRC2:TRAP_HANDLER: 0
; COMPUTE_PGM_RSRC2:TGID_X_EN: 1
; COMPUTE_PGM_RSRC2:TGID_Y_EN: 0
; COMPUTE_PGM_RSRC2:TGID_Z_EN: 0
; COMPUTE_PGM_RSRC2:TIDIG_COMP_CNT: 0
	.section	.text._ZN7rocprim17ROCPRIM_400000_NS6detail17trampoline_kernelINS0_14default_configENS1_38merge_sort_block_merge_config_selectorIhlEEZZNS1_27merge_sort_block_merge_implIS3_PhN6thrust23THRUST_200600_302600_NS10device_ptrIlEEjNS1_19radix_merge_compareILb0ELb1EhNS0_19identity_decomposerEEEEE10hipError_tT0_T1_T2_jT3_P12ihipStream_tbPNSt15iterator_traitsISG_E10value_typeEPNSM_ISH_E10value_typeEPSI_NS1_7vsmem_tEENKUlT_SG_SH_SI_E_clIS7_S7_PlSB_EESF_SV_SG_SH_SI_EUlSV_E1_NS1_11comp_targetILNS1_3genE0ELNS1_11target_archE4294967295ELNS1_3gpuE0ELNS1_3repE0EEENS1_36merge_oddeven_config_static_selectorELNS0_4arch9wavefront6targetE1EEEvSH_,"axG",@progbits,_ZN7rocprim17ROCPRIM_400000_NS6detail17trampoline_kernelINS0_14default_configENS1_38merge_sort_block_merge_config_selectorIhlEEZZNS1_27merge_sort_block_merge_implIS3_PhN6thrust23THRUST_200600_302600_NS10device_ptrIlEEjNS1_19radix_merge_compareILb0ELb1EhNS0_19identity_decomposerEEEEE10hipError_tT0_T1_T2_jT3_P12ihipStream_tbPNSt15iterator_traitsISG_E10value_typeEPNSM_ISH_E10value_typeEPSI_NS1_7vsmem_tEENKUlT_SG_SH_SI_E_clIS7_S7_PlSB_EESF_SV_SG_SH_SI_EUlSV_E1_NS1_11comp_targetILNS1_3genE0ELNS1_11target_archE4294967295ELNS1_3gpuE0ELNS1_3repE0EEENS1_36merge_oddeven_config_static_selectorELNS0_4arch9wavefront6targetE1EEEvSH_,comdat
	.protected	_ZN7rocprim17ROCPRIM_400000_NS6detail17trampoline_kernelINS0_14default_configENS1_38merge_sort_block_merge_config_selectorIhlEEZZNS1_27merge_sort_block_merge_implIS3_PhN6thrust23THRUST_200600_302600_NS10device_ptrIlEEjNS1_19radix_merge_compareILb0ELb1EhNS0_19identity_decomposerEEEEE10hipError_tT0_T1_T2_jT3_P12ihipStream_tbPNSt15iterator_traitsISG_E10value_typeEPNSM_ISH_E10value_typeEPSI_NS1_7vsmem_tEENKUlT_SG_SH_SI_E_clIS7_S7_PlSB_EESF_SV_SG_SH_SI_EUlSV_E1_NS1_11comp_targetILNS1_3genE0ELNS1_11target_archE4294967295ELNS1_3gpuE0ELNS1_3repE0EEENS1_36merge_oddeven_config_static_selectorELNS0_4arch9wavefront6targetE1EEEvSH_ ; -- Begin function _ZN7rocprim17ROCPRIM_400000_NS6detail17trampoline_kernelINS0_14default_configENS1_38merge_sort_block_merge_config_selectorIhlEEZZNS1_27merge_sort_block_merge_implIS3_PhN6thrust23THRUST_200600_302600_NS10device_ptrIlEEjNS1_19radix_merge_compareILb0ELb1EhNS0_19identity_decomposerEEEEE10hipError_tT0_T1_T2_jT3_P12ihipStream_tbPNSt15iterator_traitsISG_E10value_typeEPNSM_ISH_E10value_typeEPSI_NS1_7vsmem_tEENKUlT_SG_SH_SI_E_clIS7_S7_PlSB_EESF_SV_SG_SH_SI_EUlSV_E1_NS1_11comp_targetILNS1_3genE0ELNS1_11target_archE4294967295ELNS1_3gpuE0ELNS1_3repE0EEENS1_36merge_oddeven_config_static_selectorELNS0_4arch9wavefront6targetE1EEEvSH_
	.globl	_ZN7rocprim17ROCPRIM_400000_NS6detail17trampoline_kernelINS0_14default_configENS1_38merge_sort_block_merge_config_selectorIhlEEZZNS1_27merge_sort_block_merge_implIS3_PhN6thrust23THRUST_200600_302600_NS10device_ptrIlEEjNS1_19radix_merge_compareILb0ELb1EhNS0_19identity_decomposerEEEEE10hipError_tT0_T1_T2_jT3_P12ihipStream_tbPNSt15iterator_traitsISG_E10value_typeEPNSM_ISH_E10value_typeEPSI_NS1_7vsmem_tEENKUlT_SG_SH_SI_E_clIS7_S7_PlSB_EESF_SV_SG_SH_SI_EUlSV_E1_NS1_11comp_targetILNS1_3genE0ELNS1_11target_archE4294967295ELNS1_3gpuE0ELNS1_3repE0EEENS1_36merge_oddeven_config_static_selectorELNS0_4arch9wavefront6targetE1EEEvSH_
	.p2align	8
	.type	_ZN7rocprim17ROCPRIM_400000_NS6detail17trampoline_kernelINS0_14default_configENS1_38merge_sort_block_merge_config_selectorIhlEEZZNS1_27merge_sort_block_merge_implIS3_PhN6thrust23THRUST_200600_302600_NS10device_ptrIlEEjNS1_19radix_merge_compareILb0ELb1EhNS0_19identity_decomposerEEEEE10hipError_tT0_T1_T2_jT3_P12ihipStream_tbPNSt15iterator_traitsISG_E10value_typeEPNSM_ISH_E10value_typeEPSI_NS1_7vsmem_tEENKUlT_SG_SH_SI_E_clIS7_S7_PlSB_EESF_SV_SG_SH_SI_EUlSV_E1_NS1_11comp_targetILNS1_3genE0ELNS1_11target_archE4294967295ELNS1_3gpuE0ELNS1_3repE0EEENS1_36merge_oddeven_config_static_selectorELNS0_4arch9wavefront6targetE1EEEvSH_,@function
_ZN7rocprim17ROCPRIM_400000_NS6detail17trampoline_kernelINS0_14default_configENS1_38merge_sort_block_merge_config_selectorIhlEEZZNS1_27merge_sort_block_merge_implIS3_PhN6thrust23THRUST_200600_302600_NS10device_ptrIlEEjNS1_19radix_merge_compareILb0ELb1EhNS0_19identity_decomposerEEEEE10hipError_tT0_T1_T2_jT3_P12ihipStream_tbPNSt15iterator_traitsISG_E10value_typeEPNSM_ISH_E10value_typeEPSI_NS1_7vsmem_tEENKUlT_SG_SH_SI_E_clIS7_S7_PlSB_EESF_SV_SG_SH_SI_EUlSV_E1_NS1_11comp_targetILNS1_3genE0ELNS1_11target_archE4294967295ELNS1_3gpuE0ELNS1_3repE0EEENS1_36merge_oddeven_config_static_selectorELNS0_4arch9wavefront6targetE1EEEvSH_: ; @_ZN7rocprim17ROCPRIM_400000_NS6detail17trampoline_kernelINS0_14default_configENS1_38merge_sort_block_merge_config_selectorIhlEEZZNS1_27merge_sort_block_merge_implIS3_PhN6thrust23THRUST_200600_302600_NS10device_ptrIlEEjNS1_19radix_merge_compareILb0ELb1EhNS0_19identity_decomposerEEEEE10hipError_tT0_T1_T2_jT3_P12ihipStream_tbPNSt15iterator_traitsISG_E10value_typeEPNSM_ISH_E10value_typeEPSI_NS1_7vsmem_tEENKUlT_SG_SH_SI_E_clIS7_S7_PlSB_EESF_SV_SG_SH_SI_EUlSV_E1_NS1_11comp_targetILNS1_3genE0ELNS1_11target_archE4294967295ELNS1_3gpuE0ELNS1_3repE0EEENS1_36merge_oddeven_config_static_selectorELNS0_4arch9wavefront6targetE1EEEvSH_
; %bb.0:
	.section	.rodata,"a",@progbits
	.p2align	6, 0x0
	.amdhsa_kernel _ZN7rocprim17ROCPRIM_400000_NS6detail17trampoline_kernelINS0_14default_configENS1_38merge_sort_block_merge_config_selectorIhlEEZZNS1_27merge_sort_block_merge_implIS3_PhN6thrust23THRUST_200600_302600_NS10device_ptrIlEEjNS1_19radix_merge_compareILb0ELb1EhNS0_19identity_decomposerEEEEE10hipError_tT0_T1_T2_jT3_P12ihipStream_tbPNSt15iterator_traitsISG_E10value_typeEPNSM_ISH_E10value_typeEPSI_NS1_7vsmem_tEENKUlT_SG_SH_SI_E_clIS7_S7_PlSB_EESF_SV_SG_SH_SI_EUlSV_E1_NS1_11comp_targetILNS1_3genE0ELNS1_11target_archE4294967295ELNS1_3gpuE0ELNS1_3repE0EEENS1_36merge_oddeven_config_static_selectorELNS0_4arch9wavefront6targetE1EEEvSH_
		.amdhsa_group_segment_fixed_size 0
		.amdhsa_private_segment_fixed_size 0
		.amdhsa_kernarg_size 48
		.amdhsa_user_sgpr_count 6
		.amdhsa_user_sgpr_private_segment_buffer 1
		.amdhsa_user_sgpr_dispatch_ptr 0
		.amdhsa_user_sgpr_queue_ptr 0
		.amdhsa_user_sgpr_kernarg_segment_ptr 1
		.amdhsa_user_sgpr_dispatch_id 0
		.amdhsa_user_sgpr_flat_scratch_init 0
		.amdhsa_user_sgpr_private_segment_size 0
		.amdhsa_uses_dynamic_stack 0
		.amdhsa_system_sgpr_private_segment_wavefront_offset 0
		.amdhsa_system_sgpr_workgroup_id_x 1
		.amdhsa_system_sgpr_workgroup_id_y 0
		.amdhsa_system_sgpr_workgroup_id_z 0
		.amdhsa_system_sgpr_workgroup_info 0
		.amdhsa_system_vgpr_workitem_id 0
		.amdhsa_next_free_vgpr 1
		.amdhsa_next_free_sgpr 0
		.amdhsa_reserve_vcc 0
		.amdhsa_reserve_flat_scratch 0
		.amdhsa_float_round_mode_32 0
		.amdhsa_float_round_mode_16_64 0
		.amdhsa_float_denorm_mode_32 3
		.amdhsa_float_denorm_mode_16_64 3
		.amdhsa_dx10_clamp 1
		.amdhsa_ieee_mode 1
		.amdhsa_fp16_overflow 0
		.amdhsa_exception_fp_ieee_invalid_op 0
		.amdhsa_exception_fp_denorm_src 0
		.amdhsa_exception_fp_ieee_div_zero 0
		.amdhsa_exception_fp_ieee_overflow 0
		.amdhsa_exception_fp_ieee_underflow 0
		.amdhsa_exception_fp_ieee_inexact 0
		.amdhsa_exception_int_div_zero 0
	.end_amdhsa_kernel
	.section	.text._ZN7rocprim17ROCPRIM_400000_NS6detail17trampoline_kernelINS0_14default_configENS1_38merge_sort_block_merge_config_selectorIhlEEZZNS1_27merge_sort_block_merge_implIS3_PhN6thrust23THRUST_200600_302600_NS10device_ptrIlEEjNS1_19radix_merge_compareILb0ELb1EhNS0_19identity_decomposerEEEEE10hipError_tT0_T1_T2_jT3_P12ihipStream_tbPNSt15iterator_traitsISG_E10value_typeEPNSM_ISH_E10value_typeEPSI_NS1_7vsmem_tEENKUlT_SG_SH_SI_E_clIS7_S7_PlSB_EESF_SV_SG_SH_SI_EUlSV_E1_NS1_11comp_targetILNS1_3genE0ELNS1_11target_archE4294967295ELNS1_3gpuE0ELNS1_3repE0EEENS1_36merge_oddeven_config_static_selectorELNS0_4arch9wavefront6targetE1EEEvSH_,"axG",@progbits,_ZN7rocprim17ROCPRIM_400000_NS6detail17trampoline_kernelINS0_14default_configENS1_38merge_sort_block_merge_config_selectorIhlEEZZNS1_27merge_sort_block_merge_implIS3_PhN6thrust23THRUST_200600_302600_NS10device_ptrIlEEjNS1_19radix_merge_compareILb0ELb1EhNS0_19identity_decomposerEEEEE10hipError_tT0_T1_T2_jT3_P12ihipStream_tbPNSt15iterator_traitsISG_E10value_typeEPNSM_ISH_E10value_typeEPSI_NS1_7vsmem_tEENKUlT_SG_SH_SI_E_clIS7_S7_PlSB_EESF_SV_SG_SH_SI_EUlSV_E1_NS1_11comp_targetILNS1_3genE0ELNS1_11target_archE4294967295ELNS1_3gpuE0ELNS1_3repE0EEENS1_36merge_oddeven_config_static_selectorELNS0_4arch9wavefront6targetE1EEEvSH_,comdat
.Lfunc_end205:
	.size	_ZN7rocprim17ROCPRIM_400000_NS6detail17trampoline_kernelINS0_14default_configENS1_38merge_sort_block_merge_config_selectorIhlEEZZNS1_27merge_sort_block_merge_implIS3_PhN6thrust23THRUST_200600_302600_NS10device_ptrIlEEjNS1_19radix_merge_compareILb0ELb1EhNS0_19identity_decomposerEEEEE10hipError_tT0_T1_T2_jT3_P12ihipStream_tbPNSt15iterator_traitsISG_E10value_typeEPNSM_ISH_E10value_typeEPSI_NS1_7vsmem_tEENKUlT_SG_SH_SI_E_clIS7_S7_PlSB_EESF_SV_SG_SH_SI_EUlSV_E1_NS1_11comp_targetILNS1_3genE0ELNS1_11target_archE4294967295ELNS1_3gpuE0ELNS1_3repE0EEENS1_36merge_oddeven_config_static_selectorELNS0_4arch9wavefront6targetE1EEEvSH_, .Lfunc_end205-_ZN7rocprim17ROCPRIM_400000_NS6detail17trampoline_kernelINS0_14default_configENS1_38merge_sort_block_merge_config_selectorIhlEEZZNS1_27merge_sort_block_merge_implIS3_PhN6thrust23THRUST_200600_302600_NS10device_ptrIlEEjNS1_19radix_merge_compareILb0ELb1EhNS0_19identity_decomposerEEEEE10hipError_tT0_T1_T2_jT3_P12ihipStream_tbPNSt15iterator_traitsISG_E10value_typeEPNSM_ISH_E10value_typeEPSI_NS1_7vsmem_tEENKUlT_SG_SH_SI_E_clIS7_S7_PlSB_EESF_SV_SG_SH_SI_EUlSV_E1_NS1_11comp_targetILNS1_3genE0ELNS1_11target_archE4294967295ELNS1_3gpuE0ELNS1_3repE0EEENS1_36merge_oddeven_config_static_selectorELNS0_4arch9wavefront6targetE1EEEvSH_
                                        ; -- End function
	.set _ZN7rocprim17ROCPRIM_400000_NS6detail17trampoline_kernelINS0_14default_configENS1_38merge_sort_block_merge_config_selectorIhlEEZZNS1_27merge_sort_block_merge_implIS3_PhN6thrust23THRUST_200600_302600_NS10device_ptrIlEEjNS1_19radix_merge_compareILb0ELb1EhNS0_19identity_decomposerEEEEE10hipError_tT0_T1_T2_jT3_P12ihipStream_tbPNSt15iterator_traitsISG_E10value_typeEPNSM_ISH_E10value_typeEPSI_NS1_7vsmem_tEENKUlT_SG_SH_SI_E_clIS7_S7_PlSB_EESF_SV_SG_SH_SI_EUlSV_E1_NS1_11comp_targetILNS1_3genE0ELNS1_11target_archE4294967295ELNS1_3gpuE0ELNS1_3repE0EEENS1_36merge_oddeven_config_static_selectorELNS0_4arch9wavefront6targetE1EEEvSH_.num_vgpr, 0
	.set _ZN7rocprim17ROCPRIM_400000_NS6detail17trampoline_kernelINS0_14default_configENS1_38merge_sort_block_merge_config_selectorIhlEEZZNS1_27merge_sort_block_merge_implIS3_PhN6thrust23THRUST_200600_302600_NS10device_ptrIlEEjNS1_19radix_merge_compareILb0ELb1EhNS0_19identity_decomposerEEEEE10hipError_tT0_T1_T2_jT3_P12ihipStream_tbPNSt15iterator_traitsISG_E10value_typeEPNSM_ISH_E10value_typeEPSI_NS1_7vsmem_tEENKUlT_SG_SH_SI_E_clIS7_S7_PlSB_EESF_SV_SG_SH_SI_EUlSV_E1_NS1_11comp_targetILNS1_3genE0ELNS1_11target_archE4294967295ELNS1_3gpuE0ELNS1_3repE0EEENS1_36merge_oddeven_config_static_selectorELNS0_4arch9wavefront6targetE1EEEvSH_.num_agpr, 0
	.set _ZN7rocprim17ROCPRIM_400000_NS6detail17trampoline_kernelINS0_14default_configENS1_38merge_sort_block_merge_config_selectorIhlEEZZNS1_27merge_sort_block_merge_implIS3_PhN6thrust23THRUST_200600_302600_NS10device_ptrIlEEjNS1_19radix_merge_compareILb0ELb1EhNS0_19identity_decomposerEEEEE10hipError_tT0_T1_T2_jT3_P12ihipStream_tbPNSt15iterator_traitsISG_E10value_typeEPNSM_ISH_E10value_typeEPSI_NS1_7vsmem_tEENKUlT_SG_SH_SI_E_clIS7_S7_PlSB_EESF_SV_SG_SH_SI_EUlSV_E1_NS1_11comp_targetILNS1_3genE0ELNS1_11target_archE4294967295ELNS1_3gpuE0ELNS1_3repE0EEENS1_36merge_oddeven_config_static_selectorELNS0_4arch9wavefront6targetE1EEEvSH_.numbered_sgpr, 0
	.set _ZN7rocprim17ROCPRIM_400000_NS6detail17trampoline_kernelINS0_14default_configENS1_38merge_sort_block_merge_config_selectorIhlEEZZNS1_27merge_sort_block_merge_implIS3_PhN6thrust23THRUST_200600_302600_NS10device_ptrIlEEjNS1_19radix_merge_compareILb0ELb1EhNS0_19identity_decomposerEEEEE10hipError_tT0_T1_T2_jT3_P12ihipStream_tbPNSt15iterator_traitsISG_E10value_typeEPNSM_ISH_E10value_typeEPSI_NS1_7vsmem_tEENKUlT_SG_SH_SI_E_clIS7_S7_PlSB_EESF_SV_SG_SH_SI_EUlSV_E1_NS1_11comp_targetILNS1_3genE0ELNS1_11target_archE4294967295ELNS1_3gpuE0ELNS1_3repE0EEENS1_36merge_oddeven_config_static_selectorELNS0_4arch9wavefront6targetE1EEEvSH_.num_named_barrier, 0
	.set _ZN7rocprim17ROCPRIM_400000_NS6detail17trampoline_kernelINS0_14default_configENS1_38merge_sort_block_merge_config_selectorIhlEEZZNS1_27merge_sort_block_merge_implIS3_PhN6thrust23THRUST_200600_302600_NS10device_ptrIlEEjNS1_19radix_merge_compareILb0ELb1EhNS0_19identity_decomposerEEEEE10hipError_tT0_T1_T2_jT3_P12ihipStream_tbPNSt15iterator_traitsISG_E10value_typeEPNSM_ISH_E10value_typeEPSI_NS1_7vsmem_tEENKUlT_SG_SH_SI_E_clIS7_S7_PlSB_EESF_SV_SG_SH_SI_EUlSV_E1_NS1_11comp_targetILNS1_3genE0ELNS1_11target_archE4294967295ELNS1_3gpuE0ELNS1_3repE0EEENS1_36merge_oddeven_config_static_selectorELNS0_4arch9wavefront6targetE1EEEvSH_.private_seg_size, 0
	.set _ZN7rocprim17ROCPRIM_400000_NS6detail17trampoline_kernelINS0_14default_configENS1_38merge_sort_block_merge_config_selectorIhlEEZZNS1_27merge_sort_block_merge_implIS3_PhN6thrust23THRUST_200600_302600_NS10device_ptrIlEEjNS1_19radix_merge_compareILb0ELb1EhNS0_19identity_decomposerEEEEE10hipError_tT0_T1_T2_jT3_P12ihipStream_tbPNSt15iterator_traitsISG_E10value_typeEPNSM_ISH_E10value_typeEPSI_NS1_7vsmem_tEENKUlT_SG_SH_SI_E_clIS7_S7_PlSB_EESF_SV_SG_SH_SI_EUlSV_E1_NS1_11comp_targetILNS1_3genE0ELNS1_11target_archE4294967295ELNS1_3gpuE0ELNS1_3repE0EEENS1_36merge_oddeven_config_static_selectorELNS0_4arch9wavefront6targetE1EEEvSH_.uses_vcc, 0
	.set _ZN7rocprim17ROCPRIM_400000_NS6detail17trampoline_kernelINS0_14default_configENS1_38merge_sort_block_merge_config_selectorIhlEEZZNS1_27merge_sort_block_merge_implIS3_PhN6thrust23THRUST_200600_302600_NS10device_ptrIlEEjNS1_19radix_merge_compareILb0ELb1EhNS0_19identity_decomposerEEEEE10hipError_tT0_T1_T2_jT3_P12ihipStream_tbPNSt15iterator_traitsISG_E10value_typeEPNSM_ISH_E10value_typeEPSI_NS1_7vsmem_tEENKUlT_SG_SH_SI_E_clIS7_S7_PlSB_EESF_SV_SG_SH_SI_EUlSV_E1_NS1_11comp_targetILNS1_3genE0ELNS1_11target_archE4294967295ELNS1_3gpuE0ELNS1_3repE0EEENS1_36merge_oddeven_config_static_selectorELNS0_4arch9wavefront6targetE1EEEvSH_.uses_flat_scratch, 0
	.set _ZN7rocprim17ROCPRIM_400000_NS6detail17trampoline_kernelINS0_14default_configENS1_38merge_sort_block_merge_config_selectorIhlEEZZNS1_27merge_sort_block_merge_implIS3_PhN6thrust23THRUST_200600_302600_NS10device_ptrIlEEjNS1_19radix_merge_compareILb0ELb1EhNS0_19identity_decomposerEEEEE10hipError_tT0_T1_T2_jT3_P12ihipStream_tbPNSt15iterator_traitsISG_E10value_typeEPNSM_ISH_E10value_typeEPSI_NS1_7vsmem_tEENKUlT_SG_SH_SI_E_clIS7_S7_PlSB_EESF_SV_SG_SH_SI_EUlSV_E1_NS1_11comp_targetILNS1_3genE0ELNS1_11target_archE4294967295ELNS1_3gpuE0ELNS1_3repE0EEENS1_36merge_oddeven_config_static_selectorELNS0_4arch9wavefront6targetE1EEEvSH_.has_dyn_sized_stack, 0
	.set _ZN7rocprim17ROCPRIM_400000_NS6detail17trampoline_kernelINS0_14default_configENS1_38merge_sort_block_merge_config_selectorIhlEEZZNS1_27merge_sort_block_merge_implIS3_PhN6thrust23THRUST_200600_302600_NS10device_ptrIlEEjNS1_19radix_merge_compareILb0ELb1EhNS0_19identity_decomposerEEEEE10hipError_tT0_T1_T2_jT3_P12ihipStream_tbPNSt15iterator_traitsISG_E10value_typeEPNSM_ISH_E10value_typeEPSI_NS1_7vsmem_tEENKUlT_SG_SH_SI_E_clIS7_S7_PlSB_EESF_SV_SG_SH_SI_EUlSV_E1_NS1_11comp_targetILNS1_3genE0ELNS1_11target_archE4294967295ELNS1_3gpuE0ELNS1_3repE0EEENS1_36merge_oddeven_config_static_selectorELNS0_4arch9wavefront6targetE1EEEvSH_.has_recursion, 0
	.set _ZN7rocprim17ROCPRIM_400000_NS6detail17trampoline_kernelINS0_14default_configENS1_38merge_sort_block_merge_config_selectorIhlEEZZNS1_27merge_sort_block_merge_implIS3_PhN6thrust23THRUST_200600_302600_NS10device_ptrIlEEjNS1_19radix_merge_compareILb0ELb1EhNS0_19identity_decomposerEEEEE10hipError_tT0_T1_T2_jT3_P12ihipStream_tbPNSt15iterator_traitsISG_E10value_typeEPNSM_ISH_E10value_typeEPSI_NS1_7vsmem_tEENKUlT_SG_SH_SI_E_clIS7_S7_PlSB_EESF_SV_SG_SH_SI_EUlSV_E1_NS1_11comp_targetILNS1_3genE0ELNS1_11target_archE4294967295ELNS1_3gpuE0ELNS1_3repE0EEENS1_36merge_oddeven_config_static_selectorELNS0_4arch9wavefront6targetE1EEEvSH_.has_indirect_call, 0
	.section	.AMDGPU.csdata,"",@progbits
; Kernel info:
; codeLenInByte = 0
; TotalNumSgprs: 4
; NumVgprs: 0
; ScratchSize: 0
; MemoryBound: 0
; FloatMode: 240
; IeeeMode: 1
; LDSByteSize: 0 bytes/workgroup (compile time only)
; SGPRBlocks: 0
; VGPRBlocks: 0
; NumSGPRsForWavesPerEU: 4
; NumVGPRsForWavesPerEU: 1
; Occupancy: 10
; WaveLimiterHint : 0
; COMPUTE_PGM_RSRC2:SCRATCH_EN: 0
; COMPUTE_PGM_RSRC2:USER_SGPR: 6
; COMPUTE_PGM_RSRC2:TRAP_HANDLER: 0
; COMPUTE_PGM_RSRC2:TGID_X_EN: 1
; COMPUTE_PGM_RSRC2:TGID_Y_EN: 0
; COMPUTE_PGM_RSRC2:TGID_Z_EN: 0
; COMPUTE_PGM_RSRC2:TIDIG_COMP_CNT: 0
	.section	.text._ZN7rocprim17ROCPRIM_400000_NS6detail17trampoline_kernelINS0_14default_configENS1_38merge_sort_block_merge_config_selectorIhlEEZZNS1_27merge_sort_block_merge_implIS3_PhN6thrust23THRUST_200600_302600_NS10device_ptrIlEEjNS1_19radix_merge_compareILb0ELb1EhNS0_19identity_decomposerEEEEE10hipError_tT0_T1_T2_jT3_P12ihipStream_tbPNSt15iterator_traitsISG_E10value_typeEPNSM_ISH_E10value_typeEPSI_NS1_7vsmem_tEENKUlT_SG_SH_SI_E_clIS7_S7_PlSB_EESF_SV_SG_SH_SI_EUlSV_E1_NS1_11comp_targetILNS1_3genE10ELNS1_11target_archE1201ELNS1_3gpuE5ELNS1_3repE0EEENS1_36merge_oddeven_config_static_selectorELNS0_4arch9wavefront6targetE1EEEvSH_,"axG",@progbits,_ZN7rocprim17ROCPRIM_400000_NS6detail17trampoline_kernelINS0_14default_configENS1_38merge_sort_block_merge_config_selectorIhlEEZZNS1_27merge_sort_block_merge_implIS3_PhN6thrust23THRUST_200600_302600_NS10device_ptrIlEEjNS1_19radix_merge_compareILb0ELb1EhNS0_19identity_decomposerEEEEE10hipError_tT0_T1_T2_jT3_P12ihipStream_tbPNSt15iterator_traitsISG_E10value_typeEPNSM_ISH_E10value_typeEPSI_NS1_7vsmem_tEENKUlT_SG_SH_SI_E_clIS7_S7_PlSB_EESF_SV_SG_SH_SI_EUlSV_E1_NS1_11comp_targetILNS1_3genE10ELNS1_11target_archE1201ELNS1_3gpuE5ELNS1_3repE0EEENS1_36merge_oddeven_config_static_selectorELNS0_4arch9wavefront6targetE1EEEvSH_,comdat
	.protected	_ZN7rocprim17ROCPRIM_400000_NS6detail17trampoline_kernelINS0_14default_configENS1_38merge_sort_block_merge_config_selectorIhlEEZZNS1_27merge_sort_block_merge_implIS3_PhN6thrust23THRUST_200600_302600_NS10device_ptrIlEEjNS1_19radix_merge_compareILb0ELb1EhNS0_19identity_decomposerEEEEE10hipError_tT0_T1_T2_jT3_P12ihipStream_tbPNSt15iterator_traitsISG_E10value_typeEPNSM_ISH_E10value_typeEPSI_NS1_7vsmem_tEENKUlT_SG_SH_SI_E_clIS7_S7_PlSB_EESF_SV_SG_SH_SI_EUlSV_E1_NS1_11comp_targetILNS1_3genE10ELNS1_11target_archE1201ELNS1_3gpuE5ELNS1_3repE0EEENS1_36merge_oddeven_config_static_selectorELNS0_4arch9wavefront6targetE1EEEvSH_ ; -- Begin function _ZN7rocprim17ROCPRIM_400000_NS6detail17trampoline_kernelINS0_14default_configENS1_38merge_sort_block_merge_config_selectorIhlEEZZNS1_27merge_sort_block_merge_implIS3_PhN6thrust23THRUST_200600_302600_NS10device_ptrIlEEjNS1_19radix_merge_compareILb0ELb1EhNS0_19identity_decomposerEEEEE10hipError_tT0_T1_T2_jT3_P12ihipStream_tbPNSt15iterator_traitsISG_E10value_typeEPNSM_ISH_E10value_typeEPSI_NS1_7vsmem_tEENKUlT_SG_SH_SI_E_clIS7_S7_PlSB_EESF_SV_SG_SH_SI_EUlSV_E1_NS1_11comp_targetILNS1_3genE10ELNS1_11target_archE1201ELNS1_3gpuE5ELNS1_3repE0EEENS1_36merge_oddeven_config_static_selectorELNS0_4arch9wavefront6targetE1EEEvSH_
	.globl	_ZN7rocprim17ROCPRIM_400000_NS6detail17trampoline_kernelINS0_14default_configENS1_38merge_sort_block_merge_config_selectorIhlEEZZNS1_27merge_sort_block_merge_implIS3_PhN6thrust23THRUST_200600_302600_NS10device_ptrIlEEjNS1_19radix_merge_compareILb0ELb1EhNS0_19identity_decomposerEEEEE10hipError_tT0_T1_T2_jT3_P12ihipStream_tbPNSt15iterator_traitsISG_E10value_typeEPNSM_ISH_E10value_typeEPSI_NS1_7vsmem_tEENKUlT_SG_SH_SI_E_clIS7_S7_PlSB_EESF_SV_SG_SH_SI_EUlSV_E1_NS1_11comp_targetILNS1_3genE10ELNS1_11target_archE1201ELNS1_3gpuE5ELNS1_3repE0EEENS1_36merge_oddeven_config_static_selectorELNS0_4arch9wavefront6targetE1EEEvSH_
	.p2align	8
	.type	_ZN7rocprim17ROCPRIM_400000_NS6detail17trampoline_kernelINS0_14default_configENS1_38merge_sort_block_merge_config_selectorIhlEEZZNS1_27merge_sort_block_merge_implIS3_PhN6thrust23THRUST_200600_302600_NS10device_ptrIlEEjNS1_19radix_merge_compareILb0ELb1EhNS0_19identity_decomposerEEEEE10hipError_tT0_T1_T2_jT3_P12ihipStream_tbPNSt15iterator_traitsISG_E10value_typeEPNSM_ISH_E10value_typeEPSI_NS1_7vsmem_tEENKUlT_SG_SH_SI_E_clIS7_S7_PlSB_EESF_SV_SG_SH_SI_EUlSV_E1_NS1_11comp_targetILNS1_3genE10ELNS1_11target_archE1201ELNS1_3gpuE5ELNS1_3repE0EEENS1_36merge_oddeven_config_static_selectorELNS0_4arch9wavefront6targetE1EEEvSH_,@function
_ZN7rocprim17ROCPRIM_400000_NS6detail17trampoline_kernelINS0_14default_configENS1_38merge_sort_block_merge_config_selectorIhlEEZZNS1_27merge_sort_block_merge_implIS3_PhN6thrust23THRUST_200600_302600_NS10device_ptrIlEEjNS1_19radix_merge_compareILb0ELb1EhNS0_19identity_decomposerEEEEE10hipError_tT0_T1_T2_jT3_P12ihipStream_tbPNSt15iterator_traitsISG_E10value_typeEPNSM_ISH_E10value_typeEPSI_NS1_7vsmem_tEENKUlT_SG_SH_SI_E_clIS7_S7_PlSB_EESF_SV_SG_SH_SI_EUlSV_E1_NS1_11comp_targetILNS1_3genE10ELNS1_11target_archE1201ELNS1_3gpuE5ELNS1_3repE0EEENS1_36merge_oddeven_config_static_selectorELNS0_4arch9wavefront6targetE1EEEvSH_: ; @_ZN7rocprim17ROCPRIM_400000_NS6detail17trampoline_kernelINS0_14default_configENS1_38merge_sort_block_merge_config_selectorIhlEEZZNS1_27merge_sort_block_merge_implIS3_PhN6thrust23THRUST_200600_302600_NS10device_ptrIlEEjNS1_19radix_merge_compareILb0ELb1EhNS0_19identity_decomposerEEEEE10hipError_tT0_T1_T2_jT3_P12ihipStream_tbPNSt15iterator_traitsISG_E10value_typeEPNSM_ISH_E10value_typeEPSI_NS1_7vsmem_tEENKUlT_SG_SH_SI_E_clIS7_S7_PlSB_EESF_SV_SG_SH_SI_EUlSV_E1_NS1_11comp_targetILNS1_3genE10ELNS1_11target_archE1201ELNS1_3gpuE5ELNS1_3repE0EEENS1_36merge_oddeven_config_static_selectorELNS0_4arch9wavefront6targetE1EEEvSH_
; %bb.0:
	.section	.rodata,"a",@progbits
	.p2align	6, 0x0
	.amdhsa_kernel _ZN7rocprim17ROCPRIM_400000_NS6detail17trampoline_kernelINS0_14default_configENS1_38merge_sort_block_merge_config_selectorIhlEEZZNS1_27merge_sort_block_merge_implIS3_PhN6thrust23THRUST_200600_302600_NS10device_ptrIlEEjNS1_19radix_merge_compareILb0ELb1EhNS0_19identity_decomposerEEEEE10hipError_tT0_T1_T2_jT3_P12ihipStream_tbPNSt15iterator_traitsISG_E10value_typeEPNSM_ISH_E10value_typeEPSI_NS1_7vsmem_tEENKUlT_SG_SH_SI_E_clIS7_S7_PlSB_EESF_SV_SG_SH_SI_EUlSV_E1_NS1_11comp_targetILNS1_3genE10ELNS1_11target_archE1201ELNS1_3gpuE5ELNS1_3repE0EEENS1_36merge_oddeven_config_static_selectorELNS0_4arch9wavefront6targetE1EEEvSH_
		.amdhsa_group_segment_fixed_size 0
		.amdhsa_private_segment_fixed_size 0
		.amdhsa_kernarg_size 48
		.amdhsa_user_sgpr_count 6
		.amdhsa_user_sgpr_private_segment_buffer 1
		.amdhsa_user_sgpr_dispatch_ptr 0
		.amdhsa_user_sgpr_queue_ptr 0
		.amdhsa_user_sgpr_kernarg_segment_ptr 1
		.amdhsa_user_sgpr_dispatch_id 0
		.amdhsa_user_sgpr_flat_scratch_init 0
		.amdhsa_user_sgpr_private_segment_size 0
		.amdhsa_uses_dynamic_stack 0
		.amdhsa_system_sgpr_private_segment_wavefront_offset 0
		.amdhsa_system_sgpr_workgroup_id_x 1
		.amdhsa_system_sgpr_workgroup_id_y 0
		.amdhsa_system_sgpr_workgroup_id_z 0
		.amdhsa_system_sgpr_workgroup_info 0
		.amdhsa_system_vgpr_workitem_id 0
		.amdhsa_next_free_vgpr 1
		.amdhsa_next_free_sgpr 0
		.amdhsa_reserve_vcc 0
		.amdhsa_reserve_flat_scratch 0
		.amdhsa_float_round_mode_32 0
		.amdhsa_float_round_mode_16_64 0
		.amdhsa_float_denorm_mode_32 3
		.amdhsa_float_denorm_mode_16_64 3
		.amdhsa_dx10_clamp 1
		.amdhsa_ieee_mode 1
		.amdhsa_fp16_overflow 0
		.amdhsa_exception_fp_ieee_invalid_op 0
		.amdhsa_exception_fp_denorm_src 0
		.amdhsa_exception_fp_ieee_div_zero 0
		.amdhsa_exception_fp_ieee_overflow 0
		.amdhsa_exception_fp_ieee_underflow 0
		.amdhsa_exception_fp_ieee_inexact 0
		.amdhsa_exception_int_div_zero 0
	.end_amdhsa_kernel
	.section	.text._ZN7rocprim17ROCPRIM_400000_NS6detail17trampoline_kernelINS0_14default_configENS1_38merge_sort_block_merge_config_selectorIhlEEZZNS1_27merge_sort_block_merge_implIS3_PhN6thrust23THRUST_200600_302600_NS10device_ptrIlEEjNS1_19radix_merge_compareILb0ELb1EhNS0_19identity_decomposerEEEEE10hipError_tT0_T1_T2_jT3_P12ihipStream_tbPNSt15iterator_traitsISG_E10value_typeEPNSM_ISH_E10value_typeEPSI_NS1_7vsmem_tEENKUlT_SG_SH_SI_E_clIS7_S7_PlSB_EESF_SV_SG_SH_SI_EUlSV_E1_NS1_11comp_targetILNS1_3genE10ELNS1_11target_archE1201ELNS1_3gpuE5ELNS1_3repE0EEENS1_36merge_oddeven_config_static_selectorELNS0_4arch9wavefront6targetE1EEEvSH_,"axG",@progbits,_ZN7rocprim17ROCPRIM_400000_NS6detail17trampoline_kernelINS0_14default_configENS1_38merge_sort_block_merge_config_selectorIhlEEZZNS1_27merge_sort_block_merge_implIS3_PhN6thrust23THRUST_200600_302600_NS10device_ptrIlEEjNS1_19radix_merge_compareILb0ELb1EhNS0_19identity_decomposerEEEEE10hipError_tT0_T1_T2_jT3_P12ihipStream_tbPNSt15iterator_traitsISG_E10value_typeEPNSM_ISH_E10value_typeEPSI_NS1_7vsmem_tEENKUlT_SG_SH_SI_E_clIS7_S7_PlSB_EESF_SV_SG_SH_SI_EUlSV_E1_NS1_11comp_targetILNS1_3genE10ELNS1_11target_archE1201ELNS1_3gpuE5ELNS1_3repE0EEENS1_36merge_oddeven_config_static_selectorELNS0_4arch9wavefront6targetE1EEEvSH_,comdat
.Lfunc_end206:
	.size	_ZN7rocprim17ROCPRIM_400000_NS6detail17trampoline_kernelINS0_14default_configENS1_38merge_sort_block_merge_config_selectorIhlEEZZNS1_27merge_sort_block_merge_implIS3_PhN6thrust23THRUST_200600_302600_NS10device_ptrIlEEjNS1_19radix_merge_compareILb0ELb1EhNS0_19identity_decomposerEEEEE10hipError_tT0_T1_T2_jT3_P12ihipStream_tbPNSt15iterator_traitsISG_E10value_typeEPNSM_ISH_E10value_typeEPSI_NS1_7vsmem_tEENKUlT_SG_SH_SI_E_clIS7_S7_PlSB_EESF_SV_SG_SH_SI_EUlSV_E1_NS1_11comp_targetILNS1_3genE10ELNS1_11target_archE1201ELNS1_3gpuE5ELNS1_3repE0EEENS1_36merge_oddeven_config_static_selectorELNS0_4arch9wavefront6targetE1EEEvSH_, .Lfunc_end206-_ZN7rocprim17ROCPRIM_400000_NS6detail17trampoline_kernelINS0_14default_configENS1_38merge_sort_block_merge_config_selectorIhlEEZZNS1_27merge_sort_block_merge_implIS3_PhN6thrust23THRUST_200600_302600_NS10device_ptrIlEEjNS1_19radix_merge_compareILb0ELb1EhNS0_19identity_decomposerEEEEE10hipError_tT0_T1_T2_jT3_P12ihipStream_tbPNSt15iterator_traitsISG_E10value_typeEPNSM_ISH_E10value_typeEPSI_NS1_7vsmem_tEENKUlT_SG_SH_SI_E_clIS7_S7_PlSB_EESF_SV_SG_SH_SI_EUlSV_E1_NS1_11comp_targetILNS1_3genE10ELNS1_11target_archE1201ELNS1_3gpuE5ELNS1_3repE0EEENS1_36merge_oddeven_config_static_selectorELNS0_4arch9wavefront6targetE1EEEvSH_
                                        ; -- End function
	.set _ZN7rocprim17ROCPRIM_400000_NS6detail17trampoline_kernelINS0_14default_configENS1_38merge_sort_block_merge_config_selectorIhlEEZZNS1_27merge_sort_block_merge_implIS3_PhN6thrust23THRUST_200600_302600_NS10device_ptrIlEEjNS1_19radix_merge_compareILb0ELb1EhNS0_19identity_decomposerEEEEE10hipError_tT0_T1_T2_jT3_P12ihipStream_tbPNSt15iterator_traitsISG_E10value_typeEPNSM_ISH_E10value_typeEPSI_NS1_7vsmem_tEENKUlT_SG_SH_SI_E_clIS7_S7_PlSB_EESF_SV_SG_SH_SI_EUlSV_E1_NS1_11comp_targetILNS1_3genE10ELNS1_11target_archE1201ELNS1_3gpuE5ELNS1_3repE0EEENS1_36merge_oddeven_config_static_selectorELNS0_4arch9wavefront6targetE1EEEvSH_.num_vgpr, 0
	.set _ZN7rocprim17ROCPRIM_400000_NS6detail17trampoline_kernelINS0_14default_configENS1_38merge_sort_block_merge_config_selectorIhlEEZZNS1_27merge_sort_block_merge_implIS3_PhN6thrust23THRUST_200600_302600_NS10device_ptrIlEEjNS1_19radix_merge_compareILb0ELb1EhNS0_19identity_decomposerEEEEE10hipError_tT0_T1_T2_jT3_P12ihipStream_tbPNSt15iterator_traitsISG_E10value_typeEPNSM_ISH_E10value_typeEPSI_NS1_7vsmem_tEENKUlT_SG_SH_SI_E_clIS7_S7_PlSB_EESF_SV_SG_SH_SI_EUlSV_E1_NS1_11comp_targetILNS1_3genE10ELNS1_11target_archE1201ELNS1_3gpuE5ELNS1_3repE0EEENS1_36merge_oddeven_config_static_selectorELNS0_4arch9wavefront6targetE1EEEvSH_.num_agpr, 0
	.set _ZN7rocprim17ROCPRIM_400000_NS6detail17trampoline_kernelINS0_14default_configENS1_38merge_sort_block_merge_config_selectorIhlEEZZNS1_27merge_sort_block_merge_implIS3_PhN6thrust23THRUST_200600_302600_NS10device_ptrIlEEjNS1_19radix_merge_compareILb0ELb1EhNS0_19identity_decomposerEEEEE10hipError_tT0_T1_T2_jT3_P12ihipStream_tbPNSt15iterator_traitsISG_E10value_typeEPNSM_ISH_E10value_typeEPSI_NS1_7vsmem_tEENKUlT_SG_SH_SI_E_clIS7_S7_PlSB_EESF_SV_SG_SH_SI_EUlSV_E1_NS1_11comp_targetILNS1_3genE10ELNS1_11target_archE1201ELNS1_3gpuE5ELNS1_3repE0EEENS1_36merge_oddeven_config_static_selectorELNS0_4arch9wavefront6targetE1EEEvSH_.numbered_sgpr, 0
	.set _ZN7rocprim17ROCPRIM_400000_NS6detail17trampoline_kernelINS0_14default_configENS1_38merge_sort_block_merge_config_selectorIhlEEZZNS1_27merge_sort_block_merge_implIS3_PhN6thrust23THRUST_200600_302600_NS10device_ptrIlEEjNS1_19radix_merge_compareILb0ELb1EhNS0_19identity_decomposerEEEEE10hipError_tT0_T1_T2_jT3_P12ihipStream_tbPNSt15iterator_traitsISG_E10value_typeEPNSM_ISH_E10value_typeEPSI_NS1_7vsmem_tEENKUlT_SG_SH_SI_E_clIS7_S7_PlSB_EESF_SV_SG_SH_SI_EUlSV_E1_NS1_11comp_targetILNS1_3genE10ELNS1_11target_archE1201ELNS1_3gpuE5ELNS1_3repE0EEENS1_36merge_oddeven_config_static_selectorELNS0_4arch9wavefront6targetE1EEEvSH_.num_named_barrier, 0
	.set _ZN7rocprim17ROCPRIM_400000_NS6detail17trampoline_kernelINS0_14default_configENS1_38merge_sort_block_merge_config_selectorIhlEEZZNS1_27merge_sort_block_merge_implIS3_PhN6thrust23THRUST_200600_302600_NS10device_ptrIlEEjNS1_19radix_merge_compareILb0ELb1EhNS0_19identity_decomposerEEEEE10hipError_tT0_T1_T2_jT3_P12ihipStream_tbPNSt15iterator_traitsISG_E10value_typeEPNSM_ISH_E10value_typeEPSI_NS1_7vsmem_tEENKUlT_SG_SH_SI_E_clIS7_S7_PlSB_EESF_SV_SG_SH_SI_EUlSV_E1_NS1_11comp_targetILNS1_3genE10ELNS1_11target_archE1201ELNS1_3gpuE5ELNS1_3repE0EEENS1_36merge_oddeven_config_static_selectorELNS0_4arch9wavefront6targetE1EEEvSH_.private_seg_size, 0
	.set _ZN7rocprim17ROCPRIM_400000_NS6detail17trampoline_kernelINS0_14default_configENS1_38merge_sort_block_merge_config_selectorIhlEEZZNS1_27merge_sort_block_merge_implIS3_PhN6thrust23THRUST_200600_302600_NS10device_ptrIlEEjNS1_19radix_merge_compareILb0ELb1EhNS0_19identity_decomposerEEEEE10hipError_tT0_T1_T2_jT3_P12ihipStream_tbPNSt15iterator_traitsISG_E10value_typeEPNSM_ISH_E10value_typeEPSI_NS1_7vsmem_tEENKUlT_SG_SH_SI_E_clIS7_S7_PlSB_EESF_SV_SG_SH_SI_EUlSV_E1_NS1_11comp_targetILNS1_3genE10ELNS1_11target_archE1201ELNS1_3gpuE5ELNS1_3repE0EEENS1_36merge_oddeven_config_static_selectorELNS0_4arch9wavefront6targetE1EEEvSH_.uses_vcc, 0
	.set _ZN7rocprim17ROCPRIM_400000_NS6detail17trampoline_kernelINS0_14default_configENS1_38merge_sort_block_merge_config_selectorIhlEEZZNS1_27merge_sort_block_merge_implIS3_PhN6thrust23THRUST_200600_302600_NS10device_ptrIlEEjNS1_19radix_merge_compareILb0ELb1EhNS0_19identity_decomposerEEEEE10hipError_tT0_T1_T2_jT3_P12ihipStream_tbPNSt15iterator_traitsISG_E10value_typeEPNSM_ISH_E10value_typeEPSI_NS1_7vsmem_tEENKUlT_SG_SH_SI_E_clIS7_S7_PlSB_EESF_SV_SG_SH_SI_EUlSV_E1_NS1_11comp_targetILNS1_3genE10ELNS1_11target_archE1201ELNS1_3gpuE5ELNS1_3repE0EEENS1_36merge_oddeven_config_static_selectorELNS0_4arch9wavefront6targetE1EEEvSH_.uses_flat_scratch, 0
	.set _ZN7rocprim17ROCPRIM_400000_NS6detail17trampoline_kernelINS0_14default_configENS1_38merge_sort_block_merge_config_selectorIhlEEZZNS1_27merge_sort_block_merge_implIS3_PhN6thrust23THRUST_200600_302600_NS10device_ptrIlEEjNS1_19radix_merge_compareILb0ELb1EhNS0_19identity_decomposerEEEEE10hipError_tT0_T1_T2_jT3_P12ihipStream_tbPNSt15iterator_traitsISG_E10value_typeEPNSM_ISH_E10value_typeEPSI_NS1_7vsmem_tEENKUlT_SG_SH_SI_E_clIS7_S7_PlSB_EESF_SV_SG_SH_SI_EUlSV_E1_NS1_11comp_targetILNS1_3genE10ELNS1_11target_archE1201ELNS1_3gpuE5ELNS1_3repE0EEENS1_36merge_oddeven_config_static_selectorELNS0_4arch9wavefront6targetE1EEEvSH_.has_dyn_sized_stack, 0
	.set _ZN7rocprim17ROCPRIM_400000_NS6detail17trampoline_kernelINS0_14default_configENS1_38merge_sort_block_merge_config_selectorIhlEEZZNS1_27merge_sort_block_merge_implIS3_PhN6thrust23THRUST_200600_302600_NS10device_ptrIlEEjNS1_19radix_merge_compareILb0ELb1EhNS0_19identity_decomposerEEEEE10hipError_tT0_T1_T2_jT3_P12ihipStream_tbPNSt15iterator_traitsISG_E10value_typeEPNSM_ISH_E10value_typeEPSI_NS1_7vsmem_tEENKUlT_SG_SH_SI_E_clIS7_S7_PlSB_EESF_SV_SG_SH_SI_EUlSV_E1_NS1_11comp_targetILNS1_3genE10ELNS1_11target_archE1201ELNS1_3gpuE5ELNS1_3repE0EEENS1_36merge_oddeven_config_static_selectorELNS0_4arch9wavefront6targetE1EEEvSH_.has_recursion, 0
	.set _ZN7rocprim17ROCPRIM_400000_NS6detail17trampoline_kernelINS0_14default_configENS1_38merge_sort_block_merge_config_selectorIhlEEZZNS1_27merge_sort_block_merge_implIS3_PhN6thrust23THRUST_200600_302600_NS10device_ptrIlEEjNS1_19radix_merge_compareILb0ELb1EhNS0_19identity_decomposerEEEEE10hipError_tT0_T1_T2_jT3_P12ihipStream_tbPNSt15iterator_traitsISG_E10value_typeEPNSM_ISH_E10value_typeEPSI_NS1_7vsmem_tEENKUlT_SG_SH_SI_E_clIS7_S7_PlSB_EESF_SV_SG_SH_SI_EUlSV_E1_NS1_11comp_targetILNS1_3genE10ELNS1_11target_archE1201ELNS1_3gpuE5ELNS1_3repE0EEENS1_36merge_oddeven_config_static_selectorELNS0_4arch9wavefront6targetE1EEEvSH_.has_indirect_call, 0
	.section	.AMDGPU.csdata,"",@progbits
; Kernel info:
; codeLenInByte = 0
; TotalNumSgprs: 4
; NumVgprs: 0
; ScratchSize: 0
; MemoryBound: 0
; FloatMode: 240
; IeeeMode: 1
; LDSByteSize: 0 bytes/workgroup (compile time only)
; SGPRBlocks: 0
; VGPRBlocks: 0
; NumSGPRsForWavesPerEU: 4
; NumVGPRsForWavesPerEU: 1
; Occupancy: 10
; WaveLimiterHint : 0
; COMPUTE_PGM_RSRC2:SCRATCH_EN: 0
; COMPUTE_PGM_RSRC2:USER_SGPR: 6
; COMPUTE_PGM_RSRC2:TRAP_HANDLER: 0
; COMPUTE_PGM_RSRC2:TGID_X_EN: 1
; COMPUTE_PGM_RSRC2:TGID_Y_EN: 0
; COMPUTE_PGM_RSRC2:TGID_Z_EN: 0
; COMPUTE_PGM_RSRC2:TIDIG_COMP_CNT: 0
	.section	.text._ZN7rocprim17ROCPRIM_400000_NS6detail17trampoline_kernelINS0_14default_configENS1_38merge_sort_block_merge_config_selectorIhlEEZZNS1_27merge_sort_block_merge_implIS3_PhN6thrust23THRUST_200600_302600_NS10device_ptrIlEEjNS1_19radix_merge_compareILb0ELb1EhNS0_19identity_decomposerEEEEE10hipError_tT0_T1_T2_jT3_P12ihipStream_tbPNSt15iterator_traitsISG_E10value_typeEPNSM_ISH_E10value_typeEPSI_NS1_7vsmem_tEENKUlT_SG_SH_SI_E_clIS7_S7_PlSB_EESF_SV_SG_SH_SI_EUlSV_E1_NS1_11comp_targetILNS1_3genE5ELNS1_11target_archE942ELNS1_3gpuE9ELNS1_3repE0EEENS1_36merge_oddeven_config_static_selectorELNS0_4arch9wavefront6targetE1EEEvSH_,"axG",@progbits,_ZN7rocprim17ROCPRIM_400000_NS6detail17trampoline_kernelINS0_14default_configENS1_38merge_sort_block_merge_config_selectorIhlEEZZNS1_27merge_sort_block_merge_implIS3_PhN6thrust23THRUST_200600_302600_NS10device_ptrIlEEjNS1_19radix_merge_compareILb0ELb1EhNS0_19identity_decomposerEEEEE10hipError_tT0_T1_T2_jT3_P12ihipStream_tbPNSt15iterator_traitsISG_E10value_typeEPNSM_ISH_E10value_typeEPSI_NS1_7vsmem_tEENKUlT_SG_SH_SI_E_clIS7_S7_PlSB_EESF_SV_SG_SH_SI_EUlSV_E1_NS1_11comp_targetILNS1_3genE5ELNS1_11target_archE942ELNS1_3gpuE9ELNS1_3repE0EEENS1_36merge_oddeven_config_static_selectorELNS0_4arch9wavefront6targetE1EEEvSH_,comdat
	.protected	_ZN7rocprim17ROCPRIM_400000_NS6detail17trampoline_kernelINS0_14default_configENS1_38merge_sort_block_merge_config_selectorIhlEEZZNS1_27merge_sort_block_merge_implIS3_PhN6thrust23THRUST_200600_302600_NS10device_ptrIlEEjNS1_19radix_merge_compareILb0ELb1EhNS0_19identity_decomposerEEEEE10hipError_tT0_T1_T2_jT3_P12ihipStream_tbPNSt15iterator_traitsISG_E10value_typeEPNSM_ISH_E10value_typeEPSI_NS1_7vsmem_tEENKUlT_SG_SH_SI_E_clIS7_S7_PlSB_EESF_SV_SG_SH_SI_EUlSV_E1_NS1_11comp_targetILNS1_3genE5ELNS1_11target_archE942ELNS1_3gpuE9ELNS1_3repE0EEENS1_36merge_oddeven_config_static_selectorELNS0_4arch9wavefront6targetE1EEEvSH_ ; -- Begin function _ZN7rocprim17ROCPRIM_400000_NS6detail17trampoline_kernelINS0_14default_configENS1_38merge_sort_block_merge_config_selectorIhlEEZZNS1_27merge_sort_block_merge_implIS3_PhN6thrust23THRUST_200600_302600_NS10device_ptrIlEEjNS1_19radix_merge_compareILb0ELb1EhNS0_19identity_decomposerEEEEE10hipError_tT0_T1_T2_jT3_P12ihipStream_tbPNSt15iterator_traitsISG_E10value_typeEPNSM_ISH_E10value_typeEPSI_NS1_7vsmem_tEENKUlT_SG_SH_SI_E_clIS7_S7_PlSB_EESF_SV_SG_SH_SI_EUlSV_E1_NS1_11comp_targetILNS1_3genE5ELNS1_11target_archE942ELNS1_3gpuE9ELNS1_3repE0EEENS1_36merge_oddeven_config_static_selectorELNS0_4arch9wavefront6targetE1EEEvSH_
	.globl	_ZN7rocprim17ROCPRIM_400000_NS6detail17trampoline_kernelINS0_14default_configENS1_38merge_sort_block_merge_config_selectorIhlEEZZNS1_27merge_sort_block_merge_implIS3_PhN6thrust23THRUST_200600_302600_NS10device_ptrIlEEjNS1_19radix_merge_compareILb0ELb1EhNS0_19identity_decomposerEEEEE10hipError_tT0_T1_T2_jT3_P12ihipStream_tbPNSt15iterator_traitsISG_E10value_typeEPNSM_ISH_E10value_typeEPSI_NS1_7vsmem_tEENKUlT_SG_SH_SI_E_clIS7_S7_PlSB_EESF_SV_SG_SH_SI_EUlSV_E1_NS1_11comp_targetILNS1_3genE5ELNS1_11target_archE942ELNS1_3gpuE9ELNS1_3repE0EEENS1_36merge_oddeven_config_static_selectorELNS0_4arch9wavefront6targetE1EEEvSH_
	.p2align	8
	.type	_ZN7rocprim17ROCPRIM_400000_NS6detail17trampoline_kernelINS0_14default_configENS1_38merge_sort_block_merge_config_selectorIhlEEZZNS1_27merge_sort_block_merge_implIS3_PhN6thrust23THRUST_200600_302600_NS10device_ptrIlEEjNS1_19radix_merge_compareILb0ELb1EhNS0_19identity_decomposerEEEEE10hipError_tT0_T1_T2_jT3_P12ihipStream_tbPNSt15iterator_traitsISG_E10value_typeEPNSM_ISH_E10value_typeEPSI_NS1_7vsmem_tEENKUlT_SG_SH_SI_E_clIS7_S7_PlSB_EESF_SV_SG_SH_SI_EUlSV_E1_NS1_11comp_targetILNS1_3genE5ELNS1_11target_archE942ELNS1_3gpuE9ELNS1_3repE0EEENS1_36merge_oddeven_config_static_selectorELNS0_4arch9wavefront6targetE1EEEvSH_,@function
_ZN7rocprim17ROCPRIM_400000_NS6detail17trampoline_kernelINS0_14default_configENS1_38merge_sort_block_merge_config_selectorIhlEEZZNS1_27merge_sort_block_merge_implIS3_PhN6thrust23THRUST_200600_302600_NS10device_ptrIlEEjNS1_19radix_merge_compareILb0ELb1EhNS0_19identity_decomposerEEEEE10hipError_tT0_T1_T2_jT3_P12ihipStream_tbPNSt15iterator_traitsISG_E10value_typeEPNSM_ISH_E10value_typeEPSI_NS1_7vsmem_tEENKUlT_SG_SH_SI_E_clIS7_S7_PlSB_EESF_SV_SG_SH_SI_EUlSV_E1_NS1_11comp_targetILNS1_3genE5ELNS1_11target_archE942ELNS1_3gpuE9ELNS1_3repE0EEENS1_36merge_oddeven_config_static_selectorELNS0_4arch9wavefront6targetE1EEEvSH_: ; @_ZN7rocprim17ROCPRIM_400000_NS6detail17trampoline_kernelINS0_14default_configENS1_38merge_sort_block_merge_config_selectorIhlEEZZNS1_27merge_sort_block_merge_implIS3_PhN6thrust23THRUST_200600_302600_NS10device_ptrIlEEjNS1_19radix_merge_compareILb0ELb1EhNS0_19identity_decomposerEEEEE10hipError_tT0_T1_T2_jT3_P12ihipStream_tbPNSt15iterator_traitsISG_E10value_typeEPNSM_ISH_E10value_typeEPSI_NS1_7vsmem_tEENKUlT_SG_SH_SI_E_clIS7_S7_PlSB_EESF_SV_SG_SH_SI_EUlSV_E1_NS1_11comp_targetILNS1_3genE5ELNS1_11target_archE942ELNS1_3gpuE9ELNS1_3repE0EEENS1_36merge_oddeven_config_static_selectorELNS0_4arch9wavefront6targetE1EEEvSH_
; %bb.0:
	.section	.rodata,"a",@progbits
	.p2align	6, 0x0
	.amdhsa_kernel _ZN7rocprim17ROCPRIM_400000_NS6detail17trampoline_kernelINS0_14default_configENS1_38merge_sort_block_merge_config_selectorIhlEEZZNS1_27merge_sort_block_merge_implIS3_PhN6thrust23THRUST_200600_302600_NS10device_ptrIlEEjNS1_19radix_merge_compareILb0ELb1EhNS0_19identity_decomposerEEEEE10hipError_tT0_T1_T2_jT3_P12ihipStream_tbPNSt15iterator_traitsISG_E10value_typeEPNSM_ISH_E10value_typeEPSI_NS1_7vsmem_tEENKUlT_SG_SH_SI_E_clIS7_S7_PlSB_EESF_SV_SG_SH_SI_EUlSV_E1_NS1_11comp_targetILNS1_3genE5ELNS1_11target_archE942ELNS1_3gpuE9ELNS1_3repE0EEENS1_36merge_oddeven_config_static_selectorELNS0_4arch9wavefront6targetE1EEEvSH_
		.amdhsa_group_segment_fixed_size 0
		.amdhsa_private_segment_fixed_size 0
		.amdhsa_kernarg_size 48
		.amdhsa_user_sgpr_count 6
		.amdhsa_user_sgpr_private_segment_buffer 1
		.amdhsa_user_sgpr_dispatch_ptr 0
		.amdhsa_user_sgpr_queue_ptr 0
		.amdhsa_user_sgpr_kernarg_segment_ptr 1
		.amdhsa_user_sgpr_dispatch_id 0
		.amdhsa_user_sgpr_flat_scratch_init 0
		.amdhsa_user_sgpr_private_segment_size 0
		.amdhsa_uses_dynamic_stack 0
		.amdhsa_system_sgpr_private_segment_wavefront_offset 0
		.amdhsa_system_sgpr_workgroup_id_x 1
		.amdhsa_system_sgpr_workgroup_id_y 0
		.amdhsa_system_sgpr_workgroup_id_z 0
		.amdhsa_system_sgpr_workgroup_info 0
		.amdhsa_system_vgpr_workitem_id 0
		.amdhsa_next_free_vgpr 1
		.amdhsa_next_free_sgpr 0
		.amdhsa_reserve_vcc 0
		.amdhsa_reserve_flat_scratch 0
		.amdhsa_float_round_mode_32 0
		.amdhsa_float_round_mode_16_64 0
		.amdhsa_float_denorm_mode_32 3
		.amdhsa_float_denorm_mode_16_64 3
		.amdhsa_dx10_clamp 1
		.amdhsa_ieee_mode 1
		.amdhsa_fp16_overflow 0
		.amdhsa_exception_fp_ieee_invalid_op 0
		.amdhsa_exception_fp_denorm_src 0
		.amdhsa_exception_fp_ieee_div_zero 0
		.amdhsa_exception_fp_ieee_overflow 0
		.amdhsa_exception_fp_ieee_underflow 0
		.amdhsa_exception_fp_ieee_inexact 0
		.amdhsa_exception_int_div_zero 0
	.end_amdhsa_kernel
	.section	.text._ZN7rocprim17ROCPRIM_400000_NS6detail17trampoline_kernelINS0_14default_configENS1_38merge_sort_block_merge_config_selectorIhlEEZZNS1_27merge_sort_block_merge_implIS3_PhN6thrust23THRUST_200600_302600_NS10device_ptrIlEEjNS1_19radix_merge_compareILb0ELb1EhNS0_19identity_decomposerEEEEE10hipError_tT0_T1_T2_jT3_P12ihipStream_tbPNSt15iterator_traitsISG_E10value_typeEPNSM_ISH_E10value_typeEPSI_NS1_7vsmem_tEENKUlT_SG_SH_SI_E_clIS7_S7_PlSB_EESF_SV_SG_SH_SI_EUlSV_E1_NS1_11comp_targetILNS1_3genE5ELNS1_11target_archE942ELNS1_3gpuE9ELNS1_3repE0EEENS1_36merge_oddeven_config_static_selectorELNS0_4arch9wavefront6targetE1EEEvSH_,"axG",@progbits,_ZN7rocprim17ROCPRIM_400000_NS6detail17trampoline_kernelINS0_14default_configENS1_38merge_sort_block_merge_config_selectorIhlEEZZNS1_27merge_sort_block_merge_implIS3_PhN6thrust23THRUST_200600_302600_NS10device_ptrIlEEjNS1_19radix_merge_compareILb0ELb1EhNS0_19identity_decomposerEEEEE10hipError_tT0_T1_T2_jT3_P12ihipStream_tbPNSt15iterator_traitsISG_E10value_typeEPNSM_ISH_E10value_typeEPSI_NS1_7vsmem_tEENKUlT_SG_SH_SI_E_clIS7_S7_PlSB_EESF_SV_SG_SH_SI_EUlSV_E1_NS1_11comp_targetILNS1_3genE5ELNS1_11target_archE942ELNS1_3gpuE9ELNS1_3repE0EEENS1_36merge_oddeven_config_static_selectorELNS0_4arch9wavefront6targetE1EEEvSH_,comdat
.Lfunc_end207:
	.size	_ZN7rocprim17ROCPRIM_400000_NS6detail17trampoline_kernelINS0_14default_configENS1_38merge_sort_block_merge_config_selectorIhlEEZZNS1_27merge_sort_block_merge_implIS3_PhN6thrust23THRUST_200600_302600_NS10device_ptrIlEEjNS1_19radix_merge_compareILb0ELb1EhNS0_19identity_decomposerEEEEE10hipError_tT0_T1_T2_jT3_P12ihipStream_tbPNSt15iterator_traitsISG_E10value_typeEPNSM_ISH_E10value_typeEPSI_NS1_7vsmem_tEENKUlT_SG_SH_SI_E_clIS7_S7_PlSB_EESF_SV_SG_SH_SI_EUlSV_E1_NS1_11comp_targetILNS1_3genE5ELNS1_11target_archE942ELNS1_3gpuE9ELNS1_3repE0EEENS1_36merge_oddeven_config_static_selectorELNS0_4arch9wavefront6targetE1EEEvSH_, .Lfunc_end207-_ZN7rocprim17ROCPRIM_400000_NS6detail17trampoline_kernelINS0_14default_configENS1_38merge_sort_block_merge_config_selectorIhlEEZZNS1_27merge_sort_block_merge_implIS3_PhN6thrust23THRUST_200600_302600_NS10device_ptrIlEEjNS1_19radix_merge_compareILb0ELb1EhNS0_19identity_decomposerEEEEE10hipError_tT0_T1_T2_jT3_P12ihipStream_tbPNSt15iterator_traitsISG_E10value_typeEPNSM_ISH_E10value_typeEPSI_NS1_7vsmem_tEENKUlT_SG_SH_SI_E_clIS7_S7_PlSB_EESF_SV_SG_SH_SI_EUlSV_E1_NS1_11comp_targetILNS1_3genE5ELNS1_11target_archE942ELNS1_3gpuE9ELNS1_3repE0EEENS1_36merge_oddeven_config_static_selectorELNS0_4arch9wavefront6targetE1EEEvSH_
                                        ; -- End function
	.set _ZN7rocprim17ROCPRIM_400000_NS6detail17trampoline_kernelINS0_14default_configENS1_38merge_sort_block_merge_config_selectorIhlEEZZNS1_27merge_sort_block_merge_implIS3_PhN6thrust23THRUST_200600_302600_NS10device_ptrIlEEjNS1_19radix_merge_compareILb0ELb1EhNS0_19identity_decomposerEEEEE10hipError_tT0_T1_T2_jT3_P12ihipStream_tbPNSt15iterator_traitsISG_E10value_typeEPNSM_ISH_E10value_typeEPSI_NS1_7vsmem_tEENKUlT_SG_SH_SI_E_clIS7_S7_PlSB_EESF_SV_SG_SH_SI_EUlSV_E1_NS1_11comp_targetILNS1_3genE5ELNS1_11target_archE942ELNS1_3gpuE9ELNS1_3repE0EEENS1_36merge_oddeven_config_static_selectorELNS0_4arch9wavefront6targetE1EEEvSH_.num_vgpr, 0
	.set _ZN7rocprim17ROCPRIM_400000_NS6detail17trampoline_kernelINS0_14default_configENS1_38merge_sort_block_merge_config_selectorIhlEEZZNS1_27merge_sort_block_merge_implIS3_PhN6thrust23THRUST_200600_302600_NS10device_ptrIlEEjNS1_19radix_merge_compareILb0ELb1EhNS0_19identity_decomposerEEEEE10hipError_tT0_T1_T2_jT3_P12ihipStream_tbPNSt15iterator_traitsISG_E10value_typeEPNSM_ISH_E10value_typeEPSI_NS1_7vsmem_tEENKUlT_SG_SH_SI_E_clIS7_S7_PlSB_EESF_SV_SG_SH_SI_EUlSV_E1_NS1_11comp_targetILNS1_3genE5ELNS1_11target_archE942ELNS1_3gpuE9ELNS1_3repE0EEENS1_36merge_oddeven_config_static_selectorELNS0_4arch9wavefront6targetE1EEEvSH_.num_agpr, 0
	.set _ZN7rocprim17ROCPRIM_400000_NS6detail17trampoline_kernelINS0_14default_configENS1_38merge_sort_block_merge_config_selectorIhlEEZZNS1_27merge_sort_block_merge_implIS3_PhN6thrust23THRUST_200600_302600_NS10device_ptrIlEEjNS1_19radix_merge_compareILb0ELb1EhNS0_19identity_decomposerEEEEE10hipError_tT0_T1_T2_jT3_P12ihipStream_tbPNSt15iterator_traitsISG_E10value_typeEPNSM_ISH_E10value_typeEPSI_NS1_7vsmem_tEENKUlT_SG_SH_SI_E_clIS7_S7_PlSB_EESF_SV_SG_SH_SI_EUlSV_E1_NS1_11comp_targetILNS1_3genE5ELNS1_11target_archE942ELNS1_3gpuE9ELNS1_3repE0EEENS1_36merge_oddeven_config_static_selectorELNS0_4arch9wavefront6targetE1EEEvSH_.numbered_sgpr, 0
	.set _ZN7rocprim17ROCPRIM_400000_NS6detail17trampoline_kernelINS0_14default_configENS1_38merge_sort_block_merge_config_selectorIhlEEZZNS1_27merge_sort_block_merge_implIS3_PhN6thrust23THRUST_200600_302600_NS10device_ptrIlEEjNS1_19radix_merge_compareILb0ELb1EhNS0_19identity_decomposerEEEEE10hipError_tT0_T1_T2_jT3_P12ihipStream_tbPNSt15iterator_traitsISG_E10value_typeEPNSM_ISH_E10value_typeEPSI_NS1_7vsmem_tEENKUlT_SG_SH_SI_E_clIS7_S7_PlSB_EESF_SV_SG_SH_SI_EUlSV_E1_NS1_11comp_targetILNS1_3genE5ELNS1_11target_archE942ELNS1_3gpuE9ELNS1_3repE0EEENS1_36merge_oddeven_config_static_selectorELNS0_4arch9wavefront6targetE1EEEvSH_.num_named_barrier, 0
	.set _ZN7rocprim17ROCPRIM_400000_NS6detail17trampoline_kernelINS0_14default_configENS1_38merge_sort_block_merge_config_selectorIhlEEZZNS1_27merge_sort_block_merge_implIS3_PhN6thrust23THRUST_200600_302600_NS10device_ptrIlEEjNS1_19radix_merge_compareILb0ELb1EhNS0_19identity_decomposerEEEEE10hipError_tT0_T1_T2_jT3_P12ihipStream_tbPNSt15iterator_traitsISG_E10value_typeEPNSM_ISH_E10value_typeEPSI_NS1_7vsmem_tEENKUlT_SG_SH_SI_E_clIS7_S7_PlSB_EESF_SV_SG_SH_SI_EUlSV_E1_NS1_11comp_targetILNS1_3genE5ELNS1_11target_archE942ELNS1_3gpuE9ELNS1_3repE0EEENS1_36merge_oddeven_config_static_selectorELNS0_4arch9wavefront6targetE1EEEvSH_.private_seg_size, 0
	.set _ZN7rocprim17ROCPRIM_400000_NS6detail17trampoline_kernelINS0_14default_configENS1_38merge_sort_block_merge_config_selectorIhlEEZZNS1_27merge_sort_block_merge_implIS3_PhN6thrust23THRUST_200600_302600_NS10device_ptrIlEEjNS1_19radix_merge_compareILb0ELb1EhNS0_19identity_decomposerEEEEE10hipError_tT0_T1_T2_jT3_P12ihipStream_tbPNSt15iterator_traitsISG_E10value_typeEPNSM_ISH_E10value_typeEPSI_NS1_7vsmem_tEENKUlT_SG_SH_SI_E_clIS7_S7_PlSB_EESF_SV_SG_SH_SI_EUlSV_E1_NS1_11comp_targetILNS1_3genE5ELNS1_11target_archE942ELNS1_3gpuE9ELNS1_3repE0EEENS1_36merge_oddeven_config_static_selectorELNS0_4arch9wavefront6targetE1EEEvSH_.uses_vcc, 0
	.set _ZN7rocprim17ROCPRIM_400000_NS6detail17trampoline_kernelINS0_14default_configENS1_38merge_sort_block_merge_config_selectorIhlEEZZNS1_27merge_sort_block_merge_implIS3_PhN6thrust23THRUST_200600_302600_NS10device_ptrIlEEjNS1_19radix_merge_compareILb0ELb1EhNS0_19identity_decomposerEEEEE10hipError_tT0_T1_T2_jT3_P12ihipStream_tbPNSt15iterator_traitsISG_E10value_typeEPNSM_ISH_E10value_typeEPSI_NS1_7vsmem_tEENKUlT_SG_SH_SI_E_clIS7_S7_PlSB_EESF_SV_SG_SH_SI_EUlSV_E1_NS1_11comp_targetILNS1_3genE5ELNS1_11target_archE942ELNS1_3gpuE9ELNS1_3repE0EEENS1_36merge_oddeven_config_static_selectorELNS0_4arch9wavefront6targetE1EEEvSH_.uses_flat_scratch, 0
	.set _ZN7rocprim17ROCPRIM_400000_NS6detail17trampoline_kernelINS0_14default_configENS1_38merge_sort_block_merge_config_selectorIhlEEZZNS1_27merge_sort_block_merge_implIS3_PhN6thrust23THRUST_200600_302600_NS10device_ptrIlEEjNS1_19radix_merge_compareILb0ELb1EhNS0_19identity_decomposerEEEEE10hipError_tT0_T1_T2_jT3_P12ihipStream_tbPNSt15iterator_traitsISG_E10value_typeEPNSM_ISH_E10value_typeEPSI_NS1_7vsmem_tEENKUlT_SG_SH_SI_E_clIS7_S7_PlSB_EESF_SV_SG_SH_SI_EUlSV_E1_NS1_11comp_targetILNS1_3genE5ELNS1_11target_archE942ELNS1_3gpuE9ELNS1_3repE0EEENS1_36merge_oddeven_config_static_selectorELNS0_4arch9wavefront6targetE1EEEvSH_.has_dyn_sized_stack, 0
	.set _ZN7rocprim17ROCPRIM_400000_NS6detail17trampoline_kernelINS0_14default_configENS1_38merge_sort_block_merge_config_selectorIhlEEZZNS1_27merge_sort_block_merge_implIS3_PhN6thrust23THRUST_200600_302600_NS10device_ptrIlEEjNS1_19radix_merge_compareILb0ELb1EhNS0_19identity_decomposerEEEEE10hipError_tT0_T1_T2_jT3_P12ihipStream_tbPNSt15iterator_traitsISG_E10value_typeEPNSM_ISH_E10value_typeEPSI_NS1_7vsmem_tEENKUlT_SG_SH_SI_E_clIS7_S7_PlSB_EESF_SV_SG_SH_SI_EUlSV_E1_NS1_11comp_targetILNS1_3genE5ELNS1_11target_archE942ELNS1_3gpuE9ELNS1_3repE0EEENS1_36merge_oddeven_config_static_selectorELNS0_4arch9wavefront6targetE1EEEvSH_.has_recursion, 0
	.set _ZN7rocprim17ROCPRIM_400000_NS6detail17trampoline_kernelINS0_14default_configENS1_38merge_sort_block_merge_config_selectorIhlEEZZNS1_27merge_sort_block_merge_implIS3_PhN6thrust23THRUST_200600_302600_NS10device_ptrIlEEjNS1_19radix_merge_compareILb0ELb1EhNS0_19identity_decomposerEEEEE10hipError_tT0_T1_T2_jT3_P12ihipStream_tbPNSt15iterator_traitsISG_E10value_typeEPNSM_ISH_E10value_typeEPSI_NS1_7vsmem_tEENKUlT_SG_SH_SI_E_clIS7_S7_PlSB_EESF_SV_SG_SH_SI_EUlSV_E1_NS1_11comp_targetILNS1_3genE5ELNS1_11target_archE942ELNS1_3gpuE9ELNS1_3repE0EEENS1_36merge_oddeven_config_static_selectorELNS0_4arch9wavefront6targetE1EEEvSH_.has_indirect_call, 0
	.section	.AMDGPU.csdata,"",@progbits
; Kernel info:
; codeLenInByte = 0
; TotalNumSgprs: 4
; NumVgprs: 0
; ScratchSize: 0
; MemoryBound: 0
; FloatMode: 240
; IeeeMode: 1
; LDSByteSize: 0 bytes/workgroup (compile time only)
; SGPRBlocks: 0
; VGPRBlocks: 0
; NumSGPRsForWavesPerEU: 4
; NumVGPRsForWavesPerEU: 1
; Occupancy: 10
; WaveLimiterHint : 0
; COMPUTE_PGM_RSRC2:SCRATCH_EN: 0
; COMPUTE_PGM_RSRC2:USER_SGPR: 6
; COMPUTE_PGM_RSRC2:TRAP_HANDLER: 0
; COMPUTE_PGM_RSRC2:TGID_X_EN: 1
; COMPUTE_PGM_RSRC2:TGID_Y_EN: 0
; COMPUTE_PGM_RSRC2:TGID_Z_EN: 0
; COMPUTE_PGM_RSRC2:TIDIG_COMP_CNT: 0
	.section	.text._ZN7rocprim17ROCPRIM_400000_NS6detail17trampoline_kernelINS0_14default_configENS1_38merge_sort_block_merge_config_selectorIhlEEZZNS1_27merge_sort_block_merge_implIS3_PhN6thrust23THRUST_200600_302600_NS10device_ptrIlEEjNS1_19radix_merge_compareILb0ELb1EhNS0_19identity_decomposerEEEEE10hipError_tT0_T1_T2_jT3_P12ihipStream_tbPNSt15iterator_traitsISG_E10value_typeEPNSM_ISH_E10value_typeEPSI_NS1_7vsmem_tEENKUlT_SG_SH_SI_E_clIS7_S7_PlSB_EESF_SV_SG_SH_SI_EUlSV_E1_NS1_11comp_targetILNS1_3genE4ELNS1_11target_archE910ELNS1_3gpuE8ELNS1_3repE0EEENS1_36merge_oddeven_config_static_selectorELNS0_4arch9wavefront6targetE1EEEvSH_,"axG",@progbits,_ZN7rocprim17ROCPRIM_400000_NS6detail17trampoline_kernelINS0_14default_configENS1_38merge_sort_block_merge_config_selectorIhlEEZZNS1_27merge_sort_block_merge_implIS3_PhN6thrust23THRUST_200600_302600_NS10device_ptrIlEEjNS1_19radix_merge_compareILb0ELb1EhNS0_19identity_decomposerEEEEE10hipError_tT0_T1_T2_jT3_P12ihipStream_tbPNSt15iterator_traitsISG_E10value_typeEPNSM_ISH_E10value_typeEPSI_NS1_7vsmem_tEENKUlT_SG_SH_SI_E_clIS7_S7_PlSB_EESF_SV_SG_SH_SI_EUlSV_E1_NS1_11comp_targetILNS1_3genE4ELNS1_11target_archE910ELNS1_3gpuE8ELNS1_3repE0EEENS1_36merge_oddeven_config_static_selectorELNS0_4arch9wavefront6targetE1EEEvSH_,comdat
	.protected	_ZN7rocprim17ROCPRIM_400000_NS6detail17trampoline_kernelINS0_14default_configENS1_38merge_sort_block_merge_config_selectorIhlEEZZNS1_27merge_sort_block_merge_implIS3_PhN6thrust23THRUST_200600_302600_NS10device_ptrIlEEjNS1_19radix_merge_compareILb0ELb1EhNS0_19identity_decomposerEEEEE10hipError_tT0_T1_T2_jT3_P12ihipStream_tbPNSt15iterator_traitsISG_E10value_typeEPNSM_ISH_E10value_typeEPSI_NS1_7vsmem_tEENKUlT_SG_SH_SI_E_clIS7_S7_PlSB_EESF_SV_SG_SH_SI_EUlSV_E1_NS1_11comp_targetILNS1_3genE4ELNS1_11target_archE910ELNS1_3gpuE8ELNS1_3repE0EEENS1_36merge_oddeven_config_static_selectorELNS0_4arch9wavefront6targetE1EEEvSH_ ; -- Begin function _ZN7rocprim17ROCPRIM_400000_NS6detail17trampoline_kernelINS0_14default_configENS1_38merge_sort_block_merge_config_selectorIhlEEZZNS1_27merge_sort_block_merge_implIS3_PhN6thrust23THRUST_200600_302600_NS10device_ptrIlEEjNS1_19radix_merge_compareILb0ELb1EhNS0_19identity_decomposerEEEEE10hipError_tT0_T1_T2_jT3_P12ihipStream_tbPNSt15iterator_traitsISG_E10value_typeEPNSM_ISH_E10value_typeEPSI_NS1_7vsmem_tEENKUlT_SG_SH_SI_E_clIS7_S7_PlSB_EESF_SV_SG_SH_SI_EUlSV_E1_NS1_11comp_targetILNS1_3genE4ELNS1_11target_archE910ELNS1_3gpuE8ELNS1_3repE0EEENS1_36merge_oddeven_config_static_selectorELNS0_4arch9wavefront6targetE1EEEvSH_
	.globl	_ZN7rocprim17ROCPRIM_400000_NS6detail17trampoline_kernelINS0_14default_configENS1_38merge_sort_block_merge_config_selectorIhlEEZZNS1_27merge_sort_block_merge_implIS3_PhN6thrust23THRUST_200600_302600_NS10device_ptrIlEEjNS1_19radix_merge_compareILb0ELb1EhNS0_19identity_decomposerEEEEE10hipError_tT0_T1_T2_jT3_P12ihipStream_tbPNSt15iterator_traitsISG_E10value_typeEPNSM_ISH_E10value_typeEPSI_NS1_7vsmem_tEENKUlT_SG_SH_SI_E_clIS7_S7_PlSB_EESF_SV_SG_SH_SI_EUlSV_E1_NS1_11comp_targetILNS1_3genE4ELNS1_11target_archE910ELNS1_3gpuE8ELNS1_3repE0EEENS1_36merge_oddeven_config_static_selectorELNS0_4arch9wavefront6targetE1EEEvSH_
	.p2align	8
	.type	_ZN7rocprim17ROCPRIM_400000_NS6detail17trampoline_kernelINS0_14default_configENS1_38merge_sort_block_merge_config_selectorIhlEEZZNS1_27merge_sort_block_merge_implIS3_PhN6thrust23THRUST_200600_302600_NS10device_ptrIlEEjNS1_19radix_merge_compareILb0ELb1EhNS0_19identity_decomposerEEEEE10hipError_tT0_T1_T2_jT3_P12ihipStream_tbPNSt15iterator_traitsISG_E10value_typeEPNSM_ISH_E10value_typeEPSI_NS1_7vsmem_tEENKUlT_SG_SH_SI_E_clIS7_S7_PlSB_EESF_SV_SG_SH_SI_EUlSV_E1_NS1_11comp_targetILNS1_3genE4ELNS1_11target_archE910ELNS1_3gpuE8ELNS1_3repE0EEENS1_36merge_oddeven_config_static_selectorELNS0_4arch9wavefront6targetE1EEEvSH_,@function
_ZN7rocprim17ROCPRIM_400000_NS6detail17trampoline_kernelINS0_14default_configENS1_38merge_sort_block_merge_config_selectorIhlEEZZNS1_27merge_sort_block_merge_implIS3_PhN6thrust23THRUST_200600_302600_NS10device_ptrIlEEjNS1_19radix_merge_compareILb0ELb1EhNS0_19identity_decomposerEEEEE10hipError_tT0_T1_T2_jT3_P12ihipStream_tbPNSt15iterator_traitsISG_E10value_typeEPNSM_ISH_E10value_typeEPSI_NS1_7vsmem_tEENKUlT_SG_SH_SI_E_clIS7_S7_PlSB_EESF_SV_SG_SH_SI_EUlSV_E1_NS1_11comp_targetILNS1_3genE4ELNS1_11target_archE910ELNS1_3gpuE8ELNS1_3repE0EEENS1_36merge_oddeven_config_static_selectorELNS0_4arch9wavefront6targetE1EEEvSH_: ; @_ZN7rocprim17ROCPRIM_400000_NS6detail17trampoline_kernelINS0_14default_configENS1_38merge_sort_block_merge_config_selectorIhlEEZZNS1_27merge_sort_block_merge_implIS3_PhN6thrust23THRUST_200600_302600_NS10device_ptrIlEEjNS1_19radix_merge_compareILb0ELb1EhNS0_19identity_decomposerEEEEE10hipError_tT0_T1_T2_jT3_P12ihipStream_tbPNSt15iterator_traitsISG_E10value_typeEPNSM_ISH_E10value_typeEPSI_NS1_7vsmem_tEENKUlT_SG_SH_SI_E_clIS7_S7_PlSB_EESF_SV_SG_SH_SI_EUlSV_E1_NS1_11comp_targetILNS1_3genE4ELNS1_11target_archE910ELNS1_3gpuE8ELNS1_3repE0EEENS1_36merge_oddeven_config_static_selectorELNS0_4arch9wavefront6targetE1EEEvSH_
; %bb.0:
	.section	.rodata,"a",@progbits
	.p2align	6, 0x0
	.amdhsa_kernel _ZN7rocprim17ROCPRIM_400000_NS6detail17trampoline_kernelINS0_14default_configENS1_38merge_sort_block_merge_config_selectorIhlEEZZNS1_27merge_sort_block_merge_implIS3_PhN6thrust23THRUST_200600_302600_NS10device_ptrIlEEjNS1_19radix_merge_compareILb0ELb1EhNS0_19identity_decomposerEEEEE10hipError_tT0_T1_T2_jT3_P12ihipStream_tbPNSt15iterator_traitsISG_E10value_typeEPNSM_ISH_E10value_typeEPSI_NS1_7vsmem_tEENKUlT_SG_SH_SI_E_clIS7_S7_PlSB_EESF_SV_SG_SH_SI_EUlSV_E1_NS1_11comp_targetILNS1_3genE4ELNS1_11target_archE910ELNS1_3gpuE8ELNS1_3repE0EEENS1_36merge_oddeven_config_static_selectorELNS0_4arch9wavefront6targetE1EEEvSH_
		.amdhsa_group_segment_fixed_size 0
		.amdhsa_private_segment_fixed_size 0
		.amdhsa_kernarg_size 48
		.amdhsa_user_sgpr_count 6
		.amdhsa_user_sgpr_private_segment_buffer 1
		.amdhsa_user_sgpr_dispatch_ptr 0
		.amdhsa_user_sgpr_queue_ptr 0
		.amdhsa_user_sgpr_kernarg_segment_ptr 1
		.amdhsa_user_sgpr_dispatch_id 0
		.amdhsa_user_sgpr_flat_scratch_init 0
		.amdhsa_user_sgpr_private_segment_size 0
		.amdhsa_uses_dynamic_stack 0
		.amdhsa_system_sgpr_private_segment_wavefront_offset 0
		.amdhsa_system_sgpr_workgroup_id_x 1
		.amdhsa_system_sgpr_workgroup_id_y 0
		.amdhsa_system_sgpr_workgroup_id_z 0
		.amdhsa_system_sgpr_workgroup_info 0
		.amdhsa_system_vgpr_workitem_id 0
		.amdhsa_next_free_vgpr 1
		.amdhsa_next_free_sgpr 0
		.amdhsa_reserve_vcc 0
		.amdhsa_reserve_flat_scratch 0
		.amdhsa_float_round_mode_32 0
		.amdhsa_float_round_mode_16_64 0
		.amdhsa_float_denorm_mode_32 3
		.amdhsa_float_denorm_mode_16_64 3
		.amdhsa_dx10_clamp 1
		.amdhsa_ieee_mode 1
		.amdhsa_fp16_overflow 0
		.amdhsa_exception_fp_ieee_invalid_op 0
		.amdhsa_exception_fp_denorm_src 0
		.amdhsa_exception_fp_ieee_div_zero 0
		.amdhsa_exception_fp_ieee_overflow 0
		.amdhsa_exception_fp_ieee_underflow 0
		.amdhsa_exception_fp_ieee_inexact 0
		.amdhsa_exception_int_div_zero 0
	.end_amdhsa_kernel
	.section	.text._ZN7rocprim17ROCPRIM_400000_NS6detail17trampoline_kernelINS0_14default_configENS1_38merge_sort_block_merge_config_selectorIhlEEZZNS1_27merge_sort_block_merge_implIS3_PhN6thrust23THRUST_200600_302600_NS10device_ptrIlEEjNS1_19radix_merge_compareILb0ELb1EhNS0_19identity_decomposerEEEEE10hipError_tT0_T1_T2_jT3_P12ihipStream_tbPNSt15iterator_traitsISG_E10value_typeEPNSM_ISH_E10value_typeEPSI_NS1_7vsmem_tEENKUlT_SG_SH_SI_E_clIS7_S7_PlSB_EESF_SV_SG_SH_SI_EUlSV_E1_NS1_11comp_targetILNS1_3genE4ELNS1_11target_archE910ELNS1_3gpuE8ELNS1_3repE0EEENS1_36merge_oddeven_config_static_selectorELNS0_4arch9wavefront6targetE1EEEvSH_,"axG",@progbits,_ZN7rocprim17ROCPRIM_400000_NS6detail17trampoline_kernelINS0_14default_configENS1_38merge_sort_block_merge_config_selectorIhlEEZZNS1_27merge_sort_block_merge_implIS3_PhN6thrust23THRUST_200600_302600_NS10device_ptrIlEEjNS1_19radix_merge_compareILb0ELb1EhNS0_19identity_decomposerEEEEE10hipError_tT0_T1_T2_jT3_P12ihipStream_tbPNSt15iterator_traitsISG_E10value_typeEPNSM_ISH_E10value_typeEPSI_NS1_7vsmem_tEENKUlT_SG_SH_SI_E_clIS7_S7_PlSB_EESF_SV_SG_SH_SI_EUlSV_E1_NS1_11comp_targetILNS1_3genE4ELNS1_11target_archE910ELNS1_3gpuE8ELNS1_3repE0EEENS1_36merge_oddeven_config_static_selectorELNS0_4arch9wavefront6targetE1EEEvSH_,comdat
.Lfunc_end208:
	.size	_ZN7rocprim17ROCPRIM_400000_NS6detail17trampoline_kernelINS0_14default_configENS1_38merge_sort_block_merge_config_selectorIhlEEZZNS1_27merge_sort_block_merge_implIS3_PhN6thrust23THRUST_200600_302600_NS10device_ptrIlEEjNS1_19radix_merge_compareILb0ELb1EhNS0_19identity_decomposerEEEEE10hipError_tT0_T1_T2_jT3_P12ihipStream_tbPNSt15iterator_traitsISG_E10value_typeEPNSM_ISH_E10value_typeEPSI_NS1_7vsmem_tEENKUlT_SG_SH_SI_E_clIS7_S7_PlSB_EESF_SV_SG_SH_SI_EUlSV_E1_NS1_11comp_targetILNS1_3genE4ELNS1_11target_archE910ELNS1_3gpuE8ELNS1_3repE0EEENS1_36merge_oddeven_config_static_selectorELNS0_4arch9wavefront6targetE1EEEvSH_, .Lfunc_end208-_ZN7rocprim17ROCPRIM_400000_NS6detail17trampoline_kernelINS0_14default_configENS1_38merge_sort_block_merge_config_selectorIhlEEZZNS1_27merge_sort_block_merge_implIS3_PhN6thrust23THRUST_200600_302600_NS10device_ptrIlEEjNS1_19radix_merge_compareILb0ELb1EhNS0_19identity_decomposerEEEEE10hipError_tT0_T1_T2_jT3_P12ihipStream_tbPNSt15iterator_traitsISG_E10value_typeEPNSM_ISH_E10value_typeEPSI_NS1_7vsmem_tEENKUlT_SG_SH_SI_E_clIS7_S7_PlSB_EESF_SV_SG_SH_SI_EUlSV_E1_NS1_11comp_targetILNS1_3genE4ELNS1_11target_archE910ELNS1_3gpuE8ELNS1_3repE0EEENS1_36merge_oddeven_config_static_selectorELNS0_4arch9wavefront6targetE1EEEvSH_
                                        ; -- End function
	.set _ZN7rocprim17ROCPRIM_400000_NS6detail17trampoline_kernelINS0_14default_configENS1_38merge_sort_block_merge_config_selectorIhlEEZZNS1_27merge_sort_block_merge_implIS3_PhN6thrust23THRUST_200600_302600_NS10device_ptrIlEEjNS1_19radix_merge_compareILb0ELb1EhNS0_19identity_decomposerEEEEE10hipError_tT0_T1_T2_jT3_P12ihipStream_tbPNSt15iterator_traitsISG_E10value_typeEPNSM_ISH_E10value_typeEPSI_NS1_7vsmem_tEENKUlT_SG_SH_SI_E_clIS7_S7_PlSB_EESF_SV_SG_SH_SI_EUlSV_E1_NS1_11comp_targetILNS1_3genE4ELNS1_11target_archE910ELNS1_3gpuE8ELNS1_3repE0EEENS1_36merge_oddeven_config_static_selectorELNS0_4arch9wavefront6targetE1EEEvSH_.num_vgpr, 0
	.set _ZN7rocprim17ROCPRIM_400000_NS6detail17trampoline_kernelINS0_14default_configENS1_38merge_sort_block_merge_config_selectorIhlEEZZNS1_27merge_sort_block_merge_implIS3_PhN6thrust23THRUST_200600_302600_NS10device_ptrIlEEjNS1_19radix_merge_compareILb0ELb1EhNS0_19identity_decomposerEEEEE10hipError_tT0_T1_T2_jT3_P12ihipStream_tbPNSt15iterator_traitsISG_E10value_typeEPNSM_ISH_E10value_typeEPSI_NS1_7vsmem_tEENKUlT_SG_SH_SI_E_clIS7_S7_PlSB_EESF_SV_SG_SH_SI_EUlSV_E1_NS1_11comp_targetILNS1_3genE4ELNS1_11target_archE910ELNS1_3gpuE8ELNS1_3repE0EEENS1_36merge_oddeven_config_static_selectorELNS0_4arch9wavefront6targetE1EEEvSH_.num_agpr, 0
	.set _ZN7rocprim17ROCPRIM_400000_NS6detail17trampoline_kernelINS0_14default_configENS1_38merge_sort_block_merge_config_selectorIhlEEZZNS1_27merge_sort_block_merge_implIS3_PhN6thrust23THRUST_200600_302600_NS10device_ptrIlEEjNS1_19radix_merge_compareILb0ELb1EhNS0_19identity_decomposerEEEEE10hipError_tT0_T1_T2_jT3_P12ihipStream_tbPNSt15iterator_traitsISG_E10value_typeEPNSM_ISH_E10value_typeEPSI_NS1_7vsmem_tEENKUlT_SG_SH_SI_E_clIS7_S7_PlSB_EESF_SV_SG_SH_SI_EUlSV_E1_NS1_11comp_targetILNS1_3genE4ELNS1_11target_archE910ELNS1_3gpuE8ELNS1_3repE0EEENS1_36merge_oddeven_config_static_selectorELNS0_4arch9wavefront6targetE1EEEvSH_.numbered_sgpr, 0
	.set _ZN7rocprim17ROCPRIM_400000_NS6detail17trampoline_kernelINS0_14default_configENS1_38merge_sort_block_merge_config_selectorIhlEEZZNS1_27merge_sort_block_merge_implIS3_PhN6thrust23THRUST_200600_302600_NS10device_ptrIlEEjNS1_19radix_merge_compareILb0ELb1EhNS0_19identity_decomposerEEEEE10hipError_tT0_T1_T2_jT3_P12ihipStream_tbPNSt15iterator_traitsISG_E10value_typeEPNSM_ISH_E10value_typeEPSI_NS1_7vsmem_tEENKUlT_SG_SH_SI_E_clIS7_S7_PlSB_EESF_SV_SG_SH_SI_EUlSV_E1_NS1_11comp_targetILNS1_3genE4ELNS1_11target_archE910ELNS1_3gpuE8ELNS1_3repE0EEENS1_36merge_oddeven_config_static_selectorELNS0_4arch9wavefront6targetE1EEEvSH_.num_named_barrier, 0
	.set _ZN7rocprim17ROCPRIM_400000_NS6detail17trampoline_kernelINS0_14default_configENS1_38merge_sort_block_merge_config_selectorIhlEEZZNS1_27merge_sort_block_merge_implIS3_PhN6thrust23THRUST_200600_302600_NS10device_ptrIlEEjNS1_19radix_merge_compareILb0ELb1EhNS0_19identity_decomposerEEEEE10hipError_tT0_T1_T2_jT3_P12ihipStream_tbPNSt15iterator_traitsISG_E10value_typeEPNSM_ISH_E10value_typeEPSI_NS1_7vsmem_tEENKUlT_SG_SH_SI_E_clIS7_S7_PlSB_EESF_SV_SG_SH_SI_EUlSV_E1_NS1_11comp_targetILNS1_3genE4ELNS1_11target_archE910ELNS1_3gpuE8ELNS1_3repE0EEENS1_36merge_oddeven_config_static_selectorELNS0_4arch9wavefront6targetE1EEEvSH_.private_seg_size, 0
	.set _ZN7rocprim17ROCPRIM_400000_NS6detail17trampoline_kernelINS0_14default_configENS1_38merge_sort_block_merge_config_selectorIhlEEZZNS1_27merge_sort_block_merge_implIS3_PhN6thrust23THRUST_200600_302600_NS10device_ptrIlEEjNS1_19radix_merge_compareILb0ELb1EhNS0_19identity_decomposerEEEEE10hipError_tT0_T1_T2_jT3_P12ihipStream_tbPNSt15iterator_traitsISG_E10value_typeEPNSM_ISH_E10value_typeEPSI_NS1_7vsmem_tEENKUlT_SG_SH_SI_E_clIS7_S7_PlSB_EESF_SV_SG_SH_SI_EUlSV_E1_NS1_11comp_targetILNS1_3genE4ELNS1_11target_archE910ELNS1_3gpuE8ELNS1_3repE0EEENS1_36merge_oddeven_config_static_selectorELNS0_4arch9wavefront6targetE1EEEvSH_.uses_vcc, 0
	.set _ZN7rocprim17ROCPRIM_400000_NS6detail17trampoline_kernelINS0_14default_configENS1_38merge_sort_block_merge_config_selectorIhlEEZZNS1_27merge_sort_block_merge_implIS3_PhN6thrust23THRUST_200600_302600_NS10device_ptrIlEEjNS1_19radix_merge_compareILb0ELb1EhNS0_19identity_decomposerEEEEE10hipError_tT0_T1_T2_jT3_P12ihipStream_tbPNSt15iterator_traitsISG_E10value_typeEPNSM_ISH_E10value_typeEPSI_NS1_7vsmem_tEENKUlT_SG_SH_SI_E_clIS7_S7_PlSB_EESF_SV_SG_SH_SI_EUlSV_E1_NS1_11comp_targetILNS1_3genE4ELNS1_11target_archE910ELNS1_3gpuE8ELNS1_3repE0EEENS1_36merge_oddeven_config_static_selectorELNS0_4arch9wavefront6targetE1EEEvSH_.uses_flat_scratch, 0
	.set _ZN7rocprim17ROCPRIM_400000_NS6detail17trampoline_kernelINS0_14default_configENS1_38merge_sort_block_merge_config_selectorIhlEEZZNS1_27merge_sort_block_merge_implIS3_PhN6thrust23THRUST_200600_302600_NS10device_ptrIlEEjNS1_19radix_merge_compareILb0ELb1EhNS0_19identity_decomposerEEEEE10hipError_tT0_T1_T2_jT3_P12ihipStream_tbPNSt15iterator_traitsISG_E10value_typeEPNSM_ISH_E10value_typeEPSI_NS1_7vsmem_tEENKUlT_SG_SH_SI_E_clIS7_S7_PlSB_EESF_SV_SG_SH_SI_EUlSV_E1_NS1_11comp_targetILNS1_3genE4ELNS1_11target_archE910ELNS1_3gpuE8ELNS1_3repE0EEENS1_36merge_oddeven_config_static_selectorELNS0_4arch9wavefront6targetE1EEEvSH_.has_dyn_sized_stack, 0
	.set _ZN7rocprim17ROCPRIM_400000_NS6detail17trampoline_kernelINS0_14default_configENS1_38merge_sort_block_merge_config_selectorIhlEEZZNS1_27merge_sort_block_merge_implIS3_PhN6thrust23THRUST_200600_302600_NS10device_ptrIlEEjNS1_19radix_merge_compareILb0ELb1EhNS0_19identity_decomposerEEEEE10hipError_tT0_T1_T2_jT3_P12ihipStream_tbPNSt15iterator_traitsISG_E10value_typeEPNSM_ISH_E10value_typeEPSI_NS1_7vsmem_tEENKUlT_SG_SH_SI_E_clIS7_S7_PlSB_EESF_SV_SG_SH_SI_EUlSV_E1_NS1_11comp_targetILNS1_3genE4ELNS1_11target_archE910ELNS1_3gpuE8ELNS1_3repE0EEENS1_36merge_oddeven_config_static_selectorELNS0_4arch9wavefront6targetE1EEEvSH_.has_recursion, 0
	.set _ZN7rocprim17ROCPRIM_400000_NS6detail17trampoline_kernelINS0_14default_configENS1_38merge_sort_block_merge_config_selectorIhlEEZZNS1_27merge_sort_block_merge_implIS3_PhN6thrust23THRUST_200600_302600_NS10device_ptrIlEEjNS1_19radix_merge_compareILb0ELb1EhNS0_19identity_decomposerEEEEE10hipError_tT0_T1_T2_jT3_P12ihipStream_tbPNSt15iterator_traitsISG_E10value_typeEPNSM_ISH_E10value_typeEPSI_NS1_7vsmem_tEENKUlT_SG_SH_SI_E_clIS7_S7_PlSB_EESF_SV_SG_SH_SI_EUlSV_E1_NS1_11comp_targetILNS1_3genE4ELNS1_11target_archE910ELNS1_3gpuE8ELNS1_3repE0EEENS1_36merge_oddeven_config_static_selectorELNS0_4arch9wavefront6targetE1EEEvSH_.has_indirect_call, 0
	.section	.AMDGPU.csdata,"",@progbits
; Kernel info:
; codeLenInByte = 0
; TotalNumSgprs: 4
; NumVgprs: 0
; ScratchSize: 0
; MemoryBound: 0
; FloatMode: 240
; IeeeMode: 1
; LDSByteSize: 0 bytes/workgroup (compile time only)
; SGPRBlocks: 0
; VGPRBlocks: 0
; NumSGPRsForWavesPerEU: 4
; NumVGPRsForWavesPerEU: 1
; Occupancy: 10
; WaveLimiterHint : 0
; COMPUTE_PGM_RSRC2:SCRATCH_EN: 0
; COMPUTE_PGM_RSRC2:USER_SGPR: 6
; COMPUTE_PGM_RSRC2:TRAP_HANDLER: 0
; COMPUTE_PGM_RSRC2:TGID_X_EN: 1
; COMPUTE_PGM_RSRC2:TGID_Y_EN: 0
; COMPUTE_PGM_RSRC2:TGID_Z_EN: 0
; COMPUTE_PGM_RSRC2:TIDIG_COMP_CNT: 0
	.section	.text._ZN7rocprim17ROCPRIM_400000_NS6detail17trampoline_kernelINS0_14default_configENS1_38merge_sort_block_merge_config_selectorIhlEEZZNS1_27merge_sort_block_merge_implIS3_PhN6thrust23THRUST_200600_302600_NS10device_ptrIlEEjNS1_19radix_merge_compareILb0ELb1EhNS0_19identity_decomposerEEEEE10hipError_tT0_T1_T2_jT3_P12ihipStream_tbPNSt15iterator_traitsISG_E10value_typeEPNSM_ISH_E10value_typeEPSI_NS1_7vsmem_tEENKUlT_SG_SH_SI_E_clIS7_S7_PlSB_EESF_SV_SG_SH_SI_EUlSV_E1_NS1_11comp_targetILNS1_3genE3ELNS1_11target_archE908ELNS1_3gpuE7ELNS1_3repE0EEENS1_36merge_oddeven_config_static_selectorELNS0_4arch9wavefront6targetE1EEEvSH_,"axG",@progbits,_ZN7rocprim17ROCPRIM_400000_NS6detail17trampoline_kernelINS0_14default_configENS1_38merge_sort_block_merge_config_selectorIhlEEZZNS1_27merge_sort_block_merge_implIS3_PhN6thrust23THRUST_200600_302600_NS10device_ptrIlEEjNS1_19radix_merge_compareILb0ELb1EhNS0_19identity_decomposerEEEEE10hipError_tT0_T1_T2_jT3_P12ihipStream_tbPNSt15iterator_traitsISG_E10value_typeEPNSM_ISH_E10value_typeEPSI_NS1_7vsmem_tEENKUlT_SG_SH_SI_E_clIS7_S7_PlSB_EESF_SV_SG_SH_SI_EUlSV_E1_NS1_11comp_targetILNS1_3genE3ELNS1_11target_archE908ELNS1_3gpuE7ELNS1_3repE0EEENS1_36merge_oddeven_config_static_selectorELNS0_4arch9wavefront6targetE1EEEvSH_,comdat
	.protected	_ZN7rocprim17ROCPRIM_400000_NS6detail17trampoline_kernelINS0_14default_configENS1_38merge_sort_block_merge_config_selectorIhlEEZZNS1_27merge_sort_block_merge_implIS3_PhN6thrust23THRUST_200600_302600_NS10device_ptrIlEEjNS1_19radix_merge_compareILb0ELb1EhNS0_19identity_decomposerEEEEE10hipError_tT0_T1_T2_jT3_P12ihipStream_tbPNSt15iterator_traitsISG_E10value_typeEPNSM_ISH_E10value_typeEPSI_NS1_7vsmem_tEENKUlT_SG_SH_SI_E_clIS7_S7_PlSB_EESF_SV_SG_SH_SI_EUlSV_E1_NS1_11comp_targetILNS1_3genE3ELNS1_11target_archE908ELNS1_3gpuE7ELNS1_3repE0EEENS1_36merge_oddeven_config_static_selectorELNS0_4arch9wavefront6targetE1EEEvSH_ ; -- Begin function _ZN7rocprim17ROCPRIM_400000_NS6detail17trampoline_kernelINS0_14default_configENS1_38merge_sort_block_merge_config_selectorIhlEEZZNS1_27merge_sort_block_merge_implIS3_PhN6thrust23THRUST_200600_302600_NS10device_ptrIlEEjNS1_19radix_merge_compareILb0ELb1EhNS0_19identity_decomposerEEEEE10hipError_tT0_T1_T2_jT3_P12ihipStream_tbPNSt15iterator_traitsISG_E10value_typeEPNSM_ISH_E10value_typeEPSI_NS1_7vsmem_tEENKUlT_SG_SH_SI_E_clIS7_S7_PlSB_EESF_SV_SG_SH_SI_EUlSV_E1_NS1_11comp_targetILNS1_3genE3ELNS1_11target_archE908ELNS1_3gpuE7ELNS1_3repE0EEENS1_36merge_oddeven_config_static_selectorELNS0_4arch9wavefront6targetE1EEEvSH_
	.globl	_ZN7rocprim17ROCPRIM_400000_NS6detail17trampoline_kernelINS0_14default_configENS1_38merge_sort_block_merge_config_selectorIhlEEZZNS1_27merge_sort_block_merge_implIS3_PhN6thrust23THRUST_200600_302600_NS10device_ptrIlEEjNS1_19radix_merge_compareILb0ELb1EhNS0_19identity_decomposerEEEEE10hipError_tT0_T1_T2_jT3_P12ihipStream_tbPNSt15iterator_traitsISG_E10value_typeEPNSM_ISH_E10value_typeEPSI_NS1_7vsmem_tEENKUlT_SG_SH_SI_E_clIS7_S7_PlSB_EESF_SV_SG_SH_SI_EUlSV_E1_NS1_11comp_targetILNS1_3genE3ELNS1_11target_archE908ELNS1_3gpuE7ELNS1_3repE0EEENS1_36merge_oddeven_config_static_selectorELNS0_4arch9wavefront6targetE1EEEvSH_
	.p2align	8
	.type	_ZN7rocprim17ROCPRIM_400000_NS6detail17trampoline_kernelINS0_14default_configENS1_38merge_sort_block_merge_config_selectorIhlEEZZNS1_27merge_sort_block_merge_implIS3_PhN6thrust23THRUST_200600_302600_NS10device_ptrIlEEjNS1_19radix_merge_compareILb0ELb1EhNS0_19identity_decomposerEEEEE10hipError_tT0_T1_T2_jT3_P12ihipStream_tbPNSt15iterator_traitsISG_E10value_typeEPNSM_ISH_E10value_typeEPSI_NS1_7vsmem_tEENKUlT_SG_SH_SI_E_clIS7_S7_PlSB_EESF_SV_SG_SH_SI_EUlSV_E1_NS1_11comp_targetILNS1_3genE3ELNS1_11target_archE908ELNS1_3gpuE7ELNS1_3repE0EEENS1_36merge_oddeven_config_static_selectorELNS0_4arch9wavefront6targetE1EEEvSH_,@function
_ZN7rocprim17ROCPRIM_400000_NS6detail17trampoline_kernelINS0_14default_configENS1_38merge_sort_block_merge_config_selectorIhlEEZZNS1_27merge_sort_block_merge_implIS3_PhN6thrust23THRUST_200600_302600_NS10device_ptrIlEEjNS1_19radix_merge_compareILb0ELb1EhNS0_19identity_decomposerEEEEE10hipError_tT0_T1_T2_jT3_P12ihipStream_tbPNSt15iterator_traitsISG_E10value_typeEPNSM_ISH_E10value_typeEPSI_NS1_7vsmem_tEENKUlT_SG_SH_SI_E_clIS7_S7_PlSB_EESF_SV_SG_SH_SI_EUlSV_E1_NS1_11comp_targetILNS1_3genE3ELNS1_11target_archE908ELNS1_3gpuE7ELNS1_3repE0EEENS1_36merge_oddeven_config_static_selectorELNS0_4arch9wavefront6targetE1EEEvSH_: ; @_ZN7rocprim17ROCPRIM_400000_NS6detail17trampoline_kernelINS0_14default_configENS1_38merge_sort_block_merge_config_selectorIhlEEZZNS1_27merge_sort_block_merge_implIS3_PhN6thrust23THRUST_200600_302600_NS10device_ptrIlEEjNS1_19radix_merge_compareILb0ELb1EhNS0_19identity_decomposerEEEEE10hipError_tT0_T1_T2_jT3_P12ihipStream_tbPNSt15iterator_traitsISG_E10value_typeEPNSM_ISH_E10value_typeEPSI_NS1_7vsmem_tEENKUlT_SG_SH_SI_E_clIS7_S7_PlSB_EESF_SV_SG_SH_SI_EUlSV_E1_NS1_11comp_targetILNS1_3genE3ELNS1_11target_archE908ELNS1_3gpuE7ELNS1_3repE0EEENS1_36merge_oddeven_config_static_selectorELNS0_4arch9wavefront6targetE1EEEvSH_
; %bb.0:
	.section	.rodata,"a",@progbits
	.p2align	6, 0x0
	.amdhsa_kernel _ZN7rocprim17ROCPRIM_400000_NS6detail17trampoline_kernelINS0_14default_configENS1_38merge_sort_block_merge_config_selectorIhlEEZZNS1_27merge_sort_block_merge_implIS3_PhN6thrust23THRUST_200600_302600_NS10device_ptrIlEEjNS1_19radix_merge_compareILb0ELb1EhNS0_19identity_decomposerEEEEE10hipError_tT0_T1_T2_jT3_P12ihipStream_tbPNSt15iterator_traitsISG_E10value_typeEPNSM_ISH_E10value_typeEPSI_NS1_7vsmem_tEENKUlT_SG_SH_SI_E_clIS7_S7_PlSB_EESF_SV_SG_SH_SI_EUlSV_E1_NS1_11comp_targetILNS1_3genE3ELNS1_11target_archE908ELNS1_3gpuE7ELNS1_3repE0EEENS1_36merge_oddeven_config_static_selectorELNS0_4arch9wavefront6targetE1EEEvSH_
		.amdhsa_group_segment_fixed_size 0
		.amdhsa_private_segment_fixed_size 0
		.amdhsa_kernarg_size 48
		.amdhsa_user_sgpr_count 6
		.amdhsa_user_sgpr_private_segment_buffer 1
		.amdhsa_user_sgpr_dispatch_ptr 0
		.amdhsa_user_sgpr_queue_ptr 0
		.amdhsa_user_sgpr_kernarg_segment_ptr 1
		.amdhsa_user_sgpr_dispatch_id 0
		.amdhsa_user_sgpr_flat_scratch_init 0
		.amdhsa_user_sgpr_private_segment_size 0
		.amdhsa_uses_dynamic_stack 0
		.amdhsa_system_sgpr_private_segment_wavefront_offset 0
		.amdhsa_system_sgpr_workgroup_id_x 1
		.amdhsa_system_sgpr_workgroup_id_y 0
		.amdhsa_system_sgpr_workgroup_id_z 0
		.amdhsa_system_sgpr_workgroup_info 0
		.amdhsa_system_vgpr_workitem_id 0
		.amdhsa_next_free_vgpr 1
		.amdhsa_next_free_sgpr 0
		.amdhsa_reserve_vcc 0
		.amdhsa_reserve_flat_scratch 0
		.amdhsa_float_round_mode_32 0
		.amdhsa_float_round_mode_16_64 0
		.amdhsa_float_denorm_mode_32 3
		.amdhsa_float_denorm_mode_16_64 3
		.amdhsa_dx10_clamp 1
		.amdhsa_ieee_mode 1
		.amdhsa_fp16_overflow 0
		.amdhsa_exception_fp_ieee_invalid_op 0
		.amdhsa_exception_fp_denorm_src 0
		.amdhsa_exception_fp_ieee_div_zero 0
		.amdhsa_exception_fp_ieee_overflow 0
		.amdhsa_exception_fp_ieee_underflow 0
		.amdhsa_exception_fp_ieee_inexact 0
		.amdhsa_exception_int_div_zero 0
	.end_amdhsa_kernel
	.section	.text._ZN7rocprim17ROCPRIM_400000_NS6detail17trampoline_kernelINS0_14default_configENS1_38merge_sort_block_merge_config_selectorIhlEEZZNS1_27merge_sort_block_merge_implIS3_PhN6thrust23THRUST_200600_302600_NS10device_ptrIlEEjNS1_19radix_merge_compareILb0ELb1EhNS0_19identity_decomposerEEEEE10hipError_tT0_T1_T2_jT3_P12ihipStream_tbPNSt15iterator_traitsISG_E10value_typeEPNSM_ISH_E10value_typeEPSI_NS1_7vsmem_tEENKUlT_SG_SH_SI_E_clIS7_S7_PlSB_EESF_SV_SG_SH_SI_EUlSV_E1_NS1_11comp_targetILNS1_3genE3ELNS1_11target_archE908ELNS1_3gpuE7ELNS1_3repE0EEENS1_36merge_oddeven_config_static_selectorELNS0_4arch9wavefront6targetE1EEEvSH_,"axG",@progbits,_ZN7rocprim17ROCPRIM_400000_NS6detail17trampoline_kernelINS0_14default_configENS1_38merge_sort_block_merge_config_selectorIhlEEZZNS1_27merge_sort_block_merge_implIS3_PhN6thrust23THRUST_200600_302600_NS10device_ptrIlEEjNS1_19radix_merge_compareILb0ELb1EhNS0_19identity_decomposerEEEEE10hipError_tT0_T1_T2_jT3_P12ihipStream_tbPNSt15iterator_traitsISG_E10value_typeEPNSM_ISH_E10value_typeEPSI_NS1_7vsmem_tEENKUlT_SG_SH_SI_E_clIS7_S7_PlSB_EESF_SV_SG_SH_SI_EUlSV_E1_NS1_11comp_targetILNS1_3genE3ELNS1_11target_archE908ELNS1_3gpuE7ELNS1_3repE0EEENS1_36merge_oddeven_config_static_selectorELNS0_4arch9wavefront6targetE1EEEvSH_,comdat
.Lfunc_end209:
	.size	_ZN7rocprim17ROCPRIM_400000_NS6detail17trampoline_kernelINS0_14default_configENS1_38merge_sort_block_merge_config_selectorIhlEEZZNS1_27merge_sort_block_merge_implIS3_PhN6thrust23THRUST_200600_302600_NS10device_ptrIlEEjNS1_19radix_merge_compareILb0ELb1EhNS0_19identity_decomposerEEEEE10hipError_tT0_T1_T2_jT3_P12ihipStream_tbPNSt15iterator_traitsISG_E10value_typeEPNSM_ISH_E10value_typeEPSI_NS1_7vsmem_tEENKUlT_SG_SH_SI_E_clIS7_S7_PlSB_EESF_SV_SG_SH_SI_EUlSV_E1_NS1_11comp_targetILNS1_3genE3ELNS1_11target_archE908ELNS1_3gpuE7ELNS1_3repE0EEENS1_36merge_oddeven_config_static_selectorELNS0_4arch9wavefront6targetE1EEEvSH_, .Lfunc_end209-_ZN7rocprim17ROCPRIM_400000_NS6detail17trampoline_kernelINS0_14default_configENS1_38merge_sort_block_merge_config_selectorIhlEEZZNS1_27merge_sort_block_merge_implIS3_PhN6thrust23THRUST_200600_302600_NS10device_ptrIlEEjNS1_19radix_merge_compareILb0ELb1EhNS0_19identity_decomposerEEEEE10hipError_tT0_T1_T2_jT3_P12ihipStream_tbPNSt15iterator_traitsISG_E10value_typeEPNSM_ISH_E10value_typeEPSI_NS1_7vsmem_tEENKUlT_SG_SH_SI_E_clIS7_S7_PlSB_EESF_SV_SG_SH_SI_EUlSV_E1_NS1_11comp_targetILNS1_3genE3ELNS1_11target_archE908ELNS1_3gpuE7ELNS1_3repE0EEENS1_36merge_oddeven_config_static_selectorELNS0_4arch9wavefront6targetE1EEEvSH_
                                        ; -- End function
	.set _ZN7rocprim17ROCPRIM_400000_NS6detail17trampoline_kernelINS0_14default_configENS1_38merge_sort_block_merge_config_selectorIhlEEZZNS1_27merge_sort_block_merge_implIS3_PhN6thrust23THRUST_200600_302600_NS10device_ptrIlEEjNS1_19radix_merge_compareILb0ELb1EhNS0_19identity_decomposerEEEEE10hipError_tT0_T1_T2_jT3_P12ihipStream_tbPNSt15iterator_traitsISG_E10value_typeEPNSM_ISH_E10value_typeEPSI_NS1_7vsmem_tEENKUlT_SG_SH_SI_E_clIS7_S7_PlSB_EESF_SV_SG_SH_SI_EUlSV_E1_NS1_11comp_targetILNS1_3genE3ELNS1_11target_archE908ELNS1_3gpuE7ELNS1_3repE0EEENS1_36merge_oddeven_config_static_selectorELNS0_4arch9wavefront6targetE1EEEvSH_.num_vgpr, 0
	.set _ZN7rocprim17ROCPRIM_400000_NS6detail17trampoline_kernelINS0_14default_configENS1_38merge_sort_block_merge_config_selectorIhlEEZZNS1_27merge_sort_block_merge_implIS3_PhN6thrust23THRUST_200600_302600_NS10device_ptrIlEEjNS1_19radix_merge_compareILb0ELb1EhNS0_19identity_decomposerEEEEE10hipError_tT0_T1_T2_jT3_P12ihipStream_tbPNSt15iterator_traitsISG_E10value_typeEPNSM_ISH_E10value_typeEPSI_NS1_7vsmem_tEENKUlT_SG_SH_SI_E_clIS7_S7_PlSB_EESF_SV_SG_SH_SI_EUlSV_E1_NS1_11comp_targetILNS1_3genE3ELNS1_11target_archE908ELNS1_3gpuE7ELNS1_3repE0EEENS1_36merge_oddeven_config_static_selectorELNS0_4arch9wavefront6targetE1EEEvSH_.num_agpr, 0
	.set _ZN7rocprim17ROCPRIM_400000_NS6detail17trampoline_kernelINS0_14default_configENS1_38merge_sort_block_merge_config_selectorIhlEEZZNS1_27merge_sort_block_merge_implIS3_PhN6thrust23THRUST_200600_302600_NS10device_ptrIlEEjNS1_19radix_merge_compareILb0ELb1EhNS0_19identity_decomposerEEEEE10hipError_tT0_T1_T2_jT3_P12ihipStream_tbPNSt15iterator_traitsISG_E10value_typeEPNSM_ISH_E10value_typeEPSI_NS1_7vsmem_tEENKUlT_SG_SH_SI_E_clIS7_S7_PlSB_EESF_SV_SG_SH_SI_EUlSV_E1_NS1_11comp_targetILNS1_3genE3ELNS1_11target_archE908ELNS1_3gpuE7ELNS1_3repE0EEENS1_36merge_oddeven_config_static_selectorELNS0_4arch9wavefront6targetE1EEEvSH_.numbered_sgpr, 0
	.set _ZN7rocprim17ROCPRIM_400000_NS6detail17trampoline_kernelINS0_14default_configENS1_38merge_sort_block_merge_config_selectorIhlEEZZNS1_27merge_sort_block_merge_implIS3_PhN6thrust23THRUST_200600_302600_NS10device_ptrIlEEjNS1_19radix_merge_compareILb0ELb1EhNS0_19identity_decomposerEEEEE10hipError_tT0_T1_T2_jT3_P12ihipStream_tbPNSt15iterator_traitsISG_E10value_typeEPNSM_ISH_E10value_typeEPSI_NS1_7vsmem_tEENKUlT_SG_SH_SI_E_clIS7_S7_PlSB_EESF_SV_SG_SH_SI_EUlSV_E1_NS1_11comp_targetILNS1_3genE3ELNS1_11target_archE908ELNS1_3gpuE7ELNS1_3repE0EEENS1_36merge_oddeven_config_static_selectorELNS0_4arch9wavefront6targetE1EEEvSH_.num_named_barrier, 0
	.set _ZN7rocprim17ROCPRIM_400000_NS6detail17trampoline_kernelINS0_14default_configENS1_38merge_sort_block_merge_config_selectorIhlEEZZNS1_27merge_sort_block_merge_implIS3_PhN6thrust23THRUST_200600_302600_NS10device_ptrIlEEjNS1_19radix_merge_compareILb0ELb1EhNS0_19identity_decomposerEEEEE10hipError_tT0_T1_T2_jT3_P12ihipStream_tbPNSt15iterator_traitsISG_E10value_typeEPNSM_ISH_E10value_typeEPSI_NS1_7vsmem_tEENKUlT_SG_SH_SI_E_clIS7_S7_PlSB_EESF_SV_SG_SH_SI_EUlSV_E1_NS1_11comp_targetILNS1_3genE3ELNS1_11target_archE908ELNS1_3gpuE7ELNS1_3repE0EEENS1_36merge_oddeven_config_static_selectorELNS0_4arch9wavefront6targetE1EEEvSH_.private_seg_size, 0
	.set _ZN7rocprim17ROCPRIM_400000_NS6detail17trampoline_kernelINS0_14default_configENS1_38merge_sort_block_merge_config_selectorIhlEEZZNS1_27merge_sort_block_merge_implIS3_PhN6thrust23THRUST_200600_302600_NS10device_ptrIlEEjNS1_19radix_merge_compareILb0ELb1EhNS0_19identity_decomposerEEEEE10hipError_tT0_T1_T2_jT3_P12ihipStream_tbPNSt15iterator_traitsISG_E10value_typeEPNSM_ISH_E10value_typeEPSI_NS1_7vsmem_tEENKUlT_SG_SH_SI_E_clIS7_S7_PlSB_EESF_SV_SG_SH_SI_EUlSV_E1_NS1_11comp_targetILNS1_3genE3ELNS1_11target_archE908ELNS1_3gpuE7ELNS1_3repE0EEENS1_36merge_oddeven_config_static_selectorELNS0_4arch9wavefront6targetE1EEEvSH_.uses_vcc, 0
	.set _ZN7rocprim17ROCPRIM_400000_NS6detail17trampoline_kernelINS0_14default_configENS1_38merge_sort_block_merge_config_selectorIhlEEZZNS1_27merge_sort_block_merge_implIS3_PhN6thrust23THRUST_200600_302600_NS10device_ptrIlEEjNS1_19radix_merge_compareILb0ELb1EhNS0_19identity_decomposerEEEEE10hipError_tT0_T1_T2_jT3_P12ihipStream_tbPNSt15iterator_traitsISG_E10value_typeEPNSM_ISH_E10value_typeEPSI_NS1_7vsmem_tEENKUlT_SG_SH_SI_E_clIS7_S7_PlSB_EESF_SV_SG_SH_SI_EUlSV_E1_NS1_11comp_targetILNS1_3genE3ELNS1_11target_archE908ELNS1_3gpuE7ELNS1_3repE0EEENS1_36merge_oddeven_config_static_selectorELNS0_4arch9wavefront6targetE1EEEvSH_.uses_flat_scratch, 0
	.set _ZN7rocprim17ROCPRIM_400000_NS6detail17trampoline_kernelINS0_14default_configENS1_38merge_sort_block_merge_config_selectorIhlEEZZNS1_27merge_sort_block_merge_implIS3_PhN6thrust23THRUST_200600_302600_NS10device_ptrIlEEjNS1_19radix_merge_compareILb0ELb1EhNS0_19identity_decomposerEEEEE10hipError_tT0_T1_T2_jT3_P12ihipStream_tbPNSt15iterator_traitsISG_E10value_typeEPNSM_ISH_E10value_typeEPSI_NS1_7vsmem_tEENKUlT_SG_SH_SI_E_clIS7_S7_PlSB_EESF_SV_SG_SH_SI_EUlSV_E1_NS1_11comp_targetILNS1_3genE3ELNS1_11target_archE908ELNS1_3gpuE7ELNS1_3repE0EEENS1_36merge_oddeven_config_static_selectorELNS0_4arch9wavefront6targetE1EEEvSH_.has_dyn_sized_stack, 0
	.set _ZN7rocprim17ROCPRIM_400000_NS6detail17trampoline_kernelINS0_14default_configENS1_38merge_sort_block_merge_config_selectorIhlEEZZNS1_27merge_sort_block_merge_implIS3_PhN6thrust23THRUST_200600_302600_NS10device_ptrIlEEjNS1_19radix_merge_compareILb0ELb1EhNS0_19identity_decomposerEEEEE10hipError_tT0_T1_T2_jT3_P12ihipStream_tbPNSt15iterator_traitsISG_E10value_typeEPNSM_ISH_E10value_typeEPSI_NS1_7vsmem_tEENKUlT_SG_SH_SI_E_clIS7_S7_PlSB_EESF_SV_SG_SH_SI_EUlSV_E1_NS1_11comp_targetILNS1_3genE3ELNS1_11target_archE908ELNS1_3gpuE7ELNS1_3repE0EEENS1_36merge_oddeven_config_static_selectorELNS0_4arch9wavefront6targetE1EEEvSH_.has_recursion, 0
	.set _ZN7rocprim17ROCPRIM_400000_NS6detail17trampoline_kernelINS0_14default_configENS1_38merge_sort_block_merge_config_selectorIhlEEZZNS1_27merge_sort_block_merge_implIS3_PhN6thrust23THRUST_200600_302600_NS10device_ptrIlEEjNS1_19radix_merge_compareILb0ELb1EhNS0_19identity_decomposerEEEEE10hipError_tT0_T1_T2_jT3_P12ihipStream_tbPNSt15iterator_traitsISG_E10value_typeEPNSM_ISH_E10value_typeEPSI_NS1_7vsmem_tEENKUlT_SG_SH_SI_E_clIS7_S7_PlSB_EESF_SV_SG_SH_SI_EUlSV_E1_NS1_11comp_targetILNS1_3genE3ELNS1_11target_archE908ELNS1_3gpuE7ELNS1_3repE0EEENS1_36merge_oddeven_config_static_selectorELNS0_4arch9wavefront6targetE1EEEvSH_.has_indirect_call, 0
	.section	.AMDGPU.csdata,"",@progbits
; Kernel info:
; codeLenInByte = 0
; TotalNumSgprs: 4
; NumVgprs: 0
; ScratchSize: 0
; MemoryBound: 0
; FloatMode: 240
; IeeeMode: 1
; LDSByteSize: 0 bytes/workgroup (compile time only)
; SGPRBlocks: 0
; VGPRBlocks: 0
; NumSGPRsForWavesPerEU: 4
; NumVGPRsForWavesPerEU: 1
; Occupancy: 10
; WaveLimiterHint : 0
; COMPUTE_PGM_RSRC2:SCRATCH_EN: 0
; COMPUTE_PGM_RSRC2:USER_SGPR: 6
; COMPUTE_PGM_RSRC2:TRAP_HANDLER: 0
; COMPUTE_PGM_RSRC2:TGID_X_EN: 1
; COMPUTE_PGM_RSRC2:TGID_Y_EN: 0
; COMPUTE_PGM_RSRC2:TGID_Z_EN: 0
; COMPUTE_PGM_RSRC2:TIDIG_COMP_CNT: 0
	.section	.text._ZN7rocprim17ROCPRIM_400000_NS6detail17trampoline_kernelINS0_14default_configENS1_38merge_sort_block_merge_config_selectorIhlEEZZNS1_27merge_sort_block_merge_implIS3_PhN6thrust23THRUST_200600_302600_NS10device_ptrIlEEjNS1_19radix_merge_compareILb0ELb1EhNS0_19identity_decomposerEEEEE10hipError_tT0_T1_T2_jT3_P12ihipStream_tbPNSt15iterator_traitsISG_E10value_typeEPNSM_ISH_E10value_typeEPSI_NS1_7vsmem_tEENKUlT_SG_SH_SI_E_clIS7_S7_PlSB_EESF_SV_SG_SH_SI_EUlSV_E1_NS1_11comp_targetILNS1_3genE2ELNS1_11target_archE906ELNS1_3gpuE6ELNS1_3repE0EEENS1_36merge_oddeven_config_static_selectorELNS0_4arch9wavefront6targetE1EEEvSH_,"axG",@progbits,_ZN7rocprim17ROCPRIM_400000_NS6detail17trampoline_kernelINS0_14default_configENS1_38merge_sort_block_merge_config_selectorIhlEEZZNS1_27merge_sort_block_merge_implIS3_PhN6thrust23THRUST_200600_302600_NS10device_ptrIlEEjNS1_19radix_merge_compareILb0ELb1EhNS0_19identity_decomposerEEEEE10hipError_tT0_T1_T2_jT3_P12ihipStream_tbPNSt15iterator_traitsISG_E10value_typeEPNSM_ISH_E10value_typeEPSI_NS1_7vsmem_tEENKUlT_SG_SH_SI_E_clIS7_S7_PlSB_EESF_SV_SG_SH_SI_EUlSV_E1_NS1_11comp_targetILNS1_3genE2ELNS1_11target_archE906ELNS1_3gpuE6ELNS1_3repE0EEENS1_36merge_oddeven_config_static_selectorELNS0_4arch9wavefront6targetE1EEEvSH_,comdat
	.protected	_ZN7rocprim17ROCPRIM_400000_NS6detail17trampoline_kernelINS0_14default_configENS1_38merge_sort_block_merge_config_selectorIhlEEZZNS1_27merge_sort_block_merge_implIS3_PhN6thrust23THRUST_200600_302600_NS10device_ptrIlEEjNS1_19radix_merge_compareILb0ELb1EhNS0_19identity_decomposerEEEEE10hipError_tT0_T1_T2_jT3_P12ihipStream_tbPNSt15iterator_traitsISG_E10value_typeEPNSM_ISH_E10value_typeEPSI_NS1_7vsmem_tEENKUlT_SG_SH_SI_E_clIS7_S7_PlSB_EESF_SV_SG_SH_SI_EUlSV_E1_NS1_11comp_targetILNS1_3genE2ELNS1_11target_archE906ELNS1_3gpuE6ELNS1_3repE0EEENS1_36merge_oddeven_config_static_selectorELNS0_4arch9wavefront6targetE1EEEvSH_ ; -- Begin function _ZN7rocprim17ROCPRIM_400000_NS6detail17trampoline_kernelINS0_14default_configENS1_38merge_sort_block_merge_config_selectorIhlEEZZNS1_27merge_sort_block_merge_implIS3_PhN6thrust23THRUST_200600_302600_NS10device_ptrIlEEjNS1_19radix_merge_compareILb0ELb1EhNS0_19identity_decomposerEEEEE10hipError_tT0_T1_T2_jT3_P12ihipStream_tbPNSt15iterator_traitsISG_E10value_typeEPNSM_ISH_E10value_typeEPSI_NS1_7vsmem_tEENKUlT_SG_SH_SI_E_clIS7_S7_PlSB_EESF_SV_SG_SH_SI_EUlSV_E1_NS1_11comp_targetILNS1_3genE2ELNS1_11target_archE906ELNS1_3gpuE6ELNS1_3repE0EEENS1_36merge_oddeven_config_static_selectorELNS0_4arch9wavefront6targetE1EEEvSH_
	.globl	_ZN7rocprim17ROCPRIM_400000_NS6detail17trampoline_kernelINS0_14default_configENS1_38merge_sort_block_merge_config_selectorIhlEEZZNS1_27merge_sort_block_merge_implIS3_PhN6thrust23THRUST_200600_302600_NS10device_ptrIlEEjNS1_19radix_merge_compareILb0ELb1EhNS0_19identity_decomposerEEEEE10hipError_tT0_T1_T2_jT3_P12ihipStream_tbPNSt15iterator_traitsISG_E10value_typeEPNSM_ISH_E10value_typeEPSI_NS1_7vsmem_tEENKUlT_SG_SH_SI_E_clIS7_S7_PlSB_EESF_SV_SG_SH_SI_EUlSV_E1_NS1_11comp_targetILNS1_3genE2ELNS1_11target_archE906ELNS1_3gpuE6ELNS1_3repE0EEENS1_36merge_oddeven_config_static_selectorELNS0_4arch9wavefront6targetE1EEEvSH_
	.p2align	8
	.type	_ZN7rocprim17ROCPRIM_400000_NS6detail17trampoline_kernelINS0_14default_configENS1_38merge_sort_block_merge_config_selectorIhlEEZZNS1_27merge_sort_block_merge_implIS3_PhN6thrust23THRUST_200600_302600_NS10device_ptrIlEEjNS1_19radix_merge_compareILb0ELb1EhNS0_19identity_decomposerEEEEE10hipError_tT0_T1_T2_jT3_P12ihipStream_tbPNSt15iterator_traitsISG_E10value_typeEPNSM_ISH_E10value_typeEPSI_NS1_7vsmem_tEENKUlT_SG_SH_SI_E_clIS7_S7_PlSB_EESF_SV_SG_SH_SI_EUlSV_E1_NS1_11comp_targetILNS1_3genE2ELNS1_11target_archE906ELNS1_3gpuE6ELNS1_3repE0EEENS1_36merge_oddeven_config_static_selectorELNS0_4arch9wavefront6targetE1EEEvSH_,@function
_ZN7rocprim17ROCPRIM_400000_NS6detail17trampoline_kernelINS0_14default_configENS1_38merge_sort_block_merge_config_selectorIhlEEZZNS1_27merge_sort_block_merge_implIS3_PhN6thrust23THRUST_200600_302600_NS10device_ptrIlEEjNS1_19radix_merge_compareILb0ELb1EhNS0_19identity_decomposerEEEEE10hipError_tT0_T1_T2_jT3_P12ihipStream_tbPNSt15iterator_traitsISG_E10value_typeEPNSM_ISH_E10value_typeEPSI_NS1_7vsmem_tEENKUlT_SG_SH_SI_E_clIS7_S7_PlSB_EESF_SV_SG_SH_SI_EUlSV_E1_NS1_11comp_targetILNS1_3genE2ELNS1_11target_archE906ELNS1_3gpuE6ELNS1_3repE0EEENS1_36merge_oddeven_config_static_selectorELNS0_4arch9wavefront6targetE1EEEvSH_: ; @_ZN7rocprim17ROCPRIM_400000_NS6detail17trampoline_kernelINS0_14default_configENS1_38merge_sort_block_merge_config_selectorIhlEEZZNS1_27merge_sort_block_merge_implIS3_PhN6thrust23THRUST_200600_302600_NS10device_ptrIlEEjNS1_19radix_merge_compareILb0ELb1EhNS0_19identity_decomposerEEEEE10hipError_tT0_T1_T2_jT3_P12ihipStream_tbPNSt15iterator_traitsISG_E10value_typeEPNSM_ISH_E10value_typeEPSI_NS1_7vsmem_tEENKUlT_SG_SH_SI_E_clIS7_S7_PlSB_EESF_SV_SG_SH_SI_EUlSV_E1_NS1_11comp_targetILNS1_3genE2ELNS1_11target_archE906ELNS1_3gpuE6ELNS1_3repE0EEENS1_36merge_oddeven_config_static_selectorELNS0_4arch9wavefront6targetE1EEEvSH_
; %bb.0:
	s_load_dword s20, s[4:5], 0x20
	s_waitcnt lgkmcnt(0)
	s_lshr_b32 s0, s20, 8
	s_cmp_eq_u32 s6, s0
	s_cselect_b64 s[16:17], -1, 0
	s_cmp_lg_u32 s6, s0
	s_cselect_b64 s[0:1], -1, 0
	s_lshl_b32 s18, s6, 8
	s_sub_i32 s2, s20, s18
	v_cmp_gt_u32_e64 s[2:3], s2, v0
	s_or_b64 s[0:1], s[0:1], s[2:3]
	s_and_saveexec_b64 s[8:9], s[0:1]
	s_cbranch_execz .LBB210_24
; %bb.1:
	s_load_dwordx8 s[8:15], s[4:5], 0x0
	s_mov_b32 s19, 0
	v_lshlrev_b32_e32 v3, 3, v0
	s_waitcnt lgkmcnt(0)
	s_add_u32 s0, s8, s18
	s_addc_u32 s1, s9, 0
	s_lshl_b64 s[22:23], s[18:19], 3
	s_add_u32 s12, s12, s22
	s_addc_u32 s13, s13, s23
	global_load_dwordx2 v[1:2], v3, s[12:13]
	global_load_ubyte v5, v0, s[0:1]
	s_load_dword s13, s[4:5], 0x24
	v_add_u32_e32 v3, s18, v0
	s_waitcnt lgkmcnt(0)
	s_lshr_b32 s0, s13, 8
	s_sub_i32 s1, 0, s0
	s_and_b32 s1, s6, s1
	s_and_b32 s0, s1, s0
	s_lshl_b32 s19, s1, 8
	s_sub_i32 s12, 0, s13
	s_cmp_eq_u32 s0, 0
	s_cselect_b64 s[0:1], -1, 0
	s_and_b64 s[6:7], s[0:1], exec
	s_cselect_b32 s12, s13, s12
	s_add_i32 s12, s12, s19
	s_mov_b64 s[6:7], -1
	s_cmp_gt_u32 s20, s12
	s_cbranch_scc1 .LBB210_9
; %bb.2:
	s_and_b64 vcc, exec, s[16:17]
	s_cbranch_vccz .LBB210_6
; %bb.3:
	v_cmp_gt_u32_e32 vcc, s20, v3
	s_and_saveexec_b64 s[6:7], vcc
	s_cbranch_execz .LBB210_5
; %bb.4:
	v_mov_b32_e32 v4, 0
	v_lshlrev_b64 v[6:7], 3, v[3:4]
	v_mov_b32_e32 v0, s15
	v_add_co_u32_e32 v6, vcc, s14, v6
	v_addc_co_u32_e32 v7, vcc, v0, v7, vcc
	s_waitcnt vmcnt(0)
	global_store_byte v3, v5, s[10:11]
	global_store_dwordx2 v[6:7], v[1:2], off
.LBB210_5:
	s_or_b64 exec, exec, s[6:7]
	s_mov_b64 s[6:7], 0
.LBB210_6:
	s_andn2_b64 vcc, exec, s[6:7]
	s_cbranch_vccnz .LBB210_8
; %bb.7:
	v_mov_b32_e32 v4, 0
	v_lshlrev_b64 v[6:7], 3, v[3:4]
	v_mov_b32_e32 v0, s15
	v_add_co_u32_e32 v6, vcc, s14, v6
	v_addc_co_u32_e32 v7, vcc, v0, v7, vcc
	s_waitcnt vmcnt(0)
	global_store_byte v3, v5, s[10:11]
	global_store_dwordx2 v[6:7], v[1:2], off
.LBB210_8:
	s_mov_b64 s[6:7], 0
.LBB210_9:
	s_andn2_b64 vcc, exec, s[6:7]
	s_cbranch_vccnz .LBB210_24
; %bb.10:
	s_load_dword s6, s[4:5], 0x28
	s_min_u32 s7, s12, s20
	s_add_i32 s4, s7, s13
	s_min_u32 s13, s4, s20
	s_min_u32 s4, s19, s7
	s_add_i32 s19, s19, s7
	v_subrev_u32_e32 v0, s19, v3
	v_add_u32_e32 v0, s4, v0
	s_waitcnt vmcnt(0) lgkmcnt(0)
	v_and_b32_e32 v3, s6, v5
	s_mov_b64 s[4:5], -1
	s_and_b64 vcc, exec, s[16:17]
	s_cbranch_vccz .LBB210_18
; %bb.11:
	s_and_saveexec_b64 s[4:5], s[2:3]
	s_cbranch_execz .LBB210_17
; %bb.12:
	s_cmp_ge_u32 s12, s13
	v_mov_b32_e32 v4, s7
	s_cbranch_scc1 .LBB210_16
; %bb.13:
	s_mov_b64 s[2:3], 0
	v_mov_b32_e32 v6, s13
	v_mov_b32_e32 v4, s7
	s_and_b32 s16, s6, 0xff
.LBB210_14:                             ; =>This Inner Loop Header: Depth=1
	v_add_u32_e32 v7, v4, v6
	v_lshrrev_b32_e32 v7, 1, v7
	global_load_ubyte v8, v7, s[8:9]
	v_add_u32_e32 v9, 1, v7
	s_waitcnt vmcnt(0)
	v_and_b32_e32 v8, s16, v8
	v_cmp_gt_u16_sdwa s[18:19], v3, v8 src0_sel:BYTE_0 src1_sel:DWORD
	v_cndmask_b32_e64 v10, 0, 1, s[18:19]
	v_cmp_le_u16_sdwa s[18:19], v8, v3 src0_sel:DWORD src1_sel:BYTE_0
	v_cndmask_b32_e64 v8, 0, 1, s[18:19]
	v_cndmask_b32_e64 v8, v8, v10, s[0:1]
	v_and_b32_e32 v8, 1, v8
	v_cmp_eq_u32_e32 vcc, 1, v8
	v_cndmask_b32_e32 v6, v7, v6, vcc
	v_cndmask_b32_e32 v4, v4, v9, vcc
	v_cmp_ge_u32_e32 vcc, v4, v6
	s_or_b64 s[2:3], vcc, s[2:3]
	s_andn2_b64 exec, exec, s[2:3]
	s_cbranch_execnz .LBB210_14
; %bb.15:
	s_or_b64 exec, exec, s[2:3]
.LBB210_16:
	v_add_u32_e32 v6, v4, v0
	v_mov_b32_e32 v7, 0
	global_store_byte v6, v5, s[10:11]
	v_lshlrev_b64 v[6:7], 3, v[6:7]
	v_mov_b32_e32 v4, s15
	v_add_co_u32_e32 v6, vcc, s14, v6
	v_addc_co_u32_e32 v7, vcc, v4, v7, vcc
	global_store_dwordx2 v[6:7], v[1:2], off
.LBB210_17:
	s_or_b64 exec, exec, s[4:5]
	s_mov_b64 s[4:5], 0
.LBB210_18:
	s_andn2_b64 vcc, exec, s[4:5]
	s_cbranch_vccnz .LBB210_24
; %bb.19:
	s_cmp_ge_u32 s12, s13
	v_mov_b32_e32 v4, s7
	s_cbranch_scc1 .LBB210_23
; %bb.20:
	s_mov_b64 s[2:3], 0
	v_mov_b32_e32 v6, s13
	v_mov_b32_e32 v4, s7
	s_and_b32 s4, s6, 0xff
.LBB210_21:                             ; =>This Inner Loop Header: Depth=1
	v_add_u32_e32 v7, v4, v6
	v_lshrrev_b32_e32 v7, 1, v7
	global_load_ubyte v8, v7, s[8:9]
	v_add_u32_e32 v9, 1, v7
	s_waitcnt vmcnt(0)
	v_and_b32_e32 v8, s4, v8
	v_cmp_gt_u16_sdwa s[6:7], v3, v8 src0_sel:BYTE_0 src1_sel:DWORD
	v_cndmask_b32_e64 v10, 0, 1, s[6:7]
	v_cmp_le_u16_sdwa s[6:7], v8, v3 src0_sel:DWORD src1_sel:BYTE_0
	v_cndmask_b32_e64 v8, 0, 1, s[6:7]
	v_cndmask_b32_e64 v8, v8, v10, s[0:1]
	v_and_b32_e32 v8, 1, v8
	v_cmp_eq_u32_e32 vcc, 1, v8
	v_cndmask_b32_e32 v6, v7, v6, vcc
	v_cndmask_b32_e32 v4, v4, v9, vcc
	v_cmp_ge_u32_e32 vcc, v4, v6
	s_or_b64 s[2:3], vcc, s[2:3]
	s_andn2_b64 exec, exec, s[2:3]
	s_cbranch_execnz .LBB210_21
; %bb.22:
	s_or_b64 exec, exec, s[2:3]
.LBB210_23:
	v_add_u32_e32 v3, v4, v0
	v_mov_b32_e32 v4, 0
	global_store_byte v3, v5, s[10:11]
	v_lshlrev_b64 v[3:4], 3, v[3:4]
	v_mov_b32_e32 v0, s15
	v_add_co_u32_e32 v3, vcc, s14, v3
	v_addc_co_u32_e32 v4, vcc, v0, v4, vcc
	global_store_dwordx2 v[3:4], v[1:2], off
.LBB210_24:
	s_endpgm
	.section	.rodata,"a",@progbits
	.p2align	6, 0x0
	.amdhsa_kernel _ZN7rocprim17ROCPRIM_400000_NS6detail17trampoline_kernelINS0_14default_configENS1_38merge_sort_block_merge_config_selectorIhlEEZZNS1_27merge_sort_block_merge_implIS3_PhN6thrust23THRUST_200600_302600_NS10device_ptrIlEEjNS1_19radix_merge_compareILb0ELb1EhNS0_19identity_decomposerEEEEE10hipError_tT0_T1_T2_jT3_P12ihipStream_tbPNSt15iterator_traitsISG_E10value_typeEPNSM_ISH_E10value_typeEPSI_NS1_7vsmem_tEENKUlT_SG_SH_SI_E_clIS7_S7_PlSB_EESF_SV_SG_SH_SI_EUlSV_E1_NS1_11comp_targetILNS1_3genE2ELNS1_11target_archE906ELNS1_3gpuE6ELNS1_3repE0EEENS1_36merge_oddeven_config_static_selectorELNS0_4arch9wavefront6targetE1EEEvSH_
		.amdhsa_group_segment_fixed_size 0
		.amdhsa_private_segment_fixed_size 0
		.amdhsa_kernarg_size 48
		.amdhsa_user_sgpr_count 6
		.amdhsa_user_sgpr_private_segment_buffer 1
		.amdhsa_user_sgpr_dispatch_ptr 0
		.amdhsa_user_sgpr_queue_ptr 0
		.amdhsa_user_sgpr_kernarg_segment_ptr 1
		.amdhsa_user_sgpr_dispatch_id 0
		.amdhsa_user_sgpr_flat_scratch_init 0
		.amdhsa_user_sgpr_private_segment_size 0
		.amdhsa_uses_dynamic_stack 0
		.amdhsa_system_sgpr_private_segment_wavefront_offset 0
		.amdhsa_system_sgpr_workgroup_id_x 1
		.amdhsa_system_sgpr_workgroup_id_y 0
		.amdhsa_system_sgpr_workgroup_id_z 0
		.amdhsa_system_sgpr_workgroup_info 0
		.amdhsa_system_vgpr_workitem_id 0
		.amdhsa_next_free_vgpr 11
		.amdhsa_next_free_sgpr 24
		.amdhsa_reserve_vcc 1
		.amdhsa_reserve_flat_scratch 0
		.amdhsa_float_round_mode_32 0
		.amdhsa_float_round_mode_16_64 0
		.amdhsa_float_denorm_mode_32 3
		.amdhsa_float_denorm_mode_16_64 3
		.amdhsa_dx10_clamp 1
		.amdhsa_ieee_mode 1
		.amdhsa_fp16_overflow 0
		.amdhsa_exception_fp_ieee_invalid_op 0
		.amdhsa_exception_fp_denorm_src 0
		.amdhsa_exception_fp_ieee_div_zero 0
		.amdhsa_exception_fp_ieee_overflow 0
		.amdhsa_exception_fp_ieee_underflow 0
		.amdhsa_exception_fp_ieee_inexact 0
		.amdhsa_exception_int_div_zero 0
	.end_amdhsa_kernel
	.section	.text._ZN7rocprim17ROCPRIM_400000_NS6detail17trampoline_kernelINS0_14default_configENS1_38merge_sort_block_merge_config_selectorIhlEEZZNS1_27merge_sort_block_merge_implIS3_PhN6thrust23THRUST_200600_302600_NS10device_ptrIlEEjNS1_19radix_merge_compareILb0ELb1EhNS0_19identity_decomposerEEEEE10hipError_tT0_T1_T2_jT3_P12ihipStream_tbPNSt15iterator_traitsISG_E10value_typeEPNSM_ISH_E10value_typeEPSI_NS1_7vsmem_tEENKUlT_SG_SH_SI_E_clIS7_S7_PlSB_EESF_SV_SG_SH_SI_EUlSV_E1_NS1_11comp_targetILNS1_3genE2ELNS1_11target_archE906ELNS1_3gpuE6ELNS1_3repE0EEENS1_36merge_oddeven_config_static_selectorELNS0_4arch9wavefront6targetE1EEEvSH_,"axG",@progbits,_ZN7rocprim17ROCPRIM_400000_NS6detail17trampoline_kernelINS0_14default_configENS1_38merge_sort_block_merge_config_selectorIhlEEZZNS1_27merge_sort_block_merge_implIS3_PhN6thrust23THRUST_200600_302600_NS10device_ptrIlEEjNS1_19radix_merge_compareILb0ELb1EhNS0_19identity_decomposerEEEEE10hipError_tT0_T1_T2_jT3_P12ihipStream_tbPNSt15iterator_traitsISG_E10value_typeEPNSM_ISH_E10value_typeEPSI_NS1_7vsmem_tEENKUlT_SG_SH_SI_E_clIS7_S7_PlSB_EESF_SV_SG_SH_SI_EUlSV_E1_NS1_11comp_targetILNS1_3genE2ELNS1_11target_archE906ELNS1_3gpuE6ELNS1_3repE0EEENS1_36merge_oddeven_config_static_selectorELNS0_4arch9wavefront6targetE1EEEvSH_,comdat
.Lfunc_end210:
	.size	_ZN7rocprim17ROCPRIM_400000_NS6detail17trampoline_kernelINS0_14default_configENS1_38merge_sort_block_merge_config_selectorIhlEEZZNS1_27merge_sort_block_merge_implIS3_PhN6thrust23THRUST_200600_302600_NS10device_ptrIlEEjNS1_19radix_merge_compareILb0ELb1EhNS0_19identity_decomposerEEEEE10hipError_tT0_T1_T2_jT3_P12ihipStream_tbPNSt15iterator_traitsISG_E10value_typeEPNSM_ISH_E10value_typeEPSI_NS1_7vsmem_tEENKUlT_SG_SH_SI_E_clIS7_S7_PlSB_EESF_SV_SG_SH_SI_EUlSV_E1_NS1_11comp_targetILNS1_3genE2ELNS1_11target_archE906ELNS1_3gpuE6ELNS1_3repE0EEENS1_36merge_oddeven_config_static_selectorELNS0_4arch9wavefront6targetE1EEEvSH_, .Lfunc_end210-_ZN7rocprim17ROCPRIM_400000_NS6detail17trampoline_kernelINS0_14default_configENS1_38merge_sort_block_merge_config_selectorIhlEEZZNS1_27merge_sort_block_merge_implIS3_PhN6thrust23THRUST_200600_302600_NS10device_ptrIlEEjNS1_19radix_merge_compareILb0ELb1EhNS0_19identity_decomposerEEEEE10hipError_tT0_T1_T2_jT3_P12ihipStream_tbPNSt15iterator_traitsISG_E10value_typeEPNSM_ISH_E10value_typeEPSI_NS1_7vsmem_tEENKUlT_SG_SH_SI_E_clIS7_S7_PlSB_EESF_SV_SG_SH_SI_EUlSV_E1_NS1_11comp_targetILNS1_3genE2ELNS1_11target_archE906ELNS1_3gpuE6ELNS1_3repE0EEENS1_36merge_oddeven_config_static_selectorELNS0_4arch9wavefront6targetE1EEEvSH_
                                        ; -- End function
	.set _ZN7rocprim17ROCPRIM_400000_NS6detail17trampoline_kernelINS0_14default_configENS1_38merge_sort_block_merge_config_selectorIhlEEZZNS1_27merge_sort_block_merge_implIS3_PhN6thrust23THRUST_200600_302600_NS10device_ptrIlEEjNS1_19radix_merge_compareILb0ELb1EhNS0_19identity_decomposerEEEEE10hipError_tT0_T1_T2_jT3_P12ihipStream_tbPNSt15iterator_traitsISG_E10value_typeEPNSM_ISH_E10value_typeEPSI_NS1_7vsmem_tEENKUlT_SG_SH_SI_E_clIS7_S7_PlSB_EESF_SV_SG_SH_SI_EUlSV_E1_NS1_11comp_targetILNS1_3genE2ELNS1_11target_archE906ELNS1_3gpuE6ELNS1_3repE0EEENS1_36merge_oddeven_config_static_selectorELNS0_4arch9wavefront6targetE1EEEvSH_.num_vgpr, 11
	.set _ZN7rocprim17ROCPRIM_400000_NS6detail17trampoline_kernelINS0_14default_configENS1_38merge_sort_block_merge_config_selectorIhlEEZZNS1_27merge_sort_block_merge_implIS3_PhN6thrust23THRUST_200600_302600_NS10device_ptrIlEEjNS1_19radix_merge_compareILb0ELb1EhNS0_19identity_decomposerEEEEE10hipError_tT0_T1_T2_jT3_P12ihipStream_tbPNSt15iterator_traitsISG_E10value_typeEPNSM_ISH_E10value_typeEPSI_NS1_7vsmem_tEENKUlT_SG_SH_SI_E_clIS7_S7_PlSB_EESF_SV_SG_SH_SI_EUlSV_E1_NS1_11comp_targetILNS1_3genE2ELNS1_11target_archE906ELNS1_3gpuE6ELNS1_3repE0EEENS1_36merge_oddeven_config_static_selectorELNS0_4arch9wavefront6targetE1EEEvSH_.num_agpr, 0
	.set _ZN7rocprim17ROCPRIM_400000_NS6detail17trampoline_kernelINS0_14default_configENS1_38merge_sort_block_merge_config_selectorIhlEEZZNS1_27merge_sort_block_merge_implIS3_PhN6thrust23THRUST_200600_302600_NS10device_ptrIlEEjNS1_19radix_merge_compareILb0ELb1EhNS0_19identity_decomposerEEEEE10hipError_tT0_T1_T2_jT3_P12ihipStream_tbPNSt15iterator_traitsISG_E10value_typeEPNSM_ISH_E10value_typeEPSI_NS1_7vsmem_tEENKUlT_SG_SH_SI_E_clIS7_S7_PlSB_EESF_SV_SG_SH_SI_EUlSV_E1_NS1_11comp_targetILNS1_3genE2ELNS1_11target_archE906ELNS1_3gpuE6ELNS1_3repE0EEENS1_36merge_oddeven_config_static_selectorELNS0_4arch9wavefront6targetE1EEEvSH_.numbered_sgpr, 24
	.set _ZN7rocprim17ROCPRIM_400000_NS6detail17trampoline_kernelINS0_14default_configENS1_38merge_sort_block_merge_config_selectorIhlEEZZNS1_27merge_sort_block_merge_implIS3_PhN6thrust23THRUST_200600_302600_NS10device_ptrIlEEjNS1_19radix_merge_compareILb0ELb1EhNS0_19identity_decomposerEEEEE10hipError_tT0_T1_T2_jT3_P12ihipStream_tbPNSt15iterator_traitsISG_E10value_typeEPNSM_ISH_E10value_typeEPSI_NS1_7vsmem_tEENKUlT_SG_SH_SI_E_clIS7_S7_PlSB_EESF_SV_SG_SH_SI_EUlSV_E1_NS1_11comp_targetILNS1_3genE2ELNS1_11target_archE906ELNS1_3gpuE6ELNS1_3repE0EEENS1_36merge_oddeven_config_static_selectorELNS0_4arch9wavefront6targetE1EEEvSH_.num_named_barrier, 0
	.set _ZN7rocprim17ROCPRIM_400000_NS6detail17trampoline_kernelINS0_14default_configENS1_38merge_sort_block_merge_config_selectorIhlEEZZNS1_27merge_sort_block_merge_implIS3_PhN6thrust23THRUST_200600_302600_NS10device_ptrIlEEjNS1_19radix_merge_compareILb0ELb1EhNS0_19identity_decomposerEEEEE10hipError_tT0_T1_T2_jT3_P12ihipStream_tbPNSt15iterator_traitsISG_E10value_typeEPNSM_ISH_E10value_typeEPSI_NS1_7vsmem_tEENKUlT_SG_SH_SI_E_clIS7_S7_PlSB_EESF_SV_SG_SH_SI_EUlSV_E1_NS1_11comp_targetILNS1_3genE2ELNS1_11target_archE906ELNS1_3gpuE6ELNS1_3repE0EEENS1_36merge_oddeven_config_static_selectorELNS0_4arch9wavefront6targetE1EEEvSH_.private_seg_size, 0
	.set _ZN7rocprim17ROCPRIM_400000_NS6detail17trampoline_kernelINS0_14default_configENS1_38merge_sort_block_merge_config_selectorIhlEEZZNS1_27merge_sort_block_merge_implIS3_PhN6thrust23THRUST_200600_302600_NS10device_ptrIlEEjNS1_19radix_merge_compareILb0ELb1EhNS0_19identity_decomposerEEEEE10hipError_tT0_T1_T2_jT3_P12ihipStream_tbPNSt15iterator_traitsISG_E10value_typeEPNSM_ISH_E10value_typeEPSI_NS1_7vsmem_tEENKUlT_SG_SH_SI_E_clIS7_S7_PlSB_EESF_SV_SG_SH_SI_EUlSV_E1_NS1_11comp_targetILNS1_3genE2ELNS1_11target_archE906ELNS1_3gpuE6ELNS1_3repE0EEENS1_36merge_oddeven_config_static_selectorELNS0_4arch9wavefront6targetE1EEEvSH_.uses_vcc, 1
	.set _ZN7rocprim17ROCPRIM_400000_NS6detail17trampoline_kernelINS0_14default_configENS1_38merge_sort_block_merge_config_selectorIhlEEZZNS1_27merge_sort_block_merge_implIS3_PhN6thrust23THRUST_200600_302600_NS10device_ptrIlEEjNS1_19radix_merge_compareILb0ELb1EhNS0_19identity_decomposerEEEEE10hipError_tT0_T1_T2_jT3_P12ihipStream_tbPNSt15iterator_traitsISG_E10value_typeEPNSM_ISH_E10value_typeEPSI_NS1_7vsmem_tEENKUlT_SG_SH_SI_E_clIS7_S7_PlSB_EESF_SV_SG_SH_SI_EUlSV_E1_NS1_11comp_targetILNS1_3genE2ELNS1_11target_archE906ELNS1_3gpuE6ELNS1_3repE0EEENS1_36merge_oddeven_config_static_selectorELNS0_4arch9wavefront6targetE1EEEvSH_.uses_flat_scratch, 0
	.set _ZN7rocprim17ROCPRIM_400000_NS6detail17trampoline_kernelINS0_14default_configENS1_38merge_sort_block_merge_config_selectorIhlEEZZNS1_27merge_sort_block_merge_implIS3_PhN6thrust23THRUST_200600_302600_NS10device_ptrIlEEjNS1_19radix_merge_compareILb0ELb1EhNS0_19identity_decomposerEEEEE10hipError_tT0_T1_T2_jT3_P12ihipStream_tbPNSt15iterator_traitsISG_E10value_typeEPNSM_ISH_E10value_typeEPSI_NS1_7vsmem_tEENKUlT_SG_SH_SI_E_clIS7_S7_PlSB_EESF_SV_SG_SH_SI_EUlSV_E1_NS1_11comp_targetILNS1_3genE2ELNS1_11target_archE906ELNS1_3gpuE6ELNS1_3repE0EEENS1_36merge_oddeven_config_static_selectorELNS0_4arch9wavefront6targetE1EEEvSH_.has_dyn_sized_stack, 0
	.set _ZN7rocprim17ROCPRIM_400000_NS6detail17trampoline_kernelINS0_14default_configENS1_38merge_sort_block_merge_config_selectorIhlEEZZNS1_27merge_sort_block_merge_implIS3_PhN6thrust23THRUST_200600_302600_NS10device_ptrIlEEjNS1_19radix_merge_compareILb0ELb1EhNS0_19identity_decomposerEEEEE10hipError_tT0_T1_T2_jT3_P12ihipStream_tbPNSt15iterator_traitsISG_E10value_typeEPNSM_ISH_E10value_typeEPSI_NS1_7vsmem_tEENKUlT_SG_SH_SI_E_clIS7_S7_PlSB_EESF_SV_SG_SH_SI_EUlSV_E1_NS1_11comp_targetILNS1_3genE2ELNS1_11target_archE906ELNS1_3gpuE6ELNS1_3repE0EEENS1_36merge_oddeven_config_static_selectorELNS0_4arch9wavefront6targetE1EEEvSH_.has_recursion, 0
	.set _ZN7rocprim17ROCPRIM_400000_NS6detail17trampoline_kernelINS0_14default_configENS1_38merge_sort_block_merge_config_selectorIhlEEZZNS1_27merge_sort_block_merge_implIS3_PhN6thrust23THRUST_200600_302600_NS10device_ptrIlEEjNS1_19radix_merge_compareILb0ELb1EhNS0_19identity_decomposerEEEEE10hipError_tT0_T1_T2_jT3_P12ihipStream_tbPNSt15iterator_traitsISG_E10value_typeEPNSM_ISH_E10value_typeEPSI_NS1_7vsmem_tEENKUlT_SG_SH_SI_E_clIS7_S7_PlSB_EESF_SV_SG_SH_SI_EUlSV_E1_NS1_11comp_targetILNS1_3genE2ELNS1_11target_archE906ELNS1_3gpuE6ELNS1_3repE0EEENS1_36merge_oddeven_config_static_selectorELNS0_4arch9wavefront6targetE1EEEvSH_.has_indirect_call, 0
	.section	.AMDGPU.csdata,"",@progbits
; Kernel info:
; codeLenInByte = 768
; TotalNumSgprs: 28
; NumVgprs: 11
; ScratchSize: 0
; MemoryBound: 0
; FloatMode: 240
; IeeeMode: 1
; LDSByteSize: 0 bytes/workgroup (compile time only)
; SGPRBlocks: 3
; VGPRBlocks: 2
; NumSGPRsForWavesPerEU: 28
; NumVGPRsForWavesPerEU: 11
; Occupancy: 10
; WaveLimiterHint : 0
; COMPUTE_PGM_RSRC2:SCRATCH_EN: 0
; COMPUTE_PGM_RSRC2:USER_SGPR: 6
; COMPUTE_PGM_RSRC2:TRAP_HANDLER: 0
; COMPUTE_PGM_RSRC2:TGID_X_EN: 1
; COMPUTE_PGM_RSRC2:TGID_Y_EN: 0
; COMPUTE_PGM_RSRC2:TGID_Z_EN: 0
; COMPUTE_PGM_RSRC2:TIDIG_COMP_CNT: 0
	.section	.text._ZN7rocprim17ROCPRIM_400000_NS6detail17trampoline_kernelINS0_14default_configENS1_38merge_sort_block_merge_config_selectorIhlEEZZNS1_27merge_sort_block_merge_implIS3_PhN6thrust23THRUST_200600_302600_NS10device_ptrIlEEjNS1_19radix_merge_compareILb0ELb1EhNS0_19identity_decomposerEEEEE10hipError_tT0_T1_T2_jT3_P12ihipStream_tbPNSt15iterator_traitsISG_E10value_typeEPNSM_ISH_E10value_typeEPSI_NS1_7vsmem_tEENKUlT_SG_SH_SI_E_clIS7_S7_PlSB_EESF_SV_SG_SH_SI_EUlSV_E1_NS1_11comp_targetILNS1_3genE9ELNS1_11target_archE1100ELNS1_3gpuE3ELNS1_3repE0EEENS1_36merge_oddeven_config_static_selectorELNS0_4arch9wavefront6targetE1EEEvSH_,"axG",@progbits,_ZN7rocprim17ROCPRIM_400000_NS6detail17trampoline_kernelINS0_14default_configENS1_38merge_sort_block_merge_config_selectorIhlEEZZNS1_27merge_sort_block_merge_implIS3_PhN6thrust23THRUST_200600_302600_NS10device_ptrIlEEjNS1_19radix_merge_compareILb0ELb1EhNS0_19identity_decomposerEEEEE10hipError_tT0_T1_T2_jT3_P12ihipStream_tbPNSt15iterator_traitsISG_E10value_typeEPNSM_ISH_E10value_typeEPSI_NS1_7vsmem_tEENKUlT_SG_SH_SI_E_clIS7_S7_PlSB_EESF_SV_SG_SH_SI_EUlSV_E1_NS1_11comp_targetILNS1_3genE9ELNS1_11target_archE1100ELNS1_3gpuE3ELNS1_3repE0EEENS1_36merge_oddeven_config_static_selectorELNS0_4arch9wavefront6targetE1EEEvSH_,comdat
	.protected	_ZN7rocprim17ROCPRIM_400000_NS6detail17trampoline_kernelINS0_14default_configENS1_38merge_sort_block_merge_config_selectorIhlEEZZNS1_27merge_sort_block_merge_implIS3_PhN6thrust23THRUST_200600_302600_NS10device_ptrIlEEjNS1_19radix_merge_compareILb0ELb1EhNS0_19identity_decomposerEEEEE10hipError_tT0_T1_T2_jT3_P12ihipStream_tbPNSt15iterator_traitsISG_E10value_typeEPNSM_ISH_E10value_typeEPSI_NS1_7vsmem_tEENKUlT_SG_SH_SI_E_clIS7_S7_PlSB_EESF_SV_SG_SH_SI_EUlSV_E1_NS1_11comp_targetILNS1_3genE9ELNS1_11target_archE1100ELNS1_3gpuE3ELNS1_3repE0EEENS1_36merge_oddeven_config_static_selectorELNS0_4arch9wavefront6targetE1EEEvSH_ ; -- Begin function _ZN7rocprim17ROCPRIM_400000_NS6detail17trampoline_kernelINS0_14default_configENS1_38merge_sort_block_merge_config_selectorIhlEEZZNS1_27merge_sort_block_merge_implIS3_PhN6thrust23THRUST_200600_302600_NS10device_ptrIlEEjNS1_19radix_merge_compareILb0ELb1EhNS0_19identity_decomposerEEEEE10hipError_tT0_T1_T2_jT3_P12ihipStream_tbPNSt15iterator_traitsISG_E10value_typeEPNSM_ISH_E10value_typeEPSI_NS1_7vsmem_tEENKUlT_SG_SH_SI_E_clIS7_S7_PlSB_EESF_SV_SG_SH_SI_EUlSV_E1_NS1_11comp_targetILNS1_3genE9ELNS1_11target_archE1100ELNS1_3gpuE3ELNS1_3repE0EEENS1_36merge_oddeven_config_static_selectorELNS0_4arch9wavefront6targetE1EEEvSH_
	.globl	_ZN7rocprim17ROCPRIM_400000_NS6detail17trampoline_kernelINS0_14default_configENS1_38merge_sort_block_merge_config_selectorIhlEEZZNS1_27merge_sort_block_merge_implIS3_PhN6thrust23THRUST_200600_302600_NS10device_ptrIlEEjNS1_19radix_merge_compareILb0ELb1EhNS0_19identity_decomposerEEEEE10hipError_tT0_T1_T2_jT3_P12ihipStream_tbPNSt15iterator_traitsISG_E10value_typeEPNSM_ISH_E10value_typeEPSI_NS1_7vsmem_tEENKUlT_SG_SH_SI_E_clIS7_S7_PlSB_EESF_SV_SG_SH_SI_EUlSV_E1_NS1_11comp_targetILNS1_3genE9ELNS1_11target_archE1100ELNS1_3gpuE3ELNS1_3repE0EEENS1_36merge_oddeven_config_static_selectorELNS0_4arch9wavefront6targetE1EEEvSH_
	.p2align	8
	.type	_ZN7rocprim17ROCPRIM_400000_NS6detail17trampoline_kernelINS0_14default_configENS1_38merge_sort_block_merge_config_selectorIhlEEZZNS1_27merge_sort_block_merge_implIS3_PhN6thrust23THRUST_200600_302600_NS10device_ptrIlEEjNS1_19radix_merge_compareILb0ELb1EhNS0_19identity_decomposerEEEEE10hipError_tT0_T1_T2_jT3_P12ihipStream_tbPNSt15iterator_traitsISG_E10value_typeEPNSM_ISH_E10value_typeEPSI_NS1_7vsmem_tEENKUlT_SG_SH_SI_E_clIS7_S7_PlSB_EESF_SV_SG_SH_SI_EUlSV_E1_NS1_11comp_targetILNS1_3genE9ELNS1_11target_archE1100ELNS1_3gpuE3ELNS1_3repE0EEENS1_36merge_oddeven_config_static_selectorELNS0_4arch9wavefront6targetE1EEEvSH_,@function
_ZN7rocprim17ROCPRIM_400000_NS6detail17trampoline_kernelINS0_14default_configENS1_38merge_sort_block_merge_config_selectorIhlEEZZNS1_27merge_sort_block_merge_implIS3_PhN6thrust23THRUST_200600_302600_NS10device_ptrIlEEjNS1_19radix_merge_compareILb0ELb1EhNS0_19identity_decomposerEEEEE10hipError_tT0_T1_T2_jT3_P12ihipStream_tbPNSt15iterator_traitsISG_E10value_typeEPNSM_ISH_E10value_typeEPSI_NS1_7vsmem_tEENKUlT_SG_SH_SI_E_clIS7_S7_PlSB_EESF_SV_SG_SH_SI_EUlSV_E1_NS1_11comp_targetILNS1_3genE9ELNS1_11target_archE1100ELNS1_3gpuE3ELNS1_3repE0EEENS1_36merge_oddeven_config_static_selectorELNS0_4arch9wavefront6targetE1EEEvSH_: ; @_ZN7rocprim17ROCPRIM_400000_NS6detail17trampoline_kernelINS0_14default_configENS1_38merge_sort_block_merge_config_selectorIhlEEZZNS1_27merge_sort_block_merge_implIS3_PhN6thrust23THRUST_200600_302600_NS10device_ptrIlEEjNS1_19radix_merge_compareILb0ELb1EhNS0_19identity_decomposerEEEEE10hipError_tT0_T1_T2_jT3_P12ihipStream_tbPNSt15iterator_traitsISG_E10value_typeEPNSM_ISH_E10value_typeEPSI_NS1_7vsmem_tEENKUlT_SG_SH_SI_E_clIS7_S7_PlSB_EESF_SV_SG_SH_SI_EUlSV_E1_NS1_11comp_targetILNS1_3genE9ELNS1_11target_archE1100ELNS1_3gpuE3ELNS1_3repE0EEENS1_36merge_oddeven_config_static_selectorELNS0_4arch9wavefront6targetE1EEEvSH_
; %bb.0:
	.section	.rodata,"a",@progbits
	.p2align	6, 0x0
	.amdhsa_kernel _ZN7rocprim17ROCPRIM_400000_NS6detail17trampoline_kernelINS0_14default_configENS1_38merge_sort_block_merge_config_selectorIhlEEZZNS1_27merge_sort_block_merge_implIS3_PhN6thrust23THRUST_200600_302600_NS10device_ptrIlEEjNS1_19radix_merge_compareILb0ELb1EhNS0_19identity_decomposerEEEEE10hipError_tT0_T1_T2_jT3_P12ihipStream_tbPNSt15iterator_traitsISG_E10value_typeEPNSM_ISH_E10value_typeEPSI_NS1_7vsmem_tEENKUlT_SG_SH_SI_E_clIS7_S7_PlSB_EESF_SV_SG_SH_SI_EUlSV_E1_NS1_11comp_targetILNS1_3genE9ELNS1_11target_archE1100ELNS1_3gpuE3ELNS1_3repE0EEENS1_36merge_oddeven_config_static_selectorELNS0_4arch9wavefront6targetE1EEEvSH_
		.amdhsa_group_segment_fixed_size 0
		.amdhsa_private_segment_fixed_size 0
		.amdhsa_kernarg_size 48
		.amdhsa_user_sgpr_count 6
		.amdhsa_user_sgpr_private_segment_buffer 1
		.amdhsa_user_sgpr_dispatch_ptr 0
		.amdhsa_user_sgpr_queue_ptr 0
		.amdhsa_user_sgpr_kernarg_segment_ptr 1
		.amdhsa_user_sgpr_dispatch_id 0
		.amdhsa_user_sgpr_flat_scratch_init 0
		.amdhsa_user_sgpr_private_segment_size 0
		.amdhsa_uses_dynamic_stack 0
		.amdhsa_system_sgpr_private_segment_wavefront_offset 0
		.amdhsa_system_sgpr_workgroup_id_x 1
		.amdhsa_system_sgpr_workgroup_id_y 0
		.amdhsa_system_sgpr_workgroup_id_z 0
		.amdhsa_system_sgpr_workgroup_info 0
		.amdhsa_system_vgpr_workitem_id 0
		.amdhsa_next_free_vgpr 1
		.amdhsa_next_free_sgpr 0
		.amdhsa_reserve_vcc 0
		.amdhsa_reserve_flat_scratch 0
		.amdhsa_float_round_mode_32 0
		.amdhsa_float_round_mode_16_64 0
		.amdhsa_float_denorm_mode_32 3
		.amdhsa_float_denorm_mode_16_64 3
		.amdhsa_dx10_clamp 1
		.amdhsa_ieee_mode 1
		.amdhsa_fp16_overflow 0
		.amdhsa_exception_fp_ieee_invalid_op 0
		.amdhsa_exception_fp_denorm_src 0
		.amdhsa_exception_fp_ieee_div_zero 0
		.amdhsa_exception_fp_ieee_overflow 0
		.amdhsa_exception_fp_ieee_underflow 0
		.amdhsa_exception_fp_ieee_inexact 0
		.amdhsa_exception_int_div_zero 0
	.end_amdhsa_kernel
	.section	.text._ZN7rocprim17ROCPRIM_400000_NS6detail17trampoline_kernelINS0_14default_configENS1_38merge_sort_block_merge_config_selectorIhlEEZZNS1_27merge_sort_block_merge_implIS3_PhN6thrust23THRUST_200600_302600_NS10device_ptrIlEEjNS1_19radix_merge_compareILb0ELb1EhNS0_19identity_decomposerEEEEE10hipError_tT0_T1_T2_jT3_P12ihipStream_tbPNSt15iterator_traitsISG_E10value_typeEPNSM_ISH_E10value_typeEPSI_NS1_7vsmem_tEENKUlT_SG_SH_SI_E_clIS7_S7_PlSB_EESF_SV_SG_SH_SI_EUlSV_E1_NS1_11comp_targetILNS1_3genE9ELNS1_11target_archE1100ELNS1_3gpuE3ELNS1_3repE0EEENS1_36merge_oddeven_config_static_selectorELNS0_4arch9wavefront6targetE1EEEvSH_,"axG",@progbits,_ZN7rocprim17ROCPRIM_400000_NS6detail17trampoline_kernelINS0_14default_configENS1_38merge_sort_block_merge_config_selectorIhlEEZZNS1_27merge_sort_block_merge_implIS3_PhN6thrust23THRUST_200600_302600_NS10device_ptrIlEEjNS1_19radix_merge_compareILb0ELb1EhNS0_19identity_decomposerEEEEE10hipError_tT0_T1_T2_jT3_P12ihipStream_tbPNSt15iterator_traitsISG_E10value_typeEPNSM_ISH_E10value_typeEPSI_NS1_7vsmem_tEENKUlT_SG_SH_SI_E_clIS7_S7_PlSB_EESF_SV_SG_SH_SI_EUlSV_E1_NS1_11comp_targetILNS1_3genE9ELNS1_11target_archE1100ELNS1_3gpuE3ELNS1_3repE0EEENS1_36merge_oddeven_config_static_selectorELNS0_4arch9wavefront6targetE1EEEvSH_,comdat
.Lfunc_end211:
	.size	_ZN7rocprim17ROCPRIM_400000_NS6detail17trampoline_kernelINS0_14default_configENS1_38merge_sort_block_merge_config_selectorIhlEEZZNS1_27merge_sort_block_merge_implIS3_PhN6thrust23THRUST_200600_302600_NS10device_ptrIlEEjNS1_19radix_merge_compareILb0ELb1EhNS0_19identity_decomposerEEEEE10hipError_tT0_T1_T2_jT3_P12ihipStream_tbPNSt15iterator_traitsISG_E10value_typeEPNSM_ISH_E10value_typeEPSI_NS1_7vsmem_tEENKUlT_SG_SH_SI_E_clIS7_S7_PlSB_EESF_SV_SG_SH_SI_EUlSV_E1_NS1_11comp_targetILNS1_3genE9ELNS1_11target_archE1100ELNS1_3gpuE3ELNS1_3repE0EEENS1_36merge_oddeven_config_static_selectorELNS0_4arch9wavefront6targetE1EEEvSH_, .Lfunc_end211-_ZN7rocprim17ROCPRIM_400000_NS6detail17trampoline_kernelINS0_14default_configENS1_38merge_sort_block_merge_config_selectorIhlEEZZNS1_27merge_sort_block_merge_implIS3_PhN6thrust23THRUST_200600_302600_NS10device_ptrIlEEjNS1_19radix_merge_compareILb0ELb1EhNS0_19identity_decomposerEEEEE10hipError_tT0_T1_T2_jT3_P12ihipStream_tbPNSt15iterator_traitsISG_E10value_typeEPNSM_ISH_E10value_typeEPSI_NS1_7vsmem_tEENKUlT_SG_SH_SI_E_clIS7_S7_PlSB_EESF_SV_SG_SH_SI_EUlSV_E1_NS1_11comp_targetILNS1_3genE9ELNS1_11target_archE1100ELNS1_3gpuE3ELNS1_3repE0EEENS1_36merge_oddeven_config_static_selectorELNS0_4arch9wavefront6targetE1EEEvSH_
                                        ; -- End function
	.set _ZN7rocprim17ROCPRIM_400000_NS6detail17trampoline_kernelINS0_14default_configENS1_38merge_sort_block_merge_config_selectorIhlEEZZNS1_27merge_sort_block_merge_implIS3_PhN6thrust23THRUST_200600_302600_NS10device_ptrIlEEjNS1_19radix_merge_compareILb0ELb1EhNS0_19identity_decomposerEEEEE10hipError_tT0_T1_T2_jT3_P12ihipStream_tbPNSt15iterator_traitsISG_E10value_typeEPNSM_ISH_E10value_typeEPSI_NS1_7vsmem_tEENKUlT_SG_SH_SI_E_clIS7_S7_PlSB_EESF_SV_SG_SH_SI_EUlSV_E1_NS1_11comp_targetILNS1_3genE9ELNS1_11target_archE1100ELNS1_3gpuE3ELNS1_3repE0EEENS1_36merge_oddeven_config_static_selectorELNS0_4arch9wavefront6targetE1EEEvSH_.num_vgpr, 0
	.set _ZN7rocprim17ROCPRIM_400000_NS6detail17trampoline_kernelINS0_14default_configENS1_38merge_sort_block_merge_config_selectorIhlEEZZNS1_27merge_sort_block_merge_implIS3_PhN6thrust23THRUST_200600_302600_NS10device_ptrIlEEjNS1_19radix_merge_compareILb0ELb1EhNS0_19identity_decomposerEEEEE10hipError_tT0_T1_T2_jT3_P12ihipStream_tbPNSt15iterator_traitsISG_E10value_typeEPNSM_ISH_E10value_typeEPSI_NS1_7vsmem_tEENKUlT_SG_SH_SI_E_clIS7_S7_PlSB_EESF_SV_SG_SH_SI_EUlSV_E1_NS1_11comp_targetILNS1_3genE9ELNS1_11target_archE1100ELNS1_3gpuE3ELNS1_3repE0EEENS1_36merge_oddeven_config_static_selectorELNS0_4arch9wavefront6targetE1EEEvSH_.num_agpr, 0
	.set _ZN7rocprim17ROCPRIM_400000_NS6detail17trampoline_kernelINS0_14default_configENS1_38merge_sort_block_merge_config_selectorIhlEEZZNS1_27merge_sort_block_merge_implIS3_PhN6thrust23THRUST_200600_302600_NS10device_ptrIlEEjNS1_19radix_merge_compareILb0ELb1EhNS0_19identity_decomposerEEEEE10hipError_tT0_T1_T2_jT3_P12ihipStream_tbPNSt15iterator_traitsISG_E10value_typeEPNSM_ISH_E10value_typeEPSI_NS1_7vsmem_tEENKUlT_SG_SH_SI_E_clIS7_S7_PlSB_EESF_SV_SG_SH_SI_EUlSV_E1_NS1_11comp_targetILNS1_3genE9ELNS1_11target_archE1100ELNS1_3gpuE3ELNS1_3repE0EEENS1_36merge_oddeven_config_static_selectorELNS0_4arch9wavefront6targetE1EEEvSH_.numbered_sgpr, 0
	.set _ZN7rocprim17ROCPRIM_400000_NS6detail17trampoline_kernelINS0_14default_configENS1_38merge_sort_block_merge_config_selectorIhlEEZZNS1_27merge_sort_block_merge_implIS3_PhN6thrust23THRUST_200600_302600_NS10device_ptrIlEEjNS1_19radix_merge_compareILb0ELb1EhNS0_19identity_decomposerEEEEE10hipError_tT0_T1_T2_jT3_P12ihipStream_tbPNSt15iterator_traitsISG_E10value_typeEPNSM_ISH_E10value_typeEPSI_NS1_7vsmem_tEENKUlT_SG_SH_SI_E_clIS7_S7_PlSB_EESF_SV_SG_SH_SI_EUlSV_E1_NS1_11comp_targetILNS1_3genE9ELNS1_11target_archE1100ELNS1_3gpuE3ELNS1_3repE0EEENS1_36merge_oddeven_config_static_selectorELNS0_4arch9wavefront6targetE1EEEvSH_.num_named_barrier, 0
	.set _ZN7rocprim17ROCPRIM_400000_NS6detail17trampoline_kernelINS0_14default_configENS1_38merge_sort_block_merge_config_selectorIhlEEZZNS1_27merge_sort_block_merge_implIS3_PhN6thrust23THRUST_200600_302600_NS10device_ptrIlEEjNS1_19radix_merge_compareILb0ELb1EhNS0_19identity_decomposerEEEEE10hipError_tT0_T1_T2_jT3_P12ihipStream_tbPNSt15iterator_traitsISG_E10value_typeEPNSM_ISH_E10value_typeEPSI_NS1_7vsmem_tEENKUlT_SG_SH_SI_E_clIS7_S7_PlSB_EESF_SV_SG_SH_SI_EUlSV_E1_NS1_11comp_targetILNS1_3genE9ELNS1_11target_archE1100ELNS1_3gpuE3ELNS1_3repE0EEENS1_36merge_oddeven_config_static_selectorELNS0_4arch9wavefront6targetE1EEEvSH_.private_seg_size, 0
	.set _ZN7rocprim17ROCPRIM_400000_NS6detail17trampoline_kernelINS0_14default_configENS1_38merge_sort_block_merge_config_selectorIhlEEZZNS1_27merge_sort_block_merge_implIS3_PhN6thrust23THRUST_200600_302600_NS10device_ptrIlEEjNS1_19radix_merge_compareILb0ELb1EhNS0_19identity_decomposerEEEEE10hipError_tT0_T1_T2_jT3_P12ihipStream_tbPNSt15iterator_traitsISG_E10value_typeEPNSM_ISH_E10value_typeEPSI_NS1_7vsmem_tEENKUlT_SG_SH_SI_E_clIS7_S7_PlSB_EESF_SV_SG_SH_SI_EUlSV_E1_NS1_11comp_targetILNS1_3genE9ELNS1_11target_archE1100ELNS1_3gpuE3ELNS1_3repE0EEENS1_36merge_oddeven_config_static_selectorELNS0_4arch9wavefront6targetE1EEEvSH_.uses_vcc, 0
	.set _ZN7rocprim17ROCPRIM_400000_NS6detail17trampoline_kernelINS0_14default_configENS1_38merge_sort_block_merge_config_selectorIhlEEZZNS1_27merge_sort_block_merge_implIS3_PhN6thrust23THRUST_200600_302600_NS10device_ptrIlEEjNS1_19radix_merge_compareILb0ELb1EhNS0_19identity_decomposerEEEEE10hipError_tT0_T1_T2_jT3_P12ihipStream_tbPNSt15iterator_traitsISG_E10value_typeEPNSM_ISH_E10value_typeEPSI_NS1_7vsmem_tEENKUlT_SG_SH_SI_E_clIS7_S7_PlSB_EESF_SV_SG_SH_SI_EUlSV_E1_NS1_11comp_targetILNS1_3genE9ELNS1_11target_archE1100ELNS1_3gpuE3ELNS1_3repE0EEENS1_36merge_oddeven_config_static_selectorELNS0_4arch9wavefront6targetE1EEEvSH_.uses_flat_scratch, 0
	.set _ZN7rocprim17ROCPRIM_400000_NS6detail17trampoline_kernelINS0_14default_configENS1_38merge_sort_block_merge_config_selectorIhlEEZZNS1_27merge_sort_block_merge_implIS3_PhN6thrust23THRUST_200600_302600_NS10device_ptrIlEEjNS1_19radix_merge_compareILb0ELb1EhNS0_19identity_decomposerEEEEE10hipError_tT0_T1_T2_jT3_P12ihipStream_tbPNSt15iterator_traitsISG_E10value_typeEPNSM_ISH_E10value_typeEPSI_NS1_7vsmem_tEENKUlT_SG_SH_SI_E_clIS7_S7_PlSB_EESF_SV_SG_SH_SI_EUlSV_E1_NS1_11comp_targetILNS1_3genE9ELNS1_11target_archE1100ELNS1_3gpuE3ELNS1_3repE0EEENS1_36merge_oddeven_config_static_selectorELNS0_4arch9wavefront6targetE1EEEvSH_.has_dyn_sized_stack, 0
	.set _ZN7rocprim17ROCPRIM_400000_NS6detail17trampoline_kernelINS0_14default_configENS1_38merge_sort_block_merge_config_selectorIhlEEZZNS1_27merge_sort_block_merge_implIS3_PhN6thrust23THRUST_200600_302600_NS10device_ptrIlEEjNS1_19radix_merge_compareILb0ELb1EhNS0_19identity_decomposerEEEEE10hipError_tT0_T1_T2_jT3_P12ihipStream_tbPNSt15iterator_traitsISG_E10value_typeEPNSM_ISH_E10value_typeEPSI_NS1_7vsmem_tEENKUlT_SG_SH_SI_E_clIS7_S7_PlSB_EESF_SV_SG_SH_SI_EUlSV_E1_NS1_11comp_targetILNS1_3genE9ELNS1_11target_archE1100ELNS1_3gpuE3ELNS1_3repE0EEENS1_36merge_oddeven_config_static_selectorELNS0_4arch9wavefront6targetE1EEEvSH_.has_recursion, 0
	.set _ZN7rocprim17ROCPRIM_400000_NS6detail17trampoline_kernelINS0_14default_configENS1_38merge_sort_block_merge_config_selectorIhlEEZZNS1_27merge_sort_block_merge_implIS3_PhN6thrust23THRUST_200600_302600_NS10device_ptrIlEEjNS1_19radix_merge_compareILb0ELb1EhNS0_19identity_decomposerEEEEE10hipError_tT0_T1_T2_jT3_P12ihipStream_tbPNSt15iterator_traitsISG_E10value_typeEPNSM_ISH_E10value_typeEPSI_NS1_7vsmem_tEENKUlT_SG_SH_SI_E_clIS7_S7_PlSB_EESF_SV_SG_SH_SI_EUlSV_E1_NS1_11comp_targetILNS1_3genE9ELNS1_11target_archE1100ELNS1_3gpuE3ELNS1_3repE0EEENS1_36merge_oddeven_config_static_selectorELNS0_4arch9wavefront6targetE1EEEvSH_.has_indirect_call, 0
	.section	.AMDGPU.csdata,"",@progbits
; Kernel info:
; codeLenInByte = 0
; TotalNumSgprs: 4
; NumVgprs: 0
; ScratchSize: 0
; MemoryBound: 0
; FloatMode: 240
; IeeeMode: 1
; LDSByteSize: 0 bytes/workgroup (compile time only)
; SGPRBlocks: 0
; VGPRBlocks: 0
; NumSGPRsForWavesPerEU: 4
; NumVGPRsForWavesPerEU: 1
; Occupancy: 10
; WaveLimiterHint : 0
; COMPUTE_PGM_RSRC2:SCRATCH_EN: 0
; COMPUTE_PGM_RSRC2:USER_SGPR: 6
; COMPUTE_PGM_RSRC2:TRAP_HANDLER: 0
; COMPUTE_PGM_RSRC2:TGID_X_EN: 1
; COMPUTE_PGM_RSRC2:TGID_Y_EN: 0
; COMPUTE_PGM_RSRC2:TGID_Z_EN: 0
; COMPUTE_PGM_RSRC2:TIDIG_COMP_CNT: 0
	.section	.text._ZN7rocprim17ROCPRIM_400000_NS6detail17trampoline_kernelINS0_14default_configENS1_38merge_sort_block_merge_config_selectorIhlEEZZNS1_27merge_sort_block_merge_implIS3_PhN6thrust23THRUST_200600_302600_NS10device_ptrIlEEjNS1_19radix_merge_compareILb0ELb1EhNS0_19identity_decomposerEEEEE10hipError_tT0_T1_T2_jT3_P12ihipStream_tbPNSt15iterator_traitsISG_E10value_typeEPNSM_ISH_E10value_typeEPSI_NS1_7vsmem_tEENKUlT_SG_SH_SI_E_clIS7_S7_PlSB_EESF_SV_SG_SH_SI_EUlSV_E1_NS1_11comp_targetILNS1_3genE8ELNS1_11target_archE1030ELNS1_3gpuE2ELNS1_3repE0EEENS1_36merge_oddeven_config_static_selectorELNS0_4arch9wavefront6targetE1EEEvSH_,"axG",@progbits,_ZN7rocprim17ROCPRIM_400000_NS6detail17trampoline_kernelINS0_14default_configENS1_38merge_sort_block_merge_config_selectorIhlEEZZNS1_27merge_sort_block_merge_implIS3_PhN6thrust23THRUST_200600_302600_NS10device_ptrIlEEjNS1_19radix_merge_compareILb0ELb1EhNS0_19identity_decomposerEEEEE10hipError_tT0_T1_T2_jT3_P12ihipStream_tbPNSt15iterator_traitsISG_E10value_typeEPNSM_ISH_E10value_typeEPSI_NS1_7vsmem_tEENKUlT_SG_SH_SI_E_clIS7_S7_PlSB_EESF_SV_SG_SH_SI_EUlSV_E1_NS1_11comp_targetILNS1_3genE8ELNS1_11target_archE1030ELNS1_3gpuE2ELNS1_3repE0EEENS1_36merge_oddeven_config_static_selectorELNS0_4arch9wavefront6targetE1EEEvSH_,comdat
	.protected	_ZN7rocprim17ROCPRIM_400000_NS6detail17trampoline_kernelINS0_14default_configENS1_38merge_sort_block_merge_config_selectorIhlEEZZNS1_27merge_sort_block_merge_implIS3_PhN6thrust23THRUST_200600_302600_NS10device_ptrIlEEjNS1_19radix_merge_compareILb0ELb1EhNS0_19identity_decomposerEEEEE10hipError_tT0_T1_T2_jT3_P12ihipStream_tbPNSt15iterator_traitsISG_E10value_typeEPNSM_ISH_E10value_typeEPSI_NS1_7vsmem_tEENKUlT_SG_SH_SI_E_clIS7_S7_PlSB_EESF_SV_SG_SH_SI_EUlSV_E1_NS1_11comp_targetILNS1_3genE8ELNS1_11target_archE1030ELNS1_3gpuE2ELNS1_3repE0EEENS1_36merge_oddeven_config_static_selectorELNS0_4arch9wavefront6targetE1EEEvSH_ ; -- Begin function _ZN7rocprim17ROCPRIM_400000_NS6detail17trampoline_kernelINS0_14default_configENS1_38merge_sort_block_merge_config_selectorIhlEEZZNS1_27merge_sort_block_merge_implIS3_PhN6thrust23THRUST_200600_302600_NS10device_ptrIlEEjNS1_19radix_merge_compareILb0ELb1EhNS0_19identity_decomposerEEEEE10hipError_tT0_T1_T2_jT3_P12ihipStream_tbPNSt15iterator_traitsISG_E10value_typeEPNSM_ISH_E10value_typeEPSI_NS1_7vsmem_tEENKUlT_SG_SH_SI_E_clIS7_S7_PlSB_EESF_SV_SG_SH_SI_EUlSV_E1_NS1_11comp_targetILNS1_3genE8ELNS1_11target_archE1030ELNS1_3gpuE2ELNS1_3repE0EEENS1_36merge_oddeven_config_static_selectorELNS0_4arch9wavefront6targetE1EEEvSH_
	.globl	_ZN7rocprim17ROCPRIM_400000_NS6detail17trampoline_kernelINS0_14default_configENS1_38merge_sort_block_merge_config_selectorIhlEEZZNS1_27merge_sort_block_merge_implIS3_PhN6thrust23THRUST_200600_302600_NS10device_ptrIlEEjNS1_19radix_merge_compareILb0ELb1EhNS0_19identity_decomposerEEEEE10hipError_tT0_T1_T2_jT3_P12ihipStream_tbPNSt15iterator_traitsISG_E10value_typeEPNSM_ISH_E10value_typeEPSI_NS1_7vsmem_tEENKUlT_SG_SH_SI_E_clIS7_S7_PlSB_EESF_SV_SG_SH_SI_EUlSV_E1_NS1_11comp_targetILNS1_3genE8ELNS1_11target_archE1030ELNS1_3gpuE2ELNS1_3repE0EEENS1_36merge_oddeven_config_static_selectorELNS0_4arch9wavefront6targetE1EEEvSH_
	.p2align	8
	.type	_ZN7rocprim17ROCPRIM_400000_NS6detail17trampoline_kernelINS0_14default_configENS1_38merge_sort_block_merge_config_selectorIhlEEZZNS1_27merge_sort_block_merge_implIS3_PhN6thrust23THRUST_200600_302600_NS10device_ptrIlEEjNS1_19radix_merge_compareILb0ELb1EhNS0_19identity_decomposerEEEEE10hipError_tT0_T1_T2_jT3_P12ihipStream_tbPNSt15iterator_traitsISG_E10value_typeEPNSM_ISH_E10value_typeEPSI_NS1_7vsmem_tEENKUlT_SG_SH_SI_E_clIS7_S7_PlSB_EESF_SV_SG_SH_SI_EUlSV_E1_NS1_11comp_targetILNS1_3genE8ELNS1_11target_archE1030ELNS1_3gpuE2ELNS1_3repE0EEENS1_36merge_oddeven_config_static_selectorELNS0_4arch9wavefront6targetE1EEEvSH_,@function
_ZN7rocprim17ROCPRIM_400000_NS6detail17trampoline_kernelINS0_14default_configENS1_38merge_sort_block_merge_config_selectorIhlEEZZNS1_27merge_sort_block_merge_implIS3_PhN6thrust23THRUST_200600_302600_NS10device_ptrIlEEjNS1_19radix_merge_compareILb0ELb1EhNS0_19identity_decomposerEEEEE10hipError_tT0_T1_T2_jT3_P12ihipStream_tbPNSt15iterator_traitsISG_E10value_typeEPNSM_ISH_E10value_typeEPSI_NS1_7vsmem_tEENKUlT_SG_SH_SI_E_clIS7_S7_PlSB_EESF_SV_SG_SH_SI_EUlSV_E1_NS1_11comp_targetILNS1_3genE8ELNS1_11target_archE1030ELNS1_3gpuE2ELNS1_3repE0EEENS1_36merge_oddeven_config_static_selectorELNS0_4arch9wavefront6targetE1EEEvSH_: ; @_ZN7rocprim17ROCPRIM_400000_NS6detail17trampoline_kernelINS0_14default_configENS1_38merge_sort_block_merge_config_selectorIhlEEZZNS1_27merge_sort_block_merge_implIS3_PhN6thrust23THRUST_200600_302600_NS10device_ptrIlEEjNS1_19radix_merge_compareILb0ELb1EhNS0_19identity_decomposerEEEEE10hipError_tT0_T1_T2_jT3_P12ihipStream_tbPNSt15iterator_traitsISG_E10value_typeEPNSM_ISH_E10value_typeEPSI_NS1_7vsmem_tEENKUlT_SG_SH_SI_E_clIS7_S7_PlSB_EESF_SV_SG_SH_SI_EUlSV_E1_NS1_11comp_targetILNS1_3genE8ELNS1_11target_archE1030ELNS1_3gpuE2ELNS1_3repE0EEENS1_36merge_oddeven_config_static_selectorELNS0_4arch9wavefront6targetE1EEEvSH_
; %bb.0:
	.section	.rodata,"a",@progbits
	.p2align	6, 0x0
	.amdhsa_kernel _ZN7rocprim17ROCPRIM_400000_NS6detail17trampoline_kernelINS0_14default_configENS1_38merge_sort_block_merge_config_selectorIhlEEZZNS1_27merge_sort_block_merge_implIS3_PhN6thrust23THRUST_200600_302600_NS10device_ptrIlEEjNS1_19radix_merge_compareILb0ELb1EhNS0_19identity_decomposerEEEEE10hipError_tT0_T1_T2_jT3_P12ihipStream_tbPNSt15iterator_traitsISG_E10value_typeEPNSM_ISH_E10value_typeEPSI_NS1_7vsmem_tEENKUlT_SG_SH_SI_E_clIS7_S7_PlSB_EESF_SV_SG_SH_SI_EUlSV_E1_NS1_11comp_targetILNS1_3genE8ELNS1_11target_archE1030ELNS1_3gpuE2ELNS1_3repE0EEENS1_36merge_oddeven_config_static_selectorELNS0_4arch9wavefront6targetE1EEEvSH_
		.amdhsa_group_segment_fixed_size 0
		.amdhsa_private_segment_fixed_size 0
		.amdhsa_kernarg_size 48
		.amdhsa_user_sgpr_count 6
		.amdhsa_user_sgpr_private_segment_buffer 1
		.amdhsa_user_sgpr_dispatch_ptr 0
		.amdhsa_user_sgpr_queue_ptr 0
		.amdhsa_user_sgpr_kernarg_segment_ptr 1
		.amdhsa_user_sgpr_dispatch_id 0
		.amdhsa_user_sgpr_flat_scratch_init 0
		.amdhsa_user_sgpr_private_segment_size 0
		.amdhsa_uses_dynamic_stack 0
		.amdhsa_system_sgpr_private_segment_wavefront_offset 0
		.amdhsa_system_sgpr_workgroup_id_x 1
		.amdhsa_system_sgpr_workgroup_id_y 0
		.amdhsa_system_sgpr_workgroup_id_z 0
		.amdhsa_system_sgpr_workgroup_info 0
		.amdhsa_system_vgpr_workitem_id 0
		.amdhsa_next_free_vgpr 1
		.amdhsa_next_free_sgpr 0
		.amdhsa_reserve_vcc 0
		.amdhsa_reserve_flat_scratch 0
		.amdhsa_float_round_mode_32 0
		.amdhsa_float_round_mode_16_64 0
		.amdhsa_float_denorm_mode_32 3
		.amdhsa_float_denorm_mode_16_64 3
		.amdhsa_dx10_clamp 1
		.amdhsa_ieee_mode 1
		.amdhsa_fp16_overflow 0
		.amdhsa_exception_fp_ieee_invalid_op 0
		.amdhsa_exception_fp_denorm_src 0
		.amdhsa_exception_fp_ieee_div_zero 0
		.amdhsa_exception_fp_ieee_overflow 0
		.amdhsa_exception_fp_ieee_underflow 0
		.amdhsa_exception_fp_ieee_inexact 0
		.amdhsa_exception_int_div_zero 0
	.end_amdhsa_kernel
	.section	.text._ZN7rocprim17ROCPRIM_400000_NS6detail17trampoline_kernelINS0_14default_configENS1_38merge_sort_block_merge_config_selectorIhlEEZZNS1_27merge_sort_block_merge_implIS3_PhN6thrust23THRUST_200600_302600_NS10device_ptrIlEEjNS1_19radix_merge_compareILb0ELb1EhNS0_19identity_decomposerEEEEE10hipError_tT0_T1_T2_jT3_P12ihipStream_tbPNSt15iterator_traitsISG_E10value_typeEPNSM_ISH_E10value_typeEPSI_NS1_7vsmem_tEENKUlT_SG_SH_SI_E_clIS7_S7_PlSB_EESF_SV_SG_SH_SI_EUlSV_E1_NS1_11comp_targetILNS1_3genE8ELNS1_11target_archE1030ELNS1_3gpuE2ELNS1_3repE0EEENS1_36merge_oddeven_config_static_selectorELNS0_4arch9wavefront6targetE1EEEvSH_,"axG",@progbits,_ZN7rocprim17ROCPRIM_400000_NS6detail17trampoline_kernelINS0_14default_configENS1_38merge_sort_block_merge_config_selectorIhlEEZZNS1_27merge_sort_block_merge_implIS3_PhN6thrust23THRUST_200600_302600_NS10device_ptrIlEEjNS1_19radix_merge_compareILb0ELb1EhNS0_19identity_decomposerEEEEE10hipError_tT0_T1_T2_jT3_P12ihipStream_tbPNSt15iterator_traitsISG_E10value_typeEPNSM_ISH_E10value_typeEPSI_NS1_7vsmem_tEENKUlT_SG_SH_SI_E_clIS7_S7_PlSB_EESF_SV_SG_SH_SI_EUlSV_E1_NS1_11comp_targetILNS1_3genE8ELNS1_11target_archE1030ELNS1_3gpuE2ELNS1_3repE0EEENS1_36merge_oddeven_config_static_selectorELNS0_4arch9wavefront6targetE1EEEvSH_,comdat
.Lfunc_end212:
	.size	_ZN7rocprim17ROCPRIM_400000_NS6detail17trampoline_kernelINS0_14default_configENS1_38merge_sort_block_merge_config_selectorIhlEEZZNS1_27merge_sort_block_merge_implIS3_PhN6thrust23THRUST_200600_302600_NS10device_ptrIlEEjNS1_19radix_merge_compareILb0ELb1EhNS0_19identity_decomposerEEEEE10hipError_tT0_T1_T2_jT3_P12ihipStream_tbPNSt15iterator_traitsISG_E10value_typeEPNSM_ISH_E10value_typeEPSI_NS1_7vsmem_tEENKUlT_SG_SH_SI_E_clIS7_S7_PlSB_EESF_SV_SG_SH_SI_EUlSV_E1_NS1_11comp_targetILNS1_3genE8ELNS1_11target_archE1030ELNS1_3gpuE2ELNS1_3repE0EEENS1_36merge_oddeven_config_static_selectorELNS0_4arch9wavefront6targetE1EEEvSH_, .Lfunc_end212-_ZN7rocprim17ROCPRIM_400000_NS6detail17trampoline_kernelINS0_14default_configENS1_38merge_sort_block_merge_config_selectorIhlEEZZNS1_27merge_sort_block_merge_implIS3_PhN6thrust23THRUST_200600_302600_NS10device_ptrIlEEjNS1_19radix_merge_compareILb0ELb1EhNS0_19identity_decomposerEEEEE10hipError_tT0_T1_T2_jT3_P12ihipStream_tbPNSt15iterator_traitsISG_E10value_typeEPNSM_ISH_E10value_typeEPSI_NS1_7vsmem_tEENKUlT_SG_SH_SI_E_clIS7_S7_PlSB_EESF_SV_SG_SH_SI_EUlSV_E1_NS1_11comp_targetILNS1_3genE8ELNS1_11target_archE1030ELNS1_3gpuE2ELNS1_3repE0EEENS1_36merge_oddeven_config_static_selectorELNS0_4arch9wavefront6targetE1EEEvSH_
                                        ; -- End function
	.set _ZN7rocprim17ROCPRIM_400000_NS6detail17trampoline_kernelINS0_14default_configENS1_38merge_sort_block_merge_config_selectorIhlEEZZNS1_27merge_sort_block_merge_implIS3_PhN6thrust23THRUST_200600_302600_NS10device_ptrIlEEjNS1_19radix_merge_compareILb0ELb1EhNS0_19identity_decomposerEEEEE10hipError_tT0_T1_T2_jT3_P12ihipStream_tbPNSt15iterator_traitsISG_E10value_typeEPNSM_ISH_E10value_typeEPSI_NS1_7vsmem_tEENKUlT_SG_SH_SI_E_clIS7_S7_PlSB_EESF_SV_SG_SH_SI_EUlSV_E1_NS1_11comp_targetILNS1_3genE8ELNS1_11target_archE1030ELNS1_3gpuE2ELNS1_3repE0EEENS1_36merge_oddeven_config_static_selectorELNS0_4arch9wavefront6targetE1EEEvSH_.num_vgpr, 0
	.set _ZN7rocprim17ROCPRIM_400000_NS6detail17trampoline_kernelINS0_14default_configENS1_38merge_sort_block_merge_config_selectorIhlEEZZNS1_27merge_sort_block_merge_implIS3_PhN6thrust23THRUST_200600_302600_NS10device_ptrIlEEjNS1_19radix_merge_compareILb0ELb1EhNS0_19identity_decomposerEEEEE10hipError_tT0_T1_T2_jT3_P12ihipStream_tbPNSt15iterator_traitsISG_E10value_typeEPNSM_ISH_E10value_typeEPSI_NS1_7vsmem_tEENKUlT_SG_SH_SI_E_clIS7_S7_PlSB_EESF_SV_SG_SH_SI_EUlSV_E1_NS1_11comp_targetILNS1_3genE8ELNS1_11target_archE1030ELNS1_3gpuE2ELNS1_3repE0EEENS1_36merge_oddeven_config_static_selectorELNS0_4arch9wavefront6targetE1EEEvSH_.num_agpr, 0
	.set _ZN7rocprim17ROCPRIM_400000_NS6detail17trampoline_kernelINS0_14default_configENS1_38merge_sort_block_merge_config_selectorIhlEEZZNS1_27merge_sort_block_merge_implIS3_PhN6thrust23THRUST_200600_302600_NS10device_ptrIlEEjNS1_19radix_merge_compareILb0ELb1EhNS0_19identity_decomposerEEEEE10hipError_tT0_T1_T2_jT3_P12ihipStream_tbPNSt15iterator_traitsISG_E10value_typeEPNSM_ISH_E10value_typeEPSI_NS1_7vsmem_tEENKUlT_SG_SH_SI_E_clIS7_S7_PlSB_EESF_SV_SG_SH_SI_EUlSV_E1_NS1_11comp_targetILNS1_3genE8ELNS1_11target_archE1030ELNS1_3gpuE2ELNS1_3repE0EEENS1_36merge_oddeven_config_static_selectorELNS0_4arch9wavefront6targetE1EEEvSH_.numbered_sgpr, 0
	.set _ZN7rocprim17ROCPRIM_400000_NS6detail17trampoline_kernelINS0_14default_configENS1_38merge_sort_block_merge_config_selectorIhlEEZZNS1_27merge_sort_block_merge_implIS3_PhN6thrust23THRUST_200600_302600_NS10device_ptrIlEEjNS1_19radix_merge_compareILb0ELb1EhNS0_19identity_decomposerEEEEE10hipError_tT0_T1_T2_jT3_P12ihipStream_tbPNSt15iterator_traitsISG_E10value_typeEPNSM_ISH_E10value_typeEPSI_NS1_7vsmem_tEENKUlT_SG_SH_SI_E_clIS7_S7_PlSB_EESF_SV_SG_SH_SI_EUlSV_E1_NS1_11comp_targetILNS1_3genE8ELNS1_11target_archE1030ELNS1_3gpuE2ELNS1_3repE0EEENS1_36merge_oddeven_config_static_selectorELNS0_4arch9wavefront6targetE1EEEvSH_.num_named_barrier, 0
	.set _ZN7rocprim17ROCPRIM_400000_NS6detail17trampoline_kernelINS0_14default_configENS1_38merge_sort_block_merge_config_selectorIhlEEZZNS1_27merge_sort_block_merge_implIS3_PhN6thrust23THRUST_200600_302600_NS10device_ptrIlEEjNS1_19radix_merge_compareILb0ELb1EhNS0_19identity_decomposerEEEEE10hipError_tT0_T1_T2_jT3_P12ihipStream_tbPNSt15iterator_traitsISG_E10value_typeEPNSM_ISH_E10value_typeEPSI_NS1_7vsmem_tEENKUlT_SG_SH_SI_E_clIS7_S7_PlSB_EESF_SV_SG_SH_SI_EUlSV_E1_NS1_11comp_targetILNS1_3genE8ELNS1_11target_archE1030ELNS1_3gpuE2ELNS1_3repE0EEENS1_36merge_oddeven_config_static_selectorELNS0_4arch9wavefront6targetE1EEEvSH_.private_seg_size, 0
	.set _ZN7rocprim17ROCPRIM_400000_NS6detail17trampoline_kernelINS0_14default_configENS1_38merge_sort_block_merge_config_selectorIhlEEZZNS1_27merge_sort_block_merge_implIS3_PhN6thrust23THRUST_200600_302600_NS10device_ptrIlEEjNS1_19radix_merge_compareILb0ELb1EhNS0_19identity_decomposerEEEEE10hipError_tT0_T1_T2_jT3_P12ihipStream_tbPNSt15iterator_traitsISG_E10value_typeEPNSM_ISH_E10value_typeEPSI_NS1_7vsmem_tEENKUlT_SG_SH_SI_E_clIS7_S7_PlSB_EESF_SV_SG_SH_SI_EUlSV_E1_NS1_11comp_targetILNS1_3genE8ELNS1_11target_archE1030ELNS1_3gpuE2ELNS1_3repE0EEENS1_36merge_oddeven_config_static_selectorELNS0_4arch9wavefront6targetE1EEEvSH_.uses_vcc, 0
	.set _ZN7rocprim17ROCPRIM_400000_NS6detail17trampoline_kernelINS0_14default_configENS1_38merge_sort_block_merge_config_selectorIhlEEZZNS1_27merge_sort_block_merge_implIS3_PhN6thrust23THRUST_200600_302600_NS10device_ptrIlEEjNS1_19radix_merge_compareILb0ELb1EhNS0_19identity_decomposerEEEEE10hipError_tT0_T1_T2_jT3_P12ihipStream_tbPNSt15iterator_traitsISG_E10value_typeEPNSM_ISH_E10value_typeEPSI_NS1_7vsmem_tEENKUlT_SG_SH_SI_E_clIS7_S7_PlSB_EESF_SV_SG_SH_SI_EUlSV_E1_NS1_11comp_targetILNS1_3genE8ELNS1_11target_archE1030ELNS1_3gpuE2ELNS1_3repE0EEENS1_36merge_oddeven_config_static_selectorELNS0_4arch9wavefront6targetE1EEEvSH_.uses_flat_scratch, 0
	.set _ZN7rocprim17ROCPRIM_400000_NS6detail17trampoline_kernelINS0_14default_configENS1_38merge_sort_block_merge_config_selectorIhlEEZZNS1_27merge_sort_block_merge_implIS3_PhN6thrust23THRUST_200600_302600_NS10device_ptrIlEEjNS1_19radix_merge_compareILb0ELb1EhNS0_19identity_decomposerEEEEE10hipError_tT0_T1_T2_jT3_P12ihipStream_tbPNSt15iterator_traitsISG_E10value_typeEPNSM_ISH_E10value_typeEPSI_NS1_7vsmem_tEENKUlT_SG_SH_SI_E_clIS7_S7_PlSB_EESF_SV_SG_SH_SI_EUlSV_E1_NS1_11comp_targetILNS1_3genE8ELNS1_11target_archE1030ELNS1_3gpuE2ELNS1_3repE0EEENS1_36merge_oddeven_config_static_selectorELNS0_4arch9wavefront6targetE1EEEvSH_.has_dyn_sized_stack, 0
	.set _ZN7rocprim17ROCPRIM_400000_NS6detail17trampoline_kernelINS0_14default_configENS1_38merge_sort_block_merge_config_selectorIhlEEZZNS1_27merge_sort_block_merge_implIS3_PhN6thrust23THRUST_200600_302600_NS10device_ptrIlEEjNS1_19radix_merge_compareILb0ELb1EhNS0_19identity_decomposerEEEEE10hipError_tT0_T1_T2_jT3_P12ihipStream_tbPNSt15iterator_traitsISG_E10value_typeEPNSM_ISH_E10value_typeEPSI_NS1_7vsmem_tEENKUlT_SG_SH_SI_E_clIS7_S7_PlSB_EESF_SV_SG_SH_SI_EUlSV_E1_NS1_11comp_targetILNS1_3genE8ELNS1_11target_archE1030ELNS1_3gpuE2ELNS1_3repE0EEENS1_36merge_oddeven_config_static_selectorELNS0_4arch9wavefront6targetE1EEEvSH_.has_recursion, 0
	.set _ZN7rocprim17ROCPRIM_400000_NS6detail17trampoline_kernelINS0_14default_configENS1_38merge_sort_block_merge_config_selectorIhlEEZZNS1_27merge_sort_block_merge_implIS3_PhN6thrust23THRUST_200600_302600_NS10device_ptrIlEEjNS1_19radix_merge_compareILb0ELb1EhNS0_19identity_decomposerEEEEE10hipError_tT0_T1_T2_jT3_P12ihipStream_tbPNSt15iterator_traitsISG_E10value_typeEPNSM_ISH_E10value_typeEPSI_NS1_7vsmem_tEENKUlT_SG_SH_SI_E_clIS7_S7_PlSB_EESF_SV_SG_SH_SI_EUlSV_E1_NS1_11comp_targetILNS1_3genE8ELNS1_11target_archE1030ELNS1_3gpuE2ELNS1_3repE0EEENS1_36merge_oddeven_config_static_selectorELNS0_4arch9wavefront6targetE1EEEvSH_.has_indirect_call, 0
	.section	.AMDGPU.csdata,"",@progbits
; Kernel info:
; codeLenInByte = 0
; TotalNumSgprs: 4
; NumVgprs: 0
; ScratchSize: 0
; MemoryBound: 0
; FloatMode: 240
; IeeeMode: 1
; LDSByteSize: 0 bytes/workgroup (compile time only)
; SGPRBlocks: 0
; VGPRBlocks: 0
; NumSGPRsForWavesPerEU: 4
; NumVGPRsForWavesPerEU: 1
; Occupancy: 10
; WaveLimiterHint : 0
; COMPUTE_PGM_RSRC2:SCRATCH_EN: 0
; COMPUTE_PGM_RSRC2:USER_SGPR: 6
; COMPUTE_PGM_RSRC2:TRAP_HANDLER: 0
; COMPUTE_PGM_RSRC2:TGID_X_EN: 1
; COMPUTE_PGM_RSRC2:TGID_Y_EN: 0
; COMPUTE_PGM_RSRC2:TGID_Z_EN: 0
; COMPUTE_PGM_RSRC2:TIDIG_COMP_CNT: 0
	.section	.text._ZN7rocprim17ROCPRIM_400000_NS6detail17trampoline_kernelINS0_14default_configENS1_38merge_sort_block_merge_config_selectorIhlEEZZNS1_27merge_sort_block_merge_implIS3_PhN6thrust23THRUST_200600_302600_NS10device_ptrIlEEjNS1_19radix_merge_compareILb0ELb1EhNS0_19identity_decomposerEEEEE10hipError_tT0_T1_T2_jT3_P12ihipStream_tbPNSt15iterator_traitsISG_E10value_typeEPNSM_ISH_E10value_typeEPSI_NS1_7vsmem_tEENKUlT_SG_SH_SI_E_clIS7_S7_SB_PlEESF_SV_SG_SH_SI_EUlSV_E_NS1_11comp_targetILNS1_3genE0ELNS1_11target_archE4294967295ELNS1_3gpuE0ELNS1_3repE0EEENS1_48merge_mergepath_partition_config_static_selectorELNS0_4arch9wavefront6targetE1EEEvSH_,"axG",@progbits,_ZN7rocprim17ROCPRIM_400000_NS6detail17trampoline_kernelINS0_14default_configENS1_38merge_sort_block_merge_config_selectorIhlEEZZNS1_27merge_sort_block_merge_implIS3_PhN6thrust23THRUST_200600_302600_NS10device_ptrIlEEjNS1_19radix_merge_compareILb0ELb1EhNS0_19identity_decomposerEEEEE10hipError_tT0_T1_T2_jT3_P12ihipStream_tbPNSt15iterator_traitsISG_E10value_typeEPNSM_ISH_E10value_typeEPSI_NS1_7vsmem_tEENKUlT_SG_SH_SI_E_clIS7_S7_SB_PlEESF_SV_SG_SH_SI_EUlSV_E_NS1_11comp_targetILNS1_3genE0ELNS1_11target_archE4294967295ELNS1_3gpuE0ELNS1_3repE0EEENS1_48merge_mergepath_partition_config_static_selectorELNS0_4arch9wavefront6targetE1EEEvSH_,comdat
	.protected	_ZN7rocprim17ROCPRIM_400000_NS6detail17trampoline_kernelINS0_14default_configENS1_38merge_sort_block_merge_config_selectorIhlEEZZNS1_27merge_sort_block_merge_implIS3_PhN6thrust23THRUST_200600_302600_NS10device_ptrIlEEjNS1_19radix_merge_compareILb0ELb1EhNS0_19identity_decomposerEEEEE10hipError_tT0_T1_T2_jT3_P12ihipStream_tbPNSt15iterator_traitsISG_E10value_typeEPNSM_ISH_E10value_typeEPSI_NS1_7vsmem_tEENKUlT_SG_SH_SI_E_clIS7_S7_SB_PlEESF_SV_SG_SH_SI_EUlSV_E_NS1_11comp_targetILNS1_3genE0ELNS1_11target_archE4294967295ELNS1_3gpuE0ELNS1_3repE0EEENS1_48merge_mergepath_partition_config_static_selectorELNS0_4arch9wavefront6targetE1EEEvSH_ ; -- Begin function _ZN7rocprim17ROCPRIM_400000_NS6detail17trampoline_kernelINS0_14default_configENS1_38merge_sort_block_merge_config_selectorIhlEEZZNS1_27merge_sort_block_merge_implIS3_PhN6thrust23THRUST_200600_302600_NS10device_ptrIlEEjNS1_19radix_merge_compareILb0ELb1EhNS0_19identity_decomposerEEEEE10hipError_tT0_T1_T2_jT3_P12ihipStream_tbPNSt15iterator_traitsISG_E10value_typeEPNSM_ISH_E10value_typeEPSI_NS1_7vsmem_tEENKUlT_SG_SH_SI_E_clIS7_S7_SB_PlEESF_SV_SG_SH_SI_EUlSV_E_NS1_11comp_targetILNS1_3genE0ELNS1_11target_archE4294967295ELNS1_3gpuE0ELNS1_3repE0EEENS1_48merge_mergepath_partition_config_static_selectorELNS0_4arch9wavefront6targetE1EEEvSH_
	.globl	_ZN7rocprim17ROCPRIM_400000_NS6detail17trampoline_kernelINS0_14default_configENS1_38merge_sort_block_merge_config_selectorIhlEEZZNS1_27merge_sort_block_merge_implIS3_PhN6thrust23THRUST_200600_302600_NS10device_ptrIlEEjNS1_19radix_merge_compareILb0ELb1EhNS0_19identity_decomposerEEEEE10hipError_tT0_T1_T2_jT3_P12ihipStream_tbPNSt15iterator_traitsISG_E10value_typeEPNSM_ISH_E10value_typeEPSI_NS1_7vsmem_tEENKUlT_SG_SH_SI_E_clIS7_S7_SB_PlEESF_SV_SG_SH_SI_EUlSV_E_NS1_11comp_targetILNS1_3genE0ELNS1_11target_archE4294967295ELNS1_3gpuE0ELNS1_3repE0EEENS1_48merge_mergepath_partition_config_static_selectorELNS0_4arch9wavefront6targetE1EEEvSH_
	.p2align	8
	.type	_ZN7rocprim17ROCPRIM_400000_NS6detail17trampoline_kernelINS0_14default_configENS1_38merge_sort_block_merge_config_selectorIhlEEZZNS1_27merge_sort_block_merge_implIS3_PhN6thrust23THRUST_200600_302600_NS10device_ptrIlEEjNS1_19radix_merge_compareILb0ELb1EhNS0_19identity_decomposerEEEEE10hipError_tT0_T1_T2_jT3_P12ihipStream_tbPNSt15iterator_traitsISG_E10value_typeEPNSM_ISH_E10value_typeEPSI_NS1_7vsmem_tEENKUlT_SG_SH_SI_E_clIS7_S7_SB_PlEESF_SV_SG_SH_SI_EUlSV_E_NS1_11comp_targetILNS1_3genE0ELNS1_11target_archE4294967295ELNS1_3gpuE0ELNS1_3repE0EEENS1_48merge_mergepath_partition_config_static_selectorELNS0_4arch9wavefront6targetE1EEEvSH_,@function
_ZN7rocprim17ROCPRIM_400000_NS6detail17trampoline_kernelINS0_14default_configENS1_38merge_sort_block_merge_config_selectorIhlEEZZNS1_27merge_sort_block_merge_implIS3_PhN6thrust23THRUST_200600_302600_NS10device_ptrIlEEjNS1_19radix_merge_compareILb0ELb1EhNS0_19identity_decomposerEEEEE10hipError_tT0_T1_T2_jT3_P12ihipStream_tbPNSt15iterator_traitsISG_E10value_typeEPNSM_ISH_E10value_typeEPSI_NS1_7vsmem_tEENKUlT_SG_SH_SI_E_clIS7_S7_SB_PlEESF_SV_SG_SH_SI_EUlSV_E_NS1_11comp_targetILNS1_3genE0ELNS1_11target_archE4294967295ELNS1_3gpuE0ELNS1_3repE0EEENS1_48merge_mergepath_partition_config_static_selectorELNS0_4arch9wavefront6targetE1EEEvSH_: ; @_ZN7rocprim17ROCPRIM_400000_NS6detail17trampoline_kernelINS0_14default_configENS1_38merge_sort_block_merge_config_selectorIhlEEZZNS1_27merge_sort_block_merge_implIS3_PhN6thrust23THRUST_200600_302600_NS10device_ptrIlEEjNS1_19radix_merge_compareILb0ELb1EhNS0_19identity_decomposerEEEEE10hipError_tT0_T1_T2_jT3_P12ihipStream_tbPNSt15iterator_traitsISG_E10value_typeEPNSM_ISH_E10value_typeEPSI_NS1_7vsmem_tEENKUlT_SG_SH_SI_E_clIS7_S7_SB_PlEESF_SV_SG_SH_SI_EUlSV_E_NS1_11comp_targetILNS1_3genE0ELNS1_11target_archE4294967295ELNS1_3gpuE0ELNS1_3repE0EEENS1_48merge_mergepath_partition_config_static_selectorELNS0_4arch9wavefront6targetE1EEEvSH_
; %bb.0:
	.section	.rodata,"a",@progbits
	.p2align	6, 0x0
	.amdhsa_kernel _ZN7rocprim17ROCPRIM_400000_NS6detail17trampoline_kernelINS0_14default_configENS1_38merge_sort_block_merge_config_selectorIhlEEZZNS1_27merge_sort_block_merge_implIS3_PhN6thrust23THRUST_200600_302600_NS10device_ptrIlEEjNS1_19radix_merge_compareILb0ELb1EhNS0_19identity_decomposerEEEEE10hipError_tT0_T1_T2_jT3_P12ihipStream_tbPNSt15iterator_traitsISG_E10value_typeEPNSM_ISH_E10value_typeEPSI_NS1_7vsmem_tEENKUlT_SG_SH_SI_E_clIS7_S7_SB_PlEESF_SV_SG_SH_SI_EUlSV_E_NS1_11comp_targetILNS1_3genE0ELNS1_11target_archE4294967295ELNS1_3gpuE0ELNS1_3repE0EEENS1_48merge_mergepath_partition_config_static_selectorELNS0_4arch9wavefront6targetE1EEEvSH_
		.amdhsa_group_segment_fixed_size 0
		.amdhsa_private_segment_fixed_size 0
		.amdhsa_kernarg_size 40
		.amdhsa_user_sgpr_count 6
		.amdhsa_user_sgpr_private_segment_buffer 1
		.amdhsa_user_sgpr_dispatch_ptr 0
		.amdhsa_user_sgpr_queue_ptr 0
		.amdhsa_user_sgpr_kernarg_segment_ptr 1
		.amdhsa_user_sgpr_dispatch_id 0
		.amdhsa_user_sgpr_flat_scratch_init 0
		.amdhsa_user_sgpr_private_segment_size 0
		.amdhsa_uses_dynamic_stack 0
		.amdhsa_system_sgpr_private_segment_wavefront_offset 0
		.amdhsa_system_sgpr_workgroup_id_x 1
		.amdhsa_system_sgpr_workgroup_id_y 0
		.amdhsa_system_sgpr_workgroup_id_z 0
		.amdhsa_system_sgpr_workgroup_info 0
		.amdhsa_system_vgpr_workitem_id 0
		.amdhsa_next_free_vgpr 1
		.amdhsa_next_free_sgpr 0
		.amdhsa_reserve_vcc 0
		.amdhsa_reserve_flat_scratch 0
		.amdhsa_float_round_mode_32 0
		.amdhsa_float_round_mode_16_64 0
		.amdhsa_float_denorm_mode_32 3
		.amdhsa_float_denorm_mode_16_64 3
		.amdhsa_dx10_clamp 1
		.amdhsa_ieee_mode 1
		.amdhsa_fp16_overflow 0
		.amdhsa_exception_fp_ieee_invalid_op 0
		.amdhsa_exception_fp_denorm_src 0
		.amdhsa_exception_fp_ieee_div_zero 0
		.amdhsa_exception_fp_ieee_overflow 0
		.amdhsa_exception_fp_ieee_underflow 0
		.amdhsa_exception_fp_ieee_inexact 0
		.amdhsa_exception_int_div_zero 0
	.end_amdhsa_kernel
	.section	.text._ZN7rocprim17ROCPRIM_400000_NS6detail17trampoline_kernelINS0_14default_configENS1_38merge_sort_block_merge_config_selectorIhlEEZZNS1_27merge_sort_block_merge_implIS3_PhN6thrust23THRUST_200600_302600_NS10device_ptrIlEEjNS1_19radix_merge_compareILb0ELb1EhNS0_19identity_decomposerEEEEE10hipError_tT0_T1_T2_jT3_P12ihipStream_tbPNSt15iterator_traitsISG_E10value_typeEPNSM_ISH_E10value_typeEPSI_NS1_7vsmem_tEENKUlT_SG_SH_SI_E_clIS7_S7_SB_PlEESF_SV_SG_SH_SI_EUlSV_E_NS1_11comp_targetILNS1_3genE0ELNS1_11target_archE4294967295ELNS1_3gpuE0ELNS1_3repE0EEENS1_48merge_mergepath_partition_config_static_selectorELNS0_4arch9wavefront6targetE1EEEvSH_,"axG",@progbits,_ZN7rocprim17ROCPRIM_400000_NS6detail17trampoline_kernelINS0_14default_configENS1_38merge_sort_block_merge_config_selectorIhlEEZZNS1_27merge_sort_block_merge_implIS3_PhN6thrust23THRUST_200600_302600_NS10device_ptrIlEEjNS1_19radix_merge_compareILb0ELb1EhNS0_19identity_decomposerEEEEE10hipError_tT0_T1_T2_jT3_P12ihipStream_tbPNSt15iterator_traitsISG_E10value_typeEPNSM_ISH_E10value_typeEPSI_NS1_7vsmem_tEENKUlT_SG_SH_SI_E_clIS7_S7_SB_PlEESF_SV_SG_SH_SI_EUlSV_E_NS1_11comp_targetILNS1_3genE0ELNS1_11target_archE4294967295ELNS1_3gpuE0ELNS1_3repE0EEENS1_48merge_mergepath_partition_config_static_selectorELNS0_4arch9wavefront6targetE1EEEvSH_,comdat
.Lfunc_end213:
	.size	_ZN7rocprim17ROCPRIM_400000_NS6detail17trampoline_kernelINS0_14default_configENS1_38merge_sort_block_merge_config_selectorIhlEEZZNS1_27merge_sort_block_merge_implIS3_PhN6thrust23THRUST_200600_302600_NS10device_ptrIlEEjNS1_19radix_merge_compareILb0ELb1EhNS0_19identity_decomposerEEEEE10hipError_tT0_T1_T2_jT3_P12ihipStream_tbPNSt15iterator_traitsISG_E10value_typeEPNSM_ISH_E10value_typeEPSI_NS1_7vsmem_tEENKUlT_SG_SH_SI_E_clIS7_S7_SB_PlEESF_SV_SG_SH_SI_EUlSV_E_NS1_11comp_targetILNS1_3genE0ELNS1_11target_archE4294967295ELNS1_3gpuE0ELNS1_3repE0EEENS1_48merge_mergepath_partition_config_static_selectorELNS0_4arch9wavefront6targetE1EEEvSH_, .Lfunc_end213-_ZN7rocprim17ROCPRIM_400000_NS6detail17trampoline_kernelINS0_14default_configENS1_38merge_sort_block_merge_config_selectorIhlEEZZNS1_27merge_sort_block_merge_implIS3_PhN6thrust23THRUST_200600_302600_NS10device_ptrIlEEjNS1_19radix_merge_compareILb0ELb1EhNS0_19identity_decomposerEEEEE10hipError_tT0_T1_T2_jT3_P12ihipStream_tbPNSt15iterator_traitsISG_E10value_typeEPNSM_ISH_E10value_typeEPSI_NS1_7vsmem_tEENKUlT_SG_SH_SI_E_clIS7_S7_SB_PlEESF_SV_SG_SH_SI_EUlSV_E_NS1_11comp_targetILNS1_3genE0ELNS1_11target_archE4294967295ELNS1_3gpuE0ELNS1_3repE0EEENS1_48merge_mergepath_partition_config_static_selectorELNS0_4arch9wavefront6targetE1EEEvSH_
                                        ; -- End function
	.set _ZN7rocprim17ROCPRIM_400000_NS6detail17trampoline_kernelINS0_14default_configENS1_38merge_sort_block_merge_config_selectorIhlEEZZNS1_27merge_sort_block_merge_implIS3_PhN6thrust23THRUST_200600_302600_NS10device_ptrIlEEjNS1_19radix_merge_compareILb0ELb1EhNS0_19identity_decomposerEEEEE10hipError_tT0_T1_T2_jT3_P12ihipStream_tbPNSt15iterator_traitsISG_E10value_typeEPNSM_ISH_E10value_typeEPSI_NS1_7vsmem_tEENKUlT_SG_SH_SI_E_clIS7_S7_SB_PlEESF_SV_SG_SH_SI_EUlSV_E_NS1_11comp_targetILNS1_3genE0ELNS1_11target_archE4294967295ELNS1_3gpuE0ELNS1_3repE0EEENS1_48merge_mergepath_partition_config_static_selectorELNS0_4arch9wavefront6targetE1EEEvSH_.num_vgpr, 0
	.set _ZN7rocprim17ROCPRIM_400000_NS6detail17trampoline_kernelINS0_14default_configENS1_38merge_sort_block_merge_config_selectorIhlEEZZNS1_27merge_sort_block_merge_implIS3_PhN6thrust23THRUST_200600_302600_NS10device_ptrIlEEjNS1_19radix_merge_compareILb0ELb1EhNS0_19identity_decomposerEEEEE10hipError_tT0_T1_T2_jT3_P12ihipStream_tbPNSt15iterator_traitsISG_E10value_typeEPNSM_ISH_E10value_typeEPSI_NS1_7vsmem_tEENKUlT_SG_SH_SI_E_clIS7_S7_SB_PlEESF_SV_SG_SH_SI_EUlSV_E_NS1_11comp_targetILNS1_3genE0ELNS1_11target_archE4294967295ELNS1_3gpuE0ELNS1_3repE0EEENS1_48merge_mergepath_partition_config_static_selectorELNS0_4arch9wavefront6targetE1EEEvSH_.num_agpr, 0
	.set _ZN7rocprim17ROCPRIM_400000_NS6detail17trampoline_kernelINS0_14default_configENS1_38merge_sort_block_merge_config_selectorIhlEEZZNS1_27merge_sort_block_merge_implIS3_PhN6thrust23THRUST_200600_302600_NS10device_ptrIlEEjNS1_19radix_merge_compareILb0ELb1EhNS0_19identity_decomposerEEEEE10hipError_tT0_T1_T2_jT3_P12ihipStream_tbPNSt15iterator_traitsISG_E10value_typeEPNSM_ISH_E10value_typeEPSI_NS1_7vsmem_tEENKUlT_SG_SH_SI_E_clIS7_S7_SB_PlEESF_SV_SG_SH_SI_EUlSV_E_NS1_11comp_targetILNS1_3genE0ELNS1_11target_archE4294967295ELNS1_3gpuE0ELNS1_3repE0EEENS1_48merge_mergepath_partition_config_static_selectorELNS0_4arch9wavefront6targetE1EEEvSH_.numbered_sgpr, 0
	.set _ZN7rocprim17ROCPRIM_400000_NS6detail17trampoline_kernelINS0_14default_configENS1_38merge_sort_block_merge_config_selectorIhlEEZZNS1_27merge_sort_block_merge_implIS3_PhN6thrust23THRUST_200600_302600_NS10device_ptrIlEEjNS1_19radix_merge_compareILb0ELb1EhNS0_19identity_decomposerEEEEE10hipError_tT0_T1_T2_jT3_P12ihipStream_tbPNSt15iterator_traitsISG_E10value_typeEPNSM_ISH_E10value_typeEPSI_NS1_7vsmem_tEENKUlT_SG_SH_SI_E_clIS7_S7_SB_PlEESF_SV_SG_SH_SI_EUlSV_E_NS1_11comp_targetILNS1_3genE0ELNS1_11target_archE4294967295ELNS1_3gpuE0ELNS1_3repE0EEENS1_48merge_mergepath_partition_config_static_selectorELNS0_4arch9wavefront6targetE1EEEvSH_.num_named_barrier, 0
	.set _ZN7rocprim17ROCPRIM_400000_NS6detail17trampoline_kernelINS0_14default_configENS1_38merge_sort_block_merge_config_selectorIhlEEZZNS1_27merge_sort_block_merge_implIS3_PhN6thrust23THRUST_200600_302600_NS10device_ptrIlEEjNS1_19radix_merge_compareILb0ELb1EhNS0_19identity_decomposerEEEEE10hipError_tT0_T1_T2_jT3_P12ihipStream_tbPNSt15iterator_traitsISG_E10value_typeEPNSM_ISH_E10value_typeEPSI_NS1_7vsmem_tEENKUlT_SG_SH_SI_E_clIS7_S7_SB_PlEESF_SV_SG_SH_SI_EUlSV_E_NS1_11comp_targetILNS1_3genE0ELNS1_11target_archE4294967295ELNS1_3gpuE0ELNS1_3repE0EEENS1_48merge_mergepath_partition_config_static_selectorELNS0_4arch9wavefront6targetE1EEEvSH_.private_seg_size, 0
	.set _ZN7rocprim17ROCPRIM_400000_NS6detail17trampoline_kernelINS0_14default_configENS1_38merge_sort_block_merge_config_selectorIhlEEZZNS1_27merge_sort_block_merge_implIS3_PhN6thrust23THRUST_200600_302600_NS10device_ptrIlEEjNS1_19radix_merge_compareILb0ELb1EhNS0_19identity_decomposerEEEEE10hipError_tT0_T1_T2_jT3_P12ihipStream_tbPNSt15iterator_traitsISG_E10value_typeEPNSM_ISH_E10value_typeEPSI_NS1_7vsmem_tEENKUlT_SG_SH_SI_E_clIS7_S7_SB_PlEESF_SV_SG_SH_SI_EUlSV_E_NS1_11comp_targetILNS1_3genE0ELNS1_11target_archE4294967295ELNS1_3gpuE0ELNS1_3repE0EEENS1_48merge_mergepath_partition_config_static_selectorELNS0_4arch9wavefront6targetE1EEEvSH_.uses_vcc, 0
	.set _ZN7rocprim17ROCPRIM_400000_NS6detail17trampoline_kernelINS0_14default_configENS1_38merge_sort_block_merge_config_selectorIhlEEZZNS1_27merge_sort_block_merge_implIS3_PhN6thrust23THRUST_200600_302600_NS10device_ptrIlEEjNS1_19radix_merge_compareILb0ELb1EhNS0_19identity_decomposerEEEEE10hipError_tT0_T1_T2_jT3_P12ihipStream_tbPNSt15iterator_traitsISG_E10value_typeEPNSM_ISH_E10value_typeEPSI_NS1_7vsmem_tEENKUlT_SG_SH_SI_E_clIS7_S7_SB_PlEESF_SV_SG_SH_SI_EUlSV_E_NS1_11comp_targetILNS1_3genE0ELNS1_11target_archE4294967295ELNS1_3gpuE0ELNS1_3repE0EEENS1_48merge_mergepath_partition_config_static_selectorELNS0_4arch9wavefront6targetE1EEEvSH_.uses_flat_scratch, 0
	.set _ZN7rocprim17ROCPRIM_400000_NS6detail17trampoline_kernelINS0_14default_configENS1_38merge_sort_block_merge_config_selectorIhlEEZZNS1_27merge_sort_block_merge_implIS3_PhN6thrust23THRUST_200600_302600_NS10device_ptrIlEEjNS1_19radix_merge_compareILb0ELb1EhNS0_19identity_decomposerEEEEE10hipError_tT0_T1_T2_jT3_P12ihipStream_tbPNSt15iterator_traitsISG_E10value_typeEPNSM_ISH_E10value_typeEPSI_NS1_7vsmem_tEENKUlT_SG_SH_SI_E_clIS7_S7_SB_PlEESF_SV_SG_SH_SI_EUlSV_E_NS1_11comp_targetILNS1_3genE0ELNS1_11target_archE4294967295ELNS1_3gpuE0ELNS1_3repE0EEENS1_48merge_mergepath_partition_config_static_selectorELNS0_4arch9wavefront6targetE1EEEvSH_.has_dyn_sized_stack, 0
	.set _ZN7rocprim17ROCPRIM_400000_NS6detail17trampoline_kernelINS0_14default_configENS1_38merge_sort_block_merge_config_selectorIhlEEZZNS1_27merge_sort_block_merge_implIS3_PhN6thrust23THRUST_200600_302600_NS10device_ptrIlEEjNS1_19radix_merge_compareILb0ELb1EhNS0_19identity_decomposerEEEEE10hipError_tT0_T1_T2_jT3_P12ihipStream_tbPNSt15iterator_traitsISG_E10value_typeEPNSM_ISH_E10value_typeEPSI_NS1_7vsmem_tEENKUlT_SG_SH_SI_E_clIS7_S7_SB_PlEESF_SV_SG_SH_SI_EUlSV_E_NS1_11comp_targetILNS1_3genE0ELNS1_11target_archE4294967295ELNS1_3gpuE0ELNS1_3repE0EEENS1_48merge_mergepath_partition_config_static_selectorELNS0_4arch9wavefront6targetE1EEEvSH_.has_recursion, 0
	.set _ZN7rocprim17ROCPRIM_400000_NS6detail17trampoline_kernelINS0_14default_configENS1_38merge_sort_block_merge_config_selectorIhlEEZZNS1_27merge_sort_block_merge_implIS3_PhN6thrust23THRUST_200600_302600_NS10device_ptrIlEEjNS1_19radix_merge_compareILb0ELb1EhNS0_19identity_decomposerEEEEE10hipError_tT0_T1_T2_jT3_P12ihipStream_tbPNSt15iterator_traitsISG_E10value_typeEPNSM_ISH_E10value_typeEPSI_NS1_7vsmem_tEENKUlT_SG_SH_SI_E_clIS7_S7_SB_PlEESF_SV_SG_SH_SI_EUlSV_E_NS1_11comp_targetILNS1_3genE0ELNS1_11target_archE4294967295ELNS1_3gpuE0ELNS1_3repE0EEENS1_48merge_mergepath_partition_config_static_selectorELNS0_4arch9wavefront6targetE1EEEvSH_.has_indirect_call, 0
	.section	.AMDGPU.csdata,"",@progbits
; Kernel info:
; codeLenInByte = 0
; TotalNumSgprs: 4
; NumVgprs: 0
; ScratchSize: 0
; MemoryBound: 0
; FloatMode: 240
; IeeeMode: 1
; LDSByteSize: 0 bytes/workgroup (compile time only)
; SGPRBlocks: 0
; VGPRBlocks: 0
; NumSGPRsForWavesPerEU: 4
; NumVGPRsForWavesPerEU: 1
; Occupancy: 10
; WaveLimiterHint : 0
; COMPUTE_PGM_RSRC2:SCRATCH_EN: 0
; COMPUTE_PGM_RSRC2:USER_SGPR: 6
; COMPUTE_PGM_RSRC2:TRAP_HANDLER: 0
; COMPUTE_PGM_RSRC2:TGID_X_EN: 1
; COMPUTE_PGM_RSRC2:TGID_Y_EN: 0
; COMPUTE_PGM_RSRC2:TGID_Z_EN: 0
; COMPUTE_PGM_RSRC2:TIDIG_COMP_CNT: 0
	.section	.text._ZN7rocprim17ROCPRIM_400000_NS6detail17trampoline_kernelINS0_14default_configENS1_38merge_sort_block_merge_config_selectorIhlEEZZNS1_27merge_sort_block_merge_implIS3_PhN6thrust23THRUST_200600_302600_NS10device_ptrIlEEjNS1_19radix_merge_compareILb0ELb1EhNS0_19identity_decomposerEEEEE10hipError_tT0_T1_T2_jT3_P12ihipStream_tbPNSt15iterator_traitsISG_E10value_typeEPNSM_ISH_E10value_typeEPSI_NS1_7vsmem_tEENKUlT_SG_SH_SI_E_clIS7_S7_SB_PlEESF_SV_SG_SH_SI_EUlSV_E_NS1_11comp_targetILNS1_3genE10ELNS1_11target_archE1201ELNS1_3gpuE5ELNS1_3repE0EEENS1_48merge_mergepath_partition_config_static_selectorELNS0_4arch9wavefront6targetE1EEEvSH_,"axG",@progbits,_ZN7rocprim17ROCPRIM_400000_NS6detail17trampoline_kernelINS0_14default_configENS1_38merge_sort_block_merge_config_selectorIhlEEZZNS1_27merge_sort_block_merge_implIS3_PhN6thrust23THRUST_200600_302600_NS10device_ptrIlEEjNS1_19radix_merge_compareILb0ELb1EhNS0_19identity_decomposerEEEEE10hipError_tT0_T1_T2_jT3_P12ihipStream_tbPNSt15iterator_traitsISG_E10value_typeEPNSM_ISH_E10value_typeEPSI_NS1_7vsmem_tEENKUlT_SG_SH_SI_E_clIS7_S7_SB_PlEESF_SV_SG_SH_SI_EUlSV_E_NS1_11comp_targetILNS1_3genE10ELNS1_11target_archE1201ELNS1_3gpuE5ELNS1_3repE0EEENS1_48merge_mergepath_partition_config_static_selectorELNS0_4arch9wavefront6targetE1EEEvSH_,comdat
	.protected	_ZN7rocprim17ROCPRIM_400000_NS6detail17trampoline_kernelINS0_14default_configENS1_38merge_sort_block_merge_config_selectorIhlEEZZNS1_27merge_sort_block_merge_implIS3_PhN6thrust23THRUST_200600_302600_NS10device_ptrIlEEjNS1_19radix_merge_compareILb0ELb1EhNS0_19identity_decomposerEEEEE10hipError_tT0_T1_T2_jT3_P12ihipStream_tbPNSt15iterator_traitsISG_E10value_typeEPNSM_ISH_E10value_typeEPSI_NS1_7vsmem_tEENKUlT_SG_SH_SI_E_clIS7_S7_SB_PlEESF_SV_SG_SH_SI_EUlSV_E_NS1_11comp_targetILNS1_3genE10ELNS1_11target_archE1201ELNS1_3gpuE5ELNS1_3repE0EEENS1_48merge_mergepath_partition_config_static_selectorELNS0_4arch9wavefront6targetE1EEEvSH_ ; -- Begin function _ZN7rocprim17ROCPRIM_400000_NS6detail17trampoline_kernelINS0_14default_configENS1_38merge_sort_block_merge_config_selectorIhlEEZZNS1_27merge_sort_block_merge_implIS3_PhN6thrust23THRUST_200600_302600_NS10device_ptrIlEEjNS1_19radix_merge_compareILb0ELb1EhNS0_19identity_decomposerEEEEE10hipError_tT0_T1_T2_jT3_P12ihipStream_tbPNSt15iterator_traitsISG_E10value_typeEPNSM_ISH_E10value_typeEPSI_NS1_7vsmem_tEENKUlT_SG_SH_SI_E_clIS7_S7_SB_PlEESF_SV_SG_SH_SI_EUlSV_E_NS1_11comp_targetILNS1_3genE10ELNS1_11target_archE1201ELNS1_3gpuE5ELNS1_3repE0EEENS1_48merge_mergepath_partition_config_static_selectorELNS0_4arch9wavefront6targetE1EEEvSH_
	.globl	_ZN7rocprim17ROCPRIM_400000_NS6detail17trampoline_kernelINS0_14default_configENS1_38merge_sort_block_merge_config_selectorIhlEEZZNS1_27merge_sort_block_merge_implIS3_PhN6thrust23THRUST_200600_302600_NS10device_ptrIlEEjNS1_19radix_merge_compareILb0ELb1EhNS0_19identity_decomposerEEEEE10hipError_tT0_T1_T2_jT3_P12ihipStream_tbPNSt15iterator_traitsISG_E10value_typeEPNSM_ISH_E10value_typeEPSI_NS1_7vsmem_tEENKUlT_SG_SH_SI_E_clIS7_S7_SB_PlEESF_SV_SG_SH_SI_EUlSV_E_NS1_11comp_targetILNS1_3genE10ELNS1_11target_archE1201ELNS1_3gpuE5ELNS1_3repE0EEENS1_48merge_mergepath_partition_config_static_selectorELNS0_4arch9wavefront6targetE1EEEvSH_
	.p2align	8
	.type	_ZN7rocprim17ROCPRIM_400000_NS6detail17trampoline_kernelINS0_14default_configENS1_38merge_sort_block_merge_config_selectorIhlEEZZNS1_27merge_sort_block_merge_implIS3_PhN6thrust23THRUST_200600_302600_NS10device_ptrIlEEjNS1_19radix_merge_compareILb0ELb1EhNS0_19identity_decomposerEEEEE10hipError_tT0_T1_T2_jT3_P12ihipStream_tbPNSt15iterator_traitsISG_E10value_typeEPNSM_ISH_E10value_typeEPSI_NS1_7vsmem_tEENKUlT_SG_SH_SI_E_clIS7_S7_SB_PlEESF_SV_SG_SH_SI_EUlSV_E_NS1_11comp_targetILNS1_3genE10ELNS1_11target_archE1201ELNS1_3gpuE5ELNS1_3repE0EEENS1_48merge_mergepath_partition_config_static_selectorELNS0_4arch9wavefront6targetE1EEEvSH_,@function
_ZN7rocprim17ROCPRIM_400000_NS6detail17trampoline_kernelINS0_14default_configENS1_38merge_sort_block_merge_config_selectorIhlEEZZNS1_27merge_sort_block_merge_implIS3_PhN6thrust23THRUST_200600_302600_NS10device_ptrIlEEjNS1_19radix_merge_compareILb0ELb1EhNS0_19identity_decomposerEEEEE10hipError_tT0_T1_T2_jT3_P12ihipStream_tbPNSt15iterator_traitsISG_E10value_typeEPNSM_ISH_E10value_typeEPSI_NS1_7vsmem_tEENKUlT_SG_SH_SI_E_clIS7_S7_SB_PlEESF_SV_SG_SH_SI_EUlSV_E_NS1_11comp_targetILNS1_3genE10ELNS1_11target_archE1201ELNS1_3gpuE5ELNS1_3repE0EEENS1_48merge_mergepath_partition_config_static_selectorELNS0_4arch9wavefront6targetE1EEEvSH_: ; @_ZN7rocprim17ROCPRIM_400000_NS6detail17trampoline_kernelINS0_14default_configENS1_38merge_sort_block_merge_config_selectorIhlEEZZNS1_27merge_sort_block_merge_implIS3_PhN6thrust23THRUST_200600_302600_NS10device_ptrIlEEjNS1_19radix_merge_compareILb0ELb1EhNS0_19identity_decomposerEEEEE10hipError_tT0_T1_T2_jT3_P12ihipStream_tbPNSt15iterator_traitsISG_E10value_typeEPNSM_ISH_E10value_typeEPSI_NS1_7vsmem_tEENKUlT_SG_SH_SI_E_clIS7_S7_SB_PlEESF_SV_SG_SH_SI_EUlSV_E_NS1_11comp_targetILNS1_3genE10ELNS1_11target_archE1201ELNS1_3gpuE5ELNS1_3repE0EEENS1_48merge_mergepath_partition_config_static_selectorELNS0_4arch9wavefront6targetE1EEEvSH_
; %bb.0:
	.section	.rodata,"a",@progbits
	.p2align	6, 0x0
	.amdhsa_kernel _ZN7rocprim17ROCPRIM_400000_NS6detail17trampoline_kernelINS0_14default_configENS1_38merge_sort_block_merge_config_selectorIhlEEZZNS1_27merge_sort_block_merge_implIS3_PhN6thrust23THRUST_200600_302600_NS10device_ptrIlEEjNS1_19radix_merge_compareILb0ELb1EhNS0_19identity_decomposerEEEEE10hipError_tT0_T1_T2_jT3_P12ihipStream_tbPNSt15iterator_traitsISG_E10value_typeEPNSM_ISH_E10value_typeEPSI_NS1_7vsmem_tEENKUlT_SG_SH_SI_E_clIS7_S7_SB_PlEESF_SV_SG_SH_SI_EUlSV_E_NS1_11comp_targetILNS1_3genE10ELNS1_11target_archE1201ELNS1_3gpuE5ELNS1_3repE0EEENS1_48merge_mergepath_partition_config_static_selectorELNS0_4arch9wavefront6targetE1EEEvSH_
		.amdhsa_group_segment_fixed_size 0
		.amdhsa_private_segment_fixed_size 0
		.amdhsa_kernarg_size 40
		.amdhsa_user_sgpr_count 6
		.amdhsa_user_sgpr_private_segment_buffer 1
		.amdhsa_user_sgpr_dispatch_ptr 0
		.amdhsa_user_sgpr_queue_ptr 0
		.amdhsa_user_sgpr_kernarg_segment_ptr 1
		.amdhsa_user_sgpr_dispatch_id 0
		.amdhsa_user_sgpr_flat_scratch_init 0
		.amdhsa_user_sgpr_private_segment_size 0
		.amdhsa_uses_dynamic_stack 0
		.amdhsa_system_sgpr_private_segment_wavefront_offset 0
		.amdhsa_system_sgpr_workgroup_id_x 1
		.amdhsa_system_sgpr_workgroup_id_y 0
		.amdhsa_system_sgpr_workgroup_id_z 0
		.amdhsa_system_sgpr_workgroup_info 0
		.amdhsa_system_vgpr_workitem_id 0
		.amdhsa_next_free_vgpr 1
		.amdhsa_next_free_sgpr 0
		.amdhsa_reserve_vcc 0
		.amdhsa_reserve_flat_scratch 0
		.amdhsa_float_round_mode_32 0
		.amdhsa_float_round_mode_16_64 0
		.amdhsa_float_denorm_mode_32 3
		.amdhsa_float_denorm_mode_16_64 3
		.amdhsa_dx10_clamp 1
		.amdhsa_ieee_mode 1
		.amdhsa_fp16_overflow 0
		.amdhsa_exception_fp_ieee_invalid_op 0
		.amdhsa_exception_fp_denorm_src 0
		.amdhsa_exception_fp_ieee_div_zero 0
		.amdhsa_exception_fp_ieee_overflow 0
		.amdhsa_exception_fp_ieee_underflow 0
		.amdhsa_exception_fp_ieee_inexact 0
		.amdhsa_exception_int_div_zero 0
	.end_amdhsa_kernel
	.section	.text._ZN7rocprim17ROCPRIM_400000_NS6detail17trampoline_kernelINS0_14default_configENS1_38merge_sort_block_merge_config_selectorIhlEEZZNS1_27merge_sort_block_merge_implIS3_PhN6thrust23THRUST_200600_302600_NS10device_ptrIlEEjNS1_19radix_merge_compareILb0ELb1EhNS0_19identity_decomposerEEEEE10hipError_tT0_T1_T2_jT3_P12ihipStream_tbPNSt15iterator_traitsISG_E10value_typeEPNSM_ISH_E10value_typeEPSI_NS1_7vsmem_tEENKUlT_SG_SH_SI_E_clIS7_S7_SB_PlEESF_SV_SG_SH_SI_EUlSV_E_NS1_11comp_targetILNS1_3genE10ELNS1_11target_archE1201ELNS1_3gpuE5ELNS1_3repE0EEENS1_48merge_mergepath_partition_config_static_selectorELNS0_4arch9wavefront6targetE1EEEvSH_,"axG",@progbits,_ZN7rocprim17ROCPRIM_400000_NS6detail17trampoline_kernelINS0_14default_configENS1_38merge_sort_block_merge_config_selectorIhlEEZZNS1_27merge_sort_block_merge_implIS3_PhN6thrust23THRUST_200600_302600_NS10device_ptrIlEEjNS1_19radix_merge_compareILb0ELb1EhNS0_19identity_decomposerEEEEE10hipError_tT0_T1_T2_jT3_P12ihipStream_tbPNSt15iterator_traitsISG_E10value_typeEPNSM_ISH_E10value_typeEPSI_NS1_7vsmem_tEENKUlT_SG_SH_SI_E_clIS7_S7_SB_PlEESF_SV_SG_SH_SI_EUlSV_E_NS1_11comp_targetILNS1_3genE10ELNS1_11target_archE1201ELNS1_3gpuE5ELNS1_3repE0EEENS1_48merge_mergepath_partition_config_static_selectorELNS0_4arch9wavefront6targetE1EEEvSH_,comdat
.Lfunc_end214:
	.size	_ZN7rocprim17ROCPRIM_400000_NS6detail17trampoline_kernelINS0_14default_configENS1_38merge_sort_block_merge_config_selectorIhlEEZZNS1_27merge_sort_block_merge_implIS3_PhN6thrust23THRUST_200600_302600_NS10device_ptrIlEEjNS1_19radix_merge_compareILb0ELb1EhNS0_19identity_decomposerEEEEE10hipError_tT0_T1_T2_jT3_P12ihipStream_tbPNSt15iterator_traitsISG_E10value_typeEPNSM_ISH_E10value_typeEPSI_NS1_7vsmem_tEENKUlT_SG_SH_SI_E_clIS7_S7_SB_PlEESF_SV_SG_SH_SI_EUlSV_E_NS1_11comp_targetILNS1_3genE10ELNS1_11target_archE1201ELNS1_3gpuE5ELNS1_3repE0EEENS1_48merge_mergepath_partition_config_static_selectorELNS0_4arch9wavefront6targetE1EEEvSH_, .Lfunc_end214-_ZN7rocprim17ROCPRIM_400000_NS6detail17trampoline_kernelINS0_14default_configENS1_38merge_sort_block_merge_config_selectorIhlEEZZNS1_27merge_sort_block_merge_implIS3_PhN6thrust23THRUST_200600_302600_NS10device_ptrIlEEjNS1_19radix_merge_compareILb0ELb1EhNS0_19identity_decomposerEEEEE10hipError_tT0_T1_T2_jT3_P12ihipStream_tbPNSt15iterator_traitsISG_E10value_typeEPNSM_ISH_E10value_typeEPSI_NS1_7vsmem_tEENKUlT_SG_SH_SI_E_clIS7_S7_SB_PlEESF_SV_SG_SH_SI_EUlSV_E_NS1_11comp_targetILNS1_3genE10ELNS1_11target_archE1201ELNS1_3gpuE5ELNS1_3repE0EEENS1_48merge_mergepath_partition_config_static_selectorELNS0_4arch9wavefront6targetE1EEEvSH_
                                        ; -- End function
	.set _ZN7rocprim17ROCPRIM_400000_NS6detail17trampoline_kernelINS0_14default_configENS1_38merge_sort_block_merge_config_selectorIhlEEZZNS1_27merge_sort_block_merge_implIS3_PhN6thrust23THRUST_200600_302600_NS10device_ptrIlEEjNS1_19radix_merge_compareILb0ELb1EhNS0_19identity_decomposerEEEEE10hipError_tT0_T1_T2_jT3_P12ihipStream_tbPNSt15iterator_traitsISG_E10value_typeEPNSM_ISH_E10value_typeEPSI_NS1_7vsmem_tEENKUlT_SG_SH_SI_E_clIS7_S7_SB_PlEESF_SV_SG_SH_SI_EUlSV_E_NS1_11comp_targetILNS1_3genE10ELNS1_11target_archE1201ELNS1_3gpuE5ELNS1_3repE0EEENS1_48merge_mergepath_partition_config_static_selectorELNS0_4arch9wavefront6targetE1EEEvSH_.num_vgpr, 0
	.set _ZN7rocprim17ROCPRIM_400000_NS6detail17trampoline_kernelINS0_14default_configENS1_38merge_sort_block_merge_config_selectorIhlEEZZNS1_27merge_sort_block_merge_implIS3_PhN6thrust23THRUST_200600_302600_NS10device_ptrIlEEjNS1_19radix_merge_compareILb0ELb1EhNS0_19identity_decomposerEEEEE10hipError_tT0_T1_T2_jT3_P12ihipStream_tbPNSt15iterator_traitsISG_E10value_typeEPNSM_ISH_E10value_typeEPSI_NS1_7vsmem_tEENKUlT_SG_SH_SI_E_clIS7_S7_SB_PlEESF_SV_SG_SH_SI_EUlSV_E_NS1_11comp_targetILNS1_3genE10ELNS1_11target_archE1201ELNS1_3gpuE5ELNS1_3repE0EEENS1_48merge_mergepath_partition_config_static_selectorELNS0_4arch9wavefront6targetE1EEEvSH_.num_agpr, 0
	.set _ZN7rocprim17ROCPRIM_400000_NS6detail17trampoline_kernelINS0_14default_configENS1_38merge_sort_block_merge_config_selectorIhlEEZZNS1_27merge_sort_block_merge_implIS3_PhN6thrust23THRUST_200600_302600_NS10device_ptrIlEEjNS1_19radix_merge_compareILb0ELb1EhNS0_19identity_decomposerEEEEE10hipError_tT0_T1_T2_jT3_P12ihipStream_tbPNSt15iterator_traitsISG_E10value_typeEPNSM_ISH_E10value_typeEPSI_NS1_7vsmem_tEENKUlT_SG_SH_SI_E_clIS7_S7_SB_PlEESF_SV_SG_SH_SI_EUlSV_E_NS1_11comp_targetILNS1_3genE10ELNS1_11target_archE1201ELNS1_3gpuE5ELNS1_3repE0EEENS1_48merge_mergepath_partition_config_static_selectorELNS0_4arch9wavefront6targetE1EEEvSH_.numbered_sgpr, 0
	.set _ZN7rocprim17ROCPRIM_400000_NS6detail17trampoline_kernelINS0_14default_configENS1_38merge_sort_block_merge_config_selectorIhlEEZZNS1_27merge_sort_block_merge_implIS3_PhN6thrust23THRUST_200600_302600_NS10device_ptrIlEEjNS1_19radix_merge_compareILb0ELb1EhNS0_19identity_decomposerEEEEE10hipError_tT0_T1_T2_jT3_P12ihipStream_tbPNSt15iterator_traitsISG_E10value_typeEPNSM_ISH_E10value_typeEPSI_NS1_7vsmem_tEENKUlT_SG_SH_SI_E_clIS7_S7_SB_PlEESF_SV_SG_SH_SI_EUlSV_E_NS1_11comp_targetILNS1_3genE10ELNS1_11target_archE1201ELNS1_3gpuE5ELNS1_3repE0EEENS1_48merge_mergepath_partition_config_static_selectorELNS0_4arch9wavefront6targetE1EEEvSH_.num_named_barrier, 0
	.set _ZN7rocprim17ROCPRIM_400000_NS6detail17trampoline_kernelINS0_14default_configENS1_38merge_sort_block_merge_config_selectorIhlEEZZNS1_27merge_sort_block_merge_implIS3_PhN6thrust23THRUST_200600_302600_NS10device_ptrIlEEjNS1_19radix_merge_compareILb0ELb1EhNS0_19identity_decomposerEEEEE10hipError_tT0_T1_T2_jT3_P12ihipStream_tbPNSt15iterator_traitsISG_E10value_typeEPNSM_ISH_E10value_typeEPSI_NS1_7vsmem_tEENKUlT_SG_SH_SI_E_clIS7_S7_SB_PlEESF_SV_SG_SH_SI_EUlSV_E_NS1_11comp_targetILNS1_3genE10ELNS1_11target_archE1201ELNS1_3gpuE5ELNS1_3repE0EEENS1_48merge_mergepath_partition_config_static_selectorELNS0_4arch9wavefront6targetE1EEEvSH_.private_seg_size, 0
	.set _ZN7rocprim17ROCPRIM_400000_NS6detail17trampoline_kernelINS0_14default_configENS1_38merge_sort_block_merge_config_selectorIhlEEZZNS1_27merge_sort_block_merge_implIS3_PhN6thrust23THRUST_200600_302600_NS10device_ptrIlEEjNS1_19radix_merge_compareILb0ELb1EhNS0_19identity_decomposerEEEEE10hipError_tT0_T1_T2_jT3_P12ihipStream_tbPNSt15iterator_traitsISG_E10value_typeEPNSM_ISH_E10value_typeEPSI_NS1_7vsmem_tEENKUlT_SG_SH_SI_E_clIS7_S7_SB_PlEESF_SV_SG_SH_SI_EUlSV_E_NS1_11comp_targetILNS1_3genE10ELNS1_11target_archE1201ELNS1_3gpuE5ELNS1_3repE0EEENS1_48merge_mergepath_partition_config_static_selectorELNS0_4arch9wavefront6targetE1EEEvSH_.uses_vcc, 0
	.set _ZN7rocprim17ROCPRIM_400000_NS6detail17trampoline_kernelINS0_14default_configENS1_38merge_sort_block_merge_config_selectorIhlEEZZNS1_27merge_sort_block_merge_implIS3_PhN6thrust23THRUST_200600_302600_NS10device_ptrIlEEjNS1_19radix_merge_compareILb0ELb1EhNS0_19identity_decomposerEEEEE10hipError_tT0_T1_T2_jT3_P12ihipStream_tbPNSt15iterator_traitsISG_E10value_typeEPNSM_ISH_E10value_typeEPSI_NS1_7vsmem_tEENKUlT_SG_SH_SI_E_clIS7_S7_SB_PlEESF_SV_SG_SH_SI_EUlSV_E_NS1_11comp_targetILNS1_3genE10ELNS1_11target_archE1201ELNS1_3gpuE5ELNS1_3repE0EEENS1_48merge_mergepath_partition_config_static_selectorELNS0_4arch9wavefront6targetE1EEEvSH_.uses_flat_scratch, 0
	.set _ZN7rocprim17ROCPRIM_400000_NS6detail17trampoline_kernelINS0_14default_configENS1_38merge_sort_block_merge_config_selectorIhlEEZZNS1_27merge_sort_block_merge_implIS3_PhN6thrust23THRUST_200600_302600_NS10device_ptrIlEEjNS1_19radix_merge_compareILb0ELb1EhNS0_19identity_decomposerEEEEE10hipError_tT0_T1_T2_jT3_P12ihipStream_tbPNSt15iterator_traitsISG_E10value_typeEPNSM_ISH_E10value_typeEPSI_NS1_7vsmem_tEENKUlT_SG_SH_SI_E_clIS7_S7_SB_PlEESF_SV_SG_SH_SI_EUlSV_E_NS1_11comp_targetILNS1_3genE10ELNS1_11target_archE1201ELNS1_3gpuE5ELNS1_3repE0EEENS1_48merge_mergepath_partition_config_static_selectorELNS0_4arch9wavefront6targetE1EEEvSH_.has_dyn_sized_stack, 0
	.set _ZN7rocprim17ROCPRIM_400000_NS6detail17trampoline_kernelINS0_14default_configENS1_38merge_sort_block_merge_config_selectorIhlEEZZNS1_27merge_sort_block_merge_implIS3_PhN6thrust23THRUST_200600_302600_NS10device_ptrIlEEjNS1_19radix_merge_compareILb0ELb1EhNS0_19identity_decomposerEEEEE10hipError_tT0_T1_T2_jT3_P12ihipStream_tbPNSt15iterator_traitsISG_E10value_typeEPNSM_ISH_E10value_typeEPSI_NS1_7vsmem_tEENKUlT_SG_SH_SI_E_clIS7_S7_SB_PlEESF_SV_SG_SH_SI_EUlSV_E_NS1_11comp_targetILNS1_3genE10ELNS1_11target_archE1201ELNS1_3gpuE5ELNS1_3repE0EEENS1_48merge_mergepath_partition_config_static_selectorELNS0_4arch9wavefront6targetE1EEEvSH_.has_recursion, 0
	.set _ZN7rocprim17ROCPRIM_400000_NS6detail17trampoline_kernelINS0_14default_configENS1_38merge_sort_block_merge_config_selectorIhlEEZZNS1_27merge_sort_block_merge_implIS3_PhN6thrust23THRUST_200600_302600_NS10device_ptrIlEEjNS1_19radix_merge_compareILb0ELb1EhNS0_19identity_decomposerEEEEE10hipError_tT0_T1_T2_jT3_P12ihipStream_tbPNSt15iterator_traitsISG_E10value_typeEPNSM_ISH_E10value_typeEPSI_NS1_7vsmem_tEENKUlT_SG_SH_SI_E_clIS7_S7_SB_PlEESF_SV_SG_SH_SI_EUlSV_E_NS1_11comp_targetILNS1_3genE10ELNS1_11target_archE1201ELNS1_3gpuE5ELNS1_3repE0EEENS1_48merge_mergepath_partition_config_static_selectorELNS0_4arch9wavefront6targetE1EEEvSH_.has_indirect_call, 0
	.section	.AMDGPU.csdata,"",@progbits
; Kernel info:
; codeLenInByte = 0
; TotalNumSgprs: 4
; NumVgprs: 0
; ScratchSize: 0
; MemoryBound: 0
; FloatMode: 240
; IeeeMode: 1
; LDSByteSize: 0 bytes/workgroup (compile time only)
; SGPRBlocks: 0
; VGPRBlocks: 0
; NumSGPRsForWavesPerEU: 4
; NumVGPRsForWavesPerEU: 1
; Occupancy: 10
; WaveLimiterHint : 0
; COMPUTE_PGM_RSRC2:SCRATCH_EN: 0
; COMPUTE_PGM_RSRC2:USER_SGPR: 6
; COMPUTE_PGM_RSRC2:TRAP_HANDLER: 0
; COMPUTE_PGM_RSRC2:TGID_X_EN: 1
; COMPUTE_PGM_RSRC2:TGID_Y_EN: 0
; COMPUTE_PGM_RSRC2:TGID_Z_EN: 0
; COMPUTE_PGM_RSRC2:TIDIG_COMP_CNT: 0
	.section	.text._ZN7rocprim17ROCPRIM_400000_NS6detail17trampoline_kernelINS0_14default_configENS1_38merge_sort_block_merge_config_selectorIhlEEZZNS1_27merge_sort_block_merge_implIS3_PhN6thrust23THRUST_200600_302600_NS10device_ptrIlEEjNS1_19radix_merge_compareILb0ELb1EhNS0_19identity_decomposerEEEEE10hipError_tT0_T1_T2_jT3_P12ihipStream_tbPNSt15iterator_traitsISG_E10value_typeEPNSM_ISH_E10value_typeEPSI_NS1_7vsmem_tEENKUlT_SG_SH_SI_E_clIS7_S7_SB_PlEESF_SV_SG_SH_SI_EUlSV_E_NS1_11comp_targetILNS1_3genE5ELNS1_11target_archE942ELNS1_3gpuE9ELNS1_3repE0EEENS1_48merge_mergepath_partition_config_static_selectorELNS0_4arch9wavefront6targetE1EEEvSH_,"axG",@progbits,_ZN7rocprim17ROCPRIM_400000_NS6detail17trampoline_kernelINS0_14default_configENS1_38merge_sort_block_merge_config_selectorIhlEEZZNS1_27merge_sort_block_merge_implIS3_PhN6thrust23THRUST_200600_302600_NS10device_ptrIlEEjNS1_19radix_merge_compareILb0ELb1EhNS0_19identity_decomposerEEEEE10hipError_tT0_T1_T2_jT3_P12ihipStream_tbPNSt15iterator_traitsISG_E10value_typeEPNSM_ISH_E10value_typeEPSI_NS1_7vsmem_tEENKUlT_SG_SH_SI_E_clIS7_S7_SB_PlEESF_SV_SG_SH_SI_EUlSV_E_NS1_11comp_targetILNS1_3genE5ELNS1_11target_archE942ELNS1_3gpuE9ELNS1_3repE0EEENS1_48merge_mergepath_partition_config_static_selectorELNS0_4arch9wavefront6targetE1EEEvSH_,comdat
	.protected	_ZN7rocprim17ROCPRIM_400000_NS6detail17trampoline_kernelINS0_14default_configENS1_38merge_sort_block_merge_config_selectorIhlEEZZNS1_27merge_sort_block_merge_implIS3_PhN6thrust23THRUST_200600_302600_NS10device_ptrIlEEjNS1_19radix_merge_compareILb0ELb1EhNS0_19identity_decomposerEEEEE10hipError_tT0_T1_T2_jT3_P12ihipStream_tbPNSt15iterator_traitsISG_E10value_typeEPNSM_ISH_E10value_typeEPSI_NS1_7vsmem_tEENKUlT_SG_SH_SI_E_clIS7_S7_SB_PlEESF_SV_SG_SH_SI_EUlSV_E_NS1_11comp_targetILNS1_3genE5ELNS1_11target_archE942ELNS1_3gpuE9ELNS1_3repE0EEENS1_48merge_mergepath_partition_config_static_selectorELNS0_4arch9wavefront6targetE1EEEvSH_ ; -- Begin function _ZN7rocprim17ROCPRIM_400000_NS6detail17trampoline_kernelINS0_14default_configENS1_38merge_sort_block_merge_config_selectorIhlEEZZNS1_27merge_sort_block_merge_implIS3_PhN6thrust23THRUST_200600_302600_NS10device_ptrIlEEjNS1_19radix_merge_compareILb0ELb1EhNS0_19identity_decomposerEEEEE10hipError_tT0_T1_T2_jT3_P12ihipStream_tbPNSt15iterator_traitsISG_E10value_typeEPNSM_ISH_E10value_typeEPSI_NS1_7vsmem_tEENKUlT_SG_SH_SI_E_clIS7_S7_SB_PlEESF_SV_SG_SH_SI_EUlSV_E_NS1_11comp_targetILNS1_3genE5ELNS1_11target_archE942ELNS1_3gpuE9ELNS1_3repE0EEENS1_48merge_mergepath_partition_config_static_selectorELNS0_4arch9wavefront6targetE1EEEvSH_
	.globl	_ZN7rocprim17ROCPRIM_400000_NS6detail17trampoline_kernelINS0_14default_configENS1_38merge_sort_block_merge_config_selectorIhlEEZZNS1_27merge_sort_block_merge_implIS3_PhN6thrust23THRUST_200600_302600_NS10device_ptrIlEEjNS1_19radix_merge_compareILb0ELb1EhNS0_19identity_decomposerEEEEE10hipError_tT0_T1_T2_jT3_P12ihipStream_tbPNSt15iterator_traitsISG_E10value_typeEPNSM_ISH_E10value_typeEPSI_NS1_7vsmem_tEENKUlT_SG_SH_SI_E_clIS7_S7_SB_PlEESF_SV_SG_SH_SI_EUlSV_E_NS1_11comp_targetILNS1_3genE5ELNS1_11target_archE942ELNS1_3gpuE9ELNS1_3repE0EEENS1_48merge_mergepath_partition_config_static_selectorELNS0_4arch9wavefront6targetE1EEEvSH_
	.p2align	8
	.type	_ZN7rocprim17ROCPRIM_400000_NS6detail17trampoline_kernelINS0_14default_configENS1_38merge_sort_block_merge_config_selectorIhlEEZZNS1_27merge_sort_block_merge_implIS3_PhN6thrust23THRUST_200600_302600_NS10device_ptrIlEEjNS1_19radix_merge_compareILb0ELb1EhNS0_19identity_decomposerEEEEE10hipError_tT0_T1_T2_jT3_P12ihipStream_tbPNSt15iterator_traitsISG_E10value_typeEPNSM_ISH_E10value_typeEPSI_NS1_7vsmem_tEENKUlT_SG_SH_SI_E_clIS7_S7_SB_PlEESF_SV_SG_SH_SI_EUlSV_E_NS1_11comp_targetILNS1_3genE5ELNS1_11target_archE942ELNS1_3gpuE9ELNS1_3repE0EEENS1_48merge_mergepath_partition_config_static_selectorELNS0_4arch9wavefront6targetE1EEEvSH_,@function
_ZN7rocprim17ROCPRIM_400000_NS6detail17trampoline_kernelINS0_14default_configENS1_38merge_sort_block_merge_config_selectorIhlEEZZNS1_27merge_sort_block_merge_implIS3_PhN6thrust23THRUST_200600_302600_NS10device_ptrIlEEjNS1_19radix_merge_compareILb0ELb1EhNS0_19identity_decomposerEEEEE10hipError_tT0_T1_T2_jT3_P12ihipStream_tbPNSt15iterator_traitsISG_E10value_typeEPNSM_ISH_E10value_typeEPSI_NS1_7vsmem_tEENKUlT_SG_SH_SI_E_clIS7_S7_SB_PlEESF_SV_SG_SH_SI_EUlSV_E_NS1_11comp_targetILNS1_3genE5ELNS1_11target_archE942ELNS1_3gpuE9ELNS1_3repE0EEENS1_48merge_mergepath_partition_config_static_selectorELNS0_4arch9wavefront6targetE1EEEvSH_: ; @_ZN7rocprim17ROCPRIM_400000_NS6detail17trampoline_kernelINS0_14default_configENS1_38merge_sort_block_merge_config_selectorIhlEEZZNS1_27merge_sort_block_merge_implIS3_PhN6thrust23THRUST_200600_302600_NS10device_ptrIlEEjNS1_19radix_merge_compareILb0ELb1EhNS0_19identity_decomposerEEEEE10hipError_tT0_T1_T2_jT3_P12ihipStream_tbPNSt15iterator_traitsISG_E10value_typeEPNSM_ISH_E10value_typeEPSI_NS1_7vsmem_tEENKUlT_SG_SH_SI_E_clIS7_S7_SB_PlEESF_SV_SG_SH_SI_EUlSV_E_NS1_11comp_targetILNS1_3genE5ELNS1_11target_archE942ELNS1_3gpuE9ELNS1_3repE0EEENS1_48merge_mergepath_partition_config_static_selectorELNS0_4arch9wavefront6targetE1EEEvSH_
; %bb.0:
	.section	.rodata,"a",@progbits
	.p2align	6, 0x0
	.amdhsa_kernel _ZN7rocprim17ROCPRIM_400000_NS6detail17trampoline_kernelINS0_14default_configENS1_38merge_sort_block_merge_config_selectorIhlEEZZNS1_27merge_sort_block_merge_implIS3_PhN6thrust23THRUST_200600_302600_NS10device_ptrIlEEjNS1_19radix_merge_compareILb0ELb1EhNS0_19identity_decomposerEEEEE10hipError_tT0_T1_T2_jT3_P12ihipStream_tbPNSt15iterator_traitsISG_E10value_typeEPNSM_ISH_E10value_typeEPSI_NS1_7vsmem_tEENKUlT_SG_SH_SI_E_clIS7_S7_SB_PlEESF_SV_SG_SH_SI_EUlSV_E_NS1_11comp_targetILNS1_3genE5ELNS1_11target_archE942ELNS1_3gpuE9ELNS1_3repE0EEENS1_48merge_mergepath_partition_config_static_selectorELNS0_4arch9wavefront6targetE1EEEvSH_
		.amdhsa_group_segment_fixed_size 0
		.amdhsa_private_segment_fixed_size 0
		.amdhsa_kernarg_size 40
		.amdhsa_user_sgpr_count 6
		.amdhsa_user_sgpr_private_segment_buffer 1
		.amdhsa_user_sgpr_dispatch_ptr 0
		.amdhsa_user_sgpr_queue_ptr 0
		.amdhsa_user_sgpr_kernarg_segment_ptr 1
		.amdhsa_user_sgpr_dispatch_id 0
		.amdhsa_user_sgpr_flat_scratch_init 0
		.amdhsa_user_sgpr_private_segment_size 0
		.amdhsa_uses_dynamic_stack 0
		.amdhsa_system_sgpr_private_segment_wavefront_offset 0
		.amdhsa_system_sgpr_workgroup_id_x 1
		.amdhsa_system_sgpr_workgroup_id_y 0
		.amdhsa_system_sgpr_workgroup_id_z 0
		.amdhsa_system_sgpr_workgroup_info 0
		.amdhsa_system_vgpr_workitem_id 0
		.amdhsa_next_free_vgpr 1
		.amdhsa_next_free_sgpr 0
		.amdhsa_reserve_vcc 0
		.amdhsa_reserve_flat_scratch 0
		.amdhsa_float_round_mode_32 0
		.amdhsa_float_round_mode_16_64 0
		.amdhsa_float_denorm_mode_32 3
		.amdhsa_float_denorm_mode_16_64 3
		.amdhsa_dx10_clamp 1
		.amdhsa_ieee_mode 1
		.amdhsa_fp16_overflow 0
		.amdhsa_exception_fp_ieee_invalid_op 0
		.amdhsa_exception_fp_denorm_src 0
		.amdhsa_exception_fp_ieee_div_zero 0
		.amdhsa_exception_fp_ieee_overflow 0
		.amdhsa_exception_fp_ieee_underflow 0
		.amdhsa_exception_fp_ieee_inexact 0
		.amdhsa_exception_int_div_zero 0
	.end_amdhsa_kernel
	.section	.text._ZN7rocprim17ROCPRIM_400000_NS6detail17trampoline_kernelINS0_14default_configENS1_38merge_sort_block_merge_config_selectorIhlEEZZNS1_27merge_sort_block_merge_implIS3_PhN6thrust23THRUST_200600_302600_NS10device_ptrIlEEjNS1_19radix_merge_compareILb0ELb1EhNS0_19identity_decomposerEEEEE10hipError_tT0_T1_T2_jT3_P12ihipStream_tbPNSt15iterator_traitsISG_E10value_typeEPNSM_ISH_E10value_typeEPSI_NS1_7vsmem_tEENKUlT_SG_SH_SI_E_clIS7_S7_SB_PlEESF_SV_SG_SH_SI_EUlSV_E_NS1_11comp_targetILNS1_3genE5ELNS1_11target_archE942ELNS1_3gpuE9ELNS1_3repE0EEENS1_48merge_mergepath_partition_config_static_selectorELNS0_4arch9wavefront6targetE1EEEvSH_,"axG",@progbits,_ZN7rocprim17ROCPRIM_400000_NS6detail17trampoline_kernelINS0_14default_configENS1_38merge_sort_block_merge_config_selectorIhlEEZZNS1_27merge_sort_block_merge_implIS3_PhN6thrust23THRUST_200600_302600_NS10device_ptrIlEEjNS1_19radix_merge_compareILb0ELb1EhNS0_19identity_decomposerEEEEE10hipError_tT0_T1_T2_jT3_P12ihipStream_tbPNSt15iterator_traitsISG_E10value_typeEPNSM_ISH_E10value_typeEPSI_NS1_7vsmem_tEENKUlT_SG_SH_SI_E_clIS7_S7_SB_PlEESF_SV_SG_SH_SI_EUlSV_E_NS1_11comp_targetILNS1_3genE5ELNS1_11target_archE942ELNS1_3gpuE9ELNS1_3repE0EEENS1_48merge_mergepath_partition_config_static_selectorELNS0_4arch9wavefront6targetE1EEEvSH_,comdat
.Lfunc_end215:
	.size	_ZN7rocprim17ROCPRIM_400000_NS6detail17trampoline_kernelINS0_14default_configENS1_38merge_sort_block_merge_config_selectorIhlEEZZNS1_27merge_sort_block_merge_implIS3_PhN6thrust23THRUST_200600_302600_NS10device_ptrIlEEjNS1_19radix_merge_compareILb0ELb1EhNS0_19identity_decomposerEEEEE10hipError_tT0_T1_T2_jT3_P12ihipStream_tbPNSt15iterator_traitsISG_E10value_typeEPNSM_ISH_E10value_typeEPSI_NS1_7vsmem_tEENKUlT_SG_SH_SI_E_clIS7_S7_SB_PlEESF_SV_SG_SH_SI_EUlSV_E_NS1_11comp_targetILNS1_3genE5ELNS1_11target_archE942ELNS1_3gpuE9ELNS1_3repE0EEENS1_48merge_mergepath_partition_config_static_selectorELNS0_4arch9wavefront6targetE1EEEvSH_, .Lfunc_end215-_ZN7rocprim17ROCPRIM_400000_NS6detail17trampoline_kernelINS0_14default_configENS1_38merge_sort_block_merge_config_selectorIhlEEZZNS1_27merge_sort_block_merge_implIS3_PhN6thrust23THRUST_200600_302600_NS10device_ptrIlEEjNS1_19radix_merge_compareILb0ELb1EhNS0_19identity_decomposerEEEEE10hipError_tT0_T1_T2_jT3_P12ihipStream_tbPNSt15iterator_traitsISG_E10value_typeEPNSM_ISH_E10value_typeEPSI_NS1_7vsmem_tEENKUlT_SG_SH_SI_E_clIS7_S7_SB_PlEESF_SV_SG_SH_SI_EUlSV_E_NS1_11comp_targetILNS1_3genE5ELNS1_11target_archE942ELNS1_3gpuE9ELNS1_3repE0EEENS1_48merge_mergepath_partition_config_static_selectorELNS0_4arch9wavefront6targetE1EEEvSH_
                                        ; -- End function
	.set _ZN7rocprim17ROCPRIM_400000_NS6detail17trampoline_kernelINS0_14default_configENS1_38merge_sort_block_merge_config_selectorIhlEEZZNS1_27merge_sort_block_merge_implIS3_PhN6thrust23THRUST_200600_302600_NS10device_ptrIlEEjNS1_19radix_merge_compareILb0ELb1EhNS0_19identity_decomposerEEEEE10hipError_tT0_T1_T2_jT3_P12ihipStream_tbPNSt15iterator_traitsISG_E10value_typeEPNSM_ISH_E10value_typeEPSI_NS1_7vsmem_tEENKUlT_SG_SH_SI_E_clIS7_S7_SB_PlEESF_SV_SG_SH_SI_EUlSV_E_NS1_11comp_targetILNS1_3genE5ELNS1_11target_archE942ELNS1_3gpuE9ELNS1_3repE0EEENS1_48merge_mergepath_partition_config_static_selectorELNS0_4arch9wavefront6targetE1EEEvSH_.num_vgpr, 0
	.set _ZN7rocprim17ROCPRIM_400000_NS6detail17trampoline_kernelINS0_14default_configENS1_38merge_sort_block_merge_config_selectorIhlEEZZNS1_27merge_sort_block_merge_implIS3_PhN6thrust23THRUST_200600_302600_NS10device_ptrIlEEjNS1_19radix_merge_compareILb0ELb1EhNS0_19identity_decomposerEEEEE10hipError_tT0_T1_T2_jT3_P12ihipStream_tbPNSt15iterator_traitsISG_E10value_typeEPNSM_ISH_E10value_typeEPSI_NS1_7vsmem_tEENKUlT_SG_SH_SI_E_clIS7_S7_SB_PlEESF_SV_SG_SH_SI_EUlSV_E_NS1_11comp_targetILNS1_3genE5ELNS1_11target_archE942ELNS1_3gpuE9ELNS1_3repE0EEENS1_48merge_mergepath_partition_config_static_selectorELNS0_4arch9wavefront6targetE1EEEvSH_.num_agpr, 0
	.set _ZN7rocprim17ROCPRIM_400000_NS6detail17trampoline_kernelINS0_14default_configENS1_38merge_sort_block_merge_config_selectorIhlEEZZNS1_27merge_sort_block_merge_implIS3_PhN6thrust23THRUST_200600_302600_NS10device_ptrIlEEjNS1_19radix_merge_compareILb0ELb1EhNS0_19identity_decomposerEEEEE10hipError_tT0_T1_T2_jT3_P12ihipStream_tbPNSt15iterator_traitsISG_E10value_typeEPNSM_ISH_E10value_typeEPSI_NS1_7vsmem_tEENKUlT_SG_SH_SI_E_clIS7_S7_SB_PlEESF_SV_SG_SH_SI_EUlSV_E_NS1_11comp_targetILNS1_3genE5ELNS1_11target_archE942ELNS1_3gpuE9ELNS1_3repE0EEENS1_48merge_mergepath_partition_config_static_selectorELNS0_4arch9wavefront6targetE1EEEvSH_.numbered_sgpr, 0
	.set _ZN7rocprim17ROCPRIM_400000_NS6detail17trampoline_kernelINS0_14default_configENS1_38merge_sort_block_merge_config_selectorIhlEEZZNS1_27merge_sort_block_merge_implIS3_PhN6thrust23THRUST_200600_302600_NS10device_ptrIlEEjNS1_19radix_merge_compareILb0ELb1EhNS0_19identity_decomposerEEEEE10hipError_tT0_T1_T2_jT3_P12ihipStream_tbPNSt15iterator_traitsISG_E10value_typeEPNSM_ISH_E10value_typeEPSI_NS1_7vsmem_tEENKUlT_SG_SH_SI_E_clIS7_S7_SB_PlEESF_SV_SG_SH_SI_EUlSV_E_NS1_11comp_targetILNS1_3genE5ELNS1_11target_archE942ELNS1_3gpuE9ELNS1_3repE0EEENS1_48merge_mergepath_partition_config_static_selectorELNS0_4arch9wavefront6targetE1EEEvSH_.num_named_barrier, 0
	.set _ZN7rocprim17ROCPRIM_400000_NS6detail17trampoline_kernelINS0_14default_configENS1_38merge_sort_block_merge_config_selectorIhlEEZZNS1_27merge_sort_block_merge_implIS3_PhN6thrust23THRUST_200600_302600_NS10device_ptrIlEEjNS1_19radix_merge_compareILb0ELb1EhNS0_19identity_decomposerEEEEE10hipError_tT0_T1_T2_jT3_P12ihipStream_tbPNSt15iterator_traitsISG_E10value_typeEPNSM_ISH_E10value_typeEPSI_NS1_7vsmem_tEENKUlT_SG_SH_SI_E_clIS7_S7_SB_PlEESF_SV_SG_SH_SI_EUlSV_E_NS1_11comp_targetILNS1_3genE5ELNS1_11target_archE942ELNS1_3gpuE9ELNS1_3repE0EEENS1_48merge_mergepath_partition_config_static_selectorELNS0_4arch9wavefront6targetE1EEEvSH_.private_seg_size, 0
	.set _ZN7rocprim17ROCPRIM_400000_NS6detail17trampoline_kernelINS0_14default_configENS1_38merge_sort_block_merge_config_selectorIhlEEZZNS1_27merge_sort_block_merge_implIS3_PhN6thrust23THRUST_200600_302600_NS10device_ptrIlEEjNS1_19radix_merge_compareILb0ELb1EhNS0_19identity_decomposerEEEEE10hipError_tT0_T1_T2_jT3_P12ihipStream_tbPNSt15iterator_traitsISG_E10value_typeEPNSM_ISH_E10value_typeEPSI_NS1_7vsmem_tEENKUlT_SG_SH_SI_E_clIS7_S7_SB_PlEESF_SV_SG_SH_SI_EUlSV_E_NS1_11comp_targetILNS1_3genE5ELNS1_11target_archE942ELNS1_3gpuE9ELNS1_3repE0EEENS1_48merge_mergepath_partition_config_static_selectorELNS0_4arch9wavefront6targetE1EEEvSH_.uses_vcc, 0
	.set _ZN7rocprim17ROCPRIM_400000_NS6detail17trampoline_kernelINS0_14default_configENS1_38merge_sort_block_merge_config_selectorIhlEEZZNS1_27merge_sort_block_merge_implIS3_PhN6thrust23THRUST_200600_302600_NS10device_ptrIlEEjNS1_19radix_merge_compareILb0ELb1EhNS0_19identity_decomposerEEEEE10hipError_tT0_T1_T2_jT3_P12ihipStream_tbPNSt15iterator_traitsISG_E10value_typeEPNSM_ISH_E10value_typeEPSI_NS1_7vsmem_tEENKUlT_SG_SH_SI_E_clIS7_S7_SB_PlEESF_SV_SG_SH_SI_EUlSV_E_NS1_11comp_targetILNS1_3genE5ELNS1_11target_archE942ELNS1_3gpuE9ELNS1_3repE0EEENS1_48merge_mergepath_partition_config_static_selectorELNS0_4arch9wavefront6targetE1EEEvSH_.uses_flat_scratch, 0
	.set _ZN7rocprim17ROCPRIM_400000_NS6detail17trampoline_kernelINS0_14default_configENS1_38merge_sort_block_merge_config_selectorIhlEEZZNS1_27merge_sort_block_merge_implIS3_PhN6thrust23THRUST_200600_302600_NS10device_ptrIlEEjNS1_19radix_merge_compareILb0ELb1EhNS0_19identity_decomposerEEEEE10hipError_tT0_T1_T2_jT3_P12ihipStream_tbPNSt15iterator_traitsISG_E10value_typeEPNSM_ISH_E10value_typeEPSI_NS1_7vsmem_tEENKUlT_SG_SH_SI_E_clIS7_S7_SB_PlEESF_SV_SG_SH_SI_EUlSV_E_NS1_11comp_targetILNS1_3genE5ELNS1_11target_archE942ELNS1_3gpuE9ELNS1_3repE0EEENS1_48merge_mergepath_partition_config_static_selectorELNS0_4arch9wavefront6targetE1EEEvSH_.has_dyn_sized_stack, 0
	.set _ZN7rocprim17ROCPRIM_400000_NS6detail17trampoline_kernelINS0_14default_configENS1_38merge_sort_block_merge_config_selectorIhlEEZZNS1_27merge_sort_block_merge_implIS3_PhN6thrust23THRUST_200600_302600_NS10device_ptrIlEEjNS1_19radix_merge_compareILb0ELb1EhNS0_19identity_decomposerEEEEE10hipError_tT0_T1_T2_jT3_P12ihipStream_tbPNSt15iterator_traitsISG_E10value_typeEPNSM_ISH_E10value_typeEPSI_NS1_7vsmem_tEENKUlT_SG_SH_SI_E_clIS7_S7_SB_PlEESF_SV_SG_SH_SI_EUlSV_E_NS1_11comp_targetILNS1_3genE5ELNS1_11target_archE942ELNS1_3gpuE9ELNS1_3repE0EEENS1_48merge_mergepath_partition_config_static_selectorELNS0_4arch9wavefront6targetE1EEEvSH_.has_recursion, 0
	.set _ZN7rocprim17ROCPRIM_400000_NS6detail17trampoline_kernelINS0_14default_configENS1_38merge_sort_block_merge_config_selectorIhlEEZZNS1_27merge_sort_block_merge_implIS3_PhN6thrust23THRUST_200600_302600_NS10device_ptrIlEEjNS1_19radix_merge_compareILb0ELb1EhNS0_19identity_decomposerEEEEE10hipError_tT0_T1_T2_jT3_P12ihipStream_tbPNSt15iterator_traitsISG_E10value_typeEPNSM_ISH_E10value_typeEPSI_NS1_7vsmem_tEENKUlT_SG_SH_SI_E_clIS7_S7_SB_PlEESF_SV_SG_SH_SI_EUlSV_E_NS1_11comp_targetILNS1_3genE5ELNS1_11target_archE942ELNS1_3gpuE9ELNS1_3repE0EEENS1_48merge_mergepath_partition_config_static_selectorELNS0_4arch9wavefront6targetE1EEEvSH_.has_indirect_call, 0
	.section	.AMDGPU.csdata,"",@progbits
; Kernel info:
; codeLenInByte = 0
; TotalNumSgprs: 4
; NumVgprs: 0
; ScratchSize: 0
; MemoryBound: 0
; FloatMode: 240
; IeeeMode: 1
; LDSByteSize: 0 bytes/workgroup (compile time only)
; SGPRBlocks: 0
; VGPRBlocks: 0
; NumSGPRsForWavesPerEU: 4
; NumVGPRsForWavesPerEU: 1
; Occupancy: 10
; WaveLimiterHint : 0
; COMPUTE_PGM_RSRC2:SCRATCH_EN: 0
; COMPUTE_PGM_RSRC2:USER_SGPR: 6
; COMPUTE_PGM_RSRC2:TRAP_HANDLER: 0
; COMPUTE_PGM_RSRC2:TGID_X_EN: 1
; COMPUTE_PGM_RSRC2:TGID_Y_EN: 0
; COMPUTE_PGM_RSRC2:TGID_Z_EN: 0
; COMPUTE_PGM_RSRC2:TIDIG_COMP_CNT: 0
	.section	.text._ZN7rocprim17ROCPRIM_400000_NS6detail17trampoline_kernelINS0_14default_configENS1_38merge_sort_block_merge_config_selectorIhlEEZZNS1_27merge_sort_block_merge_implIS3_PhN6thrust23THRUST_200600_302600_NS10device_ptrIlEEjNS1_19radix_merge_compareILb0ELb1EhNS0_19identity_decomposerEEEEE10hipError_tT0_T1_T2_jT3_P12ihipStream_tbPNSt15iterator_traitsISG_E10value_typeEPNSM_ISH_E10value_typeEPSI_NS1_7vsmem_tEENKUlT_SG_SH_SI_E_clIS7_S7_SB_PlEESF_SV_SG_SH_SI_EUlSV_E_NS1_11comp_targetILNS1_3genE4ELNS1_11target_archE910ELNS1_3gpuE8ELNS1_3repE0EEENS1_48merge_mergepath_partition_config_static_selectorELNS0_4arch9wavefront6targetE1EEEvSH_,"axG",@progbits,_ZN7rocprim17ROCPRIM_400000_NS6detail17trampoline_kernelINS0_14default_configENS1_38merge_sort_block_merge_config_selectorIhlEEZZNS1_27merge_sort_block_merge_implIS3_PhN6thrust23THRUST_200600_302600_NS10device_ptrIlEEjNS1_19radix_merge_compareILb0ELb1EhNS0_19identity_decomposerEEEEE10hipError_tT0_T1_T2_jT3_P12ihipStream_tbPNSt15iterator_traitsISG_E10value_typeEPNSM_ISH_E10value_typeEPSI_NS1_7vsmem_tEENKUlT_SG_SH_SI_E_clIS7_S7_SB_PlEESF_SV_SG_SH_SI_EUlSV_E_NS1_11comp_targetILNS1_3genE4ELNS1_11target_archE910ELNS1_3gpuE8ELNS1_3repE0EEENS1_48merge_mergepath_partition_config_static_selectorELNS0_4arch9wavefront6targetE1EEEvSH_,comdat
	.protected	_ZN7rocprim17ROCPRIM_400000_NS6detail17trampoline_kernelINS0_14default_configENS1_38merge_sort_block_merge_config_selectorIhlEEZZNS1_27merge_sort_block_merge_implIS3_PhN6thrust23THRUST_200600_302600_NS10device_ptrIlEEjNS1_19radix_merge_compareILb0ELb1EhNS0_19identity_decomposerEEEEE10hipError_tT0_T1_T2_jT3_P12ihipStream_tbPNSt15iterator_traitsISG_E10value_typeEPNSM_ISH_E10value_typeEPSI_NS1_7vsmem_tEENKUlT_SG_SH_SI_E_clIS7_S7_SB_PlEESF_SV_SG_SH_SI_EUlSV_E_NS1_11comp_targetILNS1_3genE4ELNS1_11target_archE910ELNS1_3gpuE8ELNS1_3repE0EEENS1_48merge_mergepath_partition_config_static_selectorELNS0_4arch9wavefront6targetE1EEEvSH_ ; -- Begin function _ZN7rocprim17ROCPRIM_400000_NS6detail17trampoline_kernelINS0_14default_configENS1_38merge_sort_block_merge_config_selectorIhlEEZZNS1_27merge_sort_block_merge_implIS3_PhN6thrust23THRUST_200600_302600_NS10device_ptrIlEEjNS1_19radix_merge_compareILb0ELb1EhNS0_19identity_decomposerEEEEE10hipError_tT0_T1_T2_jT3_P12ihipStream_tbPNSt15iterator_traitsISG_E10value_typeEPNSM_ISH_E10value_typeEPSI_NS1_7vsmem_tEENKUlT_SG_SH_SI_E_clIS7_S7_SB_PlEESF_SV_SG_SH_SI_EUlSV_E_NS1_11comp_targetILNS1_3genE4ELNS1_11target_archE910ELNS1_3gpuE8ELNS1_3repE0EEENS1_48merge_mergepath_partition_config_static_selectorELNS0_4arch9wavefront6targetE1EEEvSH_
	.globl	_ZN7rocprim17ROCPRIM_400000_NS6detail17trampoline_kernelINS0_14default_configENS1_38merge_sort_block_merge_config_selectorIhlEEZZNS1_27merge_sort_block_merge_implIS3_PhN6thrust23THRUST_200600_302600_NS10device_ptrIlEEjNS1_19radix_merge_compareILb0ELb1EhNS0_19identity_decomposerEEEEE10hipError_tT0_T1_T2_jT3_P12ihipStream_tbPNSt15iterator_traitsISG_E10value_typeEPNSM_ISH_E10value_typeEPSI_NS1_7vsmem_tEENKUlT_SG_SH_SI_E_clIS7_S7_SB_PlEESF_SV_SG_SH_SI_EUlSV_E_NS1_11comp_targetILNS1_3genE4ELNS1_11target_archE910ELNS1_3gpuE8ELNS1_3repE0EEENS1_48merge_mergepath_partition_config_static_selectorELNS0_4arch9wavefront6targetE1EEEvSH_
	.p2align	8
	.type	_ZN7rocprim17ROCPRIM_400000_NS6detail17trampoline_kernelINS0_14default_configENS1_38merge_sort_block_merge_config_selectorIhlEEZZNS1_27merge_sort_block_merge_implIS3_PhN6thrust23THRUST_200600_302600_NS10device_ptrIlEEjNS1_19radix_merge_compareILb0ELb1EhNS0_19identity_decomposerEEEEE10hipError_tT0_T1_T2_jT3_P12ihipStream_tbPNSt15iterator_traitsISG_E10value_typeEPNSM_ISH_E10value_typeEPSI_NS1_7vsmem_tEENKUlT_SG_SH_SI_E_clIS7_S7_SB_PlEESF_SV_SG_SH_SI_EUlSV_E_NS1_11comp_targetILNS1_3genE4ELNS1_11target_archE910ELNS1_3gpuE8ELNS1_3repE0EEENS1_48merge_mergepath_partition_config_static_selectorELNS0_4arch9wavefront6targetE1EEEvSH_,@function
_ZN7rocprim17ROCPRIM_400000_NS6detail17trampoline_kernelINS0_14default_configENS1_38merge_sort_block_merge_config_selectorIhlEEZZNS1_27merge_sort_block_merge_implIS3_PhN6thrust23THRUST_200600_302600_NS10device_ptrIlEEjNS1_19radix_merge_compareILb0ELb1EhNS0_19identity_decomposerEEEEE10hipError_tT0_T1_T2_jT3_P12ihipStream_tbPNSt15iterator_traitsISG_E10value_typeEPNSM_ISH_E10value_typeEPSI_NS1_7vsmem_tEENKUlT_SG_SH_SI_E_clIS7_S7_SB_PlEESF_SV_SG_SH_SI_EUlSV_E_NS1_11comp_targetILNS1_3genE4ELNS1_11target_archE910ELNS1_3gpuE8ELNS1_3repE0EEENS1_48merge_mergepath_partition_config_static_selectorELNS0_4arch9wavefront6targetE1EEEvSH_: ; @_ZN7rocprim17ROCPRIM_400000_NS6detail17trampoline_kernelINS0_14default_configENS1_38merge_sort_block_merge_config_selectorIhlEEZZNS1_27merge_sort_block_merge_implIS3_PhN6thrust23THRUST_200600_302600_NS10device_ptrIlEEjNS1_19radix_merge_compareILb0ELb1EhNS0_19identity_decomposerEEEEE10hipError_tT0_T1_T2_jT3_P12ihipStream_tbPNSt15iterator_traitsISG_E10value_typeEPNSM_ISH_E10value_typeEPSI_NS1_7vsmem_tEENKUlT_SG_SH_SI_E_clIS7_S7_SB_PlEESF_SV_SG_SH_SI_EUlSV_E_NS1_11comp_targetILNS1_3genE4ELNS1_11target_archE910ELNS1_3gpuE8ELNS1_3repE0EEENS1_48merge_mergepath_partition_config_static_selectorELNS0_4arch9wavefront6targetE1EEEvSH_
; %bb.0:
	.section	.rodata,"a",@progbits
	.p2align	6, 0x0
	.amdhsa_kernel _ZN7rocprim17ROCPRIM_400000_NS6detail17trampoline_kernelINS0_14default_configENS1_38merge_sort_block_merge_config_selectorIhlEEZZNS1_27merge_sort_block_merge_implIS3_PhN6thrust23THRUST_200600_302600_NS10device_ptrIlEEjNS1_19radix_merge_compareILb0ELb1EhNS0_19identity_decomposerEEEEE10hipError_tT0_T1_T2_jT3_P12ihipStream_tbPNSt15iterator_traitsISG_E10value_typeEPNSM_ISH_E10value_typeEPSI_NS1_7vsmem_tEENKUlT_SG_SH_SI_E_clIS7_S7_SB_PlEESF_SV_SG_SH_SI_EUlSV_E_NS1_11comp_targetILNS1_3genE4ELNS1_11target_archE910ELNS1_3gpuE8ELNS1_3repE0EEENS1_48merge_mergepath_partition_config_static_selectorELNS0_4arch9wavefront6targetE1EEEvSH_
		.amdhsa_group_segment_fixed_size 0
		.amdhsa_private_segment_fixed_size 0
		.amdhsa_kernarg_size 40
		.amdhsa_user_sgpr_count 6
		.amdhsa_user_sgpr_private_segment_buffer 1
		.amdhsa_user_sgpr_dispatch_ptr 0
		.amdhsa_user_sgpr_queue_ptr 0
		.amdhsa_user_sgpr_kernarg_segment_ptr 1
		.amdhsa_user_sgpr_dispatch_id 0
		.amdhsa_user_sgpr_flat_scratch_init 0
		.amdhsa_user_sgpr_private_segment_size 0
		.amdhsa_uses_dynamic_stack 0
		.amdhsa_system_sgpr_private_segment_wavefront_offset 0
		.amdhsa_system_sgpr_workgroup_id_x 1
		.amdhsa_system_sgpr_workgroup_id_y 0
		.amdhsa_system_sgpr_workgroup_id_z 0
		.amdhsa_system_sgpr_workgroup_info 0
		.amdhsa_system_vgpr_workitem_id 0
		.amdhsa_next_free_vgpr 1
		.amdhsa_next_free_sgpr 0
		.amdhsa_reserve_vcc 0
		.amdhsa_reserve_flat_scratch 0
		.amdhsa_float_round_mode_32 0
		.amdhsa_float_round_mode_16_64 0
		.amdhsa_float_denorm_mode_32 3
		.amdhsa_float_denorm_mode_16_64 3
		.amdhsa_dx10_clamp 1
		.amdhsa_ieee_mode 1
		.amdhsa_fp16_overflow 0
		.amdhsa_exception_fp_ieee_invalid_op 0
		.amdhsa_exception_fp_denorm_src 0
		.amdhsa_exception_fp_ieee_div_zero 0
		.amdhsa_exception_fp_ieee_overflow 0
		.amdhsa_exception_fp_ieee_underflow 0
		.amdhsa_exception_fp_ieee_inexact 0
		.amdhsa_exception_int_div_zero 0
	.end_amdhsa_kernel
	.section	.text._ZN7rocprim17ROCPRIM_400000_NS6detail17trampoline_kernelINS0_14default_configENS1_38merge_sort_block_merge_config_selectorIhlEEZZNS1_27merge_sort_block_merge_implIS3_PhN6thrust23THRUST_200600_302600_NS10device_ptrIlEEjNS1_19radix_merge_compareILb0ELb1EhNS0_19identity_decomposerEEEEE10hipError_tT0_T1_T2_jT3_P12ihipStream_tbPNSt15iterator_traitsISG_E10value_typeEPNSM_ISH_E10value_typeEPSI_NS1_7vsmem_tEENKUlT_SG_SH_SI_E_clIS7_S7_SB_PlEESF_SV_SG_SH_SI_EUlSV_E_NS1_11comp_targetILNS1_3genE4ELNS1_11target_archE910ELNS1_3gpuE8ELNS1_3repE0EEENS1_48merge_mergepath_partition_config_static_selectorELNS0_4arch9wavefront6targetE1EEEvSH_,"axG",@progbits,_ZN7rocprim17ROCPRIM_400000_NS6detail17trampoline_kernelINS0_14default_configENS1_38merge_sort_block_merge_config_selectorIhlEEZZNS1_27merge_sort_block_merge_implIS3_PhN6thrust23THRUST_200600_302600_NS10device_ptrIlEEjNS1_19radix_merge_compareILb0ELb1EhNS0_19identity_decomposerEEEEE10hipError_tT0_T1_T2_jT3_P12ihipStream_tbPNSt15iterator_traitsISG_E10value_typeEPNSM_ISH_E10value_typeEPSI_NS1_7vsmem_tEENKUlT_SG_SH_SI_E_clIS7_S7_SB_PlEESF_SV_SG_SH_SI_EUlSV_E_NS1_11comp_targetILNS1_3genE4ELNS1_11target_archE910ELNS1_3gpuE8ELNS1_3repE0EEENS1_48merge_mergepath_partition_config_static_selectorELNS0_4arch9wavefront6targetE1EEEvSH_,comdat
.Lfunc_end216:
	.size	_ZN7rocprim17ROCPRIM_400000_NS6detail17trampoline_kernelINS0_14default_configENS1_38merge_sort_block_merge_config_selectorIhlEEZZNS1_27merge_sort_block_merge_implIS3_PhN6thrust23THRUST_200600_302600_NS10device_ptrIlEEjNS1_19radix_merge_compareILb0ELb1EhNS0_19identity_decomposerEEEEE10hipError_tT0_T1_T2_jT3_P12ihipStream_tbPNSt15iterator_traitsISG_E10value_typeEPNSM_ISH_E10value_typeEPSI_NS1_7vsmem_tEENKUlT_SG_SH_SI_E_clIS7_S7_SB_PlEESF_SV_SG_SH_SI_EUlSV_E_NS1_11comp_targetILNS1_3genE4ELNS1_11target_archE910ELNS1_3gpuE8ELNS1_3repE0EEENS1_48merge_mergepath_partition_config_static_selectorELNS0_4arch9wavefront6targetE1EEEvSH_, .Lfunc_end216-_ZN7rocprim17ROCPRIM_400000_NS6detail17trampoline_kernelINS0_14default_configENS1_38merge_sort_block_merge_config_selectorIhlEEZZNS1_27merge_sort_block_merge_implIS3_PhN6thrust23THRUST_200600_302600_NS10device_ptrIlEEjNS1_19radix_merge_compareILb0ELb1EhNS0_19identity_decomposerEEEEE10hipError_tT0_T1_T2_jT3_P12ihipStream_tbPNSt15iterator_traitsISG_E10value_typeEPNSM_ISH_E10value_typeEPSI_NS1_7vsmem_tEENKUlT_SG_SH_SI_E_clIS7_S7_SB_PlEESF_SV_SG_SH_SI_EUlSV_E_NS1_11comp_targetILNS1_3genE4ELNS1_11target_archE910ELNS1_3gpuE8ELNS1_3repE0EEENS1_48merge_mergepath_partition_config_static_selectorELNS0_4arch9wavefront6targetE1EEEvSH_
                                        ; -- End function
	.set _ZN7rocprim17ROCPRIM_400000_NS6detail17trampoline_kernelINS0_14default_configENS1_38merge_sort_block_merge_config_selectorIhlEEZZNS1_27merge_sort_block_merge_implIS3_PhN6thrust23THRUST_200600_302600_NS10device_ptrIlEEjNS1_19radix_merge_compareILb0ELb1EhNS0_19identity_decomposerEEEEE10hipError_tT0_T1_T2_jT3_P12ihipStream_tbPNSt15iterator_traitsISG_E10value_typeEPNSM_ISH_E10value_typeEPSI_NS1_7vsmem_tEENKUlT_SG_SH_SI_E_clIS7_S7_SB_PlEESF_SV_SG_SH_SI_EUlSV_E_NS1_11comp_targetILNS1_3genE4ELNS1_11target_archE910ELNS1_3gpuE8ELNS1_3repE0EEENS1_48merge_mergepath_partition_config_static_selectorELNS0_4arch9wavefront6targetE1EEEvSH_.num_vgpr, 0
	.set _ZN7rocprim17ROCPRIM_400000_NS6detail17trampoline_kernelINS0_14default_configENS1_38merge_sort_block_merge_config_selectorIhlEEZZNS1_27merge_sort_block_merge_implIS3_PhN6thrust23THRUST_200600_302600_NS10device_ptrIlEEjNS1_19radix_merge_compareILb0ELb1EhNS0_19identity_decomposerEEEEE10hipError_tT0_T1_T2_jT3_P12ihipStream_tbPNSt15iterator_traitsISG_E10value_typeEPNSM_ISH_E10value_typeEPSI_NS1_7vsmem_tEENKUlT_SG_SH_SI_E_clIS7_S7_SB_PlEESF_SV_SG_SH_SI_EUlSV_E_NS1_11comp_targetILNS1_3genE4ELNS1_11target_archE910ELNS1_3gpuE8ELNS1_3repE0EEENS1_48merge_mergepath_partition_config_static_selectorELNS0_4arch9wavefront6targetE1EEEvSH_.num_agpr, 0
	.set _ZN7rocprim17ROCPRIM_400000_NS6detail17trampoline_kernelINS0_14default_configENS1_38merge_sort_block_merge_config_selectorIhlEEZZNS1_27merge_sort_block_merge_implIS3_PhN6thrust23THRUST_200600_302600_NS10device_ptrIlEEjNS1_19radix_merge_compareILb0ELb1EhNS0_19identity_decomposerEEEEE10hipError_tT0_T1_T2_jT3_P12ihipStream_tbPNSt15iterator_traitsISG_E10value_typeEPNSM_ISH_E10value_typeEPSI_NS1_7vsmem_tEENKUlT_SG_SH_SI_E_clIS7_S7_SB_PlEESF_SV_SG_SH_SI_EUlSV_E_NS1_11comp_targetILNS1_3genE4ELNS1_11target_archE910ELNS1_3gpuE8ELNS1_3repE0EEENS1_48merge_mergepath_partition_config_static_selectorELNS0_4arch9wavefront6targetE1EEEvSH_.numbered_sgpr, 0
	.set _ZN7rocprim17ROCPRIM_400000_NS6detail17trampoline_kernelINS0_14default_configENS1_38merge_sort_block_merge_config_selectorIhlEEZZNS1_27merge_sort_block_merge_implIS3_PhN6thrust23THRUST_200600_302600_NS10device_ptrIlEEjNS1_19radix_merge_compareILb0ELb1EhNS0_19identity_decomposerEEEEE10hipError_tT0_T1_T2_jT3_P12ihipStream_tbPNSt15iterator_traitsISG_E10value_typeEPNSM_ISH_E10value_typeEPSI_NS1_7vsmem_tEENKUlT_SG_SH_SI_E_clIS7_S7_SB_PlEESF_SV_SG_SH_SI_EUlSV_E_NS1_11comp_targetILNS1_3genE4ELNS1_11target_archE910ELNS1_3gpuE8ELNS1_3repE0EEENS1_48merge_mergepath_partition_config_static_selectorELNS0_4arch9wavefront6targetE1EEEvSH_.num_named_barrier, 0
	.set _ZN7rocprim17ROCPRIM_400000_NS6detail17trampoline_kernelINS0_14default_configENS1_38merge_sort_block_merge_config_selectorIhlEEZZNS1_27merge_sort_block_merge_implIS3_PhN6thrust23THRUST_200600_302600_NS10device_ptrIlEEjNS1_19radix_merge_compareILb0ELb1EhNS0_19identity_decomposerEEEEE10hipError_tT0_T1_T2_jT3_P12ihipStream_tbPNSt15iterator_traitsISG_E10value_typeEPNSM_ISH_E10value_typeEPSI_NS1_7vsmem_tEENKUlT_SG_SH_SI_E_clIS7_S7_SB_PlEESF_SV_SG_SH_SI_EUlSV_E_NS1_11comp_targetILNS1_3genE4ELNS1_11target_archE910ELNS1_3gpuE8ELNS1_3repE0EEENS1_48merge_mergepath_partition_config_static_selectorELNS0_4arch9wavefront6targetE1EEEvSH_.private_seg_size, 0
	.set _ZN7rocprim17ROCPRIM_400000_NS6detail17trampoline_kernelINS0_14default_configENS1_38merge_sort_block_merge_config_selectorIhlEEZZNS1_27merge_sort_block_merge_implIS3_PhN6thrust23THRUST_200600_302600_NS10device_ptrIlEEjNS1_19radix_merge_compareILb0ELb1EhNS0_19identity_decomposerEEEEE10hipError_tT0_T1_T2_jT3_P12ihipStream_tbPNSt15iterator_traitsISG_E10value_typeEPNSM_ISH_E10value_typeEPSI_NS1_7vsmem_tEENKUlT_SG_SH_SI_E_clIS7_S7_SB_PlEESF_SV_SG_SH_SI_EUlSV_E_NS1_11comp_targetILNS1_3genE4ELNS1_11target_archE910ELNS1_3gpuE8ELNS1_3repE0EEENS1_48merge_mergepath_partition_config_static_selectorELNS0_4arch9wavefront6targetE1EEEvSH_.uses_vcc, 0
	.set _ZN7rocprim17ROCPRIM_400000_NS6detail17trampoline_kernelINS0_14default_configENS1_38merge_sort_block_merge_config_selectorIhlEEZZNS1_27merge_sort_block_merge_implIS3_PhN6thrust23THRUST_200600_302600_NS10device_ptrIlEEjNS1_19radix_merge_compareILb0ELb1EhNS0_19identity_decomposerEEEEE10hipError_tT0_T1_T2_jT3_P12ihipStream_tbPNSt15iterator_traitsISG_E10value_typeEPNSM_ISH_E10value_typeEPSI_NS1_7vsmem_tEENKUlT_SG_SH_SI_E_clIS7_S7_SB_PlEESF_SV_SG_SH_SI_EUlSV_E_NS1_11comp_targetILNS1_3genE4ELNS1_11target_archE910ELNS1_3gpuE8ELNS1_3repE0EEENS1_48merge_mergepath_partition_config_static_selectorELNS0_4arch9wavefront6targetE1EEEvSH_.uses_flat_scratch, 0
	.set _ZN7rocprim17ROCPRIM_400000_NS6detail17trampoline_kernelINS0_14default_configENS1_38merge_sort_block_merge_config_selectorIhlEEZZNS1_27merge_sort_block_merge_implIS3_PhN6thrust23THRUST_200600_302600_NS10device_ptrIlEEjNS1_19radix_merge_compareILb0ELb1EhNS0_19identity_decomposerEEEEE10hipError_tT0_T1_T2_jT3_P12ihipStream_tbPNSt15iterator_traitsISG_E10value_typeEPNSM_ISH_E10value_typeEPSI_NS1_7vsmem_tEENKUlT_SG_SH_SI_E_clIS7_S7_SB_PlEESF_SV_SG_SH_SI_EUlSV_E_NS1_11comp_targetILNS1_3genE4ELNS1_11target_archE910ELNS1_3gpuE8ELNS1_3repE0EEENS1_48merge_mergepath_partition_config_static_selectorELNS0_4arch9wavefront6targetE1EEEvSH_.has_dyn_sized_stack, 0
	.set _ZN7rocprim17ROCPRIM_400000_NS6detail17trampoline_kernelINS0_14default_configENS1_38merge_sort_block_merge_config_selectorIhlEEZZNS1_27merge_sort_block_merge_implIS3_PhN6thrust23THRUST_200600_302600_NS10device_ptrIlEEjNS1_19radix_merge_compareILb0ELb1EhNS0_19identity_decomposerEEEEE10hipError_tT0_T1_T2_jT3_P12ihipStream_tbPNSt15iterator_traitsISG_E10value_typeEPNSM_ISH_E10value_typeEPSI_NS1_7vsmem_tEENKUlT_SG_SH_SI_E_clIS7_S7_SB_PlEESF_SV_SG_SH_SI_EUlSV_E_NS1_11comp_targetILNS1_3genE4ELNS1_11target_archE910ELNS1_3gpuE8ELNS1_3repE0EEENS1_48merge_mergepath_partition_config_static_selectorELNS0_4arch9wavefront6targetE1EEEvSH_.has_recursion, 0
	.set _ZN7rocprim17ROCPRIM_400000_NS6detail17trampoline_kernelINS0_14default_configENS1_38merge_sort_block_merge_config_selectorIhlEEZZNS1_27merge_sort_block_merge_implIS3_PhN6thrust23THRUST_200600_302600_NS10device_ptrIlEEjNS1_19radix_merge_compareILb0ELb1EhNS0_19identity_decomposerEEEEE10hipError_tT0_T1_T2_jT3_P12ihipStream_tbPNSt15iterator_traitsISG_E10value_typeEPNSM_ISH_E10value_typeEPSI_NS1_7vsmem_tEENKUlT_SG_SH_SI_E_clIS7_S7_SB_PlEESF_SV_SG_SH_SI_EUlSV_E_NS1_11comp_targetILNS1_3genE4ELNS1_11target_archE910ELNS1_3gpuE8ELNS1_3repE0EEENS1_48merge_mergepath_partition_config_static_selectorELNS0_4arch9wavefront6targetE1EEEvSH_.has_indirect_call, 0
	.section	.AMDGPU.csdata,"",@progbits
; Kernel info:
; codeLenInByte = 0
; TotalNumSgprs: 4
; NumVgprs: 0
; ScratchSize: 0
; MemoryBound: 0
; FloatMode: 240
; IeeeMode: 1
; LDSByteSize: 0 bytes/workgroup (compile time only)
; SGPRBlocks: 0
; VGPRBlocks: 0
; NumSGPRsForWavesPerEU: 4
; NumVGPRsForWavesPerEU: 1
; Occupancy: 10
; WaveLimiterHint : 0
; COMPUTE_PGM_RSRC2:SCRATCH_EN: 0
; COMPUTE_PGM_RSRC2:USER_SGPR: 6
; COMPUTE_PGM_RSRC2:TRAP_HANDLER: 0
; COMPUTE_PGM_RSRC2:TGID_X_EN: 1
; COMPUTE_PGM_RSRC2:TGID_Y_EN: 0
; COMPUTE_PGM_RSRC2:TGID_Z_EN: 0
; COMPUTE_PGM_RSRC2:TIDIG_COMP_CNT: 0
	.section	.text._ZN7rocprim17ROCPRIM_400000_NS6detail17trampoline_kernelINS0_14default_configENS1_38merge_sort_block_merge_config_selectorIhlEEZZNS1_27merge_sort_block_merge_implIS3_PhN6thrust23THRUST_200600_302600_NS10device_ptrIlEEjNS1_19radix_merge_compareILb0ELb1EhNS0_19identity_decomposerEEEEE10hipError_tT0_T1_T2_jT3_P12ihipStream_tbPNSt15iterator_traitsISG_E10value_typeEPNSM_ISH_E10value_typeEPSI_NS1_7vsmem_tEENKUlT_SG_SH_SI_E_clIS7_S7_SB_PlEESF_SV_SG_SH_SI_EUlSV_E_NS1_11comp_targetILNS1_3genE3ELNS1_11target_archE908ELNS1_3gpuE7ELNS1_3repE0EEENS1_48merge_mergepath_partition_config_static_selectorELNS0_4arch9wavefront6targetE1EEEvSH_,"axG",@progbits,_ZN7rocprim17ROCPRIM_400000_NS6detail17trampoline_kernelINS0_14default_configENS1_38merge_sort_block_merge_config_selectorIhlEEZZNS1_27merge_sort_block_merge_implIS3_PhN6thrust23THRUST_200600_302600_NS10device_ptrIlEEjNS1_19radix_merge_compareILb0ELb1EhNS0_19identity_decomposerEEEEE10hipError_tT0_T1_T2_jT3_P12ihipStream_tbPNSt15iterator_traitsISG_E10value_typeEPNSM_ISH_E10value_typeEPSI_NS1_7vsmem_tEENKUlT_SG_SH_SI_E_clIS7_S7_SB_PlEESF_SV_SG_SH_SI_EUlSV_E_NS1_11comp_targetILNS1_3genE3ELNS1_11target_archE908ELNS1_3gpuE7ELNS1_3repE0EEENS1_48merge_mergepath_partition_config_static_selectorELNS0_4arch9wavefront6targetE1EEEvSH_,comdat
	.protected	_ZN7rocprim17ROCPRIM_400000_NS6detail17trampoline_kernelINS0_14default_configENS1_38merge_sort_block_merge_config_selectorIhlEEZZNS1_27merge_sort_block_merge_implIS3_PhN6thrust23THRUST_200600_302600_NS10device_ptrIlEEjNS1_19radix_merge_compareILb0ELb1EhNS0_19identity_decomposerEEEEE10hipError_tT0_T1_T2_jT3_P12ihipStream_tbPNSt15iterator_traitsISG_E10value_typeEPNSM_ISH_E10value_typeEPSI_NS1_7vsmem_tEENKUlT_SG_SH_SI_E_clIS7_S7_SB_PlEESF_SV_SG_SH_SI_EUlSV_E_NS1_11comp_targetILNS1_3genE3ELNS1_11target_archE908ELNS1_3gpuE7ELNS1_3repE0EEENS1_48merge_mergepath_partition_config_static_selectorELNS0_4arch9wavefront6targetE1EEEvSH_ ; -- Begin function _ZN7rocprim17ROCPRIM_400000_NS6detail17trampoline_kernelINS0_14default_configENS1_38merge_sort_block_merge_config_selectorIhlEEZZNS1_27merge_sort_block_merge_implIS3_PhN6thrust23THRUST_200600_302600_NS10device_ptrIlEEjNS1_19radix_merge_compareILb0ELb1EhNS0_19identity_decomposerEEEEE10hipError_tT0_T1_T2_jT3_P12ihipStream_tbPNSt15iterator_traitsISG_E10value_typeEPNSM_ISH_E10value_typeEPSI_NS1_7vsmem_tEENKUlT_SG_SH_SI_E_clIS7_S7_SB_PlEESF_SV_SG_SH_SI_EUlSV_E_NS1_11comp_targetILNS1_3genE3ELNS1_11target_archE908ELNS1_3gpuE7ELNS1_3repE0EEENS1_48merge_mergepath_partition_config_static_selectorELNS0_4arch9wavefront6targetE1EEEvSH_
	.globl	_ZN7rocprim17ROCPRIM_400000_NS6detail17trampoline_kernelINS0_14default_configENS1_38merge_sort_block_merge_config_selectorIhlEEZZNS1_27merge_sort_block_merge_implIS3_PhN6thrust23THRUST_200600_302600_NS10device_ptrIlEEjNS1_19radix_merge_compareILb0ELb1EhNS0_19identity_decomposerEEEEE10hipError_tT0_T1_T2_jT3_P12ihipStream_tbPNSt15iterator_traitsISG_E10value_typeEPNSM_ISH_E10value_typeEPSI_NS1_7vsmem_tEENKUlT_SG_SH_SI_E_clIS7_S7_SB_PlEESF_SV_SG_SH_SI_EUlSV_E_NS1_11comp_targetILNS1_3genE3ELNS1_11target_archE908ELNS1_3gpuE7ELNS1_3repE0EEENS1_48merge_mergepath_partition_config_static_selectorELNS0_4arch9wavefront6targetE1EEEvSH_
	.p2align	8
	.type	_ZN7rocprim17ROCPRIM_400000_NS6detail17trampoline_kernelINS0_14default_configENS1_38merge_sort_block_merge_config_selectorIhlEEZZNS1_27merge_sort_block_merge_implIS3_PhN6thrust23THRUST_200600_302600_NS10device_ptrIlEEjNS1_19radix_merge_compareILb0ELb1EhNS0_19identity_decomposerEEEEE10hipError_tT0_T1_T2_jT3_P12ihipStream_tbPNSt15iterator_traitsISG_E10value_typeEPNSM_ISH_E10value_typeEPSI_NS1_7vsmem_tEENKUlT_SG_SH_SI_E_clIS7_S7_SB_PlEESF_SV_SG_SH_SI_EUlSV_E_NS1_11comp_targetILNS1_3genE3ELNS1_11target_archE908ELNS1_3gpuE7ELNS1_3repE0EEENS1_48merge_mergepath_partition_config_static_selectorELNS0_4arch9wavefront6targetE1EEEvSH_,@function
_ZN7rocprim17ROCPRIM_400000_NS6detail17trampoline_kernelINS0_14default_configENS1_38merge_sort_block_merge_config_selectorIhlEEZZNS1_27merge_sort_block_merge_implIS3_PhN6thrust23THRUST_200600_302600_NS10device_ptrIlEEjNS1_19radix_merge_compareILb0ELb1EhNS0_19identity_decomposerEEEEE10hipError_tT0_T1_T2_jT3_P12ihipStream_tbPNSt15iterator_traitsISG_E10value_typeEPNSM_ISH_E10value_typeEPSI_NS1_7vsmem_tEENKUlT_SG_SH_SI_E_clIS7_S7_SB_PlEESF_SV_SG_SH_SI_EUlSV_E_NS1_11comp_targetILNS1_3genE3ELNS1_11target_archE908ELNS1_3gpuE7ELNS1_3repE0EEENS1_48merge_mergepath_partition_config_static_selectorELNS0_4arch9wavefront6targetE1EEEvSH_: ; @_ZN7rocprim17ROCPRIM_400000_NS6detail17trampoline_kernelINS0_14default_configENS1_38merge_sort_block_merge_config_selectorIhlEEZZNS1_27merge_sort_block_merge_implIS3_PhN6thrust23THRUST_200600_302600_NS10device_ptrIlEEjNS1_19radix_merge_compareILb0ELb1EhNS0_19identity_decomposerEEEEE10hipError_tT0_T1_T2_jT3_P12ihipStream_tbPNSt15iterator_traitsISG_E10value_typeEPNSM_ISH_E10value_typeEPSI_NS1_7vsmem_tEENKUlT_SG_SH_SI_E_clIS7_S7_SB_PlEESF_SV_SG_SH_SI_EUlSV_E_NS1_11comp_targetILNS1_3genE3ELNS1_11target_archE908ELNS1_3gpuE7ELNS1_3repE0EEENS1_48merge_mergepath_partition_config_static_selectorELNS0_4arch9wavefront6targetE1EEEvSH_
; %bb.0:
	.section	.rodata,"a",@progbits
	.p2align	6, 0x0
	.amdhsa_kernel _ZN7rocprim17ROCPRIM_400000_NS6detail17trampoline_kernelINS0_14default_configENS1_38merge_sort_block_merge_config_selectorIhlEEZZNS1_27merge_sort_block_merge_implIS3_PhN6thrust23THRUST_200600_302600_NS10device_ptrIlEEjNS1_19radix_merge_compareILb0ELb1EhNS0_19identity_decomposerEEEEE10hipError_tT0_T1_T2_jT3_P12ihipStream_tbPNSt15iterator_traitsISG_E10value_typeEPNSM_ISH_E10value_typeEPSI_NS1_7vsmem_tEENKUlT_SG_SH_SI_E_clIS7_S7_SB_PlEESF_SV_SG_SH_SI_EUlSV_E_NS1_11comp_targetILNS1_3genE3ELNS1_11target_archE908ELNS1_3gpuE7ELNS1_3repE0EEENS1_48merge_mergepath_partition_config_static_selectorELNS0_4arch9wavefront6targetE1EEEvSH_
		.amdhsa_group_segment_fixed_size 0
		.amdhsa_private_segment_fixed_size 0
		.amdhsa_kernarg_size 40
		.amdhsa_user_sgpr_count 6
		.amdhsa_user_sgpr_private_segment_buffer 1
		.amdhsa_user_sgpr_dispatch_ptr 0
		.amdhsa_user_sgpr_queue_ptr 0
		.amdhsa_user_sgpr_kernarg_segment_ptr 1
		.amdhsa_user_sgpr_dispatch_id 0
		.amdhsa_user_sgpr_flat_scratch_init 0
		.amdhsa_user_sgpr_private_segment_size 0
		.amdhsa_uses_dynamic_stack 0
		.amdhsa_system_sgpr_private_segment_wavefront_offset 0
		.amdhsa_system_sgpr_workgroup_id_x 1
		.amdhsa_system_sgpr_workgroup_id_y 0
		.amdhsa_system_sgpr_workgroup_id_z 0
		.amdhsa_system_sgpr_workgroup_info 0
		.amdhsa_system_vgpr_workitem_id 0
		.amdhsa_next_free_vgpr 1
		.amdhsa_next_free_sgpr 0
		.amdhsa_reserve_vcc 0
		.amdhsa_reserve_flat_scratch 0
		.amdhsa_float_round_mode_32 0
		.amdhsa_float_round_mode_16_64 0
		.amdhsa_float_denorm_mode_32 3
		.amdhsa_float_denorm_mode_16_64 3
		.amdhsa_dx10_clamp 1
		.amdhsa_ieee_mode 1
		.amdhsa_fp16_overflow 0
		.amdhsa_exception_fp_ieee_invalid_op 0
		.amdhsa_exception_fp_denorm_src 0
		.amdhsa_exception_fp_ieee_div_zero 0
		.amdhsa_exception_fp_ieee_overflow 0
		.amdhsa_exception_fp_ieee_underflow 0
		.amdhsa_exception_fp_ieee_inexact 0
		.amdhsa_exception_int_div_zero 0
	.end_amdhsa_kernel
	.section	.text._ZN7rocprim17ROCPRIM_400000_NS6detail17trampoline_kernelINS0_14default_configENS1_38merge_sort_block_merge_config_selectorIhlEEZZNS1_27merge_sort_block_merge_implIS3_PhN6thrust23THRUST_200600_302600_NS10device_ptrIlEEjNS1_19radix_merge_compareILb0ELb1EhNS0_19identity_decomposerEEEEE10hipError_tT0_T1_T2_jT3_P12ihipStream_tbPNSt15iterator_traitsISG_E10value_typeEPNSM_ISH_E10value_typeEPSI_NS1_7vsmem_tEENKUlT_SG_SH_SI_E_clIS7_S7_SB_PlEESF_SV_SG_SH_SI_EUlSV_E_NS1_11comp_targetILNS1_3genE3ELNS1_11target_archE908ELNS1_3gpuE7ELNS1_3repE0EEENS1_48merge_mergepath_partition_config_static_selectorELNS0_4arch9wavefront6targetE1EEEvSH_,"axG",@progbits,_ZN7rocprim17ROCPRIM_400000_NS6detail17trampoline_kernelINS0_14default_configENS1_38merge_sort_block_merge_config_selectorIhlEEZZNS1_27merge_sort_block_merge_implIS3_PhN6thrust23THRUST_200600_302600_NS10device_ptrIlEEjNS1_19radix_merge_compareILb0ELb1EhNS0_19identity_decomposerEEEEE10hipError_tT0_T1_T2_jT3_P12ihipStream_tbPNSt15iterator_traitsISG_E10value_typeEPNSM_ISH_E10value_typeEPSI_NS1_7vsmem_tEENKUlT_SG_SH_SI_E_clIS7_S7_SB_PlEESF_SV_SG_SH_SI_EUlSV_E_NS1_11comp_targetILNS1_3genE3ELNS1_11target_archE908ELNS1_3gpuE7ELNS1_3repE0EEENS1_48merge_mergepath_partition_config_static_selectorELNS0_4arch9wavefront6targetE1EEEvSH_,comdat
.Lfunc_end217:
	.size	_ZN7rocprim17ROCPRIM_400000_NS6detail17trampoline_kernelINS0_14default_configENS1_38merge_sort_block_merge_config_selectorIhlEEZZNS1_27merge_sort_block_merge_implIS3_PhN6thrust23THRUST_200600_302600_NS10device_ptrIlEEjNS1_19radix_merge_compareILb0ELb1EhNS0_19identity_decomposerEEEEE10hipError_tT0_T1_T2_jT3_P12ihipStream_tbPNSt15iterator_traitsISG_E10value_typeEPNSM_ISH_E10value_typeEPSI_NS1_7vsmem_tEENKUlT_SG_SH_SI_E_clIS7_S7_SB_PlEESF_SV_SG_SH_SI_EUlSV_E_NS1_11comp_targetILNS1_3genE3ELNS1_11target_archE908ELNS1_3gpuE7ELNS1_3repE0EEENS1_48merge_mergepath_partition_config_static_selectorELNS0_4arch9wavefront6targetE1EEEvSH_, .Lfunc_end217-_ZN7rocprim17ROCPRIM_400000_NS6detail17trampoline_kernelINS0_14default_configENS1_38merge_sort_block_merge_config_selectorIhlEEZZNS1_27merge_sort_block_merge_implIS3_PhN6thrust23THRUST_200600_302600_NS10device_ptrIlEEjNS1_19radix_merge_compareILb0ELb1EhNS0_19identity_decomposerEEEEE10hipError_tT0_T1_T2_jT3_P12ihipStream_tbPNSt15iterator_traitsISG_E10value_typeEPNSM_ISH_E10value_typeEPSI_NS1_7vsmem_tEENKUlT_SG_SH_SI_E_clIS7_S7_SB_PlEESF_SV_SG_SH_SI_EUlSV_E_NS1_11comp_targetILNS1_3genE3ELNS1_11target_archE908ELNS1_3gpuE7ELNS1_3repE0EEENS1_48merge_mergepath_partition_config_static_selectorELNS0_4arch9wavefront6targetE1EEEvSH_
                                        ; -- End function
	.set _ZN7rocprim17ROCPRIM_400000_NS6detail17trampoline_kernelINS0_14default_configENS1_38merge_sort_block_merge_config_selectorIhlEEZZNS1_27merge_sort_block_merge_implIS3_PhN6thrust23THRUST_200600_302600_NS10device_ptrIlEEjNS1_19radix_merge_compareILb0ELb1EhNS0_19identity_decomposerEEEEE10hipError_tT0_T1_T2_jT3_P12ihipStream_tbPNSt15iterator_traitsISG_E10value_typeEPNSM_ISH_E10value_typeEPSI_NS1_7vsmem_tEENKUlT_SG_SH_SI_E_clIS7_S7_SB_PlEESF_SV_SG_SH_SI_EUlSV_E_NS1_11comp_targetILNS1_3genE3ELNS1_11target_archE908ELNS1_3gpuE7ELNS1_3repE0EEENS1_48merge_mergepath_partition_config_static_selectorELNS0_4arch9wavefront6targetE1EEEvSH_.num_vgpr, 0
	.set _ZN7rocprim17ROCPRIM_400000_NS6detail17trampoline_kernelINS0_14default_configENS1_38merge_sort_block_merge_config_selectorIhlEEZZNS1_27merge_sort_block_merge_implIS3_PhN6thrust23THRUST_200600_302600_NS10device_ptrIlEEjNS1_19radix_merge_compareILb0ELb1EhNS0_19identity_decomposerEEEEE10hipError_tT0_T1_T2_jT3_P12ihipStream_tbPNSt15iterator_traitsISG_E10value_typeEPNSM_ISH_E10value_typeEPSI_NS1_7vsmem_tEENKUlT_SG_SH_SI_E_clIS7_S7_SB_PlEESF_SV_SG_SH_SI_EUlSV_E_NS1_11comp_targetILNS1_3genE3ELNS1_11target_archE908ELNS1_3gpuE7ELNS1_3repE0EEENS1_48merge_mergepath_partition_config_static_selectorELNS0_4arch9wavefront6targetE1EEEvSH_.num_agpr, 0
	.set _ZN7rocprim17ROCPRIM_400000_NS6detail17trampoline_kernelINS0_14default_configENS1_38merge_sort_block_merge_config_selectorIhlEEZZNS1_27merge_sort_block_merge_implIS3_PhN6thrust23THRUST_200600_302600_NS10device_ptrIlEEjNS1_19radix_merge_compareILb0ELb1EhNS0_19identity_decomposerEEEEE10hipError_tT0_T1_T2_jT3_P12ihipStream_tbPNSt15iterator_traitsISG_E10value_typeEPNSM_ISH_E10value_typeEPSI_NS1_7vsmem_tEENKUlT_SG_SH_SI_E_clIS7_S7_SB_PlEESF_SV_SG_SH_SI_EUlSV_E_NS1_11comp_targetILNS1_3genE3ELNS1_11target_archE908ELNS1_3gpuE7ELNS1_3repE0EEENS1_48merge_mergepath_partition_config_static_selectorELNS0_4arch9wavefront6targetE1EEEvSH_.numbered_sgpr, 0
	.set _ZN7rocprim17ROCPRIM_400000_NS6detail17trampoline_kernelINS0_14default_configENS1_38merge_sort_block_merge_config_selectorIhlEEZZNS1_27merge_sort_block_merge_implIS3_PhN6thrust23THRUST_200600_302600_NS10device_ptrIlEEjNS1_19radix_merge_compareILb0ELb1EhNS0_19identity_decomposerEEEEE10hipError_tT0_T1_T2_jT3_P12ihipStream_tbPNSt15iterator_traitsISG_E10value_typeEPNSM_ISH_E10value_typeEPSI_NS1_7vsmem_tEENKUlT_SG_SH_SI_E_clIS7_S7_SB_PlEESF_SV_SG_SH_SI_EUlSV_E_NS1_11comp_targetILNS1_3genE3ELNS1_11target_archE908ELNS1_3gpuE7ELNS1_3repE0EEENS1_48merge_mergepath_partition_config_static_selectorELNS0_4arch9wavefront6targetE1EEEvSH_.num_named_barrier, 0
	.set _ZN7rocprim17ROCPRIM_400000_NS6detail17trampoline_kernelINS0_14default_configENS1_38merge_sort_block_merge_config_selectorIhlEEZZNS1_27merge_sort_block_merge_implIS3_PhN6thrust23THRUST_200600_302600_NS10device_ptrIlEEjNS1_19radix_merge_compareILb0ELb1EhNS0_19identity_decomposerEEEEE10hipError_tT0_T1_T2_jT3_P12ihipStream_tbPNSt15iterator_traitsISG_E10value_typeEPNSM_ISH_E10value_typeEPSI_NS1_7vsmem_tEENKUlT_SG_SH_SI_E_clIS7_S7_SB_PlEESF_SV_SG_SH_SI_EUlSV_E_NS1_11comp_targetILNS1_3genE3ELNS1_11target_archE908ELNS1_3gpuE7ELNS1_3repE0EEENS1_48merge_mergepath_partition_config_static_selectorELNS0_4arch9wavefront6targetE1EEEvSH_.private_seg_size, 0
	.set _ZN7rocprim17ROCPRIM_400000_NS6detail17trampoline_kernelINS0_14default_configENS1_38merge_sort_block_merge_config_selectorIhlEEZZNS1_27merge_sort_block_merge_implIS3_PhN6thrust23THRUST_200600_302600_NS10device_ptrIlEEjNS1_19radix_merge_compareILb0ELb1EhNS0_19identity_decomposerEEEEE10hipError_tT0_T1_T2_jT3_P12ihipStream_tbPNSt15iterator_traitsISG_E10value_typeEPNSM_ISH_E10value_typeEPSI_NS1_7vsmem_tEENKUlT_SG_SH_SI_E_clIS7_S7_SB_PlEESF_SV_SG_SH_SI_EUlSV_E_NS1_11comp_targetILNS1_3genE3ELNS1_11target_archE908ELNS1_3gpuE7ELNS1_3repE0EEENS1_48merge_mergepath_partition_config_static_selectorELNS0_4arch9wavefront6targetE1EEEvSH_.uses_vcc, 0
	.set _ZN7rocprim17ROCPRIM_400000_NS6detail17trampoline_kernelINS0_14default_configENS1_38merge_sort_block_merge_config_selectorIhlEEZZNS1_27merge_sort_block_merge_implIS3_PhN6thrust23THRUST_200600_302600_NS10device_ptrIlEEjNS1_19radix_merge_compareILb0ELb1EhNS0_19identity_decomposerEEEEE10hipError_tT0_T1_T2_jT3_P12ihipStream_tbPNSt15iterator_traitsISG_E10value_typeEPNSM_ISH_E10value_typeEPSI_NS1_7vsmem_tEENKUlT_SG_SH_SI_E_clIS7_S7_SB_PlEESF_SV_SG_SH_SI_EUlSV_E_NS1_11comp_targetILNS1_3genE3ELNS1_11target_archE908ELNS1_3gpuE7ELNS1_3repE0EEENS1_48merge_mergepath_partition_config_static_selectorELNS0_4arch9wavefront6targetE1EEEvSH_.uses_flat_scratch, 0
	.set _ZN7rocprim17ROCPRIM_400000_NS6detail17trampoline_kernelINS0_14default_configENS1_38merge_sort_block_merge_config_selectorIhlEEZZNS1_27merge_sort_block_merge_implIS3_PhN6thrust23THRUST_200600_302600_NS10device_ptrIlEEjNS1_19radix_merge_compareILb0ELb1EhNS0_19identity_decomposerEEEEE10hipError_tT0_T1_T2_jT3_P12ihipStream_tbPNSt15iterator_traitsISG_E10value_typeEPNSM_ISH_E10value_typeEPSI_NS1_7vsmem_tEENKUlT_SG_SH_SI_E_clIS7_S7_SB_PlEESF_SV_SG_SH_SI_EUlSV_E_NS1_11comp_targetILNS1_3genE3ELNS1_11target_archE908ELNS1_3gpuE7ELNS1_3repE0EEENS1_48merge_mergepath_partition_config_static_selectorELNS0_4arch9wavefront6targetE1EEEvSH_.has_dyn_sized_stack, 0
	.set _ZN7rocprim17ROCPRIM_400000_NS6detail17trampoline_kernelINS0_14default_configENS1_38merge_sort_block_merge_config_selectorIhlEEZZNS1_27merge_sort_block_merge_implIS3_PhN6thrust23THRUST_200600_302600_NS10device_ptrIlEEjNS1_19radix_merge_compareILb0ELb1EhNS0_19identity_decomposerEEEEE10hipError_tT0_T1_T2_jT3_P12ihipStream_tbPNSt15iterator_traitsISG_E10value_typeEPNSM_ISH_E10value_typeEPSI_NS1_7vsmem_tEENKUlT_SG_SH_SI_E_clIS7_S7_SB_PlEESF_SV_SG_SH_SI_EUlSV_E_NS1_11comp_targetILNS1_3genE3ELNS1_11target_archE908ELNS1_3gpuE7ELNS1_3repE0EEENS1_48merge_mergepath_partition_config_static_selectorELNS0_4arch9wavefront6targetE1EEEvSH_.has_recursion, 0
	.set _ZN7rocprim17ROCPRIM_400000_NS6detail17trampoline_kernelINS0_14default_configENS1_38merge_sort_block_merge_config_selectorIhlEEZZNS1_27merge_sort_block_merge_implIS3_PhN6thrust23THRUST_200600_302600_NS10device_ptrIlEEjNS1_19radix_merge_compareILb0ELb1EhNS0_19identity_decomposerEEEEE10hipError_tT0_T1_T2_jT3_P12ihipStream_tbPNSt15iterator_traitsISG_E10value_typeEPNSM_ISH_E10value_typeEPSI_NS1_7vsmem_tEENKUlT_SG_SH_SI_E_clIS7_S7_SB_PlEESF_SV_SG_SH_SI_EUlSV_E_NS1_11comp_targetILNS1_3genE3ELNS1_11target_archE908ELNS1_3gpuE7ELNS1_3repE0EEENS1_48merge_mergepath_partition_config_static_selectorELNS0_4arch9wavefront6targetE1EEEvSH_.has_indirect_call, 0
	.section	.AMDGPU.csdata,"",@progbits
; Kernel info:
; codeLenInByte = 0
; TotalNumSgprs: 4
; NumVgprs: 0
; ScratchSize: 0
; MemoryBound: 0
; FloatMode: 240
; IeeeMode: 1
; LDSByteSize: 0 bytes/workgroup (compile time only)
; SGPRBlocks: 0
; VGPRBlocks: 0
; NumSGPRsForWavesPerEU: 4
; NumVGPRsForWavesPerEU: 1
; Occupancy: 10
; WaveLimiterHint : 0
; COMPUTE_PGM_RSRC2:SCRATCH_EN: 0
; COMPUTE_PGM_RSRC2:USER_SGPR: 6
; COMPUTE_PGM_RSRC2:TRAP_HANDLER: 0
; COMPUTE_PGM_RSRC2:TGID_X_EN: 1
; COMPUTE_PGM_RSRC2:TGID_Y_EN: 0
; COMPUTE_PGM_RSRC2:TGID_Z_EN: 0
; COMPUTE_PGM_RSRC2:TIDIG_COMP_CNT: 0
	.section	.text._ZN7rocprim17ROCPRIM_400000_NS6detail17trampoline_kernelINS0_14default_configENS1_38merge_sort_block_merge_config_selectorIhlEEZZNS1_27merge_sort_block_merge_implIS3_PhN6thrust23THRUST_200600_302600_NS10device_ptrIlEEjNS1_19radix_merge_compareILb0ELb1EhNS0_19identity_decomposerEEEEE10hipError_tT0_T1_T2_jT3_P12ihipStream_tbPNSt15iterator_traitsISG_E10value_typeEPNSM_ISH_E10value_typeEPSI_NS1_7vsmem_tEENKUlT_SG_SH_SI_E_clIS7_S7_SB_PlEESF_SV_SG_SH_SI_EUlSV_E_NS1_11comp_targetILNS1_3genE2ELNS1_11target_archE906ELNS1_3gpuE6ELNS1_3repE0EEENS1_48merge_mergepath_partition_config_static_selectorELNS0_4arch9wavefront6targetE1EEEvSH_,"axG",@progbits,_ZN7rocprim17ROCPRIM_400000_NS6detail17trampoline_kernelINS0_14default_configENS1_38merge_sort_block_merge_config_selectorIhlEEZZNS1_27merge_sort_block_merge_implIS3_PhN6thrust23THRUST_200600_302600_NS10device_ptrIlEEjNS1_19radix_merge_compareILb0ELb1EhNS0_19identity_decomposerEEEEE10hipError_tT0_T1_T2_jT3_P12ihipStream_tbPNSt15iterator_traitsISG_E10value_typeEPNSM_ISH_E10value_typeEPSI_NS1_7vsmem_tEENKUlT_SG_SH_SI_E_clIS7_S7_SB_PlEESF_SV_SG_SH_SI_EUlSV_E_NS1_11comp_targetILNS1_3genE2ELNS1_11target_archE906ELNS1_3gpuE6ELNS1_3repE0EEENS1_48merge_mergepath_partition_config_static_selectorELNS0_4arch9wavefront6targetE1EEEvSH_,comdat
	.protected	_ZN7rocprim17ROCPRIM_400000_NS6detail17trampoline_kernelINS0_14default_configENS1_38merge_sort_block_merge_config_selectorIhlEEZZNS1_27merge_sort_block_merge_implIS3_PhN6thrust23THRUST_200600_302600_NS10device_ptrIlEEjNS1_19radix_merge_compareILb0ELb1EhNS0_19identity_decomposerEEEEE10hipError_tT0_T1_T2_jT3_P12ihipStream_tbPNSt15iterator_traitsISG_E10value_typeEPNSM_ISH_E10value_typeEPSI_NS1_7vsmem_tEENKUlT_SG_SH_SI_E_clIS7_S7_SB_PlEESF_SV_SG_SH_SI_EUlSV_E_NS1_11comp_targetILNS1_3genE2ELNS1_11target_archE906ELNS1_3gpuE6ELNS1_3repE0EEENS1_48merge_mergepath_partition_config_static_selectorELNS0_4arch9wavefront6targetE1EEEvSH_ ; -- Begin function _ZN7rocprim17ROCPRIM_400000_NS6detail17trampoline_kernelINS0_14default_configENS1_38merge_sort_block_merge_config_selectorIhlEEZZNS1_27merge_sort_block_merge_implIS3_PhN6thrust23THRUST_200600_302600_NS10device_ptrIlEEjNS1_19radix_merge_compareILb0ELb1EhNS0_19identity_decomposerEEEEE10hipError_tT0_T1_T2_jT3_P12ihipStream_tbPNSt15iterator_traitsISG_E10value_typeEPNSM_ISH_E10value_typeEPSI_NS1_7vsmem_tEENKUlT_SG_SH_SI_E_clIS7_S7_SB_PlEESF_SV_SG_SH_SI_EUlSV_E_NS1_11comp_targetILNS1_3genE2ELNS1_11target_archE906ELNS1_3gpuE6ELNS1_3repE0EEENS1_48merge_mergepath_partition_config_static_selectorELNS0_4arch9wavefront6targetE1EEEvSH_
	.globl	_ZN7rocprim17ROCPRIM_400000_NS6detail17trampoline_kernelINS0_14default_configENS1_38merge_sort_block_merge_config_selectorIhlEEZZNS1_27merge_sort_block_merge_implIS3_PhN6thrust23THRUST_200600_302600_NS10device_ptrIlEEjNS1_19radix_merge_compareILb0ELb1EhNS0_19identity_decomposerEEEEE10hipError_tT0_T1_T2_jT3_P12ihipStream_tbPNSt15iterator_traitsISG_E10value_typeEPNSM_ISH_E10value_typeEPSI_NS1_7vsmem_tEENKUlT_SG_SH_SI_E_clIS7_S7_SB_PlEESF_SV_SG_SH_SI_EUlSV_E_NS1_11comp_targetILNS1_3genE2ELNS1_11target_archE906ELNS1_3gpuE6ELNS1_3repE0EEENS1_48merge_mergepath_partition_config_static_selectorELNS0_4arch9wavefront6targetE1EEEvSH_
	.p2align	8
	.type	_ZN7rocprim17ROCPRIM_400000_NS6detail17trampoline_kernelINS0_14default_configENS1_38merge_sort_block_merge_config_selectorIhlEEZZNS1_27merge_sort_block_merge_implIS3_PhN6thrust23THRUST_200600_302600_NS10device_ptrIlEEjNS1_19radix_merge_compareILb0ELb1EhNS0_19identity_decomposerEEEEE10hipError_tT0_T1_T2_jT3_P12ihipStream_tbPNSt15iterator_traitsISG_E10value_typeEPNSM_ISH_E10value_typeEPSI_NS1_7vsmem_tEENKUlT_SG_SH_SI_E_clIS7_S7_SB_PlEESF_SV_SG_SH_SI_EUlSV_E_NS1_11comp_targetILNS1_3genE2ELNS1_11target_archE906ELNS1_3gpuE6ELNS1_3repE0EEENS1_48merge_mergepath_partition_config_static_selectorELNS0_4arch9wavefront6targetE1EEEvSH_,@function
_ZN7rocprim17ROCPRIM_400000_NS6detail17trampoline_kernelINS0_14default_configENS1_38merge_sort_block_merge_config_selectorIhlEEZZNS1_27merge_sort_block_merge_implIS3_PhN6thrust23THRUST_200600_302600_NS10device_ptrIlEEjNS1_19radix_merge_compareILb0ELb1EhNS0_19identity_decomposerEEEEE10hipError_tT0_T1_T2_jT3_P12ihipStream_tbPNSt15iterator_traitsISG_E10value_typeEPNSM_ISH_E10value_typeEPSI_NS1_7vsmem_tEENKUlT_SG_SH_SI_E_clIS7_S7_SB_PlEESF_SV_SG_SH_SI_EUlSV_E_NS1_11comp_targetILNS1_3genE2ELNS1_11target_archE906ELNS1_3gpuE6ELNS1_3repE0EEENS1_48merge_mergepath_partition_config_static_selectorELNS0_4arch9wavefront6targetE1EEEvSH_: ; @_ZN7rocprim17ROCPRIM_400000_NS6detail17trampoline_kernelINS0_14default_configENS1_38merge_sort_block_merge_config_selectorIhlEEZZNS1_27merge_sort_block_merge_implIS3_PhN6thrust23THRUST_200600_302600_NS10device_ptrIlEEjNS1_19radix_merge_compareILb0ELb1EhNS0_19identity_decomposerEEEEE10hipError_tT0_T1_T2_jT3_P12ihipStream_tbPNSt15iterator_traitsISG_E10value_typeEPNSM_ISH_E10value_typeEPSI_NS1_7vsmem_tEENKUlT_SG_SH_SI_E_clIS7_S7_SB_PlEESF_SV_SG_SH_SI_EUlSV_E_NS1_11comp_targetILNS1_3genE2ELNS1_11target_archE906ELNS1_3gpuE6ELNS1_3repE0EEENS1_48merge_mergepath_partition_config_static_selectorELNS0_4arch9wavefront6targetE1EEEvSH_
; %bb.0:
	s_load_dword s0, s[4:5], 0x0
	v_lshl_or_b32 v0, s6, 7, v0
	s_waitcnt lgkmcnt(0)
	v_cmp_gt_u32_e32 vcc, s0, v0
	s_and_saveexec_b64 s[0:1], vcc
	s_cbranch_execz .LBB218_6
; %bb.1:
	s_load_dwordx2 s[2:3], s[4:5], 0x4
	s_load_dwordx2 s[0:1], s[4:5], 0x20
	s_waitcnt lgkmcnt(0)
	s_lshr_b32 s6, s2, 9
	s_and_b32 s6, s6, 0x7ffffe
	s_add_i32 s7, s6, -1
	s_sub_i32 s6, 0, s6
	v_and_b32_e32 v1, s6, v0
	v_lshlrev_b32_e32 v3, 10, v1
	v_min_u32_e32 v1, s3, v3
	v_add_u32_e32 v3, s2, v3
	v_min_u32_e32 v7, s3, v3
	v_add_u32_e32 v3, s2, v7
	v_and_b32_e32 v2, s7, v0
	v_min_u32_e32 v4, s3, v3
	v_sub_u32_e32 v3, v4, v1
	v_lshlrev_b32_e32 v2, 10, v2
	v_min_u32_e32 v3, v3, v2
	v_sub_u32_e32 v5, v7, v1
	v_sub_u32_e32 v2, v4, v7
	v_sub_u32_e64 v2, v3, v2 clamp
	v_min_u32_e32 v4, v3, v5
	v_cmp_lt_u32_e32 vcc, v2, v4
	s_and_saveexec_b64 s[2:3], vcc
	s_cbranch_execz .LBB218_5
; %bb.2:
	s_load_dwordx2 s[8:9], s[4:5], 0x10
	s_load_dword s6, s[4:5], 0x18
	s_mov_b64 s[4:5], 0
	s_waitcnt lgkmcnt(0)
	v_mov_b32_e32 v8, s9
	v_add_co_u32_e32 v5, vcc, s8, v1
	v_addc_co_u32_e32 v6, vcc, 0, v8, vcc
	v_add_co_u32_e32 v7, vcc, s8, v7
	v_addc_co_u32_e32 v8, vcc, 0, v8, vcc
.LBB218_3:                              ; =>This Inner Loop Header: Depth=1
	v_add_u32_e32 v9, v4, v2
	v_lshrrev_b32_e32 v13, 1, v9
	v_add_co_u32_e32 v9, vcc, v5, v13
	v_xad_u32 v11, v13, -1, v3
	v_addc_co_u32_e32 v10, vcc, 0, v6, vcc
	v_add_co_u32_e32 v11, vcc, v7, v11
	v_addc_co_u32_e32 v12, vcc, 0, v8, vcc
	global_load_ubyte v14, v[9:10], off
	global_load_ubyte v15, v[11:12], off
	v_add_u32_e32 v9, 1, v13
	s_waitcnt vmcnt(1)
	v_and_b32_e32 v10, s6, v14
	s_waitcnt vmcnt(0)
	v_and_b32_e32 v11, s6, v15
	v_cmp_gt_u16_sdwa vcc, v10, v11 src0_sel:BYTE_0 src1_sel:BYTE_0
	v_cndmask_b32_e32 v4, v4, v13, vcc
	v_cndmask_b32_e32 v2, v9, v2, vcc
	v_cmp_ge_u32_e32 vcc, v2, v4
	s_or_b64 s[4:5], vcc, s[4:5]
	s_andn2_b64 exec, exec, s[4:5]
	s_cbranch_execnz .LBB218_3
; %bb.4:
	s_or_b64 exec, exec, s[4:5]
.LBB218_5:
	s_or_b64 exec, exec, s[2:3]
	v_add_u32_e32 v2, v2, v1
	v_mov_b32_e32 v1, 0
	v_lshlrev_b64 v[0:1], 2, v[0:1]
	v_mov_b32_e32 v3, s1
	v_add_co_u32_e32 v0, vcc, s0, v0
	v_addc_co_u32_e32 v1, vcc, v3, v1, vcc
	global_store_dword v[0:1], v2, off
.LBB218_6:
	s_endpgm
	.section	.rodata,"a",@progbits
	.p2align	6, 0x0
	.amdhsa_kernel _ZN7rocprim17ROCPRIM_400000_NS6detail17trampoline_kernelINS0_14default_configENS1_38merge_sort_block_merge_config_selectorIhlEEZZNS1_27merge_sort_block_merge_implIS3_PhN6thrust23THRUST_200600_302600_NS10device_ptrIlEEjNS1_19radix_merge_compareILb0ELb1EhNS0_19identity_decomposerEEEEE10hipError_tT0_T1_T2_jT3_P12ihipStream_tbPNSt15iterator_traitsISG_E10value_typeEPNSM_ISH_E10value_typeEPSI_NS1_7vsmem_tEENKUlT_SG_SH_SI_E_clIS7_S7_SB_PlEESF_SV_SG_SH_SI_EUlSV_E_NS1_11comp_targetILNS1_3genE2ELNS1_11target_archE906ELNS1_3gpuE6ELNS1_3repE0EEENS1_48merge_mergepath_partition_config_static_selectorELNS0_4arch9wavefront6targetE1EEEvSH_
		.amdhsa_group_segment_fixed_size 0
		.amdhsa_private_segment_fixed_size 0
		.amdhsa_kernarg_size 40
		.amdhsa_user_sgpr_count 6
		.amdhsa_user_sgpr_private_segment_buffer 1
		.amdhsa_user_sgpr_dispatch_ptr 0
		.amdhsa_user_sgpr_queue_ptr 0
		.amdhsa_user_sgpr_kernarg_segment_ptr 1
		.amdhsa_user_sgpr_dispatch_id 0
		.amdhsa_user_sgpr_flat_scratch_init 0
		.amdhsa_user_sgpr_private_segment_size 0
		.amdhsa_uses_dynamic_stack 0
		.amdhsa_system_sgpr_private_segment_wavefront_offset 0
		.amdhsa_system_sgpr_workgroup_id_x 1
		.amdhsa_system_sgpr_workgroup_id_y 0
		.amdhsa_system_sgpr_workgroup_id_z 0
		.amdhsa_system_sgpr_workgroup_info 0
		.amdhsa_system_vgpr_workitem_id 0
		.amdhsa_next_free_vgpr 16
		.amdhsa_next_free_sgpr 10
		.amdhsa_reserve_vcc 1
		.amdhsa_reserve_flat_scratch 0
		.amdhsa_float_round_mode_32 0
		.amdhsa_float_round_mode_16_64 0
		.amdhsa_float_denorm_mode_32 3
		.amdhsa_float_denorm_mode_16_64 3
		.amdhsa_dx10_clamp 1
		.amdhsa_ieee_mode 1
		.amdhsa_fp16_overflow 0
		.amdhsa_exception_fp_ieee_invalid_op 0
		.amdhsa_exception_fp_denorm_src 0
		.amdhsa_exception_fp_ieee_div_zero 0
		.amdhsa_exception_fp_ieee_overflow 0
		.amdhsa_exception_fp_ieee_underflow 0
		.amdhsa_exception_fp_ieee_inexact 0
		.amdhsa_exception_int_div_zero 0
	.end_amdhsa_kernel
	.section	.text._ZN7rocprim17ROCPRIM_400000_NS6detail17trampoline_kernelINS0_14default_configENS1_38merge_sort_block_merge_config_selectorIhlEEZZNS1_27merge_sort_block_merge_implIS3_PhN6thrust23THRUST_200600_302600_NS10device_ptrIlEEjNS1_19radix_merge_compareILb0ELb1EhNS0_19identity_decomposerEEEEE10hipError_tT0_T1_T2_jT3_P12ihipStream_tbPNSt15iterator_traitsISG_E10value_typeEPNSM_ISH_E10value_typeEPSI_NS1_7vsmem_tEENKUlT_SG_SH_SI_E_clIS7_S7_SB_PlEESF_SV_SG_SH_SI_EUlSV_E_NS1_11comp_targetILNS1_3genE2ELNS1_11target_archE906ELNS1_3gpuE6ELNS1_3repE0EEENS1_48merge_mergepath_partition_config_static_selectorELNS0_4arch9wavefront6targetE1EEEvSH_,"axG",@progbits,_ZN7rocprim17ROCPRIM_400000_NS6detail17trampoline_kernelINS0_14default_configENS1_38merge_sort_block_merge_config_selectorIhlEEZZNS1_27merge_sort_block_merge_implIS3_PhN6thrust23THRUST_200600_302600_NS10device_ptrIlEEjNS1_19radix_merge_compareILb0ELb1EhNS0_19identity_decomposerEEEEE10hipError_tT0_T1_T2_jT3_P12ihipStream_tbPNSt15iterator_traitsISG_E10value_typeEPNSM_ISH_E10value_typeEPSI_NS1_7vsmem_tEENKUlT_SG_SH_SI_E_clIS7_S7_SB_PlEESF_SV_SG_SH_SI_EUlSV_E_NS1_11comp_targetILNS1_3genE2ELNS1_11target_archE906ELNS1_3gpuE6ELNS1_3repE0EEENS1_48merge_mergepath_partition_config_static_selectorELNS0_4arch9wavefront6targetE1EEEvSH_,comdat
.Lfunc_end218:
	.size	_ZN7rocprim17ROCPRIM_400000_NS6detail17trampoline_kernelINS0_14default_configENS1_38merge_sort_block_merge_config_selectorIhlEEZZNS1_27merge_sort_block_merge_implIS3_PhN6thrust23THRUST_200600_302600_NS10device_ptrIlEEjNS1_19radix_merge_compareILb0ELb1EhNS0_19identity_decomposerEEEEE10hipError_tT0_T1_T2_jT3_P12ihipStream_tbPNSt15iterator_traitsISG_E10value_typeEPNSM_ISH_E10value_typeEPSI_NS1_7vsmem_tEENKUlT_SG_SH_SI_E_clIS7_S7_SB_PlEESF_SV_SG_SH_SI_EUlSV_E_NS1_11comp_targetILNS1_3genE2ELNS1_11target_archE906ELNS1_3gpuE6ELNS1_3repE0EEENS1_48merge_mergepath_partition_config_static_selectorELNS0_4arch9wavefront6targetE1EEEvSH_, .Lfunc_end218-_ZN7rocprim17ROCPRIM_400000_NS6detail17trampoline_kernelINS0_14default_configENS1_38merge_sort_block_merge_config_selectorIhlEEZZNS1_27merge_sort_block_merge_implIS3_PhN6thrust23THRUST_200600_302600_NS10device_ptrIlEEjNS1_19radix_merge_compareILb0ELb1EhNS0_19identity_decomposerEEEEE10hipError_tT0_T1_T2_jT3_P12ihipStream_tbPNSt15iterator_traitsISG_E10value_typeEPNSM_ISH_E10value_typeEPSI_NS1_7vsmem_tEENKUlT_SG_SH_SI_E_clIS7_S7_SB_PlEESF_SV_SG_SH_SI_EUlSV_E_NS1_11comp_targetILNS1_3genE2ELNS1_11target_archE906ELNS1_3gpuE6ELNS1_3repE0EEENS1_48merge_mergepath_partition_config_static_selectorELNS0_4arch9wavefront6targetE1EEEvSH_
                                        ; -- End function
	.set _ZN7rocprim17ROCPRIM_400000_NS6detail17trampoline_kernelINS0_14default_configENS1_38merge_sort_block_merge_config_selectorIhlEEZZNS1_27merge_sort_block_merge_implIS3_PhN6thrust23THRUST_200600_302600_NS10device_ptrIlEEjNS1_19radix_merge_compareILb0ELb1EhNS0_19identity_decomposerEEEEE10hipError_tT0_T1_T2_jT3_P12ihipStream_tbPNSt15iterator_traitsISG_E10value_typeEPNSM_ISH_E10value_typeEPSI_NS1_7vsmem_tEENKUlT_SG_SH_SI_E_clIS7_S7_SB_PlEESF_SV_SG_SH_SI_EUlSV_E_NS1_11comp_targetILNS1_3genE2ELNS1_11target_archE906ELNS1_3gpuE6ELNS1_3repE0EEENS1_48merge_mergepath_partition_config_static_selectorELNS0_4arch9wavefront6targetE1EEEvSH_.num_vgpr, 16
	.set _ZN7rocprim17ROCPRIM_400000_NS6detail17trampoline_kernelINS0_14default_configENS1_38merge_sort_block_merge_config_selectorIhlEEZZNS1_27merge_sort_block_merge_implIS3_PhN6thrust23THRUST_200600_302600_NS10device_ptrIlEEjNS1_19radix_merge_compareILb0ELb1EhNS0_19identity_decomposerEEEEE10hipError_tT0_T1_T2_jT3_P12ihipStream_tbPNSt15iterator_traitsISG_E10value_typeEPNSM_ISH_E10value_typeEPSI_NS1_7vsmem_tEENKUlT_SG_SH_SI_E_clIS7_S7_SB_PlEESF_SV_SG_SH_SI_EUlSV_E_NS1_11comp_targetILNS1_3genE2ELNS1_11target_archE906ELNS1_3gpuE6ELNS1_3repE0EEENS1_48merge_mergepath_partition_config_static_selectorELNS0_4arch9wavefront6targetE1EEEvSH_.num_agpr, 0
	.set _ZN7rocprim17ROCPRIM_400000_NS6detail17trampoline_kernelINS0_14default_configENS1_38merge_sort_block_merge_config_selectorIhlEEZZNS1_27merge_sort_block_merge_implIS3_PhN6thrust23THRUST_200600_302600_NS10device_ptrIlEEjNS1_19radix_merge_compareILb0ELb1EhNS0_19identity_decomposerEEEEE10hipError_tT0_T1_T2_jT3_P12ihipStream_tbPNSt15iterator_traitsISG_E10value_typeEPNSM_ISH_E10value_typeEPSI_NS1_7vsmem_tEENKUlT_SG_SH_SI_E_clIS7_S7_SB_PlEESF_SV_SG_SH_SI_EUlSV_E_NS1_11comp_targetILNS1_3genE2ELNS1_11target_archE906ELNS1_3gpuE6ELNS1_3repE0EEENS1_48merge_mergepath_partition_config_static_selectorELNS0_4arch9wavefront6targetE1EEEvSH_.numbered_sgpr, 10
	.set _ZN7rocprim17ROCPRIM_400000_NS6detail17trampoline_kernelINS0_14default_configENS1_38merge_sort_block_merge_config_selectorIhlEEZZNS1_27merge_sort_block_merge_implIS3_PhN6thrust23THRUST_200600_302600_NS10device_ptrIlEEjNS1_19radix_merge_compareILb0ELb1EhNS0_19identity_decomposerEEEEE10hipError_tT0_T1_T2_jT3_P12ihipStream_tbPNSt15iterator_traitsISG_E10value_typeEPNSM_ISH_E10value_typeEPSI_NS1_7vsmem_tEENKUlT_SG_SH_SI_E_clIS7_S7_SB_PlEESF_SV_SG_SH_SI_EUlSV_E_NS1_11comp_targetILNS1_3genE2ELNS1_11target_archE906ELNS1_3gpuE6ELNS1_3repE0EEENS1_48merge_mergepath_partition_config_static_selectorELNS0_4arch9wavefront6targetE1EEEvSH_.num_named_barrier, 0
	.set _ZN7rocprim17ROCPRIM_400000_NS6detail17trampoline_kernelINS0_14default_configENS1_38merge_sort_block_merge_config_selectorIhlEEZZNS1_27merge_sort_block_merge_implIS3_PhN6thrust23THRUST_200600_302600_NS10device_ptrIlEEjNS1_19radix_merge_compareILb0ELb1EhNS0_19identity_decomposerEEEEE10hipError_tT0_T1_T2_jT3_P12ihipStream_tbPNSt15iterator_traitsISG_E10value_typeEPNSM_ISH_E10value_typeEPSI_NS1_7vsmem_tEENKUlT_SG_SH_SI_E_clIS7_S7_SB_PlEESF_SV_SG_SH_SI_EUlSV_E_NS1_11comp_targetILNS1_3genE2ELNS1_11target_archE906ELNS1_3gpuE6ELNS1_3repE0EEENS1_48merge_mergepath_partition_config_static_selectorELNS0_4arch9wavefront6targetE1EEEvSH_.private_seg_size, 0
	.set _ZN7rocprim17ROCPRIM_400000_NS6detail17trampoline_kernelINS0_14default_configENS1_38merge_sort_block_merge_config_selectorIhlEEZZNS1_27merge_sort_block_merge_implIS3_PhN6thrust23THRUST_200600_302600_NS10device_ptrIlEEjNS1_19radix_merge_compareILb0ELb1EhNS0_19identity_decomposerEEEEE10hipError_tT0_T1_T2_jT3_P12ihipStream_tbPNSt15iterator_traitsISG_E10value_typeEPNSM_ISH_E10value_typeEPSI_NS1_7vsmem_tEENKUlT_SG_SH_SI_E_clIS7_S7_SB_PlEESF_SV_SG_SH_SI_EUlSV_E_NS1_11comp_targetILNS1_3genE2ELNS1_11target_archE906ELNS1_3gpuE6ELNS1_3repE0EEENS1_48merge_mergepath_partition_config_static_selectorELNS0_4arch9wavefront6targetE1EEEvSH_.uses_vcc, 1
	.set _ZN7rocprim17ROCPRIM_400000_NS6detail17trampoline_kernelINS0_14default_configENS1_38merge_sort_block_merge_config_selectorIhlEEZZNS1_27merge_sort_block_merge_implIS3_PhN6thrust23THRUST_200600_302600_NS10device_ptrIlEEjNS1_19radix_merge_compareILb0ELb1EhNS0_19identity_decomposerEEEEE10hipError_tT0_T1_T2_jT3_P12ihipStream_tbPNSt15iterator_traitsISG_E10value_typeEPNSM_ISH_E10value_typeEPSI_NS1_7vsmem_tEENKUlT_SG_SH_SI_E_clIS7_S7_SB_PlEESF_SV_SG_SH_SI_EUlSV_E_NS1_11comp_targetILNS1_3genE2ELNS1_11target_archE906ELNS1_3gpuE6ELNS1_3repE0EEENS1_48merge_mergepath_partition_config_static_selectorELNS0_4arch9wavefront6targetE1EEEvSH_.uses_flat_scratch, 0
	.set _ZN7rocprim17ROCPRIM_400000_NS6detail17trampoline_kernelINS0_14default_configENS1_38merge_sort_block_merge_config_selectorIhlEEZZNS1_27merge_sort_block_merge_implIS3_PhN6thrust23THRUST_200600_302600_NS10device_ptrIlEEjNS1_19radix_merge_compareILb0ELb1EhNS0_19identity_decomposerEEEEE10hipError_tT0_T1_T2_jT3_P12ihipStream_tbPNSt15iterator_traitsISG_E10value_typeEPNSM_ISH_E10value_typeEPSI_NS1_7vsmem_tEENKUlT_SG_SH_SI_E_clIS7_S7_SB_PlEESF_SV_SG_SH_SI_EUlSV_E_NS1_11comp_targetILNS1_3genE2ELNS1_11target_archE906ELNS1_3gpuE6ELNS1_3repE0EEENS1_48merge_mergepath_partition_config_static_selectorELNS0_4arch9wavefront6targetE1EEEvSH_.has_dyn_sized_stack, 0
	.set _ZN7rocprim17ROCPRIM_400000_NS6detail17trampoline_kernelINS0_14default_configENS1_38merge_sort_block_merge_config_selectorIhlEEZZNS1_27merge_sort_block_merge_implIS3_PhN6thrust23THRUST_200600_302600_NS10device_ptrIlEEjNS1_19radix_merge_compareILb0ELb1EhNS0_19identity_decomposerEEEEE10hipError_tT0_T1_T2_jT3_P12ihipStream_tbPNSt15iterator_traitsISG_E10value_typeEPNSM_ISH_E10value_typeEPSI_NS1_7vsmem_tEENKUlT_SG_SH_SI_E_clIS7_S7_SB_PlEESF_SV_SG_SH_SI_EUlSV_E_NS1_11comp_targetILNS1_3genE2ELNS1_11target_archE906ELNS1_3gpuE6ELNS1_3repE0EEENS1_48merge_mergepath_partition_config_static_selectorELNS0_4arch9wavefront6targetE1EEEvSH_.has_recursion, 0
	.set _ZN7rocprim17ROCPRIM_400000_NS6detail17trampoline_kernelINS0_14default_configENS1_38merge_sort_block_merge_config_selectorIhlEEZZNS1_27merge_sort_block_merge_implIS3_PhN6thrust23THRUST_200600_302600_NS10device_ptrIlEEjNS1_19radix_merge_compareILb0ELb1EhNS0_19identity_decomposerEEEEE10hipError_tT0_T1_T2_jT3_P12ihipStream_tbPNSt15iterator_traitsISG_E10value_typeEPNSM_ISH_E10value_typeEPSI_NS1_7vsmem_tEENKUlT_SG_SH_SI_E_clIS7_S7_SB_PlEESF_SV_SG_SH_SI_EUlSV_E_NS1_11comp_targetILNS1_3genE2ELNS1_11target_archE906ELNS1_3gpuE6ELNS1_3repE0EEENS1_48merge_mergepath_partition_config_static_selectorELNS0_4arch9wavefront6targetE1EEEvSH_.has_indirect_call, 0
	.section	.AMDGPU.csdata,"",@progbits
; Kernel info:
; codeLenInByte = 340
; TotalNumSgprs: 14
; NumVgprs: 16
; ScratchSize: 0
; MemoryBound: 0
; FloatMode: 240
; IeeeMode: 1
; LDSByteSize: 0 bytes/workgroup (compile time only)
; SGPRBlocks: 1
; VGPRBlocks: 3
; NumSGPRsForWavesPerEU: 14
; NumVGPRsForWavesPerEU: 16
; Occupancy: 10
; WaveLimiterHint : 0
; COMPUTE_PGM_RSRC2:SCRATCH_EN: 0
; COMPUTE_PGM_RSRC2:USER_SGPR: 6
; COMPUTE_PGM_RSRC2:TRAP_HANDLER: 0
; COMPUTE_PGM_RSRC2:TGID_X_EN: 1
; COMPUTE_PGM_RSRC2:TGID_Y_EN: 0
; COMPUTE_PGM_RSRC2:TGID_Z_EN: 0
; COMPUTE_PGM_RSRC2:TIDIG_COMP_CNT: 0
	.section	.text._ZN7rocprim17ROCPRIM_400000_NS6detail17trampoline_kernelINS0_14default_configENS1_38merge_sort_block_merge_config_selectorIhlEEZZNS1_27merge_sort_block_merge_implIS3_PhN6thrust23THRUST_200600_302600_NS10device_ptrIlEEjNS1_19radix_merge_compareILb0ELb1EhNS0_19identity_decomposerEEEEE10hipError_tT0_T1_T2_jT3_P12ihipStream_tbPNSt15iterator_traitsISG_E10value_typeEPNSM_ISH_E10value_typeEPSI_NS1_7vsmem_tEENKUlT_SG_SH_SI_E_clIS7_S7_SB_PlEESF_SV_SG_SH_SI_EUlSV_E_NS1_11comp_targetILNS1_3genE9ELNS1_11target_archE1100ELNS1_3gpuE3ELNS1_3repE0EEENS1_48merge_mergepath_partition_config_static_selectorELNS0_4arch9wavefront6targetE1EEEvSH_,"axG",@progbits,_ZN7rocprim17ROCPRIM_400000_NS6detail17trampoline_kernelINS0_14default_configENS1_38merge_sort_block_merge_config_selectorIhlEEZZNS1_27merge_sort_block_merge_implIS3_PhN6thrust23THRUST_200600_302600_NS10device_ptrIlEEjNS1_19radix_merge_compareILb0ELb1EhNS0_19identity_decomposerEEEEE10hipError_tT0_T1_T2_jT3_P12ihipStream_tbPNSt15iterator_traitsISG_E10value_typeEPNSM_ISH_E10value_typeEPSI_NS1_7vsmem_tEENKUlT_SG_SH_SI_E_clIS7_S7_SB_PlEESF_SV_SG_SH_SI_EUlSV_E_NS1_11comp_targetILNS1_3genE9ELNS1_11target_archE1100ELNS1_3gpuE3ELNS1_3repE0EEENS1_48merge_mergepath_partition_config_static_selectorELNS0_4arch9wavefront6targetE1EEEvSH_,comdat
	.protected	_ZN7rocprim17ROCPRIM_400000_NS6detail17trampoline_kernelINS0_14default_configENS1_38merge_sort_block_merge_config_selectorIhlEEZZNS1_27merge_sort_block_merge_implIS3_PhN6thrust23THRUST_200600_302600_NS10device_ptrIlEEjNS1_19radix_merge_compareILb0ELb1EhNS0_19identity_decomposerEEEEE10hipError_tT0_T1_T2_jT3_P12ihipStream_tbPNSt15iterator_traitsISG_E10value_typeEPNSM_ISH_E10value_typeEPSI_NS1_7vsmem_tEENKUlT_SG_SH_SI_E_clIS7_S7_SB_PlEESF_SV_SG_SH_SI_EUlSV_E_NS1_11comp_targetILNS1_3genE9ELNS1_11target_archE1100ELNS1_3gpuE3ELNS1_3repE0EEENS1_48merge_mergepath_partition_config_static_selectorELNS0_4arch9wavefront6targetE1EEEvSH_ ; -- Begin function _ZN7rocprim17ROCPRIM_400000_NS6detail17trampoline_kernelINS0_14default_configENS1_38merge_sort_block_merge_config_selectorIhlEEZZNS1_27merge_sort_block_merge_implIS3_PhN6thrust23THRUST_200600_302600_NS10device_ptrIlEEjNS1_19radix_merge_compareILb0ELb1EhNS0_19identity_decomposerEEEEE10hipError_tT0_T1_T2_jT3_P12ihipStream_tbPNSt15iterator_traitsISG_E10value_typeEPNSM_ISH_E10value_typeEPSI_NS1_7vsmem_tEENKUlT_SG_SH_SI_E_clIS7_S7_SB_PlEESF_SV_SG_SH_SI_EUlSV_E_NS1_11comp_targetILNS1_3genE9ELNS1_11target_archE1100ELNS1_3gpuE3ELNS1_3repE0EEENS1_48merge_mergepath_partition_config_static_selectorELNS0_4arch9wavefront6targetE1EEEvSH_
	.globl	_ZN7rocprim17ROCPRIM_400000_NS6detail17trampoline_kernelINS0_14default_configENS1_38merge_sort_block_merge_config_selectorIhlEEZZNS1_27merge_sort_block_merge_implIS3_PhN6thrust23THRUST_200600_302600_NS10device_ptrIlEEjNS1_19radix_merge_compareILb0ELb1EhNS0_19identity_decomposerEEEEE10hipError_tT0_T1_T2_jT3_P12ihipStream_tbPNSt15iterator_traitsISG_E10value_typeEPNSM_ISH_E10value_typeEPSI_NS1_7vsmem_tEENKUlT_SG_SH_SI_E_clIS7_S7_SB_PlEESF_SV_SG_SH_SI_EUlSV_E_NS1_11comp_targetILNS1_3genE9ELNS1_11target_archE1100ELNS1_3gpuE3ELNS1_3repE0EEENS1_48merge_mergepath_partition_config_static_selectorELNS0_4arch9wavefront6targetE1EEEvSH_
	.p2align	8
	.type	_ZN7rocprim17ROCPRIM_400000_NS6detail17trampoline_kernelINS0_14default_configENS1_38merge_sort_block_merge_config_selectorIhlEEZZNS1_27merge_sort_block_merge_implIS3_PhN6thrust23THRUST_200600_302600_NS10device_ptrIlEEjNS1_19radix_merge_compareILb0ELb1EhNS0_19identity_decomposerEEEEE10hipError_tT0_T1_T2_jT3_P12ihipStream_tbPNSt15iterator_traitsISG_E10value_typeEPNSM_ISH_E10value_typeEPSI_NS1_7vsmem_tEENKUlT_SG_SH_SI_E_clIS7_S7_SB_PlEESF_SV_SG_SH_SI_EUlSV_E_NS1_11comp_targetILNS1_3genE9ELNS1_11target_archE1100ELNS1_3gpuE3ELNS1_3repE0EEENS1_48merge_mergepath_partition_config_static_selectorELNS0_4arch9wavefront6targetE1EEEvSH_,@function
_ZN7rocprim17ROCPRIM_400000_NS6detail17trampoline_kernelINS0_14default_configENS1_38merge_sort_block_merge_config_selectorIhlEEZZNS1_27merge_sort_block_merge_implIS3_PhN6thrust23THRUST_200600_302600_NS10device_ptrIlEEjNS1_19radix_merge_compareILb0ELb1EhNS0_19identity_decomposerEEEEE10hipError_tT0_T1_T2_jT3_P12ihipStream_tbPNSt15iterator_traitsISG_E10value_typeEPNSM_ISH_E10value_typeEPSI_NS1_7vsmem_tEENKUlT_SG_SH_SI_E_clIS7_S7_SB_PlEESF_SV_SG_SH_SI_EUlSV_E_NS1_11comp_targetILNS1_3genE9ELNS1_11target_archE1100ELNS1_3gpuE3ELNS1_3repE0EEENS1_48merge_mergepath_partition_config_static_selectorELNS0_4arch9wavefront6targetE1EEEvSH_: ; @_ZN7rocprim17ROCPRIM_400000_NS6detail17trampoline_kernelINS0_14default_configENS1_38merge_sort_block_merge_config_selectorIhlEEZZNS1_27merge_sort_block_merge_implIS3_PhN6thrust23THRUST_200600_302600_NS10device_ptrIlEEjNS1_19radix_merge_compareILb0ELb1EhNS0_19identity_decomposerEEEEE10hipError_tT0_T1_T2_jT3_P12ihipStream_tbPNSt15iterator_traitsISG_E10value_typeEPNSM_ISH_E10value_typeEPSI_NS1_7vsmem_tEENKUlT_SG_SH_SI_E_clIS7_S7_SB_PlEESF_SV_SG_SH_SI_EUlSV_E_NS1_11comp_targetILNS1_3genE9ELNS1_11target_archE1100ELNS1_3gpuE3ELNS1_3repE0EEENS1_48merge_mergepath_partition_config_static_selectorELNS0_4arch9wavefront6targetE1EEEvSH_
; %bb.0:
	.section	.rodata,"a",@progbits
	.p2align	6, 0x0
	.amdhsa_kernel _ZN7rocprim17ROCPRIM_400000_NS6detail17trampoline_kernelINS0_14default_configENS1_38merge_sort_block_merge_config_selectorIhlEEZZNS1_27merge_sort_block_merge_implIS3_PhN6thrust23THRUST_200600_302600_NS10device_ptrIlEEjNS1_19radix_merge_compareILb0ELb1EhNS0_19identity_decomposerEEEEE10hipError_tT0_T1_T2_jT3_P12ihipStream_tbPNSt15iterator_traitsISG_E10value_typeEPNSM_ISH_E10value_typeEPSI_NS1_7vsmem_tEENKUlT_SG_SH_SI_E_clIS7_S7_SB_PlEESF_SV_SG_SH_SI_EUlSV_E_NS1_11comp_targetILNS1_3genE9ELNS1_11target_archE1100ELNS1_3gpuE3ELNS1_3repE0EEENS1_48merge_mergepath_partition_config_static_selectorELNS0_4arch9wavefront6targetE1EEEvSH_
		.amdhsa_group_segment_fixed_size 0
		.amdhsa_private_segment_fixed_size 0
		.amdhsa_kernarg_size 40
		.amdhsa_user_sgpr_count 6
		.amdhsa_user_sgpr_private_segment_buffer 1
		.amdhsa_user_sgpr_dispatch_ptr 0
		.amdhsa_user_sgpr_queue_ptr 0
		.amdhsa_user_sgpr_kernarg_segment_ptr 1
		.amdhsa_user_sgpr_dispatch_id 0
		.amdhsa_user_sgpr_flat_scratch_init 0
		.amdhsa_user_sgpr_private_segment_size 0
		.amdhsa_uses_dynamic_stack 0
		.amdhsa_system_sgpr_private_segment_wavefront_offset 0
		.amdhsa_system_sgpr_workgroup_id_x 1
		.amdhsa_system_sgpr_workgroup_id_y 0
		.amdhsa_system_sgpr_workgroup_id_z 0
		.amdhsa_system_sgpr_workgroup_info 0
		.amdhsa_system_vgpr_workitem_id 0
		.amdhsa_next_free_vgpr 1
		.amdhsa_next_free_sgpr 0
		.amdhsa_reserve_vcc 0
		.amdhsa_reserve_flat_scratch 0
		.amdhsa_float_round_mode_32 0
		.amdhsa_float_round_mode_16_64 0
		.amdhsa_float_denorm_mode_32 3
		.amdhsa_float_denorm_mode_16_64 3
		.amdhsa_dx10_clamp 1
		.amdhsa_ieee_mode 1
		.amdhsa_fp16_overflow 0
		.amdhsa_exception_fp_ieee_invalid_op 0
		.amdhsa_exception_fp_denorm_src 0
		.amdhsa_exception_fp_ieee_div_zero 0
		.amdhsa_exception_fp_ieee_overflow 0
		.amdhsa_exception_fp_ieee_underflow 0
		.amdhsa_exception_fp_ieee_inexact 0
		.amdhsa_exception_int_div_zero 0
	.end_amdhsa_kernel
	.section	.text._ZN7rocprim17ROCPRIM_400000_NS6detail17trampoline_kernelINS0_14default_configENS1_38merge_sort_block_merge_config_selectorIhlEEZZNS1_27merge_sort_block_merge_implIS3_PhN6thrust23THRUST_200600_302600_NS10device_ptrIlEEjNS1_19radix_merge_compareILb0ELb1EhNS0_19identity_decomposerEEEEE10hipError_tT0_T1_T2_jT3_P12ihipStream_tbPNSt15iterator_traitsISG_E10value_typeEPNSM_ISH_E10value_typeEPSI_NS1_7vsmem_tEENKUlT_SG_SH_SI_E_clIS7_S7_SB_PlEESF_SV_SG_SH_SI_EUlSV_E_NS1_11comp_targetILNS1_3genE9ELNS1_11target_archE1100ELNS1_3gpuE3ELNS1_3repE0EEENS1_48merge_mergepath_partition_config_static_selectorELNS0_4arch9wavefront6targetE1EEEvSH_,"axG",@progbits,_ZN7rocprim17ROCPRIM_400000_NS6detail17trampoline_kernelINS0_14default_configENS1_38merge_sort_block_merge_config_selectorIhlEEZZNS1_27merge_sort_block_merge_implIS3_PhN6thrust23THRUST_200600_302600_NS10device_ptrIlEEjNS1_19radix_merge_compareILb0ELb1EhNS0_19identity_decomposerEEEEE10hipError_tT0_T1_T2_jT3_P12ihipStream_tbPNSt15iterator_traitsISG_E10value_typeEPNSM_ISH_E10value_typeEPSI_NS1_7vsmem_tEENKUlT_SG_SH_SI_E_clIS7_S7_SB_PlEESF_SV_SG_SH_SI_EUlSV_E_NS1_11comp_targetILNS1_3genE9ELNS1_11target_archE1100ELNS1_3gpuE3ELNS1_3repE0EEENS1_48merge_mergepath_partition_config_static_selectorELNS0_4arch9wavefront6targetE1EEEvSH_,comdat
.Lfunc_end219:
	.size	_ZN7rocprim17ROCPRIM_400000_NS6detail17trampoline_kernelINS0_14default_configENS1_38merge_sort_block_merge_config_selectorIhlEEZZNS1_27merge_sort_block_merge_implIS3_PhN6thrust23THRUST_200600_302600_NS10device_ptrIlEEjNS1_19radix_merge_compareILb0ELb1EhNS0_19identity_decomposerEEEEE10hipError_tT0_T1_T2_jT3_P12ihipStream_tbPNSt15iterator_traitsISG_E10value_typeEPNSM_ISH_E10value_typeEPSI_NS1_7vsmem_tEENKUlT_SG_SH_SI_E_clIS7_S7_SB_PlEESF_SV_SG_SH_SI_EUlSV_E_NS1_11comp_targetILNS1_3genE9ELNS1_11target_archE1100ELNS1_3gpuE3ELNS1_3repE0EEENS1_48merge_mergepath_partition_config_static_selectorELNS0_4arch9wavefront6targetE1EEEvSH_, .Lfunc_end219-_ZN7rocprim17ROCPRIM_400000_NS6detail17trampoline_kernelINS0_14default_configENS1_38merge_sort_block_merge_config_selectorIhlEEZZNS1_27merge_sort_block_merge_implIS3_PhN6thrust23THRUST_200600_302600_NS10device_ptrIlEEjNS1_19radix_merge_compareILb0ELb1EhNS0_19identity_decomposerEEEEE10hipError_tT0_T1_T2_jT3_P12ihipStream_tbPNSt15iterator_traitsISG_E10value_typeEPNSM_ISH_E10value_typeEPSI_NS1_7vsmem_tEENKUlT_SG_SH_SI_E_clIS7_S7_SB_PlEESF_SV_SG_SH_SI_EUlSV_E_NS1_11comp_targetILNS1_3genE9ELNS1_11target_archE1100ELNS1_3gpuE3ELNS1_3repE0EEENS1_48merge_mergepath_partition_config_static_selectorELNS0_4arch9wavefront6targetE1EEEvSH_
                                        ; -- End function
	.set _ZN7rocprim17ROCPRIM_400000_NS6detail17trampoline_kernelINS0_14default_configENS1_38merge_sort_block_merge_config_selectorIhlEEZZNS1_27merge_sort_block_merge_implIS3_PhN6thrust23THRUST_200600_302600_NS10device_ptrIlEEjNS1_19radix_merge_compareILb0ELb1EhNS0_19identity_decomposerEEEEE10hipError_tT0_T1_T2_jT3_P12ihipStream_tbPNSt15iterator_traitsISG_E10value_typeEPNSM_ISH_E10value_typeEPSI_NS1_7vsmem_tEENKUlT_SG_SH_SI_E_clIS7_S7_SB_PlEESF_SV_SG_SH_SI_EUlSV_E_NS1_11comp_targetILNS1_3genE9ELNS1_11target_archE1100ELNS1_3gpuE3ELNS1_3repE0EEENS1_48merge_mergepath_partition_config_static_selectorELNS0_4arch9wavefront6targetE1EEEvSH_.num_vgpr, 0
	.set _ZN7rocprim17ROCPRIM_400000_NS6detail17trampoline_kernelINS0_14default_configENS1_38merge_sort_block_merge_config_selectorIhlEEZZNS1_27merge_sort_block_merge_implIS3_PhN6thrust23THRUST_200600_302600_NS10device_ptrIlEEjNS1_19radix_merge_compareILb0ELb1EhNS0_19identity_decomposerEEEEE10hipError_tT0_T1_T2_jT3_P12ihipStream_tbPNSt15iterator_traitsISG_E10value_typeEPNSM_ISH_E10value_typeEPSI_NS1_7vsmem_tEENKUlT_SG_SH_SI_E_clIS7_S7_SB_PlEESF_SV_SG_SH_SI_EUlSV_E_NS1_11comp_targetILNS1_3genE9ELNS1_11target_archE1100ELNS1_3gpuE3ELNS1_3repE0EEENS1_48merge_mergepath_partition_config_static_selectorELNS0_4arch9wavefront6targetE1EEEvSH_.num_agpr, 0
	.set _ZN7rocprim17ROCPRIM_400000_NS6detail17trampoline_kernelINS0_14default_configENS1_38merge_sort_block_merge_config_selectorIhlEEZZNS1_27merge_sort_block_merge_implIS3_PhN6thrust23THRUST_200600_302600_NS10device_ptrIlEEjNS1_19radix_merge_compareILb0ELb1EhNS0_19identity_decomposerEEEEE10hipError_tT0_T1_T2_jT3_P12ihipStream_tbPNSt15iterator_traitsISG_E10value_typeEPNSM_ISH_E10value_typeEPSI_NS1_7vsmem_tEENKUlT_SG_SH_SI_E_clIS7_S7_SB_PlEESF_SV_SG_SH_SI_EUlSV_E_NS1_11comp_targetILNS1_3genE9ELNS1_11target_archE1100ELNS1_3gpuE3ELNS1_3repE0EEENS1_48merge_mergepath_partition_config_static_selectorELNS0_4arch9wavefront6targetE1EEEvSH_.numbered_sgpr, 0
	.set _ZN7rocprim17ROCPRIM_400000_NS6detail17trampoline_kernelINS0_14default_configENS1_38merge_sort_block_merge_config_selectorIhlEEZZNS1_27merge_sort_block_merge_implIS3_PhN6thrust23THRUST_200600_302600_NS10device_ptrIlEEjNS1_19radix_merge_compareILb0ELb1EhNS0_19identity_decomposerEEEEE10hipError_tT0_T1_T2_jT3_P12ihipStream_tbPNSt15iterator_traitsISG_E10value_typeEPNSM_ISH_E10value_typeEPSI_NS1_7vsmem_tEENKUlT_SG_SH_SI_E_clIS7_S7_SB_PlEESF_SV_SG_SH_SI_EUlSV_E_NS1_11comp_targetILNS1_3genE9ELNS1_11target_archE1100ELNS1_3gpuE3ELNS1_3repE0EEENS1_48merge_mergepath_partition_config_static_selectorELNS0_4arch9wavefront6targetE1EEEvSH_.num_named_barrier, 0
	.set _ZN7rocprim17ROCPRIM_400000_NS6detail17trampoline_kernelINS0_14default_configENS1_38merge_sort_block_merge_config_selectorIhlEEZZNS1_27merge_sort_block_merge_implIS3_PhN6thrust23THRUST_200600_302600_NS10device_ptrIlEEjNS1_19radix_merge_compareILb0ELb1EhNS0_19identity_decomposerEEEEE10hipError_tT0_T1_T2_jT3_P12ihipStream_tbPNSt15iterator_traitsISG_E10value_typeEPNSM_ISH_E10value_typeEPSI_NS1_7vsmem_tEENKUlT_SG_SH_SI_E_clIS7_S7_SB_PlEESF_SV_SG_SH_SI_EUlSV_E_NS1_11comp_targetILNS1_3genE9ELNS1_11target_archE1100ELNS1_3gpuE3ELNS1_3repE0EEENS1_48merge_mergepath_partition_config_static_selectorELNS0_4arch9wavefront6targetE1EEEvSH_.private_seg_size, 0
	.set _ZN7rocprim17ROCPRIM_400000_NS6detail17trampoline_kernelINS0_14default_configENS1_38merge_sort_block_merge_config_selectorIhlEEZZNS1_27merge_sort_block_merge_implIS3_PhN6thrust23THRUST_200600_302600_NS10device_ptrIlEEjNS1_19radix_merge_compareILb0ELb1EhNS0_19identity_decomposerEEEEE10hipError_tT0_T1_T2_jT3_P12ihipStream_tbPNSt15iterator_traitsISG_E10value_typeEPNSM_ISH_E10value_typeEPSI_NS1_7vsmem_tEENKUlT_SG_SH_SI_E_clIS7_S7_SB_PlEESF_SV_SG_SH_SI_EUlSV_E_NS1_11comp_targetILNS1_3genE9ELNS1_11target_archE1100ELNS1_3gpuE3ELNS1_3repE0EEENS1_48merge_mergepath_partition_config_static_selectorELNS0_4arch9wavefront6targetE1EEEvSH_.uses_vcc, 0
	.set _ZN7rocprim17ROCPRIM_400000_NS6detail17trampoline_kernelINS0_14default_configENS1_38merge_sort_block_merge_config_selectorIhlEEZZNS1_27merge_sort_block_merge_implIS3_PhN6thrust23THRUST_200600_302600_NS10device_ptrIlEEjNS1_19radix_merge_compareILb0ELb1EhNS0_19identity_decomposerEEEEE10hipError_tT0_T1_T2_jT3_P12ihipStream_tbPNSt15iterator_traitsISG_E10value_typeEPNSM_ISH_E10value_typeEPSI_NS1_7vsmem_tEENKUlT_SG_SH_SI_E_clIS7_S7_SB_PlEESF_SV_SG_SH_SI_EUlSV_E_NS1_11comp_targetILNS1_3genE9ELNS1_11target_archE1100ELNS1_3gpuE3ELNS1_3repE0EEENS1_48merge_mergepath_partition_config_static_selectorELNS0_4arch9wavefront6targetE1EEEvSH_.uses_flat_scratch, 0
	.set _ZN7rocprim17ROCPRIM_400000_NS6detail17trampoline_kernelINS0_14default_configENS1_38merge_sort_block_merge_config_selectorIhlEEZZNS1_27merge_sort_block_merge_implIS3_PhN6thrust23THRUST_200600_302600_NS10device_ptrIlEEjNS1_19radix_merge_compareILb0ELb1EhNS0_19identity_decomposerEEEEE10hipError_tT0_T1_T2_jT3_P12ihipStream_tbPNSt15iterator_traitsISG_E10value_typeEPNSM_ISH_E10value_typeEPSI_NS1_7vsmem_tEENKUlT_SG_SH_SI_E_clIS7_S7_SB_PlEESF_SV_SG_SH_SI_EUlSV_E_NS1_11comp_targetILNS1_3genE9ELNS1_11target_archE1100ELNS1_3gpuE3ELNS1_3repE0EEENS1_48merge_mergepath_partition_config_static_selectorELNS0_4arch9wavefront6targetE1EEEvSH_.has_dyn_sized_stack, 0
	.set _ZN7rocprim17ROCPRIM_400000_NS6detail17trampoline_kernelINS0_14default_configENS1_38merge_sort_block_merge_config_selectorIhlEEZZNS1_27merge_sort_block_merge_implIS3_PhN6thrust23THRUST_200600_302600_NS10device_ptrIlEEjNS1_19radix_merge_compareILb0ELb1EhNS0_19identity_decomposerEEEEE10hipError_tT0_T1_T2_jT3_P12ihipStream_tbPNSt15iterator_traitsISG_E10value_typeEPNSM_ISH_E10value_typeEPSI_NS1_7vsmem_tEENKUlT_SG_SH_SI_E_clIS7_S7_SB_PlEESF_SV_SG_SH_SI_EUlSV_E_NS1_11comp_targetILNS1_3genE9ELNS1_11target_archE1100ELNS1_3gpuE3ELNS1_3repE0EEENS1_48merge_mergepath_partition_config_static_selectorELNS0_4arch9wavefront6targetE1EEEvSH_.has_recursion, 0
	.set _ZN7rocprim17ROCPRIM_400000_NS6detail17trampoline_kernelINS0_14default_configENS1_38merge_sort_block_merge_config_selectorIhlEEZZNS1_27merge_sort_block_merge_implIS3_PhN6thrust23THRUST_200600_302600_NS10device_ptrIlEEjNS1_19radix_merge_compareILb0ELb1EhNS0_19identity_decomposerEEEEE10hipError_tT0_T1_T2_jT3_P12ihipStream_tbPNSt15iterator_traitsISG_E10value_typeEPNSM_ISH_E10value_typeEPSI_NS1_7vsmem_tEENKUlT_SG_SH_SI_E_clIS7_S7_SB_PlEESF_SV_SG_SH_SI_EUlSV_E_NS1_11comp_targetILNS1_3genE9ELNS1_11target_archE1100ELNS1_3gpuE3ELNS1_3repE0EEENS1_48merge_mergepath_partition_config_static_selectorELNS0_4arch9wavefront6targetE1EEEvSH_.has_indirect_call, 0
	.section	.AMDGPU.csdata,"",@progbits
; Kernel info:
; codeLenInByte = 0
; TotalNumSgprs: 4
; NumVgprs: 0
; ScratchSize: 0
; MemoryBound: 0
; FloatMode: 240
; IeeeMode: 1
; LDSByteSize: 0 bytes/workgroup (compile time only)
; SGPRBlocks: 0
; VGPRBlocks: 0
; NumSGPRsForWavesPerEU: 4
; NumVGPRsForWavesPerEU: 1
; Occupancy: 10
; WaveLimiterHint : 0
; COMPUTE_PGM_RSRC2:SCRATCH_EN: 0
; COMPUTE_PGM_RSRC2:USER_SGPR: 6
; COMPUTE_PGM_RSRC2:TRAP_HANDLER: 0
; COMPUTE_PGM_RSRC2:TGID_X_EN: 1
; COMPUTE_PGM_RSRC2:TGID_Y_EN: 0
; COMPUTE_PGM_RSRC2:TGID_Z_EN: 0
; COMPUTE_PGM_RSRC2:TIDIG_COMP_CNT: 0
	.section	.text._ZN7rocprim17ROCPRIM_400000_NS6detail17trampoline_kernelINS0_14default_configENS1_38merge_sort_block_merge_config_selectorIhlEEZZNS1_27merge_sort_block_merge_implIS3_PhN6thrust23THRUST_200600_302600_NS10device_ptrIlEEjNS1_19radix_merge_compareILb0ELb1EhNS0_19identity_decomposerEEEEE10hipError_tT0_T1_T2_jT3_P12ihipStream_tbPNSt15iterator_traitsISG_E10value_typeEPNSM_ISH_E10value_typeEPSI_NS1_7vsmem_tEENKUlT_SG_SH_SI_E_clIS7_S7_SB_PlEESF_SV_SG_SH_SI_EUlSV_E_NS1_11comp_targetILNS1_3genE8ELNS1_11target_archE1030ELNS1_3gpuE2ELNS1_3repE0EEENS1_48merge_mergepath_partition_config_static_selectorELNS0_4arch9wavefront6targetE1EEEvSH_,"axG",@progbits,_ZN7rocprim17ROCPRIM_400000_NS6detail17trampoline_kernelINS0_14default_configENS1_38merge_sort_block_merge_config_selectorIhlEEZZNS1_27merge_sort_block_merge_implIS3_PhN6thrust23THRUST_200600_302600_NS10device_ptrIlEEjNS1_19radix_merge_compareILb0ELb1EhNS0_19identity_decomposerEEEEE10hipError_tT0_T1_T2_jT3_P12ihipStream_tbPNSt15iterator_traitsISG_E10value_typeEPNSM_ISH_E10value_typeEPSI_NS1_7vsmem_tEENKUlT_SG_SH_SI_E_clIS7_S7_SB_PlEESF_SV_SG_SH_SI_EUlSV_E_NS1_11comp_targetILNS1_3genE8ELNS1_11target_archE1030ELNS1_3gpuE2ELNS1_3repE0EEENS1_48merge_mergepath_partition_config_static_selectorELNS0_4arch9wavefront6targetE1EEEvSH_,comdat
	.protected	_ZN7rocprim17ROCPRIM_400000_NS6detail17trampoline_kernelINS0_14default_configENS1_38merge_sort_block_merge_config_selectorIhlEEZZNS1_27merge_sort_block_merge_implIS3_PhN6thrust23THRUST_200600_302600_NS10device_ptrIlEEjNS1_19radix_merge_compareILb0ELb1EhNS0_19identity_decomposerEEEEE10hipError_tT0_T1_T2_jT3_P12ihipStream_tbPNSt15iterator_traitsISG_E10value_typeEPNSM_ISH_E10value_typeEPSI_NS1_7vsmem_tEENKUlT_SG_SH_SI_E_clIS7_S7_SB_PlEESF_SV_SG_SH_SI_EUlSV_E_NS1_11comp_targetILNS1_3genE8ELNS1_11target_archE1030ELNS1_3gpuE2ELNS1_3repE0EEENS1_48merge_mergepath_partition_config_static_selectorELNS0_4arch9wavefront6targetE1EEEvSH_ ; -- Begin function _ZN7rocprim17ROCPRIM_400000_NS6detail17trampoline_kernelINS0_14default_configENS1_38merge_sort_block_merge_config_selectorIhlEEZZNS1_27merge_sort_block_merge_implIS3_PhN6thrust23THRUST_200600_302600_NS10device_ptrIlEEjNS1_19radix_merge_compareILb0ELb1EhNS0_19identity_decomposerEEEEE10hipError_tT0_T1_T2_jT3_P12ihipStream_tbPNSt15iterator_traitsISG_E10value_typeEPNSM_ISH_E10value_typeEPSI_NS1_7vsmem_tEENKUlT_SG_SH_SI_E_clIS7_S7_SB_PlEESF_SV_SG_SH_SI_EUlSV_E_NS1_11comp_targetILNS1_3genE8ELNS1_11target_archE1030ELNS1_3gpuE2ELNS1_3repE0EEENS1_48merge_mergepath_partition_config_static_selectorELNS0_4arch9wavefront6targetE1EEEvSH_
	.globl	_ZN7rocprim17ROCPRIM_400000_NS6detail17trampoline_kernelINS0_14default_configENS1_38merge_sort_block_merge_config_selectorIhlEEZZNS1_27merge_sort_block_merge_implIS3_PhN6thrust23THRUST_200600_302600_NS10device_ptrIlEEjNS1_19radix_merge_compareILb0ELb1EhNS0_19identity_decomposerEEEEE10hipError_tT0_T1_T2_jT3_P12ihipStream_tbPNSt15iterator_traitsISG_E10value_typeEPNSM_ISH_E10value_typeEPSI_NS1_7vsmem_tEENKUlT_SG_SH_SI_E_clIS7_S7_SB_PlEESF_SV_SG_SH_SI_EUlSV_E_NS1_11comp_targetILNS1_3genE8ELNS1_11target_archE1030ELNS1_3gpuE2ELNS1_3repE0EEENS1_48merge_mergepath_partition_config_static_selectorELNS0_4arch9wavefront6targetE1EEEvSH_
	.p2align	8
	.type	_ZN7rocprim17ROCPRIM_400000_NS6detail17trampoline_kernelINS0_14default_configENS1_38merge_sort_block_merge_config_selectorIhlEEZZNS1_27merge_sort_block_merge_implIS3_PhN6thrust23THRUST_200600_302600_NS10device_ptrIlEEjNS1_19radix_merge_compareILb0ELb1EhNS0_19identity_decomposerEEEEE10hipError_tT0_T1_T2_jT3_P12ihipStream_tbPNSt15iterator_traitsISG_E10value_typeEPNSM_ISH_E10value_typeEPSI_NS1_7vsmem_tEENKUlT_SG_SH_SI_E_clIS7_S7_SB_PlEESF_SV_SG_SH_SI_EUlSV_E_NS1_11comp_targetILNS1_3genE8ELNS1_11target_archE1030ELNS1_3gpuE2ELNS1_3repE0EEENS1_48merge_mergepath_partition_config_static_selectorELNS0_4arch9wavefront6targetE1EEEvSH_,@function
_ZN7rocprim17ROCPRIM_400000_NS6detail17trampoline_kernelINS0_14default_configENS1_38merge_sort_block_merge_config_selectorIhlEEZZNS1_27merge_sort_block_merge_implIS3_PhN6thrust23THRUST_200600_302600_NS10device_ptrIlEEjNS1_19radix_merge_compareILb0ELb1EhNS0_19identity_decomposerEEEEE10hipError_tT0_T1_T2_jT3_P12ihipStream_tbPNSt15iterator_traitsISG_E10value_typeEPNSM_ISH_E10value_typeEPSI_NS1_7vsmem_tEENKUlT_SG_SH_SI_E_clIS7_S7_SB_PlEESF_SV_SG_SH_SI_EUlSV_E_NS1_11comp_targetILNS1_3genE8ELNS1_11target_archE1030ELNS1_3gpuE2ELNS1_3repE0EEENS1_48merge_mergepath_partition_config_static_selectorELNS0_4arch9wavefront6targetE1EEEvSH_: ; @_ZN7rocprim17ROCPRIM_400000_NS6detail17trampoline_kernelINS0_14default_configENS1_38merge_sort_block_merge_config_selectorIhlEEZZNS1_27merge_sort_block_merge_implIS3_PhN6thrust23THRUST_200600_302600_NS10device_ptrIlEEjNS1_19radix_merge_compareILb0ELb1EhNS0_19identity_decomposerEEEEE10hipError_tT0_T1_T2_jT3_P12ihipStream_tbPNSt15iterator_traitsISG_E10value_typeEPNSM_ISH_E10value_typeEPSI_NS1_7vsmem_tEENKUlT_SG_SH_SI_E_clIS7_S7_SB_PlEESF_SV_SG_SH_SI_EUlSV_E_NS1_11comp_targetILNS1_3genE8ELNS1_11target_archE1030ELNS1_3gpuE2ELNS1_3repE0EEENS1_48merge_mergepath_partition_config_static_selectorELNS0_4arch9wavefront6targetE1EEEvSH_
; %bb.0:
	.section	.rodata,"a",@progbits
	.p2align	6, 0x0
	.amdhsa_kernel _ZN7rocprim17ROCPRIM_400000_NS6detail17trampoline_kernelINS0_14default_configENS1_38merge_sort_block_merge_config_selectorIhlEEZZNS1_27merge_sort_block_merge_implIS3_PhN6thrust23THRUST_200600_302600_NS10device_ptrIlEEjNS1_19radix_merge_compareILb0ELb1EhNS0_19identity_decomposerEEEEE10hipError_tT0_T1_T2_jT3_P12ihipStream_tbPNSt15iterator_traitsISG_E10value_typeEPNSM_ISH_E10value_typeEPSI_NS1_7vsmem_tEENKUlT_SG_SH_SI_E_clIS7_S7_SB_PlEESF_SV_SG_SH_SI_EUlSV_E_NS1_11comp_targetILNS1_3genE8ELNS1_11target_archE1030ELNS1_3gpuE2ELNS1_3repE0EEENS1_48merge_mergepath_partition_config_static_selectorELNS0_4arch9wavefront6targetE1EEEvSH_
		.amdhsa_group_segment_fixed_size 0
		.amdhsa_private_segment_fixed_size 0
		.amdhsa_kernarg_size 40
		.amdhsa_user_sgpr_count 6
		.amdhsa_user_sgpr_private_segment_buffer 1
		.amdhsa_user_sgpr_dispatch_ptr 0
		.amdhsa_user_sgpr_queue_ptr 0
		.amdhsa_user_sgpr_kernarg_segment_ptr 1
		.amdhsa_user_sgpr_dispatch_id 0
		.amdhsa_user_sgpr_flat_scratch_init 0
		.amdhsa_user_sgpr_private_segment_size 0
		.amdhsa_uses_dynamic_stack 0
		.amdhsa_system_sgpr_private_segment_wavefront_offset 0
		.amdhsa_system_sgpr_workgroup_id_x 1
		.amdhsa_system_sgpr_workgroup_id_y 0
		.amdhsa_system_sgpr_workgroup_id_z 0
		.amdhsa_system_sgpr_workgroup_info 0
		.amdhsa_system_vgpr_workitem_id 0
		.amdhsa_next_free_vgpr 1
		.amdhsa_next_free_sgpr 0
		.amdhsa_reserve_vcc 0
		.amdhsa_reserve_flat_scratch 0
		.amdhsa_float_round_mode_32 0
		.amdhsa_float_round_mode_16_64 0
		.amdhsa_float_denorm_mode_32 3
		.amdhsa_float_denorm_mode_16_64 3
		.amdhsa_dx10_clamp 1
		.amdhsa_ieee_mode 1
		.amdhsa_fp16_overflow 0
		.amdhsa_exception_fp_ieee_invalid_op 0
		.amdhsa_exception_fp_denorm_src 0
		.amdhsa_exception_fp_ieee_div_zero 0
		.amdhsa_exception_fp_ieee_overflow 0
		.amdhsa_exception_fp_ieee_underflow 0
		.amdhsa_exception_fp_ieee_inexact 0
		.amdhsa_exception_int_div_zero 0
	.end_amdhsa_kernel
	.section	.text._ZN7rocprim17ROCPRIM_400000_NS6detail17trampoline_kernelINS0_14default_configENS1_38merge_sort_block_merge_config_selectorIhlEEZZNS1_27merge_sort_block_merge_implIS3_PhN6thrust23THRUST_200600_302600_NS10device_ptrIlEEjNS1_19radix_merge_compareILb0ELb1EhNS0_19identity_decomposerEEEEE10hipError_tT0_T1_T2_jT3_P12ihipStream_tbPNSt15iterator_traitsISG_E10value_typeEPNSM_ISH_E10value_typeEPSI_NS1_7vsmem_tEENKUlT_SG_SH_SI_E_clIS7_S7_SB_PlEESF_SV_SG_SH_SI_EUlSV_E_NS1_11comp_targetILNS1_3genE8ELNS1_11target_archE1030ELNS1_3gpuE2ELNS1_3repE0EEENS1_48merge_mergepath_partition_config_static_selectorELNS0_4arch9wavefront6targetE1EEEvSH_,"axG",@progbits,_ZN7rocprim17ROCPRIM_400000_NS6detail17trampoline_kernelINS0_14default_configENS1_38merge_sort_block_merge_config_selectorIhlEEZZNS1_27merge_sort_block_merge_implIS3_PhN6thrust23THRUST_200600_302600_NS10device_ptrIlEEjNS1_19radix_merge_compareILb0ELb1EhNS0_19identity_decomposerEEEEE10hipError_tT0_T1_T2_jT3_P12ihipStream_tbPNSt15iterator_traitsISG_E10value_typeEPNSM_ISH_E10value_typeEPSI_NS1_7vsmem_tEENKUlT_SG_SH_SI_E_clIS7_S7_SB_PlEESF_SV_SG_SH_SI_EUlSV_E_NS1_11comp_targetILNS1_3genE8ELNS1_11target_archE1030ELNS1_3gpuE2ELNS1_3repE0EEENS1_48merge_mergepath_partition_config_static_selectorELNS0_4arch9wavefront6targetE1EEEvSH_,comdat
.Lfunc_end220:
	.size	_ZN7rocprim17ROCPRIM_400000_NS6detail17trampoline_kernelINS0_14default_configENS1_38merge_sort_block_merge_config_selectorIhlEEZZNS1_27merge_sort_block_merge_implIS3_PhN6thrust23THRUST_200600_302600_NS10device_ptrIlEEjNS1_19radix_merge_compareILb0ELb1EhNS0_19identity_decomposerEEEEE10hipError_tT0_T1_T2_jT3_P12ihipStream_tbPNSt15iterator_traitsISG_E10value_typeEPNSM_ISH_E10value_typeEPSI_NS1_7vsmem_tEENKUlT_SG_SH_SI_E_clIS7_S7_SB_PlEESF_SV_SG_SH_SI_EUlSV_E_NS1_11comp_targetILNS1_3genE8ELNS1_11target_archE1030ELNS1_3gpuE2ELNS1_3repE0EEENS1_48merge_mergepath_partition_config_static_selectorELNS0_4arch9wavefront6targetE1EEEvSH_, .Lfunc_end220-_ZN7rocprim17ROCPRIM_400000_NS6detail17trampoline_kernelINS0_14default_configENS1_38merge_sort_block_merge_config_selectorIhlEEZZNS1_27merge_sort_block_merge_implIS3_PhN6thrust23THRUST_200600_302600_NS10device_ptrIlEEjNS1_19radix_merge_compareILb0ELb1EhNS0_19identity_decomposerEEEEE10hipError_tT0_T1_T2_jT3_P12ihipStream_tbPNSt15iterator_traitsISG_E10value_typeEPNSM_ISH_E10value_typeEPSI_NS1_7vsmem_tEENKUlT_SG_SH_SI_E_clIS7_S7_SB_PlEESF_SV_SG_SH_SI_EUlSV_E_NS1_11comp_targetILNS1_3genE8ELNS1_11target_archE1030ELNS1_3gpuE2ELNS1_3repE0EEENS1_48merge_mergepath_partition_config_static_selectorELNS0_4arch9wavefront6targetE1EEEvSH_
                                        ; -- End function
	.set _ZN7rocprim17ROCPRIM_400000_NS6detail17trampoline_kernelINS0_14default_configENS1_38merge_sort_block_merge_config_selectorIhlEEZZNS1_27merge_sort_block_merge_implIS3_PhN6thrust23THRUST_200600_302600_NS10device_ptrIlEEjNS1_19radix_merge_compareILb0ELb1EhNS0_19identity_decomposerEEEEE10hipError_tT0_T1_T2_jT3_P12ihipStream_tbPNSt15iterator_traitsISG_E10value_typeEPNSM_ISH_E10value_typeEPSI_NS1_7vsmem_tEENKUlT_SG_SH_SI_E_clIS7_S7_SB_PlEESF_SV_SG_SH_SI_EUlSV_E_NS1_11comp_targetILNS1_3genE8ELNS1_11target_archE1030ELNS1_3gpuE2ELNS1_3repE0EEENS1_48merge_mergepath_partition_config_static_selectorELNS0_4arch9wavefront6targetE1EEEvSH_.num_vgpr, 0
	.set _ZN7rocprim17ROCPRIM_400000_NS6detail17trampoline_kernelINS0_14default_configENS1_38merge_sort_block_merge_config_selectorIhlEEZZNS1_27merge_sort_block_merge_implIS3_PhN6thrust23THRUST_200600_302600_NS10device_ptrIlEEjNS1_19radix_merge_compareILb0ELb1EhNS0_19identity_decomposerEEEEE10hipError_tT0_T1_T2_jT3_P12ihipStream_tbPNSt15iterator_traitsISG_E10value_typeEPNSM_ISH_E10value_typeEPSI_NS1_7vsmem_tEENKUlT_SG_SH_SI_E_clIS7_S7_SB_PlEESF_SV_SG_SH_SI_EUlSV_E_NS1_11comp_targetILNS1_3genE8ELNS1_11target_archE1030ELNS1_3gpuE2ELNS1_3repE0EEENS1_48merge_mergepath_partition_config_static_selectorELNS0_4arch9wavefront6targetE1EEEvSH_.num_agpr, 0
	.set _ZN7rocprim17ROCPRIM_400000_NS6detail17trampoline_kernelINS0_14default_configENS1_38merge_sort_block_merge_config_selectorIhlEEZZNS1_27merge_sort_block_merge_implIS3_PhN6thrust23THRUST_200600_302600_NS10device_ptrIlEEjNS1_19radix_merge_compareILb0ELb1EhNS0_19identity_decomposerEEEEE10hipError_tT0_T1_T2_jT3_P12ihipStream_tbPNSt15iterator_traitsISG_E10value_typeEPNSM_ISH_E10value_typeEPSI_NS1_7vsmem_tEENKUlT_SG_SH_SI_E_clIS7_S7_SB_PlEESF_SV_SG_SH_SI_EUlSV_E_NS1_11comp_targetILNS1_3genE8ELNS1_11target_archE1030ELNS1_3gpuE2ELNS1_3repE0EEENS1_48merge_mergepath_partition_config_static_selectorELNS0_4arch9wavefront6targetE1EEEvSH_.numbered_sgpr, 0
	.set _ZN7rocprim17ROCPRIM_400000_NS6detail17trampoline_kernelINS0_14default_configENS1_38merge_sort_block_merge_config_selectorIhlEEZZNS1_27merge_sort_block_merge_implIS3_PhN6thrust23THRUST_200600_302600_NS10device_ptrIlEEjNS1_19radix_merge_compareILb0ELb1EhNS0_19identity_decomposerEEEEE10hipError_tT0_T1_T2_jT3_P12ihipStream_tbPNSt15iterator_traitsISG_E10value_typeEPNSM_ISH_E10value_typeEPSI_NS1_7vsmem_tEENKUlT_SG_SH_SI_E_clIS7_S7_SB_PlEESF_SV_SG_SH_SI_EUlSV_E_NS1_11comp_targetILNS1_3genE8ELNS1_11target_archE1030ELNS1_3gpuE2ELNS1_3repE0EEENS1_48merge_mergepath_partition_config_static_selectorELNS0_4arch9wavefront6targetE1EEEvSH_.num_named_barrier, 0
	.set _ZN7rocprim17ROCPRIM_400000_NS6detail17trampoline_kernelINS0_14default_configENS1_38merge_sort_block_merge_config_selectorIhlEEZZNS1_27merge_sort_block_merge_implIS3_PhN6thrust23THRUST_200600_302600_NS10device_ptrIlEEjNS1_19radix_merge_compareILb0ELb1EhNS0_19identity_decomposerEEEEE10hipError_tT0_T1_T2_jT3_P12ihipStream_tbPNSt15iterator_traitsISG_E10value_typeEPNSM_ISH_E10value_typeEPSI_NS1_7vsmem_tEENKUlT_SG_SH_SI_E_clIS7_S7_SB_PlEESF_SV_SG_SH_SI_EUlSV_E_NS1_11comp_targetILNS1_3genE8ELNS1_11target_archE1030ELNS1_3gpuE2ELNS1_3repE0EEENS1_48merge_mergepath_partition_config_static_selectorELNS0_4arch9wavefront6targetE1EEEvSH_.private_seg_size, 0
	.set _ZN7rocprim17ROCPRIM_400000_NS6detail17trampoline_kernelINS0_14default_configENS1_38merge_sort_block_merge_config_selectorIhlEEZZNS1_27merge_sort_block_merge_implIS3_PhN6thrust23THRUST_200600_302600_NS10device_ptrIlEEjNS1_19radix_merge_compareILb0ELb1EhNS0_19identity_decomposerEEEEE10hipError_tT0_T1_T2_jT3_P12ihipStream_tbPNSt15iterator_traitsISG_E10value_typeEPNSM_ISH_E10value_typeEPSI_NS1_7vsmem_tEENKUlT_SG_SH_SI_E_clIS7_S7_SB_PlEESF_SV_SG_SH_SI_EUlSV_E_NS1_11comp_targetILNS1_3genE8ELNS1_11target_archE1030ELNS1_3gpuE2ELNS1_3repE0EEENS1_48merge_mergepath_partition_config_static_selectorELNS0_4arch9wavefront6targetE1EEEvSH_.uses_vcc, 0
	.set _ZN7rocprim17ROCPRIM_400000_NS6detail17trampoline_kernelINS0_14default_configENS1_38merge_sort_block_merge_config_selectorIhlEEZZNS1_27merge_sort_block_merge_implIS3_PhN6thrust23THRUST_200600_302600_NS10device_ptrIlEEjNS1_19radix_merge_compareILb0ELb1EhNS0_19identity_decomposerEEEEE10hipError_tT0_T1_T2_jT3_P12ihipStream_tbPNSt15iterator_traitsISG_E10value_typeEPNSM_ISH_E10value_typeEPSI_NS1_7vsmem_tEENKUlT_SG_SH_SI_E_clIS7_S7_SB_PlEESF_SV_SG_SH_SI_EUlSV_E_NS1_11comp_targetILNS1_3genE8ELNS1_11target_archE1030ELNS1_3gpuE2ELNS1_3repE0EEENS1_48merge_mergepath_partition_config_static_selectorELNS0_4arch9wavefront6targetE1EEEvSH_.uses_flat_scratch, 0
	.set _ZN7rocprim17ROCPRIM_400000_NS6detail17trampoline_kernelINS0_14default_configENS1_38merge_sort_block_merge_config_selectorIhlEEZZNS1_27merge_sort_block_merge_implIS3_PhN6thrust23THRUST_200600_302600_NS10device_ptrIlEEjNS1_19radix_merge_compareILb0ELb1EhNS0_19identity_decomposerEEEEE10hipError_tT0_T1_T2_jT3_P12ihipStream_tbPNSt15iterator_traitsISG_E10value_typeEPNSM_ISH_E10value_typeEPSI_NS1_7vsmem_tEENKUlT_SG_SH_SI_E_clIS7_S7_SB_PlEESF_SV_SG_SH_SI_EUlSV_E_NS1_11comp_targetILNS1_3genE8ELNS1_11target_archE1030ELNS1_3gpuE2ELNS1_3repE0EEENS1_48merge_mergepath_partition_config_static_selectorELNS0_4arch9wavefront6targetE1EEEvSH_.has_dyn_sized_stack, 0
	.set _ZN7rocprim17ROCPRIM_400000_NS6detail17trampoline_kernelINS0_14default_configENS1_38merge_sort_block_merge_config_selectorIhlEEZZNS1_27merge_sort_block_merge_implIS3_PhN6thrust23THRUST_200600_302600_NS10device_ptrIlEEjNS1_19radix_merge_compareILb0ELb1EhNS0_19identity_decomposerEEEEE10hipError_tT0_T1_T2_jT3_P12ihipStream_tbPNSt15iterator_traitsISG_E10value_typeEPNSM_ISH_E10value_typeEPSI_NS1_7vsmem_tEENKUlT_SG_SH_SI_E_clIS7_S7_SB_PlEESF_SV_SG_SH_SI_EUlSV_E_NS1_11comp_targetILNS1_3genE8ELNS1_11target_archE1030ELNS1_3gpuE2ELNS1_3repE0EEENS1_48merge_mergepath_partition_config_static_selectorELNS0_4arch9wavefront6targetE1EEEvSH_.has_recursion, 0
	.set _ZN7rocprim17ROCPRIM_400000_NS6detail17trampoline_kernelINS0_14default_configENS1_38merge_sort_block_merge_config_selectorIhlEEZZNS1_27merge_sort_block_merge_implIS3_PhN6thrust23THRUST_200600_302600_NS10device_ptrIlEEjNS1_19radix_merge_compareILb0ELb1EhNS0_19identity_decomposerEEEEE10hipError_tT0_T1_T2_jT3_P12ihipStream_tbPNSt15iterator_traitsISG_E10value_typeEPNSM_ISH_E10value_typeEPSI_NS1_7vsmem_tEENKUlT_SG_SH_SI_E_clIS7_S7_SB_PlEESF_SV_SG_SH_SI_EUlSV_E_NS1_11comp_targetILNS1_3genE8ELNS1_11target_archE1030ELNS1_3gpuE2ELNS1_3repE0EEENS1_48merge_mergepath_partition_config_static_selectorELNS0_4arch9wavefront6targetE1EEEvSH_.has_indirect_call, 0
	.section	.AMDGPU.csdata,"",@progbits
; Kernel info:
; codeLenInByte = 0
; TotalNumSgprs: 4
; NumVgprs: 0
; ScratchSize: 0
; MemoryBound: 0
; FloatMode: 240
; IeeeMode: 1
; LDSByteSize: 0 bytes/workgroup (compile time only)
; SGPRBlocks: 0
; VGPRBlocks: 0
; NumSGPRsForWavesPerEU: 4
; NumVGPRsForWavesPerEU: 1
; Occupancy: 10
; WaveLimiterHint : 0
; COMPUTE_PGM_RSRC2:SCRATCH_EN: 0
; COMPUTE_PGM_RSRC2:USER_SGPR: 6
; COMPUTE_PGM_RSRC2:TRAP_HANDLER: 0
; COMPUTE_PGM_RSRC2:TGID_X_EN: 1
; COMPUTE_PGM_RSRC2:TGID_Y_EN: 0
; COMPUTE_PGM_RSRC2:TGID_Z_EN: 0
; COMPUTE_PGM_RSRC2:TIDIG_COMP_CNT: 0
	.section	.text._ZN7rocprim17ROCPRIM_400000_NS6detail17trampoline_kernelINS0_14default_configENS1_38merge_sort_block_merge_config_selectorIhlEEZZNS1_27merge_sort_block_merge_implIS3_PhN6thrust23THRUST_200600_302600_NS10device_ptrIlEEjNS1_19radix_merge_compareILb0ELb1EhNS0_19identity_decomposerEEEEE10hipError_tT0_T1_T2_jT3_P12ihipStream_tbPNSt15iterator_traitsISG_E10value_typeEPNSM_ISH_E10value_typeEPSI_NS1_7vsmem_tEENKUlT_SG_SH_SI_E_clIS7_S7_SB_PlEESF_SV_SG_SH_SI_EUlSV_E0_NS1_11comp_targetILNS1_3genE0ELNS1_11target_archE4294967295ELNS1_3gpuE0ELNS1_3repE0EEENS1_38merge_mergepath_config_static_selectorELNS0_4arch9wavefront6targetE1EEEvSH_,"axG",@progbits,_ZN7rocprim17ROCPRIM_400000_NS6detail17trampoline_kernelINS0_14default_configENS1_38merge_sort_block_merge_config_selectorIhlEEZZNS1_27merge_sort_block_merge_implIS3_PhN6thrust23THRUST_200600_302600_NS10device_ptrIlEEjNS1_19radix_merge_compareILb0ELb1EhNS0_19identity_decomposerEEEEE10hipError_tT0_T1_T2_jT3_P12ihipStream_tbPNSt15iterator_traitsISG_E10value_typeEPNSM_ISH_E10value_typeEPSI_NS1_7vsmem_tEENKUlT_SG_SH_SI_E_clIS7_S7_SB_PlEESF_SV_SG_SH_SI_EUlSV_E0_NS1_11comp_targetILNS1_3genE0ELNS1_11target_archE4294967295ELNS1_3gpuE0ELNS1_3repE0EEENS1_38merge_mergepath_config_static_selectorELNS0_4arch9wavefront6targetE1EEEvSH_,comdat
	.protected	_ZN7rocprim17ROCPRIM_400000_NS6detail17trampoline_kernelINS0_14default_configENS1_38merge_sort_block_merge_config_selectorIhlEEZZNS1_27merge_sort_block_merge_implIS3_PhN6thrust23THRUST_200600_302600_NS10device_ptrIlEEjNS1_19radix_merge_compareILb0ELb1EhNS0_19identity_decomposerEEEEE10hipError_tT0_T1_T2_jT3_P12ihipStream_tbPNSt15iterator_traitsISG_E10value_typeEPNSM_ISH_E10value_typeEPSI_NS1_7vsmem_tEENKUlT_SG_SH_SI_E_clIS7_S7_SB_PlEESF_SV_SG_SH_SI_EUlSV_E0_NS1_11comp_targetILNS1_3genE0ELNS1_11target_archE4294967295ELNS1_3gpuE0ELNS1_3repE0EEENS1_38merge_mergepath_config_static_selectorELNS0_4arch9wavefront6targetE1EEEvSH_ ; -- Begin function _ZN7rocprim17ROCPRIM_400000_NS6detail17trampoline_kernelINS0_14default_configENS1_38merge_sort_block_merge_config_selectorIhlEEZZNS1_27merge_sort_block_merge_implIS3_PhN6thrust23THRUST_200600_302600_NS10device_ptrIlEEjNS1_19radix_merge_compareILb0ELb1EhNS0_19identity_decomposerEEEEE10hipError_tT0_T1_T2_jT3_P12ihipStream_tbPNSt15iterator_traitsISG_E10value_typeEPNSM_ISH_E10value_typeEPSI_NS1_7vsmem_tEENKUlT_SG_SH_SI_E_clIS7_S7_SB_PlEESF_SV_SG_SH_SI_EUlSV_E0_NS1_11comp_targetILNS1_3genE0ELNS1_11target_archE4294967295ELNS1_3gpuE0ELNS1_3repE0EEENS1_38merge_mergepath_config_static_selectorELNS0_4arch9wavefront6targetE1EEEvSH_
	.globl	_ZN7rocprim17ROCPRIM_400000_NS6detail17trampoline_kernelINS0_14default_configENS1_38merge_sort_block_merge_config_selectorIhlEEZZNS1_27merge_sort_block_merge_implIS3_PhN6thrust23THRUST_200600_302600_NS10device_ptrIlEEjNS1_19radix_merge_compareILb0ELb1EhNS0_19identity_decomposerEEEEE10hipError_tT0_T1_T2_jT3_P12ihipStream_tbPNSt15iterator_traitsISG_E10value_typeEPNSM_ISH_E10value_typeEPSI_NS1_7vsmem_tEENKUlT_SG_SH_SI_E_clIS7_S7_SB_PlEESF_SV_SG_SH_SI_EUlSV_E0_NS1_11comp_targetILNS1_3genE0ELNS1_11target_archE4294967295ELNS1_3gpuE0ELNS1_3repE0EEENS1_38merge_mergepath_config_static_selectorELNS0_4arch9wavefront6targetE1EEEvSH_
	.p2align	8
	.type	_ZN7rocprim17ROCPRIM_400000_NS6detail17trampoline_kernelINS0_14default_configENS1_38merge_sort_block_merge_config_selectorIhlEEZZNS1_27merge_sort_block_merge_implIS3_PhN6thrust23THRUST_200600_302600_NS10device_ptrIlEEjNS1_19radix_merge_compareILb0ELb1EhNS0_19identity_decomposerEEEEE10hipError_tT0_T1_T2_jT3_P12ihipStream_tbPNSt15iterator_traitsISG_E10value_typeEPNSM_ISH_E10value_typeEPSI_NS1_7vsmem_tEENKUlT_SG_SH_SI_E_clIS7_S7_SB_PlEESF_SV_SG_SH_SI_EUlSV_E0_NS1_11comp_targetILNS1_3genE0ELNS1_11target_archE4294967295ELNS1_3gpuE0ELNS1_3repE0EEENS1_38merge_mergepath_config_static_selectorELNS0_4arch9wavefront6targetE1EEEvSH_,@function
_ZN7rocprim17ROCPRIM_400000_NS6detail17trampoline_kernelINS0_14default_configENS1_38merge_sort_block_merge_config_selectorIhlEEZZNS1_27merge_sort_block_merge_implIS3_PhN6thrust23THRUST_200600_302600_NS10device_ptrIlEEjNS1_19radix_merge_compareILb0ELb1EhNS0_19identity_decomposerEEEEE10hipError_tT0_T1_T2_jT3_P12ihipStream_tbPNSt15iterator_traitsISG_E10value_typeEPNSM_ISH_E10value_typeEPSI_NS1_7vsmem_tEENKUlT_SG_SH_SI_E_clIS7_S7_SB_PlEESF_SV_SG_SH_SI_EUlSV_E0_NS1_11comp_targetILNS1_3genE0ELNS1_11target_archE4294967295ELNS1_3gpuE0ELNS1_3repE0EEENS1_38merge_mergepath_config_static_selectorELNS0_4arch9wavefront6targetE1EEEvSH_: ; @_ZN7rocprim17ROCPRIM_400000_NS6detail17trampoline_kernelINS0_14default_configENS1_38merge_sort_block_merge_config_selectorIhlEEZZNS1_27merge_sort_block_merge_implIS3_PhN6thrust23THRUST_200600_302600_NS10device_ptrIlEEjNS1_19radix_merge_compareILb0ELb1EhNS0_19identity_decomposerEEEEE10hipError_tT0_T1_T2_jT3_P12ihipStream_tbPNSt15iterator_traitsISG_E10value_typeEPNSM_ISH_E10value_typeEPSI_NS1_7vsmem_tEENKUlT_SG_SH_SI_E_clIS7_S7_SB_PlEESF_SV_SG_SH_SI_EUlSV_E0_NS1_11comp_targetILNS1_3genE0ELNS1_11target_archE4294967295ELNS1_3gpuE0ELNS1_3repE0EEENS1_38merge_mergepath_config_static_selectorELNS0_4arch9wavefront6targetE1EEEvSH_
; %bb.0:
	.section	.rodata,"a",@progbits
	.p2align	6, 0x0
	.amdhsa_kernel _ZN7rocprim17ROCPRIM_400000_NS6detail17trampoline_kernelINS0_14default_configENS1_38merge_sort_block_merge_config_selectorIhlEEZZNS1_27merge_sort_block_merge_implIS3_PhN6thrust23THRUST_200600_302600_NS10device_ptrIlEEjNS1_19radix_merge_compareILb0ELb1EhNS0_19identity_decomposerEEEEE10hipError_tT0_T1_T2_jT3_P12ihipStream_tbPNSt15iterator_traitsISG_E10value_typeEPNSM_ISH_E10value_typeEPSI_NS1_7vsmem_tEENKUlT_SG_SH_SI_E_clIS7_S7_SB_PlEESF_SV_SG_SH_SI_EUlSV_E0_NS1_11comp_targetILNS1_3genE0ELNS1_11target_archE4294967295ELNS1_3gpuE0ELNS1_3repE0EEENS1_38merge_mergepath_config_static_selectorELNS0_4arch9wavefront6targetE1EEEvSH_
		.amdhsa_group_segment_fixed_size 0
		.amdhsa_private_segment_fixed_size 0
		.amdhsa_kernarg_size 64
		.amdhsa_user_sgpr_count 6
		.amdhsa_user_sgpr_private_segment_buffer 1
		.amdhsa_user_sgpr_dispatch_ptr 0
		.amdhsa_user_sgpr_queue_ptr 0
		.amdhsa_user_sgpr_kernarg_segment_ptr 1
		.amdhsa_user_sgpr_dispatch_id 0
		.amdhsa_user_sgpr_flat_scratch_init 0
		.amdhsa_user_sgpr_private_segment_size 0
		.amdhsa_uses_dynamic_stack 0
		.amdhsa_system_sgpr_private_segment_wavefront_offset 0
		.amdhsa_system_sgpr_workgroup_id_x 1
		.amdhsa_system_sgpr_workgroup_id_y 0
		.amdhsa_system_sgpr_workgroup_id_z 0
		.amdhsa_system_sgpr_workgroup_info 0
		.amdhsa_system_vgpr_workitem_id 0
		.amdhsa_next_free_vgpr 1
		.amdhsa_next_free_sgpr 0
		.amdhsa_reserve_vcc 0
		.amdhsa_reserve_flat_scratch 0
		.amdhsa_float_round_mode_32 0
		.amdhsa_float_round_mode_16_64 0
		.amdhsa_float_denorm_mode_32 3
		.amdhsa_float_denorm_mode_16_64 3
		.amdhsa_dx10_clamp 1
		.amdhsa_ieee_mode 1
		.amdhsa_fp16_overflow 0
		.amdhsa_exception_fp_ieee_invalid_op 0
		.amdhsa_exception_fp_denorm_src 0
		.amdhsa_exception_fp_ieee_div_zero 0
		.amdhsa_exception_fp_ieee_overflow 0
		.amdhsa_exception_fp_ieee_underflow 0
		.amdhsa_exception_fp_ieee_inexact 0
		.amdhsa_exception_int_div_zero 0
	.end_amdhsa_kernel
	.section	.text._ZN7rocprim17ROCPRIM_400000_NS6detail17trampoline_kernelINS0_14default_configENS1_38merge_sort_block_merge_config_selectorIhlEEZZNS1_27merge_sort_block_merge_implIS3_PhN6thrust23THRUST_200600_302600_NS10device_ptrIlEEjNS1_19radix_merge_compareILb0ELb1EhNS0_19identity_decomposerEEEEE10hipError_tT0_T1_T2_jT3_P12ihipStream_tbPNSt15iterator_traitsISG_E10value_typeEPNSM_ISH_E10value_typeEPSI_NS1_7vsmem_tEENKUlT_SG_SH_SI_E_clIS7_S7_SB_PlEESF_SV_SG_SH_SI_EUlSV_E0_NS1_11comp_targetILNS1_3genE0ELNS1_11target_archE4294967295ELNS1_3gpuE0ELNS1_3repE0EEENS1_38merge_mergepath_config_static_selectorELNS0_4arch9wavefront6targetE1EEEvSH_,"axG",@progbits,_ZN7rocprim17ROCPRIM_400000_NS6detail17trampoline_kernelINS0_14default_configENS1_38merge_sort_block_merge_config_selectorIhlEEZZNS1_27merge_sort_block_merge_implIS3_PhN6thrust23THRUST_200600_302600_NS10device_ptrIlEEjNS1_19radix_merge_compareILb0ELb1EhNS0_19identity_decomposerEEEEE10hipError_tT0_T1_T2_jT3_P12ihipStream_tbPNSt15iterator_traitsISG_E10value_typeEPNSM_ISH_E10value_typeEPSI_NS1_7vsmem_tEENKUlT_SG_SH_SI_E_clIS7_S7_SB_PlEESF_SV_SG_SH_SI_EUlSV_E0_NS1_11comp_targetILNS1_3genE0ELNS1_11target_archE4294967295ELNS1_3gpuE0ELNS1_3repE0EEENS1_38merge_mergepath_config_static_selectorELNS0_4arch9wavefront6targetE1EEEvSH_,comdat
.Lfunc_end221:
	.size	_ZN7rocprim17ROCPRIM_400000_NS6detail17trampoline_kernelINS0_14default_configENS1_38merge_sort_block_merge_config_selectorIhlEEZZNS1_27merge_sort_block_merge_implIS3_PhN6thrust23THRUST_200600_302600_NS10device_ptrIlEEjNS1_19radix_merge_compareILb0ELb1EhNS0_19identity_decomposerEEEEE10hipError_tT0_T1_T2_jT3_P12ihipStream_tbPNSt15iterator_traitsISG_E10value_typeEPNSM_ISH_E10value_typeEPSI_NS1_7vsmem_tEENKUlT_SG_SH_SI_E_clIS7_S7_SB_PlEESF_SV_SG_SH_SI_EUlSV_E0_NS1_11comp_targetILNS1_3genE0ELNS1_11target_archE4294967295ELNS1_3gpuE0ELNS1_3repE0EEENS1_38merge_mergepath_config_static_selectorELNS0_4arch9wavefront6targetE1EEEvSH_, .Lfunc_end221-_ZN7rocprim17ROCPRIM_400000_NS6detail17trampoline_kernelINS0_14default_configENS1_38merge_sort_block_merge_config_selectorIhlEEZZNS1_27merge_sort_block_merge_implIS3_PhN6thrust23THRUST_200600_302600_NS10device_ptrIlEEjNS1_19radix_merge_compareILb0ELb1EhNS0_19identity_decomposerEEEEE10hipError_tT0_T1_T2_jT3_P12ihipStream_tbPNSt15iterator_traitsISG_E10value_typeEPNSM_ISH_E10value_typeEPSI_NS1_7vsmem_tEENKUlT_SG_SH_SI_E_clIS7_S7_SB_PlEESF_SV_SG_SH_SI_EUlSV_E0_NS1_11comp_targetILNS1_3genE0ELNS1_11target_archE4294967295ELNS1_3gpuE0ELNS1_3repE0EEENS1_38merge_mergepath_config_static_selectorELNS0_4arch9wavefront6targetE1EEEvSH_
                                        ; -- End function
	.set _ZN7rocprim17ROCPRIM_400000_NS6detail17trampoline_kernelINS0_14default_configENS1_38merge_sort_block_merge_config_selectorIhlEEZZNS1_27merge_sort_block_merge_implIS3_PhN6thrust23THRUST_200600_302600_NS10device_ptrIlEEjNS1_19radix_merge_compareILb0ELb1EhNS0_19identity_decomposerEEEEE10hipError_tT0_T1_T2_jT3_P12ihipStream_tbPNSt15iterator_traitsISG_E10value_typeEPNSM_ISH_E10value_typeEPSI_NS1_7vsmem_tEENKUlT_SG_SH_SI_E_clIS7_S7_SB_PlEESF_SV_SG_SH_SI_EUlSV_E0_NS1_11comp_targetILNS1_3genE0ELNS1_11target_archE4294967295ELNS1_3gpuE0ELNS1_3repE0EEENS1_38merge_mergepath_config_static_selectorELNS0_4arch9wavefront6targetE1EEEvSH_.num_vgpr, 0
	.set _ZN7rocprim17ROCPRIM_400000_NS6detail17trampoline_kernelINS0_14default_configENS1_38merge_sort_block_merge_config_selectorIhlEEZZNS1_27merge_sort_block_merge_implIS3_PhN6thrust23THRUST_200600_302600_NS10device_ptrIlEEjNS1_19radix_merge_compareILb0ELb1EhNS0_19identity_decomposerEEEEE10hipError_tT0_T1_T2_jT3_P12ihipStream_tbPNSt15iterator_traitsISG_E10value_typeEPNSM_ISH_E10value_typeEPSI_NS1_7vsmem_tEENKUlT_SG_SH_SI_E_clIS7_S7_SB_PlEESF_SV_SG_SH_SI_EUlSV_E0_NS1_11comp_targetILNS1_3genE0ELNS1_11target_archE4294967295ELNS1_3gpuE0ELNS1_3repE0EEENS1_38merge_mergepath_config_static_selectorELNS0_4arch9wavefront6targetE1EEEvSH_.num_agpr, 0
	.set _ZN7rocprim17ROCPRIM_400000_NS6detail17trampoline_kernelINS0_14default_configENS1_38merge_sort_block_merge_config_selectorIhlEEZZNS1_27merge_sort_block_merge_implIS3_PhN6thrust23THRUST_200600_302600_NS10device_ptrIlEEjNS1_19radix_merge_compareILb0ELb1EhNS0_19identity_decomposerEEEEE10hipError_tT0_T1_T2_jT3_P12ihipStream_tbPNSt15iterator_traitsISG_E10value_typeEPNSM_ISH_E10value_typeEPSI_NS1_7vsmem_tEENKUlT_SG_SH_SI_E_clIS7_S7_SB_PlEESF_SV_SG_SH_SI_EUlSV_E0_NS1_11comp_targetILNS1_3genE0ELNS1_11target_archE4294967295ELNS1_3gpuE0ELNS1_3repE0EEENS1_38merge_mergepath_config_static_selectorELNS0_4arch9wavefront6targetE1EEEvSH_.numbered_sgpr, 0
	.set _ZN7rocprim17ROCPRIM_400000_NS6detail17trampoline_kernelINS0_14default_configENS1_38merge_sort_block_merge_config_selectorIhlEEZZNS1_27merge_sort_block_merge_implIS3_PhN6thrust23THRUST_200600_302600_NS10device_ptrIlEEjNS1_19radix_merge_compareILb0ELb1EhNS0_19identity_decomposerEEEEE10hipError_tT0_T1_T2_jT3_P12ihipStream_tbPNSt15iterator_traitsISG_E10value_typeEPNSM_ISH_E10value_typeEPSI_NS1_7vsmem_tEENKUlT_SG_SH_SI_E_clIS7_S7_SB_PlEESF_SV_SG_SH_SI_EUlSV_E0_NS1_11comp_targetILNS1_3genE0ELNS1_11target_archE4294967295ELNS1_3gpuE0ELNS1_3repE0EEENS1_38merge_mergepath_config_static_selectorELNS0_4arch9wavefront6targetE1EEEvSH_.num_named_barrier, 0
	.set _ZN7rocprim17ROCPRIM_400000_NS6detail17trampoline_kernelINS0_14default_configENS1_38merge_sort_block_merge_config_selectorIhlEEZZNS1_27merge_sort_block_merge_implIS3_PhN6thrust23THRUST_200600_302600_NS10device_ptrIlEEjNS1_19radix_merge_compareILb0ELb1EhNS0_19identity_decomposerEEEEE10hipError_tT0_T1_T2_jT3_P12ihipStream_tbPNSt15iterator_traitsISG_E10value_typeEPNSM_ISH_E10value_typeEPSI_NS1_7vsmem_tEENKUlT_SG_SH_SI_E_clIS7_S7_SB_PlEESF_SV_SG_SH_SI_EUlSV_E0_NS1_11comp_targetILNS1_3genE0ELNS1_11target_archE4294967295ELNS1_3gpuE0ELNS1_3repE0EEENS1_38merge_mergepath_config_static_selectorELNS0_4arch9wavefront6targetE1EEEvSH_.private_seg_size, 0
	.set _ZN7rocprim17ROCPRIM_400000_NS6detail17trampoline_kernelINS0_14default_configENS1_38merge_sort_block_merge_config_selectorIhlEEZZNS1_27merge_sort_block_merge_implIS3_PhN6thrust23THRUST_200600_302600_NS10device_ptrIlEEjNS1_19radix_merge_compareILb0ELb1EhNS0_19identity_decomposerEEEEE10hipError_tT0_T1_T2_jT3_P12ihipStream_tbPNSt15iterator_traitsISG_E10value_typeEPNSM_ISH_E10value_typeEPSI_NS1_7vsmem_tEENKUlT_SG_SH_SI_E_clIS7_S7_SB_PlEESF_SV_SG_SH_SI_EUlSV_E0_NS1_11comp_targetILNS1_3genE0ELNS1_11target_archE4294967295ELNS1_3gpuE0ELNS1_3repE0EEENS1_38merge_mergepath_config_static_selectorELNS0_4arch9wavefront6targetE1EEEvSH_.uses_vcc, 0
	.set _ZN7rocprim17ROCPRIM_400000_NS6detail17trampoline_kernelINS0_14default_configENS1_38merge_sort_block_merge_config_selectorIhlEEZZNS1_27merge_sort_block_merge_implIS3_PhN6thrust23THRUST_200600_302600_NS10device_ptrIlEEjNS1_19radix_merge_compareILb0ELb1EhNS0_19identity_decomposerEEEEE10hipError_tT0_T1_T2_jT3_P12ihipStream_tbPNSt15iterator_traitsISG_E10value_typeEPNSM_ISH_E10value_typeEPSI_NS1_7vsmem_tEENKUlT_SG_SH_SI_E_clIS7_S7_SB_PlEESF_SV_SG_SH_SI_EUlSV_E0_NS1_11comp_targetILNS1_3genE0ELNS1_11target_archE4294967295ELNS1_3gpuE0ELNS1_3repE0EEENS1_38merge_mergepath_config_static_selectorELNS0_4arch9wavefront6targetE1EEEvSH_.uses_flat_scratch, 0
	.set _ZN7rocprim17ROCPRIM_400000_NS6detail17trampoline_kernelINS0_14default_configENS1_38merge_sort_block_merge_config_selectorIhlEEZZNS1_27merge_sort_block_merge_implIS3_PhN6thrust23THRUST_200600_302600_NS10device_ptrIlEEjNS1_19radix_merge_compareILb0ELb1EhNS0_19identity_decomposerEEEEE10hipError_tT0_T1_T2_jT3_P12ihipStream_tbPNSt15iterator_traitsISG_E10value_typeEPNSM_ISH_E10value_typeEPSI_NS1_7vsmem_tEENKUlT_SG_SH_SI_E_clIS7_S7_SB_PlEESF_SV_SG_SH_SI_EUlSV_E0_NS1_11comp_targetILNS1_3genE0ELNS1_11target_archE4294967295ELNS1_3gpuE0ELNS1_3repE0EEENS1_38merge_mergepath_config_static_selectorELNS0_4arch9wavefront6targetE1EEEvSH_.has_dyn_sized_stack, 0
	.set _ZN7rocprim17ROCPRIM_400000_NS6detail17trampoline_kernelINS0_14default_configENS1_38merge_sort_block_merge_config_selectorIhlEEZZNS1_27merge_sort_block_merge_implIS3_PhN6thrust23THRUST_200600_302600_NS10device_ptrIlEEjNS1_19radix_merge_compareILb0ELb1EhNS0_19identity_decomposerEEEEE10hipError_tT0_T1_T2_jT3_P12ihipStream_tbPNSt15iterator_traitsISG_E10value_typeEPNSM_ISH_E10value_typeEPSI_NS1_7vsmem_tEENKUlT_SG_SH_SI_E_clIS7_S7_SB_PlEESF_SV_SG_SH_SI_EUlSV_E0_NS1_11comp_targetILNS1_3genE0ELNS1_11target_archE4294967295ELNS1_3gpuE0ELNS1_3repE0EEENS1_38merge_mergepath_config_static_selectorELNS0_4arch9wavefront6targetE1EEEvSH_.has_recursion, 0
	.set _ZN7rocprim17ROCPRIM_400000_NS6detail17trampoline_kernelINS0_14default_configENS1_38merge_sort_block_merge_config_selectorIhlEEZZNS1_27merge_sort_block_merge_implIS3_PhN6thrust23THRUST_200600_302600_NS10device_ptrIlEEjNS1_19radix_merge_compareILb0ELb1EhNS0_19identity_decomposerEEEEE10hipError_tT0_T1_T2_jT3_P12ihipStream_tbPNSt15iterator_traitsISG_E10value_typeEPNSM_ISH_E10value_typeEPSI_NS1_7vsmem_tEENKUlT_SG_SH_SI_E_clIS7_S7_SB_PlEESF_SV_SG_SH_SI_EUlSV_E0_NS1_11comp_targetILNS1_3genE0ELNS1_11target_archE4294967295ELNS1_3gpuE0ELNS1_3repE0EEENS1_38merge_mergepath_config_static_selectorELNS0_4arch9wavefront6targetE1EEEvSH_.has_indirect_call, 0
	.section	.AMDGPU.csdata,"",@progbits
; Kernel info:
; codeLenInByte = 0
; TotalNumSgprs: 4
; NumVgprs: 0
; ScratchSize: 0
; MemoryBound: 0
; FloatMode: 240
; IeeeMode: 1
; LDSByteSize: 0 bytes/workgroup (compile time only)
; SGPRBlocks: 0
; VGPRBlocks: 0
; NumSGPRsForWavesPerEU: 4
; NumVGPRsForWavesPerEU: 1
; Occupancy: 10
; WaveLimiterHint : 0
; COMPUTE_PGM_RSRC2:SCRATCH_EN: 0
; COMPUTE_PGM_RSRC2:USER_SGPR: 6
; COMPUTE_PGM_RSRC2:TRAP_HANDLER: 0
; COMPUTE_PGM_RSRC2:TGID_X_EN: 1
; COMPUTE_PGM_RSRC2:TGID_Y_EN: 0
; COMPUTE_PGM_RSRC2:TGID_Z_EN: 0
; COMPUTE_PGM_RSRC2:TIDIG_COMP_CNT: 0
	.section	.text._ZN7rocprim17ROCPRIM_400000_NS6detail17trampoline_kernelINS0_14default_configENS1_38merge_sort_block_merge_config_selectorIhlEEZZNS1_27merge_sort_block_merge_implIS3_PhN6thrust23THRUST_200600_302600_NS10device_ptrIlEEjNS1_19radix_merge_compareILb0ELb1EhNS0_19identity_decomposerEEEEE10hipError_tT0_T1_T2_jT3_P12ihipStream_tbPNSt15iterator_traitsISG_E10value_typeEPNSM_ISH_E10value_typeEPSI_NS1_7vsmem_tEENKUlT_SG_SH_SI_E_clIS7_S7_SB_PlEESF_SV_SG_SH_SI_EUlSV_E0_NS1_11comp_targetILNS1_3genE10ELNS1_11target_archE1201ELNS1_3gpuE5ELNS1_3repE0EEENS1_38merge_mergepath_config_static_selectorELNS0_4arch9wavefront6targetE1EEEvSH_,"axG",@progbits,_ZN7rocprim17ROCPRIM_400000_NS6detail17trampoline_kernelINS0_14default_configENS1_38merge_sort_block_merge_config_selectorIhlEEZZNS1_27merge_sort_block_merge_implIS3_PhN6thrust23THRUST_200600_302600_NS10device_ptrIlEEjNS1_19radix_merge_compareILb0ELb1EhNS0_19identity_decomposerEEEEE10hipError_tT0_T1_T2_jT3_P12ihipStream_tbPNSt15iterator_traitsISG_E10value_typeEPNSM_ISH_E10value_typeEPSI_NS1_7vsmem_tEENKUlT_SG_SH_SI_E_clIS7_S7_SB_PlEESF_SV_SG_SH_SI_EUlSV_E0_NS1_11comp_targetILNS1_3genE10ELNS1_11target_archE1201ELNS1_3gpuE5ELNS1_3repE0EEENS1_38merge_mergepath_config_static_selectorELNS0_4arch9wavefront6targetE1EEEvSH_,comdat
	.protected	_ZN7rocprim17ROCPRIM_400000_NS6detail17trampoline_kernelINS0_14default_configENS1_38merge_sort_block_merge_config_selectorIhlEEZZNS1_27merge_sort_block_merge_implIS3_PhN6thrust23THRUST_200600_302600_NS10device_ptrIlEEjNS1_19radix_merge_compareILb0ELb1EhNS0_19identity_decomposerEEEEE10hipError_tT0_T1_T2_jT3_P12ihipStream_tbPNSt15iterator_traitsISG_E10value_typeEPNSM_ISH_E10value_typeEPSI_NS1_7vsmem_tEENKUlT_SG_SH_SI_E_clIS7_S7_SB_PlEESF_SV_SG_SH_SI_EUlSV_E0_NS1_11comp_targetILNS1_3genE10ELNS1_11target_archE1201ELNS1_3gpuE5ELNS1_3repE0EEENS1_38merge_mergepath_config_static_selectorELNS0_4arch9wavefront6targetE1EEEvSH_ ; -- Begin function _ZN7rocprim17ROCPRIM_400000_NS6detail17trampoline_kernelINS0_14default_configENS1_38merge_sort_block_merge_config_selectorIhlEEZZNS1_27merge_sort_block_merge_implIS3_PhN6thrust23THRUST_200600_302600_NS10device_ptrIlEEjNS1_19radix_merge_compareILb0ELb1EhNS0_19identity_decomposerEEEEE10hipError_tT0_T1_T2_jT3_P12ihipStream_tbPNSt15iterator_traitsISG_E10value_typeEPNSM_ISH_E10value_typeEPSI_NS1_7vsmem_tEENKUlT_SG_SH_SI_E_clIS7_S7_SB_PlEESF_SV_SG_SH_SI_EUlSV_E0_NS1_11comp_targetILNS1_3genE10ELNS1_11target_archE1201ELNS1_3gpuE5ELNS1_3repE0EEENS1_38merge_mergepath_config_static_selectorELNS0_4arch9wavefront6targetE1EEEvSH_
	.globl	_ZN7rocprim17ROCPRIM_400000_NS6detail17trampoline_kernelINS0_14default_configENS1_38merge_sort_block_merge_config_selectorIhlEEZZNS1_27merge_sort_block_merge_implIS3_PhN6thrust23THRUST_200600_302600_NS10device_ptrIlEEjNS1_19radix_merge_compareILb0ELb1EhNS0_19identity_decomposerEEEEE10hipError_tT0_T1_T2_jT3_P12ihipStream_tbPNSt15iterator_traitsISG_E10value_typeEPNSM_ISH_E10value_typeEPSI_NS1_7vsmem_tEENKUlT_SG_SH_SI_E_clIS7_S7_SB_PlEESF_SV_SG_SH_SI_EUlSV_E0_NS1_11comp_targetILNS1_3genE10ELNS1_11target_archE1201ELNS1_3gpuE5ELNS1_3repE0EEENS1_38merge_mergepath_config_static_selectorELNS0_4arch9wavefront6targetE1EEEvSH_
	.p2align	8
	.type	_ZN7rocprim17ROCPRIM_400000_NS6detail17trampoline_kernelINS0_14default_configENS1_38merge_sort_block_merge_config_selectorIhlEEZZNS1_27merge_sort_block_merge_implIS3_PhN6thrust23THRUST_200600_302600_NS10device_ptrIlEEjNS1_19radix_merge_compareILb0ELb1EhNS0_19identity_decomposerEEEEE10hipError_tT0_T1_T2_jT3_P12ihipStream_tbPNSt15iterator_traitsISG_E10value_typeEPNSM_ISH_E10value_typeEPSI_NS1_7vsmem_tEENKUlT_SG_SH_SI_E_clIS7_S7_SB_PlEESF_SV_SG_SH_SI_EUlSV_E0_NS1_11comp_targetILNS1_3genE10ELNS1_11target_archE1201ELNS1_3gpuE5ELNS1_3repE0EEENS1_38merge_mergepath_config_static_selectorELNS0_4arch9wavefront6targetE1EEEvSH_,@function
_ZN7rocprim17ROCPRIM_400000_NS6detail17trampoline_kernelINS0_14default_configENS1_38merge_sort_block_merge_config_selectorIhlEEZZNS1_27merge_sort_block_merge_implIS3_PhN6thrust23THRUST_200600_302600_NS10device_ptrIlEEjNS1_19radix_merge_compareILb0ELb1EhNS0_19identity_decomposerEEEEE10hipError_tT0_T1_T2_jT3_P12ihipStream_tbPNSt15iterator_traitsISG_E10value_typeEPNSM_ISH_E10value_typeEPSI_NS1_7vsmem_tEENKUlT_SG_SH_SI_E_clIS7_S7_SB_PlEESF_SV_SG_SH_SI_EUlSV_E0_NS1_11comp_targetILNS1_3genE10ELNS1_11target_archE1201ELNS1_3gpuE5ELNS1_3repE0EEENS1_38merge_mergepath_config_static_selectorELNS0_4arch9wavefront6targetE1EEEvSH_: ; @_ZN7rocprim17ROCPRIM_400000_NS6detail17trampoline_kernelINS0_14default_configENS1_38merge_sort_block_merge_config_selectorIhlEEZZNS1_27merge_sort_block_merge_implIS3_PhN6thrust23THRUST_200600_302600_NS10device_ptrIlEEjNS1_19radix_merge_compareILb0ELb1EhNS0_19identity_decomposerEEEEE10hipError_tT0_T1_T2_jT3_P12ihipStream_tbPNSt15iterator_traitsISG_E10value_typeEPNSM_ISH_E10value_typeEPSI_NS1_7vsmem_tEENKUlT_SG_SH_SI_E_clIS7_S7_SB_PlEESF_SV_SG_SH_SI_EUlSV_E0_NS1_11comp_targetILNS1_3genE10ELNS1_11target_archE1201ELNS1_3gpuE5ELNS1_3repE0EEENS1_38merge_mergepath_config_static_selectorELNS0_4arch9wavefront6targetE1EEEvSH_
; %bb.0:
	.section	.rodata,"a",@progbits
	.p2align	6, 0x0
	.amdhsa_kernel _ZN7rocprim17ROCPRIM_400000_NS6detail17trampoline_kernelINS0_14default_configENS1_38merge_sort_block_merge_config_selectorIhlEEZZNS1_27merge_sort_block_merge_implIS3_PhN6thrust23THRUST_200600_302600_NS10device_ptrIlEEjNS1_19radix_merge_compareILb0ELb1EhNS0_19identity_decomposerEEEEE10hipError_tT0_T1_T2_jT3_P12ihipStream_tbPNSt15iterator_traitsISG_E10value_typeEPNSM_ISH_E10value_typeEPSI_NS1_7vsmem_tEENKUlT_SG_SH_SI_E_clIS7_S7_SB_PlEESF_SV_SG_SH_SI_EUlSV_E0_NS1_11comp_targetILNS1_3genE10ELNS1_11target_archE1201ELNS1_3gpuE5ELNS1_3repE0EEENS1_38merge_mergepath_config_static_selectorELNS0_4arch9wavefront6targetE1EEEvSH_
		.amdhsa_group_segment_fixed_size 0
		.amdhsa_private_segment_fixed_size 0
		.amdhsa_kernarg_size 64
		.amdhsa_user_sgpr_count 6
		.amdhsa_user_sgpr_private_segment_buffer 1
		.amdhsa_user_sgpr_dispatch_ptr 0
		.amdhsa_user_sgpr_queue_ptr 0
		.amdhsa_user_sgpr_kernarg_segment_ptr 1
		.amdhsa_user_sgpr_dispatch_id 0
		.amdhsa_user_sgpr_flat_scratch_init 0
		.amdhsa_user_sgpr_private_segment_size 0
		.amdhsa_uses_dynamic_stack 0
		.amdhsa_system_sgpr_private_segment_wavefront_offset 0
		.amdhsa_system_sgpr_workgroup_id_x 1
		.amdhsa_system_sgpr_workgroup_id_y 0
		.amdhsa_system_sgpr_workgroup_id_z 0
		.amdhsa_system_sgpr_workgroup_info 0
		.amdhsa_system_vgpr_workitem_id 0
		.amdhsa_next_free_vgpr 1
		.amdhsa_next_free_sgpr 0
		.amdhsa_reserve_vcc 0
		.amdhsa_reserve_flat_scratch 0
		.amdhsa_float_round_mode_32 0
		.amdhsa_float_round_mode_16_64 0
		.amdhsa_float_denorm_mode_32 3
		.amdhsa_float_denorm_mode_16_64 3
		.amdhsa_dx10_clamp 1
		.amdhsa_ieee_mode 1
		.amdhsa_fp16_overflow 0
		.amdhsa_exception_fp_ieee_invalid_op 0
		.amdhsa_exception_fp_denorm_src 0
		.amdhsa_exception_fp_ieee_div_zero 0
		.amdhsa_exception_fp_ieee_overflow 0
		.amdhsa_exception_fp_ieee_underflow 0
		.amdhsa_exception_fp_ieee_inexact 0
		.amdhsa_exception_int_div_zero 0
	.end_amdhsa_kernel
	.section	.text._ZN7rocprim17ROCPRIM_400000_NS6detail17trampoline_kernelINS0_14default_configENS1_38merge_sort_block_merge_config_selectorIhlEEZZNS1_27merge_sort_block_merge_implIS3_PhN6thrust23THRUST_200600_302600_NS10device_ptrIlEEjNS1_19radix_merge_compareILb0ELb1EhNS0_19identity_decomposerEEEEE10hipError_tT0_T1_T2_jT3_P12ihipStream_tbPNSt15iterator_traitsISG_E10value_typeEPNSM_ISH_E10value_typeEPSI_NS1_7vsmem_tEENKUlT_SG_SH_SI_E_clIS7_S7_SB_PlEESF_SV_SG_SH_SI_EUlSV_E0_NS1_11comp_targetILNS1_3genE10ELNS1_11target_archE1201ELNS1_3gpuE5ELNS1_3repE0EEENS1_38merge_mergepath_config_static_selectorELNS0_4arch9wavefront6targetE1EEEvSH_,"axG",@progbits,_ZN7rocprim17ROCPRIM_400000_NS6detail17trampoline_kernelINS0_14default_configENS1_38merge_sort_block_merge_config_selectorIhlEEZZNS1_27merge_sort_block_merge_implIS3_PhN6thrust23THRUST_200600_302600_NS10device_ptrIlEEjNS1_19radix_merge_compareILb0ELb1EhNS0_19identity_decomposerEEEEE10hipError_tT0_T1_T2_jT3_P12ihipStream_tbPNSt15iterator_traitsISG_E10value_typeEPNSM_ISH_E10value_typeEPSI_NS1_7vsmem_tEENKUlT_SG_SH_SI_E_clIS7_S7_SB_PlEESF_SV_SG_SH_SI_EUlSV_E0_NS1_11comp_targetILNS1_3genE10ELNS1_11target_archE1201ELNS1_3gpuE5ELNS1_3repE0EEENS1_38merge_mergepath_config_static_selectorELNS0_4arch9wavefront6targetE1EEEvSH_,comdat
.Lfunc_end222:
	.size	_ZN7rocprim17ROCPRIM_400000_NS6detail17trampoline_kernelINS0_14default_configENS1_38merge_sort_block_merge_config_selectorIhlEEZZNS1_27merge_sort_block_merge_implIS3_PhN6thrust23THRUST_200600_302600_NS10device_ptrIlEEjNS1_19radix_merge_compareILb0ELb1EhNS0_19identity_decomposerEEEEE10hipError_tT0_T1_T2_jT3_P12ihipStream_tbPNSt15iterator_traitsISG_E10value_typeEPNSM_ISH_E10value_typeEPSI_NS1_7vsmem_tEENKUlT_SG_SH_SI_E_clIS7_S7_SB_PlEESF_SV_SG_SH_SI_EUlSV_E0_NS1_11comp_targetILNS1_3genE10ELNS1_11target_archE1201ELNS1_3gpuE5ELNS1_3repE0EEENS1_38merge_mergepath_config_static_selectorELNS0_4arch9wavefront6targetE1EEEvSH_, .Lfunc_end222-_ZN7rocprim17ROCPRIM_400000_NS6detail17trampoline_kernelINS0_14default_configENS1_38merge_sort_block_merge_config_selectorIhlEEZZNS1_27merge_sort_block_merge_implIS3_PhN6thrust23THRUST_200600_302600_NS10device_ptrIlEEjNS1_19radix_merge_compareILb0ELb1EhNS0_19identity_decomposerEEEEE10hipError_tT0_T1_T2_jT3_P12ihipStream_tbPNSt15iterator_traitsISG_E10value_typeEPNSM_ISH_E10value_typeEPSI_NS1_7vsmem_tEENKUlT_SG_SH_SI_E_clIS7_S7_SB_PlEESF_SV_SG_SH_SI_EUlSV_E0_NS1_11comp_targetILNS1_3genE10ELNS1_11target_archE1201ELNS1_3gpuE5ELNS1_3repE0EEENS1_38merge_mergepath_config_static_selectorELNS0_4arch9wavefront6targetE1EEEvSH_
                                        ; -- End function
	.set _ZN7rocprim17ROCPRIM_400000_NS6detail17trampoline_kernelINS0_14default_configENS1_38merge_sort_block_merge_config_selectorIhlEEZZNS1_27merge_sort_block_merge_implIS3_PhN6thrust23THRUST_200600_302600_NS10device_ptrIlEEjNS1_19radix_merge_compareILb0ELb1EhNS0_19identity_decomposerEEEEE10hipError_tT0_T1_T2_jT3_P12ihipStream_tbPNSt15iterator_traitsISG_E10value_typeEPNSM_ISH_E10value_typeEPSI_NS1_7vsmem_tEENKUlT_SG_SH_SI_E_clIS7_S7_SB_PlEESF_SV_SG_SH_SI_EUlSV_E0_NS1_11comp_targetILNS1_3genE10ELNS1_11target_archE1201ELNS1_3gpuE5ELNS1_3repE0EEENS1_38merge_mergepath_config_static_selectorELNS0_4arch9wavefront6targetE1EEEvSH_.num_vgpr, 0
	.set _ZN7rocprim17ROCPRIM_400000_NS6detail17trampoline_kernelINS0_14default_configENS1_38merge_sort_block_merge_config_selectorIhlEEZZNS1_27merge_sort_block_merge_implIS3_PhN6thrust23THRUST_200600_302600_NS10device_ptrIlEEjNS1_19radix_merge_compareILb0ELb1EhNS0_19identity_decomposerEEEEE10hipError_tT0_T1_T2_jT3_P12ihipStream_tbPNSt15iterator_traitsISG_E10value_typeEPNSM_ISH_E10value_typeEPSI_NS1_7vsmem_tEENKUlT_SG_SH_SI_E_clIS7_S7_SB_PlEESF_SV_SG_SH_SI_EUlSV_E0_NS1_11comp_targetILNS1_3genE10ELNS1_11target_archE1201ELNS1_3gpuE5ELNS1_3repE0EEENS1_38merge_mergepath_config_static_selectorELNS0_4arch9wavefront6targetE1EEEvSH_.num_agpr, 0
	.set _ZN7rocprim17ROCPRIM_400000_NS6detail17trampoline_kernelINS0_14default_configENS1_38merge_sort_block_merge_config_selectorIhlEEZZNS1_27merge_sort_block_merge_implIS3_PhN6thrust23THRUST_200600_302600_NS10device_ptrIlEEjNS1_19radix_merge_compareILb0ELb1EhNS0_19identity_decomposerEEEEE10hipError_tT0_T1_T2_jT3_P12ihipStream_tbPNSt15iterator_traitsISG_E10value_typeEPNSM_ISH_E10value_typeEPSI_NS1_7vsmem_tEENKUlT_SG_SH_SI_E_clIS7_S7_SB_PlEESF_SV_SG_SH_SI_EUlSV_E0_NS1_11comp_targetILNS1_3genE10ELNS1_11target_archE1201ELNS1_3gpuE5ELNS1_3repE0EEENS1_38merge_mergepath_config_static_selectorELNS0_4arch9wavefront6targetE1EEEvSH_.numbered_sgpr, 0
	.set _ZN7rocprim17ROCPRIM_400000_NS6detail17trampoline_kernelINS0_14default_configENS1_38merge_sort_block_merge_config_selectorIhlEEZZNS1_27merge_sort_block_merge_implIS3_PhN6thrust23THRUST_200600_302600_NS10device_ptrIlEEjNS1_19radix_merge_compareILb0ELb1EhNS0_19identity_decomposerEEEEE10hipError_tT0_T1_T2_jT3_P12ihipStream_tbPNSt15iterator_traitsISG_E10value_typeEPNSM_ISH_E10value_typeEPSI_NS1_7vsmem_tEENKUlT_SG_SH_SI_E_clIS7_S7_SB_PlEESF_SV_SG_SH_SI_EUlSV_E0_NS1_11comp_targetILNS1_3genE10ELNS1_11target_archE1201ELNS1_3gpuE5ELNS1_3repE0EEENS1_38merge_mergepath_config_static_selectorELNS0_4arch9wavefront6targetE1EEEvSH_.num_named_barrier, 0
	.set _ZN7rocprim17ROCPRIM_400000_NS6detail17trampoline_kernelINS0_14default_configENS1_38merge_sort_block_merge_config_selectorIhlEEZZNS1_27merge_sort_block_merge_implIS3_PhN6thrust23THRUST_200600_302600_NS10device_ptrIlEEjNS1_19radix_merge_compareILb0ELb1EhNS0_19identity_decomposerEEEEE10hipError_tT0_T1_T2_jT3_P12ihipStream_tbPNSt15iterator_traitsISG_E10value_typeEPNSM_ISH_E10value_typeEPSI_NS1_7vsmem_tEENKUlT_SG_SH_SI_E_clIS7_S7_SB_PlEESF_SV_SG_SH_SI_EUlSV_E0_NS1_11comp_targetILNS1_3genE10ELNS1_11target_archE1201ELNS1_3gpuE5ELNS1_3repE0EEENS1_38merge_mergepath_config_static_selectorELNS0_4arch9wavefront6targetE1EEEvSH_.private_seg_size, 0
	.set _ZN7rocprim17ROCPRIM_400000_NS6detail17trampoline_kernelINS0_14default_configENS1_38merge_sort_block_merge_config_selectorIhlEEZZNS1_27merge_sort_block_merge_implIS3_PhN6thrust23THRUST_200600_302600_NS10device_ptrIlEEjNS1_19radix_merge_compareILb0ELb1EhNS0_19identity_decomposerEEEEE10hipError_tT0_T1_T2_jT3_P12ihipStream_tbPNSt15iterator_traitsISG_E10value_typeEPNSM_ISH_E10value_typeEPSI_NS1_7vsmem_tEENKUlT_SG_SH_SI_E_clIS7_S7_SB_PlEESF_SV_SG_SH_SI_EUlSV_E0_NS1_11comp_targetILNS1_3genE10ELNS1_11target_archE1201ELNS1_3gpuE5ELNS1_3repE0EEENS1_38merge_mergepath_config_static_selectorELNS0_4arch9wavefront6targetE1EEEvSH_.uses_vcc, 0
	.set _ZN7rocprim17ROCPRIM_400000_NS6detail17trampoline_kernelINS0_14default_configENS1_38merge_sort_block_merge_config_selectorIhlEEZZNS1_27merge_sort_block_merge_implIS3_PhN6thrust23THRUST_200600_302600_NS10device_ptrIlEEjNS1_19radix_merge_compareILb0ELb1EhNS0_19identity_decomposerEEEEE10hipError_tT0_T1_T2_jT3_P12ihipStream_tbPNSt15iterator_traitsISG_E10value_typeEPNSM_ISH_E10value_typeEPSI_NS1_7vsmem_tEENKUlT_SG_SH_SI_E_clIS7_S7_SB_PlEESF_SV_SG_SH_SI_EUlSV_E0_NS1_11comp_targetILNS1_3genE10ELNS1_11target_archE1201ELNS1_3gpuE5ELNS1_3repE0EEENS1_38merge_mergepath_config_static_selectorELNS0_4arch9wavefront6targetE1EEEvSH_.uses_flat_scratch, 0
	.set _ZN7rocprim17ROCPRIM_400000_NS6detail17trampoline_kernelINS0_14default_configENS1_38merge_sort_block_merge_config_selectorIhlEEZZNS1_27merge_sort_block_merge_implIS3_PhN6thrust23THRUST_200600_302600_NS10device_ptrIlEEjNS1_19radix_merge_compareILb0ELb1EhNS0_19identity_decomposerEEEEE10hipError_tT0_T1_T2_jT3_P12ihipStream_tbPNSt15iterator_traitsISG_E10value_typeEPNSM_ISH_E10value_typeEPSI_NS1_7vsmem_tEENKUlT_SG_SH_SI_E_clIS7_S7_SB_PlEESF_SV_SG_SH_SI_EUlSV_E0_NS1_11comp_targetILNS1_3genE10ELNS1_11target_archE1201ELNS1_3gpuE5ELNS1_3repE0EEENS1_38merge_mergepath_config_static_selectorELNS0_4arch9wavefront6targetE1EEEvSH_.has_dyn_sized_stack, 0
	.set _ZN7rocprim17ROCPRIM_400000_NS6detail17trampoline_kernelINS0_14default_configENS1_38merge_sort_block_merge_config_selectorIhlEEZZNS1_27merge_sort_block_merge_implIS3_PhN6thrust23THRUST_200600_302600_NS10device_ptrIlEEjNS1_19radix_merge_compareILb0ELb1EhNS0_19identity_decomposerEEEEE10hipError_tT0_T1_T2_jT3_P12ihipStream_tbPNSt15iterator_traitsISG_E10value_typeEPNSM_ISH_E10value_typeEPSI_NS1_7vsmem_tEENKUlT_SG_SH_SI_E_clIS7_S7_SB_PlEESF_SV_SG_SH_SI_EUlSV_E0_NS1_11comp_targetILNS1_3genE10ELNS1_11target_archE1201ELNS1_3gpuE5ELNS1_3repE0EEENS1_38merge_mergepath_config_static_selectorELNS0_4arch9wavefront6targetE1EEEvSH_.has_recursion, 0
	.set _ZN7rocprim17ROCPRIM_400000_NS6detail17trampoline_kernelINS0_14default_configENS1_38merge_sort_block_merge_config_selectorIhlEEZZNS1_27merge_sort_block_merge_implIS3_PhN6thrust23THRUST_200600_302600_NS10device_ptrIlEEjNS1_19radix_merge_compareILb0ELb1EhNS0_19identity_decomposerEEEEE10hipError_tT0_T1_T2_jT3_P12ihipStream_tbPNSt15iterator_traitsISG_E10value_typeEPNSM_ISH_E10value_typeEPSI_NS1_7vsmem_tEENKUlT_SG_SH_SI_E_clIS7_S7_SB_PlEESF_SV_SG_SH_SI_EUlSV_E0_NS1_11comp_targetILNS1_3genE10ELNS1_11target_archE1201ELNS1_3gpuE5ELNS1_3repE0EEENS1_38merge_mergepath_config_static_selectorELNS0_4arch9wavefront6targetE1EEEvSH_.has_indirect_call, 0
	.section	.AMDGPU.csdata,"",@progbits
; Kernel info:
; codeLenInByte = 0
; TotalNumSgprs: 4
; NumVgprs: 0
; ScratchSize: 0
; MemoryBound: 0
; FloatMode: 240
; IeeeMode: 1
; LDSByteSize: 0 bytes/workgroup (compile time only)
; SGPRBlocks: 0
; VGPRBlocks: 0
; NumSGPRsForWavesPerEU: 4
; NumVGPRsForWavesPerEU: 1
; Occupancy: 10
; WaveLimiterHint : 0
; COMPUTE_PGM_RSRC2:SCRATCH_EN: 0
; COMPUTE_PGM_RSRC2:USER_SGPR: 6
; COMPUTE_PGM_RSRC2:TRAP_HANDLER: 0
; COMPUTE_PGM_RSRC2:TGID_X_EN: 1
; COMPUTE_PGM_RSRC2:TGID_Y_EN: 0
; COMPUTE_PGM_RSRC2:TGID_Z_EN: 0
; COMPUTE_PGM_RSRC2:TIDIG_COMP_CNT: 0
	.section	.text._ZN7rocprim17ROCPRIM_400000_NS6detail17trampoline_kernelINS0_14default_configENS1_38merge_sort_block_merge_config_selectorIhlEEZZNS1_27merge_sort_block_merge_implIS3_PhN6thrust23THRUST_200600_302600_NS10device_ptrIlEEjNS1_19radix_merge_compareILb0ELb1EhNS0_19identity_decomposerEEEEE10hipError_tT0_T1_T2_jT3_P12ihipStream_tbPNSt15iterator_traitsISG_E10value_typeEPNSM_ISH_E10value_typeEPSI_NS1_7vsmem_tEENKUlT_SG_SH_SI_E_clIS7_S7_SB_PlEESF_SV_SG_SH_SI_EUlSV_E0_NS1_11comp_targetILNS1_3genE5ELNS1_11target_archE942ELNS1_3gpuE9ELNS1_3repE0EEENS1_38merge_mergepath_config_static_selectorELNS0_4arch9wavefront6targetE1EEEvSH_,"axG",@progbits,_ZN7rocprim17ROCPRIM_400000_NS6detail17trampoline_kernelINS0_14default_configENS1_38merge_sort_block_merge_config_selectorIhlEEZZNS1_27merge_sort_block_merge_implIS3_PhN6thrust23THRUST_200600_302600_NS10device_ptrIlEEjNS1_19radix_merge_compareILb0ELb1EhNS0_19identity_decomposerEEEEE10hipError_tT0_T1_T2_jT3_P12ihipStream_tbPNSt15iterator_traitsISG_E10value_typeEPNSM_ISH_E10value_typeEPSI_NS1_7vsmem_tEENKUlT_SG_SH_SI_E_clIS7_S7_SB_PlEESF_SV_SG_SH_SI_EUlSV_E0_NS1_11comp_targetILNS1_3genE5ELNS1_11target_archE942ELNS1_3gpuE9ELNS1_3repE0EEENS1_38merge_mergepath_config_static_selectorELNS0_4arch9wavefront6targetE1EEEvSH_,comdat
	.protected	_ZN7rocprim17ROCPRIM_400000_NS6detail17trampoline_kernelINS0_14default_configENS1_38merge_sort_block_merge_config_selectorIhlEEZZNS1_27merge_sort_block_merge_implIS3_PhN6thrust23THRUST_200600_302600_NS10device_ptrIlEEjNS1_19radix_merge_compareILb0ELb1EhNS0_19identity_decomposerEEEEE10hipError_tT0_T1_T2_jT3_P12ihipStream_tbPNSt15iterator_traitsISG_E10value_typeEPNSM_ISH_E10value_typeEPSI_NS1_7vsmem_tEENKUlT_SG_SH_SI_E_clIS7_S7_SB_PlEESF_SV_SG_SH_SI_EUlSV_E0_NS1_11comp_targetILNS1_3genE5ELNS1_11target_archE942ELNS1_3gpuE9ELNS1_3repE0EEENS1_38merge_mergepath_config_static_selectorELNS0_4arch9wavefront6targetE1EEEvSH_ ; -- Begin function _ZN7rocprim17ROCPRIM_400000_NS6detail17trampoline_kernelINS0_14default_configENS1_38merge_sort_block_merge_config_selectorIhlEEZZNS1_27merge_sort_block_merge_implIS3_PhN6thrust23THRUST_200600_302600_NS10device_ptrIlEEjNS1_19radix_merge_compareILb0ELb1EhNS0_19identity_decomposerEEEEE10hipError_tT0_T1_T2_jT3_P12ihipStream_tbPNSt15iterator_traitsISG_E10value_typeEPNSM_ISH_E10value_typeEPSI_NS1_7vsmem_tEENKUlT_SG_SH_SI_E_clIS7_S7_SB_PlEESF_SV_SG_SH_SI_EUlSV_E0_NS1_11comp_targetILNS1_3genE5ELNS1_11target_archE942ELNS1_3gpuE9ELNS1_3repE0EEENS1_38merge_mergepath_config_static_selectorELNS0_4arch9wavefront6targetE1EEEvSH_
	.globl	_ZN7rocprim17ROCPRIM_400000_NS6detail17trampoline_kernelINS0_14default_configENS1_38merge_sort_block_merge_config_selectorIhlEEZZNS1_27merge_sort_block_merge_implIS3_PhN6thrust23THRUST_200600_302600_NS10device_ptrIlEEjNS1_19radix_merge_compareILb0ELb1EhNS0_19identity_decomposerEEEEE10hipError_tT0_T1_T2_jT3_P12ihipStream_tbPNSt15iterator_traitsISG_E10value_typeEPNSM_ISH_E10value_typeEPSI_NS1_7vsmem_tEENKUlT_SG_SH_SI_E_clIS7_S7_SB_PlEESF_SV_SG_SH_SI_EUlSV_E0_NS1_11comp_targetILNS1_3genE5ELNS1_11target_archE942ELNS1_3gpuE9ELNS1_3repE0EEENS1_38merge_mergepath_config_static_selectorELNS0_4arch9wavefront6targetE1EEEvSH_
	.p2align	8
	.type	_ZN7rocprim17ROCPRIM_400000_NS6detail17trampoline_kernelINS0_14default_configENS1_38merge_sort_block_merge_config_selectorIhlEEZZNS1_27merge_sort_block_merge_implIS3_PhN6thrust23THRUST_200600_302600_NS10device_ptrIlEEjNS1_19radix_merge_compareILb0ELb1EhNS0_19identity_decomposerEEEEE10hipError_tT0_T1_T2_jT3_P12ihipStream_tbPNSt15iterator_traitsISG_E10value_typeEPNSM_ISH_E10value_typeEPSI_NS1_7vsmem_tEENKUlT_SG_SH_SI_E_clIS7_S7_SB_PlEESF_SV_SG_SH_SI_EUlSV_E0_NS1_11comp_targetILNS1_3genE5ELNS1_11target_archE942ELNS1_3gpuE9ELNS1_3repE0EEENS1_38merge_mergepath_config_static_selectorELNS0_4arch9wavefront6targetE1EEEvSH_,@function
_ZN7rocprim17ROCPRIM_400000_NS6detail17trampoline_kernelINS0_14default_configENS1_38merge_sort_block_merge_config_selectorIhlEEZZNS1_27merge_sort_block_merge_implIS3_PhN6thrust23THRUST_200600_302600_NS10device_ptrIlEEjNS1_19radix_merge_compareILb0ELb1EhNS0_19identity_decomposerEEEEE10hipError_tT0_T1_T2_jT3_P12ihipStream_tbPNSt15iterator_traitsISG_E10value_typeEPNSM_ISH_E10value_typeEPSI_NS1_7vsmem_tEENKUlT_SG_SH_SI_E_clIS7_S7_SB_PlEESF_SV_SG_SH_SI_EUlSV_E0_NS1_11comp_targetILNS1_3genE5ELNS1_11target_archE942ELNS1_3gpuE9ELNS1_3repE0EEENS1_38merge_mergepath_config_static_selectorELNS0_4arch9wavefront6targetE1EEEvSH_: ; @_ZN7rocprim17ROCPRIM_400000_NS6detail17trampoline_kernelINS0_14default_configENS1_38merge_sort_block_merge_config_selectorIhlEEZZNS1_27merge_sort_block_merge_implIS3_PhN6thrust23THRUST_200600_302600_NS10device_ptrIlEEjNS1_19radix_merge_compareILb0ELb1EhNS0_19identity_decomposerEEEEE10hipError_tT0_T1_T2_jT3_P12ihipStream_tbPNSt15iterator_traitsISG_E10value_typeEPNSM_ISH_E10value_typeEPSI_NS1_7vsmem_tEENKUlT_SG_SH_SI_E_clIS7_S7_SB_PlEESF_SV_SG_SH_SI_EUlSV_E0_NS1_11comp_targetILNS1_3genE5ELNS1_11target_archE942ELNS1_3gpuE9ELNS1_3repE0EEENS1_38merge_mergepath_config_static_selectorELNS0_4arch9wavefront6targetE1EEEvSH_
; %bb.0:
	.section	.rodata,"a",@progbits
	.p2align	6, 0x0
	.amdhsa_kernel _ZN7rocprim17ROCPRIM_400000_NS6detail17trampoline_kernelINS0_14default_configENS1_38merge_sort_block_merge_config_selectorIhlEEZZNS1_27merge_sort_block_merge_implIS3_PhN6thrust23THRUST_200600_302600_NS10device_ptrIlEEjNS1_19radix_merge_compareILb0ELb1EhNS0_19identity_decomposerEEEEE10hipError_tT0_T1_T2_jT3_P12ihipStream_tbPNSt15iterator_traitsISG_E10value_typeEPNSM_ISH_E10value_typeEPSI_NS1_7vsmem_tEENKUlT_SG_SH_SI_E_clIS7_S7_SB_PlEESF_SV_SG_SH_SI_EUlSV_E0_NS1_11comp_targetILNS1_3genE5ELNS1_11target_archE942ELNS1_3gpuE9ELNS1_3repE0EEENS1_38merge_mergepath_config_static_selectorELNS0_4arch9wavefront6targetE1EEEvSH_
		.amdhsa_group_segment_fixed_size 0
		.amdhsa_private_segment_fixed_size 0
		.amdhsa_kernarg_size 64
		.amdhsa_user_sgpr_count 6
		.amdhsa_user_sgpr_private_segment_buffer 1
		.amdhsa_user_sgpr_dispatch_ptr 0
		.amdhsa_user_sgpr_queue_ptr 0
		.amdhsa_user_sgpr_kernarg_segment_ptr 1
		.amdhsa_user_sgpr_dispatch_id 0
		.amdhsa_user_sgpr_flat_scratch_init 0
		.amdhsa_user_sgpr_private_segment_size 0
		.amdhsa_uses_dynamic_stack 0
		.amdhsa_system_sgpr_private_segment_wavefront_offset 0
		.amdhsa_system_sgpr_workgroup_id_x 1
		.amdhsa_system_sgpr_workgroup_id_y 0
		.amdhsa_system_sgpr_workgroup_id_z 0
		.amdhsa_system_sgpr_workgroup_info 0
		.amdhsa_system_vgpr_workitem_id 0
		.amdhsa_next_free_vgpr 1
		.amdhsa_next_free_sgpr 0
		.amdhsa_reserve_vcc 0
		.amdhsa_reserve_flat_scratch 0
		.amdhsa_float_round_mode_32 0
		.amdhsa_float_round_mode_16_64 0
		.amdhsa_float_denorm_mode_32 3
		.amdhsa_float_denorm_mode_16_64 3
		.amdhsa_dx10_clamp 1
		.amdhsa_ieee_mode 1
		.amdhsa_fp16_overflow 0
		.amdhsa_exception_fp_ieee_invalid_op 0
		.amdhsa_exception_fp_denorm_src 0
		.amdhsa_exception_fp_ieee_div_zero 0
		.amdhsa_exception_fp_ieee_overflow 0
		.amdhsa_exception_fp_ieee_underflow 0
		.amdhsa_exception_fp_ieee_inexact 0
		.amdhsa_exception_int_div_zero 0
	.end_amdhsa_kernel
	.section	.text._ZN7rocprim17ROCPRIM_400000_NS6detail17trampoline_kernelINS0_14default_configENS1_38merge_sort_block_merge_config_selectorIhlEEZZNS1_27merge_sort_block_merge_implIS3_PhN6thrust23THRUST_200600_302600_NS10device_ptrIlEEjNS1_19radix_merge_compareILb0ELb1EhNS0_19identity_decomposerEEEEE10hipError_tT0_T1_T2_jT3_P12ihipStream_tbPNSt15iterator_traitsISG_E10value_typeEPNSM_ISH_E10value_typeEPSI_NS1_7vsmem_tEENKUlT_SG_SH_SI_E_clIS7_S7_SB_PlEESF_SV_SG_SH_SI_EUlSV_E0_NS1_11comp_targetILNS1_3genE5ELNS1_11target_archE942ELNS1_3gpuE9ELNS1_3repE0EEENS1_38merge_mergepath_config_static_selectorELNS0_4arch9wavefront6targetE1EEEvSH_,"axG",@progbits,_ZN7rocprim17ROCPRIM_400000_NS6detail17trampoline_kernelINS0_14default_configENS1_38merge_sort_block_merge_config_selectorIhlEEZZNS1_27merge_sort_block_merge_implIS3_PhN6thrust23THRUST_200600_302600_NS10device_ptrIlEEjNS1_19radix_merge_compareILb0ELb1EhNS0_19identity_decomposerEEEEE10hipError_tT0_T1_T2_jT3_P12ihipStream_tbPNSt15iterator_traitsISG_E10value_typeEPNSM_ISH_E10value_typeEPSI_NS1_7vsmem_tEENKUlT_SG_SH_SI_E_clIS7_S7_SB_PlEESF_SV_SG_SH_SI_EUlSV_E0_NS1_11comp_targetILNS1_3genE5ELNS1_11target_archE942ELNS1_3gpuE9ELNS1_3repE0EEENS1_38merge_mergepath_config_static_selectorELNS0_4arch9wavefront6targetE1EEEvSH_,comdat
.Lfunc_end223:
	.size	_ZN7rocprim17ROCPRIM_400000_NS6detail17trampoline_kernelINS0_14default_configENS1_38merge_sort_block_merge_config_selectorIhlEEZZNS1_27merge_sort_block_merge_implIS3_PhN6thrust23THRUST_200600_302600_NS10device_ptrIlEEjNS1_19radix_merge_compareILb0ELb1EhNS0_19identity_decomposerEEEEE10hipError_tT0_T1_T2_jT3_P12ihipStream_tbPNSt15iterator_traitsISG_E10value_typeEPNSM_ISH_E10value_typeEPSI_NS1_7vsmem_tEENKUlT_SG_SH_SI_E_clIS7_S7_SB_PlEESF_SV_SG_SH_SI_EUlSV_E0_NS1_11comp_targetILNS1_3genE5ELNS1_11target_archE942ELNS1_3gpuE9ELNS1_3repE0EEENS1_38merge_mergepath_config_static_selectorELNS0_4arch9wavefront6targetE1EEEvSH_, .Lfunc_end223-_ZN7rocprim17ROCPRIM_400000_NS6detail17trampoline_kernelINS0_14default_configENS1_38merge_sort_block_merge_config_selectorIhlEEZZNS1_27merge_sort_block_merge_implIS3_PhN6thrust23THRUST_200600_302600_NS10device_ptrIlEEjNS1_19radix_merge_compareILb0ELb1EhNS0_19identity_decomposerEEEEE10hipError_tT0_T1_T2_jT3_P12ihipStream_tbPNSt15iterator_traitsISG_E10value_typeEPNSM_ISH_E10value_typeEPSI_NS1_7vsmem_tEENKUlT_SG_SH_SI_E_clIS7_S7_SB_PlEESF_SV_SG_SH_SI_EUlSV_E0_NS1_11comp_targetILNS1_3genE5ELNS1_11target_archE942ELNS1_3gpuE9ELNS1_3repE0EEENS1_38merge_mergepath_config_static_selectorELNS0_4arch9wavefront6targetE1EEEvSH_
                                        ; -- End function
	.set _ZN7rocprim17ROCPRIM_400000_NS6detail17trampoline_kernelINS0_14default_configENS1_38merge_sort_block_merge_config_selectorIhlEEZZNS1_27merge_sort_block_merge_implIS3_PhN6thrust23THRUST_200600_302600_NS10device_ptrIlEEjNS1_19radix_merge_compareILb0ELb1EhNS0_19identity_decomposerEEEEE10hipError_tT0_T1_T2_jT3_P12ihipStream_tbPNSt15iterator_traitsISG_E10value_typeEPNSM_ISH_E10value_typeEPSI_NS1_7vsmem_tEENKUlT_SG_SH_SI_E_clIS7_S7_SB_PlEESF_SV_SG_SH_SI_EUlSV_E0_NS1_11comp_targetILNS1_3genE5ELNS1_11target_archE942ELNS1_3gpuE9ELNS1_3repE0EEENS1_38merge_mergepath_config_static_selectorELNS0_4arch9wavefront6targetE1EEEvSH_.num_vgpr, 0
	.set _ZN7rocprim17ROCPRIM_400000_NS6detail17trampoline_kernelINS0_14default_configENS1_38merge_sort_block_merge_config_selectorIhlEEZZNS1_27merge_sort_block_merge_implIS3_PhN6thrust23THRUST_200600_302600_NS10device_ptrIlEEjNS1_19radix_merge_compareILb0ELb1EhNS0_19identity_decomposerEEEEE10hipError_tT0_T1_T2_jT3_P12ihipStream_tbPNSt15iterator_traitsISG_E10value_typeEPNSM_ISH_E10value_typeEPSI_NS1_7vsmem_tEENKUlT_SG_SH_SI_E_clIS7_S7_SB_PlEESF_SV_SG_SH_SI_EUlSV_E0_NS1_11comp_targetILNS1_3genE5ELNS1_11target_archE942ELNS1_3gpuE9ELNS1_3repE0EEENS1_38merge_mergepath_config_static_selectorELNS0_4arch9wavefront6targetE1EEEvSH_.num_agpr, 0
	.set _ZN7rocprim17ROCPRIM_400000_NS6detail17trampoline_kernelINS0_14default_configENS1_38merge_sort_block_merge_config_selectorIhlEEZZNS1_27merge_sort_block_merge_implIS3_PhN6thrust23THRUST_200600_302600_NS10device_ptrIlEEjNS1_19radix_merge_compareILb0ELb1EhNS0_19identity_decomposerEEEEE10hipError_tT0_T1_T2_jT3_P12ihipStream_tbPNSt15iterator_traitsISG_E10value_typeEPNSM_ISH_E10value_typeEPSI_NS1_7vsmem_tEENKUlT_SG_SH_SI_E_clIS7_S7_SB_PlEESF_SV_SG_SH_SI_EUlSV_E0_NS1_11comp_targetILNS1_3genE5ELNS1_11target_archE942ELNS1_3gpuE9ELNS1_3repE0EEENS1_38merge_mergepath_config_static_selectorELNS0_4arch9wavefront6targetE1EEEvSH_.numbered_sgpr, 0
	.set _ZN7rocprim17ROCPRIM_400000_NS6detail17trampoline_kernelINS0_14default_configENS1_38merge_sort_block_merge_config_selectorIhlEEZZNS1_27merge_sort_block_merge_implIS3_PhN6thrust23THRUST_200600_302600_NS10device_ptrIlEEjNS1_19radix_merge_compareILb0ELb1EhNS0_19identity_decomposerEEEEE10hipError_tT0_T1_T2_jT3_P12ihipStream_tbPNSt15iterator_traitsISG_E10value_typeEPNSM_ISH_E10value_typeEPSI_NS1_7vsmem_tEENKUlT_SG_SH_SI_E_clIS7_S7_SB_PlEESF_SV_SG_SH_SI_EUlSV_E0_NS1_11comp_targetILNS1_3genE5ELNS1_11target_archE942ELNS1_3gpuE9ELNS1_3repE0EEENS1_38merge_mergepath_config_static_selectorELNS0_4arch9wavefront6targetE1EEEvSH_.num_named_barrier, 0
	.set _ZN7rocprim17ROCPRIM_400000_NS6detail17trampoline_kernelINS0_14default_configENS1_38merge_sort_block_merge_config_selectorIhlEEZZNS1_27merge_sort_block_merge_implIS3_PhN6thrust23THRUST_200600_302600_NS10device_ptrIlEEjNS1_19radix_merge_compareILb0ELb1EhNS0_19identity_decomposerEEEEE10hipError_tT0_T1_T2_jT3_P12ihipStream_tbPNSt15iterator_traitsISG_E10value_typeEPNSM_ISH_E10value_typeEPSI_NS1_7vsmem_tEENKUlT_SG_SH_SI_E_clIS7_S7_SB_PlEESF_SV_SG_SH_SI_EUlSV_E0_NS1_11comp_targetILNS1_3genE5ELNS1_11target_archE942ELNS1_3gpuE9ELNS1_3repE0EEENS1_38merge_mergepath_config_static_selectorELNS0_4arch9wavefront6targetE1EEEvSH_.private_seg_size, 0
	.set _ZN7rocprim17ROCPRIM_400000_NS6detail17trampoline_kernelINS0_14default_configENS1_38merge_sort_block_merge_config_selectorIhlEEZZNS1_27merge_sort_block_merge_implIS3_PhN6thrust23THRUST_200600_302600_NS10device_ptrIlEEjNS1_19radix_merge_compareILb0ELb1EhNS0_19identity_decomposerEEEEE10hipError_tT0_T1_T2_jT3_P12ihipStream_tbPNSt15iterator_traitsISG_E10value_typeEPNSM_ISH_E10value_typeEPSI_NS1_7vsmem_tEENKUlT_SG_SH_SI_E_clIS7_S7_SB_PlEESF_SV_SG_SH_SI_EUlSV_E0_NS1_11comp_targetILNS1_3genE5ELNS1_11target_archE942ELNS1_3gpuE9ELNS1_3repE0EEENS1_38merge_mergepath_config_static_selectorELNS0_4arch9wavefront6targetE1EEEvSH_.uses_vcc, 0
	.set _ZN7rocprim17ROCPRIM_400000_NS6detail17trampoline_kernelINS0_14default_configENS1_38merge_sort_block_merge_config_selectorIhlEEZZNS1_27merge_sort_block_merge_implIS3_PhN6thrust23THRUST_200600_302600_NS10device_ptrIlEEjNS1_19radix_merge_compareILb0ELb1EhNS0_19identity_decomposerEEEEE10hipError_tT0_T1_T2_jT3_P12ihipStream_tbPNSt15iterator_traitsISG_E10value_typeEPNSM_ISH_E10value_typeEPSI_NS1_7vsmem_tEENKUlT_SG_SH_SI_E_clIS7_S7_SB_PlEESF_SV_SG_SH_SI_EUlSV_E0_NS1_11comp_targetILNS1_3genE5ELNS1_11target_archE942ELNS1_3gpuE9ELNS1_3repE0EEENS1_38merge_mergepath_config_static_selectorELNS0_4arch9wavefront6targetE1EEEvSH_.uses_flat_scratch, 0
	.set _ZN7rocprim17ROCPRIM_400000_NS6detail17trampoline_kernelINS0_14default_configENS1_38merge_sort_block_merge_config_selectorIhlEEZZNS1_27merge_sort_block_merge_implIS3_PhN6thrust23THRUST_200600_302600_NS10device_ptrIlEEjNS1_19radix_merge_compareILb0ELb1EhNS0_19identity_decomposerEEEEE10hipError_tT0_T1_T2_jT3_P12ihipStream_tbPNSt15iterator_traitsISG_E10value_typeEPNSM_ISH_E10value_typeEPSI_NS1_7vsmem_tEENKUlT_SG_SH_SI_E_clIS7_S7_SB_PlEESF_SV_SG_SH_SI_EUlSV_E0_NS1_11comp_targetILNS1_3genE5ELNS1_11target_archE942ELNS1_3gpuE9ELNS1_3repE0EEENS1_38merge_mergepath_config_static_selectorELNS0_4arch9wavefront6targetE1EEEvSH_.has_dyn_sized_stack, 0
	.set _ZN7rocprim17ROCPRIM_400000_NS6detail17trampoline_kernelINS0_14default_configENS1_38merge_sort_block_merge_config_selectorIhlEEZZNS1_27merge_sort_block_merge_implIS3_PhN6thrust23THRUST_200600_302600_NS10device_ptrIlEEjNS1_19radix_merge_compareILb0ELb1EhNS0_19identity_decomposerEEEEE10hipError_tT0_T1_T2_jT3_P12ihipStream_tbPNSt15iterator_traitsISG_E10value_typeEPNSM_ISH_E10value_typeEPSI_NS1_7vsmem_tEENKUlT_SG_SH_SI_E_clIS7_S7_SB_PlEESF_SV_SG_SH_SI_EUlSV_E0_NS1_11comp_targetILNS1_3genE5ELNS1_11target_archE942ELNS1_3gpuE9ELNS1_3repE0EEENS1_38merge_mergepath_config_static_selectorELNS0_4arch9wavefront6targetE1EEEvSH_.has_recursion, 0
	.set _ZN7rocprim17ROCPRIM_400000_NS6detail17trampoline_kernelINS0_14default_configENS1_38merge_sort_block_merge_config_selectorIhlEEZZNS1_27merge_sort_block_merge_implIS3_PhN6thrust23THRUST_200600_302600_NS10device_ptrIlEEjNS1_19radix_merge_compareILb0ELb1EhNS0_19identity_decomposerEEEEE10hipError_tT0_T1_T2_jT3_P12ihipStream_tbPNSt15iterator_traitsISG_E10value_typeEPNSM_ISH_E10value_typeEPSI_NS1_7vsmem_tEENKUlT_SG_SH_SI_E_clIS7_S7_SB_PlEESF_SV_SG_SH_SI_EUlSV_E0_NS1_11comp_targetILNS1_3genE5ELNS1_11target_archE942ELNS1_3gpuE9ELNS1_3repE0EEENS1_38merge_mergepath_config_static_selectorELNS0_4arch9wavefront6targetE1EEEvSH_.has_indirect_call, 0
	.section	.AMDGPU.csdata,"",@progbits
; Kernel info:
; codeLenInByte = 0
; TotalNumSgprs: 4
; NumVgprs: 0
; ScratchSize: 0
; MemoryBound: 0
; FloatMode: 240
; IeeeMode: 1
; LDSByteSize: 0 bytes/workgroup (compile time only)
; SGPRBlocks: 0
; VGPRBlocks: 0
; NumSGPRsForWavesPerEU: 4
; NumVGPRsForWavesPerEU: 1
; Occupancy: 10
; WaveLimiterHint : 0
; COMPUTE_PGM_RSRC2:SCRATCH_EN: 0
; COMPUTE_PGM_RSRC2:USER_SGPR: 6
; COMPUTE_PGM_RSRC2:TRAP_HANDLER: 0
; COMPUTE_PGM_RSRC2:TGID_X_EN: 1
; COMPUTE_PGM_RSRC2:TGID_Y_EN: 0
; COMPUTE_PGM_RSRC2:TGID_Z_EN: 0
; COMPUTE_PGM_RSRC2:TIDIG_COMP_CNT: 0
	.section	.text._ZN7rocprim17ROCPRIM_400000_NS6detail17trampoline_kernelINS0_14default_configENS1_38merge_sort_block_merge_config_selectorIhlEEZZNS1_27merge_sort_block_merge_implIS3_PhN6thrust23THRUST_200600_302600_NS10device_ptrIlEEjNS1_19radix_merge_compareILb0ELb1EhNS0_19identity_decomposerEEEEE10hipError_tT0_T1_T2_jT3_P12ihipStream_tbPNSt15iterator_traitsISG_E10value_typeEPNSM_ISH_E10value_typeEPSI_NS1_7vsmem_tEENKUlT_SG_SH_SI_E_clIS7_S7_SB_PlEESF_SV_SG_SH_SI_EUlSV_E0_NS1_11comp_targetILNS1_3genE4ELNS1_11target_archE910ELNS1_3gpuE8ELNS1_3repE0EEENS1_38merge_mergepath_config_static_selectorELNS0_4arch9wavefront6targetE1EEEvSH_,"axG",@progbits,_ZN7rocprim17ROCPRIM_400000_NS6detail17trampoline_kernelINS0_14default_configENS1_38merge_sort_block_merge_config_selectorIhlEEZZNS1_27merge_sort_block_merge_implIS3_PhN6thrust23THRUST_200600_302600_NS10device_ptrIlEEjNS1_19radix_merge_compareILb0ELb1EhNS0_19identity_decomposerEEEEE10hipError_tT0_T1_T2_jT3_P12ihipStream_tbPNSt15iterator_traitsISG_E10value_typeEPNSM_ISH_E10value_typeEPSI_NS1_7vsmem_tEENKUlT_SG_SH_SI_E_clIS7_S7_SB_PlEESF_SV_SG_SH_SI_EUlSV_E0_NS1_11comp_targetILNS1_3genE4ELNS1_11target_archE910ELNS1_3gpuE8ELNS1_3repE0EEENS1_38merge_mergepath_config_static_selectorELNS0_4arch9wavefront6targetE1EEEvSH_,comdat
	.protected	_ZN7rocprim17ROCPRIM_400000_NS6detail17trampoline_kernelINS0_14default_configENS1_38merge_sort_block_merge_config_selectorIhlEEZZNS1_27merge_sort_block_merge_implIS3_PhN6thrust23THRUST_200600_302600_NS10device_ptrIlEEjNS1_19radix_merge_compareILb0ELb1EhNS0_19identity_decomposerEEEEE10hipError_tT0_T1_T2_jT3_P12ihipStream_tbPNSt15iterator_traitsISG_E10value_typeEPNSM_ISH_E10value_typeEPSI_NS1_7vsmem_tEENKUlT_SG_SH_SI_E_clIS7_S7_SB_PlEESF_SV_SG_SH_SI_EUlSV_E0_NS1_11comp_targetILNS1_3genE4ELNS1_11target_archE910ELNS1_3gpuE8ELNS1_3repE0EEENS1_38merge_mergepath_config_static_selectorELNS0_4arch9wavefront6targetE1EEEvSH_ ; -- Begin function _ZN7rocprim17ROCPRIM_400000_NS6detail17trampoline_kernelINS0_14default_configENS1_38merge_sort_block_merge_config_selectorIhlEEZZNS1_27merge_sort_block_merge_implIS3_PhN6thrust23THRUST_200600_302600_NS10device_ptrIlEEjNS1_19radix_merge_compareILb0ELb1EhNS0_19identity_decomposerEEEEE10hipError_tT0_T1_T2_jT3_P12ihipStream_tbPNSt15iterator_traitsISG_E10value_typeEPNSM_ISH_E10value_typeEPSI_NS1_7vsmem_tEENKUlT_SG_SH_SI_E_clIS7_S7_SB_PlEESF_SV_SG_SH_SI_EUlSV_E0_NS1_11comp_targetILNS1_3genE4ELNS1_11target_archE910ELNS1_3gpuE8ELNS1_3repE0EEENS1_38merge_mergepath_config_static_selectorELNS0_4arch9wavefront6targetE1EEEvSH_
	.globl	_ZN7rocprim17ROCPRIM_400000_NS6detail17trampoline_kernelINS0_14default_configENS1_38merge_sort_block_merge_config_selectorIhlEEZZNS1_27merge_sort_block_merge_implIS3_PhN6thrust23THRUST_200600_302600_NS10device_ptrIlEEjNS1_19radix_merge_compareILb0ELb1EhNS0_19identity_decomposerEEEEE10hipError_tT0_T1_T2_jT3_P12ihipStream_tbPNSt15iterator_traitsISG_E10value_typeEPNSM_ISH_E10value_typeEPSI_NS1_7vsmem_tEENKUlT_SG_SH_SI_E_clIS7_S7_SB_PlEESF_SV_SG_SH_SI_EUlSV_E0_NS1_11comp_targetILNS1_3genE4ELNS1_11target_archE910ELNS1_3gpuE8ELNS1_3repE0EEENS1_38merge_mergepath_config_static_selectorELNS0_4arch9wavefront6targetE1EEEvSH_
	.p2align	8
	.type	_ZN7rocprim17ROCPRIM_400000_NS6detail17trampoline_kernelINS0_14default_configENS1_38merge_sort_block_merge_config_selectorIhlEEZZNS1_27merge_sort_block_merge_implIS3_PhN6thrust23THRUST_200600_302600_NS10device_ptrIlEEjNS1_19radix_merge_compareILb0ELb1EhNS0_19identity_decomposerEEEEE10hipError_tT0_T1_T2_jT3_P12ihipStream_tbPNSt15iterator_traitsISG_E10value_typeEPNSM_ISH_E10value_typeEPSI_NS1_7vsmem_tEENKUlT_SG_SH_SI_E_clIS7_S7_SB_PlEESF_SV_SG_SH_SI_EUlSV_E0_NS1_11comp_targetILNS1_3genE4ELNS1_11target_archE910ELNS1_3gpuE8ELNS1_3repE0EEENS1_38merge_mergepath_config_static_selectorELNS0_4arch9wavefront6targetE1EEEvSH_,@function
_ZN7rocprim17ROCPRIM_400000_NS6detail17trampoline_kernelINS0_14default_configENS1_38merge_sort_block_merge_config_selectorIhlEEZZNS1_27merge_sort_block_merge_implIS3_PhN6thrust23THRUST_200600_302600_NS10device_ptrIlEEjNS1_19radix_merge_compareILb0ELb1EhNS0_19identity_decomposerEEEEE10hipError_tT0_T1_T2_jT3_P12ihipStream_tbPNSt15iterator_traitsISG_E10value_typeEPNSM_ISH_E10value_typeEPSI_NS1_7vsmem_tEENKUlT_SG_SH_SI_E_clIS7_S7_SB_PlEESF_SV_SG_SH_SI_EUlSV_E0_NS1_11comp_targetILNS1_3genE4ELNS1_11target_archE910ELNS1_3gpuE8ELNS1_3repE0EEENS1_38merge_mergepath_config_static_selectorELNS0_4arch9wavefront6targetE1EEEvSH_: ; @_ZN7rocprim17ROCPRIM_400000_NS6detail17trampoline_kernelINS0_14default_configENS1_38merge_sort_block_merge_config_selectorIhlEEZZNS1_27merge_sort_block_merge_implIS3_PhN6thrust23THRUST_200600_302600_NS10device_ptrIlEEjNS1_19radix_merge_compareILb0ELb1EhNS0_19identity_decomposerEEEEE10hipError_tT0_T1_T2_jT3_P12ihipStream_tbPNSt15iterator_traitsISG_E10value_typeEPNSM_ISH_E10value_typeEPSI_NS1_7vsmem_tEENKUlT_SG_SH_SI_E_clIS7_S7_SB_PlEESF_SV_SG_SH_SI_EUlSV_E0_NS1_11comp_targetILNS1_3genE4ELNS1_11target_archE910ELNS1_3gpuE8ELNS1_3repE0EEENS1_38merge_mergepath_config_static_selectorELNS0_4arch9wavefront6targetE1EEEvSH_
; %bb.0:
	.section	.rodata,"a",@progbits
	.p2align	6, 0x0
	.amdhsa_kernel _ZN7rocprim17ROCPRIM_400000_NS6detail17trampoline_kernelINS0_14default_configENS1_38merge_sort_block_merge_config_selectorIhlEEZZNS1_27merge_sort_block_merge_implIS3_PhN6thrust23THRUST_200600_302600_NS10device_ptrIlEEjNS1_19radix_merge_compareILb0ELb1EhNS0_19identity_decomposerEEEEE10hipError_tT0_T1_T2_jT3_P12ihipStream_tbPNSt15iterator_traitsISG_E10value_typeEPNSM_ISH_E10value_typeEPSI_NS1_7vsmem_tEENKUlT_SG_SH_SI_E_clIS7_S7_SB_PlEESF_SV_SG_SH_SI_EUlSV_E0_NS1_11comp_targetILNS1_3genE4ELNS1_11target_archE910ELNS1_3gpuE8ELNS1_3repE0EEENS1_38merge_mergepath_config_static_selectorELNS0_4arch9wavefront6targetE1EEEvSH_
		.amdhsa_group_segment_fixed_size 0
		.amdhsa_private_segment_fixed_size 0
		.amdhsa_kernarg_size 64
		.amdhsa_user_sgpr_count 6
		.amdhsa_user_sgpr_private_segment_buffer 1
		.amdhsa_user_sgpr_dispatch_ptr 0
		.amdhsa_user_sgpr_queue_ptr 0
		.amdhsa_user_sgpr_kernarg_segment_ptr 1
		.amdhsa_user_sgpr_dispatch_id 0
		.amdhsa_user_sgpr_flat_scratch_init 0
		.amdhsa_user_sgpr_private_segment_size 0
		.amdhsa_uses_dynamic_stack 0
		.amdhsa_system_sgpr_private_segment_wavefront_offset 0
		.amdhsa_system_sgpr_workgroup_id_x 1
		.amdhsa_system_sgpr_workgroup_id_y 0
		.amdhsa_system_sgpr_workgroup_id_z 0
		.amdhsa_system_sgpr_workgroup_info 0
		.amdhsa_system_vgpr_workitem_id 0
		.amdhsa_next_free_vgpr 1
		.amdhsa_next_free_sgpr 0
		.amdhsa_reserve_vcc 0
		.amdhsa_reserve_flat_scratch 0
		.amdhsa_float_round_mode_32 0
		.amdhsa_float_round_mode_16_64 0
		.amdhsa_float_denorm_mode_32 3
		.amdhsa_float_denorm_mode_16_64 3
		.amdhsa_dx10_clamp 1
		.amdhsa_ieee_mode 1
		.amdhsa_fp16_overflow 0
		.amdhsa_exception_fp_ieee_invalid_op 0
		.amdhsa_exception_fp_denorm_src 0
		.amdhsa_exception_fp_ieee_div_zero 0
		.amdhsa_exception_fp_ieee_overflow 0
		.amdhsa_exception_fp_ieee_underflow 0
		.amdhsa_exception_fp_ieee_inexact 0
		.amdhsa_exception_int_div_zero 0
	.end_amdhsa_kernel
	.section	.text._ZN7rocprim17ROCPRIM_400000_NS6detail17trampoline_kernelINS0_14default_configENS1_38merge_sort_block_merge_config_selectorIhlEEZZNS1_27merge_sort_block_merge_implIS3_PhN6thrust23THRUST_200600_302600_NS10device_ptrIlEEjNS1_19radix_merge_compareILb0ELb1EhNS0_19identity_decomposerEEEEE10hipError_tT0_T1_T2_jT3_P12ihipStream_tbPNSt15iterator_traitsISG_E10value_typeEPNSM_ISH_E10value_typeEPSI_NS1_7vsmem_tEENKUlT_SG_SH_SI_E_clIS7_S7_SB_PlEESF_SV_SG_SH_SI_EUlSV_E0_NS1_11comp_targetILNS1_3genE4ELNS1_11target_archE910ELNS1_3gpuE8ELNS1_3repE0EEENS1_38merge_mergepath_config_static_selectorELNS0_4arch9wavefront6targetE1EEEvSH_,"axG",@progbits,_ZN7rocprim17ROCPRIM_400000_NS6detail17trampoline_kernelINS0_14default_configENS1_38merge_sort_block_merge_config_selectorIhlEEZZNS1_27merge_sort_block_merge_implIS3_PhN6thrust23THRUST_200600_302600_NS10device_ptrIlEEjNS1_19radix_merge_compareILb0ELb1EhNS0_19identity_decomposerEEEEE10hipError_tT0_T1_T2_jT3_P12ihipStream_tbPNSt15iterator_traitsISG_E10value_typeEPNSM_ISH_E10value_typeEPSI_NS1_7vsmem_tEENKUlT_SG_SH_SI_E_clIS7_S7_SB_PlEESF_SV_SG_SH_SI_EUlSV_E0_NS1_11comp_targetILNS1_3genE4ELNS1_11target_archE910ELNS1_3gpuE8ELNS1_3repE0EEENS1_38merge_mergepath_config_static_selectorELNS0_4arch9wavefront6targetE1EEEvSH_,comdat
.Lfunc_end224:
	.size	_ZN7rocprim17ROCPRIM_400000_NS6detail17trampoline_kernelINS0_14default_configENS1_38merge_sort_block_merge_config_selectorIhlEEZZNS1_27merge_sort_block_merge_implIS3_PhN6thrust23THRUST_200600_302600_NS10device_ptrIlEEjNS1_19radix_merge_compareILb0ELb1EhNS0_19identity_decomposerEEEEE10hipError_tT0_T1_T2_jT3_P12ihipStream_tbPNSt15iterator_traitsISG_E10value_typeEPNSM_ISH_E10value_typeEPSI_NS1_7vsmem_tEENKUlT_SG_SH_SI_E_clIS7_S7_SB_PlEESF_SV_SG_SH_SI_EUlSV_E0_NS1_11comp_targetILNS1_3genE4ELNS1_11target_archE910ELNS1_3gpuE8ELNS1_3repE0EEENS1_38merge_mergepath_config_static_selectorELNS0_4arch9wavefront6targetE1EEEvSH_, .Lfunc_end224-_ZN7rocprim17ROCPRIM_400000_NS6detail17trampoline_kernelINS0_14default_configENS1_38merge_sort_block_merge_config_selectorIhlEEZZNS1_27merge_sort_block_merge_implIS3_PhN6thrust23THRUST_200600_302600_NS10device_ptrIlEEjNS1_19radix_merge_compareILb0ELb1EhNS0_19identity_decomposerEEEEE10hipError_tT0_T1_T2_jT3_P12ihipStream_tbPNSt15iterator_traitsISG_E10value_typeEPNSM_ISH_E10value_typeEPSI_NS1_7vsmem_tEENKUlT_SG_SH_SI_E_clIS7_S7_SB_PlEESF_SV_SG_SH_SI_EUlSV_E0_NS1_11comp_targetILNS1_3genE4ELNS1_11target_archE910ELNS1_3gpuE8ELNS1_3repE0EEENS1_38merge_mergepath_config_static_selectorELNS0_4arch9wavefront6targetE1EEEvSH_
                                        ; -- End function
	.set _ZN7rocprim17ROCPRIM_400000_NS6detail17trampoline_kernelINS0_14default_configENS1_38merge_sort_block_merge_config_selectorIhlEEZZNS1_27merge_sort_block_merge_implIS3_PhN6thrust23THRUST_200600_302600_NS10device_ptrIlEEjNS1_19radix_merge_compareILb0ELb1EhNS0_19identity_decomposerEEEEE10hipError_tT0_T1_T2_jT3_P12ihipStream_tbPNSt15iterator_traitsISG_E10value_typeEPNSM_ISH_E10value_typeEPSI_NS1_7vsmem_tEENKUlT_SG_SH_SI_E_clIS7_S7_SB_PlEESF_SV_SG_SH_SI_EUlSV_E0_NS1_11comp_targetILNS1_3genE4ELNS1_11target_archE910ELNS1_3gpuE8ELNS1_3repE0EEENS1_38merge_mergepath_config_static_selectorELNS0_4arch9wavefront6targetE1EEEvSH_.num_vgpr, 0
	.set _ZN7rocprim17ROCPRIM_400000_NS6detail17trampoline_kernelINS0_14default_configENS1_38merge_sort_block_merge_config_selectorIhlEEZZNS1_27merge_sort_block_merge_implIS3_PhN6thrust23THRUST_200600_302600_NS10device_ptrIlEEjNS1_19radix_merge_compareILb0ELb1EhNS0_19identity_decomposerEEEEE10hipError_tT0_T1_T2_jT3_P12ihipStream_tbPNSt15iterator_traitsISG_E10value_typeEPNSM_ISH_E10value_typeEPSI_NS1_7vsmem_tEENKUlT_SG_SH_SI_E_clIS7_S7_SB_PlEESF_SV_SG_SH_SI_EUlSV_E0_NS1_11comp_targetILNS1_3genE4ELNS1_11target_archE910ELNS1_3gpuE8ELNS1_3repE0EEENS1_38merge_mergepath_config_static_selectorELNS0_4arch9wavefront6targetE1EEEvSH_.num_agpr, 0
	.set _ZN7rocprim17ROCPRIM_400000_NS6detail17trampoline_kernelINS0_14default_configENS1_38merge_sort_block_merge_config_selectorIhlEEZZNS1_27merge_sort_block_merge_implIS3_PhN6thrust23THRUST_200600_302600_NS10device_ptrIlEEjNS1_19radix_merge_compareILb0ELb1EhNS0_19identity_decomposerEEEEE10hipError_tT0_T1_T2_jT3_P12ihipStream_tbPNSt15iterator_traitsISG_E10value_typeEPNSM_ISH_E10value_typeEPSI_NS1_7vsmem_tEENKUlT_SG_SH_SI_E_clIS7_S7_SB_PlEESF_SV_SG_SH_SI_EUlSV_E0_NS1_11comp_targetILNS1_3genE4ELNS1_11target_archE910ELNS1_3gpuE8ELNS1_3repE0EEENS1_38merge_mergepath_config_static_selectorELNS0_4arch9wavefront6targetE1EEEvSH_.numbered_sgpr, 0
	.set _ZN7rocprim17ROCPRIM_400000_NS6detail17trampoline_kernelINS0_14default_configENS1_38merge_sort_block_merge_config_selectorIhlEEZZNS1_27merge_sort_block_merge_implIS3_PhN6thrust23THRUST_200600_302600_NS10device_ptrIlEEjNS1_19radix_merge_compareILb0ELb1EhNS0_19identity_decomposerEEEEE10hipError_tT0_T1_T2_jT3_P12ihipStream_tbPNSt15iterator_traitsISG_E10value_typeEPNSM_ISH_E10value_typeEPSI_NS1_7vsmem_tEENKUlT_SG_SH_SI_E_clIS7_S7_SB_PlEESF_SV_SG_SH_SI_EUlSV_E0_NS1_11comp_targetILNS1_3genE4ELNS1_11target_archE910ELNS1_3gpuE8ELNS1_3repE0EEENS1_38merge_mergepath_config_static_selectorELNS0_4arch9wavefront6targetE1EEEvSH_.num_named_barrier, 0
	.set _ZN7rocprim17ROCPRIM_400000_NS6detail17trampoline_kernelINS0_14default_configENS1_38merge_sort_block_merge_config_selectorIhlEEZZNS1_27merge_sort_block_merge_implIS3_PhN6thrust23THRUST_200600_302600_NS10device_ptrIlEEjNS1_19radix_merge_compareILb0ELb1EhNS0_19identity_decomposerEEEEE10hipError_tT0_T1_T2_jT3_P12ihipStream_tbPNSt15iterator_traitsISG_E10value_typeEPNSM_ISH_E10value_typeEPSI_NS1_7vsmem_tEENKUlT_SG_SH_SI_E_clIS7_S7_SB_PlEESF_SV_SG_SH_SI_EUlSV_E0_NS1_11comp_targetILNS1_3genE4ELNS1_11target_archE910ELNS1_3gpuE8ELNS1_3repE0EEENS1_38merge_mergepath_config_static_selectorELNS0_4arch9wavefront6targetE1EEEvSH_.private_seg_size, 0
	.set _ZN7rocprim17ROCPRIM_400000_NS6detail17trampoline_kernelINS0_14default_configENS1_38merge_sort_block_merge_config_selectorIhlEEZZNS1_27merge_sort_block_merge_implIS3_PhN6thrust23THRUST_200600_302600_NS10device_ptrIlEEjNS1_19radix_merge_compareILb0ELb1EhNS0_19identity_decomposerEEEEE10hipError_tT0_T1_T2_jT3_P12ihipStream_tbPNSt15iterator_traitsISG_E10value_typeEPNSM_ISH_E10value_typeEPSI_NS1_7vsmem_tEENKUlT_SG_SH_SI_E_clIS7_S7_SB_PlEESF_SV_SG_SH_SI_EUlSV_E0_NS1_11comp_targetILNS1_3genE4ELNS1_11target_archE910ELNS1_3gpuE8ELNS1_3repE0EEENS1_38merge_mergepath_config_static_selectorELNS0_4arch9wavefront6targetE1EEEvSH_.uses_vcc, 0
	.set _ZN7rocprim17ROCPRIM_400000_NS6detail17trampoline_kernelINS0_14default_configENS1_38merge_sort_block_merge_config_selectorIhlEEZZNS1_27merge_sort_block_merge_implIS3_PhN6thrust23THRUST_200600_302600_NS10device_ptrIlEEjNS1_19radix_merge_compareILb0ELb1EhNS0_19identity_decomposerEEEEE10hipError_tT0_T1_T2_jT3_P12ihipStream_tbPNSt15iterator_traitsISG_E10value_typeEPNSM_ISH_E10value_typeEPSI_NS1_7vsmem_tEENKUlT_SG_SH_SI_E_clIS7_S7_SB_PlEESF_SV_SG_SH_SI_EUlSV_E0_NS1_11comp_targetILNS1_3genE4ELNS1_11target_archE910ELNS1_3gpuE8ELNS1_3repE0EEENS1_38merge_mergepath_config_static_selectorELNS0_4arch9wavefront6targetE1EEEvSH_.uses_flat_scratch, 0
	.set _ZN7rocprim17ROCPRIM_400000_NS6detail17trampoline_kernelINS0_14default_configENS1_38merge_sort_block_merge_config_selectorIhlEEZZNS1_27merge_sort_block_merge_implIS3_PhN6thrust23THRUST_200600_302600_NS10device_ptrIlEEjNS1_19radix_merge_compareILb0ELb1EhNS0_19identity_decomposerEEEEE10hipError_tT0_T1_T2_jT3_P12ihipStream_tbPNSt15iterator_traitsISG_E10value_typeEPNSM_ISH_E10value_typeEPSI_NS1_7vsmem_tEENKUlT_SG_SH_SI_E_clIS7_S7_SB_PlEESF_SV_SG_SH_SI_EUlSV_E0_NS1_11comp_targetILNS1_3genE4ELNS1_11target_archE910ELNS1_3gpuE8ELNS1_3repE0EEENS1_38merge_mergepath_config_static_selectorELNS0_4arch9wavefront6targetE1EEEvSH_.has_dyn_sized_stack, 0
	.set _ZN7rocprim17ROCPRIM_400000_NS6detail17trampoline_kernelINS0_14default_configENS1_38merge_sort_block_merge_config_selectorIhlEEZZNS1_27merge_sort_block_merge_implIS3_PhN6thrust23THRUST_200600_302600_NS10device_ptrIlEEjNS1_19radix_merge_compareILb0ELb1EhNS0_19identity_decomposerEEEEE10hipError_tT0_T1_T2_jT3_P12ihipStream_tbPNSt15iterator_traitsISG_E10value_typeEPNSM_ISH_E10value_typeEPSI_NS1_7vsmem_tEENKUlT_SG_SH_SI_E_clIS7_S7_SB_PlEESF_SV_SG_SH_SI_EUlSV_E0_NS1_11comp_targetILNS1_3genE4ELNS1_11target_archE910ELNS1_3gpuE8ELNS1_3repE0EEENS1_38merge_mergepath_config_static_selectorELNS0_4arch9wavefront6targetE1EEEvSH_.has_recursion, 0
	.set _ZN7rocprim17ROCPRIM_400000_NS6detail17trampoline_kernelINS0_14default_configENS1_38merge_sort_block_merge_config_selectorIhlEEZZNS1_27merge_sort_block_merge_implIS3_PhN6thrust23THRUST_200600_302600_NS10device_ptrIlEEjNS1_19radix_merge_compareILb0ELb1EhNS0_19identity_decomposerEEEEE10hipError_tT0_T1_T2_jT3_P12ihipStream_tbPNSt15iterator_traitsISG_E10value_typeEPNSM_ISH_E10value_typeEPSI_NS1_7vsmem_tEENKUlT_SG_SH_SI_E_clIS7_S7_SB_PlEESF_SV_SG_SH_SI_EUlSV_E0_NS1_11comp_targetILNS1_3genE4ELNS1_11target_archE910ELNS1_3gpuE8ELNS1_3repE0EEENS1_38merge_mergepath_config_static_selectorELNS0_4arch9wavefront6targetE1EEEvSH_.has_indirect_call, 0
	.section	.AMDGPU.csdata,"",@progbits
; Kernel info:
; codeLenInByte = 0
; TotalNumSgprs: 4
; NumVgprs: 0
; ScratchSize: 0
; MemoryBound: 0
; FloatMode: 240
; IeeeMode: 1
; LDSByteSize: 0 bytes/workgroup (compile time only)
; SGPRBlocks: 0
; VGPRBlocks: 0
; NumSGPRsForWavesPerEU: 4
; NumVGPRsForWavesPerEU: 1
; Occupancy: 10
; WaveLimiterHint : 0
; COMPUTE_PGM_RSRC2:SCRATCH_EN: 0
; COMPUTE_PGM_RSRC2:USER_SGPR: 6
; COMPUTE_PGM_RSRC2:TRAP_HANDLER: 0
; COMPUTE_PGM_RSRC2:TGID_X_EN: 1
; COMPUTE_PGM_RSRC2:TGID_Y_EN: 0
; COMPUTE_PGM_RSRC2:TGID_Z_EN: 0
; COMPUTE_PGM_RSRC2:TIDIG_COMP_CNT: 0
	.section	.text._ZN7rocprim17ROCPRIM_400000_NS6detail17trampoline_kernelINS0_14default_configENS1_38merge_sort_block_merge_config_selectorIhlEEZZNS1_27merge_sort_block_merge_implIS3_PhN6thrust23THRUST_200600_302600_NS10device_ptrIlEEjNS1_19radix_merge_compareILb0ELb1EhNS0_19identity_decomposerEEEEE10hipError_tT0_T1_T2_jT3_P12ihipStream_tbPNSt15iterator_traitsISG_E10value_typeEPNSM_ISH_E10value_typeEPSI_NS1_7vsmem_tEENKUlT_SG_SH_SI_E_clIS7_S7_SB_PlEESF_SV_SG_SH_SI_EUlSV_E0_NS1_11comp_targetILNS1_3genE3ELNS1_11target_archE908ELNS1_3gpuE7ELNS1_3repE0EEENS1_38merge_mergepath_config_static_selectorELNS0_4arch9wavefront6targetE1EEEvSH_,"axG",@progbits,_ZN7rocprim17ROCPRIM_400000_NS6detail17trampoline_kernelINS0_14default_configENS1_38merge_sort_block_merge_config_selectorIhlEEZZNS1_27merge_sort_block_merge_implIS3_PhN6thrust23THRUST_200600_302600_NS10device_ptrIlEEjNS1_19radix_merge_compareILb0ELb1EhNS0_19identity_decomposerEEEEE10hipError_tT0_T1_T2_jT3_P12ihipStream_tbPNSt15iterator_traitsISG_E10value_typeEPNSM_ISH_E10value_typeEPSI_NS1_7vsmem_tEENKUlT_SG_SH_SI_E_clIS7_S7_SB_PlEESF_SV_SG_SH_SI_EUlSV_E0_NS1_11comp_targetILNS1_3genE3ELNS1_11target_archE908ELNS1_3gpuE7ELNS1_3repE0EEENS1_38merge_mergepath_config_static_selectorELNS0_4arch9wavefront6targetE1EEEvSH_,comdat
	.protected	_ZN7rocprim17ROCPRIM_400000_NS6detail17trampoline_kernelINS0_14default_configENS1_38merge_sort_block_merge_config_selectorIhlEEZZNS1_27merge_sort_block_merge_implIS3_PhN6thrust23THRUST_200600_302600_NS10device_ptrIlEEjNS1_19radix_merge_compareILb0ELb1EhNS0_19identity_decomposerEEEEE10hipError_tT0_T1_T2_jT3_P12ihipStream_tbPNSt15iterator_traitsISG_E10value_typeEPNSM_ISH_E10value_typeEPSI_NS1_7vsmem_tEENKUlT_SG_SH_SI_E_clIS7_S7_SB_PlEESF_SV_SG_SH_SI_EUlSV_E0_NS1_11comp_targetILNS1_3genE3ELNS1_11target_archE908ELNS1_3gpuE7ELNS1_3repE0EEENS1_38merge_mergepath_config_static_selectorELNS0_4arch9wavefront6targetE1EEEvSH_ ; -- Begin function _ZN7rocprim17ROCPRIM_400000_NS6detail17trampoline_kernelINS0_14default_configENS1_38merge_sort_block_merge_config_selectorIhlEEZZNS1_27merge_sort_block_merge_implIS3_PhN6thrust23THRUST_200600_302600_NS10device_ptrIlEEjNS1_19radix_merge_compareILb0ELb1EhNS0_19identity_decomposerEEEEE10hipError_tT0_T1_T2_jT3_P12ihipStream_tbPNSt15iterator_traitsISG_E10value_typeEPNSM_ISH_E10value_typeEPSI_NS1_7vsmem_tEENKUlT_SG_SH_SI_E_clIS7_S7_SB_PlEESF_SV_SG_SH_SI_EUlSV_E0_NS1_11comp_targetILNS1_3genE3ELNS1_11target_archE908ELNS1_3gpuE7ELNS1_3repE0EEENS1_38merge_mergepath_config_static_selectorELNS0_4arch9wavefront6targetE1EEEvSH_
	.globl	_ZN7rocprim17ROCPRIM_400000_NS6detail17trampoline_kernelINS0_14default_configENS1_38merge_sort_block_merge_config_selectorIhlEEZZNS1_27merge_sort_block_merge_implIS3_PhN6thrust23THRUST_200600_302600_NS10device_ptrIlEEjNS1_19radix_merge_compareILb0ELb1EhNS0_19identity_decomposerEEEEE10hipError_tT0_T1_T2_jT3_P12ihipStream_tbPNSt15iterator_traitsISG_E10value_typeEPNSM_ISH_E10value_typeEPSI_NS1_7vsmem_tEENKUlT_SG_SH_SI_E_clIS7_S7_SB_PlEESF_SV_SG_SH_SI_EUlSV_E0_NS1_11comp_targetILNS1_3genE3ELNS1_11target_archE908ELNS1_3gpuE7ELNS1_3repE0EEENS1_38merge_mergepath_config_static_selectorELNS0_4arch9wavefront6targetE1EEEvSH_
	.p2align	8
	.type	_ZN7rocprim17ROCPRIM_400000_NS6detail17trampoline_kernelINS0_14default_configENS1_38merge_sort_block_merge_config_selectorIhlEEZZNS1_27merge_sort_block_merge_implIS3_PhN6thrust23THRUST_200600_302600_NS10device_ptrIlEEjNS1_19radix_merge_compareILb0ELb1EhNS0_19identity_decomposerEEEEE10hipError_tT0_T1_T2_jT3_P12ihipStream_tbPNSt15iterator_traitsISG_E10value_typeEPNSM_ISH_E10value_typeEPSI_NS1_7vsmem_tEENKUlT_SG_SH_SI_E_clIS7_S7_SB_PlEESF_SV_SG_SH_SI_EUlSV_E0_NS1_11comp_targetILNS1_3genE3ELNS1_11target_archE908ELNS1_3gpuE7ELNS1_3repE0EEENS1_38merge_mergepath_config_static_selectorELNS0_4arch9wavefront6targetE1EEEvSH_,@function
_ZN7rocprim17ROCPRIM_400000_NS6detail17trampoline_kernelINS0_14default_configENS1_38merge_sort_block_merge_config_selectorIhlEEZZNS1_27merge_sort_block_merge_implIS3_PhN6thrust23THRUST_200600_302600_NS10device_ptrIlEEjNS1_19radix_merge_compareILb0ELb1EhNS0_19identity_decomposerEEEEE10hipError_tT0_T1_T2_jT3_P12ihipStream_tbPNSt15iterator_traitsISG_E10value_typeEPNSM_ISH_E10value_typeEPSI_NS1_7vsmem_tEENKUlT_SG_SH_SI_E_clIS7_S7_SB_PlEESF_SV_SG_SH_SI_EUlSV_E0_NS1_11comp_targetILNS1_3genE3ELNS1_11target_archE908ELNS1_3gpuE7ELNS1_3repE0EEENS1_38merge_mergepath_config_static_selectorELNS0_4arch9wavefront6targetE1EEEvSH_: ; @_ZN7rocprim17ROCPRIM_400000_NS6detail17trampoline_kernelINS0_14default_configENS1_38merge_sort_block_merge_config_selectorIhlEEZZNS1_27merge_sort_block_merge_implIS3_PhN6thrust23THRUST_200600_302600_NS10device_ptrIlEEjNS1_19radix_merge_compareILb0ELb1EhNS0_19identity_decomposerEEEEE10hipError_tT0_T1_T2_jT3_P12ihipStream_tbPNSt15iterator_traitsISG_E10value_typeEPNSM_ISH_E10value_typeEPSI_NS1_7vsmem_tEENKUlT_SG_SH_SI_E_clIS7_S7_SB_PlEESF_SV_SG_SH_SI_EUlSV_E0_NS1_11comp_targetILNS1_3genE3ELNS1_11target_archE908ELNS1_3gpuE7ELNS1_3repE0EEENS1_38merge_mergepath_config_static_selectorELNS0_4arch9wavefront6targetE1EEEvSH_
; %bb.0:
	.section	.rodata,"a",@progbits
	.p2align	6, 0x0
	.amdhsa_kernel _ZN7rocprim17ROCPRIM_400000_NS6detail17trampoline_kernelINS0_14default_configENS1_38merge_sort_block_merge_config_selectorIhlEEZZNS1_27merge_sort_block_merge_implIS3_PhN6thrust23THRUST_200600_302600_NS10device_ptrIlEEjNS1_19radix_merge_compareILb0ELb1EhNS0_19identity_decomposerEEEEE10hipError_tT0_T1_T2_jT3_P12ihipStream_tbPNSt15iterator_traitsISG_E10value_typeEPNSM_ISH_E10value_typeEPSI_NS1_7vsmem_tEENKUlT_SG_SH_SI_E_clIS7_S7_SB_PlEESF_SV_SG_SH_SI_EUlSV_E0_NS1_11comp_targetILNS1_3genE3ELNS1_11target_archE908ELNS1_3gpuE7ELNS1_3repE0EEENS1_38merge_mergepath_config_static_selectorELNS0_4arch9wavefront6targetE1EEEvSH_
		.amdhsa_group_segment_fixed_size 0
		.amdhsa_private_segment_fixed_size 0
		.amdhsa_kernarg_size 64
		.amdhsa_user_sgpr_count 6
		.amdhsa_user_sgpr_private_segment_buffer 1
		.amdhsa_user_sgpr_dispatch_ptr 0
		.amdhsa_user_sgpr_queue_ptr 0
		.amdhsa_user_sgpr_kernarg_segment_ptr 1
		.amdhsa_user_sgpr_dispatch_id 0
		.amdhsa_user_sgpr_flat_scratch_init 0
		.amdhsa_user_sgpr_private_segment_size 0
		.amdhsa_uses_dynamic_stack 0
		.amdhsa_system_sgpr_private_segment_wavefront_offset 0
		.amdhsa_system_sgpr_workgroup_id_x 1
		.amdhsa_system_sgpr_workgroup_id_y 0
		.amdhsa_system_sgpr_workgroup_id_z 0
		.amdhsa_system_sgpr_workgroup_info 0
		.amdhsa_system_vgpr_workitem_id 0
		.amdhsa_next_free_vgpr 1
		.amdhsa_next_free_sgpr 0
		.amdhsa_reserve_vcc 0
		.amdhsa_reserve_flat_scratch 0
		.amdhsa_float_round_mode_32 0
		.amdhsa_float_round_mode_16_64 0
		.amdhsa_float_denorm_mode_32 3
		.amdhsa_float_denorm_mode_16_64 3
		.amdhsa_dx10_clamp 1
		.amdhsa_ieee_mode 1
		.amdhsa_fp16_overflow 0
		.amdhsa_exception_fp_ieee_invalid_op 0
		.amdhsa_exception_fp_denorm_src 0
		.amdhsa_exception_fp_ieee_div_zero 0
		.amdhsa_exception_fp_ieee_overflow 0
		.amdhsa_exception_fp_ieee_underflow 0
		.amdhsa_exception_fp_ieee_inexact 0
		.amdhsa_exception_int_div_zero 0
	.end_amdhsa_kernel
	.section	.text._ZN7rocprim17ROCPRIM_400000_NS6detail17trampoline_kernelINS0_14default_configENS1_38merge_sort_block_merge_config_selectorIhlEEZZNS1_27merge_sort_block_merge_implIS3_PhN6thrust23THRUST_200600_302600_NS10device_ptrIlEEjNS1_19radix_merge_compareILb0ELb1EhNS0_19identity_decomposerEEEEE10hipError_tT0_T1_T2_jT3_P12ihipStream_tbPNSt15iterator_traitsISG_E10value_typeEPNSM_ISH_E10value_typeEPSI_NS1_7vsmem_tEENKUlT_SG_SH_SI_E_clIS7_S7_SB_PlEESF_SV_SG_SH_SI_EUlSV_E0_NS1_11comp_targetILNS1_3genE3ELNS1_11target_archE908ELNS1_3gpuE7ELNS1_3repE0EEENS1_38merge_mergepath_config_static_selectorELNS0_4arch9wavefront6targetE1EEEvSH_,"axG",@progbits,_ZN7rocprim17ROCPRIM_400000_NS6detail17trampoline_kernelINS0_14default_configENS1_38merge_sort_block_merge_config_selectorIhlEEZZNS1_27merge_sort_block_merge_implIS3_PhN6thrust23THRUST_200600_302600_NS10device_ptrIlEEjNS1_19radix_merge_compareILb0ELb1EhNS0_19identity_decomposerEEEEE10hipError_tT0_T1_T2_jT3_P12ihipStream_tbPNSt15iterator_traitsISG_E10value_typeEPNSM_ISH_E10value_typeEPSI_NS1_7vsmem_tEENKUlT_SG_SH_SI_E_clIS7_S7_SB_PlEESF_SV_SG_SH_SI_EUlSV_E0_NS1_11comp_targetILNS1_3genE3ELNS1_11target_archE908ELNS1_3gpuE7ELNS1_3repE0EEENS1_38merge_mergepath_config_static_selectorELNS0_4arch9wavefront6targetE1EEEvSH_,comdat
.Lfunc_end225:
	.size	_ZN7rocprim17ROCPRIM_400000_NS6detail17trampoline_kernelINS0_14default_configENS1_38merge_sort_block_merge_config_selectorIhlEEZZNS1_27merge_sort_block_merge_implIS3_PhN6thrust23THRUST_200600_302600_NS10device_ptrIlEEjNS1_19radix_merge_compareILb0ELb1EhNS0_19identity_decomposerEEEEE10hipError_tT0_T1_T2_jT3_P12ihipStream_tbPNSt15iterator_traitsISG_E10value_typeEPNSM_ISH_E10value_typeEPSI_NS1_7vsmem_tEENKUlT_SG_SH_SI_E_clIS7_S7_SB_PlEESF_SV_SG_SH_SI_EUlSV_E0_NS1_11comp_targetILNS1_3genE3ELNS1_11target_archE908ELNS1_3gpuE7ELNS1_3repE0EEENS1_38merge_mergepath_config_static_selectorELNS0_4arch9wavefront6targetE1EEEvSH_, .Lfunc_end225-_ZN7rocprim17ROCPRIM_400000_NS6detail17trampoline_kernelINS0_14default_configENS1_38merge_sort_block_merge_config_selectorIhlEEZZNS1_27merge_sort_block_merge_implIS3_PhN6thrust23THRUST_200600_302600_NS10device_ptrIlEEjNS1_19radix_merge_compareILb0ELb1EhNS0_19identity_decomposerEEEEE10hipError_tT0_T1_T2_jT3_P12ihipStream_tbPNSt15iterator_traitsISG_E10value_typeEPNSM_ISH_E10value_typeEPSI_NS1_7vsmem_tEENKUlT_SG_SH_SI_E_clIS7_S7_SB_PlEESF_SV_SG_SH_SI_EUlSV_E0_NS1_11comp_targetILNS1_3genE3ELNS1_11target_archE908ELNS1_3gpuE7ELNS1_3repE0EEENS1_38merge_mergepath_config_static_selectorELNS0_4arch9wavefront6targetE1EEEvSH_
                                        ; -- End function
	.set _ZN7rocprim17ROCPRIM_400000_NS6detail17trampoline_kernelINS0_14default_configENS1_38merge_sort_block_merge_config_selectorIhlEEZZNS1_27merge_sort_block_merge_implIS3_PhN6thrust23THRUST_200600_302600_NS10device_ptrIlEEjNS1_19radix_merge_compareILb0ELb1EhNS0_19identity_decomposerEEEEE10hipError_tT0_T1_T2_jT3_P12ihipStream_tbPNSt15iterator_traitsISG_E10value_typeEPNSM_ISH_E10value_typeEPSI_NS1_7vsmem_tEENKUlT_SG_SH_SI_E_clIS7_S7_SB_PlEESF_SV_SG_SH_SI_EUlSV_E0_NS1_11comp_targetILNS1_3genE3ELNS1_11target_archE908ELNS1_3gpuE7ELNS1_3repE0EEENS1_38merge_mergepath_config_static_selectorELNS0_4arch9wavefront6targetE1EEEvSH_.num_vgpr, 0
	.set _ZN7rocprim17ROCPRIM_400000_NS6detail17trampoline_kernelINS0_14default_configENS1_38merge_sort_block_merge_config_selectorIhlEEZZNS1_27merge_sort_block_merge_implIS3_PhN6thrust23THRUST_200600_302600_NS10device_ptrIlEEjNS1_19radix_merge_compareILb0ELb1EhNS0_19identity_decomposerEEEEE10hipError_tT0_T1_T2_jT3_P12ihipStream_tbPNSt15iterator_traitsISG_E10value_typeEPNSM_ISH_E10value_typeEPSI_NS1_7vsmem_tEENKUlT_SG_SH_SI_E_clIS7_S7_SB_PlEESF_SV_SG_SH_SI_EUlSV_E0_NS1_11comp_targetILNS1_3genE3ELNS1_11target_archE908ELNS1_3gpuE7ELNS1_3repE0EEENS1_38merge_mergepath_config_static_selectorELNS0_4arch9wavefront6targetE1EEEvSH_.num_agpr, 0
	.set _ZN7rocprim17ROCPRIM_400000_NS6detail17trampoline_kernelINS0_14default_configENS1_38merge_sort_block_merge_config_selectorIhlEEZZNS1_27merge_sort_block_merge_implIS3_PhN6thrust23THRUST_200600_302600_NS10device_ptrIlEEjNS1_19radix_merge_compareILb0ELb1EhNS0_19identity_decomposerEEEEE10hipError_tT0_T1_T2_jT3_P12ihipStream_tbPNSt15iterator_traitsISG_E10value_typeEPNSM_ISH_E10value_typeEPSI_NS1_7vsmem_tEENKUlT_SG_SH_SI_E_clIS7_S7_SB_PlEESF_SV_SG_SH_SI_EUlSV_E0_NS1_11comp_targetILNS1_3genE3ELNS1_11target_archE908ELNS1_3gpuE7ELNS1_3repE0EEENS1_38merge_mergepath_config_static_selectorELNS0_4arch9wavefront6targetE1EEEvSH_.numbered_sgpr, 0
	.set _ZN7rocprim17ROCPRIM_400000_NS6detail17trampoline_kernelINS0_14default_configENS1_38merge_sort_block_merge_config_selectorIhlEEZZNS1_27merge_sort_block_merge_implIS3_PhN6thrust23THRUST_200600_302600_NS10device_ptrIlEEjNS1_19radix_merge_compareILb0ELb1EhNS0_19identity_decomposerEEEEE10hipError_tT0_T1_T2_jT3_P12ihipStream_tbPNSt15iterator_traitsISG_E10value_typeEPNSM_ISH_E10value_typeEPSI_NS1_7vsmem_tEENKUlT_SG_SH_SI_E_clIS7_S7_SB_PlEESF_SV_SG_SH_SI_EUlSV_E0_NS1_11comp_targetILNS1_3genE3ELNS1_11target_archE908ELNS1_3gpuE7ELNS1_3repE0EEENS1_38merge_mergepath_config_static_selectorELNS0_4arch9wavefront6targetE1EEEvSH_.num_named_barrier, 0
	.set _ZN7rocprim17ROCPRIM_400000_NS6detail17trampoline_kernelINS0_14default_configENS1_38merge_sort_block_merge_config_selectorIhlEEZZNS1_27merge_sort_block_merge_implIS3_PhN6thrust23THRUST_200600_302600_NS10device_ptrIlEEjNS1_19radix_merge_compareILb0ELb1EhNS0_19identity_decomposerEEEEE10hipError_tT0_T1_T2_jT3_P12ihipStream_tbPNSt15iterator_traitsISG_E10value_typeEPNSM_ISH_E10value_typeEPSI_NS1_7vsmem_tEENKUlT_SG_SH_SI_E_clIS7_S7_SB_PlEESF_SV_SG_SH_SI_EUlSV_E0_NS1_11comp_targetILNS1_3genE3ELNS1_11target_archE908ELNS1_3gpuE7ELNS1_3repE0EEENS1_38merge_mergepath_config_static_selectorELNS0_4arch9wavefront6targetE1EEEvSH_.private_seg_size, 0
	.set _ZN7rocprim17ROCPRIM_400000_NS6detail17trampoline_kernelINS0_14default_configENS1_38merge_sort_block_merge_config_selectorIhlEEZZNS1_27merge_sort_block_merge_implIS3_PhN6thrust23THRUST_200600_302600_NS10device_ptrIlEEjNS1_19radix_merge_compareILb0ELb1EhNS0_19identity_decomposerEEEEE10hipError_tT0_T1_T2_jT3_P12ihipStream_tbPNSt15iterator_traitsISG_E10value_typeEPNSM_ISH_E10value_typeEPSI_NS1_7vsmem_tEENKUlT_SG_SH_SI_E_clIS7_S7_SB_PlEESF_SV_SG_SH_SI_EUlSV_E0_NS1_11comp_targetILNS1_3genE3ELNS1_11target_archE908ELNS1_3gpuE7ELNS1_3repE0EEENS1_38merge_mergepath_config_static_selectorELNS0_4arch9wavefront6targetE1EEEvSH_.uses_vcc, 0
	.set _ZN7rocprim17ROCPRIM_400000_NS6detail17trampoline_kernelINS0_14default_configENS1_38merge_sort_block_merge_config_selectorIhlEEZZNS1_27merge_sort_block_merge_implIS3_PhN6thrust23THRUST_200600_302600_NS10device_ptrIlEEjNS1_19radix_merge_compareILb0ELb1EhNS0_19identity_decomposerEEEEE10hipError_tT0_T1_T2_jT3_P12ihipStream_tbPNSt15iterator_traitsISG_E10value_typeEPNSM_ISH_E10value_typeEPSI_NS1_7vsmem_tEENKUlT_SG_SH_SI_E_clIS7_S7_SB_PlEESF_SV_SG_SH_SI_EUlSV_E0_NS1_11comp_targetILNS1_3genE3ELNS1_11target_archE908ELNS1_3gpuE7ELNS1_3repE0EEENS1_38merge_mergepath_config_static_selectorELNS0_4arch9wavefront6targetE1EEEvSH_.uses_flat_scratch, 0
	.set _ZN7rocprim17ROCPRIM_400000_NS6detail17trampoline_kernelINS0_14default_configENS1_38merge_sort_block_merge_config_selectorIhlEEZZNS1_27merge_sort_block_merge_implIS3_PhN6thrust23THRUST_200600_302600_NS10device_ptrIlEEjNS1_19radix_merge_compareILb0ELb1EhNS0_19identity_decomposerEEEEE10hipError_tT0_T1_T2_jT3_P12ihipStream_tbPNSt15iterator_traitsISG_E10value_typeEPNSM_ISH_E10value_typeEPSI_NS1_7vsmem_tEENKUlT_SG_SH_SI_E_clIS7_S7_SB_PlEESF_SV_SG_SH_SI_EUlSV_E0_NS1_11comp_targetILNS1_3genE3ELNS1_11target_archE908ELNS1_3gpuE7ELNS1_3repE0EEENS1_38merge_mergepath_config_static_selectorELNS0_4arch9wavefront6targetE1EEEvSH_.has_dyn_sized_stack, 0
	.set _ZN7rocprim17ROCPRIM_400000_NS6detail17trampoline_kernelINS0_14default_configENS1_38merge_sort_block_merge_config_selectorIhlEEZZNS1_27merge_sort_block_merge_implIS3_PhN6thrust23THRUST_200600_302600_NS10device_ptrIlEEjNS1_19radix_merge_compareILb0ELb1EhNS0_19identity_decomposerEEEEE10hipError_tT0_T1_T2_jT3_P12ihipStream_tbPNSt15iterator_traitsISG_E10value_typeEPNSM_ISH_E10value_typeEPSI_NS1_7vsmem_tEENKUlT_SG_SH_SI_E_clIS7_S7_SB_PlEESF_SV_SG_SH_SI_EUlSV_E0_NS1_11comp_targetILNS1_3genE3ELNS1_11target_archE908ELNS1_3gpuE7ELNS1_3repE0EEENS1_38merge_mergepath_config_static_selectorELNS0_4arch9wavefront6targetE1EEEvSH_.has_recursion, 0
	.set _ZN7rocprim17ROCPRIM_400000_NS6detail17trampoline_kernelINS0_14default_configENS1_38merge_sort_block_merge_config_selectorIhlEEZZNS1_27merge_sort_block_merge_implIS3_PhN6thrust23THRUST_200600_302600_NS10device_ptrIlEEjNS1_19radix_merge_compareILb0ELb1EhNS0_19identity_decomposerEEEEE10hipError_tT0_T1_T2_jT3_P12ihipStream_tbPNSt15iterator_traitsISG_E10value_typeEPNSM_ISH_E10value_typeEPSI_NS1_7vsmem_tEENKUlT_SG_SH_SI_E_clIS7_S7_SB_PlEESF_SV_SG_SH_SI_EUlSV_E0_NS1_11comp_targetILNS1_3genE3ELNS1_11target_archE908ELNS1_3gpuE7ELNS1_3repE0EEENS1_38merge_mergepath_config_static_selectorELNS0_4arch9wavefront6targetE1EEEvSH_.has_indirect_call, 0
	.section	.AMDGPU.csdata,"",@progbits
; Kernel info:
; codeLenInByte = 0
; TotalNumSgprs: 4
; NumVgprs: 0
; ScratchSize: 0
; MemoryBound: 0
; FloatMode: 240
; IeeeMode: 1
; LDSByteSize: 0 bytes/workgroup (compile time only)
; SGPRBlocks: 0
; VGPRBlocks: 0
; NumSGPRsForWavesPerEU: 4
; NumVGPRsForWavesPerEU: 1
; Occupancy: 10
; WaveLimiterHint : 0
; COMPUTE_PGM_RSRC2:SCRATCH_EN: 0
; COMPUTE_PGM_RSRC2:USER_SGPR: 6
; COMPUTE_PGM_RSRC2:TRAP_HANDLER: 0
; COMPUTE_PGM_RSRC2:TGID_X_EN: 1
; COMPUTE_PGM_RSRC2:TGID_Y_EN: 0
; COMPUTE_PGM_RSRC2:TGID_Z_EN: 0
; COMPUTE_PGM_RSRC2:TIDIG_COMP_CNT: 0
	.section	.text._ZN7rocprim17ROCPRIM_400000_NS6detail17trampoline_kernelINS0_14default_configENS1_38merge_sort_block_merge_config_selectorIhlEEZZNS1_27merge_sort_block_merge_implIS3_PhN6thrust23THRUST_200600_302600_NS10device_ptrIlEEjNS1_19radix_merge_compareILb0ELb1EhNS0_19identity_decomposerEEEEE10hipError_tT0_T1_T2_jT3_P12ihipStream_tbPNSt15iterator_traitsISG_E10value_typeEPNSM_ISH_E10value_typeEPSI_NS1_7vsmem_tEENKUlT_SG_SH_SI_E_clIS7_S7_SB_PlEESF_SV_SG_SH_SI_EUlSV_E0_NS1_11comp_targetILNS1_3genE2ELNS1_11target_archE906ELNS1_3gpuE6ELNS1_3repE0EEENS1_38merge_mergepath_config_static_selectorELNS0_4arch9wavefront6targetE1EEEvSH_,"axG",@progbits,_ZN7rocprim17ROCPRIM_400000_NS6detail17trampoline_kernelINS0_14default_configENS1_38merge_sort_block_merge_config_selectorIhlEEZZNS1_27merge_sort_block_merge_implIS3_PhN6thrust23THRUST_200600_302600_NS10device_ptrIlEEjNS1_19radix_merge_compareILb0ELb1EhNS0_19identity_decomposerEEEEE10hipError_tT0_T1_T2_jT3_P12ihipStream_tbPNSt15iterator_traitsISG_E10value_typeEPNSM_ISH_E10value_typeEPSI_NS1_7vsmem_tEENKUlT_SG_SH_SI_E_clIS7_S7_SB_PlEESF_SV_SG_SH_SI_EUlSV_E0_NS1_11comp_targetILNS1_3genE2ELNS1_11target_archE906ELNS1_3gpuE6ELNS1_3repE0EEENS1_38merge_mergepath_config_static_selectorELNS0_4arch9wavefront6targetE1EEEvSH_,comdat
	.protected	_ZN7rocprim17ROCPRIM_400000_NS6detail17trampoline_kernelINS0_14default_configENS1_38merge_sort_block_merge_config_selectorIhlEEZZNS1_27merge_sort_block_merge_implIS3_PhN6thrust23THRUST_200600_302600_NS10device_ptrIlEEjNS1_19radix_merge_compareILb0ELb1EhNS0_19identity_decomposerEEEEE10hipError_tT0_T1_T2_jT3_P12ihipStream_tbPNSt15iterator_traitsISG_E10value_typeEPNSM_ISH_E10value_typeEPSI_NS1_7vsmem_tEENKUlT_SG_SH_SI_E_clIS7_S7_SB_PlEESF_SV_SG_SH_SI_EUlSV_E0_NS1_11comp_targetILNS1_3genE2ELNS1_11target_archE906ELNS1_3gpuE6ELNS1_3repE0EEENS1_38merge_mergepath_config_static_selectorELNS0_4arch9wavefront6targetE1EEEvSH_ ; -- Begin function _ZN7rocprim17ROCPRIM_400000_NS6detail17trampoline_kernelINS0_14default_configENS1_38merge_sort_block_merge_config_selectorIhlEEZZNS1_27merge_sort_block_merge_implIS3_PhN6thrust23THRUST_200600_302600_NS10device_ptrIlEEjNS1_19radix_merge_compareILb0ELb1EhNS0_19identity_decomposerEEEEE10hipError_tT0_T1_T2_jT3_P12ihipStream_tbPNSt15iterator_traitsISG_E10value_typeEPNSM_ISH_E10value_typeEPSI_NS1_7vsmem_tEENKUlT_SG_SH_SI_E_clIS7_S7_SB_PlEESF_SV_SG_SH_SI_EUlSV_E0_NS1_11comp_targetILNS1_3genE2ELNS1_11target_archE906ELNS1_3gpuE6ELNS1_3repE0EEENS1_38merge_mergepath_config_static_selectorELNS0_4arch9wavefront6targetE1EEEvSH_
	.globl	_ZN7rocprim17ROCPRIM_400000_NS6detail17trampoline_kernelINS0_14default_configENS1_38merge_sort_block_merge_config_selectorIhlEEZZNS1_27merge_sort_block_merge_implIS3_PhN6thrust23THRUST_200600_302600_NS10device_ptrIlEEjNS1_19radix_merge_compareILb0ELb1EhNS0_19identity_decomposerEEEEE10hipError_tT0_T1_T2_jT3_P12ihipStream_tbPNSt15iterator_traitsISG_E10value_typeEPNSM_ISH_E10value_typeEPSI_NS1_7vsmem_tEENKUlT_SG_SH_SI_E_clIS7_S7_SB_PlEESF_SV_SG_SH_SI_EUlSV_E0_NS1_11comp_targetILNS1_3genE2ELNS1_11target_archE906ELNS1_3gpuE6ELNS1_3repE0EEENS1_38merge_mergepath_config_static_selectorELNS0_4arch9wavefront6targetE1EEEvSH_
	.p2align	8
	.type	_ZN7rocprim17ROCPRIM_400000_NS6detail17trampoline_kernelINS0_14default_configENS1_38merge_sort_block_merge_config_selectorIhlEEZZNS1_27merge_sort_block_merge_implIS3_PhN6thrust23THRUST_200600_302600_NS10device_ptrIlEEjNS1_19radix_merge_compareILb0ELb1EhNS0_19identity_decomposerEEEEE10hipError_tT0_T1_T2_jT3_P12ihipStream_tbPNSt15iterator_traitsISG_E10value_typeEPNSM_ISH_E10value_typeEPSI_NS1_7vsmem_tEENKUlT_SG_SH_SI_E_clIS7_S7_SB_PlEESF_SV_SG_SH_SI_EUlSV_E0_NS1_11comp_targetILNS1_3genE2ELNS1_11target_archE906ELNS1_3gpuE6ELNS1_3repE0EEENS1_38merge_mergepath_config_static_selectorELNS0_4arch9wavefront6targetE1EEEvSH_,@function
_ZN7rocprim17ROCPRIM_400000_NS6detail17trampoline_kernelINS0_14default_configENS1_38merge_sort_block_merge_config_selectorIhlEEZZNS1_27merge_sort_block_merge_implIS3_PhN6thrust23THRUST_200600_302600_NS10device_ptrIlEEjNS1_19radix_merge_compareILb0ELb1EhNS0_19identity_decomposerEEEEE10hipError_tT0_T1_T2_jT3_P12ihipStream_tbPNSt15iterator_traitsISG_E10value_typeEPNSM_ISH_E10value_typeEPSI_NS1_7vsmem_tEENKUlT_SG_SH_SI_E_clIS7_S7_SB_PlEESF_SV_SG_SH_SI_EUlSV_E0_NS1_11comp_targetILNS1_3genE2ELNS1_11target_archE906ELNS1_3gpuE6ELNS1_3repE0EEENS1_38merge_mergepath_config_static_selectorELNS0_4arch9wavefront6targetE1EEEvSH_: ; @_ZN7rocprim17ROCPRIM_400000_NS6detail17trampoline_kernelINS0_14default_configENS1_38merge_sort_block_merge_config_selectorIhlEEZZNS1_27merge_sort_block_merge_implIS3_PhN6thrust23THRUST_200600_302600_NS10device_ptrIlEEjNS1_19radix_merge_compareILb0ELb1EhNS0_19identity_decomposerEEEEE10hipError_tT0_T1_T2_jT3_P12ihipStream_tbPNSt15iterator_traitsISG_E10value_typeEPNSM_ISH_E10value_typeEPSI_NS1_7vsmem_tEENKUlT_SG_SH_SI_E_clIS7_S7_SB_PlEESF_SV_SG_SH_SI_EUlSV_E0_NS1_11comp_targetILNS1_3genE2ELNS1_11target_archE906ELNS1_3gpuE6ELNS1_3repE0EEENS1_38merge_mergepath_config_static_selectorELNS0_4arch9wavefront6targetE1EEEvSH_
; %bb.0:
	s_load_dwordx2 s[24:25], s[4:5], 0x40
	s_load_dword s1, s[4:5], 0x30
	s_add_u32 s22, s4, 64
	s_addc_u32 s23, s5, 0
	s_waitcnt lgkmcnt(0)
	s_mul_i32 s0, s25, s8
	s_add_i32 s0, s0, s7
	s_mul_i32 s0, s0, s24
	s_add_i32 s0, s0, s6
	s_cmp_ge_u32 s0, s1
	s_cbranch_scc1 .LBB226_46
; %bb.1:
	s_load_dwordx8 s[8:15], s[4:5], 0x10
	s_load_dwordx2 s[28:29], s[4:5], 0x8
	s_load_dwordx2 s[2:3], s[4:5], 0x38
	s_mov_b32 s1, 0
	v_mov_b32_e32 v1, 0
	s_waitcnt lgkmcnt(0)
	s_lshr_b32 s30, s14, 10
	s_cmp_lg_u32 s0, s30
	s_cselect_b64 s[18:19], -1, 0
	s_lshl_b64 s[16:17], s[0:1], 2
	s_add_u32 s16, s2, s16
	s_addc_u32 s17, s3, s17
	s_lshr_b32 s7, s15, 9
	s_and_b32 s7, s7, 0x7ffffe
	s_load_dwordx2 s[2:3], s[16:17], 0x0
	s_sub_i32 s7, 0, s7
	s_and_b32 s17, s0, s7
	s_lshl_b32 s21, s17, 10
	s_lshl_b32 s16, s0, 10
	;; [unrolled: 1-line block ×3, first 2 shown]
	s_sub_i32 s20, s16, s21
	s_add_i32 s17, s17, s15
	s_add_i32 s25, s17, s20
	s_waitcnt lgkmcnt(0)
	s_sub_i32 s20, s25, s2
	s_sub_i32 s25, s25, s3
	;; [unrolled: 1-line block ×3, first 2 shown]
	s_min_u32 s20, s14, s20
	s_addk_i32 s25, 0x400
	s_or_b32 s7, s0, s7
	s_min_u32 s21, s14, s17
	s_add_i32 s17, s17, s15
	s_cmp_eq_u32 s7, -1
	s_cselect_b32 s7, s17, s25
	s_cselect_b32 s3, s21, s3
	s_min_u32 s17, s7, s14
	s_sub_i32 s15, s3, s2
	s_add_u32 s26, s28, s2
	s_addc_u32 s27, s29, 0
	s_add_u32 s25, s28, s20
	global_load_dword v2, v1, s[22:23] offset:14
	s_addc_u32 s28, s29, 0
	s_cmp_lt_u32 s6, s24
	s_cselect_b32 s3, 12, 18
	s_add_u32 s6, s22, s3
	s_addc_u32 s7, s23, 0
	global_load_ushort v1, v1, s[6:7]
	s_mov_b32 s3, s1
	s_mov_b32 s21, s1
	s_cmp_eq_u32 s0, s30
	s_waitcnt vmcnt(1)
	v_lshrrev_b32_e32 v3, 16, v2
	v_and_b32_e32 v2, 0xffff, v2
	v_mul_lo_u32 v2, v2, v3
	s_waitcnt vmcnt(0)
	v_mul_lo_u32 v15, v2, v1
	v_add_u32_e32 v11, v15, v0
	v_add_u32_e32 v9, v11, v15
	s_cbranch_scc1 .LBB226_3
; %bb.2:
	v_mov_b32_e32 v1, s27
	v_add_co_u32_e32 v3, vcc, s26, v0
	v_addc_co_u32_e32 v1, vcc, 0, v1, vcc
	v_subrev_co_u32_e32 v2, vcc, s15, v0
	v_mov_b32_e32 v4, s28
	v_add_co_u32_e64 v5, s[0:1], s25, v2
	v_addc_co_u32_e64 v2, s[0:1], 0, v4, s[0:1]
	v_cndmask_b32_e32 v2, v2, v1, vcc
	v_cndmask_b32_e32 v1, v5, v3, vcc
	v_mov_b32_e32 v3, s27
	v_add_co_u32_e32 v5, vcc, s26, v11
	v_addc_co_u32_e32 v3, vcc, 0, v3, vcc
	v_subrev_co_u32_e32 v4, vcc, s15, v11
	v_mov_b32_e32 v6, s28
	v_add_co_u32_e64 v7, s[0:1], s25, v4
	v_addc_co_u32_e64 v4, s[0:1], 0, v6, s[0:1]
	v_cndmask_b32_e32 v4, v4, v3, vcc
	v_cndmask_b32_e32 v3, v7, v5, vcc
	;; [unrolled: 9-line block ×3, first 2 shown]
	global_load_ubyte v7, v[1:2], off
	global_load_ubyte v8, v[3:4], off
	;; [unrolled: 1-line block ×3, first 2 shown]
	s_mov_b32 s0, 0xc0c0004
	v_add_u32_e32 v1, v9, v15
	s_waitcnt vmcnt(1)
	v_perm_b32 v2, v7, v8, s0
	s_waitcnt vmcnt(0)
	v_lshl_or_b32 v14, v10, 16, v2
	s_mov_b64 s[0:1], -1
	s_sub_i32 s17, s17, s20
	s_cbranch_execz .LBB226_4
	s_branch .LBB226_9
.LBB226_3:
	s_mov_b64 s[0:1], 0
                                        ; implicit-def: $vgpr1
                                        ; implicit-def: $vgpr14
	s_sub_i32 s17, s17, s20
.LBB226_4:
	s_add_i32 s22, s17, s15
	v_cmp_gt_u32_e32 vcc, s22, v0
	v_mov_b32_e32 v14, 0
	s_and_saveexec_b64 s[6:7], vcc
	s_cbranch_execnz .LBB226_47
; %bb.5:
	s_or_b64 exec, exec, s[6:7]
	v_cmp_gt_u32_e32 vcc, s22, v11
	s_and_saveexec_b64 s[6:7], vcc
	s_cbranch_execnz .LBB226_48
.LBB226_6:
	s_or_b64 exec, exec, s[6:7]
	v_cmp_gt_u32_e32 vcc, s22, v9
	s_and_saveexec_b64 s[6:7], vcc
	s_cbranch_execz .LBB226_8
.LBB226_7:
	v_mov_b32_e32 v1, s27
	v_add_co_u32_e32 v3, vcc, s26, v9
	v_addc_co_u32_e32 v1, vcc, 0, v1, vcc
	v_subrev_co_u32_e32 v2, vcc, s15, v9
	v_mov_b32_e32 v4, s28
	v_add_co_u32_e64 v5, s[0:1], s25, v2
	v_addc_co_u32_e64 v2, s[0:1], 0, v4, s[0:1]
	v_cndmask_b32_e32 v2, v2, v1, vcc
	v_cndmask_b32_e32 v1, v5, v3, vcc
	global_load_ubyte v1, v[1:2], off
	s_waitcnt vmcnt(0)
	v_lshl_or_b32 v14, v1, 16, v14
.LBB226_8:
	s_or_b64 exec, exec, s[6:7]
	v_add_u32_e32 v1, v9, v15
	v_cmp_gt_u32_e64 s[0:1], s22, v1
.LBB226_9:
	s_and_saveexec_b64 s[6:7], s[0:1]
	s_cbranch_execz .LBB226_11
; %bb.10:
	v_mov_b32_e32 v2, s27
	v_add_co_u32_e32 v3, vcc, s26, v1
	v_addc_co_u32_e32 v2, vcc, 0, v2, vcc
	v_subrev_co_u32_e32 v1, vcc, s15, v1
	v_mov_b32_e32 v4, s28
	v_add_co_u32_e64 v1, s[0:1], s25, v1
	v_addc_co_u32_e64 v4, s[0:1], 0, v4, s[0:1]
	v_cndmask_b32_e32 v2, v4, v2, vcc
	v_cndmask_b32_e32 v1, v1, v3, vcc
	global_load_ubyte v1, v[1:2], off
	s_mov_b32 s0, 0x60504
	s_waitcnt vmcnt(0)
	v_perm_b32 v14, v14, v1, s0
.LBB226_11:
	s_or_b64 exec, exec, s[6:7]
	s_lshl_b64 s[0:1], s[2:3], 3
	s_add_u32 s7, s10, s0
	s_addc_u32 s22, s11, s1
	s_lshl_b64 s[0:1], s[20:21], 3
	s_add_u32 s6, s10, s0
	s_waitcnt vmcnt(0)
	v_lshrrev_b32_e32 v16, 16, v14
	v_mov_b32_e32 v7, 0
	v_lshrrev_b32_e32 v17, 8, v14
	v_lshrrev_b32_e32 v18, 24, v14
	s_addc_u32 s10, s11, s1
	s_andn2_b64 vcc, exec, s[18:19]
	v_lshlrev_b32_e32 v13, 3, v0
	ds_write_b8 v0, v14
	ds_write_b8 v0, v17 offset:256
	ds_write_b8 v0, v16 offset:512
	;; [unrolled: 1-line block ×3, first 2 shown]
	s_cbranch_vccnz .LBB226_13
; %bb.12:
	v_mov_b32_e32 v1, s22
	v_add_co_u32_e32 v3, vcc, s7, v13
	v_addc_co_u32_e32 v4, vcc, 0, v1, vcc
	v_subrev_co_u32_e32 v6, vcc, s15, v0
	v_lshlrev_b64 v[1:2], 3, v[6:7]
	v_mov_b32_e32 v5, s10
	v_add_co_u32_e64 v1, s[0:1], s6, v1
	v_addc_co_u32_e64 v2, s[0:1], v5, v2, s[0:1]
	v_mov_b32_e32 v12, v7
	v_cndmask_b32_e32 v2, v2, v4, vcc
	v_cndmask_b32_e32 v1, v1, v3, vcc
	v_lshlrev_b64 v[3:4], 3, v[11:12]
	v_mov_b32_e32 v5, s22
	v_add_co_u32_e32 v8, vcc, s7, v3
	v_addc_co_u32_e32 v5, vcc, v5, v4, vcc
	v_subrev_co_u32_e32 v6, vcc, s15, v11
	v_lshlrev_b64 v[3:4], 3, v[6:7]
	v_mov_b32_e32 v6, s10
	v_add_co_u32_e64 v3, s[0:1], s6, v3
	v_addc_co_u32_e64 v4, s[0:1], v6, v4, s[0:1]
	v_mov_b32_e32 v10, v7
	v_cndmask_b32_e32 v4, v4, v5, vcc
	v_lshlrev_b64 v[5:6], 3, v[9:10]
	v_cndmask_b32_e32 v3, v3, v8, vcc
	v_mov_b32_e32 v8, s22
	v_add_co_u32_e32 v10, vcc, s7, v5
	v_addc_co_u32_e32 v8, vcc, v8, v6, vcc
	v_subrev_co_u32_e32 v6, vcc, s15, v9
	v_lshlrev_b64 v[5:6], 3, v[6:7]
	v_mov_b32_e32 v12, s10
	v_add_co_u32_e64 v5, s[0:1], s6, v5
	v_addc_co_u32_e64 v6, s[0:1], v12, v6, s[0:1]
	v_cndmask_b32_e32 v6, v6, v8, vcc
	v_cndmask_b32_e32 v5, v5, v10, vcc
	global_load_dwordx2 v[1:2], v[1:2], off
	s_add_i32 s11, s17, s15
	global_load_dwordx2 v[3:4], v[3:4], off
	v_mov_b32_e32 v8, v7
	global_load_dwordx2 v[5:6], v[5:6], off
	v_add_u32_e32 v10, v9, v15
	s_mov_b64 s[0:1], -1
	v_mov_b32_e32 v12, s11
	s_cbranch_execz .LBB226_14
	s_branch .LBB226_19
.LBB226_13:
	s_mov_b64 s[0:1], 0
                                        ; implicit-def: $vgpr10
                                        ; implicit-def: $vgpr1_vgpr2_vgpr3_vgpr4_vgpr5_vgpr6_vgpr7_vgpr8
                                        ; implicit-def: $vgpr12
.LBB226_14:
	s_add_i32 s11, s17, s15
	s_waitcnt vmcnt(2)
	v_mov_b32_e32 v1, 0
	v_cmp_gt_u32_e32 vcc, s11, v0
	v_mov_b32_e32 v2, v1
	s_waitcnt vmcnt(1)
	v_mov_b32_e32 v3, v1
	v_mov_b32_e32 v4, v1
	s_waitcnt vmcnt(0)
	v_mov_b32_e32 v5, v1
	v_mov_b32_e32 v6, v1
	;; [unrolled: 1-line block ×4, first 2 shown]
	s_and_saveexec_b64 s[2:3], vcc
	s_cbranch_execnz .LBB226_49
; %bb.15:
	s_or_b64 exec, exec, s[2:3]
	v_cmp_gt_u32_e32 vcc, s11, v11
	s_and_saveexec_b64 s[2:3], vcc
	s_cbranch_execnz .LBB226_50
.LBB226_16:
	s_or_b64 exec, exec, s[2:3]
	v_cmp_gt_u32_e32 vcc, s11, v9
	s_and_saveexec_b64 s[2:3], vcc
	s_cbranch_execz .LBB226_18
.LBB226_17:
	v_mov_b32_e32 v10, 0
	v_lshlrev_b64 v[5:6], 3, v[9:10]
	v_mov_b32_e32 v11, s22
	v_add_co_u32_e32 v12, vcc, s7, v5
	v_addc_co_u32_e32 v11, vcc, v11, v6, vcc
	v_subrev_co_u32_e32 v5, vcc, s15, v9
	v_mov_b32_e32 v6, v10
	v_lshlrev_b64 v[5:6], 3, v[5:6]
	v_mov_b32_e32 v10, s10
	v_add_co_u32_e64 v5, s[0:1], s6, v5
	v_addc_co_u32_e64 v6, s[0:1], v10, v6, s[0:1]
	v_cndmask_b32_e32 v6, v6, v11, vcc
	v_cndmask_b32_e32 v5, v5, v12, vcc
	global_load_dwordx2 v[5:6], v[5:6], off
.LBB226_18:
	s_or_b64 exec, exec, s[2:3]
	v_add_u32_e32 v10, v9, v15
	v_cmp_gt_u32_e64 s[0:1], s11, v10
	v_mov_b32_e32 v12, s11
.LBB226_19:
	s_and_saveexec_b64 s[2:3], s[0:1]
	s_cbranch_execz .LBB226_21
; %bb.20:
	v_mov_b32_e32 v8, 0
	v_mov_b32_e32 v11, v8
	v_lshlrev_b64 v[19:20], 3, v[10:11]
	v_mov_b32_e32 v7, s22
	v_add_co_u32_e32 v9, vcc, s7, v19
	v_addc_co_u32_e32 v11, vcc, v7, v20, vcc
	v_subrev_co_u32_e32 v7, vcc, s15, v10
	v_lshlrev_b64 v[7:8], 3, v[7:8]
	v_mov_b32_e32 v10, s10
	v_add_co_u32_e64 v7, s[0:1], s6, v7
	v_addc_co_u32_e64 v8, s[0:1], v10, v8, s[0:1]
	v_cndmask_b32_e32 v8, v8, v11, vcc
	v_cndmask_b32_e32 v7, v7, v9, vcc
	global_load_dwordx2 v[7:8], v[7:8], off
.LBB226_21:
	s_or_b64 exec, exec, s[2:3]
	s_load_dword s10, s[4:5], 0x34
	v_lshlrev_b32_e32 v11, 2, v0
	v_min_u32_e32 v10, v12, v11
	v_sub_u32_e64 v9, v10, s17 clamp
	v_min_u32_e32 v15, s15, v10
	v_cmp_lt_u32_e32 vcc, v9, v15
	s_waitcnt vmcnt(0) lgkmcnt(0)
	s_barrier
	s_and_saveexec_b64 s[0:1], vcc
	s_cbranch_execz .LBB226_25
; %bb.22:
	v_add_u32_e32 v19, s15, v10
	s_mov_b64 s[2:3], 0
.LBB226_23:                             ; =>This Inner Loop Header: Depth=1
	v_add_u32_e32 v20, v15, v9
	v_lshrrev_b32_e32 v20, 1, v20
	v_xad_u32 v21, v20, -1, v19
	ds_read_u8 v22, v20
	ds_read_u8 v21, v21
	v_add_u32_e32 v23, 1, v20
	s_waitcnt lgkmcnt(1)
	v_and_b32_e32 v22, s10, v22
	s_waitcnt lgkmcnt(0)
	v_and_b32_e32 v21, s10, v21
	v_cmp_gt_u16_sdwa vcc, v22, v21 src0_sel:BYTE_0 src1_sel:BYTE_0
	v_cndmask_b32_e32 v15, v15, v20, vcc
	v_cndmask_b32_e32 v9, v23, v9, vcc
	v_cmp_ge_u32_e32 vcc, v9, v15
	s_or_b64 s[2:3], vcc, s[2:3]
	s_andn2_b64 exec, exec, s[2:3]
	s_cbranch_execnz .LBB226_23
; %bb.24:
	s_or_b64 exec, exec, s[2:3]
.LBB226_25:
	s_or_b64 exec, exec, s[0:1]
	v_sub_u32_e32 v10, v10, v9
	v_add_u32_e32 v20, s15, v10
	v_cmp_ge_u32_e32 vcc, s15, v9
	v_cmp_le_u32_e64 s[0:1], v20, v12
	s_or_b64 s[0:1], vcc, s[0:1]
	v_mov_b32_e32 v21, 0
	v_mov_b32_e32 v19, 0
	;; [unrolled: 1-line block ×4, first 2 shown]
	s_and_saveexec_b64 s[6:7], s[0:1]
	s_cbranch_execz .LBB226_31
; %bb.26:
	v_cmp_gt_u32_e32 vcc, s15, v9
                                        ; implicit-def: $vgpr14
	s_and_saveexec_b64 s[0:1], vcc
; %bb.27:
	ds_read_u8 v14, v9
; %bb.28:
	s_or_b64 exec, exec, s[0:1]
	v_cmp_ge_u32_e64 s[0:1], v20, v12
	v_cmp_lt_u32_e64 s[2:3], v20, v12
                                        ; implicit-def: $vgpr16
	s_and_saveexec_b64 s[4:5], s[2:3]
; %bb.29:
	ds_read_u8 v16, v20
; %bb.30:
	s_or_b64 exec, exec, s[4:5]
	s_waitcnt lgkmcnt(0)
	v_and_b32_e32 v10, s10, v16
	v_and_b32_e32 v15, s10, v14
	v_cmp_le_u16_sdwa s[2:3], v15, v10 src0_sel:BYTE_0 src1_sel:BYTE_0
	s_and_b64 s[2:3], vcc, s[2:3]
	s_or_b64 vcc, s[0:1], s[2:3]
	v_mov_b32_e32 v17, s15
	v_cndmask_b32_e32 v10, v20, v9, vcc
	v_cndmask_b32_e32 v15, v12, v17, vcc
	v_add_u32_e32 v18, 1, v10
	v_add_u32_e32 v15, -1, v15
	v_min_u32_e32 v15, v18, v15
	ds_read_u8 v15, v15
	v_cndmask_b32_e32 v19, v18, v20, vcc
	v_cndmask_b32_e32 v9, v9, v18, vcc
	v_cmp_gt_u32_e64 s[2:3], s15, v9
	v_cmp_ge_u32_e64 s[0:1], v19, v12
	s_waitcnt lgkmcnt(0)
	v_cndmask_b32_e32 v21, v15, v16, vcc
	v_cndmask_b32_e32 v22, v14, v15, vcc
	v_and_b32_e32 v15, s10, v21
	v_and_b32_e32 v18, s10, v22
	v_cmp_le_u16_sdwa s[4:5], v18, v15 src0_sel:BYTE_0 src1_sel:BYTE_0
	s_and_b64 s[2:3], s[2:3], s[4:5]
	s_or_b64 s[0:1], s[0:1], s[2:3]
	v_cndmask_b32_e64 v15, v19, v9, s[0:1]
	v_cndmask_b32_e64 v18, v12, v17, s[0:1]
	v_add_u32_e32 v20, 1, v15
	v_add_u32_e32 v18, -1, v18
	v_min_u32_e32 v18, v20, v18
	ds_read_u8 v18, v18
	v_cndmask_b32_e64 v24, v20, v19, s[0:1]
	v_cndmask_b32_e64 v9, v9, v20, s[0:1]
	v_cmp_gt_u32_e64 s[4:5], s15, v9
	v_cmp_ge_u32_e64 s[2:3], v24, v12
	s_waitcnt lgkmcnt(0)
	v_cndmask_b32_e64 v23, v18, v21, s[0:1]
	v_cndmask_b32_e64 v18, v22, v18, s[0:1]
	v_and_b32_e32 v19, s10, v23
	v_and_b32_e32 v20, s10, v18
	v_cmp_le_u16_sdwa s[20:21], v20, v19 src0_sel:BYTE_0 src1_sel:BYTE_0
	s_and_b64 s[4:5], s[4:5], s[20:21]
	s_or_b64 s[2:3], s[2:3], s[4:5]
	v_cndmask_b32_e64 v19, v24, v9, s[2:3]
	v_cndmask_b32_e64 v17, v12, v17, s[2:3]
	v_add_u32_e32 v20, 1, v19
	v_add_u32_e32 v17, -1, v17
	v_min_u32_e32 v17, v20, v17
	ds_read_u8 v25, v17
	v_cndmask_b32_e32 v14, v16, v14, vcc
	v_cndmask_b32_e64 v17, v21, v22, s[0:1]
	v_cndmask_b32_e64 v16, v23, v18, s[2:3]
	;; [unrolled: 1-line block ×3, first 2 shown]
	s_waitcnt lgkmcnt(0)
	v_cndmask_b32_e64 v22, v25, v23, s[2:3]
	v_cndmask_b32_e64 v18, v18, v25, s[2:3]
	;; [unrolled: 1-line block ×3, first 2 shown]
	v_cmp_ge_u32_e32 vcc, v21, v12
	v_and_b32_e32 v12, s10, v22
	v_and_b32_e32 v20, s10, v18
	v_cmp_gt_u32_e64 s[0:1], s15, v9
	v_cmp_le_u16_sdwa s[2:3], v20, v12 src0_sel:BYTE_0 src1_sel:BYTE_0
	s_and_b64 s[0:1], s[0:1], s[2:3]
	s_or_b64 vcc, vcc, s[0:1]
	v_cndmask_b32_e32 v21, v21, v9, vcc
	v_cndmask_b32_e32 v18, v22, v18, vcc
.LBB226_31:
	s_or_b64 exec, exec, s[6:7]
	v_mad_u32_u24 v9, v0, 7, v0
	s_barrier
	ds_write2st64_b64 v9, v[1:2], v[3:4] offset1:4
	ds_write2st64_b64 v9, v[5:6], v[7:8] offset0:8 offset1:12
	v_lshlrev_b32_e32 v1, 3, v10
	v_lshlrev_b32_e32 v2, 3, v15
	;; [unrolled: 1-line block ×4, first 2 shown]
	s_waitcnt lgkmcnt(0)
	s_barrier
	ds_read_b64 v[5:6], v1
	ds_read_b64 v[7:8], v2
	ds_read_b64 v[1:2], v3
	ds_read_b64 v[3:4], v4
	v_lshrrev_b32_e32 v19, 3, v0
	s_mov_b32 s2, 0xc0c0004
	s_add_u32 s0, s8, s16
	v_and_b32_e32 v9, 28, v19
	v_perm_b32 v10, v14, v17, s2
	v_perm_b32 v12, v16, v18, s2
	s_addc_u32 s1, s9, 0
	v_add_u32_e32 v9, v9, v11
	v_lshl_or_b32 v10, v12, 16, v10
	v_or_b32_e32 v22, 0x100, v0
	v_or_b32_e32 v21, 0x200, v0
	;; [unrolled: 1-line block ×3, first 2 shown]
	s_waitcnt lgkmcnt(0)
	s_barrier
	s_barrier
	ds_write_b32 v9, v10
	v_lshrrev_b32_e32 v15, 5, v22
	v_lshrrev_b32_e32 v16, 5, v21
	;; [unrolled: 1-line block ×3, first 2 shown]
	v_mov_b32_e32 v10, s1
	v_add_co_u32_e32 v9, vcc, s0, v0
	v_lshrrev_b32_e32 v14, 5, v0
	v_and_b32_e32 v12, 12, v15
	v_and_b32_e32 v18, 20, v16
	;; [unrolled: 1-line block ×3, first 2 shown]
	v_addc_co_u32_e32 v10, vcc, 0, v10, vcc
	s_mov_b32 s17, 0
	v_and_b32_e32 v23, 4, v14
	s_and_b64 vcc, exec, s[18:19]
	v_add_u32_e32 v24, v12, v0
	v_add_u32_e32 v25, v18, v0
	v_add_u32_e32 v26, v26, v0
	v_lshlrev_b32_e32 v18, 3, v11
	s_waitcnt lgkmcnt(0)
	s_cbranch_vccz .LBB226_33
; %bb.32:
	v_add_u32_e32 v11, v23, v0
	s_barrier
	ds_read_u8 v11, v11
	ds_read_u8 v12, v24 offset:256
	ds_read_u8 v27, v25 offset:512
	;; [unrolled: 1-line block ×3, first 2 shown]
	s_lshl_b64 s[0:1], s[16:17], 3
	s_add_u32 s0, s12, s0
	s_waitcnt lgkmcnt(3)
	global_store_byte v[9:10], v11, off
	s_waitcnt lgkmcnt(2)
	global_store_byte v[9:10], v12, off offset:256
	s_waitcnt lgkmcnt(1)
	global_store_byte v[9:10], v27, off offset:512
	;; [unrolled: 2-line block ×3, first 2 shown]
	v_lshl_add_u32 v11, v19, 3, v18
	s_waitcnt vmcnt(0)
	s_barrier
	ds_write2_b64 v11, v[5:6], v[7:8] offset1:1
	ds_write2_b64 v11, v[1:2], v[3:4] offset0:2 offset1:3
	v_lshl_add_u32 v11, v14, 3, v13
	v_lshl_add_u32 v12, v15, 3, v13
	;; [unrolled: 1-line block ×3, first 2 shown]
	s_addc_u32 s1, s13, s1
	s_waitcnt lgkmcnt(0)
	s_barrier
	v_lshl_add_u32 v33, v17, 3, v13
	ds_read_b64 v[27:28], v11
	ds_read_b64 v[29:30], v12 offset:2048
	ds_read_b64 v[31:32], v31 offset:4096
	;; [unrolled: 1-line block ×3, first 2 shown]
	v_mov_b32_e32 v33, s1
	v_add_co_u32_e32 v34, vcc, s0, v13
	v_addc_co_u32_e32 v33, vcc, 0, v33, vcc
	s_waitcnt lgkmcnt(3)
	global_store_dwordx2 v13, v[27:28], s[0:1]
	s_waitcnt lgkmcnt(2)
	global_store_dwordx2 v13, v[29:30], s[0:1] offset:2048
	v_add_co_u32_e32 v27, vcc, 0x1000, v34
	v_addc_co_u32_e32 v28, vcc, 0, v33, vcc
	s_waitcnt lgkmcnt(1)
	global_store_dwordx2 v[27:28], v[31:32], off
	s_mov_b64 s[6:7], -1
	s_cbranch_execz .LBB226_34
	s_branch .LBB226_44
.LBB226_33:
	s_mov_b64 s[6:7], 0
                                        ; implicit-def: $vgpr11_vgpr12
.LBB226_34:
	s_waitcnt vmcnt(0) lgkmcnt(0)
	s_barrier
	ds_read_u8 v24, v24 offset:256
	ds_read_u8 v12, v25 offset:512
	;; [unrolled: 1-line block ×3, first 2 shown]
	s_sub_i32 s6, s14, s16
	v_cmp_gt_u32_e32 vcc, s6, v0
	s_and_saveexec_b64 s[0:1], vcc
	s_cbranch_execnz .LBB226_51
; %bb.35:
	s_or_b64 exec, exec, s[0:1]
	v_cmp_gt_u32_e64 s[0:1], s6, v22
	s_and_saveexec_b64 s[2:3], s[0:1]
	s_cbranch_execnz .LBB226_52
.LBB226_36:
	s_or_b64 exec, exec, s[2:3]
	v_cmp_gt_u32_e64 s[2:3], s6, v21
	s_and_saveexec_b64 s[4:5], s[2:3]
	s_cbranch_execnz .LBB226_53
.LBB226_37:
	s_or_b64 exec, exec, s[4:5]
	v_cmp_gt_u32_e64 s[6:7], s6, v20
	s_and_saveexec_b64 s[4:5], s[6:7]
	s_cbranch_execz .LBB226_39
.LBB226_38:
	s_waitcnt lgkmcnt(0)
	global_store_byte v[9:10], v11, off offset:768
.LBB226_39:
	s_or_b64 exec, exec, s[4:5]
	v_lshl_add_u32 v0, v19, 3, v18
	s_waitcnt vmcnt(0) lgkmcnt(0)
	s_barrier
	ds_write2_b64 v0, v[5:6], v[7:8] offset1:1
	ds_write2_b64 v0, v[1:2], v[3:4] offset0:2 offset1:3
	v_lshl_add_u32 v0, v15, 3, v13
	v_lshl_add_u32 v1, v16, 3, v13
	s_waitcnt lgkmcnt(0)
	s_barrier
	v_lshl_add_u32 v2, v17, 3, v13
	ds_read_b64 v[4:5], v0 offset:2048
	ds_read_b64 v[0:1], v1 offset:4096
	;; [unrolled: 1-line block ×3, first 2 shown]
	s_lshl_b64 s[4:5], s[16:17], 3
	s_add_u32 s4, s12, s4
	s_addc_u32 s5, s13, s5
	v_mov_b32_e32 v3, s5
	v_add_co_u32_e64 v2, s[4:5], s4, v13
	v_addc_co_u32_e64 v3, s[4:5], 0, v3, s[4:5]
	s_and_saveexec_b64 s[4:5], vcc
	s_cbranch_execnz .LBB226_54
; %bb.40:
	s_or_b64 exec, exec, s[4:5]
	s_and_saveexec_b64 s[4:5], s[0:1]
	s_cbranch_execnz .LBB226_55
.LBB226_41:
	s_or_b64 exec, exec, s[4:5]
	s_and_saveexec_b64 s[0:1], s[2:3]
	s_cbranch_execz .LBB226_43
.LBB226_42:
	v_add_co_u32_e32 v2, vcc, 0x1000, v2
	v_addc_co_u32_e32 v3, vcc, 0, v3, vcc
	s_waitcnt lgkmcnt(1)
	global_store_dwordx2 v[2:3], v[0:1], off
.LBB226_43:
	s_or_b64 exec, exec, s[0:1]
.LBB226_44:
	s_and_saveexec_b64 s[0:1], s[6:7]
	s_cbranch_execz .LBB226_46
; %bb.45:
	s_lshl_b64 s[0:1], s[16:17], 3
	s_add_u32 s0, s12, s0
	s_addc_u32 s1, s13, s1
	s_waitcnt lgkmcnt(1)
	v_mov_b32_e32 v0, s1
	v_add_co_u32_e32 v1, vcc, s0, v13
	v_addc_co_u32_e32 v2, vcc, 0, v0, vcc
	v_add_co_u32_e32 v0, vcc, 0x1000, v1
	v_addc_co_u32_e32 v1, vcc, 0, v2, vcc
	s_waitcnt lgkmcnt(0)
	global_store_dwordx2 v[0:1], v[11:12], off offset:2048
.LBB226_46:
	s_endpgm
.LBB226_47:
	v_mov_b32_e32 v1, s27
	v_add_co_u32_e32 v3, vcc, s26, v0
	v_addc_co_u32_e32 v1, vcc, 0, v1, vcc
	v_subrev_co_u32_e32 v2, vcc, s15, v0
	v_mov_b32_e32 v4, s28
	v_add_co_u32_e64 v5, s[0:1], s25, v2
	v_addc_co_u32_e64 v2, s[0:1], 0, v4, s[0:1]
	v_cndmask_b32_e32 v2, v2, v1, vcc
	v_cndmask_b32_e32 v1, v5, v3, vcc
	global_load_ubyte v14, v[1:2], off
	s_or_b64 exec, exec, s[6:7]
	v_cmp_gt_u32_e32 vcc, s22, v11
	s_and_saveexec_b64 s[6:7], vcc
	s_cbranch_execz .LBB226_6
.LBB226_48:
	v_mov_b32_e32 v1, s27
	v_add_co_u32_e32 v3, vcc, s26, v11
	v_addc_co_u32_e32 v1, vcc, 0, v1, vcc
	v_subrev_co_u32_e32 v2, vcc, s15, v11
	v_mov_b32_e32 v4, s28
	v_add_co_u32_e64 v5, s[0:1], s25, v2
	v_addc_co_u32_e64 v2, s[0:1], 0, v4, s[0:1]
	v_cndmask_b32_e32 v2, v2, v1, vcc
	v_cndmask_b32_e32 v1, v5, v3, vcc
	global_load_ubyte v1, v[1:2], off
	s_waitcnt vmcnt(0)
	v_lshlrev_b16_e32 v1, 8, v1
	v_or_b32_e32 v1, v14, v1
	v_and_b32_e32 v14, 0xffff, v1
	s_or_b64 exec, exec, s[6:7]
	v_cmp_gt_u32_e32 vcc, s22, v9
	s_and_saveexec_b64 s[6:7], vcc
	s_cbranch_execnz .LBB226_7
	s_branch .LBB226_8
.LBB226_49:
	v_mov_b32_e32 v2, s22
	v_add_co_u32_e32 v4, vcc, s7, v13
	v_addc_co_u32_e32 v5, vcc, 0, v2, vcc
	v_subrev_co_u32_e32 v2, vcc, s15, v0
	v_mov_b32_e32 v3, v1
	v_lshlrev_b64 v[2:3], 3, v[2:3]
	v_mov_b32_e32 v6, s10
	v_add_co_u32_e64 v2, s[0:1], s6, v2
	v_addc_co_u32_e64 v3, s[0:1], v6, v3, s[0:1]
	v_cndmask_b32_e32 v3, v3, v5, vcc
	v_cndmask_b32_e32 v2, v2, v4, vcc
	global_load_dwordx2 v[19:20], v[2:3], off
	v_mov_b32_e32 v21, v1
	v_mov_b32_e32 v22, v1
	;; [unrolled: 1-line block ×6, first 2 shown]
	s_waitcnt vmcnt(0)
	v_mov_b32_e32 v1, v19
	v_mov_b32_e32 v2, v20
	;; [unrolled: 1-line block ×8, first 2 shown]
	s_or_b64 exec, exec, s[2:3]
	v_cmp_gt_u32_e32 vcc, s11, v11
	s_and_saveexec_b64 s[2:3], vcc
	s_cbranch_execz .LBB226_16
.LBB226_50:
	v_mov_b32_e32 v12, 0
	v_lshlrev_b64 v[3:4], 3, v[11:12]
	v_mov_b32_e32 v10, s22
	v_add_co_u32_e32 v19, vcc, s7, v3
	v_addc_co_u32_e32 v10, vcc, v10, v4, vcc
	v_subrev_co_u32_e32 v11, vcc, s15, v11
	v_lshlrev_b64 v[3:4], 3, v[11:12]
	v_mov_b32_e32 v11, s10
	v_add_co_u32_e64 v3, s[0:1], s6, v3
	v_addc_co_u32_e64 v4, s[0:1], v11, v4, s[0:1]
	v_cndmask_b32_e32 v4, v4, v10, vcc
	v_cndmask_b32_e32 v3, v3, v19, vcc
	global_load_dwordx2 v[3:4], v[3:4], off
	s_or_b64 exec, exec, s[2:3]
	v_cmp_gt_u32_e32 vcc, s11, v9
	s_and_saveexec_b64 s[2:3], vcc
	s_cbranch_execnz .LBB226_17
	s_branch .LBB226_18
.LBB226_51:
	v_add_u32_e32 v0, v23, v0
	ds_read_u8 v0, v0
	s_waitcnt lgkmcnt(0)
	global_store_byte v[9:10], v0, off
	s_or_b64 exec, exec, s[0:1]
	v_cmp_gt_u32_e64 s[0:1], s6, v22
	s_and_saveexec_b64 s[2:3], s[0:1]
	s_cbranch_execz .LBB226_36
.LBB226_52:
	s_waitcnt lgkmcnt(2)
	global_store_byte v[9:10], v24, off offset:256
	s_or_b64 exec, exec, s[2:3]
	v_cmp_gt_u32_e64 s[2:3], s6, v21
	s_and_saveexec_b64 s[4:5], s[2:3]
	s_cbranch_execz .LBB226_37
.LBB226_53:
	s_waitcnt lgkmcnt(1)
	global_store_byte v[9:10], v12, off offset:512
	s_or_b64 exec, exec, s[4:5]
	v_cmp_gt_u32_e64 s[6:7], s6, v20
	s_and_saveexec_b64 s[4:5], s[6:7]
	s_cbranch_execnz .LBB226_38
	s_branch .LBB226_39
.LBB226_54:
	v_lshl_add_u32 v6, v14, 3, v13
	ds_read_b64 v[6:7], v6
	s_waitcnt lgkmcnt(0)
	global_store_dwordx2 v[2:3], v[6:7], off
	s_or_b64 exec, exec, s[4:5]
	s_and_saveexec_b64 s[4:5], s[0:1]
	s_cbranch_execz .LBB226_41
.LBB226_55:
	s_waitcnt lgkmcnt(2)
	global_store_dwordx2 v[2:3], v[4:5], off offset:2048
	s_or_b64 exec, exec, s[4:5]
	s_and_saveexec_b64 s[0:1], s[2:3]
	s_cbranch_execnz .LBB226_42
	s_branch .LBB226_43
	.section	.rodata,"a",@progbits
	.p2align	6, 0x0
	.amdhsa_kernel _ZN7rocprim17ROCPRIM_400000_NS6detail17trampoline_kernelINS0_14default_configENS1_38merge_sort_block_merge_config_selectorIhlEEZZNS1_27merge_sort_block_merge_implIS3_PhN6thrust23THRUST_200600_302600_NS10device_ptrIlEEjNS1_19radix_merge_compareILb0ELb1EhNS0_19identity_decomposerEEEEE10hipError_tT0_T1_T2_jT3_P12ihipStream_tbPNSt15iterator_traitsISG_E10value_typeEPNSM_ISH_E10value_typeEPSI_NS1_7vsmem_tEENKUlT_SG_SH_SI_E_clIS7_S7_SB_PlEESF_SV_SG_SH_SI_EUlSV_E0_NS1_11comp_targetILNS1_3genE2ELNS1_11target_archE906ELNS1_3gpuE6ELNS1_3repE0EEENS1_38merge_mergepath_config_static_selectorELNS0_4arch9wavefront6targetE1EEEvSH_
		.amdhsa_group_segment_fixed_size 8448
		.amdhsa_private_segment_fixed_size 0
		.amdhsa_kernarg_size 320
		.amdhsa_user_sgpr_count 6
		.amdhsa_user_sgpr_private_segment_buffer 1
		.amdhsa_user_sgpr_dispatch_ptr 0
		.amdhsa_user_sgpr_queue_ptr 0
		.amdhsa_user_sgpr_kernarg_segment_ptr 1
		.amdhsa_user_sgpr_dispatch_id 0
		.amdhsa_user_sgpr_flat_scratch_init 0
		.amdhsa_user_sgpr_private_segment_size 0
		.amdhsa_uses_dynamic_stack 0
		.amdhsa_system_sgpr_private_segment_wavefront_offset 0
		.amdhsa_system_sgpr_workgroup_id_x 1
		.amdhsa_system_sgpr_workgroup_id_y 1
		.amdhsa_system_sgpr_workgroup_id_z 1
		.amdhsa_system_sgpr_workgroup_info 0
		.amdhsa_system_vgpr_workitem_id 0
		.amdhsa_next_free_vgpr 35
		.amdhsa_next_free_sgpr 77
		.amdhsa_reserve_vcc 1
		.amdhsa_reserve_flat_scratch 0
		.amdhsa_float_round_mode_32 0
		.amdhsa_float_round_mode_16_64 0
		.amdhsa_float_denorm_mode_32 3
		.amdhsa_float_denorm_mode_16_64 3
		.amdhsa_dx10_clamp 1
		.amdhsa_ieee_mode 1
		.amdhsa_fp16_overflow 0
		.amdhsa_exception_fp_ieee_invalid_op 0
		.amdhsa_exception_fp_denorm_src 0
		.amdhsa_exception_fp_ieee_div_zero 0
		.amdhsa_exception_fp_ieee_overflow 0
		.amdhsa_exception_fp_ieee_underflow 0
		.amdhsa_exception_fp_ieee_inexact 0
		.amdhsa_exception_int_div_zero 0
	.end_amdhsa_kernel
	.section	.text._ZN7rocprim17ROCPRIM_400000_NS6detail17trampoline_kernelINS0_14default_configENS1_38merge_sort_block_merge_config_selectorIhlEEZZNS1_27merge_sort_block_merge_implIS3_PhN6thrust23THRUST_200600_302600_NS10device_ptrIlEEjNS1_19radix_merge_compareILb0ELb1EhNS0_19identity_decomposerEEEEE10hipError_tT0_T1_T2_jT3_P12ihipStream_tbPNSt15iterator_traitsISG_E10value_typeEPNSM_ISH_E10value_typeEPSI_NS1_7vsmem_tEENKUlT_SG_SH_SI_E_clIS7_S7_SB_PlEESF_SV_SG_SH_SI_EUlSV_E0_NS1_11comp_targetILNS1_3genE2ELNS1_11target_archE906ELNS1_3gpuE6ELNS1_3repE0EEENS1_38merge_mergepath_config_static_selectorELNS0_4arch9wavefront6targetE1EEEvSH_,"axG",@progbits,_ZN7rocprim17ROCPRIM_400000_NS6detail17trampoline_kernelINS0_14default_configENS1_38merge_sort_block_merge_config_selectorIhlEEZZNS1_27merge_sort_block_merge_implIS3_PhN6thrust23THRUST_200600_302600_NS10device_ptrIlEEjNS1_19radix_merge_compareILb0ELb1EhNS0_19identity_decomposerEEEEE10hipError_tT0_T1_T2_jT3_P12ihipStream_tbPNSt15iterator_traitsISG_E10value_typeEPNSM_ISH_E10value_typeEPSI_NS1_7vsmem_tEENKUlT_SG_SH_SI_E_clIS7_S7_SB_PlEESF_SV_SG_SH_SI_EUlSV_E0_NS1_11comp_targetILNS1_3genE2ELNS1_11target_archE906ELNS1_3gpuE6ELNS1_3repE0EEENS1_38merge_mergepath_config_static_selectorELNS0_4arch9wavefront6targetE1EEEvSH_,comdat
.Lfunc_end226:
	.size	_ZN7rocprim17ROCPRIM_400000_NS6detail17trampoline_kernelINS0_14default_configENS1_38merge_sort_block_merge_config_selectorIhlEEZZNS1_27merge_sort_block_merge_implIS3_PhN6thrust23THRUST_200600_302600_NS10device_ptrIlEEjNS1_19radix_merge_compareILb0ELb1EhNS0_19identity_decomposerEEEEE10hipError_tT0_T1_T2_jT3_P12ihipStream_tbPNSt15iterator_traitsISG_E10value_typeEPNSM_ISH_E10value_typeEPSI_NS1_7vsmem_tEENKUlT_SG_SH_SI_E_clIS7_S7_SB_PlEESF_SV_SG_SH_SI_EUlSV_E0_NS1_11comp_targetILNS1_3genE2ELNS1_11target_archE906ELNS1_3gpuE6ELNS1_3repE0EEENS1_38merge_mergepath_config_static_selectorELNS0_4arch9wavefront6targetE1EEEvSH_, .Lfunc_end226-_ZN7rocprim17ROCPRIM_400000_NS6detail17trampoline_kernelINS0_14default_configENS1_38merge_sort_block_merge_config_selectorIhlEEZZNS1_27merge_sort_block_merge_implIS3_PhN6thrust23THRUST_200600_302600_NS10device_ptrIlEEjNS1_19radix_merge_compareILb0ELb1EhNS0_19identity_decomposerEEEEE10hipError_tT0_T1_T2_jT3_P12ihipStream_tbPNSt15iterator_traitsISG_E10value_typeEPNSM_ISH_E10value_typeEPSI_NS1_7vsmem_tEENKUlT_SG_SH_SI_E_clIS7_S7_SB_PlEESF_SV_SG_SH_SI_EUlSV_E0_NS1_11comp_targetILNS1_3genE2ELNS1_11target_archE906ELNS1_3gpuE6ELNS1_3repE0EEENS1_38merge_mergepath_config_static_selectorELNS0_4arch9wavefront6targetE1EEEvSH_
                                        ; -- End function
	.set _ZN7rocprim17ROCPRIM_400000_NS6detail17trampoline_kernelINS0_14default_configENS1_38merge_sort_block_merge_config_selectorIhlEEZZNS1_27merge_sort_block_merge_implIS3_PhN6thrust23THRUST_200600_302600_NS10device_ptrIlEEjNS1_19radix_merge_compareILb0ELb1EhNS0_19identity_decomposerEEEEE10hipError_tT0_T1_T2_jT3_P12ihipStream_tbPNSt15iterator_traitsISG_E10value_typeEPNSM_ISH_E10value_typeEPSI_NS1_7vsmem_tEENKUlT_SG_SH_SI_E_clIS7_S7_SB_PlEESF_SV_SG_SH_SI_EUlSV_E0_NS1_11comp_targetILNS1_3genE2ELNS1_11target_archE906ELNS1_3gpuE6ELNS1_3repE0EEENS1_38merge_mergepath_config_static_selectorELNS0_4arch9wavefront6targetE1EEEvSH_.num_vgpr, 35
	.set _ZN7rocprim17ROCPRIM_400000_NS6detail17trampoline_kernelINS0_14default_configENS1_38merge_sort_block_merge_config_selectorIhlEEZZNS1_27merge_sort_block_merge_implIS3_PhN6thrust23THRUST_200600_302600_NS10device_ptrIlEEjNS1_19radix_merge_compareILb0ELb1EhNS0_19identity_decomposerEEEEE10hipError_tT0_T1_T2_jT3_P12ihipStream_tbPNSt15iterator_traitsISG_E10value_typeEPNSM_ISH_E10value_typeEPSI_NS1_7vsmem_tEENKUlT_SG_SH_SI_E_clIS7_S7_SB_PlEESF_SV_SG_SH_SI_EUlSV_E0_NS1_11comp_targetILNS1_3genE2ELNS1_11target_archE906ELNS1_3gpuE6ELNS1_3repE0EEENS1_38merge_mergepath_config_static_selectorELNS0_4arch9wavefront6targetE1EEEvSH_.num_agpr, 0
	.set _ZN7rocprim17ROCPRIM_400000_NS6detail17trampoline_kernelINS0_14default_configENS1_38merge_sort_block_merge_config_selectorIhlEEZZNS1_27merge_sort_block_merge_implIS3_PhN6thrust23THRUST_200600_302600_NS10device_ptrIlEEjNS1_19radix_merge_compareILb0ELb1EhNS0_19identity_decomposerEEEEE10hipError_tT0_T1_T2_jT3_P12ihipStream_tbPNSt15iterator_traitsISG_E10value_typeEPNSM_ISH_E10value_typeEPSI_NS1_7vsmem_tEENKUlT_SG_SH_SI_E_clIS7_S7_SB_PlEESF_SV_SG_SH_SI_EUlSV_E0_NS1_11comp_targetILNS1_3genE2ELNS1_11target_archE906ELNS1_3gpuE6ELNS1_3repE0EEENS1_38merge_mergepath_config_static_selectorELNS0_4arch9wavefront6targetE1EEEvSH_.numbered_sgpr, 31
	.set _ZN7rocprim17ROCPRIM_400000_NS6detail17trampoline_kernelINS0_14default_configENS1_38merge_sort_block_merge_config_selectorIhlEEZZNS1_27merge_sort_block_merge_implIS3_PhN6thrust23THRUST_200600_302600_NS10device_ptrIlEEjNS1_19radix_merge_compareILb0ELb1EhNS0_19identity_decomposerEEEEE10hipError_tT0_T1_T2_jT3_P12ihipStream_tbPNSt15iterator_traitsISG_E10value_typeEPNSM_ISH_E10value_typeEPSI_NS1_7vsmem_tEENKUlT_SG_SH_SI_E_clIS7_S7_SB_PlEESF_SV_SG_SH_SI_EUlSV_E0_NS1_11comp_targetILNS1_3genE2ELNS1_11target_archE906ELNS1_3gpuE6ELNS1_3repE0EEENS1_38merge_mergepath_config_static_selectorELNS0_4arch9wavefront6targetE1EEEvSH_.num_named_barrier, 0
	.set _ZN7rocprim17ROCPRIM_400000_NS6detail17trampoline_kernelINS0_14default_configENS1_38merge_sort_block_merge_config_selectorIhlEEZZNS1_27merge_sort_block_merge_implIS3_PhN6thrust23THRUST_200600_302600_NS10device_ptrIlEEjNS1_19radix_merge_compareILb0ELb1EhNS0_19identity_decomposerEEEEE10hipError_tT0_T1_T2_jT3_P12ihipStream_tbPNSt15iterator_traitsISG_E10value_typeEPNSM_ISH_E10value_typeEPSI_NS1_7vsmem_tEENKUlT_SG_SH_SI_E_clIS7_S7_SB_PlEESF_SV_SG_SH_SI_EUlSV_E0_NS1_11comp_targetILNS1_3genE2ELNS1_11target_archE906ELNS1_3gpuE6ELNS1_3repE0EEENS1_38merge_mergepath_config_static_selectorELNS0_4arch9wavefront6targetE1EEEvSH_.private_seg_size, 0
	.set _ZN7rocprim17ROCPRIM_400000_NS6detail17trampoline_kernelINS0_14default_configENS1_38merge_sort_block_merge_config_selectorIhlEEZZNS1_27merge_sort_block_merge_implIS3_PhN6thrust23THRUST_200600_302600_NS10device_ptrIlEEjNS1_19radix_merge_compareILb0ELb1EhNS0_19identity_decomposerEEEEE10hipError_tT0_T1_T2_jT3_P12ihipStream_tbPNSt15iterator_traitsISG_E10value_typeEPNSM_ISH_E10value_typeEPSI_NS1_7vsmem_tEENKUlT_SG_SH_SI_E_clIS7_S7_SB_PlEESF_SV_SG_SH_SI_EUlSV_E0_NS1_11comp_targetILNS1_3genE2ELNS1_11target_archE906ELNS1_3gpuE6ELNS1_3repE0EEENS1_38merge_mergepath_config_static_selectorELNS0_4arch9wavefront6targetE1EEEvSH_.uses_vcc, 1
	.set _ZN7rocprim17ROCPRIM_400000_NS6detail17trampoline_kernelINS0_14default_configENS1_38merge_sort_block_merge_config_selectorIhlEEZZNS1_27merge_sort_block_merge_implIS3_PhN6thrust23THRUST_200600_302600_NS10device_ptrIlEEjNS1_19radix_merge_compareILb0ELb1EhNS0_19identity_decomposerEEEEE10hipError_tT0_T1_T2_jT3_P12ihipStream_tbPNSt15iterator_traitsISG_E10value_typeEPNSM_ISH_E10value_typeEPSI_NS1_7vsmem_tEENKUlT_SG_SH_SI_E_clIS7_S7_SB_PlEESF_SV_SG_SH_SI_EUlSV_E0_NS1_11comp_targetILNS1_3genE2ELNS1_11target_archE906ELNS1_3gpuE6ELNS1_3repE0EEENS1_38merge_mergepath_config_static_selectorELNS0_4arch9wavefront6targetE1EEEvSH_.uses_flat_scratch, 0
	.set _ZN7rocprim17ROCPRIM_400000_NS6detail17trampoline_kernelINS0_14default_configENS1_38merge_sort_block_merge_config_selectorIhlEEZZNS1_27merge_sort_block_merge_implIS3_PhN6thrust23THRUST_200600_302600_NS10device_ptrIlEEjNS1_19radix_merge_compareILb0ELb1EhNS0_19identity_decomposerEEEEE10hipError_tT0_T1_T2_jT3_P12ihipStream_tbPNSt15iterator_traitsISG_E10value_typeEPNSM_ISH_E10value_typeEPSI_NS1_7vsmem_tEENKUlT_SG_SH_SI_E_clIS7_S7_SB_PlEESF_SV_SG_SH_SI_EUlSV_E0_NS1_11comp_targetILNS1_3genE2ELNS1_11target_archE906ELNS1_3gpuE6ELNS1_3repE0EEENS1_38merge_mergepath_config_static_selectorELNS0_4arch9wavefront6targetE1EEEvSH_.has_dyn_sized_stack, 0
	.set _ZN7rocprim17ROCPRIM_400000_NS6detail17trampoline_kernelINS0_14default_configENS1_38merge_sort_block_merge_config_selectorIhlEEZZNS1_27merge_sort_block_merge_implIS3_PhN6thrust23THRUST_200600_302600_NS10device_ptrIlEEjNS1_19radix_merge_compareILb0ELb1EhNS0_19identity_decomposerEEEEE10hipError_tT0_T1_T2_jT3_P12ihipStream_tbPNSt15iterator_traitsISG_E10value_typeEPNSM_ISH_E10value_typeEPSI_NS1_7vsmem_tEENKUlT_SG_SH_SI_E_clIS7_S7_SB_PlEESF_SV_SG_SH_SI_EUlSV_E0_NS1_11comp_targetILNS1_3genE2ELNS1_11target_archE906ELNS1_3gpuE6ELNS1_3repE0EEENS1_38merge_mergepath_config_static_selectorELNS0_4arch9wavefront6targetE1EEEvSH_.has_recursion, 0
	.set _ZN7rocprim17ROCPRIM_400000_NS6detail17trampoline_kernelINS0_14default_configENS1_38merge_sort_block_merge_config_selectorIhlEEZZNS1_27merge_sort_block_merge_implIS3_PhN6thrust23THRUST_200600_302600_NS10device_ptrIlEEjNS1_19radix_merge_compareILb0ELb1EhNS0_19identity_decomposerEEEEE10hipError_tT0_T1_T2_jT3_P12ihipStream_tbPNSt15iterator_traitsISG_E10value_typeEPNSM_ISH_E10value_typeEPSI_NS1_7vsmem_tEENKUlT_SG_SH_SI_E_clIS7_S7_SB_PlEESF_SV_SG_SH_SI_EUlSV_E0_NS1_11comp_targetILNS1_3genE2ELNS1_11target_archE906ELNS1_3gpuE6ELNS1_3repE0EEENS1_38merge_mergepath_config_static_selectorELNS0_4arch9wavefront6targetE1EEEvSH_.has_indirect_call, 0
	.section	.AMDGPU.csdata,"",@progbits
; Kernel info:
; codeLenInByte = 3456
; TotalNumSgprs: 35
; NumVgprs: 35
; ScratchSize: 0
; MemoryBound: 0
; FloatMode: 240
; IeeeMode: 1
; LDSByteSize: 8448 bytes/workgroup (compile time only)
; SGPRBlocks: 10
; VGPRBlocks: 8
; NumSGPRsForWavesPerEU: 81
; NumVGPRsForWavesPerEU: 35
; Occupancy: 7
; WaveLimiterHint : 1
; COMPUTE_PGM_RSRC2:SCRATCH_EN: 0
; COMPUTE_PGM_RSRC2:USER_SGPR: 6
; COMPUTE_PGM_RSRC2:TRAP_HANDLER: 0
; COMPUTE_PGM_RSRC2:TGID_X_EN: 1
; COMPUTE_PGM_RSRC2:TGID_Y_EN: 1
; COMPUTE_PGM_RSRC2:TGID_Z_EN: 1
; COMPUTE_PGM_RSRC2:TIDIG_COMP_CNT: 0
	.section	.text._ZN7rocprim17ROCPRIM_400000_NS6detail17trampoline_kernelINS0_14default_configENS1_38merge_sort_block_merge_config_selectorIhlEEZZNS1_27merge_sort_block_merge_implIS3_PhN6thrust23THRUST_200600_302600_NS10device_ptrIlEEjNS1_19radix_merge_compareILb0ELb1EhNS0_19identity_decomposerEEEEE10hipError_tT0_T1_T2_jT3_P12ihipStream_tbPNSt15iterator_traitsISG_E10value_typeEPNSM_ISH_E10value_typeEPSI_NS1_7vsmem_tEENKUlT_SG_SH_SI_E_clIS7_S7_SB_PlEESF_SV_SG_SH_SI_EUlSV_E0_NS1_11comp_targetILNS1_3genE9ELNS1_11target_archE1100ELNS1_3gpuE3ELNS1_3repE0EEENS1_38merge_mergepath_config_static_selectorELNS0_4arch9wavefront6targetE1EEEvSH_,"axG",@progbits,_ZN7rocprim17ROCPRIM_400000_NS6detail17trampoline_kernelINS0_14default_configENS1_38merge_sort_block_merge_config_selectorIhlEEZZNS1_27merge_sort_block_merge_implIS3_PhN6thrust23THRUST_200600_302600_NS10device_ptrIlEEjNS1_19radix_merge_compareILb0ELb1EhNS0_19identity_decomposerEEEEE10hipError_tT0_T1_T2_jT3_P12ihipStream_tbPNSt15iterator_traitsISG_E10value_typeEPNSM_ISH_E10value_typeEPSI_NS1_7vsmem_tEENKUlT_SG_SH_SI_E_clIS7_S7_SB_PlEESF_SV_SG_SH_SI_EUlSV_E0_NS1_11comp_targetILNS1_3genE9ELNS1_11target_archE1100ELNS1_3gpuE3ELNS1_3repE0EEENS1_38merge_mergepath_config_static_selectorELNS0_4arch9wavefront6targetE1EEEvSH_,comdat
	.protected	_ZN7rocprim17ROCPRIM_400000_NS6detail17trampoline_kernelINS0_14default_configENS1_38merge_sort_block_merge_config_selectorIhlEEZZNS1_27merge_sort_block_merge_implIS3_PhN6thrust23THRUST_200600_302600_NS10device_ptrIlEEjNS1_19radix_merge_compareILb0ELb1EhNS0_19identity_decomposerEEEEE10hipError_tT0_T1_T2_jT3_P12ihipStream_tbPNSt15iterator_traitsISG_E10value_typeEPNSM_ISH_E10value_typeEPSI_NS1_7vsmem_tEENKUlT_SG_SH_SI_E_clIS7_S7_SB_PlEESF_SV_SG_SH_SI_EUlSV_E0_NS1_11comp_targetILNS1_3genE9ELNS1_11target_archE1100ELNS1_3gpuE3ELNS1_3repE0EEENS1_38merge_mergepath_config_static_selectorELNS0_4arch9wavefront6targetE1EEEvSH_ ; -- Begin function _ZN7rocprim17ROCPRIM_400000_NS6detail17trampoline_kernelINS0_14default_configENS1_38merge_sort_block_merge_config_selectorIhlEEZZNS1_27merge_sort_block_merge_implIS3_PhN6thrust23THRUST_200600_302600_NS10device_ptrIlEEjNS1_19radix_merge_compareILb0ELb1EhNS0_19identity_decomposerEEEEE10hipError_tT0_T1_T2_jT3_P12ihipStream_tbPNSt15iterator_traitsISG_E10value_typeEPNSM_ISH_E10value_typeEPSI_NS1_7vsmem_tEENKUlT_SG_SH_SI_E_clIS7_S7_SB_PlEESF_SV_SG_SH_SI_EUlSV_E0_NS1_11comp_targetILNS1_3genE9ELNS1_11target_archE1100ELNS1_3gpuE3ELNS1_3repE0EEENS1_38merge_mergepath_config_static_selectorELNS0_4arch9wavefront6targetE1EEEvSH_
	.globl	_ZN7rocprim17ROCPRIM_400000_NS6detail17trampoline_kernelINS0_14default_configENS1_38merge_sort_block_merge_config_selectorIhlEEZZNS1_27merge_sort_block_merge_implIS3_PhN6thrust23THRUST_200600_302600_NS10device_ptrIlEEjNS1_19radix_merge_compareILb0ELb1EhNS0_19identity_decomposerEEEEE10hipError_tT0_T1_T2_jT3_P12ihipStream_tbPNSt15iterator_traitsISG_E10value_typeEPNSM_ISH_E10value_typeEPSI_NS1_7vsmem_tEENKUlT_SG_SH_SI_E_clIS7_S7_SB_PlEESF_SV_SG_SH_SI_EUlSV_E0_NS1_11comp_targetILNS1_3genE9ELNS1_11target_archE1100ELNS1_3gpuE3ELNS1_3repE0EEENS1_38merge_mergepath_config_static_selectorELNS0_4arch9wavefront6targetE1EEEvSH_
	.p2align	8
	.type	_ZN7rocprim17ROCPRIM_400000_NS6detail17trampoline_kernelINS0_14default_configENS1_38merge_sort_block_merge_config_selectorIhlEEZZNS1_27merge_sort_block_merge_implIS3_PhN6thrust23THRUST_200600_302600_NS10device_ptrIlEEjNS1_19radix_merge_compareILb0ELb1EhNS0_19identity_decomposerEEEEE10hipError_tT0_T1_T2_jT3_P12ihipStream_tbPNSt15iterator_traitsISG_E10value_typeEPNSM_ISH_E10value_typeEPSI_NS1_7vsmem_tEENKUlT_SG_SH_SI_E_clIS7_S7_SB_PlEESF_SV_SG_SH_SI_EUlSV_E0_NS1_11comp_targetILNS1_3genE9ELNS1_11target_archE1100ELNS1_3gpuE3ELNS1_3repE0EEENS1_38merge_mergepath_config_static_selectorELNS0_4arch9wavefront6targetE1EEEvSH_,@function
_ZN7rocprim17ROCPRIM_400000_NS6detail17trampoline_kernelINS0_14default_configENS1_38merge_sort_block_merge_config_selectorIhlEEZZNS1_27merge_sort_block_merge_implIS3_PhN6thrust23THRUST_200600_302600_NS10device_ptrIlEEjNS1_19radix_merge_compareILb0ELb1EhNS0_19identity_decomposerEEEEE10hipError_tT0_T1_T2_jT3_P12ihipStream_tbPNSt15iterator_traitsISG_E10value_typeEPNSM_ISH_E10value_typeEPSI_NS1_7vsmem_tEENKUlT_SG_SH_SI_E_clIS7_S7_SB_PlEESF_SV_SG_SH_SI_EUlSV_E0_NS1_11comp_targetILNS1_3genE9ELNS1_11target_archE1100ELNS1_3gpuE3ELNS1_3repE0EEENS1_38merge_mergepath_config_static_selectorELNS0_4arch9wavefront6targetE1EEEvSH_: ; @_ZN7rocprim17ROCPRIM_400000_NS6detail17trampoline_kernelINS0_14default_configENS1_38merge_sort_block_merge_config_selectorIhlEEZZNS1_27merge_sort_block_merge_implIS3_PhN6thrust23THRUST_200600_302600_NS10device_ptrIlEEjNS1_19radix_merge_compareILb0ELb1EhNS0_19identity_decomposerEEEEE10hipError_tT0_T1_T2_jT3_P12ihipStream_tbPNSt15iterator_traitsISG_E10value_typeEPNSM_ISH_E10value_typeEPSI_NS1_7vsmem_tEENKUlT_SG_SH_SI_E_clIS7_S7_SB_PlEESF_SV_SG_SH_SI_EUlSV_E0_NS1_11comp_targetILNS1_3genE9ELNS1_11target_archE1100ELNS1_3gpuE3ELNS1_3repE0EEENS1_38merge_mergepath_config_static_selectorELNS0_4arch9wavefront6targetE1EEEvSH_
; %bb.0:
	.section	.rodata,"a",@progbits
	.p2align	6, 0x0
	.amdhsa_kernel _ZN7rocprim17ROCPRIM_400000_NS6detail17trampoline_kernelINS0_14default_configENS1_38merge_sort_block_merge_config_selectorIhlEEZZNS1_27merge_sort_block_merge_implIS3_PhN6thrust23THRUST_200600_302600_NS10device_ptrIlEEjNS1_19radix_merge_compareILb0ELb1EhNS0_19identity_decomposerEEEEE10hipError_tT0_T1_T2_jT3_P12ihipStream_tbPNSt15iterator_traitsISG_E10value_typeEPNSM_ISH_E10value_typeEPSI_NS1_7vsmem_tEENKUlT_SG_SH_SI_E_clIS7_S7_SB_PlEESF_SV_SG_SH_SI_EUlSV_E0_NS1_11comp_targetILNS1_3genE9ELNS1_11target_archE1100ELNS1_3gpuE3ELNS1_3repE0EEENS1_38merge_mergepath_config_static_selectorELNS0_4arch9wavefront6targetE1EEEvSH_
		.amdhsa_group_segment_fixed_size 0
		.amdhsa_private_segment_fixed_size 0
		.amdhsa_kernarg_size 64
		.amdhsa_user_sgpr_count 6
		.amdhsa_user_sgpr_private_segment_buffer 1
		.amdhsa_user_sgpr_dispatch_ptr 0
		.amdhsa_user_sgpr_queue_ptr 0
		.amdhsa_user_sgpr_kernarg_segment_ptr 1
		.amdhsa_user_sgpr_dispatch_id 0
		.amdhsa_user_sgpr_flat_scratch_init 0
		.amdhsa_user_sgpr_private_segment_size 0
		.amdhsa_uses_dynamic_stack 0
		.amdhsa_system_sgpr_private_segment_wavefront_offset 0
		.amdhsa_system_sgpr_workgroup_id_x 1
		.amdhsa_system_sgpr_workgroup_id_y 0
		.amdhsa_system_sgpr_workgroup_id_z 0
		.amdhsa_system_sgpr_workgroup_info 0
		.amdhsa_system_vgpr_workitem_id 0
		.amdhsa_next_free_vgpr 1
		.amdhsa_next_free_sgpr 0
		.amdhsa_reserve_vcc 0
		.amdhsa_reserve_flat_scratch 0
		.amdhsa_float_round_mode_32 0
		.amdhsa_float_round_mode_16_64 0
		.amdhsa_float_denorm_mode_32 3
		.amdhsa_float_denorm_mode_16_64 3
		.amdhsa_dx10_clamp 1
		.amdhsa_ieee_mode 1
		.amdhsa_fp16_overflow 0
		.amdhsa_exception_fp_ieee_invalid_op 0
		.amdhsa_exception_fp_denorm_src 0
		.amdhsa_exception_fp_ieee_div_zero 0
		.amdhsa_exception_fp_ieee_overflow 0
		.amdhsa_exception_fp_ieee_underflow 0
		.amdhsa_exception_fp_ieee_inexact 0
		.amdhsa_exception_int_div_zero 0
	.end_amdhsa_kernel
	.section	.text._ZN7rocprim17ROCPRIM_400000_NS6detail17trampoline_kernelINS0_14default_configENS1_38merge_sort_block_merge_config_selectorIhlEEZZNS1_27merge_sort_block_merge_implIS3_PhN6thrust23THRUST_200600_302600_NS10device_ptrIlEEjNS1_19radix_merge_compareILb0ELb1EhNS0_19identity_decomposerEEEEE10hipError_tT0_T1_T2_jT3_P12ihipStream_tbPNSt15iterator_traitsISG_E10value_typeEPNSM_ISH_E10value_typeEPSI_NS1_7vsmem_tEENKUlT_SG_SH_SI_E_clIS7_S7_SB_PlEESF_SV_SG_SH_SI_EUlSV_E0_NS1_11comp_targetILNS1_3genE9ELNS1_11target_archE1100ELNS1_3gpuE3ELNS1_3repE0EEENS1_38merge_mergepath_config_static_selectorELNS0_4arch9wavefront6targetE1EEEvSH_,"axG",@progbits,_ZN7rocprim17ROCPRIM_400000_NS6detail17trampoline_kernelINS0_14default_configENS1_38merge_sort_block_merge_config_selectorIhlEEZZNS1_27merge_sort_block_merge_implIS3_PhN6thrust23THRUST_200600_302600_NS10device_ptrIlEEjNS1_19radix_merge_compareILb0ELb1EhNS0_19identity_decomposerEEEEE10hipError_tT0_T1_T2_jT3_P12ihipStream_tbPNSt15iterator_traitsISG_E10value_typeEPNSM_ISH_E10value_typeEPSI_NS1_7vsmem_tEENKUlT_SG_SH_SI_E_clIS7_S7_SB_PlEESF_SV_SG_SH_SI_EUlSV_E0_NS1_11comp_targetILNS1_3genE9ELNS1_11target_archE1100ELNS1_3gpuE3ELNS1_3repE0EEENS1_38merge_mergepath_config_static_selectorELNS0_4arch9wavefront6targetE1EEEvSH_,comdat
.Lfunc_end227:
	.size	_ZN7rocprim17ROCPRIM_400000_NS6detail17trampoline_kernelINS0_14default_configENS1_38merge_sort_block_merge_config_selectorIhlEEZZNS1_27merge_sort_block_merge_implIS3_PhN6thrust23THRUST_200600_302600_NS10device_ptrIlEEjNS1_19radix_merge_compareILb0ELb1EhNS0_19identity_decomposerEEEEE10hipError_tT0_T1_T2_jT3_P12ihipStream_tbPNSt15iterator_traitsISG_E10value_typeEPNSM_ISH_E10value_typeEPSI_NS1_7vsmem_tEENKUlT_SG_SH_SI_E_clIS7_S7_SB_PlEESF_SV_SG_SH_SI_EUlSV_E0_NS1_11comp_targetILNS1_3genE9ELNS1_11target_archE1100ELNS1_3gpuE3ELNS1_3repE0EEENS1_38merge_mergepath_config_static_selectorELNS0_4arch9wavefront6targetE1EEEvSH_, .Lfunc_end227-_ZN7rocprim17ROCPRIM_400000_NS6detail17trampoline_kernelINS0_14default_configENS1_38merge_sort_block_merge_config_selectorIhlEEZZNS1_27merge_sort_block_merge_implIS3_PhN6thrust23THRUST_200600_302600_NS10device_ptrIlEEjNS1_19radix_merge_compareILb0ELb1EhNS0_19identity_decomposerEEEEE10hipError_tT0_T1_T2_jT3_P12ihipStream_tbPNSt15iterator_traitsISG_E10value_typeEPNSM_ISH_E10value_typeEPSI_NS1_7vsmem_tEENKUlT_SG_SH_SI_E_clIS7_S7_SB_PlEESF_SV_SG_SH_SI_EUlSV_E0_NS1_11comp_targetILNS1_3genE9ELNS1_11target_archE1100ELNS1_3gpuE3ELNS1_3repE0EEENS1_38merge_mergepath_config_static_selectorELNS0_4arch9wavefront6targetE1EEEvSH_
                                        ; -- End function
	.set _ZN7rocprim17ROCPRIM_400000_NS6detail17trampoline_kernelINS0_14default_configENS1_38merge_sort_block_merge_config_selectorIhlEEZZNS1_27merge_sort_block_merge_implIS3_PhN6thrust23THRUST_200600_302600_NS10device_ptrIlEEjNS1_19radix_merge_compareILb0ELb1EhNS0_19identity_decomposerEEEEE10hipError_tT0_T1_T2_jT3_P12ihipStream_tbPNSt15iterator_traitsISG_E10value_typeEPNSM_ISH_E10value_typeEPSI_NS1_7vsmem_tEENKUlT_SG_SH_SI_E_clIS7_S7_SB_PlEESF_SV_SG_SH_SI_EUlSV_E0_NS1_11comp_targetILNS1_3genE9ELNS1_11target_archE1100ELNS1_3gpuE3ELNS1_3repE0EEENS1_38merge_mergepath_config_static_selectorELNS0_4arch9wavefront6targetE1EEEvSH_.num_vgpr, 0
	.set _ZN7rocprim17ROCPRIM_400000_NS6detail17trampoline_kernelINS0_14default_configENS1_38merge_sort_block_merge_config_selectorIhlEEZZNS1_27merge_sort_block_merge_implIS3_PhN6thrust23THRUST_200600_302600_NS10device_ptrIlEEjNS1_19radix_merge_compareILb0ELb1EhNS0_19identity_decomposerEEEEE10hipError_tT0_T1_T2_jT3_P12ihipStream_tbPNSt15iterator_traitsISG_E10value_typeEPNSM_ISH_E10value_typeEPSI_NS1_7vsmem_tEENKUlT_SG_SH_SI_E_clIS7_S7_SB_PlEESF_SV_SG_SH_SI_EUlSV_E0_NS1_11comp_targetILNS1_3genE9ELNS1_11target_archE1100ELNS1_3gpuE3ELNS1_3repE0EEENS1_38merge_mergepath_config_static_selectorELNS0_4arch9wavefront6targetE1EEEvSH_.num_agpr, 0
	.set _ZN7rocprim17ROCPRIM_400000_NS6detail17trampoline_kernelINS0_14default_configENS1_38merge_sort_block_merge_config_selectorIhlEEZZNS1_27merge_sort_block_merge_implIS3_PhN6thrust23THRUST_200600_302600_NS10device_ptrIlEEjNS1_19radix_merge_compareILb0ELb1EhNS0_19identity_decomposerEEEEE10hipError_tT0_T1_T2_jT3_P12ihipStream_tbPNSt15iterator_traitsISG_E10value_typeEPNSM_ISH_E10value_typeEPSI_NS1_7vsmem_tEENKUlT_SG_SH_SI_E_clIS7_S7_SB_PlEESF_SV_SG_SH_SI_EUlSV_E0_NS1_11comp_targetILNS1_3genE9ELNS1_11target_archE1100ELNS1_3gpuE3ELNS1_3repE0EEENS1_38merge_mergepath_config_static_selectorELNS0_4arch9wavefront6targetE1EEEvSH_.numbered_sgpr, 0
	.set _ZN7rocprim17ROCPRIM_400000_NS6detail17trampoline_kernelINS0_14default_configENS1_38merge_sort_block_merge_config_selectorIhlEEZZNS1_27merge_sort_block_merge_implIS3_PhN6thrust23THRUST_200600_302600_NS10device_ptrIlEEjNS1_19radix_merge_compareILb0ELb1EhNS0_19identity_decomposerEEEEE10hipError_tT0_T1_T2_jT3_P12ihipStream_tbPNSt15iterator_traitsISG_E10value_typeEPNSM_ISH_E10value_typeEPSI_NS1_7vsmem_tEENKUlT_SG_SH_SI_E_clIS7_S7_SB_PlEESF_SV_SG_SH_SI_EUlSV_E0_NS1_11comp_targetILNS1_3genE9ELNS1_11target_archE1100ELNS1_3gpuE3ELNS1_3repE0EEENS1_38merge_mergepath_config_static_selectorELNS0_4arch9wavefront6targetE1EEEvSH_.num_named_barrier, 0
	.set _ZN7rocprim17ROCPRIM_400000_NS6detail17trampoline_kernelINS0_14default_configENS1_38merge_sort_block_merge_config_selectorIhlEEZZNS1_27merge_sort_block_merge_implIS3_PhN6thrust23THRUST_200600_302600_NS10device_ptrIlEEjNS1_19radix_merge_compareILb0ELb1EhNS0_19identity_decomposerEEEEE10hipError_tT0_T1_T2_jT3_P12ihipStream_tbPNSt15iterator_traitsISG_E10value_typeEPNSM_ISH_E10value_typeEPSI_NS1_7vsmem_tEENKUlT_SG_SH_SI_E_clIS7_S7_SB_PlEESF_SV_SG_SH_SI_EUlSV_E0_NS1_11comp_targetILNS1_3genE9ELNS1_11target_archE1100ELNS1_3gpuE3ELNS1_3repE0EEENS1_38merge_mergepath_config_static_selectorELNS0_4arch9wavefront6targetE1EEEvSH_.private_seg_size, 0
	.set _ZN7rocprim17ROCPRIM_400000_NS6detail17trampoline_kernelINS0_14default_configENS1_38merge_sort_block_merge_config_selectorIhlEEZZNS1_27merge_sort_block_merge_implIS3_PhN6thrust23THRUST_200600_302600_NS10device_ptrIlEEjNS1_19radix_merge_compareILb0ELb1EhNS0_19identity_decomposerEEEEE10hipError_tT0_T1_T2_jT3_P12ihipStream_tbPNSt15iterator_traitsISG_E10value_typeEPNSM_ISH_E10value_typeEPSI_NS1_7vsmem_tEENKUlT_SG_SH_SI_E_clIS7_S7_SB_PlEESF_SV_SG_SH_SI_EUlSV_E0_NS1_11comp_targetILNS1_3genE9ELNS1_11target_archE1100ELNS1_3gpuE3ELNS1_3repE0EEENS1_38merge_mergepath_config_static_selectorELNS0_4arch9wavefront6targetE1EEEvSH_.uses_vcc, 0
	.set _ZN7rocprim17ROCPRIM_400000_NS6detail17trampoline_kernelINS0_14default_configENS1_38merge_sort_block_merge_config_selectorIhlEEZZNS1_27merge_sort_block_merge_implIS3_PhN6thrust23THRUST_200600_302600_NS10device_ptrIlEEjNS1_19radix_merge_compareILb0ELb1EhNS0_19identity_decomposerEEEEE10hipError_tT0_T1_T2_jT3_P12ihipStream_tbPNSt15iterator_traitsISG_E10value_typeEPNSM_ISH_E10value_typeEPSI_NS1_7vsmem_tEENKUlT_SG_SH_SI_E_clIS7_S7_SB_PlEESF_SV_SG_SH_SI_EUlSV_E0_NS1_11comp_targetILNS1_3genE9ELNS1_11target_archE1100ELNS1_3gpuE3ELNS1_3repE0EEENS1_38merge_mergepath_config_static_selectorELNS0_4arch9wavefront6targetE1EEEvSH_.uses_flat_scratch, 0
	.set _ZN7rocprim17ROCPRIM_400000_NS6detail17trampoline_kernelINS0_14default_configENS1_38merge_sort_block_merge_config_selectorIhlEEZZNS1_27merge_sort_block_merge_implIS3_PhN6thrust23THRUST_200600_302600_NS10device_ptrIlEEjNS1_19radix_merge_compareILb0ELb1EhNS0_19identity_decomposerEEEEE10hipError_tT0_T1_T2_jT3_P12ihipStream_tbPNSt15iterator_traitsISG_E10value_typeEPNSM_ISH_E10value_typeEPSI_NS1_7vsmem_tEENKUlT_SG_SH_SI_E_clIS7_S7_SB_PlEESF_SV_SG_SH_SI_EUlSV_E0_NS1_11comp_targetILNS1_3genE9ELNS1_11target_archE1100ELNS1_3gpuE3ELNS1_3repE0EEENS1_38merge_mergepath_config_static_selectorELNS0_4arch9wavefront6targetE1EEEvSH_.has_dyn_sized_stack, 0
	.set _ZN7rocprim17ROCPRIM_400000_NS6detail17trampoline_kernelINS0_14default_configENS1_38merge_sort_block_merge_config_selectorIhlEEZZNS1_27merge_sort_block_merge_implIS3_PhN6thrust23THRUST_200600_302600_NS10device_ptrIlEEjNS1_19radix_merge_compareILb0ELb1EhNS0_19identity_decomposerEEEEE10hipError_tT0_T1_T2_jT3_P12ihipStream_tbPNSt15iterator_traitsISG_E10value_typeEPNSM_ISH_E10value_typeEPSI_NS1_7vsmem_tEENKUlT_SG_SH_SI_E_clIS7_S7_SB_PlEESF_SV_SG_SH_SI_EUlSV_E0_NS1_11comp_targetILNS1_3genE9ELNS1_11target_archE1100ELNS1_3gpuE3ELNS1_3repE0EEENS1_38merge_mergepath_config_static_selectorELNS0_4arch9wavefront6targetE1EEEvSH_.has_recursion, 0
	.set _ZN7rocprim17ROCPRIM_400000_NS6detail17trampoline_kernelINS0_14default_configENS1_38merge_sort_block_merge_config_selectorIhlEEZZNS1_27merge_sort_block_merge_implIS3_PhN6thrust23THRUST_200600_302600_NS10device_ptrIlEEjNS1_19radix_merge_compareILb0ELb1EhNS0_19identity_decomposerEEEEE10hipError_tT0_T1_T2_jT3_P12ihipStream_tbPNSt15iterator_traitsISG_E10value_typeEPNSM_ISH_E10value_typeEPSI_NS1_7vsmem_tEENKUlT_SG_SH_SI_E_clIS7_S7_SB_PlEESF_SV_SG_SH_SI_EUlSV_E0_NS1_11comp_targetILNS1_3genE9ELNS1_11target_archE1100ELNS1_3gpuE3ELNS1_3repE0EEENS1_38merge_mergepath_config_static_selectorELNS0_4arch9wavefront6targetE1EEEvSH_.has_indirect_call, 0
	.section	.AMDGPU.csdata,"",@progbits
; Kernel info:
; codeLenInByte = 0
; TotalNumSgprs: 4
; NumVgprs: 0
; ScratchSize: 0
; MemoryBound: 0
; FloatMode: 240
; IeeeMode: 1
; LDSByteSize: 0 bytes/workgroup (compile time only)
; SGPRBlocks: 0
; VGPRBlocks: 0
; NumSGPRsForWavesPerEU: 4
; NumVGPRsForWavesPerEU: 1
; Occupancy: 10
; WaveLimiterHint : 0
; COMPUTE_PGM_RSRC2:SCRATCH_EN: 0
; COMPUTE_PGM_RSRC2:USER_SGPR: 6
; COMPUTE_PGM_RSRC2:TRAP_HANDLER: 0
; COMPUTE_PGM_RSRC2:TGID_X_EN: 1
; COMPUTE_PGM_RSRC2:TGID_Y_EN: 0
; COMPUTE_PGM_RSRC2:TGID_Z_EN: 0
; COMPUTE_PGM_RSRC2:TIDIG_COMP_CNT: 0
	.section	.text._ZN7rocprim17ROCPRIM_400000_NS6detail17trampoline_kernelINS0_14default_configENS1_38merge_sort_block_merge_config_selectorIhlEEZZNS1_27merge_sort_block_merge_implIS3_PhN6thrust23THRUST_200600_302600_NS10device_ptrIlEEjNS1_19radix_merge_compareILb0ELb1EhNS0_19identity_decomposerEEEEE10hipError_tT0_T1_T2_jT3_P12ihipStream_tbPNSt15iterator_traitsISG_E10value_typeEPNSM_ISH_E10value_typeEPSI_NS1_7vsmem_tEENKUlT_SG_SH_SI_E_clIS7_S7_SB_PlEESF_SV_SG_SH_SI_EUlSV_E0_NS1_11comp_targetILNS1_3genE8ELNS1_11target_archE1030ELNS1_3gpuE2ELNS1_3repE0EEENS1_38merge_mergepath_config_static_selectorELNS0_4arch9wavefront6targetE1EEEvSH_,"axG",@progbits,_ZN7rocprim17ROCPRIM_400000_NS6detail17trampoline_kernelINS0_14default_configENS1_38merge_sort_block_merge_config_selectorIhlEEZZNS1_27merge_sort_block_merge_implIS3_PhN6thrust23THRUST_200600_302600_NS10device_ptrIlEEjNS1_19radix_merge_compareILb0ELb1EhNS0_19identity_decomposerEEEEE10hipError_tT0_T1_T2_jT3_P12ihipStream_tbPNSt15iterator_traitsISG_E10value_typeEPNSM_ISH_E10value_typeEPSI_NS1_7vsmem_tEENKUlT_SG_SH_SI_E_clIS7_S7_SB_PlEESF_SV_SG_SH_SI_EUlSV_E0_NS1_11comp_targetILNS1_3genE8ELNS1_11target_archE1030ELNS1_3gpuE2ELNS1_3repE0EEENS1_38merge_mergepath_config_static_selectorELNS0_4arch9wavefront6targetE1EEEvSH_,comdat
	.protected	_ZN7rocprim17ROCPRIM_400000_NS6detail17trampoline_kernelINS0_14default_configENS1_38merge_sort_block_merge_config_selectorIhlEEZZNS1_27merge_sort_block_merge_implIS3_PhN6thrust23THRUST_200600_302600_NS10device_ptrIlEEjNS1_19radix_merge_compareILb0ELb1EhNS0_19identity_decomposerEEEEE10hipError_tT0_T1_T2_jT3_P12ihipStream_tbPNSt15iterator_traitsISG_E10value_typeEPNSM_ISH_E10value_typeEPSI_NS1_7vsmem_tEENKUlT_SG_SH_SI_E_clIS7_S7_SB_PlEESF_SV_SG_SH_SI_EUlSV_E0_NS1_11comp_targetILNS1_3genE8ELNS1_11target_archE1030ELNS1_3gpuE2ELNS1_3repE0EEENS1_38merge_mergepath_config_static_selectorELNS0_4arch9wavefront6targetE1EEEvSH_ ; -- Begin function _ZN7rocprim17ROCPRIM_400000_NS6detail17trampoline_kernelINS0_14default_configENS1_38merge_sort_block_merge_config_selectorIhlEEZZNS1_27merge_sort_block_merge_implIS3_PhN6thrust23THRUST_200600_302600_NS10device_ptrIlEEjNS1_19radix_merge_compareILb0ELb1EhNS0_19identity_decomposerEEEEE10hipError_tT0_T1_T2_jT3_P12ihipStream_tbPNSt15iterator_traitsISG_E10value_typeEPNSM_ISH_E10value_typeEPSI_NS1_7vsmem_tEENKUlT_SG_SH_SI_E_clIS7_S7_SB_PlEESF_SV_SG_SH_SI_EUlSV_E0_NS1_11comp_targetILNS1_3genE8ELNS1_11target_archE1030ELNS1_3gpuE2ELNS1_3repE0EEENS1_38merge_mergepath_config_static_selectorELNS0_4arch9wavefront6targetE1EEEvSH_
	.globl	_ZN7rocprim17ROCPRIM_400000_NS6detail17trampoline_kernelINS0_14default_configENS1_38merge_sort_block_merge_config_selectorIhlEEZZNS1_27merge_sort_block_merge_implIS3_PhN6thrust23THRUST_200600_302600_NS10device_ptrIlEEjNS1_19radix_merge_compareILb0ELb1EhNS0_19identity_decomposerEEEEE10hipError_tT0_T1_T2_jT3_P12ihipStream_tbPNSt15iterator_traitsISG_E10value_typeEPNSM_ISH_E10value_typeEPSI_NS1_7vsmem_tEENKUlT_SG_SH_SI_E_clIS7_S7_SB_PlEESF_SV_SG_SH_SI_EUlSV_E0_NS1_11comp_targetILNS1_3genE8ELNS1_11target_archE1030ELNS1_3gpuE2ELNS1_3repE0EEENS1_38merge_mergepath_config_static_selectorELNS0_4arch9wavefront6targetE1EEEvSH_
	.p2align	8
	.type	_ZN7rocprim17ROCPRIM_400000_NS6detail17trampoline_kernelINS0_14default_configENS1_38merge_sort_block_merge_config_selectorIhlEEZZNS1_27merge_sort_block_merge_implIS3_PhN6thrust23THRUST_200600_302600_NS10device_ptrIlEEjNS1_19radix_merge_compareILb0ELb1EhNS0_19identity_decomposerEEEEE10hipError_tT0_T1_T2_jT3_P12ihipStream_tbPNSt15iterator_traitsISG_E10value_typeEPNSM_ISH_E10value_typeEPSI_NS1_7vsmem_tEENKUlT_SG_SH_SI_E_clIS7_S7_SB_PlEESF_SV_SG_SH_SI_EUlSV_E0_NS1_11comp_targetILNS1_3genE8ELNS1_11target_archE1030ELNS1_3gpuE2ELNS1_3repE0EEENS1_38merge_mergepath_config_static_selectorELNS0_4arch9wavefront6targetE1EEEvSH_,@function
_ZN7rocprim17ROCPRIM_400000_NS6detail17trampoline_kernelINS0_14default_configENS1_38merge_sort_block_merge_config_selectorIhlEEZZNS1_27merge_sort_block_merge_implIS3_PhN6thrust23THRUST_200600_302600_NS10device_ptrIlEEjNS1_19radix_merge_compareILb0ELb1EhNS0_19identity_decomposerEEEEE10hipError_tT0_T1_T2_jT3_P12ihipStream_tbPNSt15iterator_traitsISG_E10value_typeEPNSM_ISH_E10value_typeEPSI_NS1_7vsmem_tEENKUlT_SG_SH_SI_E_clIS7_S7_SB_PlEESF_SV_SG_SH_SI_EUlSV_E0_NS1_11comp_targetILNS1_3genE8ELNS1_11target_archE1030ELNS1_3gpuE2ELNS1_3repE0EEENS1_38merge_mergepath_config_static_selectorELNS0_4arch9wavefront6targetE1EEEvSH_: ; @_ZN7rocprim17ROCPRIM_400000_NS6detail17trampoline_kernelINS0_14default_configENS1_38merge_sort_block_merge_config_selectorIhlEEZZNS1_27merge_sort_block_merge_implIS3_PhN6thrust23THRUST_200600_302600_NS10device_ptrIlEEjNS1_19radix_merge_compareILb0ELb1EhNS0_19identity_decomposerEEEEE10hipError_tT0_T1_T2_jT3_P12ihipStream_tbPNSt15iterator_traitsISG_E10value_typeEPNSM_ISH_E10value_typeEPSI_NS1_7vsmem_tEENKUlT_SG_SH_SI_E_clIS7_S7_SB_PlEESF_SV_SG_SH_SI_EUlSV_E0_NS1_11comp_targetILNS1_3genE8ELNS1_11target_archE1030ELNS1_3gpuE2ELNS1_3repE0EEENS1_38merge_mergepath_config_static_selectorELNS0_4arch9wavefront6targetE1EEEvSH_
; %bb.0:
	.section	.rodata,"a",@progbits
	.p2align	6, 0x0
	.amdhsa_kernel _ZN7rocprim17ROCPRIM_400000_NS6detail17trampoline_kernelINS0_14default_configENS1_38merge_sort_block_merge_config_selectorIhlEEZZNS1_27merge_sort_block_merge_implIS3_PhN6thrust23THRUST_200600_302600_NS10device_ptrIlEEjNS1_19radix_merge_compareILb0ELb1EhNS0_19identity_decomposerEEEEE10hipError_tT0_T1_T2_jT3_P12ihipStream_tbPNSt15iterator_traitsISG_E10value_typeEPNSM_ISH_E10value_typeEPSI_NS1_7vsmem_tEENKUlT_SG_SH_SI_E_clIS7_S7_SB_PlEESF_SV_SG_SH_SI_EUlSV_E0_NS1_11comp_targetILNS1_3genE8ELNS1_11target_archE1030ELNS1_3gpuE2ELNS1_3repE0EEENS1_38merge_mergepath_config_static_selectorELNS0_4arch9wavefront6targetE1EEEvSH_
		.amdhsa_group_segment_fixed_size 0
		.amdhsa_private_segment_fixed_size 0
		.amdhsa_kernarg_size 64
		.amdhsa_user_sgpr_count 6
		.amdhsa_user_sgpr_private_segment_buffer 1
		.amdhsa_user_sgpr_dispatch_ptr 0
		.amdhsa_user_sgpr_queue_ptr 0
		.amdhsa_user_sgpr_kernarg_segment_ptr 1
		.amdhsa_user_sgpr_dispatch_id 0
		.amdhsa_user_sgpr_flat_scratch_init 0
		.amdhsa_user_sgpr_private_segment_size 0
		.amdhsa_uses_dynamic_stack 0
		.amdhsa_system_sgpr_private_segment_wavefront_offset 0
		.amdhsa_system_sgpr_workgroup_id_x 1
		.amdhsa_system_sgpr_workgroup_id_y 0
		.amdhsa_system_sgpr_workgroup_id_z 0
		.amdhsa_system_sgpr_workgroup_info 0
		.amdhsa_system_vgpr_workitem_id 0
		.amdhsa_next_free_vgpr 1
		.amdhsa_next_free_sgpr 0
		.amdhsa_reserve_vcc 0
		.amdhsa_reserve_flat_scratch 0
		.amdhsa_float_round_mode_32 0
		.amdhsa_float_round_mode_16_64 0
		.amdhsa_float_denorm_mode_32 3
		.amdhsa_float_denorm_mode_16_64 3
		.amdhsa_dx10_clamp 1
		.amdhsa_ieee_mode 1
		.amdhsa_fp16_overflow 0
		.amdhsa_exception_fp_ieee_invalid_op 0
		.amdhsa_exception_fp_denorm_src 0
		.amdhsa_exception_fp_ieee_div_zero 0
		.amdhsa_exception_fp_ieee_overflow 0
		.amdhsa_exception_fp_ieee_underflow 0
		.amdhsa_exception_fp_ieee_inexact 0
		.amdhsa_exception_int_div_zero 0
	.end_amdhsa_kernel
	.section	.text._ZN7rocprim17ROCPRIM_400000_NS6detail17trampoline_kernelINS0_14default_configENS1_38merge_sort_block_merge_config_selectorIhlEEZZNS1_27merge_sort_block_merge_implIS3_PhN6thrust23THRUST_200600_302600_NS10device_ptrIlEEjNS1_19radix_merge_compareILb0ELb1EhNS0_19identity_decomposerEEEEE10hipError_tT0_T1_T2_jT3_P12ihipStream_tbPNSt15iterator_traitsISG_E10value_typeEPNSM_ISH_E10value_typeEPSI_NS1_7vsmem_tEENKUlT_SG_SH_SI_E_clIS7_S7_SB_PlEESF_SV_SG_SH_SI_EUlSV_E0_NS1_11comp_targetILNS1_3genE8ELNS1_11target_archE1030ELNS1_3gpuE2ELNS1_3repE0EEENS1_38merge_mergepath_config_static_selectorELNS0_4arch9wavefront6targetE1EEEvSH_,"axG",@progbits,_ZN7rocprim17ROCPRIM_400000_NS6detail17trampoline_kernelINS0_14default_configENS1_38merge_sort_block_merge_config_selectorIhlEEZZNS1_27merge_sort_block_merge_implIS3_PhN6thrust23THRUST_200600_302600_NS10device_ptrIlEEjNS1_19radix_merge_compareILb0ELb1EhNS0_19identity_decomposerEEEEE10hipError_tT0_T1_T2_jT3_P12ihipStream_tbPNSt15iterator_traitsISG_E10value_typeEPNSM_ISH_E10value_typeEPSI_NS1_7vsmem_tEENKUlT_SG_SH_SI_E_clIS7_S7_SB_PlEESF_SV_SG_SH_SI_EUlSV_E0_NS1_11comp_targetILNS1_3genE8ELNS1_11target_archE1030ELNS1_3gpuE2ELNS1_3repE0EEENS1_38merge_mergepath_config_static_selectorELNS0_4arch9wavefront6targetE1EEEvSH_,comdat
.Lfunc_end228:
	.size	_ZN7rocprim17ROCPRIM_400000_NS6detail17trampoline_kernelINS0_14default_configENS1_38merge_sort_block_merge_config_selectorIhlEEZZNS1_27merge_sort_block_merge_implIS3_PhN6thrust23THRUST_200600_302600_NS10device_ptrIlEEjNS1_19radix_merge_compareILb0ELb1EhNS0_19identity_decomposerEEEEE10hipError_tT0_T1_T2_jT3_P12ihipStream_tbPNSt15iterator_traitsISG_E10value_typeEPNSM_ISH_E10value_typeEPSI_NS1_7vsmem_tEENKUlT_SG_SH_SI_E_clIS7_S7_SB_PlEESF_SV_SG_SH_SI_EUlSV_E0_NS1_11comp_targetILNS1_3genE8ELNS1_11target_archE1030ELNS1_3gpuE2ELNS1_3repE0EEENS1_38merge_mergepath_config_static_selectorELNS0_4arch9wavefront6targetE1EEEvSH_, .Lfunc_end228-_ZN7rocprim17ROCPRIM_400000_NS6detail17trampoline_kernelINS0_14default_configENS1_38merge_sort_block_merge_config_selectorIhlEEZZNS1_27merge_sort_block_merge_implIS3_PhN6thrust23THRUST_200600_302600_NS10device_ptrIlEEjNS1_19radix_merge_compareILb0ELb1EhNS0_19identity_decomposerEEEEE10hipError_tT0_T1_T2_jT3_P12ihipStream_tbPNSt15iterator_traitsISG_E10value_typeEPNSM_ISH_E10value_typeEPSI_NS1_7vsmem_tEENKUlT_SG_SH_SI_E_clIS7_S7_SB_PlEESF_SV_SG_SH_SI_EUlSV_E0_NS1_11comp_targetILNS1_3genE8ELNS1_11target_archE1030ELNS1_3gpuE2ELNS1_3repE0EEENS1_38merge_mergepath_config_static_selectorELNS0_4arch9wavefront6targetE1EEEvSH_
                                        ; -- End function
	.set _ZN7rocprim17ROCPRIM_400000_NS6detail17trampoline_kernelINS0_14default_configENS1_38merge_sort_block_merge_config_selectorIhlEEZZNS1_27merge_sort_block_merge_implIS3_PhN6thrust23THRUST_200600_302600_NS10device_ptrIlEEjNS1_19radix_merge_compareILb0ELb1EhNS0_19identity_decomposerEEEEE10hipError_tT0_T1_T2_jT3_P12ihipStream_tbPNSt15iterator_traitsISG_E10value_typeEPNSM_ISH_E10value_typeEPSI_NS1_7vsmem_tEENKUlT_SG_SH_SI_E_clIS7_S7_SB_PlEESF_SV_SG_SH_SI_EUlSV_E0_NS1_11comp_targetILNS1_3genE8ELNS1_11target_archE1030ELNS1_3gpuE2ELNS1_3repE0EEENS1_38merge_mergepath_config_static_selectorELNS0_4arch9wavefront6targetE1EEEvSH_.num_vgpr, 0
	.set _ZN7rocprim17ROCPRIM_400000_NS6detail17trampoline_kernelINS0_14default_configENS1_38merge_sort_block_merge_config_selectorIhlEEZZNS1_27merge_sort_block_merge_implIS3_PhN6thrust23THRUST_200600_302600_NS10device_ptrIlEEjNS1_19radix_merge_compareILb0ELb1EhNS0_19identity_decomposerEEEEE10hipError_tT0_T1_T2_jT3_P12ihipStream_tbPNSt15iterator_traitsISG_E10value_typeEPNSM_ISH_E10value_typeEPSI_NS1_7vsmem_tEENKUlT_SG_SH_SI_E_clIS7_S7_SB_PlEESF_SV_SG_SH_SI_EUlSV_E0_NS1_11comp_targetILNS1_3genE8ELNS1_11target_archE1030ELNS1_3gpuE2ELNS1_3repE0EEENS1_38merge_mergepath_config_static_selectorELNS0_4arch9wavefront6targetE1EEEvSH_.num_agpr, 0
	.set _ZN7rocprim17ROCPRIM_400000_NS6detail17trampoline_kernelINS0_14default_configENS1_38merge_sort_block_merge_config_selectorIhlEEZZNS1_27merge_sort_block_merge_implIS3_PhN6thrust23THRUST_200600_302600_NS10device_ptrIlEEjNS1_19radix_merge_compareILb0ELb1EhNS0_19identity_decomposerEEEEE10hipError_tT0_T1_T2_jT3_P12ihipStream_tbPNSt15iterator_traitsISG_E10value_typeEPNSM_ISH_E10value_typeEPSI_NS1_7vsmem_tEENKUlT_SG_SH_SI_E_clIS7_S7_SB_PlEESF_SV_SG_SH_SI_EUlSV_E0_NS1_11comp_targetILNS1_3genE8ELNS1_11target_archE1030ELNS1_3gpuE2ELNS1_3repE0EEENS1_38merge_mergepath_config_static_selectorELNS0_4arch9wavefront6targetE1EEEvSH_.numbered_sgpr, 0
	.set _ZN7rocprim17ROCPRIM_400000_NS6detail17trampoline_kernelINS0_14default_configENS1_38merge_sort_block_merge_config_selectorIhlEEZZNS1_27merge_sort_block_merge_implIS3_PhN6thrust23THRUST_200600_302600_NS10device_ptrIlEEjNS1_19radix_merge_compareILb0ELb1EhNS0_19identity_decomposerEEEEE10hipError_tT0_T1_T2_jT3_P12ihipStream_tbPNSt15iterator_traitsISG_E10value_typeEPNSM_ISH_E10value_typeEPSI_NS1_7vsmem_tEENKUlT_SG_SH_SI_E_clIS7_S7_SB_PlEESF_SV_SG_SH_SI_EUlSV_E0_NS1_11comp_targetILNS1_3genE8ELNS1_11target_archE1030ELNS1_3gpuE2ELNS1_3repE0EEENS1_38merge_mergepath_config_static_selectorELNS0_4arch9wavefront6targetE1EEEvSH_.num_named_barrier, 0
	.set _ZN7rocprim17ROCPRIM_400000_NS6detail17trampoline_kernelINS0_14default_configENS1_38merge_sort_block_merge_config_selectorIhlEEZZNS1_27merge_sort_block_merge_implIS3_PhN6thrust23THRUST_200600_302600_NS10device_ptrIlEEjNS1_19radix_merge_compareILb0ELb1EhNS0_19identity_decomposerEEEEE10hipError_tT0_T1_T2_jT3_P12ihipStream_tbPNSt15iterator_traitsISG_E10value_typeEPNSM_ISH_E10value_typeEPSI_NS1_7vsmem_tEENKUlT_SG_SH_SI_E_clIS7_S7_SB_PlEESF_SV_SG_SH_SI_EUlSV_E0_NS1_11comp_targetILNS1_3genE8ELNS1_11target_archE1030ELNS1_3gpuE2ELNS1_3repE0EEENS1_38merge_mergepath_config_static_selectorELNS0_4arch9wavefront6targetE1EEEvSH_.private_seg_size, 0
	.set _ZN7rocprim17ROCPRIM_400000_NS6detail17trampoline_kernelINS0_14default_configENS1_38merge_sort_block_merge_config_selectorIhlEEZZNS1_27merge_sort_block_merge_implIS3_PhN6thrust23THRUST_200600_302600_NS10device_ptrIlEEjNS1_19radix_merge_compareILb0ELb1EhNS0_19identity_decomposerEEEEE10hipError_tT0_T1_T2_jT3_P12ihipStream_tbPNSt15iterator_traitsISG_E10value_typeEPNSM_ISH_E10value_typeEPSI_NS1_7vsmem_tEENKUlT_SG_SH_SI_E_clIS7_S7_SB_PlEESF_SV_SG_SH_SI_EUlSV_E0_NS1_11comp_targetILNS1_3genE8ELNS1_11target_archE1030ELNS1_3gpuE2ELNS1_3repE0EEENS1_38merge_mergepath_config_static_selectorELNS0_4arch9wavefront6targetE1EEEvSH_.uses_vcc, 0
	.set _ZN7rocprim17ROCPRIM_400000_NS6detail17trampoline_kernelINS0_14default_configENS1_38merge_sort_block_merge_config_selectorIhlEEZZNS1_27merge_sort_block_merge_implIS3_PhN6thrust23THRUST_200600_302600_NS10device_ptrIlEEjNS1_19radix_merge_compareILb0ELb1EhNS0_19identity_decomposerEEEEE10hipError_tT0_T1_T2_jT3_P12ihipStream_tbPNSt15iterator_traitsISG_E10value_typeEPNSM_ISH_E10value_typeEPSI_NS1_7vsmem_tEENKUlT_SG_SH_SI_E_clIS7_S7_SB_PlEESF_SV_SG_SH_SI_EUlSV_E0_NS1_11comp_targetILNS1_3genE8ELNS1_11target_archE1030ELNS1_3gpuE2ELNS1_3repE0EEENS1_38merge_mergepath_config_static_selectorELNS0_4arch9wavefront6targetE1EEEvSH_.uses_flat_scratch, 0
	.set _ZN7rocprim17ROCPRIM_400000_NS6detail17trampoline_kernelINS0_14default_configENS1_38merge_sort_block_merge_config_selectorIhlEEZZNS1_27merge_sort_block_merge_implIS3_PhN6thrust23THRUST_200600_302600_NS10device_ptrIlEEjNS1_19radix_merge_compareILb0ELb1EhNS0_19identity_decomposerEEEEE10hipError_tT0_T1_T2_jT3_P12ihipStream_tbPNSt15iterator_traitsISG_E10value_typeEPNSM_ISH_E10value_typeEPSI_NS1_7vsmem_tEENKUlT_SG_SH_SI_E_clIS7_S7_SB_PlEESF_SV_SG_SH_SI_EUlSV_E0_NS1_11comp_targetILNS1_3genE8ELNS1_11target_archE1030ELNS1_3gpuE2ELNS1_3repE0EEENS1_38merge_mergepath_config_static_selectorELNS0_4arch9wavefront6targetE1EEEvSH_.has_dyn_sized_stack, 0
	.set _ZN7rocprim17ROCPRIM_400000_NS6detail17trampoline_kernelINS0_14default_configENS1_38merge_sort_block_merge_config_selectorIhlEEZZNS1_27merge_sort_block_merge_implIS3_PhN6thrust23THRUST_200600_302600_NS10device_ptrIlEEjNS1_19radix_merge_compareILb0ELb1EhNS0_19identity_decomposerEEEEE10hipError_tT0_T1_T2_jT3_P12ihipStream_tbPNSt15iterator_traitsISG_E10value_typeEPNSM_ISH_E10value_typeEPSI_NS1_7vsmem_tEENKUlT_SG_SH_SI_E_clIS7_S7_SB_PlEESF_SV_SG_SH_SI_EUlSV_E0_NS1_11comp_targetILNS1_3genE8ELNS1_11target_archE1030ELNS1_3gpuE2ELNS1_3repE0EEENS1_38merge_mergepath_config_static_selectorELNS0_4arch9wavefront6targetE1EEEvSH_.has_recursion, 0
	.set _ZN7rocprim17ROCPRIM_400000_NS6detail17trampoline_kernelINS0_14default_configENS1_38merge_sort_block_merge_config_selectorIhlEEZZNS1_27merge_sort_block_merge_implIS3_PhN6thrust23THRUST_200600_302600_NS10device_ptrIlEEjNS1_19radix_merge_compareILb0ELb1EhNS0_19identity_decomposerEEEEE10hipError_tT0_T1_T2_jT3_P12ihipStream_tbPNSt15iterator_traitsISG_E10value_typeEPNSM_ISH_E10value_typeEPSI_NS1_7vsmem_tEENKUlT_SG_SH_SI_E_clIS7_S7_SB_PlEESF_SV_SG_SH_SI_EUlSV_E0_NS1_11comp_targetILNS1_3genE8ELNS1_11target_archE1030ELNS1_3gpuE2ELNS1_3repE0EEENS1_38merge_mergepath_config_static_selectorELNS0_4arch9wavefront6targetE1EEEvSH_.has_indirect_call, 0
	.section	.AMDGPU.csdata,"",@progbits
; Kernel info:
; codeLenInByte = 0
; TotalNumSgprs: 4
; NumVgprs: 0
; ScratchSize: 0
; MemoryBound: 0
; FloatMode: 240
; IeeeMode: 1
; LDSByteSize: 0 bytes/workgroup (compile time only)
; SGPRBlocks: 0
; VGPRBlocks: 0
; NumSGPRsForWavesPerEU: 4
; NumVGPRsForWavesPerEU: 1
; Occupancy: 10
; WaveLimiterHint : 0
; COMPUTE_PGM_RSRC2:SCRATCH_EN: 0
; COMPUTE_PGM_RSRC2:USER_SGPR: 6
; COMPUTE_PGM_RSRC2:TRAP_HANDLER: 0
; COMPUTE_PGM_RSRC2:TGID_X_EN: 1
; COMPUTE_PGM_RSRC2:TGID_Y_EN: 0
; COMPUTE_PGM_RSRC2:TGID_Z_EN: 0
; COMPUTE_PGM_RSRC2:TIDIG_COMP_CNT: 0
	.section	.text._ZN7rocprim17ROCPRIM_400000_NS6detail17trampoline_kernelINS0_14default_configENS1_38merge_sort_block_merge_config_selectorIhlEEZZNS1_27merge_sort_block_merge_implIS3_PhN6thrust23THRUST_200600_302600_NS10device_ptrIlEEjNS1_19radix_merge_compareILb0ELb1EhNS0_19identity_decomposerEEEEE10hipError_tT0_T1_T2_jT3_P12ihipStream_tbPNSt15iterator_traitsISG_E10value_typeEPNSM_ISH_E10value_typeEPSI_NS1_7vsmem_tEENKUlT_SG_SH_SI_E_clIS7_S7_SB_PlEESF_SV_SG_SH_SI_EUlSV_E1_NS1_11comp_targetILNS1_3genE0ELNS1_11target_archE4294967295ELNS1_3gpuE0ELNS1_3repE0EEENS1_36merge_oddeven_config_static_selectorELNS0_4arch9wavefront6targetE1EEEvSH_,"axG",@progbits,_ZN7rocprim17ROCPRIM_400000_NS6detail17trampoline_kernelINS0_14default_configENS1_38merge_sort_block_merge_config_selectorIhlEEZZNS1_27merge_sort_block_merge_implIS3_PhN6thrust23THRUST_200600_302600_NS10device_ptrIlEEjNS1_19radix_merge_compareILb0ELb1EhNS0_19identity_decomposerEEEEE10hipError_tT0_T1_T2_jT3_P12ihipStream_tbPNSt15iterator_traitsISG_E10value_typeEPNSM_ISH_E10value_typeEPSI_NS1_7vsmem_tEENKUlT_SG_SH_SI_E_clIS7_S7_SB_PlEESF_SV_SG_SH_SI_EUlSV_E1_NS1_11comp_targetILNS1_3genE0ELNS1_11target_archE4294967295ELNS1_3gpuE0ELNS1_3repE0EEENS1_36merge_oddeven_config_static_selectorELNS0_4arch9wavefront6targetE1EEEvSH_,comdat
	.protected	_ZN7rocprim17ROCPRIM_400000_NS6detail17trampoline_kernelINS0_14default_configENS1_38merge_sort_block_merge_config_selectorIhlEEZZNS1_27merge_sort_block_merge_implIS3_PhN6thrust23THRUST_200600_302600_NS10device_ptrIlEEjNS1_19radix_merge_compareILb0ELb1EhNS0_19identity_decomposerEEEEE10hipError_tT0_T1_T2_jT3_P12ihipStream_tbPNSt15iterator_traitsISG_E10value_typeEPNSM_ISH_E10value_typeEPSI_NS1_7vsmem_tEENKUlT_SG_SH_SI_E_clIS7_S7_SB_PlEESF_SV_SG_SH_SI_EUlSV_E1_NS1_11comp_targetILNS1_3genE0ELNS1_11target_archE4294967295ELNS1_3gpuE0ELNS1_3repE0EEENS1_36merge_oddeven_config_static_selectorELNS0_4arch9wavefront6targetE1EEEvSH_ ; -- Begin function _ZN7rocprim17ROCPRIM_400000_NS6detail17trampoline_kernelINS0_14default_configENS1_38merge_sort_block_merge_config_selectorIhlEEZZNS1_27merge_sort_block_merge_implIS3_PhN6thrust23THRUST_200600_302600_NS10device_ptrIlEEjNS1_19radix_merge_compareILb0ELb1EhNS0_19identity_decomposerEEEEE10hipError_tT0_T1_T2_jT3_P12ihipStream_tbPNSt15iterator_traitsISG_E10value_typeEPNSM_ISH_E10value_typeEPSI_NS1_7vsmem_tEENKUlT_SG_SH_SI_E_clIS7_S7_SB_PlEESF_SV_SG_SH_SI_EUlSV_E1_NS1_11comp_targetILNS1_3genE0ELNS1_11target_archE4294967295ELNS1_3gpuE0ELNS1_3repE0EEENS1_36merge_oddeven_config_static_selectorELNS0_4arch9wavefront6targetE1EEEvSH_
	.globl	_ZN7rocprim17ROCPRIM_400000_NS6detail17trampoline_kernelINS0_14default_configENS1_38merge_sort_block_merge_config_selectorIhlEEZZNS1_27merge_sort_block_merge_implIS3_PhN6thrust23THRUST_200600_302600_NS10device_ptrIlEEjNS1_19radix_merge_compareILb0ELb1EhNS0_19identity_decomposerEEEEE10hipError_tT0_T1_T2_jT3_P12ihipStream_tbPNSt15iterator_traitsISG_E10value_typeEPNSM_ISH_E10value_typeEPSI_NS1_7vsmem_tEENKUlT_SG_SH_SI_E_clIS7_S7_SB_PlEESF_SV_SG_SH_SI_EUlSV_E1_NS1_11comp_targetILNS1_3genE0ELNS1_11target_archE4294967295ELNS1_3gpuE0ELNS1_3repE0EEENS1_36merge_oddeven_config_static_selectorELNS0_4arch9wavefront6targetE1EEEvSH_
	.p2align	8
	.type	_ZN7rocprim17ROCPRIM_400000_NS6detail17trampoline_kernelINS0_14default_configENS1_38merge_sort_block_merge_config_selectorIhlEEZZNS1_27merge_sort_block_merge_implIS3_PhN6thrust23THRUST_200600_302600_NS10device_ptrIlEEjNS1_19radix_merge_compareILb0ELb1EhNS0_19identity_decomposerEEEEE10hipError_tT0_T1_T2_jT3_P12ihipStream_tbPNSt15iterator_traitsISG_E10value_typeEPNSM_ISH_E10value_typeEPSI_NS1_7vsmem_tEENKUlT_SG_SH_SI_E_clIS7_S7_SB_PlEESF_SV_SG_SH_SI_EUlSV_E1_NS1_11comp_targetILNS1_3genE0ELNS1_11target_archE4294967295ELNS1_3gpuE0ELNS1_3repE0EEENS1_36merge_oddeven_config_static_selectorELNS0_4arch9wavefront6targetE1EEEvSH_,@function
_ZN7rocprim17ROCPRIM_400000_NS6detail17trampoline_kernelINS0_14default_configENS1_38merge_sort_block_merge_config_selectorIhlEEZZNS1_27merge_sort_block_merge_implIS3_PhN6thrust23THRUST_200600_302600_NS10device_ptrIlEEjNS1_19radix_merge_compareILb0ELb1EhNS0_19identity_decomposerEEEEE10hipError_tT0_T1_T2_jT3_P12ihipStream_tbPNSt15iterator_traitsISG_E10value_typeEPNSM_ISH_E10value_typeEPSI_NS1_7vsmem_tEENKUlT_SG_SH_SI_E_clIS7_S7_SB_PlEESF_SV_SG_SH_SI_EUlSV_E1_NS1_11comp_targetILNS1_3genE0ELNS1_11target_archE4294967295ELNS1_3gpuE0ELNS1_3repE0EEENS1_36merge_oddeven_config_static_selectorELNS0_4arch9wavefront6targetE1EEEvSH_: ; @_ZN7rocprim17ROCPRIM_400000_NS6detail17trampoline_kernelINS0_14default_configENS1_38merge_sort_block_merge_config_selectorIhlEEZZNS1_27merge_sort_block_merge_implIS3_PhN6thrust23THRUST_200600_302600_NS10device_ptrIlEEjNS1_19radix_merge_compareILb0ELb1EhNS0_19identity_decomposerEEEEE10hipError_tT0_T1_T2_jT3_P12ihipStream_tbPNSt15iterator_traitsISG_E10value_typeEPNSM_ISH_E10value_typeEPSI_NS1_7vsmem_tEENKUlT_SG_SH_SI_E_clIS7_S7_SB_PlEESF_SV_SG_SH_SI_EUlSV_E1_NS1_11comp_targetILNS1_3genE0ELNS1_11target_archE4294967295ELNS1_3gpuE0ELNS1_3repE0EEENS1_36merge_oddeven_config_static_selectorELNS0_4arch9wavefront6targetE1EEEvSH_
; %bb.0:
	.section	.rodata,"a",@progbits
	.p2align	6, 0x0
	.amdhsa_kernel _ZN7rocprim17ROCPRIM_400000_NS6detail17trampoline_kernelINS0_14default_configENS1_38merge_sort_block_merge_config_selectorIhlEEZZNS1_27merge_sort_block_merge_implIS3_PhN6thrust23THRUST_200600_302600_NS10device_ptrIlEEjNS1_19radix_merge_compareILb0ELb1EhNS0_19identity_decomposerEEEEE10hipError_tT0_T1_T2_jT3_P12ihipStream_tbPNSt15iterator_traitsISG_E10value_typeEPNSM_ISH_E10value_typeEPSI_NS1_7vsmem_tEENKUlT_SG_SH_SI_E_clIS7_S7_SB_PlEESF_SV_SG_SH_SI_EUlSV_E1_NS1_11comp_targetILNS1_3genE0ELNS1_11target_archE4294967295ELNS1_3gpuE0ELNS1_3repE0EEENS1_36merge_oddeven_config_static_selectorELNS0_4arch9wavefront6targetE1EEEvSH_
		.amdhsa_group_segment_fixed_size 0
		.amdhsa_private_segment_fixed_size 0
		.amdhsa_kernarg_size 48
		.amdhsa_user_sgpr_count 6
		.amdhsa_user_sgpr_private_segment_buffer 1
		.amdhsa_user_sgpr_dispatch_ptr 0
		.amdhsa_user_sgpr_queue_ptr 0
		.amdhsa_user_sgpr_kernarg_segment_ptr 1
		.amdhsa_user_sgpr_dispatch_id 0
		.amdhsa_user_sgpr_flat_scratch_init 0
		.amdhsa_user_sgpr_private_segment_size 0
		.amdhsa_uses_dynamic_stack 0
		.amdhsa_system_sgpr_private_segment_wavefront_offset 0
		.amdhsa_system_sgpr_workgroup_id_x 1
		.amdhsa_system_sgpr_workgroup_id_y 0
		.amdhsa_system_sgpr_workgroup_id_z 0
		.amdhsa_system_sgpr_workgroup_info 0
		.amdhsa_system_vgpr_workitem_id 0
		.amdhsa_next_free_vgpr 1
		.amdhsa_next_free_sgpr 0
		.amdhsa_reserve_vcc 0
		.amdhsa_reserve_flat_scratch 0
		.amdhsa_float_round_mode_32 0
		.amdhsa_float_round_mode_16_64 0
		.amdhsa_float_denorm_mode_32 3
		.amdhsa_float_denorm_mode_16_64 3
		.amdhsa_dx10_clamp 1
		.amdhsa_ieee_mode 1
		.amdhsa_fp16_overflow 0
		.amdhsa_exception_fp_ieee_invalid_op 0
		.amdhsa_exception_fp_denorm_src 0
		.amdhsa_exception_fp_ieee_div_zero 0
		.amdhsa_exception_fp_ieee_overflow 0
		.amdhsa_exception_fp_ieee_underflow 0
		.amdhsa_exception_fp_ieee_inexact 0
		.amdhsa_exception_int_div_zero 0
	.end_amdhsa_kernel
	.section	.text._ZN7rocprim17ROCPRIM_400000_NS6detail17trampoline_kernelINS0_14default_configENS1_38merge_sort_block_merge_config_selectorIhlEEZZNS1_27merge_sort_block_merge_implIS3_PhN6thrust23THRUST_200600_302600_NS10device_ptrIlEEjNS1_19radix_merge_compareILb0ELb1EhNS0_19identity_decomposerEEEEE10hipError_tT0_T1_T2_jT3_P12ihipStream_tbPNSt15iterator_traitsISG_E10value_typeEPNSM_ISH_E10value_typeEPSI_NS1_7vsmem_tEENKUlT_SG_SH_SI_E_clIS7_S7_SB_PlEESF_SV_SG_SH_SI_EUlSV_E1_NS1_11comp_targetILNS1_3genE0ELNS1_11target_archE4294967295ELNS1_3gpuE0ELNS1_3repE0EEENS1_36merge_oddeven_config_static_selectorELNS0_4arch9wavefront6targetE1EEEvSH_,"axG",@progbits,_ZN7rocprim17ROCPRIM_400000_NS6detail17trampoline_kernelINS0_14default_configENS1_38merge_sort_block_merge_config_selectorIhlEEZZNS1_27merge_sort_block_merge_implIS3_PhN6thrust23THRUST_200600_302600_NS10device_ptrIlEEjNS1_19radix_merge_compareILb0ELb1EhNS0_19identity_decomposerEEEEE10hipError_tT0_T1_T2_jT3_P12ihipStream_tbPNSt15iterator_traitsISG_E10value_typeEPNSM_ISH_E10value_typeEPSI_NS1_7vsmem_tEENKUlT_SG_SH_SI_E_clIS7_S7_SB_PlEESF_SV_SG_SH_SI_EUlSV_E1_NS1_11comp_targetILNS1_3genE0ELNS1_11target_archE4294967295ELNS1_3gpuE0ELNS1_3repE0EEENS1_36merge_oddeven_config_static_selectorELNS0_4arch9wavefront6targetE1EEEvSH_,comdat
.Lfunc_end229:
	.size	_ZN7rocprim17ROCPRIM_400000_NS6detail17trampoline_kernelINS0_14default_configENS1_38merge_sort_block_merge_config_selectorIhlEEZZNS1_27merge_sort_block_merge_implIS3_PhN6thrust23THRUST_200600_302600_NS10device_ptrIlEEjNS1_19radix_merge_compareILb0ELb1EhNS0_19identity_decomposerEEEEE10hipError_tT0_T1_T2_jT3_P12ihipStream_tbPNSt15iterator_traitsISG_E10value_typeEPNSM_ISH_E10value_typeEPSI_NS1_7vsmem_tEENKUlT_SG_SH_SI_E_clIS7_S7_SB_PlEESF_SV_SG_SH_SI_EUlSV_E1_NS1_11comp_targetILNS1_3genE0ELNS1_11target_archE4294967295ELNS1_3gpuE0ELNS1_3repE0EEENS1_36merge_oddeven_config_static_selectorELNS0_4arch9wavefront6targetE1EEEvSH_, .Lfunc_end229-_ZN7rocprim17ROCPRIM_400000_NS6detail17trampoline_kernelINS0_14default_configENS1_38merge_sort_block_merge_config_selectorIhlEEZZNS1_27merge_sort_block_merge_implIS3_PhN6thrust23THRUST_200600_302600_NS10device_ptrIlEEjNS1_19radix_merge_compareILb0ELb1EhNS0_19identity_decomposerEEEEE10hipError_tT0_T1_T2_jT3_P12ihipStream_tbPNSt15iterator_traitsISG_E10value_typeEPNSM_ISH_E10value_typeEPSI_NS1_7vsmem_tEENKUlT_SG_SH_SI_E_clIS7_S7_SB_PlEESF_SV_SG_SH_SI_EUlSV_E1_NS1_11comp_targetILNS1_3genE0ELNS1_11target_archE4294967295ELNS1_3gpuE0ELNS1_3repE0EEENS1_36merge_oddeven_config_static_selectorELNS0_4arch9wavefront6targetE1EEEvSH_
                                        ; -- End function
	.set _ZN7rocprim17ROCPRIM_400000_NS6detail17trampoline_kernelINS0_14default_configENS1_38merge_sort_block_merge_config_selectorIhlEEZZNS1_27merge_sort_block_merge_implIS3_PhN6thrust23THRUST_200600_302600_NS10device_ptrIlEEjNS1_19radix_merge_compareILb0ELb1EhNS0_19identity_decomposerEEEEE10hipError_tT0_T1_T2_jT3_P12ihipStream_tbPNSt15iterator_traitsISG_E10value_typeEPNSM_ISH_E10value_typeEPSI_NS1_7vsmem_tEENKUlT_SG_SH_SI_E_clIS7_S7_SB_PlEESF_SV_SG_SH_SI_EUlSV_E1_NS1_11comp_targetILNS1_3genE0ELNS1_11target_archE4294967295ELNS1_3gpuE0ELNS1_3repE0EEENS1_36merge_oddeven_config_static_selectorELNS0_4arch9wavefront6targetE1EEEvSH_.num_vgpr, 0
	.set _ZN7rocprim17ROCPRIM_400000_NS6detail17trampoline_kernelINS0_14default_configENS1_38merge_sort_block_merge_config_selectorIhlEEZZNS1_27merge_sort_block_merge_implIS3_PhN6thrust23THRUST_200600_302600_NS10device_ptrIlEEjNS1_19radix_merge_compareILb0ELb1EhNS0_19identity_decomposerEEEEE10hipError_tT0_T1_T2_jT3_P12ihipStream_tbPNSt15iterator_traitsISG_E10value_typeEPNSM_ISH_E10value_typeEPSI_NS1_7vsmem_tEENKUlT_SG_SH_SI_E_clIS7_S7_SB_PlEESF_SV_SG_SH_SI_EUlSV_E1_NS1_11comp_targetILNS1_3genE0ELNS1_11target_archE4294967295ELNS1_3gpuE0ELNS1_3repE0EEENS1_36merge_oddeven_config_static_selectorELNS0_4arch9wavefront6targetE1EEEvSH_.num_agpr, 0
	.set _ZN7rocprim17ROCPRIM_400000_NS6detail17trampoline_kernelINS0_14default_configENS1_38merge_sort_block_merge_config_selectorIhlEEZZNS1_27merge_sort_block_merge_implIS3_PhN6thrust23THRUST_200600_302600_NS10device_ptrIlEEjNS1_19radix_merge_compareILb0ELb1EhNS0_19identity_decomposerEEEEE10hipError_tT0_T1_T2_jT3_P12ihipStream_tbPNSt15iterator_traitsISG_E10value_typeEPNSM_ISH_E10value_typeEPSI_NS1_7vsmem_tEENKUlT_SG_SH_SI_E_clIS7_S7_SB_PlEESF_SV_SG_SH_SI_EUlSV_E1_NS1_11comp_targetILNS1_3genE0ELNS1_11target_archE4294967295ELNS1_3gpuE0ELNS1_3repE0EEENS1_36merge_oddeven_config_static_selectorELNS0_4arch9wavefront6targetE1EEEvSH_.numbered_sgpr, 0
	.set _ZN7rocprim17ROCPRIM_400000_NS6detail17trampoline_kernelINS0_14default_configENS1_38merge_sort_block_merge_config_selectorIhlEEZZNS1_27merge_sort_block_merge_implIS3_PhN6thrust23THRUST_200600_302600_NS10device_ptrIlEEjNS1_19radix_merge_compareILb0ELb1EhNS0_19identity_decomposerEEEEE10hipError_tT0_T1_T2_jT3_P12ihipStream_tbPNSt15iterator_traitsISG_E10value_typeEPNSM_ISH_E10value_typeEPSI_NS1_7vsmem_tEENKUlT_SG_SH_SI_E_clIS7_S7_SB_PlEESF_SV_SG_SH_SI_EUlSV_E1_NS1_11comp_targetILNS1_3genE0ELNS1_11target_archE4294967295ELNS1_3gpuE0ELNS1_3repE0EEENS1_36merge_oddeven_config_static_selectorELNS0_4arch9wavefront6targetE1EEEvSH_.num_named_barrier, 0
	.set _ZN7rocprim17ROCPRIM_400000_NS6detail17trampoline_kernelINS0_14default_configENS1_38merge_sort_block_merge_config_selectorIhlEEZZNS1_27merge_sort_block_merge_implIS3_PhN6thrust23THRUST_200600_302600_NS10device_ptrIlEEjNS1_19radix_merge_compareILb0ELb1EhNS0_19identity_decomposerEEEEE10hipError_tT0_T1_T2_jT3_P12ihipStream_tbPNSt15iterator_traitsISG_E10value_typeEPNSM_ISH_E10value_typeEPSI_NS1_7vsmem_tEENKUlT_SG_SH_SI_E_clIS7_S7_SB_PlEESF_SV_SG_SH_SI_EUlSV_E1_NS1_11comp_targetILNS1_3genE0ELNS1_11target_archE4294967295ELNS1_3gpuE0ELNS1_3repE0EEENS1_36merge_oddeven_config_static_selectorELNS0_4arch9wavefront6targetE1EEEvSH_.private_seg_size, 0
	.set _ZN7rocprim17ROCPRIM_400000_NS6detail17trampoline_kernelINS0_14default_configENS1_38merge_sort_block_merge_config_selectorIhlEEZZNS1_27merge_sort_block_merge_implIS3_PhN6thrust23THRUST_200600_302600_NS10device_ptrIlEEjNS1_19radix_merge_compareILb0ELb1EhNS0_19identity_decomposerEEEEE10hipError_tT0_T1_T2_jT3_P12ihipStream_tbPNSt15iterator_traitsISG_E10value_typeEPNSM_ISH_E10value_typeEPSI_NS1_7vsmem_tEENKUlT_SG_SH_SI_E_clIS7_S7_SB_PlEESF_SV_SG_SH_SI_EUlSV_E1_NS1_11comp_targetILNS1_3genE0ELNS1_11target_archE4294967295ELNS1_3gpuE0ELNS1_3repE0EEENS1_36merge_oddeven_config_static_selectorELNS0_4arch9wavefront6targetE1EEEvSH_.uses_vcc, 0
	.set _ZN7rocprim17ROCPRIM_400000_NS6detail17trampoline_kernelINS0_14default_configENS1_38merge_sort_block_merge_config_selectorIhlEEZZNS1_27merge_sort_block_merge_implIS3_PhN6thrust23THRUST_200600_302600_NS10device_ptrIlEEjNS1_19radix_merge_compareILb0ELb1EhNS0_19identity_decomposerEEEEE10hipError_tT0_T1_T2_jT3_P12ihipStream_tbPNSt15iterator_traitsISG_E10value_typeEPNSM_ISH_E10value_typeEPSI_NS1_7vsmem_tEENKUlT_SG_SH_SI_E_clIS7_S7_SB_PlEESF_SV_SG_SH_SI_EUlSV_E1_NS1_11comp_targetILNS1_3genE0ELNS1_11target_archE4294967295ELNS1_3gpuE0ELNS1_3repE0EEENS1_36merge_oddeven_config_static_selectorELNS0_4arch9wavefront6targetE1EEEvSH_.uses_flat_scratch, 0
	.set _ZN7rocprim17ROCPRIM_400000_NS6detail17trampoline_kernelINS0_14default_configENS1_38merge_sort_block_merge_config_selectorIhlEEZZNS1_27merge_sort_block_merge_implIS3_PhN6thrust23THRUST_200600_302600_NS10device_ptrIlEEjNS1_19radix_merge_compareILb0ELb1EhNS0_19identity_decomposerEEEEE10hipError_tT0_T1_T2_jT3_P12ihipStream_tbPNSt15iterator_traitsISG_E10value_typeEPNSM_ISH_E10value_typeEPSI_NS1_7vsmem_tEENKUlT_SG_SH_SI_E_clIS7_S7_SB_PlEESF_SV_SG_SH_SI_EUlSV_E1_NS1_11comp_targetILNS1_3genE0ELNS1_11target_archE4294967295ELNS1_3gpuE0ELNS1_3repE0EEENS1_36merge_oddeven_config_static_selectorELNS0_4arch9wavefront6targetE1EEEvSH_.has_dyn_sized_stack, 0
	.set _ZN7rocprim17ROCPRIM_400000_NS6detail17trampoline_kernelINS0_14default_configENS1_38merge_sort_block_merge_config_selectorIhlEEZZNS1_27merge_sort_block_merge_implIS3_PhN6thrust23THRUST_200600_302600_NS10device_ptrIlEEjNS1_19radix_merge_compareILb0ELb1EhNS0_19identity_decomposerEEEEE10hipError_tT0_T1_T2_jT3_P12ihipStream_tbPNSt15iterator_traitsISG_E10value_typeEPNSM_ISH_E10value_typeEPSI_NS1_7vsmem_tEENKUlT_SG_SH_SI_E_clIS7_S7_SB_PlEESF_SV_SG_SH_SI_EUlSV_E1_NS1_11comp_targetILNS1_3genE0ELNS1_11target_archE4294967295ELNS1_3gpuE0ELNS1_3repE0EEENS1_36merge_oddeven_config_static_selectorELNS0_4arch9wavefront6targetE1EEEvSH_.has_recursion, 0
	.set _ZN7rocprim17ROCPRIM_400000_NS6detail17trampoline_kernelINS0_14default_configENS1_38merge_sort_block_merge_config_selectorIhlEEZZNS1_27merge_sort_block_merge_implIS3_PhN6thrust23THRUST_200600_302600_NS10device_ptrIlEEjNS1_19radix_merge_compareILb0ELb1EhNS0_19identity_decomposerEEEEE10hipError_tT0_T1_T2_jT3_P12ihipStream_tbPNSt15iterator_traitsISG_E10value_typeEPNSM_ISH_E10value_typeEPSI_NS1_7vsmem_tEENKUlT_SG_SH_SI_E_clIS7_S7_SB_PlEESF_SV_SG_SH_SI_EUlSV_E1_NS1_11comp_targetILNS1_3genE0ELNS1_11target_archE4294967295ELNS1_3gpuE0ELNS1_3repE0EEENS1_36merge_oddeven_config_static_selectorELNS0_4arch9wavefront6targetE1EEEvSH_.has_indirect_call, 0
	.section	.AMDGPU.csdata,"",@progbits
; Kernel info:
; codeLenInByte = 0
; TotalNumSgprs: 4
; NumVgprs: 0
; ScratchSize: 0
; MemoryBound: 0
; FloatMode: 240
; IeeeMode: 1
; LDSByteSize: 0 bytes/workgroup (compile time only)
; SGPRBlocks: 0
; VGPRBlocks: 0
; NumSGPRsForWavesPerEU: 4
; NumVGPRsForWavesPerEU: 1
; Occupancy: 10
; WaveLimiterHint : 0
; COMPUTE_PGM_RSRC2:SCRATCH_EN: 0
; COMPUTE_PGM_RSRC2:USER_SGPR: 6
; COMPUTE_PGM_RSRC2:TRAP_HANDLER: 0
; COMPUTE_PGM_RSRC2:TGID_X_EN: 1
; COMPUTE_PGM_RSRC2:TGID_Y_EN: 0
; COMPUTE_PGM_RSRC2:TGID_Z_EN: 0
; COMPUTE_PGM_RSRC2:TIDIG_COMP_CNT: 0
	.section	.text._ZN7rocprim17ROCPRIM_400000_NS6detail17trampoline_kernelINS0_14default_configENS1_38merge_sort_block_merge_config_selectorIhlEEZZNS1_27merge_sort_block_merge_implIS3_PhN6thrust23THRUST_200600_302600_NS10device_ptrIlEEjNS1_19radix_merge_compareILb0ELb1EhNS0_19identity_decomposerEEEEE10hipError_tT0_T1_T2_jT3_P12ihipStream_tbPNSt15iterator_traitsISG_E10value_typeEPNSM_ISH_E10value_typeEPSI_NS1_7vsmem_tEENKUlT_SG_SH_SI_E_clIS7_S7_SB_PlEESF_SV_SG_SH_SI_EUlSV_E1_NS1_11comp_targetILNS1_3genE10ELNS1_11target_archE1201ELNS1_3gpuE5ELNS1_3repE0EEENS1_36merge_oddeven_config_static_selectorELNS0_4arch9wavefront6targetE1EEEvSH_,"axG",@progbits,_ZN7rocprim17ROCPRIM_400000_NS6detail17trampoline_kernelINS0_14default_configENS1_38merge_sort_block_merge_config_selectorIhlEEZZNS1_27merge_sort_block_merge_implIS3_PhN6thrust23THRUST_200600_302600_NS10device_ptrIlEEjNS1_19radix_merge_compareILb0ELb1EhNS0_19identity_decomposerEEEEE10hipError_tT0_T1_T2_jT3_P12ihipStream_tbPNSt15iterator_traitsISG_E10value_typeEPNSM_ISH_E10value_typeEPSI_NS1_7vsmem_tEENKUlT_SG_SH_SI_E_clIS7_S7_SB_PlEESF_SV_SG_SH_SI_EUlSV_E1_NS1_11comp_targetILNS1_3genE10ELNS1_11target_archE1201ELNS1_3gpuE5ELNS1_3repE0EEENS1_36merge_oddeven_config_static_selectorELNS0_4arch9wavefront6targetE1EEEvSH_,comdat
	.protected	_ZN7rocprim17ROCPRIM_400000_NS6detail17trampoline_kernelINS0_14default_configENS1_38merge_sort_block_merge_config_selectorIhlEEZZNS1_27merge_sort_block_merge_implIS3_PhN6thrust23THRUST_200600_302600_NS10device_ptrIlEEjNS1_19radix_merge_compareILb0ELb1EhNS0_19identity_decomposerEEEEE10hipError_tT0_T1_T2_jT3_P12ihipStream_tbPNSt15iterator_traitsISG_E10value_typeEPNSM_ISH_E10value_typeEPSI_NS1_7vsmem_tEENKUlT_SG_SH_SI_E_clIS7_S7_SB_PlEESF_SV_SG_SH_SI_EUlSV_E1_NS1_11comp_targetILNS1_3genE10ELNS1_11target_archE1201ELNS1_3gpuE5ELNS1_3repE0EEENS1_36merge_oddeven_config_static_selectorELNS0_4arch9wavefront6targetE1EEEvSH_ ; -- Begin function _ZN7rocprim17ROCPRIM_400000_NS6detail17trampoline_kernelINS0_14default_configENS1_38merge_sort_block_merge_config_selectorIhlEEZZNS1_27merge_sort_block_merge_implIS3_PhN6thrust23THRUST_200600_302600_NS10device_ptrIlEEjNS1_19radix_merge_compareILb0ELb1EhNS0_19identity_decomposerEEEEE10hipError_tT0_T1_T2_jT3_P12ihipStream_tbPNSt15iterator_traitsISG_E10value_typeEPNSM_ISH_E10value_typeEPSI_NS1_7vsmem_tEENKUlT_SG_SH_SI_E_clIS7_S7_SB_PlEESF_SV_SG_SH_SI_EUlSV_E1_NS1_11comp_targetILNS1_3genE10ELNS1_11target_archE1201ELNS1_3gpuE5ELNS1_3repE0EEENS1_36merge_oddeven_config_static_selectorELNS0_4arch9wavefront6targetE1EEEvSH_
	.globl	_ZN7rocprim17ROCPRIM_400000_NS6detail17trampoline_kernelINS0_14default_configENS1_38merge_sort_block_merge_config_selectorIhlEEZZNS1_27merge_sort_block_merge_implIS3_PhN6thrust23THRUST_200600_302600_NS10device_ptrIlEEjNS1_19radix_merge_compareILb0ELb1EhNS0_19identity_decomposerEEEEE10hipError_tT0_T1_T2_jT3_P12ihipStream_tbPNSt15iterator_traitsISG_E10value_typeEPNSM_ISH_E10value_typeEPSI_NS1_7vsmem_tEENKUlT_SG_SH_SI_E_clIS7_S7_SB_PlEESF_SV_SG_SH_SI_EUlSV_E1_NS1_11comp_targetILNS1_3genE10ELNS1_11target_archE1201ELNS1_3gpuE5ELNS1_3repE0EEENS1_36merge_oddeven_config_static_selectorELNS0_4arch9wavefront6targetE1EEEvSH_
	.p2align	8
	.type	_ZN7rocprim17ROCPRIM_400000_NS6detail17trampoline_kernelINS0_14default_configENS1_38merge_sort_block_merge_config_selectorIhlEEZZNS1_27merge_sort_block_merge_implIS3_PhN6thrust23THRUST_200600_302600_NS10device_ptrIlEEjNS1_19radix_merge_compareILb0ELb1EhNS0_19identity_decomposerEEEEE10hipError_tT0_T1_T2_jT3_P12ihipStream_tbPNSt15iterator_traitsISG_E10value_typeEPNSM_ISH_E10value_typeEPSI_NS1_7vsmem_tEENKUlT_SG_SH_SI_E_clIS7_S7_SB_PlEESF_SV_SG_SH_SI_EUlSV_E1_NS1_11comp_targetILNS1_3genE10ELNS1_11target_archE1201ELNS1_3gpuE5ELNS1_3repE0EEENS1_36merge_oddeven_config_static_selectorELNS0_4arch9wavefront6targetE1EEEvSH_,@function
_ZN7rocprim17ROCPRIM_400000_NS6detail17trampoline_kernelINS0_14default_configENS1_38merge_sort_block_merge_config_selectorIhlEEZZNS1_27merge_sort_block_merge_implIS3_PhN6thrust23THRUST_200600_302600_NS10device_ptrIlEEjNS1_19radix_merge_compareILb0ELb1EhNS0_19identity_decomposerEEEEE10hipError_tT0_T1_T2_jT3_P12ihipStream_tbPNSt15iterator_traitsISG_E10value_typeEPNSM_ISH_E10value_typeEPSI_NS1_7vsmem_tEENKUlT_SG_SH_SI_E_clIS7_S7_SB_PlEESF_SV_SG_SH_SI_EUlSV_E1_NS1_11comp_targetILNS1_3genE10ELNS1_11target_archE1201ELNS1_3gpuE5ELNS1_3repE0EEENS1_36merge_oddeven_config_static_selectorELNS0_4arch9wavefront6targetE1EEEvSH_: ; @_ZN7rocprim17ROCPRIM_400000_NS6detail17trampoline_kernelINS0_14default_configENS1_38merge_sort_block_merge_config_selectorIhlEEZZNS1_27merge_sort_block_merge_implIS3_PhN6thrust23THRUST_200600_302600_NS10device_ptrIlEEjNS1_19radix_merge_compareILb0ELb1EhNS0_19identity_decomposerEEEEE10hipError_tT0_T1_T2_jT3_P12ihipStream_tbPNSt15iterator_traitsISG_E10value_typeEPNSM_ISH_E10value_typeEPSI_NS1_7vsmem_tEENKUlT_SG_SH_SI_E_clIS7_S7_SB_PlEESF_SV_SG_SH_SI_EUlSV_E1_NS1_11comp_targetILNS1_3genE10ELNS1_11target_archE1201ELNS1_3gpuE5ELNS1_3repE0EEENS1_36merge_oddeven_config_static_selectorELNS0_4arch9wavefront6targetE1EEEvSH_
; %bb.0:
	.section	.rodata,"a",@progbits
	.p2align	6, 0x0
	.amdhsa_kernel _ZN7rocprim17ROCPRIM_400000_NS6detail17trampoline_kernelINS0_14default_configENS1_38merge_sort_block_merge_config_selectorIhlEEZZNS1_27merge_sort_block_merge_implIS3_PhN6thrust23THRUST_200600_302600_NS10device_ptrIlEEjNS1_19radix_merge_compareILb0ELb1EhNS0_19identity_decomposerEEEEE10hipError_tT0_T1_T2_jT3_P12ihipStream_tbPNSt15iterator_traitsISG_E10value_typeEPNSM_ISH_E10value_typeEPSI_NS1_7vsmem_tEENKUlT_SG_SH_SI_E_clIS7_S7_SB_PlEESF_SV_SG_SH_SI_EUlSV_E1_NS1_11comp_targetILNS1_3genE10ELNS1_11target_archE1201ELNS1_3gpuE5ELNS1_3repE0EEENS1_36merge_oddeven_config_static_selectorELNS0_4arch9wavefront6targetE1EEEvSH_
		.amdhsa_group_segment_fixed_size 0
		.amdhsa_private_segment_fixed_size 0
		.amdhsa_kernarg_size 48
		.amdhsa_user_sgpr_count 6
		.amdhsa_user_sgpr_private_segment_buffer 1
		.amdhsa_user_sgpr_dispatch_ptr 0
		.amdhsa_user_sgpr_queue_ptr 0
		.amdhsa_user_sgpr_kernarg_segment_ptr 1
		.amdhsa_user_sgpr_dispatch_id 0
		.amdhsa_user_sgpr_flat_scratch_init 0
		.amdhsa_user_sgpr_private_segment_size 0
		.amdhsa_uses_dynamic_stack 0
		.amdhsa_system_sgpr_private_segment_wavefront_offset 0
		.amdhsa_system_sgpr_workgroup_id_x 1
		.amdhsa_system_sgpr_workgroup_id_y 0
		.amdhsa_system_sgpr_workgroup_id_z 0
		.amdhsa_system_sgpr_workgroup_info 0
		.amdhsa_system_vgpr_workitem_id 0
		.amdhsa_next_free_vgpr 1
		.amdhsa_next_free_sgpr 0
		.amdhsa_reserve_vcc 0
		.amdhsa_reserve_flat_scratch 0
		.amdhsa_float_round_mode_32 0
		.amdhsa_float_round_mode_16_64 0
		.amdhsa_float_denorm_mode_32 3
		.amdhsa_float_denorm_mode_16_64 3
		.amdhsa_dx10_clamp 1
		.amdhsa_ieee_mode 1
		.amdhsa_fp16_overflow 0
		.amdhsa_exception_fp_ieee_invalid_op 0
		.amdhsa_exception_fp_denorm_src 0
		.amdhsa_exception_fp_ieee_div_zero 0
		.amdhsa_exception_fp_ieee_overflow 0
		.amdhsa_exception_fp_ieee_underflow 0
		.amdhsa_exception_fp_ieee_inexact 0
		.amdhsa_exception_int_div_zero 0
	.end_amdhsa_kernel
	.section	.text._ZN7rocprim17ROCPRIM_400000_NS6detail17trampoline_kernelINS0_14default_configENS1_38merge_sort_block_merge_config_selectorIhlEEZZNS1_27merge_sort_block_merge_implIS3_PhN6thrust23THRUST_200600_302600_NS10device_ptrIlEEjNS1_19radix_merge_compareILb0ELb1EhNS0_19identity_decomposerEEEEE10hipError_tT0_T1_T2_jT3_P12ihipStream_tbPNSt15iterator_traitsISG_E10value_typeEPNSM_ISH_E10value_typeEPSI_NS1_7vsmem_tEENKUlT_SG_SH_SI_E_clIS7_S7_SB_PlEESF_SV_SG_SH_SI_EUlSV_E1_NS1_11comp_targetILNS1_3genE10ELNS1_11target_archE1201ELNS1_3gpuE5ELNS1_3repE0EEENS1_36merge_oddeven_config_static_selectorELNS0_4arch9wavefront6targetE1EEEvSH_,"axG",@progbits,_ZN7rocprim17ROCPRIM_400000_NS6detail17trampoline_kernelINS0_14default_configENS1_38merge_sort_block_merge_config_selectorIhlEEZZNS1_27merge_sort_block_merge_implIS3_PhN6thrust23THRUST_200600_302600_NS10device_ptrIlEEjNS1_19radix_merge_compareILb0ELb1EhNS0_19identity_decomposerEEEEE10hipError_tT0_T1_T2_jT3_P12ihipStream_tbPNSt15iterator_traitsISG_E10value_typeEPNSM_ISH_E10value_typeEPSI_NS1_7vsmem_tEENKUlT_SG_SH_SI_E_clIS7_S7_SB_PlEESF_SV_SG_SH_SI_EUlSV_E1_NS1_11comp_targetILNS1_3genE10ELNS1_11target_archE1201ELNS1_3gpuE5ELNS1_3repE0EEENS1_36merge_oddeven_config_static_selectorELNS0_4arch9wavefront6targetE1EEEvSH_,comdat
.Lfunc_end230:
	.size	_ZN7rocprim17ROCPRIM_400000_NS6detail17trampoline_kernelINS0_14default_configENS1_38merge_sort_block_merge_config_selectorIhlEEZZNS1_27merge_sort_block_merge_implIS3_PhN6thrust23THRUST_200600_302600_NS10device_ptrIlEEjNS1_19radix_merge_compareILb0ELb1EhNS0_19identity_decomposerEEEEE10hipError_tT0_T1_T2_jT3_P12ihipStream_tbPNSt15iterator_traitsISG_E10value_typeEPNSM_ISH_E10value_typeEPSI_NS1_7vsmem_tEENKUlT_SG_SH_SI_E_clIS7_S7_SB_PlEESF_SV_SG_SH_SI_EUlSV_E1_NS1_11comp_targetILNS1_3genE10ELNS1_11target_archE1201ELNS1_3gpuE5ELNS1_3repE0EEENS1_36merge_oddeven_config_static_selectorELNS0_4arch9wavefront6targetE1EEEvSH_, .Lfunc_end230-_ZN7rocprim17ROCPRIM_400000_NS6detail17trampoline_kernelINS0_14default_configENS1_38merge_sort_block_merge_config_selectorIhlEEZZNS1_27merge_sort_block_merge_implIS3_PhN6thrust23THRUST_200600_302600_NS10device_ptrIlEEjNS1_19radix_merge_compareILb0ELb1EhNS0_19identity_decomposerEEEEE10hipError_tT0_T1_T2_jT3_P12ihipStream_tbPNSt15iterator_traitsISG_E10value_typeEPNSM_ISH_E10value_typeEPSI_NS1_7vsmem_tEENKUlT_SG_SH_SI_E_clIS7_S7_SB_PlEESF_SV_SG_SH_SI_EUlSV_E1_NS1_11comp_targetILNS1_3genE10ELNS1_11target_archE1201ELNS1_3gpuE5ELNS1_3repE0EEENS1_36merge_oddeven_config_static_selectorELNS0_4arch9wavefront6targetE1EEEvSH_
                                        ; -- End function
	.set _ZN7rocprim17ROCPRIM_400000_NS6detail17trampoline_kernelINS0_14default_configENS1_38merge_sort_block_merge_config_selectorIhlEEZZNS1_27merge_sort_block_merge_implIS3_PhN6thrust23THRUST_200600_302600_NS10device_ptrIlEEjNS1_19radix_merge_compareILb0ELb1EhNS0_19identity_decomposerEEEEE10hipError_tT0_T1_T2_jT3_P12ihipStream_tbPNSt15iterator_traitsISG_E10value_typeEPNSM_ISH_E10value_typeEPSI_NS1_7vsmem_tEENKUlT_SG_SH_SI_E_clIS7_S7_SB_PlEESF_SV_SG_SH_SI_EUlSV_E1_NS1_11comp_targetILNS1_3genE10ELNS1_11target_archE1201ELNS1_3gpuE5ELNS1_3repE0EEENS1_36merge_oddeven_config_static_selectorELNS0_4arch9wavefront6targetE1EEEvSH_.num_vgpr, 0
	.set _ZN7rocprim17ROCPRIM_400000_NS6detail17trampoline_kernelINS0_14default_configENS1_38merge_sort_block_merge_config_selectorIhlEEZZNS1_27merge_sort_block_merge_implIS3_PhN6thrust23THRUST_200600_302600_NS10device_ptrIlEEjNS1_19radix_merge_compareILb0ELb1EhNS0_19identity_decomposerEEEEE10hipError_tT0_T1_T2_jT3_P12ihipStream_tbPNSt15iterator_traitsISG_E10value_typeEPNSM_ISH_E10value_typeEPSI_NS1_7vsmem_tEENKUlT_SG_SH_SI_E_clIS7_S7_SB_PlEESF_SV_SG_SH_SI_EUlSV_E1_NS1_11comp_targetILNS1_3genE10ELNS1_11target_archE1201ELNS1_3gpuE5ELNS1_3repE0EEENS1_36merge_oddeven_config_static_selectorELNS0_4arch9wavefront6targetE1EEEvSH_.num_agpr, 0
	.set _ZN7rocprim17ROCPRIM_400000_NS6detail17trampoline_kernelINS0_14default_configENS1_38merge_sort_block_merge_config_selectorIhlEEZZNS1_27merge_sort_block_merge_implIS3_PhN6thrust23THRUST_200600_302600_NS10device_ptrIlEEjNS1_19radix_merge_compareILb0ELb1EhNS0_19identity_decomposerEEEEE10hipError_tT0_T1_T2_jT3_P12ihipStream_tbPNSt15iterator_traitsISG_E10value_typeEPNSM_ISH_E10value_typeEPSI_NS1_7vsmem_tEENKUlT_SG_SH_SI_E_clIS7_S7_SB_PlEESF_SV_SG_SH_SI_EUlSV_E1_NS1_11comp_targetILNS1_3genE10ELNS1_11target_archE1201ELNS1_3gpuE5ELNS1_3repE0EEENS1_36merge_oddeven_config_static_selectorELNS0_4arch9wavefront6targetE1EEEvSH_.numbered_sgpr, 0
	.set _ZN7rocprim17ROCPRIM_400000_NS6detail17trampoline_kernelINS0_14default_configENS1_38merge_sort_block_merge_config_selectorIhlEEZZNS1_27merge_sort_block_merge_implIS3_PhN6thrust23THRUST_200600_302600_NS10device_ptrIlEEjNS1_19radix_merge_compareILb0ELb1EhNS0_19identity_decomposerEEEEE10hipError_tT0_T1_T2_jT3_P12ihipStream_tbPNSt15iterator_traitsISG_E10value_typeEPNSM_ISH_E10value_typeEPSI_NS1_7vsmem_tEENKUlT_SG_SH_SI_E_clIS7_S7_SB_PlEESF_SV_SG_SH_SI_EUlSV_E1_NS1_11comp_targetILNS1_3genE10ELNS1_11target_archE1201ELNS1_3gpuE5ELNS1_3repE0EEENS1_36merge_oddeven_config_static_selectorELNS0_4arch9wavefront6targetE1EEEvSH_.num_named_barrier, 0
	.set _ZN7rocprim17ROCPRIM_400000_NS6detail17trampoline_kernelINS0_14default_configENS1_38merge_sort_block_merge_config_selectorIhlEEZZNS1_27merge_sort_block_merge_implIS3_PhN6thrust23THRUST_200600_302600_NS10device_ptrIlEEjNS1_19radix_merge_compareILb0ELb1EhNS0_19identity_decomposerEEEEE10hipError_tT0_T1_T2_jT3_P12ihipStream_tbPNSt15iterator_traitsISG_E10value_typeEPNSM_ISH_E10value_typeEPSI_NS1_7vsmem_tEENKUlT_SG_SH_SI_E_clIS7_S7_SB_PlEESF_SV_SG_SH_SI_EUlSV_E1_NS1_11comp_targetILNS1_3genE10ELNS1_11target_archE1201ELNS1_3gpuE5ELNS1_3repE0EEENS1_36merge_oddeven_config_static_selectorELNS0_4arch9wavefront6targetE1EEEvSH_.private_seg_size, 0
	.set _ZN7rocprim17ROCPRIM_400000_NS6detail17trampoline_kernelINS0_14default_configENS1_38merge_sort_block_merge_config_selectorIhlEEZZNS1_27merge_sort_block_merge_implIS3_PhN6thrust23THRUST_200600_302600_NS10device_ptrIlEEjNS1_19radix_merge_compareILb0ELb1EhNS0_19identity_decomposerEEEEE10hipError_tT0_T1_T2_jT3_P12ihipStream_tbPNSt15iterator_traitsISG_E10value_typeEPNSM_ISH_E10value_typeEPSI_NS1_7vsmem_tEENKUlT_SG_SH_SI_E_clIS7_S7_SB_PlEESF_SV_SG_SH_SI_EUlSV_E1_NS1_11comp_targetILNS1_3genE10ELNS1_11target_archE1201ELNS1_3gpuE5ELNS1_3repE0EEENS1_36merge_oddeven_config_static_selectorELNS0_4arch9wavefront6targetE1EEEvSH_.uses_vcc, 0
	.set _ZN7rocprim17ROCPRIM_400000_NS6detail17trampoline_kernelINS0_14default_configENS1_38merge_sort_block_merge_config_selectorIhlEEZZNS1_27merge_sort_block_merge_implIS3_PhN6thrust23THRUST_200600_302600_NS10device_ptrIlEEjNS1_19radix_merge_compareILb0ELb1EhNS0_19identity_decomposerEEEEE10hipError_tT0_T1_T2_jT3_P12ihipStream_tbPNSt15iterator_traitsISG_E10value_typeEPNSM_ISH_E10value_typeEPSI_NS1_7vsmem_tEENKUlT_SG_SH_SI_E_clIS7_S7_SB_PlEESF_SV_SG_SH_SI_EUlSV_E1_NS1_11comp_targetILNS1_3genE10ELNS1_11target_archE1201ELNS1_3gpuE5ELNS1_3repE0EEENS1_36merge_oddeven_config_static_selectorELNS0_4arch9wavefront6targetE1EEEvSH_.uses_flat_scratch, 0
	.set _ZN7rocprim17ROCPRIM_400000_NS6detail17trampoline_kernelINS0_14default_configENS1_38merge_sort_block_merge_config_selectorIhlEEZZNS1_27merge_sort_block_merge_implIS3_PhN6thrust23THRUST_200600_302600_NS10device_ptrIlEEjNS1_19radix_merge_compareILb0ELb1EhNS0_19identity_decomposerEEEEE10hipError_tT0_T1_T2_jT3_P12ihipStream_tbPNSt15iterator_traitsISG_E10value_typeEPNSM_ISH_E10value_typeEPSI_NS1_7vsmem_tEENKUlT_SG_SH_SI_E_clIS7_S7_SB_PlEESF_SV_SG_SH_SI_EUlSV_E1_NS1_11comp_targetILNS1_3genE10ELNS1_11target_archE1201ELNS1_3gpuE5ELNS1_3repE0EEENS1_36merge_oddeven_config_static_selectorELNS0_4arch9wavefront6targetE1EEEvSH_.has_dyn_sized_stack, 0
	.set _ZN7rocprim17ROCPRIM_400000_NS6detail17trampoline_kernelINS0_14default_configENS1_38merge_sort_block_merge_config_selectorIhlEEZZNS1_27merge_sort_block_merge_implIS3_PhN6thrust23THRUST_200600_302600_NS10device_ptrIlEEjNS1_19radix_merge_compareILb0ELb1EhNS0_19identity_decomposerEEEEE10hipError_tT0_T1_T2_jT3_P12ihipStream_tbPNSt15iterator_traitsISG_E10value_typeEPNSM_ISH_E10value_typeEPSI_NS1_7vsmem_tEENKUlT_SG_SH_SI_E_clIS7_S7_SB_PlEESF_SV_SG_SH_SI_EUlSV_E1_NS1_11comp_targetILNS1_3genE10ELNS1_11target_archE1201ELNS1_3gpuE5ELNS1_3repE0EEENS1_36merge_oddeven_config_static_selectorELNS0_4arch9wavefront6targetE1EEEvSH_.has_recursion, 0
	.set _ZN7rocprim17ROCPRIM_400000_NS6detail17trampoline_kernelINS0_14default_configENS1_38merge_sort_block_merge_config_selectorIhlEEZZNS1_27merge_sort_block_merge_implIS3_PhN6thrust23THRUST_200600_302600_NS10device_ptrIlEEjNS1_19radix_merge_compareILb0ELb1EhNS0_19identity_decomposerEEEEE10hipError_tT0_T1_T2_jT3_P12ihipStream_tbPNSt15iterator_traitsISG_E10value_typeEPNSM_ISH_E10value_typeEPSI_NS1_7vsmem_tEENKUlT_SG_SH_SI_E_clIS7_S7_SB_PlEESF_SV_SG_SH_SI_EUlSV_E1_NS1_11comp_targetILNS1_3genE10ELNS1_11target_archE1201ELNS1_3gpuE5ELNS1_3repE0EEENS1_36merge_oddeven_config_static_selectorELNS0_4arch9wavefront6targetE1EEEvSH_.has_indirect_call, 0
	.section	.AMDGPU.csdata,"",@progbits
; Kernel info:
; codeLenInByte = 0
; TotalNumSgprs: 4
; NumVgprs: 0
; ScratchSize: 0
; MemoryBound: 0
; FloatMode: 240
; IeeeMode: 1
; LDSByteSize: 0 bytes/workgroup (compile time only)
; SGPRBlocks: 0
; VGPRBlocks: 0
; NumSGPRsForWavesPerEU: 4
; NumVGPRsForWavesPerEU: 1
; Occupancy: 10
; WaveLimiterHint : 0
; COMPUTE_PGM_RSRC2:SCRATCH_EN: 0
; COMPUTE_PGM_RSRC2:USER_SGPR: 6
; COMPUTE_PGM_RSRC2:TRAP_HANDLER: 0
; COMPUTE_PGM_RSRC2:TGID_X_EN: 1
; COMPUTE_PGM_RSRC2:TGID_Y_EN: 0
; COMPUTE_PGM_RSRC2:TGID_Z_EN: 0
; COMPUTE_PGM_RSRC2:TIDIG_COMP_CNT: 0
	.section	.text._ZN7rocprim17ROCPRIM_400000_NS6detail17trampoline_kernelINS0_14default_configENS1_38merge_sort_block_merge_config_selectorIhlEEZZNS1_27merge_sort_block_merge_implIS3_PhN6thrust23THRUST_200600_302600_NS10device_ptrIlEEjNS1_19radix_merge_compareILb0ELb1EhNS0_19identity_decomposerEEEEE10hipError_tT0_T1_T2_jT3_P12ihipStream_tbPNSt15iterator_traitsISG_E10value_typeEPNSM_ISH_E10value_typeEPSI_NS1_7vsmem_tEENKUlT_SG_SH_SI_E_clIS7_S7_SB_PlEESF_SV_SG_SH_SI_EUlSV_E1_NS1_11comp_targetILNS1_3genE5ELNS1_11target_archE942ELNS1_3gpuE9ELNS1_3repE0EEENS1_36merge_oddeven_config_static_selectorELNS0_4arch9wavefront6targetE1EEEvSH_,"axG",@progbits,_ZN7rocprim17ROCPRIM_400000_NS6detail17trampoline_kernelINS0_14default_configENS1_38merge_sort_block_merge_config_selectorIhlEEZZNS1_27merge_sort_block_merge_implIS3_PhN6thrust23THRUST_200600_302600_NS10device_ptrIlEEjNS1_19radix_merge_compareILb0ELb1EhNS0_19identity_decomposerEEEEE10hipError_tT0_T1_T2_jT3_P12ihipStream_tbPNSt15iterator_traitsISG_E10value_typeEPNSM_ISH_E10value_typeEPSI_NS1_7vsmem_tEENKUlT_SG_SH_SI_E_clIS7_S7_SB_PlEESF_SV_SG_SH_SI_EUlSV_E1_NS1_11comp_targetILNS1_3genE5ELNS1_11target_archE942ELNS1_3gpuE9ELNS1_3repE0EEENS1_36merge_oddeven_config_static_selectorELNS0_4arch9wavefront6targetE1EEEvSH_,comdat
	.protected	_ZN7rocprim17ROCPRIM_400000_NS6detail17trampoline_kernelINS0_14default_configENS1_38merge_sort_block_merge_config_selectorIhlEEZZNS1_27merge_sort_block_merge_implIS3_PhN6thrust23THRUST_200600_302600_NS10device_ptrIlEEjNS1_19radix_merge_compareILb0ELb1EhNS0_19identity_decomposerEEEEE10hipError_tT0_T1_T2_jT3_P12ihipStream_tbPNSt15iterator_traitsISG_E10value_typeEPNSM_ISH_E10value_typeEPSI_NS1_7vsmem_tEENKUlT_SG_SH_SI_E_clIS7_S7_SB_PlEESF_SV_SG_SH_SI_EUlSV_E1_NS1_11comp_targetILNS1_3genE5ELNS1_11target_archE942ELNS1_3gpuE9ELNS1_3repE0EEENS1_36merge_oddeven_config_static_selectorELNS0_4arch9wavefront6targetE1EEEvSH_ ; -- Begin function _ZN7rocprim17ROCPRIM_400000_NS6detail17trampoline_kernelINS0_14default_configENS1_38merge_sort_block_merge_config_selectorIhlEEZZNS1_27merge_sort_block_merge_implIS3_PhN6thrust23THRUST_200600_302600_NS10device_ptrIlEEjNS1_19radix_merge_compareILb0ELb1EhNS0_19identity_decomposerEEEEE10hipError_tT0_T1_T2_jT3_P12ihipStream_tbPNSt15iterator_traitsISG_E10value_typeEPNSM_ISH_E10value_typeEPSI_NS1_7vsmem_tEENKUlT_SG_SH_SI_E_clIS7_S7_SB_PlEESF_SV_SG_SH_SI_EUlSV_E1_NS1_11comp_targetILNS1_3genE5ELNS1_11target_archE942ELNS1_3gpuE9ELNS1_3repE0EEENS1_36merge_oddeven_config_static_selectorELNS0_4arch9wavefront6targetE1EEEvSH_
	.globl	_ZN7rocprim17ROCPRIM_400000_NS6detail17trampoline_kernelINS0_14default_configENS1_38merge_sort_block_merge_config_selectorIhlEEZZNS1_27merge_sort_block_merge_implIS3_PhN6thrust23THRUST_200600_302600_NS10device_ptrIlEEjNS1_19radix_merge_compareILb0ELb1EhNS0_19identity_decomposerEEEEE10hipError_tT0_T1_T2_jT3_P12ihipStream_tbPNSt15iterator_traitsISG_E10value_typeEPNSM_ISH_E10value_typeEPSI_NS1_7vsmem_tEENKUlT_SG_SH_SI_E_clIS7_S7_SB_PlEESF_SV_SG_SH_SI_EUlSV_E1_NS1_11comp_targetILNS1_3genE5ELNS1_11target_archE942ELNS1_3gpuE9ELNS1_3repE0EEENS1_36merge_oddeven_config_static_selectorELNS0_4arch9wavefront6targetE1EEEvSH_
	.p2align	8
	.type	_ZN7rocprim17ROCPRIM_400000_NS6detail17trampoline_kernelINS0_14default_configENS1_38merge_sort_block_merge_config_selectorIhlEEZZNS1_27merge_sort_block_merge_implIS3_PhN6thrust23THRUST_200600_302600_NS10device_ptrIlEEjNS1_19radix_merge_compareILb0ELb1EhNS0_19identity_decomposerEEEEE10hipError_tT0_T1_T2_jT3_P12ihipStream_tbPNSt15iterator_traitsISG_E10value_typeEPNSM_ISH_E10value_typeEPSI_NS1_7vsmem_tEENKUlT_SG_SH_SI_E_clIS7_S7_SB_PlEESF_SV_SG_SH_SI_EUlSV_E1_NS1_11comp_targetILNS1_3genE5ELNS1_11target_archE942ELNS1_3gpuE9ELNS1_3repE0EEENS1_36merge_oddeven_config_static_selectorELNS0_4arch9wavefront6targetE1EEEvSH_,@function
_ZN7rocprim17ROCPRIM_400000_NS6detail17trampoline_kernelINS0_14default_configENS1_38merge_sort_block_merge_config_selectorIhlEEZZNS1_27merge_sort_block_merge_implIS3_PhN6thrust23THRUST_200600_302600_NS10device_ptrIlEEjNS1_19radix_merge_compareILb0ELb1EhNS0_19identity_decomposerEEEEE10hipError_tT0_T1_T2_jT3_P12ihipStream_tbPNSt15iterator_traitsISG_E10value_typeEPNSM_ISH_E10value_typeEPSI_NS1_7vsmem_tEENKUlT_SG_SH_SI_E_clIS7_S7_SB_PlEESF_SV_SG_SH_SI_EUlSV_E1_NS1_11comp_targetILNS1_3genE5ELNS1_11target_archE942ELNS1_3gpuE9ELNS1_3repE0EEENS1_36merge_oddeven_config_static_selectorELNS0_4arch9wavefront6targetE1EEEvSH_: ; @_ZN7rocprim17ROCPRIM_400000_NS6detail17trampoline_kernelINS0_14default_configENS1_38merge_sort_block_merge_config_selectorIhlEEZZNS1_27merge_sort_block_merge_implIS3_PhN6thrust23THRUST_200600_302600_NS10device_ptrIlEEjNS1_19radix_merge_compareILb0ELb1EhNS0_19identity_decomposerEEEEE10hipError_tT0_T1_T2_jT3_P12ihipStream_tbPNSt15iterator_traitsISG_E10value_typeEPNSM_ISH_E10value_typeEPSI_NS1_7vsmem_tEENKUlT_SG_SH_SI_E_clIS7_S7_SB_PlEESF_SV_SG_SH_SI_EUlSV_E1_NS1_11comp_targetILNS1_3genE5ELNS1_11target_archE942ELNS1_3gpuE9ELNS1_3repE0EEENS1_36merge_oddeven_config_static_selectorELNS0_4arch9wavefront6targetE1EEEvSH_
; %bb.0:
	.section	.rodata,"a",@progbits
	.p2align	6, 0x0
	.amdhsa_kernel _ZN7rocprim17ROCPRIM_400000_NS6detail17trampoline_kernelINS0_14default_configENS1_38merge_sort_block_merge_config_selectorIhlEEZZNS1_27merge_sort_block_merge_implIS3_PhN6thrust23THRUST_200600_302600_NS10device_ptrIlEEjNS1_19radix_merge_compareILb0ELb1EhNS0_19identity_decomposerEEEEE10hipError_tT0_T1_T2_jT3_P12ihipStream_tbPNSt15iterator_traitsISG_E10value_typeEPNSM_ISH_E10value_typeEPSI_NS1_7vsmem_tEENKUlT_SG_SH_SI_E_clIS7_S7_SB_PlEESF_SV_SG_SH_SI_EUlSV_E1_NS1_11comp_targetILNS1_3genE5ELNS1_11target_archE942ELNS1_3gpuE9ELNS1_3repE0EEENS1_36merge_oddeven_config_static_selectorELNS0_4arch9wavefront6targetE1EEEvSH_
		.amdhsa_group_segment_fixed_size 0
		.amdhsa_private_segment_fixed_size 0
		.amdhsa_kernarg_size 48
		.amdhsa_user_sgpr_count 6
		.amdhsa_user_sgpr_private_segment_buffer 1
		.amdhsa_user_sgpr_dispatch_ptr 0
		.amdhsa_user_sgpr_queue_ptr 0
		.amdhsa_user_sgpr_kernarg_segment_ptr 1
		.amdhsa_user_sgpr_dispatch_id 0
		.amdhsa_user_sgpr_flat_scratch_init 0
		.amdhsa_user_sgpr_private_segment_size 0
		.amdhsa_uses_dynamic_stack 0
		.amdhsa_system_sgpr_private_segment_wavefront_offset 0
		.amdhsa_system_sgpr_workgroup_id_x 1
		.amdhsa_system_sgpr_workgroup_id_y 0
		.amdhsa_system_sgpr_workgroup_id_z 0
		.amdhsa_system_sgpr_workgroup_info 0
		.amdhsa_system_vgpr_workitem_id 0
		.amdhsa_next_free_vgpr 1
		.amdhsa_next_free_sgpr 0
		.amdhsa_reserve_vcc 0
		.amdhsa_reserve_flat_scratch 0
		.amdhsa_float_round_mode_32 0
		.amdhsa_float_round_mode_16_64 0
		.amdhsa_float_denorm_mode_32 3
		.amdhsa_float_denorm_mode_16_64 3
		.amdhsa_dx10_clamp 1
		.amdhsa_ieee_mode 1
		.amdhsa_fp16_overflow 0
		.amdhsa_exception_fp_ieee_invalid_op 0
		.amdhsa_exception_fp_denorm_src 0
		.amdhsa_exception_fp_ieee_div_zero 0
		.amdhsa_exception_fp_ieee_overflow 0
		.amdhsa_exception_fp_ieee_underflow 0
		.amdhsa_exception_fp_ieee_inexact 0
		.amdhsa_exception_int_div_zero 0
	.end_amdhsa_kernel
	.section	.text._ZN7rocprim17ROCPRIM_400000_NS6detail17trampoline_kernelINS0_14default_configENS1_38merge_sort_block_merge_config_selectorIhlEEZZNS1_27merge_sort_block_merge_implIS3_PhN6thrust23THRUST_200600_302600_NS10device_ptrIlEEjNS1_19radix_merge_compareILb0ELb1EhNS0_19identity_decomposerEEEEE10hipError_tT0_T1_T2_jT3_P12ihipStream_tbPNSt15iterator_traitsISG_E10value_typeEPNSM_ISH_E10value_typeEPSI_NS1_7vsmem_tEENKUlT_SG_SH_SI_E_clIS7_S7_SB_PlEESF_SV_SG_SH_SI_EUlSV_E1_NS1_11comp_targetILNS1_3genE5ELNS1_11target_archE942ELNS1_3gpuE9ELNS1_3repE0EEENS1_36merge_oddeven_config_static_selectorELNS0_4arch9wavefront6targetE1EEEvSH_,"axG",@progbits,_ZN7rocprim17ROCPRIM_400000_NS6detail17trampoline_kernelINS0_14default_configENS1_38merge_sort_block_merge_config_selectorIhlEEZZNS1_27merge_sort_block_merge_implIS3_PhN6thrust23THRUST_200600_302600_NS10device_ptrIlEEjNS1_19radix_merge_compareILb0ELb1EhNS0_19identity_decomposerEEEEE10hipError_tT0_T1_T2_jT3_P12ihipStream_tbPNSt15iterator_traitsISG_E10value_typeEPNSM_ISH_E10value_typeEPSI_NS1_7vsmem_tEENKUlT_SG_SH_SI_E_clIS7_S7_SB_PlEESF_SV_SG_SH_SI_EUlSV_E1_NS1_11comp_targetILNS1_3genE5ELNS1_11target_archE942ELNS1_3gpuE9ELNS1_3repE0EEENS1_36merge_oddeven_config_static_selectorELNS0_4arch9wavefront6targetE1EEEvSH_,comdat
.Lfunc_end231:
	.size	_ZN7rocprim17ROCPRIM_400000_NS6detail17trampoline_kernelINS0_14default_configENS1_38merge_sort_block_merge_config_selectorIhlEEZZNS1_27merge_sort_block_merge_implIS3_PhN6thrust23THRUST_200600_302600_NS10device_ptrIlEEjNS1_19radix_merge_compareILb0ELb1EhNS0_19identity_decomposerEEEEE10hipError_tT0_T1_T2_jT3_P12ihipStream_tbPNSt15iterator_traitsISG_E10value_typeEPNSM_ISH_E10value_typeEPSI_NS1_7vsmem_tEENKUlT_SG_SH_SI_E_clIS7_S7_SB_PlEESF_SV_SG_SH_SI_EUlSV_E1_NS1_11comp_targetILNS1_3genE5ELNS1_11target_archE942ELNS1_3gpuE9ELNS1_3repE0EEENS1_36merge_oddeven_config_static_selectorELNS0_4arch9wavefront6targetE1EEEvSH_, .Lfunc_end231-_ZN7rocprim17ROCPRIM_400000_NS6detail17trampoline_kernelINS0_14default_configENS1_38merge_sort_block_merge_config_selectorIhlEEZZNS1_27merge_sort_block_merge_implIS3_PhN6thrust23THRUST_200600_302600_NS10device_ptrIlEEjNS1_19radix_merge_compareILb0ELb1EhNS0_19identity_decomposerEEEEE10hipError_tT0_T1_T2_jT3_P12ihipStream_tbPNSt15iterator_traitsISG_E10value_typeEPNSM_ISH_E10value_typeEPSI_NS1_7vsmem_tEENKUlT_SG_SH_SI_E_clIS7_S7_SB_PlEESF_SV_SG_SH_SI_EUlSV_E1_NS1_11comp_targetILNS1_3genE5ELNS1_11target_archE942ELNS1_3gpuE9ELNS1_3repE0EEENS1_36merge_oddeven_config_static_selectorELNS0_4arch9wavefront6targetE1EEEvSH_
                                        ; -- End function
	.set _ZN7rocprim17ROCPRIM_400000_NS6detail17trampoline_kernelINS0_14default_configENS1_38merge_sort_block_merge_config_selectorIhlEEZZNS1_27merge_sort_block_merge_implIS3_PhN6thrust23THRUST_200600_302600_NS10device_ptrIlEEjNS1_19radix_merge_compareILb0ELb1EhNS0_19identity_decomposerEEEEE10hipError_tT0_T1_T2_jT3_P12ihipStream_tbPNSt15iterator_traitsISG_E10value_typeEPNSM_ISH_E10value_typeEPSI_NS1_7vsmem_tEENKUlT_SG_SH_SI_E_clIS7_S7_SB_PlEESF_SV_SG_SH_SI_EUlSV_E1_NS1_11comp_targetILNS1_3genE5ELNS1_11target_archE942ELNS1_3gpuE9ELNS1_3repE0EEENS1_36merge_oddeven_config_static_selectorELNS0_4arch9wavefront6targetE1EEEvSH_.num_vgpr, 0
	.set _ZN7rocprim17ROCPRIM_400000_NS6detail17trampoline_kernelINS0_14default_configENS1_38merge_sort_block_merge_config_selectorIhlEEZZNS1_27merge_sort_block_merge_implIS3_PhN6thrust23THRUST_200600_302600_NS10device_ptrIlEEjNS1_19radix_merge_compareILb0ELb1EhNS0_19identity_decomposerEEEEE10hipError_tT0_T1_T2_jT3_P12ihipStream_tbPNSt15iterator_traitsISG_E10value_typeEPNSM_ISH_E10value_typeEPSI_NS1_7vsmem_tEENKUlT_SG_SH_SI_E_clIS7_S7_SB_PlEESF_SV_SG_SH_SI_EUlSV_E1_NS1_11comp_targetILNS1_3genE5ELNS1_11target_archE942ELNS1_3gpuE9ELNS1_3repE0EEENS1_36merge_oddeven_config_static_selectorELNS0_4arch9wavefront6targetE1EEEvSH_.num_agpr, 0
	.set _ZN7rocprim17ROCPRIM_400000_NS6detail17trampoline_kernelINS0_14default_configENS1_38merge_sort_block_merge_config_selectorIhlEEZZNS1_27merge_sort_block_merge_implIS3_PhN6thrust23THRUST_200600_302600_NS10device_ptrIlEEjNS1_19radix_merge_compareILb0ELb1EhNS0_19identity_decomposerEEEEE10hipError_tT0_T1_T2_jT3_P12ihipStream_tbPNSt15iterator_traitsISG_E10value_typeEPNSM_ISH_E10value_typeEPSI_NS1_7vsmem_tEENKUlT_SG_SH_SI_E_clIS7_S7_SB_PlEESF_SV_SG_SH_SI_EUlSV_E1_NS1_11comp_targetILNS1_3genE5ELNS1_11target_archE942ELNS1_3gpuE9ELNS1_3repE0EEENS1_36merge_oddeven_config_static_selectorELNS0_4arch9wavefront6targetE1EEEvSH_.numbered_sgpr, 0
	.set _ZN7rocprim17ROCPRIM_400000_NS6detail17trampoline_kernelINS0_14default_configENS1_38merge_sort_block_merge_config_selectorIhlEEZZNS1_27merge_sort_block_merge_implIS3_PhN6thrust23THRUST_200600_302600_NS10device_ptrIlEEjNS1_19radix_merge_compareILb0ELb1EhNS0_19identity_decomposerEEEEE10hipError_tT0_T1_T2_jT3_P12ihipStream_tbPNSt15iterator_traitsISG_E10value_typeEPNSM_ISH_E10value_typeEPSI_NS1_7vsmem_tEENKUlT_SG_SH_SI_E_clIS7_S7_SB_PlEESF_SV_SG_SH_SI_EUlSV_E1_NS1_11comp_targetILNS1_3genE5ELNS1_11target_archE942ELNS1_3gpuE9ELNS1_3repE0EEENS1_36merge_oddeven_config_static_selectorELNS0_4arch9wavefront6targetE1EEEvSH_.num_named_barrier, 0
	.set _ZN7rocprim17ROCPRIM_400000_NS6detail17trampoline_kernelINS0_14default_configENS1_38merge_sort_block_merge_config_selectorIhlEEZZNS1_27merge_sort_block_merge_implIS3_PhN6thrust23THRUST_200600_302600_NS10device_ptrIlEEjNS1_19radix_merge_compareILb0ELb1EhNS0_19identity_decomposerEEEEE10hipError_tT0_T1_T2_jT3_P12ihipStream_tbPNSt15iterator_traitsISG_E10value_typeEPNSM_ISH_E10value_typeEPSI_NS1_7vsmem_tEENKUlT_SG_SH_SI_E_clIS7_S7_SB_PlEESF_SV_SG_SH_SI_EUlSV_E1_NS1_11comp_targetILNS1_3genE5ELNS1_11target_archE942ELNS1_3gpuE9ELNS1_3repE0EEENS1_36merge_oddeven_config_static_selectorELNS0_4arch9wavefront6targetE1EEEvSH_.private_seg_size, 0
	.set _ZN7rocprim17ROCPRIM_400000_NS6detail17trampoline_kernelINS0_14default_configENS1_38merge_sort_block_merge_config_selectorIhlEEZZNS1_27merge_sort_block_merge_implIS3_PhN6thrust23THRUST_200600_302600_NS10device_ptrIlEEjNS1_19radix_merge_compareILb0ELb1EhNS0_19identity_decomposerEEEEE10hipError_tT0_T1_T2_jT3_P12ihipStream_tbPNSt15iterator_traitsISG_E10value_typeEPNSM_ISH_E10value_typeEPSI_NS1_7vsmem_tEENKUlT_SG_SH_SI_E_clIS7_S7_SB_PlEESF_SV_SG_SH_SI_EUlSV_E1_NS1_11comp_targetILNS1_3genE5ELNS1_11target_archE942ELNS1_3gpuE9ELNS1_3repE0EEENS1_36merge_oddeven_config_static_selectorELNS0_4arch9wavefront6targetE1EEEvSH_.uses_vcc, 0
	.set _ZN7rocprim17ROCPRIM_400000_NS6detail17trampoline_kernelINS0_14default_configENS1_38merge_sort_block_merge_config_selectorIhlEEZZNS1_27merge_sort_block_merge_implIS3_PhN6thrust23THRUST_200600_302600_NS10device_ptrIlEEjNS1_19radix_merge_compareILb0ELb1EhNS0_19identity_decomposerEEEEE10hipError_tT0_T1_T2_jT3_P12ihipStream_tbPNSt15iterator_traitsISG_E10value_typeEPNSM_ISH_E10value_typeEPSI_NS1_7vsmem_tEENKUlT_SG_SH_SI_E_clIS7_S7_SB_PlEESF_SV_SG_SH_SI_EUlSV_E1_NS1_11comp_targetILNS1_3genE5ELNS1_11target_archE942ELNS1_3gpuE9ELNS1_3repE0EEENS1_36merge_oddeven_config_static_selectorELNS0_4arch9wavefront6targetE1EEEvSH_.uses_flat_scratch, 0
	.set _ZN7rocprim17ROCPRIM_400000_NS6detail17trampoline_kernelINS0_14default_configENS1_38merge_sort_block_merge_config_selectorIhlEEZZNS1_27merge_sort_block_merge_implIS3_PhN6thrust23THRUST_200600_302600_NS10device_ptrIlEEjNS1_19radix_merge_compareILb0ELb1EhNS0_19identity_decomposerEEEEE10hipError_tT0_T1_T2_jT3_P12ihipStream_tbPNSt15iterator_traitsISG_E10value_typeEPNSM_ISH_E10value_typeEPSI_NS1_7vsmem_tEENKUlT_SG_SH_SI_E_clIS7_S7_SB_PlEESF_SV_SG_SH_SI_EUlSV_E1_NS1_11comp_targetILNS1_3genE5ELNS1_11target_archE942ELNS1_3gpuE9ELNS1_3repE0EEENS1_36merge_oddeven_config_static_selectorELNS0_4arch9wavefront6targetE1EEEvSH_.has_dyn_sized_stack, 0
	.set _ZN7rocprim17ROCPRIM_400000_NS6detail17trampoline_kernelINS0_14default_configENS1_38merge_sort_block_merge_config_selectorIhlEEZZNS1_27merge_sort_block_merge_implIS3_PhN6thrust23THRUST_200600_302600_NS10device_ptrIlEEjNS1_19radix_merge_compareILb0ELb1EhNS0_19identity_decomposerEEEEE10hipError_tT0_T1_T2_jT3_P12ihipStream_tbPNSt15iterator_traitsISG_E10value_typeEPNSM_ISH_E10value_typeEPSI_NS1_7vsmem_tEENKUlT_SG_SH_SI_E_clIS7_S7_SB_PlEESF_SV_SG_SH_SI_EUlSV_E1_NS1_11comp_targetILNS1_3genE5ELNS1_11target_archE942ELNS1_3gpuE9ELNS1_3repE0EEENS1_36merge_oddeven_config_static_selectorELNS0_4arch9wavefront6targetE1EEEvSH_.has_recursion, 0
	.set _ZN7rocprim17ROCPRIM_400000_NS6detail17trampoline_kernelINS0_14default_configENS1_38merge_sort_block_merge_config_selectorIhlEEZZNS1_27merge_sort_block_merge_implIS3_PhN6thrust23THRUST_200600_302600_NS10device_ptrIlEEjNS1_19radix_merge_compareILb0ELb1EhNS0_19identity_decomposerEEEEE10hipError_tT0_T1_T2_jT3_P12ihipStream_tbPNSt15iterator_traitsISG_E10value_typeEPNSM_ISH_E10value_typeEPSI_NS1_7vsmem_tEENKUlT_SG_SH_SI_E_clIS7_S7_SB_PlEESF_SV_SG_SH_SI_EUlSV_E1_NS1_11comp_targetILNS1_3genE5ELNS1_11target_archE942ELNS1_3gpuE9ELNS1_3repE0EEENS1_36merge_oddeven_config_static_selectorELNS0_4arch9wavefront6targetE1EEEvSH_.has_indirect_call, 0
	.section	.AMDGPU.csdata,"",@progbits
; Kernel info:
; codeLenInByte = 0
; TotalNumSgprs: 4
; NumVgprs: 0
; ScratchSize: 0
; MemoryBound: 0
; FloatMode: 240
; IeeeMode: 1
; LDSByteSize: 0 bytes/workgroup (compile time only)
; SGPRBlocks: 0
; VGPRBlocks: 0
; NumSGPRsForWavesPerEU: 4
; NumVGPRsForWavesPerEU: 1
; Occupancy: 10
; WaveLimiterHint : 0
; COMPUTE_PGM_RSRC2:SCRATCH_EN: 0
; COMPUTE_PGM_RSRC2:USER_SGPR: 6
; COMPUTE_PGM_RSRC2:TRAP_HANDLER: 0
; COMPUTE_PGM_RSRC2:TGID_X_EN: 1
; COMPUTE_PGM_RSRC2:TGID_Y_EN: 0
; COMPUTE_PGM_RSRC2:TGID_Z_EN: 0
; COMPUTE_PGM_RSRC2:TIDIG_COMP_CNT: 0
	.section	.text._ZN7rocprim17ROCPRIM_400000_NS6detail17trampoline_kernelINS0_14default_configENS1_38merge_sort_block_merge_config_selectorIhlEEZZNS1_27merge_sort_block_merge_implIS3_PhN6thrust23THRUST_200600_302600_NS10device_ptrIlEEjNS1_19radix_merge_compareILb0ELb1EhNS0_19identity_decomposerEEEEE10hipError_tT0_T1_T2_jT3_P12ihipStream_tbPNSt15iterator_traitsISG_E10value_typeEPNSM_ISH_E10value_typeEPSI_NS1_7vsmem_tEENKUlT_SG_SH_SI_E_clIS7_S7_SB_PlEESF_SV_SG_SH_SI_EUlSV_E1_NS1_11comp_targetILNS1_3genE4ELNS1_11target_archE910ELNS1_3gpuE8ELNS1_3repE0EEENS1_36merge_oddeven_config_static_selectorELNS0_4arch9wavefront6targetE1EEEvSH_,"axG",@progbits,_ZN7rocprim17ROCPRIM_400000_NS6detail17trampoline_kernelINS0_14default_configENS1_38merge_sort_block_merge_config_selectorIhlEEZZNS1_27merge_sort_block_merge_implIS3_PhN6thrust23THRUST_200600_302600_NS10device_ptrIlEEjNS1_19radix_merge_compareILb0ELb1EhNS0_19identity_decomposerEEEEE10hipError_tT0_T1_T2_jT3_P12ihipStream_tbPNSt15iterator_traitsISG_E10value_typeEPNSM_ISH_E10value_typeEPSI_NS1_7vsmem_tEENKUlT_SG_SH_SI_E_clIS7_S7_SB_PlEESF_SV_SG_SH_SI_EUlSV_E1_NS1_11comp_targetILNS1_3genE4ELNS1_11target_archE910ELNS1_3gpuE8ELNS1_3repE0EEENS1_36merge_oddeven_config_static_selectorELNS0_4arch9wavefront6targetE1EEEvSH_,comdat
	.protected	_ZN7rocprim17ROCPRIM_400000_NS6detail17trampoline_kernelINS0_14default_configENS1_38merge_sort_block_merge_config_selectorIhlEEZZNS1_27merge_sort_block_merge_implIS3_PhN6thrust23THRUST_200600_302600_NS10device_ptrIlEEjNS1_19radix_merge_compareILb0ELb1EhNS0_19identity_decomposerEEEEE10hipError_tT0_T1_T2_jT3_P12ihipStream_tbPNSt15iterator_traitsISG_E10value_typeEPNSM_ISH_E10value_typeEPSI_NS1_7vsmem_tEENKUlT_SG_SH_SI_E_clIS7_S7_SB_PlEESF_SV_SG_SH_SI_EUlSV_E1_NS1_11comp_targetILNS1_3genE4ELNS1_11target_archE910ELNS1_3gpuE8ELNS1_3repE0EEENS1_36merge_oddeven_config_static_selectorELNS0_4arch9wavefront6targetE1EEEvSH_ ; -- Begin function _ZN7rocprim17ROCPRIM_400000_NS6detail17trampoline_kernelINS0_14default_configENS1_38merge_sort_block_merge_config_selectorIhlEEZZNS1_27merge_sort_block_merge_implIS3_PhN6thrust23THRUST_200600_302600_NS10device_ptrIlEEjNS1_19radix_merge_compareILb0ELb1EhNS0_19identity_decomposerEEEEE10hipError_tT0_T1_T2_jT3_P12ihipStream_tbPNSt15iterator_traitsISG_E10value_typeEPNSM_ISH_E10value_typeEPSI_NS1_7vsmem_tEENKUlT_SG_SH_SI_E_clIS7_S7_SB_PlEESF_SV_SG_SH_SI_EUlSV_E1_NS1_11comp_targetILNS1_3genE4ELNS1_11target_archE910ELNS1_3gpuE8ELNS1_3repE0EEENS1_36merge_oddeven_config_static_selectorELNS0_4arch9wavefront6targetE1EEEvSH_
	.globl	_ZN7rocprim17ROCPRIM_400000_NS6detail17trampoline_kernelINS0_14default_configENS1_38merge_sort_block_merge_config_selectorIhlEEZZNS1_27merge_sort_block_merge_implIS3_PhN6thrust23THRUST_200600_302600_NS10device_ptrIlEEjNS1_19radix_merge_compareILb0ELb1EhNS0_19identity_decomposerEEEEE10hipError_tT0_T1_T2_jT3_P12ihipStream_tbPNSt15iterator_traitsISG_E10value_typeEPNSM_ISH_E10value_typeEPSI_NS1_7vsmem_tEENKUlT_SG_SH_SI_E_clIS7_S7_SB_PlEESF_SV_SG_SH_SI_EUlSV_E1_NS1_11comp_targetILNS1_3genE4ELNS1_11target_archE910ELNS1_3gpuE8ELNS1_3repE0EEENS1_36merge_oddeven_config_static_selectorELNS0_4arch9wavefront6targetE1EEEvSH_
	.p2align	8
	.type	_ZN7rocprim17ROCPRIM_400000_NS6detail17trampoline_kernelINS0_14default_configENS1_38merge_sort_block_merge_config_selectorIhlEEZZNS1_27merge_sort_block_merge_implIS3_PhN6thrust23THRUST_200600_302600_NS10device_ptrIlEEjNS1_19radix_merge_compareILb0ELb1EhNS0_19identity_decomposerEEEEE10hipError_tT0_T1_T2_jT3_P12ihipStream_tbPNSt15iterator_traitsISG_E10value_typeEPNSM_ISH_E10value_typeEPSI_NS1_7vsmem_tEENKUlT_SG_SH_SI_E_clIS7_S7_SB_PlEESF_SV_SG_SH_SI_EUlSV_E1_NS1_11comp_targetILNS1_3genE4ELNS1_11target_archE910ELNS1_3gpuE8ELNS1_3repE0EEENS1_36merge_oddeven_config_static_selectorELNS0_4arch9wavefront6targetE1EEEvSH_,@function
_ZN7rocprim17ROCPRIM_400000_NS6detail17trampoline_kernelINS0_14default_configENS1_38merge_sort_block_merge_config_selectorIhlEEZZNS1_27merge_sort_block_merge_implIS3_PhN6thrust23THRUST_200600_302600_NS10device_ptrIlEEjNS1_19radix_merge_compareILb0ELb1EhNS0_19identity_decomposerEEEEE10hipError_tT0_T1_T2_jT3_P12ihipStream_tbPNSt15iterator_traitsISG_E10value_typeEPNSM_ISH_E10value_typeEPSI_NS1_7vsmem_tEENKUlT_SG_SH_SI_E_clIS7_S7_SB_PlEESF_SV_SG_SH_SI_EUlSV_E1_NS1_11comp_targetILNS1_3genE4ELNS1_11target_archE910ELNS1_3gpuE8ELNS1_3repE0EEENS1_36merge_oddeven_config_static_selectorELNS0_4arch9wavefront6targetE1EEEvSH_: ; @_ZN7rocprim17ROCPRIM_400000_NS6detail17trampoline_kernelINS0_14default_configENS1_38merge_sort_block_merge_config_selectorIhlEEZZNS1_27merge_sort_block_merge_implIS3_PhN6thrust23THRUST_200600_302600_NS10device_ptrIlEEjNS1_19radix_merge_compareILb0ELb1EhNS0_19identity_decomposerEEEEE10hipError_tT0_T1_T2_jT3_P12ihipStream_tbPNSt15iterator_traitsISG_E10value_typeEPNSM_ISH_E10value_typeEPSI_NS1_7vsmem_tEENKUlT_SG_SH_SI_E_clIS7_S7_SB_PlEESF_SV_SG_SH_SI_EUlSV_E1_NS1_11comp_targetILNS1_3genE4ELNS1_11target_archE910ELNS1_3gpuE8ELNS1_3repE0EEENS1_36merge_oddeven_config_static_selectorELNS0_4arch9wavefront6targetE1EEEvSH_
; %bb.0:
	.section	.rodata,"a",@progbits
	.p2align	6, 0x0
	.amdhsa_kernel _ZN7rocprim17ROCPRIM_400000_NS6detail17trampoline_kernelINS0_14default_configENS1_38merge_sort_block_merge_config_selectorIhlEEZZNS1_27merge_sort_block_merge_implIS3_PhN6thrust23THRUST_200600_302600_NS10device_ptrIlEEjNS1_19radix_merge_compareILb0ELb1EhNS0_19identity_decomposerEEEEE10hipError_tT0_T1_T2_jT3_P12ihipStream_tbPNSt15iterator_traitsISG_E10value_typeEPNSM_ISH_E10value_typeEPSI_NS1_7vsmem_tEENKUlT_SG_SH_SI_E_clIS7_S7_SB_PlEESF_SV_SG_SH_SI_EUlSV_E1_NS1_11comp_targetILNS1_3genE4ELNS1_11target_archE910ELNS1_3gpuE8ELNS1_3repE0EEENS1_36merge_oddeven_config_static_selectorELNS0_4arch9wavefront6targetE1EEEvSH_
		.amdhsa_group_segment_fixed_size 0
		.amdhsa_private_segment_fixed_size 0
		.amdhsa_kernarg_size 48
		.amdhsa_user_sgpr_count 6
		.amdhsa_user_sgpr_private_segment_buffer 1
		.amdhsa_user_sgpr_dispatch_ptr 0
		.amdhsa_user_sgpr_queue_ptr 0
		.amdhsa_user_sgpr_kernarg_segment_ptr 1
		.amdhsa_user_sgpr_dispatch_id 0
		.amdhsa_user_sgpr_flat_scratch_init 0
		.amdhsa_user_sgpr_private_segment_size 0
		.amdhsa_uses_dynamic_stack 0
		.amdhsa_system_sgpr_private_segment_wavefront_offset 0
		.amdhsa_system_sgpr_workgroup_id_x 1
		.amdhsa_system_sgpr_workgroup_id_y 0
		.amdhsa_system_sgpr_workgroup_id_z 0
		.amdhsa_system_sgpr_workgroup_info 0
		.amdhsa_system_vgpr_workitem_id 0
		.amdhsa_next_free_vgpr 1
		.amdhsa_next_free_sgpr 0
		.amdhsa_reserve_vcc 0
		.amdhsa_reserve_flat_scratch 0
		.amdhsa_float_round_mode_32 0
		.amdhsa_float_round_mode_16_64 0
		.amdhsa_float_denorm_mode_32 3
		.amdhsa_float_denorm_mode_16_64 3
		.amdhsa_dx10_clamp 1
		.amdhsa_ieee_mode 1
		.amdhsa_fp16_overflow 0
		.amdhsa_exception_fp_ieee_invalid_op 0
		.amdhsa_exception_fp_denorm_src 0
		.amdhsa_exception_fp_ieee_div_zero 0
		.amdhsa_exception_fp_ieee_overflow 0
		.amdhsa_exception_fp_ieee_underflow 0
		.amdhsa_exception_fp_ieee_inexact 0
		.amdhsa_exception_int_div_zero 0
	.end_amdhsa_kernel
	.section	.text._ZN7rocprim17ROCPRIM_400000_NS6detail17trampoline_kernelINS0_14default_configENS1_38merge_sort_block_merge_config_selectorIhlEEZZNS1_27merge_sort_block_merge_implIS3_PhN6thrust23THRUST_200600_302600_NS10device_ptrIlEEjNS1_19radix_merge_compareILb0ELb1EhNS0_19identity_decomposerEEEEE10hipError_tT0_T1_T2_jT3_P12ihipStream_tbPNSt15iterator_traitsISG_E10value_typeEPNSM_ISH_E10value_typeEPSI_NS1_7vsmem_tEENKUlT_SG_SH_SI_E_clIS7_S7_SB_PlEESF_SV_SG_SH_SI_EUlSV_E1_NS1_11comp_targetILNS1_3genE4ELNS1_11target_archE910ELNS1_3gpuE8ELNS1_3repE0EEENS1_36merge_oddeven_config_static_selectorELNS0_4arch9wavefront6targetE1EEEvSH_,"axG",@progbits,_ZN7rocprim17ROCPRIM_400000_NS6detail17trampoline_kernelINS0_14default_configENS1_38merge_sort_block_merge_config_selectorIhlEEZZNS1_27merge_sort_block_merge_implIS3_PhN6thrust23THRUST_200600_302600_NS10device_ptrIlEEjNS1_19radix_merge_compareILb0ELb1EhNS0_19identity_decomposerEEEEE10hipError_tT0_T1_T2_jT3_P12ihipStream_tbPNSt15iterator_traitsISG_E10value_typeEPNSM_ISH_E10value_typeEPSI_NS1_7vsmem_tEENKUlT_SG_SH_SI_E_clIS7_S7_SB_PlEESF_SV_SG_SH_SI_EUlSV_E1_NS1_11comp_targetILNS1_3genE4ELNS1_11target_archE910ELNS1_3gpuE8ELNS1_3repE0EEENS1_36merge_oddeven_config_static_selectorELNS0_4arch9wavefront6targetE1EEEvSH_,comdat
.Lfunc_end232:
	.size	_ZN7rocprim17ROCPRIM_400000_NS6detail17trampoline_kernelINS0_14default_configENS1_38merge_sort_block_merge_config_selectorIhlEEZZNS1_27merge_sort_block_merge_implIS3_PhN6thrust23THRUST_200600_302600_NS10device_ptrIlEEjNS1_19radix_merge_compareILb0ELb1EhNS0_19identity_decomposerEEEEE10hipError_tT0_T1_T2_jT3_P12ihipStream_tbPNSt15iterator_traitsISG_E10value_typeEPNSM_ISH_E10value_typeEPSI_NS1_7vsmem_tEENKUlT_SG_SH_SI_E_clIS7_S7_SB_PlEESF_SV_SG_SH_SI_EUlSV_E1_NS1_11comp_targetILNS1_3genE4ELNS1_11target_archE910ELNS1_3gpuE8ELNS1_3repE0EEENS1_36merge_oddeven_config_static_selectorELNS0_4arch9wavefront6targetE1EEEvSH_, .Lfunc_end232-_ZN7rocprim17ROCPRIM_400000_NS6detail17trampoline_kernelINS0_14default_configENS1_38merge_sort_block_merge_config_selectorIhlEEZZNS1_27merge_sort_block_merge_implIS3_PhN6thrust23THRUST_200600_302600_NS10device_ptrIlEEjNS1_19radix_merge_compareILb0ELb1EhNS0_19identity_decomposerEEEEE10hipError_tT0_T1_T2_jT3_P12ihipStream_tbPNSt15iterator_traitsISG_E10value_typeEPNSM_ISH_E10value_typeEPSI_NS1_7vsmem_tEENKUlT_SG_SH_SI_E_clIS7_S7_SB_PlEESF_SV_SG_SH_SI_EUlSV_E1_NS1_11comp_targetILNS1_3genE4ELNS1_11target_archE910ELNS1_3gpuE8ELNS1_3repE0EEENS1_36merge_oddeven_config_static_selectorELNS0_4arch9wavefront6targetE1EEEvSH_
                                        ; -- End function
	.set _ZN7rocprim17ROCPRIM_400000_NS6detail17trampoline_kernelINS0_14default_configENS1_38merge_sort_block_merge_config_selectorIhlEEZZNS1_27merge_sort_block_merge_implIS3_PhN6thrust23THRUST_200600_302600_NS10device_ptrIlEEjNS1_19radix_merge_compareILb0ELb1EhNS0_19identity_decomposerEEEEE10hipError_tT0_T1_T2_jT3_P12ihipStream_tbPNSt15iterator_traitsISG_E10value_typeEPNSM_ISH_E10value_typeEPSI_NS1_7vsmem_tEENKUlT_SG_SH_SI_E_clIS7_S7_SB_PlEESF_SV_SG_SH_SI_EUlSV_E1_NS1_11comp_targetILNS1_3genE4ELNS1_11target_archE910ELNS1_3gpuE8ELNS1_3repE0EEENS1_36merge_oddeven_config_static_selectorELNS0_4arch9wavefront6targetE1EEEvSH_.num_vgpr, 0
	.set _ZN7rocprim17ROCPRIM_400000_NS6detail17trampoline_kernelINS0_14default_configENS1_38merge_sort_block_merge_config_selectorIhlEEZZNS1_27merge_sort_block_merge_implIS3_PhN6thrust23THRUST_200600_302600_NS10device_ptrIlEEjNS1_19radix_merge_compareILb0ELb1EhNS0_19identity_decomposerEEEEE10hipError_tT0_T1_T2_jT3_P12ihipStream_tbPNSt15iterator_traitsISG_E10value_typeEPNSM_ISH_E10value_typeEPSI_NS1_7vsmem_tEENKUlT_SG_SH_SI_E_clIS7_S7_SB_PlEESF_SV_SG_SH_SI_EUlSV_E1_NS1_11comp_targetILNS1_3genE4ELNS1_11target_archE910ELNS1_3gpuE8ELNS1_3repE0EEENS1_36merge_oddeven_config_static_selectorELNS0_4arch9wavefront6targetE1EEEvSH_.num_agpr, 0
	.set _ZN7rocprim17ROCPRIM_400000_NS6detail17trampoline_kernelINS0_14default_configENS1_38merge_sort_block_merge_config_selectorIhlEEZZNS1_27merge_sort_block_merge_implIS3_PhN6thrust23THRUST_200600_302600_NS10device_ptrIlEEjNS1_19radix_merge_compareILb0ELb1EhNS0_19identity_decomposerEEEEE10hipError_tT0_T1_T2_jT3_P12ihipStream_tbPNSt15iterator_traitsISG_E10value_typeEPNSM_ISH_E10value_typeEPSI_NS1_7vsmem_tEENKUlT_SG_SH_SI_E_clIS7_S7_SB_PlEESF_SV_SG_SH_SI_EUlSV_E1_NS1_11comp_targetILNS1_3genE4ELNS1_11target_archE910ELNS1_3gpuE8ELNS1_3repE0EEENS1_36merge_oddeven_config_static_selectorELNS0_4arch9wavefront6targetE1EEEvSH_.numbered_sgpr, 0
	.set _ZN7rocprim17ROCPRIM_400000_NS6detail17trampoline_kernelINS0_14default_configENS1_38merge_sort_block_merge_config_selectorIhlEEZZNS1_27merge_sort_block_merge_implIS3_PhN6thrust23THRUST_200600_302600_NS10device_ptrIlEEjNS1_19radix_merge_compareILb0ELb1EhNS0_19identity_decomposerEEEEE10hipError_tT0_T1_T2_jT3_P12ihipStream_tbPNSt15iterator_traitsISG_E10value_typeEPNSM_ISH_E10value_typeEPSI_NS1_7vsmem_tEENKUlT_SG_SH_SI_E_clIS7_S7_SB_PlEESF_SV_SG_SH_SI_EUlSV_E1_NS1_11comp_targetILNS1_3genE4ELNS1_11target_archE910ELNS1_3gpuE8ELNS1_3repE0EEENS1_36merge_oddeven_config_static_selectorELNS0_4arch9wavefront6targetE1EEEvSH_.num_named_barrier, 0
	.set _ZN7rocprim17ROCPRIM_400000_NS6detail17trampoline_kernelINS0_14default_configENS1_38merge_sort_block_merge_config_selectorIhlEEZZNS1_27merge_sort_block_merge_implIS3_PhN6thrust23THRUST_200600_302600_NS10device_ptrIlEEjNS1_19radix_merge_compareILb0ELb1EhNS0_19identity_decomposerEEEEE10hipError_tT0_T1_T2_jT3_P12ihipStream_tbPNSt15iterator_traitsISG_E10value_typeEPNSM_ISH_E10value_typeEPSI_NS1_7vsmem_tEENKUlT_SG_SH_SI_E_clIS7_S7_SB_PlEESF_SV_SG_SH_SI_EUlSV_E1_NS1_11comp_targetILNS1_3genE4ELNS1_11target_archE910ELNS1_3gpuE8ELNS1_3repE0EEENS1_36merge_oddeven_config_static_selectorELNS0_4arch9wavefront6targetE1EEEvSH_.private_seg_size, 0
	.set _ZN7rocprim17ROCPRIM_400000_NS6detail17trampoline_kernelINS0_14default_configENS1_38merge_sort_block_merge_config_selectorIhlEEZZNS1_27merge_sort_block_merge_implIS3_PhN6thrust23THRUST_200600_302600_NS10device_ptrIlEEjNS1_19radix_merge_compareILb0ELb1EhNS0_19identity_decomposerEEEEE10hipError_tT0_T1_T2_jT3_P12ihipStream_tbPNSt15iterator_traitsISG_E10value_typeEPNSM_ISH_E10value_typeEPSI_NS1_7vsmem_tEENKUlT_SG_SH_SI_E_clIS7_S7_SB_PlEESF_SV_SG_SH_SI_EUlSV_E1_NS1_11comp_targetILNS1_3genE4ELNS1_11target_archE910ELNS1_3gpuE8ELNS1_3repE0EEENS1_36merge_oddeven_config_static_selectorELNS0_4arch9wavefront6targetE1EEEvSH_.uses_vcc, 0
	.set _ZN7rocprim17ROCPRIM_400000_NS6detail17trampoline_kernelINS0_14default_configENS1_38merge_sort_block_merge_config_selectorIhlEEZZNS1_27merge_sort_block_merge_implIS3_PhN6thrust23THRUST_200600_302600_NS10device_ptrIlEEjNS1_19radix_merge_compareILb0ELb1EhNS0_19identity_decomposerEEEEE10hipError_tT0_T1_T2_jT3_P12ihipStream_tbPNSt15iterator_traitsISG_E10value_typeEPNSM_ISH_E10value_typeEPSI_NS1_7vsmem_tEENKUlT_SG_SH_SI_E_clIS7_S7_SB_PlEESF_SV_SG_SH_SI_EUlSV_E1_NS1_11comp_targetILNS1_3genE4ELNS1_11target_archE910ELNS1_3gpuE8ELNS1_3repE0EEENS1_36merge_oddeven_config_static_selectorELNS0_4arch9wavefront6targetE1EEEvSH_.uses_flat_scratch, 0
	.set _ZN7rocprim17ROCPRIM_400000_NS6detail17trampoline_kernelINS0_14default_configENS1_38merge_sort_block_merge_config_selectorIhlEEZZNS1_27merge_sort_block_merge_implIS3_PhN6thrust23THRUST_200600_302600_NS10device_ptrIlEEjNS1_19radix_merge_compareILb0ELb1EhNS0_19identity_decomposerEEEEE10hipError_tT0_T1_T2_jT3_P12ihipStream_tbPNSt15iterator_traitsISG_E10value_typeEPNSM_ISH_E10value_typeEPSI_NS1_7vsmem_tEENKUlT_SG_SH_SI_E_clIS7_S7_SB_PlEESF_SV_SG_SH_SI_EUlSV_E1_NS1_11comp_targetILNS1_3genE4ELNS1_11target_archE910ELNS1_3gpuE8ELNS1_3repE0EEENS1_36merge_oddeven_config_static_selectorELNS0_4arch9wavefront6targetE1EEEvSH_.has_dyn_sized_stack, 0
	.set _ZN7rocprim17ROCPRIM_400000_NS6detail17trampoline_kernelINS0_14default_configENS1_38merge_sort_block_merge_config_selectorIhlEEZZNS1_27merge_sort_block_merge_implIS3_PhN6thrust23THRUST_200600_302600_NS10device_ptrIlEEjNS1_19radix_merge_compareILb0ELb1EhNS0_19identity_decomposerEEEEE10hipError_tT0_T1_T2_jT3_P12ihipStream_tbPNSt15iterator_traitsISG_E10value_typeEPNSM_ISH_E10value_typeEPSI_NS1_7vsmem_tEENKUlT_SG_SH_SI_E_clIS7_S7_SB_PlEESF_SV_SG_SH_SI_EUlSV_E1_NS1_11comp_targetILNS1_3genE4ELNS1_11target_archE910ELNS1_3gpuE8ELNS1_3repE0EEENS1_36merge_oddeven_config_static_selectorELNS0_4arch9wavefront6targetE1EEEvSH_.has_recursion, 0
	.set _ZN7rocprim17ROCPRIM_400000_NS6detail17trampoline_kernelINS0_14default_configENS1_38merge_sort_block_merge_config_selectorIhlEEZZNS1_27merge_sort_block_merge_implIS3_PhN6thrust23THRUST_200600_302600_NS10device_ptrIlEEjNS1_19radix_merge_compareILb0ELb1EhNS0_19identity_decomposerEEEEE10hipError_tT0_T1_T2_jT3_P12ihipStream_tbPNSt15iterator_traitsISG_E10value_typeEPNSM_ISH_E10value_typeEPSI_NS1_7vsmem_tEENKUlT_SG_SH_SI_E_clIS7_S7_SB_PlEESF_SV_SG_SH_SI_EUlSV_E1_NS1_11comp_targetILNS1_3genE4ELNS1_11target_archE910ELNS1_3gpuE8ELNS1_3repE0EEENS1_36merge_oddeven_config_static_selectorELNS0_4arch9wavefront6targetE1EEEvSH_.has_indirect_call, 0
	.section	.AMDGPU.csdata,"",@progbits
; Kernel info:
; codeLenInByte = 0
; TotalNumSgprs: 4
; NumVgprs: 0
; ScratchSize: 0
; MemoryBound: 0
; FloatMode: 240
; IeeeMode: 1
; LDSByteSize: 0 bytes/workgroup (compile time only)
; SGPRBlocks: 0
; VGPRBlocks: 0
; NumSGPRsForWavesPerEU: 4
; NumVGPRsForWavesPerEU: 1
; Occupancy: 10
; WaveLimiterHint : 0
; COMPUTE_PGM_RSRC2:SCRATCH_EN: 0
; COMPUTE_PGM_RSRC2:USER_SGPR: 6
; COMPUTE_PGM_RSRC2:TRAP_HANDLER: 0
; COMPUTE_PGM_RSRC2:TGID_X_EN: 1
; COMPUTE_PGM_RSRC2:TGID_Y_EN: 0
; COMPUTE_PGM_RSRC2:TGID_Z_EN: 0
; COMPUTE_PGM_RSRC2:TIDIG_COMP_CNT: 0
	.section	.text._ZN7rocprim17ROCPRIM_400000_NS6detail17trampoline_kernelINS0_14default_configENS1_38merge_sort_block_merge_config_selectorIhlEEZZNS1_27merge_sort_block_merge_implIS3_PhN6thrust23THRUST_200600_302600_NS10device_ptrIlEEjNS1_19radix_merge_compareILb0ELb1EhNS0_19identity_decomposerEEEEE10hipError_tT0_T1_T2_jT3_P12ihipStream_tbPNSt15iterator_traitsISG_E10value_typeEPNSM_ISH_E10value_typeEPSI_NS1_7vsmem_tEENKUlT_SG_SH_SI_E_clIS7_S7_SB_PlEESF_SV_SG_SH_SI_EUlSV_E1_NS1_11comp_targetILNS1_3genE3ELNS1_11target_archE908ELNS1_3gpuE7ELNS1_3repE0EEENS1_36merge_oddeven_config_static_selectorELNS0_4arch9wavefront6targetE1EEEvSH_,"axG",@progbits,_ZN7rocprim17ROCPRIM_400000_NS6detail17trampoline_kernelINS0_14default_configENS1_38merge_sort_block_merge_config_selectorIhlEEZZNS1_27merge_sort_block_merge_implIS3_PhN6thrust23THRUST_200600_302600_NS10device_ptrIlEEjNS1_19radix_merge_compareILb0ELb1EhNS0_19identity_decomposerEEEEE10hipError_tT0_T1_T2_jT3_P12ihipStream_tbPNSt15iterator_traitsISG_E10value_typeEPNSM_ISH_E10value_typeEPSI_NS1_7vsmem_tEENKUlT_SG_SH_SI_E_clIS7_S7_SB_PlEESF_SV_SG_SH_SI_EUlSV_E1_NS1_11comp_targetILNS1_3genE3ELNS1_11target_archE908ELNS1_3gpuE7ELNS1_3repE0EEENS1_36merge_oddeven_config_static_selectorELNS0_4arch9wavefront6targetE1EEEvSH_,comdat
	.protected	_ZN7rocprim17ROCPRIM_400000_NS6detail17trampoline_kernelINS0_14default_configENS1_38merge_sort_block_merge_config_selectorIhlEEZZNS1_27merge_sort_block_merge_implIS3_PhN6thrust23THRUST_200600_302600_NS10device_ptrIlEEjNS1_19radix_merge_compareILb0ELb1EhNS0_19identity_decomposerEEEEE10hipError_tT0_T1_T2_jT3_P12ihipStream_tbPNSt15iterator_traitsISG_E10value_typeEPNSM_ISH_E10value_typeEPSI_NS1_7vsmem_tEENKUlT_SG_SH_SI_E_clIS7_S7_SB_PlEESF_SV_SG_SH_SI_EUlSV_E1_NS1_11comp_targetILNS1_3genE3ELNS1_11target_archE908ELNS1_3gpuE7ELNS1_3repE0EEENS1_36merge_oddeven_config_static_selectorELNS0_4arch9wavefront6targetE1EEEvSH_ ; -- Begin function _ZN7rocprim17ROCPRIM_400000_NS6detail17trampoline_kernelINS0_14default_configENS1_38merge_sort_block_merge_config_selectorIhlEEZZNS1_27merge_sort_block_merge_implIS3_PhN6thrust23THRUST_200600_302600_NS10device_ptrIlEEjNS1_19radix_merge_compareILb0ELb1EhNS0_19identity_decomposerEEEEE10hipError_tT0_T1_T2_jT3_P12ihipStream_tbPNSt15iterator_traitsISG_E10value_typeEPNSM_ISH_E10value_typeEPSI_NS1_7vsmem_tEENKUlT_SG_SH_SI_E_clIS7_S7_SB_PlEESF_SV_SG_SH_SI_EUlSV_E1_NS1_11comp_targetILNS1_3genE3ELNS1_11target_archE908ELNS1_3gpuE7ELNS1_3repE0EEENS1_36merge_oddeven_config_static_selectorELNS0_4arch9wavefront6targetE1EEEvSH_
	.globl	_ZN7rocprim17ROCPRIM_400000_NS6detail17trampoline_kernelINS0_14default_configENS1_38merge_sort_block_merge_config_selectorIhlEEZZNS1_27merge_sort_block_merge_implIS3_PhN6thrust23THRUST_200600_302600_NS10device_ptrIlEEjNS1_19radix_merge_compareILb0ELb1EhNS0_19identity_decomposerEEEEE10hipError_tT0_T1_T2_jT3_P12ihipStream_tbPNSt15iterator_traitsISG_E10value_typeEPNSM_ISH_E10value_typeEPSI_NS1_7vsmem_tEENKUlT_SG_SH_SI_E_clIS7_S7_SB_PlEESF_SV_SG_SH_SI_EUlSV_E1_NS1_11comp_targetILNS1_3genE3ELNS1_11target_archE908ELNS1_3gpuE7ELNS1_3repE0EEENS1_36merge_oddeven_config_static_selectorELNS0_4arch9wavefront6targetE1EEEvSH_
	.p2align	8
	.type	_ZN7rocprim17ROCPRIM_400000_NS6detail17trampoline_kernelINS0_14default_configENS1_38merge_sort_block_merge_config_selectorIhlEEZZNS1_27merge_sort_block_merge_implIS3_PhN6thrust23THRUST_200600_302600_NS10device_ptrIlEEjNS1_19radix_merge_compareILb0ELb1EhNS0_19identity_decomposerEEEEE10hipError_tT0_T1_T2_jT3_P12ihipStream_tbPNSt15iterator_traitsISG_E10value_typeEPNSM_ISH_E10value_typeEPSI_NS1_7vsmem_tEENKUlT_SG_SH_SI_E_clIS7_S7_SB_PlEESF_SV_SG_SH_SI_EUlSV_E1_NS1_11comp_targetILNS1_3genE3ELNS1_11target_archE908ELNS1_3gpuE7ELNS1_3repE0EEENS1_36merge_oddeven_config_static_selectorELNS0_4arch9wavefront6targetE1EEEvSH_,@function
_ZN7rocprim17ROCPRIM_400000_NS6detail17trampoline_kernelINS0_14default_configENS1_38merge_sort_block_merge_config_selectorIhlEEZZNS1_27merge_sort_block_merge_implIS3_PhN6thrust23THRUST_200600_302600_NS10device_ptrIlEEjNS1_19radix_merge_compareILb0ELb1EhNS0_19identity_decomposerEEEEE10hipError_tT0_T1_T2_jT3_P12ihipStream_tbPNSt15iterator_traitsISG_E10value_typeEPNSM_ISH_E10value_typeEPSI_NS1_7vsmem_tEENKUlT_SG_SH_SI_E_clIS7_S7_SB_PlEESF_SV_SG_SH_SI_EUlSV_E1_NS1_11comp_targetILNS1_3genE3ELNS1_11target_archE908ELNS1_3gpuE7ELNS1_3repE0EEENS1_36merge_oddeven_config_static_selectorELNS0_4arch9wavefront6targetE1EEEvSH_: ; @_ZN7rocprim17ROCPRIM_400000_NS6detail17trampoline_kernelINS0_14default_configENS1_38merge_sort_block_merge_config_selectorIhlEEZZNS1_27merge_sort_block_merge_implIS3_PhN6thrust23THRUST_200600_302600_NS10device_ptrIlEEjNS1_19radix_merge_compareILb0ELb1EhNS0_19identity_decomposerEEEEE10hipError_tT0_T1_T2_jT3_P12ihipStream_tbPNSt15iterator_traitsISG_E10value_typeEPNSM_ISH_E10value_typeEPSI_NS1_7vsmem_tEENKUlT_SG_SH_SI_E_clIS7_S7_SB_PlEESF_SV_SG_SH_SI_EUlSV_E1_NS1_11comp_targetILNS1_3genE3ELNS1_11target_archE908ELNS1_3gpuE7ELNS1_3repE0EEENS1_36merge_oddeven_config_static_selectorELNS0_4arch9wavefront6targetE1EEEvSH_
; %bb.0:
	.section	.rodata,"a",@progbits
	.p2align	6, 0x0
	.amdhsa_kernel _ZN7rocprim17ROCPRIM_400000_NS6detail17trampoline_kernelINS0_14default_configENS1_38merge_sort_block_merge_config_selectorIhlEEZZNS1_27merge_sort_block_merge_implIS3_PhN6thrust23THRUST_200600_302600_NS10device_ptrIlEEjNS1_19radix_merge_compareILb0ELb1EhNS0_19identity_decomposerEEEEE10hipError_tT0_T1_T2_jT3_P12ihipStream_tbPNSt15iterator_traitsISG_E10value_typeEPNSM_ISH_E10value_typeEPSI_NS1_7vsmem_tEENKUlT_SG_SH_SI_E_clIS7_S7_SB_PlEESF_SV_SG_SH_SI_EUlSV_E1_NS1_11comp_targetILNS1_3genE3ELNS1_11target_archE908ELNS1_3gpuE7ELNS1_3repE0EEENS1_36merge_oddeven_config_static_selectorELNS0_4arch9wavefront6targetE1EEEvSH_
		.amdhsa_group_segment_fixed_size 0
		.amdhsa_private_segment_fixed_size 0
		.amdhsa_kernarg_size 48
		.amdhsa_user_sgpr_count 6
		.amdhsa_user_sgpr_private_segment_buffer 1
		.amdhsa_user_sgpr_dispatch_ptr 0
		.amdhsa_user_sgpr_queue_ptr 0
		.amdhsa_user_sgpr_kernarg_segment_ptr 1
		.amdhsa_user_sgpr_dispatch_id 0
		.amdhsa_user_sgpr_flat_scratch_init 0
		.amdhsa_user_sgpr_private_segment_size 0
		.amdhsa_uses_dynamic_stack 0
		.amdhsa_system_sgpr_private_segment_wavefront_offset 0
		.amdhsa_system_sgpr_workgroup_id_x 1
		.amdhsa_system_sgpr_workgroup_id_y 0
		.amdhsa_system_sgpr_workgroup_id_z 0
		.amdhsa_system_sgpr_workgroup_info 0
		.amdhsa_system_vgpr_workitem_id 0
		.amdhsa_next_free_vgpr 1
		.amdhsa_next_free_sgpr 0
		.amdhsa_reserve_vcc 0
		.amdhsa_reserve_flat_scratch 0
		.amdhsa_float_round_mode_32 0
		.amdhsa_float_round_mode_16_64 0
		.amdhsa_float_denorm_mode_32 3
		.amdhsa_float_denorm_mode_16_64 3
		.amdhsa_dx10_clamp 1
		.amdhsa_ieee_mode 1
		.amdhsa_fp16_overflow 0
		.amdhsa_exception_fp_ieee_invalid_op 0
		.amdhsa_exception_fp_denorm_src 0
		.amdhsa_exception_fp_ieee_div_zero 0
		.amdhsa_exception_fp_ieee_overflow 0
		.amdhsa_exception_fp_ieee_underflow 0
		.amdhsa_exception_fp_ieee_inexact 0
		.amdhsa_exception_int_div_zero 0
	.end_amdhsa_kernel
	.section	.text._ZN7rocprim17ROCPRIM_400000_NS6detail17trampoline_kernelINS0_14default_configENS1_38merge_sort_block_merge_config_selectorIhlEEZZNS1_27merge_sort_block_merge_implIS3_PhN6thrust23THRUST_200600_302600_NS10device_ptrIlEEjNS1_19radix_merge_compareILb0ELb1EhNS0_19identity_decomposerEEEEE10hipError_tT0_T1_T2_jT3_P12ihipStream_tbPNSt15iterator_traitsISG_E10value_typeEPNSM_ISH_E10value_typeEPSI_NS1_7vsmem_tEENKUlT_SG_SH_SI_E_clIS7_S7_SB_PlEESF_SV_SG_SH_SI_EUlSV_E1_NS1_11comp_targetILNS1_3genE3ELNS1_11target_archE908ELNS1_3gpuE7ELNS1_3repE0EEENS1_36merge_oddeven_config_static_selectorELNS0_4arch9wavefront6targetE1EEEvSH_,"axG",@progbits,_ZN7rocprim17ROCPRIM_400000_NS6detail17trampoline_kernelINS0_14default_configENS1_38merge_sort_block_merge_config_selectorIhlEEZZNS1_27merge_sort_block_merge_implIS3_PhN6thrust23THRUST_200600_302600_NS10device_ptrIlEEjNS1_19radix_merge_compareILb0ELb1EhNS0_19identity_decomposerEEEEE10hipError_tT0_T1_T2_jT3_P12ihipStream_tbPNSt15iterator_traitsISG_E10value_typeEPNSM_ISH_E10value_typeEPSI_NS1_7vsmem_tEENKUlT_SG_SH_SI_E_clIS7_S7_SB_PlEESF_SV_SG_SH_SI_EUlSV_E1_NS1_11comp_targetILNS1_3genE3ELNS1_11target_archE908ELNS1_3gpuE7ELNS1_3repE0EEENS1_36merge_oddeven_config_static_selectorELNS0_4arch9wavefront6targetE1EEEvSH_,comdat
.Lfunc_end233:
	.size	_ZN7rocprim17ROCPRIM_400000_NS6detail17trampoline_kernelINS0_14default_configENS1_38merge_sort_block_merge_config_selectorIhlEEZZNS1_27merge_sort_block_merge_implIS3_PhN6thrust23THRUST_200600_302600_NS10device_ptrIlEEjNS1_19radix_merge_compareILb0ELb1EhNS0_19identity_decomposerEEEEE10hipError_tT0_T1_T2_jT3_P12ihipStream_tbPNSt15iterator_traitsISG_E10value_typeEPNSM_ISH_E10value_typeEPSI_NS1_7vsmem_tEENKUlT_SG_SH_SI_E_clIS7_S7_SB_PlEESF_SV_SG_SH_SI_EUlSV_E1_NS1_11comp_targetILNS1_3genE3ELNS1_11target_archE908ELNS1_3gpuE7ELNS1_3repE0EEENS1_36merge_oddeven_config_static_selectorELNS0_4arch9wavefront6targetE1EEEvSH_, .Lfunc_end233-_ZN7rocprim17ROCPRIM_400000_NS6detail17trampoline_kernelINS0_14default_configENS1_38merge_sort_block_merge_config_selectorIhlEEZZNS1_27merge_sort_block_merge_implIS3_PhN6thrust23THRUST_200600_302600_NS10device_ptrIlEEjNS1_19radix_merge_compareILb0ELb1EhNS0_19identity_decomposerEEEEE10hipError_tT0_T1_T2_jT3_P12ihipStream_tbPNSt15iterator_traitsISG_E10value_typeEPNSM_ISH_E10value_typeEPSI_NS1_7vsmem_tEENKUlT_SG_SH_SI_E_clIS7_S7_SB_PlEESF_SV_SG_SH_SI_EUlSV_E1_NS1_11comp_targetILNS1_3genE3ELNS1_11target_archE908ELNS1_3gpuE7ELNS1_3repE0EEENS1_36merge_oddeven_config_static_selectorELNS0_4arch9wavefront6targetE1EEEvSH_
                                        ; -- End function
	.set _ZN7rocprim17ROCPRIM_400000_NS6detail17trampoline_kernelINS0_14default_configENS1_38merge_sort_block_merge_config_selectorIhlEEZZNS1_27merge_sort_block_merge_implIS3_PhN6thrust23THRUST_200600_302600_NS10device_ptrIlEEjNS1_19radix_merge_compareILb0ELb1EhNS0_19identity_decomposerEEEEE10hipError_tT0_T1_T2_jT3_P12ihipStream_tbPNSt15iterator_traitsISG_E10value_typeEPNSM_ISH_E10value_typeEPSI_NS1_7vsmem_tEENKUlT_SG_SH_SI_E_clIS7_S7_SB_PlEESF_SV_SG_SH_SI_EUlSV_E1_NS1_11comp_targetILNS1_3genE3ELNS1_11target_archE908ELNS1_3gpuE7ELNS1_3repE0EEENS1_36merge_oddeven_config_static_selectorELNS0_4arch9wavefront6targetE1EEEvSH_.num_vgpr, 0
	.set _ZN7rocprim17ROCPRIM_400000_NS6detail17trampoline_kernelINS0_14default_configENS1_38merge_sort_block_merge_config_selectorIhlEEZZNS1_27merge_sort_block_merge_implIS3_PhN6thrust23THRUST_200600_302600_NS10device_ptrIlEEjNS1_19radix_merge_compareILb0ELb1EhNS0_19identity_decomposerEEEEE10hipError_tT0_T1_T2_jT3_P12ihipStream_tbPNSt15iterator_traitsISG_E10value_typeEPNSM_ISH_E10value_typeEPSI_NS1_7vsmem_tEENKUlT_SG_SH_SI_E_clIS7_S7_SB_PlEESF_SV_SG_SH_SI_EUlSV_E1_NS1_11comp_targetILNS1_3genE3ELNS1_11target_archE908ELNS1_3gpuE7ELNS1_3repE0EEENS1_36merge_oddeven_config_static_selectorELNS0_4arch9wavefront6targetE1EEEvSH_.num_agpr, 0
	.set _ZN7rocprim17ROCPRIM_400000_NS6detail17trampoline_kernelINS0_14default_configENS1_38merge_sort_block_merge_config_selectorIhlEEZZNS1_27merge_sort_block_merge_implIS3_PhN6thrust23THRUST_200600_302600_NS10device_ptrIlEEjNS1_19radix_merge_compareILb0ELb1EhNS0_19identity_decomposerEEEEE10hipError_tT0_T1_T2_jT3_P12ihipStream_tbPNSt15iterator_traitsISG_E10value_typeEPNSM_ISH_E10value_typeEPSI_NS1_7vsmem_tEENKUlT_SG_SH_SI_E_clIS7_S7_SB_PlEESF_SV_SG_SH_SI_EUlSV_E1_NS1_11comp_targetILNS1_3genE3ELNS1_11target_archE908ELNS1_3gpuE7ELNS1_3repE0EEENS1_36merge_oddeven_config_static_selectorELNS0_4arch9wavefront6targetE1EEEvSH_.numbered_sgpr, 0
	.set _ZN7rocprim17ROCPRIM_400000_NS6detail17trampoline_kernelINS0_14default_configENS1_38merge_sort_block_merge_config_selectorIhlEEZZNS1_27merge_sort_block_merge_implIS3_PhN6thrust23THRUST_200600_302600_NS10device_ptrIlEEjNS1_19radix_merge_compareILb0ELb1EhNS0_19identity_decomposerEEEEE10hipError_tT0_T1_T2_jT3_P12ihipStream_tbPNSt15iterator_traitsISG_E10value_typeEPNSM_ISH_E10value_typeEPSI_NS1_7vsmem_tEENKUlT_SG_SH_SI_E_clIS7_S7_SB_PlEESF_SV_SG_SH_SI_EUlSV_E1_NS1_11comp_targetILNS1_3genE3ELNS1_11target_archE908ELNS1_3gpuE7ELNS1_3repE0EEENS1_36merge_oddeven_config_static_selectorELNS0_4arch9wavefront6targetE1EEEvSH_.num_named_barrier, 0
	.set _ZN7rocprim17ROCPRIM_400000_NS6detail17trampoline_kernelINS0_14default_configENS1_38merge_sort_block_merge_config_selectorIhlEEZZNS1_27merge_sort_block_merge_implIS3_PhN6thrust23THRUST_200600_302600_NS10device_ptrIlEEjNS1_19radix_merge_compareILb0ELb1EhNS0_19identity_decomposerEEEEE10hipError_tT0_T1_T2_jT3_P12ihipStream_tbPNSt15iterator_traitsISG_E10value_typeEPNSM_ISH_E10value_typeEPSI_NS1_7vsmem_tEENKUlT_SG_SH_SI_E_clIS7_S7_SB_PlEESF_SV_SG_SH_SI_EUlSV_E1_NS1_11comp_targetILNS1_3genE3ELNS1_11target_archE908ELNS1_3gpuE7ELNS1_3repE0EEENS1_36merge_oddeven_config_static_selectorELNS0_4arch9wavefront6targetE1EEEvSH_.private_seg_size, 0
	.set _ZN7rocprim17ROCPRIM_400000_NS6detail17trampoline_kernelINS0_14default_configENS1_38merge_sort_block_merge_config_selectorIhlEEZZNS1_27merge_sort_block_merge_implIS3_PhN6thrust23THRUST_200600_302600_NS10device_ptrIlEEjNS1_19radix_merge_compareILb0ELb1EhNS0_19identity_decomposerEEEEE10hipError_tT0_T1_T2_jT3_P12ihipStream_tbPNSt15iterator_traitsISG_E10value_typeEPNSM_ISH_E10value_typeEPSI_NS1_7vsmem_tEENKUlT_SG_SH_SI_E_clIS7_S7_SB_PlEESF_SV_SG_SH_SI_EUlSV_E1_NS1_11comp_targetILNS1_3genE3ELNS1_11target_archE908ELNS1_3gpuE7ELNS1_3repE0EEENS1_36merge_oddeven_config_static_selectorELNS0_4arch9wavefront6targetE1EEEvSH_.uses_vcc, 0
	.set _ZN7rocprim17ROCPRIM_400000_NS6detail17trampoline_kernelINS0_14default_configENS1_38merge_sort_block_merge_config_selectorIhlEEZZNS1_27merge_sort_block_merge_implIS3_PhN6thrust23THRUST_200600_302600_NS10device_ptrIlEEjNS1_19radix_merge_compareILb0ELb1EhNS0_19identity_decomposerEEEEE10hipError_tT0_T1_T2_jT3_P12ihipStream_tbPNSt15iterator_traitsISG_E10value_typeEPNSM_ISH_E10value_typeEPSI_NS1_7vsmem_tEENKUlT_SG_SH_SI_E_clIS7_S7_SB_PlEESF_SV_SG_SH_SI_EUlSV_E1_NS1_11comp_targetILNS1_3genE3ELNS1_11target_archE908ELNS1_3gpuE7ELNS1_3repE0EEENS1_36merge_oddeven_config_static_selectorELNS0_4arch9wavefront6targetE1EEEvSH_.uses_flat_scratch, 0
	.set _ZN7rocprim17ROCPRIM_400000_NS6detail17trampoline_kernelINS0_14default_configENS1_38merge_sort_block_merge_config_selectorIhlEEZZNS1_27merge_sort_block_merge_implIS3_PhN6thrust23THRUST_200600_302600_NS10device_ptrIlEEjNS1_19radix_merge_compareILb0ELb1EhNS0_19identity_decomposerEEEEE10hipError_tT0_T1_T2_jT3_P12ihipStream_tbPNSt15iterator_traitsISG_E10value_typeEPNSM_ISH_E10value_typeEPSI_NS1_7vsmem_tEENKUlT_SG_SH_SI_E_clIS7_S7_SB_PlEESF_SV_SG_SH_SI_EUlSV_E1_NS1_11comp_targetILNS1_3genE3ELNS1_11target_archE908ELNS1_3gpuE7ELNS1_3repE0EEENS1_36merge_oddeven_config_static_selectorELNS0_4arch9wavefront6targetE1EEEvSH_.has_dyn_sized_stack, 0
	.set _ZN7rocprim17ROCPRIM_400000_NS6detail17trampoline_kernelINS0_14default_configENS1_38merge_sort_block_merge_config_selectorIhlEEZZNS1_27merge_sort_block_merge_implIS3_PhN6thrust23THRUST_200600_302600_NS10device_ptrIlEEjNS1_19radix_merge_compareILb0ELb1EhNS0_19identity_decomposerEEEEE10hipError_tT0_T1_T2_jT3_P12ihipStream_tbPNSt15iterator_traitsISG_E10value_typeEPNSM_ISH_E10value_typeEPSI_NS1_7vsmem_tEENKUlT_SG_SH_SI_E_clIS7_S7_SB_PlEESF_SV_SG_SH_SI_EUlSV_E1_NS1_11comp_targetILNS1_3genE3ELNS1_11target_archE908ELNS1_3gpuE7ELNS1_3repE0EEENS1_36merge_oddeven_config_static_selectorELNS0_4arch9wavefront6targetE1EEEvSH_.has_recursion, 0
	.set _ZN7rocprim17ROCPRIM_400000_NS6detail17trampoline_kernelINS0_14default_configENS1_38merge_sort_block_merge_config_selectorIhlEEZZNS1_27merge_sort_block_merge_implIS3_PhN6thrust23THRUST_200600_302600_NS10device_ptrIlEEjNS1_19radix_merge_compareILb0ELb1EhNS0_19identity_decomposerEEEEE10hipError_tT0_T1_T2_jT3_P12ihipStream_tbPNSt15iterator_traitsISG_E10value_typeEPNSM_ISH_E10value_typeEPSI_NS1_7vsmem_tEENKUlT_SG_SH_SI_E_clIS7_S7_SB_PlEESF_SV_SG_SH_SI_EUlSV_E1_NS1_11comp_targetILNS1_3genE3ELNS1_11target_archE908ELNS1_3gpuE7ELNS1_3repE0EEENS1_36merge_oddeven_config_static_selectorELNS0_4arch9wavefront6targetE1EEEvSH_.has_indirect_call, 0
	.section	.AMDGPU.csdata,"",@progbits
; Kernel info:
; codeLenInByte = 0
; TotalNumSgprs: 4
; NumVgprs: 0
; ScratchSize: 0
; MemoryBound: 0
; FloatMode: 240
; IeeeMode: 1
; LDSByteSize: 0 bytes/workgroup (compile time only)
; SGPRBlocks: 0
; VGPRBlocks: 0
; NumSGPRsForWavesPerEU: 4
; NumVGPRsForWavesPerEU: 1
; Occupancy: 10
; WaveLimiterHint : 0
; COMPUTE_PGM_RSRC2:SCRATCH_EN: 0
; COMPUTE_PGM_RSRC2:USER_SGPR: 6
; COMPUTE_PGM_RSRC2:TRAP_HANDLER: 0
; COMPUTE_PGM_RSRC2:TGID_X_EN: 1
; COMPUTE_PGM_RSRC2:TGID_Y_EN: 0
; COMPUTE_PGM_RSRC2:TGID_Z_EN: 0
; COMPUTE_PGM_RSRC2:TIDIG_COMP_CNT: 0
	.section	.text._ZN7rocprim17ROCPRIM_400000_NS6detail17trampoline_kernelINS0_14default_configENS1_38merge_sort_block_merge_config_selectorIhlEEZZNS1_27merge_sort_block_merge_implIS3_PhN6thrust23THRUST_200600_302600_NS10device_ptrIlEEjNS1_19radix_merge_compareILb0ELb1EhNS0_19identity_decomposerEEEEE10hipError_tT0_T1_T2_jT3_P12ihipStream_tbPNSt15iterator_traitsISG_E10value_typeEPNSM_ISH_E10value_typeEPSI_NS1_7vsmem_tEENKUlT_SG_SH_SI_E_clIS7_S7_SB_PlEESF_SV_SG_SH_SI_EUlSV_E1_NS1_11comp_targetILNS1_3genE2ELNS1_11target_archE906ELNS1_3gpuE6ELNS1_3repE0EEENS1_36merge_oddeven_config_static_selectorELNS0_4arch9wavefront6targetE1EEEvSH_,"axG",@progbits,_ZN7rocprim17ROCPRIM_400000_NS6detail17trampoline_kernelINS0_14default_configENS1_38merge_sort_block_merge_config_selectorIhlEEZZNS1_27merge_sort_block_merge_implIS3_PhN6thrust23THRUST_200600_302600_NS10device_ptrIlEEjNS1_19radix_merge_compareILb0ELb1EhNS0_19identity_decomposerEEEEE10hipError_tT0_T1_T2_jT3_P12ihipStream_tbPNSt15iterator_traitsISG_E10value_typeEPNSM_ISH_E10value_typeEPSI_NS1_7vsmem_tEENKUlT_SG_SH_SI_E_clIS7_S7_SB_PlEESF_SV_SG_SH_SI_EUlSV_E1_NS1_11comp_targetILNS1_3genE2ELNS1_11target_archE906ELNS1_3gpuE6ELNS1_3repE0EEENS1_36merge_oddeven_config_static_selectorELNS0_4arch9wavefront6targetE1EEEvSH_,comdat
	.protected	_ZN7rocprim17ROCPRIM_400000_NS6detail17trampoline_kernelINS0_14default_configENS1_38merge_sort_block_merge_config_selectorIhlEEZZNS1_27merge_sort_block_merge_implIS3_PhN6thrust23THRUST_200600_302600_NS10device_ptrIlEEjNS1_19radix_merge_compareILb0ELb1EhNS0_19identity_decomposerEEEEE10hipError_tT0_T1_T2_jT3_P12ihipStream_tbPNSt15iterator_traitsISG_E10value_typeEPNSM_ISH_E10value_typeEPSI_NS1_7vsmem_tEENKUlT_SG_SH_SI_E_clIS7_S7_SB_PlEESF_SV_SG_SH_SI_EUlSV_E1_NS1_11comp_targetILNS1_3genE2ELNS1_11target_archE906ELNS1_3gpuE6ELNS1_3repE0EEENS1_36merge_oddeven_config_static_selectorELNS0_4arch9wavefront6targetE1EEEvSH_ ; -- Begin function _ZN7rocprim17ROCPRIM_400000_NS6detail17trampoline_kernelINS0_14default_configENS1_38merge_sort_block_merge_config_selectorIhlEEZZNS1_27merge_sort_block_merge_implIS3_PhN6thrust23THRUST_200600_302600_NS10device_ptrIlEEjNS1_19radix_merge_compareILb0ELb1EhNS0_19identity_decomposerEEEEE10hipError_tT0_T1_T2_jT3_P12ihipStream_tbPNSt15iterator_traitsISG_E10value_typeEPNSM_ISH_E10value_typeEPSI_NS1_7vsmem_tEENKUlT_SG_SH_SI_E_clIS7_S7_SB_PlEESF_SV_SG_SH_SI_EUlSV_E1_NS1_11comp_targetILNS1_3genE2ELNS1_11target_archE906ELNS1_3gpuE6ELNS1_3repE0EEENS1_36merge_oddeven_config_static_selectorELNS0_4arch9wavefront6targetE1EEEvSH_
	.globl	_ZN7rocprim17ROCPRIM_400000_NS6detail17trampoline_kernelINS0_14default_configENS1_38merge_sort_block_merge_config_selectorIhlEEZZNS1_27merge_sort_block_merge_implIS3_PhN6thrust23THRUST_200600_302600_NS10device_ptrIlEEjNS1_19radix_merge_compareILb0ELb1EhNS0_19identity_decomposerEEEEE10hipError_tT0_T1_T2_jT3_P12ihipStream_tbPNSt15iterator_traitsISG_E10value_typeEPNSM_ISH_E10value_typeEPSI_NS1_7vsmem_tEENKUlT_SG_SH_SI_E_clIS7_S7_SB_PlEESF_SV_SG_SH_SI_EUlSV_E1_NS1_11comp_targetILNS1_3genE2ELNS1_11target_archE906ELNS1_3gpuE6ELNS1_3repE0EEENS1_36merge_oddeven_config_static_selectorELNS0_4arch9wavefront6targetE1EEEvSH_
	.p2align	8
	.type	_ZN7rocprim17ROCPRIM_400000_NS6detail17trampoline_kernelINS0_14default_configENS1_38merge_sort_block_merge_config_selectorIhlEEZZNS1_27merge_sort_block_merge_implIS3_PhN6thrust23THRUST_200600_302600_NS10device_ptrIlEEjNS1_19radix_merge_compareILb0ELb1EhNS0_19identity_decomposerEEEEE10hipError_tT0_T1_T2_jT3_P12ihipStream_tbPNSt15iterator_traitsISG_E10value_typeEPNSM_ISH_E10value_typeEPSI_NS1_7vsmem_tEENKUlT_SG_SH_SI_E_clIS7_S7_SB_PlEESF_SV_SG_SH_SI_EUlSV_E1_NS1_11comp_targetILNS1_3genE2ELNS1_11target_archE906ELNS1_3gpuE6ELNS1_3repE0EEENS1_36merge_oddeven_config_static_selectorELNS0_4arch9wavefront6targetE1EEEvSH_,@function
_ZN7rocprim17ROCPRIM_400000_NS6detail17trampoline_kernelINS0_14default_configENS1_38merge_sort_block_merge_config_selectorIhlEEZZNS1_27merge_sort_block_merge_implIS3_PhN6thrust23THRUST_200600_302600_NS10device_ptrIlEEjNS1_19radix_merge_compareILb0ELb1EhNS0_19identity_decomposerEEEEE10hipError_tT0_T1_T2_jT3_P12ihipStream_tbPNSt15iterator_traitsISG_E10value_typeEPNSM_ISH_E10value_typeEPSI_NS1_7vsmem_tEENKUlT_SG_SH_SI_E_clIS7_S7_SB_PlEESF_SV_SG_SH_SI_EUlSV_E1_NS1_11comp_targetILNS1_3genE2ELNS1_11target_archE906ELNS1_3gpuE6ELNS1_3repE0EEENS1_36merge_oddeven_config_static_selectorELNS0_4arch9wavefront6targetE1EEEvSH_: ; @_ZN7rocprim17ROCPRIM_400000_NS6detail17trampoline_kernelINS0_14default_configENS1_38merge_sort_block_merge_config_selectorIhlEEZZNS1_27merge_sort_block_merge_implIS3_PhN6thrust23THRUST_200600_302600_NS10device_ptrIlEEjNS1_19radix_merge_compareILb0ELb1EhNS0_19identity_decomposerEEEEE10hipError_tT0_T1_T2_jT3_P12ihipStream_tbPNSt15iterator_traitsISG_E10value_typeEPNSM_ISH_E10value_typeEPSI_NS1_7vsmem_tEENKUlT_SG_SH_SI_E_clIS7_S7_SB_PlEESF_SV_SG_SH_SI_EUlSV_E1_NS1_11comp_targetILNS1_3genE2ELNS1_11target_archE906ELNS1_3gpuE6ELNS1_3repE0EEENS1_36merge_oddeven_config_static_selectorELNS0_4arch9wavefront6targetE1EEEvSH_
; %bb.0:
	s_load_dword s20, s[4:5], 0x20
	s_waitcnt lgkmcnt(0)
	s_lshr_b32 s0, s20, 8
	s_cmp_eq_u32 s6, s0
	s_cselect_b64 s[16:17], -1, 0
	s_cmp_lg_u32 s6, s0
	s_cselect_b64 s[0:1], -1, 0
	s_lshl_b32 s18, s6, 8
	s_sub_i32 s2, s20, s18
	v_cmp_gt_u32_e64 s[2:3], s2, v0
	s_or_b64 s[0:1], s[0:1], s[2:3]
	s_and_saveexec_b64 s[8:9], s[0:1]
	s_cbranch_execz .LBB234_24
; %bb.1:
	s_load_dwordx8 s[8:15], s[4:5], 0x0
	s_mov_b32 s19, 0
	v_lshlrev_b32_e32 v3, 3, v0
	s_waitcnt lgkmcnt(0)
	s_add_u32 s0, s8, s18
	s_addc_u32 s1, s9, 0
	s_lshl_b64 s[22:23], s[18:19], 3
	s_add_u32 s12, s12, s22
	s_addc_u32 s13, s13, s23
	global_load_dwordx2 v[1:2], v3, s[12:13]
	global_load_ubyte v5, v0, s[0:1]
	s_load_dword s13, s[4:5], 0x24
	v_add_u32_e32 v3, s18, v0
	s_waitcnt lgkmcnt(0)
	s_lshr_b32 s0, s13, 8
	s_sub_i32 s1, 0, s0
	s_and_b32 s1, s6, s1
	s_and_b32 s0, s1, s0
	s_lshl_b32 s19, s1, 8
	s_sub_i32 s12, 0, s13
	s_cmp_eq_u32 s0, 0
	s_cselect_b64 s[0:1], -1, 0
	s_and_b64 s[6:7], s[0:1], exec
	s_cselect_b32 s12, s13, s12
	s_add_i32 s12, s12, s19
	s_mov_b64 s[6:7], -1
	s_cmp_gt_u32 s20, s12
	s_cbranch_scc1 .LBB234_9
; %bb.2:
	s_and_b64 vcc, exec, s[16:17]
	s_cbranch_vccz .LBB234_6
; %bb.3:
	v_cmp_gt_u32_e32 vcc, s20, v3
	s_and_saveexec_b64 s[6:7], vcc
	s_cbranch_execz .LBB234_5
; %bb.4:
	v_mov_b32_e32 v4, 0
	v_lshlrev_b64 v[6:7], 3, v[3:4]
	v_mov_b32_e32 v0, s15
	v_add_co_u32_e32 v6, vcc, s14, v6
	v_addc_co_u32_e32 v7, vcc, v0, v7, vcc
	s_waitcnt vmcnt(0)
	global_store_byte v3, v5, s[10:11]
	global_store_dwordx2 v[6:7], v[1:2], off
.LBB234_5:
	s_or_b64 exec, exec, s[6:7]
	s_mov_b64 s[6:7], 0
.LBB234_6:
	s_andn2_b64 vcc, exec, s[6:7]
	s_cbranch_vccnz .LBB234_8
; %bb.7:
	v_mov_b32_e32 v4, 0
	v_lshlrev_b64 v[6:7], 3, v[3:4]
	v_mov_b32_e32 v0, s15
	v_add_co_u32_e32 v6, vcc, s14, v6
	v_addc_co_u32_e32 v7, vcc, v0, v7, vcc
	s_waitcnt vmcnt(0)
	global_store_byte v3, v5, s[10:11]
	global_store_dwordx2 v[6:7], v[1:2], off
.LBB234_8:
	s_mov_b64 s[6:7], 0
.LBB234_9:
	s_andn2_b64 vcc, exec, s[6:7]
	s_cbranch_vccnz .LBB234_24
; %bb.10:
	s_load_dword s6, s[4:5], 0x28
	s_min_u32 s7, s12, s20
	s_add_i32 s4, s7, s13
	s_min_u32 s13, s4, s20
	s_min_u32 s4, s19, s7
	s_add_i32 s19, s19, s7
	v_subrev_u32_e32 v0, s19, v3
	v_add_u32_e32 v0, s4, v0
	s_waitcnt vmcnt(0) lgkmcnt(0)
	v_and_b32_e32 v3, s6, v5
	s_mov_b64 s[4:5], -1
	s_and_b64 vcc, exec, s[16:17]
	s_cbranch_vccz .LBB234_18
; %bb.11:
	s_and_saveexec_b64 s[4:5], s[2:3]
	s_cbranch_execz .LBB234_17
; %bb.12:
	s_cmp_ge_u32 s12, s13
	v_mov_b32_e32 v4, s7
	s_cbranch_scc1 .LBB234_16
; %bb.13:
	s_mov_b64 s[2:3], 0
	v_mov_b32_e32 v6, s13
	v_mov_b32_e32 v4, s7
	s_and_b32 s16, s6, 0xff
.LBB234_14:                             ; =>This Inner Loop Header: Depth=1
	v_add_u32_e32 v7, v4, v6
	v_lshrrev_b32_e32 v7, 1, v7
	global_load_ubyte v8, v7, s[8:9]
	v_add_u32_e32 v9, 1, v7
	s_waitcnt vmcnt(0)
	v_and_b32_e32 v8, s16, v8
	v_cmp_gt_u16_sdwa s[18:19], v3, v8 src0_sel:BYTE_0 src1_sel:DWORD
	v_cndmask_b32_e64 v10, 0, 1, s[18:19]
	v_cmp_le_u16_sdwa s[18:19], v8, v3 src0_sel:DWORD src1_sel:BYTE_0
	v_cndmask_b32_e64 v8, 0, 1, s[18:19]
	v_cndmask_b32_e64 v8, v8, v10, s[0:1]
	v_and_b32_e32 v8, 1, v8
	v_cmp_eq_u32_e32 vcc, 1, v8
	v_cndmask_b32_e32 v6, v7, v6, vcc
	v_cndmask_b32_e32 v4, v4, v9, vcc
	v_cmp_ge_u32_e32 vcc, v4, v6
	s_or_b64 s[2:3], vcc, s[2:3]
	s_andn2_b64 exec, exec, s[2:3]
	s_cbranch_execnz .LBB234_14
; %bb.15:
	s_or_b64 exec, exec, s[2:3]
.LBB234_16:
	v_add_u32_e32 v6, v4, v0
	v_mov_b32_e32 v7, 0
	global_store_byte v6, v5, s[10:11]
	v_lshlrev_b64 v[6:7], 3, v[6:7]
	v_mov_b32_e32 v4, s15
	v_add_co_u32_e32 v6, vcc, s14, v6
	v_addc_co_u32_e32 v7, vcc, v4, v7, vcc
	global_store_dwordx2 v[6:7], v[1:2], off
.LBB234_17:
	s_or_b64 exec, exec, s[4:5]
	s_mov_b64 s[4:5], 0
.LBB234_18:
	s_andn2_b64 vcc, exec, s[4:5]
	s_cbranch_vccnz .LBB234_24
; %bb.19:
	s_cmp_ge_u32 s12, s13
	v_mov_b32_e32 v4, s7
	s_cbranch_scc1 .LBB234_23
; %bb.20:
	s_mov_b64 s[2:3], 0
	v_mov_b32_e32 v6, s13
	v_mov_b32_e32 v4, s7
	s_and_b32 s4, s6, 0xff
.LBB234_21:                             ; =>This Inner Loop Header: Depth=1
	v_add_u32_e32 v7, v4, v6
	v_lshrrev_b32_e32 v7, 1, v7
	global_load_ubyte v8, v7, s[8:9]
	v_add_u32_e32 v9, 1, v7
	s_waitcnt vmcnt(0)
	v_and_b32_e32 v8, s4, v8
	v_cmp_gt_u16_sdwa s[6:7], v3, v8 src0_sel:BYTE_0 src1_sel:DWORD
	v_cndmask_b32_e64 v10, 0, 1, s[6:7]
	v_cmp_le_u16_sdwa s[6:7], v8, v3 src0_sel:DWORD src1_sel:BYTE_0
	v_cndmask_b32_e64 v8, 0, 1, s[6:7]
	v_cndmask_b32_e64 v8, v8, v10, s[0:1]
	v_and_b32_e32 v8, 1, v8
	v_cmp_eq_u32_e32 vcc, 1, v8
	v_cndmask_b32_e32 v6, v7, v6, vcc
	v_cndmask_b32_e32 v4, v4, v9, vcc
	v_cmp_ge_u32_e32 vcc, v4, v6
	s_or_b64 s[2:3], vcc, s[2:3]
	s_andn2_b64 exec, exec, s[2:3]
	s_cbranch_execnz .LBB234_21
; %bb.22:
	s_or_b64 exec, exec, s[2:3]
.LBB234_23:
	v_add_u32_e32 v3, v4, v0
	v_mov_b32_e32 v4, 0
	global_store_byte v3, v5, s[10:11]
	v_lshlrev_b64 v[3:4], 3, v[3:4]
	v_mov_b32_e32 v0, s15
	v_add_co_u32_e32 v3, vcc, s14, v3
	v_addc_co_u32_e32 v4, vcc, v0, v4, vcc
	global_store_dwordx2 v[3:4], v[1:2], off
.LBB234_24:
	s_endpgm
	.section	.rodata,"a",@progbits
	.p2align	6, 0x0
	.amdhsa_kernel _ZN7rocprim17ROCPRIM_400000_NS6detail17trampoline_kernelINS0_14default_configENS1_38merge_sort_block_merge_config_selectorIhlEEZZNS1_27merge_sort_block_merge_implIS3_PhN6thrust23THRUST_200600_302600_NS10device_ptrIlEEjNS1_19radix_merge_compareILb0ELb1EhNS0_19identity_decomposerEEEEE10hipError_tT0_T1_T2_jT3_P12ihipStream_tbPNSt15iterator_traitsISG_E10value_typeEPNSM_ISH_E10value_typeEPSI_NS1_7vsmem_tEENKUlT_SG_SH_SI_E_clIS7_S7_SB_PlEESF_SV_SG_SH_SI_EUlSV_E1_NS1_11comp_targetILNS1_3genE2ELNS1_11target_archE906ELNS1_3gpuE6ELNS1_3repE0EEENS1_36merge_oddeven_config_static_selectorELNS0_4arch9wavefront6targetE1EEEvSH_
		.amdhsa_group_segment_fixed_size 0
		.amdhsa_private_segment_fixed_size 0
		.amdhsa_kernarg_size 48
		.amdhsa_user_sgpr_count 6
		.amdhsa_user_sgpr_private_segment_buffer 1
		.amdhsa_user_sgpr_dispatch_ptr 0
		.amdhsa_user_sgpr_queue_ptr 0
		.amdhsa_user_sgpr_kernarg_segment_ptr 1
		.amdhsa_user_sgpr_dispatch_id 0
		.amdhsa_user_sgpr_flat_scratch_init 0
		.amdhsa_user_sgpr_private_segment_size 0
		.amdhsa_uses_dynamic_stack 0
		.amdhsa_system_sgpr_private_segment_wavefront_offset 0
		.amdhsa_system_sgpr_workgroup_id_x 1
		.amdhsa_system_sgpr_workgroup_id_y 0
		.amdhsa_system_sgpr_workgroup_id_z 0
		.amdhsa_system_sgpr_workgroup_info 0
		.amdhsa_system_vgpr_workitem_id 0
		.amdhsa_next_free_vgpr 11
		.amdhsa_next_free_sgpr 24
		.amdhsa_reserve_vcc 1
		.amdhsa_reserve_flat_scratch 0
		.amdhsa_float_round_mode_32 0
		.amdhsa_float_round_mode_16_64 0
		.amdhsa_float_denorm_mode_32 3
		.amdhsa_float_denorm_mode_16_64 3
		.amdhsa_dx10_clamp 1
		.amdhsa_ieee_mode 1
		.amdhsa_fp16_overflow 0
		.amdhsa_exception_fp_ieee_invalid_op 0
		.amdhsa_exception_fp_denorm_src 0
		.amdhsa_exception_fp_ieee_div_zero 0
		.amdhsa_exception_fp_ieee_overflow 0
		.amdhsa_exception_fp_ieee_underflow 0
		.amdhsa_exception_fp_ieee_inexact 0
		.amdhsa_exception_int_div_zero 0
	.end_amdhsa_kernel
	.section	.text._ZN7rocprim17ROCPRIM_400000_NS6detail17trampoline_kernelINS0_14default_configENS1_38merge_sort_block_merge_config_selectorIhlEEZZNS1_27merge_sort_block_merge_implIS3_PhN6thrust23THRUST_200600_302600_NS10device_ptrIlEEjNS1_19radix_merge_compareILb0ELb1EhNS0_19identity_decomposerEEEEE10hipError_tT0_T1_T2_jT3_P12ihipStream_tbPNSt15iterator_traitsISG_E10value_typeEPNSM_ISH_E10value_typeEPSI_NS1_7vsmem_tEENKUlT_SG_SH_SI_E_clIS7_S7_SB_PlEESF_SV_SG_SH_SI_EUlSV_E1_NS1_11comp_targetILNS1_3genE2ELNS1_11target_archE906ELNS1_3gpuE6ELNS1_3repE0EEENS1_36merge_oddeven_config_static_selectorELNS0_4arch9wavefront6targetE1EEEvSH_,"axG",@progbits,_ZN7rocprim17ROCPRIM_400000_NS6detail17trampoline_kernelINS0_14default_configENS1_38merge_sort_block_merge_config_selectorIhlEEZZNS1_27merge_sort_block_merge_implIS3_PhN6thrust23THRUST_200600_302600_NS10device_ptrIlEEjNS1_19radix_merge_compareILb0ELb1EhNS0_19identity_decomposerEEEEE10hipError_tT0_T1_T2_jT3_P12ihipStream_tbPNSt15iterator_traitsISG_E10value_typeEPNSM_ISH_E10value_typeEPSI_NS1_7vsmem_tEENKUlT_SG_SH_SI_E_clIS7_S7_SB_PlEESF_SV_SG_SH_SI_EUlSV_E1_NS1_11comp_targetILNS1_3genE2ELNS1_11target_archE906ELNS1_3gpuE6ELNS1_3repE0EEENS1_36merge_oddeven_config_static_selectorELNS0_4arch9wavefront6targetE1EEEvSH_,comdat
.Lfunc_end234:
	.size	_ZN7rocprim17ROCPRIM_400000_NS6detail17trampoline_kernelINS0_14default_configENS1_38merge_sort_block_merge_config_selectorIhlEEZZNS1_27merge_sort_block_merge_implIS3_PhN6thrust23THRUST_200600_302600_NS10device_ptrIlEEjNS1_19radix_merge_compareILb0ELb1EhNS0_19identity_decomposerEEEEE10hipError_tT0_T1_T2_jT3_P12ihipStream_tbPNSt15iterator_traitsISG_E10value_typeEPNSM_ISH_E10value_typeEPSI_NS1_7vsmem_tEENKUlT_SG_SH_SI_E_clIS7_S7_SB_PlEESF_SV_SG_SH_SI_EUlSV_E1_NS1_11comp_targetILNS1_3genE2ELNS1_11target_archE906ELNS1_3gpuE6ELNS1_3repE0EEENS1_36merge_oddeven_config_static_selectorELNS0_4arch9wavefront6targetE1EEEvSH_, .Lfunc_end234-_ZN7rocprim17ROCPRIM_400000_NS6detail17trampoline_kernelINS0_14default_configENS1_38merge_sort_block_merge_config_selectorIhlEEZZNS1_27merge_sort_block_merge_implIS3_PhN6thrust23THRUST_200600_302600_NS10device_ptrIlEEjNS1_19radix_merge_compareILb0ELb1EhNS0_19identity_decomposerEEEEE10hipError_tT0_T1_T2_jT3_P12ihipStream_tbPNSt15iterator_traitsISG_E10value_typeEPNSM_ISH_E10value_typeEPSI_NS1_7vsmem_tEENKUlT_SG_SH_SI_E_clIS7_S7_SB_PlEESF_SV_SG_SH_SI_EUlSV_E1_NS1_11comp_targetILNS1_3genE2ELNS1_11target_archE906ELNS1_3gpuE6ELNS1_3repE0EEENS1_36merge_oddeven_config_static_selectorELNS0_4arch9wavefront6targetE1EEEvSH_
                                        ; -- End function
	.set _ZN7rocprim17ROCPRIM_400000_NS6detail17trampoline_kernelINS0_14default_configENS1_38merge_sort_block_merge_config_selectorIhlEEZZNS1_27merge_sort_block_merge_implIS3_PhN6thrust23THRUST_200600_302600_NS10device_ptrIlEEjNS1_19radix_merge_compareILb0ELb1EhNS0_19identity_decomposerEEEEE10hipError_tT0_T1_T2_jT3_P12ihipStream_tbPNSt15iterator_traitsISG_E10value_typeEPNSM_ISH_E10value_typeEPSI_NS1_7vsmem_tEENKUlT_SG_SH_SI_E_clIS7_S7_SB_PlEESF_SV_SG_SH_SI_EUlSV_E1_NS1_11comp_targetILNS1_3genE2ELNS1_11target_archE906ELNS1_3gpuE6ELNS1_3repE0EEENS1_36merge_oddeven_config_static_selectorELNS0_4arch9wavefront6targetE1EEEvSH_.num_vgpr, 11
	.set _ZN7rocprim17ROCPRIM_400000_NS6detail17trampoline_kernelINS0_14default_configENS1_38merge_sort_block_merge_config_selectorIhlEEZZNS1_27merge_sort_block_merge_implIS3_PhN6thrust23THRUST_200600_302600_NS10device_ptrIlEEjNS1_19radix_merge_compareILb0ELb1EhNS0_19identity_decomposerEEEEE10hipError_tT0_T1_T2_jT3_P12ihipStream_tbPNSt15iterator_traitsISG_E10value_typeEPNSM_ISH_E10value_typeEPSI_NS1_7vsmem_tEENKUlT_SG_SH_SI_E_clIS7_S7_SB_PlEESF_SV_SG_SH_SI_EUlSV_E1_NS1_11comp_targetILNS1_3genE2ELNS1_11target_archE906ELNS1_3gpuE6ELNS1_3repE0EEENS1_36merge_oddeven_config_static_selectorELNS0_4arch9wavefront6targetE1EEEvSH_.num_agpr, 0
	.set _ZN7rocprim17ROCPRIM_400000_NS6detail17trampoline_kernelINS0_14default_configENS1_38merge_sort_block_merge_config_selectorIhlEEZZNS1_27merge_sort_block_merge_implIS3_PhN6thrust23THRUST_200600_302600_NS10device_ptrIlEEjNS1_19radix_merge_compareILb0ELb1EhNS0_19identity_decomposerEEEEE10hipError_tT0_T1_T2_jT3_P12ihipStream_tbPNSt15iterator_traitsISG_E10value_typeEPNSM_ISH_E10value_typeEPSI_NS1_7vsmem_tEENKUlT_SG_SH_SI_E_clIS7_S7_SB_PlEESF_SV_SG_SH_SI_EUlSV_E1_NS1_11comp_targetILNS1_3genE2ELNS1_11target_archE906ELNS1_3gpuE6ELNS1_3repE0EEENS1_36merge_oddeven_config_static_selectorELNS0_4arch9wavefront6targetE1EEEvSH_.numbered_sgpr, 24
	.set _ZN7rocprim17ROCPRIM_400000_NS6detail17trampoline_kernelINS0_14default_configENS1_38merge_sort_block_merge_config_selectorIhlEEZZNS1_27merge_sort_block_merge_implIS3_PhN6thrust23THRUST_200600_302600_NS10device_ptrIlEEjNS1_19radix_merge_compareILb0ELb1EhNS0_19identity_decomposerEEEEE10hipError_tT0_T1_T2_jT3_P12ihipStream_tbPNSt15iterator_traitsISG_E10value_typeEPNSM_ISH_E10value_typeEPSI_NS1_7vsmem_tEENKUlT_SG_SH_SI_E_clIS7_S7_SB_PlEESF_SV_SG_SH_SI_EUlSV_E1_NS1_11comp_targetILNS1_3genE2ELNS1_11target_archE906ELNS1_3gpuE6ELNS1_3repE0EEENS1_36merge_oddeven_config_static_selectorELNS0_4arch9wavefront6targetE1EEEvSH_.num_named_barrier, 0
	.set _ZN7rocprim17ROCPRIM_400000_NS6detail17trampoline_kernelINS0_14default_configENS1_38merge_sort_block_merge_config_selectorIhlEEZZNS1_27merge_sort_block_merge_implIS3_PhN6thrust23THRUST_200600_302600_NS10device_ptrIlEEjNS1_19radix_merge_compareILb0ELb1EhNS0_19identity_decomposerEEEEE10hipError_tT0_T1_T2_jT3_P12ihipStream_tbPNSt15iterator_traitsISG_E10value_typeEPNSM_ISH_E10value_typeEPSI_NS1_7vsmem_tEENKUlT_SG_SH_SI_E_clIS7_S7_SB_PlEESF_SV_SG_SH_SI_EUlSV_E1_NS1_11comp_targetILNS1_3genE2ELNS1_11target_archE906ELNS1_3gpuE6ELNS1_3repE0EEENS1_36merge_oddeven_config_static_selectorELNS0_4arch9wavefront6targetE1EEEvSH_.private_seg_size, 0
	.set _ZN7rocprim17ROCPRIM_400000_NS6detail17trampoline_kernelINS0_14default_configENS1_38merge_sort_block_merge_config_selectorIhlEEZZNS1_27merge_sort_block_merge_implIS3_PhN6thrust23THRUST_200600_302600_NS10device_ptrIlEEjNS1_19radix_merge_compareILb0ELb1EhNS0_19identity_decomposerEEEEE10hipError_tT0_T1_T2_jT3_P12ihipStream_tbPNSt15iterator_traitsISG_E10value_typeEPNSM_ISH_E10value_typeEPSI_NS1_7vsmem_tEENKUlT_SG_SH_SI_E_clIS7_S7_SB_PlEESF_SV_SG_SH_SI_EUlSV_E1_NS1_11comp_targetILNS1_3genE2ELNS1_11target_archE906ELNS1_3gpuE6ELNS1_3repE0EEENS1_36merge_oddeven_config_static_selectorELNS0_4arch9wavefront6targetE1EEEvSH_.uses_vcc, 1
	.set _ZN7rocprim17ROCPRIM_400000_NS6detail17trampoline_kernelINS0_14default_configENS1_38merge_sort_block_merge_config_selectorIhlEEZZNS1_27merge_sort_block_merge_implIS3_PhN6thrust23THRUST_200600_302600_NS10device_ptrIlEEjNS1_19radix_merge_compareILb0ELb1EhNS0_19identity_decomposerEEEEE10hipError_tT0_T1_T2_jT3_P12ihipStream_tbPNSt15iterator_traitsISG_E10value_typeEPNSM_ISH_E10value_typeEPSI_NS1_7vsmem_tEENKUlT_SG_SH_SI_E_clIS7_S7_SB_PlEESF_SV_SG_SH_SI_EUlSV_E1_NS1_11comp_targetILNS1_3genE2ELNS1_11target_archE906ELNS1_3gpuE6ELNS1_3repE0EEENS1_36merge_oddeven_config_static_selectorELNS0_4arch9wavefront6targetE1EEEvSH_.uses_flat_scratch, 0
	.set _ZN7rocprim17ROCPRIM_400000_NS6detail17trampoline_kernelINS0_14default_configENS1_38merge_sort_block_merge_config_selectorIhlEEZZNS1_27merge_sort_block_merge_implIS3_PhN6thrust23THRUST_200600_302600_NS10device_ptrIlEEjNS1_19radix_merge_compareILb0ELb1EhNS0_19identity_decomposerEEEEE10hipError_tT0_T1_T2_jT3_P12ihipStream_tbPNSt15iterator_traitsISG_E10value_typeEPNSM_ISH_E10value_typeEPSI_NS1_7vsmem_tEENKUlT_SG_SH_SI_E_clIS7_S7_SB_PlEESF_SV_SG_SH_SI_EUlSV_E1_NS1_11comp_targetILNS1_3genE2ELNS1_11target_archE906ELNS1_3gpuE6ELNS1_3repE0EEENS1_36merge_oddeven_config_static_selectorELNS0_4arch9wavefront6targetE1EEEvSH_.has_dyn_sized_stack, 0
	.set _ZN7rocprim17ROCPRIM_400000_NS6detail17trampoline_kernelINS0_14default_configENS1_38merge_sort_block_merge_config_selectorIhlEEZZNS1_27merge_sort_block_merge_implIS3_PhN6thrust23THRUST_200600_302600_NS10device_ptrIlEEjNS1_19radix_merge_compareILb0ELb1EhNS0_19identity_decomposerEEEEE10hipError_tT0_T1_T2_jT3_P12ihipStream_tbPNSt15iterator_traitsISG_E10value_typeEPNSM_ISH_E10value_typeEPSI_NS1_7vsmem_tEENKUlT_SG_SH_SI_E_clIS7_S7_SB_PlEESF_SV_SG_SH_SI_EUlSV_E1_NS1_11comp_targetILNS1_3genE2ELNS1_11target_archE906ELNS1_3gpuE6ELNS1_3repE0EEENS1_36merge_oddeven_config_static_selectorELNS0_4arch9wavefront6targetE1EEEvSH_.has_recursion, 0
	.set _ZN7rocprim17ROCPRIM_400000_NS6detail17trampoline_kernelINS0_14default_configENS1_38merge_sort_block_merge_config_selectorIhlEEZZNS1_27merge_sort_block_merge_implIS3_PhN6thrust23THRUST_200600_302600_NS10device_ptrIlEEjNS1_19radix_merge_compareILb0ELb1EhNS0_19identity_decomposerEEEEE10hipError_tT0_T1_T2_jT3_P12ihipStream_tbPNSt15iterator_traitsISG_E10value_typeEPNSM_ISH_E10value_typeEPSI_NS1_7vsmem_tEENKUlT_SG_SH_SI_E_clIS7_S7_SB_PlEESF_SV_SG_SH_SI_EUlSV_E1_NS1_11comp_targetILNS1_3genE2ELNS1_11target_archE906ELNS1_3gpuE6ELNS1_3repE0EEENS1_36merge_oddeven_config_static_selectorELNS0_4arch9wavefront6targetE1EEEvSH_.has_indirect_call, 0
	.section	.AMDGPU.csdata,"",@progbits
; Kernel info:
; codeLenInByte = 768
; TotalNumSgprs: 28
; NumVgprs: 11
; ScratchSize: 0
; MemoryBound: 0
; FloatMode: 240
; IeeeMode: 1
; LDSByteSize: 0 bytes/workgroup (compile time only)
; SGPRBlocks: 3
; VGPRBlocks: 2
; NumSGPRsForWavesPerEU: 28
; NumVGPRsForWavesPerEU: 11
; Occupancy: 10
; WaveLimiterHint : 0
; COMPUTE_PGM_RSRC2:SCRATCH_EN: 0
; COMPUTE_PGM_RSRC2:USER_SGPR: 6
; COMPUTE_PGM_RSRC2:TRAP_HANDLER: 0
; COMPUTE_PGM_RSRC2:TGID_X_EN: 1
; COMPUTE_PGM_RSRC2:TGID_Y_EN: 0
; COMPUTE_PGM_RSRC2:TGID_Z_EN: 0
; COMPUTE_PGM_RSRC2:TIDIG_COMP_CNT: 0
	.section	.text._ZN7rocprim17ROCPRIM_400000_NS6detail17trampoline_kernelINS0_14default_configENS1_38merge_sort_block_merge_config_selectorIhlEEZZNS1_27merge_sort_block_merge_implIS3_PhN6thrust23THRUST_200600_302600_NS10device_ptrIlEEjNS1_19radix_merge_compareILb0ELb1EhNS0_19identity_decomposerEEEEE10hipError_tT0_T1_T2_jT3_P12ihipStream_tbPNSt15iterator_traitsISG_E10value_typeEPNSM_ISH_E10value_typeEPSI_NS1_7vsmem_tEENKUlT_SG_SH_SI_E_clIS7_S7_SB_PlEESF_SV_SG_SH_SI_EUlSV_E1_NS1_11comp_targetILNS1_3genE9ELNS1_11target_archE1100ELNS1_3gpuE3ELNS1_3repE0EEENS1_36merge_oddeven_config_static_selectorELNS0_4arch9wavefront6targetE1EEEvSH_,"axG",@progbits,_ZN7rocprim17ROCPRIM_400000_NS6detail17trampoline_kernelINS0_14default_configENS1_38merge_sort_block_merge_config_selectorIhlEEZZNS1_27merge_sort_block_merge_implIS3_PhN6thrust23THRUST_200600_302600_NS10device_ptrIlEEjNS1_19radix_merge_compareILb0ELb1EhNS0_19identity_decomposerEEEEE10hipError_tT0_T1_T2_jT3_P12ihipStream_tbPNSt15iterator_traitsISG_E10value_typeEPNSM_ISH_E10value_typeEPSI_NS1_7vsmem_tEENKUlT_SG_SH_SI_E_clIS7_S7_SB_PlEESF_SV_SG_SH_SI_EUlSV_E1_NS1_11comp_targetILNS1_3genE9ELNS1_11target_archE1100ELNS1_3gpuE3ELNS1_3repE0EEENS1_36merge_oddeven_config_static_selectorELNS0_4arch9wavefront6targetE1EEEvSH_,comdat
	.protected	_ZN7rocprim17ROCPRIM_400000_NS6detail17trampoline_kernelINS0_14default_configENS1_38merge_sort_block_merge_config_selectorIhlEEZZNS1_27merge_sort_block_merge_implIS3_PhN6thrust23THRUST_200600_302600_NS10device_ptrIlEEjNS1_19radix_merge_compareILb0ELb1EhNS0_19identity_decomposerEEEEE10hipError_tT0_T1_T2_jT3_P12ihipStream_tbPNSt15iterator_traitsISG_E10value_typeEPNSM_ISH_E10value_typeEPSI_NS1_7vsmem_tEENKUlT_SG_SH_SI_E_clIS7_S7_SB_PlEESF_SV_SG_SH_SI_EUlSV_E1_NS1_11comp_targetILNS1_3genE9ELNS1_11target_archE1100ELNS1_3gpuE3ELNS1_3repE0EEENS1_36merge_oddeven_config_static_selectorELNS0_4arch9wavefront6targetE1EEEvSH_ ; -- Begin function _ZN7rocprim17ROCPRIM_400000_NS6detail17trampoline_kernelINS0_14default_configENS1_38merge_sort_block_merge_config_selectorIhlEEZZNS1_27merge_sort_block_merge_implIS3_PhN6thrust23THRUST_200600_302600_NS10device_ptrIlEEjNS1_19radix_merge_compareILb0ELb1EhNS0_19identity_decomposerEEEEE10hipError_tT0_T1_T2_jT3_P12ihipStream_tbPNSt15iterator_traitsISG_E10value_typeEPNSM_ISH_E10value_typeEPSI_NS1_7vsmem_tEENKUlT_SG_SH_SI_E_clIS7_S7_SB_PlEESF_SV_SG_SH_SI_EUlSV_E1_NS1_11comp_targetILNS1_3genE9ELNS1_11target_archE1100ELNS1_3gpuE3ELNS1_3repE0EEENS1_36merge_oddeven_config_static_selectorELNS0_4arch9wavefront6targetE1EEEvSH_
	.globl	_ZN7rocprim17ROCPRIM_400000_NS6detail17trampoline_kernelINS0_14default_configENS1_38merge_sort_block_merge_config_selectorIhlEEZZNS1_27merge_sort_block_merge_implIS3_PhN6thrust23THRUST_200600_302600_NS10device_ptrIlEEjNS1_19radix_merge_compareILb0ELb1EhNS0_19identity_decomposerEEEEE10hipError_tT0_T1_T2_jT3_P12ihipStream_tbPNSt15iterator_traitsISG_E10value_typeEPNSM_ISH_E10value_typeEPSI_NS1_7vsmem_tEENKUlT_SG_SH_SI_E_clIS7_S7_SB_PlEESF_SV_SG_SH_SI_EUlSV_E1_NS1_11comp_targetILNS1_3genE9ELNS1_11target_archE1100ELNS1_3gpuE3ELNS1_3repE0EEENS1_36merge_oddeven_config_static_selectorELNS0_4arch9wavefront6targetE1EEEvSH_
	.p2align	8
	.type	_ZN7rocprim17ROCPRIM_400000_NS6detail17trampoline_kernelINS0_14default_configENS1_38merge_sort_block_merge_config_selectorIhlEEZZNS1_27merge_sort_block_merge_implIS3_PhN6thrust23THRUST_200600_302600_NS10device_ptrIlEEjNS1_19radix_merge_compareILb0ELb1EhNS0_19identity_decomposerEEEEE10hipError_tT0_T1_T2_jT3_P12ihipStream_tbPNSt15iterator_traitsISG_E10value_typeEPNSM_ISH_E10value_typeEPSI_NS1_7vsmem_tEENKUlT_SG_SH_SI_E_clIS7_S7_SB_PlEESF_SV_SG_SH_SI_EUlSV_E1_NS1_11comp_targetILNS1_3genE9ELNS1_11target_archE1100ELNS1_3gpuE3ELNS1_3repE0EEENS1_36merge_oddeven_config_static_selectorELNS0_4arch9wavefront6targetE1EEEvSH_,@function
_ZN7rocprim17ROCPRIM_400000_NS6detail17trampoline_kernelINS0_14default_configENS1_38merge_sort_block_merge_config_selectorIhlEEZZNS1_27merge_sort_block_merge_implIS3_PhN6thrust23THRUST_200600_302600_NS10device_ptrIlEEjNS1_19radix_merge_compareILb0ELb1EhNS0_19identity_decomposerEEEEE10hipError_tT0_T1_T2_jT3_P12ihipStream_tbPNSt15iterator_traitsISG_E10value_typeEPNSM_ISH_E10value_typeEPSI_NS1_7vsmem_tEENKUlT_SG_SH_SI_E_clIS7_S7_SB_PlEESF_SV_SG_SH_SI_EUlSV_E1_NS1_11comp_targetILNS1_3genE9ELNS1_11target_archE1100ELNS1_3gpuE3ELNS1_3repE0EEENS1_36merge_oddeven_config_static_selectorELNS0_4arch9wavefront6targetE1EEEvSH_: ; @_ZN7rocprim17ROCPRIM_400000_NS6detail17trampoline_kernelINS0_14default_configENS1_38merge_sort_block_merge_config_selectorIhlEEZZNS1_27merge_sort_block_merge_implIS3_PhN6thrust23THRUST_200600_302600_NS10device_ptrIlEEjNS1_19radix_merge_compareILb0ELb1EhNS0_19identity_decomposerEEEEE10hipError_tT0_T1_T2_jT3_P12ihipStream_tbPNSt15iterator_traitsISG_E10value_typeEPNSM_ISH_E10value_typeEPSI_NS1_7vsmem_tEENKUlT_SG_SH_SI_E_clIS7_S7_SB_PlEESF_SV_SG_SH_SI_EUlSV_E1_NS1_11comp_targetILNS1_3genE9ELNS1_11target_archE1100ELNS1_3gpuE3ELNS1_3repE0EEENS1_36merge_oddeven_config_static_selectorELNS0_4arch9wavefront6targetE1EEEvSH_
; %bb.0:
	.section	.rodata,"a",@progbits
	.p2align	6, 0x0
	.amdhsa_kernel _ZN7rocprim17ROCPRIM_400000_NS6detail17trampoline_kernelINS0_14default_configENS1_38merge_sort_block_merge_config_selectorIhlEEZZNS1_27merge_sort_block_merge_implIS3_PhN6thrust23THRUST_200600_302600_NS10device_ptrIlEEjNS1_19radix_merge_compareILb0ELb1EhNS0_19identity_decomposerEEEEE10hipError_tT0_T1_T2_jT3_P12ihipStream_tbPNSt15iterator_traitsISG_E10value_typeEPNSM_ISH_E10value_typeEPSI_NS1_7vsmem_tEENKUlT_SG_SH_SI_E_clIS7_S7_SB_PlEESF_SV_SG_SH_SI_EUlSV_E1_NS1_11comp_targetILNS1_3genE9ELNS1_11target_archE1100ELNS1_3gpuE3ELNS1_3repE0EEENS1_36merge_oddeven_config_static_selectorELNS0_4arch9wavefront6targetE1EEEvSH_
		.amdhsa_group_segment_fixed_size 0
		.amdhsa_private_segment_fixed_size 0
		.amdhsa_kernarg_size 48
		.amdhsa_user_sgpr_count 6
		.amdhsa_user_sgpr_private_segment_buffer 1
		.amdhsa_user_sgpr_dispatch_ptr 0
		.amdhsa_user_sgpr_queue_ptr 0
		.amdhsa_user_sgpr_kernarg_segment_ptr 1
		.amdhsa_user_sgpr_dispatch_id 0
		.amdhsa_user_sgpr_flat_scratch_init 0
		.amdhsa_user_sgpr_private_segment_size 0
		.amdhsa_uses_dynamic_stack 0
		.amdhsa_system_sgpr_private_segment_wavefront_offset 0
		.amdhsa_system_sgpr_workgroup_id_x 1
		.amdhsa_system_sgpr_workgroup_id_y 0
		.amdhsa_system_sgpr_workgroup_id_z 0
		.amdhsa_system_sgpr_workgroup_info 0
		.amdhsa_system_vgpr_workitem_id 0
		.amdhsa_next_free_vgpr 1
		.amdhsa_next_free_sgpr 0
		.amdhsa_reserve_vcc 0
		.amdhsa_reserve_flat_scratch 0
		.amdhsa_float_round_mode_32 0
		.amdhsa_float_round_mode_16_64 0
		.amdhsa_float_denorm_mode_32 3
		.amdhsa_float_denorm_mode_16_64 3
		.amdhsa_dx10_clamp 1
		.amdhsa_ieee_mode 1
		.amdhsa_fp16_overflow 0
		.amdhsa_exception_fp_ieee_invalid_op 0
		.amdhsa_exception_fp_denorm_src 0
		.amdhsa_exception_fp_ieee_div_zero 0
		.amdhsa_exception_fp_ieee_overflow 0
		.amdhsa_exception_fp_ieee_underflow 0
		.amdhsa_exception_fp_ieee_inexact 0
		.amdhsa_exception_int_div_zero 0
	.end_amdhsa_kernel
	.section	.text._ZN7rocprim17ROCPRIM_400000_NS6detail17trampoline_kernelINS0_14default_configENS1_38merge_sort_block_merge_config_selectorIhlEEZZNS1_27merge_sort_block_merge_implIS3_PhN6thrust23THRUST_200600_302600_NS10device_ptrIlEEjNS1_19radix_merge_compareILb0ELb1EhNS0_19identity_decomposerEEEEE10hipError_tT0_T1_T2_jT3_P12ihipStream_tbPNSt15iterator_traitsISG_E10value_typeEPNSM_ISH_E10value_typeEPSI_NS1_7vsmem_tEENKUlT_SG_SH_SI_E_clIS7_S7_SB_PlEESF_SV_SG_SH_SI_EUlSV_E1_NS1_11comp_targetILNS1_3genE9ELNS1_11target_archE1100ELNS1_3gpuE3ELNS1_3repE0EEENS1_36merge_oddeven_config_static_selectorELNS0_4arch9wavefront6targetE1EEEvSH_,"axG",@progbits,_ZN7rocprim17ROCPRIM_400000_NS6detail17trampoline_kernelINS0_14default_configENS1_38merge_sort_block_merge_config_selectorIhlEEZZNS1_27merge_sort_block_merge_implIS3_PhN6thrust23THRUST_200600_302600_NS10device_ptrIlEEjNS1_19radix_merge_compareILb0ELb1EhNS0_19identity_decomposerEEEEE10hipError_tT0_T1_T2_jT3_P12ihipStream_tbPNSt15iterator_traitsISG_E10value_typeEPNSM_ISH_E10value_typeEPSI_NS1_7vsmem_tEENKUlT_SG_SH_SI_E_clIS7_S7_SB_PlEESF_SV_SG_SH_SI_EUlSV_E1_NS1_11comp_targetILNS1_3genE9ELNS1_11target_archE1100ELNS1_3gpuE3ELNS1_3repE0EEENS1_36merge_oddeven_config_static_selectorELNS0_4arch9wavefront6targetE1EEEvSH_,comdat
.Lfunc_end235:
	.size	_ZN7rocprim17ROCPRIM_400000_NS6detail17trampoline_kernelINS0_14default_configENS1_38merge_sort_block_merge_config_selectorIhlEEZZNS1_27merge_sort_block_merge_implIS3_PhN6thrust23THRUST_200600_302600_NS10device_ptrIlEEjNS1_19radix_merge_compareILb0ELb1EhNS0_19identity_decomposerEEEEE10hipError_tT0_T1_T2_jT3_P12ihipStream_tbPNSt15iterator_traitsISG_E10value_typeEPNSM_ISH_E10value_typeEPSI_NS1_7vsmem_tEENKUlT_SG_SH_SI_E_clIS7_S7_SB_PlEESF_SV_SG_SH_SI_EUlSV_E1_NS1_11comp_targetILNS1_3genE9ELNS1_11target_archE1100ELNS1_3gpuE3ELNS1_3repE0EEENS1_36merge_oddeven_config_static_selectorELNS0_4arch9wavefront6targetE1EEEvSH_, .Lfunc_end235-_ZN7rocprim17ROCPRIM_400000_NS6detail17trampoline_kernelINS0_14default_configENS1_38merge_sort_block_merge_config_selectorIhlEEZZNS1_27merge_sort_block_merge_implIS3_PhN6thrust23THRUST_200600_302600_NS10device_ptrIlEEjNS1_19radix_merge_compareILb0ELb1EhNS0_19identity_decomposerEEEEE10hipError_tT0_T1_T2_jT3_P12ihipStream_tbPNSt15iterator_traitsISG_E10value_typeEPNSM_ISH_E10value_typeEPSI_NS1_7vsmem_tEENKUlT_SG_SH_SI_E_clIS7_S7_SB_PlEESF_SV_SG_SH_SI_EUlSV_E1_NS1_11comp_targetILNS1_3genE9ELNS1_11target_archE1100ELNS1_3gpuE3ELNS1_3repE0EEENS1_36merge_oddeven_config_static_selectorELNS0_4arch9wavefront6targetE1EEEvSH_
                                        ; -- End function
	.set _ZN7rocprim17ROCPRIM_400000_NS6detail17trampoline_kernelINS0_14default_configENS1_38merge_sort_block_merge_config_selectorIhlEEZZNS1_27merge_sort_block_merge_implIS3_PhN6thrust23THRUST_200600_302600_NS10device_ptrIlEEjNS1_19radix_merge_compareILb0ELb1EhNS0_19identity_decomposerEEEEE10hipError_tT0_T1_T2_jT3_P12ihipStream_tbPNSt15iterator_traitsISG_E10value_typeEPNSM_ISH_E10value_typeEPSI_NS1_7vsmem_tEENKUlT_SG_SH_SI_E_clIS7_S7_SB_PlEESF_SV_SG_SH_SI_EUlSV_E1_NS1_11comp_targetILNS1_3genE9ELNS1_11target_archE1100ELNS1_3gpuE3ELNS1_3repE0EEENS1_36merge_oddeven_config_static_selectorELNS0_4arch9wavefront6targetE1EEEvSH_.num_vgpr, 0
	.set _ZN7rocprim17ROCPRIM_400000_NS6detail17trampoline_kernelINS0_14default_configENS1_38merge_sort_block_merge_config_selectorIhlEEZZNS1_27merge_sort_block_merge_implIS3_PhN6thrust23THRUST_200600_302600_NS10device_ptrIlEEjNS1_19radix_merge_compareILb0ELb1EhNS0_19identity_decomposerEEEEE10hipError_tT0_T1_T2_jT3_P12ihipStream_tbPNSt15iterator_traitsISG_E10value_typeEPNSM_ISH_E10value_typeEPSI_NS1_7vsmem_tEENKUlT_SG_SH_SI_E_clIS7_S7_SB_PlEESF_SV_SG_SH_SI_EUlSV_E1_NS1_11comp_targetILNS1_3genE9ELNS1_11target_archE1100ELNS1_3gpuE3ELNS1_3repE0EEENS1_36merge_oddeven_config_static_selectorELNS0_4arch9wavefront6targetE1EEEvSH_.num_agpr, 0
	.set _ZN7rocprim17ROCPRIM_400000_NS6detail17trampoline_kernelINS0_14default_configENS1_38merge_sort_block_merge_config_selectorIhlEEZZNS1_27merge_sort_block_merge_implIS3_PhN6thrust23THRUST_200600_302600_NS10device_ptrIlEEjNS1_19radix_merge_compareILb0ELb1EhNS0_19identity_decomposerEEEEE10hipError_tT0_T1_T2_jT3_P12ihipStream_tbPNSt15iterator_traitsISG_E10value_typeEPNSM_ISH_E10value_typeEPSI_NS1_7vsmem_tEENKUlT_SG_SH_SI_E_clIS7_S7_SB_PlEESF_SV_SG_SH_SI_EUlSV_E1_NS1_11comp_targetILNS1_3genE9ELNS1_11target_archE1100ELNS1_3gpuE3ELNS1_3repE0EEENS1_36merge_oddeven_config_static_selectorELNS0_4arch9wavefront6targetE1EEEvSH_.numbered_sgpr, 0
	.set _ZN7rocprim17ROCPRIM_400000_NS6detail17trampoline_kernelINS0_14default_configENS1_38merge_sort_block_merge_config_selectorIhlEEZZNS1_27merge_sort_block_merge_implIS3_PhN6thrust23THRUST_200600_302600_NS10device_ptrIlEEjNS1_19radix_merge_compareILb0ELb1EhNS0_19identity_decomposerEEEEE10hipError_tT0_T1_T2_jT3_P12ihipStream_tbPNSt15iterator_traitsISG_E10value_typeEPNSM_ISH_E10value_typeEPSI_NS1_7vsmem_tEENKUlT_SG_SH_SI_E_clIS7_S7_SB_PlEESF_SV_SG_SH_SI_EUlSV_E1_NS1_11comp_targetILNS1_3genE9ELNS1_11target_archE1100ELNS1_3gpuE3ELNS1_3repE0EEENS1_36merge_oddeven_config_static_selectorELNS0_4arch9wavefront6targetE1EEEvSH_.num_named_barrier, 0
	.set _ZN7rocprim17ROCPRIM_400000_NS6detail17trampoline_kernelINS0_14default_configENS1_38merge_sort_block_merge_config_selectorIhlEEZZNS1_27merge_sort_block_merge_implIS3_PhN6thrust23THRUST_200600_302600_NS10device_ptrIlEEjNS1_19radix_merge_compareILb0ELb1EhNS0_19identity_decomposerEEEEE10hipError_tT0_T1_T2_jT3_P12ihipStream_tbPNSt15iterator_traitsISG_E10value_typeEPNSM_ISH_E10value_typeEPSI_NS1_7vsmem_tEENKUlT_SG_SH_SI_E_clIS7_S7_SB_PlEESF_SV_SG_SH_SI_EUlSV_E1_NS1_11comp_targetILNS1_3genE9ELNS1_11target_archE1100ELNS1_3gpuE3ELNS1_3repE0EEENS1_36merge_oddeven_config_static_selectorELNS0_4arch9wavefront6targetE1EEEvSH_.private_seg_size, 0
	.set _ZN7rocprim17ROCPRIM_400000_NS6detail17trampoline_kernelINS0_14default_configENS1_38merge_sort_block_merge_config_selectorIhlEEZZNS1_27merge_sort_block_merge_implIS3_PhN6thrust23THRUST_200600_302600_NS10device_ptrIlEEjNS1_19radix_merge_compareILb0ELb1EhNS0_19identity_decomposerEEEEE10hipError_tT0_T1_T2_jT3_P12ihipStream_tbPNSt15iterator_traitsISG_E10value_typeEPNSM_ISH_E10value_typeEPSI_NS1_7vsmem_tEENKUlT_SG_SH_SI_E_clIS7_S7_SB_PlEESF_SV_SG_SH_SI_EUlSV_E1_NS1_11comp_targetILNS1_3genE9ELNS1_11target_archE1100ELNS1_3gpuE3ELNS1_3repE0EEENS1_36merge_oddeven_config_static_selectorELNS0_4arch9wavefront6targetE1EEEvSH_.uses_vcc, 0
	.set _ZN7rocprim17ROCPRIM_400000_NS6detail17trampoline_kernelINS0_14default_configENS1_38merge_sort_block_merge_config_selectorIhlEEZZNS1_27merge_sort_block_merge_implIS3_PhN6thrust23THRUST_200600_302600_NS10device_ptrIlEEjNS1_19radix_merge_compareILb0ELb1EhNS0_19identity_decomposerEEEEE10hipError_tT0_T1_T2_jT3_P12ihipStream_tbPNSt15iterator_traitsISG_E10value_typeEPNSM_ISH_E10value_typeEPSI_NS1_7vsmem_tEENKUlT_SG_SH_SI_E_clIS7_S7_SB_PlEESF_SV_SG_SH_SI_EUlSV_E1_NS1_11comp_targetILNS1_3genE9ELNS1_11target_archE1100ELNS1_3gpuE3ELNS1_3repE0EEENS1_36merge_oddeven_config_static_selectorELNS0_4arch9wavefront6targetE1EEEvSH_.uses_flat_scratch, 0
	.set _ZN7rocprim17ROCPRIM_400000_NS6detail17trampoline_kernelINS0_14default_configENS1_38merge_sort_block_merge_config_selectorIhlEEZZNS1_27merge_sort_block_merge_implIS3_PhN6thrust23THRUST_200600_302600_NS10device_ptrIlEEjNS1_19radix_merge_compareILb0ELb1EhNS0_19identity_decomposerEEEEE10hipError_tT0_T1_T2_jT3_P12ihipStream_tbPNSt15iterator_traitsISG_E10value_typeEPNSM_ISH_E10value_typeEPSI_NS1_7vsmem_tEENKUlT_SG_SH_SI_E_clIS7_S7_SB_PlEESF_SV_SG_SH_SI_EUlSV_E1_NS1_11comp_targetILNS1_3genE9ELNS1_11target_archE1100ELNS1_3gpuE3ELNS1_3repE0EEENS1_36merge_oddeven_config_static_selectorELNS0_4arch9wavefront6targetE1EEEvSH_.has_dyn_sized_stack, 0
	.set _ZN7rocprim17ROCPRIM_400000_NS6detail17trampoline_kernelINS0_14default_configENS1_38merge_sort_block_merge_config_selectorIhlEEZZNS1_27merge_sort_block_merge_implIS3_PhN6thrust23THRUST_200600_302600_NS10device_ptrIlEEjNS1_19radix_merge_compareILb0ELb1EhNS0_19identity_decomposerEEEEE10hipError_tT0_T1_T2_jT3_P12ihipStream_tbPNSt15iterator_traitsISG_E10value_typeEPNSM_ISH_E10value_typeEPSI_NS1_7vsmem_tEENKUlT_SG_SH_SI_E_clIS7_S7_SB_PlEESF_SV_SG_SH_SI_EUlSV_E1_NS1_11comp_targetILNS1_3genE9ELNS1_11target_archE1100ELNS1_3gpuE3ELNS1_3repE0EEENS1_36merge_oddeven_config_static_selectorELNS0_4arch9wavefront6targetE1EEEvSH_.has_recursion, 0
	.set _ZN7rocprim17ROCPRIM_400000_NS6detail17trampoline_kernelINS0_14default_configENS1_38merge_sort_block_merge_config_selectorIhlEEZZNS1_27merge_sort_block_merge_implIS3_PhN6thrust23THRUST_200600_302600_NS10device_ptrIlEEjNS1_19radix_merge_compareILb0ELb1EhNS0_19identity_decomposerEEEEE10hipError_tT0_T1_T2_jT3_P12ihipStream_tbPNSt15iterator_traitsISG_E10value_typeEPNSM_ISH_E10value_typeEPSI_NS1_7vsmem_tEENKUlT_SG_SH_SI_E_clIS7_S7_SB_PlEESF_SV_SG_SH_SI_EUlSV_E1_NS1_11comp_targetILNS1_3genE9ELNS1_11target_archE1100ELNS1_3gpuE3ELNS1_3repE0EEENS1_36merge_oddeven_config_static_selectorELNS0_4arch9wavefront6targetE1EEEvSH_.has_indirect_call, 0
	.section	.AMDGPU.csdata,"",@progbits
; Kernel info:
; codeLenInByte = 0
; TotalNumSgprs: 4
; NumVgprs: 0
; ScratchSize: 0
; MemoryBound: 0
; FloatMode: 240
; IeeeMode: 1
; LDSByteSize: 0 bytes/workgroup (compile time only)
; SGPRBlocks: 0
; VGPRBlocks: 0
; NumSGPRsForWavesPerEU: 4
; NumVGPRsForWavesPerEU: 1
; Occupancy: 10
; WaveLimiterHint : 0
; COMPUTE_PGM_RSRC2:SCRATCH_EN: 0
; COMPUTE_PGM_RSRC2:USER_SGPR: 6
; COMPUTE_PGM_RSRC2:TRAP_HANDLER: 0
; COMPUTE_PGM_RSRC2:TGID_X_EN: 1
; COMPUTE_PGM_RSRC2:TGID_Y_EN: 0
; COMPUTE_PGM_RSRC2:TGID_Z_EN: 0
; COMPUTE_PGM_RSRC2:TIDIG_COMP_CNT: 0
	.section	.text._ZN7rocprim17ROCPRIM_400000_NS6detail17trampoline_kernelINS0_14default_configENS1_38merge_sort_block_merge_config_selectorIhlEEZZNS1_27merge_sort_block_merge_implIS3_PhN6thrust23THRUST_200600_302600_NS10device_ptrIlEEjNS1_19radix_merge_compareILb0ELb1EhNS0_19identity_decomposerEEEEE10hipError_tT0_T1_T2_jT3_P12ihipStream_tbPNSt15iterator_traitsISG_E10value_typeEPNSM_ISH_E10value_typeEPSI_NS1_7vsmem_tEENKUlT_SG_SH_SI_E_clIS7_S7_SB_PlEESF_SV_SG_SH_SI_EUlSV_E1_NS1_11comp_targetILNS1_3genE8ELNS1_11target_archE1030ELNS1_3gpuE2ELNS1_3repE0EEENS1_36merge_oddeven_config_static_selectorELNS0_4arch9wavefront6targetE1EEEvSH_,"axG",@progbits,_ZN7rocprim17ROCPRIM_400000_NS6detail17trampoline_kernelINS0_14default_configENS1_38merge_sort_block_merge_config_selectorIhlEEZZNS1_27merge_sort_block_merge_implIS3_PhN6thrust23THRUST_200600_302600_NS10device_ptrIlEEjNS1_19radix_merge_compareILb0ELb1EhNS0_19identity_decomposerEEEEE10hipError_tT0_T1_T2_jT3_P12ihipStream_tbPNSt15iterator_traitsISG_E10value_typeEPNSM_ISH_E10value_typeEPSI_NS1_7vsmem_tEENKUlT_SG_SH_SI_E_clIS7_S7_SB_PlEESF_SV_SG_SH_SI_EUlSV_E1_NS1_11comp_targetILNS1_3genE8ELNS1_11target_archE1030ELNS1_3gpuE2ELNS1_3repE0EEENS1_36merge_oddeven_config_static_selectorELNS0_4arch9wavefront6targetE1EEEvSH_,comdat
	.protected	_ZN7rocprim17ROCPRIM_400000_NS6detail17trampoline_kernelINS0_14default_configENS1_38merge_sort_block_merge_config_selectorIhlEEZZNS1_27merge_sort_block_merge_implIS3_PhN6thrust23THRUST_200600_302600_NS10device_ptrIlEEjNS1_19radix_merge_compareILb0ELb1EhNS0_19identity_decomposerEEEEE10hipError_tT0_T1_T2_jT3_P12ihipStream_tbPNSt15iterator_traitsISG_E10value_typeEPNSM_ISH_E10value_typeEPSI_NS1_7vsmem_tEENKUlT_SG_SH_SI_E_clIS7_S7_SB_PlEESF_SV_SG_SH_SI_EUlSV_E1_NS1_11comp_targetILNS1_3genE8ELNS1_11target_archE1030ELNS1_3gpuE2ELNS1_3repE0EEENS1_36merge_oddeven_config_static_selectorELNS0_4arch9wavefront6targetE1EEEvSH_ ; -- Begin function _ZN7rocprim17ROCPRIM_400000_NS6detail17trampoline_kernelINS0_14default_configENS1_38merge_sort_block_merge_config_selectorIhlEEZZNS1_27merge_sort_block_merge_implIS3_PhN6thrust23THRUST_200600_302600_NS10device_ptrIlEEjNS1_19radix_merge_compareILb0ELb1EhNS0_19identity_decomposerEEEEE10hipError_tT0_T1_T2_jT3_P12ihipStream_tbPNSt15iterator_traitsISG_E10value_typeEPNSM_ISH_E10value_typeEPSI_NS1_7vsmem_tEENKUlT_SG_SH_SI_E_clIS7_S7_SB_PlEESF_SV_SG_SH_SI_EUlSV_E1_NS1_11comp_targetILNS1_3genE8ELNS1_11target_archE1030ELNS1_3gpuE2ELNS1_3repE0EEENS1_36merge_oddeven_config_static_selectorELNS0_4arch9wavefront6targetE1EEEvSH_
	.globl	_ZN7rocprim17ROCPRIM_400000_NS6detail17trampoline_kernelINS0_14default_configENS1_38merge_sort_block_merge_config_selectorIhlEEZZNS1_27merge_sort_block_merge_implIS3_PhN6thrust23THRUST_200600_302600_NS10device_ptrIlEEjNS1_19radix_merge_compareILb0ELb1EhNS0_19identity_decomposerEEEEE10hipError_tT0_T1_T2_jT3_P12ihipStream_tbPNSt15iterator_traitsISG_E10value_typeEPNSM_ISH_E10value_typeEPSI_NS1_7vsmem_tEENKUlT_SG_SH_SI_E_clIS7_S7_SB_PlEESF_SV_SG_SH_SI_EUlSV_E1_NS1_11comp_targetILNS1_3genE8ELNS1_11target_archE1030ELNS1_3gpuE2ELNS1_3repE0EEENS1_36merge_oddeven_config_static_selectorELNS0_4arch9wavefront6targetE1EEEvSH_
	.p2align	8
	.type	_ZN7rocprim17ROCPRIM_400000_NS6detail17trampoline_kernelINS0_14default_configENS1_38merge_sort_block_merge_config_selectorIhlEEZZNS1_27merge_sort_block_merge_implIS3_PhN6thrust23THRUST_200600_302600_NS10device_ptrIlEEjNS1_19radix_merge_compareILb0ELb1EhNS0_19identity_decomposerEEEEE10hipError_tT0_T1_T2_jT3_P12ihipStream_tbPNSt15iterator_traitsISG_E10value_typeEPNSM_ISH_E10value_typeEPSI_NS1_7vsmem_tEENKUlT_SG_SH_SI_E_clIS7_S7_SB_PlEESF_SV_SG_SH_SI_EUlSV_E1_NS1_11comp_targetILNS1_3genE8ELNS1_11target_archE1030ELNS1_3gpuE2ELNS1_3repE0EEENS1_36merge_oddeven_config_static_selectorELNS0_4arch9wavefront6targetE1EEEvSH_,@function
_ZN7rocprim17ROCPRIM_400000_NS6detail17trampoline_kernelINS0_14default_configENS1_38merge_sort_block_merge_config_selectorIhlEEZZNS1_27merge_sort_block_merge_implIS3_PhN6thrust23THRUST_200600_302600_NS10device_ptrIlEEjNS1_19radix_merge_compareILb0ELb1EhNS0_19identity_decomposerEEEEE10hipError_tT0_T1_T2_jT3_P12ihipStream_tbPNSt15iterator_traitsISG_E10value_typeEPNSM_ISH_E10value_typeEPSI_NS1_7vsmem_tEENKUlT_SG_SH_SI_E_clIS7_S7_SB_PlEESF_SV_SG_SH_SI_EUlSV_E1_NS1_11comp_targetILNS1_3genE8ELNS1_11target_archE1030ELNS1_3gpuE2ELNS1_3repE0EEENS1_36merge_oddeven_config_static_selectorELNS0_4arch9wavefront6targetE1EEEvSH_: ; @_ZN7rocprim17ROCPRIM_400000_NS6detail17trampoline_kernelINS0_14default_configENS1_38merge_sort_block_merge_config_selectorIhlEEZZNS1_27merge_sort_block_merge_implIS3_PhN6thrust23THRUST_200600_302600_NS10device_ptrIlEEjNS1_19radix_merge_compareILb0ELb1EhNS0_19identity_decomposerEEEEE10hipError_tT0_T1_T2_jT3_P12ihipStream_tbPNSt15iterator_traitsISG_E10value_typeEPNSM_ISH_E10value_typeEPSI_NS1_7vsmem_tEENKUlT_SG_SH_SI_E_clIS7_S7_SB_PlEESF_SV_SG_SH_SI_EUlSV_E1_NS1_11comp_targetILNS1_3genE8ELNS1_11target_archE1030ELNS1_3gpuE2ELNS1_3repE0EEENS1_36merge_oddeven_config_static_selectorELNS0_4arch9wavefront6targetE1EEEvSH_
; %bb.0:
	.section	.rodata,"a",@progbits
	.p2align	6, 0x0
	.amdhsa_kernel _ZN7rocprim17ROCPRIM_400000_NS6detail17trampoline_kernelINS0_14default_configENS1_38merge_sort_block_merge_config_selectorIhlEEZZNS1_27merge_sort_block_merge_implIS3_PhN6thrust23THRUST_200600_302600_NS10device_ptrIlEEjNS1_19radix_merge_compareILb0ELb1EhNS0_19identity_decomposerEEEEE10hipError_tT0_T1_T2_jT3_P12ihipStream_tbPNSt15iterator_traitsISG_E10value_typeEPNSM_ISH_E10value_typeEPSI_NS1_7vsmem_tEENKUlT_SG_SH_SI_E_clIS7_S7_SB_PlEESF_SV_SG_SH_SI_EUlSV_E1_NS1_11comp_targetILNS1_3genE8ELNS1_11target_archE1030ELNS1_3gpuE2ELNS1_3repE0EEENS1_36merge_oddeven_config_static_selectorELNS0_4arch9wavefront6targetE1EEEvSH_
		.amdhsa_group_segment_fixed_size 0
		.amdhsa_private_segment_fixed_size 0
		.amdhsa_kernarg_size 48
		.amdhsa_user_sgpr_count 6
		.amdhsa_user_sgpr_private_segment_buffer 1
		.amdhsa_user_sgpr_dispatch_ptr 0
		.amdhsa_user_sgpr_queue_ptr 0
		.amdhsa_user_sgpr_kernarg_segment_ptr 1
		.amdhsa_user_sgpr_dispatch_id 0
		.amdhsa_user_sgpr_flat_scratch_init 0
		.amdhsa_user_sgpr_private_segment_size 0
		.amdhsa_uses_dynamic_stack 0
		.amdhsa_system_sgpr_private_segment_wavefront_offset 0
		.amdhsa_system_sgpr_workgroup_id_x 1
		.amdhsa_system_sgpr_workgroup_id_y 0
		.amdhsa_system_sgpr_workgroup_id_z 0
		.amdhsa_system_sgpr_workgroup_info 0
		.amdhsa_system_vgpr_workitem_id 0
		.amdhsa_next_free_vgpr 1
		.amdhsa_next_free_sgpr 0
		.amdhsa_reserve_vcc 0
		.amdhsa_reserve_flat_scratch 0
		.amdhsa_float_round_mode_32 0
		.amdhsa_float_round_mode_16_64 0
		.amdhsa_float_denorm_mode_32 3
		.amdhsa_float_denorm_mode_16_64 3
		.amdhsa_dx10_clamp 1
		.amdhsa_ieee_mode 1
		.amdhsa_fp16_overflow 0
		.amdhsa_exception_fp_ieee_invalid_op 0
		.amdhsa_exception_fp_denorm_src 0
		.amdhsa_exception_fp_ieee_div_zero 0
		.amdhsa_exception_fp_ieee_overflow 0
		.amdhsa_exception_fp_ieee_underflow 0
		.amdhsa_exception_fp_ieee_inexact 0
		.amdhsa_exception_int_div_zero 0
	.end_amdhsa_kernel
	.section	.text._ZN7rocprim17ROCPRIM_400000_NS6detail17trampoline_kernelINS0_14default_configENS1_38merge_sort_block_merge_config_selectorIhlEEZZNS1_27merge_sort_block_merge_implIS3_PhN6thrust23THRUST_200600_302600_NS10device_ptrIlEEjNS1_19radix_merge_compareILb0ELb1EhNS0_19identity_decomposerEEEEE10hipError_tT0_T1_T2_jT3_P12ihipStream_tbPNSt15iterator_traitsISG_E10value_typeEPNSM_ISH_E10value_typeEPSI_NS1_7vsmem_tEENKUlT_SG_SH_SI_E_clIS7_S7_SB_PlEESF_SV_SG_SH_SI_EUlSV_E1_NS1_11comp_targetILNS1_3genE8ELNS1_11target_archE1030ELNS1_3gpuE2ELNS1_3repE0EEENS1_36merge_oddeven_config_static_selectorELNS0_4arch9wavefront6targetE1EEEvSH_,"axG",@progbits,_ZN7rocprim17ROCPRIM_400000_NS6detail17trampoline_kernelINS0_14default_configENS1_38merge_sort_block_merge_config_selectorIhlEEZZNS1_27merge_sort_block_merge_implIS3_PhN6thrust23THRUST_200600_302600_NS10device_ptrIlEEjNS1_19radix_merge_compareILb0ELb1EhNS0_19identity_decomposerEEEEE10hipError_tT0_T1_T2_jT3_P12ihipStream_tbPNSt15iterator_traitsISG_E10value_typeEPNSM_ISH_E10value_typeEPSI_NS1_7vsmem_tEENKUlT_SG_SH_SI_E_clIS7_S7_SB_PlEESF_SV_SG_SH_SI_EUlSV_E1_NS1_11comp_targetILNS1_3genE8ELNS1_11target_archE1030ELNS1_3gpuE2ELNS1_3repE0EEENS1_36merge_oddeven_config_static_selectorELNS0_4arch9wavefront6targetE1EEEvSH_,comdat
.Lfunc_end236:
	.size	_ZN7rocprim17ROCPRIM_400000_NS6detail17trampoline_kernelINS0_14default_configENS1_38merge_sort_block_merge_config_selectorIhlEEZZNS1_27merge_sort_block_merge_implIS3_PhN6thrust23THRUST_200600_302600_NS10device_ptrIlEEjNS1_19radix_merge_compareILb0ELb1EhNS0_19identity_decomposerEEEEE10hipError_tT0_T1_T2_jT3_P12ihipStream_tbPNSt15iterator_traitsISG_E10value_typeEPNSM_ISH_E10value_typeEPSI_NS1_7vsmem_tEENKUlT_SG_SH_SI_E_clIS7_S7_SB_PlEESF_SV_SG_SH_SI_EUlSV_E1_NS1_11comp_targetILNS1_3genE8ELNS1_11target_archE1030ELNS1_3gpuE2ELNS1_3repE0EEENS1_36merge_oddeven_config_static_selectorELNS0_4arch9wavefront6targetE1EEEvSH_, .Lfunc_end236-_ZN7rocprim17ROCPRIM_400000_NS6detail17trampoline_kernelINS0_14default_configENS1_38merge_sort_block_merge_config_selectorIhlEEZZNS1_27merge_sort_block_merge_implIS3_PhN6thrust23THRUST_200600_302600_NS10device_ptrIlEEjNS1_19radix_merge_compareILb0ELb1EhNS0_19identity_decomposerEEEEE10hipError_tT0_T1_T2_jT3_P12ihipStream_tbPNSt15iterator_traitsISG_E10value_typeEPNSM_ISH_E10value_typeEPSI_NS1_7vsmem_tEENKUlT_SG_SH_SI_E_clIS7_S7_SB_PlEESF_SV_SG_SH_SI_EUlSV_E1_NS1_11comp_targetILNS1_3genE8ELNS1_11target_archE1030ELNS1_3gpuE2ELNS1_3repE0EEENS1_36merge_oddeven_config_static_selectorELNS0_4arch9wavefront6targetE1EEEvSH_
                                        ; -- End function
	.set _ZN7rocprim17ROCPRIM_400000_NS6detail17trampoline_kernelINS0_14default_configENS1_38merge_sort_block_merge_config_selectorIhlEEZZNS1_27merge_sort_block_merge_implIS3_PhN6thrust23THRUST_200600_302600_NS10device_ptrIlEEjNS1_19radix_merge_compareILb0ELb1EhNS0_19identity_decomposerEEEEE10hipError_tT0_T1_T2_jT3_P12ihipStream_tbPNSt15iterator_traitsISG_E10value_typeEPNSM_ISH_E10value_typeEPSI_NS1_7vsmem_tEENKUlT_SG_SH_SI_E_clIS7_S7_SB_PlEESF_SV_SG_SH_SI_EUlSV_E1_NS1_11comp_targetILNS1_3genE8ELNS1_11target_archE1030ELNS1_3gpuE2ELNS1_3repE0EEENS1_36merge_oddeven_config_static_selectorELNS0_4arch9wavefront6targetE1EEEvSH_.num_vgpr, 0
	.set _ZN7rocprim17ROCPRIM_400000_NS6detail17trampoline_kernelINS0_14default_configENS1_38merge_sort_block_merge_config_selectorIhlEEZZNS1_27merge_sort_block_merge_implIS3_PhN6thrust23THRUST_200600_302600_NS10device_ptrIlEEjNS1_19radix_merge_compareILb0ELb1EhNS0_19identity_decomposerEEEEE10hipError_tT0_T1_T2_jT3_P12ihipStream_tbPNSt15iterator_traitsISG_E10value_typeEPNSM_ISH_E10value_typeEPSI_NS1_7vsmem_tEENKUlT_SG_SH_SI_E_clIS7_S7_SB_PlEESF_SV_SG_SH_SI_EUlSV_E1_NS1_11comp_targetILNS1_3genE8ELNS1_11target_archE1030ELNS1_3gpuE2ELNS1_3repE0EEENS1_36merge_oddeven_config_static_selectorELNS0_4arch9wavefront6targetE1EEEvSH_.num_agpr, 0
	.set _ZN7rocprim17ROCPRIM_400000_NS6detail17trampoline_kernelINS0_14default_configENS1_38merge_sort_block_merge_config_selectorIhlEEZZNS1_27merge_sort_block_merge_implIS3_PhN6thrust23THRUST_200600_302600_NS10device_ptrIlEEjNS1_19radix_merge_compareILb0ELb1EhNS0_19identity_decomposerEEEEE10hipError_tT0_T1_T2_jT3_P12ihipStream_tbPNSt15iterator_traitsISG_E10value_typeEPNSM_ISH_E10value_typeEPSI_NS1_7vsmem_tEENKUlT_SG_SH_SI_E_clIS7_S7_SB_PlEESF_SV_SG_SH_SI_EUlSV_E1_NS1_11comp_targetILNS1_3genE8ELNS1_11target_archE1030ELNS1_3gpuE2ELNS1_3repE0EEENS1_36merge_oddeven_config_static_selectorELNS0_4arch9wavefront6targetE1EEEvSH_.numbered_sgpr, 0
	.set _ZN7rocprim17ROCPRIM_400000_NS6detail17trampoline_kernelINS0_14default_configENS1_38merge_sort_block_merge_config_selectorIhlEEZZNS1_27merge_sort_block_merge_implIS3_PhN6thrust23THRUST_200600_302600_NS10device_ptrIlEEjNS1_19radix_merge_compareILb0ELb1EhNS0_19identity_decomposerEEEEE10hipError_tT0_T1_T2_jT3_P12ihipStream_tbPNSt15iterator_traitsISG_E10value_typeEPNSM_ISH_E10value_typeEPSI_NS1_7vsmem_tEENKUlT_SG_SH_SI_E_clIS7_S7_SB_PlEESF_SV_SG_SH_SI_EUlSV_E1_NS1_11comp_targetILNS1_3genE8ELNS1_11target_archE1030ELNS1_3gpuE2ELNS1_3repE0EEENS1_36merge_oddeven_config_static_selectorELNS0_4arch9wavefront6targetE1EEEvSH_.num_named_barrier, 0
	.set _ZN7rocprim17ROCPRIM_400000_NS6detail17trampoline_kernelINS0_14default_configENS1_38merge_sort_block_merge_config_selectorIhlEEZZNS1_27merge_sort_block_merge_implIS3_PhN6thrust23THRUST_200600_302600_NS10device_ptrIlEEjNS1_19radix_merge_compareILb0ELb1EhNS0_19identity_decomposerEEEEE10hipError_tT0_T1_T2_jT3_P12ihipStream_tbPNSt15iterator_traitsISG_E10value_typeEPNSM_ISH_E10value_typeEPSI_NS1_7vsmem_tEENKUlT_SG_SH_SI_E_clIS7_S7_SB_PlEESF_SV_SG_SH_SI_EUlSV_E1_NS1_11comp_targetILNS1_3genE8ELNS1_11target_archE1030ELNS1_3gpuE2ELNS1_3repE0EEENS1_36merge_oddeven_config_static_selectorELNS0_4arch9wavefront6targetE1EEEvSH_.private_seg_size, 0
	.set _ZN7rocprim17ROCPRIM_400000_NS6detail17trampoline_kernelINS0_14default_configENS1_38merge_sort_block_merge_config_selectorIhlEEZZNS1_27merge_sort_block_merge_implIS3_PhN6thrust23THRUST_200600_302600_NS10device_ptrIlEEjNS1_19radix_merge_compareILb0ELb1EhNS0_19identity_decomposerEEEEE10hipError_tT0_T1_T2_jT3_P12ihipStream_tbPNSt15iterator_traitsISG_E10value_typeEPNSM_ISH_E10value_typeEPSI_NS1_7vsmem_tEENKUlT_SG_SH_SI_E_clIS7_S7_SB_PlEESF_SV_SG_SH_SI_EUlSV_E1_NS1_11comp_targetILNS1_3genE8ELNS1_11target_archE1030ELNS1_3gpuE2ELNS1_3repE0EEENS1_36merge_oddeven_config_static_selectorELNS0_4arch9wavefront6targetE1EEEvSH_.uses_vcc, 0
	.set _ZN7rocprim17ROCPRIM_400000_NS6detail17trampoline_kernelINS0_14default_configENS1_38merge_sort_block_merge_config_selectorIhlEEZZNS1_27merge_sort_block_merge_implIS3_PhN6thrust23THRUST_200600_302600_NS10device_ptrIlEEjNS1_19radix_merge_compareILb0ELb1EhNS0_19identity_decomposerEEEEE10hipError_tT0_T1_T2_jT3_P12ihipStream_tbPNSt15iterator_traitsISG_E10value_typeEPNSM_ISH_E10value_typeEPSI_NS1_7vsmem_tEENKUlT_SG_SH_SI_E_clIS7_S7_SB_PlEESF_SV_SG_SH_SI_EUlSV_E1_NS1_11comp_targetILNS1_3genE8ELNS1_11target_archE1030ELNS1_3gpuE2ELNS1_3repE0EEENS1_36merge_oddeven_config_static_selectorELNS0_4arch9wavefront6targetE1EEEvSH_.uses_flat_scratch, 0
	.set _ZN7rocprim17ROCPRIM_400000_NS6detail17trampoline_kernelINS0_14default_configENS1_38merge_sort_block_merge_config_selectorIhlEEZZNS1_27merge_sort_block_merge_implIS3_PhN6thrust23THRUST_200600_302600_NS10device_ptrIlEEjNS1_19radix_merge_compareILb0ELb1EhNS0_19identity_decomposerEEEEE10hipError_tT0_T1_T2_jT3_P12ihipStream_tbPNSt15iterator_traitsISG_E10value_typeEPNSM_ISH_E10value_typeEPSI_NS1_7vsmem_tEENKUlT_SG_SH_SI_E_clIS7_S7_SB_PlEESF_SV_SG_SH_SI_EUlSV_E1_NS1_11comp_targetILNS1_3genE8ELNS1_11target_archE1030ELNS1_3gpuE2ELNS1_3repE0EEENS1_36merge_oddeven_config_static_selectorELNS0_4arch9wavefront6targetE1EEEvSH_.has_dyn_sized_stack, 0
	.set _ZN7rocprim17ROCPRIM_400000_NS6detail17trampoline_kernelINS0_14default_configENS1_38merge_sort_block_merge_config_selectorIhlEEZZNS1_27merge_sort_block_merge_implIS3_PhN6thrust23THRUST_200600_302600_NS10device_ptrIlEEjNS1_19radix_merge_compareILb0ELb1EhNS0_19identity_decomposerEEEEE10hipError_tT0_T1_T2_jT3_P12ihipStream_tbPNSt15iterator_traitsISG_E10value_typeEPNSM_ISH_E10value_typeEPSI_NS1_7vsmem_tEENKUlT_SG_SH_SI_E_clIS7_S7_SB_PlEESF_SV_SG_SH_SI_EUlSV_E1_NS1_11comp_targetILNS1_3genE8ELNS1_11target_archE1030ELNS1_3gpuE2ELNS1_3repE0EEENS1_36merge_oddeven_config_static_selectorELNS0_4arch9wavefront6targetE1EEEvSH_.has_recursion, 0
	.set _ZN7rocprim17ROCPRIM_400000_NS6detail17trampoline_kernelINS0_14default_configENS1_38merge_sort_block_merge_config_selectorIhlEEZZNS1_27merge_sort_block_merge_implIS3_PhN6thrust23THRUST_200600_302600_NS10device_ptrIlEEjNS1_19radix_merge_compareILb0ELb1EhNS0_19identity_decomposerEEEEE10hipError_tT0_T1_T2_jT3_P12ihipStream_tbPNSt15iterator_traitsISG_E10value_typeEPNSM_ISH_E10value_typeEPSI_NS1_7vsmem_tEENKUlT_SG_SH_SI_E_clIS7_S7_SB_PlEESF_SV_SG_SH_SI_EUlSV_E1_NS1_11comp_targetILNS1_3genE8ELNS1_11target_archE1030ELNS1_3gpuE2ELNS1_3repE0EEENS1_36merge_oddeven_config_static_selectorELNS0_4arch9wavefront6targetE1EEEvSH_.has_indirect_call, 0
	.section	.AMDGPU.csdata,"",@progbits
; Kernel info:
; codeLenInByte = 0
; TotalNumSgprs: 4
; NumVgprs: 0
; ScratchSize: 0
; MemoryBound: 0
; FloatMode: 240
; IeeeMode: 1
; LDSByteSize: 0 bytes/workgroup (compile time only)
; SGPRBlocks: 0
; VGPRBlocks: 0
; NumSGPRsForWavesPerEU: 4
; NumVGPRsForWavesPerEU: 1
; Occupancy: 10
; WaveLimiterHint : 0
; COMPUTE_PGM_RSRC2:SCRATCH_EN: 0
; COMPUTE_PGM_RSRC2:USER_SGPR: 6
; COMPUTE_PGM_RSRC2:TRAP_HANDLER: 0
; COMPUTE_PGM_RSRC2:TGID_X_EN: 1
; COMPUTE_PGM_RSRC2:TGID_Y_EN: 0
; COMPUTE_PGM_RSRC2:TGID_Z_EN: 0
; COMPUTE_PGM_RSRC2:TIDIG_COMP_CNT: 0
	.section	.text._ZN7rocprim17ROCPRIM_400000_NS6detail17trampoline_kernelINS0_14default_configENS1_35radix_sort_onesweep_config_selectorIhlEEZNS1_34radix_sort_onesweep_global_offsetsIS3_Lb0EPhN6thrust23THRUST_200600_302600_NS10device_ptrIlEEjNS0_19identity_decomposerEEE10hipError_tT1_T2_PT3_SG_jT4_jjP12ihipStream_tbEUlT_E_NS1_11comp_targetILNS1_3genE0ELNS1_11target_archE4294967295ELNS1_3gpuE0ELNS1_3repE0EEENS1_52radix_sort_onesweep_histogram_config_static_selectorELNS0_4arch9wavefront6targetE1EEEvSE_,"axG",@progbits,_ZN7rocprim17ROCPRIM_400000_NS6detail17trampoline_kernelINS0_14default_configENS1_35radix_sort_onesweep_config_selectorIhlEEZNS1_34radix_sort_onesweep_global_offsetsIS3_Lb0EPhN6thrust23THRUST_200600_302600_NS10device_ptrIlEEjNS0_19identity_decomposerEEE10hipError_tT1_T2_PT3_SG_jT4_jjP12ihipStream_tbEUlT_E_NS1_11comp_targetILNS1_3genE0ELNS1_11target_archE4294967295ELNS1_3gpuE0ELNS1_3repE0EEENS1_52radix_sort_onesweep_histogram_config_static_selectorELNS0_4arch9wavefront6targetE1EEEvSE_,comdat
	.protected	_ZN7rocprim17ROCPRIM_400000_NS6detail17trampoline_kernelINS0_14default_configENS1_35radix_sort_onesweep_config_selectorIhlEEZNS1_34radix_sort_onesweep_global_offsetsIS3_Lb0EPhN6thrust23THRUST_200600_302600_NS10device_ptrIlEEjNS0_19identity_decomposerEEE10hipError_tT1_T2_PT3_SG_jT4_jjP12ihipStream_tbEUlT_E_NS1_11comp_targetILNS1_3genE0ELNS1_11target_archE4294967295ELNS1_3gpuE0ELNS1_3repE0EEENS1_52radix_sort_onesweep_histogram_config_static_selectorELNS0_4arch9wavefront6targetE1EEEvSE_ ; -- Begin function _ZN7rocprim17ROCPRIM_400000_NS6detail17trampoline_kernelINS0_14default_configENS1_35radix_sort_onesweep_config_selectorIhlEEZNS1_34radix_sort_onesweep_global_offsetsIS3_Lb0EPhN6thrust23THRUST_200600_302600_NS10device_ptrIlEEjNS0_19identity_decomposerEEE10hipError_tT1_T2_PT3_SG_jT4_jjP12ihipStream_tbEUlT_E_NS1_11comp_targetILNS1_3genE0ELNS1_11target_archE4294967295ELNS1_3gpuE0ELNS1_3repE0EEENS1_52radix_sort_onesweep_histogram_config_static_selectorELNS0_4arch9wavefront6targetE1EEEvSE_
	.globl	_ZN7rocprim17ROCPRIM_400000_NS6detail17trampoline_kernelINS0_14default_configENS1_35radix_sort_onesweep_config_selectorIhlEEZNS1_34radix_sort_onesweep_global_offsetsIS3_Lb0EPhN6thrust23THRUST_200600_302600_NS10device_ptrIlEEjNS0_19identity_decomposerEEE10hipError_tT1_T2_PT3_SG_jT4_jjP12ihipStream_tbEUlT_E_NS1_11comp_targetILNS1_3genE0ELNS1_11target_archE4294967295ELNS1_3gpuE0ELNS1_3repE0EEENS1_52radix_sort_onesweep_histogram_config_static_selectorELNS0_4arch9wavefront6targetE1EEEvSE_
	.p2align	8
	.type	_ZN7rocprim17ROCPRIM_400000_NS6detail17trampoline_kernelINS0_14default_configENS1_35radix_sort_onesweep_config_selectorIhlEEZNS1_34radix_sort_onesweep_global_offsetsIS3_Lb0EPhN6thrust23THRUST_200600_302600_NS10device_ptrIlEEjNS0_19identity_decomposerEEE10hipError_tT1_T2_PT3_SG_jT4_jjP12ihipStream_tbEUlT_E_NS1_11comp_targetILNS1_3genE0ELNS1_11target_archE4294967295ELNS1_3gpuE0ELNS1_3repE0EEENS1_52radix_sort_onesweep_histogram_config_static_selectorELNS0_4arch9wavefront6targetE1EEEvSE_,@function
_ZN7rocprim17ROCPRIM_400000_NS6detail17trampoline_kernelINS0_14default_configENS1_35radix_sort_onesweep_config_selectorIhlEEZNS1_34radix_sort_onesweep_global_offsetsIS3_Lb0EPhN6thrust23THRUST_200600_302600_NS10device_ptrIlEEjNS0_19identity_decomposerEEE10hipError_tT1_T2_PT3_SG_jT4_jjP12ihipStream_tbEUlT_E_NS1_11comp_targetILNS1_3genE0ELNS1_11target_archE4294967295ELNS1_3gpuE0ELNS1_3repE0EEENS1_52radix_sort_onesweep_histogram_config_static_selectorELNS0_4arch9wavefront6targetE1EEEvSE_: ; @_ZN7rocprim17ROCPRIM_400000_NS6detail17trampoline_kernelINS0_14default_configENS1_35radix_sort_onesweep_config_selectorIhlEEZNS1_34radix_sort_onesweep_global_offsetsIS3_Lb0EPhN6thrust23THRUST_200600_302600_NS10device_ptrIlEEjNS0_19identity_decomposerEEE10hipError_tT1_T2_PT3_SG_jT4_jjP12ihipStream_tbEUlT_E_NS1_11comp_targetILNS1_3genE0ELNS1_11target_archE4294967295ELNS1_3gpuE0ELNS1_3repE0EEENS1_52radix_sort_onesweep_histogram_config_static_selectorELNS0_4arch9wavefront6targetE1EEEvSE_
; %bb.0:
	.section	.rodata,"a",@progbits
	.p2align	6, 0x0
	.amdhsa_kernel _ZN7rocprim17ROCPRIM_400000_NS6detail17trampoline_kernelINS0_14default_configENS1_35radix_sort_onesweep_config_selectorIhlEEZNS1_34radix_sort_onesweep_global_offsetsIS3_Lb0EPhN6thrust23THRUST_200600_302600_NS10device_ptrIlEEjNS0_19identity_decomposerEEE10hipError_tT1_T2_PT3_SG_jT4_jjP12ihipStream_tbEUlT_E_NS1_11comp_targetILNS1_3genE0ELNS1_11target_archE4294967295ELNS1_3gpuE0ELNS1_3repE0EEENS1_52radix_sort_onesweep_histogram_config_static_selectorELNS0_4arch9wavefront6targetE1EEEvSE_
		.amdhsa_group_segment_fixed_size 0
		.amdhsa_private_segment_fixed_size 0
		.amdhsa_kernarg_size 40
		.amdhsa_user_sgpr_count 6
		.amdhsa_user_sgpr_private_segment_buffer 1
		.amdhsa_user_sgpr_dispatch_ptr 0
		.amdhsa_user_sgpr_queue_ptr 0
		.amdhsa_user_sgpr_kernarg_segment_ptr 1
		.amdhsa_user_sgpr_dispatch_id 0
		.amdhsa_user_sgpr_flat_scratch_init 0
		.amdhsa_user_sgpr_private_segment_size 0
		.amdhsa_uses_dynamic_stack 0
		.amdhsa_system_sgpr_private_segment_wavefront_offset 0
		.amdhsa_system_sgpr_workgroup_id_x 1
		.amdhsa_system_sgpr_workgroup_id_y 0
		.amdhsa_system_sgpr_workgroup_id_z 0
		.amdhsa_system_sgpr_workgroup_info 0
		.amdhsa_system_vgpr_workitem_id 0
		.amdhsa_next_free_vgpr 1
		.amdhsa_next_free_sgpr 0
		.amdhsa_reserve_vcc 0
		.amdhsa_reserve_flat_scratch 0
		.amdhsa_float_round_mode_32 0
		.amdhsa_float_round_mode_16_64 0
		.amdhsa_float_denorm_mode_32 3
		.amdhsa_float_denorm_mode_16_64 3
		.amdhsa_dx10_clamp 1
		.amdhsa_ieee_mode 1
		.amdhsa_fp16_overflow 0
		.amdhsa_exception_fp_ieee_invalid_op 0
		.amdhsa_exception_fp_denorm_src 0
		.amdhsa_exception_fp_ieee_div_zero 0
		.amdhsa_exception_fp_ieee_overflow 0
		.amdhsa_exception_fp_ieee_underflow 0
		.amdhsa_exception_fp_ieee_inexact 0
		.amdhsa_exception_int_div_zero 0
	.end_amdhsa_kernel
	.section	.text._ZN7rocprim17ROCPRIM_400000_NS6detail17trampoline_kernelINS0_14default_configENS1_35radix_sort_onesweep_config_selectorIhlEEZNS1_34radix_sort_onesweep_global_offsetsIS3_Lb0EPhN6thrust23THRUST_200600_302600_NS10device_ptrIlEEjNS0_19identity_decomposerEEE10hipError_tT1_T2_PT3_SG_jT4_jjP12ihipStream_tbEUlT_E_NS1_11comp_targetILNS1_3genE0ELNS1_11target_archE4294967295ELNS1_3gpuE0ELNS1_3repE0EEENS1_52radix_sort_onesweep_histogram_config_static_selectorELNS0_4arch9wavefront6targetE1EEEvSE_,"axG",@progbits,_ZN7rocprim17ROCPRIM_400000_NS6detail17trampoline_kernelINS0_14default_configENS1_35radix_sort_onesweep_config_selectorIhlEEZNS1_34radix_sort_onesweep_global_offsetsIS3_Lb0EPhN6thrust23THRUST_200600_302600_NS10device_ptrIlEEjNS0_19identity_decomposerEEE10hipError_tT1_T2_PT3_SG_jT4_jjP12ihipStream_tbEUlT_E_NS1_11comp_targetILNS1_3genE0ELNS1_11target_archE4294967295ELNS1_3gpuE0ELNS1_3repE0EEENS1_52radix_sort_onesweep_histogram_config_static_selectorELNS0_4arch9wavefront6targetE1EEEvSE_,comdat
.Lfunc_end237:
	.size	_ZN7rocprim17ROCPRIM_400000_NS6detail17trampoline_kernelINS0_14default_configENS1_35radix_sort_onesweep_config_selectorIhlEEZNS1_34radix_sort_onesweep_global_offsetsIS3_Lb0EPhN6thrust23THRUST_200600_302600_NS10device_ptrIlEEjNS0_19identity_decomposerEEE10hipError_tT1_T2_PT3_SG_jT4_jjP12ihipStream_tbEUlT_E_NS1_11comp_targetILNS1_3genE0ELNS1_11target_archE4294967295ELNS1_3gpuE0ELNS1_3repE0EEENS1_52radix_sort_onesweep_histogram_config_static_selectorELNS0_4arch9wavefront6targetE1EEEvSE_, .Lfunc_end237-_ZN7rocprim17ROCPRIM_400000_NS6detail17trampoline_kernelINS0_14default_configENS1_35radix_sort_onesweep_config_selectorIhlEEZNS1_34radix_sort_onesweep_global_offsetsIS3_Lb0EPhN6thrust23THRUST_200600_302600_NS10device_ptrIlEEjNS0_19identity_decomposerEEE10hipError_tT1_T2_PT3_SG_jT4_jjP12ihipStream_tbEUlT_E_NS1_11comp_targetILNS1_3genE0ELNS1_11target_archE4294967295ELNS1_3gpuE0ELNS1_3repE0EEENS1_52radix_sort_onesweep_histogram_config_static_selectorELNS0_4arch9wavefront6targetE1EEEvSE_
                                        ; -- End function
	.set _ZN7rocprim17ROCPRIM_400000_NS6detail17trampoline_kernelINS0_14default_configENS1_35radix_sort_onesweep_config_selectorIhlEEZNS1_34radix_sort_onesweep_global_offsetsIS3_Lb0EPhN6thrust23THRUST_200600_302600_NS10device_ptrIlEEjNS0_19identity_decomposerEEE10hipError_tT1_T2_PT3_SG_jT4_jjP12ihipStream_tbEUlT_E_NS1_11comp_targetILNS1_3genE0ELNS1_11target_archE4294967295ELNS1_3gpuE0ELNS1_3repE0EEENS1_52radix_sort_onesweep_histogram_config_static_selectorELNS0_4arch9wavefront6targetE1EEEvSE_.num_vgpr, 0
	.set _ZN7rocprim17ROCPRIM_400000_NS6detail17trampoline_kernelINS0_14default_configENS1_35radix_sort_onesweep_config_selectorIhlEEZNS1_34radix_sort_onesweep_global_offsetsIS3_Lb0EPhN6thrust23THRUST_200600_302600_NS10device_ptrIlEEjNS0_19identity_decomposerEEE10hipError_tT1_T2_PT3_SG_jT4_jjP12ihipStream_tbEUlT_E_NS1_11comp_targetILNS1_3genE0ELNS1_11target_archE4294967295ELNS1_3gpuE0ELNS1_3repE0EEENS1_52radix_sort_onesweep_histogram_config_static_selectorELNS0_4arch9wavefront6targetE1EEEvSE_.num_agpr, 0
	.set _ZN7rocprim17ROCPRIM_400000_NS6detail17trampoline_kernelINS0_14default_configENS1_35radix_sort_onesweep_config_selectorIhlEEZNS1_34radix_sort_onesweep_global_offsetsIS3_Lb0EPhN6thrust23THRUST_200600_302600_NS10device_ptrIlEEjNS0_19identity_decomposerEEE10hipError_tT1_T2_PT3_SG_jT4_jjP12ihipStream_tbEUlT_E_NS1_11comp_targetILNS1_3genE0ELNS1_11target_archE4294967295ELNS1_3gpuE0ELNS1_3repE0EEENS1_52radix_sort_onesweep_histogram_config_static_selectorELNS0_4arch9wavefront6targetE1EEEvSE_.numbered_sgpr, 0
	.set _ZN7rocprim17ROCPRIM_400000_NS6detail17trampoline_kernelINS0_14default_configENS1_35radix_sort_onesweep_config_selectorIhlEEZNS1_34radix_sort_onesweep_global_offsetsIS3_Lb0EPhN6thrust23THRUST_200600_302600_NS10device_ptrIlEEjNS0_19identity_decomposerEEE10hipError_tT1_T2_PT3_SG_jT4_jjP12ihipStream_tbEUlT_E_NS1_11comp_targetILNS1_3genE0ELNS1_11target_archE4294967295ELNS1_3gpuE0ELNS1_3repE0EEENS1_52radix_sort_onesweep_histogram_config_static_selectorELNS0_4arch9wavefront6targetE1EEEvSE_.num_named_barrier, 0
	.set _ZN7rocprim17ROCPRIM_400000_NS6detail17trampoline_kernelINS0_14default_configENS1_35radix_sort_onesweep_config_selectorIhlEEZNS1_34radix_sort_onesweep_global_offsetsIS3_Lb0EPhN6thrust23THRUST_200600_302600_NS10device_ptrIlEEjNS0_19identity_decomposerEEE10hipError_tT1_T2_PT3_SG_jT4_jjP12ihipStream_tbEUlT_E_NS1_11comp_targetILNS1_3genE0ELNS1_11target_archE4294967295ELNS1_3gpuE0ELNS1_3repE0EEENS1_52radix_sort_onesweep_histogram_config_static_selectorELNS0_4arch9wavefront6targetE1EEEvSE_.private_seg_size, 0
	.set _ZN7rocprim17ROCPRIM_400000_NS6detail17trampoline_kernelINS0_14default_configENS1_35radix_sort_onesweep_config_selectorIhlEEZNS1_34radix_sort_onesweep_global_offsetsIS3_Lb0EPhN6thrust23THRUST_200600_302600_NS10device_ptrIlEEjNS0_19identity_decomposerEEE10hipError_tT1_T2_PT3_SG_jT4_jjP12ihipStream_tbEUlT_E_NS1_11comp_targetILNS1_3genE0ELNS1_11target_archE4294967295ELNS1_3gpuE0ELNS1_3repE0EEENS1_52radix_sort_onesweep_histogram_config_static_selectorELNS0_4arch9wavefront6targetE1EEEvSE_.uses_vcc, 0
	.set _ZN7rocprim17ROCPRIM_400000_NS6detail17trampoline_kernelINS0_14default_configENS1_35radix_sort_onesweep_config_selectorIhlEEZNS1_34radix_sort_onesweep_global_offsetsIS3_Lb0EPhN6thrust23THRUST_200600_302600_NS10device_ptrIlEEjNS0_19identity_decomposerEEE10hipError_tT1_T2_PT3_SG_jT4_jjP12ihipStream_tbEUlT_E_NS1_11comp_targetILNS1_3genE0ELNS1_11target_archE4294967295ELNS1_3gpuE0ELNS1_3repE0EEENS1_52radix_sort_onesweep_histogram_config_static_selectorELNS0_4arch9wavefront6targetE1EEEvSE_.uses_flat_scratch, 0
	.set _ZN7rocprim17ROCPRIM_400000_NS6detail17trampoline_kernelINS0_14default_configENS1_35radix_sort_onesweep_config_selectorIhlEEZNS1_34radix_sort_onesweep_global_offsetsIS3_Lb0EPhN6thrust23THRUST_200600_302600_NS10device_ptrIlEEjNS0_19identity_decomposerEEE10hipError_tT1_T2_PT3_SG_jT4_jjP12ihipStream_tbEUlT_E_NS1_11comp_targetILNS1_3genE0ELNS1_11target_archE4294967295ELNS1_3gpuE0ELNS1_3repE0EEENS1_52radix_sort_onesweep_histogram_config_static_selectorELNS0_4arch9wavefront6targetE1EEEvSE_.has_dyn_sized_stack, 0
	.set _ZN7rocprim17ROCPRIM_400000_NS6detail17trampoline_kernelINS0_14default_configENS1_35radix_sort_onesweep_config_selectorIhlEEZNS1_34radix_sort_onesweep_global_offsetsIS3_Lb0EPhN6thrust23THRUST_200600_302600_NS10device_ptrIlEEjNS0_19identity_decomposerEEE10hipError_tT1_T2_PT3_SG_jT4_jjP12ihipStream_tbEUlT_E_NS1_11comp_targetILNS1_3genE0ELNS1_11target_archE4294967295ELNS1_3gpuE0ELNS1_3repE0EEENS1_52radix_sort_onesweep_histogram_config_static_selectorELNS0_4arch9wavefront6targetE1EEEvSE_.has_recursion, 0
	.set _ZN7rocprim17ROCPRIM_400000_NS6detail17trampoline_kernelINS0_14default_configENS1_35radix_sort_onesweep_config_selectorIhlEEZNS1_34radix_sort_onesweep_global_offsetsIS3_Lb0EPhN6thrust23THRUST_200600_302600_NS10device_ptrIlEEjNS0_19identity_decomposerEEE10hipError_tT1_T2_PT3_SG_jT4_jjP12ihipStream_tbEUlT_E_NS1_11comp_targetILNS1_3genE0ELNS1_11target_archE4294967295ELNS1_3gpuE0ELNS1_3repE0EEENS1_52radix_sort_onesweep_histogram_config_static_selectorELNS0_4arch9wavefront6targetE1EEEvSE_.has_indirect_call, 0
	.section	.AMDGPU.csdata,"",@progbits
; Kernel info:
; codeLenInByte = 0
; TotalNumSgprs: 4
; NumVgprs: 0
; ScratchSize: 0
; MemoryBound: 0
; FloatMode: 240
; IeeeMode: 1
; LDSByteSize: 0 bytes/workgroup (compile time only)
; SGPRBlocks: 0
; VGPRBlocks: 0
; NumSGPRsForWavesPerEU: 4
; NumVGPRsForWavesPerEU: 1
; Occupancy: 10
; WaveLimiterHint : 0
; COMPUTE_PGM_RSRC2:SCRATCH_EN: 0
; COMPUTE_PGM_RSRC2:USER_SGPR: 6
; COMPUTE_PGM_RSRC2:TRAP_HANDLER: 0
; COMPUTE_PGM_RSRC2:TGID_X_EN: 1
; COMPUTE_PGM_RSRC2:TGID_Y_EN: 0
; COMPUTE_PGM_RSRC2:TGID_Z_EN: 0
; COMPUTE_PGM_RSRC2:TIDIG_COMP_CNT: 0
	.section	.text._ZN7rocprim17ROCPRIM_400000_NS6detail17trampoline_kernelINS0_14default_configENS1_35radix_sort_onesweep_config_selectorIhlEEZNS1_34radix_sort_onesweep_global_offsetsIS3_Lb0EPhN6thrust23THRUST_200600_302600_NS10device_ptrIlEEjNS0_19identity_decomposerEEE10hipError_tT1_T2_PT3_SG_jT4_jjP12ihipStream_tbEUlT_E_NS1_11comp_targetILNS1_3genE6ELNS1_11target_archE950ELNS1_3gpuE13ELNS1_3repE0EEENS1_52radix_sort_onesweep_histogram_config_static_selectorELNS0_4arch9wavefront6targetE1EEEvSE_,"axG",@progbits,_ZN7rocprim17ROCPRIM_400000_NS6detail17trampoline_kernelINS0_14default_configENS1_35radix_sort_onesweep_config_selectorIhlEEZNS1_34radix_sort_onesweep_global_offsetsIS3_Lb0EPhN6thrust23THRUST_200600_302600_NS10device_ptrIlEEjNS0_19identity_decomposerEEE10hipError_tT1_T2_PT3_SG_jT4_jjP12ihipStream_tbEUlT_E_NS1_11comp_targetILNS1_3genE6ELNS1_11target_archE950ELNS1_3gpuE13ELNS1_3repE0EEENS1_52radix_sort_onesweep_histogram_config_static_selectorELNS0_4arch9wavefront6targetE1EEEvSE_,comdat
	.protected	_ZN7rocprim17ROCPRIM_400000_NS6detail17trampoline_kernelINS0_14default_configENS1_35radix_sort_onesweep_config_selectorIhlEEZNS1_34radix_sort_onesweep_global_offsetsIS3_Lb0EPhN6thrust23THRUST_200600_302600_NS10device_ptrIlEEjNS0_19identity_decomposerEEE10hipError_tT1_T2_PT3_SG_jT4_jjP12ihipStream_tbEUlT_E_NS1_11comp_targetILNS1_3genE6ELNS1_11target_archE950ELNS1_3gpuE13ELNS1_3repE0EEENS1_52radix_sort_onesweep_histogram_config_static_selectorELNS0_4arch9wavefront6targetE1EEEvSE_ ; -- Begin function _ZN7rocprim17ROCPRIM_400000_NS6detail17trampoline_kernelINS0_14default_configENS1_35radix_sort_onesweep_config_selectorIhlEEZNS1_34radix_sort_onesweep_global_offsetsIS3_Lb0EPhN6thrust23THRUST_200600_302600_NS10device_ptrIlEEjNS0_19identity_decomposerEEE10hipError_tT1_T2_PT3_SG_jT4_jjP12ihipStream_tbEUlT_E_NS1_11comp_targetILNS1_3genE6ELNS1_11target_archE950ELNS1_3gpuE13ELNS1_3repE0EEENS1_52radix_sort_onesweep_histogram_config_static_selectorELNS0_4arch9wavefront6targetE1EEEvSE_
	.globl	_ZN7rocprim17ROCPRIM_400000_NS6detail17trampoline_kernelINS0_14default_configENS1_35radix_sort_onesweep_config_selectorIhlEEZNS1_34radix_sort_onesweep_global_offsetsIS3_Lb0EPhN6thrust23THRUST_200600_302600_NS10device_ptrIlEEjNS0_19identity_decomposerEEE10hipError_tT1_T2_PT3_SG_jT4_jjP12ihipStream_tbEUlT_E_NS1_11comp_targetILNS1_3genE6ELNS1_11target_archE950ELNS1_3gpuE13ELNS1_3repE0EEENS1_52radix_sort_onesweep_histogram_config_static_selectorELNS0_4arch9wavefront6targetE1EEEvSE_
	.p2align	8
	.type	_ZN7rocprim17ROCPRIM_400000_NS6detail17trampoline_kernelINS0_14default_configENS1_35radix_sort_onesweep_config_selectorIhlEEZNS1_34radix_sort_onesweep_global_offsetsIS3_Lb0EPhN6thrust23THRUST_200600_302600_NS10device_ptrIlEEjNS0_19identity_decomposerEEE10hipError_tT1_T2_PT3_SG_jT4_jjP12ihipStream_tbEUlT_E_NS1_11comp_targetILNS1_3genE6ELNS1_11target_archE950ELNS1_3gpuE13ELNS1_3repE0EEENS1_52radix_sort_onesweep_histogram_config_static_selectorELNS0_4arch9wavefront6targetE1EEEvSE_,@function
_ZN7rocprim17ROCPRIM_400000_NS6detail17trampoline_kernelINS0_14default_configENS1_35radix_sort_onesweep_config_selectorIhlEEZNS1_34radix_sort_onesweep_global_offsetsIS3_Lb0EPhN6thrust23THRUST_200600_302600_NS10device_ptrIlEEjNS0_19identity_decomposerEEE10hipError_tT1_T2_PT3_SG_jT4_jjP12ihipStream_tbEUlT_E_NS1_11comp_targetILNS1_3genE6ELNS1_11target_archE950ELNS1_3gpuE13ELNS1_3repE0EEENS1_52radix_sort_onesweep_histogram_config_static_selectorELNS0_4arch9wavefront6targetE1EEEvSE_: ; @_ZN7rocprim17ROCPRIM_400000_NS6detail17trampoline_kernelINS0_14default_configENS1_35radix_sort_onesweep_config_selectorIhlEEZNS1_34radix_sort_onesweep_global_offsetsIS3_Lb0EPhN6thrust23THRUST_200600_302600_NS10device_ptrIlEEjNS0_19identity_decomposerEEE10hipError_tT1_T2_PT3_SG_jT4_jjP12ihipStream_tbEUlT_E_NS1_11comp_targetILNS1_3genE6ELNS1_11target_archE950ELNS1_3gpuE13ELNS1_3repE0EEENS1_52radix_sort_onesweep_histogram_config_static_selectorELNS0_4arch9wavefront6targetE1EEEvSE_
; %bb.0:
	.section	.rodata,"a",@progbits
	.p2align	6, 0x0
	.amdhsa_kernel _ZN7rocprim17ROCPRIM_400000_NS6detail17trampoline_kernelINS0_14default_configENS1_35radix_sort_onesweep_config_selectorIhlEEZNS1_34radix_sort_onesweep_global_offsetsIS3_Lb0EPhN6thrust23THRUST_200600_302600_NS10device_ptrIlEEjNS0_19identity_decomposerEEE10hipError_tT1_T2_PT3_SG_jT4_jjP12ihipStream_tbEUlT_E_NS1_11comp_targetILNS1_3genE6ELNS1_11target_archE950ELNS1_3gpuE13ELNS1_3repE0EEENS1_52radix_sort_onesweep_histogram_config_static_selectorELNS0_4arch9wavefront6targetE1EEEvSE_
		.amdhsa_group_segment_fixed_size 0
		.amdhsa_private_segment_fixed_size 0
		.amdhsa_kernarg_size 40
		.amdhsa_user_sgpr_count 6
		.amdhsa_user_sgpr_private_segment_buffer 1
		.amdhsa_user_sgpr_dispatch_ptr 0
		.amdhsa_user_sgpr_queue_ptr 0
		.amdhsa_user_sgpr_kernarg_segment_ptr 1
		.amdhsa_user_sgpr_dispatch_id 0
		.amdhsa_user_sgpr_flat_scratch_init 0
		.amdhsa_user_sgpr_private_segment_size 0
		.amdhsa_uses_dynamic_stack 0
		.amdhsa_system_sgpr_private_segment_wavefront_offset 0
		.amdhsa_system_sgpr_workgroup_id_x 1
		.amdhsa_system_sgpr_workgroup_id_y 0
		.amdhsa_system_sgpr_workgroup_id_z 0
		.amdhsa_system_sgpr_workgroup_info 0
		.amdhsa_system_vgpr_workitem_id 0
		.amdhsa_next_free_vgpr 1
		.amdhsa_next_free_sgpr 0
		.amdhsa_reserve_vcc 0
		.amdhsa_reserve_flat_scratch 0
		.amdhsa_float_round_mode_32 0
		.amdhsa_float_round_mode_16_64 0
		.amdhsa_float_denorm_mode_32 3
		.amdhsa_float_denorm_mode_16_64 3
		.amdhsa_dx10_clamp 1
		.amdhsa_ieee_mode 1
		.amdhsa_fp16_overflow 0
		.amdhsa_exception_fp_ieee_invalid_op 0
		.amdhsa_exception_fp_denorm_src 0
		.amdhsa_exception_fp_ieee_div_zero 0
		.amdhsa_exception_fp_ieee_overflow 0
		.amdhsa_exception_fp_ieee_underflow 0
		.amdhsa_exception_fp_ieee_inexact 0
		.amdhsa_exception_int_div_zero 0
	.end_amdhsa_kernel
	.section	.text._ZN7rocprim17ROCPRIM_400000_NS6detail17trampoline_kernelINS0_14default_configENS1_35radix_sort_onesweep_config_selectorIhlEEZNS1_34radix_sort_onesweep_global_offsetsIS3_Lb0EPhN6thrust23THRUST_200600_302600_NS10device_ptrIlEEjNS0_19identity_decomposerEEE10hipError_tT1_T2_PT3_SG_jT4_jjP12ihipStream_tbEUlT_E_NS1_11comp_targetILNS1_3genE6ELNS1_11target_archE950ELNS1_3gpuE13ELNS1_3repE0EEENS1_52radix_sort_onesweep_histogram_config_static_selectorELNS0_4arch9wavefront6targetE1EEEvSE_,"axG",@progbits,_ZN7rocprim17ROCPRIM_400000_NS6detail17trampoline_kernelINS0_14default_configENS1_35radix_sort_onesweep_config_selectorIhlEEZNS1_34radix_sort_onesweep_global_offsetsIS3_Lb0EPhN6thrust23THRUST_200600_302600_NS10device_ptrIlEEjNS0_19identity_decomposerEEE10hipError_tT1_T2_PT3_SG_jT4_jjP12ihipStream_tbEUlT_E_NS1_11comp_targetILNS1_3genE6ELNS1_11target_archE950ELNS1_3gpuE13ELNS1_3repE0EEENS1_52radix_sort_onesweep_histogram_config_static_selectorELNS0_4arch9wavefront6targetE1EEEvSE_,comdat
.Lfunc_end238:
	.size	_ZN7rocprim17ROCPRIM_400000_NS6detail17trampoline_kernelINS0_14default_configENS1_35radix_sort_onesweep_config_selectorIhlEEZNS1_34radix_sort_onesweep_global_offsetsIS3_Lb0EPhN6thrust23THRUST_200600_302600_NS10device_ptrIlEEjNS0_19identity_decomposerEEE10hipError_tT1_T2_PT3_SG_jT4_jjP12ihipStream_tbEUlT_E_NS1_11comp_targetILNS1_3genE6ELNS1_11target_archE950ELNS1_3gpuE13ELNS1_3repE0EEENS1_52radix_sort_onesweep_histogram_config_static_selectorELNS0_4arch9wavefront6targetE1EEEvSE_, .Lfunc_end238-_ZN7rocprim17ROCPRIM_400000_NS6detail17trampoline_kernelINS0_14default_configENS1_35radix_sort_onesweep_config_selectorIhlEEZNS1_34radix_sort_onesweep_global_offsetsIS3_Lb0EPhN6thrust23THRUST_200600_302600_NS10device_ptrIlEEjNS0_19identity_decomposerEEE10hipError_tT1_T2_PT3_SG_jT4_jjP12ihipStream_tbEUlT_E_NS1_11comp_targetILNS1_3genE6ELNS1_11target_archE950ELNS1_3gpuE13ELNS1_3repE0EEENS1_52radix_sort_onesweep_histogram_config_static_selectorELNS0_4arch9wavefront6targetE1EEEvSE_
                                        ; -- End function
	.set _ZN7rocprim17ROCPRIM_400000_NS6detail17trampoline_kernelINS0_14default_configENS1_35radix_sort_onesweep_config_selectorIhlEEZNS1_34radix_sort_onesweep_global_offsetsIS3_Lb0EPhN6thrust23THRUST_200600_302600_NS10device_ptrIlEEjNS0_19identity_decomposerEEE10hipError_tT1_T2_PT3_SG_jT4_jjP12ihipStream_tbEUlT_E_NS1_11comp_targetILNS1_3genE6ELNS1_11target_archE950ELNS1_3gpuE13ELNS1_3repE0EEENS1_52radix_sort_onesweep_histogram_config_static_selectorELNS0_4arch9wavefront6targetE1EEEvSE_.num_vgpr, 0
	.set _ZN7rocprim17ROCPRIM_400000_NS6detail17trampoline_kernelINS0_14default_configENS1_35radix_sort_onesweep_config_selectorIhlEEZNS1_34radix_sort_onesweep_global_offsetsIS3_Lb0EPhN6thrust23THRUST_200600_302600_NS10device_ptrIlEEjNS0_19identity_decomposerEEE10hipError_tT1_T2_PT3_SG_jT4_jjP12ihipStream_tbEUlT_E_NS1_11comp_targetILNS1_3genE6ELNS1_11target_archE950ELNS1_3gpuE13ELNS1_3repE0EEENS1_52radix_sort_onesweep_histogram_config_static_selectorELNS0_4arch9wavefront6targetE1EEEvSE_.num_agpr, 0
	.set _ZN7rocprim17ROCPRIM_400000_NS6detail17trampoline_kernelINS0_14default_configENS1_35radix_sort_onesweep_config_selectorIhlEEZNS1_34radix_sort_onesweep_global_offsetsIS3_Lb0EPhN6thrust23THRUST_200600_302600_NS10device_ptrIlEEjNS0_19identity_decomposerEEE10hipError_tT1_T2_PT3_SG_jT4_jjP12ihipStream_tbEUlT_E_NS1_11comp_targetILNS1_3genE6ELNS1_11target_archE950ELNS1_3gpuE13ELNS1_3repE0EEENS1_52radix_sort_onesweep_histogram_config_static_selectorELNS0_4arch9wavefront6targetE1EEEvSE_.numbered_sgpr, 0
	.set _ZN7rocprim17ROCPRIM_400000_NS6detail17trampoline_kernelINS0_14default_configENS1_35radix_sort_onesweep_config_selectorIhlEEZNS1_34radix_sort_onesweep_global_offsetsIS3_Lb0EPhN6thrust23THRUST_200600_302600_NS10device_ptrIlEEjNS0_19identity_decomposerEEE10hipError_tT1_T2_PT3_SG_jT4_jjP12ihipStream_tbEUlT_E_NS1_11comp_targetILNS1_3genE6ELNS1_11target_archE950ELNS1_3gpuE13ELNS1_3repE0EEENS1_52radix_sort_onesweep_histogram_config_static_selectorELNS0_4arch9wavefront6targetE1EEEvSE_.num_named_barrier, 0
	.set _ZN7rocprim17ROCPRIM_400000_NS6detail17trampoline_kernelINS0_14default_configENS1_35radix_sort_onesweep_config_selectorIhlEEZNS1_34radix_sort_onesweep_global_offsetsIS3_Lb0EPhN6thrust23THRUST_200600_302600_NS10device_ptrIlEEjNS0_19identity_decomposerEEE10hipError_tT1_T2_PT3_SG_jT4_jjP12ihipStream_tbEUlT_E_NS1_11comp_targetILNS1_3genE6ELNS1_11target_archE950ELNS1_3gpuE13ELNS1_3repE0EEENS1_52radix_sort_onesweep_histogram_config_static_selectorELNS0_4arch9wavefront6targetE1EEEvSE_.private_seg_size, 0
	.set _ZN7rocprim17ROCPRIM_400000_NS6detail17trampoline_kernelINS0_14default_configENS1_35radix_sort_onesweep_config_selectorIhlEEZNS1_34radix_sort_onesweep_global_offsetsIS3_Lb0EPhN6thrust23THRUST_200600_302600_NS10device_ptrIlEEjNS0_19identity_decomposerEEE10hipError_tT1_T2_PT3_SG_jT4_jjP12ihipStream_tbEUlT_E_NS1_11comp_targetILNS1_3genE6ELNS1_11target_archE950ELNS1_3gpuE13ELNS1_3repE0EEENS1_52radix_sort_onesweep_histogram_config_static_selectorELNS0_4arch9wavefront6targetE1EEEvSE_.uses_vcc, 0
	.set _ZN7rocprim17ROCPRIM_400000_NS6detail17trampoline_kernelINS0_14default_configENS1_35radix_sort_onesweep_config_selectorIhlEEZNS1_34radix_sort_onesweep_global_offsetsIS3_Lb0EPhN6thrust23THRUST_200600_302600_NS10device_ptrIlEEjNS0_19identity_decomposerEEE10hipError_tT1_T2_PT3_SG_jT4_jjP12ihipStream_tbEUlT_E_NS1_11comp_targetILNS1_3genE6ELNS1_11target_archE950ELNS1_3gpuE13ELNS1_3repE0EEENS1_52radix_sort_onesweep_histogram_config_static_selectorELNS0_4arch9wavefront6targetE1EEEvSE_.uses_flat_scratch, 0
	.set _ZN7rocprim17ROCPRIM_400000_NS6detail17trampoline_kernelINS0_14default_configENS1_35radix_sort_onesweep_config_selectorIhlEEZNS1_34radix_sort_onesweep_global_offsetsIS3_Lb0EPhN6thrust23THRUST_200600_302600_NS10device_ptrIlEEjNS0_19identity_decomposerEEE10hipError_tT1_T2_PT3_SG_jT4_jjP12ihipStream_tbEUlT_E_NS1_11comp_targetILNS1_3genE6ELNS1_11target_archE950ELNS1_3gpuE13ELNS1_3repE0EEENS1_52radix_sort_onesweep_histogram_config_static_selectorELNS0_4arch9wavefront6targetE1EEEvSE_.has_dyn_sized_stack, 0
	.set _ZN7rocprim17ROCPRIM_400000_NS6detail17trampoline_kernelINS0_14default_configENS1_35radix_sort_onesweep_config_selectorIhlEEZNS1_34radix_sort_onesweep_global_offsetsIS3_Lb0EPhN6thrust23THRUST_200600_302600_NS10device_ptrIlEEjNS0_19identity_decomposerEEE10hipError_tT1_T2_PT3_SG_jT4_jjP12ihipStream_tbEUlT_E_NS1_11comp_targetILNS1_3genE6ELNS1_11target_archE950ELNS1_3gpuE13ELNS1_3repE0EEENS1_52radix_sort_onesweep_histogram_config_static_selectorELNS0_4arch9wavefront6targetE1EEEvSE_.has_recursion, 0
	.set _ZN7rocprim17ROCPRIM_400000_NS6detail17trampoline_kernelINS0_14default_configENS1_35radix_sort_onesweep_config_selectorIhlEEZNS1_34radix_sort_onesweep_global_offsetsIS3_Lb0EPhN6thrust23THRUST_200600_302600_NS10device_ptrIlEEjNS0_19identity_decomposerEEE10hipError_tT1_T2_PT3_SG_jT4_jjP12ihipStream_tbEUlT_E_NS1_11comp_targetILNS1_3genE6ELNS1_11target_archE950ELNS1_3gpuE13ELNS1_3repE0EEENS1_52radix_sort_onesweep_histogram_config_static_selectorELNS0_4arch9wavefront6targetE1EEEvSE_.has_indirect_call, 0
	.section	.AMDGPU.csdata,"",@progbits
; Kernel info:
; codeLenInByte = 0
; TotalNumSgprs: 4
; NumVgprs: 0
; ScratchSize: 0
; MemoryBound: 0
; FloatMode: 240
; IeeeMode: 1
; LDSByteSize: 0 bytes/workgroup (compile time only)
; SGPRBlocks: 0
; VGPRBlocks: 0
; NumSGPRsForWavesPerEU: 4
; NumVGPRsForWavesPerEU: 1
; Occupancy: 10
; WaveLimiterHint : 0
; COMPUTE_PGM_RSRC2:SCRATCH_EN: 0
; COMPUTE_PGM_RSRC2:USER_SGPR: 6
; COMPUTE_PGM_RSRC2:TRAP_HANDLER: 0
; COMPUTE_PGM_RSRC2:TGID_X_EN: 1
; COMPUTE_PGM_RSRC2:TGID_Y_EN: 0
; COMPUTE_PGM_RSRC2:TGID_Z_EN: 0
; COMPUTE_PGM_RSRC2:TIDIG_COMP_CNT: 0
	.section	.text._ZN7rocprim17ROCPRIM_400000_NS6detail17trampoline_kernelINS0_14default_configENS1_35radix_sort_onesweep_config_selectorIhlEEZNS1_34radix_sort_onesweep_global_offsetsIS3_Lb0EPhN6thrust23THRUST_200600_302600_NS10device_ptrIlEEjNS0_19identity_decomposerEEE10hipError_tT1_T2_PT3_SG_jT4_jjP12ihipStream_tbEUlT_E_NS1_11comp_targetILNS1_3genE5ELNS1_11target_archE942ELNS1_3gpuE9ELNS1_3repE0EEENS1_52radix_sort_onesweep_histogram_config_static_selectorELNS0_4arch9wavefront6targetE1EEEvSE_,"axG",@progbits,_ZN7rocprim17ROCPRIM_400000_NS6detail17trampoline_kernelINS0_14default_configENS1_35radix_sort_onesweep_config_selectorIhlEEZNS1_34radix_sort_onesweep_global_offsetsIS3_Lb0EPhN6thrust23THRUST_200600_302600_NS10device_ptrIlEEjNS0_19identity_decomposerEEE10hipError_tT1_T2_PT3_SG_jT4_jjP12ihipStream_tbEUlT_E_NS1_11comp_targetILNS1_3genE5ELNS1_11target_archE942ELNS1_3gpuE9ELNS1_3repE0EEENS1_52radix_sort_onesweep_histogram_config_static_selectorELNS0_4arch9wavefront6targetE1EEEvSE_,comdat
	.protected	_ZN7rocprim17ROCPRIM_400000_NS6detail17trampoline_kernelINS0_14default_configENS1_35radix_sort_onesweep_config_selectorIhlEEZNS1_34radix_sort_onesweep_global_offsetsIS3_Lb0EPhN6thrust23THRUST_200600_302600_NS10device_ptrIlEEjNS0_19identity_decomposerEEE10hipError_tT1_T2_PT3_SG_jT4_jjP12ihipStream_tbEUlT_E_NS1_11comp_targetILNS1_3genE5ELNS1_11target_archE942ELNS1_3gpuE9ELNS1_3repE0EEENS1_52radix_sort_onesweep_histogram_config_static_selectorELNS0_4arch9wavefront6targetE1EEEvSE_ ; -- Begin function _ZN7rocprim17ROCPRIM_400000_NS6detail17trampoline_kernelINS0_14default_configENS1_35radix_sort_onesweep_config_selectorIhlEEZNS1_34radix_sort_onesweep_global_offsetsIS3_Lb0EPhN6thrust23THRUST_200600_302600_NS10device_ptrIlEEjNS0_19identity_decomposerEEE10hipError_tT1_T2_PT3_SG_jT4_jjP12ihipStream_tbEUlT_E_NS1_11comp_targetILNS1_3genE5ELNS1_11target_archE942ELNS1_3gpuE9ELNS1_3repE0EEENS1_52radix_sort_onesweep_histogram_config_static_selectorELNS0_4arch9wavefront6targetE1EEEvSE_
	.globl	_ZN7rocprim17ROCPRIM_400000_NS6detail17trampoline_kernelINS0_14default_configENS1_35radix_sort_onesweep_config_selectorIhlEEZNS1_34radix_sort_onesweep_global_offsetsIS3_Lb0EPhN6thrust23THRUST_200600_302600_NS10device_ptrIlEEjNS0_19identity_decomposerEEE10hipError_tT1_T2_PT3_SG_jT4_jjP12ihipStream_tbEUlT_E_NS1_11comp_targetILNS1_3genE5ELNS1_11target_archE942ELNS1_3gpuE9ELNS1_3repE0EEENS1_52radix_sort_onesweep_histogram_config_static_selectorELNS0_4arch9wavefront6targetE1EEEvSE_
	.p2align	8
	.type	_ZN7rocprim17ROCPRIM_400000_NS6detail17trampoline_kernelINS0_14default_configENS1_35radix_sort_onesweep_config_selectorIhlEEZNS1_34radix_sort_onesweep_global_offsetsIS3_Lb0EPhN6thrust23THRUST_200600_302600_NS10device_ptrIlEEjNS0_19identity_decomposerEEE10hipError_tT1_T2_PT3_SG_jT4_jjP12ihipStream_tbEUlT_E_NS1_11comp_targetILNS1_3genE5ELNS1_11target_archE942ELNS1_3gpuE9ELNS1_3repE0EEENS1_52radix_sort_onesweep_histogram_config_static_selectorELNS0_4arch9wavefront6targetE1EEEvSE_,@function
_ZN7rocprim17ROCPRIM_400000_NS6detail17trampoline_kernelINS0_14default_configENS1_35radix_sort_onesweep_config_selectorIhlEEZNS1_34radix_sort_onesweep_global_offsetsIS3_Lb0EPhN6thrust23THRUST_200600_302600_NS10device_ptrIlEEjNS0_19identity_decomposerEEE10hipError_tT1_T2_PT3_SG_jT4_jjP12ihipStream_tbEUlT_E_NS1_11comp_targetILNS1_3genE5ELNS1_11target_archE942ELNS1_3gpuE9ELNS1_3repE0EEENS1_52radix_sort_onesweep_histogram_config_static_selectorELNS0_4arch9wavefront6targetE1EEEvSE_: ; @_ZN7rocprim17ROCPRIM_400000_NS6detail17trampoline_kernelINS0_14default_configENS1_35radix_sort_onesweep_config_selectorIhlEEZNS1_34radix_sort_onesweep_global_offsetsIS3_Lb0EPhN6thrust23THRUST_200600_302600_NS10device_ptrIlEEjNS0_19identity_decomposerEEE10hipError_tT1_T2_PT3_SG_jT4_jjP12ihipStream_tbEUlT_E_NS1_11comp_targetILNS1_3genE5ELNS1_11target_archE942ELNS1_3gpuE9ELNS1_3repE0EEENS1_52radix_sort_onesweep_histogram_config_static_selectorELNS0_4arch9wavefront6targetE1EEEvSE_
; %bb.0:
	.section	.rodata,"a",@progbits
	.p2align	6, 0x0
	.amdhsa_kernel _ZN7rocprim17ROCPRIM_400000_NS6detail17trampoline_kernelINS0_14default_configENS1_35radix_sort_onesweep_config_selectorIhlEEZNS1_34radix_sort_onesweep_global_offsetsIS3_Lb0EPhN6thrust23THRUST_200600_302600_NS10device_ptrIlEEjNS0_19identity_decomposerEEE10hipError_tT1_T2_PT3_SG_jT4_jjP12ihipStream_tbEUlT_E_NS1_11comp_targetILNS1_3genE5ELNS1_11target_archE942ELNS1_3gpuE9ELNS1_3repE0EEENS1_52radix_sort_onesweep_histogram_config_static_selectorELNS0_4arch9wavefront6targetE1EEEvSE_
		.amdhsa_group_segment_fixed_size 0
		.amdhsa_private_segment_fixed_size 0
		.amdhsa_kernarg_size 40
		.amdhsa_user_sgpr_count 6
		.amdhsa_user_sgpr_private_segment_buffer 1
		.amdhsa_user_sgpr_dispatch_ptr 0
		.amdhsa_user_sgpr_queue_ptr 0
		.amdhsa_user_sgpr_kernarg_segment_ptr 1
		.amdhsa_user_sgpr_dispatch_id 0
		.amdhsa_user_sgpr_flat_scratch_init 0
		.amdhsa_user_sgpr_private_segment_size 0
		.amdhsa_uses_dynamic_stack 0
		.amdhsa_system_sgpr_private_segment_wavefront_offset 0
		.amdhsa_system_sgpr_workgroup_id_x 1
		.amdhsa_system_sgpr_workgroup_id_y 0
		.amdhsa_system_sgpr_workgroup_id_z 0
		.amdhsa_system_sgpr_workgroup_info 0
		.amdhsa_system_vgpr_workitem_id 0
		.amdhsa_next_free_vgpr 1
		.amdhsa_next_free_sgpr 0
		.amdhsa_reserve_vcc 0
		.amdhsa_reserve_flat_scratch 0
		.amdhsa_float_round_mode_32 0
		.amdhsa_float_round_mode_16_64 0
		.amdhsa_float_denorm_mode_32 3
		.amdhsa_float_denorm_mode_16_64 3
		.amdhsa_dx10_clamp 1
		.amdhsa_ieee_mode 1
		.amdhsa_fp16_overflow 0
		.amdhsa_exception_fp_ieee_invalid_op 0
		.amdhsa_exception_fp_denorm_src 0
		.amdhsa_exception_fp_ieee_div_zero 0
		.amdhsa_exception_fp_ieee_overflow 0
		.amdhsa_exception_fp_ieee_underflow 0
		.amdhsa_exception_fp_ieee_inexact 0
		.amdhsa_exception_int_div_zero 0
	.end_amdhsa_kernel
	.section	.text._ZN7rocprim17ROCPRIM_400000_NS6detail17trampoline_kernelINS0_14default_configENS1_35radix_sort_onesweep_config_selectorIhlEEZNS1_34radix_sort_onesweep_global_offsetsIS3_Lb0EPhN6thrust23THRUST_200600_302600_NS10device_ptrIlEEjNS0_19identity_decomposerEEE10hipError_tT1_T2_PT3_SG_jT4_jjP12ihipStream_tbEUlT_E_NS1_11comp_targetILNS1_3genE5ELNS1_11target_archE942ELNS1_3gpuE9ELNS1_3repE0EEENS1_52radix_sort_onesweep_histogram_config_static_selectorELNS0_4arch9wavefront6targetE1EEEvSE_,"axG",@progbits,_ZN7rocprim17ROCPRIM_400000_NS6detail17trampoline_kernelINS0_14default_configENS1_35radix_sort_onesweep_config_selectorIhlEEZNS1_34radix_sort_onesweep_global_offsetsIS3_Lb0EPhN6thrust23THRUST_200600_302600_NS10device_ptrIlEEjNS0_19identity_decomposerEEE10hipError_tT1_T2_PT3_SG_jT4_jjP12ihipStream_tbEUlT_E_NS1_11comp_targetILNS1_3genE5ELNS1_11target_archE942ELNS1_3gpuE9ELNS1_3repE0EEENS1_52radix_sort_onesweep_histogram_config_static_selectorELNS0_4arch9wavefront6targetE1EEEvSE_,comdat
.Lfunc_end239:
	.size	_ZN7rocprim17ROCPRIM_400000_NS6detail17trampoline_kernelINS0_14default_configENS1_35radix_sort_onesweep_config_selectorIhlEEZNS1_34radix_sort_onesweep_global_offsetsIS3_Lb0EPhN6thrust23THRUST_200600_302600_NS10device_ptrIlEEjNS0_19identity_decomposerEEE10hipError_tT1_T2_PT3_SG_jT4_jjP12ihipStream_tbEUlT_E_NS1_11comp_targetILNS1_3genE5ELNS1_11target_archE942ELNS1_3gpuE9ELNS1_3repE0EEENS1_52radix_sort_onesweep_histogram_config_static_selectorELNS0_4arch9wavefront6targetE1EEEvSE_, .Lfunc_end239-_ZN7rocprim17ROCPRIM_400000_NS6detail17trampoline_kernelINS0_14default_configENS1_35radix_sort_onesweep_config_selectorIhlEEZNS1_34radix_sort_onesweep_global_offsetsIS3_Lb0EPhN6thrust23THRUST_200600_302600_NS10device_ptrIlEEjNS0_19identity_decomposerEEE10hipError_tT1_T2_PT3_SG_jT4_jjP12ihipStream_tbEUlT_E_NS1_11comp_targetILNS1_3genE5ELNS1_11target_archE942ELNS1_3gpuE9ELNS1_3repE0EEENS1_52radix_sort_onesweep_histogram_config_static_selectorELNS0_4arch9wavefront6targetE1EEEvSE_
                                        ; -- End function
	.set _ZN7rocprim17ROCPRIM_400000_NS6detail17trampoline_kernelINS0_14default_configENS1_35radix_sort_onesweep_config_selectorIhlEEZNS1_34radix_sort_onesweep_global_offsetsIS3_Lb0EPhN6thrust23THRUST_200600_302600_NS10device_ptrIlEEjNS0_19identity_decomposerEEE10hipError_tT1_T2_PT3_SG_jT4_jjP12ihipStream_tbEUlT_E_NS1_11comp_targetILNS1_3genE5ELNS1_11target_archE942ELNS1_3gpuE9ELNS1_3repE0EEENS1_52radix_sort_onesweep_histogram_config_static_selectorELNS0_4arch9wavefront6targetE1EEEvSE_.num_vgpr, 0
	.set _ZN7rocprim17ROCPRIM_400000_NS6detail17trampoline_kernelINS0_14default_configENS1_35radix_sort_onesweep_config_selectorIhlEEZNS1_34radix_sort_onesweep_global_offsetsIS3_Lb0EPhN6thrust23THRUST_200600_302600_NS10device_ptrIlEEjNS0_19identity_decomposerEEE10hipError_tT1_T2_PT3_SG_jT4_jjP12ihipStream_tbEUlT_E_NS1_11comp_targetILNS1_3genE5ELNS1_11target_archE942ELNS1_3gpuE9ELNS1_3repE0EEENS1_52radix_sort_onesweep_histogram_config_static_selectorELNS0_4arch9wavefront6targetE1EEEvSE_.num_agpr, 0
	.set _ZN7rocprim17ROCPRIM_400000_NS6detail17trampoline_kernelINS0_14default_configENS1_35radix_sort_onesweep_config_selectorIhlEEZNS1_34radix_sort_onesweep_global_offsetsIS3_Lb0EPhN6thrust23THRUST_200600_302600_NS10device_ptrIlEEjNS0_19identity_decomposerEEE10hipError_tT1_T2_PT3_SG_jT4_jjP12ihipStream_tbEUlT_E_NS1_11comp_targetILNS1_3genE5ELNS1_11target_archE942ELNS1_3gpuE9ELNS1_3repE0EEENS1_52radix_sort_onesweep_histogram_config_static_selectorELNS0_4arch9wavefront6targetE1EEEvSE_.numbered_sgpr, 0
	.set _ZN7rocprim17ROCPRIM_400000_NS6detail17trampoline_kernelINS0_14default_configENS1_35radix_sort_onesweep_config_selectorIhlEEZNS1_34radix_sort_onesweep_global_offsetsIS3_Lb0EPhN6thrust23THRUST_200600_302600_NS10device_ptrIlEEjNS0_19identity_decomposerEEE10hipError_tT1_T2_PT3_SG_jT4_jjP12ihipStream_tbEUlT_E_NS1_11comp_targetILNS1_3genE5ELNS1_11target_archE942ELNS1_3gpuE9ELNS1_3repE0EEENS1_52radix_sort_onesweep_histogram_config_static_selectorELNS0_4arch9wavefront6targetE1EEEvSE_.num_named_barrier, 0
	.set _ZN7rocprim17ROCPRIM_400000_NS6detail17trampoline_kernelINS0_14default_configENS1_35radix_sort_onesweep_config_selectorIhlEEZNS1_34radix_sort_onesweep_global_offsetsIS3_Lb0EPhN6thrust23THRUST_200600_302600_NS10device_ptrIlEEjNS0_19identity_decomposerEEE10hipError_tT1_T2_PT3_SG_jT4_jjP12ihipStream_tbEUlT_E_NS1_11comp_targetILNS1_3genE5ELNS1_11target_archE942ELNS1_3gpuE9ELNS1_3repE0EEENS1_52radix_sort_onesweep_histogram_config_static_selectorELNS0_4arch9wavefront6targetE1EEEvSE_.private_seg_size, 0
	.set _ZN7rocprim17ROCPRIM_400000_NS6detail17trampoline_kernelINS0_14default_configENS1_35radix_sort_onesweep_config_selectorIhlEEZNS1_34radix_sort_onesweep_global_offsetsIS3_Lb0EPhN6thrust23THRUST_200600_302600_NS10device_ptrIlEEjNS0_19identity_decomposerEEE10hipError_tT1_T2_PT3_SG_jT4_jjP12ihipStream_tbEUlT_E_NS1_11comp_targetILNS1_3genE5ELNS1_11target_archE942ELNS1_3gpuE9ELNS1_3repE0EEENS1_52radix_sort_onesweep_histogram_config_static_selectorELNS0_4arch9wavefront6targetE1EEEvSE_.uses_vcc, 0
	.set _ZN7rocprim17ROCPRIM_400000_NS6detail17trampoline_kernelINS0_14default_configENS1_35radix_sort_onesweep_config_selectorIhlEEZNS1_34radix_sort_onesweep_global_offsetsIS3_Lb0EPhN6thrust23THRUST_200600_302600_NS10device_ptrIlEEjNS0_19identity_decomposerEEE10hipError_tT1_T2_PT3_SG_jT4_jjP12ihipStream_tbEUlT_E_NS1_11comp_targetILNS1_3genE5ELNS1_11target_archE942ELNS1_3gpuE9ELNS1_3repE0EEENS1_52radix_sort_onesweep_histogram_config_static_selectorELNS0_4arch9wavefront6targetE1EEEvSE_.uses_flat_scratch, 0
	.set _ZN7rocprim17ROCPRIM_400000_NS6detail17trampoline_kernelINS0_14default_configENS1_35radix_sort_onesweep_config_selectorIhlEEZNS1_34radix_sort_onesweep_global_offsetsIS3_Lb0EPhN6thrust23THRUST_200600_302600_NS10device_ptrIlEEjNS0_19identity_decomposerEEE10hipError_tT1_T2_PT3_SG_jT4_jjP12ihipStream_tbEUlT_E_NS1_11comp_targetILNS1_3genE5ELNS1_11target_archE942ELNS1_3gpuE9ELNS1_3repE0EEENS1_52radix_sort_onesweep_histogram_config_static_selectorELNS0_4arch9wavefront6targetE1EEEvSE_.has_dyn_sized_stack, 0
	.set _ZN7rocprim17ROCPRIM_400000_NS6detail17trampoline_kernelINS0_14default_configENS1_35radix_sort_onesweep_config_selectorIhlEEZNS1_34radix_sort_onesweep_global_offsetsIS3_Lb0EPhN6thrust23THRUST_200600_302600_NS10device_ptrIlEEjNS0_19identity_decomposerEEE10hipError_tT1_T2_PT3_SG_jT4_jjP12ihipStream_tbEUlT_E_NS1_11comp_targetILNS1_3genE5ELNS1_11target_archE942ELNS1_3gpuE9ELNS1_3repE0EEENS1_52radix_sort_onesweep_histogram_config_static_selectorELNS0_4arch9wavefront6targetE1EEEvSE_.has_recursion, 0
	.set _ZN7rocprim17ROCPRIM_400000_NS6detail17trampoline_kernelINS0_14default_configENS1_35radix_sort_onesweep_config_selectorIhlEEZNS1_34radix_sort_onesweep_global_offsetsIS3_Lb0EPhN6thrust23THRUST_200600_302600_NS10device_ptrIlEEjNS0_19identity_decomposerEEE10hipError_tT1_T2_PT3_SG_jT4_jjP12ihipStream_tbEUlT_E_NS1_11comp_targetILNS1_3genE5ELNS1_11target_archE942ELNS1_3gpuE9ELNS1_3repE0EEENS1_52radix_sort_onesweep_histogram_config_static_selectorELNS0_4arch9wavefront6targetE1EEEvSE_.has_indirect_call, 0
	.section	.AMDGPU.csdata,"",@progbits
; Kernel info:
; codeLenInByte = 0
; TotalNumSgprs: 4
; NumVgprs: 0
; ScratchSize: 0
; MemoryBound: 0
; FloatMode: 240
; IeeeMode: 1
; LDSByteSize: 0 bytes/workgroup (compile time only)
; SGPRBlocks: 0
; VGPRBlocks: 0
; NumSGPRsForWavesPerEU: 4
; NumVGPRsForWavesPerEU: 1
; Occupancy: 10
; WaveLimiterHint : 0
; COMPUTE_PGM_RSRC2:SCRATCH_EN: 0
; COMPUTE_PGM_RSRC2:USER_SGPR: 6
; COMPUTE_PGM_RSRC2:TRAP_HANDLER: 0
; COMPUTE_PGM_RSRC2:TGID_X_EN: 1
; COMPUTE_PGM_RSRC2:TGID_Y_EN: 0
; COMPUTE_PGM_RSRC2:TGID_Z_EN: 0
; COMPUTE_PGM_RSRC2:TIDIG_COMP_CNT: 0
	.section	.text._ZN7rocprim17ROCPRIM_400000_NS6detail17trampoline_kernelINS0_14default_configENS1_35radix_sort_onesweep_config_selectorIhlEEZNS1_34radix_sort_onesweep_global_offsetsIS3_Lb0EPhN6thrust23THRUST_200600_302600_NS10device_ptrIlEEjNS0_19identity_decomposerEEE10hipError_tT1_T2_PT3_SG_jT4_jjP12ihipStream_tbEUlT_E_NS1_11comp_targetILNS1_3genE2ELNS1_11target_archE906ELNS1_3gpuE6ELNS1_3repE0EEENS1_52radix_sort_onesweep_histogram_config_static_selectorELNS0_4arch9wavefront6targetE1EEEvSE_,"axG",@progbits,_ZN7rocprim17ROCPRIM_400000_NS6detail17trampoline_kernelINS0_14default_configENS1_35radix_sort_onesweep_config_selectorIhlEEZNS1_34radix_sort_onesweep_global_offsetsIS3_Lb0EPhN6thrust23THRUST_200600_302600_NS10device_ptrIlEEjNS0_19identity_decomposerEEE10hipError_tT1_T2_PT3_SG_jT4_jjP12ihipStream_tbEUlT_E_NS1_11comp_targetILNS1_3genE2ELNS1_11target_archE906ELNS1_3gpuE6ELNS1_3repE0EEENS1_52radix_sort_onesweep_histogram_config_static_selectorELNS0_4arch9wavefront6targetE1EEEvSE_,comdat
	.protected	_ZN7rocprim17ROCPRIM_400000_NS6detail17trampoline_kernelINS0_14default_configENS1_35radix_sort_onesweep_config_selectorIhlEEZNS1_34radix_sort_onesweep_global_offsetsIS3_Lb0EPhN6thrust23THRUST_200600_302600_NS10device_ptrIlEEjNS0_19identity_decomposerEEE10hipError_tT1_T2_PT3_SG_jT4_jjP12ihipStream_tbEUlT_E_NS1_11comp_targetILNS1_3genE2ELNS1_11target_archE906ELNS1_3gpuE6ELNS1_3repE0EEENS1_52radix_sort_onesweep_histogram_config_static_selectorELNS0_4arch9wavefront6targetE1EEEvSE_ ; -- Begin function _ZN7rocprim17ROCPRIM_400000_NS6detail17trampoline_kernelINS0_14default_configENS1_35radix_sort_onesweep_config_selectorIhlEEZNS1_34radix_sort_onesweep_global_offsetsIS3_Lb0EPhN6thrust23THRUST_200600_302600_NS10device_ptrIlEEjNS0_19identity_decomposerEEE10hipError_tT1_T2_PT3_SG_jT4_jjP12ihipStream_tbEUlT_E_NS1_11comp_targetILNS1_3genE2ELNS1_11target_archE906ELNS1_3gpuE6ELNS1_3repE0EEENS1_52radix_sort_onesweep_histogram_config_static_selectorELNS0_4arch9wavefront6targetE1EEEvSE_
	.globl	_ZN7rocprim17ROCPRIM_400000_NS6detail17trampoline_kernelINS0_14default_configENS1_35radix_sort_onesweep_config_selectorIhlEEZNS1_34radix_sort_onesweep_global_offsetsIS3_Lb0EPhN6thrust23THRUST_200600_302600_NS10device_ptrIlEEjNS0_19identity_decomposerEEE10hipError_tT1_T2_PT3_SG_jT4_jjP12ihipStream_tbEUlT_E_NS1_11comp_targetILNS1_3genE2ELNS1_11target_archE906ELNS1_3gpuE6ELNS1_3repE0EEENS1_52radix_sort_onesweep_histogram_config_static_selectorELNS0_4arch9wavefront6targetE1EEEvSE_
	.p2align	8
	.type	_ZN7rocprim17ROCPRIM_400000_NS6detail17trampoline_kernelINS0_14default_configENS1_35radix_sort_onesweep_config_selectorIhlEEZNS1_34radix_sort_onesweep_global_offsetsIS3_Lb0EPhN6thrust23THRUST_200600_302600_NS10device_ptrIlEEjNS0_19identity_decomposerEEE10hipError_tT1_T2_PT3_SG_jT4_jjP12ihipStream_tbEUlT_E_NS1_11comp_targetILNS1_3genE2ELNS1_11target_archE906ELNS1_3gpuE6ELNS1_3repE0EEENS1_52radix_sort_onesweep_histogram_config_static_selectorELNS0_4arch9wavefront6targetE1EEEvSE_,@function
_ZN7rocprim17ROCPRIM_400000_NS6detail17trampoline_kernelINS0_14default_configENS1_35radix_sort_onesweep_config_selectorIhlEEZNS1_34radix_sort_onesweep_global_offsetsIS3_Lb0EPhN6thrust23THRUST_200600_302600_NS10device_ptrIlEEjNS0_19identity_decomposerEEE10hipError_tT1_T2_PT3_SG_jT4_jjP12ihipStream_tbEUlT_E_NS1_11comp_targetILNS1_3genE2ELNS1_11target_archE906ELNS1_3gpuE6ELNS1_3repE0EEENS1_52radix_sort_onesweep_histogram_config_static_selectorELNS0_4arch9wavefront6targetE1EEEvSE_: ; @_ZN7rocprim17ROCPRIM_400000_NS6detail17trampoline_kernelINS0_14default_configENS1_35radix_sort_onesweep_config_selectorIhlEEZNS1_34radix_sort_onesweep_global_offsetsIS3_Lb0EPhN6thrust23THRUST_200600_302600_NS10device_ptrIlEEjNS0_19identity_decomposerEEE10hipError_tT1_T2_PT3_SG_jT4_jjP12ihipStream_tbEUlT_E_NS1_11comp_targetILNS1_3genE2ELNS1_11target_archE906ELNS1_3gpuE6ELNS1_3repE0EEENS1_52radix_sort_onesweep_histogram_config_static_selectorELNS0_4arch9wavefront6targetE1EEEvSE_
; %bb.0:
	s_load_dword s12, s[4:5], 0x14
	s_load_dwordx4 s[8:11], s[4:5], 0x0
	s_load_dwordx2 s[2:3], s[4:5], 0x1c
	s_mul_i32 s7, s6, 0xc00
	s_mov_b64 s[0:1], -1
	s_waitcnt lgkmcnt(0)
	s_cmp_ge_u32 s6, s12
	s_cbranch_scc0 .LBB240_33
; %bb.1:
	s_load_dword s6, s[4:5], 0x10
	s_mulk_i32 s12, 0xf400
	v_mov_b32_e32 v1, 0
	v_mov_b32_e32 v6, 0
	s_waitcnt lgkmcnt(0)
	s_add_i32 s6, s6, s12
	s_add_u32 s0, s8, s7
	v_cmp_gt_u32_e32 vcc, s6, v0
	s_addc_u32 s1, s9, 0
	s_and_saveexec_b64 s[4:5], vcc
	s_cbranch_execz .LBB240_3
; %bb.2:
	global_load_ubyte v6, v0, s[0:1]
.LBB240_3:
	s_or_b64 exec, exec, s[4:5]
	v_or_b32_e32 v11, 0x200, v0
	v_cmp_gt_u32_e32 vcc, s6, v11
	s_and_saveexec_b64 s[4:5], vcc
	s_cbranch_execz .LBB240_5
; %bb.4:
	global_load_ubyte v1, v0, s[0:1] offset:512
.LBB240_5:
	s_or_b64 exec, exec, s[4:5]
	v_or_b32_e32 v9, 0x400, v0
	v_cmp_gt_u32_e32 vcc, s6, v9
	v_mov_b32_e32 v3, 0
	v_mov_b32_e32 v5, 0
	s_and_saveexec_b64 s[4:5], vcc
	s_cbranch_execz .LBB240_7
; %bb.6:
	global_load_ubyte v5, v0, s[0:1] offset:1024
.LBB240_7:
	s_or_b64 exec, exec, s[4:5]
	v_or_b32_e32 v10, 0x600, v0
	v_cmp_gt_u32_e32 vcc, s6, v10
	s_and_saveexec_b64 s[4:5], vcc
	s_cbranch_execz .LBB240_9
; %bb.8:
	global_load_ubyte v3, v0, s[0:1] offset:1536
.LBB240_9:
	s_or_b64 exec, exec, s[4:5]
	v_or_b32_e32 v7, 0x800, v0
	v_cmp_gt_u32_e32 vcc, s6, v7
	v_mov_b32_e32 v2, 0
	v_mov_b32_e32 v4, 0
	s_and_saveexec_b64 s[4:5], vcc
	s_cbranch_execz .LBB240_11
; %bb.10:
	global_load_ubyte v4, v0, s[0:1] offset:2048
.LBB240_11:
	s_or_b64 exec, exec, s[4:5]
	v_or_b32_e32 v8, 0xa00, v0
	v_cmp_gt_u32_e32 vcc, s6, v8
	s_and_saveexec_b64 s[4:5], vcc
	s_cbranch_execz .LBB240_13
; %bb.12:
	global_load_ubyte v2, v0, s[0:1] offset:2560
.LBB240_13:
	s_or_b64 exec, exec, s[4:5]
	v_or_b32_e32 v12, 0xfffffe00, v0
	v_lshlrev_b32_e32 v13, 2, v0
	s_mov_b64 s[0:1], 0
	v_mov_b32_e32 v14, 0
.LBB240_14:                             ; =>This Inner Loop Header: Depth=1
	v_add_co_u32_e32 v12, vcc, 0x200, v12
	s_xor_b64 s[4:5], vcc, -1
	s_and_b64 s[4:5], exec, s[4:5]
	ds_write_b32 v13, v14
	s_or_b64 s[0:1], s[4:5], s[0:1]
	v_add_u32_e32 v13, 0x800, v13
	s_andn2_b64 exec, exec, s[0:1]
	s_cbranch_execnz .LBB240_14
; %bb.15:
	s_or_b64 exec, exec, s[0:1]
	s_cmp_le_u32 s3, s2
	s_cselect_b64 s[0:1], -1, 0
	s_cmp_gt_u32 s3, s2
	s_cselect_b64 s[4:5], -1, 0
	s_sub_i32 s12, s3, s2
	s_min_u32 s12, s12, 8
	v_and_b32_e32 v12, 3, v0
	s_lshl_b32 s12, -1, s12
	v_cmp_gt_u32_e32 vcc, s6, v0
	v_lshlrev_b32_e32 v12, 2, v12
	s_not_b32 s12, s12
	s_and_b64 s[14:15], s[4:5], vcc
	s_waitcnt vmcnt(0) lgkmcnt(0)
	s_barrier
	s_and_saveexec_b64 s[4:5], s[14:15]
; %bb.16:
	v_lshrrev_b32_e32 v6, s2, v6
	v_and_b32_e32 v6, s12, v6
	v_lshl_or_b32 v6, v6, 4, v12
	v_mov_b32_e32 v13, 1
	ds_add_u32 v6, v13
; %bb.17:
	s_or_b64 exec, exec, s[4:5]
	v_cmp_gt_u32_e32 vcc, s6, v11
	s_xor_b64 s[0:1], s[0:1], -1
	s_and_b64 s[14:15], s[0:1], vcc
	s_and_saveexec_b64 s[4:5], s[14:15]
; %bb.18:
	v_lshrrev_b32_e32 v1, s2, v1
	v_and_b32_e32 v1, s12, v1
	v_lshl_or_b32 v1, v1, 4, v12
	v_mov_b32_e32 v6, 1
	ds_add_u32 v1, v6
; %bb.19:
	s_or_b64 exec, exec, s[4:5]
	v_cmp_gt_u32_e32 vcc, s6, v9
	s_and_b64 s[14:15], s[0:1], vcc
	s_and_saveexec_b64 s[4:5], s[14:15]
; %bb.20:
	v_lshrrev_b32_e32 v1, s2, v5
	v_and_b32_e32 v1, s12, v1
	v_lshl_or_b32 v1, v1, 4, v12
	v_mov_b32_e32 v5, 1
	ds_add_u32 v1, v5
; %bb.21:
	s_or_b64 exec, exec, s[4:5]
	v_cmp_gt_u32_e32 vcc, s6, v10
	;; [unrolled: 11-line block ×4, first 2 shown]
	s_and_b64 s[4:5], s[0:1], vcc
	s_and_saveexec_b64 s[0:1], s[4:5]
; %bb.26:
	v_lshrrev_b32_e32 v1, s2, v2
	v_and_b32_e32 v1, s12, v1
	v_lshl_or_b32 v1, v1, 4, v12
	v_mov_b32_e32 v2, 1
	ds_add_u32 v1, v2
; %bb.27:
	s_or_b64 exec, exec, s[0:1]
	s_cmp_gt_u32 s3, s2
	s_waitcnt lgkmcnt(0)
	s_barrier
	s_cbranch_scc0 .LBB240_32
; %bb.28:
	s_movk_i32 s0, 0x100
	v_cmp_gt_u32_e32 vcc, s0, v0
	v_lshlrev_b32_e32 v3, 4, v0
	v_mov_b32_e32 v2, 0
	v_mov_b32_e32 v1, v0
	s_mov_b32 s6, s2
	s_branch .LBB240_30
.LBB240_29:                             ;   in Loop: Header=BB240_30 Depth=1
	s_or_b64 exec, exec, s[4:5]
	s_add_i32 s6, s6, 8
	v_add_u32_e32 v1, 0x100, v1
	s_cmp_lt_u32 s6, s3
	v_add_u32_e32 v3, 0x1000, v3
	s_cbranch_scc0 .LBB240_32
.LBB240_30:                             ; =>This Inner Loop Header: Depth=1
	s_and_saveexec_b64 s[4:5], vcc
	s_cbranch_execz .LBB240_29
; %bb.31:                               ;   in Loop: Header=BB240_30 Depth=1
	ds_read2_b32 v[4:5], v3 offset1:1
	ds_read2_b32 v[6:7], v3 offset0:2 offset1:3
	v_lshlrev_b64 v[8:9], 2, v[1:2]
	v_mov_b32_e32 v10, s11
	s_waitcnt lgkmcnt(1)
	v_add_u32_e32 v4, v5, v4
	s_waitcnt lgkmcnt(0)
	v_add3_u32 v6, v4, v6, v7
	v_add_co_u32_e64 v4, s[0:1], s10, v8
	v_addc_co_u32_e64 v5, s[0:1], v10, v9, s[0:1]
	global_atomic_add v[4:5], v6, off
	s_branch .LBB240_29
.LBB240_32:
	s_mov_b64 s[0:1], 0
.LBB240_33:
	s_and_b64 vcc, exec, s[0:1]
	s_cbranch_vccz .LBB240_50
; %bb.34:
	s_cmp_eq_u32 s2, 0
	s_cselect_b64 s[0:1], -1, 0
	s_cmp_eq_u32 s3, 8
	s_cselect_b64 s[4:5], -1, 0
	s_and_b64 s[4:5], s[0:1], s[4:5]
	s_add_u32 s0, s8, s7
	s_addc_u32 s1, s9, 0
	global_load_ubyte v3, v0, s[0:1]
	global_load_ubyte v4, v0, s[0:1] offset:512
	global_load_ubyte v5, v0, s[0:1] offset:1024
	;; [unrolled: 1-line block ×5, first 2 shown]
	v_mov_b32_e32 v1, 0
	s_mov_b64 s[0:1], -1
	s_and_b64 vcc, exec, s[4:5]
	v_lshlrev_b32_e32 v9, 2, v0
	s_cbranch_vccnz .LBB240_45
; %bb.35:
	v_or_b32_e32 v2, 0xfffffe00, v0
	v_lshlrev_b32_e32 v10, 2, v0
	s_mov_b64 s[0:1], 0
.LBB240_36:                             ; =>This Inner Loop Header: Depth=1
	v_add_co_u32_e32 v2, vcc, 0x200, v2
	s_xor_b64 s[4:5], vcc, -1
	s_and_b64 s[4:5], exec, s[4:5]
	ds_write_b32 v10, v1
	s_or_b64 s[0:1], s[4:5], s[0:1]
	v_add_u32_e32 v10, 0x800, v10
	s_andn2_b64 exec, exec, s[0:1]
	s_cbranch_execnz .LBB240_36
; %bb.37:
	s_or_b64 exec, exec, s[0:1]
	s_cmp_gt_u32 s3, s2
	s_cselect_b64 s[0:1], -1, 0
	s_cmp_le_u32 s3, s2
	s_waitcnt vmcnt(0) lgkmcnt(0)
	s_barrier
	s_cbranch_scc1 .LBB240_39
; %bb.38:
	s_sub_i32 s4, s3, s2
	s_min_u32 s4, s4, 8
	s_lshl_b32 s4, -1, s4
	s_not_b32 s4, s4
	v_and_b32_e32 v1, 3, v0
	v_lshrrev_b32_sdwa v2, s2, v3 dst_sel:DWORD dst_unused:UNUSED_PAD src0_sel:DWORD src1_sel:BYTE_0
	v_lshlrev_b32_e32 v1, 2, v1
	v_and_b32_e32 v2, s4, v2
	v_lshl_or_b32 v2, v2, 4, v1
	v_mov_b32_e32 v10, 1
	ds_add_u32 v2, v10
	v_lshrrev_b32_sdwa v2, s2, v4 dst_sel:DWORD dst_unused:UNUSED_PAD src0_sel:DWORD src1_sel:BYTE_0
	v_and_b32_e32 v2, s4, v2
	v_lshl_or_b32 v2, v2, 4, v1
	ds_add_u32 v2, v10
	v_lshrrev_b32_sdwa v2, s2, v5 dst_sel:DWORD dst_unused:UNUSED_PAD src0_sel:DWORD src1_sel:BYTE_0
	v_and_b32_e32 v2, s4, v2
	v_lshl_or_b32 v2, v2, 4, v1
	ds_add_u32 v2, v10
	v_lshrrev_b32_sdwa v2, s2, v6 dst_sel:DWORD dst_unused:UNUSED_PAD src0_sel:DWORD src1_sel:BYTE_0
	v_and_b32_e32 v2, s4, v2
	v_lshl_or_b32 v2, v2, 4, v1
	ds_add_u32 v2, v10
	v_lshrrev_b32_sdwa v2, s2, v7 dst_sel:DWORD dst_unused:UNUSED_PAD src0_sel:DWORD src1_sel:BYTE_0
	v_and_b32_e32 v2, s4, v2
	v_lshl_or_b32 v2, v2, 4, v1
	ds_add_u32 v2, v10
	v_lshrrev_b32_sdwa v2, s2, v8 dst_sel:DWORD dst_unused:UNUSED_PAD src0_sel:DWORD src1_sel:BYTE_0
	v_and_b32_e32 v2, s4, v2
	v_lshl_or_b32 v1, v2, 4, v1
	ds_add_u32 v1, v10
.LBB240_39:
	s_and_b64 vcc, exec, s[0:1]
	s_waitcnt lgkmcnt(0)
	s_barrier
	s_cbranch_vccz .LBB240_44
; %bb.40:
	s_movk_i32 s0, 0x100
	v_cmp_gt_u32_e32 vcc, s0, v0
	v_lshlrev_b32_e32 v10, 4, v0
	v_mov_b32_e32 v2, 0
	v_mov_b32_e32 v1, v0
	s_branch .LBB240_42
.LBB240_41:                             ;   in Loop: Header=BB240_42 Depth=1
	s_or_b64 exec, exec, s[4:5]
	s_add_i32 s2, s2, 8
	v_add_u32_e32 v1, 0x100, v1
	s_cmp_ge_u32 s2, s3
	v_add_u32_e32 v10, 0x1000, v10
	s_cbranch_scc1 .LBB240_44
.LBB240_42:                             ; =>This Inner Loop Header: Depth=1
	s_and_saveexec_b64 s[4:5], vcc
	s_cbranch_execz .LBB240_41
; %bb.43:                               ;   in Loop: Header=BB240_42 Depth=1
	ds_read2_b32 v[11:12], v10 offset1:1
	ds_read2_b32 v[13:14], v10 offset0:2 offset1:3
	v_lshlrev_b64 v[15:16], 2, v[1:2]
	v_mov_b32_e32 v17, s11
	s_waitcnt lgkmcnt(1)
	v_add_u32_e32 v11, v12, v11
	s_waitcnt lgkmcnt(0)
	v_add3_u32 v13, v11, v13, v14
	v_add_co_u32_e64 v11, s[0:1], s10, v15
	v_addc_co_u32_e64 v12, s[0:1], v17, v16, s[0:1]
	global_atomic_add v[11:12], v13, off
	s_branch .LBB240_41
.LBB240_44:
	s_mov_b64 s[0:1], 0
.LBB240_45:
	s_and_b64 vcc, exec, s[0:1]
	s_cbranch_vccz .LBB240_50
; %bb.46:
	v_or_b32_e32 v1, 0xfffffe00, v0
	s_mov_b64 s[0:1], 0
	v_mov_b32_e32 v2, 0
.LBB240_47:                             ; =>This Inner Loop Header: Depth=1
	v_add_co_u32_e32 v1, vcc, 0x200, v1
	s_xor_b64 s[2:3], vcc, -1
	s_and_b64 s[2:3], exec, s[2:3]
	ds_write_b32 v9, v2
	s_or_b64 s[0:1], s[2:3], s[0:1]
	v_add_u32_e32 v9, 0x800, v9
	s_andn2_b64 exec, exec, s[0:1]
	s_cbranch_execnz .LBB240_47
; %bb.48:
	s_or_b64 exec, exec, s[0:1]
	s_waitcnt vmcnt(5)
	v_and_b32_e32 v1, 0xff, v3
	s_waitcnt vmcnt(3)
	v_and_b32_e32 v3, 0xff, v5
	s_waitcnt vmcnt(1)
	v_and_b32_e32 v5, 0xff, v7
	v_and_b32_e32 v7, 3, v0
	v_lshlrev_b32_e32 v7, 2, v7
	v_and_b32_e32 v2, 0xff, v4
	v_and_b32_e32 v4, 0xff, v6
	s_waitcnt vmcnt(0)
	v_and_b32_e32 v6, 0xff, v8
	v_lshl_or_b32 v1, v1, 4, v7
	v_mov_b32_e32 v8, 1
	s_waitcnt lgkmcnt(0)
	s_barrier
	ds_add_u32 v1, v8
	v_lshl_or_b32 v1, v2, 4, v7
	ds_add_u32 v1, v8
	v_lshl_or_b32 v1, v3, 4, v7
	;; [unrolled: 2-line block ×5, first 2 shown]
	ds_add_u32 v1, v8
	s_movk_i32 s0, 0x100
	v_cmp_gt_u32_e32 vcc, s0, v0
	s_waitcnt lgkmcnt(0)
	s_barrier
	s_and_saveexec_b64 s[0:1], vcc
	s_cbranch_execz .LBB240_50
; %bb.49:
	v_lshlrev_b32_e32 v3, 4, v0
	ds_read2_b32 v[1:2], v3 offset1:1
	ds_read2_b32 v[3:4], v3 offset0:2 offset1:3
	v_lshlrev_b32_e32 v0, 2, v0
	s_waitcnt lgkmcnt(1)
	v_add_u32_e32 v1, v2, v1
	s_waitcnt lgkmcnt(0)
	v_add3_u32 v1, v1, v3, v4
	global_atomic_add v0, v1, s[10:11]
.LBB240_50:
	s_endpgm
	.section	.rodata,"a",@progbits
	.p2align	6, 0x0
	.amdhsa_kernel _ZN7rocprim17ROCPRIM_400000_NS6detail17trampoline_kernelINS0_14default_configENS1_35radix_sort_onesweep_config_selectorIhlEEZNS1_34radix_sort_onesweep_global_offsetsIS3_Lb0EPhN6thrust23THRUST_200600_302600_NS10device_ptrIlEEjNS0_19identity_decomposerEEE10hipError_tT1_T2_PT3_SG_jT4_jjP12ihipStream_tbEUlT_E_NS1_11comp_targetILNS1_3genE2ELNS1_11target_archE906ELNS1_3gpuE6ELNS1_3repE0EEENS1_52radix_sort_onesweep_histogram_config_static_selectorELNS0_4arch9wavefront6targetE1EEEvSE_
		.amdhsa_group_segment_fixed_size 4096
		.amdhsa_private_segment_fixed_size 0
		.amdhsa_kernarg_size 40
		.amdhsa_user_sgpr_count 6
		.amdhsa_user_sgpr_private_segment_buffer 1
		.amdhsa_user_sgpr_dispatch_ptr 0
		.amdhsa_user_sgpr_queue_ptr 0
		.amdhsa_user_sgpr_kernarg_segment_ptr 1
		.amdhsa_user_sgpr_dispatch_id 0
		.amdhsa_user_sgpr_flat_scratch_init 0
		.amdhsa_user_sgpr_private_segment_size 0
		.amdhsa_uses_dynamic_stack 0
		.amdhsa_system_sgpr_private_segment_wavefront_offset 0
		.amdhsa_system_sgpr_workgroup_id_x 1
		.amdhsa_system_sgpr_workgroup_id_y 0
		.amdhsa_system_sgpr_workgroup_id_z 0
		.amdhsa_system_sgpr_workgroup_info 0
		.amdhsa_system_vgpr_workitem_id 0
		.amdhsa_next_free_vgpr 18
		.amdhsa_next_free_sgpr 16
		.amdhsa_reserve_vcc 1
		.amdhsa_reserve_flat_scratch 0
		.amdhsa_float_round_mode_32 0
		.amdhsa_float_round_mode_16_64 0
		.amdhsa_float_denorm_mode_32 3
		.amdhsa_float_denorm_mode_16_64 3
		.amdhsa_dx10_clamp 1
		.amdhsa_ieee_mode 1
		.amdhsa_fp16_overflow 0
		.amdhsa_exception_fp_ieee_invalid_op 0
		.amdhsa_exception_fp_denorm_src 0
		.amdhsa_exception_fp_ieee_div_zero 0
		.amdhsa_exception_fp_ieee_overflow 0
		.amdhsa_exception_fp_ieee_underflow 0
		.amdhsa_exception_fp_ieee_inexact 0
		.amdhsa_exception_int_div_zero 0
	.end_amdhsa_kernel
	.section	.text._ZN7rocprim17ROCPRIM_400000_NS6detail17trampoline_kernelINS0_14default_configENS1_35radix_sort_onesweep_config_selectorIhlEEZNS1_34radix_sort_onesweep_global_offsetsIS3_Lb0EPhN6thrust23THRUST_200600_302600_NS10device_ptrIlEEjNS0_19identity_decomposerEEE10hipError_tT1_T2_PT3_SG_jT4_jjP12ihipStream_tbEUlT_E_NS1_11comp_targetILNS1_3genE2ELNS1_11target_archE906ELNS1_3gpuE6ELNS1_3repE0EEENS1_52radix_sort_onesweep_histogram_config_static_selectorELNS0_4arch9wavefront6targetE1EEEvSE_,"axG",@progbits,_ZN7rocprim17ROCPRIM_400000_NS6detail17trampoline_kernelINS0_14default_configENS1_35radix_sort_onesweep_config_selectorIhlEEZNS1_34radix_sort_onesweep_global_offsetsIS3_Lb0EPhN6thrust23THRUST_200600_302600_NS10device_ptrIlEEjNS0_19identity_decomposerEEE10hipError_tT1_T2_PT3_SG_jT4_jjP12ihipStream_tbEUlT_E_NS1_11comp_targetILNS1_3genE2ELNS1_11target_archE906ELNS1_3gpuE6ELNS1_3repE0EEENS1_52radix_sort_onesweep_histogram_config_static_selectorELNS0_4arch9wavefront6targetE1EEEvSE_,comdat
.Lfunc_end240:
	.size	_ZN7rocprim17ROCPRIM_400000_NS6detail17trampoline_kernelINS0_14default_configENS1_35radix_sort_onesweep_config_selectorIhlEEZNS1_34radix_sort_onesweep_global_offsetsIS3_Lb0EPhN6thrust23THRUST_200600_302600_NS10device_ptrIlEEjNS0_19identity_decomposerEEE10hipError_tT1_T2_PT3_SG_jT4_jjP12ihipStream_tbEUlT_E_NS1_11comp_targetILNS1_3genE2ELNS1_11target_archE906ELNS1_3gpuE6ELNS1_3repE0EEENS1_52radix_sort_onesweep_histogram_config_static_selectorELNS0_4arch9wavefront6targetE1EEEvSE_, .Lfunc_end240-_ZN7rocprim17ROCPRIM_400000_NS6detail17trampoline_kernelINS0_14default_configENS1_35radix_sort_onesweep_config_selectorIhlEEZNS1_34radix_sort_onesweep_global_offsetsIS3_Lb0EPhN6thrust23THRUST_200600_302600_NS10device_ptrIlEEjNS0_19identity_decomposerEEE10hipError_tT1_T2_PT3_SG_jT4_jjP12ihipStream_tbEUlT_E_NS1_11comp_targetILNS1_3genE2ELNS1_11target_archE906ELNS1_3gpuE6ELNS1_3repE0EEENS1_52radix_sort_onesweep_histogram_config_static_selectorELNS0_4arch9wavefront6targetE1EEEvSE_
                                        ; -- End function
	.set _ZN7rocprim17ROCPRIM_400000_NS6detail17trampoline_kernelINS0_14default_configENS1_35radix_sort_onesweep_config_selectorIhlEEZNS1_34radix_sort_onesweep_global_offsetsIS3_Lb0EPhN6thrust23THRUST_200600_302600_NS10device_ptrIlEEjNS0_19identity_decomposerEEE10hipError_tT1_T2_PT3_SG_jT4_jjP12ihipStream_tbEUlT_E_NS1_11comp_targetILNS1_3genE2ELNS1_11target_archE906ELNS1_3gpuE6ELNS1_3repE0EEENS1_52radix_sort_onesweep_histogram_config_static_selectorELNS0_4arch9wavefront6targetE1EEEvSE_.num_vgpr, 18
	.set _ZN7rocprim17ROCPRIM_400000_NS6detail17trampoline_kernelINS0_14default_configENS1_35radix_sort_onesweep_config_selectorIhlEEZNS1_34radix_sort_onesweep_global_offsetsIS3_Lb0EPhN6thrust23THRUST_200600_302600_NS10device_ptrIlEEjNS0_19identity_decomposerEEE10hipError_tT1_T2_PT3_SG_jT4_jjP12ihipStream_tbEUlT_E_NS1_11comp_targetILNS1_3genE2ELNS1_11target_archE906ELNS1_3gpuE6ELNS1_3repE0EEENS1_52radix_sort_onesweep_histogram_config_static_selectorELNS0_4arch9wavefront6targetE1EEEvSE_.num_agpr, 0
	.set _ZN7rocprim17ROCPRIM_400000_NS6detail17trampoline_kernelINS0_14default_configENS1_35radix_sort_onesweep_config_selectorIhlEEZNS1_34radix_sort_onesweep_global_offsetsIS3_Lb0EPhN6thrust23THRUST_200600_302600_NS10device_ptrIlEEjNS0_19identity_decomposerEEE10hipError_tT1_T2_PT3_SG_jT4_jjP12ihipStream_tbEUlT_E_NS1_11comp_targetILNS1_3genE2ELNS1_11target_archE906ELNS1_3gpuE6ELNS1_3repE0EEENS1_52radix_sort_onesweep_histogram_config_static_selectorELNS0_4arch9wavefront6targetE1EEEvSE_.numbered_sgpr, 16
	.set _ZN7rocprim17ROCPRIM_400000_NS6detail17trampoline_kernelINS0_14default_configENS1_35radix_sort_onesweep_config_selectorIhlEEZNS1_34radix_sort_onesweep_global_offsetsIS3_Lb0EPhN6thrust23THRUST_200600_302600_NS10device_ptrIlEEjNS0_19identity_decomposerEEE10hipError_tT1_T2_PT3_SG_jT4_jjP12ihipStream_tbEUlT_E_NS1_11comp_targetILNS1_3genE2ELNS1_11target_archE906ELNS1_3gpuE6ELNS1_3repE0EEENS1_52radix_sort_onesweep_histogram_config_static_selectorELNS0_4arch9wavefront6targetE1EEEvSE_.num_named_barrier, 0
	.set _ZN7rocprim17ROCPRIM_400000_NS6detail17trampoline_kernelINS0_14default_configENS1_35radix_sort_onesweep_config_selectorIhlEEZNS1_34radix_sort_onesweep_global_offsetsIS3_Lb0EPhN6thrust23THRUST_200600_302600_NS10device_ptrIlEEjNS0_19identity_decomposerEEE10hipError_tT1_T2_PT3_SG_jT4_jjP12ihipStream_tbEUlT_E_NS1_11comp_targetILNS1_3genE2ELNS1_11target_archE906ELNS1_3gpuE6ELNS1_3repE0EEENS1_52radix_sort_onesweep_histogram_config_static_selectorELNS0_4arch9wavefront6targetE1EEEvSE_.private_seg_size, 0
	.set _ZN7rocprim17ROCPRIM_400000_NS6detail17trampoline_kernelINS0_14default_configENS1_35radix_sort_onesweep_config_selectorIhlEEZNS1_34radix_sort_onesweep_global_offsetsIS3_Lb0EPhN6thrust23THRUST_200600_302600_NS10device_ptrIlEEjNS0_19identity_decomposerEEE10hipError_tT1_T2_PT3_SG_jT4_jjP12ihipStream_tbEUlT_E_NS1_11comp_targetILNS1_3genE2ELNS1_11target_archE906ELNS1_3gpuE6ELNS1_3repE0EEENS1_52radix_sort_onesweep_histogram_config_static_selectorELNS0_4arch9wavefront6targetE1EEEvSE_.uses_vcc, 1
	.set _ZN7rocprim17ROCPRIM_400000_NS6detail17trampoline_kernelINS0_14default_configENS1_35radix_sort_onesweep_config_selectorIhlEEZNS1_34radix_sort_onesweep_global_offsetsIS3_Lb0EPhN6thrust23THRUST_200600_302600_NS10device_ptrIlEEjNS0_19identity_decomposerEEE10hipError_tT1_T2_PT3_SG_jT4_jjP12ihipStream_tbEUlT_E_NS1_11comp_targetILNS1_3genE2ELNS1_11target_archE906ELNS1_3gpuE6ELNS1_3repE0EEENS1_52radix_sort_onesweep_histogram_config_static_selectorELNS0_4arch9wavefront6targetE1EEEvSE_.uses_flat_scratch, 0
	.set _ZN7rocprim17ROCPRIM_400000_NS6detail17trampoline_kernelINS0_14default_configENS1_35radix_sort_onesweep_config_selectorIhlEEZNS1_34radix_sort_onesweep_global_offsetsIS3_Lb0EPhN6thrust23THRUST_200600_302600_NS10device_ptrIlEEjNS0_19identity_decomposerEEE10hipError_tT1_T2_PT3_SG_jT4_jjP12ihipStream_tbEUlT_E_NS1_11comp_targetILNS1_3genE2ELNS1_11target_archE906ELNS1_3gpuE6ELNS1_3repE0EEENS1_52radix_sort_onesweep_histogram_config_static_selectorELNS0_4arch9wavefront6targetE1EEEvSE_.has_dyn_sized_stack, 0
	.set _ZN7rocprim17ROCPRIM_400000_NS6detail17trampoline_kernelINS0_14default_configENS1_35radix_sort_onesweep_config_selectorIhlEEZNS1_34radix_sort_onesweep_global_offsetsIS3_Lb0EPhN6thrust23THRUST_200600_302600_NS10device_ptrIlEEjNS0_19identity_decomposerEEE10hipError_tT1_T2_PT3_SG_jT4_jjP12ihipStream_tbEUlT_E_NS1_11comp_targetILNS1_3genE2ELNS1_11target_archE906ELNS1_3gpuE6ELNS1_3repE0EEENS1_52radix_sort_onesweep_histogram_config_static_selectorELNS0_4arch9wavefront6targetE1EEEvSE_.has_recursion, 0
	.set _ZN7rocprim17ROCPRIM_400000_NS6detail17trampoline_kernelINS0_14default_configENS1_35radix_sort_onesweep_config_selectorIhlEEZNS1_34radix_sort_onesweep_global_offsetsIS3_Lb0EPhN6thrust23THRUST_200600_302600_NS10device_ptrIlEEjNS0_19identity_decomposerEEE10hipError_tT1_T2_PT3_SG_jT4_jjP12ihipStream_tbEUlT_E_NS1_11comp_targetILNS1_3genE2ELNS1_11target_archE906ELNS1_3gpuE6ELNS1_3repE0EEENS1_52radix_sort_onesweep_histogram_config_static_selectorELNS0_4arch9wavefront6targetE1EEEvSE_.has_indirect_call, 0
	.section	.AMDGPU.csdata,"",@progbits
; Kernel info:
; codeLenInByte = 1712
; TotalNumSgprs: 20
; NumVgprs: 18
; ScratchSize: 0
; MemoryBound: 0
; FloatMode: 240
; IeeeMode: 1
; LDSByteSize: 4096 bytes/workgroup (compile time only)
; SGPRBlocks: 2
; VGPRBlocks: 4
; NumSGPRsForWavesPerEU: 20
; NumVGPRsForWavesPerEU: 18
; Occupancy: 10
; WaveLimiterHint : 1
; COMPUTE_PGM_RSRC2:SCRATCH_EN: 0
; COMPUTE_PGM_RSRC2:USER_SGPR: 6
; COMPUTE_PGM_RSRC2:TRAP_HANDLER: 0
; COMPUTE_PGM_RSRC2:TGID_X_EN: 1
; COMPUTE_PGM_RSRC2:TGID_Y_EN: 0
; COMPUTE_PGM_RSRC2:TGID_Z_EN: 0
; COMPUTE_PGM_RSRC2:TIDIG_COMP_CNT: 0
	.section	.text._ZN7rocprim17ROCPRIM_400000_NS6detail17trampoline_kernelINS0_14default_configENS1_35radix_sort_onesweep_config_selectorIhlEEZNS1_34radix_sort_onesweep_global_offsetsIS3_Lb0EPhN6thrust23THRUST_200600_302600_NS10device_ptrIlEEjNS0_19identity_decomposerEEE10hipError_tT1_T2_PT3_SG_jT4_jjP12ihipStream_tbEUlT_E_NS1_11comp_targetILNS1_3genE4ELNS1_11target_archE910ELNS1_3gpuE8ELNS1_3repE0EEENS1_52radix_sort_onesweep_histogram_config_static_selectorELNS0_4arch9wavefront6targetE1EEEvSE_,"axG",@progbits,_ZN7rocprim17ROCPRIM_400000_NS6detail17trampoline_kernelINS0_14default_configENS1_35radix_sort_onesweep_config_selectorIhlEEZNS1_34radix_sort_onesweep_global_offsetsIS3_Lb0EPhN6thrust23THRUST_200600_302600_NS10device_ptrIlEEjNS0_19identity_decomposerEEE10hipError_tT1_T2_PT3_SG_jT4_jjP12ihipStream_tbEUlT_E_NS1_11comp_targetILNS1_3genE4ELNS1_11target_archE910ELNS1_3gpuE8ELNS1_3repE0EEENS1_52radix_sort_onesweep_histogram_config_static_selectorELNS0_4arch9wavefront6targetE1EEEvSE_,comdat
	.protected	_ZN7rocprim17ROCPRIM_400000_NS6detail17trampoline_kernelINS0_14default_configENS1_35radix_sort_onesweep_config_selectorIhlEEZNS1_34radix_sort_onesweep_global_offsetsIS3_Lb0EPhN6thrust23THRUST_200600_302600_NS10device_ptrIlEEjNS0_19identity_decomposerEEE10hipError_tT1_T2_PT3_SG_jT4_jjP12ihipStream_tbEUlT_E_NS1_11comp_targetILNS1_3genE4ELNS1_11target_archE910ELNS1_3gpuE8ELNS1_3repE0EEENS1_52radix_sort_onesweep_histogram_config_static_selectorELNS0_4arch9wavefront6targetE1EEEvSE_ ; -- Begin function _ZN7rocprim17ROCPRIM_400000_NS6detail17trampoline_kernelINS0_14default_configENS1_35radix_sort_onesweep_config_selectorIhlEEZNS1_34radix_sort_onesweep_global_offsetsIS3_Lb0EPhN6thrust23THRUST_200600_302600_NS10device_ptrIlEEjNS0_19identity_decomposerEEE10hipError_tT1_T2_PT3_SG_jT4_jjP12ihipStream_tbEUlT_E_NS1_11comp_targetILNS1_3genE4ELNS1_11target_archE910ELNS1_3gpuE8ELNS1_3repE0EEENS1_52radix_sort_onesweep_histogram_config_static_selectorELNS0_4arch9wavefront6targetE1EEEvSE_
	.globl	_ZN7rocprim17ROCPRIM_400000_NS6detail17trampoline_kernelINS0_14default_configENS1_35radix_sort_onesweep_config_selectorIhlEEZNS1_34radix_sort_onesweep_global_offsetsIS3_Lb0EPhN6thrust23THRUST_200600_302600_NS10device_ptrIlEEjNS0_19identity_decomposerEEE10hipError_tT1_T2_PT3_SG_jT4_jjP12ihipStream_tbEUlT_E_NS1_11comp_targetILNS1_3genE4ELNS1_11target_archE910ELNS1_3gpuE8ELNS1_3repE0EEENS1_52radix_sort_onesweep_histogram_config_static_selectorELNS0_4arch9wavefront6targetE1EEEvSE_
	.p2align	8
	.type	_ZN7rocprim17ROCPRIM_400000_NS6detail17trampoline_kernelINS0_14default_configENS1_35radix_sort_onesweep_config_selectorIhlEEZNS1_34radix_sort_onesweep_global_offsetsIS3_Lb0EPhN6thrust23THRUST_200600_302600_NS10device_ptrIlEEjNS0_19identity_decomposerEEE10hipError_tT1_T2_PT3_SG_jT4_jjP12ihipStream_tbEUlT_E_NS1_11comp_targetILNS1_3genE4ELNS1_11target_archE910ELNS1_3gpuE8ELNS1_3repE0EEENS1_52radix_sort_onesweep_histogram_config_static_selectorELNS0_4arch9wavefront6targetE1EEEvSE_,@function
_ZN7rocprim17ROCPRIM_400000_NS6detail17trampoline_kernelINS0_14default_configENS1_35radix_sort_onesweep_config_selectorIhlEEZNS1_34radix_sort_onesweep_global_offsetsIS3_Lb0EPhN6thrust23THRUST_200600_302600_NS10device_ptrIlEEjNS0_19identity_decomposerEEE10hipError_tT1_T2_PT3_SG_jT4_jjP12ihipStream_tbEUlT_E_NS1_11comp_targetILNS1_3genE4ELNS1_11target_archE910ELNS1_3gpuE8ELNS1_3repE0EEENS1_52radix_sort_onesweep_histogram_config_static_selectorELNS0_4arch9wavefront6targetE1EEEvSE_: ; @_ZN7rocprim17ROCPRIM_400000_NS6detail17trampoline_kernelINS0_14default_configENS1_35radix_sort_onesweep_config_selectorIhlEEZNS1_34radix_sort_onesweep_global_offsetsIS3_Lb0EPhN6thrust23THRUST_200600_302600_NS10device_ptrIlEEjNS0_19identity_decomposerEEE10hipError_tT1_T2_PT3_SG_jT4_jjP12ihipStream_tbEUlT_E_NS1_11comp_targetILNS1_3genE4ELNS1_11target_archE910ELNS1_3gpuE8ELNS1_3repE0EEENS1_52radix_sort_onesweep_histogram_config_static_selectorELNS0_4arch9wavefront6targetE1EEEvSE_
; %bb.0:
	.section	.rodata,"a",@progbits
	.p2align	6, 0x0
	.amdhsa_kernel _ZN7rocprim17ROCPRIM_400000_NS6detail17trampoline_kernelINS0_14default_configENS1_35radix_sort_onesweep_config_selectorIhlEEZNS1_34radix_sort_onesweep_global_offsetsIS3_Lb0EPhN6thrust23THRUST_200600_302600_NS10device_ptrIlEEjNS0_19identity_decomposerEEE10hipError_tT1_T2_PT3_SG_jT4_jjP12ihipStream_tbEUlT_E_NS1_11comp_targetILNS1_3genE4ELNS1_11target_archE910ELNS1_3gpuE8ELNS1_3repE0EEENS1_52radix_sort_onesweep_histogram_config_static_selectorELNS0_4arch9wavefront6targetE1EEEvSE_
		.amdhsa_group_segment_fixed_size 0
		.amdhsa_private_segment_fixed_size 0
		.amdhsa_kernarg_size 40
		.amdhsa_user_sgpr_count 6
		.amdhsa_user_sgpr_private_segment_buffer 1
		.amdhsa_user_sgpr_dispatch_ptr 0
		.amdhsa_user_sgpr_queue_ptr 0
		.amdhsa_user_sgpr_kernarg_segment_ptr 1
		.amdhsa_user_sgpr_dispatch_id 0
		.amdhsa_user_sgpr_flat_scratch_init 0
		.amdhsa_user_sgpr_private_segment_size 0
		.amdhsa_uses_dynamic_stack 0
		.amdhsa_system_sgpr_private_segment_wavefront_offset 0
		.amdhsa_system_sgpr_workgroup_id_x 1
		.amdhsa_system_sgpr_workgroup_id_y 0
		.amdhsa_system_sgpr_workgroup_id_z 0
		.amdhsa_system_sgpr_workgroup_info 0
		.amdhsa_system_vgpr_workitem_id 0
		.amdhsa_next_free_vgpr 1
		.amdhsa_next_free_sgpr 0
		.amdhsa_reserve_vcc 0
		.amdhsa_reserve_flat_scratch 0
		.amdhsa_float_round_mode_32 0
		.amdhsa_float_round_mode_16_64 0
		.amdhsa_float_denorm_mode_32 3
		.amdhsa_float_denorm_mode_16_64 3
		.amdhsa_dx10_clamp 1
		.amdhsa_ieee_mode 1
		.amdhsa_fp16_overflow 0
		.amdhsa_exception_fp_ieee_invalid_op 0
		.amdhsa_exception_fp_denorm_src 0
		.amdhsa_exception_fp_ieee_div_zero 0
		.amdhsa_exception_fp_ieee_overflow 0
		.amdhsa_exception_fp_ieee_underflow 0
		.amdhsa_exception_fp_ieee_inexact 0
		.amdhsa_exception_int_div_zero 0
	.end_amdhsa_kernel
	.section	.text._ZN7rocprim17ROCPRIM_400000_NS6detail17trampoline_kernelINS0_14default_configENS1_35radix_sort_onesweep_config_selectorIhlEEZNS1_34radix_sort_onesweep_global_offsetsIS3_Lb0EPhN6thrust23THRUST_200600_302600_NS10device_ptrIlEEjNS0_19identity_decomposerEEE10hipError_tT1_T2_PT3_SG_jT4_jjP12ihipStream_tbEUlT_E_NS1_11comp_targetILNS1_3genE4ELNS1_11target_archE910ELNS1_3gpuE8ELNS1_3repE0EEENS1_52radix_sort_onesweep_histogram_config_static_selectorELNS0_4arch9wavefront6targetE1EEEvSE_,"axG",@progbits,_ZN7rocprim17ROCPRIM_400000_NS6detail17trampoline_kernelINS0_14default_configENS1_35radix_sort_onesweep_config_selectorIhlEEZNS1_34radix_sort_onesweep_global_offsetsIS3_Lb0EPhN6thrust23THRUST_200600_302600_NS10device_ptrIlEEjNS0_19identity_decomposerEEE10hipError_tT1_T2_PT3_SG_jT4_jjP12ihipStream_tbEUlT_E_NS1_11comp_targetILNS1_3genE4ELNS1_11target_archE910ELNS1_3gpuE8ELNS1_3repE0EEENS1_52radix_sort_onesweep_histogram_config_static_selectorELNS0_4arch9wavefront6targetE1EEEvSE_,comdat
.Lfunc_end241:
	.size	_ZN7rocprim17ROCPRIM_400000_NS6detail17trampoline_kernelINS0_14default_configENS1_35radix_sort_onesweep_config_selectorIhlEEZNS1_34radix_sort_onesweep_global_offsetsIS3_Lb0EPhN6thrust23THRUST_200600_302600_NS10device_ptrIlEEjNS0_19identity_decomposerEEE10hipError_tT1_T2_PT3_SG_jT4_jjP12ihipStream_tbEUlT_E_NS1_11comp_targetILNS1_3genE4ELNS1_11target_archE910ELNS1_3gpuE8ELNS1_3repE0EEENS1_52radix_sort_onesweep_histogram_config_static_selectorELNS0_4arch9wavefront6targetE1EEEvSE_, .Lfunc_end241-_ZN7rocprim17ROCPRIM_400000_NS6detail17trampoline_kernelINS0_14default_configENS1_35radix_sort_onesweep_config_selectorIhlEEZNS1_34radix_sort_onesweep_global_offsetsIS3_Lb0EPhN6thrust23THRUST_200600_302600_NS10device_ptrIlEEjNS0_19identity_decomposerEEE10hipError_tT1_T2_PT3_SG_jT4_jjP12ihipStream_tbEUlT_E_NS1_11comp_targetILNS1_3genE4ELNS1_11target_archE910ELNS1_3gpuE8ELNS1_3repE0EEENS1_52radix_sort_onesweep_histogram_config_static_selectorELNS0_4arch9wavefront6targetE1EEEvSE_
                                        ; -- End function
	.set _ZN7rocprim17ROCPRIM_400000_NS6detail17trampoline_kernelINS0_14default_configENS1_35radix_sort_onesweep_config_selectorIhlEEZNS1_34radix_sort_onesweep_global_offsetsIS3_Lb0EPhN6thrust23THRUST_200600_302600_NS10device_ptrIlEEjNS0_19identity_decomposerEEE10hipError_tT1_T2_PT3_SG_jT4_jjP12ihipStream_tbEUlT_E_NS1_11comp_targetILNS1_3genE4ELNS1_11target_archE910ELNS1_3gpuE8ELNS1_3repE0EEENS1_52radix_sort_onesweep_histogram_config_static_selectorELNS0_4arch9wavefront6targetE1EEEvSE_.num_vgpr, 0
	.set _ZN7rocprim17ROCPRIM_400000_NS6detail17trampoline_kernelINS0_14default_configENS1_35radix_sort_onesweep_config_selectorIhlEEZNS1_34radix_sort_onesweep_global_offsetsIS3_Lb0EPhN6thrust23THRUST_200600_302600_NS10device_ptrIlEEjNS0_19identity_decomposerEEE10hipError_tT1_T2_PT3_SG_jT4_jjP12ihipStream_tbEUlT_E_NS1_11comp_targetILNS1_3genE4ELNS1_11target_archE910ELNS1_3gpuE8ELNS1_3repE0EEENS1_52radix_sort_onesweep_histogram_config_static_selectorELNS0_4arch9wavefront6targetE1EEEvSE_.num_agpr, 0
	.set _ZN7rocprim17ROCPRIM_400000_NS6detail17trampoline_kernelINS0_14default_configENS1_35radix_sort_onesweep_config_selectorIhlEEZNS1_34radix_sort_onesweep_global_offsetsIS3_Lb0EPhN6thrust23THRUST_200600_302600_NS10device_ptrIlEEjNS0_19identity_decomposerEEE10hipError_tT1_T2_PT3_SG_jT4_jjP12ihipStream_tbEUlT_E_NS1_11comp_targetILNS1_3genE4ELNS1_11target_archE910ELNS1_3gpuE8ELNS1_3repE0EEENS1_52radix_sort_onesweep_histogram_config_static_selectorELNS0_4arch9wavefront6targetE1EEEvSE_.numbered_sgpr, 0
	.set _ZN7rocprim17ROCPRIM_400000_NS6detail17trampoline_kernelINS0_14default_configENS1_35radix_sort_onesweep_config_selectorIhlEEZNS1_34radix_sort_onesweep_global_offsetsIS3_Lb0EPhN6thrust23THRUST_200600_302600_NS10device_ptrIlEEjNS0_19identity_decomposerEEE10hipError_tT1_T2_PT3_SG_jT4_jjP12ihipStream_tbEUlT_E_NS1_11comp_targetILNS1_3genE4ELNS1_11target_archE910ELNS1_3gpuE8ELNS1_3repE0EEENS1_52radix_sort_onesweep_histogram_config_static_selectorELNS0_4arch9wavefront6targetE1EEEvSE_.num_named_barrier, 0
	.set _ZN7rocprim17ROCPRIM_400000_NS6detail17trampoline_kernelINS0_14default_configENS1_35radix_sort_onesweep_config_selectorIhlEEZNS1_34radix_sort_onesweep_global_offsetsIS3_Lb0EPhN6thrust23THRUST_200600_302600_NS10device_ptrIlEEjNS0_19identity_decomposerEEE10hipError_tT1_T2_PT3_SG_jT4_jjP12ihipStream_tbEUlT_E_NS1_11comp_targetILNS1_3genE4ELNS1_11target_archE910ELNS1_3gpuE8ELNS1_3repE0EEENS1_52radix_sort_onesweep_histogram_config_static_selectorELNS0_4arch9wavefront6targetE1EEEvSE_.private_seg_size, 0
	.set _ZN7rocprim17ROCPRIM_400000_NS6detail17trampoline_kernelINS0_14default_configENS1_35radix_sort_onesweep_config_selectorIhlEEZNS1_34radix_sort_onesweep_global_offsetsIS3_Lb0EPhN6thrust23THRUST_200600_302600_NS10device_ptrIlEEjNS0_19identity_decomposerEEE10hipError_tT1_T2_PT3_SG_jT4_jjP12ihipStream_tbEUlT_E_NS1_11comp_targetILNS1_3genE4ELNS1_11target_archE910ELNS1_3gpuE8ELNS1_3repE0EEENS1_52radix_sort_onesweep_histogram_config_static_selectorELNS0_4arch9wavefront6targetE1EEEvSE_.uses_vcc, 0
	.set _ZN7rocprim17ROCPRIM_400000_NS6detail17trampoline_kernelINS0_14default_configENS1_35radix_sort_onesweep_config_selectorIhlEEZNS1_34radix_sort_onesweep_global_offsetsIS3_Lb0EPhN6thrust23THRUST_200600_302600_NS10device_ptrIlEEjNS0_19identity_decomposerEEE10hipError_tT1_T2_PT3_SG_jT4_jjP12ihipStream_tbEUlT_E_NS1_11comp_targetILNS1_3genE4ELNS1_11target_archE910ELNS1_3gpuE8ELNS1_3repE0EEENS1_52radix_sort_onesweep_histogram_config_static_selectorELNS0_4arch9wavefront6targetE1EEEvSE_.uses_flat_scratch, 0
	.set _ZN7rocprim17ROCPRIM_400000_NS6detail17trampoline_kernelINS0_14default_configENS1_35radix_sort_onesweep_config_selectorIhlEEZNS1_34radix_sort_onesweep_global_offsetsIS3_Lb0EPhN6thrust23THRUST_200600_302600_NS10device_ptrIlEEjNS0_19identity_decomposerEEE10hipError_tT1_T2_PT3_SG_jT4_jjP12ihipStream_tbEUlT_E_NS1_11comp_targetILNS1_3genE4ELNS1_11target_archE910ELNS1_3gpuE8ELNS1_3repE0EEENS1_52radix_sort_onesweep_histogram_config_static_selectorELNS0_4arch9wavefront6targetE1EEEvSE_.has_dyn_sized_stack, 0
	.set _ZN7rocprim17ROCPRIM_400000_NS6detail17trampoline_kernelINS0_14default_configENS1_35radix_sort_onesweep_config_selectorIhlEEZNS1_34radix_sort_onesweep_global_offsetsIS3_Lb0EPhN6thrust23THRUST_200600_302600_NS10device_ptrIlEEjNS0_19identity_decomposerEEE10hipError_tT1_T2_PT3_SG_jT4_jjP12ihipStream_tbEUlT_E_NS1_11comp_targetILNS1_3genE4ELNS1_11target_archE910ELNS1_3gpuE8ELNS1_3repE0EEENS1_52radix_sort_onesweep_histogram_config_static_selectorELNS0_4arch9wavefront6targetE1EEEvSE_.has_recursion, 0
	.set _ZN7rocprim17ROCPRIM_400000_NS6detail17trampoline_kernelINS0_14default_configENS1_35radix_sort_onesweep_config_selectorIhlEEZNS1_34radix_sort_onesweep_global_offsetsIS3_Lb0EPhN6thrust23THRUST_200600_302600_NS10device_ptrIlEEjNS0_19identity_decomposerEEE10hipError_tT1_T2_PT3_SG_jT4_jjP12ihipStream_tbEUlT_E_NS1_11comp_targetILNS1_3genE4ELNS1_11target_archE910ELNS1_3gpuE8ELNS1_3repE0EEENS1_52radix_sort_onesweep_histogram_config_static_selectorELNS0_4arch9wavefront6targetE1EEEvSE_.has_indirect_call, 0
	.section	.AMDGPU.csdata,"",@progbits
; Kernel info:
; codeLenInByte = 0
; TotalNumSgprs: 4
; NumVgprs: 0
; ScratchSize: 0
; MemoryBound: 0
; FloatMode: 240
; IeeeMode: 1
; LDSByteSize: 0 bytes/workgroup (compile time only)
; SGPRBlocks: 0
; VGPRBlocks: 0
; NumSGPRsForWavesPerEU: 4
; NumVGPRsForWavesPerEU: 1
; Occupancy: 10
; WaveLimiterHint : 0
; COMPUTE_PGM_RSRC2:SCRATCH_EN: 0
; COMPUTE_PGM_RSRC2:USER_SGPR: 6
; COMPUTE_PGM_RSRC2:TRAP_HANDLER: 0
; COMPUTE_PGM_RSRC2:TGID_X_EN: 1
; COMPUTE_PGM_RSRC2:TGID_Y_EN: 0
; COMPUTE_PGM_RSRC2:TGID_Z_EN: 0
; COMPUTE_PGM_RSRC2:TIDIG_COMP_CNT: 0
	.section	.text._ZN7rocprim17ROCPRIM_400000_NS6detail17trampoline_kernelINS0_14default_configENS1_35radix_sort_onesweep_config_selectorIhlEEZNS1_34radix_sort_onesweep_global_offsetsIS3_Lb0EPhN6thrust23THRUST_200600_302600_NS10device_ptrIlEEjNS0_19identity_decomposerEEE10hipError_tT1_T2_PT3_SG_jT4_jjP12ihipStream_tbEUlT_E_NS1_11comp_targetILNS1_3genE3ELNS1_11target_archE908ELNS1_3gpuE7ELNS1_3repE0EEENS1_52radix_sort_onesweep_histogram_config_static_selectorELNS0_4arch9wavefront6targetE1EEEvSE_,"axG",@progbits,_ZN7rocprim17ROCPRIM_400000_NS6detail17trampoline_kernelINS0_14default_configENS1_35radix_sort_onesweep_config_selectorIhlEEZNS1_34radix_sort_onesweep_global_offsetsIS3_Lb0EPhN6thrust23THRUST_200600_302600_NS10device_ptrIlEEjNS0_19identity_decomposerEEE10hipError_tT1_T2_PT3_SG_jT4_jjP12ihipStream_tbEUlT_E_NS1_11comp_targetILNS1_3genE3ELNS1_11target_archE908ELNS1_3gpuE7ELNS1_3repE0EEENS1_52radix_sort_onesweep_histogram_config_static_selectorELNS0_4arch9wavefront6targetE1EEEvSE_,comdat
	.protected	_ZN7rocprim17ROCPRIM_400000_NS6detail17trampoline_kernelINS0_14default_configENS1_35radix_sort_onesweep_config_selectorIhlEEZNS1_34radix_sort_onesweep_global_offsetsIS3_Lb0EPhN6thrust23THRUST_200600_302600_NS10device_ptrIlEEjNS0_19identity_decomposerEEE10hipError_tT1_T2_PT3_SG_jT4_jjP12ihipStream_tbEUlT_E_NS1_11comp_targetILNS1_3genE3ELNS1_11target_archE908ELNS1_3gpuE7ELNS1_3repE0EEENS1_52radix_sort_onesweep_histogram_config_static_selectorELNS0_4arch9wavefront6targetE1EEEvSE_ ; -- Begin function _ZN7rocprim17ROCPRIM_400000_NS6detail17trampoline_kernelINS0_14default_configENS1_35radix_sort_onesweep_config_selectorIhlEEZNS1_34radix_sort_onesweep_global_offsetsIS3_Lb0EPhN6thrust23THRUST_200600_302600_NS10device_ptrIlEEjNS0_19identity_decomposerEEE10hipError_tT1_T2_PT3_SG_jT4_jjP12ihipStream_tbEUlT_E_NS1_11comp_targetILNS1_3genE3ELNS1_11target_archE908ELNS1_3gpuE7ELNS1_3repE0EEENS1_52radix_sort_onesweep_histogram_config_static_selectorELNS0_4arch9wavefront6targetE1EEEvSE_
	.globl	_ZN7rocprim17ROCPRIM_400000_NS6detail17trampoline_kernelINS0_14default_configENS1_35radix_sort_onesweep_config_selectorIhlEEZNS1_34radix_sort_onesweep_global_offsetsIS3_Lb0EPhN6thrust23THRUST_200600_302600_NS10device_ptrIlEEjNS0_19identity_decomposerEEE10hipError_tT1_T2_PT3_SG_jT4_jjP12ihipStream_tbEUlT_E_NS1_11comp_targetILNS1_3genE3ELNS1_11target_archE908ELNS1_3gpuE7ELNS1_3repE0EEENS1_52radix_sort_onesweep_histogram_config_static_selectorELNS0_4arch9wavefront6targetE1EEEvSE_
	.p2align	8
	.type	_ZN7rocprim17ROCPRIM_400000_NS6detail17trampoline_kernelINS0_14default_configENS1_35radix_sort_onesweep_config_selectorIhlEEZNS1_34radix_sort_onesweep_global_offsetsIS3_Lb0EPhN6thrust23THRUST_200600_302600_NS10device_ptrIlEEjNS0_19identity_decomposerEEE10hipError_tT1_T2_PT3_SG_jT4_jjP12ihipStream_tbEUlT_E_NS1_11comp_targetILNS1_3genE3ELNS1_11target_archE908ELNS1_3gpuE7ELNS1_3repE0EEENS1_52radix_sort_onesweep_histogram_config_static_selectorELNS0_4arch9wavefront6targetE1EEEvSE_,@function
_ZN7rocprim17ROCPRIM_400000_NS6detail17trampoline_kernelINS0_14default_configENS1_35radix_sort_onesweep_config_selectorIhlEEZNS1_34radix_sort_onesweep_global_offsetsIS3_Lb0EPhN6thrust23THRUST_200600_302600_NS10device_ptrIlEEjNS0_19identity_decomposerEEE10hipError_tT1_T2_PT3_SG_jT4_jjP12ihipStream_tbEUlT_E_NS1_11comp_targetILNS1_3genE3ELNS1_11target_archE908ELNS1_3gpuE7ELNS1_3repE0EEENS1_52radix_sort_onesweep_histogram_config_static_selectorELNS0_4arch9wavefront6targetE1EEEvSE_: ; @_ZN7rocprim17ROCPRIM_400000_NS6detail17trampoline_kernelINS0_14default_configENS1_35radix_sort_onesweep_config_selectorIhlEEZNS1_34radix_sort_onesweep_global_offsetsIS3_Lb0EPhN6thrust23THRUST_200600_302600_NS10device_ptrIlEEjNS0_19identity_decomposerEEE10hipError_tT1_T2_PT3_SG_jT4_jjP12ihipStream_tbEUlT_E_NS1_11comp_targetILNS1_3genE3ELNS1_11target_archE908ELNS1_3gpuE7ELNS1_3repE0EEENS1_52radix_sort_onesweep_histogram_config_static_selectorELNS0_4arch9wavefront6targetE1EEEvSE_
; %bb.0:
	.section	.rodata,"a",@progbits
	.p2align	6, 0x0
	.amdhsa_kernel _ZN7rocprim17ROCPRIM_400000_NS6detail17trampoline_kernelINS0_14default_configENS1_35radix_sort_onesweep_config_selectorIhlEEZNS1_34radix_sort_onesweep_global_offsetsIS3_Lb0EPhN6thrust23THRUST_200600_302600_NS10device_ptrIlEEjNS0_19identity_decomposerEEE10hipError_tT1_T2_PT3_SG_jT4_jjP12ihipStream_tbEUlT_E_NS1_11comp_targetILNS1_3genE3ELNS1_11target_archE908ELNS1_3gpuE7ELNS1_3repE0EEENS1_52radix_sort_onesweep_histogram_config_static_selectorELNS0_4arch9wavefront6targetE1EEEvSE_
		.amdhsa_group_segment_fixed_size 0
		.amdhsa_private_segment_fixed_size 0
		.amdhsa_kernarg_size 40
		.amdhsa_user_sgpr_count 6
		.amdhsa_user_sgpr_private_segment_buffer 1
		.amdhsa_user_sgpr_dispatch_ptr 0
		.amdhsa_user_sgpr_queue_ptr 0
		.amdhsa_user_sgpr_kernarg_segment_ptr 1
		.amdhsa_user_sgpr_dispatch_id 0
		.amdhsa_user_sgpr_flat_scratch_init 0
		.amdhsa_user_sgpr_private_segment_size 0
		.amdhsa_uses_dynamic_stack 0
		.amdhsa_system_sgpr_private_segment_wavefront_offset 0
		.amdhsa_system_sgpr_workgroup_id_x 1
		.amdhsa_system_sgpr_workgroup_id_y 0
		.amdhsa_system_sgpr_workgroup_id_z 0
		.amdhsa_system_sgpr_workgroup_info 0
		.amdhsa_system_vgpr_workitem_id 0
		.amdhsa_next_free_vgpr 1
		.amdhsa_next_free_sgpr 0
		.amdhsa_reserve_vcc 0
		.amdhsa_reserve_flat_scratch 0
		.amdhsa_float_round_mode_32 0
		.amdhsa_float_round_mode_16_64 0
		.amdhsa_float_denorm_mode_32 3
		.amdhsa_float_denorm_mode_16_64 3
		.amdhsa_dx10_clamp 1
		.amdhsa_ieee_mode 1
		.amdhsa_fp16_overflow 0
		.amdhsa_exception_fp_ieee_invalid_op 0
		.amdhsa_exception_fp_denorm_src 0
		.amdhsa_exception_fp_ieee_div_zero 0
		.amdhsa_exception_fp_ieee_overflow 0
		.amdhsa_exception_fp_ieee_underflow 0
		.amdhsa_exception_fp_ieee_inexact 0
		.amdhsa_exception_int_div_zero 0
	.end_amdhsa_kernel
	.section	.text._ZN7rocprim17ROCPRIM_400000_NS6detail17trampoline_kernelINS0_14default_configENS1_35radix_sort_onesweep_config_selectorIhlEEZNS1_34radix_sort_onesweep_global_offsetsIS3_Lb0EPhN6thrust23THRUST_200600_302600_NS10device_ptrIlEEjNS0_19identity_decomposerEEE10hipError_tT1_T2_PT3_SG_jT4_jjP12ihipStream_tbEUlT_E_NS1_11comp_targetILNS1_3genE3ELNS1_11target_archE908ELNS1_3gpuE7ELNS1_3repE0EEENS1_52radix_sort_onesweep_histogram_config_static_selectorELNS0_4arch9wavefront6targetE1EEEvSE_,"axG",@progbits,_ZN7rocprim17ROCPRIM_400000_NS6detail17trampoline_kernelINS0_14default_configENS1_35radix_sort_onesweep_config_selectorIhlEEZNS1_34radix_sort_onesweep_global_offsetsIS3_Lb0EPhN6thrust23THRUST_200600_302600_NS10device_ptrIlEEjNS0_19identity_decomposerEEE10hipError_tT1_T2_PT3_SG_jT4_jjP12ihipStream_tbEUlT_E_NS1_11comp_targetILNS1_3genE3ELNS1_11target_archE908ELNS1_3gpuE7ELNS1_3repE0EEENS1_52radix_sort_onesweep_histogram_config_static_selectorELNS0_4arch9wavefront6targetE1EEEvSE_,comdat
.Lfunc_end242:
	.size	_ZN7rocprim17ROCPRIM_400000_NS6detail17trampoline_kernelINS0_14default_configENS1_35radix_sort_onesweep_config_selectorIhlEEZNS1_34radix_sort_onesweep_global_offsetsIS3_Lb0EPhN6thrust23THRUST_200600_302600_NS10device_ptrIlEEjNS0_19identity_decomposerEEE10hipError_tT1_T2_PT3_SG_jT4_jjP12ihipStream_tbEUlT_E_NS1_11comp_targetILNS1_3genE3ELNS1_11target_archE908ELNS1_3gpuE7ELNS1_3repE0EEENS1_52radix_sort_onesweep_histogram_config_static_selectorELNS0_4arch9wavefront6targetE1EEEvSE_, .Lfunc_end242-_ZN7rocprim17ROCPRIM_400000_NS6detail17trampoline_kernelINS0_14default_configENS1_35radix_sort_onesweep_config_selectorIhlEEZNS1_34radix_sort_onesweep_global_offsetsIS3_Lb0EPhN6thrust23THRUST_200600_302600_NS10device_ptrIlEEjNS0_19identity_decomposerEEE10hipError_tT1_T2_PT3_SG_jT4_jjP12ihipStream_tbEUlT_E_NS1_11comp_targetILNS1_3genE3ELNS1_11target_archE908ELNS1_3gpuE7ELNS1_3repE0EEENS1_52radix_sort_onesweep_histogram_config_static_selectorELNS0_4arch9wavefront6targetE1EEEvSE_
                                        ; -- End function
	.set _ZN7rocprim17ROCPRIM_400000_NS6detail17trampoline_kernelINS0_14default_configENS1_35radix_sort_onesweep_config_selectorIhlEEZNS1_34radix_sort_onesweep_global_offsetsIS3_Lb0EPhN6thrust23THRUST_200600_302600_NS10device_ptrIlEEjNS0_19identity_decomposerEEE10hipError_tT1_T2_PT3_SG_jT4_jjP12ihipStream_tbEUlT_E_NS1_11comp_targetILNS1_3genE3ELNS1_11target_archE908ELNS1_3gpuE7ELNS1_3repE0EEENS1_52radix_sort_onesweep_histogram_config_static_selectorELNS0_4arch9wavefront6targetE1EEEvSE_.num_vgpr, 0
	.set _ZN7rocprim17ROCPRIM_400000_NS6detail17trampoline_kernelINS0_14default_configENS1_35radix_sort_onesweep_config_selectorIhlEEZNS1_34radix_sort_onesweep_global_offsetsIS3_Lb0EPhN6thrust23THRUST_200600_302600_NS10device_ptrIlEEjNS0_19identity_decomposerEEE10hipError_tT1_T2_PT3_SG_jT4_jjP12ihipStream_tbEUlT_E_NS1_11comp_targetILNS1_3genE3ELNS1_11target_archE908ELNS1_3gpuE7ELNS1_3repE0EEENS1_52radix_sort_onesweep_histogram_config_static_selectorELNS0_4arch9wavefront6targetE1EEEvSE_.num_agpr, 0
	.set _ZN7rocprim17ROCPRIM_400000_NS6detail17trampoline_kernelINS0_14default_configENS1_35radix_sort_onesweep_config_selectorIhlEEZNS1_34radix_sort_onesweep_global_offsetsIS3_Lb0EPhN6thrust23THRUST_200600_302600_NS10device_ptrIlEEjNS0_19identity_decomposerEEE10hipError_tT1_T2_PT3_SG_jT4_jjP12ihipStream_tbEUlT_E_NS1_11comp_targetILNS1_3genE3ELNS1_11target_archE908ELNS1_3gpuE7ELNS1_3repE0EEENS1_52radix_sort_onesweep_histogram_config_static_selectorELNS0_4arch9wavefront6targetE1EEEvSE_.numbered_sgpr, 0
	.set _ZN7rocprim17ROCPRIM_400000_NS6detail17trampoline_kernelINS0_14default_configENS1_35radix_sort_onesweep_config_selectorIhlEEZNS1_34radix_sort_onesweep_global_offsetsIS3_Lb0EPhN6thrust23THRUST_200600_302600_NS10device_ptrIlEEjNS0_19identity_decomposerEEE10hipError_tT1_T2_PT3_SG_jT4_jjP12ihipStream_tbEUlT_E_NS1_11comp_targetILNS1_3genE3ELNS1_11target_archE908ELNS1_3gpuE7ELNS1_3repE0EEENS1_52radix_sort_onesweep_histogram_config_static_selectorELNS0_4arch9wavefront6targetE1EEEvSE_.num_named_barrier, 0
	.set _ZN7rocprim17ROCPRIM_400000_NS6detail17trampoline_kernelINS0_14default_configENS1_35radix_sort_onesweep_config_selectorIhlEEZNS1_34radix_sort_onesweep_global_offsetsIS3_Lb0EPhN6thrust23THRUST_200600_302600_NS10device_ptrIlEEjNS0_19identity_decomposerEEE10hipError_tT1_T2_PT3_SG_jT4_jjP12ihipStream_tbEUlT_E_NS1_11comp_targetILNS1_3genE3ELNS1_11target_archE908ELNS1_3gpuE7ELNS1_3repE0EEENS1_52radix_sort_onesweep_histogram_config_static_selectorELNS0_4arch9wavefront6targetE1EEEvSE_.private_seg_size, 0
	.set _ZN7rocprim17ROCPRIM_400000_NS6detail17trampoline_kernelINS0_14default_configENS1_35radix_sort_onesweep_config_selectorIhlEEZNS1_34radix_sort_onesweep_global_offsetsIS3_Lb0EPhN6thrust23THRUST_200600_302600_NS10device_ptrIlEEjNS0_19identity_decomposerEEE10hipError_tT1_T2_PT3_SG_jT4_jjP12ihipStream_tbEUlT_E_NS1_11comp_targetILNS1_3genE3ELNS1_11target_archE908ELNS1_3gpuE7ELNS1_3repE0EEENS1_52radix_sort_onesweep_histogram_config_static_selectorELNS0_4arch9wavefront6targetE1EEEvSE_.uses_vcc, 0
	.set _ZN7rocprim17ROCPRIM_400000_NS6detail17trampoline_kernelINS0_14default_configENS1_35radix_sort_onesweep_config_selectorIhlEEZNS1_34radix_sort_onesweep_global_offsetsIS3_Lb0EPhN6thrust23THRUST_200600_302600_NS10device_ptrIlEEjNS0_19identity_decomposerEEE10hipError_tT1_T2_PT3_SG_jT4_jjP12ihipStream_tbEUlT_E_NS1_11comp_targetILNS1_3genE3ELNS1_11target_archE908ELNS1_3gpuE7ELNS1_3repE0EEENS1_52radix_sort_onesweep_histogram_config_static_selectorELNS0_4arch9wavefront6targetE1EEEvSE_.uses_flat_scratch, 0
	.set _ZN7rocprim17ROCPRIM_400000_NS6detail17trampoline_kernelINS0_14default_configENS1_35radix_sort_onesweep_config_selectorIhlEEZNS1_34radix_sort_onesweep_global_offsetsIS3_Lb0EPhN6thrust23THRUST_200600_302600_NS10device_ptrIlEEjNS0_19identity_decomposerEEE10hipError_tT1_T2_PT3_SG_jT4_jjP12ihipStream_tbEUlT_E_NS1_11comp_targetILNS1_3genE3ELNS1_11target_archE908ELNS1_3gpuE7ELNS1_3repE0EEENS1_52radix_sort_onesweep_histogram_config_static_selectorELNS0_4arch9wavefront6targetE1EEEvSE_.has_dyn_sized_stack, 0
	.set _ZN7rocprim17ROCPRIM_400000_NS6detail17trampoline_kernelINS0_14default_configENS1_35radix_sort_onesweep_config_selectorIhlEEZNS1_34radix_sort_onesweep_global_offsetsIS3_Lb0EPhN6thrust23THRUST_200600_302600_NS10device_ptrIlEEjNS0_19identity_decomposerEEE10hipError_tT1_T2_PT3_SG_jT4_jjP12ihipStream_tbEUlT_E_NS1_11comp_targetILNS1_3genE3ELNS1_11target_archE908ELNS1_3gpuE7ELNS1_3repE0EEENS1_52radix_sort_onesweep_histogram_config_static_selectorELNS0_4arch9wavefront6targetE1EEEvSE_.has_recursion, 0
	.set _ZN7rocprim17ROCPRIM_400000_NS6detail17trampoline_kernelINS0_14default_configENS1_35radix_sort_onesweep_config_selectorIhlEEZNS1_34radix_sort_onesweep_global_offsetsIS3_Lb0EPhN6thrust23THRUST_200600_302600_NS10device_ptrIlEEjNS0_19identity_decomposerEEE10hipError_tT1_T2_PT3_SG_jT4_jjP12ihipStream_tbEUlT_E_NS1_11comp_targetILNS1_3genE3ELNS1_11target_archE908ELNS1_3gpuE7ELNS1_3repE0EEENS1_52radix_sort_onesweep_histogram_config_static_selectorELNS0_4arch9wavefront6targetE1EEEvSE_.has_indirect_call, 0
	.section	.AMDGPU.csdata,"",@progbits
; Kernel info:
; codeLenInByte = 0
; TotalNumSgprs: 4
; NumVgprs: 0
; ScratchSize: 0
; MemoryBound: 0
; FloatMode: 240
; IeeeMode: 1
; LDSByteSize: 0 bytes/workgroup (compile time only)
; SGPRBlocks: 0
; VGPRBlocks: 0
; NumSGPRsForWavesPerEU: 4
; NumVGPRsForWavesPerEU: 1
; Occupancy: 10
; WaveLimiterHint : 0
; COMPUTE_PGM_RSRC2:SCRATCH_EN: 0
; COMPUTE_PGM_RSRC2:USER_SGPR: 6
; COMPUTE_PGM_RSRC2:TRAP_HANDLER: 0
; COMPUTE_PGM_RSRC2:TGID_X_EN: 1
; COMPUTE_PGM_RSRC2:TGID_Y_EN: 0
; COMPUTE_PGM_RSRC2:TGID_Z_EN: 0
; COMPUTE_PGM_RSRC2:TIDIG_COMP_CNT: 0
	.section	.text._ZN7rocprim17ROCPRIM_400000_NS6detail17trampoline_kernelINS0_14default_configENS1_35radix_sort_onesweep_config_selectorIhlEEZNS1_34radix_sort_onesweep_global_offsetsIS3_Lb0EPhN6thrust23THRUST_200600_302600_NS10device_ptrIlEEjNS0_19identity_decomposerEEE10hipError_tT1_T2_PT3_SG_jT4_jjP12ihipStream_tbEUlT_E_NS1_11comp_targetILNS1_3genE10ELNS1_11target_archE1201ELNS1_3gpuE5ELNS1_3repE0EEENS1_52radix_sort_onesweep_histogram_config_static_selectorELNS0_4arch9wavefront6targetE1EEEvSE_,"axG",@progbits,_ZN7rocprim17ROCPRIM_400000_NS6detail17trampoline_kernelINS0_14default_configENS1_35radix_sort_onesweep_config_selectorIhlEEZNS1_34radix_sort_onesweep_global_offsetsIS3_Lb0EPhN6thrust23THRUST_200600_302600_NS10device_ptrIlEEjNS0_19identity_decomposerEEE10hipError_tT1_T2_PT3_SG_jT4_jjP12ihipStream_tbEUlT_E_NS1_11comp_targetILNS1_3genE10ELNS1_11target_archE1201ELNS1_3gpuE5ELNS1_3repE0EEENS1_52radix_sort_onesweep_histogram_config_static_selectorELNS0_4arch9wavefront6targetE1EEEvSE_,comdat
	.protected	_ZN7rocprim17ROCPRIM_400000_NS6detail17trampoline_kernelINS0_14default_configENS1_35radix_sort_onesweep_config_selectorIhlEEZNS1_34radix_sort_onesweep_global_offsetsIS3_Lb0EPhN6thrust23THRUST_200600_302600_NS10device_ptrIlEEjNS0_19identity_decomposerEEE10hipError_tT1_T2_PT3_SG_jT4_jjP12ihipStream_tbEUlT_E_NS1_11comp_targetILNS1_3genE10ELNS1_11target_archE1201ELNS1_3gpuE5ELNS1_3repE0EEENS1_52radix_sort_onesweep_histogram_config_static_selectorELNS0_4arch9wavefront6targetE1EEEvSE_ ; -- Begin function _ZN7rocprim17ROCPRIM_400000_NS6detail17trampoline_kernelINS0_14default_configENS1_35radix_sort_onesweep_config_selectorIhlEEZNS1_34radix_sort_onesweep_global_offsetsIS3_Lb0EPhN6thrust23THRUST_200600_302600_NS10device_ptrIlEEjNS0_19identity_decomposerEEE10hipError_tT1_T2_PT3_SG_jT4_jjP12ihipStream_tbEUlT_E_NS1_11comp_targetILNS1_3genE10ELNS1_11target_archE1201ELNS1_3gpuE5ELNS1_3repE0EEENS1_52radix_sort_onesweep_histogram_config_static_selectorELNS0_4arch9wavefront6targetE1EEEvSE_
	.globl	_ZN7rocprim17ROCPRIM_400000_NS6detail17trampoline_kernelINS0_14default_configENS1_35radix_sort_onesweep_config_selectorIhlEEZNS1_34radix_sort_onesweep_global_offsetsIS3_Lb0EPhN6thrust23THRUST_200600_302600_NS10device_ptrIlEEjNS0_19identity_decomposerEEE10hipError_tT1_T2_PT3_SG_jT4_jjP12ihipStream_tbEUlT_E_NS1_11comp_targetILNS1_3genE10ELNS1_11target_archE1201ELNS1_3gpuE5ELNS1_3repE0EEENS1_52radix_sort_onesweep_histogram_config_static_selectorELNS0_4arch9wavefront6targetE1EEEvSE_
	.p2align	8
	.type	_ZN7rocprim17ROCPRIM_400000_NS6detail17trampoline_kernelINS0_14default_configENS1_35radix_sort_onesweep_config_selectorIhlEEZNS1_34radix_sort_onesweep_global_offsetsIS3_Lb0EPhN6thrust23THRUST_200600_302600_NS10device_ptrIlEEjNS0_19identity_decomposerEEE10hipError_tT1_T2_PT3_SG_jT4_jjP12ihipStream_tbEUlT_E_NS1_11comp_targetILNS1_3genE10ELNS1_11target_archE1201ELNS1_3gpuE5ELNS1_3repE0EEENS1_52radix_sort_onesweep_histogram_config_static_selectorELNS0_4arch9wavefront6targetE1EEEvSE_,@function
_ZN7rocprim17ROCPRIM_400000_NS6detail17trampoline_kernelINS0_14default_configENS1_35radix_sort_onesweep_config_selectorIhlEEZNS1_34radix_sort_onesweep_global_offsetsIS3_Lb0EPhN6thrust23THRUST_200600_302600_NS10device_ptrIlEEjNS0_19identity_decomposerEEE10hipError_tT1_T2_PT3_SG_jT4_jjP12ihipStream_tbEUlT_E_NS1_11comp_targetILNS1_3genE10ELNS1_11target_archE1201ELNS1_3gpuE5ELNS1_3repE0EEENS1_52radix_sort_onesweep_histogram_config_static_selectorELNS0_4arch9wavefront6targetE1EEEvSE_: ; @_ZN7rocprim17ROCPRIM_400000_NS6detail17trampoline_kernelINS0_14default_configENS1_35radix_sort_onesweep_config_selectorIhlEEZNS1_34radix_sort_onesweep_global_offsetsIS3_Lb0EPhN6thrust23THRUST_200600_302600_NS10device_ptrIlEEjNS0_19identity_decomposerEEE10hipError_tT1_T2_PT3_SG_jT4_jjP12ihipStream_tbEUlT_E_NS1_11comp_targetILNS1_3genE10ELNS1_11target_archE1201ELNS1_3gpuE5ELNS1_3repE0EEENS1_52radix_sort_onesweep_histogram_config_static_selectorELNS0_4arch9wavefront6targetE1EEEvSE_
; %bb.0:
	.section	.rodata,"a",@progbits
	.p2align	6, 0x0
	.amdhsa_kernel _ZN7rocprim17ROCPRIM_400000_NS6detail17trampoline_kernelINS0_14default_configENS1_35radix_sort_onesweep_config_selectorIhlEEZNS1_34radix_sort_onesweep_global_offsetsIS3_Lb0EPhN6thrust23THRUST_200600_302600_NS10device_ptrIlEEjNS0_19identity_decomposerEEE10hipError_tT1_T2_PT3_SG_jT4_jjP12ihipStream_tbEUlT_E_NS1_11comp_targetILNS1_3genE10ELNS1_11target_archE1201ELNS1_3gpuE5ELNS1_3repE0EEENS1_52radix_sort_onesweep_histogram_config_static_selectorELNS0_4arch9wavefront6targetE1EEEvSE_
		.amdhsa_group_segment_fixed_size 0
		.amdhsa_private_segment_fixed_size 0
		.amdhsa_kernarg_size 40
		.amdhsa_user_sgpr_count 6
		.amdhsa_user_sgpr_private_segment_buffer 1
		.amdhsa_user_sgpr_dispatch_ptr 0
		.amdhsa_user_sgpr_queue_ptr 0
		.amdhsa_user_sgpr_kernarg_segment_ptr 1
		.amdhsa_user_sgpr_dispatch_id 0
		.amdhsa_user_sgpr_flat_scratch_init 0
		.amdhsa_user_sgpr_private_segment_size 0
		.amdhsa_uses_dynamic_stack 0
		.amdhsa_system_sgpr_private_segment_wavefront_offset 0
		.amdhsa_system_sgpr_workgroup_id_x 1
		.amdhsa_system_sgpr_workgroup_id_y 0
		.amdhsa_system_sgpr_workgroup_id_z 0
		.amdhsa_system_sgpr_workgroup_info 0
		.amdhsa_system_vgpr_workitem_id 0
		.amdhsa_next_free_vgpr 1
		.amdhsa_next_free_sgpr 0
		.amdhsa_reserve_vcc 0
		.amdhsa_reserve_flat_scratch 0
		.amdhsa_float_round_mode_32 0
		.amdhsa_float_round_mode_16_64 0
		.amdhsa_float_denorm_mode_32 3
		.amdhsa_float_denorm_mode_16_64 3
		.amdhsa_dx10_clamp 1
		.amdhsa_ieee_mode 1
		.amdhsa_fp16_overflow 0
		.amdhsa_exception_fp_ieee_invalid_op 0
		.amdhsa_exception_fp_denorm_src 0
		.amdhsa_exception_fp_ieee_div_zero 0
		.amdhsa_exception_fp_ieee_overflow 0
		.amdhsa_exception_fp_ieee_underflow 0
		.amdhsa_exception_fp_ieee_inexact 0
		.amdhsa_exception_int_div_zero 0
	.end_amdhsa_kernel
	.section	.text._ZN7rocprim17ROCPRIM_400000_NS6detail17trampoline_kernelINS0_14default_configENS1_35radix_sort_onesweep_config_selectorIhlEEZNS1_34radix_sort_onesweep_global_offsetsIS3_Lb0EPhN6thrust23THRUST_200600_302600_NS10device_ptrIlEEjNS0_19identity_decomposerEEE10hipError_tT1_T2_PT3_SG_jT4_jjP12ihipStream_tbEUlT_E_NS1_11comp_targetILNS1_3genE10ELNS1_11target_archE1201ELNS1_3gpuE5ELNS1_3repE0EEENS1_52radix_sort_onesweep_histogram_config_static_selectorELNS0_4arch9wavefront6targetE1EEEvSE_,"axG",@progbits,_ZN7rocprim17ROCPRIM_400000_NS6detail17trampoline_kernelINS0_14default_configENS1_35radix_sort_onesweep_config_selectorIhlEEZNS1_34radix_sort_onesweep_global_offsetsIS3_Lb0EPhN6thrust23THRUST_200600_302600_NS10device_ptrIlEEjNS0_19identity_decomposerEEE10hipError_tT1_T2_PT3_SG_jT4_jjP12ihipStream_tbEUlT_E_NS1_11comp_targetILNS1_3genE10ELNS1_11target_archE1201ELNS1_3gpuE5ELNS1_3repE0EEENS1_52radix_sort_onesweep_histogram_config_static_selectorELNS0_4arch9wavefront6targetE1EEEvSE_,comdat
.Lfunc_end243:
	.size	_ZN7rocprim17ROCPRIM_400000_NS6detail17trampoline_kernelINS0_14default_configENS1_35radix_sort_onesweep_config_selectorIhlEEZNS1_34radix_sort_onesweep_global_offsetsIS3_Lb0EPhN6thrust23THRUST_200600_302600_NS10device_ptrIlEEjNS0_19identity_decomposerEEE10hipError_tT1_T2_PT3_SG_jT4_jjP12ihipStream_tbEUlT_E_NS1_11comp_targetILNS1_3genE10ELNS1_11target_archE1201ELNS1_3gpuE5ELNS1_3repE0EEENS1_52radix_sort_onesweep_histogram_config_static_selectorELNS0_4arch9wavefront6targetE1EEEvSE_, .Lfunc_end243-_ZN7rocprim17ROCPRIM_400000_NS6detail17trampoline_kernelINS0_14default_configENS1_35radix_sort_onesweep_config_selectorIhlEEZNS1_34radix_sort_onesweep_global_offsetsIS3_Lb0EPhN6thrust23THRUST_200600_302600_NS10device_ptrIlEEjNS0_19identity_decomposerEEE10hipError_tT1_T2_PT3_SG_jT4_jjP12ihipStream_tbEUlT_E_NS1_11comp_targetILNS1_3genE10ELNS1_11target_archE1201ELNS1_3gpuE5ELNS1_3repE0EEENS1_52radix_sort_onesweep_histogram_config_static_selectorELNS0_4arch9wavefront6targetE1EEEvSE_
                                        ; -- End function
	.set _ZN7rocprim17ROCPRIM_400000_NS6detail17trampoline_kernelINS0_14default_configENS1_35radix_sort_onesweep_config_selectorIhlEEZNS1_34radix_sort_onesweep_global_offsetsIS3_Lb0EPhN6thrust23THRUST_200600_302600_NS10device_ptrIlEEjNS0_19identity_decomposerEEE10hipError_tT1_T2_PT3_SG_jT4_jjP12ihipStream_tbEUlT_E_NS1_11comp_targetILNS1_3genE10ELNS1_11target_archE1201ELNS1_3gpuE5ELNS1_3repE0EEENS1_52radix_sort_onesweep_histogram_config_static_selectorELNS0_4arch9wavefront6targetE1EEEvSE_.num_vgpr, 0
	.set _ZN7rocprim17ROCPRIM_400000_NS6detail17trampoline_kernelINS0_14default_configENS1_35radix_sort_onesweep_config_selectorIhlEEZNS1_34radix_sort_onesweep_global_offsetsIS3_Lb0EPhN6thrust23THRUST_200600_302600_NS10device_ptrIlEEjNS0_19identity_decomposerEEE10hipError_tT1_T2_PT3_SG_jT4_jjP12ihipStream_tbEUlT_E_NS1_11comp_targetILNS1_3genE10ELNS1_11target_archE1201ELNS1_3gpuE5ELNS1_3repE0EEENS1_52radix_sort_onesweep_histogram_config_static_selectorELNS0_4arch9wavefront6targetE1EEEvSE_.num_agpr, 0
	.set _ZN7rocprim17ROCPRIM_400000_NS6detail17trampoline_kernelINS0_14default_configENS1_35radix_sort_onesweep_config_selectorIhlEEZNS1_34radix_sort_onesweep_global_offsetsIS3_Lb0EPhN6thrust23THRUST_200600_302600_NS10device_ptrIlEEjNS0_19identity_decomposerEEE10hipError_tT1_T2_PT3_SG_jT4_jjP12ihipStream_tbEUlT_E_NS1_11comp_targetILNS1_3genE10ELNS1_11target_archE1201ELNS1_3gpuE5ELNS1_3repE0EEENS1_52radix_sort_onesweep_histogram_config_static_selectorELNS0_4arch9wavefront6targetE1EEEvSE_.numbered_sgpr, 0
	.set _ZN7rocprim17ROCPRIM_400000_NS6detail17trampoline_kernelINS0_14default_configENS1_35radix_sort_onesweep_config_selectorIhlEEZNS1_34radix_sort_onesweep_global_offsetsIS3_Lb0EPhN6thrust23THRUST_200600_302600_NS10device_ptrIlEEjNS0_19identity_decomposerEEE10hipError_tT1_T2_PT3_SG_jT4_jjP12ihipStream_tbEUlT_E_NS1_11comp_targetILNS1_3genE10ELNS1_11target_archE1201ELNS1_3gpuE5ELNS1_3repE0EEENS1_52radix_sort_onesweep_histogram_config_static_selectorELNS0_4arch9wavefront6targetE1EEEvSE_.num_named_barrier, 0
	.set _ZN7rocprim17ROCPRIM_400000_NS6detail17trampoline_kernelINS0_14default_configENS1_35radix_sort_onesweep_config_selectorIhlEEZNS1_34radix_sort_onesweep_global_offsetsIS3_Lb0EPhN6thrust23THRUST_200600_302600_NS10device_ptrIlEEjNS0_19identity_decomposerEEE10hipError_tT1_T2_PT3_SG_jT4_jjP12ihipStream_tbEUlT_E_NS1_11comp_targetILNS1_3genE10ELNS1_11target_archE1201ELNS1_3gpuE5ELNS1_3repE0EEENS1_52radix_sort_onesweep_histogram_config_static_selectorELNS0_4arch9wavefront6targetE1EEEvSE_.private_seg_size, 0
	.set _ZN7rocprim17ROCPRIM_400000_NS6detail17trampoline_kernelINS0_14default_configENS1_35radix_sort_onesweep_config_selectorIhlEEZNS1_34radix_sort_onesweep_global_offsetsIS3_Lb0EPhN6thrust23THRUST_200600_302600_NS10device_ptrIlEEjNS0_19identity_decomposerEEE10hipError_tT1_T2_PT3_SG_jT4_jjP12ihipStream_tbEUlT_E_NS1_11comp_targetILNS1_3genE10ELNS1_11target_archE1201ELNS1_3gpuE5ELNS1_3repE0EEENS1_52radix_sort_onesweep_histogram_config_static_selectorELNS0_4arch9wavefront6targetE1EEEvSE_.uses_vcc, 0
	.set _ZN7rocprim17ROCPRIM_400000_NS6detail17trampoline_kernelINS0_14default_configENS1_35radix_sort_onesweep_config_selectorIhlEEZNS1_34radix_sort_onesweep_global_offsetsIS3_Lb0EPhN6thrust23THRUST_200600_302600_NS10device_ptrIlEEjNS0_19identity_decomposerEEE10hipError_tT1_T2_PT3_SG_jT4_jjP12ihipStream_tbEUlT_E_NS1_11comp_targetILNS1_3genE10ELNS1_11target_archE1201ELNS1_3gpuE5ELNS1_3repE0EEENS1_52radix_sort_onesweep_histogram_config_static_selectorELNS0_4arch9wavefront6targetE1EEEvSE_.uses_flat_scratch, 0
	.set _ZN7rocprim17ROCPRIM_400000_NS6detail17trampoline_kernelINS0_14default_configENS1_35radix_sort_onesweep_config_selectorIhlEEZNS1_34radix_sort_onesweep_global_offsetsIS3_Lb0EPhN6thrust23THRUST_200600_302600_NS10device_ptrIlEEjNS0_19identity_decomposerEEE10hipError_tT1_T2_PT3_SG_jT4_jjP12ihipStream_tbEUlT_E_NS1_11comp_targetILNS1_3genE10ELNS1_11target_archE1201ELNS1_3gpuE5ELNS1_3repE0EEENS1_52radix_sort_onesweep_histogram_config_static_selectorELNS0_4arch9wavefront6targetE1EEEvSE_.has_dyn_sized_stack, 0
	.set _ZN7rocprim17ROCPRIM_400000_NS6detail17trampoline_kernelINS0_14default_configENS1_35radix_sort_onesweep_config_selectorIhlEEZNS1_34radix_sort_onesweep_global_offsetsIS3_Lb0EPhN6thrust23THRUST_200600_302600_NS10device_ptrIlEEjNS0_19identity_decomposerEEE10hipError_tT1_T2_PT3_SG_jT4_jjP12ihipStream_tbEUlT_E_NS1_11comp_targetILNS1_3genE10ELNS1_11target_archE1201ELNS1_3gpuE5ELNS1_3repE0EEENS1_52radix_sort_onesweep_histogram_config_static_selectorELNS0_4arch9wavefront6targetE1EEEvSE_.has_recursion, 0
	.set _ZN7rocprim17ROCPRIM_400000_NS6detail17trampoline_kernelINS0_14default_configENS1_35radix_sort_onesweep_config_selectorIhlEEZNS1_34radix_sort_onesweep_global_offsetsIS3_Lb0EPhN6thrust23THRUST_200600_302600_NS10device_ptrIlEEjNS0_19identity_decomposerEEE10hipError_tT1_T2_PT3_SG_jT4_jjP12ihipStream_tbEUlT_E_NS1_11comp_targetILNS1_3genE10ELNS1_11target_archE1201ELNS1_3gpuE5ELNS1_3repE0EEENS1_52radix_sort_onesweep_histogram_config_static_selectorELNS0_4arch9wavefront6targetE1EEEvSE_.has_indirect_call, 0
	.section	.AMDGPU.csdata,"",@progbits
; Kernel info:
; codeLenInByte = 0
; TotalNumSgprs: 4
; NumVgprs: 0
; ScratchSize: 0
; MemoryBound: 0
; FloatMode: 240
; IeeeMode: 1
; LDSByteSize: 0 bytes/workgroup (compile time only)
; SGPRBlocks: 0
; VGPRBlocks: 0
; NumSGPRsForWavesPerEU: 4
; NumVGPRsForWavesPerEU: 1
; Occupancy: 10
; WaveLimiterHint : 0
; COMPUTE_PGM_RSRC2:SCRATCH_EN: 0
; COMPUTE_PGM_RSRC2:USER_SGPR: 6
; COMPUTE_PGM_RSRC2:TRAP_HANDLER: 0
; COMPUTE_PGM_RSRC2:TGID_X_EN: 1
; COMPUTE_PGM_RSRC2:TGID_Y_EN: 0
; COMPUTE_PGM_RSRC2:TGID_Z_EN: 0
; COMPUTE_PGM_RSRC2:TIDIG_COMP_CNT: 0
	.section	.text._ZN7rocprim17ROCPRIM_400000_NS6detail17trampoline_kernelINS0_14default_configENS1_35radix_sort_onesweep_config_selectorIhlEEZNS1_34radix_sort_onesweep_global_offsetsIS3_Lb0EPhN6thrust23THRUST_200600_302600_NS10device_ptrIlEEjNS0_19identity_decomposerEEE10hipError_tT1_T2_PT3_SG_jT4_jjP12ihipStream_tbEUlT_E_NS1_11comp_targetILNS1_3genE9ELNS1_11target_archE1100ELNS1_3gpuE3ELNS1_3repE0EEENS1_52radix_sort_onesweep_histogram_config_static_selectorELNS0_4arch9wavefront6targetE1EEEvSE_,"axG",@progbits,_ZN7rocprim17ROCPRIM_400000_NS6detail17trampoline_kernelINS0_14default_configENS1_35radix_sort_onesweep_config_selectorIhlEEZNS1_34radix_sort_onesweep_global_offsetsIS3_Lb0EPhN6thrust23THRUST_200600_302600_NS10device_ptrIlEEjNS0_19identity_decomposerEEE10hipError_tT1_T2_PT3_SG_jT4_jjP12ihipStream_tbEUlT_E_NS1_11comp_targetILNS1_3genE9ELNS1_11target_archE1100ELNS1_3gpuE3ELNS1_3repE0EEENS1_52radix_sort_onesweep_histogram_config_static_selectorELNS0_4arch9wavefront6targetE1EEEvSE_,comdat
	.protected	_ZN7rocprim17ROCPRIM_400000_NS6detail17trampoline_kernelINS0_14default_configENS1_35radix_sort_onesweep_config_selectorIhlEEZNS1_34radix_sort_onesweep_global_offsetsIS3_Lb0EPhN6thrust23THRUST_200600_302600_NS10device_ptrIlEEjNS0_19identity_decomposerEEE10hipError_tT1_T2_PT3_SG_jT4_jjP12ihipStream_tbEUlT_E_NS1_11comp_targetILNS1_3genE9ELNS1_11target_archE1100ELNS1_3gpuE3ELNS1_3repE0EEENS1_52radix_sort_onesweep_histogram_config_static_selectorELNS0_4arch9wavefront6targetE1EEEvSE_ ; -- Begin function _ZN7rocprim17ROCPRIM_400000_NS6detail17trampoline_kernelINS0_14default_configENS1_35radix_sort_onesweep_config_selectorIhlEEZNS1_34radix_sort_onesweep_global_offsetsIS3_Lb0EPhN6thrust23THRUST_200600_302600_NS10device_ptrIlEEjNS0_19identity_decomposerEEE10hipError_tT1_T2_PT3_SG_jT4_jjP12ihipStream_tbEUlT_E_NS1_11comp_targetILNS1_3genE9ELNS1_11target_archE1100ELNS1_3gpuE3ELNS1_3repE0EEENS1_52radix_sort_onesweep_histogram_config_static_selectorELNS0_4arch9wavefront6targetE1EEEvSE_
	.globl	_ZN7rocprim17ROCPRIM_400000_NS6detail17trampoline_kernelINS0_14default_configENS1_35radix_sort_onesweep_config_selectorIhlEEZNS1_34radix_sort_onesweep_global_offsetsIS3_Lb0EPhN6thrust23THRUST_200600_302600_NS10device_ptrIlEEjNS0_19identity_decomposerEEE10hipError_tT1_T2_PT3_SG_jT4_jjP12ihipStream_tbEUlT_E_NS1_11comp_targetILNS1_3genE9ELNS1_11target_archE1100ELNS1_3gpuE3ELNS1_3repE0EEENS1_52radix_sort_onesweep_histogram_config_static_selectorELNS0_4arch9wavefront6targetE1EEEvSE_
	.p2align	8
	.type	_ZN7rocprim17ROCPRIM_400000_NS6detail17trampoline_kernelINS0_14default_configENS1_35radix_sort_onesweep_config_selectorIhlEEZNS1_34radix_sort_onesweep_global_offsetsIS3_Lb0EPhN6thrust23THRUST_200600_302600_NS10device_ptrIlEEjNS0_19identity_decomposerEEE10hipError_tT1_T2_PT3_SG_jT4_jjP12ihipStream_tbEUlT_E_NS1_11comp_targetILNS1_3genE9ELNS1_11target_archE1100ELNS1_3gpuE3ELNS1_3repE0EEENS1_52radix_sort_onesweep_histogram_config_static_selectorELNS0_4arch9wavefront6targetE1EEEvSE_,@function
_ZN7rocprim17ROCPRIM_400000_NS6detail17trampoline_kernelINS0_14default_configENS1_35radix_sort_onesweep_config_selectorIhlEEZNS1_34radix_sort_onesweep_global_offsetsIS3_Lb0EPhN6thrust23THRUST_200600_302600_NS10device_ptrIlEEjNS0_19identity_decomposerEEE10hipError_tT1_T2_PT3_SG_jT4_jjP12ihipStream_tbEUlT_E_NS1_11comp_targetILNS1_3genE9ELNS1_11target_archE1100ELNS1_3gpuE3ELNS1_3repE0EEENS1_52radix_sort_onesweep_histogram_config_static_selectorELNS0_4arch9wavefront6targetE1EEEvSE_: ; @_ZN7rocprim17ROCPRIM_400000_NS6detail17trampoline_kernelINS0_14default_configENS1_35radix_sort_onesweep_config_selectorIhlEEZNS1_34radix_sort_onesweep_global_offsetsIS3_Lb0EPhN6thrust23THRUST_200600_302600_NS10device_ptrIlEEjNS0_19identity_decomposerEEE10hipError_tT1_T2_PT3_SG_jT4_jjP12ihipStream_tbEUlT_E_NS1_11comp_targetILNS1_3genE9ELNS1_11target_archE1100ELNS1_3gpuE3ELNS1_3repE0EEENS1_52radix_sort_onesweep_histogram_config_static_selectorELNS0_4arch9wavefront6targetE1EEEvSE_
; %bb.0:
	.section	.rodata,"a",@progbits
	.p2align	6, 0x0
	.amdhsa_kernel _ZN7rocprim17ROCPRIM_400000_NS6detail17trampoline_kernelINS0_14default_configENS1_35radix_sort_onesweep_config_selectorIhlEEZNS1_34radix_sort_onesweep_global_offsetsIS3_Lb0EPhN6thrust23THRUST_200600_302600_NS10device_ptrIlEEjNS0_19identity_decomposerEEE10hipError_tT1_T2_PT3_SG_jT4_jjP12ihipStream_tbEUlT_E_NS1_11comp_targetILNS1_3genE9ELNS1_11target_archE1100ELNS1_3gpuE3ELNS1_3repE0EEENS1_52radix_sort_onesweep_histogram_config_static_selectorELNS0_4arch9wavefront6targetE1EEEvSE_
		.amdhsa_group_segment_fixed_size 0
		.amdhsa_private_segment_fixed_size 0
		.amdhsa_kernarg_size 40
		.amdhsa_user_sgpr_count 6
		.amdhsa_user_sgpr_private_segment_buffer 1
		.amdhsa_user_sgpr_dispatch_ptr 0
		.amdhsa_user_sgpr_queue_ptr 0
		.amdhsa_user_sgpr_kernarg_segment_ptr 1
		.amdhsa_user_sgpr_dispatch_id 0
		.amdhsa_user_sgpr_flat_scratch_init 0
		.amdhsa_user_sgpr_private_segment_size 0
		.amdhsa_uses_dynamic_stack 0
		.amdhsa_system_sgpr_private_segment_wavefront_offset 0
		.amdhsa_system_sgpr_workgroup_id_x 1
		.amdhsa_system_sgpr_workgroup_id_y 0
		.amdhsa_system_sgpr_workgroup_id_z 0
		.amdhsa_system_sgpr_workgroup_info 0
		.amdhsa_system_vgpr_workitem_id 0
		.amdhsa_next_free_vgpr 1
		.amdhsa_next_free_sgpr 0
		.amdhsa_reserve_vcc 0
		.amdhsa_reserve_flat_scratch 0
		.amdhsa_float_round_mode_32 0
		.amdhsa_float_round_mode_16_64 0
		.amdhsa_float_denorm_mode_32 3
		.amdhsa_float_denorm_mode_16_64 3
		.amdhsa_dx10_clamp 1
		.amdhsa_ieee_mode 1
		.amdhsa_fp16_overflow 0
		.amdhsa_exception_fp_ieee_invalid_op 0
		.amdhsa_exception_fp_denorm_src 0
		.amdhsa_exception_fp_ieee_div_zero 0
		.amdhsa_exception_fp_ieee_overflow 0
		.amdhsa_exception_fp_ieee_underflow 0
		.amdhsa_exception_fp_ieee_inexact 0
		.amdhsa_exception_int_div_zero 0
	.end_amdhsa_kernel
	.section	.text._ZN7rocprim17ROCPRIM_400000_NS6detail17trampoline_kernelINS0_14default_configENS1_35radix_sort_onesweep_config_selectorIhlEEZNS1_34radix_sort_onesweep_global_offsetsIS3_Lb0EPhN6thrust23THRUST_200600_302600_NS10device_ptrIlEEjNS0_19identity_decomposerEEE10hipError_tT1_T2_PT3_SG_jT4_jjP12ihipStream_tbEUlT_E_NS1_11comp_targetILNS1_3genE9ELNS1_11target_archE1100ELNS1_3gpuE3ELNS1_3repE0EEENS1_52radix_sort_onesweep_histogram_config_static_selectorELNS0_4arch9wavefront6targetE1EEEvSE_,"axG",@progbits,_ZN7rocprim17ROCPRIM_400000_NS6detail17trampoline_kernelINS0_14default_configENS1_35radix_sort_onesweep_config_selectorIhlEEZNS1_34radix_sort_onesweep_global_offsetsIS3_Lb0EPhN6thrust23THRUST_200600_302600_NS10device_ptrIlEEjNS0_19identity_decomposerEEE10hipError_tT1_T2_PT3_SG_jT4_jjP12ihipStream_tbEUlT_E_NS1_11comp_targetILNS1_3genE9ELNS1_11target_archE1100ELNS1_3gpuE3ELNS1_3repE0EEENS1_52radix_sort_onesweep_histogram_config_static_selectorELNS0_4arch9wavefront6targetE1EEEvSE_,comdat
.Lfunc_end244:
	.size	_ZN7rocprim17ROCPRIM_400000_NS6detail17trampoline_kernelINS0_14default_configENS1_35radix_sort_onesweep_config_selectorIhlEEZNS1_34radix_sort_onesweep_global_offsetsIS3_Lb0EPhN6thrust23THRUST_200600_302600_NS10device_ptrIlEEjNS0_19identity_decomposerEEE10hipError_tT1_T2_PT3_SG_jT4_jjP12ihipStream_tbEUlT_E_NS1_11comp_targetILNS1_3genE9ELNS1_11target_archE1100ELNS1_3gpuE3ELNS1_3repE0EEENS1_52radix_sort_onesweep_histogram_config_static_selectorELNS0_4arch9wavefront6targetE1EEEvSE_, .Lfunc_end244-_ZN7rocprim17ROCPRIM_400000_NS6detail17trampoline_kernelINS0_14default_configENS1_35radix_sort_onesweep_config_selectorIhlEEZNS1_34radix_sort_onesweep_global_offsetsIS3_Lb0EPhN6thrust23THRUST_200600_302600_NS10device_ptrIlEEjNS0_19identity_decomposerEEE10hipError_tT1_T2_PT3_SG_jT4_jjP12ihipStream_tbEUlT_E_NS1_11comp_targetILNS1_3genE9ELNS1_11target_archE1100ELNS1_3gpuE3ELNS1_3repE0EEENS1_52radix_sort_onesweep_histogram_config_static_selectorELNS0_4arch9wavefront6targetE1EEEvSE_
                                        ; -- End function
	.set _ZN7rocprim17ROCPRIM_400000_NS6detail17trampoline_kernelINS0_14default_configENS1_35radix_sort_onesweep_config_selectorIhlEEZNS1_34radix_sort_onesweep_global_offsetsIS3_Lb0EPhN6thrust23THRUST_200600_302600_NS10device_ptrIlEEjNS0_19identity_decomposerEEE10hipError_tT1_T2_PT3_SG_jT4_jjP12ihipStream_tbEUlT_E_NS1_11comp_targetILNS1_3genE9ELNS1_11target_archE1100ELNS1_3gpuE3ELNS1_3repE0EEENS1_52radix_sort_onesweep_histogram_config_static_selectorELNS0_4arch9wavefront6targetE1EEEvSE_.num_vgpr, 0
	.set _ZN7rocprim17ROCPRIM_400000_NS6detail17trampoline_kernelINS0_14default_configENS1_35radix_sort_onesweep_config_selectorIhlEEZNS1_34radix_sort_onesweep_global_offsetsIS3_Lb0EPhN6thrust23THRUST_200600_302600_NS10device_ptrIlEEjNS0_19identity_decomposerEEE10hipError_tT1_T2_PT3_SG_jT4_jjP12ihipStream_tbEUlT_E_NS1_11comp_targetILNS1_3genE9ELNS1_11target_archE1100ELNS1_3gpuE3ELNS1_3repE0EEENS1_52radix_sort_onesweep_histogram_config_static_selectorELNS0_4arch9wavefront6targetE1EEEvSE_.num_agpr, 0
	.set _ZN7rocprim17ROCPRIM_400000_NS6detail17trampoline_kernelINS0_14default_configENS1_35radix_sort_onesweep_config_selectorIhlEEZNS1_34radix_sort_onesweep_global_offsetsIS3_Lb0EPhN6thrust23THRUST_200600_302600_NS10device_ptrIlEEjNS0_19identity_decomposerEEE10hipError_tT1_T2_PT3_SG_jT4_jjP12ihipStream_tbEUlT_E_NS1_11comp_targetILNS1_3genE9ELNS1_11target_archE1100ELNS1_3gpuE3ELNS1_3repE0EEENS1_52radix_sort_onesweep_histogram_config_static_selectorELNS0_4arch9wavefront6targetE1EEEvSE_.numbered_sgpr, 0
	.set _ZN7rocprim17ROCPRIM_400000_NS6detail17trampoline_kernelINS0_14default_configENS1_35radix_sort_onesweep_config_selectorIhlEEZNS1_34radix_sort_onesweep_global_offsetsIS3_Lb0EPhN6thrust23THRUST_200600_302600_NS10device_ptrIlEEjNS0_19identity_decomposerEEE10hipError_tT1_T2_PT3_SG_jT4_jjP12ihipStream_tbEUlT_E_NS1_11comp_targetILNS1_3genE9ELNS1_11target_archE1100ELNS1_3gpuE3ELNS1_3repE0EEENS1_52radix_sort_onesweep_histogram_config_static_selectorELNS0_4arch9wavefront6targetE1EEEvSE_.num_named_barrier, 0
	.set _ZN7rocprim17ROCPRIM_400000_NS6detail17trampoline_kernelINS0_14default_configENS1_35radix_sort_onesweep_config_selectorIhlEEZNS1_34radix_sort_onesweep_global_offsetsIS3_Lb0EPhN6thrust23THRUST_200600_302600_NS10device_ptrIlEEjNS0_19identity_decomposerEEE10hipError_tT1_T2_PT3_SG_jT4_jjP12ihipStream_tbEUlT_E_NS1_11comp_targetILNS1_3genE9ELNS1_11target_archE1100ELNS1_3gpuE3ELNS1_3repE0EEENS1_52radix_sort_onesweep_histogram_config_static_selectorELNS0_4arch9wavefront6targetE1EEEvSE_.private_seg_size, 0
	.set _ZN7rocprim17ROCPRIM_400000_NS6detail17trampoline_kernelINS0_14default_configENS1_35radix_sort_onesweep_config_selectorIhlEEZNS1_34radix_sort_onesweep_global_offsetsIS3_Lb0EPhN6thrust23THRUST_200600_302600_NS10device_ptrIlEEjNS0_19identity_decomposerEEE10hipError_tT1_T2_PT3_SG_jT4_jjP12ihipStream_tbEUlT_E_NS1_11comp_targetILNS1_3genE9ELNS1_11target_archE1100ELNS1_3gpuE3ELNS1_3repE0EEENS1_52radix_sort_onesweep_histogram_config_static_selectorELNS0_4arch9wavefront6targetE1EEEvSE_.uses_vcc, 0
	.set _ZN7rocprim17ROCPRIM_400000_NS6detail17trampoline_kernelINS0_14default_configENS1_35radix_sort_onesweep_config_selectorIhlEEZNS1_34radix_sort_onesweep_global_offsetsIS3_Lb0EPhN6thrust23THRUST_200600_302600_NS10device_ptrIlEEjNS0_19identity_decomposerEEE10hipError_tT1_T2_PT3_SG_jT4_jjP12ihipStream_tbEUlT_E_NS1_11comp_targetILNS1_3genE9ELNS1_11target_archE1100ELNS1_3gpuE3ELNS1_3repE0EEENS1_52radix_sort_onesweep_histogram_config_static_selectorELNS0_4arch9wavefront6targetE1EEEvSE_.uses_flat_scratch, 0
	.set _ZN7rocprim17ROCPRIM_400000_NS6detail17trampoline_kernelINS0_14default_configENS1_35radix_sort_onesweep_config_selectorIhlEEZNS1_34radix_sort_onesweep_global_offsetsIS3_Lb0EPhN6thrust23THRUST_200600_302600_NS10device_ptrIlEEjNS0_19identity_decomposerEEE10hipError_tT1_T2_PT3_SG_jT4_jjP12ihipStream_tbEUlT_E_NS1_11comp_targetILNS1_3genE9ELNS1_11target_archE1100ELNS1_3gpuE3ELNS1_3repE0EEENS1_52radix_sort_onesweep_histogram_config_static_selectorELNS0_4arch9wavefront6targetE1EEEvSE_.has_dyn_sized_stack, 0
	.set _ZN7rocprim17ROCPRIM_400000_NS6detail17trampoline_kernelINS0_14default_configENS1_35radix_sort_onesweep_config_selectorIhlEEZNS1_34radix_sort_onesweep_global_offsetsIS3_Lb0EPhN6thrust23THRUST_200600_302600_NS10device_ptrIlEEjNS0_19identity_decomposerEEE10hipError_tT1_T2_PT3_SG_jT4_jjP12ihipStream_tbEUlT_E_NS1_11comp_targetILNS1_3genE9ELNS1_11target_archE1100ELNS1_3gpuE3ELNS1_3repE0EEENS1_52radix_sort_onesweep_histogram_config_static_selectorELNS0_4arch9wavefront6targetE1EEEvSE_.has_recursion, 0
	.set _ZN7rocprim17ROCPRIM_400000_NS6detail17trampoline_kernelINS0_14default_configENS1_35radix_sort_onesweep_config_selectorIhlEEZNS1_34radix_sort_onesweep_global_offsetsIS3_Lb0EPhN6thrust23THRUST_200600_302600_NS10device_ptrIlEEjNS0_19identity_decomposerEEE10hipError_tT1_T2_PT3_SG_jT4_jjP12ihipStream_tbEUlT_E_NS1_11comp_targetILNS1_3genE9ELNS1_11target_archE1100ELNS1_3gpuE3ELNS1_3repE0EEENS1_52radix_sort_onesweep_histogram_config_static_selectorELNS0_4arch9wavefront6targetE1EEEvSE_.has_indirect_call, 0
	.section	.AMDGPU.csdata,"",@progbits
; Kernel info:
; codeLenInByte = 0
; TotalNumSgprs: 4
; NumVgprs: 0
; ScratchSize: 0
; MemoryBound: 0
; FloatMode: 240
; IeeeMode: 1
; LDSByteSize: 0 bytes/workgroup (compile time only)
; SGPRBlocks: 0
; VGPRBlocks: 0
; NumSGPRsForWavesPerEU: 4
; NumVGPRsForWavesPerEU: 1
; Occupancy: 10
; WaveLimiterHint : 0
; COMPUTE_PGM_RSRC2:SCRATCH_EN: 0
; COMPUTE_PGM_RSRC2:USER_SGPR: 6
; COMPUTE_PGM_RSRC2:TRAP_HANDLER: 0
; COMPUTE_PGM_RSRC2:TGID_X_EN: 1
; COMPUTE_PGM_RSRC2:TGID_Y_EN: 0
; COMPUTE_PGM_RSRC2:TGID_Z_EN: 0
; COMPUTE_PGM_RSRC2:TIDIG_COMP_CNT: 0
	.section	.text._ZN7rocprim17ROCPRIM_400000_NS6detail17trampoline_kernelINS0_14default_configENS1_35radix_sort_onesweep_config_selectorIhlEEZNS1_34radix_sort_onesweep_global_offsetsIS3_Lb0EPhN6thrust23THRUST_200600_302600_NS10device_ptrIlEEjNS0_19identity_decomposerEEE10hipError_tT1_T2_PT3_SG_jT4_jjP12ihipStream_tbEUlT_E_NS1_11comp_targetILNS1_3genE8ELNS1_11target_archE1030ELNS1_3gpuE2ELNS1_3repE0EEENS1_52radix_sort_onesweep_histogram_config_static_selectorELNS0_4arch9wavefront6targetE1EEEvSE_,"axG",@progbits,_ZN7rocprim17ROCPRIM_400000_NS6detail17trampoline_kernelINS0_14default_configENS1_35radix_sort_onesweep_config_selectorIhlEEZNS1_34radix_sort_onesweep_global_offsetsIS3_Lb0EPhN6thrust23THRUST_200600_302600_NS10device_ptrIlEEjNS0_19identity_decomposerEEE10hipError_tT1_T2_PT3_SG_jT4_jjP12ihipStream_tbEUlT_E_NS1_11comp_targetILNS1_3genE8ELNS1_11target_archE1030ELNS1_3gpuE2ELNS1_3repE0EEENS1_52radix_sort_onesweep_histogram_config_static_selectorELNS0_4arch9wavefront6targetE1EEEvSE_,comdat
	.protected	_ZN7rocprim17ROCPRIM_400000_NS6detail17trampoline_kernelINS0_14default_configENS1_35radix_sort_onesweep_config_selectorIhlEEZNS1_34radix_sort_onesweep_global_offsetsIS3_Lb0EPhN6thrust23THRUST_200600_302600_NS10device_ptrIlEEjNS0_19identity_decomposerEEE10hipError_tT1_T2_PT3_SG_jT4_jjP12ihipStream_tbEUlT_E_NS1_11comp_targetILNS1_3genE8ELNS1_11target_archE1030ELNS1_3gpuE2ELNS1_3repE0EEENS1_52radix_sort_onesweep_histogram_config_static_selectorELNS0_4arch9wavefront6targetE1EEEvSE_ ; -- Begin function _ZN7rocprim17ROCPRIM_400000_NS6detail17trampoline_kernelINS0_14default_configENS1_35radix_sort_onesweep_config_selectorIhlEEZNS1_34radix_sort_onesweep_global_offsetsIS3_Lb0EPhN6thrust23THRUST_200600_302600_NS10device_ptrIlEEjNS0_19identity_decomposerEEE10hipError_tT1_T2_PT3_SG_jT4_jjP12ihipStream_tbEUlT_E_NS1_11comp_targetILNS1_3genE8ELNS1_11target_archE1030ELNS1_3gpuE2ELNS1_3repE0EEENS1_52radix_sort_onesweep_histogram_config_static_selectorELNS0_4arch9wavefront6targetE1EEEvSE_
	.globl	_ZN7rocprim17ROCPRIM_400000_NS6detail17trampoline_kernelINS0_14default_configENS1_35radix_sort_onesweep_config_selectorIhlEEZNS1_34radix_sort_onesweep_global_offsetsIS3_Lb0EPhN6thrust23THRUST_200600_302600_NS10device_ptrIlEEjNS0_19identity_decomposerEEE10hipError_tT1_T2_PT3_SG_jT4_jjP12ihipStream_tbEUlT_E_NS1_11comp_targetILNS1_3genE8ELNS1_11target_archE1030ELNS1_3gpuE2ELNS1_3repE0EEENS1_52radix_sort_onesweep_histogram_config_static_selectorELNS0_4arch9wavefront6targetE1EEEvSE_
	.p2align	8
	.type	_ZN7rocprim17ROCPRIM_400000_NS6detail17trampoline_kernelINS0_14default_configENS1_35radix_sort_onesweep_config_selectorIhlEEZNS1_34radix_sort_onesweep_global_offsetsIS3_Lb0EPhN6thrust23THRUST_200600_302600_NS10device_ptrIlEEjNS0_19identity_decomposerEEE10hipError_tT1_T2_PT3_SG_jT4_jjP12ihipStream_tbEUlT_E_NS1_11comp_targetILNS1_3genE8ELNS1_11target_archE1030ELNS1_3gpuE2ELNS1_3repE0EEENS1_52radix_sort_onesweep_histogram_config_static_selectorELNS0_4arch9wavefront6targetE1EEEvSE_,@function
_ZN7rocprim17ROCPRIM_400000_NS6detail17trampoline_kernelINS0_14default_configENS1_35radix_sort_onesweep_config_selectorIhlEEZNS1_34radix_sort_onesweep_global_offsetsIS3_Lb0EPhN6thrust23THRUST_200600_302600_NS10device_ptrIlEEjNS0_19identity_decomposerEEE10hipError_tT1_T2_PT3_SG_jT4_jjP12ihipStream_tbEUlT_E_NS1_11comp_targetILNS1_3genE8ELNS1_11target_archE1030ELNS1_3gpuE2ELNS1_3repE0EEENS1_52radix_sort_onesweep_histogram_config_static_selectorELNS0_4arch9wavefront6targetE1EEEvSE_: ; @_ZN7rocprim17ROCPRIM_400000_NS6detail17trampoline_kernelINS0_14default_configENS1_35radix_sort_onesweep_config_selectorIhlEEZNS1_34radix_sort_onesweep_global_offsetsIS3_Lb0EPhN6thrust23THRUST_200600_302600_NS10device_ptrIlEEjNS0_19identity_decomposerEEE10hipError_tT1_T2_PT3_SG_jT4_jjP12ihipStream_tbEUlT_E_NS1_11comp_targetILNS1_3genE8ELNS1_11target_archE1030ELNS1_3gpuE2ELNS1_3repE0EEENS1_52radix_sort_onesweep_histogram_config_static_selectorELNS0_4arch9wavefront6targetE1EEEvSE_
; %bb.0:
	.section	.rodata,"a",@progbits
	.p2align	6, 0x0
	.amdhsa_kernel _ZN7rocprim17ROCPRIM_400000_NS6detail17trampoline_kernelINS0_14default_configENS1_35radix_sort_onesweep_config_selectorIhlEEZNS1_34radix_sort_onesweep_global_offsetsIS3_Lb0EPhN6thrust23THRUST_200600_302600_NS10device_ptrIlEEjNS0_19identity_decomposerEEE10hipError_tT1_T2_PT3_SG_jT4_jjP12ihipStream_tbEUlT_E_NS1_11comp_targetILNS1_3genE8ELNS1_11target_archE1030ELNS1_3gpuE2ELNS1_3repE0EEENS1_52radix_sort_onesweep_histogram_config_static_selectorELNS0_4arch9wavefront6targetE1EEEvSE_
		.amdhsa_group_segment_fixed_size 0
		.amdhsa_private_segment_fixed_size 0
		.amdhsa_kernarg_size 40
		.amdhsa_user_sgpr_count 6
		.amdhsa_user_sgpr_private_segment_buffer 1
		.amdhsa_user_sgpr_dispatch_ptr 0
		.amdhsa_user_sgpr_queue_ptr 0
		.amdhsa_user_sgpr_kernarg_segment_ptr 1
		.amdhsa_user_sgpr_dispatch_id 0
		.amdhsa_user_sgpr_flat_scratch_init 0
		.amdhsa_user_sgpr_private_segment_size 0
		.amdhsa_uses_dynamic_stack 0
		.amdhsa_system_sgpr_private_segment_wavefront_offset 0
		.amdhsa_system_sgpr_workgroup_id_x 1
		.amdhsa_system_sgpr_workgroup_id_y 0
		.amdhsa_system_sgpr_workgroup_id_z 0
		.amdhsa_system_sgpr_workgroup_info 0
		.amdhsa_system_vgpr_workitem_id 0
		.amdhsa_next_free_vgpr 1
		.amdhsa_next_free_sgpr 0
		.amdhsa_reserve_vcc 0
		.amdhsa_reserve_flat_scratch 0
		.amdhsa_float_round_mode_32 0
		.amdhsa_float_round_mode_16_64 0
		.amdhsa_float_denorm_mode_32 3
		.amdhsa_float_denorm_mode_16_64 3
		.amdhsa_dx10_clamp 1
		.amdhsa_ieee_mode 1
		.amdhsa_fp16_overflow 0
		.amdhsa_exception_fp_ieee_invalid_op 0
		.amdhsa_exception_fp_denorm_src 0
		.amdhsa_exception_fp_ieee_div_zero 0
		.amdhsa_exception_fp_ieee_overflow 0
		.amdhsa_exception_fp_ieee_underflow 0
		.amdhsa_exception_fp_ieee_inexact 0
		.amdhsa_exception_int_div_zero 0
	.end_amdhsa_kernel
	.section	.text._ZN7rocprim17ROCPRIM_400000_NS6detail17trampoline_kernelINS0_14default_configENS1_35radix_sort_onesweep_config_selectorIhlEEZNS1_34radix_sort_onesweep_global_offsetsIS3_Lb0EPhN6thrust23THRUST_200600_302600_NS10device_ptrIlEEjNS0_19identity_decomposerEEE10hipError_tT1_T2_PT3_SG_jT4_jjP12ihipStream_tbEUlT_E_NS1_11comp_targetILNS1_3genE8ELNS1_11target_archE1030ELNS1_3gpuE2ELNS1_3repE0EEENS1_52radix_sort_onesweep_histogram_config_static_selectorELNS0_4arch9wavefront6targetE1EEEvSE_,"axG",@progbits,_ZN7rocprim17ROCPRIM_400000_NS6detail17trampoline_kernelINS0_14default_configENS1_35radix_sort_onesweep_config_selectorIhlEEZNS1_34radix_sort_onesweep_global_offsetsIS3_Lb0EPhN6thrust23THRUST_200600_302600_NS10device_ptrIlEEjNS0_19identity_decomposerEEE10hipError_tT1_T2_PT3_SG_jT4_jjP12ihipStream_tbEUlT_E_NS1_11comp_targetILNS1_3genE8ELNS1_11target_archE1030ELNS1_3gpuE2ELNS1_3repE0EEENS1_52radix_sort_onesweep_histogram_config_static_selectorELNS0_4arch9wavefront6targetE1EEEvSE_,comdat
.Lfunc_end245:
	.size	_ZN7rocprim17ROCPRIM_400000_NS6detail17trampoline_kernelINS0_14default_configENS1_35radix_sort_onesweep_config_selectorIhlEEZNS1_34radix_sort_onesweep_global_offsetsIS3_Lb0EPhN6thrust23THRUST_200600_302600_NS10device_ptrIlEEjNS0_19identity_decomposerEEE10hipError_tT1_T2_PT3_SG_jT4_jjP12ihipStream_tbEUlT_E_NS1_11comp_targetILNS1_3genE8ELNS1_11target_archE1030ELNS1_3gpuE2ELNS1_3repE0EEENS1_52radix_sort_onesweep_histogram_config_static_selectorELNS0_4arch9wavefront6targetE1EEEvSE_, .Lfunc_end245-_ZN7rocprim17ROCPRIM_400000_NS6detail17trampoline_kernelINS0_14default_configENS1_35radix_sort_onesweep_config_selectorIhlEEZNS1_34radix_sort_onesweep_global_offsetsIS3_Lb0EPhN6thrust23THRUST_200600_302600_NS10device_ptrIlEEjNS0_19identity_decomposerEEE10hipError_tT1_T2_PT3_SG_jT4_jjP12ihipStream_tbEUlT_E_NS1_11comp_targetILNS1_3genE8ELNS1_11target_archE1030ELNS1_3gpuE2ELNS1_3repE0EEENS1_52radix_sort_onesweep_histogram_config_static_selectorELNS0_4arch9wavefront6targetE1EEEvSE_
                                        ; -- End function
	.set _ZN7rocprim17ROCPRIM_400000_NS6detail17trampoline_kernelINS0_14default_configENS1_35radix_sort_onesweep_config_selectorIhlEEZNS1_34radix_sort_onesweep_global_offsetsIS3_Lb0EPhN6thrust23THRUST_200600_302600_NS10device_ptrIlEEjNS0_19identity_decomposerEEE10hipError_tT1_T2_PT3_SG_jT4_jjP12ihipStream_tbEUlT_E_NS1_11comp_targetILNS1_3genE8ELNS1_11target_archE1030ELNS1_3gpuE2ELNS1_3repE0EEENS1_52radix_sort_onesweep_histogram_config_static_selectorELNS0_4arch9wavefront6targetE1EEEvSE_.num_vgpr, 0
	.set _ZN7rocprim17ROCPRIM_400000_NS6detail17trampoline_kernelINS0_14default_configENS1_35radix_sort_onesweep_config_selectorIhlEEZNS1_34radix_sort_onesweep_global_offsetsIS3_Lb0EPhN6thrust23THRUST_200600_302600_NS10device_ptrIlEEjNS0_19identity_decomposerEEE10hipError_tT1_T2_PT3_SG_jT4_jjP12ihipStream_tbEUlT_E_NS1_11comp_targetILNS1_3genE8ELNS1_11target_archE1030ELNS1_3gpuE2ELNS1_3repE0EEENS1_52radix_sort_onesweep_histogram_config_static_selectorELNS0_4arch9wavefront6targetE1EEEvSE_.num_agpr, 0
	.set _ZN7rocprim17ROCPRIM_400000_NS6detail17trampoline_kernelINS0_14default_configENS1_35radix_sort_onesweep_config_selectorIhlEEZNS1_34radix_sort_onesweep_global_offsetsIS3_Lb0EPhN6thrust23THRUST_200600_302600_NS10device_ptrIlEEjNS0_19identity_decomposerEEE10hipError_tT1_T2_PT3_SG_jT4_jjP12ihipStream_tbEUlT_E_NS1_11comp_targetILNS1_3genE8ELNS1_11target_archE1030ELNS1_3gpuE2ELNS1_3repE0EEENS1_52radix_sort_onesweep_histogram_config_static_selectorELNS0_4arch9wavefront6targetE1EEEvSE_.numbered_sgpr, 0
	.set _ZN7rocprim17ROCPRIM_400000_NS6detail17trampoline_kernelINS0_14default_configENS1_35radix_sort_onesweep_config_selectorIhlEEZNS1_34radix_sort_onesweep_global_offsetsIS3_Lb0EPhN6thrust23THRUST_200600_302600_NS10device_ptrIlEEjNS0_19identity_decomposerEEE10hipError_tT1_T2_PT3_SG_jT4_jjP12ihipStream_tbEUlT_E_NS1_11comp_targetILNS1_3genE8ELNS1_11target_archE1030ELNS1_3gpuE2ELNS1_3repE0EEENS1_52radix_sort_onesweep_histogram_config_static_selectorELNS0_4arch9wavefront6targetE1EEEvSE_.num_named_barrier, 0
	.set _ZN7rocprim17ROCPRIM_400000_NS6detail17trampoline_kernelINS0_14default_configENS1_35radix_sort_onesweep_config_selectorIhlEEZNS1_34radix_sort_onesweep_global_offsetsIS3_Lb0EPhN6thrust23THRUST_200600_302600_NS10device_ptrIlEEjNS0_19identity_decomposerEEE10hipError_tT1_T2_PT3_SG_jT4_jjP12ihipStream_tbEUlT_E_NS1_11comp_targetILNS1_3genE8ELNS1_11target_archE1030ELNS1_3gpuE2ELNS1_3repE0EEENS1_52radix_sort_onesweep_histogram_config_static_selectorELNS0_4arch9wavefront6targetE1EEEvSE_.private_seg_size, 0
	.set _ZN7rocprim17ROCPRIM_400000_NS6detail17trampoline_kernelINS0_14default_configENS1_35radix_sort_onesweep_config_selectorIhlEEZNS1_34radix_sort_onesweep_global_offsetsIS3_Lb0EPhN6thrust23THRUST_200600_302600_NS10device_ptrIlEEjNS0_19identity_decomposerEEE10hipError_tT1_T2_PT3_SG_jT4_jjP12ihipStream_tbEUlT_E_NS1_11comp_targetILNS1_3genE8ELNS1_11target_archE1030ELNS1_3gpuE2ELNS1_3repE0EEENS1_52radix_sort_onesweep_histogram_config_static_selectorELNS0_4arch9wavefront6targetE1EEEvSE_.uses_vcc, 0
	.set _ZN7rocprim17ROCPRIM_400000_NS6detail17trampoline_kernelINS0_14default_configENS1_35radix_sort_onesweep_config_selectorIhlEEZNS1_34radix_sort_onesweep_global_offsetsIS3_Lb0EPhN6thrust23THRUST_200600_302600_NS10device_ptrIlEEjNS0_19identity_decomposerEEE10hipError_tT1_T2_PT3_SG_jT4_jjP12ihipStream_tbEUlT_E_NS1_11comp_targetILNS1_3genE8ELNS1_11target_archE1030ELNS1_3gpuE2ELNS1_3repE0EEENS1_52radix_sort_onesweep_histogram_config_static_selectorELNS0_4arch9wavefront6targetE1EEEvSE_.uses_flat_scratch, 0
	.set _ZN7rocprim17ROCPRIM_400000_NS6detail17trampoline_kernelINS0_14default_configENS1_35radix_sort_onesweep_config_selectorIhlEEZNS1_34radix_sort_onesweep_global_offsetsIS3_Lb0EPhN6thrust23THRUST_200600_302600_NS10device_ptrIlEEjNS0_19identity_decomposerEEE10hipError_tT1_T2_PT3_SG_jT4_jjP12ihipStream_tbEUlT_E_NS1_11comp_targetILNS1_3genE8ELNS1_11target_archE1030ELNS1_3gpuE2ELNS1_3repE0EEENS1_52radix_sort_onesweep_histogram_config_static_selectorELNS0_4arch9wavefront6targetE1EEEvSE_.has_dyn_sized_stack, 0
	.set _ZN7rocprim17ROCPRIM_400000_NS6detail17trampoline_kernelINS0_14default_configENS1_35radix_sort_onesweep_config_selectorIhlEEZNS1_34radix_sort_onesweep_global_offsetsIS3_Lb0EPhN6thrust23THRUST_200600_302600_NS10device_ptrIlEEjNS0_19identity_decomposerEEE10hipError_tT1_T2_PT3_SG_jT4_jjP12ihipStream_tbEUlT_E_NS1_11comp_targetILNS1_3genE8ELNS1_11target_archE1030ELNS1_3gpuE2ELNS1_3repE0EEENS1_52radix_sort_onesweep_histogram_config_static_selectorELNS0_4arch9wavefront6targetE1EEEvSE_.has_recursion, 0
	.set _ZN7rocprim17ROCPRIM_400000_NS6detail17trampoline_kernelINS0_14default_configENS1_35radix_sort_onesweep_config_selectorIhlEEZNS1_34radix_sort_onesweep_global_offsetsIS3_Lb0EPhN6thrust23THRUST_200600_302600_NS10device_ptrIlEEjNS0_19identity_decomposerEEE10hipError_tT1_T2_PT3_SG_jT4_jjP12ihipStream_tbEUlT_E_NS1_11comp_targetILNS1_3genE8ELNS1_11target_archE1030ELNS1_3gpuE2ELNS1_3repE0EEENS1_52radix_sort_onesweep_histogram_config_static_selectorELNS0_4arch9wavefront6targetE1EEEvSE_.has_indirect_call, 0
	.section	.AMDGPU.csdata,"",@progbits
; Kernel info:
; codeLenInByte = 0
; TotalNumSgprs: 4
; NumVgprs: 0
; ScratchSize: 0
; MemoryBound: 0
; FloatMode: 240
; IeeeMode: 1
; LDSByteSize: 0 bytes/workgroup (compile time only)
; SGPRBlocks: 0
; VGPRBlocks: 0
; NumSGPRsForWavesPerEU: 4
; NumVGPRsForWavesPerEU: 1
; Occupancy: 10
; WaveLimiterHint : 0
; COMPUTE_PGM_RSRC2:SCRATCH_EN: 0
; COMPUTE_PGM_RSRC2:USER_SGPR: 6
; COMPUTE_PGM_RSRC2:TRAP_HANDLER: 0
; COMPUTE_PGM_RSRC2:TGID_X_EN: 1
; COMPUTE_PGM_RSRC2:TGID_Y_EN: 0
; COMPUTE_PGM_RSRC2:TGID_Z_EN: 0
; COMPUTE_PGM_RSRC2:TIDIG_COMP_CNT: 0
	.section	.text._ZN7rocprim17ROCPRIM_400000_NS6detail17trampoline_kernelINS0_14default_configENS1_35radix_sort_onesweep_config_selectorIhlEEZNS1_34radix_sort_onesweep_global_offsetsIS3_Lb0EPhN6thrust23THRUST_200600_302600_NS10device_ptrIlEEjNS0_19identity_decomposerEEE10hipError_tT1_T2_PT3_SG_jT4_jjP12ihipStream_tbEUlT_E0_NS1_11comp_targetILNS1_3genE0ELNS1_11target_archE4294967295ELNS1_3gpuE0ELNS1_3repE0EEENS1_52radix_sort_onesweep_histogram_config_static_selectorELNS0_4arch9wavefront6targetE1EEEvSE_,"axG",@progbits,_ZN7rocprim17ROCPRIM_400000_NS6detail17trampoline_kernelINS0_14default_configENS1_35radix_sort_onesweep_config_selectorIhlEEZNS1_34radix_sort_onesweep_global_offsetsIS3_Lb0EPhN6thrust23THRUST_200600_302600_NS10device_ptrIlEEjNS0_19identity_decomposerEEE10hipError_tT1_T2_PT3_SG_jT4_jjP12ihipStream_tbEUlT_E0_NS1_11comp_targetILNS1_3genE0ELNS1_11target_archE4294967295ELNS1_3gpuE0ELNS1_3repE0EEENS1_52radix_sort_onesweep_histogram_config_static_selectorELNS0_4arch9wavefront6targetE1EEEvSE_,comdat
	.protected	_ZN7rocprim17ROCPRIM_400000_NS6detail17trampoline_kernelINS0_14default_configENS1_35radix_sort_onesweep_config_selectorIhlEEZNS1_34radix_sort_onesweep_global_offsetsIS3_Lb0EPhN6thrust23THRUST_200600_302600_NS10device_ptrIlEEjNS0_19identity_decomposerEEE10hipError_tT1_T2_PT3_SG_jT4_jjP12ihipStream_tbEUlT_E0_NS1_11comp_targetILNS1_3genE0ELNS1_11target_archE4294967295ELNS1_3gpuE0ELNS1_3repE0EEENS1_52radix_sort_onesweep_histogram_config_static_selectorELNS0_4arch9wavefront6targetE1EEEvSE_ ; -- Begin function _ZN7rocprim17ROCPRIM_400000_NS6detail17trampoline_kernelINS0_14default_configENS1_35radix_sort_onesweep_config_selectorIhlEEZNS1_34radix_sort_onesweep_global_offsetsIS3_Lb0EPhN6thrust23THRUST_200600_302600_NS10device_ptrIlEEjNS0_19identity_decomposerEEE10hipError_tT1_T2_PT3_SG_jT4_jjP12ihipStream_tbEUlT_E0_NS1_11comp_targetILNS1_3genE0ELNS1_11target_archE4294967295ELNS1_3gpuE0ELNS1_3repE0EEENS1_52radix_sort_onesweep_histogram_config_static_selectorELNS0_4arch9wavefront6targetE1EEEvSE_
	.globl	_ZN7rocprim17ROCPRIM_400000_NS6detail17trampoline_kernelINS0_14default_configENS1_35radix_sort_onesweep_config_selectorIhlEEZNS1_34radix_sort_onesweep_global_offsetsIS3_Lb0EPhN6thrust23THRUST_200600_302600_NS10device_ptrIlEEjNS0_19identity_decomposerEEE10hipError_tT1_T2_PT3_SG_jT4_jjP12ihipStream_tbEUlT_E0_NS1_11comp_targetILNS1_3genE0ELNS1_11target_archE4294967295ELNS1_3gpuE0ELNS1_3repE0EEENS1_52radix_sort_onesweep_histogram_config_static_selectorELNS0_4arch9wavefront6targetE1EEEvSE_
	.p2align	8
	.type	_ZN7rocprim17ROCPRIM_400000_NS6detail17trampoline_kernelINS0_14default_configENS1_35radix_sort_onesweep_config_selectorIhlEEZNS1_34radix_sort_onesweep_global_offsetsIS3_Lb0EPhN6thrust23THRUST_200600_302600_NS10device_ptrIlEEjNS0_19identity_decomposerEEE10hipError_tT1_T2_PT3_SG_jT4_jjP12ihipStream_tbEUlT_E0_NS1_11comp_targetILNS1_3genE0ELNS1_11target_archE4294967295ELNS1_3gpuE0ELNS1_3repE0EEENS1_52radix_sort_onesweep_histogram_config_static_selectorELNS0_4arch9wavefront6targetE1EEEvSE_,@function
_ZN7rocprim17ROCPRIM_400000_NS6detail17trampoline_kernelINS0_14default_configENS1_35radix_sort_onesweep_config_selectorIhlEEZNS1_34radix_sort_onesweep_global_offsetsIS3_Lb0EPhN6thrust23THRUST_200600_302600_NS10device_ptrIlEEjNS0_19identity_decomposerEEE10hipError_tT1_T2_PT3_SG_jT4_jjP12ihipStream_tbEUlT_E0_NS1_11comp_targetILNS1_3genE0ELNS1_11target_archE4294967295ELNS1_3gpuE0ELNS1_3repE0EEENS1_52radix_sort_onesweep_histogram_config_static_selectorELNS0_4arch9wavefront6targetE1EEEvSE_: ; @_ZN7rocprim17ROCPRIM_400000_NS6detail17trampoline_kernelINS0_14default_configENS1_35radix_sort_onesweep_config_selectorIhlEEZNS1_34radix_sort_onesweep_global_offsetsIS3_Lb0EPhN6thrust23THRUST_200600_302600_NS10device_ptrIlEEjNS0_19identity_decomposerEEE10hipError_tT1_T2_PT3_SG_jT4_jjP12ihipStream_tbEUlT_E0_NS1_11comp_targetILNS1_3genE0ELNS1_11target_archE4294967295ELNS1_3gpuE0ELNS1_3repE0EEENS1_52radix_sort_onesweep_histogram_config_static_selectorELNS0_4arch9wavefront6targetE1EEEvSE_
; %bb.0:
	.section	.rodata,"a",@progbits
	.p2align	6, 0x0
	.amdhsa_kernel _ZN7rocprim17ROCPRIM_400000_NS6detail17trampoline_kernelINS0_14default_configENS1_35radix_sort_onesweep_config_selectorIhlEEZNS1_34radix_sort_onesweep_global_offsetsIS3_Lb0EPhN6thrust23THRUST_200600_302600_NS10device_ptrIlEEjNS0_19identity_decomposerEEE10hipError_tT1_T2_PT3_SG_jT4_jjP12ihipStream_tbEUlT_E0_NS1_11comp_targetILNS1_3genE0ELNS1_11target_archE4294967295ELNS1_3gpuE0ELNS1_3repE0EEENS1_52radix_sort_onesweep_histogram_config_static_selectorELNS0_4arch9wavefront6targetE1EEEvSE_
		.amdhsa_group_segment_fixed_size 0
		.amdhsa_private_segment_fixed_size 0
		.amdhsa_kernarg_size 8
		.amdhsa_user_sgpr_count 6
		.amdhsa_user_sgpr_private_segment_buffer 1
		.amdhsa_user_sgpr_dispatch_ptr 0
		.amdhsa_user_sgpr_queue_ptr 0
		.amdhsa_user_sgpr_kernarg_segment_ptr 1
		.amdhsa_user_sgpr_dispatch_id 0
		.amdhsa_user_sgpr_flat_scratch_init 0
		.amdhsa_user_sgpr_private_segment_size 0
		.amdhsa_uses_dynamic_stack 0
		.amdhsa_system_sgpr_private_segment_wavefront_offset 0
		.amdhsa_system_sgpr_workgroup_id_x 1
		.amdhsa_system_sgpr_workgroup_id_y 0
		.amdhsa_system_sgpr_workgroup_id_z 0
		.amdhsa_system_sgpr_workgroup_info 0
		.amdhsa_system_vgpr_workitem_id 0
		.amdhsa_next_free_vgpr 1
		.amdhsa_next_free_sgpr 0
		.amdhsa_reserve_vcc 0
		.amdhsa_reserve_flat_scratch 0
		.amdhsa_float_round_mode_32 0
		.amdhsa_float_round_mode_16_64 0
		.amdhsa_float_denorm_mode_32 3
		.amdhsa_float_denorm_mode_16_64 3
		.amdhsa_dx10_clamp 1
		.amdhsa_ieee_mode 1
		.amdhsa_fp16_overflow 0
		.amdhsa_exception_fp_ieee_invalid_op 0
		.amdhsa_exception_fp_denorm_src 0
		.amdhsa_exception_fp_ieee_div_zero 0
		.amdhsa_exception_fp_ieee_overflow 0
		.amdhsa_exception_fp_ieee_underflow 0
		.amdhsa_exception_fp_ieee_inexact 0
		.amdhsa_exception_int_div_zero 0
	.end_amdhsa_kernel
	.section	.text._ZN7rocprim17ROCPRIM_400000_NS6detail17trampoline_kernelINS0_14default_configENS1_35radix_sort_onesweep_config_selectorIhlEEZNS1_34radix_sort_onesweep_global_offsetsIS3_Lb0EPhN6thrust23THRUST_200600_302600_NS10device_ptrIlEEjNS0_19identity_decomposerEEE10hipError_tT1_T2_PT3_SG_jT4_jjP12ihipStream_tbEUlT_E0_NS1_11comp_targetILNS1_3genE0ELNS1_11target_archE4294967295ELNS1_3gpuE0ELNS1_3repE0EEENS1_52radix_sort_onesweep_histogram_config_static_selectorELNS0_4arch9wavefront6targetE1EEEvSE_,"axG",@progbits,_ZN7rocprim17ROCPRIM_400000_NS6detail17trampoline_kernelINS0_14default_configENS1_35radix_sort_onesweep_config_selectorIhlEEZNS1_34radix_sort_onesweep_global_offsetsIS3_Lb0EPhN6thrust23THRUST_200600_302600_NS10device_ptrIlEEjNS0_19identity_decomposerEEE10hipError_tT1_T2_PT3_SG_jT4_jjP12ihipStream_tbEUlT_E0_NS1_11comp_targetILNS1_3genE0ELNS1_11target_archE4294967295ELNS1_3gpuE0ELNS1_3repE0EEENS1_52radix_sort_onesweep_histogram_config_static_selectorELNS0_4arch9wavefront6targetE1EEEvSE_,comdat
.Lfunc_end246:
	.size	_ZN7rocprim17ROCPRIM_400000_NS6detail17trampoline_kernelINS0_14default_configENS1_35radix_sort_onesweep_config_selectorIhlEEZNS1_34radix_sort_onesweep_global_offsetsIS3_Lb0EPhN6thrust23THRUST_200600_302600_NS10device_ptrIlEEjNS0_19identity_decomposerEEE10hipError_tT1_T2_PT3_SG_jT4_jjP12ihipStream_tbEUlT_E0_NS1_11comp_targetILNS1_3genE0ELNS1_11target_archE4294967295ELNS1_3gpuE0ELNS1_3repE0EEENS1_52radix_sort_onesweep_histogram_config_static_selectorELNS0_4arch9wavefront6targetE1EEEvSE_, .Lfunc_end246-_ZN7rocprim17ROCPRIM_400000_NS6detail17trampoline_kernelINS0_14default_configENS1_35radix_sort_onesweep_config_selectorIhlEEZNS1_34radix_sort_onesweep_global_offsetsIS3_Lb0EPhN6thrust23THRUST_200600_302600_NS10device_ptrIlEEjNS0_19identity_decomposerEEE10hipError_tT1_T2_PT3_SG_jT4_jjP12ihipStream_tbEUlT_E0_NS1_11comp_targetILNS1_3genE0ELNS1_11target_archE4294967295ELNS1_3gpuE0ELNS1_3repE0EEENS1_52radix_sort_onesweep_histogram_config_static_selectorELNS0_4arch9wavefront6targetE1EEEvSE_
                                        ; -- End function
	.set _ZN7rocprim17ROCPRIM_400000_NS6detail17trampoline_kernelINS0_14default_configENS1_35radix_sort_onesweep_config_selectorIhlEEZNS1_34radix_sort_onesweep_global_offsetsIS3_Lb0EPhN6thrust23THRUST_200600_302600_NS10device_ptrIlEEjNS0_19identity_decomposerEEE10hipError_tT1_T2_PT3_SG_jT4_jjP12ihipStream_tbEUlT_E0_NS1_11comp_targetILNS1_3genE0ELNS1_11target_archE4294967295ELNS1_3gpuE0ELNS1_3repE0EEENS1_52radix_sort_onesweep_histogram_config_static_selectorELNS0_4arch9wavefront6targetE1EEEvSE_.num_vgpr, 0
	.set _ZN7rocprim17ROCPRIM_400000_NS6detail17trampoline_kernelINS0_14default_configENS1_35radix_sort_onesweep_config_selectorIhlEEZNS1_34radix_sort_onesweep_global_offsetsIS3_Lb0EPhN6thrust23THRUST_200600_302600_NS10device_ptrIlEEjNS0_19identity_decomposerEEE10hipError_tT1_T2_PT3_SG_jT4_jjP12ihipStream_tbEUlT_E0_NS1_11comp_targetILNS1_3genE0ELNS1_11target_archE4294967295ELNS1_3gpuE0ELNS1_3repE0EEENS1_52radix_sort_onesweep_histogram_config_static_selectorELNS0_4arch9wavefront6targetE1EEEvSE_.num_agpr, 0
	.set _ZN7rocprim17ROCPRIM_400000_NS6detail17trampoline_kernelINS0_14default_configENS1_35radix_sort_onesweep_config_selectorIhlEEZNS1_34radix_sort_onesweep_global_offsetsIS3_Lb0EPhN6thrust23THRUST_200600_302600_NS10device_ptrIlEEjNS0_19identity_decomposerEEE10hipError_tT1_T2_PT3_SG_jT4_jjP12ihipStream_tbEUlT_E0_NS1_11comp_targetILNS1_3genE0ELNS1_11target_archE4294967295ELNS1_3gpuE0ELNS1_3repE0EEENS1_52radix_sort_onesweep_histogram_config_static_selectorELNS0_4arch9wavefront6targetE1EEEvSE_.numbered_sgpr, 0
	.set _ZN7rocprim17ROCPRIM_400000_NS6detail17trampoline_kernelINS0_14default_configENS1_35radix_sort_onesweep_config_selectorIhlEEZNS1_34radix_sort_onesweep_global_offsetsIS3_Lb0EPhN6thrust23THRUST_200600_302600_NS10device_ptrIlEEjNS0_19identity_decomposerEEE10hipError_tT1_T2_PT3_SG_jT4_jjP12ihipStream_tbEUlT_E0_NS1_11comp_targetILNS1_3genE0ELNS1_11target_archE4294967295ELNS1_3gpuE0ELNS1_3repE0EEENS1_52radix_sort_onesweep_histogram_config_static_selectorELNS0_4arch9wavefront6targetE1EEEvSE_.num_named_barrier, 0
	.set _ZN7rocprim17ROCPRIM_400000_NS6detail17trampoline_kernelINS0_14default_configENS1_35radix_sort_onesweep_config_selectorIhlEEZNS1_34radix_sort_onesweep_global_offsetsIS3_Lb0EPhN6thrust23THRUST_200600_302600_NS10device_ptrIlEEjNS0_19identity_decomposerEEE10hipError_tT1_T2_PT3_SG_jT4_jjP12ihipStream_tbEUlT_E0_NS1_11comp_targetILNS1_3genE0ELNS1_11target_archE4294967295ELNS1_3gpuE0ELNS1_3repE0EEENS1_52radix_sort_onesweep_histogram_config_static_selectorELNS0_4arch9wavefront6targetE1EEEvSE_.private_seg_size, 0
	.set _ZN7rocprim17ROCPRIM_400000_NS6detail17trampoline_kernelINS0_14default_configENS1_35radix_sort_onesweep_config_selectorIhlEEZNS1_34radix_sort_onesweep_global_offsetsIS3_Lb0EPhN6thrust23THRUST_200600_302600_NS10device_ptrIlEEjNS0_19identity_decomposerEEE10hipError_tT1_T2_PT3_SG_jT4_jjP12ihipStream_tbEUlT_E0_NS1_11comp_targetILNS1_3genE0ELNS1_11target_archE4294967295ELNS1_3gpuE0ELNS1_3repE0EEENS1_52radix_sort_onesweep_histogram_config_static_selectorELNS0_4arch9wavefront6targetE1EEEvSE_.uses_vcc, 0
	.set _ZN7rocprim17ROCPRIM_400000_NS6detail17trampoline_kernelINS0_14default_configENS1_35radix_sort_onesweep_config_selectorIhlEEZNS1_34radix_sort_onesweep_global_offsetsIS3_Lb0EPhN6thrust23THRUST_200600_302600_NS10device_ptrIlEEjNS0_19identity_decomposerEEE10hipError_tT1_T2_PT3_SG_jT4_jjP12ihipStream_tbEUlT_E0_NS1_11comp_targetILNS1_3genE0ELNS1_11target_archE4294967295ELNS1_3gpuE0ELNS1_3repE0EEENS1_52radix_sort_onesweep_histogram_config_static_selectorELNS0_4arch9wavefront6targetE1EEEvSE_.uses_flat_scratch, 0
	.set _ZN7rocprim17ROCPRIM_400000_NS6detail17trampoline_kernelINS0_14default_configENS1_35radix_sort_onesweep_config_selectorIhlEEZNS1_34radix_sort_onesweep_global_offsetsIS3_Lb0EPhN6thrust23THRUST_200600_302600_NS10device_ptrIlEEjNS0_19identity_decomposerEEE10hipError_tT1_T2_PT3_SG_jT4_jjP12ihipStream_tbEUlT_E0_NS1_11comp_targetILNS1_3genE0ELNS1_11target_archE4294967295ELNS1_3gpuE0ELNS1_3repE0EEENS1_52radix_sort_onesweep_histogram_config_static_selectorELNS0_4arch9wavefront6targetE1EEEvSE_.has_dyn_sized_stack, 0
	.set _ZN7rocprim17ROCPRIM_400000_NS6detail17trampoline_kernelINS0_14default_configENS1_35radix_sort_onesweep_config_selectorIhlEEZNS1_34radix_sort_onesweep_global_offsetsIS3_Lb0EPhN6thrust23THRUST_200600_302600_NS10device_ptrIlEEjNS0_19identity_decomposerEEE10hipError_tT1_T2_PT3_SG_jT4_jjP12ihipStream_tbEUlT_E0_NS1_11comp_targetILNS1_3genE0ELNS1_11target_archE4294967295ELNS1_3gpuE0ELNS1_3repE0EEENS1_52radix_sort_onesweep_histogram_config_static_selectorELNS0_4arch9wavefront6targetE1EEEvSE_.has_recursion, 0
	.set _ZN7rocprim17ROCPRIM_400000_NS6detail17trampoline_kernelINS0_14default_configENS1_35radix_sort_onesweep_config_selectorIhlEEZNS1_34radix_sort_onesweep_global_offsetsIS3_Lb0EPhN6thrust23THRUST_200600_302600_NS10device_ptrIlEEjNS0_19identity_decomposerEEE10hipError_tT1_T2_PT3_SG_jT4_jjP12ihipStream_tbEUlT_E0_NS1_11comp_targetILNS1_3genE0ELNS1_11target_archE4294967295ELNS1_3gpuE0ELNS1_3repE0EEENS1_52radix_sort_onesweep_histogram_config_static_selectorELNS0_4arch9wavefront6targetE1EEEvSE_.has_indirect_call, 0
	.section	.AMDGPU.csdata,"",@progbits
; Kernel info:
; codeLenInByte = 0
; TotalNumSgprs: 4
; NumVgprs: 0
; ScratchSize: 0
; MemoryBound: 0
; FloatMode: 240
; IeeeMode: 1
; LDSByteSize: 0 bytes/workgroup (compile time only)
; SGPRBlocks: 0
; VGPRBlocks: 0
; NumSGPRsForWavesPerEU: 4
; NumVGPRsForWavesPerEU: 1
; Occupancy: 10
; WaveLimiterHint : 0
; COMPUTE_PGM_RSRC2:SCRATCH_EN: 0
; COMPUTE_PGM_RSRC2:USER_SGPR: 6
; COMPUTE_PGM_RSRC2:TRAP_HANDLER: 0
; COMPUTE_PGM_RSRC2:TGID_X_EN: 1
; COMPUTE_PGM_RSRC2:TGID_Y_EN: 0
; COMPUTE_PGM_RSRC2:TGID_Z_EN: 0
; COMPUTE_PGM_RSRC2:TIDIG_COMP_CNT: 0
	.section	.text._ZN7rocprim17ROCPRIM_400000_NS6detail17trampoline_kernelINS0_14default_configENS1_35radix_sort_onesweep_config_selectorIhlEEZNS1_34radix_sort_onesweep_global_offsetsIS3_Lb0EPhN6thrust23THRUST_200600_302600_NS10device_ptrIlEEjNS0_19identity_decomposerEEE10hipError_tT1_T2_PT3_SG_jT4_jjP12ihipStream_tbEUlT_E0_NS1_11comp_targetILNS1_3genE6ELNS1_11target_archE950ELNS1_3gpuE13ELNS1_3repE0EEENS1_52radix_sort_onesweep_histogram_config_static_selectorELNS0_4arch9wavefront6targetE1EEEvSE_,"axG",@progbits,_ZN7rocprim17ROCPRIM_400000_NS6detail17trampoline_kernelINS0_14default_configENS1_35radix_sort_onesweep_config_selectorIhlEEZNS1_34radix_sort_onesweep_global_offsetsIS3_Lb0EPhN6thrust23THRUST_200600_302600_NS10device_ptrIlEEjNS0_19identity_decomposerEEE10hipError_tT1_T2_PT3_SG_jT4_jjP12ihipStream_tbEUlT_E0_NS1_11comp_targetILNS1_3genE6ELNS1_11target_archE950ELNS1_3gpuE13ELNS1_3repE0EEENS1_52radix_sort_onesweep_histogram_config_static_selectorELNS0_4arch9wavefront6targetE1EEEvSE_,comdat
	.protected	_ZN7rocprim17ROCPRIM_400000_NS6detail17trampoline_kernelINS0_14default_configENS1_35radix_sort_onesweep_config_selectorIhlEEZNS1_34radix_sort_onesweep_global_offsetsIS3_Lb0EPhN6thrust23THRUST_200600_302600_NS10device_ptrIlEEjNS0_19identity_decomposerEEE10hipError_tT1_T2_PT3_SG_jT4_jjP12ihipStream_tbEUlT_E0_NS1_11comp_targetILNS1_3genE6ELNS1_11target_archE950ELNS1_3gpuE13ELNS1_3repE0EEENS1_52radix_sort_onesweep_histogram_config_static_selectorELNS0_4arch9wavefront6targetE1EEEvSE_ ; -- Begin function _ZN7rocprim17ROCPRIM_400000_NS6detail17trampoline_kernelINS0_14default_configENS1_35radix_sort_onesweep_config_selectorIhlEEZNS1_34radix_sort_onesweep_global_offsetsIS3_Lb0EPhN6thrust23THRUST_200600_302600_NS10device_ptrIlEEjNS0_19identity_decomposerEEE10hipError_tT1_T2_PT3_SG_jT4_jjP12ihipStream_tbEUlT_E0_NS1_11comp_targetILNS1_3genE6ELNS1_11target_archE950ELNS1_3gpuE13ELNS1_3repE0EEENS1_52radix_sort_onesweep_histogram_config_static_selectorELNS0_4arch9wavefront6targetE1EEEvSE_
	.globl	_ZN7rocprim17ROCPRIM_400000_NS6detail17trampoline_kernelINS0_14default_configENS1_35radix_sort_onesweep_config_selectorIhlEEZNS1_34radix_sort_onesweep_global_offsetsIS3_Lb0EPhN6thrust23THRUST_200600_302600_NS10device_ptrIlEEjNS0_19identity_decomposerEEE10hipError_tT1_T2_PT3_SG_jT4_jjP12ihipStream_tbEUlT_E0_NS1_11comp_targetILNS1_3genE6ELNS1_11target_archE950ELNS1_3gpuE13ELNS1_3repE0EEENS1_52radix_sort_onesweep_histogram_config_static_selectorELNS0_4arch9wavefront6targetE1EEEvSE_
	.p2align	8
	.type	_ZN7rocprim17ROCPRIM_400000_NS6detail17trampoline_kernelINS0_14default_configENS1_35radix_sort_onesweep_config_selectorIhlEEZNS1_34radix_sort_onesweep_global_offsetsIS3_Lb0EPhN6thrust23THRUST_200600_302600_NS10device_ptrIlEEjNS0_19identity_decomposerEEE10hipError_tT1_T2_PT3_SG_jT4_jjP12ihipStream_tbEUlT_E0_NS1_11comp_targetILNS1_3genE6ELNS1_11target_archE950ELNS1_3gpuE13ELNS1_3repE0EEENS1_52radix_sort_onesweep_histogram_config_static_selectorELNS0_4arch9wavefront6targetE1EEEvSE_,@function
_ZN7rocprim17ROCPRIM_400000_NS6detail17trampoline_kernelINS0_14default_configENS1_35radix_sort_onesweep_config_selectorIhlEEZNS1_34radix_sort_onesweep_global_offsetsIS3_Lb0EPhN6thrust23THRUST_200600_302600_NS10device_ptrIlEEjNS0_19identity_decomposerEEE10hipError_tT1_T2_PT3_SG_jT4_jjP12ihipStream_tbEUlT_E0_NS1_11comp_targetILNS1_3genE6ELNS1_11target_archE950ELNS1_3gpuE13ELNS1_3repE0EEENS1_52radix_sort_onesweep_histogram_config_static_selectorELNS0_4arch9wavefront6targetE1EEEvSE_: ; @_ZN7rocprim17ROCPRIM_400000_NS6detail17trampoline_kernelINS0_14default_configENS1_35radix_sort_onesweep_config_selectorIhlEEZNS1_34radix_sort_onesweep_global_offsetsIS3_Lb0EPhN6thrust23THRUST_200600_302600_NS10device_ptrIlEEjNS0_19identity_decomposerEEE10hipError_tT1_T2_PT3_SG_jT4_jjP12ihipStream_tbEUlT_E0_NS1_11comp_targetILNS1_3genE6ELNS1_11target_archE950ELNS1_3gpuE13ELNS1_3repE0EEENS1_52radix_sort_onesweep_histogram_config_static_selectorELNS0_4arch9wavefront6targetE1EEEvSE_
; %bb.0:
	.section	.rodata,"a",@progbits
	.p2align	6, 0x0
	.amdhsa_kernel _ZN7rocprim17ROCPRIM_400000_NS6detail17trampoline_kernelINS0_14default_configENS1_35radix_sort_onesweep_config_selectorIhlEEZNS1_34radix_sort_onesweep_global_offsetsIS3_Lb0EPhN6thrust23THRUST_200600_302600_NS10device_ptrIlEEjNS0_19identity_decomposerEEE10hipError_tT1_T2_PT3_SG_jT4_jjP12ihipStream_tbEUlT_E0_NS1_11comp_targetILNS1_3genE6ELNS1_11target_archE950ELNS1_3gpuE13ELNS1_3repE0EEENS1_52radix_sort_onesweep_histogram_config_static_selectorELNS0_4arch9wavefront6targetE1EEEvSE_
		.amdhsa_group_segment_fixed_size 0
		.amdhsa_private_segment_fixed_size 0
		.amdhsa_kernarg_size 8
		.amdhsa_user_sgpr_count 6
		.amdhsa_user_sgpr_private_segment_buffer 1
		.amdhsa_user_sgpr_dispatch_ptr 0
		.amdhsa_user_sgpr_queue_ptr 0
		.amdhsa_user_sgpr_kernarg_segment_ptr 1
		.amdhsa_user_sgpr_dispatch_id 0
		.amdhsa_user_sgpr_flat_scratch_init 0
		.amdhsa_user_sgpr_private_segment_size 0
		.amdhsa_uses_dynamic_stack 0
		.amdhsa_system_sgpr_private_segment_wavefront_offset 0
		.amdhsa_system_sgpr_workgroup_id_x 1
		.amdhsa_system_sgpr_workgroup_id_y 0
		.amdhsa_system_sgpr_workgroup_id_z 0
		.amdhsa_system_sgpr_workgroup_info 0
		.amdhsa_system_vgpr_workitem_id 0
		.amdhsa_next_free_vgpr 1
		.amdhsa_next_free_sgpr 0
		.amdhsa_reserve_vcc 0
		.amdhsa_reserve_flat_scratch 0
		.amdhsa_float_round_mode_32 0
		.amdhsa_float_round_mode_16_64 0
		.amdhsa_float_denorm_mode_32 3
		.amdhsa_float_denorm_mode_16_64 3
		.amdhsa_dx10_clamp 1
		.amdhsa_ieee_mode 1
		.amdhsa_fp16_overflow 0
		.amdhsa_exception_fp_ieee_invalid_op 0
		.amdhsa_exception_fp_denorm_src 0
		.amdhsa_exception_fp_ieee_div_zero 0
		.amdhsa_exception_fp_ieee_overflow 0
		.amdhsa_exception_fp_ieee_underflow 0
		.amdhsa_exception_fp_ieee_inexact 0
		.amdhsa_exception_int_div_zero 0
	.end_amdhsa_kernel
	.section	.text._ZN7rocprim17ROCPRIM_400000_NS6detail17trampoline_kernelINS0_14default_configENS1_35radix_sort_onesweep_config_selectorIhlEEZNS1_34radix_sort_onesweep_global_offsetsIS3_Lb0EPhN6thrust23THRUST_200600_302600_NS10device_ptrIlEEjNS0_19identity_decomposerEEE10hipError_tT1_T2_PT3_SG_jT4_jjP12ihipStream_tbEUlT_E0_NS1_11comp_targetILNS1_3genE6ELNS1_11target_archE950ELNS1_3gpuE13ELNS1_3repE0EEENS1_52radix_sort_onesweep_histogram_config_static_selectorELNS0_4arch9wavefront6targetE1EEEvSE_,"axG",@progbits,_ZN7rocprim17ROCPRIM_400000_NS6detail17trampoline_kernelINS0_14default_configENS1_35radix_sort_onesweep_config_selectorIhlEEZNS1_34radix_sort_onesweep_global_offsetsIS3_Lb0EPhN6thrust23THRUST_200600_302600_NS10device_ptrIlEEjNS0_19identity_decomposerEEE10hipError_tT1_T2_PT3_SG_jT4_jjP12ihipStream_tbEUlT_E0_NS1_11comp_targetILNS1_3genE6ELNS1_11target_archE950ELNS1_3gpuE13ELNS1_3repE0EEENS1_52radix_sort_onesweep_histogram_config_static_selectorELNS0_4arch9wavefront6targetE1EEEvSE_,comdat
.Lfunc_end247:
	.size	_ZN7rocprim17ROCPRIM_400000_NS6detail17trampoline_kernelINS0_14default_configENS1_35radix_sort_onesweep_config_selectorIhlEEZNS1_34radix_sort_onesweep_global_offsetsIS3_Lb0EPhN6thrust23THRUST_200600_302600_NS10device_ptrIlEEjNS0_19identity_decomposerEEE10hipError_tT1_T2_PT3_SG_jT4_jjP12ihipStream_tbEUlT_E0_NS1_11comp_targetILNS1_3genE6ELNS1_11target_archE950ELNS1_3gpuE13ELNS1_3repE0EEENS1_52radix_sort_onesweep_histogram_config_static_selectorELNS0_4arch9wavefront6targetE1EEEvSE_, .Lfunc_end247-_ZN7rocprim17ROCPRIM_400000_NS6detail17trampoline_kernelINS0_14default_configENS1_35radix_sort_onesweep_config_selectorIhlEEZNS1_34radix_sort_onesweep_global_offsetsIS3_Lb0EPhN6thrust23THRUST_200600_302600_NS10device_ptrIlEEjNS0_19identity_decomposerEEE10hipError_tT1_T2_PT3_SG_jT4_jjP12ihipStream_tbEUlT_E0_NS1_11comp_targetILNS1_3genE6ELNS1_11target_archE950ELNS1_3gpuE13ELNS1_3repE0EEENS1_52radix_sort_onesweep_histogram_config_static_selectorELNS0_4arch9wavefront6targetE1EEEvSE_
                                        ; -- End function
	.set _ZN7rocprim17ROCPRIM_400000_NS6detail17trampoline_kernelINS0_14default_configENS1_35radix_sort_onesweep_config_selectorIhlEEZNS1_34radix_sort_onesweep_global_offsetsIS3_Lb0EPhN6thrust23THRUST_200600_302600_NS10device_ptrIlEEjNS0_19identity_decomposerEEE10hipError_tT1_T2_PT3_SG_jT4_jjP12ihipStream_tbEUlT_E0_NS1_11comp_targetILNS1_3genE6ELNS1_11target_archE950ELNS1_3gpuE13ELNS1_3repE0EEENS1_52radix_sort_onesweep_histogram_config_static_selectorELNS0_4arch9wavefront6targetE1EEEvSE_.num_vgpr, 0
	.set _ZN7rocprim17ROCPRIM_400000_NS6detail17trampoline_kernelINS0_14default_configENS1_35radix_sort_onesweep_config_selectorIhlEEZNS1_34radix_sort_onesweep_global_offsetsIS3_Lb0EPhN6thrust23THRUST_200600_302600_NS10device_ptrIlEEjNS0_19identity_decomposerEEE10hipError_tT1_T2_PT3_SG_jT4_jjP12ihipStream_tbEUlT_E0_NS1_11comp_targetILNS1_3genE6ELNS1_11target_archE950ELNS1_3gpuE13ELNS1_3repE0EEENS1_52radix_sort_onesweep_histogram_config_static_selectorELNS0_4arch9wavefront6targetE1EEEvSE_.num_agpr, 0
	.set _ZN7rocprim17ROCPRIM_400000_NS6detail17trampoline_kernelINS0_14default_configENS1_35radix_sort_onesweep_config_selectorIhlEEZNS1_34radix_sort_onesweep_global_offsetsIS3_Lb0EPhN6thrust23THRUST_200600_302600_NS10device_ptrIlEEjNS0_19identity_decomposerEEE10hipError_tT1_T2_PT3_SG_jT4_jjP12ihipStream_tbEUlT_E0_NS1_11comp_targetILNS1_3genE6ELNS1_11target_archE950ELNS1_3gpuE13ELNS1_3repE0EEENS1_52radix_sort_onesweep_histogram_config_static_selectorELNS0_4arch9wavefront6targetE1EEEvSE_.numbered_sgpr, 0
	.set _ZN7rocprim17ROCPRIM_400000_NS6detail17trampoline_kernelINS0_14default_configENS1_35radix_sort_onesweep_config_selectorIhlEEZNS1_34radix_sort_onesweep_global_offsetsIS3_Lb0EPhN6thrust23THRUST_200600_302600_NS10device_ptrIlEEjNS0_19identity_decomposerEEE10hipError_tT1_T2_PT3_SG_jT4_jjP12ihipStream_tbEUlT_E0_NS1_11comp_targetILNS1_3genE6ELNS1_11target_archE950ELNS1_3gpuE13ELNS1_3repE0EEENS1_52radix_sort_onesweep_histogram_config_static_selectorELNS0_4arch9wavefront6targetE1EEEvSE_.num_named_barrier, 0
	.set _ZN7rocprim17ROCPRIM_400000_NS6detail17trampoline_kernelINS0_14default_configENS1_35radix_sort_onesweep_config_selectorIhlEEZNS1_34radix_sort_onesweep_global_offsetsIS3_Lb0EPhN6thrust23THRUST_200600_302600_NS10device_ptrIlEEjNS0_19identity_decomposerEEE10hipError_tT1_T2_PT3_SG_jT4_jjP12ihipStream_tbEUlT_E0_NS1_11comp_targetILNS1_3genE6ELNS1_11target_archE950ELNS1_3gpuE13ELNS1_3repE0EEENS1_52radix_sort_onesweep_histogram_config_static_selectorELNS0_4arch9wavefront6targetE1EEEvSE_.private_seg_size, 0
	.set _ZN7rocprim17ROCPRIM_400000_NS6detail17trampoline_kernelINS0_14default_configENS1_35radix_sort_onesweep_config_selectorIhlEEZNS1_34radix_sort_onesweep_global_offsetsIS3_Lb0EPhN6thrust23THRUST_200600_302600_NS10device_ptrIlEEjNS0_19identity_decomposerEEE10hipError_tT1_T2_PT3_SG_jT4_jjP12ihipStream_tbEUlT_E0_NS1_11comp_targetILNS1_3genE6ELNS1_11target_archE950ELNS1_3gpuE13ELNS1_3repE0EEENS1_52radix_sort_onesweep_histogram_config_static_selectorELNS0_4arch9wavefront6targetE1EEEvSE_.uses_vcc, 0
	.set _ZN7rocprim17ROCPRIM_400000_NS6detail17trampoline_kernelINS0_14default_configENS1_35radix_sort_onesweep_config_selectorIhlEEZNS1_34radix_sort_onesweep_global_offsetsIS3_Lb0EPhN6thrust23THRUST_200600_302600_NS10device_ptrIlEEjNS0_19identity_decomposerEEE10hipError_tT1_T2_PT3_SG_jT4_jjP12ihipStream_tbEUlT_E0_NS1_11comp_targetILNS1_3genE6ELNS1_11target_archE950ELNS1_3gpuE13ELNS1_3repE0EEENS1_52radix_sort_onesweep_histogram_config_static_selectorELNS0_4arch9wavefront6targetE1EEEvSE_.uses_flat_scratch, 0
	.set _ZN7rocprim17ROCPRIM_400000_NS6detail17trampoline_kernelINS0_14default_configENS1_35radix_sort_onesweep_config_selectorIhlEEZNS1_34radix_sort_onesweep_global_offsetsIS3_Lb0EPhN6thrust23THRUST_200600_302600_NS10device_ptrIlEEjNS0_19identity_decomposerEEE10hipError_tT1_T2_PT3_SG_jT4_jjP12ihipStream_tbEUlT_E0_NS1_11comp_targetILNS1_3genE6ELNS1_11target_archE950ELNS1_3gpuE13ELNS1_3repE0EEENS1_52radix_sort_onesweep_histogram_config_static_selectorELNS0_4arch9wavefront6targetE1EEEvSE_.has_dyn_sized_stack, 0
	.set _ZN7rocprim17ROCPRIM_400000_NS6detail17trampoline_kernelINS0_14default_configENS1_35radix_sort_onesweep_config_selectorIhlEEZNS1_34radix_sort_onesweep_global_offsetsIS3_Lb0EPhN6thrust23THRUST_200600_302600_NS10device_ptrIlEEjNS0_19identity_decomposerEEE10hipError_tT1_T2_PT3_SG_jT4_jjP12ihipStream_tbEUlT_E0_NS1_11comp_targetILNS1_3genE6ELNS1_11target_archE950ELNS1_3gpuE13ELNS1_3repE0EEENS1_52radix_sort_onesweep_histogram_config_static_selectorELNS0_4arch9wavefront6targetE1EEEvSE_.has_recursion, 0
	.set _ZN7rocprim17ROCPRIM_400000_NS6detail17trampoline_kernelINS0_14default_configENS1_35radix_sort_onesweep_config_selectorIhlEEZNS1_34radix_sort_onesweep_global_offsetsIS3_Lb0EPhN6thrust23THRUST_200600_302600_NS10device_ptrIlEEjNS0_19identity_decomposerEEE10hipError_tT1_T2_PT3_SG_jT4_jjP12ihipStream_tbEUlT_E0_NS1_11comp_targetILNS1_3genE6ELNS1_11target_archE950ELNS1_3gpuE13ELNS1_3repE0EEENS1_52radix_sort_onesweep_histogram_config_static_selectorELNS0_4arch9wavefront6targetE1EEEvSE_.has_indirect_call, 0
	.section	.AMDGPU.csdata,"",@progbits
; Kernel info:
; codeLenInByte = 0
; TotalNumSgprs: 4
; NumVgprs: 0
; ScratchSize: 0
; MemoryBound: 0
; FloatMode: 240
; IeeeMode: 1
; LDSByteSize: 0 bytes/workgroup (compile time only)
; SGPRBlocks: 0
; VGPRBlocks: 0
; NumSGPRsForWavesPerEU: 4
; NumVGPRsForWavesPerEU: 1
; Occupancy: 10
; WaveLimiterHint : 0
; COMPUTE_PGM_RSRC2:SCRATCH_EN: 0
; COMPUTE_PGM_RSRC2:USER_SGPR: 6
; COMPUTE_PGM_RSRC2:TRAP_HANDLER: 0
; COMPUTE_PGM_RSRC2:TGID_X_EN: 1
; COMPUTE_PGM_RSRC2:TGID_Y_EN: 0
; COMPUTE_PGM_RSRC2:TGID_Z_EN: 0
; COMPUTE_PGM_RSRC2:TIDIG_COMP_CNT: 0
	.section	.text._ZN7rocprim17ROCPRIM_400000_NS6detail17trampoline_kernelINS0_14default_configENS1_35radix_sort_onesweep_config_selectorIhlEEZNS1_34radix_sort_onesweep_global_offsetsIS3_Lb0EPhN6thrust23THRUST_200600_302600_NS10device_ptrIlEEjNS0_19identity_decomposerEEE10hipError_tT1_T2_PT3_SG_jT4_jjP12ihipStream_tbEUlT_E0_NS1_11comp_targetILNS1_3genE5ELNS1_11target_archE942ELNS1_3gpuE9ELNS1_3repE0EEENS1_52radix_sort_onesweep_histogram_config_static_selectorELNS0_4arch9wavefront6targetE1EEEvSE_,"axG",@progbits,_ZN7rocprim17ROCPRIM_400000_NS6detail17trampoline_kernelINS0_14default_configENS1_35radix_sort_onesweep_config_selectorIhlEEZNS1_34radix_sort_onesweep_global_offsetsIS3_Lb0EPhN6thrust23THRUST_200600_302600_NS10device_ptrIlEEjNS0_19identity_decomposerEEE10hipError_tT1_T2_PT3_SG_jT4_jjP12ihipStream_tbEUlT_E0_NS1_11comp_targetILNS1_3genE5ELNS1_11target_archE942ELNS1_3gpuE9ELNS1_3repE0EEENS1_52radix_sort_onesweep_histogram_config_static_selectorELNS0_4arch9wavefront6targetE1EEEvSE_,comdat
	.protected	_ZN7rocprim17ROCPRIM_400000_NS6detail17trampoline_kernelINS0_14default_configENS1_35radix_sort_onesweep_config_selectorIhlEEZNS1_34radix_sort_onesweep_global_offsetsIS3_Lb0EPhN6thrust23THRUST_200600_302600_NS10device_ptrIlEEjNS0_19identity_decomposerEEE10hipError_tT1_T2_PT3_SG_jT4_jjP12ihipStream_tbEUlT_E0_NS1_11comp_targetILNS1_3genE5ELNS1_11target_archE942ELNS1_3gpuE9ELNS1_3repE0EEENS1_52radix_sort_onesweep_histogram_config_static_selectorELNS0_4arch9wavefront6targetE1EEEvSE_ ; -- Begin function _ZN7rocprim17ROCPRIM_400000_NS6detail17trampoline_kernelINS0_14default_configENS1_35radix_sort_onesweep_config_selectorIhlEEZNS1_34radix_sort_onesweep_global_offsetsIS3_Lb0EPhN6thrust23THRUST_200600_302600_NS10device_ptrIlEEjNS0_19identity_decomposerEEE10hipError_tT1_T2_PT3_SG_jT4_jjP12ihipStream_tbEUlT_E0_NS1_11comp_targetILNS1_3genE5ELNS1_11target_archE942ELNS1_3gpuE9ELNS1_3repE0EEENS1_52radix_sort_onesweep_histogram_config_static_selectorELNS0_4arch9wavefront6targetE1EEEvSE_
	.globl	_ZN7rocprim17ROCPRIM_400000_NS6detail17trampoline_kernelINS0_14default_configENS1_35radix_sort_onesweep_config_selectorIhlEEZNS1_34radix_sort_onesweep_global_offsetsIS3_Lb0EPhN6thrust23THRUST_200600_302600_NS10device_ptrIlEEjNS0_19identity_decomposerEEE10hipError_tT1_T2_PT3_SG_jT4_jjP12ihipStream_tbEUlT_E0_NS1_11comp_targetILNS1_3genE5ELNS1_11target_archE942ELNS1_3gpuE9ELNS1_3repE0EEENS1_52radix_sort_onesweep_histogram_config_static_selectorELNS0_4arch9wavefront6targetE1EEEvSE_
	.p2align	8
	.type	_ZN7rocprim17ROCPRIM_400000_NS6detail17trampoline_kernelINS0_14default_configENS1_35radix_sort_onesweep_config_selectorIhlEEZNS1_34radix_sort_onesweep_global_offsetsIS3_Lb0EPhN6thrust23THRUST_200600_302600_NS10device_ptrIlEEjNS0_19identity_decomposerEEE10hipError_tT1_T2_PT3_SG_jT4_jjP12ihipStream_tbEUlT_E0_NS1_11comp_targetILNS1_3genE5ELNS1_11target_archE942ELNS1_3gpuE9ELNS1_3repE0EEENS1_52radix_sort_onesweep_histogram_config_static_selectorELNS0_4arch9wavefront6targetE1EEEvSE_,@function
_ZN7rocprim17ROCPRIM_400000_NS6detail17trampoline_kernelINS0_14default_configENS1_35radix_sort_onesweep_config_selectorIhlEEZNS1_34radix_sort_onesweep_global_offsetsIS3_Lb0EPhN6thrust23THRUST_200600_302600_NS10device_ptrIlEEjNS0_19identity_decomposerEEE10hipError_tT1_T2_PT3_SG_jT4_jjP12ihipStream_tbEUlT_E0_NS1_11comp_targetILNS1_3genE5ELNS1_11target_archE942ELNS1_3gpuE9ELNS1_3repE0EEENS1_52radix_sort_onesweep_histogram_config_static_selectorELNS0_4arch9wavefront6targetE1EEEvSE_: ; @_ZN7rocprim17ROCPRIM_400000_NS6detail17trampoline_kernelINS0_14default_configENS1_35radix_sort_onesweep_config_selectorIhlEEZNS1_34radix_sort_onesweep_global_offsetsIS3_Lb0EPhN6thrust23THRUST_200600_302600_NS10device_ptrIlEEjNS0_19identity_decomposerEEE10hipError_tT1_T2_PT3_SG_jT4_jjP12ihipStream_tbEUlT_E0_NS1_11comp_targetILNS1_3genE5ELNS1_11target_archE942ELNS1_3gpuE9ELNS1_3repE0EEENS1_52radix_sort_onesweep_histogram_config_static_selectorELNS0_4arch9wavefront6targetE1EEEvSE_
; %bb.0:
	.section	.rodata,"a",@progbits
	.p2align	6, 0x0
	.amdhsa_kernel _ZN7rocprim17ROCPRIM_400000_NS6detail17trampoline_kernelINS0_14default_configENS1_35radix_sort_onesweep_config_selectorIhlEEZNS1_34radix_sort_onesweep_global_offsetsIS3_Lb0EPhN6thrust23THRUST_200600_302600_NS10device_ptrIlEEjNS0_19identity_decomposerEEE10hipError_tT1_T2_PT3_SG_jT4_jjP12ihipStream_tbEUlT_E0_NS1_11comp_targetILNS1_3genE5ELNS1_11target_archE942ELNS1_3gpuE9ELNS1_3repE0EEENS1_52radix_sort_onesweep_histogram_config_static_selectorELNS0_4arch9wavefront6targetE1EEEvSE_
		.amdhsa_group_segment_fixed_size 0
		.amdhsa_private_segment_fixed_size 0
		.amdhsa_kernarg_size 8
		.amdhsa_user_sgpr_count 6
		.amdhsa_user_sgpr_private_segment_buffer 1
		.amdhsa_user_sgpr_dispatch_ptr 0
		.amdhsa_user_sgpr_queue_ptr 0
		.amdhsa_user_sgpr_kernarg_segment_ptr 1
		.amdhsa_user_sgpr_dispatch_id 0
		.amdhsa_user_sgpr_flat_scratch_init 0
		.amdhsa_user_sgpr_private_segment_size 0
		.amdhsa_uses_dynamic_stack 0
		.amdhsa_system_sgpr_private_segment_wavefront_offset 0
		.amdhsa_system_sgpr_workgroup_id_x 1
		.amdhsa_system_sgpr_workgroup_id_y 0
		.amdhsa_system_sgpr_workgroup_id_z 0
		.amdhsa_system_sgpr_workgroup_info 0
		.amdhsa_system_vgpr_workitem_id 0
		.amdhsa_next_free_vgpr 1
		.amdhsa_next_free_sgpr 0
		.amdhsa_reserve_vcc 0
		.amdhsa_reserve_flat_scratch 0
		.amdhsa_float_round_mode_32 0
		.amdhsa_float_round_mode_16_64 0
		.amdhsa_float_denorm_mode_32 3
		.amdhsa_float_denorm_mode_16_64 3
		.amdhsa_dx10_clamp 1
		.amdhsa_ieee_mode 1
		.amdhsa_fp16_overflow 0
		.amdhsa_exception_fp_ieee_invalid_op 0
		.amdhsa_exception_fp_denorm_src 0
		.amdhsa_exception_fp_ieee_div_zero 0
		.amdhsa_exception_fp_ieee_overflow 0
		.amdhsa_exception_fp_ieee_underflow 0
		.amdhsa_exception_fp_ieee_inexact 0
		.amdhsa_exception_int_div_zero 0
	.end_amdhsa_kernel
	.section	.text._ZN7rocprim17ROCPRIM_400000_NS6detail17trampoline_kernelINS0_14default_configENS1_35radix_sort_onesweep_config_selectorIhlEEZNS1_34radix_sort_onesweep_global_offsetsIS3_Lb0EPhN6thrust23THRUST_200600_302600_NS10device_ptrIlEEjNS0_19identity_decomposerEEE10hipError_tT1_T2_PT3_SG_jT4_jjP12ihipStream_tbEUlT_E0_NS1_11comp_targetILNS1_3genE5ELNS1_11target_archE942ELNS1_3gpuE9ELNS1_3repE0EEENS1_52radix_sort_onesweep_histogram_config_static_selectorELNS0_4arch9wavefront6targetE1EEEvSE_,"axG",@progbits,_ZN7rocprim17ROCPRIM_400000_NS6detail17trampoline_kernelINS0_14default_configENS1_35radix_sort_onesweep_config_selectorIhlEEZNS1_34radix_sort_onesweep_global_offsetsIS3_Lb0EPhN6thrust23THRUST_200600_302600_NS10device_ptrIlEEjNS0_19identity_decomposerEEE10hipError_tT1_T2_PT3_SG_jT4_jjP12ihipStream_tbEUlT_E0_NS1_11comp_targetILNS1_3genE5ELNS1_11target_archE942ELNS1_3gpuE9ELNS1_3repE0EEENS1_52radix_sort_onesweep_histogram_config_static_selectorELNS0_4arch9wavefront6targetE1EEEvSE_,comdat
.Lfunc_end248:
	.size	_ZN7rocprim17ROCPRIM_400000_NS6detail17trampoline_kernelINS0_14default_configENS1_35radix_sort_onesweep_config_selectorIhlEEZNS1_34radix_sort_onesweep_global_offsetsIS3_Lb0EPhN6thrust23THRUST_200600_302600_NS10device_ptrIlEEjNS0_19identity_decomposerEEE10hipError_tT1_T2_PT3_SG_jT4_jjP12ihipStream_tbEUlT_E0_NS1_11comp_targetILNS1_3genE5ELNS1_11target_archE942ELNS1_3gpuE9ELNS1_3repE0EEENS1_52radix_sort_onesweep_histogram_config_static_selectorELNS0_4arch9wavefront6targetE1EEEvSE_, .Lfunc_end248-_ZN7rocprim17ROCPRIM_400000_NS6detail17trampoline_kernelINS0_14default_configENS1_35radix_sort_onesweep_config_selectorIhlEEZNS1_34radix_sort_onesweep_global_offsetsIS3_Lb0EPhN6thrust23THRUST_200600_302600_NS10device_ptrIlEEjNS0_19identity_decomposerEEE10hipError_tT1_T2_PT3_SG_jT4_jjP12ihipStream_tbEUlT_E0_NS1_11comp_targetILNS1_3genE5ELNS1_11target_archE942ELNS1_3gpuE9ELNS1_3repE0EEENS1_52radix_sort_onesweep_histogram_config_static_selectorELNS0_4arch9wavefront6targetE1EEEvSE_
                                        ; -- End function
	.set _ZN7rocprim17ROCPRIM_400000_NS6detail17trampoline_kernelINS0_14default_configENS1_35radix_sort_onesweep_config_selectorIhlEEZNS1_34radix_sort_onesweep_global_offsetsIS3_Lb0EPhN6thrust23THRUST_200600_302600_NS10device_ptrIlEEjNS0_19identity_decomposerEEE10hipError_tT1_T2_PT3_SG_jT4_jjP12ihipStream_tbEUlT_E0_NS1_11comp_targetILNS1_3genE5ELNS1_11target_archE942ELNS1_3gpuE9ELNS1_3repE0EEENS1_52radix_sort_onesweep_histogram_config_static_selectorELNS0_4arch9wavefront6targetE1EEEvSE_.num_vgpr, 0
	.set _ZN7rocprim17ROCPRIM_400000_NS6detail17trampoline_kernelINS0_14default_configENS1_35radix_sort_onesweep_config_selectorIhlEEZNS1_34radix_sort_onesweep_global_offsetsIS3_Lb0EPhN6thrust23THRUST_200600_302600_NS10device_ptrIlEEjNS0_19identity_decomposerEEE10hipError_tT1_T2_PT3_SG_jT4_jjP12ihipStream_tbEUlT_E0_NS1_11comp_targetILNS1_3genE5ELNS1_11target_archE942ELNS1_3gpuE9ELNS1_3repE0EEENS1_52radix_sort_onesweep_histogram_config_static_selectorELNS0_4arch9wavefront6targetE1EEEvSE_.num_agpr, 0
	.set _ZN7rocprim17ROCPRIM_400000_NS6detail17trampoline_kernelINS0_14default_configENS1_35radix_sort_onesweep_config_selectorIhlEEZNS1_34radix_sort_onesweep_global_offsetsIS3_Lb0EPhN6thrust23THRUST_200600_302600_NS10device_ptrIlEEjNS0_19identity_decomposerEEE10hipError_tT1_T2_PT3_SG_jT4_jjP12ihipStream_tbEUlT_E0_NS1_11comp_targetILNS1_3genE5ELNS1_11target_archE942ELNS1_3gpuE9ELNS1_3repE0EEENS1_52radix_sort_onesweep_histogram_config_static_selectorELNS0_4arch9wavefront6targetE1EEEvSE_.numbered_sgpr, 0
	.set _ZN7rocprim17ROCPRIM_400000_NS6detail17trampoline_kernelINS0_14default_configENS1_35radix_sort_onesweep_config_selectorIhlEEZNS1_34radix_sort_onesweep_global_offsetsIS3_Lb0EPhN6thrust23THRUST_200600_302600_NS10device_ptrIlEEjNS0_19identity_decomposerEEE10hipError_tT1_T2_PT3_SG_jT4_jjP12ihipStream_tbEUlT_E0_NS1_11comp_targetILNS1_3genE5ELNS1_11target_archE942ELNS1_3gpuE9ELNS1_3repE0EEENS1_52radix_sort_onesweep_histogram_config_static_selectorELNS0_4arch9wavefront6targetE1EEEvSE_.num_named_barrier, 0
	.set _ZN7rocprim17ROCPRIM_400000_NS6detail17trampoline_kernelINS0_14default_configENS1_35radix_sort_onesweep_config_selectorIhlEEZNS1_34radix_sort_onesweep_global_offsetsIS3_Lb0EPhN6thrust23THRUST_200600_302600_NS10device_ptrIlEEjNS0_19identity_decomposerEEE10hipError_tT1_T2_PT3_SG_jT4_jjP12ihipStream_tbEUlT_E0_NS1_11comp_targetILNS1_3genE5ELNS1_11target_archE942ELNS1_3gpuE9ELNS1_3repE0EEENS1_52radix_sort_onesweep_histogram_config_static_selectorELNS0_4arch9wavefront6targetE1EEEvSE_.private_seg_size, 0
	.set _ZN7rocprim17ROCPRIM_400000_NS6detail17trampoline_kernelINS0_14default_configENS1_35radix_sort_onesweep_config_selectorIhlEEZNS1_34radix_sort_onesweep_global_offsetsIS3_Lb0EPhN6thrust23THRUST_200600_302600_NS10device_ptrIlEEjNS0_19identity_decomposerEEE10hipError_tT1_T2_PT3_SG_jT4_jjP12ihipStream_tbEUlT_E0_NS1_11comp_targetILNS1_3genE5ELNS1_11target_archE942ELNS1_3gpuE9ELNS1_3repE0EEENS1_52radix_sort_onesweep_histogram_config_static_selectorELNS0_4arch9wavefront6targetE1EEEvSE_.uses_vcc, 0
	.set _ZN7rocprim17ROCPRIM_400000_NS6detail17trampoline_kernelINS0_14default_configENS1_35radix_sort_onesweep_config_selectorIhlEEZNS1_34radix_sort_onesweep_global_offsetsIS3_Lb0EPhN6thrust23THRUST_200600_302600_NS10device_ptrIlEEjNS0_19identity_decomposerEEE10hipError_tT1_T2_PT3_SG_jT4_jjP12ihipStream_tbEUlT_E0_NS1_11comp_targetILNS1_3genE5ELNS1_11target_archE942ELNS1_3gpuE9ELNS1_3repE0EEENS1_52radix_sort_onesweep_histogram_config_static_selectorELNS0_4arch9wavefront6targetE1EEEvSE_.uses_flat_scratch, 0
	.set _ZN7rocprim17ROCPRIM_400000_NS6detail17trampoline_kernelINS0_14default_configENS1_35radix_sort_onesweep_config_selectorIhlEEZNS1_34radix_sort_onesweep_global_offsetsIS3_Lb0EPhN6thrust23THRUST_200600_302600_NS10device_ptrIlEEjNS0_19identity_decomposerEEE10hipError_tT1_T2_PT3_SG_jT4_jjP12ihipStream_tbEUlT_E0_NS1_11comp_targetILNS1_3genE5ELNS1_11target_archE942ELNS1_3gpuE9ELNS1_3repE0EEENS1_52radix_sort_onesweep_histogram_config_static_selectorELNS0_4arch9wavefront6targetE1EEEvSE_.has_dyn_sized_stack, 0
	.set _ZN7rocprim17ROCPRIM_400000_NS6detail17trampoline_kernelINS0_14default_configENS1_35radix_sort_onesweep_config_selectorIhlEEZNS1_34radix_sort_onesweep_global_offsetsIS3_Lb0EPhN6thrust23THRUST_200600_302600_NS10device_ptrIlEEjNS0_19identity_decomposerEEE10hipError_tT1_T2_PT3_SG_jT4_jjP12ihipStream_tbEUlT_E0_NS1_11comp_targetILNS1_3genE5ELNS1_11target_archE942ELNS1_3gpuE9ELNS1_3repE0EEENS1_52radix_sort_onesweep_histogram_config_static_selectorELNS0_4arch9wavefront6targetE1EEEvSE_.has_recursion, 0
	.set _ZN7rocprim17ROCPRIM_400000_NS6detail17trampoline_kernelINS0_14default_configENS1_35radix_sort_onesweep_config_selectorIhlEEZNS1_34radix_sort_onesweep_global_offsetsIS3_Lb0EPhN6thrust23THRUST_200600_302600_NS10device_ptrIlEEjNS0_19identity_decomposerEEE10hipError_tT1_T2_PT3_SG_jT4_jjP12ihipStream_tbEUlT_E0_NS1_11comp_targetILNS1_3genE5ELNS1_11target_archE942ELNS1_3gpuE9ELNS1_3repE0EEENS1_52radix_sort_onesweep_histogram_config_static_selectorELNS0_4arch9wavefront6targetE1EEEvSE_.has_indirect_call, 0
	.section	.AMDGPU.csdata,"",@progbits
; Kernel info:
; codeLenInByte = 0
; TotalNumSgprs: 4
; NumVgprs: 0
; ScratchSize: 0
; MemoryBound: 0
; FloatMode: 240
; IeeeMode: 1
; LDSByteSize: 0 bytes/workgroup (compile time only)
; SGPRBlocks: 0
; VGPRBlocks: 0
; NumSGPRsForWavesPerEU: 4
; NumVGPRsForWavesPerEU: 1
; Occupancy: 10
; WaveLimiterHint : 0
; COMPUTE_PGM_RSRC2:SCRATCH_EN: 0
; COMPUTE_PGM_RSRC2:USER_SGPR: 6
; COMPUTE_PGM_RSRC2:TRAP_HANDLER: 0
; COMPUTE_PGM_RSRC2:TGID_X_EN: 1
; COMPUTE_PGM_RSRC2:TGID_Y_EN: 0
; COMPUTE_PGM_RSRC2:TGID_Z_EN: 0
; COMPUTE_PGM_RSRC2:TIDIG_COMP_CNT: 0
	.section	.text._ZN7rocprim17ROCPRIM_400000_NS6detail17trampoline_kernelINS0_14default_configENS1_35radix_sort_onesweep_config_selectorIhlEEZNS1_34radix_sort_onesweep_global_offsetsIS3_Lb0EPhN6thrust23THRUST_200600_302600_NS10device_ptrIlEEjNS0_19identity_decomposerEEE10hipError_tT1_T2_PT3_SG_jT4_jjP12ihipStream_tbEUlT_E0_NS1_11comp_targetILNS1_3genE2ELNS1_11target_archE906ELNS1_3gpuE6ELNS1_3repE0EEENS1_52radix_sort_onesweep_histogram_config_static_selectorELNS0_4arch9wavefront6targetE1EEEvSE_,"axG",@progbits,_ZN7rocprim17ROCPRIM_400000_NS6detail17trampoline_kernelINS0_14default_configENS1_35radix_sort_onesweep_config_selectorIhlEEZNS1_34radix_sort_onesweep_global_offsetsIS3_Lb0EPhN6thrust23THRUST_200600_302600_NS10device_ptrIlEEjNS0_19identity_decomposerEEE10hipError_tT1_T2_PT3_SG_jT4_jjP12ihipStream_tbEUlT_E0_NS1_11comp_targetILNS1_3genE2ELNS1_11target_archE906ELNS1_3gpuE6ELNS1_3repE0EEENS1_52radix_sort_onesweep_histogram_config_static_selectorELNS0_4arch9wavefront6targetE1EEEvSE_,comdat
	.protected	_ZN7rocprim17ROCPRIM_400000_NS6detail17trampoline_kernelINS0_14default_configENS1_35radix_sort_onesweep_config_selectorIhlEEZNS1_34radix_sort_onesweep_global_offsetsIS3_Lb0EPhN6thrust23THRUST_200600_302600_NS10device_ptrIlEEjNS0_19identity_decomposerEEE10hipError_tT1_T2_PT3_SG_jT4_jjP12ihipStream_tbEUlT_E0_NS1_11comp_targetILNS1_3genE2ELNS1_11target_archE906ELNS1_3gpuE6ELNS1_3repE0EEENS1_52radix_sort_onesweep_histogram_config_static_selectorELNS0_4arch9wavefront6targetE1EEEvSE_ ; -- Begin function _ZN7rocprim17ROCPRIM_400000_NS6detail17trampoline_kernelINS0_14default_configENS1_35radix_sort_onesweep_config_selectorIhlEEZNS1_34radix_sort_onesweep_global_offsetsIS3_Lb0EPhN6thrust23THRUST_200600_302600_NS10device_ptrIlEEjNS0_19identity_decomposerEEE10hipError_tT1_T2_PT3_SG_jT4_jjP12ihipStream_tbEUlT_E0_NS1_11comp_targetILNS1_3genE2ELNS1_11target_archE906ELNS1_3gpuE6ELNS1_3repE0EEENS1_52radix_sort_onesweep_histogram_config_static_selectorELNS0_4arch9wavefront6targetE1EEEvSE_
	.globl	_ZN7rocprim17ROCPRIM_400000_NS6detail17trampoline_kernelINS0_14default_configENS1_35radix_sort_onesweep_config_selectorIhlEEZNS1_34radix_sort_onesweep_global_offsetsIS3_Lb0EPhN6thrust23THRUST_200600_302600_NS10device_ptrIlEEjNS0_19identity_decomposerEEE10hipError_tT1_T2_PT3_SG_jT4_jjP12ihipStream_tbEUlT_E0_NS1_11comp_targetILNS1_3genE2ELNS1_11target_archE906ELNS1_3gpuE6ELNS1_3repE0EEENS1_52radix_sort_onesweep_histogram_config_static_selectorELNS0_4arch9wavefront6targetE1EEEvSE_
	.p2align	8
	.type	_ZN7rocprim17ROCPRIM_400000_NS6detail17trampoline_kernelINS0_14default_configENS1_35radix_sort_onesweep_config_selectorIhlEEZNS1_34radix_sort_onesweep_global_offsetsIS3_Lb0EPhN6thrust23THRUST_200600_302600_NS10device_ptrIlEEjNS0_19identity_decomposerEEE10hipError_tT1_T2_PT3_SG_jT4_jjP12ihipStream_tbEUlT_E0_NS1_11comp_targetILNS1_3genE2ELNS1_11target_archE906ELNS1_3gpuE6ELNS1_3repE0EEENS1_52radix_sort_onesweep_histogram_config_static_selectorELNS0_4arch9wavefront6targetE1EEEvSE_,@function
_ZN7rocprim17ROCPRIM_400000_NS6detail17trampoline_kernelINS0_14default_configENS1_35radix_sort_onesweep_config_selectorIhlEEZNS1_34radix_sort_onesweep_global_offsetsIS3_Lb0EPhN6thrust23THRUST_200600_302600_NS10device_ptrIlEEjNS0_19identity_decomposerEEE10hipError_tT1_T2_PT3_SG_jT4_jjP12ihipStream_tbEUlT_E0_NS1_11comp_targetILNS1_3genE2ELNS1_11target_archE906ELNS1_3gpuE6ELNS1_3repE0EEENS1_52radix_sort_onesweep_histogram_config_static_selectorELNS0_4arch9wavefront6targetE1EEEvSE_: ; @_ZN7rocprim17ROCPRIM_400000_NS6detail17trampoline_kernelINS0_14default_configENS1_35radix_sort_onesweep_config_selectorIhlEEZNS1_34radix_sort_onesweep_global_offsetsIS3_Lb0EPhN6thrust23THRUST_200600_302600_NS10device_ptrIlEEjNS0_19identity_decomposerEEE10hipError_tT1_T2_PT3_SG_jT4_jjP12ihipStream_tbEUlT_E0_NS1_11comp_targetILNS1_3genE2ELNS1_11target_archE906ELNS1_3gpuE6ELNS1_3repE0EEENS1_52radix_sort_onesweep_histogram_config_static_selectorELNS0_4arch9wavefront6targetE1EEEvSE_
; %bb.0:
	s_load_dwordx2 s[0:1], s[4:5], 0x0
	s_lshl_b32 s2, s6, 8
	s_mov_b32 s3, 0
	s_lshl_b64 s[2:3], s[2:3], 2
	v_lshlrev_b32_e32 v1, 2, v0
	s_waitcnt lgkmcnt(0)
	s_add_u32 s2, s0, s2
	s_movk_i32 s0, 0x100
	s_addc_u32 s3, s1, s3
	v_cmp_gt_u32_e32 vcc, s0, v0
                                        ; implicit-def: $vgpr3
	s_and_saveexec_b64 s[0:1], vcc
	s_cbranch_execz .LBB249_2
; %bb.1:
	global_load_dword v3, v1, s[2:3]
.LBB249_2:
	s_or_b64 exec, exec, s[0:1]
	v_mbcnt_lo_u32_b32 v2, -1, 0
	v_mbcnt_hi_u32_b32 v2, -1, v2
	v_and_b32_e32 v4, 15, v2
	s_waitcnt vmcnt(0)
	v_mov_b32_dpp v5, v3 row_shr:1 row_mask:0xf bank_mask:0xf
	v_cmp_ne_u32_e64 s[0:1], 0, v4
	v_cndmask_b32_e64 v5, 0, v5, s[0:1]
	v_add_u32_e32 v3, v5, v3
	v_cmp_lt_u32_e64 s[0:1], 1, v4
	s_nop 0
	v_mov_b32_dpp v5, v3 row_shr:2 row_mask:0xf bank_mask:0xf
	v_cndmask_b32_e64 v5, 0, v5, s[0:1]
	v_add_u32_e32 v3, v3, v5
	v_cmp_lt_u32_e64 s[0:1], 3, v4
	s_nop 0
	v_mov_b32_dpp v5, v3 row_shr:4 row_mask:0xf bank_mask:0xf
	;; [unrolled: 5-line block ×3, first 2 shown]
	v_cndmask_b32_e64 v4, 0, v5, s[0:1]
	v_add_u32_e32 v3, v3, v4
	v_bfe_i32 v5, v2, 4, 1
	v_cmp_lt_u32_e64 s[0:1], 31, v2
	v_mov_b32_dpp v4, v3 row_bcast:15 row_mask:0xf bank_mask:0xf
	v_and_b32_e32 v4, v5, v4
	v_add_u32_e32 v3, v3, v4
	v_or_b32_e32 v5, 63, v0
	s_nop 0
	v_mov_b32_dpp v4, v3 row_bcast:31 row_mask:0xf bank_mask:0xf
	v_cndmask_b32_e64 v4, 0, v4, s[0:1]
	v_add_u32_e32 v3, v3, v4
	v_lshrrev_b32_e32 v4, 6, v0
	v_cmp_eq_u32_e64 s[0:1], v0, v5
	s_and_saveexec_b64 s[4:5], s[0:1]
; %bb.3:
	v_lshlrev_b32_e32 v5, 2, v4
	ds_write_b32 v5, v3
; %bb.4:
	s_or_b64 exec, exec, s[4:5]
	v_cmp_gt_u32_e64 s[0:1], 8, v0
	s_waitcnt lgkmcnt(0)
	s_barrier
	s_and_saveexec_b64 s[4:5], s[0:1]
	s_cbranch_execz .LBB249_6
; %bb.5:
	ds_read_b32 v5, v1
	v_and_b32_e32 v6, 7, v2
	v_cmp_ne_u32_e64 s[0:1], 0, v6
	s_waitcnt lgkmcnt(0)
	v_mov_b32_dpp v7, v5 row_shr:1 row_mask:0xf bank_mask:0xf
	v_cndmask_b32_e64 v7, 0, v7, s[0:1]
	v_add_u32_e32 v5, v7, v5
	v_cmp_lt_u32_e64 s[0:1], 1, v6
	s_nop 0
	v_mov_b32_dpp v7, v5 row_shr:2 row_mask:0xf bank_mask:0xf
	v_cndmask_b32_e64 v7, 0, v7, s[0:1]
	v_add_u32_e32 v5, v5, v7
	v_cmp_lt_u32_e64 s[0:1], 3, v6
	s_nop 0
	v_mov_b32_dpp v7, v5 row_shr:4 row_mask:0xf bank_mask:0xf
	v_cndmask_b32_e64 v6, 0, v7, s[0:1]
	v_add_u32_e32 v5, v5, v6
	ds_write_b32 v1, v5
.LBB249_6:
	s_or_b64 exec, exec, s[4:5]
	v_cmp_lt_u32_e64 s[0:1], 63, v0
	v_mov_b32_e32 v0, 0
	s_waitcnt lgkmcnt(0)
	s_barrier
	s_and_saveexec_b64 s[4:5], s[0:1]
; %bb.7:
	v_lshl_add_u32 v0, v4, 2, -4
	ds_read_b32 v0, v0
; %bb.8:
	s_or_b64 exec, exec, s[4:5]
	v_add_u32_e32 v4, -1, v2
	v_and_b32_e32 v5, 64, v2
	v_cmp_lt_i32_e64 s[0:1], v4, v5
	v_cndmask_b32_e64 v4, v4, v2, s[0:1]
	s_waitcnt lgkmcnt(0)
	v_add_u32_e32 v3, v0, v3
	v_lshlrev_b32_e32 v4, 2, v4
	ds_bpermute_b32 v3, v4, v3
	s_and_saveexec_b64 s[0:1], vcc
	s_cbranch_execz .LBB249_10
; %bb.9:
	v_cmp_eq_u32_e32 vcc, 0, v2
	s_waitcnt lgkmcnt(0)
	v_cndmask_b32_e32 v0, v3, v0, vcc
	global_store_dword v1, v0, s[2:3]
.LBB249_10:
	s_endpgm
	.section	.rodata,"a",@progbits
	.p2align	6, 0x0
	.amdhsa_kernel _ZN7rocprim17ROCPRIM_400000_NS6detail17trampoline_kernelINS0_14default_configENS1_35radix_sort_onesweep_config_selectorIhlEEZNS1_34radix_sort_onesweep_global_offsetsIS3_Lb0EPhN6thrust23THRUST_200600_302600_NS10device_ptrIlEEjNS0_19identity_decomposerEEE10hipError_tT1_T2_PT3_SG_jT4_jjP12ihipStream_tbEUlT_E0_NS1_11comp_targetILNS1_3genE2ELNS1_11target_archE906ELNS1_3gpuE6ELNS1_3repE0EEENS1_52radix_sort_onesweep_histogram_config_static_selectorELNS0_4arch9wavefront6targetE1EEEvSE_
		.amdhsa_group_segment_fixed_size 32
		.amdhsa_private_segment_fixed_size 0
		.amdhsa_kernarg_size 8
		.amdhsa_user_sgpr_count 6
		.amdhsa_user_sgpr_private_segment_buffer 1
		.amdhsa_user_sgpr_dispatch_ptr 0
		.amdhsa_user_sgpr_queue_ptr 0
		.amdhsa_user_sgpr_kernarg_segment_ptr 1
		.amdhsa_user_sgpr_dispatch_id 0
		.amdhsa_user_sgpr_flat_scratch_init 0
		.amdhsa_user_sgpr_private_segment_size 0
		.amdhsa_uses_dynamic_stack 0
		.amdhsa_system_sgpr_private_segment_wavefront_offset 0
		.amdhsa_system_sgpr_workgroup_id_x 1
		.amdhsa_system_sgpr_workgroup_id_y 0
		.amdhsa_system_sgpr_workgroup_id_z 0
		.amdhsa_system_sgpr_workgroup_info 0
		.amdhsa_system_vgpr_workitem_id 0
		.amdhsa_next_free_vgpr 8
		.amdhsa_next_free_sgpr 7
		.amdhsa_reserve_vcc 1
		.amdhsa_reserve_flat_scratch 0
		.amdhsa_float_round_mode_32 0
		.amdhsa_float_round_mode_16_64 0
		.amdhsa_float_denorm_mode_32 3
		.amdhsa_float_denorm_mode_16_64 3
		.amdhsa_dx10_clamp 1
		.amdhsa_ieee_mode 1
		.amdhsa_fp16_overflow 0
		.amdhsa_exception_fp_ieee_invalid_op 0
		.amdhsa_exception_fp_denorm_src 0
		.amdhsa_exception_fp_ieee_div_zero 0
		.amdhsa_exception_fp_ieee_overflow 0
		.amdhsa_exception_fp_ieee_underflow 0
		.amdhsa_exception_fp_ieee_inexact 0
		.amdhsa_exception_int_div_zero 0
	.end_amdhsa_kernel
	.section	.text._ZN7rocprim17ROCPRIM_400000_NS6detail17trampoline_kernelINS0_14default_configENS1_35radix_sort_onesweep_config_selectorIhlEEZNS1_34radix_sort_onesweep_global_offsetsIS3_Lb0EPhN6thrust23THRUST_200600_302600_NS10device_ptrIlEEjNS0_19identity_decomposerEEE10hipError_tT1_T2_PT3_SG_jT4_jjP12ihipStream_tbEUlT_E0_NS1_11comp_targetILNS1_3genE2ELNS1_11target_archE906ELNS1_3gpuE6ELNS1_3repE0EEENS1_52radix_sort_onesweep_histogram_config_static_selectorELNS0_4arch9wavefront6targetE1EEEvSE_,"axG",@progbits,_ZN7rocprim17ROCPRIM_400000_NS6detail17trampoline_kernelINS0_14default_configENS1_35radix_sort_onesweep_config_selectorIhlEEZNS1_34radix_sort_onesweep_global_offsetsIS3_Lb0EPhN6thrust23THRUST_200600_302600_NS10device_ptrIlEEjNS0_19identity_decomposerEEE10hipError_tT1_T2_PT3_SG_jT4_jjP12ihipStream_tbEUlT_E0_NS1_11comp_targetILNS1_3genE2ELNS1_11target_archE906ELNS1_3gpuE6ELNS1_3repE0EEENS1_52radix_sort_onesweep_histogram_config_static_selectorELNS0_4arch9wavefront6targetE1EEEvSE_,comdat
.Lfunc_end249:
	.size	_ZN7rocprim17ROCPRIM_400000_NS6detail17trampoline_kernelINS0_14default_configENS1_35radix_sort_onesweep_config_selectorIhlEEZNS1_34radix_sort_onesweep_global_offsetsIS3_Lb0EPhN6thrust23THRUST_200600_302600_NS10device_ptrIlEEjNS0_19identity_decomposerEEE10hipError_tT1_T2_PT3_SG_jT4_jjP12ihipStream_tbEUlT_E0_NS1_11comp_targetILNS1_3genE2ELNS1_11target_archE906ELNS1_3gpuE6ELNS1_3repE0EEENS1_52radix_sort_onesweep_histogram_config_static_selectorELNS0_4arch9wavefront6targetE1EEEvSE_, .Lfunc_end249-_ZN7rocprim17ROCPRIM_400000_NS6detail17trampoline_kernelINS0_14default_configENS1_35radix_sort_onesweep_config_selectorIhlEEZNS1_34radix_sort_onesweep_global_offsetsIS3_Lb0EPhN6thrust23THRUST_200600_302600_NS10device_ptrIlEEjNS0_19identity_decomposerEEE10hipError_tT1_T2_PT3_SG_jT4_jjP12ihipStream_tbEUlT_E0_NS1_11comp_targetILNS1_3genE2ELNS1_11target_archE906ELNS1_3gpuE6ELNS1_3repE0EEENS1_52radix_sort_onesweep_histogram_config_static_selectorELNS0_4arch9wavefront6targetE1EEEvSE_
                                        ; -- End function
	.set _ZN7rocprim17ROCPRIM_400000_NS6detail17trampoline_kernelINS0_14default_configENS1_35radix_sort_onesweep_config_selectorIhlEEZNS1_34radix_sort_onesweep_global_offsetsIS3_Lb0EPhN6thrust23THRUST_200600_302600_NS10device_ptrIlEEjNS0_19identity_decomposerEEE10hipError_tT1_T2_PT3_SG_jT4_jjP12ihipStream_tbEUlT_E0_NS1_11comp_targetILNS1_3genE2ELNS1_11target_archE906ELNS1_3gpuE6ELNS1_3repE0EEENS1_52radix_sort_onesweep_histogram_config_static_selectorELNS0_4arch9wavefront6targetE1EEEvSE_.num_vgpr, 8
	.set _ZN7rocprim17ROCPRIM_400000_NS6detail17trampoline_kernelINS0_14default_configENS1_35radix_sort_onesweep_config_selectorIhlEEZNS1_34radix_sort_onesweep_global_offsetsIS3_Lb0EPhN6thrust23THRUST_200600_302600_NS10device_ptrIlEEjNS0_19identity_decomposerEEE10hipError_tT1_T2_PT3_SG_jT4_jjP12ihipStream_tbEUlT_E0_NS1_11comp_targetILNS1_3genE2ELNS1_11target_archE906ELNS1_3gpuE6ELNS1_3repE0EEENS1_52radix_sort_onesweep_histogram_config_static_selectorELNS0_4arch9wavefront6targetE1EEEvSE_.num_agpr, 0
	.set _ZN7rocprim17ROCPRIM_400000_NS6detail17trampoline_kernelINS0_14default_configENS1_35radix_sort_onesweep_config_selectorIhlEEZNS1_34radix_sort_onesweep_global_offsetsIS3_Lb0EPhN6thrust23THRUST_200600_302600_NS10device_ptrIlEEjNS0_19identity_decomposerEEE10hipError_tT1_T2_PT3_SG_jT4_jjP12ihipStream_tbEUlT_E0_NS1_11comp_targetILNS1_3genE2ELNS1_11target_archE906ELNS1_3gpuE6ELNS1_3repE0EEENS1_52radix_sort_onesweep_histogram_config_static_selectorELNS0_4arch9wavefront6targetE1EEEvSE_.numbered_sgpr, 7
	.set _ZN7rocprim17ROCPRIM_400000_NS6detail17trampoline_kernelINS0_14default_configENS1_35radix_sort_onesweep_config_selectorIhlEEZNS1_34radix_sort_onesweep_global_offsetsIS3_Lb0EPhN6thrust23THRUST_200600_302600_NS10device_ptrIlEEjNS0_19identity_decomposerEEE10hipError_tT1_T2_PT3_SG_jT4_jjP12ihipStream_tbEUlT_E0_NS1_11comp_targetILNS1_3genE2ELNS1_11target_archE906ELNS1_3gpuE6ELNS1_3repE0EEENS1_52radix_sort_onesweep_histogram_config_static_selectorELNS0_4arch9wavefront6targetE1EEEvSE_.num_named_barrier, 0
	.set _ZN7rocprim17ROCPRIM_400000_NS6detail17trampoline_kernelINS0_14default_configENS1_35radix_sort_onesweep_config_selectorIhlEEZNS1_34radix_sort_onesweep_global_offsetsIS3_Lb0EPhN6thrust23THRUST_200600_302600_NS10device_ptrIlEEjNS0_19identity_decomposerEEE10hipError_tT1_T2_PT3_SG_jT4_jjP12ihipStream_tbEUlT_E0_NS1_11comp_targetILNS1_3genE2ELNS1_11target_archE906ELNS1_3gpuE6ELNS1_3repE0EEENS1_52radix_sort_onesweep_histogram_config_static_selectorELNS0_4arch9wavefront6targetE1EEEvSE_.private_seg_size, 0
	.set _ZN7rocprim17ROCPRIM_400000_NS6detail17trampoline_kernelINS0_14default_configENS1_35radix_sort_onesweep_config_selectorIhlEEZNS1_34radix_sort_onesweep_global_offsetsIS3_Lb0EPhN6thrust23THRUST_200600_302600_NS10device_ptrIlEEjNS0_19identity_decomposerEEE10hipError_tT1_T2_PT3_SG_jT4_jjP12ihipStream_tbEUlT_E0_NS1_11comp_targetILNS1_3genE2ELNS1_11target_archE906ELNS1_3gpuE6ELNS1_3repE0EEENS1_52radix_sort_onesweep_histogram_config_static_selectorELNS0_4arch9wavefront6targetE1EEEvSE_.uses_vcc, 1
	.set _ZN7rocprim17ROCPRIM_400000_NS6detail17trampoline_kernelINS0_14default_configENS1_35radix_sort_onesweep_config_selectorIhlEEZNS1_34radix_sort_onesweep_global_offsetsIS3_Lb0EPhN6thrust23THRUST_200600_302600_NS10device_ptrIlEEjNS0_19identity_decomposerEEE10hipError_tT1_T2_PT3_SG_jT4_jjP12ihipStream_tbEUlT_E0_NS1_11comp_targetILNS1_3genE2ELNS1_11target_archE906ELNS1_3gpuE6ELNS1_3repE0EEENS1_52radix_sort_onesweep_histogram_config_static_selectorELNS0_4arch9wavefront6targetE1EEEvSE_.uses_flat_scratch, 0
	.set _ZN7rocprim17ROCPRIM_400000_NS6detail17trampoline_kernelINS0_14default_configENS1_35radix_sort_onesweep_config_selectorIhlEEZNS1_34radix_sort_onesweep_global_offsetsIS3_Lb0EPhN6thrust23THRUST_200600_302600_NS10device_ptrIlEEjNS0_19identity_decomposerEEE10hipError_tT1_T2_PT3_SG_jT4_jjP12ihipStream_tbEUlT_E0_NS1_11comp_targetILNS1_3genE2ELNS1_11target_archE906ELNS1_3gpuE6ELNS1_3repE0EEENS1_52radix_sort_onesweep_histogram_config_static_selectorELNS0_4arch9wavefront6targetE1EEEvSE_.has_dyn_sized_stack, 0
	.set _ZN7rocprim17ROCPRIM_400000_NS6detail17trampoline_kernelINS0_14default_configENS1_35radix_sort_onesweep_config_selectorIhlEEZNS1_34radix_sort_onesweep_global_offsetsIS3_Lb0EPhN6thrust23THRUST_200600_302600_NS10device_ptrIlEEjNS0_19identity_decomposerEEE10hipError_tT1_T2_PT3_SG_jT4_jjP12ihipStream_tbEUlT_E0_NS1_11comp_targetILNS1_3genE2ELNS1_11target_archE906ELNS1_3gpuE6ELNS1_3repE0EEENS1_52radix_sort_onesweep_histogram_config_static_selectorELNS0_4arch9wavefront6targetE1EEEvSE_.has_recursion, 0
	.set _ZN7rocprim17ROCPRIM_400000_NS6detail17trampoline_kernelINS0_14default_configENS1_35radix_sort_onesweep_config_selectorIhlEEZNS1_34radix_sort_onesweep_global_offsetsIS3_Lb0EPhN6thrust23THRUST_200600_302600_NS10device_ptrIlEEjNS0_19identity_decomposerEEE10hipError_tT1_T2_PT3_SG_jT4_jjP12ihipStream_tbEUlT_E0_NS1_11comp_targetILNS1_3genE2ELNS1_11target_archE906ELNS1_3gpuE6ELNS1_3repE0EEENS1_52radix_sort_onesweep_histogram_config_static_selectorELNS0_4arch9wavefront6targetE1EEEvSE_.has_indirect_call, 0
	.section	.AMDGPU.csdata,"",@progbits
; Kernel info:
; codeLenInByte = 568
; TotalNumSgprs: 11
; NumVgprs: 8
; ScratchSize: 0
; MemoryBound: 0
; FloatMode: 240
; IeeeMode: 1
; LDSByteSize: 32 bytes/workgroup (compile time only)
; SGPRBlocks: 1
; VGPRBlocks: 1
; NumSGPRsForWavesPerEU: 11
; NumVGPRsForWavesPerEU: 8
; Occupancy: 10
; WaveLimiterHint : 0
; COMPUTE_PGM_RSRC2:SCRATCH_EN: 0
; COMPUTE_PGM_RSRC2:USER_SGPR: 6
; COMPUTE_PGM_RSRC2:TRAP_HANDLER: 0
; COMPUTE_PGM_RSRC2:TGID_X_EN: 1
; COMPUTE_PGM_RSRC2:TGID_Y_EN: 0
; COMPUTE_PGM_RSRC2:TGID_Z_EN: 0
; COMPUTE_PGM_RSRC2:TIDIG_COMP_CNT: 0
	.section	.text._ZN7rocprim17ROCPRIM_400000_NS6detail17trampoline_kernelINS0_14default_configENS1_35radix_sort_onesweep_config_selectorIhlEEZNS1_34radix_sort_onesweep_global_offsetsIS3_Lb0EPhN6thrust23THRUST_200600_302600_NS10device_ptrIlEEjNS0_19identity_decomposerEEE10hipError_tT1_T2_PT3_SG_jT4_jjP12ihipStream_tbEUlT_E0_NS1_11comp_targetILNS1_3genE4ELNS1_11target_archE910ELNS1_3gpuE8ELNS1_3repE0EEENS1_52radix_sort_onesweep_histogram_config_static_selectorELNS0_4arch9wavefront6targetE1EEEvSE_,"axG",@progbits,_ZN7rocprim17ROCPRIM_400000_NS6detail17trampoline_kernelINS0_14default_configENS1_35radix_sort_onesweep_config_selectorIhlEEZNS1_34radix_sort_onesweep_global_offsetsIS3_Lb0EPhN6thrust23THRUST_200600_302600_NS10device_ptrIlEEjNS0_19identity_decomposerEEE10hipError_tT1_T2_PT3_SG_jT4_jjP12ihipStream_tbEUlT_E0_NS1_11comp_targetILNS1_3genE4ELNS1_11target_archE910ELNS1_3gpuE8ELNS1_3repE0EEENS1_52radix_sort_onesweep_histogram_config_static_selectorELNS0_4arch9wavefront6targetE1EEEvSE_,comdat
	.protected	_ZN7rocprim17ROCPRIM_400000_NS6detail17trampoline_kernelINS0_14default_configENS1_35radix_sort_onesweep_config_selectorIhlEEZNS1_34radix_sort_onesweep_global_offsetsIS3_Lb0EPhN6thrust23THRUST_200600_302600_NS10device_ptrIlEEjNS0_19identity_decomposerEEE10hipError_tT1_T2_PT3_SG_jT4_jjP12ihipStream_tbEUlT_E0_NS1_11comp_targetILNS1_3genE4ELNS1_11target_archE910ELNS1_3gpuE8ELNS1_3repE0EEENS1_52radix_sort_onesweep_histogram_config_static_selectorELNS0_4arch9wavefront6targetE1EEEvSE_ ; -- Begin function _ZN7rocprim17ROCPRIM_400000_NS6detail17trampoline_kernelINS0_14default_configENS1_35radix_sort_onesweep_config_selectorIhlEEZNS1_34radix_sort_onesweep_global_offsetsIS3_Lb0EPhN6thrust23THRUST_200600_302600_NS10device_ptrIlEEjNS0_19identity_decomposerEEE10hipError_tT1_T2_PT3_SG_jT4_jjP12ihipStream_tbEUlT_E0_NS1_11comp_targetILNS1_3genE4ELNS1_11target_archE910ELNS1_3gpuE8ELNS1_3repE0EEENS1_52radix_sort_onesweep_histogram_config_static_selectorELNS0_4arch9wavefront6targetE1EEEvSE_
	.globl	_ZN7rocprim17ROCPRIM_400000_NS6detail17trampoline_kernelINS0_14default_configENS1_35radix_sort_onesweep_config_selectorIhlEEZNS1_34radix_sort_onesweep_global_offsetsIS3_Lb0EPhN6thrust23THRUST_200600_302600_NS10device_ptrIlEEjNS0_19identity_decomposerEEE10hipError_tT1_T2_PT3_SG_jT4_jjP12ihipStream_tbEUlT_E0_NS1_11comp_targetILNS1_3genE4ELNS1_11target_archE910ELNS1_3gpuE8ELNS1_3repE0EEENS1_52radix_sort_onesweep_histogram_config_static_selectorELNS0_4arch9wavefront6targetE1EEEvSE_
	.p2align	8
	.type	_ZN7rocprim17ROCPRIM_400000_NS6detail17trampoline_kernelINS0_14default_configENS1_35radix_sort_onesweep_config_selectorIhlEEZNS1_34radix_sort_onesweep_global_offsetsIS3_Lb0EPhN6thrust23THRUST_200600_302600_NS10device_ptrIlEEjNS0_19identity_decomposerEEE10hipError_tT1_T2_PT3_SG_jT4_jjP12ihipStream_tbEUlT_E0_NS1_11comp_targetILNS1_3genE4ELNS1_11target_archE910ELNS1_3gpuE8ELNS1_3repE0EEENS1_52radix_sort_onesweep_histogram_config_static_selectorELNS0_4arch9wavefront6targetE1EEEvSE_,@function
_ZN7rocprim17ROCPRIM_400000_NS6detail17trampoline_kernelINS0_14default_configENS1_35radix_sort_onesweep_config_selectorIhlEEZNS1_34radix_sort_onesweep_global_offsetsIS3_Lb0EPhN6thrust23THRUST_200600_302600_NS10device_ptrIlEEjNS0_19identity_decomposerEEE10hipError_tT1_T2_PT3_SG_jT4_jjP12ihipStream_tbEUlT_E0_NS1_11comp_targetILNS1_3genE4ELNS1_11target_archE910ELNS1_3gpuE8ELNS1_3repE0EEENS1_52radix_sort_onesweep_histogram_config_static_selectorELNS0_4arch9wavefront6targetE1EEEvSE_: ; @_ZN7rocprim17ROCPRIM_400000_NS6detail17trampoline_kernelINS0_14default_configENS1_35radix_sort_onesweep_config_selectorIhlEEZNS1_34radix_sort_onesweep_global_offsetsIS3_Lb0EPhN6thrust23THRUST_200600_302600_NS10device_ptrIlEEjNS0_19identity_decomposerEEE10hipError_tT1_T2_PT3_SG_jT4_jjP12ihipStream_tbEUlT_E0_NS1_11comp_targetILNS1_3genE4ELNS1_11target_archE910ELNS1_3gpuE8ELNS1_3repE0EEENS1_52radix_sort_onesweep_histogram_config_static_selectorELNS0_4arch9wavefront6targetE1EEEvSE_
; %bb.0:
	.section	.rodata,"a",@progbits
	.p2align	6, 0x0
	.amdhsa_kernel _ZN7rocprim17ROCPRIM_400000_NS6detail17trampoline_kernelINS0_14default_configENS1_35radix_sort_onesweep_config_selectorIhlEEZNS1_34radix_sort_onesweep_global_offsetsIS3_Lb0EPhN6thrust23THRUST_200600_302600_NS10device_ptrIlEEjNS0_19identity_decomposerEEE10hipError_tT1_T2_PT3_SG_jT4_jjP12ihipStream_tbEUlT_E0_NS1_11comp_targetILNS1_3genE4ELNS1_11target_archE910ELNS1_3gpuE8ELNS1_3repE0EEENS1_52radix_sort_onesweep_histogram_config_static_selectorELNS0_4arch9wavefront6targetE1EEEvSE_
		.amdhsa_group_segment_fixed_size 0
		.amdhsa_private_segment_fixed_size 0
		.amdhsa_kernarg_size 8
		.amdhsa_user_sgpr_count 6
		.amdhsa_user_sgpr_private_segment_buffer 1
		.amdhsa_user_sgpr_dispatch_ptr 0
		.amdhsa_user_sgpr_queue_ptr 0
		.amdhsa_user_sgpr_kernarg_segment_ptr 1
		.amdhsa_user_sgpr_dispatch_id 0
		.amdhsa_user_sgpr_flat_scratch_init 0
		.amdhsa_user_sgpr_private_segment_size 0
		.amdhsa_uses_dynamic_stack 0
		.amdhsa_system_sgpr_private_segment_wavefront_offset 0
		.amdhsa_system_sgpr_workgroup_id_x 1
		.amdhsa_system_sgpr_workgroup_id_y 0
		.amdhsa_system_sgpr_workgroup_id_z 0
		.amdhsa_system_sgpr_workgroup_info 0
		.amdhsa_system_vgpr_workitem_id 0
		.amdhsa_next_free_vgpr 1
		.amdhsa_next_free_sgpr 0
		.amdhsa_reserve_vcc 0
		.amdhsa_reserve_flat_scratch 0
		.amdhsa_float_round_mode_32 0
		.amdhsa_float_round_mode_16_64 0
		.amdhsa_float_denorm_mode_32 3
		.amdhsa_float_denorm_mode_16_64 3
		.amdhsa_dx10_clamp 1
		.amdhsa_ieee_mode 1
		.amdhsa_fp16_overflow 0
		.amdhsa_exception_fp_ieee_invalid_op 0
		.amdhsa_exception_fp_denorm_src 0
		.amdhsa_exception_fp_ieee_div_zero 0
		.amdhsa_exception_fp_ieee_overflow 0
		.amdhsa_exception_fp_ieee_underflow 0
		.amdhsa_exception_fp_ieee_inexact 0
		.amdhsa_exception_int_div_zero 0
	.end_amdhsa_kernel
	.section	.text._ZN7rocprim17ROCPRIM_400000_NS6detail17trampoline_kernelINS0_14default_configENS1_35radix_sort_onesweep_config_selectorIhlEEZNS1_34radix_sort_onesweep_global_offsetsIS3_Lb0EPhN6thrust23THRUST_200600_302600_NS10device_ptrIlEEjNS0_19identity_decomposerEEE10hipError_tT1_T2_PT3_SG_jT4_jjP12ihipStream_tbEUlT_E0_NS1_11comp_targetILNS1_3genE4ELNS1_11target_archE910ELNS1_3gpuE8ELNS1_3repE0EEENS1_52radix_sort_onesweep_histogram_config_static_selectorELNS0_4arch9wavefront6targetE1EEEvSE_,"axG",@progbits,_ZN7rocprim17ROCPRIM_400000_NS6detail17trampoline_kernelINS0_14default_configENS1_35radix_sort_onesweep_config_selectorIhlEEZNS1_34radix_sort_onesweep_global_offsetsIS3_Lb0EPhN6thrust23THRUST_200600_302600_NS10device_ptrIlEEjNS0_19identity_decomposerEEE10hipError_tT1_T2_PT3_SG_jT4_jjP12ihipStream_tbEUlT_E0_NS1_11comp_targetILNS1_3genE4ELNS1_11target_archE910ELNS1_3gpuE8ELNS1_3repE0EEENS1_52radix_sort_onesweep_histogram_config_static_selectorELNS0_4arch9wavefront6targetE1EEEvSE_,comdat
.Lfunc_end250:
	.size	_ZN7rocprim17ROCPRIM_400000_NS6detail17trampoline_kernelINS0_14default_configENS1_35radix_sort_onesweep_config_selectorIhlEEZNS1_34radix_sort_onesweep_global_offsetsIS3_Lb0EPhN6thrust23THRUST_200600_302600_NS10device_ptrIlEEjNS0_19identity_decomposerEEE10hipError_tT1_T2_PT3_SG_jT4_jjP12ihipStream_tbEUlT_E0_NS1_11comp_targetILNS1_3genE4ELNS1_11target_archE910ELNS1_3gpuE8ELNS1_3repE0EEENS1_52radix_sort_onesweep_histogram_config_static_selectorELNS0_4arch9wavefront6targetE1EEEvSE_, .Lfunc_end250-_ZN7rocprim17ROCPRIM_400000_NS6detail17trampoline_kernelINS0_14default_configENS1_35radix_sort_onesweep_config_selectorIhlEEZNS1_34radix_sort_onesweep_global_offsetsIS3_Lb0EPhN6thrust23THRUST_200600_302600_NS10device_ptrIlEEjNS0_19identity_decomposerEEE10hipError_tT1_T2_PT3_SG_jT4_jjP12ihipStream_tbEUlT_E0_NS1_11comp_targetILNS1_3genE4ELNS1_11target_archE910ELNS1_3gpuE8ELNS1_3repE0EEENS1_52radix_sort_onesweep_histogram_config_static_selectorELNS0_4arch9wavefront6targetE1EEEvSE_
                                        ; -- End function
	.set _ZN7rocprim17ROCPRIM_400000_NS6detail17trampoline_kernelINS0_14default_configENS1_35radix_sort_onesweep_config_selectorIhlEEZNS1_34radix_sort_onesweep_global_offsetsIS3_Lb0EPhN6thrust23THRUST_200600_302600_NS10device_ptrIlEEjNS0_19identity_decomposerEEE10hipError_tT1_T2_PT3_SG_jT4_jjP12ihipStream_tbEUlT_E0_NS1_11comp_targetILNS1_3genE4ELNS1_11target_archE910ELNS1_3gpuE8ELNS1_3repE0EEENS1_52radix_sort_onesweep_histogram_config_static_selectorELNS0_4arch9wavefront6targetE1EEEvSE_.num_vgpr, 0
	.set _ZN7rocprim17ROCPRIM_400000_NS6detail17trampoline_kernelINS0_14default_configENS1_35radix_sort_onesweep_config_selectorIhlEEZNS1_34radix_sort_onesweep_global_offsetsIS3_Lb0EPhN6thrust23THRUST_200600_302600_NS10device_ptrIlEEjNS0_19identity_decomposerEEE10hipError_tT1_T2_PT3_SG_jT4_jjP12ihipStream_tbEUlT_E0_NS1_11comp_targetILNS1_3genE4ELNS1_11target_archE910ELNS1_3gpuE8ELNS1_3repE0EEENS1_52radix_sort_onesweep_histogram_config_static_selectorELNS0_4arch9wavefront6targetE1EEEvSE_.num_agpr, 0
	.set _ZN7rocprim17ROCPRIM_400000_NS6detail17trampoline_kernelINS0_14default_configENS1_35radix_sort_onesweep_config_selectorIhlEEZNS1_34radix_sort_onesweep_global_offsetsIS3_Lb0EPhN6thrust23THRUST_200600_302600_NS10device_ptrIlEEjNS0_19identity_decomposerEEE10hipError_tT1_T2_PT3_SG_jT4_jjP12ihipStream_tbEUlT_E0_NS1_11comp_targetILNS1_3genE4ELNS1_11target_archE910ELNS1_3gpuE8ELNS1_3repE0EEENS1_52radix_sort_onesweep_histogram_config_static_selectorELNS0_4arch9wavefront6targetE1EEEvSE_.numbered_sgpr, 0
	.set _ZN7rocprim17ROCPRIM_400000_NS6detail17trampoline_kernelINS0_14default_configENS1_35radix_sort_onesweep_config_selectorIhlEEZNS1_34radix_sort_onesweep_global_offsetsIS3_Lb0EPhN6thrust23THRUST_200600_302600_NS10device_ptrIlEEjNS0_19identity_decomposerEEE10hipError_tT1_T2_PT3_SG_jT4_jjP12ihipStream_tbEUlT_E0_NS1_11comp_targetILNS1_3genE4ELNS1_11target_archE910ELNS1_3gpuE8ELNS1_3repE0EEENS1_52radix_sort_onesweep_histogram_config_static_selectorELNS0_4arch9wavefront6targetE1EEEvSE_.num_named_barrier, 0
	.set _ZN7rocprim17ROCPRIM_400000_NS6detail17trampoline_kernelINS0_14default_configENS1_35radix_sort_onesweep_config_selectorIhlEEZNS1_34radix_sort_onesweep_global_offsetsIS3_Lb0EPhN6thrust23THRUST_200600_302600_NS10device_ptrIlEEjNS0_19identity_decomposerEEE10hipError_tT1_T2_PT3_SG_jT4_jjP12ihipStream_tbEUlT_E0_NS1_11comp_targetILNS1_3genE4ELNS1_11target_archE910ELNS1_3gpuE8ELNS1_3repE0EEENS1_52radix_sort_onesweep_histogram_config_static_selectorELNS0_4arch9wavefront6targetE1EEEvSE_.private_seg_size, 0
	.set _ZN7rocprim17ROCPRIM_400000_NS6detail17trampoline_kernelINS0_14default_configENS1_35radix_sort_onesweep_config_selectorIhlEEZNS1_34radix_sort_onesweep_global_offsetsIS3_Lb0EPhN6thrust23THRUST_200600_302600_NS10device_ptrIlEEjNS0_19identity_decomposerEEE10hipError_tT1_T2_PT3_SG_jT4_jjP12ihipStream_tbEUlT_E0_NS1_11comp_targetILNS1_3genE4ELNS1_11target_archE910ELNS1_3gpuE8ELNS1_3repE0EEENS1_52radix_sort_onesweep_histogram_config_static_selectorELNS0_4arch9wavefront6targetE1EEEvSE_.uses_vcc, 0
	.set _ZN7rocprim17ROCPRIM_400000_NS6detail17trampoline_kernelINS0_14default_configENS1_35radix_sort_onesweep_config_selectorIhlEEZNS1_34radix_sort_onesweep_global_offsetsIS3_Lb0EPhN6thrust23THRUST_200600_302600_NS10device_ptrIlEEjNS0_19identity_decomposerEEE10hipError_tT1_T2_PT3_SG_jT4_jjP12ihipStream_tbEUlT_E0_NS1_11comp_targetILNS1_3genE4ELNS1_11target_archE910ELNS1_3gpuE8ELNS1_3repE0EEENS1_52radix_sort_onesweep_histogram_config_static_selectorELNS0_4arch9wavefront6targetE1EEEvSE_.uses_flat_scratch, 0
	.set _ZN7rocprim17ROCPRIM_400000_NS6detail17trampoline_kernelINS0_14default_configENS1_35radix_sort_onesweep_config_selectorIhlEEZNS1_34radix_sort_onesweep_global_offsetsIS3_Lb0EPhN6thrust23THRUST_200600_302600_NS10device_ptrIlEEjNS0_19identity_decomposerEEE10hipError_tT1_T2_PT3_SG_jT4_jjP12ihipStream_tbEUlT_E0_NS1_11comp_targetILNS1_3genE4ELNS1_11target_archE910ELNS1_3gpuE8ELNS1_3repE0EEENS1_52radix_sort_onesweep_histogram_config_static_selectorELNS0_4arch9wavefront6targetE1EEEvSE_.has_dyn_sized_stack, 0
	.set _ZN7rocprim17ROCPRIM_400000_NS6detail17trampoline_kernelINS0_14default_configENS1_35radix_sort_onesweep_config_selectorIhlEEZNS1_34radix_sort_onesweep_global_offsetsIS3_Lb0EPhN6thrust23THRUST_200600_302600_NS10device_ptrIlEEjNS0_19identity_decomposerEEE10hipError_tT1_T2_PT3_SG_jT4_jjP12ihipStream_tbEUlT_E0_NS1_11comp_targetILNS1_3genE4ELNS1_11target_archE910ELNS1_3gpuE8ELNS1_3repE0EEENS1_52radix_sort_onesweep_histogram_config_static_selectorELNS0_4arch9wavefront6targetE1EEEvSE_.has_recursion, 0
	.set _ZN7rocprim17ROCPRIM_400000_NS6detail17trampoline_kernelINS0_14default_configENS1_35radix_sort_onesweep_config_selectorIhlEEZNS1_34radix_sort_onesweep_global_offsetsIS3_Lb0EPhN6thrust23THRUST_200600_302600_NS10device_ptrIlEEjNS0_19identity_decomposerEEE10hipError_tT1_T2_PT3_SG_jT4_jjP12ihipStream_tbEUlT_E0_NS1_11comp_targetILNS1_3genE4ELNS1_11target_archE910ELNS1_3gpuE8ELNS1_3repE0EEENS1_52radix_sort_onesweep_histogram_config_static_selectorELNS0_4arch9wavefront6targetE1EEEvSE_.has_indirect_call, 0
	.section	.AMDGPU.csdata,"",@progbits
; Kernel info:
; codeLenInByte = 0
; TotalNumSgprs: 4
; NumVgprs: 0
; ScratchSize: 0
; MemoryBound: 0
; FloatMode: 240
; IeeeMode: 1
; LDSByteSize: 0 bytes/workgroup (compile time only)
; SGPRBlocks: 0
; VGPRBlocks: 0
; NumSGPRsForWavesPerEU: 4
; NumVGPRsForWavesPerEU: 1
; Occupancy: 10
; WaveLimiterHint : 0
; COMPUTE_PGM_RSRC2:SCRATCH_EN: 0
; COMPUTE_PGM_RSRC2:USER_SGPR: 6
; COMPUTE_PGM_RSRC2:TRAP_HANDLER: 0
; COMPUTE_PGM_RSRC2:TGID_X_EN: 1
; COMPUTE_PGM_RSRC2:TGID_Y_EN: 0
; COMPUTE_PGM_RSRC2:TGID_Z_EN: 0
; COMPUTE_PGM_RSRC2:TIDIG_COMP_CNT: 0
	.section	.text._ZN7rocprim17ROCPRIM_400000_NS6detail17trampoline_kernelINS0_14default_configENS1_35radix_sort_onesweep_config_selectorIhlEEZNS1_34radix_sort_onesweep_global_offsetsIS3_Lb0EPhN6thrust23THRUST_200600_302600_NS10device_ptrIlEEjNS0_19identity_decomposerEEE10hipError_tT1_T2_PT3_SG_jT4_jjP12ihipStream_tbEUlT_E0_NS1_11comp_targetILNS1_3genE3ELNS1_11target_archE908ELNS1_3gpuE7ELNS1_3repE0EEENS1_52radix_sort_onesweep_histogram_config_static_selectorELNS0_4arch9wavefront6targetE1EEEvSE_,"axG",@progbits,_ZN7rocprim17ROCPRIM_400000_NS6detail17trampoline_kernelINS0_14default_configENS1_35radix_sort_onesweep_config_selectorIhlEEZNS1_34radix_sort_onesweep_global_offsetsIS3_Lb0EPhN6thrust23THRUST_200600_302600_NS10device_ptrIlEEjNS0_19identity_decomposerEEE10hipError_tT1_T2_PT3_SG_jT4_jjP12ihipStream_tbEUlT_E0_NS1_11comp_targetILNS1_3genE3ELNS1_11target_archE908ELNS1_3gpuE7ELNS1_3repE0EEENS1_52radix_sort_onesweep_histogram_config_static_selectorELNS0_4arch9wavefront6targetE1EEEvSE_,comdat
	.protected	_ZN7rocprim17ROCPRIM_400000_NS6detail17trampoline_kernelINS0_14default_configENS1_35radix_sort_onesweep_config_selectorIhlEEZNS1_34radix_sort_onesweep_global_offsetsIS3_Lb0EPhN6thrust23THRUST_200600_302600_NS10device_ptrIlEEjNS0_19identity_decomposerEEE10hipError_tT1_T2_PT3_SG_jT4_jjP12ihipStream_tbEUlT_E0_NS1_11comp_targetILNS1_3genE3ELNS1_11target_archE908ELNS1_3gpuE7ELNS1_3repE0EEENS1_52radix_sort_onesweep_histogram_config_static_selectorELNS0_4arch9wavefront6targetE1EEEvSE_ ; -- Begin function _ZN7rocprim17ROCPRIM_400000_NS6detail17trampoline_kernelINS0_14default_configENS1_35radix_sort_onesweep_config_selectorIhlEEZNS1_34radix_sort_onesweep_global_offsetsIS3_Lb0EPhN6thrust23THRUST_200600_302600_NS10device_ptrIlEEjNS0_19identity_decomposerEEE10hipError_tT1_T2_PT3_SG_jT4_jjP12ihipStream_tbEUlT_E0_NS1_11comp_targetILNS1_3genE3ELNS1_11target_archE908ELNS1_3gpuE7ELNS1_3repE0EEENS1_52radix_sort_onesweep_histogram_config_static_selectorELNS0_4arch9wavefront6targetE1EEEvSE_
	.globl	_ZN7rocprim17ROCPRIM_400000_NS6detail17trampoline_kernelINS0_14default_configENS1_35radix_sort_onesweep_config_selectorIhlEEZNS1_34radix_sort_onesweep_global_offsetsIS3_Lb0EPhN6thrust23THRUST_200600_302600_NS10device_ptrIlEEjNS0_19identity_decomposerEEE10hipError_tT1_T2_PT3_SG_jT4_jjP12ihipStream_tbEUlT_E0_NS1_11comp_targetILNS1_3genE3ELNS1_11target_archE908ELNS1_3gpuE7ELNS1_3repE0EEENS1_52radix_sort_onesweep_histogram_config_static_selectorELNS0_4arch9wavefront6targetE1EEEvSE_
	.p2align	8
	.type	_ZN7rocprim17ROCPRIM_400000_NS6detail17trampoline_kernelINS0_14default_configENS1_35radix_sort_onesweep_config_selectorIhlEEZNS1_34radix_sort_onesweep_global_offsetsIS3_Lb0EPhN6thrust23THRUST_200600_302600_NS10device_ptrIlEEjNS0_19identity_decomposerEEE10hipError_tT1_T2_PT3_SG_jT4_jjP12ihipStream_tbEUlT_E0_NS1_11comp_targetILNS1_3genE3ELNS1_11target_archE908ELNS1_3gpuE7ELNS1_3repE0EEENS1_52radix_sort_onesweep_histogram_config_static_selectorELNS0_4arch9wavefront6targetE1EEEvSE_,@function
_ZN7rocprim17ROCPRIM_400000_NS6detail17trampoline_kernelINS0_14default_configENS1_35radix_sort_onesweep_config_selectorIhlEEZNS1_34radix_sort_onesweep_global_offsetsIS3_Lb0EPhN6thrust23THRUST_200600_302600_NS10device_ptrIlEEjNS0_19identity_decomposerEEE10hipError_tT1_T2_PT3_SG_jT4_jjP12ihipStream_tbEUlT_E0_NS1_11comp_targetILNS1_3genE3ELNS1_11target_archE908ELNS1_3gpuE7ELNS1_3repE0EEENS1_52radix_sort_onesweep_histogram_config_static_selectorELNS0_4arch9wavefront6targetE1EEEvSE_: ; @_ZN7rocprim17ROCPRIM_400000_NS6detail17trampoline_kernelINS0_14default_configENS1_35radix_sort_onesweep_config_selectorIhlEEZNS1_34radix_sort_onesweep_global_offsetsIS3_Lb0EPhN6thrust23THRUST_200600_302600_NS10device_ptrIlEEjNS0_19identity_decomposerEEE10hipError_tT1_T2_PT3_SG_jT4_jjP12ihipStream_tbEUlT_E0_NS1_11comp_targetILNS1_3genE3ELNS1_11target_archE908ELNS1_3gpuE7ELNS1_3repE0EEENS1_52radix_sort_onesweep_histogram_config_static_selectorELNS0_4arch9wavefront6targetE1EEEvSE_
; %bb.0:
	.section	.rodata,"a",@progbits
	.p2align	6, 0x0
	.amdhsa_kernel _ZN7rocprim17ROCPRIM_400000_NS6detail17trampoline_kernelINS0_14default_configENS1_35radix_sort_onesweep_config_selectorIhlEEZNS1_34radix_sort_onesweep_global_offsetsIS3_Lb0EPhN6thrust23THRUST_200600_302600_NS10device_ptrIlEEjNS0_19identity_decomposerEEE10hipError_tT1_T2_PT3_SG_jT4_jjP12ihipStream_tbEUlT_E0_NS1_11comp_targetILNS1_3genE3ELNS1_11target_archE908ELNS1_3gpuE7ELNS1_3repE0EEENS1_52radix_sort_onesweep_histogram_config_static_selectorELNS0_4arch9wavefront6targetE1EEEvSE_
		.amdhsa_group_segment_fixed_size 0
		.amdhsa_private_segment_fixed_size 0
		.amdhsa_kernarg_size 8
		.amdhsa_user_sgpr_count 6
		.amdhsa_user_sgpr_private_segment_buffer 1
		.amdhsa_user_sgpr_dispatch_ptr 0
		.amdhsa_user_sgpr_queue_ptr 0
		.amdhsa_user_sgpr_kernarg_segment_ptr 1
		.amdhsa_user_sgpr_dispatch_id 0
		.amdhsa_user_sgpr_flat_scratch_init 0
		.amdhsa_user_sgpr_private_segment_size 0
		.amdhsa_uses_dynamic_stack 0
		.amdhsa_system_sgpr_private_segment_wavefront_offset 0
		.amdhsa_system_sgpr_workgroup_id_x 1
		.amdhsa_system_sgpr_workgroup_id_y 0
		.amdhsa_system_sgpr_workgroup_id_z 0
		.amdhsa_system_sgpr_workgroup_info 0
		.amdhsa_system_vgpr_workitem_id 0
		.amdhsa_next_free_vgpr 1
		.amdhsa_next_free_sgpr 0
		.amdhsa_reserve_vcc 0
		.amdhsa_reserve_flat_scratch 0
		.amdhsa_float_round_mode_32 0
		.amdhsa_float_round_mode_16_64 0
		.amdhsa_float_denorm_mode_32 3
		.amdhsa_float_denorm_mode_16_64 3
		.amdhsa_dx10_clamp 1
		.amdhsa_ieee_mode 1
		.amdhsa_fp16_overflow 0
		.amdhsa_exception_fp_ieee_invalid_op 0
		.amdhsa_exception_fp_denorm_src 0
		.amdhsa_exception_fp_ieee_div_zero 0
		.amdhsa_exception_fp_ieee_overflow 0
		.amdhsa_exception_fp_ieee_underflow 0
		.amdhsa_exception_fp_ieee_inexact 0
		.amdhsa_exception_int_div_zero 0
	.end_amdhsa_kernel
	.section	.text._ZN7rocprim17ROCPRIM_400000_NS6detail17trampoline_kernelINS0_14default_configENS1_35radix_sort_onesweep_config_selectorIhlEEZNS1_34radix_sort_onesweep_global_offsetsIS3_Lb0EPhN6thrust23THRUST_200600_302600_NS10device_ptrIlEEjNS0_19identity_decomposerEEE10hipError_tT1_T2_PT3_SG_jT4_jjP12ihipStream_tbEUlT_E0_NS1_11comp_targetILNS1_3genE3ELNS1_11target_archE908ELNS1_3gpuE7ELNS1_3repE0EEENS1_52radix_sort_onesweep_histogram_config_static_selectorELNS0_4arch9wavefront6targetE1EEEvSE_,"axG",@progbits,_ZN7rocprim17ROCPRIM_400000_NS6detail17trampoline_kernelINS0_14default_configENS1_35radix_sort_onesweep_config_selectorIhlEEZNS1_34radix_sort_onesweep_global_offsetsIS3_Lb0EPhN6thrust23THRUST_200600_302600_NS10device_ptrIlEEjNS0_19identity_decomposerEEE10hipError_tT1_T2_PT3_SG_jT4_jjP12ihipStream_tbEUlT_E0_NS1_11comp_targetILNS1_3genE3ELNS1_11target_archE908ELNS1_3gpuE7ELNS1_3repE0EEENS1_52radix_sort_onesweep_histogram_config_static_selectorELNS0_4arch9wavefront6targetE1EEEvSE_,comdat
.Lfunc_end251:
	.size	_ZN7rocprim17ROCPRIM_400000_NS6detail17trampoline_kernelINS0_14default_configENS1_35radix_sort_onesweep_config_selectorIhlEEZNS1_34radix_sort_onesweep_global_offsetsIS3_Lb0EPhN6thrust23THRUST_200600_302600_NS10device_ptrIlEEjNS0_19identity_decomposerEEE10hipError_tT1_T2_PT3_SG_jT4_jjP12ihipStream_tbEUlT_E0_NS1_11comp_targetILNS1_3genE3ELNS1_11target_archE908ELNS1_3gpuE7ELNS1_3repE0EEENS1_52radix_sort_onesweep_histogram_config_static_selectorELNS0_4arch9wavefront6targetE1EEEvSE_, .Lfunc_end251-_ZN7rocprim17ROCPRIM_400000_NS6detail17trampoline_kernelINS0_14default_configENS1_35radix_sort_onesweep_config_selectorIhlEEZNS1_34radix_sort_onesweep_global_offsetsIS3_Lb0EPhN6thrust23THRUST_200600_302600_NS10device_ptrIlEEjNS0_19identity_decomposerEEE10hipError_tT1_T2_PT3_SG_jT4_jjP12ihipStream_tbEUlT_E0_NS1_11comp_targetILNS1_3genE3ELNS1_11target_archE908ELNS1_3gpuE7ELNS1_3repE0EEENS1_52radix_sort_onesweep_histogram_config_static_selectorELNS0_4arch9wavefront6targetE1EEEvSE_
                                        ; -- End function
	.set _ZN7rocprim17ROCPRIM_400000_NS6detail17trampoline_kernelINS0_14default_configENS1_35radix_sort_onesweep_config_selectorIhlEEZNS1_34radix_sort_onesweep_global_offsetsIS3_Lb0EPhN6thrust23THRUST_200600_302600_NS10device_ptrIlEEjNS0_19identity_decomposerEEE10hipError_tT1_T2_PT3_SG_jT4_jjP12ihipStream_tbEUlT_E0_NS1_11comp_targetILNS1_3genE3ELNS1_11target_archE908ELNS1_3gpuE7ELNS1_3repE0EEENS1_52radix_sort_onesweep_histogram_config_static_selectorELNS0_4arch9wavefront6targetE1EEEvSE_.num_vgpr, 0
	.set _ZN7rocprim17ROCPRIM_400000_NS6detail17trampoline_kernelINS0_14default_configENS1_35radix_sort_onesweep_config_selectorIhlEEZNS1_34radix_sort_onesweep_global_offsetsIS3_Lb0EPhN6thrust23THRUST_200600_302600_NS10device_ptrIlEEjNS0_19identity_decomposerEEE10hipError_tT1_T2_PT3_SG_jT4_jjP12ihipStream_tbEUlT_E0_NS1_11comp_targetILNS1_3genE3ELNS1_11target_archE908ELNS1_3gpuE7ELNS1_3repE0EEENS1_52radix_sort_onesweep_histogram_config_static_selectorELNS0_4arch9wavefront6targetE1EEEvSE_.num_agpr, 0
	.set _ZN7rocprim17ROCPRIM_400000_NS6detail17trampoline_kernelINS0_14default_configENS1_35radix_sort_onesweep_config_selectorIhlEEZNS1_34radix_sort_onesweep_global_offsetsIS3_Lb0EPhN6thrust23THRUST_200600_302600_NS10device_ptrIlEEjNS0_19identity_decomposerEEE10hipError_tT1_T2_PT3_SG_jT4_jjP12ihipStream_tbEUlT_E0_NS1_11comp_targetILNS1_3genE3ELNS1_11target_archE908ELNS1_3gpuE7ELNS1_3repE0EEENS1_52radix_sort_onesweep_histogram_config_static_selectorELNS0_4arch9wavefront6targetE1EEEvSE_.numbered_sgpr, 0
	.set _ZN7rocprim17ROCPRIM_400000_NS6detail17trampoline_kernelINS0_14default_configENS1_35radix_sort_onesweep_config_selectorIhlEEZNS1_34radix_sort_onesweep_global_offsetsIS3_Lb0EPhN6thrust23THRUST_200600_302600_NS10device_ptrIlEEjNS0_19identity_decomposerEEE10hipError_tT1_T2_PT3_SG_jT4_jjP12ihipStream_tbEUlT_E0_NS1_11comp_targetILNS1_3genE3ELNS1_11target_archE908ELNS1_3gpuE7ELNS1_3repE0EEENS1_52radix_sort_onesweep_histogram_config_static_selectorELNS0_4arch9wavefront6targetE1EEEvSE_.num_named_barrier, 0
	.set _ZN7rocprim17ROCPRIM_400000_NS6detail17trampoline_kernelINS0_14default_configENS1_35radix_sort_onesweep_config_selectorIhlEEZNS1_34radix_sort_onesweep_global_offsetsIS3_Lb0EPhN6thrust23THRUST_200600_302600_NS10device_ptrIlEEjNS0_19identity_decomposerEEE10hipError_tT1_T2_PT3_SG_jT4_jjP12ihipStream_tbEUlT_E0_NS1_11comp_targetILNS1_3genE3ELNS1_11target_archE908ELNS1_3gpuE7ELNS1_3repE0EEENS1_52radix_sort_onesweep_histogram_config_static_selectorELNS0_4arch9wavefront6targetE1EEEvSE_.private_seg_size, 0
	.set _ZN7rocprim17ROCPRIM_400000_NS6detail17trampoline_kernelINS0_14default_configENS1_35radix_sort_onesweep_config_selectorIhlEEZNS1_34radix_sort_onesweep_global_offsetsIS3_Lb0EPhN6thrust23THRUST_200600_302600_NS10device_ptrIlEEjNS0_19identity_decomposerEEE10hipError_tT1_T2_PT3_SG_jT4_jjP12ihipStream_tbEUlT_E0_NS1_11comp_targetILNS1_3genE3ELNS1_11target_archE908ELNS1_3gpuE7ELNS1_3repE0EEENS1_52radix_sort_onesweep_histogram_config_static_selectorELNS0_4arch9wavefront6targetE1EEEvSE_.uses_vcc, 0
	.set _ZN7rocprim17ROCPRIM_400000_NS6detail17trampoline_kernelINS0_14default_configENS1_35radix_sort_onesweep_config_selectorIhlEEZNS1_34radix_sort_onesweep_global_offsetsIS3_Lb0EPhN6thrust23THRUST_200600_302600_NS10device_ptrIlEEjNS0_19identity_decomposerEEE10hipError_tT1_T2_PT3_SG_jT4_jjP12ihipStream_tbEUlT_E0_NS1_11comp_targetILNS1_3genE3ELNS1_11target_archE908ELNS1_3gpuE7ELNS1_3repE0EEENS1_52radix_sort_onesweep_histogram_config_static_selectorELNS0_4arch9wavefront6targetE1EEEvSE_.uses_flat_scratch, 0
	.set _ZN7rocprim17ROCPRIM_400000_NS6detail17trampoline_kernelINS0_14default_configENS1_35radix_sort_onesweep_config_selectorIhlEEZNS1_34radix_sort_onesweep_global_offsetsIS3_Lb0EPhN6thrust23THRUST_200600_302600_NS10device_ptrIlEEjNS0_19identity_decomposerEEE10hipError_tT1_T2_PT3_SG_jT4_jjP12ihipStream_tbEUlT_E0_NS1_11comp_targetILNS1_3genE3ELNS1_11target_archE908ELNS1_3gpuE7ELNS1_3repE0EEENS1_52radix_sort_onesweep_histogram_config_static_selectorELNS0_4arch9wavefront6targetE1EEEvSE_.has_dyn_sized_stack, 0
	.set _ZN7rocprim17ROCPRIM_400000_NS6detail17trampoline_kernelINS0_14default_configENS1_35radix_sort_onesweep_config_selectorIhlEEZNS1_34radix_sort_onesweep_global_offsetsIS3_Lb0EPhN6thrust23THRUST_200600_302600_NS10device_ptrIlEEjNS0_19identity_decomposerEEE10hipError_tT1_T2_PT3_SG_jT4_jjP12ihipStream_tbEUlT_E0_NS1_11comp_targetILNS1_3genE3ELNS1_11target_archE908ELNS1_3gpuE7ELNS1_3repE0EEENS1_52radix_sort_onesweep_histogram_config_static_selectorELNS0_4arch9wavefront6targetE1EEEvSE_.has_recursion, 0
	.set _ZN7rocprim17ROCPRIM_400000_NS6detail17trampoline_kernelINS0_14default_configENS1_35radix_sort_onesweep_config_selectorIhlEEZNS1_34radix_sort_onesweep_global_offsetsIS3_Lb0EPhN6thrust23THRUST_200600_302600_NS10device_ptrIlEEjNS0_19identity_decomposerEEE10hipError_tT1_T2_PT3_SG_jT4_jjP12ihipStream_tbEUlT_E0_NS1_11comp_targetILNS1_3genE3ELNS1_11target_archE908ELNS1_3gpuE7ELNS1_3repE0EEENS1_52radix_sort_onesweep_histogram_config_static_selectorELNS0_4arch9wavefront6targetE1EEEvSE_.has_indirect_call, 0
	.section	.AMDGPU.csdata,"",@progbits
; Kernel info:
; codeLenInByte = 0
; TotalNumSgprs: 4
; NumVgprs: 0
; ScratchSize: 0
; MemoryBound: 0
; FloatMode: 240
; IeeeMode: 1
; LDSByteSize: 0 bytes/workgroup (compile time only)
; SGPRBlocks: 0
; VGPRBlocks: 0
; NumSGPRsForWavesPerEU: 4
; NumVGPRsForWavesPerEU: 1
; Occupancy: 10
; WaveLimiterHint : 0
; COMPUTE_PGM_RSRC2:SCRATCH_EN: 0
; COMPUTE_PGM_RSRC2:USER_SGPR: 6
; COMPUTE_PGM_RSRC2:TRAP_HANDLER: 0
; COMPUTE_PGM_RSRC2:TGID_X_EN: 1
; COMPUTE_PGM_RSRC2:TGID_Y_EN: 0
; COMPUTE_PGM_RSRC2:TGID_Z_EN: 0
; COMPUTE_PGM_RSRC2:TIDIG_COMP_CNT: 0
	.section	.text._ZN7rocprim17ROCPRIM_400000_NS6detail17trampoline_kernelINS0_14default_configENS1_35radix_sort_onesweep_config_selectorIhlEEZNS1_34radix_sort_onesweep_global_offsetsIS3_Lb0EPhN6thrust23THRUST_200600_302600_NS10device_ptrIlEEjNS0_19identity_decomposerEEE10hipError_tT1_T2_PT3_SG_jT4_jjP12ihipStream_tbEUlT_E0_NS1_11comp_targetILNS1_3genE10ELNS1_11target_archE1201ELNS1_3gpuE5ELNS1_3repE0EEENS1_52radix_sort_onesweep_histogram_config_static_selectorELNS0_4arch9wavefront6targetE1EEEvSE_,"axG",@progbits,_ZN7rocprim17ROCPRIM_400000_NS6detail17trampoline_kernelINS0_14default_configENS1_35radix_sort_onesweep_config_selectorIhlEEZNS1_34radix_sort_onesweep_global_offsetsIS3_Lb0EPhN6thrust23THRUST_200600_302600_NS10device_ptrIlEEjNS0_19identity_decomposerEEE10hipError_tT1_T2_PT3_SG_jT4_jjP12ihipStream_tbEUlT_E0_NS1_11comp_targetILNS1_3genE10ELNS1_11target_archE1201ELNS1_3gpuE5ELNS1_3repE0EEENS1_52radix_sort_onesweep_histogram_config_static_selectorELNS0_4arch9wavefront6targetE1EEEvSE_,comdat
	.protected	_ZN7rocprim17ROCPRIM_400000_NS6detail17trampoline_kernelINS0_14default_configENS1_35radix_sort_onesweep_config_selectorIhlEEZNS1_34radix_sort_onesweep_global_offsetsIS3_Lb0EPhN6thrust23THRUST_200600_302600_NS10device_ptrIlEEjNS0_19identity_decomposerEEE10hipError_tT1_T2_PT3_SG_jT4_jjP12ihipStream_tbEUlT_E0_NS1_11comp_targetILNS1_3genE10ELNS1_11target_archE1201ELNS1_3gpuE5ELNS1_3repE0EEENS1_52radix_sort_onesweep_histogram_config_static_selectorELNS0_4arch9wavefront6targetE1EEEvSE_ ; -- Begin function _ZN7rocprim17ROCPRIM_400000_NS6detail17trampoline_kernelINS0_14default_configENS1_35radix_sort_onesweep_config_selectorIhlEEZNS1_34radix_sort_onesweep_global_offsetsIS3_Lb0EPhN6thrust23THRUST_200600_302600_NS10device_ptrIlEEjNS0_19identity_decomposerEEE10hipError_tT1_T2_PT3_SG_jT4_jjP12ihipStream_tbEUlT_E0_NS1_11comp_targetILNS1_3genE10ELNS1_11target_archE1201ELNS1_3gpuE5ELNS1_3repE0EEENS1_52radix_sort_onesweep_histogram_config_static_selectorELNS0_4arch9wavefront6targetE1EEEvSE_
	.globl	_ZN7rocprim17ROCPRIM_400000_NS6detail17trampoline_kernelINS0_14default_configENS1_35radix_sort_onesweep_config_selectorIhlEEZNS1_34radix_sort_onesweep_global_offsetsIS3_Lb0EPhN6thrust23THRUST_200600_302600_NS10device_ptrIlEEjNS0_19identity_decomposerEEE10hipError_tT1_T2_PT3_SG_jT4_jjP12ihipStream_tbEUlT_E0_NS1_11comp_targetILNS1_3genE10ELNS1_11target_archE1201ELNS1_3gpuE5ELNS1_3repE0EEENS1_52radix_sort_onesweep_histogram_config_static_selectorELNS0_4arch9wavefront6targetE1EEEvSE_
	.p2align	8
	.type	_ZN7rocprim17ROCPRIM_400000_NS6detail17trampoline_kernelINS0_14default_configENS1_35radix_sort_onesweep_config_selectorIhlEEZNS1_34radix_sort_onesweep_global_offsetsIS3_Lb0EPhN6thrust23THRUST_200600_302600_NS10device_ptrIlEEjNS0_19identity_decomposerEEE10hipError_tT1_T2_PT3_SG_jT4_jjP12ihipStream_tbEUlT_E0_NS1_11comp_targetILNS1_3genE10ELNS1_11target_archE1201ELNS1_3gpuE5ELNS1_3repE0EEENS1_52radix_sort_onesweep_histogram_config_static_selectorELNS0_4arch9wavefront6targetE1EEEvSE_,@function
_ZN7rocprim17ROCPRIM_400000_NS6detail17trampoline_kernelINS0_14default_configENS1_35radix_sort_onesweep_config_selectorIhlEEZNS1_34radix_sort_onesweep_global_offsetsIS3_Lb0EPhN6thrust23THRUST_200600_302600_NS10device_ptrIlEEjNS0_19identity_decomposerEEE10hipError_tT1_T2_PT3_SG_jT4_jjP12ihipStream_tbEUlT_E0_NS1_11comp_targetILNS1_3genE10ELNS1_11target_archE1201ELNS1_3gpuE5ELNS1_3repE0EEENS1_52radix_sort_onesweep_histogram_config_static_selectorELNS0_4arch9wavefront6targetE1EEEvSE_: ; @_ZN7rocprim17ROCPRIM_400000_NS6detail17trampoline_kernelINS0_14default_configENS1_35radix_sort_onesweep_config_selectorIhlEEZNS1_34radix_sort_onesweep_global_offsetsIS3_Lb0EPhN6thrust23THRUST_200600_302600_NS10device_ptrIlEEjNS0_19identity_decomposerEEE10hipError_tT1_T2_PT3_SG_jT4_jjP12ihipStream_tbEUlT_E0_NS1_11comp_targetILNS1_3genE10ELNS1_11target_archE1201ELNS1_3gpuE5ELNS1_3repE0EEENS1_52radix_sort_onesweep_histogram_config_static_selectorELNS0_4arch9wavefront6targetE1EEEvSE_
; %bb.0:
	.section	.rodata,"a",@progbits
	.p2align	6, 0x0
	.amdhsa_kernel _ZN7rocprim17ROCPRIM_400000_NS6detail17trampoline_kernelINS0_14default_configENS1_35radix_sort_onesweep_config_selectorIhlEEZNS1_34radix_sort_onesweep_global_offsetsIS3_Lb0EPhN6thrust23THRUST_200600_302600_NS10device_ptrIlEEjNS0_19identity_decomposerEEE10hipError_tT1_T2_PT3_SG_jT4_jjP12ihipStream_tbEUlT_E0_NS1_11comp_targetILNS1_3genE10ELNS1_11target_archE1201ELNS1_3gpuE5ELNS1_3repE0EEENS1_52radix_sort_onesweep_histogram_config_static_selectorELNS0_4arch9wavefront6targetE1EEEvSE_
		.amdhsa_group_segment_fixed_size 0
		.amdhsa_private_segment_fixed_size 0
		.amdhsa_kernarg_size 8
		.amdhsa_user_sgpr_count 6
		.amdhsa_user_sgpr_private_segment_buffer 1
		.amdhsa_user_sgpr_dispatch_ptr 0
		.amdhsa_user_sgpr_queue_ptr 0
		.amdhsa_user_sgpr_kernarg_segment_ptr 1
		.amdhsa_user_sgpr_dispatch_id 0
		.amdhsa_user_sgpr_flat_scratch_init 0
		.amdhsa_user_sgpr_private_segment_size 0
		.amdhsa_uses_dynamic_stack 0
		.amdhsa_system_sgpr_private_segment_wavefront_offset 0
		.amdhsa_system_sgpr_workgroup_id_x 1
		.amdhsa_system_sgpr_workgroup_id_y 0
		.amdhsa_system_sgpr_workgroup_id_z 0
		.amdhsa_system_sgpr_workgroup_info 0
		.amdhsa_system_vgpr_workitem_id 0
		.amdhsa_next_free_vgpr 1
		.amdhsa_next_free_sgpr 0
		.amdhsa_reserve_vcc 0
		.amdhsa_reserve_flat_scratch 0
		.amdhsa_float_round_mode_32 0
		.amdhsa_float_round_mode_16_64 0
		.amdhsa_float_denorm_mode_32 3
		.amdhsa_float_denorm_mode_16_64 3
		.amdhsa_dx10_clamp 1
		.amdhsa_ieee_mode 1
		.amdhsa_fp16_overflow 0
		.amdhsa_exception_fp_ieee_invalid_op 0
		.amdhsa_exception_fp_denorm_src 0
		.amdhsa_exception_fp_ieee_div_zero 0
		.amdhsa_exception_fp_ieee_overflow 0
		.amdhsa_exception_fp_ieee_underflow 0
		.amdhsa_exception_fp_ieee_inexact 0
		.amdhsa_exception_int_div_zero 0
	.end_amdhsa_kernel
	.section	.text._ZN7rocprim17ROCPRIM_400000_NS6detail17trampoline_kernelINS0_14default_configENS1_35radix_sort_onesweep_config_selectorIhlEEZNS1_34radix_sort_onesweep_global_offsetsIS3_Lb0EPhN6thrust23THRUST_200600_302600_NS10device_ptrIlEEjNS0_19identity_decomposerEEE10hipError_tT1_T2_PT3_SG_jT4_jjP12ihipStream_tbEUlT_E0_NS1_11comp_targetILNS1_3genE10ELNS1_11target_archE1201ELNS1_3gpuE5ELNS1_3repE0EEENS1_52radix_sort_onesweep_histogram_config_static_selectorELNS0_4arch9wavefront6targetE1EEEvSE_,"axG",@progbits,_ZN7rocprim17ROCPRIM_400000_NS6detail17trampoline_kernelINS0_14default_configENS1_35radix_sort_onesweep_config_selectorIhlEEZNS1_34radix_sort_onesweep_global_offsetsIS3_Lb0EPhN6thrust23THRUST_200600_302600_NS10device_ptrIlEEjNS0_19identity_decomposerEEE10hipError_tT1_T2_PT3_SG_jT4_jjP12ihipStream_tbEUlT_E0_NS1_11comp_targetILNS1_3genE10ELNS1_11target_archE1201ELNS1_3gpuE5ELNS1_3repE0EEENS1_52radix_sort_onesweep_histogram_config_static_selectorELNS0_4arch9wavefront6targetE1EEEvSE_,comdat
.Lfunc_end252:
	.size	_ZN7rocprim17ROCPRIM_400000_NS6detail17trampoline_kernelINS0_14default_configENS1_35radix_sort_onesweep_config_selectorIhlEEZNS1_34radix_sort_onesweep_global_offsetsIS3_Lb0EPhN6thrust23THRUST_200600_302600_NS10device_ptrIlEEjNS0_19identity_decomposerEEE10hipError_tT1_T2_PT3_SG_jT4_jjP12ihipStream_tbEUlT_E0_NS1_11comp_targetILNS1_3genE10ELNS1_11target_archE1201ELNS1_3gpuE5ELNS1_3repE0EEENS1_52radix_sort_onesweep_histogram_config_static_selectorELNS0_4arch9wavefront6targetE1EEEvSE_, .Lfunc_end252-_ZN7rocprim17ROCPRIM_400000_NS6detail17trampoline_kernelINS0_14default_configENS1_35radix_sort_onesweep_config_selectorIhlEEZNS1_34radix_sort_onesweep_global_offsetsIS3_Lb0EPhN6thrust23THRUST_200600_302600_NS10device_ptrIlEEjNS0_19identity_decomposerEEE10hipError_tT1_T2_PT3_SG_jT4_jjP12ihipStream_tbEUlT_E0_NS1_11comp_targetILNS1_3genE10ELNS1_11target_archE1201ELNS1_3gpuE5ELNS1_3repE0EEENS1_52radix_sort_onesweep_histogram_config_static_selectorELNS0_4arch9wavefront6targetE1EEEvSE_
                                        ; -- End function
	.set _ZN7rocprim17ROCPRIM_400000_NS6detail17trampoline_kernelINS0_14default_configENS1_35radix_sort_onesweep_config_selectorIhlEEZNS1_34radix_sort_onesweep_global_offsetsIS3_Lb0EPhN6thrust23THRUST_200600_302600_NS10device_ptrIlEEjNS0_19identity_decomposerEEE10hipError_tT1_T2_PT3_SG_jT4_jjP12ihipStream_tbEUlT_E0_NS1_11comp_targetILNS1_3genE10ELNS1_11target_archE1201ELNS1_3gpuE5ELNS1_3repE0EEENS1_52radix_sort_onesweep_histogram_config_static_selectorELNS0_4arch9wavefront6targetE1EEEvSE_.num_vgpr, 0
	.set _ZN7rocprim17ROCPRIM_400000_NS6detail17trampoline_kernelINS0_14default_configENS1_35radix_sort_onesweep_config_selectorIhlEEZNS1_34radix_sort_onesweep_global_offsetsIS3_Lb0EPhN6thrust23THRUST_200600_302600_NS10device_ptrIlEEjNS0_19identity_decomposerEEE10hipError_tT1_T2_PT3_SG_jT4_jjP12ihipStream_tbEUlT_E0_NS1_11comp_targetILNS1_3genE10ELNS1_11target_archE1201ELNS1_3gpuE5ELNS1_3repE0EEENS1_52radix_sort_onesweep_histogram_config_static_selectorELNS0_4arch9wavefront6targetE1EEEvSE_.num_agpr, 0
	.set _ZN7rocprim17ROCPRIM_400000_NS6detail17trampoline_kernelINS0_14default_configENS1_35radix_sort_onesweep_config_selectorIhlEEZNS1_34radix_sort_onesweep_global_offsetsIS3_Lb0EPhN6thrust23THRUST_200600_302600_NS10device_ptrIlEEjNS0_19identity_decomposerEEE10hipError_tT1_T2_PT3_SG_jT4_jjP12ihipStream_tbEUlT_E0_NS1_11comp_targetILNS1_3genE10ELNS1_11target_archE1201ELNS1_3gpuE5ELNS1_3repE0EEENS1_52radix_sort_onesweep_histogram_config_static_selectorELNS0_4arch9wavefront6targetE1EEEvSE_.numbered_sgpr, 0
	.set _ZN7rocprim17ROCPRIM_400000_NS6detail17trampoline_kernelINS0_14default_configENS1_35radix_sort_onesweep_config_selectorIhlEEZNS1_34radix_sort_onesweep_global_offsetsIS3_Lb0EPhN6thrust23THRUST_200600_302600_NS10device_ptrIlEEjNS0_19identity_decomposerEEE10hipError_tT1_T2_PT3_SG_jT4_jjP12ihipStream_tbEUlT_E0_NS1_11comp_targetILNS1_3genE10ELNS1_11target_archE1201ELNS1_3gpuE5ELNS1_3repE0EEENS1_52radix_sort_onesweep_histogram_config_static_selectorELNS0_4arch9wavefront6targetE1EEEvSE_.num_named_barrier, 0
	.set _ZN7rocprim17ROCPRIM_400000_NS6detail17trampoline_kernelINS0_14default_configENS1_35radix_sort_onesweep_config_selectorIhlEEZNS1_34radix_sort_onesweep_global_offsetsIS3_Lb0EPhN6thrust23THRUST_200600_302600_NS10device_ptrIlEEjNS0_19identity_decomposerEEE10hipError_tT1_T2_PT3_SG_jT4_jjP12ihipStream_tbEUlT_E0_NS1_11comp_targetILNS1_3genE10ELNS1_11target_archE1201ELNS1_3gpuE5ELNS1_3repE0EEENS1_52radix_sort_onesweep_histogram_config_static_selectorELNS0_4arch9wavefront6targetE1EEEvSE_.private_seg_size, 0
	.set _ZN7rocprim17ROCPRIM_400000_NS6detail17trampoline_kernelINS0_14default_configENS1_35radix_sort_onesweep_config_selectorIhlEEZNS1_34radix_sort_onesweep_global_offsetsIS3_Lb0EPhN6thrust23THRUST_200600_302600_NS10device_ptrIlEEjNS0_19identity_decomposerEEE10hipError_tT1_T2_PT3_SG_jT4_jjP12ihipStream_tbEUlT_E0_NS1_11comp_targetILNS1_3genE10ELNS1_11target_archE1201ELNS1_3gpuE5ELNS1_3repE0EEENS1_52radix_sort_onesweep_histogram_config_static_selectorELNS0_4arch9wavefront6targetE1EEEvSE_.uses_vcc, 0
	.set _ZN7rocprim17ROCPRIM_400000_NS6detail17trampoline_kernelINS0_14default_configENS1_35radix_sort_onesweep_config_selectorIhlEEZNS1_34radix_sort_onesweep_global_offsetsIS3_Lb0EPhN6thrust23THRUST_200600_302600_NS10device_ptrIlEEjNS0_19identity_decomposerEEE10hipError_tT1_T2_PT3_SG_jT4_jjP12ihipStream_tbEUlT_E0_NS1_11comp_targetILNS1_3genE10ELNS1_11target_archE1201ELNS1_3gpuE5ELNS1_3repE0EEENS1_52radix_sort_onesweep_histogram_config_static_selectorELNS0_4arch9wavefront6targetE1EEEvSE_.uses_flat_scratch, 0
	.set _ZN7rocprim17ROCPRIM_400000_NS6detail17trampoline_kernelINS0_14default_configENS1_35radix_sort_onesweep_config_selectorIhlEEZNS1_34radix_sort_onesweep_global_offsetsIS3_Lb0EPhN6thrust23THRUST_200600_302600_NS10device_ptrIlEEjNS0_19identity_decomposerEEE10hipError_tT1_T2_PT3_SG_jT4_jjP12ihipStream_tbEUlT_E0_NS1_11comp_targetILNS1_3genE10ELNS1_11target_archE1201ELNS1_3gpuE5ELNS1_3repE0EEENS1_52radix_sort_onesweep_histogram_config_static_selectorELNS0_4arch9wavefront6targetE1EEEvSE_.has_dyn_sized_stack, 0
	.set _ZN7rocprim17ROCPRIM_400000_NS6detail17trampoline_kernelINS0_14default_configENS1_35radix_sort_onesweep_config_selectorIhlEEZNS1_34radix_sort_onesweep_global_offsetsIS3_Lb0EPhN6thrust23THRUST_200600_302600_NS10device_ptrIlEEjNS0_19identity_decomposerEEE10hipError_tT1_T2_PT3_SG_jT4_jjP12ihipStream_tbEUlT_E0_NS1_11comp_targetILNS1_3genE10ELNS1_11target_archE1201ELNS1_3gpuE5ELNS1_3repE0EEENS1_52radix_sort_onesweep_histogram_config_static_selectorELNS0_4arch9wavefront6targetE1EEEvSE_.has_recursion, 0
	.set _ZN7rocprim17ROCPRIM_400000_NS6detail17trampoline_kernelINS0_14default_configENS1_35radix_sort_onesweep_config_selectorIhlEEZNS1_34radix_sort_onesweep_global_offsetsIS3_Lb0EPhN6thrust23THRUST_200600_302600_NS10device_ptrIlEEjNS0_19identity_decomposerEEE10hipError_tT1_T2_PT3_SG_jT4_jjP12ihipStream_tbEUlT_E0_NS1_11comp_targetILNS1_3genE10ELNS1_11target_archE1201ELNS1_3gpuE5ELNS1_3repE0EEENS1_52radix_sort_onesweep_histogram_config_static_selectorELNS0_4arch9wavefront6targetE1EEEvSE_.has_indirect_call, 0
	.section	.AMDGPU.csdata,"",@progbits
; Kernel info:
; codeLenInByte = 0
; TotalNumSgprs: 4
; NumVgprs: 0
; ScratchSize: 0
; MemoryBound: 0
; FloatMode: 240
; IeeeMode: 1
; LDSByteSize: 0 bytes/workgroup (compile time only)
; SGPRBlocks: 0
; VGPRBlocks: 0
; NumSGPRsForWavesPerEU: 4
; NumVGPRsForWavesPerEU: 1
; Occupancy: 10
; WaveLimiterHint : 0
; COMPUTE_PGM_RSRC2:SCRATCH_EN: 0
; COMPUTE_PGM_RSRC2:USER_SGPR: 6
; COMPUTE_PGM_RSRC2:TRAP_HANDLER: 0
; COMPUTE_PGM_RSRC2:TGID_X_EN: 1
; COMPUTE_PGM_RSRC2:TGID_Y_EN: 0
; COMPUTE_PGM_RSRC2:TGID_Z_EN: 0
; COMPUTE_PGM_RSRC2:TIDIG_COMP_CNT: 0
	.section	.text._ZN7rocprim17ROCPRIM_400000_NS6detail17trampoline_kernelINS0_14default_configENS1_35radix_sort_onesweep_config_selectorIhlEEZNS1_34radix_sort_onesweep_global_offsetsIS3_Lb0EPhN6thrust23THRUST_200600_302600_NS10device_ptrIlEEjNS0_19identity_decomposerEEE10hipError_tT1_T2_PT3_SG_jT4_jjP12ihipStream_tbEUlT_E0_NS1_11comp_targetILNS1_3genE9ELNS1_11target_archE1100ELNS1_3gpuE3ELNS1_3repE0EEENS1_52radix_sort_onesweep_histogram_config_static_selectorELNS0_4arch9wavefront6targetE1EEEvSE_,"axG",@progbits,_ZN7rocprim17ROCPRIM_400000_NS6detail17trampoline_kernelINS0_14default_configENS1_35radix_sort_onesweep_config_selectorIhlEEZNS1_34radix_sort_onesweep_global_offsetsIS3_Lb0EPhN6thrust23THRUST_200600_302600_NS10device_ptrIlEEjNS0_19identity_decomposerEEE10hipError_tT1_T2_PT3_SG_jT4_jjP12ihipStream_tbEUlT_E0_NS1_11comp_targetILNS1_3genE9ELNS1_11target_archE1100ELNS1_3gpuE3ELNS1_3repE0EEENS1_52radix_sort_onesweep_histogram_config_static_selectorELNS0_4arch9wavefront6targetE1EEEvSE_,comdat
	.protected	_ZN7rocprim17ROCPRIM_400000_NS6detail17trampoline_kernelINS0_14default_configENS1_35radix_sort_onesweep_config_selectorIhlEEZNS1_34radix_sort_onesweep_global_offsetsIS3_Lb0EPhN6thrust23THRUST_200600_302600_NS10device_ptrIlEEjNS0_19identity_decomposerEEE10hipError_tT1_T2_PT3_SG_jT4_jjP12ihipStream_tbEUlT_E0_NS1_11comp_targetILNS1_3genE9ELNS1_11target_archE1100ELNS1_3gpuE3ELNS1_3repE0EEENS1_52radix_sort_onesweep_histogram_config_static_selectorELNS0_4arch9wavefront6targetE1EEEvSE_ ; -- Begin function _ZN7rocprim17ROCPRIM_400000_NS6detail17trampoline_kernelINS0_14default_configENS1_35radix_sort_onesweep_config_selectorIhlEEZNS1_34radix_sort_onesweep_global_offsetsIS3_Lb0EPhN6thrust23THRUST_200600_302600_NS10device_ptrIlEEjNS0_19identity_decomposerEEE10hipError_tT1_T2_PT3_SG_jT4_jjP12ihipStream_tbEUlT_E0_NS1_11comp_targetILNS1_3genE9ELNS1_11target_archE1100ELNS1_3gpuE3ELNS1_3repE0EEENS1_52radix_sort_onesweep_histogram_config_static_selectorELNS0_4arch9wavefront6targetE1EEEvSE_
	.globl	_ZN7rocprim17ROCPRIM_400000_NS6detail17trampoline_kernelINS0_14default_configENS1_35radix_sort_onesweep_config_selectorIhlEEZNS1_34radix_sort_onesweep_global_offsetsIS3_Lb0EPhN6thrust23THRUST_200600_302600_NS10device_ptrIlEEjNS0_19identity_decomposerEEE10hipError_tT1_T2_PT3_SG_jT4_jjP12ihipStream_tbEUlT_E0_NS1_11comp_targetILNS1_3genE9ELNS1_11target_archE1100ELNS1_3gpuE3ELNS1_3repE0EEENS1_52radix_sort_onesweep_histogram_config_static_selectorELNS0_4arch9wavefront6targetE1EEEvSE_
	.p2align	8
	.type	_ZN7rocprim17ROCPRIM_400000_NS6detail17trampoline_kernelINS0_14default_configENS1_35radix_sort_onesweep_config_selectorIhlEEZNS1_34radix_sort_onesweep_global_offsetsIS3_Lb0EPhN6thrust23THRUST_200600_302600_NS10device_ptrIlEEjNS0_19identity_decomposerEEE10hipError_tT1_T2_PT3_SG_jT4_jjP12ihipStream_tbEUlT_E0_NS1_11comp_targetILNS1_3genE9ELNS1_11target_archE1100ELNS1_3gpuE3ELNS1_3repE0EEENS1_52radix_sort_onesweep_histogram_config_static_selectorELNS0_4arch9wavefront6targetE1EEEvSE_,@function
_ZN7rocprim17ROCPRIM_400000_NS6detail17trampoline_kernelINS0_14default_configENS1_35radix_sort_onesweep_config_selectorIhlEEZNS1_34radix_sort_onesweep_global_offsetsIS3_Lb0EPhN6thrust23THRUST_200600_302600_NS10device_ptrIlEEjNS0_19identity_decomposerEEE10hipError_tT1_T2_PT3_SG_jT4_jjP12ihipStream_tbEUlT_E0_NS1_11comp_targetILNS1_3genE9ELNS1_11target_archE1100ELNS1_3gpuE3ELNS1_3repE0EEENS1_52radix_sort_onesweep_histogram_config_static_selectorELNS0_4arch9wavefront6targetE1EEEvSE_: ; @_ZN7rocprim17ROCPRIM_400000_NS6detail17trampoline_kernelINS0_14default_configENS1_35radix_sort_onesweep_config_selectorIhlEEZNS1_34radix_sort_onesweep_global_offsetsIS3_Lb0EPhN6thrust23THRUST_200600_302600_NS10device_ptrIlEEjNS0_19identity_decomposerEEE10hipError_tT1_T2_PT3_SG_jT4_jjP12ihipStream_tbEUlT_E0_NS1_11comp_targetILNS1_3genE9ELNS1_11target_archE1100ELNS1_3gpuE3ELNS1_3repE0EEENS1_52radix_sort_onesweep_histogram_config_static_selectorELNS0_4arch9wavefront6targetE1EEEvSE_
; %bb.0:
	.section	.rodata,"a",@progbits
	.p2align	6, 0x0
	.amdhsa_kernel _ZN7rocprim17ROCPRIM_400000_NS6detail17trampoline_kernelINS0_14default_configENS1_35radix_sort_onesweep_config_selectorIhlEEZNS1_34radix_sort_onesweep_global_offsetsIS3_Lb0EPhN6thrust23THRUST_200600_302600_NS10device_ptrIlEEjNS0_19identity_decomposerEEE10hipError_tT1_T2_PT3_SG_jT4_jjP12ihipStream_tbEUlT_E0_NS1_11comp_targetILNS1_3genE9ELNS1_11target_archE1100ELNS1_3gpuE3ELNS1_3repE0EEENS1_52radix_sort_onesweep_histogram_config_static_selectorELNS0_4arch9wavefront6targetE1EEEvSE_
		.amdhsa_group_segment_fixed_size 0
		.amdhsa_private_segment_fixed_size 0
		.amdhsa_kernarg_size 8
		.amdhsa_user_sgpr_count 6
		.amdhsa_user_sgpr_private_segment_buffer 1
		.amdhsa_user_sgpr_dispatch_ptr 0
		.amdhsa_user_sgpr_queue_ptr 0
		.amdhsa_user_sgpr_kernarg_segment_ptr 1
		.amdhsa_user_sgpr_dispatch_id 0
		.amdhsa_user_sgpr_flat_scratch_init 0
		.amdhsa_user_sgpr_private_segment_size 0
		.amdhsa_uses_dynamic_stack 0
		.amdhsa_system_sgpr_private_segment_wavefront_offset 0
		.amdhsa_system_sgpr_workgroup_id_x 1
		.amdhsa_system_sgpr_workgroup_id_y 0
		.amdhsa_system_sgpr_workgroup_id_z 0
		.amdhsa_system_sgpr_workgroup_info 0
		.amdhsa_system_vgpr_workitem_id 0
		.amdhsa_next_free_vgpr 1
		.amdhsa_next_free_sgpr 0
		.amdhsa_reserve_vcc 0
		.amdhsa_reserve_flat_scratch 0
		.amdhsa_float_round_mode_32 0
		.amdhsa_float_round_mode_16_64 0
		.amdhsa_float_denorm_mode_32 3
		.amdhsa_float_denorm_mode_16_64 3
		.amdhsa_dx10_clamp 1
		.amdhsa_ieee_mode 1
		.amdhsa_fp16_overflow 0
		.amdhsa_exception_fp_ieee_invalid_op 0
		.amdhsa_exception_fp_denorm_src 0
		.amdhsa_exception_fp_ieee_div_zero 0
		.amdhsa_exception_fp_ieee_overflow 0
		.amdhsa_exception_fp_ieee_underflow 0
		.amdhsa_exception_fp_ieee_inexact 0
		.amdhsa_exception_int_div_zero 0
	.end_amdhsa_kernel
	.section	.text._ZN7rocprim17ROCPRIM_400000_NS6detail17trampoline_kernelINS0_14default_configENS1_35radix_sort_onesweep_config_selectorIhlEEZNS1_34radix_sort_onesweep_global_offsetsIS3_Lb0EPhN6thrust23THRUST_200600_302600_NS10device_ptrIlEEjNS0_19identity_decomposerEEE10hipError_tT1_T2_PT3_SG_jT4_jjP12ihipStream_tbEUlT_E0_NS1_11comp_targetILNS1_3genE9ELNS1_11target_archE1100ELNS1_3gpuE3ELNS1_3repE0EEENS1_52radix_sort_onesweep_histogram_config_static_selectorELNS0_4arch9wavefront6targetE1EEEvSE_,"axG",@progbits,_ZN7rocprim17ROCPRIM_400000_NS6detail17trampoline_kernelINS0_14default_configENS1_35radix_sort_onesweep_config_selectorIhlEEZNS1_34radix_sort_onesweep_global_offsetsIS3_Lb0EPhN6thrust23THRUST_200600_302600_NS10device_ptrIlEEjNS0_19identity_decomposerEEE10hipError_tT1_T2_PT3_SG_jT4_jjP12ihipStream_tbEUlT_E0_NS1_11comp_targetILNS1_3genE9ELNS1_11target_archE1100ELNS1_3gpuE3ELNS1_3repE0EEENS1_52radix_sort_onesweep_histogram_config_static_selectorELNS0_4arch9wavefront6targetE1EEEvSE_,comdat
.Lfunc_end253:
	.size	_ZN7rocprim17ROCPRIM_400000_NS6detail17trampoline_kernelINS0_14default_configENS1_35radix_sort_onesweep_config_selectorIhlEEZNS1_34radix_sort_onesweep_global_offsetsIS3_Lb0EPhN6thrust23THRUST_200600_302600_NS10device_ptrIlEEjNS0_19identity_decomposerEEE10hipError_tT1_T2_PT3_SG_jT4_jjP12ihipStream_tbEUlT_E0_NS1_11comp_targetILNS1_3genE9ELNS1_11target_archE1100ELNS1_3gpuE3ELNS1_3repE0EEENS1_52radix_sort_onesweep_histogram_config_static_selectorELNS0_4arch9wavefront6targetE1EEEvSE_, .Lfunc_end253-_ZN7rocprim17ROCPRIM_400000_NS6detail17trampoline_kernelINS0_14default_configENS1_35radix_sort_onesweep_config_selectorIhlEEZNS1_34radix_sort_onesweep_global_offsetsIS3_Lb0EPhN6thrust23THRUST_200600_302600_NS10device_ptrIlEEjNS0_19identity_decomposerEEE10hipError_tT1_T2_PT3_SG_jT4_jjP12ihipStream_tbEUlT_E0_NS1_11comp_targetILNS1_3genE9ELNS1_11target_archE1100ELNS1_3gpuE3ELNS1_3repE0EEENS1_52radix_sort_onesweep_histogram_config_static_selectorELNS0_4arch9wavefront6targetE1EEEvSE_
                                        ; -- End function
	.set _ZN7rocprim17ROCPRIM_400000_NS6detail17trampoline_kernelINS0_14default_configENS1_35radix_sort_onesweep_config_selectorIhlEEZNS1_34radix_sort_onesweep_global_offsetsIS3_Lb0EPhN6thrust23THRUST_200600_302600_NS10device_ptrIlEEjNS0_19identity_decomposerEEE10hipError_tT1_T2_PT3_SG_jT4_jjP12ihipStream_tbEUlT_E0_NS1_11comp_targetILNS1_3genE9ELNS1_11target_archE1100ELNS1_3gpuE3ELNS1_3repE0EEENS1_52radix_sort_onesweep_histogram_config_static_selectorELNS0_4arch9wavefront6targetE1EEEvSE_.num_vgpr, 0
	.set _ZN7rocprim17ROCPRIM_400000_NS6detail17trampoline_kernelINS0_14default_configENS1_35radix_sort_onesweep_config_selectorIhlEEZNS1_34radix_sort_onesweep_global_offsetsIS3_Lb0EPhN6thrust23THRUST_200600_302600_NS10device_ptrIlEEjNS0_19identity_decomposerEEE10hipError_tT1_T2_PT3_SG_jT4_jjP12ihipStream_tbEUlT_E0_NS1_11comp_targetILNS1_3genE9ELNS1_11target_archE1100ELNS1_3gpuE3ELNS1_3repE0EEENS1_52radix_sort_onesweep_histogram_config_static_selectorELNS0_4arch9wavefront6targetE1EEEvSE_.num_agpr, 0
	.set _ZN7rocprim17ROCPRIM_400000_NS6detail17trampoline_kernelINS0_14default_configENS1_35radix_sort_onesweep_config_selectorIhlEEZNS1_34radix_sort_onesweep_global_offsetsIS3_Lb0EPhN6thrust23THRUST_200600_302600_NS10device_ptrIlEEjNS0_19identity_decomposerEEE10hipError_tT1_T2_PT3_SG_jT4_jjP12ihipStream_tbEUlT_E0_NS1_11comp_targetILNS1_3genE9ELNS1_11target_archE1100ELNS1_3gpuE3ELNS1_3repE0EEENS1_52radix_sort_onesweep_histogram_config_static_selectorELNS0_4arch9wavefront6targetE1EEEvSE_.numbered_sgpr, 0
	.set _ZN7rocprim17ROCPRIM_400000_NS6detail17trampoline_kernelINS0_14default_configENS1_35radix_sort_onesweep_config_selectorIhlEEZNS1_34radix_sort_onesweep_global_offsetsIS3_Lb0EPhN6thrust23THRUST_200600_302600_NS10device_ptrIlEEjNS0_19identity_decomposerEEE10hipError_tT1_T2_PT3_SG_jT4_jjP12ihipStream_tbEUlT_E0_NS1_11comp_targetILNS1_3genE9ELNS1_11target_archE1100ELNS1_3gpuE3ELNS1_3repE0EEENS1_52radix_sort_onesweep_histogram_config_static_selectorELNS0_4arch9wavefront6targetE1EEEvSE_.num_named_barrier, 0
	.set _ZN7rocprim17ROCPRIM_400000_NS6detail17trampoline_kernelINS0_14default_configENS1_35radix_sort_onesweep_config_selectorIhlEEZNS1_34radix_sort_onesweep_global_offsetsIS3_Lb0EPhN6thrust23THRUST_200600_302600_NS10device_ptrIlEEjNS0_19identity_decomposerEEE10hipError_tT1_T2_PT3_SG_jT4_jjP12ihipStream_tbEUlT_E0_NS1_11comp_targetILNS1_3genE9ELNS1_11target_archE1100ELNS1_3gpuE3ELNS1_3repE0EEENS1_52radix_sort_onesweep_histogram_config_static_selectorELNS0_4arch9wavefront6targetE1EEEvSE_.private_seg_size, 0
	.set _ZN7rocprim17ROCPRIM_400000_NS6detail17trampoline_kernelINS0_14default_configENS1_35radix_sort_onesweep_config_selectorIhlEEZNS1_34radix_sort_onesweep_global_offsetsIS3_Lb0EPhN6thrust23THRUST_200600_302600_NS10device_ptrIlEEjNS0_19identity_decomposerEEE10hipError_tT1_T2_PT3_SG_jT4_jjP12ihipStream_tbEUlT_E0_NS1_11comp_targetILNS1_3genE9ELNS1_11target_archE1100ELNS1_3gpuE3ELNS1_3repE0EEENS1_52radix_sort_onesweep_histogram_config_static_selectorELNS0_4arch9wavefront6targetE1EEEvSE_.uses_vcc, 0
	.set _ZN7rocprim17ROCPRIM_400000_NS6detail17trampoline_kernelINS0_14default_configENS1_35radix_sort_onesweep_config_selectorIhlEEZNS1_34radix_sort_onesweep_global_offsetsIS3_Lb0EPhN6thrust23THRUST_200600_302600_NS10device_ptrIlEEjNS0_19identity_decomposerEEE10hipError_tT1_T2_PT3_SG_jT4_jjP12ihipStream_tbEUlT_E0_NS1_11comp_targetILNS1_3genE9ELNS1_11target_archE1100ELNS1_3gpuE3ELNS1_3repE0EEENS1_52radix_sort_onesweep_histogram_config_static_selectorELNS0_4arch9wavefront6targetE1EEEvSE_.uses_flat_scratch, 0
	.set _ZN7rocprim17ROCPRIM_400000_NS6detail17trampoline_kernelINS0_14default_configENS1_35radix_sort_onesweep_config_selectorIhlEEZNS1_34radix_sort_onesweep_global_offsetsIS3_Lb0EPhN6thrust23THRUST_200600_302600_NS10device_ptrIlEEjNS0_19identity_decomposerEEE10hipError_tT1_T2_PT3_SG_jT4_jjP12ihipStream_tbEUlT_E0_NS1_11comp_targetILNS1_3genE9ELNS1_11target_archE1100ELNS1_3gpuE3ELNS1_3repE0EEENS1_52radix_sort_onesweep_histogram_config_static_selectorELNS0_4arch9wavefront6targetE1EEEvSE_.has_dyn_sized_stack, 0
	.set _ZN7rocprim17ROCPRIM_400000_NS6detail17trampoline_kernelINS0_14default_configENS1_35radix_sort_onesweep_config_selectorIhlEEZNS1_34radix_sort_onesweep_global_offsetsIS3_Lb0EPhN6thrust23THRUST_200600_302600_NS10device_ptrIlEEjNS0_19identity_decomposerEEE10hipError_tT1_T2_PT3_SG_jT4_jjP12ihipStream_tbEUlT_E0_NS1_11comp_targetILNS1_3genE9ELNS1_11target_archE1100ELNS1_3gpuE3ELNS1_3repE0EEENS1_52radix_sort_onesweep_histogram_config_static_selectorELNS0_4arch9wavefront6targetE1EEEvSE_.has_recursion, 0
	.set _ZN7rocprim17ROCPRIM_400000_NS6detail17trampoline_kernelINS0_14default_configENS1_35radix_sort_onesweep_config_selectorIhlEEZNS1_34radix_sort_onesweep_global_offsetsIS3_Lb0EPhN6thrust23THRUST_200600_302600_NS10device_ptrIlEEjNS0_19identity_decomposerEEE10hipError_tT1_T2_PT3_SG_jT4_jjP12ihipStream_tbEUlT_E0_NS1_11comp_targetILNS1_3genE9ELNS1_11target_archE1100ELNS1_3gpuE3ELNS1_3repE0EEENS1_52radix_sort_onesweep_histogram_config_static_selectorELNS0_4arch9wavefront6targetE1EEEvSE_.has_indirect_call, 0
	.section	.AMDGPU.csdata,"",@progbits
; Kernel info:
; codeLenInByte = 0
; TotalNumSgprs: 4
; NumVgprs: 0
; ScratchSize: 0
; MemoryBound: 0
; FloatMode: 240
; IeeeMode: 1
; LDSByteSize: 0 bytes/workgroup (compile time only)
; SGPRBlocks: 0
; VGPRBlocks: 0
; NumSGPRsForWavesPerEU: 4
; NumVGPRsForWavesPerEU: 1
; Occupancy: 10
; WaveLimiterHint : 0
; COMPUTE_PGM_RSRC2:SCRATCH_EN: 0
; COMPUTE_PGM_RSRC2:USER_SGPR: 6
; COMPUTE_PGM_RSRC2:TRAP_HANDLER: 0
; COMPUTE_PGM_RSRC2:TGID_X_EN: 1
; COMPUTE_PGM_RSRC2:TGID_Y_EN: 0
; COMPUTE_PGM_RSRC2:TGID_Z_EN: 0
; COMPUTE_PGM_RSRC2:TIDIG_COMP_CNT: 0
	.section	.text._ZN7rocprim17ROCPRIM_400000_NS6detail17trampoline_kernelINS0_14default_configENS1_35radix_sort_onesweep_config_selectorIhlEEZNS1_34radix_sort_onesweep_global_offsetsIS3_Lb0EPhN6thrust23THRUST_200600_302600_NS10device_ptrIlEEjNS0_19identity_decomposerEEE10hipError_tT1_T2_PT3_SG_jT4_jjP12ihipStream_tbEUlT_E0_NS1_11comp_targetILNS1_3genE8ELNS1_11target_archE1030ELNS1_3gpuE2ELNS1_3repE0EEENS1_52radix_sort_onesweep_histogram_config_static_selectorELNS0_4arch9wavefront6targetE1EEEvSE_,"axG",@progbits,_ZN7rocprim17ROCPRIM_400000_NS6detail17trampoline_kernelINS0_14default_configENS1_35radix_sort_onesweep_config_selectorIhlEEZNS1_34radix_sort_onesweep_global_offsetsIS3_Lb0EPhN6thrust23THRUST_200600_302600_NS10device_ptrIlEEjNS0_19identity_decomposerEEE10hipError_tT1_T2_PT3_SG_jT4_jjP12ihipStream_tbEUlT_E0_NS1_11comp_targetILNS1_3genE8ELNS1_11target_archE1030ELNS1_3gpuE2ELNS1_3repE0EEENS1_52radix_sort_onesweep_histogram_config_static_selectorELNS0_4arch9wavefront6targetE1EEEvSE_,comdat
	.protected	_ZN7rocprim17ROCPRIM_400000_NS6detail17trampoline_kernelINS0_14default_configENS1_35radix_sort_onesweep_config_selectorIhlEEZNS1_34radix_sort_onesweep_global_offsetsIS3_Lb0EPhN6thrust23THRUST_200600_302600_NS10device_ptrIlEEjNS0_19identity_decomposerEEE10hipError_tT1_T2_PT3_SG_jT4_jjP12ihipStream_tbEUlT_E0_NS1_11comp_targetILNS1_3genE8ELNS1_11target_archE1030ELNS1_3gpuE2ELNS1_3repE0EEENS1_52radix_sort_onesweep_histogram_config_static_selectorELNS0_4arch9wavefront6targetE1EEEvSE_ ; -- Begin function _ZN7rocprim17ROCPRIM_400000_NS6detail17trampoline_kernelINS0_14default_configENS1_35radix_sort_onesweep_config_selectorIhlEEZNS1_34radix_sort_onesweep_global_offsetsIS3_Lb0EPhN6thrust23THRUST_200600_302600_NS10device_ptrIlEEjNS0_19identity_decomposerEEE10hipError_tT1_T2_PT3_SG_jT4_jjP12ihipStream_tbEUlT_E0_NS1_11comp_targetILNS1_3genE8ELNS1_11target_archE1030ELNS1_3gpuE2ELNS1_3repE0EEENS1_52radix_sort_onesweep_histogram_config_static_selectorELNS0_4arch9wavefront6targetE1EEEvSE_
	.globl	_ZN7rocprim17ROCPRIM_400000_NS6detail17trampoline_kernelINS0_14default_configENS1_35radix_sort_onesweep_config_selectorIhlEEZNS1_34radix_sort_onesweep_global_offsetsIS3_Lb0EPhN6thrust23THRUST_200600_302600_NS10device_ptrIlEEjNS0_19identity_decomposerEEE10hipError_tT1_T2_PT3_SG_jT4_jjP12ihipStream_tbEUlT_E0_NS1_11comp_targetILNS1_3genE8ELNS1_11target_archE1030ELNS1_3gpuE2ELNS1_3repE0EEENS1_52radix_sort_onesweep_histogram_config_static_selectorELNS0_4arch9wavefront6targetE1EEEvSE_
	.p2align	8
	.type	_ZN7rocprim17ROCPRIM_400000_NS6detail17trampoline_kernelINS0_14default_configENS1_35radix_sort_onesweep_config_selectorIhlEEZNS1_34radix_sort_onesweep_global_offsetsIS3_Lb0EPhN6thrust23THRUST_200600_302600_NS10device_ptrIlEEjNS0_19identity_decomposerEEE10hipError_tT1_T2_PT3_SG_jT4_jjP12ihipStream_tbEUlT_E0_NS1_11comp_targetILNS1_3genE8ELNS1_11target_archE1030ELNS1_3gpuE2ELNS1_3repE0EEENS1_52radix_sort_onesweep_histogram_config_static_selectorELNS0_4arch9wavefront6targetE1EEEvSE_,@function
_ZN7rocprim17ROCPRIM_400000_NS6detail17trampoline_kernelINS0_14default_configENS1_35radix_sort_onesweep_config_selectorIhlEEZNS1_34radix_sort_onesweep_global_offsetsIS3_Lb0EPhN6thrust23THRUST_200600_302600_NS10device_ptrIlEEjNS0_19identity_decomposerEEE10hipError_tT1_T2_PT3_SG_jT4_jjP12ihipStream_tbEUlT_E0_NS1_11comp_targetILNS1_3genE8ELNS1_11target_archE1030ELNS1_3gpuE2ELNS1_3repE0EEENS1_52radix_sort_onesweep_histogram_config_static_selectorELNS0_4arch9wavefront6targetE1EEEvSE_: ; @_ZN7rocprim17ROCPRIM_400000_NS6detail17trampoline_kernelINS0_14default_configENS1_35radix_sort_onesweep_config_selectorIhlEEZNS1_34radix_sort_onesweep_global_offsetsIS3_Lb0EPhN6thrust23THRUST_200600_302600_NS10device_ptrIlEEjNS0_19identity_decomposerEEE10hipError_tT1_T2_PT3_SG_jT4_jjP12ihipStream_tbEUlT_E0_NS1_11comp_targetILNS1_3genE8ELNS1_11target_archE1030ELNS1_3gpuE2ELNS1_3repE0EEENS1_52radix_sort_onesweep_histogram_config_static_selectorELNS0_4arch9wavefront6targetE1EEEvSE_
; %bb.0:
	.section	.rodata,"a",@progbits
	.p2align	6, 0x0
	.amdhsa_kernel _ZN7rocprim17ROCPRIM_400000_NS6detail17trampoline_kernelINS0_14default_configENS1_35radix_sort_onesweep_config_selectorIhlEEZNS1_34radix_sort_onesweep_global_offsetsIS3_Lb0EPhN6thrust23THRUST_200600_302600_NS10device_ptrIlEEjNS0_19identity_decomposerEEE10hipError_tT1_T2_PT3_SG_jT4_jjP12ihipStream_tbEUlT_E0_NS1_11comp_targetILNS1_3genE8ELNS1_11target_archE1030ELNS1_3gpuE2ELNS1_3repE0EEENS1_52radix_sort_onesweep_histogram_config_static_selectorELNS0_4arch9wavefront6targetE1EEEvSE_
		.amdhsa_group_segment_fixed_size 0
		.amdhsa_private_segment_fixed_size 0
		.amdhsa_kernarg_size 8
		.amdhsa_user_sgpr_count 6
		.amdhsa_user_sgpr_private_segment_buffer 1
		.amdhsa_user_sgpr_dispatch_ptr 0
		.amdhsa_user_sgpr_queue_ptr 0
		.amdhsa_user_sgpr_kernarg_segment_ptr 1
		.amdhsa_user_sgpr_dispatch_id 0
		.amdhsa_user_sgpr_flat_scratch_init 0
		.amdhsa_user_sgpr_private_segment_size 0
		.amdhsa_uses_dynamic_stack 0
		.amdhsa_system_sgpr_private_segment_wavefront_offset 0
		.amdhsa_system_sgpr_workgroup_id_x 1
		.amdhsa_system_sgpr_workgroup_id_y 0
		.amdhsa_system_sgpr_workgroup_id_z 0
		.amdhsa_system_sgpr_workgroup_info 0
		.amdhsa_system_vgpr_workitem_id 0
		.amdhsa_next_free_vgpr 1
		.amdhsa_next_free_sgpr 0
		.amdhsa_reserve_vcc 0
		.amdhsa_reserve_flat_scratch 0
		.amdhsa_float_round_mode_32 0
		.amdhsa_float_round_mode_16_64 0
		.amdhsa_float_denorm_mode_32 3
		.amdhsa_float_denorm_mode_16_64 3
		.amdhsa_dx10_clamp 1
		.amdhsa_ieee_mode 1
		.amdhsa_fp16_overflow 0
		.amdhsa_exception_fp_ieee_invalid_op 0
		.amdhsa_exception_fp_denorm_src 0
		.amdhsa_exception_fp_ieee_div_zero 0
		.amdhsa_exception_fp_ieee_overflow 0
		.amdhsa_exception_fp_ieee_underflow 0
		.amdhsa_exception_fp_ieee_inexact 0
		.amdhsa_exception_int_div_zero 0
	.end_amdhsa_kernel
	.section	.text._ZN7rocprim17ROCPRIM_400000_NS6detail17trampoline_kernelINS0_14default_configENS1_35radix_sort_onesweep_config_selectorIhlEEZNS1_34radix_sort_onesweep_global_offsetsIS3_Lb0EPhN6thrust23THRUST_200600_302600_NS10device_ptrIlEEjNS0_19identity_decomposerEEE10hipError_tT1_T2_PT3_SG_jT4_jjP12ihipStream_tbEUlT_E0_NS1_11comp_targetILNS1_3genE8ELNS1_11target_archE1030ELNS1_3gpuE2ELNS1_3repE0EEENS1_52radix_sort_onesweep_histogram_config_static_selectorELNS0_4arch9wavefront6targetE1EEEvSE_,"axG",@progbits,_ZN7rocprim17ROCPRIM_400000_NS6detail17trampoline_kernelINS0_14default_configENS1_35radix_sort_onesweep_config_selectorIhlEEZNS1_34radix_sort_onesweep_global_offsetsIS3_Lb0EPhN6thrust23THRUST_200600_302600_NS10device_ptrIlEEjNS0_19identity_decomposerEEE10hipError_tT1_T2_PT3_SG_jT4_jjP12ihipStream_tbEUlT_E0_NS1_11comp_targetILNS1_3genE8ELNS1_11target_archE1030ELNS1_3gpuE2ELNS1_3repE0EEENS1_52radix_sort_onesweep_histogram_config_static_selectorELNS0_4arch9wavefront6targetE1EEEvSE_,comdat
.Lfunc_end254:
	.size	_ZN7rocprim17ROCPRIM_400000_NS6detail17trampoline_kernelINS0_14default_configENS1_35radix_sort_onesweep_config_selectorIhlEEZNS1_34radix_sort_onesweep_global_offsetsIS3_Lb0EPhN6thrust23THRUST_200600_302600_NS10device_ptrIlEEjNS0_19identity_decomposerEEE10hipError_tT1_T2_PT3_SG_jT4_jjP12ihipStream_tbEUlT_E0_NS1_11comp_targetILNS1_3genE8ELNS1_11target_archE1030ELNS1_3gpuE2ELNS1_3repE0EEENS1_52radix_sort_onesweep_histogram_config_static_selectorELNS0_4arch9wavefront6targetE1EEEvSE_, .Lfunc_end254-_ZN7rocprim17ROCPRIM_400000_NS6detail17trampoline_kernelINS0_14default_configENS1_35radix_sort_onesweep_config_selectorIhlEEZNS1_34radix_sort_onesweep_global_offsetsIS3_Lb0EPhN6thrust23THRUST_200600_302600_NS10device_ptrIlEEjNS0_19identity_decomposerEEE10hipError_tT1_T2_PT3_SG_jT4_jjP12ihipStream_tbEUlT_E0_NS1_11comp_targetILNS1_3genE8ELNS1_11target_archE1030ELNS1_3gpuE2ELNS1_3repE0EEENS1_52radix_sort_onesweep_histogram_config_static_selectorELNS0_4arch9wavefront6targetE1EEEvSE_
                                        ; -- End function
	.set _ZN7rocprim17ROCPRIM_400000_NS6detail17trampoline_kernelINS0_14default_configENS1_35radix_sort_onesweep_config_selectorIhlEEZNS1_34radix_sort_onesweep_global_offsetsIS3_Lb0EPhN6thrust23THRUST_200600_302600_NS10device_ptrIlEEjNS0_19identity_decomposerEEE10hipError_tT1_T2_PT3_SG_jT4_jjP12ihipStream_tbEUlT_E0_NS1_11comp_targetILNS1_3genE8ELNS1_11target_archE1030ELNS1_3gpuE2ELNS1_3repE0EEENS1_52radix_sort_onesweep_histogram_config_static_selectorELNS0_4arch9wavefront6targetE1EEEvSE_.num_vgpr, 0
	.set _ZN7rocprim17ROCPRIM_400000_NS6detail17trampoline_kernelINS0_14default_configENS1_35radix_sort_onesweep_config_selectorIhlEEZNS1_34radix_sort_onesweep_global_offsetsIS3_Lb0EPhN6thrust23THRUST_200600_302600_NS10device_ptrIlEEjNS0_19identity_decomposerEEE10hipError_tT1_T2_PT3_SG_jT4_jjP12ihipStream_tbEUlT_E0_NS1_11comp_targetILNS1_3genE8ELNS1_11target_archE1030ELNS1_3gpuE2ELNS1_3repE0EEENS1_52radix_sort_onesweep_histogram_config_static_selectorELNS0_4arch9wavefront6targetE1EEEvSE_.num_agpr, 0
	.set _ZN7rocprim17ROCPRIM_400000_NS6detail17trampoline_kernelINS0_14default_configENS1_35radix_sort_onesweep_config_selectorIhlEEZNS1_34radix_sort_onesweep_global_offsetsIS3_Lb0EPhN6thrust23THRUST_200600_302600_NS10device_ptrIlEEjNS0_19identity_decomposerEEE10hipError_tT1_T2_PT3_SG_jT4_jjP12ihipStream_tbEUlT_E0_NS1_11comp_targetILNS1_3genE8ELNS1_11target_archE1030ELNS1_3gpuE2ELNS1_3repE0EEENS1_52radix_sort_onesweep_histogram_config_static_selectorELNS0_4arch9wavefront6targetE1EEEvSE_.numbered_sgpr, 0
	.set _ZN7rocprim17ROCPRIM_400000_NS6detail17trampoline_kernelINS0_14default_configENS1_35radix_sort_onesweep_config_selectorIhlEEZNS1_34radix_sort_onesweep_global_offsetsIS3_Lb0EPhN6thrust23THRUST_200600_302600_NS10device_ptrIlEEjNS0_19identity_decomposerEEE10hipError_tT1_T2_PT3_SG_jT4_jjP12ihipStream_tbEUlT_E0_NS1_11comp_targetILNS1_3genE8ELNS1_11target_archE1030ELNS1_3gpuE2ELNS1_3repE0EEENS1_52radix_sort_onesweep_histogram_config_static_selectorELNS0_4arch9wavefront6targetE1EEEvSE_.num_named_barrier, 0
	.set _ZN7rocprim17ROCPRIM_400000_NS6detail17trampoline_kernelINS0_14default_configENS1_35radix_sort_onesweep_config_selectorIhlEEZNS1_34radix_sort_onesweep_global_offsetsIS3_Lb0EPhN6thrust23THRUST_200600_302600_NS10device_ptrIlEEjNS0_19identity_decomposerEEE10hipError_tT1_T2_PT3_SG_jT4_jjP12ihipStream_tbEUlT_E0_NS1_11comp_targetILNS1_3genE8ELNS1_11target_archE1030ELNS1_3gpuE2ELNS1_3repE0EEENS1_52radix_sort_onesweep_histogram_config_static_selectorELNS0_4arch9wavefront6targetE1EEEvSE_.private_seg_size, 0
	.set _ZN7rocprim17ROCPRIM_400000_NS6detail17trampoline_kernelINS0_14default_configENS1_35radix_sort_onesweep_config_selectorIhlEEZNS1_34radix_sort_onesweep_global_offsetsIS3_Lb0EPhN6thrust23THRUST_200600_302600_NS10device_ptrIlEEjNS0_19identity_decomposerEEE10hipError_tT1_T2_PT3_SG_jT4_jjP12ihipStream_tbEUlT_E0_NS1_11comp_targetILNS1_3genE8ELNS1_11target_archE1030ELNS1_3gpuE2ELNS1_3repE0EEENS1_52radix_sort_onesweep_histogram_config_static_selectorELNS0_4arch9wavefront6targetE1EEEvSE_.uses_vcc, 0
	.set _ZN7rocprim17ROCPRIM_400000_NS6detail17trampoline_kernelINS0_14default_configENS1_35radix_sort_onesweep_config_selectorIhlEEZNS1_34radix_sort_onesweep_global_offsetsIS3_Lb0EPhN6thrust23THRUST_200600_302600_NS10device_ptrIlEEjNS0_19identity_decomposerEEE10hipError_tT1_T2_PT3_SG_jT4_jjP12ihipStream_tbEUlT_E0_NS1_11comp_targetILNS1_3genE8ELNS1_11target_archE1030ELNS1_3gpuE2ELNS1_3repE0EEENS1_52radix_sort_onesweep_histogram_config_static_selectorELNS0_4arch9wavefront6targetE1EEEvSE_.uses_flat_scratch, 0
	.set _ZN7rocprim17ROCPRIM_400000_NS6detail17trampoline_kernelINS0_14default_configENS1_35radix_sort_onesweep_config_selectorIhlEEZNS1_34radix_sort_onesweep_global_offsetsIS3_Lb0EPhN6thrust23THRUST_200600_302600_NS10device_ptrIlEEjNS0_19identity_decomposerEEE10hipError_tT1_T2_PT3_SG_jT4_jjP12ihipStream_tbEUlT_E0_NS1_11comp_targetILNS1_3genE8ELNS1_11target_archE1030ELNS1_3gpuE2ELNS1_3repE0EEENS1_52radix_sort_onesweep_histogram_config_static_selectorELNS0_4arch9wavefront6targetE1EEEvSE_.has_dyn_sized_stack, 0
	.set _ZN7rocprim17ROCPRIM_400000_NS6detail17trampoline_kernelINS0_14default_configENS1_35radix_sort_onesweep_config_selectorIhlEEZNS1_34radix_sort_onesweep_global_offsetsIS3_Lb0EPhN6thrust23THRUST_200600_302600_NS10device_ptrIlEEjNS0_19identity_decomposerEEE10hipError_tT1_T2_PT3_SG_jT4_jjP12ihipStream_tbEUlT_E0_NS1_11comp_targetILNS1_3genE8ELNS1_11target_archE1030ELNS1_3gpuE2ELNS1_3repE0EEENS1_52radix_sort_onesweep_histogram_config_static_selectorELNS0_4arch9wavefront6targetE1EEEvSE_.has_recursion, 0
	.set _ZN7rocprim17ROCPRIM_400000_NS6detail17trampoline_kernelINS0_14default_configENS1_35radix_sort_onesweep_config_selectorIhlEEZNS1_34radix_sort_onesweep_global_offsetsIS3_Lb0EPhN6thrust23THRUST_200600_302600_NS10device_ptrIlEEjNS0_19identity_decomposerEEE10hipError_tT1_T2_PT3_SG_jT4_jjP12ihipStream_tbEUlT_E0_NS1_11comp_targetILNS1_3genE8ELNS1_11target_archE1030ELNS1_3gpuE2ELNS1_3repE0EEENS1_52radix_sort_onesweep_histogram_config_static_selectorELNS0_4arch9wavefront6targetE1EEEvSE_.has_indirect_call, 0
	.section	.AMDGPU.csdata,"",@progbits
; Kernel info:
; codeLenInByte = 0
; TotalNumSgprs: 4
; NumVgprs: 0
; ScratchSize: 0
; MemoryBound: 0
; FloatMode: 240
; IeeeMode: 1
; LDSByteSize: 0 bytes/workgroup (compile time only)
; SGPRBlocks: 0
; VGPRBlocks: 0
; NumSGPRsForWavesPerEU: 4
; NumVGPRsForWavesPerEU: 1
; Occupancy: 10
; WaveLimiterHint : 0
; COMPUTE_PGM_RSRC2:SCRATCH_EN: 0
; COMPUTE_PGM_RSRC2:USER_SGPR: 6
; COMPUTE_PGM_RSRC2:TRAP_HANDLER: 0
; COMPUTE_PGM_RSRC2:TGID_X_EN: 1
; COMPUTE_PGM_RSRC2:TGID_Y_EN: 0
; COMPUTE_PGM_RSRC2:TGID_Z_EN: 0
; COMPUTE_PGM_RSRC2:TIDIG_COMP_CNT: 0
	.section	.text._ZN7rocprim17ROCPRIM_400000_NS6detail17trampoline_kernelINS0_14default_configENS1_25transform_config_selectorIlLb0EEEZNS1_14transform_implILb0ES3_S5_N6thrust23THRUST_200600_302600_NS10device_ptrIlEEPlNS0_8identityIlEEEE10hipError_tT2_T3_mT4_P12ihipStream_tbEUlT_E_NS1_11comp_targetILNS1_3genE0ELNS1_11target_archE4294967295ELNS1_3gpuE0ELNS1_3repE0EEENS1_30default_config_static_selectorELNS0_4arch9wavefront6targetE1EEEvT1_,"axG",@progbits,_ZN7rocprim17ROCPRIM_400000_NS6detail17trampoline_kernelINS0_14default_configENS1_25transform_config_selectorIlLb0EEEZNS1_14transform_implILb0ES3_S5_N6thrust23THRUST_200600_302600_NS10device_ptrIlEEPlNS0_8identityIlEEEE10hipError_tT2_T3_mT4_P12ihipStream_tbEUlT_E_NS1_11comp_targetILNS1_3genE0ELNS1_11target_archE4294967295ELNS1_3gpuE0ELNS1_3repE0EEENS1_30default_config_static_selectorELNS0_4arch9wavefront6targetE1EEEvT1_,comdat
	.protected	_ZN7rocprim17ROCPRIM_400000_NS6detail17trampoline_kernelINS0_14default_configENS1_25transform_config_selectorIlLb0EEEZNS1_14transform_implILb0ES3_S5_N6thrust23THRUST_200600_302600_NS10device_ptrIlEEPlNS0_8identityIlEEEE10hipError_tT2_T3_mT4_P12ihipStream_tbEUlT_E_NS1_11comp_targetILNS1_3genE0ELNS1_11target_archE4294967295ELNS1_3gpuE0ELNS1_3repE0EEENS1_30default_config_static_selectorELNS0_4arch9wavefront6targetE1EEEvT1_ ; -- Begin function _ZN7rocprim17ROCPRIM_400000_NS6detail17trampoline_kernelINS0_14default_configENS1_25transform_config_selectorIlLb0EEEZNS1_14transform_implILb0ES3_S5_N6thrust23THRUST_200600_302600_NS10device_ptrIlEEPlNS0_8identityIlEEEE10hipError_tT2_T3_mT4_P12ihipStream_tbEUlT_E_NS1_11comp_targetILNS1_3genE0ELNS1_11target_archE4294967295ELNS1_3gpuE0ELNS1_3repE0EEENS1_30default_config_static_selectorELNS0_4arch9wavefront6targetE1EEEvT1_
	.globl	_ZN7rocprim17ROCPRIM_400000_NS6detail17trampoline_kernelINS0_14default_configENS1_25transform_config_selectorIlLb0EEEZNS1_14transform_implILb0ES3_S5_N6thrust23THRUST_200600_302600_NS10device_ptrIlEEPlNS0_8identityIlEEEE10hipError_tT2_T3_mT4_P12ihipStream_tbEUlT_E_NS1_11comp_targetILNS1_3genE0ELNS1_11target_archE4294967295ELNS1_3gpuE0ELNS1_3repE0EEENS1_30default_config_static_selectorELNS0_4arch9wavefront6targetE1EEEvT1_
	.p2align	8
	.type	_ZN7rocprim17ROCPRIM_400000_NS6detail17trampoline_kernelINS0_14default_configENS1_25transform_config_selectorIlLb0EEEZNS1_14transform_implILb0ES3_S5_N6thrust23THRUST_200600_302600_NS10device_ptrIlEEPlNS0_8identityIlEEEE10hipError_tT2_T3_mT4_P12ihipStream_tbEUlT_E_NS1_11comp_targetILNS1_3genE0ELNS1_11target_archE4294967295ELNS1_3gpuE0ELNS1_3repE0EEENS1_30default_config_static_selectorELNS0_4arch9wavefront6targetE1EEEvT1_,@function
_ZN7rocprim17ROCPRIM_400000_NS6detail17trampoline_kernelINS0_14default_configENS1_25transform_config_selectorIlLb0EEEZNS1_14transform_implILb0ES3_S5_N6thrust23THRUST_200600_302600_NS10device_ptrIlEEPlNS0_8identityIlEEEE10hipError_tT2_T3_mT4_P12ihipStream_tbEUlT_E_NS1_11comp_targetILNS1_3genE0ELNS1_11target_archE4294967295ELNS1_3gpuE0ELNS1_3repE0EEENS1_30default_config_static_selectorELNS0_4arch9wavefront6targetE1EEEvT1_: ; @_ZN7rocprim17ROCPRIM_400000_NS6detail17trampoline_kernelINS0_14default_configENS1_25transform_config_selectorIlLb0EEEZNS1_14transform_implILb0ES3_S5_N6thrust23THRUST_200600_302600_NS10device_ptrIlEEPlNS0_8identityIlEEEE10hipError_tT2_T3_mT4_P12ihipStream_tbEUlT_E_NS1_11comp_targetILNS1_3genE0ELNS1_11target_archE4294967295ELNS1_3gpuE0ELNS1_3repE0EEENS1_30default_config_static_selectorELNS0_4arch9wavefront6targetE1EEEvT1_
; %bb.0:
	.section	.rodata,"a",@progbits
	.p2align	6, 0x0
	.amdhsa_kernel _ZN7rocprim17ROCPRIM_400000_NS6detail17trampoline_kernelINS0_14default_configENS1_25transform_config_selectorIlLb0EEEZNS1_14transform_implILb0ES3_S5_N6thrust23THRUST_200600_302600_NS10device_ptrIlEEPlNS0_8identityIlEEEE10hipError_tT2_T3_mT4_P12ihipStream_tbEUlT_E_NS1_11comp_targetILNS1_3genE0ELNS1_11target_archE4294967295ELNS1_3gpuE0ELNS1_3repE0EEENS1_30default_config_static_selectorELNS0_4arch9wavefront6targetE1EEEvT1_
		.amdhsa_group_segment_fixed_size 0
		.amdhsa_private_segment_fixed_size 0
		.amdhsa_kernarg_size 40
		.amdhsa_user_sgpr_count 6
		.amdhsa_user_sgpr_private_segment_buffer 1
		.amdhsa_user_sgpr_dispatch_ptr 0
		.amdhsa_user_sgpr_queue_ptr 0
		.amdhsa_user_sgpr_kernarg_segment_ptr 1
		.amdhsa_user_sgpr_dispatch_id 0
		.amdhsa_user_sgpr_flat_scratch_init 0
		.amdhsa_user_sgpr_private_segment_size 0
		.amdhsa_uses_dynamic_stack 0
		.amdhsa_system_sgpr_private_segment_wavefront_offset 0
		.amdhsa_system_sgpr_workgroup_id_x 1
		.amdhsa_system_sgpr_workgroup_id_y 0
		.amdhsa_system_sgpr_workgroup_id_z 0
		.amdhsa_system_sgpr_workgroup_info 0
		.amdhsa_system_vgpr_workitem_id 0
		.amdhsa_next_free_vgpr 1
		.amdhsa_next_free_sgpr 0
		.amdhsa_reserve_vcc 0
		.amdhsa_reserve_flat_scratch 0
		.amdhsa_float_round_mode_32 0
		.amdhsa_float_round_mode_16_64 0
		.amdhsa_float_denorm_mode_32 3
		.amdhsa_float_denorm_mode_16_64 3
		.amdhsa_dx10_clamp 1
		.amdhsa_ieee_mode 1
		.amdhsa_fp16_overflow 0
		.amdhsa_exception_fp_ieee_invalid_op 0
		.amdhsa_exception_fp_denorm_src 0
		.amdhsa_exception_fp_ieee_div_zero 0
		.amdhsa_exception_fp_ieee_overflow 0
		.amdhsa_exception_fp_ieee_underflow 0
		.amdhsa_exception_fp_ieee_inexact 0
		.amdhsa_exception_int_div_zero 0
	.end_amdhsa_kernel
	.section	.text._ZN7rocprim17ROCPRIM_400000_NS6detail17trampoline_kernelINS0_14default_configENS1_25transform_config_selectorIlLb0EEEZNS1_14transform_implILb0ES3_S5_N6thrust23THRUST_200600_302600_NS10device_ptrIlEEPlNS0_8identityIlEEEE10hipError_tT2_T3_mT4_P12ihipStream_tbEUlT_E_NS1_11comp_targetILNS1_3genE0ELNS1_11target_archE4294967295ELNS1_3gpuE0ELNS1_3repE0EEENS1_30default_config_static_selectorELNS0_4arch9wavefront6targetE1EEEvT1_,"axG",@progbits,_ZN7rocprim17ROCPRIM_400000_NS6detail17trampoline_kernelINS0_14default_configENS1_25transform_config_selectorIlLb0EEEZNS1_14transform_implILb0ES3_S5_N6thrust23THRUST_200600_302600_NS10device_ptrIlEEPlNS0_8identityIlEEEE10hipError_tT2_T3_mT4_P12ihipStream_tbEUlT_E_NS1_11comp_targetILNS1_3genE0ELNS1_11target_archE4294967295ELNS1_3gpuE0ELNS1_3repE0EEENS1_30default_config_static_selectorELNS0_4arch9wavefront6targetE1EEEvT1_,comdat
.Lfunc_end255:
	.size	_ZN7rocprim17ROCPRIM_400000_NS6detail17trampoline_kernelINS0_14default_configENS1_25transform_config_selectorIlLb0EEEZNS1_14transform_implILb0ES3_S5_N6thrust23THRUST_200600_302600_NS10device_ptrIlEEPlNS0_8identityIlEEEE10hipError_tT2_T3_mT4_P12ihipStream_tbEUlT_E_NS1_11comp_targetILNS1_3genE0ELNS1_11target_archE4294967295ELNS1_3gpuE0ELNS1_3repE0EEENS1_30default_config_static_selectorELNS0_4arch9wavefront6targetE1EEEvT1_, .Lfunc_end255-_ZN7rocprim17ROCPRIM_400000_NS6detail17trampoline_kernelINS0_14default_configENS1_25transform_config_selectorIlLb0EEEZNS1_14transform_implILb0ES3_S5_N6thrust23THRUST_200600_302600_NS10device_ptrIlEEPlNS0_8identityIlEEEE10hipError_tT2_T3_mT4_P12ihipStream_tbEUlT_E_NS1_11comp_targetILNS1_3genE0ELNS1_11target_archE4294967295ELNS1_3gpuE0ELNS1_3repE0EEENS1_30default_config_static_selectorELNS0_4arch9wavefront6targetE1EEEvT1_
                                        ; -- End function
	.set _ZN7rocprim17ROCPRIM_400000_NS6detail17trampoline_kernelINS0_14default_configENS1_25transform_config_selectorIlLb0EEEZNS1_14transform_implILb0ES3_S5_N6thrust23THRUST_200600_302600_NS10device_ptrIlEEPlNS0_8identityIlEEEE10hipError_tT2_T3_mT4_P12ihipStream_tbEUlT_E_NS1_11comp_targetILNS1_3genE0ELNS1_11target_archE4294967295ELNS1_3gpuE0ELNS1_3repE0EEENS1_30default_config_static_selectorELNS0_4arch9wavefront6targetE1EEEvT1_.num_vgpr, 0
	.set _ZN7rocprim17ROCPRIM_400000_NS6detail17trampoline_kernelINS0_14default_configENS1_25transform_config_selectorIlLb0EEEZNS1_14transform_implILb0ES3_S5_N6thrust23THRUST_200600_302600_NS10device_ptrIlEEPlNS0_8identityIlEEEE10hipError_tT2_T3_mT4_P12ihipStream_tbEUlT_E_NS1_11comp_targetILNS1_3genE0ELNS1_11target_archE4294967295ELNS1_3gpuE0ELNS1_3repE0EEENS1_30default_config_static_selectorELNS0_4arch9wavefront6targetE1EEEvT1_.num_agpr, 0
	.set _ZN7rocprim17ROCPRIM_400000_NS6detail17trampoline_kernelINS0_14default_configENS1_25transform_config_selectorIlLb0EEEZNS1_14transform_implILb0ES3_S5_N6thrust23THRUST_200600_302600_NS10device_ptrIlEEPlNS0_8identityIlEEEE10hipError_tT2_T3_mT4_P12ihipStream_tbEUlT_E_NS1_11comp_targetILNS1_3genE0ELNS1_11target_archE4294967295ELNS1_3gpuE0ELNS1_3repE0EEENS1_30default_config_static_selectorELNS0_4arch9wavefront6targetE1EEEvT1_.numbered_sgpr, 0
	.set _ZN7rocprim17ROCPRIM_400000_NS6detail17trampoline_kernelINS0_14default_configENS1_25transform_config_selectorIlLb0EEEZNS1_14transform_implILb0ES3_S5_N6thrust23THRUST_200600_302600_NS10device_ptrIlEEPlNS0_8identityIlEEEE10hipError_tT2_T3_mT4_P12ihipStream_tbEUlT_E_NS1_11comp_targetILNS1_3genE0ELNS1_11target_archE4294967295ELNS1_3gpuE0ELNS1_3repE0EEENS1_30default_config_static_selectorELNS0_4arch9wavefront6targetE1EEEvT1_.num_named_barrier, 0
	.set _ZN7rocprim17ROCPRIM_400000_NS6detail17trampoline_kernelINS0_14default_configENS1_25transform_config_selectorIlLb0EEEZNS1_14transform_implILb0ES3_S5_N6thrust23THRUST_200600_302600_NS10device_ptrIlEEPlNS0_8identityIlEEEE10hipError_tT2_T3_mT4_P12ihipStream_tbEUlT_E_NS1_11comp_targetILNS1_3genE0ELNS1_11target_archE4294967295ELNS1_3gpuE0ELNS1_3repE0EEENS1_30default_config_static_selectorELNS0_4arch9wavefront6targetE1EEEvT1_.private_seg_size, 0
	.set _ZN7rocprim17ROCPRIM_400000_NS6detail17trampoline_kernelINS0_14default_configENS1_25transform_config_selectorIlLb0EEEZNS1_14transform_implILb0ES3_S5_N6thrust23THRUST_200600_302600_NS10device_ptrIlEEPlNS0_8identityIlEEEE10hipError_tT2_T3_mT4_P12ihipStream_tbEUlT_E_NS1_11comp_targetILNS1_3genE0ELNS1_11target_archE4294967295ELNS1_3gpuE0ELNS1_3repE0EEENS1_30default_config_static_selectorELNS0_4arch9wavefront6targetE1EEEvT1_.uses_vcc, 0
	.set _ZN7rocprim17ROCPRIM_400000_NS6detail17trampoline_kernelINS0_14default_configENS1_25transform_config_selectorIlLb0EEEZNS1_14transform_implILb0ES3_S5_N6thrust23THRUST_200600_302600_NS10device_ptrIlEEPlNS0_8identityIlEEEE10hipError_tT2_T3_mT4_P12ihipStream_tbEUlT_E_NS1_11comp_targetILNS1_3genE0ELNS1_11target_archE4294967295ELNS1_3gpuE0ELNS1_3repE0EEENS1_30default_config_static_selectorELNS0_4arch9wavefront6targetE1EEEvT1_.uses_flat_scratch, 0
	.set _ZN7rocprim17ROCPRIM_400000_NS6detail17trampoline_kernelINS0_14default_configENS1_25transform_config_selectorIlLb0EEEZNS1_14transform_implILb0ES3_S5_N6thrust23THRUST_200600_302600_NS10device_ptrIlEEPlNS0_8identityIlEEEE10hipError_tT2_T3_mT4_P12ihipStream_tbEUlT_E_NS1_11comp_targetILNS1_3genE0ELNS1_11target_archE4294967295ELNS1_3gpuE0ELNS1_3repE0EEENS1_30default_config_static_selectorELNS0_4arch9wavefront6targetE1EEEvT1_.has_dyn_sized_stack, 0
	.set _ZN7rocprim17ROCPRIM_400000_NS6detail17trampoline_kernelINS0_14default_configENS1_25transform_config_selectorIlLb0EEEZNS1_14transform_implILb0ES3_S5_N6thrust23THRUST_200600_302600_NS10device_ptrIlEEPlNS0_8identityIlEEEE10hipError_tT2_T3_mT4_P12ihipStream_tbEUlT_E_NS1_11comp_targetILNS1_3genE0ELNS1_11target_archE4294967295ELNS1_3gpuE0ELNS1_3repE0EEENS1_30default_config_static_selectorELNS0_4arch9wavefront6targetE1EEEvT1_.has_recursion, 0
	.set _ZN7rocprim17ROCPRIM_400000_NS6detail17trampoline_kernelINS0_14default_configENS1_25transform_config_selectorIlLb0EEEZNS1_14transform_implILb0ES3_S5_N6thrust23THRUST_200600_302600_NS10device_ptrIlEEPlNS0_8identityIlEEEE10hipError_tT2_T3_mT4_P12ihipStream_tbEUlT_E_NS1_11comp_targetILNS1_3genE0ELNS1_11target_archE4294967295ELNS1_3gpuE0ELNS1_3repE0EEENS1_30default_config_static_selectorELNS0_4arch9wavefront6targetE1EEEvT1_.has_indirect_call, 0
	.section	.AMDGPU.csdata,"",@progbits
; Kernel info:
; codeLenInByte = 0
; TotalNumSgprs: 4
; NumVgprs: 0
; ScratchSize: 0
; MemoryBound: 0
; FloatMode: 240
; IeeeMode: 1
; LDSByteSize: 0 bytes/workgroup (compile time only)
; SGPRBlocks: 0
; VGPRBlocks: 0
; NumSGPRsForWavesPerEU: 4
; NumVGPRsForWavesPerEU: 1
; Occupancy: 10
; WaveLimiterHint : 0
; COMPUTE_PGM_RSRC2:SCRATCH_EN: 0
; COMPUTE_PGM_RSRC2:USER_SGPR: 6
; COMPUTE_PGM_RSRC2:TRAP_HANDLER: 0
; COMPUTE_PGM_RSRC2:TGID_X_EN: 1
; COMPUTE_PGM_RSRC2:TGID_Y_EN: 0
; COMPUTE_PGM_RSRC2:TGID_Z_EN: 0
; COMPUTE_PGM_RSRC2:TIDIG_COMP_CNT: 0
	.section	.text._ZN7rocprim17ROCPRIM_400000_NS6detail17trampoline_kernelINS0_14default_configENS1_25transform_config_selectorIlLb0EEEZNS1_14transform_implILb0ES3_S5_N6thrust23THRUST_200600_302600_NS10device_ptrIlEEPlNS0_8identityIlEEEE10hipError_tT2_T3_mT4_P12ihipStream_tbEUlT_E_NS1_11comp_targetILNS1_3genE5ELNS1_11target_archE942ELNS1_3gpuE9ELNS1_3repE0EEENS1_30default_config_static_selectorELNS0_4arch9wavefront6targetE1EEEvT1_,"axG",@progbits,_ZN7rocprim17ROCPRIM_400000_NS6detail17trampoline_kernelINS0_14default_configENS1_25transform_config_selectorIlLb0EEEZNS1_14transform_implILb0ES3_S5_N6thrust23THRUST_200600_302600_NS10device_ptrIlEEPlNS0_8identityIlEEEE10hipError_tT2_T3_mT4_P12ihipStream_tbEUlT_E_NS1_11comp_targetILNS1_3genE5ELNS1_11target_archE942ELNS1_3gpuE9ELNS1_3repE0EEENS1_30default_config_static_selectorELNS0_4arch9wavefront6targetE1EEEvT1_,comdat
	.protected	_ZN7rocprim17ROCPRIM_400000_NS6detail17trampoline_kernelINS0_14default_configENS1_25transform_config_selectorIlLb0EEEZNS1_14transform_implILb0ES3_S5_N6thrust23THRUST_200600_302600_NS10device_ptrIlEEPlNS0_8identityIlEEEE10hipError_tT2_T3_mT4_P12ihipStream_tbEUlT_E_NS1_11comp_targetILNS1_3genE5ELNS1_11target_archE942ELNS1_3gpuE9ELNS1_3repE0EEENS1_30default_config_static_selectorELNS0_4arch9wavefront6targetE1EEEvT1_ ; -- Begin function _ZN7rocprim17ROCPRIM_400000_NS6detail17trampoline_kernelINS0_14default_configENS1_25transform_config_selectorIlLb0EEEZNS1_14transform_implILb0ES3_S5_N6thrust23THRUST_200600_302600_NS10device_ptrIlEEPlNS0_8identityIlEEEE10hipError_tT2_T3_mT4_P12ihipStream_tbEUlT_E_NS1_11comp_targetILNS1_3genE5ELNS1_11target_archE942ELNS1_3gpuE9ELNS1_3repE0EEENS1_30default_config_static_selectorELNS0_4arch9wavefront6targetE1EEEvT1_
	.globl	_ZN7rocprim17ROCPRIM_400000_NS6detail17trampoline_kernelINS0_14default_configENS1_25transform_config_selectorIlLb0EEEZNS1_14transform_implILb0ES3_S5_N6thrust23THRUST_200600_302600_NS10device_ptrIlEEPlNS0_8identityIlEEEE10hipError_tT2_T3_mT4_P12ihipStream_tbEUlT_E_NS1_11comp_targetILNS1_3genE5ELNS1_11target_archE942ELNS1_3gpuE9ELNS1_3repE0EEENS1_30default_config_static_selectorELNS0_4arch9wavefront6targetE1EEEvT1_
	.p2align	8
	.type	_ZN7rocprim17ROCPRIM_400000_NS6detail17trampoline_kernelINS0_14default_configENS1_25transform_config_selectorIlLb0EEEZNS1_14transform_implILb0ES3_S5_N6thrust23THRUST_200600_302600_NS10device_ptrIlEEPlNS0_8identityIlEEEE10hipError_tT2_T3_mT4_P12ihipStream_tbEUlT_E_NS1_11comp_targetILNS1_3genE5ELNS1_11target_archE942ELNS1_3gpuE9ELNS1_3repE0EEENS1_30default_config_static_selectorELNS0_4arch9wavefront6targetE1EEEvT1_,@function
_ZN7rocprim17ROCPRIM_400000_NS6detail17trampoline_kernelINS0_14default_configENS1_25transform_config_selectorIlLb0EEEZNS1_14transform_implILb0ES3_S5_N6thrust23THRUST_200600_302600_NS10device_ptrIlEEPlNS0_8identityIlEEEE10hipError_tT2_T3_mT4_P12ihipStream_tbEUlT_E_NS1_11comp_targetILNS1_3genE5ELNS1_11target_archE942ELNS1_3gpuE9ELNS1_3repE0EEENS1_30default_config_static_selectorELNS0_4arch9wavefront6targetE1EEEvT1_: ; @_ZN7rocprim17ROCPRIM_400000_NS6detail17trampoline_kernelINS0_14default_configENS1_25transform_config_selectorIlLb0EEEZNS1_14transform_implILb0ES3_S5_N6thrust23THRUST_200600_302600_NS10device_ptrIlEEPlNS0_8identityIlEEEE10hipError_tT2_T3_mT4_P12ihipStream_tbEUlT_E_NS1_11comp_targetILNS1_3genE5ELNS1_11target_archE942ELNS1_3gpuE9ELNS1_3repE0EEENS1_30default_config_static_selectorELNS0_4arch9wavefront6targetE1EEEvT1_
; %bb.0:
	.section	.rodata,"a",@progbits
	.p2align	6, 0x0
	.amdhsa_kernel _ZN7rocprim17ROCPRIM_400000_NS6detail17trampoline_kernelINS0_14default_configENS1_25transform_config_selectorIlLb0EEEZNS1_14transform_implILb0ES3_S5_N6thrust23THRUST_200600_302600_NS10device_ptrIlEEPlNS0_8identityIlEEEE10hipError_tT2_T3_mT4_P12ihipStream_tbEUlT_E_NS1_11comp_targetILNS1_3genE5ELNS1_11target_archE942ELNS1_3gpuE9ELNS1_3repE0EEENS1_30default_config_static_selectorELNS0_4arch9wavefront6targetE1EEEvT1_
		.amdhsa_group_segment_fixed_size 0
		.amdhsa_private_segment_fixed_size 0
		.amdhsa_kernarg_size 40
		.amdhsa_user_sgpr_count 6
		.amdhsa_user_sgpr_private_segment_buffer 1
		.amdhsa_user_sgpr_dispatch_ptr 0
		.amdhsa_user_sgpr_queue_ptr 0
		.amdhsa_user_sgpr_kernarg_segment_ptr 1
		.amdhsa_user_sgpr_dispatch_id 0
		.amdhsa_user_sgpr_flat_scratch_init 0
		.amdhsa_user_sgpr_private_segment_size 0
		.amdhsa_uses_dynamic_stack 0
		.amdhsa_system_sgpr_private_segment_wavefront_offset 0
		.amdhsa_system_sgpr_workgroup_id_x 1
		.amdhsa_system_sgpr_workgroup_id_y 0
		.amdhsa_system_sgpr_workgroup_id_z 0
		.amdhsa_system_sgpr_workgroup_info 0
		.amdhsa_system_vgpr_workitem_id 0
		.amdhsa_next_free_vgpr 1
		.amdhsa_next_free_sgpr 0
		.amdhsa_reserve_vcc 0
		.amdhsa_reserve_flat_scratch 0
		.amdhsa_float_round_mode_32 0
		.amdhsa_float_round_mode_16_64 0
		.amdhsa_float_denorm_mode_32 3
		.amdhsa_float_denorm_mode_16_64 3
		.amdhsa_dx10_clamp 1
		.amdhsa_ieee_mode 1
		.amdhsa_fp16_overflow 0
		.amdhsa_exception_fp_ieee_invalid_op 0
		.amdhsa_exception_fp_denorm_src 0
		.amdhsa_exception_fp_ieee_div_zero 0
		.amdhsa_exception_fp_ieee_overflow 0
		.amdhsa_exception_fp_ieee_underflow 0
		.amdhsa_exception_fp_ieee_inexact 0
		.amdhsa_exception_int_div_zero 0
	.end_amdhsa_kernel
	.section	.text._ZN7rocprim17ROCPRIM_400000_NS6detail17trampoline_kernelINS0_14default_configENS1_25transform_config_selectorIlLb0EEEZNS1_14transform_implILb0ES3_S5_N6thrust23THRUST_200600_302600_NS10device_ptrIlEEPlNS0_8identityIlEEEE10hipError_tT2_T3_mT4_P12ihipStream_tbEUlT_E_NS1_11comp_targetILNS1_3genE5ELNS1_11target_archE942ELNS1_3gpuE9ELNS1_3repE0EEENS1_30default_config_static_selectorELNS0_4arch9wavefront6targetE1EEEvT1_,"axG",@progbits,_ZN7rocprim17ROCPRIM_400000_NS6detail17trampoline_kernelINS0_14default_configENS1_25transform_config_selectorIlLb0EEEZNS1_14transform_implILb0ES3_S5_N6thrust23THRUST_200600_302600_NS10device_ptrIlEEPlNS0_8identityIlEEEE10hipError_tT2_T3_mT4_P12ihipStream_tbEUlT_E_NS1_11comp_targetILNS1_3genE5ELNS1_11target_archE942ELNS1_3gpuE9ELNS1_3repE0EEENS1_30default_config_static_selectorELNS0_4arch9wavefront6targetE1EEEvT1_,comdat
.Lfunc_end256:
	.size	_ZN7rocprim17ROCPRIM_400000_NS6detail17trampoline_kernelINS0_14default_configENS1_25transform_config_selectorIlLb0EEEZNS1_14transform_implILb0ES3_S5_N6thrust23THRUST_200600_302600_NS10device_ptrIlEEPlNS0_8identityIlEEEE10hipError_tT2_T3_mT4_P12ihipStream_tbEUlT_E_NS1_11comp_targetILNS1_3genE5ELNS1_11target_archE942ELNS1_3gpuE9ELNS1_3repE0EEENS1_30default_config_static_selectorELNS0_4arch9wavefront6targetE1EEEvT1_, .Lfunc_end256-_ZN7rocprim17ROCPRIM_400000_NS6detail17trampoline_kernelINS0_14default_configENS1_25transform_config_selectorIlLb0EEEZNS1_14transform_implILb0ES3_S5_N6thrust23THRUST_200600_302600_NS10device_ptrIlEEPlNS0_8identityIlEEEE10hipError_tT2_T3_mT4_P12ihipStream_tbEUlT_E_NS1_11comp_targetILNS1_3genE5ELNS1_11target_archE942ELNS1_3gpuE9ELNS1_3repE0EEENS1_30default_config_static_selectorELNS0_4arch9wavefront6targetE1EEEvT1_
                                        ; -- End function
	.set _ZN7rocprim17ROCPRIM_400000_NS6detail17trampoline_kernelINS0_14default_configENS1_25transform_config_selectorIlLb0EEEZNS1_14transform_implILb0ES3_S5_N6thrust23THRUST_200600_302600_NS10device_ptrIlEEPlNS0_8identityIlEEEE10hipError_tT2_T3_mT4_P12ihipStream_tbEUlT_E_NS1_11comp_targetILNS1_3genE5ELNS1_11target_archE942ELNS1_3gpuE9ELNS1_3repE0EEENS1_30default_config_static_selectorELNS0_4arch9wavefront6targetE1EEEvT1_.num_vgpr, 0
	.set _ZN7rocprim17ROCPRIM_400000_NS6detail17trampoline_kernelINS0_14default_configENS1_25transform_config_selectorIlLb0EEEZNS1_14transform_implILb0ES3_S5_N6thrust23THRUST_200600_302600_NS10device_ptrIlEEPlNS0_8identityIlEEEE10hipError_tT2_T3_mT4_P12ihipStream_tbEUlT_E_NS1_11comp_targetILNS1_3genE5ELNS1_11target_archE942ELNS1_3gpuE9ELNS1_3repE0EEENS1_30default_config_static_selectorELNS0_4arch9wavefront6targetE1EEEvT1_.num_agpr, 0
	.set _ZN7rocprim17ROCPRIM_400000_NS6detail17trampoline_kernelINS0_14default_configENS1_25transform_config_selectorIlLb0EEEZNS1_14transform_implILb0ES3_S5_N6thrust23THRUST_200600_302600_NS10device_ptrIlEEPlNS0_8identityIlEEEE10hipError_tT2_T3_mT4_P12ihipStream_tbEUlT_E_NS1_11comp_targetILNS1_3genE5ELNS1_11target_archE942ELNS1_3gpuE9ELNS1_3repE0EEENS1_30default_config_static_selectorELNS0_4arch9wavefront6targetE1EEEvT1_.numbered_sgpr, 0
	.set _ZN7rocprim17ROCPRIM_400000_NS6detail17trampoline_kernelINS0_14default_configENS1_25transform_config_selectorIlLb0EEEZNS1_14transform_implILb0ES3_S5_N6thrust23THRUST_200600_302600_NS10device_ptrIlEEPlNS0_8identityIlEEEE10hipError_tT2_T3_mT4_P12ihipStream_tbEUlT_E_NS1_11comp_targetILNS1_3genE5ELNS1_11target_archE942ELNS1_3gpuE9ELNS1_3repE0EEENS1_30default_config_static_selectorELNS0_4arch9wavefront6targetE1EEEvT1_.num_named_barrier, 0
	.set _ZN7rocprim17ROCPRIM_400000_NS6detail17trampoline_kernelINS0_14default_configENS1_25transform_config_selectorIlLb0EEEZNS1_14transform_implILb0ES3_S5_N6thrust23THRUST_200600_302600_NS10device_ptrIlEEPlNS0_8identityIlEEEE10hipError_tT2_T3_mT4_P12ihipStream_tbEUlT_E_NS1_11comp_targetILNS1_3genE5ELNS1_11target_archE942ELNS1_3gpuE9ELNS1_3repE0EEENS1_30default_config_static_selectorELNS0_4arch9wavefront6targetE1EEEvT1_.private_seg_size, 0
	.set _ZN7rocprim17ROCPRIM_400000_NS6detail17trampoline_kernelINS0_14default_configENS1_25transform_config_selectorIlLb0EEEZNS1_14transform_implILb0ES3_S5_N6thrust23THRUST_200600_302600_NS10device_ptrIlEEPlNS0_8identityIlEEEE10hipError_tT2_T3_mT4_P12ihipStream_tbEUlT_E_NS1_11comp_targetILNS1_3genE5ELNS1_11target_archE942ELNS1_3gpuE9ELNS1_3repE0EEENS1_30default_config_static_selectorELNS0_4arch9wavefront6targetE1EEEvT1_.uses_vcc, 0
	.set _ZN7rocprim17ROCPRIM_400000_NS6detail17trampoline_kernelINS0_14default_configENS1_25transform_config_selectorIlLb0EEEZNS1_14transform_implILb0ES3_S5_N6thrust23THRUST_200600_302600_NS10device_ptrIlEEPlNS0_8identityIlEEEE10hipError_tT2_T3_mT4_P12ihipStream_tbEUlT_E_NS1_11comp_targetILNS1_3genE5ELNS1_11target_archE942ELNS1_3gpuE9ELNS1_3repE0EEENS1_30default_config_static_selectorELNS0_4arch9wavefront6targetE1EEEvT1_.uses_flat_scratch, 0
	.set _ZN7rocprim17ROCPRIM_400000_NS6detail17trampoline_kernelINS0_14default_configENS1_25transform_config_selectorIlLb0EEEZNS1_14transform_implILb0ES3_S5_N6thrust23THRUST_200600_302600_NS10device_ptrIlEEPlNS0_8identityIlEEEE10hipError_tT2_T3_mT4_P12ihipStream_tbEUlT_E_NS1_11comp_targetILNS1_3genE5ELNS1_11target_archE942ELNS1_3gpuE9ELNS1_3repE0EEENS1_30default_config_static_selectorELNS0_4arch9wavefront6targetE1EEEvT1_.has_dyn_sized_stack, 0
	.set _ZN7rocprim17ROCPRIM_400000_NS6detail17trampoline_kernelINS0_14default_configENS1_25transform_config_selectorIlLb0EEEZNS1_14transform_implILb0ES3_S5_N6thrust23THRUST_200600_302600_NS10device_ptrIlEEPlNS0_8identityIlEEEE10hipError_tT2_T3_mT4_P12ihipStream_tbEUlT_E_NS1_11comp_targetILNS1_3genE5ELNS1_11target_archE942ELNS1_3gpuE9ELNS1_3repE0EEENS1_30default_config_static_selectorELNS0_4arch9wavefront6targetE1EEEvT1_.has_recursion, 0
	.set _ZN7rocprim17ROCPRIM_400000_NS6detail17trampoline_kernelINS0_14default_configENS1_25transform_config_selectorIlLb0EEEZNS1_14transform_implILb0ES3_S5_N6thrust23THRUST_200600_302600_NS10device_ptrIlEEPlNS0_8identityIlEEEE10hipError_tT2_T3_mT4_P12ihipStream_tbEUlT_E_NS1_11comp_targetILNS1_3genE5ELNS1_11target_archE942ELNS1_3gpuE9ELNS1_3repE0EEENS1_30default_config_static_selectorELNS0_4arch9wavefront6targetE1EEEvT1_.has_indirect_call, 0
	.section	.AMDGPU.csdata,"",@progbits
; Kernel info:
; codeLenInByte = 0
; TotalNumSgprs: 4
; NumVgprs: 0
; ScratchSize: 0
; MemoryBound: 0
; FloatMode: 240
; IeeeMode: 1
; LDSByteSize: 0 bytes/workgroup (compile time only)
; SGPRBlocks: 0
; VGPRBlocks: 0
; NumSGPRsForWavesPerEU: 4
; NumVGPRsForWavesPerEU: 1
; Occupancy: 10
; WaveLimiterHint : 0
; COMPUTE_PGM_RSRC2:SCRATCH_EN: 0
; COMPUTE_PGM_RSRC2:USER_SGPR: 6
; COMPUTE_PGM_RSRC2:TRAP_HANDLER: 0
; COMPUTE_PGM_RSRC2:TGID_X_EN: 1
; COMPUTE_PGM_RSRC2:TGID_Y_EN: 0
; COMPUTE_PGM_RSRC2:TGID_Z_EN: 0
; COMPUTE_PGM_RSRC2:TIDIG_COMP_CNT: 0
	.section	.text._ZN7rocprim17ROCPRIM_400000_NS6detail17trampoline_kernelINS0_14default_configENS1_25transform_config_selectorIlLb0EEEZNS1_14transform_implILb0ES3_S5_N6thrust23THRUST_200600_302600_NS10device_ptrIlEEPlNS0_8identityIlEEEE10hipError_tT2_T3_mT4_P12ihipStream_tbEUlT_E_NS1_11comp_targetILNS1_3genE4ELNS1_11target_archE910ELNS1_3gpuE8ELNS1_3repE0EEENS1_30default_config_static_selectorELNS0_4arch9wavefront6targetE1EEEvT1_,"axG",@progbits,_ZN7rocprim17ROCPRIM_400000_NS6detail17trampoline_kernelINS0_14default_configENS1_25transform_config_selectorIlLb0EEEZNS1_14transform_implILb0ES3_S5_N6thrust23THRUST_200600_302600_NS10device_ptrIlEEPlNS0_8identityIlEEEE10hipError_tT2_T3_mT4_P12ihipStream_tbEUlT_E_NS1_11comp_targetILNS1_3genE4ELNS1_11target_archE910ELNS1_3gpuE8ELNS1_3repE0EEENS1_30default_config_static_selectorELNS0_4arch9wavefront6targetE1EEEvT1_,comdat
	.protected	_ZN7rocprim17ROCPRIM_400000_NS6detail17trampoline_kernelINS0_14default_configENS1_25transform_config_selectorIlLb0EEEZNS1_14transform_implILb0ES3_S5_N6thrust23THRUST_200600_302600_NS10device_ptrIlEEPlNS0_8identityIlEEEE10hipError_tT2_T3_mT4_P12ihipStream_tbEUlT_E_NS1_11comp_targetILNS1_3genE4ELNS1_11target_archE910ELNS1_3gpuE8ELNS1_3repE0EEENS1_30default_config_static_selectorELNS0_4arch9wavefront6targetE1EEEvT1_ ; -- Begin function _ZN7rocprim17ROCPRIM_400000_NS6detail17trampoline_kernelINS0_14default_configENS1_25transform_config_selectorIlLb0EEEZNS1_14transform_implILb0ES3_S5_N6thrust23THRUST_200600_302600_NS10device_ptrIlEEPlNS0_8identityIlEEEE10hipError_tT2_T3_mT4_P12ihipStream_tbEUlT_E_NS1_11comp_targetILNS1_3genE4ELNS1_11target_archE910ELNS1_3gpuE8ELNS1_3repE0EEENS1_30default_config_static_selectorELNS0_4arch9wavefront6targetE1EEEvT1_
	.globl	_ZN7rocprim17ROCPRIM_400000_NS6detail17trampoline_kernelINS0_14default_configENS1_25transform_config_selectorIlLb0EEEZNS1_14transform_implILb0ES3_S5_N6thrust23THRUST_200600_302600_NS10device_ptrIlEEPlNS0_8identityIlEEEE10hipError_tT2_T3_mT4_P12ihipStream_tbEUlT_E_NS1_11comp_targetILNS1_3genE4ELNS1_11target_archE910ELNS1_3gpuE8ELNS1_3repE0EEENS1_30default_config_static_selectorELNS0_4arch9wavefront6targetE1EEEvT1_
	.p2align	8
	.type	_ZN7rocprim17ROCPRIM_400000_NS6detail17trampoline_kernelINS0_14default_configENS1_25transform_config_selectorIlLb0EEEZNS1_14transform_implILb0ES3_S5_N6thrust23THRUST_200600_302600_NS10device_ptrIlEEPlNS0_8identityIlEEEE10hipError_tT2_T3_mT4_P12ihipStream_tbEUlT_E_NS1_11comp_targetILNS1_3genE4ELNS1_11target_archE910ELNS1_3gpuE8ELNS1_3repE0EEENS1_30default_config_static_selectorELNS0_4arch9wavefront6targetE1EEEvT1_,@function
_ZN7rocprim17ROCPRIM_400000_NS6detail17trampoline_kernelINS0_14default_configENS1_25transform_config_selectorIlLb0EEEZNS1_14transform_implILb0ES3_S5_N6thrust23THRUST_200600_302600_NS10device_ptrIlEEPlNS0_8identityIlEEEE10hipError_tT2_T3_mT4_P12ihipStream_tbEUlT_E_NS1_11comp_targetILNS1_3genE4ELNS1_11target_archE910ELNS1_3gpuE8ELNS1_3repE0EEENS1_30default_config_static_selectorELNS0_4arch9wavefront6targetE1EEEvT1_: ; @_ZN7rocprim17ROCPRIM_400000_NS6detail17trampoline_kernelINS0_14default_configENS1_25transform_config_selectorIlLb0EEEZNS1_14transform_implILb0ES3_S5_N6thrust23THRUST_200600_302600_NS10device_ptrIlEEPlNS0_8identityIlEEEE10hipError_tT2_T3_mT4_P12ihipStream_tbEUlT_E_NS1_11comp_targetILNS1_3genE4ELNS1_11target_archE910ELNS1_3gpuE8ELNS1_3repE0EEENS1_30default_config_static_selectorELNS0_4arch9wavefront6targetE1EEEvT1_
; %bb.0:
	.section	.rodata,"a",@progbits
	.p2align	6, 0x0
	.amdhsa_kernel _ZN7rocprim17ROCPRIM_400000_NS6detail17trampoline_kernelINS0_14default_configENS1_25transform_config_selectorIlLb0EEEZNS1_14transform_implILb0ES3_S5_N6thrust23THRUST_200600_302600_NS10device_ptrIlEEPlNS0_8identityIlEEEE10hipError_tT2_T3_mT4_P12ihipStream_tbEUlT_E_NS1_11comp_targetILNS1_3genE4ELNS1_11target_archE910ELNS1_3gpuE8ELNS1_3repE0EEENS1_30default_config_static_selectorELNS0_4arch9wavefront6targetE1EEEvT1_
		.amdhsa_group_segment_fixed_size 0
		.amdhsa_private_segment_fixed_size 0
		.amdhsa_kernarg_size 40
		.amdhsa_user_sgpr_count 6
		.amdhsa_user_sgpr_private_segment_buffer 1
		.amdhsa_user_sgpr_dispatch_ptr 0
		.amdhsa_user_sgpr_queue_ptr 0
		.amdhsa_user_sgpr_kernarg_segment_ptr 1
		.amdhsa_user_sgpr_dispatch_id 0
		.amdhsa_user_sgpr_flat_scratch_init 0
		.amdhsa_user_sgpr_private_segment_size 0
		.amdhsa_uses_dynamic_stack 0
		.amdhsa_system_sgpr_private_segment_wavefront_offset 0
		.amdhsa_system_sgpr_workgroup_id_x 1
		.amdhsa_system_sgpr_workgroup_id_y 0
		.amdhsa_system_sgpr_workgroup_id_z 0
		.amdhsa_system_sgpr_workgroup_info 0
		.amdhsa_system_vgpr_workitem_id 0
		.amdhsa_next_free_vgpr 1
		.amdhsa_next_free_sgpr 0
		.amdhsa_reserve_vcc 0
		.amdhsa_reserve_flat_scratch 0
		.amdhsa_float_round_mode_32 0
		.amdhsa_float_round_mode_16_64 0
		.amdhsa_float_denorm_mode_32 3
		.amdhsa_float_denorm_mode_16_64 3
		.amdhsa_dx10_clamp 1
		.amdhsa_ieee_mode 1
		.amdhsa_fp16_overflow 0
		.amdhsa_exception_fp_ieee_invalid_op 0
		.amdhsa_exception_fp_denorm_src 0
		.amdhsa_exception_fp_ieee_div_zero 0
		.amdhsa_exception_fp_ieee_overflow 0
		.amdhsa_exception_fp_ieee_underflow 0
		.amdhsa_exception_fp_ieee_inexact 0
		.amdhsa_exception_int_div_zero 0
	.end_amdhsa_kernel
	.section	.text._ZN7rocprim17ROCPRIM_400000_NS6detail17trampoline_kernelINS0_14default_configENS1_25transform_config_selectorIlLb0EEEZNS1_14transform_implILb0ES3_S5_N6thrust23THRUST_200600_302600_NS10device_ptrIlEEPlNS0_8identityIlEEEE10hipError_tT2_T3_mT4_P12ihipStream_tbEUlT_E_NS1_11comp_targetILNS1_3genE4ELNS1_11target_archE910ELNS1_3gpuE8ELNS1_3repE0EEENS1_30default_config_static_selectorELNS0_4arch9wavefront6targetE1EEEvT1_,"axG",@progbits,_ZN7rocprim17ROCPRIM_400000_NS6detail17trampoline_kernelINS0_14default_configENS1_25transform_config_selectorIlLb0EEEZNS1_14transform_implILb0ES3_S5_N6thrust23THRUST_200600_302600_NS10device_ptrIlEEPlNS0_8identityIlEEEE10hipError_tT2_T3_mT4_P12ihipStream_tbEUlT_E_NS1_11comp_targetILNS1_3genE4ELNS1_11target_archE910ELNS1_3gpuE8ELNS1_3repE0EEENS1_30default_config_static_selectorELNS0_4arch9wavefront6targetE1EEEvT1_,comdat
.Lfunc_end257:
	.size	_ZN7rocprim17ROCPRIM_400000_NS6detail17trampoline_kernelINS0_14default_configENS1_25transform_config_selectorIlLb0EEEZNS1_14transform_implILb0ES3_S5_N6thrust23THRUST_200600_302600_NS10device_ptrIlEEPlNS0_8identityIlEEEE10hipError_tT2_T3_mT4_P12ihipStream_tbEUlT_E_NS1_11comp_targetILNS1_3genE4ELNS1_11target_archE910ELNS1_3gpuE8ELNS1_3repE0EEENS1_30default_config_static_selectorELNS0_4arch9wavefront6targetE1EEEvT1_, .Lfunc_end257-_ZN7rocprim17ROCPRIM_400000_NS6detail17trampoline_kernelINS0_14default_configENS1_25transform_config_selectorIlLb0EEEZNS1_14transform_implILb0ES3_S5_N6thrust23THRUST_200600_302600_NS10device_ptrIlEEPlNS0_8identityIlEEEE10hipError_tT2_T3_mT4_P12ihipStream_tbEUlT_E_NS1_11comp_targetILNS1_3genE4ELNS1_11target_archE910ELNS1_3gpuE8ELNS1_3repE0EEENS1_30default_config_static_selectorELNS0_4arch9wavefront6targetE1EEEvT1_
                                        ; -- End function
	.set _ZN7rocprim17ROCPRIM_400000_NS6detail17trampoline_kernelINS0_14default_configENS1_25transform_config_selectorIlLb0EEEZNS1_14transform_implILb0ES3_S5_N6thrust23THRUST_200600_302600_NS10device_ptrIlEEPlNS0_8identityIlEEEE10hipError_tT2_T3_mT4_P12ihipStream_tbEUlT_E_NS1_11comp_targetILNS1_3genE4ELNS1_11target_archE910ELNS1_3gpuE8ELNS1_3repE0EEENS1_30default_config_static_selectorELNS0_4arch9wavefront6targetE1EEEvT1_.num_vgpr, 0
	.set _ZN7rocprim17ROCPRIM_400000_NS6detail17trampoline_kernelINS0_14default_configENS1_25transform_config_selectorIlLb0EEEZNS1_14transform_implILb0ES3_S5_N6thrust23THRUST_200600_302600_NS10device_ptrIlEEPlNS0_8identityIlEEEE10hipError_tT2_T3_mT4_P12ihipStream_tbEUlT_E_NS1_11comp_targetILNS1_3genE4ELNS1_11target_archE910ELNS1_3gpuE8ELNS1_3repE0EEENS1_30default_config_static_selectorELNS0_4arch9wavefront6targetE1EEEvT1_.num_agpr, 0
	.set _ZN7rocprim17ROCPRIM_400000_NS6detail17trampoline_kernelINS0_14default_configENS1_25transform_config_selectorIlLb0EEEZNS1_14transform_implILb0ES3_S5_N6thrust23THRUST_200600_302600_NS10device_ptrIlEEPlNS0_8identityIlEEEE10hipError_tT2_T3_mT4_P12ihipStream_tbEUlT_E_NS1_11comp_targetILNS1_3genE4ELNS1_11target_archE910ELNS1_3gpuE8ELNS1_3repE0EEENS1_30default_config_static_selectorELNS0_4arch9wavefront6targetE1EEEvT1_.numbered_sgpr, 0
	.set _ZN7rocprim17ROCPRIM_400000_NS6detail17trampoline_kernelINS0_14default_configENS1_25transform_config_selectorIlLb0EEEZNS1_14transform_implILb0ES3_S5_N6thrust23THRUST_200600_302600_NS10device_ptrIlEEPlNS0_8identityIlEEEE10hipError_tT2_T3_mT4_P12ihipStream_tbEUlT_E_NS1_11comp_targetILNS1_3genE4ELNS1_11target_archE910ELNS1_3gpuE8ELNS1_3repE0EEENS1_30default_config_static_selectorELNS0_4arch9wavefront6targetE1EEEvT1_.num_named_barrier, 0
	.set _ZN7rocprim17ROCPRIM_400000_NS6detail17trampoline_kernelINS0_14default_configENS1_25transform_config_selectorIlLb0EEEZNS1_14transform_implILb0ES3_S5_N6thrust23THRUST_200600_302600_NS10device_ptrIlEEPlNS0_8identityIlEEEE10hipError_tT2_T3_mT4_P12ihipStream_tbEUlT_E_NS1_11comp_targetILNS1_3genE4ELNS1_11target_archE910ELNS1_3gpuE8ELNS1_3repE0EEENS1_30default_config_static_selectorELNS0_4arch9wavefront6targetE1EEEvT1_.private_seg_size, 0
	.set _ZN7rocprim17ROCPRIM_400000_NS6detail17trampoline_kernelINS0_14default_configENS1_25transform_config_selectorIlLb0EEEZNS1_14transform_implILb0ES3_S5_N6thrust23THRUST_200600_302600_NS10device_ptrIlEEPlNS0_8identityIlEEEE10hipError_tT2_T3_mT4_P12ihipStream_tbEUlT_E_NS1_11comp_targetILNS1_3genE4ELNS1_11target_archE910ELNS1_3gpuE8ELNS1_3repE0EEENS1_30default_config_static_selectorELNS0_4arch9wavefront6targetE1EEEvT1_.uses_vcc, 0
	.set _ZN7rocprim17ROCPRIM_400000_NS6detail17trampoline_kernelINS0_14default_configENS1_25transform_config_selectorIlLb0EEEZNS1_14transform_implILb0ES3_S5_N6thrust23THRUST_200600_302600_NS10device_ptrIlEEPlNS0_8identityIlEEEE10hipError_tT2_T3_mT4_P12ihipStream_tbEUlT_E_NS1_11comp_targetILNS1_3genE4ELNS1_11target_archE910ELNS1_3gpuE8ELNS1_3repE0EEENS1_30default_config_static_selectorELNS0_4arch9wavefront6targetE1EEEvT1_.uses_flat_scratch, 0
	.set _ZN7rocprim17ROCPRIM_400000_NS6detail17trampoline_kernelINS0_14default_configENS1_25transform_config_selectorIlLb0EEEZNS1_14transform_implILb0ES3_S5_N6thrust23THRUST_200600_302600_NS10device_ptrIlEEPlNS0_8identityIlEEEE10hipError_tT2_T3_mT4_P12ihipStream_tbEUlT_E_NS1_11comp_targetILNS1_3genE4ELNS1_11target_archE910ELNS1_3gpuE8ELNS1_3repE0EEENS1_30default_config_static_selectorELNS0_4arch9wavefront6targetE1EEEvT1_.has_dyn_sized_stack, 0
	.set _ZN7rocprim17ROCPRIM_400000_NS6detail17trampoline_kernelINS0_14default_configENS1_25transform_config_selectorIlLb0EEEZNS1_14transform_implILb0ES3_S5_N6thrust23THRUST_200600_302600_NS10device_ptrIlEEPlNS0_8identityIlEEEE10hipError_tT2_T3_mT4_P12ihipStream_tbEUlT_E_NS1_11comp_targetILNS1_3genE4ELNS1_11target_archE910ELNS1_3gpuE8ELNS1_3repE0EEENS1_30default_config_static_selectorELNS0_4arch9wavefront6targetE1EEEvT1_.has_recursion, 0
	.set _ZN7rocprim17ROCPRIM_400000_NS6detail17trampoline_kernelINS0_14default_configENS1_25transform_config_selectorIlLb0EEEZNS1_14transform_implILb0ES3_S5_N6thrust23THRUST_200600_302600_NS10device_ptrIlEEPlNS0_8identityIlEEEE10hipError_tT2_T3_mT4_P12ihipStream_tbEUlT_E_NS1_11comp_targetILNS1_3genE4ELNS1_11target_archE910ELNS1_3gpuE8ELNS1_3repE0EEENS1_30default_config_static_selectorELNS0_4arch9wavefront6targetE1EEEvT1_.has_indirect_call, 0
	.section	.AMDGPU.csdata,"",@progbits
; Kernel info:
; codeLenInByte = 0
; TotalNumSgprs: 4
; NumVgprs: 0
; ScratchSize: 0
; MemoryBound: 0
; FloatMode: 240
; IeeeMode: 1
; LDSByteSize: 0 bytes/workgroup (compile time only)
; SGPRBlocks: 0
; VGPRBlocks: 0
; NumSGPRsForWavesPerEU: 4
; NumVGPRsForWavesPerEU: 1
; Occupancy: 10
; WaveLimiterHint : 0
; COMPUTE_PGM_RSRC2:SCRATCH_EN: 0
; COMPUTE_PGM_RSRC2:USER_SGPR: 6
; COMPUTE_PGM_RSRC2:TRAP_HANDLER: 0
; COMPUTE_PGM_RSRC2:TGID_X_EN: 1
; COMPUTE_PGM_RSRC2:TGID_Y_EN: 0
; COMPUTE_PGM_RSRC2:TGID_Z_EN: 0
; COMPUTE_PGM_RSRC2:TIDIG_COMP_CNT: 0
	.section	.text._ZN7rocprim17ROCPRIM_400000_NS6detail17trampoline_kernelINS0_14default_configENS1_25transform_config_selectorIlLb0EEEZNS1_14transform_implILb0ES3_S5_N6thrust23THRUST_200600_302600_NS10device_ptrIlEEPlNS0_8identityIlEEEE10hipError_tT2_T3_mT4_P12ihipStream_tbEUlT_E_NS1_11comp_targetILNS1_3genE3ELNS1_11target_archE908ELNS1_3gpuE7ELNS1_3repE0EEENS1_30default_config_static_selectorELNS0_4arch9wavefront6targetE1EEEvT1_,"axG",@progbits,_ZN7rocprim17ROCPRIM_400000_NS6detail17trampoline_kernelINS0_14default_configENS1_25transform_config_selectorIlLb0EEEZNS1_14transform_implILb0ES3_S5_N6thrust23THRUST_200600_302600_NS10device_ptrIlEEPlNS0_8identityIlEEEE10hipError_tT2_T3_mT4_P12ihipStream_tbEUlT_E_NS1_11comp_targetILNS1_3genE3ELNS1_11target_archE908ELNS1_3gpuE7ELNS1_3repE0EEENS1_30default_config_static_selectorELNS0_4arch9wavefront6targetE1EEEvT1_,comdat
	.protected	_ZN7rocprim17ROCPRIM_400000_NS6detail17trampoline_kernelINS0_14default_configENS1_25transform_config_selectorIlLb0EEEZNS1_14transform_implILb0ES3_S5_N6thrust23THRUST_200600_302600_NS10device_ptrIlEEPlNS0_8identityIlEEEE10hipError_tT2_T3_mT4_P12ihipStream_tbEUlT_E_NS1_11comp_targetILNS1_3genE3ELNS1_11target_archE908ELNS1_3gpuE7ELNS1_3repE0EEENS1_30default_config_static_selectorELNS0_4arch9wavefront6targetE1EEEvT1_ ; -- Begin function _ZN7rocprim17ROCPRIM_400000_NS6detail17trampoline_kernelINS0_14default_configENS1_25transform_config_selectorIlLb0EEEZNS1_14transform_implILb0ES3_S5_N6thrust23THRUST_200600_302600_NS10device_ptrIlEEPlNS0_8identityIlEEEE10hipError_tT2_T3_mT4_P12ihipStream_tbEUlT_E_NS1_11comp_targetILNS1_3genE3ELNS1_11target_archE908ELNS1_3gpuE7ELNS1_3repE0EEENS1_30default_config_static_selectorELNS0_4arch9wavefront6targetE1EEEvT1_
	.globl	_ZN7rocprim17ROCPRIM_400000_NS6detail17trampoline_kernelINS0_14default_configENS1_25transform_config_selectorIlLb0EEEZNS1_14transform_implILb0ES3_S5_N6thrust23THRUST_200600_302600_NS10device_ptrIlEEPlNS0_8identityIlEEEE10hipError_tT2_T3_mT4_P12ihipStream_tbEUlT_E_NS1_11comp_targetILNS1_3genE3ELNS1_11target_archE908ELNS1_3gpuE7ELNS1_3repE0EEENS1_30default_config_static_selectorELNS0_4arch9wavefront6targetE1EEEvT1_
	.p2align	8
	.type	_ZN7rocprim17ROCPRIM_400000_NS6detail17trampoline_kernelINS0_14default_configENS1_25transform_config_selectorIlLb0EEEZNS1_14transform_implILb0ES3_S5_N6thrust23THRUST_200600_302600_NS10device_ptrIlEEPlNS0_8identityIlEEEE10hipError_tT2_T3_mT4_P12ihipStream_tbEUlT_E_NS1_11comp_targetILNS1_3genE3ELNS1_11target_archE908ELNS1_3gpuE7ELNS1_3repE0EEENS1_30default_config_static_selectorELNS0_4arch9wavefront6targetE1EEEvT1_,@function
_ZN7rocprim17ROCPRIM_400000_NS6detail17trampoline_kernelINS0_14default_configENS1_25transform_config_selectorIlLb0EEEZNS1_14transform_implILb0ES3_S5_N6thrust23THRUST_200600_302600_NS10device_ptrIlEEPlNS0_8identityIlEEEE10hipError_tT2_T3_mT4_P12ihipStream_tbEUlT_E_NS1_11comp_targetILNS1_3genE3ELNS1_11target_archE908ELNS1_3gpuE7ELNS1_3repE0EEENS1_30default_config_static_selectorELNS0_4arch9wavefront6targetE1EEEvT1_: ; @_ZN7rocprim17ROCPRIM_400000_NS6detail17trampoline_kernelINS0_14default_configENS1_25transform_config_selectorIlLb0EEEZNS1_14transform_implILb0ES3_S5_N6thrust23THRUST_200600_302600_NS10device_ptrIlEEPlNS0_8identityIlEEEE10hipError_tT2_T3_mT4_P12ihipStream_tbEUlT_E_NS1_11comp_targetILNS1_3genE3ELNS1_11target_archE908ELNS1_3gpuE7ELNS1_3repE0EEENS1_30default_config_static_selectorELNS0_4arch9wavefront6targetE1EEEvT1_
; %bb.0:
	.section	.rodata,"a",@progbits
	.p2align	6, 0x0
	.amdhsa_kernel _ZN7rocprim17ROCPRIM_400000_NS6detail17trampoline_kernelINS0_14default_configENS1_25transform_config_selectorIlLb0EEEZNS1_14transform_implILb0ES3_S5_N6thrust23THRUST_200600_302600_NS10device_ptrIlEEPlNS0_8identityIlEEEE10hipError_tT2_T3_mT4_P12ihipStream_tbEUlT_E_NS1_11comp_targetILNS1_3genE3ELNS1_11target_archE908ELNS1_3gpuE7ELNS1_3repE0EEENS1_30default_config_static_selectorELNS0_4arch9wavefront6targetE1EEEvT1_
		.amdhsa_group_segment_fixed_size 0
		.amdhsa_private_segment_fixed_size 0
		.amdhsa_kernarg_size 40
		.amdhsa_user_sgpr_count 6
		.amdhsa_user_sgpr_private_segment_buffer 1
		.amdhsa_user_sgpr_dispatch_ptr 0
		.amdhsa_user_sgpr_queue_ptr 0
		.amdhsa_user_sgpr_kernarg_segment_ptr 1
		.amdhsa_user_sgpr_dispatch_id 0
		.amdhsa_user_sgpr_flat_scratch_init 0
		.amdhsa_user_sgpr_private_segment_size 0
		.amdhsa_uses_dynamic_stack 0
		.amdhsa_system_sgpr_private_segment_wavefront_offset 0
		.amdhsa_system_sgpr_workgroup_id_x 1
		.amdhsa_system_sgpr_workgroup_id_y 0
		.amdhsa_system_sgpr_workgroup_id_z 0
		.amdhsa_system_sgpr_workgroup_info 0
		.amdhsa_system_vgpr_workitem_id 0
		.amdhsa_next_free_vgpr 1
		.amdhsa_next_free_sgpr 0
		.amdhsa_reserve_vcc 0
		.amdhsa_reserve_flat_scratch 0
		.amdhsa_float_round_mode_32 0
		.amdhsa_float_round_mode_16_64 0
		.amdhsa_float_denorm_mode_32 3
		.amdhsa_float_denorm_mode_16_64 3
		.amdhsa_dx10_clamp 1
		.amdhsa_ieee_mode 1
		.amdhsa_fp16_overflow 0
		.amdhsa_exception_fp_ieee_invalid_op 0
		.amdhsa_exception_fp_denorm_src 0
		.amdhsa_exception_fp_ieee_div_zero 0
		.amdhsa_exception_fp_ieee_overflow 0
		.amdhsa_exception_fp_ieee_underflow 0
		.amdhsa_exception_fp_ieee_inexact 0
		.amdhsa_exception_int_div_zero 0
	.end_amdhsa_kernel
	.section	.text._ZN7rocprim17ROCPRIM_400000_NS6detail17trampoline_kernelINS0_14default_configENS1_25transform_config_selectorIlLb0EEEZNS1_14transform_implILb0ES3_S5_N6thrust23THRUST_200600_302600_NS10device_ptrIlEEPlNS0_8identityIlEEEE10hipError_tT2_T3_mT4_P12ihipStream_tbEUlT_E_NS1_11comp_targetILNS1_3genE3ELNS1_11target_archE908ELNS1_3gpuE7ELNS1_3repE0EEENS1_30default_config_static_selectorELNS0_4arch9wavefront6targetE1EEEvT1_,"axG",@progbits,_ZN7rocprim17ROCPRIM_400000_NS6detail17trampoline_kernelINS0_14default_configENS1_25transform_config_selectorIlLb0EEEZNS1_14transform_implILb0ES3_S5_N6thrust23THRUST_200600_302600_NS10device_ptrIlEEPlNS0_8identityIlEEEE10hipError_tT2_T3_mT4_P12ihipStream_tbEUlT_E_NS1_11comp_targetILNS1_3genE3ELNS1_11target_archE908ELNS1_3gpuE7ELNS1_3repE0EEENS1_30default_config_static_selectorELNS0_4arch9wavefront6targetE1EEEvT1_,comdat
.Lfunc_end258:
	.size	_ZN7rocprim17ROCPRIM_400000_NS6detail17trampoline_kernelINS0_14default_configENS1_25transform_config_selectorIlLb0EEEZNS1_14transform_implILb0ES3_S5_N6thrust23THRUST_200600_302600_NS10device_ptrIlEEPlNS0_8identityIlEEEE10hipError_tT2_T3_mT4_P12ihipStream_tbEUlT_E_NS1_11comp_targetILNS1_3genE3ELNS1_11target_archE908ELNS1_3gpuE7ELNS1_3repE0EEENS1_30default_config_static_selectorELNS0_4arch9wavefront6targetE1EEEvT1_, .Lfunc_end258-_ZN7rocprim17ROCPRIM_400000_NS6detail17trampoline_kernelINS0_14default_configENS1_25transform_config_selectorIlLb0EEEZNS1_14transform_implILb0ES3_S5_N6thrust23THRUST_200600_302600_NS10device_ptrIlEEPlNS0_8identityIlEEEE10hipError_tT2_T3_mT4_P12ihipStream_tbEUlT_E_NS1_11comp_targetILNS1_3genE3ELNS1_11target_archE908ELNS1_3gpuE7ELNS1_3repE0EEENS1_30default_config_static_selectorELNS0_4arch9wavefront6targetE1EEEvT1_
                                        ; -- End function
	.set _ZN7rocprim17ROCPRIM_400000_NS6detail17trampoline_kernelINS0_14default_configENS1_25transform_config_selectorIlLb0EEEZNS1_14transform_implILb0ES3_S5_N6thrust23THRUST_200600_302600_NS10device_ptrIlEEPlNS0_8identityIlEEEE10hipError_tT2_T3_mT4_P12ihipStream_tbEUlT_E_NS1_11comp_targetILNS1_3genE3ELNS1_11target_archE908ELNS1_3gpuE7ELNS1_3repE0EEENS1_30default_config_static_selectorELNS0_4arch9wavefront6targetE1EEEvT1_.num_vgpr, 0
	.set _ZN7rocprim17ROCPRIM_400000_NS6detail17trampoline_kernelINS0_14default_configENS1_25transform_config_selectorIlLb0EEEZNS1_14transform_implILb0ES3_S5_N6thrust23THRUST_200600_302600_NS10device_ptrIlEEPlNS0_8identityIlEEEE10hipError_tT2_T3_mT4_P12ihipStream_tbEUlT_E_NS1_11comp_targetILNS1_3genE3ELNS1_11target_archE908ELNS1_3gpuE7ELNS1_3repE0EEENS1_30default_config_static_selectorELNS0_4arch9wavefront6targetE1EEEvT1_.num_agpr, 0
	.set _ZN7rocprim17ROCPRIM_400000_NS6detail17trampoline_kernelINS0_14default_configENS1_25transform_config_selectorIlLb0EEEZNS1_14transform_implILb0ES3_S5_N6thrust23THRUST_200600_302600_NS10device_ptrIlEEPlNS0_8identityIlEEEE10hipError_tT2_T3_mT4_P12ihipStream_tbEUlT_E_NS1_11comp_targetILNS1_3genE3ELNS1_11target_archE908ELNS1_3gpuE7ELNS1_3repE0EEENS1_30default_config_static_selectorELNS0_4arch9wavefront6targetE1EEEvT1_.numbered_sgpr, 0
	.set _ZN7rocprim17ROCPRIM_400000_NS6detail17trampoline_kernelINS0_14default_configENS1_25transform_config_selectorIlLb0EEEZNS1_14transform_implILb0ES3_S5_N6thrust23THRUST_200600_302600_NS10device_ptrIlEEPlNS0_8identityIlEEEE10hipError_tT2_T3_mT4_P12ihipStream_tbEUlT_E_NS1_11comp_targetILNS1_3genE3ELNS1_11target_archE908ELNS1_3gpuE7ELNS1_3repE0EEENS1_30default_config_static_selectorELNS0_4arch9wavefront6targetE1EEEvT1_.num_named_barrier, 0
	.set _ZN7rocprim17ROCPRIM_400000_NS6detail17trampoline_kernelINS0_14default_configENS1_25transform_config_selectorIlLb0EEEZNS1_14transform_implILb0ES3_S5_N6thrust23THRUST_200600_302600_NS10device_ptrIlEEPlNS0_8identityIlEEEE10hipError_tT2_T3_mT4_P12ihipStream_tbEUlT_E_NS1_11comp_targetILNS1_3genE3ELNS1_11target_archE908ELNS1_3gpuE7ELNS1_3repE0EEENS1_30default_config_static_selectorELNS0_4arch9wavefront6targetE1EEEvT1_.private_seg_size, 0
	.set _ZN7rocprim17ROCPRIM_400000_NS6detail17trampoline_kernelINS0_14default_configENS1_25transform_config_selectorIlLb0EEEZNS1_14transform_implILb0ES3_S5_N6thrust23THRUST_200600_302600_NS10device_ptrIlEEPlNS0_8identityIlEEEE10hipError_tT2_T3_mT4_P12ihipStream_tbEUlT_E_NS1_11comp_targetILNS1_3genE3ELNS1_11target_archE908ELNS1_3gpuE7ELNS1_3repE0EEENS1_30default_config_static_selectorELNS0_4arch9wavefront6targetE1EEEvT1_.uses_vcc, 0
	.set _ZN7rocprim17ROCPRIM_400000_NS6detail17trampoline_kernelINS0_14default_configENS1_25transform_config_selectorIlLb0EEEZNS1_14transform_implILb0ES3_S5_N6thrust23THRUST_200600_302600_NS10device_ptrIlEEPlNS0_8identityIlEEEE10hipError_tT2_T3_mT4_P12ihipStream_tbEUlT_E_NS1_11comp_targetILNS1_3genE3ELNS1_11target_archE908ELNS1_3gpuE7ELNS1_3repE0EEENS1_30default_config_static_selectorELNS0_4arch9wavefront6targetE1EEEvT1_.uses_flat_scratch, 0
	.set _ZN7rocprim17ROCPRIM_400000_NS6detail17trampoline_kernelINS0_14default_configENS1_25transform_config_selectorIlLb0EEEZNS1_14transform_implILb0ES3_S5_N6thrust23THRUST_200600_302600_NS10device_ptrIlEEPlNS0_8identityIlEEEE10hipError_tT2_T3_mT4_P12ihipStream_tbEUlT_E_NS1_11comp_targetILNS1_3genE3ELNS1_11target_archE908ELNS1_3gpuE7ELNS1_3repE0EEENS1_30default_config_static_selectorELNS0_4arch9wavefront6targetE1EEEvT1_.has_dyn_sized_stack, 0
	.set _ZN7rocprim17ROCPRIM_400000_NS6detail17trampoline_kernelINS0_14default_configENS1_25transform_config_selectorIlLb0EEEZNS1_14transform_implILb0ES3_S5_N6thrust23THRUST_200600_302600_NS10device_ptrIlEEPlNS0_8identityIlEEEE10hipError_tT2_T3_mT4_P12ihipStream_tbEUlT_E_NS1_11comp_targetILNS1_3genE3ELNS1_11target_archE908ELNS1_3gpuE7ELNS1_3repE0EEENS1_30default_config_static_selectorELNS0_4arch9wavefront6targetE1EEEvT1_.has_recursion, 0
	.set _ZN7rocprim17ROCPRIM_400000_NS6detail17trampoline_kernelINS0_14default_configENS1_25transform_config_selectorIlLb0EEEZNS1_14transform_implILb0ES3_S5_N6thrust23THRUST_200600_302600_NS10device_ptrIlEEPlNS0_8identityIlEEEE10hipError_tT2_T3_mT4_P12ihipStream_tbEUlT_E_NS1_11comp_targetILNS1_3genE3ELNS1_11target_archE908ELNS1_3gpuE7ELNS1_3repE0EEENS1_30default_config_static_selectorELNS0_4arch9wavefront6targetE1EEEvT1_.has_indirect_call, 0
	.section	.AMDGPU.csdata,"",@progbits
; Kernel info:
; codeLenInByte = 0
; TotalNumSgprs: 4
; NumVgprs: 0
; ScratchSize: 0
; MemoryBound: 0
; FloatMode: 240
; IeeeMode: 1
; LDSByteSize: 0 bytes/workgroup (compile time only)
; SGPRBlocks: 0
; VGPRBlocks: 0
; NumSGPRsForWavesPerEU: 4
; NumVGPRsForWavesPerEU: 1
; Occupancy: 10
; WaveLimiterHint : 0
; COMPUTE_PGM_RSRC2:SCRATCH_EN: 0
; COMPUTE_PGM_RSRC2:USER_SGPR: 6
; COMPUTE_PGM_RSRC2:TRAP_HANDLER: 0
; COMPUTE_PGM_RSRC2:TGID_X_EN: 1
; COMPUTE_PGM_RSRC2:TGID_Y_EN: 0
; COMPUTE_PGM_RSRC2:TGID_Z_EN: 0
; COMPUTE_PGM_RSRC2:TIDIG_COMP_CNT: 0
	.section	.text._ZN7rocprim17ROCPRIM_400000_NS6detail17trampoline_kernelINS0_14default_configENS1_25transform_config_selectorIlLb0EEEZNS1_14transform_implILb0ES3_S5_N6thrust23THRUST_200600_302600_NS10device_ptrIlEEPlNS0_8identityIlEEEE10hipError_tT2_T3_mT4_P12ihipStream_tbEUlT_E_NS1_11comp_targetILNS1_3genE2ELNS1_11target_archE906ELNS1_3gpuE6ELNS1_3repE0EEENS1_30default_config_static_selectorELNS0_4arch9wavefront6targetE1EEEvT1_,"axG",@progbits,_ZN7rocprim17ROCPRIM_400000_NS6detail17trampoline_kernelINS0_14default_configENS1_25transform_config_selectorIlLb0EEEZNS1_14transform_implILb0ES3_S5_N6thrust23THRUST_200600_302600_NS10device_ptrIlEEPlNS0_8identityIlEEEE10hipError_tT2_T3_mT4_P12ihipStream_tbEUlT_E_NS1_11comp_targetILNS1_3genE2ELNS1_11target_archE906ELNS1_3gpuE6ELNS1_3repE0EEENS1_30default_config_static_selectorELNS0_4arch9wavefront6targetE1EEEvT1_,comdat
	.protected	_ZN7rocprim17ROCPRIM_400000_NS6detail17trampoline_kernelINS0_14default_configENS1_25transform_config_selectorIlLb0EEEZNS1_14transform_implILb0ES3_S5_N6thrust23THRUST_200600_302600_NS10device_ptrIlEEPlNS0_8identityIlEEEE10hipError_tT2_T3_mT4_P12ihipStream_tbEUlT_E_NS1_11comp_targetILNS1_3genE2ELNS1_11target_archE906ELNS1_3gpuE6ELNS1_3repE0EEENS1_30default_config_static_selectorELNS0_4arch9wavefront6targetE1EEEvT1_ ; -- Begin function _ZN7rocprim17ROCPRIM_400000_NS6detail17trampoline_kernelINS0_14default_configENS1_25transform_config_selectorIlLb0EEEZNS1_14transform_implILb0ES3_S5_N6thrust23THRUST_200600_302600_NS10device_ptrIlEEPlNS0_8identityIlEEEE10hipError_tT2_T3_mT4_P12ihipStream_tbEUlT_E_NS1_11comp_targetILNS1_3genE2ELNS1_11target_archE906ELNS1_3gpuE6ELNS1_3repE0EEENS1_30default_config_static_selectorELNS0_4arch9wavefront6targetE1EEEvT1_
	.globl	_ZN7rocprim17ROCPRIM_400000_NS6detail17trampoline_kernelINS0_14default_configENS1_25transform_config_selectorIlLb0EEEZNS1_14transform_implILb0ES3_S5_N6thrust23THRUST_200600_302600_NS10device_ptrIlEEPlNS0_8identityIlEEEE10hipError_tT2_T3_mT4_P12ihipStream_tbEUlT_E_NS1_11comp_targetILNS1_3genE2ELNS1_11target_archE906ELNS1_3gpuE6ELNS1_3repE0EEENS1_30default_config_static_selectorELNS0_4arch9wavefront6targetE1EEEvT1_
	.p2align	8
	.type	_ZN7rocprim17ROCPRIM_400000_NS6detail17trampoline_kernelINS0_14default_configENS1_25transform_config_selectorIlLb0EEEZNS1_14transform_implILb0ES3_S5_N6thrust23THRUST_200600_302600_NS10device_ptrIlEEPlNS0_8identityIlEEEE10hipError_tT2_T3_mT4_P12ihipStream_tbEUlT_E_NS1_11comp_targetILNS1_3genE2ELNS1_11target_archE906ELNS1_3gpuE6ELNS1_3repE0EEENS1_30default_config_static_selectorELNS0_4arch9wavefront6targetE1EEEvT1_,@function
_ZN7rocprim17ROCPRIM_400000_NS6detail17trampoline_kernelINS0_14default_configENS1_25transform_config_selectorIlLb0EEEZNS1_14transform_implILb0ES3_S5_N6thrust23THRUST_200600_302600_NS10device_ptrIlEEPlNS0_8identityIlEEEE10hipError_tT2_T3_mT4_P12ihipStream_tbEUlT_E_NS1_11comp_targetILNS1_3genE2ELNS1_11target_archE906ELNS1_3gpuE6ELNS1_3repE0EEENS1_30default_config_static_selectorELNS0_4arch9wavefront6targetE1EEEvT1_: ; @_ZN7rocprim17ROCPRIM_400000_NS6detail17trampoline_kernelINS0_14default_configENS1_25transform_config_selectorIlLb0EEEZNS1_14transform_implILb0ES3_S5_N6thrust23THRUST_200600_302600_NS10device_ptrIlEEPlNS0_8identityIlEEEE10hipError_tT2_T3_mT4_P12ihipStream_tbEUlT_E_NS1_11comp_targetILNS1_3genE2ELNS1_11target_archE906ELNS1_3gpuE6ELNS1_3repE0EEENS1_30default_config_static_selectorELNS0_4arch9wavefront6targetE1EEEvT1_
; %bb.0:
	s_load_dword s1, s[4:5], 0x28
	s_load_dword s7, s[4:5], 0x10
	s_lshl_b32 s0, s6, 9
	s_waitcnt lgkmcnt(0)
	s_add_i32 s1, s1, -1
	s_cmp_lg_u32 s6, s1
	s_cselect_b64 s[2:3], -1, 0
	s_sub_i32 s1, s7, s0
	v_cmp_gt_u32_e32 vcc, s1, v0
	s_or_b64 s[2:3], vcc, s[2:3]
	s_and_saveexec_b64 s[6:7], s[2:3]
	s_cbranch_execz .LBB259_2
; %bb.1:
	s_load_dwordx4 s[8:11], s[4:5], 0x0
	s_load_dwordx2 s[2:3], s[4:5], 0x18
	s_mov_b32 s1, 0
	v_lshlrev_b32_e32 v2, 3, v0
	s_waitcnt lgkmcnt(0)
	s_lshl_b64 s[4:5], s[10:11], 3
	s_add_u32 s6, s8, s4
	s_addc_u32 s7, s9, s5
	s_lshl_b64 s[0:1], s[0:1], 3
	s_add_u32 s6, s6, s0
	s_addc_u32 s7, s7, s1
	v_mov_b32_e32 v1, s7
	v_add_co_u32_e32 v0, vcc, s6, v2
	v_addc_co_u32_e32 v1, vcc, 0, v1, vcc
	flat_load_dwordx2 v[0:1], v[0:1]
	s_add_u32 s2, s2, s4
	s_addc_u32 s3, s3, s5
	s_add_u32 s0, s2, s0
	s_addc_u32 s1, s3, s1
	s_waitcnt vmcnt(0) lgkmcnt(0)
	global_store_dwordx2 v2, v[0:1], s[0:1]
.LBB259_2:
	s_endpgm
	.section	.rodata,"a",@progbits
	.p2align	6, 0x0
	.amdhsa_kernel _ZN7rocprim17ROCPRIM_400000_NS6detail17trampoline_kernelINS0_14default_configENS1_25transform_config_selectorIlLb0EEEZNS1_14transform_implILb0ES3_S5_N6thrust23THRUST_200600_302600_NS10device_ptrIlEEPlNS0_8identityIlEEEE10hipError_tT2_T3_mT4_P12ihipStream_tbEUlT_E_NS1_11comp_targetILNS1_3genE2ELNS1_11target_archE906ELNS1_3gpuE6ELNS1_3repE0EEENS1_30default_config_static_selectorELNS0_4arch9wavefront6targetE1EEEvT1_
		.amdhsa_group_segment_fixed_size 0
		.amdhsa_private_segment_fixed_size 0
		.amdhsa_kernarg_size 296
		.amdhsa_user_sgpr_count 6
		.amdhsa_user_sgpr_private_segment_buffer 1
		.amdhsa_user_sgpr_dispatch_ptr 0
		.amdhsa_user_sgpr_queue_ptr 0
		.amdhsa_user_sgpr_kernarg_segment_ptr 1
		.amdhsa_user_sgpr_dispatch_id 0
		.amdhsa_user_sgpr_flat_scratch_init 0
		.amdhsa_user_sgpr_private_segment_size 0
		.amdhsa_uses_dynamic_stack 0
		.amdhsa_system_sgpr_private_segment_wavefront_offset 0
		.amdhsa_system_sgpr_workgroup_id_x 1
		.amdhsa_system_sgpr_workgroup_id_y 0
		.amdhsa_system_sgpr_workgroup_id_z 0
		.amdhsa_system_sgpr_workgroup_info 0
		.amdhsa_system_vgpr_workitem_id 0
		.amdhsa_next_free_vgpr 3
		.amdhsa_next_free_sgpr 12
		.amdhsa_reserve_vcc 1
		.amdhsa_reserve_flat_scratch 0
		.amdhsa_float_round_mode_32 0
		.amdhsa_float_round_mode_16_64 0
		.amdhsa_float_denorm_mode_32 3
		.amdhsa_float_denorm_mode_16_64 3
		.amdhsa_dx10_clamp 1
		.amdhsa_ieee_mode 1
		.amdhsa_fp16_overflow 0
		.amdhsa_exception_fp_ieee_invalid_op 0
		.amdhsa_exception_fp_denorm_src 0
		.amdhsa_exception_fp_ieee_div_zero 0
		.amdhsa_exception_fp_ieee_overflow 0
		.amdhsa_exception_fp_ieee_underflow 0
		.amdhsa_exception_fp_ieee_inexact 0
		.amdhsa_exception_int_div_zero 0
	.end_amdhsa_kernel
	.section	.text._ZN7rocprim17ROCPRIM_400000_NS6detail17trampoline_kernelINS0_14default_configENS1_25transform_config_selectorIlLb0EEEZNS1_14transform_implILb0ES3_S5_N6thrust23THRUST_200600_302600_NS10device_ptrIlEEPlNS0_8identityIlEEEE10hipError_tT2_T3_mT4_P12ihipStream_tbEUlT_E_NS1_11comp_targetILNS1_3genE2ELNS1_11target_archE906ELNS1_3gpuE6ELNS1_3repE0EEENS1_30default_config_static_selectorELNS0_4arch9wavefront6targetE1EEEvT1_,"axG",@progbits,_ZN7rocprim17ROCPRIM_400000_NS6detail17trampoline_kernelINS0_14default_configENS1_25transform_config_selectorIlLb0EEEZNS1_14transform_implILb0ES3_S5_N6thrust23THRUST_200600_302600_NS10device_ptrIlEEPlNS0_8identityIlEEEE10hipError_tT2_T3_mT4_P12ihipStream_tbEUlT_E_NS1_11comp_targetILNS1_3genE2ELNS1_11target_archE906ELNS1_3gpuE6ELNS1_3repE0EEENS1_30default_config_static_selectorELNS0_4arch9wavefront6targetE1EEEvT1_,comdat
.Lfunc_end259:
	.size	_ZN7rocprim17ROCPRIM_400000_NS6detail17trampoline_kernelINS0_14default_configENS1_25transform_config_selectorIlLb0EEEZNS1_14transform_implILb0ES3_S5_N6thrust23THRUST_200600_302600_NS10device_ptrIlEEPlNS0_8identityIlEEEE10hipError_tT2_T3_mT4_P12ihipStream_tbEUlT_E_NS1_11comp_targetILNS1_3genE2ELNS1_11target_archE906ELNS1_3gpuE6ELNS1_3repE0EEENS1_30default_config_static_selectorELNS0_4arch9wavefront6targetE1EEEvT1_, .Lfunc_end259-_ZN7rocprim17ROCPRIM_400000_NS6detail17trampoline_kernelINS0_14default_configENS1_25transform_config_selectorIlLb0EEEZNS1_14transform_implILb0ES3_S5_N6thrust23THRUST_200600_302600_NS10device_ptrIlEEPlNS0_8identityIlEEEE10hipError_tT2_T3_mT4_P12ihipStream_tbEUlT_E_NS1_11comp_targetILNS1_3genE2ELNS1_11target_archE906ELNS1_3gpuE6ELNS1_3repE0EEENS1_30default_config_static_selectorELNS0_4arch9wavefront6targetE1EEEvT1_
                                        ; -- End function
	.set _ZN7rocprim17ROCPRIM_400000_NS6detail17trampoline_kernelINS0_14default_configENS1_25transform_config_selectorIlLb0EEEZNS1_14transform_implILb0ES3_S5_N6thrust23THRUST_200600_302600_NS10device_ptrIlEEPlNS0_8identityIlEEEE10hipError_tT2_T3_mT4_P12ihipStream_tbEUlT_E_NS1_11comp_targetILNS1_3genE2ELNS1_11target_archE906ELNS1_3gpuE6ELNS1_3repE0EEENS1_30default_config_static_selectorELNS0_4arch9wavefront6targetE1EEEvT1_.num_vgpr, 3
	.set _ZN7rocprim17ROCPRIM_400000_NS6detail17trampoline_kernelINS0_14default_configENS1_25transform_config_selectorIlLb0EEEZNS1_14transform_implILb0ES3_S5_N6thrust23THRUST_200600_302600_NS10device_ptrIlEEPlNS0_8identityIlEEEE10hipError_tT2_T3_mT4_P12ihipStream_tbEUlT_E_NS1_11comp_targetILNS1_3genE2ELNS1_11target_archE906ELNS1_3gpuE6ELNS1_3repE0EEENS1_30default_config_static_selectorELNS0_4arch9wavefront6targetE1EEEvT1_.num_agpr, 0
	.set _ZN7rocprim17ROCPRIM_400000_NS6detail17trampoline_kernelINS0_14default_configENS1_25transform_config_selectorIlLb0EEEZNS1_14transform_implILb0ES3_S5_N6thrust23THRUST_200600_302600_NS10device_ptrIlEEPlNS0_8identityIlEEEE10hipError_tT2_T3_mT4_P12ihipStream_tbEUlT_E_NS1_11comp_targetILNS1_3genE2ELNS1_11target_archE906ELNS1_3gpuE6ELNS1_3repE0EEENS1_30default_config_static_selectorELNS0_4arch9wavefront6targetE1EEEvT1_.numbered_sgpr, 12
	.set _ZN7rocprim17ROCPRIM_400000_NS6detail17trampoline_kernelINS0_14default_configENS1_25transform_config_selectorIlLb0EEEZNS1_14transform_implILb0ES3_S5_N6thrust23THRUST_200600_302600_NS10device_ptrIlEEPlNS0_8identityIlEEEE10hipError_tT2_T3_mT4_P12ihipStream_tbEUlT_E_NS1_11comp_targetILNS1_3genE2ELNS1_11target_archE906ELNS1_3gpuE6ELNS1_3repE0EEENS1_30default_config_static_selectorELNS0_4arch9wavefront6targetE1EEEvT1_.num_named_barrier, 0
	.set _ZN7rocprim17ROCPRIM_400000_NS6detail17trampoline_kernelINS0_14default_configENS1_25transform_config_selectorIlLb0EEEZNS1_14transform_implILb0ES3_S5_N6thrust23THRUST_200600_302600_NS10device_ptrIlEEPlNS0_8identityIlEEEE10hipError_tT2_T3_mT4_P12ihipStream_tbEUlT_E_NS1_11comp_targetILNS1_3genE2ELNS1_11target_archE906ELNS1_3gpuE6ELNS1_3repE0EEENS1_30default_config_static_selectorELNS0_4arch9wavefront6targetE1EEEvT1_.private_seg_size, 0
	.set _ZN7rocprim17ROCPRIM_400000_NS6detail17trampoline_kernelINS0_14default_configENS1_25transform_config_selectorIlLb0EEEZNS1_14transform_implILb0ES3_S5_N6thrust23THRUST_200600_302600_NS10device_ptrIlEEPlNS0_8identityIlEEEE10hipError_tT2_T3_mT4_P12ihipStream_tbEUlT_E_NS1_11comp_targetILNS1_3genE2ELNS1_11target_archE906ELNS1_3gpuE6ELNS1_3repE0EEENS1_30default_config_static_selectorELNS0_4arch9wavefront6targetE1EEEvT1_.uses_vcc, 1
	.set _ZN7rocprim17ROCPRIM_400000_NS6detail17trampoline_kernelINS0_14default_configENS1_25transform_config_selectorIlLb0EEEZNS1_14transform_implILb0ES3_S5_N6thrust23THRUST_200600_302600_NS10device_ptrIlEEPlNS0_8identityIlEEEE10hipError_tT2_T3_mT4_P12ihipStream_tbEUlT_E_NS1_11comp_targetILNS1_3genE2ELNS1_11target_archE906ELNS1_3gpuE6ELNS1_3repE0EEENS1_30default_config_static_selectorELNS0_4arch9wavefront6targetE1EEEvT1_.uses_flat_scratch, 0
	.set _ZN7rocprim17ROCPRIM_400000_NS6detail17trampoline_kernelINS0_14default_configENS1_25transform_config_selectorIlLb0EEEZNS1_14transform_implILb0ES3_S5_N6thrust23THRUST_200600_302600_NS10device_ptrIlEEPlNS0_8identityIlEEEE10hipError_tT2_T3_mT4_P12ihipStream_tbEUlT_E_NS1_11comp_targetILNS1_3genE2ELNS1_11target_archE906ELNS1_3gpuE6ELNS1_3repE0EEENS1_30default_config_static_selectorELNS0_4arch9wavefront6targetE1EEEvT1_.has_dyn_sized_stack, 0
	.set _ZN7rocprim17ROCPRIM_400000_NS6detail17trampoline_kernelINS0_14default_configENS1_25transform_config_selectorIlLb0EEEZNS1_14transform_implILb0ES3_S5_N6thrust23THRUST_200600_302600_NS10device_ptrIlEEPlNS0_8identityIlEEEE10hipError_tT2_T3_mT4_P12ihipStream_tbEUlT_E_NS1_11comp_targetILNS1_3genE2ELNS1_11target_archE906ELNS1_3gpuE6ELNS1_3repE0EEENS1_30default_config_static_selectorELNS0_4arch9wavefront6targetE1EEEvT1_.has_recursion, 0
	.set _ZN7rocprim17ROCPRIM_400000_NS6detail17trampoline_kernelINS0_14default_configENS1_25transform_config_selectorIlLb0EEEZNS1_14transform_implILb0ES3_S5_N6thrust23THRUST_200600_302600_NS10device_ptrIlEEPlNS0_8identityIlEEEE10hipError_tT2_T3_mT4_P12ihipStream_tbEUlT_E_NS1_11comp_targetILNS1_3genE2ELNS1_11target_archE906ELNS1_3gpuE6ELNS1_3repE0EEENS1_30default_config_static_selectorELNS0_4arch9wavefront6targetE1EEEvT1_.has_indirect_call, 0
	.section	.AMDGPU.csdata,"",@progbits
; Kernel info:
; codeLenInByte = 160
; TotalNumSgprs: 16
; NumVgprs: 3
; ScratchSize: 0
; MemoryBound: 0
; FloatMode: 240
; IeeeMode: 1
; LDSByteSize: 0 bytes/workgroup (compile time only)
; SGPRBlocks: 1
; VGPRBlocks: 0
; NumSGPRsForWavesPerEU: 16
; NumVGPRsForWavesPerEU: 3
; Occupancy: 10
; WaveLimiterHint : 0
; COMPUTE_PGM_RSRC2:SCRATCH_EN: 0
; COMPUTE_PGM_RSRC2:USER_SGPR: 6
; COMPUTE_PGM_RSRC2:TRAP_HANDLER: 0
; COMPUTE_PGM_RSRC2:TGID_X_EN: 1
; COMPUTE_PGM_RSRC2:TGID_Y_EN: 0
; COMPUTE_PGM_RSRC2:TGID_Z_EN: 0
; COMPUTE_PGM_RSRC2:TIDIG_COMP_CNT: 0
	.section	.text._ZN7rocprim17ROCPRIM_400000_NS6detail17trampoline_kernelINS0_14default_configENS1_25transform_config_selectorIlLb0EEEZNS1_14transform_implILb0ES3_S5_N6thrust23THRUST_200600_302600_NS10device_ptrIlEEPlNS0_8identityIlEEEE10hipError_tT2_T3_mT4_P12ihipStream_tbEUlT_E_NS1_11comp_targetILNS1_3genE10ELNS1_11target_archE1201ELNS1_3gpuE5ELNS1_3repE0EEENS1_30default_config_static_selectorELNS0_4arch9wavefront6targetE1EEEvT1_,"axG",@progbits,_ZN7rocprim17ROCPRIM_400000_NS6detail17trampoline_kernelINS0_14default_configENS1_25transform_config_selectorIlLb0EEEZNS1_14transform_implILb0ES3_S5_N6thrust23THRUST_200600_302600_NS10device_ptrIlEEPlNS0_8identityIlEEEE10hipError_tT2_T3_mT4_P12ihipStream_tbEUlT_E_NS1_11comp_targetILNS1_3genE10ELNS1_11target_archE1201ELNS1_3gpuE5ELNS1_3repE0EEENS1_30default_config_static_selectorELNS0_4arch9wavefront6targetE1EEEvT1_,comdat
	.protected	_ZN7rocprim17ROCPRIM_400000_NS6detail17trampoline_kernelINS0_14default_configENS1_25transform_config_selectorIlLb0EEEZNS1_14transform_implILb0ES3_S5_N6thrust23THRUST_200600_302600_NS10device_ptrIlEEPlNS0_8identityIlEEEE10hipError_tT2_T3_mT4_P12ihipStream_tbEUlT_E_NS1_11comp_targetILNS1_3genE10ELNS1_11target_archE1201ELNS1_3gpuE5ELNS1_3repE0EEENS1_30default_config_static_selectorELNS0_4arch9wavefront6targetE1EEEvT1_ ; -- Begin function _ZN7rocprim17ROCPRIM_400000_NS6detail17trampoline_kernelINS0_14default_configENS1_25transform_config_selectorIlLb0EEEZNS1_14transform_implILb0ES3_S5_N6thrust23THRUST_200600_302600_NS10device_ptrIlEEPlNS0_8identityIlEEEE10hipError_tT2_T3_mT4_P12ihipStream_tbEUlT_E_NS1_11comp_targetILNS1_3genE10ELNS1_11target_archE1201ELNS1_3gpuE5ELNS1_3repE0EEENS1_30default_config_static_selectorELNS0_4arch9wavefront6targetE1EEEvT1_
	.globl	_ZN7rocprim17ROCPRIM_400000_NS6detail17trampoline_kernelINS0_14default_configENS1_25transform_config_selectorIlLb0EEEZNS1_14transform_implILb0ES3_S5_N6thrust23THRUST_200600_302600_NS10device_ptrIlEEPlNS0_8identityIlEEEE10hipError_tT2_T3_mT4_P12ihipStream_tbEUlT_E_NS1_11comp_targetILNS1_3genE10ELNS1_11target_archE1201ELNS1_3gpuE5ELNS1_3repE0EEENS1_30default_config_static_selectorELNS0_4arch9wavefront6targetE1EEEvT1_
	.p2align	8
	.type	_ZN7rocprim17ROCPRIM_400000_NS6detail17trampoline_kernelINS0_14default_configENS1_25transform_config_selectorIlLb0EEEZNS1_14transform_implILb0ES3_S5_N6thrust23THRUST_200600_302600_NS10device_ptrIlEEPlNS0_8identityIlEEEE10hipError_tT2_T3_mT4_P12ihipStream_tbEUlT_E_NS1_11comp_targetILNS1_3genE10ELNS1_11target_archE1201ELNS1_3gpuE5ELNS1_3repE0EEENS1_30default_config_static_selectorELNS0_4arch9wavefront6targetE1EEEvT1_,@function
_ZN7rocprim17ROCPRIM_400000_NS6detail17trampoline_kernelINS0_14default_configENS1_25transform_config_selectorIlLb0EEEZNS1_14transform_implILb0ES3_S5_N6thrust23THRUST_200600_302600_NS10device_ptrIlEEPlNS0_8identityIlEEEE10hipError_tT2_T3_mT4_P12ihipStream_tbEUlT_E_NS1_11comp_targetILNS1_3genE10ELNS1_11target_archE1201ELNS1_3gpuE5ELNS1_3repE0EEENS1_30default_config_static_selectorELNS0_4arch9wavefront6targetE1EEEvT1_: ; @_ZN7rocprim17ROCPRIM_400000_NS6detail17trampoline_kernelINS0_14default_configENS1_25transform_config_selectorIlLb0EEEZNS1_14transform_implILb0ES3_S5_N6thrust23THRUST_200600_302600_NS10device_ptrIlEEPlNS0_8identityIlEEEE10hipError_tT2_T3_mT4_P12ihipStream_tbEUlT_E_NS1_11comp_targetILNS1_3genE10ELNS1_11target_archE1201ELNS1_3gpuE5ELNS1_3repE0EEENS1_30default_config_static_selectorELNS0_4arch9wavefront6targetE1EEEvT1_
; %bb.0:
	.section	.rodata,"a",@progbits
	.p2align	6, 0x0
	.amdhsa_kernel _ZN7rocprim17ROCPRIM_400000_NS6detail17trampoline_kernelINS0_14default_configENS1_25transform_config_selectorIlLb0EEEZNS1_14transform_implILb0ES3_S5_N6thrust23THRUST_200600_302600_NS10device_ptrIlEEPlNS0_8identityIlEEEE10hipError_tT2_T3_mT4_P12ihipStream_tbEUlT_E_NS1_11comp_targetILNS1_3genE10ELNS1_11target_archE1201ELNS1_3gpuE5ELNS1_3repE0EEENS1_30default_config_static_selectorELNS0_4arch9wavefront6targetE1EEEvT1_
		.amdhsa_group_segment_fixed_size 0
		.amdhsa_private_segment_fixed_size 0
		.amdhsa_kernarg_size 40
		.amdhsa_user_sgpr_count 6
		.amdhsa_user_sgpr_private_segment_buffer 1
		.amdhsa_user_sgpr_dispatch_ptr 0
		.amdhsa_user_sgpr_queue_ptr 0
		.amdhsa_user_sgpr_kernarg_segment_ptr 1
		.amdhsa_user_sgpr_dispatch_id 0
		.amdhsa_user_sgpr_flat_scratch_init 0
		.amdhsa_user_sgpr_private_segment_size 0
		.amdhsa_uses_dynamic_stack 0
		.amdhsa_system_sgpr_private_segment_wavefront_offset 0
		.amdhsa_system_sgpr_workgroup_id_x 1
		.amdhsa_system_sgpr_workgroup_id_y 0
		.amdhsa_system_sgpr_workgroup_id_z 0
		.amdhsa_system_sgpr_workgroup_info 0
		.amdhsa_system_vgpr_workitem_id 0
		.amdhsa_next_free_vgpr 1
		.amdhsa_next_free_sgpr 0
		.amdhsa_reserve_vcc 0
		.amdhsa_reserve_flat_scratch 0
		.amdhsa_float_round_mode_32 0
		.amdhsa_float_round_mode_16_64 0
		.amdhsa_float_denorm_mode_32 3
		.amdhsa_float_denorm_mode_16_64 3
		.amdhsa_dx10_clamp 1
		.amdhsa_ieee_mode 1
		.amdhsa_fp16_overflow 0
		.amdhsa_exception_fp_ieee_invalid_op 0
		.amdhsa_exception_fp_denorm_src 0
		.amdhsa_exception_fp_ieee_div_zero 0
		.amdhsa_exception_fp_ieee_overflow 0
		.amdhsa_exception_fp_ieee_underflow 0
		.amdhsa_exception_fp_ieee_inexact 0
		.amdhsa_exception_int_div_zero 0
	.end_amdhsa_kernel
	.section	.text._ZN7rocprim17ROCPRIM_400000_NS6detail17trampoline_kernelINS0_14default_configENS1_25transform_config_selectorIlLb0EEEZNS1_14transform_implILb0ES3_S5_N6thrust23THRUST_200600_302600_NS10device_ptrIlEEPlNS0_8identityIlEEEE10hipError_tT2_T3_mT4_P12ihipStream_tbEUlT_E_NS1_11comp_targetILNS1_3genE10ELNS1_11target_archE1201ELNS1_3gpuE5ELNS1_3repE0EEENS1_30default_config_static_selectorELNS0_4arch9wavefront6targetE1EEEvT1_,"axG",@progbits,_ZN7rocprim17ROCPRIM_400000_NS6detail17trampoline_kernelINS0_14default_configENS1_25transform_config_selectorIlLb0EEEZNS1_14transform_implILb0ES3_S5_N6thrust23THRUST_200600_302600_NS10device_ptrIlEEPlNS0_8identityIlEEEE10hipError_tT2_T3_mT4_P12ihipStream_tbEUlT_E_NS1_11comp_targetILNS1_3genE10ELNS1_11target_archE1201ELNS1_3gpuE5ELNS1_3repE0EEENS1_30default_config_static_selectorELNS0_4arch9wavefront6targetE1EEEvT1_,comdat
.Lfunc_end260:
	.size	_ZN7rocprim17ROCPRIM_400000_NS6detail17trampoline_kernelINS0_14default_configENS1_25transform_config_selectorIlLb0EEEZNS1_14transform_implILb0ES3_S5_N6thrust23THRUST_200600_302600_NS10device_ptrIlEEPlNS0_8identityIlEEEE10hipError_tT2_T3_mT4_P12ihipStream_tbEUlT_E_NS1_11comp_targetILNS1_3genE10ELNS1_11target_archE1201ELNS1_3gpuE5ELNS1_3repE0EEENS1_30default_config_static_selectorELNS0_4arch9wavefront6targetE1EEEvT1_, .Lfunc_end260-_ZN7rocprim17ROCPRIM_400000_NS6detail17trampoline_kernelINS0_14default_configENS1_25transform_config_selectorIlLb0EEEZNS1_14transform_implILb0ES3_S5_N6thrust23THRUST_200600_302600_NS10device_ptrIlEEPlNS0_8identityIlEEEE10hipError_tT2_T3_mT4_P12ihipStream_tbEUlT_E_NS1_11comp_targetILNS1_3genE10ELNS1_11target_archE1201ELNS1_3gpuE5ELNS1_3repE0EEENS1_30default_config_static_selectorELNS0_4arch9wavefront6targetE1EEEvT1_
                                        ; -- End function
	.set _ZN7rocprim17ROCPRIM_400000_NS6detail17trampoline_kernelINS0_14default_configENS1_25transform_config_selectorIlLb0EEEZNS1_14transform_implILb0ES3_S5_N6thrust23THRUST_200600_302600_NS10device_ptrIlEEPlNS0_8identityIlEEEE10hipError_tT2_T3_mT4_P12ihipStream_tbEUlT_E_NS1_11comp_targetILNS1_3genE10ELNS1_11target_archE1201ELNS1_3gpuE5ELNS1_3repE0EEENS1_30default_config_static_selectorELNS0_4arch9wavefront6targetE1EEEvT1_.num_vgpr, 0
	.set _ZN7rocprim17ROCPRIM_400000_NS6detail17trampoline_kernelINS0_14default_configENS1_25transform_config_selectorIlLb0EEEZNS1_14transform_implILb0ES3_S5_N6thrust23THRUST_200600_302600_NS10device_ptrIlEEPlNS0_8identityIlEEEE10hipError_tT2_T3_mT4_P12ihipStream_tbEUlT_E_NS1_11comp_targetILNS1_3genE10ELNS1_11target_archE1201ELNS1_3gpuE5ELNS1_3repE0EEENS1_30default_config_static_selectorELNS0_4arch9wavefront6targetE1EEEvT1_.num_agpr, 0
	.set _ZN7rocprim17ROCPRIM_400000_NS6detail17trampoline_kernelINS0_14default_configENS1_25transform_config_selectorIlLb0EEEZNS1_14transform_implILb0ES3_S5_N6thrust23THRUST_200600_302600_NS10device_ptrIlEEPlNS0_8identityIlEEEE10hipError_tT2_T3_mT4_P12ihipStream_tbEUlT_E_NS1_11comp_targetILNS1_3genE10ELNS1_11target_archE1201ELNS1_3gpuE5ELNS1_3repE0EEENS1_30default_config_static_selectorELNS0_4arch9wavefront6targetE1EEEvT1_.numbered_sgpr, 0
	.set _ZN7rocprim17ROCPRIM_400000_NS6detail17trampoline_kernelINS0_14default_configENS1_25transform_config_selectorIlLb0EEEZNS1_14transform_implILb0ES3_S5_N6thrust23THRUST_200600_302600_NS10device_ptrIlEEPlNS0_8identityIlEEEE10hipError_tT2_T3_mT4_P12ihipStream_tbEUlT_E_NS1_11comp_targetILNS1_3genE10ELNS1_11target_archE1201ELNS1_3gpuE5ELNS1_3repE0EEENS1_30default_config_static_selectorELNS0_4arch9wavefront6targetE1EEEvT1_.num_named_barrier, 0
	.set _ZN7rocprim17ROCPRIM_400000_NS6detail17trampoline_kernelINS0_14default_configENS1_25transform_config_selectorIlLb0EEEZNS1_14transform_implILb0ES3_S5_N6thrust23THRUST_200600_302600_NS10device_ptrIlEEPlNS0_8identityIlEEEE10hipError_tT2_T3_mT4_P12ihipStream_tbEUlT_E_NS1_11comp_targetILNS1_3genE10ELNS1_11target_archE1201ELNS1_3gpuE5ELNS1_3repE0EEENS1_30default_config_static_selectorELNS0_4arch9wavefront6targetE1EEEvT1_.private_seg_size, 0
	.set _ZN7rocprim17ROCPRIM_400000_NS6detail17trampoline_kernelINS0_14default_configENS1_25transform_config_selectorIlLb0EEEZNS1_14transform_implILb0ES3_S5_N6thrust23THRUST_200600_302600_NS10device_ptrIlEEPlNS0_8identityIlEEEE10hipError_tT2_T3_mT4_P12ihipStream_tbEUlT_E_NS1_11comp_targetILNS1_3genE10ELNS1_11target_archE1201ELNS1_3gpuE5ELNS1_3repE0EEENS1_30default_config_static_selectorELNS0_4arch9wavefront6targetE1EEEvT1_.uses_vcc, 0
	.set _ZN7rocprim17ROCPRIM_400000_NS6detail17trampoline_kernelINS0_14default_configENS1_25transform_config_selectorIlLb0EEEZNS1_14transform_implILb0ES3_S5_N6thrust23THRUST_200600_302600_NS10device_ptrIlEEPlNS0_8identityIlEEEE10hipError_tT2_T3_mT4_P12ihipStream_tbEUlT_E_NS1_11comp_targetILNS1_3genE10ELNS1_11target_archE1201ELNS1_3gpuE5ELNS1_3repE0EEENS1_30default_config_static_selectorELNS0_4arch9wavefront6targetE1EEEvT1_.uses_flat_scratch, 0
	.set _ZN7rocprim17ROCPRIM_400000_NS6detail17trampoline_kernelINS0_14default_configENS1_25transform_config_selectorIlLb0EEEZNS1_14transform_implILb0ES3_S5_N6thrust23THRUST_200600_302600_NS10device_ptrIlEEPlNS0_8identityIlEEEE10hipError_tT2_T3_mT4_P12ihipStream_tbEUlT_E_NS1_11comp_targetILNS1_3genE10ELNS1_11target_archE1201ELNS1_3gpuE5ELNS1_3repE0EEENS1_30default_config_static_selectorELNS0_4arch9wavefront6targetE1EEEvT1_.has_dyn_sized_stack, 0
	.set _ZN7rocprim17ROCPRIM_400000_NS6detail17trampoline_kernelINS0_14default_configENS1_25transform_config_selectorIlLb0EEEZNS1_14transform_implILb0ES3_S5_N6thrust23THRUST_200600_302600_NS10device_ptrIlEEPlNS0_8identityIlEEEE10hipError_tT2_T3_mT4_P12ihipStream_tbEUlT_E_NS1_11comp_targetILNS1_3genE10ELNS1_11target_archE1201ELNS1_3gpuE5ELNS1_3repE0EEENS1_30default_config_static_selectorELNS0_4arch9wavefront6targetE1EEEvT1_.has_recursion, 0
	.set _ZN7rocprim17ROCPRIM_400000_NS6detail17trampoline_kernelINS0_14default_configENS1_25transform_config_selectorIlLb0EEEZNS1_14transform_implILb0ES3_S5_N6thrust23THRUST_200600_302600_NS10device_ptrIlEEPlNS0_8identityIlEEEE10hipError_tT2_T3_mT4_P12ihipStream_tbEUlT_E_NS1_11comp_targetILNS1_3genE10ELNS1_11target_archE1201ELNS1_3gpuE5ELNS1_3repE0EEENS1_30default_config_static_selectorELNS0_4arch9wavefront6targetE1EEEvT1_.has_indirect_call, 0
	.section	.AMDGPU.csdata,"",@progbits
; Kernel info:
; codeLenInByte = 0
; TotalNumSgprs: 4
; NumVgprs: 0
; ScratchSize: 0
; MemoryBound: 0
; FloatMode: 240
; IeeeMode: 1
; LDSByteSize: 0 bytes/workgroup (compile time only)
; SGPRBlocks: 0
; VGPRBlocks: 0
; NumSGPRsForWavesPerEU: 4
; NumVGPRsForWavesPerEU: 1
; Occupancy: 10
; WaveLimiterHint : 0
; COMPUTE_PGM_RSRC2:SCRATCH_EN: 0
; COMPUTE_PGM_RSRC2:USER_SGPR: 6
; COMPUTE_PGM_RSRC2:TRAP_HANDLER: 0
; COMPUTE_PGM_RSRC2:TGID_X_EN: 1
; COMPUTE_PGM_RSRC2:TGID_Y_EN: 0
; COMPUTE_PGM_RSRC2:TGID_Z_EN: 0
; COMPUTE_PGM_RSRC2:TIDIG_COMP_CNT: 0
	.section	.text._ZN7rocprim17ROCPRIM_400000_NS6detail17trampoline_kernelINS0_14default_configENS1_25transform_config_selectorIlLb0EEEZNS1_14transform_implILb0ES3_S5_N6thrust23THRUST_200600_302600_NS10device_ptrIlEEPlNS0_8identityIlEEEE10hipError_tT2_T3_mT4_P12ihipStream_tbEUlT_E_NS1_11comp_targetILNS1_3genE10ELNS1_11target_archE1200ELNS1_3gpuE4ELNS1_3repE0EEENS1_30default_config_static_selectorELNS0_4arch9wavefront6targetE1EEEvT1_,"axG",@progbits,_ZN7rocprim17ROCPRIM_400000_NS6detail17trampoline_kernelINS0_14default_configENS1_25transform_config_selectorIlLb0EEEZNS1_14transform_implILb0ES3_S5_N6thrust23THRUST_200600_302600_NS10device_ptrIlEEPlNS0_8identityIlEEEE10hipError_tT2_T3_mT4_P12ihipStream_tbEUlT_E_NS1_11comp_targetILNS1_3genE10ELNS1_11target_archE1200ELNS1_3gpuE4ELNS1_3repE0EEENS1_30default_config_static_selectorELNS0_4arch9wavefront6targetE1EEEvT1_,comdat
	.protected	_ZN7rocprim17ROCPRIM_400000_NS6detail17trampoline_kernelINS0_14default_configENS1_25transform_config_selectorIlLb0EEEZNS1_14transform_implILb0ES3_S5_N6thrust23THRUST_200600_302600_NS10device_ptrIlEEPlNS0_8identityIlEEEE10hipError_tT2_T3_mT4_P12ihipStream_tbEUlT_E_NS1_11comp_targetILNS1_3genE10ELNS1_11target_archE1200ELNS1_3gpuE4ELNS1_3repE0EEENS1_30default_config_static_selectorELNS0_4arch9wavefront6targetE1EEEvT1_ ; -- Begin function _ZN7rocprim17ROCPRIM_400000_NS6detail17trampoline_kernelINS0_14default_configENS1_25transform_config_selectorIlLb0EEEZNS1_14transform_implILb0ES3_S5_N6thrust23THRUST_200600_302600_NS10device_ptrIlEEPlNS0_8identityIlEEEE10hipError_tT2_T3_mT4_P12ihipStream_tbEUlT_E_NS1_11comp_targetILNS1_3genE10ELNS1_11target_archE1200ELNS1_3gpuE4ELNS1_3repE0EEENS1_30default_config_static_selectorELNS0_4arch9wavefront6targetE1EEEvT1_
	.globl	_ZN7rocprim17ROCPRIM_400000_NS6detail17trampoline_kernelINS0_14default_configENS1_25transform_config_selectorIlLb0EEEZNS1_14transform_implILb0ES3_S5_N6thrust23THRUST_200600_302600_NS10device_ptrIlEEPlNS0_8identityIlEEEE10hipError_tT2_T3_mT4_P12ihipStream_tbEUlT_E_NS1_11comp_targetILNS1_3genE10ELNS1_11target_archE1200ELNS1_3gpuE4ELNS1_3repE0EEENS1_30default_config_static_selectorELNS0_4arch9wavefront6targetE1EEEvT1_
	.p2align	8
	.type	_ZN7rocprim17ROCPRIM_400000_NS6detail17trampoline_kernelINS0_14default_configENS1_25transform_config_selectorIlLb0EEEZNS1_14transform_implILb0ES3_S5_N6thrust23THRUST_200600_302600_NS10device_ptrIlEEPlNS0_8identityIlEEEE10hipError_tT2_T3_mT4_P12ihipStream_tbEUlT_E_NS1_11comp_targetILNS1_3genE10ELNS1_11target_archE1200ELNS1_3gpuE4ELNS1_3repE0EEENS1_30default_config_static_selectorELNS0_4arch9wavefront6targetE1EEEvT1_,@function
_ZN7rocprim17ROCPRIM_400000_NS6detail17trampoline_kernelINS0_14default_configENS1_25transform_config_selectorIlLb0EEEZNS1_14transform_implILb0ES3_S5_N6thrust23THRUST_200600_302600_NS10device_ptrIlEEPlNS0_8identityIlEEEE10hipError_tT2_T3_mT4_P12ihipStream_tbEUlT_E_NS1_11comp_targetILNS1_3genE10ELNS1_11target_archE1200ELNS1_3gpuE4ELNS1_3repE0EEENS1_30default_config_static_selectorELNS0_4arch9wavefront6targetE1EEEvT1_: ; @_ZN7rocprim17ROCPRIM_400000_NS6detail17trampoline_kernelINS0_14default_configENS1_25transform_config_selectorIlLb0EEEZNS1_14transform_implILb0ES3_S5_N6thrust23THRUST_200600_302600_NS10device_ptrIlEEPlNS0_8identityIlEEEE10hipError_tT2_T3_mT4_P12ihipStream_tbEUlT_E_NS1_11comp_targetILNS1_3genE10ELNS1_11target_archE1200ELNS1_3gpuE4ELNS1_3repE0EEENS1_30default_config_static_selectorELNS0_4arch9wavefront6targetE1EEEvT1_
; %bb.0:
	.section	.rodata,"a",@progbits
	.p2align	6, 0x0
	.amdhsa_kernel _ZN7rocprim17ROCPRIM_400000_NS6detail17trampoline_kernelINS0_14default_configENS1_25transform_config_selectorIlLb0EEEZNS1_14transform_implILb0ES3_S5_N6thrust23THRUST_200600_302600_NS10device_ptrIlEEPlNS0_8identityIlEEEE10hipError_tT2_T3_mT4_P12ihipStream_tbEUlT_E_NS1_11comp_targetILNS1_3genE10ELNS1_11target_archE1200ELNS1_3gpuE4ELNS1_3repE0EEENS1_30default_config_static_selectorELNS0_4arch9wavefront6targetE1EEEvT1_
		.amdhsa_group_segment_fixed_size 0
		.amdhsa_private_segment_fixed_size 0
		.amdhsa_kernarg_size 40
		.amdhsa_user_sgpr_count 6
		.amdhsa_user_sgpr_private_segment_buffer 1
		.amdhsa_user_sgpr_dispatch_ptr 0
		.amdhsa_user_sgpr_queue_ptr 0
		.amdhsa_user_sgpr_kernarg_segment_ptr 1
		.amdhsa_user_sgpr_dispatch_id 0
		.amdhsa_user_sgpr_flat_scratch_init 0
		.amdhsa_user_sgpr_private_segment_size 0
		.amdhsa_uses_dynamic_stack 0
		.amdhsa_system_sgpr_private_segment_wavefront_offset 0
		.amdhsa_system_sgpr_workgroup_id_x 1
		.amdhsa_system_sgpr_workgroup_id_y 0
		.amdhsa_system_sgpr_workgroup_id_z 0
		.amdhsa_system_sgpr_workgroup_info 0
		.amdhsa_system_vgpr_workitem_id 0
		.amdhsa_next_free_vgpr 1
		.amdhsa_next_free_sgpr 0
		.amdhsa_reserve_vcc 0
		.amdhsa_reserve_flat_scratch 0
		.amdhsa_float_round_mode_32 0
		.amdhsa_float_round_mode_16_64 0
		.amdhsa_float_denorm_mode_32 3
		.amdhsa_float_denorm_mode_16_64 3
		.amdhsa_dx10_clamp 1
		.amdhsa_ieee_mode 1
		.amdhsa_fp16_overflow 0
		.amdhsa_exception_fp_ieee_invalid_op 0
		.amdhsa_exception_fp_denorm_src 0
		.amdhsa_exception_fp_ieee_div_zero 0
		.amdhsa_exception_fp_ieee_overflow 0
		.amdhsa_exception_fp_ieee_underflow 0
		.amdhsa_exception_fp_ieee_inexact 0
		.amdhsa_exception_int_div_zero 0
	.end_amdhsa_kernel
	.section	.text._ZN7rocprim17ROCPRIM_400000_NS6detail17trampoline_kernelINS0_14default_configENS1_25transform_config_selectorIlLb0EEEZNS1_14transform_implILb0ES3_S5_N6thrust23THRUST_200600_302600_NS10device_ptrIlEEPlNS0_8identityIlEEEE10hipError_tT2_T3_mT4_P12ihipStream_tbEUlT_E_NS1_11comp_targetILNS1_3genE10ELNS1_11target_archE1200ELNS1_3gpuE4ELNS1_3repE0EEENS1_30default_config_static_selectorELNS0_4arch9wavefront6targetE1EEEvT1_,"axG",@progbits,_ZN7rocprim17ROCPRIM_400000_NS6detail17trampoline_kernelINS0_14default_configENS1_25transform_config_selectorIlLb0EEEZNS1_14transform_implILb0ES3_S5_N6thrust23THRUST_200600_302600_NS10device_ptrIlEEPlNS0_8identityIlEEEE10hipError_tT2_T3_mT4_P12ihipStream_tbEUlT_E_NS1_11comp_targetILNS1_3genE10ELNS1_11target_archE1200ELNS1_3gpuE4ELNS1_3repE0EEENS1_30default_config_static_selectorELNS0_4arch9wavefront6targetE1EEEvT1_,comdat
.Lfunc_end261:
	.size	_ZN7rocprim17ROCPRIM_400000_NS6detail17trampoline_kernelINS0_14default_configENS1_25transform_config_selectorIlLb0EEEZNS1_14transform_implILb0ES3_S5_N6thrust23THRUST_200600_302600_NS10device_ptrIlEEPlNS0_8identityIlEEEE10hipError_tT2_T3_mT4_P12ihipStream_tbEUlT_E_NS1_11comp_targetILNS1_3genE10ELNS1_11target_archE1200ELNS1_3gpuE4ELNS1_3repE0EEENS1_30default_config_static_selectorELNS0_4arch9wavefront6targetE1EEEvT1_, .Lfunc_end261-_ZN7rocprim17ROCPRIM_400000_NS6detail17trampoline_kernelINS0_14default_configENS1_25transform_config_selectorIlLb0EEEZNS1_14transform_implILb0ES3_S5_N6thrust23THRUST_200600_302600_NS10device_ptrIlEEPlNS0_8identityIlEEEE10hipError_tT2_T3_mT4_P12ihipStream_tbEUlT_E_NS1_11comp_targetILNS1_3genE10ELNS1_11target_archE1200ELNS1_3gpuE4ELNS1_3repE0EEENS1_30default_config_static_selectorELNS0_4arch9wavefront6targetE1EEEvT1_
                                        ; -- End function
	.set _ZN7rocprim17ROCPRIM_400000_NS6detail17trampoline_kernelINS0_14default_configENS1_25transform_config_selectorIlLb0EEEZNS1_14transform_implILb0ES3_S5_N6thrust23THRUST_200600_302600_NS10device_ptrIlEEPlNS0_8identityIlEEEE10hipError_tT2_T3_mT4_P12ihipStream_tbEUlT_E_NS1_11comp_targetILNS1_3genE10ELNS1_11target_archE1200ELNS1_3gpuE4ELNS1_3repE0EEENS1_30default_config_static_selectorELNS0_4arch9wavefront6targetE1EEEvT1_.num_vgpr, 0
	.set _ZN7rocprim17ROCPRIM_400000_NS6detail17trampoline_kernelINS0_14default_configENS1_25transform_config_selectorIlLb0EEEZNS1_14transform_implILb0ES3_S5_N6thrust23THRUST_200600_302600_NS10device_ptrIlEEPlNS0_8identityIlEEEE10hipError_tT2_T3_mT4_P12ihipStream_tbEUlT_E_NS1_11comp_targetILNS1_3genE10ELNS1_11target_archE1200ELNS1_3gpuE4ELNS1_3repE0EEENS1_30default_config_static_selectorELNS0_4arch9wavefront6targetE1EEEvT1_.num_agpr, 0
	.set _ZN7rocprim17ROCPRIM_400000_NS6detail17trampoline_kernelINS0_14default_configENS1_25transform_config_selectorIlLb0EEEZNS1_14transform_implILb0ES3_S5_N6thrust23THRUST_200600_302600_NS10device_ptrIlEEPlNS0_8identityIlEEEE10hipError_tT2_T3_mT4_P12ihipStream_tbEUlT_E_NS1_11comp_targetILNS1_3genE10ELNS1_11target_archE1200ELNS1_3gpuE4ELNS1_3repE0EEENS1_30default_config_static_selectorELNS0_4arch9wavefront6targetE1EEEvT1_.numbered_sgpr, 0
	.set _ZN7rocprim17ROCPRIM_400000_NS6detail17trampoline_kernelINS0_14default_configENS1_25transform_config_selectorIlLb0EEEZNS1_14transform_implILb0ES3_S5_N6thrust23THRUST_200600_302600_NS10device_ptrIlEEPlNS0_8identityIlEEEE10hipError_tT2_T3_mT4_P12ihipStream_tbEUlT_E_NS1_11comp_targetILNS1_3genE10ELNS1_11target_archE1200ELNS1_3gpuE4ELNS1_3repE0EEENS1_30default_config_static_selectorELNS0_4arch9wavefront6targetE1EEEvT1_.num_named_barrier, 0
	.set _ZN7rocprim17ROCPRIM_400000_NS6detail17trampoline_kernelINS0_14default_configENS1_25transform_config_selectorIlLb0EEEZNS1_14transform_implILb0ES3_S5_N6thrust23THRUST_200600_302600_NS10device_ptrIlEEPlNS0_8identityIlEEEE10hipError_tT2_T3_mT4_P12ihipStream_tbEUlT_E_NS1_11comp_targetILNS1_3genE10ELNS1_11target_archE1200ELNS1_3gpuE4ELNS1_3repE0EEENS1_30default_config_static_selectorELNS0_4arch9wavefront6targetE1EEEvT1_.private_seg_size, 0
	.set _ZN7rocprim17ROCPRIM_400000_NS6detail17trampoline_kernelINS0_14default_configENS1_25transform_config_selectorIlLb0EEEZNS1_14transform_implILb0ES3_S5_N6thrust23THRUST_200600_302600_NS10device_ptrIlEEPlNS0_8identityIlEEEE10hipError_tT2_T3_mT4_P12ihipStream_tbEUlT_E_NS1_11comp_targetILNS1_3genE10ELNS1_11target_archE1200ELNS1_3gpuE4ELNS1_3repE0EEENS1_30default_config_static_selectorELNS0_4arch9wavefront6targetE1EEEvT1_.uses_vcc, 0
	.set _ZN7rocprim17ROCPRIM_400000_NS6detail17trampoline_kernelINS0_14default_configENS1_25transform_config_selectorIlLb0EEEZNS1_14transform_implILb0ES3_S5_N6thrust23THRUST_200600_302600_NS10device_ptrIlEEPlNS0_8identityIlEEEE10hipError_tT2_T3_mT4_P12ihipStream_tbEUlT_E_NS1_11comp_targetILNS1_3genE10ELNS1_11target_archE1200ELNS1_3gpuE4ELNS1_3repE0EEENS1_30default_config_static_selectorELNS0_4arch9wavefront6targetE1EEEvT1_.uses_flat_scratch, 0
	.set _ZN7rocprim17ROCPRIM_400000_NS6detail17trampoline_kernelINS0_14default_configENS1_25transform_config_selectorIlLb0EEEZNS1_14transform_implILb0ES3_S5_N6thrust23THRUST_200600_302600_NS10device_ptrIlEEPlNS0_8identityIlEEEE10hipError_tT2_T3_mT4_P12ihipStream_tbEUlT_E_NS1_11comp_targetILNS1_3genE10ELNS1_11target_archE1200ELNS1_3gpuE4ELNS1_3repE0EEENS1_30default_config_static_selectorELNS0_4arch9wavefront6targetE1EEEvT1_.has_dyn_sized_stack, 0
	.set _ZN7rocprim17ROCPRIM_400000_NS6detail17trampoline_kernelINS0_14default_configENS1_25transform_config_selectorIlLb0EEEZNS1_14transform_implILb0ES3_S5_N6thrust23THRUST_200600_302600_NS10device_ptrIlEEPlNS0_8identityIlEEEE10hipError_tT2_T3_mT4_P12ihipStream_tbEUlT_E_NS1_11comp_targetILNS1_3genE10ELNS1_11target_archE1200ELNS1_3gpuE4ELNS1_3repE0EEENS1_30default_config_static_selectorELNS0_4arch9wavefront6targetE1EEEvT1_.has_recursion, 0
	.set _ZN7rocprim17ROCPRIM_400000_NS6detail17trampoline_kernelINS0_14default_configENS1_25transform_config_selectorIlLb0EEEZNS1_14transform_implILb0ES3_S5_N6thrust23THRUST_200600_302600_NS10device_ptrIlEEPlNS0_8identityIlEEEE10hipError_tT2_T3_mT4_P12ihipStream_tbEUlT_E_NS1_11comp_targetILNS1_3genE10ELNS1_11target_archE1200ELNS1_3gpuE4ELNS1_3repE0EEENS1_30default_config_static_selectorELNS0_4arch9wavefront6targetE1EEEvT1_.has_indirect_call, 0
	.section	.AMDGPU.csdata,"",@progbits
; Kernel info:
; codeLenInByte = 0
; TotalNumSgprs: 4
; NumVgprs: 0
; ScratchSize: 0
; MemoryBound: 0
; FloatMode: 240
; IeeeMode: 1
; LDSByteSize: 0 bytes/workgroup (compile time only)
; SGPRBlocks: 0
; VGPRBlocks: 0
; NumSGPRsForWavesPerEU: 4
; NumVGPRsForWavesPerEU: 1
; Occupancy: 10
; WaveLimiterHint : 0
; COMPUTE_PGM_RSRC2:SCRATCH_EN: 0
; COMPUTE_PGM_RSRC2:USER_SGPR: 6
; COMPUTE_PGM_RSRC2:TRAP_HANDLER: 0
; COMPUTE_PGM_RSRC2:TGID_X_EN: 1
; COMPUTE_PGM_RSRC2:TGID_Y_EN: 0
; COMPUTE_PGM_RSRC2:TGID_Z_EN: 0
; COMPUTE_PGM_RSRC2:TIDIG_COMP_CNT: 0
	.section	.text._ZN7rocprim17ROCPRIM_400000_NS6detail17trampoline_kernelINS0_14default_configENS1_25transform_config_selectorIlLb0EEEZNS1_14transform_implILb0ES3_S5_N6thrust23THRUST_200600_302600_NS10device_ptrIlEEPlNS0_8identityIlEEEE10hipError_tT2_T3_mT4_P12ihipStream_tbEUlT_E_NS1_11comp_targetILNS1_3genE9ELNS1_11target_archE1100ELNS1_3gpuE3ELNS1_3repE0EEENS1_30default_config_static_selectorELNS0_4arch9wavefront6targetE1EEEvT1_,"axG",@progbits,_ZN7rocprim17ROCPRIM_400000_NS6detail17trampoline_kernelINS0_14default_configENS1_25transform_config_selectorIlLb0EEEZNS1_14transform_implILb0ES3_S5_N6thrust23THRUST_200600_302600_NS10device_ptrIlEEPlNS0_8identityIlEEEE10hipError_tT2_T3_mT4_P12ihipStream_tbEUlT_E_NS1_11comp_targetILNS1_3genE9ELNS1_11target_archE1100ELNS1_3gpuE3ELNS1_3repE0EEENS1_30default_config_static_selectorELNS0_4arch9wavefront6targetE1EEEvT1_,comdat
	.protected	_ZN7rocprim17ROCPRIM_400000_NS6detail17trampoline_kernelINS0_14default_configENS1_25transform_config_selectorIlLb0EEEZNS1_14transform_implILb0ES3_S5_N6thrust23THRUST_200600_302600_NS10device_ptrIlEEPlNS0_8identityIlEEEE10hipError_tT2_T3_mT4_P12ihipStream_tbEUlT_E_NS1_11comp_targetILNS1_3genE9ELNS1_11target_archE1100ELNS1_3gpuE3ELNS1_3repE0EEENS1_30default_config_static_selectorELNS0_4arch9wavefront6targetE1EEEvT1_ ; -- Begin function _ZN7rocprim17ROCPRIM_400000_NS6detail17trampoline_kernelINS0_14default_configENS1_25transform_config_selectorIlLb0EEEZNS1_14transform_implILb0ES3_S5_N6thrust23THRUST_200600_302600_NS10device_ptrIlEEPlNS0_8identityIlEEEE10hipError_tT2_T3_mT4_P12ihipStream_tbEUlT_E_NS1_11comp_targetILNS1_3genE9ELNS1_11target_archE1100ELNS1_3gpuE3ELNS1_3repE0EEENS1_30default_config_static_selectorELNS0_4arch9wavefront6targetE1EEEvT1_
	.globl	_ZN7rocprim17ROCPRIM_400000_NS6detail17trampoline_kernelINS0_14default_configENS1_25transform_config_selectorIlLb0EEEZNS1_14transform_implILb0ES3_S5_N6thrust23THRUST_200600_302600_NS10device_ptrIlEEPlNS0_8identityIlEEEE10hipError_tT2_T3_mT4_P12ihipStream_tbEUlT_E_NS1_11comp_targetILNS1_3genE9ELNS1_11target_archE1100ELNS1_3gpuE3ELNS1_3repE0EEENS1_30default_config_static_selectorELNS0_4arch9wavefront6targetE1EEEvT1_
	.p2align	8
	.type	_ZN7rocprim17ROCPRIM_400000_NS6detail17trampoline_kernelINS0_14default_configENS1_25transform_config_selectorIlLb0EEEZNS1_14transform_implILb0ES3_S5_N6thrust23THRUST_200600_302600_NS10device_ptrIlEEPlNS0_8identityIlEEEE10hipError_tT2_T3_mT4_P12ihipStream_tbEUlT_E_NS1_11comp_targetILNS1_3genE9ELNS1_11target_archE1100ELNS1_3gpuE3ELNS1_3repE0EEENS1_30default_config_static_selectorELNS0_4arch9wavefront6targetE1EEEvT1_,@function
_ZN7rocprim17ROCPRIM_400000_NS6detail17trampoline_kernelINS0_14default_configENS1_25transform_config_selectorIlLb0EEEZNS1_14transform_implILb0ES3_S5_N6thrust23THRUST_200600_302600_NS10device_ptrIlEEPlNS0_8identityIlEEEE10hipError_tT2_T3_mT4_P12ihipStream_tbEUlT_E_NS1_11comp_targetILNS1_3genE9ELNS1_11target_archE1100ELNS1_3gpuE3ELNS1_3repE0EEENS1_30default_config_static_selectorELNS0_4arch9wavefront6targetE1EEEvT1_: ; @_ZN7rocprim17ROCPRIM_400000_NS6detail17trampoline_kernelINS0_14default_configENS1_25transform_config_selectorIlLb0EEEZNS1_14transform_implILb0ES3_S5_N6thrust23THRUST_200600_302600_NS10device_ptrIlEEPlNS0_8identityIlEEEE10hipError_tT2_T3_mT4_P12ihipStream_tbEUlT_E_NS1_11comp_targetILNS1_3genE9ELNS1_11target_archE1100ELNS1_3gpuE3ELNS1_3repE0EEENS1_30default_config_static_selectorELNS0_4arch9wavefront6targetE1EEEvT1_
; %bb.0:
	.section	.rodata,"a",@progbits
	.p2align	6, 0x0
	.amdhsa_kernel _ZN7rocprim17ROCPRIM_400000_NS6detail17trampoline_kernelINS0_14default_configENS1_25transform_config_selectorIlLb0EEEZNS1_14transform_implILb0ES3_S5_N6thrust23THRUST_200600_302600_NS10device_ptrIlEEPlNS0_8identityIlEEEE10hipError_tT2_T3_mT4_P12ihipStream_tbEUlT_E_NS1_11comp_targetILNS1_3genE9ELNS1_11target_archE1100ELNS1_3gpuE3ELNS1_3repE0EEENS1_30default_config_static_selectorELNS0_4arch9wavefront6targetE1EEEvT1_
		.amdhsa_group_segment_fixed_size 0
		.amdhsa_private_segment_fixed_size 0
		.amdhsa_kernarg_size 40
		.amdhsa_user_sgpr_count 6
		.amdhsa_user_sgpr_private_segment_buffer 1
		.amdhsa_user_sgpr_dispatch_ptr 0
		.amdhsa_user_sgpr_queue_ptr 0
		.amdhsa_user_sgpr_kernarg_segment_ptr 1
		.amdhsa_user_sgpr_dispatch_id 0
		.amdhsa_user_sgpr_flat_scratch_init 0
		.amdhsa_user_sgpr_private_segment_size 0
		.amdhsa_uses_dynamic_stack 0
		.amdhsa_system_sgpr_private_segment_wavefront_offset 0
		.amdhsa_system_sgpr_workgroup_id_x 1
		.amdhsa_system_sgpr_workgroup_id_y 0
		.amdhsa_system_sgpr_workgroup_id_z 0
		.amdhsa_system_sgpr_workgroup_info 0
		.amdhsa_system_vgpr_workitem_id 0
		.amdhsa_next_free_vgpr 1
		.amdhsa_next_free_sgpr 0
		.amdhsa_reserve_vcc 0
		.amdhsa_reserve_flat_scratch 0
		.amdhsa_float_round_mode_32 0
		.amdhsa_float_round_mode_16_64 0
		.amdhsa_float_denorm_mode_32 3
		.amdhsa_float_denorm_mode_16_64 3
		.amdhsa_dx10_clamp 1
		.amdhsa_ieee_mode 1
		.amdhsa_fp16_overflow 0
		.amdhsa_exception_fp_ieee_invalid_op 0
		.amdhsa_exception_fp_denorm_src 0
		.amdhsa_exception_fp_ieee_div_zero 0
		.amdhsa_exception_fp_ieee_overflow 0
		.amdhsa_exception_fp_ieee_underflow 0
		.amdhsa_exception_fp_ieee_inexact 0
		.amdhsa_exception_int_div_zero 0
	.end_amdhsa_kernel
	.section	.text._ZN7rocprim17ROCPRIM_400000_NS6detail17trampoline_kernelINS0_14default_configENS1_25transform_config_selectorIlLb0EEEZNS1_14transform_implILb0ES3_S5_N6thrust23THRUST_200600_302600_NS10device_ptrIlEEPlNS0_8identityIlEEEE10hipError_tT2_T3_mT4_P12ihipStream_tbEUlT_E_NS1_11comp_targetILNS1_3genE9ELNS1_11target_archE1100ELNS1_3gpuE3ELNS1_3repE0EEENS1_30default_config_static_selectorELNS0_4arch9wavefront6targetE1EEEvT1_,"axG",@progbits,_ZN7rocprim17ROCPRIM_400000_NS6detail17trampoline_kernelINS0_14default_configENS1_25transform_config_selectorIlLb0EEEZNS1_14transform_implILb0ES3_S5_N6thrust23THRUST_200600_302600_NS10device_ptrIlEEPlNS0_8identityIlEEEE10hipError_tT2_T3_mT4_P12ihipStream_tbEUlT_E_NS1_11comp_targetILNS1_3genE9ELNS1_11target_archE1100ELNS1_3gpuE3ELNS1_3repE0EEENS1_30default_config_static_selectorELNS0_4arch9wavefront6targetE1EEEvT1_,comdat
.Lfunc_end262:
	.size	_ZN7rocprim17ROCPRIM_400000_NS6detail17trampoline_kernelINS0_14default_configENS1_25transform_config_selectorIlLb0EEEZNS1_14transform_implILb0ES3_S5_N6thrust23THRUST_200600_302600_NS10device_ptrIlEEPlNS0_8identityIlEEEE10hipError_tT2_T3_mT4_P12ihipStream_tbEUlT_E_NS1_11comp_targetILNS1_3genE9ELNS1_11target_archE1100ELNS1_3gpuE3ELNS1_3repE0EEENS1_30default_config_static_selectorELNS0_4arch9wavefront6targetE1EEEvT1_, .Lfunc_end262-_ZN7rocprim17ROCPRIM_400000_NS6detail17trampoline_kernelINS0_14default_configENS1_25transform_config_selectorIlLb0EEEZNS1_14transform_implILb0ES3_S5_N6thrust23THRUST_200600_302600_NS10device_ptrIlEEPlNS0_8identityIlEEEE10hipError_tT2_T3_mT4_P12ihipStream_tbEUlT_E_NS1_11comp_targetILNS1_3genE9ELNS1_11target_archE1100ELNS1_3gpuE3ELNS1_3repE0EEENS1_30default_config_static_selectorELNS0_4arch9wavefront6targetE1EEEvT1_
                                        ; -- End function
	.set _ZN7rocprim17ROCPRIM_400000_NS6detail17trampoline_kernelINS0_14default_configENS1_25transform_config_selectorIlLb0EEEZNS1_14transform_implILb0ES3_S5_N6thrust23THRUST_200600_302600_NS10device_ptrIlEEPlNS0_8identityIlEEEE10hipError_tT2_T3_mT4_P12ihipStream_tbEUlT_E_NS1_11comp_targetILNS1_3genE9ELNS1_11target_archE1100ELNS1_3gpuE3ELNS1_3repE0EEENS1_30default_config_static_selectorELNS0_4arch9wavefront6targetE1EEEvT1_.num_vgpr, 0
	.set _ZN7rocprim17ROCPRIM_400000_NS6detail17trampoline_kernelINS0_14default_configENS1_25transform_config_selectorIlLb0EEEZNS1_14transform_implILb0ES3_S5_N6thrust23THRUST_200600_302600_NS10device_ptrIlEEPlNS0_8identityIlEEEE10hipError_tT2_T3_mT4_P12ihipStream_tbEUlT_E_NS1_11comp_targetILNS1_3genE9ELNS1_11target_archE1100ELNS1_3gpuE3ELNS1_3repE0EEENS1_30default_config_static_selectorELNS0_4arch9wavefront6targetE1EEEvT1_.num_agpr, 0
	.set _ZN7rocprim17ROCPRIM_400000_NS6detail17trampoline_kernelINS0_14default_configENS1_25transform_config_selectorIlLb0EEEZNS1_14transform_implILb0ES3_S5_N6thrust23THRUST_200600_302600_NS10device_ptrIlEEPlNS0_8identityIlEEEE10hipError_tT2_T3_mT4_P12ihipStream_tbEUlT_E_NS1_11comp_targetILNS1_3genE9ELNS1_11target_archE1100ELNS1_3gpuE3ELNS1_3repE0EEENS1_30default_config_static_selectorELNS0_4arch9wavefront6targetE1EEEvT1_.numbered_sgpr, 0
	.set _ZN7rocprim17ROCPRIM_400000_NS6detail17trampoline_kernelINS0_14default_configENS1_25transform_config_selectorIlLb0EEEZNS1_14transform_implILb0ES3_S5_N6thrust23THRUST_200600_302600_NS10device_ptrIlEEPlNS0_8identityIlEEEE10hipError_tT2_T3_mT4_P12ihipStream_tbEUlT_E_NS1_11comp_targetILNS1_3genE9ELNS1_11target_archE1100ELNS1_3gpuE3ELNS1_3repE0EEENS1_30default_config_static_selectorELNS0_4arch9wavefront6targetE1EEEvT1_.num_named_barrier, 0
	.set _ZN7rocprim17ROCPRIM_400000_NS6detail17trampoline_kernelINS0_14default_configENS1_25transform_config_selectorIlLb0EEEZNS1_14transform_implILb0ES3_S5_N6thrust23THRUST_200600_302600_NS10device_ptrIlEEPlNS0_8identityIlEEEE10hipError_tT2_T3_mT4_P12ihipStream_tbEUlT_E_NS1_11comp_targetILNS1_3genE9ELNS1_11target_archE1100ELNS1_3gpuE3ELNS1_3repE0EEENS1_30default_config_static_selectorELNS0_4arch9wavefront6targetE1EEEvT1_.private_seg_size, 0
	.set _ZN7rocprim17ROCPRIM_400000_NS6detail17trampoline_kernelINS0_14default_configENS1_25transform_config_selectorIlLb0EEEZNS1_14transform_implILb0ES3_S5_N6thrust23THRUST_200600_302600_NS10device_ptrIlEEPlNS0_8identityIlEEEE10hipError_tT2_T3_mT4_P12ihipStream_tbEUlT_E_NS1_11comp_targetILNS1_3genE9ELNS1_11target_archE1100ELNS1_3gpuE3ELNS1_3repE0EEENS1_30default_config_static_selectorELNS0_4arch9wavefront6targetE1EEEvT1_.uses_vcc, 0
	.set _ZN7rocprim17ROCPRIM_400000_NS6detail17trampoline_kernelINS0_14default_configENS1_25transform_config_selectorIlLb0EEEZNS1_14transform_implILb0ES3_S5_N6thrust23THRUST_200600_302600_NS10device_ptrIlEEPlNS0_8identityIlEEEE10hipError_tT2_T3_mT4_P12ihipStream_tbEUlT_E_NS1_11comp_targetILNS1_3genE9ELNS1_11target_archE1100ELNS1_3gpuE3ELNS1_3repE0EEENS1_30default_config_static_selectorELNS0_4arch9wavefront6targetE1EEEvT1_.uses_flat_scratch, 0
	.set _ZN7rocprim17ROCPRIM_400000_NS6detail17trampoline_kernelINS0_14default_configENS1_25transform_config_selectorIlLb0EEEZNS1_14transform_implILb0ES3_S5_N6thrust23THRUST_200600_302600_NS10device_ptrIlEEPlNS0_8identityIlEEEE10hipError_tT2_T3_mT4_P12ihipStream_tbEUlT_E_NS1_11comp_targetILNS1_3genE9ELNS1_11target_archE1100ELNS1_3gpuE3ELNS1_3repE0EEENS1_30default_config_static_selectorELNS0_4arch9wavefront6targetE1EEEvT1_.has_dyn_sized_stack, 0
	.set _ZN7rocprim17ROCPRIM_400000_NS6detail17trampoline_kernelINS0_14default_configENS1_25transform_config_selectorIlLb0EEEZNS1_14transform_implILb0ES3_S5_N6thrust23THRUST_200600_302600_NS10device_ptrIlEEPlNS0_8identityIlEEEE10hipError_tT2_T3_mT4_P12ihipStream_tbEUlT_E_NS1_11comp_targetILNS1_3genE9ELNS1_11target_archE1100ELNS1_3gpuE3ELNS1_3repE0EEENS1_30default_config_static_selectorELNS0_4arch9wavefront6targetE1EEEvT1_.has_recursion, 0
	.set _ZN7rocprim17ROCPRIM_400000_NS6detail17trampoline_kernelINS0_14default_configENS1_25transform_config_selectorIlLb0EEEZNS1_14transform_implILb0ES3_S5_N6thrust23THRUST_200600_302600_NS10device_ptrIlEEPlNS0_8identityIlEEEE10hipError_tT2_T3_mT4_P12ihipStream_tbEUlT_E_NS1_11comp_targetILNS1_3genE9ELNS1_11target_archE1100ELNS1_3gpuE3ELNS1_3repE0EEENS1_30default_config_static_selectorELNS0_4arch9wavefront6targetE1EEEvT1_.has_indirect_call, 0
	.section	.AMDGPU.csdata,"",@progbits
; Kernel info:
; codeLenInByte = 0
; TotalNumSgprs: 4
; NumVgprs: 0
; ScratchSize: 0
; MemoryBound: 0
; FloatMode: 240
; IeeeMode: 1
; LDSByteSize: 0 bytes/workgroup (compile time only)
; SGPRBlocks: 0
; VGPRBlocks: 0
; NumSGPRsForWavesPerEU: 4
; NumVGPRsForWavesPerEU: 1
; Occupancy: 10
; WaveLimiterHint : 0
; COMPUTE_PGM_RSRC2:SCRATCH_EN: 0
; COMPUTE_PGM_RSRC2:USER_SGPR: 6
; COMPUTE_PGM_RSRC2:TRAP_HANDLER: 0
; COMPUTE_PGM_RSRC2:TGID_X_EN: 1
; COMPUTE_PGM_RSRC2:TGID_Y_EN: 0
; COMPUTE_PGM_RSRC2:TGID_Z_EN: 0
; COMPUTE_PGM_RSRC2:TIDIG_COMP_CNT: 0
	.section	.text._ZN7rocprim17ROCPRIM_400000_NS6detail17trampoline_kernelINS0_14default_configENS1_25transform_config_selectorIlLb0EEEZNS1_14transform_implILb0ES3_S5_N6thrust23THRUST_200600_302600_NS10device_ptrIlEEPlNS0_8identityIlEEEE10hipError_tT2_T3_mT4_P12ihipStream_tbEUlT_E_NS1_11comp_targetILNS1_3genE8ELNS1_11target_archE1030ELNS1_3gpuE2ELNS1_3repE0EEENS1_30default_config_static_selectorELNS0_4arch9wavefront6targetE1EEEvT1_,"axG",@progbits,_ZN7rocprim17ROCPRIM_400000_NS6detail17trampoline_kernelINS0_14default_configENS1_25transform_config_selectorIlLb0EEEZNS1_14transform_implILb0ES3_S5_N6thrust23THRUST_200600_302600_NS10device_ptrIlEEPlNS0_8identityIlEEEE10hipError_tT2_T3_mT4_P12ihipStream_tbEUlT_E_NS1_11comp_targetILNS1_3genE8ELNS1_11target_archE1030ELNS1_3gpuE2ELNS1_3repE0EEENS1_30default_config_static_selectorELNS0_4arch9wavefront6targetE1EEEvT1_,comdat
	.protected	_ZN7rocprim17ROCPRIM_400000_NS6detail17trampoline_kernelINS0_14default_configENS1_25transform_config_selectorIlLb0EEEZNS1_14transform_implILb0ES3_S5_N6thrust23THRUST_200600_302600_NS10device_ptrIlEEPlNS0_8identityIlEEEE10hipError_tT2_T3_mT4_P12ihipStream_tbEUlT_E_NS1_11comp_targetILNS1_3genE8ELNS1_11target_archE1030ELNS1_3gpuE2ELNS1_3repE0EEENS1_30default_config_static_selectorELNS0_4arch9wavefront6targetE1EEEvT1_ ; -- Begin function _ZN7rocprim17ROCPRIM_400000_NS6detail17trampoline_kernelINS0_14default_configENS1_25transform_config_selectorIlLb0EEEZNS1_14transform_implILb0ES3_S5_N6thrust23THRUST_200600_302600_NS10device_ptrIlEEPlNS0_8identityIlEEEE10hipError_tT2_T3_mT4_P12ihipStream_tbEUlT_E_NS1_11comp_targetILNS1_3genE8ELNS1_11target_archE1030ELNS1_3gpuE2ELNS1_3repE0EEENS1_30default_config_static_selectorELNS0_4arch9wavefront6targetE1EEEvT1_
	.globl	_ZN7rocprim17ROCPRIM_400000_NS6detail17trampoline_kernelINS0_14default_configENS1_25transform_config_selectorIlLb0EEEZNS1_14transform_implILb0ES3_S5_N6thrust23THRUST_200600_302600_NS10device_ptrIlEEPlNS0_8identityIlEEEE10hipError_tT2_T3_mT4_P12ihipStream_tbEUlT_E_NS1_11comp_targetILNS1_3genE8ELNS1_11target_archE1030ELNS1_3gpuE2ELNS1_3repE0EEENS1_30default_config_static_selectorELNS0_4arch9wavefront6targetE1EEEvT1_
	.p2align	8
	.type	_ZN7rocprim17ROCPRIM_400000_NS6detail17trampoline_kernelINS0_14default_configENS1_25transform_config_selectorIlLb0EEEZNS1_14transform_implILb0ES3_S5_N6thrust23THRUST_200600_302600_NS10device_ptrIlEEPlNS0_8identityIlEEEE10hipError_tT2_T3_mT4_P12ihipStream_tbEUlT_E_NS1_11comp_targetILNS1_3genE8ELNS1_11target_archE1030ELNS1_3gpuE2ELNS1_3repE0EEENS1_30default_config_static_selectorELNS0_4arch9wavefront6targetE1EEEvT1_,@function
_ZN7rocprim17ROCPRIM_400000_NS6detail17trampoline_kernelINS0_14default_configENS1_25transform_config_selectorIlLb0EEEZNS1_14transform_implILb0ES3_S5_N6thrust23THRUST_200600_302600_NS10device_ptrIlEEPlNS0_8identityIlEEEE10hipError_tT2_T3_mT4_P12ihipStream_tbEUlT_E_NS1_11comp_targetILNS1_3genE8ELNS1_11target_archE1030ELNS1_3gpuE2ELNS1_3repE0EEENS1_30default_config_static_selectorELNS0_4arch9wavefront6targetE1EEEvT1_: ; @_ZN7rocprim17ROCPRIM_400000_NS6detail17trampoline_kernelINS0_14default_configENS1_25transform_config_selectorIlLb0EEEZNS1_14transform_implILb0ES3_S5_N6thrust23THRUST_200600_302600_NS10device_ptrIlEEPlNS0_8identityIlEEEE10hipError_tT2_T3_mT4_P12ihipStream_tbEUlT_E_NS1_11comp_targetILNS1_3genE8ELNS1_11target_archE1030ELNS1_3gpuE2ELNS1_3repE0EEENS1_30default_config_static_selectorELNS0_4arch9wavefront6targetE1EEEvT1_
; %bb.0:
	.section	.rodata,"a",@progbits
	.p2align	6, 0x0
	.amdhsa_kernel _ZN7rocprim17ROCPRIM_400000_NS6detail17trampoline_kernelINS0_14default_configENS1_25transform_config_selectorIlLb0EEEZNS1_14transform_implILb0ES3_S5_N6thrust23THRUST_200600_302600_NS10device_ptrIlEEPlNS0_8identityIlEEEE10hipError_tT2_T3_mT4_P12ihipStream_tbEUlT_E_NS1_11comp_targetILNS1_3genE8ELNS1_11target_archE1030ELNS1_3gpuE2ELNS1_3repE0EEENS1_30default_config_static_selectorELNS0_4arch9wavefront6targetE1EEEvT1_
		.amdhsa_group_segment_fixed_size 0
		.amdhsa_private_segment_fixed_size 0
		.amdhsa_kernarg_size 40
		.amdhsa_user_sgpr_count 6
		.amdhsa_user_sgpr_private_segment_buffer 1
		.amdhsa_user_sgpr_dispatch_ptr 0
		.amdhsa_user_sgpr_queue_ptr 0
		.amdhsa_user_sgpr_kernarg_segment_ptr 1
		.amdhsa_user_sgpr_dispatch_id 0
		.amdhsa_user_sgpr_flat_scratch_init 0
		.amdhsa_user_sgpr_private_segment_size 0
		.amdhsa_uses_dynamic_stack 0
		.amdhsa_system_sgpr_private_segment_wavefront_offset 0
		.amdhsa_system_sgpr_workgroup_id_x 1
		.amdhsa_system_sgpr_workgroup_id_y 0
		.amdhsa_system_sgpr_workgroup_id_z 0
		.amdhsa_system_sgpr_workgroup_info 0
		.amdhsa_system_vgpr_workitem_id 0
		.amdhsa_next_free_vgpr 1
		.amdhsa_next_free_sgpr 0
		.amdhsa_reserve_vcc 0
		.amdhsa_reserve_flat_scratch 0
		.amdhsa_float_round_mode_32 0
		.amdhsa_float_round_mode_16_64 0
		.amdhsa_float_denorm_mode_32 3
		.amdhsa_float_denorm_mode_16_64 3
		.amdhsa_dx10_clamp 1
		.amdhsa_ieee_mode 1
		.amdhsa_fp16_overflow 0
		.amdhsa_exception_fp_ieee_invalid_op 0
		.amdhsa_exception_fp_denorm_src 0
		.amdhsa_exception_fp_ieee_div_zero 0
		.amdhsa_exception_fp_ieee_overflow 0
		.amdhsa_exception_fp_ieee_underflow 0
		.amdhsa_exception_fp_ieee_inexact 0
		.amdhsa_exception_int_div_zero 0
	.end_amdhsa_kernel
	.section	.text._ZN7rocprim17ROCPRIM_400000_NS6detail17trampoline_kernelINS0_14default_configENS1_25transform_config_selectorIlLb0EEEZNS1_14transform_implILb0ES3_S5_N6thrust23THRUST_200600_302600_NS10device_ptrIlEEPlNS0_8identityIlEEEE10hipError_tT2_T3_mT4_P12ihipStream_tbEUlT_E_NS1_11comp_targetILNS1_3genE8ELNS1_11target_archE1030ELNS1_3gpuE2ELNS1_3repE0EEENS1_30default_config_static_selectorELNS0_4arch9wavefront6targetE1EEEvT1_,"axG",@progbits,_ZN7rocprim17ROCPRIM_400000_NS6detail17trampoline_kernelINS0_14default_configENS1_25transform_config_selectorIlLb0EEEZNS1_14transform_implILb0ES3_S5_N6thrust23THRUST_200600_302600_NS10device_ptrIlEEPlNS0_8identityIlEEEE10hipError_tT2_T3_mT4_P12ihipStream_tbEUlT_E_NS1_11comp_targetILNS1_3genE8ELNS1_11target_archE1030ELNS1_3gpuE2ELNS1_3repE0EEENS1_30default_config_static_selectorELNS0_4arch9wavefront6targetE1EEEvT1_,comdat
.Lfunc_end263:
	.size	_ZN7rocprim17ROCPRIM_400000_NS6detail17trampoline_kernelINS0_14default_configENS1_25transform_config_selectorIlLb0EEEZNS1_14transform_implILb0ES3_S5_N6thrust23THRUST_200600_302600_NS10device_ptrIlEEPlNS0_8identityIlEEEE10hipError_tT2_T3_mT4_P12ihipStream_tbEUlT_E_NS1_11comp_targetILNS1_3genE8ELNS1_11target_archE1030ELNS1_3gpuE2ELNS1_3repE0EEENS1_30default_config_static_selectorELNS0_4arch9wavefront6targetE1EEEvT1_, .Lfunc_end263-_ZN7rocprim17ROCPRIM_400000_NS6detail17trampoline_kernelINS0_14default_configENS1_25transform_config_selectorIlLb0EEEZNS1_14transform_implILb0ES3_S5_N6thrust23THRUST_200600_302600_NS10device_ptrIlEEPlNS0_8identityIlEEEE10hipError_tT2_T3_mT4_P12ihipStream_tbEUlT_E_NS1_11comp_targetILNS1_3genE8ELNS1_11target_archE1030ELNS1_3gpuE2ELNS1_3repE0EEENS1_30default_config_static_selectorELNS0_4arch9wavefront6targetE1EEEvT1_
                                        ; -- End function
	.set _ZN7rocprim17ROCPRIM_400000_NS6detail17trampoline_kernelINS0_14default_configENS1_25transform_config_selectorIlLb0EEEZNS1_14transform_implILb0ES3_S5_N6thrust23THRUST_200600_302600_NS10device_ptrIlEEPlNS0_8identityIlEEEE10hipError_tT2_T3_mT4_P12ihipStream_tbEUlT_E_NS1_11comp_targetILNS1_3genE8ELNS1_11target_archE1030ELNS1_3gpuE2ELNS1_3repE0EEENS1_30default_config_static_selectorELNS0_4arch9wavefront6targetE1EEEvT1_.num_vgpr, 0
	.set _ZN7rocprim17ROCPRIM_400000_NS6detail17trampoline_kernelINS0_14default_configENS1_25transform_config_selectorIlLb0EEEZNS1_14transform_implILb0ES3_S5_N6thrust23THRUST_200600_302600_NS10device_ptrIlEEPlNS0_8identityIlEEEE10hipError_tT2_T3_mT4_P12ihipStream_tbEUlT_E_NS1_11comp_targetILNS1_3genE8ELNS1_11target_archE1030ELNS1_3gpuE2ELNS1_3repE0EEENS1_30default_config_static_selectorELNS0_4arch9wavefront6targetE1EEEvT1_.num_agpr, 0
	.set _ZN7rocprim17ROCPRIM_400000_NS6detail17trampoline_kernelINS0_14default_configENS1_25transform_config_selectorIlLb0EEEZNS1_14transform_implILb0ES3_S5_N6thrust23THRUST_200600_302600_NS10device_ptrIlEEPlNS0_8identityIlEEEE10hipError_tT2_T3_mT4_P12ihipStream_tbEUlT_E_NS1_11comp_targetILNS1_3genE8ELNS1_11target_archE1030ELNS1_3gpuE2ELNS1_3repE0EEENS1_30default_config_static_selectorELNS0_4arch9wavefront6targetE1EEEvT1_.numbered_sgpr, 0
	.set _ZN7rocprim17ROCPRIM_400000_NS6detail17trampoline_kernelINS0_14default_configENS1_25transform_config_selectorIlLb0EEEZNS1_14transform_implILb0ES3_S5_N6thrust23THRUST_200600_302600_NS10device_ptrIlEEPlNS0_8identityIlEEEE10hipError_tT2_T3_mT4_P12ihipStream_tbEUlT_E_NS1_11comp_targetILNS1_3genE8ELNS1_11target_archE1030ELNS1_3gpuE2ELNS1_3repE0EEENS1_30default_config_static_selectorELNS0_4arch9wavefront6targetE1EEEvT1_.num_named_barrier, 0
	.set _ZN7rocprim17ROCPRIM_400000_NS6detail17trampoline_kernelINS0_14default_configENS1_25transform_config_selectorIlLb0EEEZNS1_14transform_implILb0ES3_S5_N6thrust23THRUST_200600_302600_NS10device_ptrIlEEPlNS0_8identityIlEEEE10hipError_tT2_T3_mT4_P12ihipStream_tbEUlT_E_NS1_11comp_targetILNS1_3genE8ELNS1_11target_archE1030ELNS1_3gpuE2ELNS1_3repE0EEENS1_30default_config_static_selectorELNS0_4arch9wavefront6targetE1EEEvT1_.private_seg_size, 0
	.set _ZN7rocprim17ROCPRIM_400000_NS6detail17trampoline_kernelINS0_14default_configENS1_25transform_config_selectorIlLb0EEEZNS1_14transform_implILb0ES3_S5_N6thrust23THRUST_200600_302600_NS10device_ptrIlEEPlNS0_8identityIlEEEE10hipError_tT2_T3_mT4_P12ihipStream_tbEUlT_E_NS1_11comp_targetILNS1_3genE8ELNS1_11target_archE1030ELNS1_3gpuE2ELNS1_3repE0EEENS1_30default_config_static_selectorELNS0_4arch9wavefront6targetE1EEEvT1_.uses_vcc, 0
	.set _ZN7rocprim17ROCPRIM_400000_NS6detail17trampoline_kernelINS0_14default_configENS1_25transform_config_selectorIlLb0EEEZNS1_14transform_implILb0ES3_S5_N6thrust23THRUST_200600_302600_NS10device_ptrIlEEPlNS0_8identityIlEEEE10hipError_tT2_T3_mT4_P12ihipStream_tbEUlT_E_NS1_11comp_targetILNS1_3genE8ELNS1_11target_archE1030ELNS1_3gpuE2ELNS1_3repE0EEENS1_30default_config_static_selectorELNS0_4arch9wavefront6targetE1EEEvT1_.uses_flat_scratch, 0
	.set _ZN7rocprim17ROCPRIM_400000_NS6detail17trampoline_kernelINS0_14default_configENS1_25transform_config_selectorIlLb0EEEZNS1_14transform_implILb0ES3_S5_N6thrust23THRUST_200600_302600_NS10device_ptrIlEEPlNS0_8identityIlEEEE10hipError_tT2_T3_mT4_P12ihipStream_tbEUlT_E_NS1_11comp_targetILNS1_3genE8ELNS1_11target_archE1030ELNS1_3gpuE2ELNS1_3repE0EEENS1_30default_config_static_selectorELNS0_4arch9wavefront6targetE1EEEvT1_.has_dyn_sized_stack, 0
	.set _ZN7rocprim17ROCPRIM_400000_NS6detail17trampoline_kernelINS0_14default_configENS1_25transform_config_selectorIlLb0EEEZNS1_14transform_implILb0ES3_S5_N6thrust23THRUST_200600_302600_NS10device_ptrIlEEPlNS0_8identityIlEEEE10hipError_tT2_T3_mT4_P12ihipStream_tbEUlT_E_NS1_11comp_targetILNS1_3genE8ELNS1_11target_archE1030ELNS1_3gpuE2ELNS1_3repE0EEENS1_30default_config_static_selectorELNS0_4arch9wavefront6targetE1EEEvT1_.has_recursion, 0
	.set _ZN7rocprim17ROCPRIM_400000_NS6detail17trampoline_kernelINS0_14default_configENS1_25transform_config_selectorIlLb0EEEZNS1_14transform_implILb0ES3_S5_N6thrust23THRUST_200600_302600_NS10device_ptrIlEEPlNS0_8identityIlEEEE10hipError_tT2_T3_mT4_P12ihipStream_tbEUlT_E_NS1_11comp_targetILNS1_3genE8ELNS1_11target_archE1030ELNS1_3gpuE2ELNS1_3repE0EEENS1_30default_config_static_selectorELNS0_4arch9wavefront6targetE1EEEvT1_.has_indirect_call, 0
	.section	.AMDGPU.csdata,"",@progbits
; Kernel info:
; codeLenInByte = 0
; TotalNumSgprs: 4
; NumVgprs: 0
; ScratchSize: 0
; MemoryBound: 0
; FloatMode: 240
; IeeeMode: 1
; LDSByteSize: 0 bytes/workgroup (compile time only)
; SGPRBlocks: 0
; VGPRBlocks: 0
; NumSGPRsForWavesPerEU: 4
; NumVGPRsForWavesPerEU: 1
; Occupancy: 10
; WaveLimiterHint : 0
; COMPUTE_PGM_RSRC2:SCRATCH_EN: 0
; COMPUTE_PGM_RSRC2:USER_SGPR: 6
; COMPUTE_PGM_RSRC2:TRAP_HANDLER: 0
; COMPUTE_PGM_RSRC2:TGID_X_EN: 1
; COMPUTE_PGM_RSRC2:TGID_Y_EN: 0
; COMPUTE_PGM_RSRC2:TGID_Z_EN: 0
; COMPUTE_PGM_RSRC2:TIDIG_COMP_CNT: 0
	.section	.text._ZN7rocprim17ROCPRIM_400000_NS6detail17trampoline_kernelINS0_14default_configENS1_35radix_sort_onesweep_config_selectorIhlEEZZNS1_29radix_sort_onesweep_iterationIS3_Lb0EPhS7_N6thrust23THRUST_200600_302600_NS10device_ptrIlEESB_jNS0_19identity_decomposerENS1_16block_id_wrapperIjLb1EEEEE10hipError_tT1_PNSt15iterator_traitsISG_E10value_typeET2_T3_PNSH_ISM_E10value_typeET4_T5_PSR_SS_PNS1_23onesweep_lookback_stateEbbT6_jjT7_P12ihipStream_tbENKUlT_T0_SG_SL_E_clIS7_S7_SB_SB_EEDaSZ_S10_SG_SL_EUlSZ_E_NS1_11comp_targetILNS1_3genE0ELNS1_11target_archE4294967295ELNS1_3gpuE0ELNS1_3repE0EEENS1_47radix_sort_onesweep_sort_config_static_selectorELNS0_4arch9wavefront6targetE1EEEvSG_,"axG",@progbits,_ZN7rocprim17ROCPRIM_400000_NS6detail17trampoline_kernelINS0_14default_configENS1_35radix_sort_onesweep_config_selectorIhlEEZZNS1_29radix_sort_onesweep_iterationIS3_Lb0EPhS7_N6thrust23THRUST_200600_302600_NS10device_ptrIlEESB_jNS0_19identity_decomposerENS1_16block_id_wrapperIjLb1EEEEE10hipError_tT1_PNSt15iterator_traitsISG_E10value_typeET2_T3_PNSH_ISM_E10value_typeET4_T5_PSR_SS_PNS1_23onesweep_lookback_stateEbbT6_jjT7_P12ihipStream_tbENKUlT_T0_SG_SL_E_clIS7_S7_SB_SB_EEDaSZ_S10_SG_SL_EUlSZ_E_NS1_11comp_targetILNS1_3genE0ELNS1_11target_archE4294967295ELNS1_3gpuE0ELNS1_3repE0EEENS1_47radix_sort_onesweep_sort_config_static_selectorELNS0_4arch9wavefront6targetE1EEEvSG_,comdat
	.protected	_ZN7rocprim17ROCPRIM_400000_NS6detail17trampoline_kernelINS0_14default_configENS1_35radix_sort_onesweep_config_selectorIhlEEZZNS1_29radix_sort_onesweep_iterationIS3_Lb0EPhS7_N6thrust23THRUST_200600_302600_NS10device_ptrIlEESB_jNS0_19identity_decomposerENS1_16block_id_wrapperIjLb1EEEEE10hipError_tT1_PNSt15iterator_traitsISG_E10value_typeET2_T3_PNSH_ISM_E10value_typeET4_T5_PSR_SS_PNS1_23onesweep_lookback_stateEbbT6_jjT7_P12ihipStream_tbENKUlT_T0_SG_SL_E_clIS7_S7_SB_SB_EEDaSZ_S10_SG_SL_EUlSZ_E_NS1_11comp_targetILNS1_3genE0ELNS1_11target_archE4294967295ELNS1_3gpuE0ELNS1_3repE0EEENS1_47radix_sort_onesweep_sort_config_static_selectorELNS0_4arch9wavefront6targetE1EEEvSG_ ; -- Begin function _ZN7rocprim17ROCPRIM_400000_NS6detail17trampoline_kernelINS0_14default_configENS1_35radix_sort_onesweep_config_selectorIhlEEZZNS1_29radix_sort_onesweep_iterationIS3_Lb0EPhS7_N6thrust23THRUST_200600_302600_NS10device_ptrIlEESB_jNS0_19identity_decomposerENS1_16block_id_wrapperIjLb1EEEEE10hipError_tT1_PNSt15iterator_traitsISG_E10value_typeET2_T3_PNSH_ISM_E10value_typeET4_T5_PSR_SS_PNS1_23onesweep_lookback_stateEbbT6_jjT7_P12ihipStream_tbENKUlT_T0_SG_SL_E_clIS7_S7_SB_SB_EEDaSZ_S10_SG_SL_EUlSZ_E_NS1_11comp_targetILNS1_3genE0ELNS1_11target_archE4294967295ELNS1_3gpuE0ELNS1_3repE0EEENS1_47radix_sort_onesweep_sort_config_static_selectorELNS0_4arch9wavefront6targetE1EEEvSG_
	.globl	_ZN7rocprim17ROCPRIM_400000_NS6detail17trampoline_kernelINS0_14default_configENS1_35radix_sort_onesweep_config_selectorIhlEEZZNS1_29radix_sort_onesweep_iterationIS3_Lb0EPhS7_N6thrust23THRUST_200600_302600_NS10device_ptrIlEESB_jNS0_19identity_decomposerENS1_16block_id_wrapperIjLb1EEEEE10hipError_tT1_PNSt15iterator_traitsISG_E10value_typeET2_T3_PNSH_ISM_E10value_typeET4_T5_PSR_SS_PNS1_23onesweep_lookback_stateEbbT6_jjT7_P12ihipStream_tbENKUlT_T0_SG_SL_E_clIS7_S7_SB_SB_EEDaSZ_S10_SG_SL_EUlSZ_E_NS1_11comp_targetILNS1_3genE0ELNS1_11target_archE4294967295ELNS1_3gpuE0ELNS1_3repE0EEENS1_47radix_sort_onesweep_sort_config_static_selectorELNS0_4arch9wavefront6targetE1EEEvSG_
	.p2align	8
	.type	_ZN7rocprim17ROCPRIM_400000_NS6detail17trampoline_kernelINS0_14default_configENS1_35radix_sort_onesweep_config_selectorIhlEEZZNS1_29radix_sort_onesweep_iterationIS3_Lb0EPhS7_N6thrust23THRUST_200600_302600_NS10device_ptrIlEESB_jNS0_19identity_decomposerENS1_16block_id_wrapperIjLb1EEEEE10hipError_tT1_PNSt15iterator_traitsISG_E10value_typeET2_T3_PNSH_ISM_E10value_typeET4_T5_PSR_SS_PNS1_23onesweep_lookback_stateEbbT6_jjT7_P12ihipStream_tbENKUlT_T0_SG_SL_E_clIS7_S7_SB_SB_EEDaSZ_S10_SG_SL_EUlSZ_E_NS1_11comp_targetILNS1_3genE0ELNS1_11target_archE4294967295ELNS1_3gpuE0ELNS1_3repE0EEENS1_47radix_sort_onesweep_sort_config_static_selectorELNS0_4arch9wavefront6targetE1EEEvSG_,@function
_ZN7rocprim17ROCPRIM_400000_NS6detail17trampoline_kernelINS0_14default_configENS1_35radix_sort_onesweep_config_selectorIhlEEZZNS1_29radix_sort_onesweep_iterationIS3_Lb0EPhS7_N6thrust23THRUST_200600_302600_NS10device_ptrIlEESB_jNS0_19identity_decomposerENS1_16block_id_wrapperIjLb1EEEEE10hipError_tT1_PNSt15iterator_traitsISG_E10value_typeET2_T3_PNSH_ISM_E10value_typeET4_T5_PSR_SS_PNS1_23onesweep_lookback_stateEbbT6_jjT7_P12ihipStream_tbENKUlT_T0_SG_SL_E_clIS7_S7_SB_SB_EEDaSZ_S10_SG_SL_EUlSZ_E_NS1_11comp_targetILNS1_3genE0ELNS1_11target_archE4294967295ELNS1_3gpuE0ELNS1_3repE0EEENS1_47radix_sort_onesweep_sort_config_static_selectorELNS0_4arch9wavefront6targetE1EEEvSG_: ; @_ZN7rocprim17ROCPRIM_400000_NS6detail17trampoline_kernelINS0_14default_configENS1_35radix_sort_onesweep_config_selectorIhlEEZZNS1_29radix_sort_onesweep_iterationIS3_Lb0EPhS7_N6thrust23THRUST_200600_302600_NS10device_ptrIlEESB_jNS0_19identity_decomposerENS1_16block_id_wrapperIjLb1EEEEE10hipError_tT1_PNSt15iterator_traitsISG_E10value_typeET2_T3_PNSH_ISM_E10value_typeET4_T5_PSR_SS_PNS1_23onesweep_lookback_stateEbbT6_jjT7_P12ihipStream_tbENKUlT_T0_SG_SL_E_clIS7_S7_SB_SB_EEDaSZ_S10_SG_SL_EUlSZ_E_NS1_11comp_targetILNS1_3genE0ELNS1_11target_archE4294967295ELNS1_3gpuE0ELNS1_3repE0EEENS1_47radix_sort_onesweep_sort_config_static_selectorELNS0_4arch9wavefront6targetE1EEEvSG_
; %bb.0:
	.section	.rodata,"a",@progbits
	.p2align	6, 0x0
	.amdhsa_kernel _ZN7rocprim17ROCPRIM_400000_NS6detail17trampoline_kernelINS0_14default_configENS1_35radix_sort_onesweep_config_selectorIhlEEZZNS1_29radix_sort_onesweep_iterationIS3_Lb0EPhS7_N6thrust23THRUST_200600_302600_NS10device_ptrIlEESB_jNS0_19identity_decomposerENS1_16block_id_wrapperIjLb1EEEEE10hipError_tT1_PNSt15iterator_traitsISG_E10value_typeET2_T3_PNSH_ISM_E10value_typeET4_T5_PSR_SS_PNS1_23onesweep_lookback_stateEbbT6_jjT7_P12ihipStream_tbENKUlT_T0_SG_SL_E_clIS7_S7_SB_SB_EEDaSZ_S10_SG_SL_EUlSZ_E_NS1_11comp_targetILNS1_3genE0ELNS1_11target_archE4294967295ELNS1_3gpuE0ELNS1_3repE0EEENS1_47radix_sort_onesweep_sort_config_static_selectorELNS0_4arch9wavefront6targetE1EEEvSG_
		.amdhsa_group_segment_fixed_size 0
		.amdhsa_private_segment_fixed_size 0
		.amdhsa_kernarg_size 88
		.amdhsa_user_sgpr_count 6
		.amdhsa_user_sgpr_private_segment_buffer 1
		.amdhsa_user_sgpr_dispatch_ptr 0
		.amdhsa_user_sgpr_queue_ptr 0
		.amdhsa_user_sgpr_kernarg_segment_ptr 1
		.amdhsa_user_sgpr_dispatch_id 0
		.amdhsa_user_sgpr_flat_scratch_init 0
		.amdhsa_user_sgpr_private_segment_size 0
		.amdhsa_uses_dynamic_stack 0
		.amdhsa_system_sgpr_private_segment_wavefront_offset 0
		.amdhsa_system_sgpr_workgroup_id_x 1
		.amdhsa_system_sgpr_workgroup_id_y 0
		.amdhsa_system_sgpr_workgroup_id_z 0
		.amdhsa_system_sgpr_workgroup_info 0
		.amdhsa_system_vgpr_workitem_id 0
		.amdhsa_next_free_vgpr 1
		.amdhsa_next_free_sgpr 0
		.amdhsa_reserve_vcc 0
		.amdhsa_reserve_flat_scratch 0
		.amdhsa_float_round_mode_32 0
		.amdhsa_float_round_mode_16_64 0
		.amdhsa_float_denorm_mode_32 3
		.amdhsa_float_denorm_mode_16_64 3
		.amdhsa_dx10_clamp 1
		.amdhsa_ieee_mode 1
		.amdhsa_fp16_overflow 0
		.amdhsa_exception_fp_ieee_invalid_op 0
		.amdhsa_exception_fp_denorm_src 0
		.amdhsa_exception_fp_ieee_div_zero 0
		.amdhsa_exception_fp_ieee_overflow 0
		.amdhsa_exception_fp_ieee_underflow 0
		.amdhsa_exception_fp_ieee_inexact 0
		.amdhsa_exception_int_div_zero 0
	.end_amdhsa_kernel
	.section	.text._ZN7rocprim17ROCPRIM_400000_NS6detail17trampoline_kernelINS0_14default_configENS1_35radix_sort_onesweep_config_selectorIhlEEZZNS1_29radix_sort_onesweep_iterationIS3_Lb0EPhS7_N6thrust23THRUST_200600_302600_NS10device_ptrIlEESB_jNS0_19identity_decomposerENS1_16block_id_wrapperIjLb1EEEEE10hipError_tT1_PNSt15iterator_traitsISG_E10value_typeET2_T3_PNSH_ISM_E10value_typeET4_T5_PSR_SS_PNS1_23onesweep_lookback_stateEbbT6_jjT7_P12ihipStream_tbENKUlT_T0_SG_SL_E_clIS7_S7_SB_SB_EEDaSZ_S10_SG_SL_EUlSZ_E_NS1_11comp_targetILNS1_3genE0ELNS1_11target_archE4294967295ELNS1_3gpuE0ELNS1_3repE0EEENS1_47radix_sort_onesweep_sort_config_static_selectorELNS0_4arch9wavefront6targetE1EEEvSG_,"axG",@progbits,_ZN7rocprim17ROCPRIM_400000_NS6detail17trampoline_kernelINS0_14default_configENS1_35radix_sort_onesweep_config_selectorIhlEEZZNS1_29radix_sort_onesweep_iterationIS3_Lb0EPhS7_N6thrust23THRUST_200600_302600_NS10device_ptrIlEESB_jNS0_19identity_decomposerENS1_16block_id_wrapperIjLb1EEEEE10hipError_tT1_PNSt15iterator_traitsISG_E10value_typeET2_T3_PNSH_ISM_E10value_typeET4_T5_PSR_SS_PNS1_23onesweep_lookback_stateEbbT6_jjT7_P12ihipStream_tbENKUlT_T0_SG_SL_E_clIS7_S7_SB_SB_EEDaSZ_S10_SG_SL_EUlSZ_E_NS1_11comp_targetILNS1_3genE0ELNS1_11target_archE4294967295ELNS1_3gpuE0ELNS1_3repE0EEENS1_47radix_sort_onesweep_sort_config_static_selectorELNS0_4arch9wavefront6targetE1EEEvSG_,comdat
.Lfunc_end264:
	.size	_ZN7rocprim17ROCPRIM_400000_NS6detail17trampoline_kernelINS0_14default_configENS1_35radix_sort_onesweep_config_selectorIhlEEZZNS1_29radix_sort_onesweep_iterationIS3_Lb0EPhS7_N6thrust23THRUST_200600_302600_NS10device_ptrIlEESB_jNS0_19identity_decomposerENS1_16block_id_wrapperIjLb1EEEEE10hipError_tT1_PNSt15iterator_traitsISG_E10value_typeET2_T3_PNSH_ISM_E10value_typeET4_T5_PSR_SS_PNS1_23onesweep_lookback_stateEbbT6_jjT7_P12ihipStream_tbENKUlT_T0_SG_SL_E_clIS7_S7_SB_SB_EEDaSZ_S10_SG_SL_EUlSZ_E_NS1_11comp_targetILNS1_3genE0ELNS1_11target_archE4294967295ELNS1_3gpuE0ELNS1_3repE0EEENS1_47radix_sort_onesweep_sort_config_static_selectorELNS0_4arch9wavefront6targetE1EEEvSG_, .Lfunc_end264-_ZN7rocprim17ROCPRIM_400000_NS6detail17trampoline_kernelINS0_14default_configENS1_35radix_sort_onesweep_config_selectorIhlEEZZNS1_29radix_sort_onesweep_iterationIS3_Lb0EPhS7_N6thrust23THRUST_200600_302600_NS10device_ptrIlEESB_jNS0_19identity_decomposerENS1_16block_id_wrapperIjLb1EEEEE10hipError_tT1_PNSt15iterator_traitsISG_E10value_typeET2_T3_PNSH_ISM_E10value_typeET4_T5_PSR_SS_PNS1_23onesweep_lookback_stateEbbT6_jjT7_P12ihipStream_tbENKUlT_T0_SG_SL_E_clIS7_S7_SB_SB_EEDaSZ_S10_SG_SL_EUlSZ_E_NS1_11comp_targetILNS1_3genE0ELNS1_11target_archE4294967295ELNS1_3gpuE0ELNS1_3repE0EEENS1_47radix_sort_onesweep_sort_config_static_selectorELNS0_4arch9wavefront6targetE1EEEvSG_
                                        ; -- End function
	.set _ZN7rocprim17ROCPRIM_400000_NS6detail17trampoline_kernelINS0_14default_configENS1_35radix_sort_onesweep_config_selectorIhlEEZZNS1_29radix_sort_onesweep_iterationIS3_Lb0EPhS7_N6thrust23THRUST_200600_302600_NS10device_ptrIlEESB_jNS0_19identity_decomposerENS1_16block_id_wrapperIjLb1EEEEE10hipError_tT1_PNSt15iterator_traitsISG_E10value_typeET2_T3_PNSH_ISM_E10value_typeET4_T5_PSR_SS_PNS1_23onesweep_lookback_stateEbbT6_jjT7_P12ihipStream_tbENKUlT_T0_SG_SL_E_clIS7_S7_SB_SB_EEDaSZ_S10_SG_SL_EUlSZ_E_NS1_11comp_targetILNS1_3genE0ELNS1_11target_archE4294967295ELNS1_3gpuE0ELNS1_3repE0EEENS1_47radix_sort_onesweep_sort_config_static_selectorELNS0_4arch9wavefront6targetE1EEEvSG_.num_vgpr, 0
	.set _ZN7rocprim17ROCPRIM_400000_NS6detail17trampoline_kernelINS0_14default_configENS1_35radix_sort_onesweep_config_selectorIhlEEZZNS1_29radix_sort_onesweep_iterationIS3_Lb0EPhS7_N6thrust23THRUST_200600_302600_NS10device_ptrIlEESB_jNS0_19identity_decomposerENS1_16block_id_wrapperIjLb1EEEEE10hipError_tT1_PNSt15iterator_traitsISG_E10value_typeET2_T3_PNSH_ISM_E10value_typeET4_T5_PSR_SS_PNS1_23onesweep_lookback_stateEbbT6_jjT7_P12ihipStream_tbENKUlT_T0_SG_SL_E_clIS7_S7_SB_SB_EEDaSZ_S10_SG_SL_EUlSZ_E_NS1_11comp_targetILNS1_3genE0ELNS1_11target_archE4294967295ELNS1_3gpuE0ELNS1_3repE0EEENS1_47radix_sort_onesweep_sort_config_static_selectorELNS0_4arch9wavefront6targetE1EEEvSG_.num_agpr, 0
	.set _ZN7rocprim17ROCPRIM_400000_NS6detail17trampoline_kernelINS0_14default_configENS1_35radix_sort_onesweep_config_selectorIhlEEZZNS1_29radix_sort_onesweep_iterationIS3_Lb0EPhS7_N6thrust23THRUST_200600_302600_NS10device_ptrIlEESB_jNS0_19identity_decomposerENS1_16block_id_wrapperIjLb1EEEEE10hipError_tT1_PNSt15iterator_traitsISG_E10value_typeET2_T3_PNSH_ISM_E10value_typeET4_T5_PSR_SS_PNS1_23onesweep_lookback_stateEbbT6_jjT7_P12ihipStream_tbENKUlT_T0_SG_SL_E_clIS7_S7_SB_SB_EEDaSZ_S10_SG_SL_EUlSZ_E_NS1_11comp_targetILNS1_3genE0ELNS1_11target_archE4294967295ELNS1_3gpuE0ELNS1_3repE0EEENS1_47radix_sort_onesweep_sort_config_static_selectorELNS0_4arch9wavefront6targetE1EEEvSG_.numbered_sgpr, 0
	.set _ZN7rocprim17ROCPRIM_400000_NS6detail17trampoline_kernelINS0_14default_configENS1_35radix_sort_onesweep_config_selectorIhlEEZZNS1_29radix_sort_onesweep_iterationIS3_Lb0EPhS7_N6thrust23THRUST_200600_302600_NS10device_ptrIlEESB_jNS0_19identity_decomposerENS1_16block_id_wrapperIjLb1EEEEE10hipError_tT1_PNSt15iterator_traitsISG_E10value_typeET2_T3_PNSH_ISM_E10value_typeET4_T5_PSR_SS_PNS1_23onesweep_lookback_stateEbbT6_jjT7_P12ihipStream_tbENKUlT_T0_SG_SL_E_clIS7_S7_SB_SB_EEDaSZ_S10_SG_SL_EUlSZ_E_NS1_11comp_targetILNS1_3genE0ELNS1_11target_archE4294967295ELNS1_3gpuE0ELNS1_3repE0EEENS1_47radix_sort_onesweep_sort_config_static_selectorELNS0_4arch9wavefront6targetE1EEEvSG_.num_named_barrier, 0
	.set _ZN7rocprim17ROCPRIM_400000_NS6detail17trampoline_kernelINS0_14default_configENS1_35radix_sort_onesweep_config_selectorIhlEEZZNS1_29radix_sort_onesweep_iterationIS3_Lb0EPhS7_N6thrust23THRUST_200600_302600_NS10device_ptrIlEESB_jNS0_19identity_decomposerENS1_16block_id_wrapperIjLb1EEEEE10hipError_tT1_PNSt15iterator_traitsISG_E10value_typeET2_T3_PNSH_ISM_E10value_typeET4_T5_PSR_SS_PNS1_23onesweep_lookback_stateEbbT6_jjT7_P12ihipStream_tbENKUlT_T0_SG_SL_E_clIS7_S7_SB_SB_EEDaSZ_S10_SG_SL_EUlSZ_E_NS1_11comp_targetILNS1_3genE0ELNS1_11target_archE4294967295ELNS1_3gpuE0ELNS1_3repE0EEENS1_47radix_sort_onesweep_sort_config_static_selectorELNS0_4arch9wavefront6targetE1EEEvSG_.private_seg_size, 0
	.set _ZN7rocprim17ROCPRIM_400000_NS6detail17trampoline_kernelINS0_14default_configENS1_35radix_sort_onesweep_config_selectorIhlEEZZNS1_29radix_sort_onesweep_iterationIS3_Lb0EPhS7_N6thrust23THRUST_200600_302600_NS10device_ptrIlEESB_jNS0_19identity_decomposerENS1_16block_id_wrapperIjLb1EEEEE10hipError_tT1_PNSt15iterator_traitsISG_E10value_typeET2_T3_PNSH_ISM_E10value_typeET4_T5_PSR_SS_PNS1_23onesweep_lookback_stateEbbT6_jjT7_P12ihipStream_tbENKUlT_T0_SG_SL_E_clIS7_S7_SB_SB_EEDaSZ_S10_SG_SL_EUlSZ_E_NS1_11comp_targetILNS1_3genE0ELNS1_11target_archE4294967295ELNS1_3gpuE0ELNS1_3repE0EEENS1_47radix_sort_onesweep_sort_config_static_selectorELNS0_4arch9wavefront6targetE1EEEvSG_.uses_vcc, 0
	.set _ZN7rocprim17ROCPRIM_400000_NS6detail17trampoline_kernelINS0_14default_configENS1_35radix_sort_onesweep_config_selectorIhlEEZZNS1_29radix_sort_onesweep_iterationIS3_Lb0EPhS7_N6thrust23THRUST_200600_302600_NS10device_ptrIlEESB_jNS0_19identity_decomposerENS1_16block_id_wrapperIjLb1EEEEE10hipError_tT1_PNSt15iterator_traitsISG_E10value_typeET2_T3_PNSH_ISM_E10value_typeET4_T5_PSR_SS_PNS1_23onesweep_lookback_stateEbbT6_jjT7_P12ihipStream_tbENKUlT_T0_SG_SL_E_clIS7_S7_SB_SB_EEDaSZ_S10_SG_SL_EUlSZ_E_NS1_11comp_targetILNS1_3genE0ELNS1_11target_archE4294967295ELNS1_3gpuE0ELNS1_3repE0EEENS1_47radix_sort_onesweep_sort_config_static_selectorELNS0_4arch9wavefront6targetE1EEEvSG_.uses_flat_scratch, 0
	.set _ZN7rocprim17ROCPRIM_400000_NS6detail17trampoline_kernelINS0_14default_configENS1_35radix_sort_onesweep_config_selectorIhlEEZZNS1_29radix_sort_onesweep_iterationIS3_Lb0EPhS7_N6thrust23THRUST_200600_302600_NS10device_ptrIlEESB_jNS0_19identity_decomposerENS1_16block_id_wrapperIjLb1EEEEE10hipError_tT1_PNSt15iterator_traitsISG_E10value_typeET2_T3_PNSH_ISM_E10value_typeET4_T5_PSR_SS_PNS1_23onesweep_lookback_stateEbbT6_jjT7_P12ihipStream_tbENKUlT_T0_SG_SL_E_clIS7_S7_SB_SB_EEDaSZ_S10_SG_SL_EUlSZ_E_NS1_11comp_targetILNS1_3genE0ELNS1_11target_archE4294967295ELNS1_3gpuE0ELNS1_3repE0EEENS1_47radix_sort_onesweep_sort_config_static_selectorELNS0_4arch9wavefront6targetE1EEEvSG_.has_dyn_sized_stack, 0
	.set _ZN7rocprim17ROCPRIM_400000_NS6detail17trampoline_kernelINS0_14default_configENS1_35radix_sort_onesweep_config_selectorIhlEEZZNS1_29radix_sort_onesweep_iterationIS3_Lb0EPhS7_N6thrust23THRUST_200600_302600_NS10device_ptrIlEESB_jNS0_19identity_decomposerENS1_16block_id_wrapperIjLb1EEEEE10hipError_tT1_PNSt15iterator_traitsISG_E10value_typeET2_T3_PNSH_ISM_E10value_typeET4_T5_PSR_SS_PNS1_23onesweep_lookback_stateEbbT6_jjT7_P12ihipStream_tbENKUlT_T0_SG_SL_E_clIS7_S7_SB_SB_EEDaSZ_S10_SG_SL_EUlSZ_E_NS1_11comp_targetILNS1_3genE0ELNS1_11target_archE4294967295ELNS1_3gpuE0ELNS1_3repE0EEENS1_47radix_sort_onesweep_sort_config_static_selectorELNS0_4arch9wavefront6targetE1EEEvSG_.has_recursion, 0
	.set _ZN7rocprim17ROCPRIM_400000_NS6detail17trampoline_kernelINS0_14default_configENS1_35radix_sort_onesweep_config_selectorIhlEEZZNS1_29radix_sort_onesweep_iterationIS3_Lb0EPhS7_N6thrust23THRUST_200600_302600_NS10device_ptrIlEESB_jNS0_19identity_decomposerENS1_16block_id_wrapperIjLb1EEEEE10hipError_tT1_PNSt15iterator_traitsISG_E10value_typeET2_T3_PNSH_ISM_E10value_typeET4_T5_PSR_SS_PNS1_23onesweep_lookback_stateEbbT6_jjT7_P12ihipStream_tbENKUlT_T0_SG_SL_E_clIS7_S7_SB_SB_EEDaSZ_S10_SG_SL_EUlSZ_E_NS1_11comp_targetILNS1_3genE0ELNS1_11target_archE4294967295ELNS1_3gpuE0ELNS1_3repE0EEENS1_47radix_sort_onesweep_sort_config_static_selectorELNS0_4arch9wavefront6targetE1EEEvSG_.has_indirect_call, 0
	.section	.AMDGPU.csdata,"",@progbits
; Kernel info:
; codeLenInByte = 0
; TotalNumSgprs: 4
; NumVgprs: 0
; ScratchSize: 0
; MemoryBound: 0
; FloatMode: 240
; IeeeMode: 1
; LDSByteSize: 0 bytes/workgroup (compile time only)
; SGPRBlocks: 0
; VGPRBlocks: 0
; NumSGPRsForWavesPerEU: 4
; NumVGPRsForWavesPerEU: 1
; Occupancy: 10
; WaveLimiterHint : 0
; COMPUTE_PGM_RSRC2:SCRATCH_EN: 0
; COMPUTE_PGM_RSRC2:USER_SGPR: 6
; COMPUTE_PGM_RSRC2:TRAP_HANDLER: 0
; COMPUTE_PGM_RSRC2:TGID_X_EN: 1
; COMPUTE_PGM_RSRC2:TGID_Y_EN: 0
; COMPUTE_PGM_RSRC2:TGID_Z_EN: 0
; COMPUTE_PGM_RSRC2:TIDIG_COMP_CNT: 0
	.section	.text._ZN7rocprim17ROCPRIM_400000_NS6detail17trampoline_kernelINS0_14default_configENS1_35radix_sort_onesweep_config_selectorIhlEEZZNS1_29radix_sort_onesweep_iterationIS3_Lb0EPhS7_N6thrust23THRUST_200600_302600_NS10device_ptrIlEESB_jNS0_19identity_decomposerENS1_16block_id_wrapperIjLb1EEEEE10hipError_tT1_PNSt15iterator_traitsISG_E10value_typeET2_T3_PNSH_ISM_E10value_typeET4_T5_PSR_SS_PNS1_23onesweep_lookback_stateEbbT6_jjT7_P12ihipStream_tbENKUlT_T0_SG_SL_E_clIS7_S7_SB_SB_EEDaSZ_S10_SG_SL_EUlSZ_E_NS1_11comp_targetILNS1_3genE6ELNS1_11target_archE950ELNS1_3gpuE13ELNS1_3repE0EEENS1_47radix_sort_onesweep_sort_config_static_selectorELNS0_4arch9wavefront6targetE1EEEvSG_,"axG",@progbits,_ZN7rocprim17ROCPRIM_400000_NS6detail17trampoline_kernelINS0_14default_configENS1_35radix_sort_onesweep_config_selectorIhlEEZZNS1_29radix_sort_onesweep_iterationIS3_Lb0EPhS7_N6thrust23THRUST_200600_302600_NS10device_ptrIlEESB_jNS0_19identity_decomposerENS1_16block_id_wrapperIjLb1EEEEE10hipError_tT1_PNSt15iterator_traitsISG_E10value_typeET2_T3_PNSH_ISM_E10value_typeET4_T5_PSR_SS_PNS1_23onesweep_lookback_stateEbbT6_jjT7_P12ihipStream_tbENKUlT_T0_SG_SL_E_clIS7_S7_SB_SB_EEDaSZ_S10_SG_SL_EUlSZ_E_NS1_11comp_targetILNS1_3genE6ELNS1_11target_archE950ELNS1_3gpuE13ELNS1_3repE0EEENS1_47radix_sort_onesweep_sort_config_static_selectorELNS0_4arch9wavefront6targetE1EEEvSG_,comdat
	.protected	_ZN7rocprim17ROCPRIM_400000_NS6detail17trampoline_kernelINS0_14default_configENS1_35radix_sort_onesweep_config_selectorIhlEEZZNS1_29radix_sort_onesweep_iterationIS3_Lb0EPhS7_N6thrust23THRUST_200600_302600_NS10device_ptrIlEESB_jNS0_19identity_decomposerENS1_16block_id_wrapperIjLb1EEEEE10hipError_tT1_PNSt15iterator_traitsISG_E10value_typeET2_T3_PNSH_ISM_E10value_typeET4_T5_PSR_SS_PNS1_23onesweep_lookback_stateEbbT6_jjT7_P12ihipStream_tbENKUlT_T0_SG_SL_E_clIS7_S7_SB_SB_EEDaSZ_S10_SG_SL_EUlSZ_E_NS1_11comp_targetILNS1_3genE6ELNS1_11target_archE950ELNS1_3gpuE13ELNS1_3repE0EEENS1_47radix_sort_onesweep_sort_config_static_selectorELNS0_4arch9wavefront6targetE1EEEvSG_ ; -- Begin function _ZN7rocprim17ROCPRIM_400000_NS6detail17trampoline_kernelINS0_14default_configENS1_35radix_sort_onesweep_config_selectorIhlEEZZNS1_29radix_sort_onesweep_iterationIS3_Lb0EPhS7_N6thrust23THRUST_200600_302600_NS10device_ptrIlEESB_jNS0_19identity_decomposerENS1_16block_id_wrapperIjLb1EEEEE10hipError_tT1_PNSt15iterator_traitsISG_E10value_typeET2_T3_PNSH_ISM_E10value_typeET4_T5_PSR_SS_PNS1_23onesweep_lookback_stateEbbT6_jjT7_P12ihipStream_tbENKUlT_T0_SG_SL_E_clIS7_S7_SB_SB_EEDaSZ_S10_SG_SL_EUlSZ_E_NS1_11comp_targetILNS1_3genE6ELNS1_11target_archE950ELNS1_3gpuE13ELNS1_3repE0EEENS1_47radix_sort_onesweep_sort_config_static_selectorELNS0_4arch9wavefront6targetE1EEEvSG_
	.globl	_ZN7rocprim17ROCPRIM_400000_NS6detail17trampoline_kernelINS0_14default_configENS1_35radix_sort_onesweep_config_selectorIhlEEZZNS1_29radix_sort_onesweep_iterationIS3_Lb0EPhS7_N6thrust23THRUST_200600_302600_NS10device_ptrIlEESB_jNS0_19identity_decomposerENS1_16block_id_wrapperIjLb1EEEEE10hipError_tT1_PNSt15iterator_traitsISG_E10value_typeET2_T3_PNSH_ISM_E10value_typeET4_T5_PSR_SS_PNS1_23onesweep_lookback_stateEbbT6_jjT7_P12ihipStream_tbENKUlT_T0_SG_SL_E_clIS7_S7_SB_SB_EEDaSZ_S10_SG_SL_EUlSZ_E_NS1_11comp_targetILNS1_3genE6ELNS1_11target_archE950ELNS1_3gpuE13ELNS1_3repE0EEENS1_47radix_sort_onesweep_sort_config_static_selectorELNS0_4arch9wavefront6targetE1EEEvSG_
	.p2align	8
	.type	_ZN7rocprim17ROCPRIM_400000_NS6detail17trampoline_kernelINS0_14default_configENS1_35radix_sort_onesweep_config_selectorIhlEEZZNS1_29radix_sort_onesweep_iterationIS3_Lb0EPhS7_N6thrust23THRUST_200600_302600_NS10device_ptrIlEESB_jNS0_19identity_decomposerENS1_16block_id_wrapperIjLb1EEEEE10hipError_tT1_PNSt15iterator_traitsISG_E10value_typeET2_T3_PNSH_ISM_E10value_typeET4_T5_PSR_SS_PNS1_23onesweep_lookback_stateEbbT6_jjT7_P12ihipStream_tbENKUlT_T0_SG_SL_E_clIS7_S7_SB_SB_EEDaSZ_S10_SG_SL_EUlSZ_E_NS1_11comp_targetILNS1_3genE6ELNS1_11target_archE950ELNS1_3gpuE13ELNS1_3repE0EEENS1_47radix_sort_onesweep_sort_config_static_selectorELNS0_4arch9wavefront6targetE1EEEvSG_,@function
_ZN7rocprim17ROCPRIM_400000_NS6detail17trampoline_kernelINS0_14default_configENS1_35radix_sort_onesweep_config_selectorIhlEEZZNS1_29radix_sort_onesweep_iterationIS3_Lb0EPhS7_N6thrust23THRUST_200600_302600_NS10device_ptrIlEESB_jNS0_19identity_decomposerENS1_16block_id_wrapperIjLb1EEEEE10hipError_tT1_PNSt15iterator_traitsISG_E10value_typeET2_T3_PNSH_ISM_E10value_typeET4_T5_PSR_SS_PNS1_23onesweep_lookback_stateEbbT6_jjT7_P12ihipStream_tbENKUlT_T0_SG_SL_E_clIS7_S7_SB_SB_EEDaSZ_S10_SG_SL_EUlSZ_E_NS1_11comp_targetILNS1_3genE6ELNS1_11target_archE950ELNS1_3gpuE13ELNS1_3repE0EEENS1_47radix_sort_onesweep_sort_config_static_selectorELNS0_4arch9wavefront6targetE1EEEvSG_: ; @_ZN7rocprim17ROCPRIM_400000_NS6detail17trampoline_kernelINS0_14default_configENS1_35radix_sort_onesweep_config_selectorIhlEEZZNS1_29radix_sort_onesweep_iterationIS3_Lb0EPhS7_N6thrust23THRUST_200600_302600_NS10device_ptrIlEESB_jNS0_19identity_decomposerENS1_16block_id_wrapperIjLb1EEEEE10hipError_tT1_PNSt15iterator_traitsISG_E10value_typeET2_T3_PNSH_ISM_E10value_typeET4_T5_PSR_SS_PNS1_23onesweep_lookback_stateEbbT6_jjT7_P12ihipStream_tbENKUlT_T0_SG_SL_E_clIS7_S7_SB_SB_EEDaSZ_S10_SG_SL_EUlSZ_E_NS1_11comp_targetILNS1_3genE6ELNS1_11target_archE950ELNS1_3gpuE13ELNS1_3repE0EEENS1_47radix_sort_onesweep_sort_config_static_selectorELNS0_4arch9wavefront6targetE1EEEvSG_
; %bb.0:
	.section	.rodata,"a",@progbits
	.p2align	6, 0x0
	.amdhsa_kernel _ZN7rocprim17ROCPRIM_400000_NS6detail17trampoline_kernelINS0_14default_configENS1_35radix_sort_onesweep_config_selectorIhlEEZZNS1_29radix_sort_onesweep_iterationIS3_Lb0EPhS7_N6thrust23THRUST_200600_302600_NS10device_ptrIlEESB_jNS0_19identity_decomposerENS1_16block_id_wrapperIjLb1EEEEE10hipError_tT1_PNSt15iterator_traitsISG_E10value_typeET2_T3_PNSH_ISM_E10value_typeET4_T5_PSR_SS_PNS1_23onesweep_lookback_stateEbbT6_jjT7_P12ihipStream_tbENKUlT_T0_SG_SL_E_clIS7_S7_SB_SB_EEDaSZ_S10_SG_SL_EUlSZ_E_NS1_11comp_targetILNS1_3genE6ELNS1_11target_archE950ELNS1_3gpuE13ELNS1_3repE0EEENS1_47radix_sort_onesweep_sort_config_static_selectorELNS0_4arch9wavefront6targetE1EEEvSG_
		.amdhsa_group_segment_fixed_size 0
		.amdhsa_private_segment_fixed_size 0
		.amdhsa_kernarg_size 88
		.amdhsa_user_sgpr_count 6
		.amdhsa_user_sgpr_private_segment_buffer 1
		.amdhsa_user_sgpr_dispatch_ptr 0
		.amdhsa_user_sgpr_queue_ptr 0
		.amdhsa_user_sgpr_kernarg_segment_ptr 1
		.amdhsa_user_sgpr_dispatch_id 0
		.amdhsa_user_sgpr_flat_scratch_init 0
		.amdhsa_user_sgpr_private_segment_size 0
		.amdhsa_uses_dynamic_stack 0
		.amdhsa_system_sgpr_private_segment_wavefront_offset 0
		.amdhsa_system_sgpr_workgroup_id_x 1
		.amdhsa_system_sgpr_workgroup_id_y 0
		.amdhsa_system_sgpr_workgroup_id_z 0
		.amdhsa_system_sgpr_workgroup_info 0
		.amdhsa_system_vgpr_workitem_id 0
		.amdhsa_next_free_vgpr 1
		.amdhsa_next_free_sgpr 0
		.amdhsa_reserve_vcc 0
		.amdhsa_reserve_flat_scratch 0
		.amdhsa_float_round_mode_32 0
		.amdhsa_float_round_mode_16_64 0
		.amdhsa_float_denorm_mode_32 3
		.amdhsa_float_denorm_mode_16_64 3
		.amdhsa_dx10_clamp 1
		.amdhsa_ieee_mode 1
		.amdhsa_fp16_overflow 0
		.amdhsa_exception_fp_ieee_invalid_op 0
		.amdhsa_exception_fp_denorm_src 0
		.amdhsa_exception_fp_ieee_div_zero 0
		.amdhsa_exception_fp_ieee_overflow 0
		.amdhsa_exception_fp_ieee_underflow 0
		.amdhsa_exception_fp_ieee_inexact 0
		.amdhsa_exception_int_div_zero 0
	.end_amdhsa_kernel
	.section	.text._ZN7rocprim17ROCPRIM_400000_NS6detail17trampoline_kernelINS0_14default_configENS1_35radix_sort_onesweep_config_selectorIhlEEZZNS1_29radix_sort_onesweep_iterationIS3_Lb0EPhS7_N6thrust23THRUST_200600_302600_NS10device_ptrIlEESB_jNS0_19identity_decomposerENS1_16block_id_wrapperIjLb1EEEEE10hipError_tT1_PNSt15iterator_traitsISG_E10value_typeET2_T3_PNSH_ISM_E10value_typeET4_T5_PSR_SS_PNS1_23onesweep_lookback_stateEbbT6_jjT7_P12ihipStream_tbENKUlT_T0_SG_SL_E_clIS7_S7_SB_SB_EEDaSZ_S10_SG_SL_EUlSZ_E_NS1_11comp_targetILNS1_3genE6ELNS1_11target_archE950ELNS1_3gpuE13ELNS1_3repE0EEENS1_47radix_sort_onesweep_sort_config_static_selectorELNS0_4arch9wavefront6targetE1EEEvSG_,"axG",@progbits,_ZN7rocprim17ROCPRIM_400000_NS6detail17trampoline_kernelINS0_14default_configENS1_35radix_sort_onesweep_config_selectorIhlEEZZNS1_29radix_sort_onesweep_iterationIS3_Lb0EPhS7_N6thrust23THRUST_200600_302600_NS10device_ptrIlEESB_jNS0_19identity_decomposerENS1_16block_id_wrapperIjLb1EEEEE10hipError_tT1_PNSt15iterator_traitsISG_E10value_typeET2_T3_PNSH_ISM_E10value_typeET4_T5_PSR_SS_PNS1_23onesweep_lookback_stateEbbT6_jjT7_P12ihipStream_tbENKUlT_T0_SG_SL_E_clIS7_S7_SB_SB_EEDaSZ_S10_SG_SL_EUlSZ_E_NS1_11comp_targetILNS1_3genE6ELNS1_11target_archE950ELNS1_3gpuE13ELNS1_3repE0EEENS1_47radix_sort_onesweep_sort_config_static_selectorELNS0_4arch9wavefront6targetE1EEEvSG_,comdat
.Lfunc_end265:
	.size	_ZN7rocprim17ROCPRIM_400000_NS6detail17trampoline_kernelINS0_14default_configENS1_35radix_sort_onesweep_config_selectorIhlEEZZNS1_29radix_sort_onesweep_iterationIS3_Lb0EPhS7_N6thrust23THRUST_200600_302600_NS10device_ptrIlEESB_jNS0_19identity_decomposerENS1_16block_id_wrapperIjLb1EEEEE10hipError_tT1_PNSt15iterator_traitsISG_E10value_typeET2_T3_PNSH_ISM_E10value_typeET4_T5_PSR_SS_PNS1_23onesweep_lookback_stateEbbT6_jjT7_P12ihipStream_tbENKUlT_T0_SG_SL_E_clIS7_S7_SB_SB_EEDaSZ_S10_SG_SL_EUlSZ_E_NS1_11comp_targetILNS1_3genE6ELNS1_11target_archE950ELNS1_3gpuE13ELNS1_3repE0EEENS1_47radix_sort_onesweep_sort_config_static_selectorELNS0_4arch9wavefront6targetE1EEEvSG_, .Lfunc_end265-_ZN7rocprim17ROCPRIM_400000_NS6detail17trampoline_kernelINS0_14default_configENS1_35radix_sort_onesweep_config_selectorIhlEEZZNS1_29radix_sort_onesweep_iterationIS3_Lb0EPhS7_N6thrust23THRUST_200600_302600_NS10device_ptrIlEESB_jNS0_19identity_decomposerENS1_16block_id_wrapperIjLb1EEEEE10hipError_tT1_PNSt15iterator_traitsISG_E10value_typeET2_T3_PNSH_ISM_E10value_typeET4_T5_PSR_SS_PNS1_23onesweep_lookback_stateEbbT6_jjT7_P12ihipStream_tbENKUlT_T0_SG_SL_E_clIS7_S7_SB_SB_EEDaSZ_S10_SG_SL_EUlSZ_E_NS1_11comp_targetILNS1_3genE6ELNS1_11target_archE950ELNS1_3gpuE13ELNS1_3repE0EEENS1_47radix_sort_onesweep_sort_config_static_selectorELNS0_4arch9wavefront6targetE1EEEvSG_
                                        ; -- End function
	.set _ZN7rocprim17ROCPRIM_400000_NS6detail17trampoline_kernelINS0_14default_configENS1_35radix_sort_onesweep_config_selectorIhlEEZZNS1_29radix_sort_onesweep_iterationIS3_Lb0EPhS7_N6thrust23THRUST_200600_302600_NS10device_ptrIlEESB_jNS0_19identity_decomposerENS1_16block_id_wrapperIjLb1EEEEE10hipError_tT1_PNSt15iterator_traitsISG_E10value_typeET2_T3_PNSH_ISM_E10value_typeET4_T5_PSR_SS_PNS1_23onesweep_lookback_stateEbbT6_jjT7_P12ihipStream_tbENKUlT_T0_SG_SL_E_clIS7_S7_SB_SB_EEDaSZ_S10_SG_SL_EUlSZ_E_NS1_11comp_targetILNS1_3genE6ELNS1_11target_archE950ELNS1_3gpuE13ELNS1_3repE0EEENS1_47radix_sort_onesweep_sort_config_static_selectorELNS0_4arch9wavefront6targetE1EEEvSG_.num_vgpr, 0
	.set _ZN7rocprim17ROCPRIM_400000_NS6detail17trampoline_kernelINS0_14default_configENS1_35radix_sort_onesweep_config_selectorIhlEEZZNS1_29radix_sort_onesweep_iterationIS3_Lb0EPhS7_N6thrust23THRUST_200600_302600_NS10device_ptrIlEESB_jNS0_19identity_decomposerENS1_16block_id_wrapperIjLb1EEEEE10hipError_tT1_PNSt15iterator_traitsISG_E10value_typeET2_T3_PNSH_ISM_E10value_typeET4_T5_PSR_SS_PNS1_23onesweep_lookback_stateEbbT6_jjT7_P12ihipStream_tbENKUlT_T0_SG_SL_E_clIS7_S7_SB_SB_EEDaSZ_S10_SG_SL_EUlSZ_E_NS1_11comp_targetILNS1_3genE6ELNS1_11target_archE950ELNS1_3gpuE13ELNS1_3repE0EEENS1_47radix_sort_onesweep_sort_config_static_selectorELNS0_4arch9wavefront6targetE1EEEvSG_.num_agpr, 0
	.set _ZN7rocprim17ROCPRIM_400000_NS6detail17trampoline_kernelINS0_14default_configENS1_35radix_sort_onesweep_config_selectorIhlEEZZNS1_29radix_sort_onesweep_iterationIS3_Lb0EPhS7_N6thrust23THRUST_200600_302600_NS10device_ptrIlEESB_jNS0_19identity_decomposerENS1_16block_id_wrapperIjLb1EEEEE10hipError_tT1_PNSt15iterator_traitsISG_E10value_typeET2_T3_PNSH_ISM_E10value_typeET4_T5_PSR_SS_PNS1_23onesweep_lookback_stateEbbT6_jjT7_P12ihipStream_tbENKUlT_T0_SG_SL_E_clIS7_S7_SB_SB_EEDaSZ_S10_SG_SL_EUlSZ_E_NS1_11comp_targetILNS1_3genE6ELNS1_11target_archE950ELNS1_3gpuE13ELNS1_3repE0EEENS1_47radix_sort_onesweep_sort_config_static_selectorELNS0_4arch9wavefront6targetE1EEEvSG_.numbered_sgpr, 0
	.set _ZN7rocprim17ROCPRIM_400000_NS6detail17trampoline_kernelINS0_14default_configENS1_35radix_sort_onesweep_config_selectorIhlEEZZNS1_29radix_sort_onesweep_iterationIS3_Lb0EPhS7_N6thrust23THRUST_200600_302600_NS10device_ptrIlEESB_jNS0_19identity_decomposerENS1_16block_id_wrapperIjLb1EEEEE10hipError_tT1_PNSt15iterator_traitsISG_E10value_typeET2_T3_PNSH_ISM_E10value_typeET4_T5_PSR_SS_PNS1_23onesweep_lookback_stateEbbT6_jjT7_P12ihipStream_tbENKUlT_T0_SG_SL_E_clIS7_S7_SB_SB_EEDaSZ_S10_SG_SL_EUlSZ_E_NS1_11comp_targetILNS1_3genE6ELNS1_11target_archE950ELNS1_3gpuE13ELNS1_3repE0EEENS1_47radix_sort_onesweep_sort_config_static_selectorELNS0_4arch9wavefront6targetE1EEEvSG_.num_named_barrier, 0
	.set _ZN7rocprim17ROCPRIM_400000_NS6detail17trampoline_kernelINS0_14default_configENS1_35radix_sort_onesweep_config_selectorIhlEEZZNS1_29radix_sort_onesweep_iterationIS3_Lb0EPhS7_N6thrust23THRUST_200600_302600_NS10device_ptrIlEESB_jNS0_19identity_decomposerENS1_16block_id_wrapperIjLb1EEEEE10hipError_tT1_PNSt15iterator_traitsISG_E10value_typeET2_T3_PNSH_ISM_E10value_typeET4_T5_PSR_SS_PNS1_23onesweep_lookback_stateEbbT6_jjT7_P12ihipStream_tbENKUlT_T0_SG_SL_E_clIS7_S7_SB_SB_EEDaSZ_S10_SG_SL_EUlSZ_E_NS1_11comp_targetILNS1_3genE6ELNS1_11target_archE950ELNS1_3gpuE13ELNS1_3repE0EEENS1_47radix_sort_onesweep_sort_config_static_selectorELNS0_4arch9wavefront6targetE1EEEvSG_.private_seg_size, 0
	.set _ZN7rocprim17ROCPRIM_400000_NS6detail17trampoline_kernelINS0_14default_configENS1_35radix_sort_onesweep_config_selectorIhlEEZZNS1_29radix_sort_onesweep_iterationIS3_Lb0EPhS7_N6thrust23THRUST_200600_302600_NS10device_ptrIlEESB_jNS0_19identity_decomposerENS1_16block_id_wrapperIjLb1EEEEE10hipError_tT1_PNSt15iterator_traitsISG_E10value_typeET2_T3_PNSH_ISM_E10value_typeET4_T5_PSR_SS_PNS1_23onesweep_lookback_stateEbbT6_jjT7_P12ihipStream_tbENKUlT_T0_SG_SL_E_clIS7_S7_SB_SB_EEDaSZ_S10_SG_SL_EUlSZ_E_NS1_11comp_targetILNS1_3genE6ELNS1_11target_archE950ELNS1_3gpuE13ELNS1_3repE0EEENS1_47radix_sort_onesweep_sort_config_static_selectorELNS0_4arch9wavefront6targetE1EEEvSG_.uses_vcc, 0
	.set _ZN7rocprim17ROCPRIM_400000_NS6detail17trampoline_kernelINS0_14default_configENS1_35radix_sort_onesweep_config_selectorIhlEEZZNS1_29radix_sort_onesweep_iterationIS3_Lb0EPhS7_N6thrust23THRUST_200600_302600_NS10device_ptrIlEESB_jNS0_19identity_decomposerENS1_16block_id_wrapperIjLb1EEEEE10hipError_tT1_PNSt15iterator_traitsISG_E10value_typeET2_T3_PNSH_ISM_E10value_typeET4_T5_PSR_SS_PNS1_23onesweep_lookback_stateEbbT6_jjT7_P12ihipStream_tbENKUlT_T0_SG_SL_E_clIS7_S7_SB_SB_EEDaSZ_S10_SG_SL_EUlSZ_E_NS1_11comp_targetILNS1_3genE6ELNS1_11target_archE950ELNS1_3gpuE13ELNS1_3repE0EEENS1_47radix_sort_onesweep_sort_config_static_selectorELNS0_4arch9wavefront6targetE1EEEvSG_.uses_flat_scratch, 0
	.set _ZN7rocprim17ROCPRIM_400000_NS6detail17trampoline_kernelINS0_14default_configENS1_35radix_sort_onesweep_config_selectorIhlEEZZNS1_29radix_sort_onesweep_iterationIS3_Lb0EPhS7_N6thrust23THRUST_200600_302600_NS10device_ptrIlEESB_jNS0_19identity_decomposerENS1_16block_id_wrapperIjLb1EEEEE10hipError_tT1_PNSt15iterator_traitsISG_E10value_typeET2_T3_PNSH_ISM_E10value_typeET4_T5_PSR_SS_PNS1_23onesweep_lookback_stateEbbT6_jjT7_P12ihipStream_tbENKUlT_T0_SG_SL_E_clIS7_S7_SB_SB_EEDaSZ_S10_SG_SL_EUlSZ_E_NS1_11comp_targetILNS1_3genE6ELNS1_11target_archE950ELNS1_3gpuE13ELNS1_3repE0EEENS1_47radix_sort_onesweep_sort_config_static_selectorELNS0_4arch9wavefront6targetE1EEEvSG_.has_dyn_sized_stack, 0
	.set _ZN7rocprim17ROCPRIM_400000_NS6detail17trampoline_kernelINS0_14default_configENS1_35radix_sort_onesweep_config_selectorIhlEEZZNS1_29radix_sort_onesweep_iterationIS3_Lb0EPhS7_N6thrust23THRUST_200600_302600_NS10device_ptrIlEESB_jNS0_19identity_decomposerENS1_16block_id_wrapperIjLb1EEEEE10hipError_tT1_PNSt15iterator_traitsISG_E10value_typeET2_T3_PNSH_ISM_E10value_typeET4_T5_PSR_SS_PNS1_23onesweep_lookback_stateEbbT6_jjT7_P12ihipStream_tbENKUlT_T0_SG_SL_E_clIS7_S7_SB_SB_EEDaSZ_S10_SG_SL_EUlSZ_E_NS1_11comp_targetILNS1_3genE6ELNS1_11target_archE950ELNS1_3gpuE13ELNS1_3repE0EEENS1_47radix_sort_onesweep_sort_config_static_selectorELNS0_4arch9wavefront6targetE1EEEvSG_.has_recursion, 0
	.set _ZN7rocprim17ROCPRIM_400000_NS6detail17trampoline_kernelINS0_14default_configENS1_35radix_sort_onesweep_config_selectorIhlEEZZNS1_29radix_sort_onesweep_iterationIS3_Lb0EPhS7_N6thrust23THRUST_200600_302600_NS10device_ptrIlEESB_jNS0_19identity_decomposerENS1_16block_id_wrapperIjLb1EEEEE10hipError_tT1_PNSt15iterator_traitsISG_E10value_typeET2_T3_PNSH_ISM_E10value_typeET4_T5_PSR_SS_PNS1_23onesweep_lookback_stateEbbT6_jjT7_P12ihipStream_tbENKUlT_T0_SG_SL_E_clIS7_S7_SB_SB_EEDaSZ_S10_SG_SL_EUlSZ_E_NS1_11comp_targetILNS1_3genE6ELNS1_11target_archE950ELNS1_3gpuE13ELNS1_3repE0EEENS1_47radix_sort_onesweep_sort_config_static_selectorELNS0_4arch9wavefront6targetE1EEEvSG_.has_indirect_call, 0
	.section	.AMDGPU.csdata,"",@progbits
; Kernel info:
; codeLenInByte = 0
; TotalNumSgprs: 4
; NumVgprs: 0
; ScratchSize: 0
; MemoryBound: 0
; FloatMode: 240
; IeeeMode: 1
; LDSByteSize: 0 bytes/workgroup (compile time only)
; SGPRBlocks: 0
; VGPRBlocks: 0
; NumSGPRsForWavesPerEU: 4
; NumVGPRsForWavesPerEU: 1
; Occupancy: 10
; WaveLimiterHint : 0
; COMPUTE_PGM_RSRC2:SCRATCH_EN: 0
; COMPUTE_PGM_RSRC2:USER_SGPR: 6
; COMPUTE_PGM_RSRC2:TRAP_HANDLER: 0
; COMPUTE_PGM_RSRC2:TGID_X_EN: 1
; COMPUTE_PGM_RSRC2:TGID_Y_EN: 0
; COMPUTE_PGM_RSRC2:TGID_Z_EN: 0
; COMPUTE_PGM_RSRC2:TIDIG_COMP_CNT: 0
	.section	.text._ZN7rocprim17ROCPRIM_400000_NS6detail17trampoline_kernelINS0_14default_configENS1_35radix_sort_onesweep_config_selectorIhlEEZZNS1_29radix_sort_onesweep_iterationIS3_Lb0EPhS7_N6thrust23THRUST_200600_302600_NS10device_ptrIlEESB_jNS0_19identity_decomposerENS1_16block_id_wrapperIjLb1EEEEE10hipError_tT1_PNSt15iterator_traitsISG_E10value_typeET2_T3_PNSH_ISM_E10value_typeET4_T5_PSR_SS_PNS1_23onesweep_lookback_stateEbbT6_jjT7_P12ihipStream_tbENKUlT_T0_SG_SL_E_clIS7_S7_SB_SB_EEDaSZ_S10_SG_SL_EUlSZ_E_NS1_11comp_targetILNS1_3genE5ELNS1_11target_archE942ELNS1_3gpuE9ELNS1_3repE0EEENS1_47radix_sort_onesweep_sort_config_static_selectorELNS0_4arch9wavefront6targetE1EEEvSG_,"axG",@progbits,_ZN7rocprim17ROCPRIM_400000_NS6detail17trampoline_kernelINS0_14default_configENS1_35radix_sort_onesweep_config_selectorIhlEEZZNS1_29radix_sort_onesweep_iterationIS3_Lb0EPhS7_N6thrust23THRUST_200600_302600_NS10device_ptrIlEESB_jNS0_19identity_decomposerENS1_16block_id_wrapperIjLb1EEEEE10hipError_tT1_PNSt15iterator_traitsISG_E10value_typeET2_T3_PNSH_ISM_E10value_typeET4_T5_PSR_SS_PNS1_23onesweep_lookback_stateEbbT6_jjT7_P12ihipStream_tbENKUlT_T0_SG_SL_E_clIS7_S7_SB_SB_EEDaSZ_S10_SG_SL_EUlSZ_E_NS1_11comp_targetILNS1_3genE5ELNS1_11target_archE942ELNS1_3gpuE9ELNS1_3repE0EEENS1_47radix_sort_onesweep_sort_config_static_selectorELNS0_4arch9wavefront6targetE1EEEvSG_,comdat
	.protected	_ZN7rocprim17ROCPRIM_400000_NS6detail17trampoline_kernelINS0_14default_configENS1_35radix_sort_onesweep_config_selectorIhlEEZZNS1_29radix_sort_onesweep_iterationIS3_Lb0EPhS7_N6thrust23THRUST_200600_302600_NS10device_ptrIlEESB_jNS0_19identity_decomposerENS1_16block_id_wrapperIjLb1EEEEE10hipError_tT1_PNSt15iterator_traitsISG_E10value_typeET2_T3_PNSH_ISM_E10value_typeET4_T5_PSR_SS_PNS1_23onesweep_lookback_stateEbbT6_jjT7_P12ihipStream_tbENKUlT_T0_SG_SL_E_clIS7_S7_SB_SB_EEDaSZ_S10_SG_SL_EUlSZ_E_NS1_11comp_targetILNS1_3genE5ELNS1_11target_archE942ELNS1_3gpuE9ELNS1_3repE0EEENS1_47radix_sort_onesweep_sort_config_static_selectorELNS0_4arch9wavefront6targetE1EEEvSG_ ; -- Begin function _ZN7rocprim17ROCPRIM_400000_NS6detail17trampoline_kernelINS0_14default_configENS1_35radix_sort_onesweep_config_selectorIhlEEZZNS1_29radix_sort_onesweep_iterationIS3_Lb0EPhS7_N6thrust23THRUST_200600_302600_NS10device_ptrIlEESB_jNS0_19identity_decomposerENS1_16block_id_wrapperIjLb1EEEEE10hipError_tT1_PNSt15iterator_traitsISG_E10value_typeET2_T3_PNSH_ISM_E10value_typeET4_T5_PSR_SS_PNS1_23onesweep_lookback_stateEbbT6_jjT7_P12ihipStream_tbENKUlT_T0_SG_SL_E_clIS7_S7_SB_SB_EEDaSZ_S10_SG_SL_EUlSZ_E_NS1_11comp_targetILNS1_3genE5ELNS1_11target_archE942ELNS1_3gpuE9ELNS1_3repE0EEENS1_47radix_sort_onesweep_sort_config_static_selectorELNS0_4arch9wavefront6targetE1EEEvSG_
	.globl	_ZN7rocprim17ROCPRIM_400000_NS6detail17trampoline_kernelINS0_14default_configENS1_35radix_sort_onesweep_config_selectorIhlEEZZNS1_29radix_sort_onesweep_iterationIS3_Lb0EPhS7_N6thrust23THRUST_200600_302600_NS10device_ptrIlEESB_jNS0_19identity_decomposerENS1_16block_id_wrapperIjLb1EEEEE10hipError_tT1_PNSt15iterator_traitsISG_E10value_typeET2_T3_PNSH_ISM_E10value_typeET4_T5_PSR_SS_PNS1_23onesweep_lookback_stateEbbT6_jjT7_P12ihipStream_tbENKUlT_T0_SG_SL_E_clIS7_S7_SB_SB_EEDaSZ_S10_SG_SL_EUlSZ_E_NS1_11comp_targetILNS1_3genE5ELNS1_11target_archE942ELNS1_3gpuE9ELNS1_3repE0EEENS1_47radix_sort_onesweep_sort_config_static_selectorELNS0_4arch9wavefront6targetE1EEEvSG_
	.p2align	8
	.type	_ZN7rocprim17ROCPRIM_400000_NS6detail17trampoline_kernelINS0_14default_configENS1_35radix_sort_onesweep_config_selectorIhlEEZZNS1_29radix_sort_onesweep_iterationIS3_Lb0EPhS7_N6thrust23THRUST_200600_302600_NS10device_ptrIlEESB_jNS0_19identity_decomposerENS1_16block_id_wrapperIjLb1EEEEE10hipError_tT1_PNSt15iterator_traitsISG_E10value_typeET2_T3_PNSH_ISM_E10value_typeET4_T5_PSR_SS_PNS1_23onesweep_lookback_stateEbbT6_jjT7_P12ihipStream_tbENKUlT_T0_SG_SL_E_clIS7_S7_SB_SB_EEDaSZ_S10_SG_SL_EUlSZ_E_NS1_11comp_targetILNS1_3genE5ELNS1_11target_archE942ELNS1_3gpuE9ELNS1_3repE0EEENS1_47radix_sort_onesweep_sort_config_static_selectorELNS0_4arch9wavefront6targetE1EEEvSG_,@function
_ZN7rocprim17ROCPRIM_400000_NS6detail17trampoline_kernelINS0_14default_configENS1_35radix_sort_onesweep_config_selectorIhlEEZZNS1_29radix_sort_onesweep_iterationIS3_Lb0EPhS7_N6thrust23THRUST_200600_302600_NS10device_ptrIlEESB_jNS0_19identity_decomposerENS1_16block_id_wrapperIjLb1EEEEE10hipError_tT1_PNSt15iterator_traitsISG_E10value_typeET2_T3_PNSH_ISM_E10value_typeET4_T5_PSR_SS_PNS1_23onesweep_lookback_stateEbbT6_jjT7_P12ihipStream_tbENKUlT_T0_SG_SL_E_clIS7_S7_SB_SB_EEDaSZ_S10_SG_SL_EUlSZ_E_NS1_11comp_targetILNS1_3genE5ELNS1_11target_archE942ELNS1_3gpuE9ELNS1_3repE0EEENS1_47radix_sort_onesweep_sort_config_static_selectorELNS0_4arch9wavefront6targetE1EEEvSG_: ; @_ZN7rocprim17ROCPRIM_400000_NS6detail17trampoline_kernelINS0_14default_configENS1_35radix_sort_onesweep_config_selectorIhlEEZZNS1_29radix_sort_onesweep_iterationIS3_Lb0EPhS7_N6thrust23THRUST_200600_302600_NS10device_ptrIlEESB_jNS0_19identity_decomposerENS1_16block_id_wrapperIjLb1EEEEE10hipError_tT1_PNSt15iterator_traitsISG_E10value_typeET2_T3_PNSH_ISM_E10value_typeET4_T5_PSR_SS_PNS1_23onesweep_lookback_stateEbbT6_jjT7_P12ihipStream_tbENKUlT_T0_SG_SL_E_clIS7_S7_SB_SB_EEDaSZ_S10_SG_SL_EUlSZ_E_NS1_11comp_targetILNS1_3genE5ELNS1_11target_archE942ELNS1_3gpuE9ELNS1_3repE0EEENS1_47radix_sort_onesweep_sort_config_static_selectorELNS0_4arch9wavefront6targetE1EEEvSG_
; %bb.0:
	.section	.rodata,"a",@progbits
	.p2align	6, 0x0
	.amdhsa_kernel _ZN7rocprim17ROCPRIM_400000_NS6detail17trampoline_kernelINS0_14default_configENS1_35radix_sort_onesweep_config_selectorIhlEEZZNS1_29radix_sort_onesweep_iterationIS3_Lb0EPhS7_N6thrust23THRUST_200600_302600_NS10device_ptrIlEESB_jNS0_19identity_decomposerENS1_16block_id_wrapperIjLb1EEEEE10hipError_tT1_PNSt15iterator_traitsISG_E10value_typeET2_T3_PNSH_ISM_E10value_typeET4_T5_PSR_SS_PNS1_23onesweep_lookback_stateEbbT6_jjT7_P12ihipStream_tbENKUlT_T0_SG_SL_E_clIS7_S7_SB_SB_EEDaSZ_S10_SG_SL_EUlSZ_E_NS1_11comp_targetILNS1_3genE5ELNS1_11target_archE942ELNS1_3gpuE9ELNS1_3repE0EEENS1_47radix_sort_onesweep_sort_config_static_selectorELNS0_4arch9wavefront6targetE1EEEvSG_
		.amdhsa_group_segment_fixed_size 0
		.amdhsa_private_segment_fixed_size 0
		.amdhsa_kernarg_size 88
		.amdhsa_user_sgpr_count 6
		.amdhsa_user_sgpr_private_segment_buffer 1
		.amdhsa_user_sgpr_dispatch_ptr 0
		.amdhsa_user_sgpr_queue_ptr 0
		.amdhsa_user_sgpr_kernarg_segment_ptr 1
		.amdhsa_user_sgpr_dispatch_id 0
		.amdhsa_user_sgpr_flat_scratch_init 0
		.amdhsa_user_sgpr_private_segment_size 0
		.amdhsa_uses_dynamic_stack 0
		.amdhsa_system_sgpr_private_segment_wavefront_offset 0
		.amdhsa_system_sgpr_workgroup_id_x 1
		.amdhsa_system_sgpr_workgroup_id_y 0
		.amdhsa_system_sgpr_workgroup_id_z 0
		.amdhsa_system_sgpr_workgroup_info 0
		.amdhsa_system_vgpr_workitem_id 0
		.amdhsa_next_free_vgpr 1
		.amdhsa_next_free_sgpr 0
		.amdhsa_reserve_vcc 0
		.amdhsa_reserve_flat_scratch 0
		.amdhsa_float_round_mode_32 0
		.amdhsa_float_round_mode_16_64 0
		.amdhsa_float_denorm_mode_32 3
		.amdhsa_float_denorm_mode_16_64 3
		.amdhsa_dx10_clamp 1
		.amdhsa_ieee_mode 1
		.amdhsa_fp16_overflow 0
		.amdhsa_exception_fp_ieee_invalid_op 0
		.amdhsa_exception_fp_denorm_src 0
		.amdhsa_exception_fp_ieee_div_zero 0
		.amdhsa_exception_fp_ieee_overflow 0
		.amdhsa_exception_fp_ieee_underflow 0
		.amdhsa_exception_fp_ieee_inexact 0
		.amdhsa_exception_int_div_zero 0
	.end_amdhsa_kernel
	.section	.text._ZN7rocprim17ROCPRIM_400000_NS6detail17trampoline_kernelINS0_14default_configENS1_35radix_sort_onesweep_config_selectorIhlEEZZNS1_29radix_sort_onesweep_iterationIS3_Lb0EPhS7_N6thrust23THRUST_200600_302600_NS10device_ptrIlEESB_jNS0_19identity_decomposerENS1_16block_id_wrapperIjLb1EEEEE10hipError_tT1_PNSt15iterator_traitsISG_E10value_typeET2_T3_PNSH_ISM_E10value_typeET4_T5_PSR_SS_PNS1_23onesweep_lookback_stateEbbT6_jjT7_P12ihipStream_tbENKUlT_T0_SG_SL_E_clIS7_S7_SB_SB_EEDaSZ_S10_SG_SL_EUlSZ_E_NS1_11comp_targetILNS1_3genE5ELNS1_11target_archE942ELNS1_3gpuE9ELNS1_3repE0EEENS1_47radix_sort_onesweep_sort_config_static_selectorELNS0_4arch9wavefront6targetE1EEEvSG_,"axG",@progbits,_ZN7rocprim17ROCPRIM_400000_NS6detail17trampoline_kernelINS0_14default_configENS1_35radix_sort_onesweep_config_selectorIhlEEZZNS1_29radix_sort_onesweep_iterationIS3_Lb0EPhS7_N6thrust23THRUST_200600_302600_NS10device_ptrIlEESB_jNS0_19identity_decomposerENS1_16block_id_wrapperIjLb1EEEEE10hipError_tT1_PNSt15iterator_traitsISG_E10value_typeET2_T3_PNSH_ISM_E10value_typeET4_T5_PSR_SS_PNS1_23onesweep_lookback_stateEbbT6_jjT7_P12ihipStream_tbENKUlT_T0_SG_SL_E_clIS7_S7_SB_SB_EEDaSZ_S10_SG_SL_EUlSZ_E_NS1_11comp_targetILNS1_3genE5ELNS1_11target_archE942ELNS1_3gpuE9ELNS1_3repE0EEENS1_47radix_sort_onesweep_sort_config_static_selectorELNS0_4arch9wavefront6targetE1EEEvSG_,comdat
.Lfunc_end266:
	.size	_ZN7rocprim17ROCPRIM_400000_NS6detail17trampoline_kernelINS0_14default_configENS1_35radix_sort_onesweep_config_selectorIhlEEZZNS1_29radix_sort_onesweep_iterationIS3_Lb0EPhS7_N6thrust23THRUST_200600_302600_NS10device_ptrIlEESB_jNS0_19identity_decomposerENS1_16block_id_wrapperIjLb1EEEEE10hipError_tT1_PNSt15iterator_traitsISG_E10value_typeET2_T3_PNSH_ISM_E10value_typeET4_T5_PSR_SS_PNS1_23onesweep_lookback_stateEbbT6_jjT7_P12ihipStream_tbENKUlT_T0_SG_SL_E_clIS7_S7_SB_SB_EEDaSZ_S10_SG_SL_EUlSZ_E_NS1_11comp_targetILNS1_3genE5ELNS1_11target_archE942ELNS1_3gpuE9ELNS1_3repE0EEENS1_47radix_sort_onesweep_sort_config_static_selectorELNS0_4arch9wavefront6targetE1EEEvSG_, .Lfunc_end266-_ZN7rocprim17ROCPRIM_400000_NS6detail17trampoline_kernelINS0_14default_configENS1_35radix_sort_onesweep_config_selectorIhlEEZZNS1_29radix_sort_onesweep_iterationIS3_Lb0EPhS7_N6thrust23THRUST_200600_302600_NS10device_ptrIlEESB_jNS0_19identity_decomposerENS1_16block_id_wrapperIjLb1EEEEE10hipError_tT1_PNSt15iterator_traitsISG_E10value_typeET2_T3_PNSH_ISM_E10value_typeET4_T5_PSR_SS_PNS1_23onesweep_lookback_stateEbbT6_jjT7_P12ihipStream_tbENKUlT_T0_SG_SL_E_clIS7_S7_SB_SB_EEDaSZ_S10_SG_SL_EUlSZ_E_NS1_11comp_targetILNS1_3genE5ELNS1_11target_archE942ELNS1_3gpuE9ELNS1_3repE0EEENS1_47radix_sort_onesweep_sort_config_static_selectorELNS0_4arch9wavefront6targetE1EEEvSG_
                                        ; -- End function
	.set _ZN7rocprim17ROCPRIM_400000_NS6detail17trampoline_kernelINS0_14default_configENS1_35radix_sort_onesweep_config_selectorIhlEEZZNS1_29radix_sort_onesweep_iterationIS3_Lb0EPhS7_N6thrust23THRUST_200600_302600_NS10device_ptrIlEESB_jNS0_19identity_decomposerENS1_16block_id_wrapperIjLb1EEEEE10hipError_tT1_PNSt15iterator_traitsISG_E10value_typeET2_T3_PNSH_ISM_E10value_typeET4_T5_PSR_SS_PNS1_23onesweep_lookback_stateEbbT6_jjT7_P12ihipStream_tbENKUlT_T0_SG_SL_E_clIS7_S7_SB_SB_EEDaSZ_S10_SG_SL_EUlSZ_E_NS1_11comp_targetILNS1_3genE5ELNS1_11target_archE942ELNS1_3gpuE9ELNS1_3repE0EEENS1_47radix_sort_onesweep_sort_config_static_selectorELNS0_4arch9wavefront6targetE1EEEvSG_.num_vgpr, 0
	.set _ZN7rocprim17ROCPRIM_400000_NS6detail17trampoline_kernelINS0_14default_configENS1_35radix_sort_onesweep_config_selectorIhlEEZZNS1_29radix_sort_onesweep_iterationIS3_Lb0EPhS7_N6thrust23THRUST_200600_302600_NS10device_ptrIlEESB_jNS0_19identity_decomposerENS1_16block_id_wrapperIjLb1EEEEE10hipError_tT1_PNSt15iterator_traitsISG_E10value_typeET2_T3_PNSH_ISM_E10value_typeET4_T5_PSR_SS_PNS1_23onesweep_lookback_stateEbbT6_jjT7_P12ihipStream_tbENKUlT_T0_SG_SL_E_clIS7_S7_SB_SB_EEDaSZ_S10_SG_SL_EUlSZ_E_NS1_11comp_targetILNS1_3genE5ELNS1_11target_archE942ELNS1_3gpuE9ELNS1_3repE0EEENS1_47radix_sort_onesweep_sort_config_static_selectorELNS0_4arch9wavefront6targetE1EEEvSG_.num_agpr, 0
	.set _ZN7rocprim17ROCPRIM_400000_NS6detail17trampoline_kernelINS0_14default_configENS1_35radix_sort_onesweep_config_selectorIhlEEZZNS1_29radix_sort_onesweep_iterationIS3_Lb0EPhS7_N6thrust23THRUST_200600_302600_NS10device_ptrIlEESB_jNS0_19identity_decomposerENS1_16block_id_wrapperIjLb1EEEEE10hipError_tT1_PNSt15iterator_traitsISG_E10value_typeET2_T3_PNSH_ISM_E10value_typeET4_T5_PSR_SS_PNS1_23onesweep_lookback_stateEbbT6_jjT7_P12ihipStream_tbENKUlT_T0_SG_SL_E_clIS7_S7_SB_SB_EEDaSZ_S10_SG_SL_EUlSZ_E_NS1_11comp_targetILNS1_3genE5ELNS1_11target_archE942ELNS1_3gpuE9ELNS1_3repE0EEENS1_47radix_sort_onesweep_sort_config_static_selectorELNS0_4arch9wavefront6targetE1EEEvSG_.numbered_sgpr, 0
	.set _ZN7rocprim17ROCPRIM_400000_NS6detail17trampoline_kernelINS0_14default_configENS1_35radix_sort_onesweep_config_selectorIhlEEZZNS1_29radix_sort_onesweep_iterationIS3_Lb0EPhS7_N6thrust23THRUST_200600_302600_NS10device_ptrIlEESB_jNS0_19identity_decomposerENS1_16block_id_wrapperIjLb1EEEEE10hipError_tT1_PNSt15iterator_traitsISG_E10value_typeET2_T3_PNSH_ISM_E10value_typeET4_T5_PSR_SS_PNS1_23onesweep_lookback_stateEbbT6_jjT7_P12ihipStream_tbENKUlT_T0_SG_SL_E_clIS7_S7_SB_SB_EEDaSZ_S10_SG_SL_EUlSZ_E_NS1_11comp_targetILNS1_3genE5ELNS1_11target_archE942ELNS1_3gpuE9ELNS1_3repE0EEENS1_47radix_sort_onesweep_sort_config_static_selectorELNS0_4arch9wavefront6targetE1EEEvSG_.num_named_barrier, 0
	.set _ZN7rocprim17ROCPRIM_400000_NS6detail17trampoline_kernelINS0_14default_configENS1_35radix_sort_onesweep_config_selectorIhlEEZZNS1_29radix_sort_onesweep_iterationIS3_Lb0EPhS7_N6thrust23THRUST_200600_302600_NS10device_ptrIlEESB_jNS0_19identity_decomposerENS1_16block_id_wrapperIjLb1EEEEE10hipError_tT1_PNSt15iterator_traitsISG_E10value_typeET2_T3_PNSH_ISM_E10value_typeET4_T5_PSR_SS_PNS1_23onesweep_lookback_stateEbbT6_jjT7_P12ihipStream_tbENKUlT_T0_SG_SL_E_clIS7_S7_SB_SB_EEDaSZ_S10_SG_SL_EUlSZ_E_NS1_11comp_targetILNS1_3genE5ELNS1_11target_archE942ELNS1_3gpuE9ELNS1_3repE0EEENS1_47radix_sort_onesweep_sort_config_static_selectorELNS0_4arch9wavefront6targetE1EEEvSG_.private_seg_size, 0
	.set _ZN7rocprim17ROCPRIM_400000_NS6detail17trampoline_kernelINS0_14default_configENS1_35radix_sort_onesweep_config_selectorIhlEEZZNS1_29radix_sort_onesweep_iterationIS3_Lb0EPhS7_N6thrust23THRUST_200600_302600_NS10device_ptrIlEESB_jNS0_19identity_decomposerENS1_16block_id_wrapperIjLb1EEEEE10hipError_tT1_PNSt15iterator_traitsISG_E10value_typeET2_T3_PNSH_ISM_E10value_typeET4_T5_PSR_SS_PNS1_23onesweep_lookback_stateEbbT6_jjT7_P12ihipStream_tbENKUlT_T0_SG_SL_E_clIS7_S7_SB_SB_EEDaSZ_S10_SG_SL_EUlSZ_E_NS1_11comp_targetILNS1_3genE5ELNS1_11target_archE942ELNS1_3gpuE9ELNS1_3repE0EEENS1_47radix_sort_onesweep_sort_config_static_selectorELNS0_4arch9wavefront6targetE1EEEvSG_.uses_vcc, 0
	.set _ZN7rocprim17ROCPRIM_400000_NS6detail17trampoline_kernelINS0_14default_configENS1_35radix_sort_onesweep_config_selectorIhlEEZZNS1_29radix_sort_onesweep_iterationIS3_Lb0EPhS7_N6thrust23THRUST_200600_302600_NS10device_ptrIlEESB_jNS0_19identity_decomposerENS1_16block_id_wrapperIjLb1EEEEE10hipError_tT1_PNSt15iterator_traitsISG_E10value_typeET2_T3_PNSH_ISM_E10value_typeET4_T5_PSR_SS_PNS1_23onesweep_lookback_stateEbbT6_jjT7_P12ihipStream_tbENKUlT_T0_SG_SL_E_clIS7_S7_SB_SB_EEDaSZ_S10_SG_SL_EUlSZ_E_NS1_11comp_targetILNS1_3genE5ELNS1_11target_archE942ELNS1_3gpuE9ELNS1_3repE0EEENS1_47radix_sort_onesweep_sort_config_static_selectorELNS0_4arch9wavefront6targetE1EEEvSG_.uses_flat_scratch, 0
	.set _ZN7rocprim17ROCPRIM_400000_NS6detail17trampoline_kernelINS0_14default_configENS1_35radix_sort_onesweep_config_selectorIhlEEZZNS1_29radix_sort_onesweep_iterationIS3_Lb0EPhS7_N6thrust23THRUST_200600_302600_NS10device_ptrIlEESB_jNS0_19identity_decomposerENS1_16block_id_wrapperIjLb1EEEEE10hipError_tT1_PNSt15iterator_traitsISG_E10value_typeET2_T3_PNSH_ISM_E10value_typeET4_T5_PSR_SS_PNS1_23onesweep_lookback_stateEbbT6_jjT7_P12ihipStream_tbENKUlT_T0_SG_SL_E_clIS7_S7_SB_SB_EEDaSZ_S10_SG_SL_EUlSZ_E_NS1_11comp_targetILNS1_3genE5ELNS1_11target_archE942ELNS1_3gpuE9ELNS1_3repE0EEENS1_47radix_sort_onesweep_sort_config_static_selectorELNS0_4arch9wavefront6targetE1EEEvSG_.has_dyn_sized_stack, 0
	.set _ZN7rocprim17ROCPRIM_400000_NS6detail17trampoline_kernelINS0_14default_configENS1_35radix_sort_onesweep_config_selectorIhlEEZZNS1_29radix_sort_onesweep_iterationIS3_Lb0EPhS7_N6thrust23THRUST_200600_302600_NS10device_ptrIlEESB_jNS0_19identity_decomposerENS1_16block_id_wrapperIjLb1EEEEE10hipError_tT1_PNSt15iterator_traitsISG_E10value_typeET2_T3_PNSH_ISM_E10value_typeET4_T5_PSR_SS_PNS1_23onesweep_lookback_stateEbbT6_jjT7_P12ihipStream_tbENKUlT_T0_SG_SL_E_clIS7_S7_SB_SB_EEDaSZ_S10_SG_SL_EUlSZ_E_NS1_11comp_targetILNS1_3genE5ELNS1_11target_archE942ELNS1_3gpuE9ELNS1_3repE0EEENS1_47radix_sort_onesweep_sort_config_static_selectorELNS0_4arch9wavefront6targetE1EEEvSG_.has_recursion, 0
	.set _ZN7rocprim17ROCPRIM_400000_NS6detail17trampoline_kernelINS0_14default_configENS1_35radix_sort_onesweep_config_selectorIhlEEZZNS1_29radix_sort_onesweep_iterationIS3_Lb0EPhS7_N6thrust23THRUST_200600_302600_NS10device_ptrIlEESB_jNS0_19identity_decomposerENS1_16block_id_wrapperIjLb1EEEEE10hipError_tT1_PNSt15iterator_traitsISG_E10value_typeET2_T3_PNSH_ISM_E10value_typeET4_T5_PSR_SS_PNS1_23onesweep_lookback_stateEbbT6_jjT7_P12ihipStream_tbENKUlT_T0_SG_SL_E_clIS7_S7_SB_SB_EEDaSZ_S10_SG_SL_EUlSZ_E_NS1_11comp_targetILNS1_3genE5ELNS1_11target_archE942ELNS1_3gpuE9ELNS1_3repE0EEENS1_47radix_sort_onesweep_sort_config_static_selectorELNS0_4arch9wavefront6targetE1EEEvSG_.has_indirect_call, 0
	.section	.AMDGPU.csdata,"",@progbits
; Kernel info:
; codeLenInByte = 0
; TotalNumSgprs: 4
; NumVgprs: 0
; ScratchSize: 0
; MemoryBound: 0
; FloatMode: 240
; IeeeMode: 1
; LDSByteSize: 0 bytes/workgroup (compile time only)
; SGPRBlocks: 0
; VGPRBlocks: 0
; NumSGPRsForWavesPerEU: 4
; NumVGPRsForWavesPerEU: 1
; Occupancy: 10
; WaveLimiterHint : 0
; COMPUTE_PGM_RSRC2:SCRATCH_EN: 0
; COMPUTE_PGM_RSRC2:USER_SGPR: 6
; COMPUTE_PGM_RSRC2:TRAP_HANDLER: 0
; COMPUTE_PGM_RSRC2:TGID_X_EN: 1
; COMPUTE_PGM_RSRC2:TGID_Y_EN: 0
; COMPUTE_PGM_RSRC2:TGID_Z_EN: 0
; COMPUTE_PGM_RSRC2:TIDIG_COMP_CNT: 0
	.section	.text._ZN7rocprim17ROCPRIM_400000_NS6detail17trampoline_kernelINS0_14default_configENS1_35radix_sort_onesweep_config_selectorIhlEEZZNS1_29radix_sort_onesweep_iterationIS3_Lb0EPhS7_N6thrust23THRUST_200600_302600_NS10device_ptrIlEESB_jNS0_19identity_decomposerENS1_16block_id_wrapperIjLb1EEEEE10hipError_tT1_PNSt15iterator_traitsISG_E10value_typeET2_T3_PNSH_ISM_E10value_typeET4_T5_PSR_SS_PNS1_23onesweep_lookback_stateEbbT6_jjT7_P12ihipStream_tbENKUlT_T0_SG_SL_E_clIS7_S7_SB_SB_EEDaSZ_S10_SG_SL_EUlSZ_E_NS1_11comp_targetILNS1_3genE2ELNS1_11target_archE906ELNS1_3gpuE6ELNS1_3repE0EEENS1_47radix_sort_onesweep_sort_config_static_selectorELNS0_4arch9wavefront6targetE1EEEvSG_,"axG",@progbits,_ZN7rocprim17ROCPRIM_400000_NS6detail17trampoline_kernelINS0_14default_configENS1_35radix_sort_onesweep_config_selectorIhlEEZZNS1_29radix_sort_onesweep_iterationIS3_Lb0EPhS7_N6thrust23THRUST_200600_302600_NS10device_ptrIlEESB_jNS0_19identity_decomposerENS1_16block_id_wrapperIjLb1EEEEE10hipError_tT1_PNSt15iterator_traitsISG_E10value_typeET2_T3_PNSH_ISM_E10value_typeET4_T5_PSR_SS_PNS1_23onesweep_lookback_stateEbbT6_jjT7_P12ihipStream_tbENKUlT_T0_SG_SL_E_clIS7_S7_SB_SB_EEDaSZ_S10_SG_SL_EUlSZ_E_NS1_11comp_targetILNS1_3genE2ELNS1_11target_archE906ELNS1_3gpuE6ELNS1_3repE0EEENS1_47radix_sort_onesweep_sort_config_static_selectorELNS0_4arch9wavefront6targetE1EEEvSG_,comdat
	.protected	_ZN7rocprim17ROCPRIM_400000_NS6detail17trampoline_kernelINS0_14default_configENS1_35radix_sort_onesweep_config_selectorIhlEEZZNS1_29radix_sort_onesweep_iterationIS3_Lb0EPhS7_N6thrust23THRUST_200600_302600_NS10device_ptrIlEESB_jNS0_19identity_decomposerENS1_16block_id_wrapperIjLb1EEEEE10hipError_tT1_PNSt15iterator_traitsISG_E10value_typeET2_T3_PNSH_ISM_E10value_typeET4_T5_PSR_SS_PNS1_23onesweep_lookback_stateEbbT6_jjT7_P12ihipStream_tbENKUlT_T0_SG_SL_E_clIS7_S7_SB_SB_EEDaSZ_S10_SG_SL_EUlSZ_E_NS1_11comp_targetILNS1_3genE2ELNS1_11target_archE906ELNS1_3gpuE6ELNS1_3repE0EEENS1_47radix_sort_onesweep_sort_config_static_selectorELNS0_4arch9wavefront6targetE1EEEvSG_ ; -- Begin function _ZN7rocprim17ROCPRIM_400000_NS6detail17trampoline_kernelINS0_14default_configENS1_35radix_sort_onesweep_config_selectorIhlEEZZNS1_29radix_sort_onesweep_iterationIS3_Lb0EPhS7_N6thrust23THRUST_200600_302600_NS10device_ptrIlEESB_jNS0_19identity_decomposerENS1_16block_id_wrapperIjLb1EEEEE10hipError_tT1_PNSt15iterator_traitsISG_E10value_typeET2_T3_PNSH_ISM_E10value_typeET4_T5_PSR_SS_PNS1_23onesweep_lookback_stateEbbT6_jjT7_P12ihipStream_tbENKUlT_T0_SG_SL_E_clIS7_S7_SB_SB_EEDaSZ_S10_SG_SL_EUlSZ_E_NS1_11comp_targetILNS1_3genE2ELNS1_11target_archE906ELNS1_3gpuE6ELNS1_3repE0EEENS1_47radix_sort_onesweep_sort_config_static_selectorELNS0_4arch9wavefront6targetE1EEEvSG_
	.globl	_ZN7rocprim17ROCPRIM_400000_NS6detail17trampoline_kernelINS0_14default_configENS1_35radix_sort_onesweep_config_selectorIhlEEZZNS1_29radix_sort_onesweep_iterationIS3_Lb0EPhS7_N6thrust23THRUST_200600_302600_NS10device_ptrIlEESB_jNS0_19identity_decomposerENS1_16block_id_wrapperIjLb1EEEEE10hipError_tT1_PNSt15iterator_traitsISG_E10value_typeET2_T3_PNSH_ISM_E10value_typeET4_T5_PSR_SS_PNS1_23onesweep_lookback_stateEbbT6_jjT7_P12ihipStream_tbENKUlT_T0_SG_SL_E_clIS7_S7_SB_SB_EEDaSZ_S10_SG_SL_EUlSZ_E_NS1_11comp_targetILNS1_3genE2ELNS1_11target_archE906ELNS1_3gpuE6ELNS1_3repE0EEENS1_47radix_sort_onesweep_sort_config_static_selectorELNS0_4arch9wavefront6targetE1EEEvSG_
	.p2align	8
	.type	_ZN7rocprim17ROCPRIM_400000_NS6detail17trampoline_kernelINS0_14default_configENS1_35radix_sort_onesweep_config_selectorIhlEEZZNS1_29radix_sort_onesweep_iterationIS3_Lb0EPhS7_N6thrust23THRUST_200600_302600_NS10device_ptrIlEESB_jNS0_19identity_decomposerENS1_16block_id_wrapperIjLb1EEEEE10hipError_tT1_PNSt15iterator_traitsISG_E10value_typeET2_T3_PNSH_ISM_E10value_typeET4_T5_PSR_SS_PNS1_23onesweep_lookback_stateEbbT6_jjT7_P12ihipStream_tbENKUlT_T0_SG_SL_E_clIS7_S7_SB_SB_EEDaSZ_S10_SG_SL_EUlSZ_E_NS1_11comp_targetILNS1_3genE2ELNS1_11target_archE906ELNS1_3gpuE6ELNS1_3repE0EEENS1_47radix_sort_onesweep_sort_config_static_selectorELNS0_4arch9wavefront6targetE1EEEvSG_,@function
_ZN7rocprim17ROCPRIM_400000_NS6detail17trampoline_kernelINS0_14default_configENS1_35radix_sort_onesweep_config_selectorIhlEEZZNS1_29radix_sort_onesweep_iterationIS3_Lb0EPhS7_N6thrust23THRUST_200600_302600_NS10device_ptrIlEESB_jNS0_19identity_decomposerENS1_16block_id_wrapperIjLb1EEEEE10hipError_tT1_PNSt15iterator_traitsISG_E10value_typeET2_T3_PNSH_ISM_E10value_typeET4_T5_PSR_SS_PNS1_23onesweep_lookback_stateEbbT6_jjT7_P12ihipStream_tbENKUlT_T0_SG_SL_E_clIS7_S7_SB_SB_EEDaSZ_S10_SG_SL_EUlSZ_E_NS1_11comp_targetILNS1_3genE2ELNS1_11target_archE906ELNS1_3gpuE6ELNS1_3repE0EEENS1_47radix_sort_onesweep_sort_config_static_selectorELNS0_4arch9wavefront6targetE1EEEvSG_: ; @_ZN7rocprim17ROCPRIM_400000_NS6detail17trampoline_kernelINS0_14default_configENS1_35radix_sort_onesweep_config_selectorIhlEEZZNS1_29radix_sort_onesweep_iterationIS3_Lb0EPhS7_N6thrust23THRUST_200600_302600_NS10device_ptrIlEESB_jNS0_19identity_decomposerENS1_16block_id_wrapperIjLb1EEEEE10hipError_tT1_PNSt15iterator_traitsISG_E10value_typeET2_T3_PNSH_ISM_E10value_typeET4_T5_PSR_SS_PNS1_23onesweep_lookback_stateEbbT6_jjT7_P12ihipStream_tbENKUlT_T0_SG_SL_E_clIS7_S7_SB_SB_EEDaSZ_S10_SG_SL_EUlSZ_E_NS1_11comp_targetILNS1_3genE2ELNS1_11target_archE906ELNS1_3gpuE6ELNS1_3repE0EEENS1_47radix_sort_onesweep_sort_config_static_selectorELNS0_4arch9wavefront6targetE1EEEvSG_
; %bb.0:
	s_load_dwordx4 s[28:31], s[4:5], 0x28
	s_load_dwordx2 s[34:35], s[4:5], 0x38
	s_load_dwordx4 s[44:47], s[4:5], 0x44
	s_add_u32 s0, s0, s7
	s_addc_u32 s1, s1, 0
	v_cmp_eq_u32_e64 s[22:23], 0, v0
	s_and_saveexec_b64 s[8:9], s[22:23]
	s_cbranch_execz .LBB267_4
; %bb.1:
	s_mov_b64 s[12:13], exec
	v_mbcnt_lo_u32_b32 v3, s12, 0
	v_mbcnt_hi_u32_b32 v3, s13, v3
	v_cmp_eq_u32_e32 vcc, 0, v3
                                        ; implicit-def: $vgpr4
	s_and_saveexec_b64 s[10:11], vcc
	s_cbranch_execz .LBB267_3
; %bb.2:
	s_load_dwordx2 s[14:15], s[4:5], 0x50
	s_bcnt1_i32_b64 s7, s[12:13]
	v_mov_b32_e32 v4, 0
	v_mov_b32_e32 v5, s7
	s_waitcnt lgkmcnt(0)
	global_atomic_add v4, v4, v5, s[14:15] glc
.LBB267_3:
	s_or_b64 exec, exec, s[10:11]
	s_waitcnt vmcnt(0)
	v_readfirstlane_b32 s7, v4
	v_add_u32_e32 v3, s7, v3
	v_mov_b32_e32 v4, 0
	ds_write_b32 v4, v3 offset:10272
.LBB267_4:
	s_or_b64 exec, exec, s[8:9]
	v_mov_b32_e32 v3, 0
	s_load_dwordx8 s[36:43], s[4:5], 0x0
	s_load_dword s7, s[4:5], 0x20
	s_waitcnt lgkmcnt(0)
	s_barrier
	ds_read_b32 v3, v3 offset:10272
	s_mov_b64 s[8:9], -1
	v_mbcnt_lo_u32_b32 v17, -1, 0
	s_waitcnt lgkmcnt(0)
	s_barrier
	v_readfirstlane_b32 s33, v3
	v_cmp_le_u32_e32 vcc, s46, v3
	s_mul_i32 s26, s33, 0xc00
	s_cbranch_vccz .LBB267_82
; %bb.5:
	s_mul_i32 s8, s46, 0xfffff400
	s_add_i32 s7, s8, s7
	s_add_u32 s8, s36, s26
	v_mbcnt_hi_u32_b32 v13, -1, v17
	s_addc_u32 s9, s37, 0
	v_and_b32_e32 v10, 63, v13
	v_and_b32_e32 v16, 0x1c0, v0
	v_mov_b32_e32 v3, s9
	v_add_co_u32_e32 v4, vcc, s8, v10
	v_mul_u32_u24_e32 v9, 6, v16
	v_addc_co_u32_e32 v5, vcc, 0, v3, vcc
	v_add_co_u32_e32 v3, vcc, v4, v9
	v_addc_co_u32_e32 v4, vcc, 0, v5, vcc
	v_or_b32_e32 v6, v10, v9
	s_mov_b32 s27, 0
	v_cmp_gt_u32_e32 vcc, s7, v6
	v_mov_b32_e32 v5, 0xff
	v_mov_b32_e32 v7, 0xff
	;; [unrolled: 1-line block ×3, first 2 shown]
	s_and_saveexec_b64 s[8:9], vcc
	s_cbranch_execz .LBB267_7
; %bb.6:
	global_load_ubyte v8, v[3:4], off
	s_waitcnt vmcnt(0)
	v_and_b32_e32 v5, 0xff, v8
.LBB267_7:
	s_or_b64 exec, exec, s[8:9]
	v_or_b32_e32 v11, 64, v6
	v_cmp_gt_u32_e64 s[8:9], s7, v11
	v_mov_b32_e32 v18, 0xff
	s_and_saveexec_b64 s[10:11], s[8:9]
	s_cbranch_execz .LBB267_9
; %bb.8:
	global_load_ubyte v7, v[3:4], off offset:64
	s_waitcnt vmcnt(0)
	v_and_b32_e32 v18, 0xff, v7
.LBB267_9:
	s_or_b64 exec, exec, s[10:11]
	v_add_u32_e32 v11, 0x80, v6
	v_cmp_gt_u32_e64 s[10:11], s7, v11
	v_mov_b32_e32 v20, 0xff
	v_mov_b32_e32 v11, 0xff
	;; [unrolled: 1-line block ×3, first 2 shown]
	s_and_saveexec_b64 s[12:13], s[10:11]
	s_cbranch_execz .LBB267_11
; %bb.10:
	global_load_ubyte v12, v[3:4], off offset:128
	s_waitcnt vmcnt(0)
	v_and_b32_e32 v20, 0xff, v12
.LBB267_11:
	s_or_b64 exec, exec, s[12:13]
	v_add_u32_e32 v14, 0xc0, v6
	v_cmp_gt_u32_e64 s[12:13], s7, v14
	v_mov_b32_e32 v23, 0xff
	s_and_saveexec_b64 s[14:15], s[12:13]
	s_cbranch_execz .LBB267_13
; %bb.12:
	global_load_ubyte v11, v[3:4], off offset:192
	s_waitcnt vmcnt(0)
	v_and_b32_e32 v23, 0xff, v11
.LBB267_13:
	s_or_b64 exec, exec, s[14:15]
	v_add_u32_e32 v14, 0x100, v6
	v_cmp_gt_u32_e64 s[14:15], s7, v14
	v_mov_b32_e32 v26, 0xff
	v_mov_b32_e32 v14, 0xff
	;; [unrolled: 1-line block ×3, first 2 shown]
	s_and_saveexec_b64 s[16:17], s[14:15]
	s_cbranch_execz .LBB267_15
; %bb.14:
	global_load_ubyte v15, v[3:4], off offset:256
	s_waitcnt vmcnt(0)
	v_and_b32_e32 v26, 0xff, v15
.LBB267_15:
	s_or_b64 exec, exec, s[16:17]
	v_add_u32_e32 v6, 0x140, v6
	v_cmp_gt_u32_e64 s[16:17], s7, v6
	v_mov_b32_e32 v6, 0xff
	s_and_saveexec_b64 s[18:19], s[16:17]
	s_cbranch_execz .LBB267_17
; %bb.16:
	global_load_ubyte v14, v[3:4], off offset:320
	s_waitcnt vmcnt(0)
	v_and_b32_e32 v6, 0xff, v14
.LBB267_17:
	s_or_b64 exec, exec, s[18:19]
	s_load_dword s18, s[4:5], 0x64
	s_load_dword s52, s[4:5], 0x58
	s_add_u32 s19, s4, 0x58
	s_addc_u32 s20, s5, 0
	v_mov_b32_e32 v3, 0
	s_waitcnt lgkmcnt(0)
	s_lshr_b32 s21, s18, 16
	s_cmp_lt_u32 s6, s52
	s_cselect_b32 s18, 12, 18
	s_add_u32 s18, s19, s18
	s_addc_u32 s19, s20, 0
	global_load_ushort v19, v3, s[18:19]
	s_lshl_b32 s18, -1, s45
	v_lshrrev_b32_e32 v4, s44, v5
	s_not_b32 s53, s18
	v_and_b32_e32 v22, s53, v4
	v_and_b32_e32 v24, 1, v22
	v_add_co_u32_e64 v25, s[18:19], -1, v24
	v_lshlrev_b32_e32 v4, 30, v22
	v_addc_co_u32_e64 v28, s[18:19], 0, -1, s[18:19]
	v_mad_u32_u24 v5, v2, s21, v1
	v_cmp_ne_u32_e64 s[18:19], 0, v24
	v_cmp_gt_i64_e64 s[20:21], 0, v[3:4]
	v_not_b32_e32 v24, v4
	v_lshlrev_b32_e32 v4, 29, v22
	v_xor_b32_e32 v28, s19, v28
	v_xor_b32_e32 v25, s18, v25
	v_ashrrev_i32_e32 v24, 31, v24
	v_cmp_gt_i64_e64 s[18:19], 0, v[3:4]
	v_not_b32_e32 v29, v4
	v_lshlrev_b32_e32 v4, 28, v22
	v_and_b32_e32 v28, exec_hi, v28
	v_and_b32_e32 v25, exec_lo, v25
	v_xor_b32_e32 v30, s21, v24
	v_xor_b32_e32 v24, s20, v24
	v_ashrrev_i32_e32 v29, 31, v29
	v_cmp_gt_i64_e64 s[20:21], 0, v[3:4]
	v_not_b32_e32 v31, v4
	v_lshlrev_b32_e32 v4, 27, v22
	v_and_b32_e32 v28, v28, v30
	v_and_b32_e32 v24, v25, v24
	v_xor_b32_e32 v25, s19, v29
	v_xor_b32_e32 v29, s18, v29
	v_ashrrev_i32_e32 v30, 31, v31
	v_cmp_gt_i64_e64 s[18:19], 0, v[3:4]
	v_not_b32_e32 v31, v4
	v_lshlrev_b32_e32 v4, 26, v22
	v_and_b32_e32 v25, v28, v25
	v_and_b32_e32 v24, v24, v29
	;; [unrolled: 8-line block ×3, first 2 shown]
	v_xor_b32_e32 v28, s19, v30
	v_xor_b32_e32 v29, s18, v30
	v_ashrrev_i32_e32 v30, 31, v31
	v_cmp_gt_i64_e64 s[18:19], 0, v[3:4]
	v_not_b32_e32 v31, v4
	v_mul_u32_u24_e32 v27, 36, v22
	v_lshlrev_b32_e32 v4, 24, v22
	v_and_b32_e32 v22, v25, v28
	v_and_b32_e32 v24, v24, v29
	v_xor_b32_e32 v25, s21, v30
	v_xor_b32_e32 v28, s20, v30
	v_ashrrev_i32_e32 v29, 31, v31
	v_and_b32_e32 v22, v22, v25
	v_and_b32_e32 v24, v24, v28
	v_xor_b32_e32 v25, s19, v29
	v_xor_b32_e32 v28, s18, v29
	v_and_b32_e32 v22, v22, v25
	v_and_b32_e32 v28, v24, v28
	v_cmp_gt_i64_e64 s[20:21], 0, v[3:4]
	v_not_b32_e32 v4, v4
	v_ashrrev_i32_e32 v4, 31, v4
	v_xor_b32_e32 v29, s21, v4
	v_xor_b32_e32 v4, s20, v4
	v_and_b32_e32 v4, v28, v4
	v_mul_u32_u24_e32 v21, 20, v0
	ds_write2_b32 v21, v3, v3 offset0:8 offset1:9
	ds_write2_b32 v21, v3, v3 offset0:10 offset1:11
	ds_write_b32 v21, v3 offset:48
	s_waitcnt vmcnt(0) lgkmcnt(0)
	s_barrier
	; wave barrier
	v_mad_u64_u32 v[24:25], s[18:19], v5, v19, v[0:1]
	v_and_b32_e32 v5, v22, v29
	v_cmp_ne_u64_e64 s[18:19], 0, v[4:5]
	v_lshrrev_b32_e32 v19, 4, v24
	v_and_b32_e32 v31, 0xffffffc, v19
	v_mbcnt_lo_u32_b32 v19, v4, 0
	v_mbcnt_hi_u32_b32 v24, v5, v19
	v_cmp_eq_u32_e64 s[20:21], 0, v24
	s_and_b64 s[20:21], s[18:19], s[20:21]
	v_add_u32_e32 v27, v31, v27
	s_and_saveexec_b64 s[18:19], s[20:21]
; %bb.18:
	v_bcnt_u32_b32 v4, v4, 0
	v_bcnt_u32_b32 v4, v5, v4
	ds_write_b32 v27, v4 offset:32
; %bb.19:
	s_or_b64 exec, exec, s[18:19]
	v_lshrrev_b32_e32 v4, s44, v18
	v_and_b32_e32 v5, s53, v4
	v_mad_u32_u24 v4, v5, 36, v31
	; wave barrier
	ds_read_b32 v18, v4 offset:32
	v_and_b32_e32 v4, 1, v5
	v_add_co_u32_e64 v19, s[18:19], -1, v4
	v_addc_co_u32_e64 v25, s[18:19], 0, -1, s[18:19]
	v_cmp_ne_u32_e64 s[18:19], 0, v4
	v_xor_b32_e32 v4, s19, v25
	v_and_b32_e32 v25, exec_hi, v4
	v_lshlrev_b32_e32 v4, 30, v5
	v_xor_b32_e32 v19, s18, v19
	v_cmp_gt_i64_e64 s[18:19], 0, v[3:4]
	v_not_b32_e32 v4, v4
	v_ashrrev_i32_e32 v4, 31, v4
	v_and_b32_e32 v19, exec_lo, v19
	v_xor_b32_e32 v28, s19, v4
	v_xor_b32_e32 v4, s18, v4
	v_and_b32_e32 v19, v19, v4
	v_lshlrev_b32_e32 v4, 29, v5
	v_cmp_gt_i64_e64 s[18:19], 0, v[3:4]
	v_not_b32_e32 v4, v4
	v_ashrrev_i32_e32 v4, 31, v4
	v_and_b32_e32 v25, v25, v28
	v_xor_b32_e32 v28, s19, v4
	v_xor_b32_e32 v4, s18, v4
	v_and_b32_e32 v19, v19, v4
	v_lshlrev_b32_e32 v4, 28, v5
	v_cmp_gt_i64_e64 s[18:19], 0, v[3:4]
	v_not_b32_e32 v4, v4
	v_ashrrev_i32_e32 v4, 31, v4
	v_and_b32_e32 v25, v25, v28
	;; [unrolled: 8-line block ×5, first 2 shown]
	v_xor_b32_e32 v28, s19, v4
	v_xor_b32_e32 v4, s18, v4
	v_and_b32_e32 v19, v19, v4
	v_lshlrev_b32_e32 v4, 24, v5
	v_cmp_gt_i64_e64 s[18:19], 0, v[3:4]
	v_not_b32_e32 v3, v4
	v_ashrrev_i32_e32 v3, 31, v3
	v_xor_b32_e32 v4, s19, v3
	v_xor_b32_e32 v3, s18, v3
	v_and_b32_e32 v25, v25, v28
	v_and_b32_e32 v3, v19, v3
	v_mul_u32_u24_e32 v22, 36, v5
	v_and_b32_e32 v4, v25, v4
	v_mbcnt_lo_u32_b32 v5, v3, 0
	v_mbcnt_hi_u32_b32 v19, v4, v5
	v_cmp_ne_u64_e64 s[18:19], 0, v[3:4]
	v_cmp_eq_u32_e64 s[20:21], 0, v19
	s_and_b64 s[20:21], s[18:19], s[20:21]
	v_add_u32_e32 v30, v31, v22
	; wave barrier
	s_and_saveexec_b64 s[18:19], s[20:21]
	s_cbranch_execz .LBB267_21
; %bb.20:
	v_bcnt_u32_b32 v3, v3, 0
	v_bcnt_u32_b32 v3, v4, v3
	s_waitcnt lgkmcnt(0)
	v_add_u32_e32 v3, v18, v3
	ds_write_b32 v30, v3 offset:32
.LBB267_21:
	s_or_b64 exec, exec, s[18:19]
	v_lshrrev_b32_e32 v3, s44, v20
	v_and_b32_e32 v5, s53, v3
	v_and_b32_e32 v4, 1, v5
	v_add_co_u32_e64 v22, s[18:19], -1, v4
	v_addc_co_u32_e64 v28, s[18:19], 0, -1, s[18:19]
	v_cmp_ne_u32_e64 s[18:19], 0, v4
	v_mad_u32_u24 v3, v5, 36, v31
	v_xor_b32_e32 v4, s19, v28
	; wave barrier
	ds_read_b32 v20, v3 offset:32
	v_mov_b32_e32 v3, 0
	v_and_b32_e32 v28, exec_hi, v4
	v_lshlrev_b32_e32 v4, 30, v5
	v_xor_b32_e32 v22, s18, v22
	v_cmp_gt_i64_e64 s[18:19], 0, v[3:4]
	v_not_b32_e32 v4, v4
	v_ashrrev_i32_e32 v4, 31, v4
	v_and_b32_e32 v22, exec_lo, v22
	v_xor_b32_e32 v29, s19, v4
	v_xor_b32_e32 v4, s18, v4
	v_and_b32_e32 v22, v22, v4
	v_lshlrev_b32_e32 v4, 29, v5
	v_cmp_gt_i64_e64 s[18:19], 0, v[3:4]
	v_not_b32_e32 v4, v4
	v_ashrrev_i32_e32 v4, 31, v4
	v_and_b32_e32 v28, v28, v29
	v_xor_b32_e32 v29, s19, v4
	v_xor_b32_e32 v4, s18, v4
	v_and_b32_e32 v22, v22, v4
	v_lshlrev_b32_e32 v4, 28, v5
	v_cmp_gt_i64_e64 s[18:19], 0, v[3:4]
	v_not_b32_e32 v4, v4
	v_ashrrev_i32_e32 v4, 31, v4
	v_and_b32_e32 v28, v28, v29
	;; [unrolled: 8-line block ×5, first 2 shown]
	v_xor_b32_e32 v29, s19, v4
	v_xor_b32_e32 v4, s18, v4
	v_and_b32_e32 v22, v22, v4
	v_lshlrev_b32_e32 v4, 24, v5
	v_cmp_gt_i64_e64 s[18:19], 0, v[3:4]
	v_not_b32_e32 v4, v4
	v_ashrrev_i32_e32 v4, 31, v4
	v_mul_u32_u24_e32 v25, 36, v5
	v_xor_b32_e32 v5, s19, v4
	v_xor_b32_e32 v4, s18, v4
	v_and_b32_e32 v28, v28, v29
	v_and_b32_e32 v4, v22, v4
	;; [unrolled: 1-line block ×3, first 2 shown]
	v_mbcnt_lo_u32_b32 v22, v4, 0
	v_mbcnt_hi_u32_b32 v22, v5, v22
	v_cmp_ne_u64_e64 s[18:19], 0, v[4:5]
	v_cmp_eq_u32_e64 s[20:21], 0, v22
	s_and_b64 s[20:21], s[18:19], s[20:21]
	v_add_u32_e32 v33, v31, v25
	; wave barrier
	s_and_saveexec_b64 s[18:19], s[20:21]
	s_cbranch_execz .LBB267_23
; %bb.22:
	v_bcnt_u32_b32 v4, v4, 0
	v_bcnt_u32_b32 v4, v5, v4
	s_waitcnt lgkmcnt(0)
	v_add_u32_e32 v4, v20, v4
	ds_write_b32 v33, v4 offset:32
.LBB267_23:
	s_or_b64 exec, exec, s[18:19]
	v_lshrrev_b32_e32 v4, s44, v23
	v_and_b32_e32 v5, s53, v4
	v_mad_u32_u24 v4, v5, 36, v31
	; wave barrier
	ds_read_b32 v23, v4 offset:32
	v_and_b32_e32 v4, 1, v5
	v_add_co_u32_e64 v25, s[18:19], -1, v4
	v_addc_co_u32_e64 v29, s[18:19], 0, -1, s[18:19]
	v_cmp_ne_u32_e64 s[18:19], 0, v4
	v_xor_b32_e32 v4, s19, v29
	v_and_b32_e32 v29, exec_hi, v4
	v_lshlrev_b32_e32 v4, 30, v5
	v_xor_b32_e32 v25, s18, v25
	v_cmp_gt_i64_e64 s[18:19], 0, v[3:4]
	v_not_b32_e32 v4, v4
	v_ashrrev_i32_e32 v4, 31, v4
	v_and_b32_e32 v25, exec_lo, v25
	v_xor_b32_e32 v32, s19, v4
	v_xor_b32_e32 v4, s18, v4
	v_and_b32_e32 v25, v25, v4
	v_lshlrev_b32_e32 v4, 29, v5
	v_cmp_gt_i64_e64 s[18:19], 0, v[3:4]
	v_not_b32_e32 v4, v4
	v_ashrrev_i32_e32 v4, 31, v4
	v_and_b32_e32 v29, v29, v32
	v_xor_b32_e32 v32, s19, v4
	v_xor_b32_e32 v4, s18, v4
	v_and_b32_e32 v25, v25, v4
	v_lshlrev_b32_e32 v4, 28, v5
	v_cmp_gt_i64_e64 s[18:19], 0, v[3:4]
	v_not_b32_e32 v4, v4
	v_ashrrev_i32_e32 v4, 31, v4
	v_and_b32_e32 v29, v29, v32
	;; [unrolled: 8-line block ×5, first 2 shown]
	v_xor_b32_e32 v32, s19, v4
	v_xor_b32_e32 v4, s18, v4
	v_and_b32_e32 v25, v25, v4
	v_lshlrev_b32_e32 v4, 24, v5
	v_cmp_gt_i64_e64 s[18:19], 0, v[3:4]
	v_not_b32_e32 v3, v4
	v_ashrrev_i32_e32 v3, 31, v3
	v_xor_b32_e32 v4, s19, v3
	v_xor_b32_e32 v3, s18, v3
	v_and_b32_e32 v29, v29, v32
	v_and_b32_e32 v3, v25, v3
	v_mul_u32_u24_e32 v28, 36, v5
	v_and_b32_e32 v4, v29, v4
	v_mbcnt_lo_u32_b32 v5, v3, 0
	v_mbcnt_hi_u32_b32 v25, v4, v5
	v_cmp_ne_u64_e64 s[18:19], 0, v[3:4]
	v_cmp_eq_u32_e64 s[20:21], 0, v25
	s_and_b64 s[20:21], s[18:19], s[20:21]
	v_add_u32_e32 v34, v31, v28
	; wave barrier
	s_and_saveexec_b64 s[18:19], s[20:21]
	s_cbranch_execz .LBB267_25
; %bb.24:
	v_bcnt_u32_b32 v3, v3, 0
	v_bcnt_u32_b32 v3, v4, v3
	s_waitcnt lgkmcnt(0)
	v_add_u32_e32 v3, v23, v3
	ds_write_b32 v34, v3 offset:32
.LBB267_25:
	s_or_b64 exec, exec, s[18:19]
	v_lshrrev_b32_e32 v3, s44, v26
	v_and_b32_e32 v5, s53, v3
	v_and_b32_e32 v4, 1, v5
	v_add_co_u32_e64 v28, s[18:19], -1, v4
	v_addc_co_u32_e64 v32, s[18:19], 0, -1, s[18:19]
	v_cmp_ne_u32_e64 s[18:19], 0, v4
	v_mad_u32_u24 v3, v5, 36, v31
	v_xor_b32_e32 v4, s19, v32
	; wave barrier
	ds_read_b32 v26, v3 offset:32
	v_mov_b32_e32 v3, 0
	v_and_b32_e32 v32, exec_hi, v4
	v_lshlrev_b32_e32 v4, 30, v5
	v_xor_b32_e32 v28, s18, v28
	v_cmp_gt_i64_e64 s[18:19], 0, v[3:4]
	v_not_b32_e32 v4, v4
	v_ashrrev_i32_e32 v4, 31, v4
	v_and_b32_e32 v28, exec_lo, v28
	v_xor_b32_e32 v35, s19, v4
	v_xor_b32_e32 v4, s18, v4
	v_and_b32_e32 v28, v28, v4
	v_lshlrev_b32_e32 v4, 29, v5
	v_cmp_gt_i64_e64 s[18:19], 0, v[3:4]
	v_not_b32_e32 v4, v4
	v_ashrrev_i32_e32 v4, 31, v4
	v_and_b32_e32 v32, v32, v35
	v_xor_b32_e32 v35, s19, v4
	v_xor_b32_e32 v4, s18, v4
	v_and_b32_e32 v28, v28, v4
	v_lshlrev_b32_e32 v4, 28, v5
	v_cmp_gt_i64_e64 s[18:19], 0, v[3:4]
	v_not_b32_e32 v4, v4
	v_ashrrev_i32_e32 v4, 31, v4
	v_and_b32_e32 v32, v32, v35
	;; [unrolled: 8-line block ×5, first 2 shown]
	v_xor_b32_e32 v35, s19, v4
	v_xor_b32_e32 v4, s18, v4
	v_and_b32_e32 v28, v28, v4
	v_lshlrev_b32_e32 v4, 24, v5
	v_cmp_gt_i64_e64 s[18:19], 0, v[3:4]
	v_not_b32_e32 v4, v4
	v_ashrrev_i32_e32 v4, 31, v4
	v_mul_u32_u24_e32 v29, 36, v5
	v_xor_b32_e32 v5, s19, v4
	v_xor_b32_e32 v4, s18, v4
	v_and_b32_e32 v32, v32, v35
	v_and_b32_e32 v4, v28, v4
	;; [unrolled: 1-line block ×3, first 2 shown]
	v_mbcnt_lo_u32_b32 v28, v4, 0
	v_mbcnt_hi_u32_b32 v28, v5, v28
	v_cmp_ne_u64_e64 s[18:19], 0, v[4:5]
	v_cmp_eq_u32_e64 s[20:21], 0, v28
	s_and_b64 s[20:21], s[18:19], s[20:21]
	v_add_u32_e32 v35, v31, v29
	; wave barrier
	s_and_saveexec_b64 s[18:19], s[20:21]
	s_cbranch_execz .LBB267_27
; %bb.26:
	v_bcnt_u32_b32 v4, v4, 0
	v_bcnt_u32_b32 v4, v5, v4
	s_waitcnt lgkmcnt(0)
	v_add_u32_e32 v4, v26, v4
	ds_write_b32 v35, v4 offset:32
.LBB267_27:
	s_or_b64 exec, exec, s[18:19]
	v_lshrrev_b32_e32 v4, s44, v6
	v_and_b32_e32 v5, s53, v4
	v_mad_u32_u24 v4, v5, 36, v31
	; wave barrier
	ds_read_b32 v29, v4 offset:32
	v_and_b32_e32 v4, 1, v5
	v_add_co_u32_e64 v32, s[18:19], -1, v4
	v_addc_co_u32_e64 v36, s[18:19], 0, -1, s[18:19]
	v_cmp_ne_u32_e64 s[18:19], 0, v4
	v_xor_b32_e32 v4, s19, v36
	v_and_b32_e32 v36, exec_hi, v4
	v_lshlrev_b32_e32 v4, 30, v5
	v_xor_b32_e32 v32, s18, v32
	v_cmp_gt_i64_e64 s[18:19], 0, v[3:4]
	v_not_b32_e32 v4, v4
	v_ashrrev_i32_e32 v4, 31, v4
	v_and_b32_e32 v32, exec_lo, v32
	v_xor_b32_e32 v37, s19, v4
	v_xor_b32_e32 v4, s18, v4
	v_and_b32_e32 v32, v32, v4
	v_lshlrev_b32_e32 v4, 29, v5
	v_cmp_gt_i64_e64 s[18:19], 0, v[3:4]
	v_not_b32_e32 v4, v4
	v_ashrrev_i32_e32 v4, 31, v4
	v_and_b32_e32 v36, v36, v37
	v_xor_b32_e32 v37, s19, v4
	v_xor_b32_e32 v4, s18, v4
	v_and_b32_e32 v32, v32, v4
	v_lshlrev_b32_e32 v4, 28, v5
	v_cmp_gt_i64_e64 s[18:19], 0, v[3:4]
	v_not_b32_e32 v4, v4
	v_ashrrev_i32_e32 v4, 31, v4
	v_and_b32_e32 v36, v36, v37
	;; [unrolled: 8-line block ×5, first 2 shown]
	v_xor_b32_e32 v37, s19, v4
	v_xor_b32_e32 v4, s18, v4
	v_and_b32_e32 v32, v32, v4
	v_lshlrev_b32_e32 v4, 24, v5
	v_cmp_gt_i64_e64 s[18:19], 0, v[3:4]
	v_not_b32_e32 v3, v4
	v_ashrrev_i32_e32 v3, 31, v3
	v_xor_b32_e32 v4, s19, v3
	v_xor_b32_e32 v3, s18, v3
	v_and_b32_e32 v36, v36, v37
	v_and_b32_e32 v3, v32, v3
	v_mul_u32_u24_e32 v6, 36, v5
	v_and_b32_e32 v4, v36, v4
	v_mbcnt_lo_u32_b32 v5, v3, 0
	v_mbcnt_hi_u32_b32 v32, v4, v5
	v_cmp_ne_u64_e64 s[18:19], 0, v[3:4]
	v_cmp_eq_u32_e64 s[20:21], 0, v32
	s_and_b64 s[20:21], s[18:19], s[20:21]
	v_add_u32_e32 v36, v31, v6
	; wave barrier
	s_and_saveexec_b64 s[18:19], s[20:21]
	s_cbranch_execz .LBB267_29
; %bb.28:
	v_bcnt_u32_b32 v3, v3, 0
	v_bcnt_u32_b32 v3, v4, v3
	s_waitcnt lgkmcnt(0)
	v_add_u32_e32 v3, v29, v3
	ds_write_b32 v36, v3 offset:32
.LBB267_29:
	s_or_b64 exec, exec, s[18:19]
	; wave barrier
	s_waitcnt lgkmcnt(0)
	s_barrier
	ds_read2_b32 v[5:6], v21 offset0:8 offset1:9
	ds_read2_b32 v[3:4], v21 offset0:10 offset1:11
	ds_read_b32 v31, v21 offset:48
	v_min_u32_e32 v16, 0x1c0, v16
	v_or_b32_e32 v16, 63, v16
	s_waitcnt lgkmcnt(1)
	v_add3_u32 v37, v6, v5, v3
	s_waitcnt lgkmcnt(0)
	v_add3_u32 v31, v37, v4, v31
	v_and_b32_e32 v37, 15, v13
	v_cmp_ne_u32_e64 s[18:19], 0, v37
	v_mov_b32_dpp v38, v31 row_shr:1 row_mask:0xf bank_mask:0xf
	v_cndmask_b32_e64 v38, 0, v38, s[18:19]
	v_add_u32_e32 v31, v38, v31
	v_cmp_lt_u32_e64 s[18:19], 1, v37
	s_nop 0
	v_mov_b32_dpp v38, v31 row_shr:2 row_mask:0xf bank_mask:0xf
	v_cndmask_b32_e64 v38, 0, v38, s[18:19]
	v_add_u32_e32 v31, v31, v38
	v_cmp_lt_u32_e64 s[18:19], 3, v37
	s_nop 0
	;; [unrolled: 5-line block ×3, first 2 shown]
	v_mov_b32_dpp v38, v31 row_shr:8 row_mask:0xf bank_mask:0xf
	v_cndmask_b32_e64 v37, 0, v38, s[18:19]
	v_add_u32_e32 v31, v31, v37
	v_bfe_i32 v38, v13, 4, 1
	v_cmp_lt_u32_e64 s[18:19], 31, v13
	v_mov_b32_dpp v37, v31 row_bcast:15 row_mask:0xf bank_mask:0xf
	v_and_b32_e32 v37, v38, v37
	v_add_u32_e32 v31, v31, v37
	s_nop 1
	v_mov_b32_dpp v37, v31 row_bcast:31 row_mask:0xf bank_mask:0xf
	v_cndmask_b32_e64 v37, 0, v37, s[18:19]
	v_add_u32_e32 v31, v31, v37
	v_lshrrev_b32_e32 v37, 6, v0
	v_cmp_eq_u32_e64 s[18:19], v0, v16
	s_and_saveexec_b64 s[20:21], s[18:19]
; %bb.30:
	v_lshlrev_b32_e32 v16, 2, v37
	ds_write_b32 v16, v31
; %bb.31:
	s_or_b64 exec, exec, s[20:21]
	v_cmp_gt_u32_e64 s[18:19], 8, v0
	s_waitcnt lgkmcnt(0)
	s_barrier
	s_and_saveexec_b64 s[24:25], s[18:19]
	s_cbranch_execz .LBB267_33
; %bb.32:
	v_lshlrev_b32_e32 v16, 2, v0
	ds_read_b32 v38, v16
	v_and_b32_e32 v39, 7, v13
	v_cmp_ne_u32_e64 s[18:19], 0, v39
	v_cmp_lt_u32_e64 s[20:21], 1, v39
	s_waitcnt lgkmcnt(0)
	v_mov_b32_dpp v40, v38 row_shr:1 row_mask:0xf bank_mask:0xf
	v_cndmask_b32_e64 v40, 0, v40, s[18:19]
	v_add_u32_e32 v38, v40, v38
	v_cmp_lt_u32_e64 s[18:19], 3, v39
	s_nop 0
	v_mov_b32_dpp v40, v38 row_shr:2 row_mask:0xf bank_mask:0xf
	v_cndmask_b32_e64 v40, 0, v40, s[20:21]
	v_add_u32_e32 v38, v38, v40
	s_nop 1
	v_mov_b32_dpp v40, v38 row_shr:4 row_mask:0xf bank_mask:0xf
	v_cndmask_b32_e64 v39, 0, v40, s[18:19]
	v_add_u32_e32 v38, v38, v39
	ds_write_b32 v16, v38
.LBB267_33:
	s_or_b64 exec, exec, s[24:25]
	v_cmp_lt_u32_e64 s[18:19], 63, v0
	v_mov_b32_e32 v16, 0
	s_waitcnt lgkmcnt(0)
	s_barrier
	s_and_saveexec_b64 s[20:21], s[18:19]
; %bb.34:
	v_lshl_add_u32 v16, v37, 2, -4
	ds_read_b32 v16, v16
; %bb.35:
	s_or_b64 exec, exec, s[20:21]
	v_subrev_co_u32_e64 v37, s[18:19], 1, v13
	v_and_b32_e32 v38, 64, v13
	v_cmp_lt_i32_e64 s[20:21], v37, v38
	v_cndmask_b32_e64 v13, v37, v13, s[20:21]
	s_waitcnt lgkmcnt(0)
	v_add_u32_e32 v31, v16, v31
	v_lshlrev_b32_e32 v13, 2, v13
	ds_bpermute_b32 v13, v13, v31
	s_movk_i32 s24, 0x100
	v_cmp_gt_u32_e64 s[20:21], s24, v0
	s_waitcnt lgkmcnt(0)
	v_cndmask_b32_e64 v13, v13, v16, s[18:19]
	v_cndmask_b32_e64 v13, v13, 0, s[22:23]
	v_add_u32_e32 v5, v13, v5
	v_add_u32_e32 v6, v5, v6
	;; [unrolled: 1-line block ×4, first 2 shown]
	ds_write2_b32 v21, v13, v5 offset0:8 offset1:9
	ds_write2_b32 v21, v6, v3 offset0:10 offset1:11
	ds_write_b32 v21, v4 offset:48
	s_waitcnt lgkmcnt(0)
	s_barrier
	ds_read_b32 v3, v27 offset:32
	ds_read_b32 v31, v30 offset:32
	;; [unrolled: 1-line block ×6, first 2 shown]
	s_movk_i32 s18, 0xff
	v_cmp_lt_u32_e64 s[18:19], s18, v0
                                        ; implicit-def: $vgpr21
                                        ; implicit-def: $vgpr27
	s_and_saveexec_b64 s[46:47], s[20:21]
	s_cbranch_execz .LBB267_39
; %bb.36:
	v_mul_u32_u24_e32 v4, 36, v0
	ds_read_b32 v21, v4 offset:32
	v_add_u32_e32 v5, 1, v0
	v_cmp_ne_u32_e64 s[24:25], s24, v5
	v_mov_b32_e32 v4, 0xc00
	s_and_saveexec_b64 s[48:49], s[24:25]
; %bb.37:
	v_mul_u32_u24_e32 v4, 36, v5
	ds_read_b32 v4, v4 offset:32
; %bb.38:
	s_or_b64 exec, exec, s[48:49]
	s_waitcnt lgkmcnt(0)
	v_sub_u32_e32 v27, v4, v21
.LBB267_39:
	s_or_b64 exec, exec, s[46:47]
	s_waitcnt lgkmcnt(5)
	v_add_u32_e32 v24, v3, v24
	s_waitcnt lgkmcnt(3)
	v_add3_u32 v4, v22, v20, v33
	v_add3_u32 v3, v19, v18, v31
	s_waitcnt lgkmcnt(2)
	v_add3_u32 v5, v25, v23, v34
	s_waitcnt lgkmcnt(1)
	v_add3_u32 v6, v28, v26, v35
	s_waitcnt lgkmcnt(0)
	v_add3_u32 v13, v32, v29, v36
	s_barrier
	ds_write_b8 v24, v8 offset:1024
	ds_write_b8 v3, v7 offset:1024
	;; [unrolled: 1-line block ×6, first 2 shown]
	v_mov_b32_e32 v4, 0
	v_lshlrev_b32_e32 v30, 2, v0
	s_and_saveexec_b64 s[24:25], s[20:21]
	s_cbranch_execz .LBB267_49
; %bb.40:
	v_lshl_add_u32 v3, s33, 8, v0
	v_lshlrev_b64 v[5:6], 2, v[3:4]
	v_mov_b32_e32 v11, s35
	v_add_co_u32_e64 v5, s[20:21], s34, v5
	v_addc_co_u32_e64 v6, s[20:21], v11, v6, s[20:21]
	v_or_b32_e32 v3, 2.0, v27
	s_mov_b64 s[46:47], 0
	s_brev_b32 s54, -4
	s_mov_b32 s55, s33
	v_mov_b32_e32 v12, 0
	global_store_dword v[5:6], v3, off
                                        ; implicit-def: $sgpr20_sgpr21
	s_branch .LBB267_43
.LBB267_41:                             ;   in Loop: Header=BB267_43 Depth=1
	s_or_b64 exec, exec, s[50:51]
.LBB267_42:                             ;   in Loop: Header=BB267_43 Depth=1
	s_or_b64 exec, exec, s[48:49]
	v_and_b32_e32 v7, 0x3fffffff, v3
	v_add_u32_e32 v12, v7, v12
	v_cmp_gt_i32_e64 s[20:21], -2.0, v3
	s_and_b64 s[48:49], exec, s[20:21]
	s_or_b64 s[46:47], s[48:49], s[46:47]
	s_andn2_b64 exec, exec, s[46:47]
	s_cbranch_execz .LBB267_48
.LBB267_43:                             ; =>This Loop Header: Depth=1
                                        ;     Child Loop BB267_46 Depth 2
	s_or_b64 s[20:21], s[20:21], exec
	s_cmp_eq_u32 s55, 0
	s_cbranch_scc1 .LBB267_47
; %bb.44:                               ;   in Loop: Header=BB267_43 Depth=1
	s_add_i32 s55, s55, -1
	v_lshl_or_b32 v3, s55, 8, v0
	v_lshlrev_b64 v[7:8], 2, v[3:4]
	v_add_co_u32_e64 v7, s[20:21], s34, v7
	v_addc_co_u32_e64 v8, s[20:21], v11, v8, s[20:21]
	global_load_dword v3, v[7:8], off glc
	s_waitcnt vmcnt(0)
	v_cmp_gt_u32_e64 s[20:21], 2.0, v3
	s_and_saveexec_b64 s[48:49], s[20:21]
	s_cbranch_execz .LBB267_42
; %bb.45:                               ;   in Loop: Header=BB267_43 Depth=1
	s_mov_b64 s[50:51], 0
.LBB267_46:                             ;   Parent Loop BB267_43 Depth=1
                                        ; =>  This Inner Loop Header: Depth=2
	global_load_dword v3, v[7:8], off glc
	s_waitcnt vmcnt(0)
	v_cmp_lt_u32_e64 s[20:21], s54, v3
	s_or_b64 s[50:51], s[20:21], s[50:51]
	s_andn2_b64 exec, exec, s[50:51]
	s_cbranch_execnz .LBB267_46
	s_branch .LBB267_41
.LBB267_47:                             ;   in Loop: Header=BB267_43 Depth=1
                                        ; implicit-def: $sgpr55
	s_and_b64 s[48:49], exec, s[20:21]
	s_or_b64 s[46:47], s[48:49], s[46:47]
	s_andn2_b64 exec, exec, s[46:47]
	s_cbranch_execnz .LBB267_43
.LBB267_48:
	s_or_b64 exec, exec, s[46:47]
	v_add_u32_e32 v3, v12, v27
	v_or_b32_e32 v3, 0x80000000, v3
	global_store_dword v[5:6], v3, off
	global_load_dword v3, v30, s[28:29]
	v_sub_u32_e32 v4, v12, v21
	s_waitcnt vmcnt(0)
	v_add_u32_e32 v3, v4, v3
	ds_write_b32 v30, v3
.LBB267_49:
	s_or_b64 exec, exec, s[24:25]
	v_cmp_gt_u32_e64 s[20:21], s7, v0
	s_waitcnt lgkmcnt(0)
	s_barrier
	s_and_saveexec_b64 s[24:25], s[20:21]
	s_cbranch_execz .LBB267_51
; %bb.50:
	ds_read_u8 v3, v0 offset:1024
	s_waitcnt lgkmcnt(0)
	v_lshrrev_b32_sdwa v4, s44, v3 dst_sel:DWORD dst_unused:UNUSED_PAD src0_sel:DWORD src1_sel:BYTE_0
	v_and_b32_e32 v4, s53, v4
	v_lshlrev_b32_e32 v5, 2, v4
	ds_read_b32 v5, v5
	buffer_store_dword v4, off, s[0:3], 0
	s_waitcnt lgkmcnt(0)
	v_add_u32_e32 v5, v5, v0
	global_store_byte v5, v3, s[38:39]
.LBB267_51:
	s_or_b64 exec, exec, s[24:25]
	v_or_b32_e32 v3, 0x200, v0
	v_cmp_gt_u32_e64 s[20:21], s7, v3
	s_and_saveexec_b64 s[24:25], s[20:21]
	s_cbranch_execz .LBB267_53
; %bb.52:
	ds_read_u8 v4, v0 offset:1536
	s_waitcnt lgkmcnt(0)
	v_lshrrev_b32_sdwa v5, s44, v4 dst_sel:DWORD dst_unused:UNUSED_PAD src0_sel:DWORD src1_sel:BYTE_0
	v_and_b32_e32 v5, s53, v5
	v_lshlrev_b32_e32 v6, 2, v5
	ds_read_b32 v6, v6
	buffer_store_dword v5, off, s[0:3], 0 offset:4
	s_waitcnt lgkmcnt(0)
	v_add_u32_e32 v3, v6, v3
	global_store_byte v3, v4, s[38:39]
.LBB267_53:
	s_or_b64 exec, exec, s[24:25]
	v_or_b32_e32 v3, 0x400, v0
	v_cmp_gt_u32_e64 s[20:21], s7, v3
	s_and_saveexec_b64 s[24:25], s[20:21]
	s_cbranch_execz .LBB267_55
; %bb.54:
	ds_read_u8 v4, v0 offset:2048
	s_waitcnt lgkmcnt(0)
	v_lshrrev_b32_sdwa v5, s44, v4 dst_sel:DWORD dst_unused:UNUSED_PAD src0_sel:DWORD src1_sel:BYTE_0
	v_and_b32_e32 v5, s53, v5
	v_lshlrev_b32_e32 v6, 2, v5
	ds_read_b32 v6, v6
	buffer_store_dword v5, off, s[0:3], 0 offset:8
	s_waitcnt lgkmcnt(0)
	v_add_u32_e32 v3, v6, v3
	global_store_byte v3, v4, s[38:39]
.LBB267_55:
	;; [unrolled: 17-line block ×5, first 2 shown]
	s_or_b64 exec, exec, s[24:25]
	s_lshl_b64 s[20:21], s[26:27], 3
	s_add_u32 s20, s40, s20
	s_addc_u32 s21, s41, s21
	v_lshlrev_b32_e32 v3, 3, v10
	v_mov_b32_e32 v4, s21
	v_add_co_u32_e64 v3, s[20:21], s20, v3
	v_addc_co_u32_e64 v4, s[20:21], 0, v4, s[20:21]
	v_lshlrev_b32_e32 v5, 3, v9
	v_add_co_u32_e64 v15, s[20:21], v3, v5
	v_addc_co_u32_e64 v16, s[20:21], 0, v4, s[20:21]
                                        ; implicit-def: $vgpr3_vgpr4
	s_and_saveexec_b64 s[20:21], vcc
	s_xor_b64 s[20:21], exec, s[20:21]
	s_cbranch_execz .LBB267_67
; %bb.62:
	global_load_dwordx2 v[3:4], v[15:16], off
	s_or_b64 exec, exec, s[20:21]
                                        ; implicit-def: $vgpr5_vgpr6
	s_and_saveexec_b64 s[20:21], s[8:9]
	s_cbranch_execnz .LBB267_68
.LBB267_63:
	s_or_b64 exec, exec, s[20:21]
                                        ; implicit-def: $vgpr7_vgpr8
	s_and_saveexec_b64 s[8:9], s[10:11]
	s_cbranch_execz .LBB267_69
.LBB267_64:
	global_load_dwordx2 v[7:8], v[15:16], off offset:1024
	s_or_b64 exec, exec, s[8:9]
                                        ; implicit-def: $vgpr9_vgpr10
	s_and_saveexec_b64 s[8:9], s[12:13]
	s_cbranch_execnz .LBB267_70
.LBB267_65:
	s_or_b64 exec, exec, s[8:9]
                                        ; implicit-def: $vgpr11_vgpr12
	s_and_saveexec_b64 s[8:9], s[14:15]
	s_cbranch_execz .LBB267_71
.LBB267_66:
	global_load_dwordx2 v[11:12], v[15:16], off offset:2048
	s_or_b64 exec, exec, s[8:9]
                                        ; implicit-def: $vgpr13_vgpr14
	s_and_saveexec_b64 s[8:9], s[16:17]
	s_cbranch_execnz .LBB267_72
	s_branch .LBB267_73
.LBB267_67:
	s_or_b64 exec, exec, s[20:21]
                                        ; implicit-def: $vgpr5_vgpr6
	s_and_saveexec_b64 s[20:21], s[8:9]
	s_cbranch_execz .LBB267_63
.LBB267_68:
	global_load_dwordx2 v[5:6], v[15:16], off offset:512
	s_or_b64 exec, exec, s[20:21]
                                        ; implicit-def: $vgpr7_vgpr8
	s_and_saveexec_b64 s[8:9], s[10:11]
	s_cbranch_execnz .LBB267_64
.LBB267_69:
	s_or_b64 exec, exec, s[8:9]
                                        ; implicit-def: $vgpr9_vgpr10
	s_and_saveexec_b64 s[8:9], s[12:13]
	s_cbranch_execz .LBB267_65
.LBB267_70:
	global_load_dwordx2 v[9:10], v[15:16], off offset:1536
	s_or_b64 exec, exec, s[8:9]
                                        ; implicit-def: $vgpr11_vgpr12
	s_and_saveexec_b64 s[8:9], s[14:15]
	s_cbranch_execnz .LBB267_66
.LBB267_71:
	s_or_b64 exec, exec, s[8:9]
                                        ; implicit-def: $vgpr13_vgpr14
	s_and_saveexec_b64 s[8:9], s[16:17]
	s_cbranch_execz .LBB267_73
.LBB267_72:
	global_load_dwordx2 v[13:14], v[15:16], off offset:2560
.LBB267_73:
	s_or_b64 exec, exec, s[8:9]
	v_lshlrev_b32_e32 v37, 3, v0
	v_add3_u32 v29, v32, v36, v29
	v_add3_u32 v26, v28, v35, v26
	v_add3_u32 v23, v25, v34, v23
	v_add3_u32 v20, v22, v33, v20
	v_add3_u32 v18, v19, v31, v18
	s_mov_b32 s10, 0
	s_mov_b32 s11, 0
	v_mov_b32_e32 v16, 0
	s_movk_i32 s12, 0x200
	v_mov_b32_e32 v19, v0
	s_waitcnt vmcnt(0)
	s_barrier
	s_branch .LBB267_75
.LBB267_74:                             ;   in Loop: Header=BB267_75 Depth=1
	s_or_b64 exec, exec, s[8:9]
	s_addk_i32 s11, 0xfc00
	s_add_i32 s10, s10, 8
	s_cmpk_eq_i32 s11, 0xf400
	v_add_u32_e32 v19, 0x400, v19
	s_waitcnt vmcnt(0)
	s_barrier
	s_cbranch_scc1 .LBB267_79
.LBB267_75:                             ; =>This Inner Loop Header: Depth=1
	v_add_u32_e32 v15, s11, v24
	v_min_u32_e32 v15, 0x400, v15
	v_lshlrev_b32_e32 v15, 3, v15
	ds_write_b64 v15, v[3:4] offset:1024
	v_add_u32_e32 v15, s11, v18
	v_min_u32_e32 v15, 0x400, v15
	v_lshlrev_b32_e32 v15, 3, v15
	ds_write_b64 v15, v[5:6] offset:1024
	;; [unrolled: 4-line block ×5, first 2 shown]
	v_add_u32_e32 v15, s11, v29
	v_min_u32_e32 v15, 0x400, v15
	v_lshlrev_b32_e32 v15, 3, v15
	v_cmp_gt_u32_e32 vcc, s7, v19
	ds_write_b64 v15, v[13:14] offset:1024
	s_waitcnt lgkmcnt(0)
	s_barrier
	s_and_saveexec_b64 s[8:9], vcc
	s_cbranch_execz .LBB267_77
; %bb.76:                               ;   in Loop: Header=BB267_75 Depth=1
	v_mov_b32_e32 v15, s10
	buffer_load_dword v15, v15, s[0:3], 0 offen
	v_mov_b32_e32 v22, s43
	s_waitcnt vmcnt(0)
	v_lshlrev_b32_e32 v15, 2, v15
	ds_read_b32 v15, v15
	ds_read_b64 v[31:32], v37 offset:1024
	s_waitcnt lgkmcnt(1)
	v_add_u32_e32 v15, v19, v15
	v_lshlrev_b64 v[33:34], 3, v[15:16]
	v_add_co_u32_e32 v33, vcc, s42, v33
	v_addc_co_u32_e32 v34, vcc, v22, v34, vcc
	s_waitcnt lgkmcnt(0)
	global_store_dwordx2 v[33:34], v[31:32], off
.LBB267_77:                             ;   in Loop: Header=BB267_75 Depth=1
	s_or_b64 exec, exec, s[8:9]
	v_add_u32_e32 v15, 0x200, v19
	v_cmp_gt_u32_e32 vcc, s7, v15
	s_and_saveexec_b64 s[8:9], vcc
	s_cbranch_execz .LBB267_74
; %bb.78:                               ;   in Loop: Header=BB267_75 Depth=1
	v_mov_b32_e32 v15, s10
	buffer_load_dword v15, v15, s[0:3], 0 offen offset:4
	v_mov_b32_e32 v22, s43
	s_waitcnt vmcnt(0)
	v_lshlrev_b32_e32 v15, 2, v15
	ds_read_b32 v15, v15
	ds_read_b64 v[31:32], v37 offset:5120
	s_waitcnt lgkmcnt(1)
	v_add3_u32 v15, v19, v15, s12
	v_lshlrev_b64 v[33:34], 3, v[15:16]
	v_add_co_u32_e32 v33, vcc, s42, v33
	v_addc_co_u32_e32 v34, vcc, v22, v34, vcc
	s_waitcnt lgkmcnt(0)
	global_store_dwordx2 v[33:34], v[31:32], off
	s_branch .LBB267_74
.LBB267_79:
	s_add_i32 s52, s52, -1
	s_cmp_eq_u32 s33, s52
	s_cselect_b64 s[8:9], -1, 0
	s_xor_b64 s[10:11], s[18:19], -1
	s_and_b64 s[10:11], s[10:11], s[8:9]
	s_and_saveexec_b64 s[8:9], s[10:11]
	s_cbranch_execz .LBB267_81
; %bb.80:
	ds_read_b32 v3, v30
	s_waitcnt lgkmcnt(0)
	v_add3_u32 v3, v21, v27, v3
	global_store_dword v30, v3, s[30:31]
.LBB267_81:
	s_or_b64 exec, exec, s[8:9]
	s_mov_b64 s[8:9], 0
.LBB267_82:
	s_and_b64 vcc, exec, s[8:9]
	s_cbranch_vccz .LBB267_119
; %bb.83:
	s_add_u32 s7, s36, s26
	v_mbcnt_hi_u32_b32 v9, -1, v17
	s_addc_u32 s8, s37, 0
	v_and_b32_e32 v8, 63, v9
	v_and_b32_e32 v10, 0x1c0, v0
	v_mov_b32_e32 v3, s8
	v_add_co_u32_e32 v4, vcc, s7, v8
	v_mul_u32_u24_e32 v7, 6, v10
	v_addc_co_u32_e32 v3, vcc, 0, v3, vcc
	v_add_co_u32_e32 v4, vcc, v4, v7
	v_addc_co_u32_e32 v5, vcc, 0, v3, vcc
	global_load_ubyte v6, v[4:5], off
	s_load_dword s7, s[4:5], 0x64
	s_load_dword s14, s[4:5], 0x58
	s_add_u32 s4, s4, 0x58
	s_addc_u32 s5, s5, 0
	v_mov_b32_e32 v3, 0
	s_waitcnt lgkmcnt(0)
	s_lshr_b32 s7, s7, 16
	s_cmp_lt_u32 s6, s14
	s_cselect_b32 s6, 12, 18
	s_add_u32 s4, s4, s6
	s_addc_u32 s5, s5, 0
	global_load_ushort v13, v3, s[4:5]
	global_load_ubyte v11, v[4:5], off offset:64
	global_load_ubyte v12, v[4:5], off offset:128
	;; [unrolled: 1-line block ×5, first 2 shown]
	s_lshl_b32 s4, -1, s45
	s_not_b32 s15, s4
	v_mad_u32_u24 v1, v2, s7, v1
	s_mov_b32 s27, 0
	v_mul_u32_u24_e32 v23, 20, v0
	ds_write2_b32 v23, v3, v3 offset0:8 offset1:9
	ds_write2_b32 v23, v3, v3 offset0:10 offset1:11
	ds_write_b32 v23, v3 offset:48
	s_waitcnt vmcnt(0) lgkmcnt(0)
	s_barrier
	; wave barrier
	v_lshrrev_b32_sdwa v4, s44, v6 dst_sel:DWORD dst_unused:UNUSED_PAD src0_sel:DWORD src1_sel:BYTE_0
	v_and_b32_e32 v15, s15, v4
	v_and_b32_e32 v5, 1, v15
	v_add_co_u32_e32 v16, vcc, -1, v5
	v_lshlrev_b32_e32 v4, 30, v15
	v_addc_co_u32_e64 v19, s[4:5], 0, -1, vcc
	v_cmp_ne_u32_e32 vcc, 0, v5
	v_cmp_gt_i64_e64 s[4:5], 0, v[3:4]
	v_not_b32_e32 v5, v4
	v_lshlrev_b32_e32 v4, 29, v15
	v_xor_b32_e32 v19, vcc_hi, v19
	v_ashrrev_i32_e32 v5, 31, v5
	v_xor_b32_e32 v16, vcc_lo, v16
	v_cmp_gt_i64_e32 vcc, 0, v[3:4]
	v_not_b32_e32 v20, v4
	v_lshlrev_b32_e32 v4, 28, v15
	v_and_b32_e32 v19, exec_hi, v19
	v_xor_b32_e32 v21, s5, v5
	v_and_b32_e32 v16, exec_lo, v16
	v_xor_b32_e32 v5, s4, v5
	v_ashrrev_i32_e32 v20, 31, v20
	v_cmp_gt_i64_e64 s[4:5], 0, v[3:4]
	v_not_b32_e32 v22, v4
	v_lshlrev_b32_e32 v4, 27, v15
	v_and_b32_e32 v19, v19, v21
	v_and_b32_e32 v5, v16, v5
	v_xor_b32_e32 v16, vcc_hi, v20
	v_xor_b32_e32 v20, vcc_lo, v20
	v_ashrrev_i32_e32 v21, 31, v22
	v_cmp_gt_i64_e32 vcc, 0, v[3:4]
	v_not_b32_e32 v22, v4
	v_lshlrev_b32_e32 v4, 26, v15
	v_and_b32_e32 v16, v19, v16
	v_and_b32_e32 v5, v5, v20
	v_xor_b32_e32 v19, s5, v21
	v_xor_b32_e32 v20, s4, v21
	v_ashrrev_i32_e32 v21, 31, v22
	v_cmp_gt_i64_e64 s[4:5], 0, v[3:4]
	v_not_b32_e32 v22, v4
	v_lshlrev_b32_e32 v4, 25, v15
	v_and_b32_e32 v16, v16, v19
	v_and_b32_e32 v5, v5, v20
	v_xor_b32_e32 v19, vcc_hi, v21
	v_xor_b32_e32 v20, vcc_lo, v21
	v_ashrrev_i32_e32 v21, 31, v22
	v_cmp_gt_i64_e32 vcc, 0, v[3:4]
	v_not_b32_e32 v22, v4
	v_lshlrev_b32_e32 v4, 24, v15
	v_and_b32_e32 v16, v16, v19
	v_and_b32_e32 v5, v5, v20
	v_xor_b32_e32 v19, s5, v21
	v_xor_b32_e32 v20, s4, v21
	v_ashrrev_i32_e32 v21, 31, v22
	v_cmp_gt_i64_e64 s[4:5], 0, v[3:4]
	v_not_b32_e32 v4, v4
	v_and_b32_e32 v16, v16, v19
	v_and_b32_e32 v5, v5, v20
	v_xor_b32_e32 v19, vcc_hi, v21
	v_xor_b32_e32 v20, vcc_lo, v21
	v_ashrrev_i32_e32 v4, 31, v4
	v_and_b32_e32 v16, v16, v19
	v_and_b32_e32 v19, v5, v20
	v_xor_b32_e32 v5, s5, v4
	v_xor_b32_e32 v4, s4, v4
	v_mad_u64_u32 v[1:2], s[4:5], v1, v13, v[0:1]
	v_and_b32_e32 v4, v19, v4
	v_and_b32_e32 v5, v16, v5
	v_mbcnt_lo_u32_b32 v2, v4, 0
	v_lshrrev_b32_e32 v1, 4, v1
	v_mbcnt_hi_u32_b32 v21, v5, v2
	v_cmp_ne_u64_e32 vcc, 0, v[4:5]
	v_and_b32_e32 v27, 0xffffffc, v1
	v_mul_u32_u24_e32 v1, 36, v15
	v_cmp_eq_u32_e64 s[4:5], 0, v21
	s_and_b64 s[6:7], vcc, s[4:5]
	v_add_u32_e32 v25, v27, v1
	s_and_saveexec_b64 s[4:5], s[6:7]
; %bb.84:
	v_bcnt_u32_b32 v1, v4, 0
	v_bcnt_u32_b32 v1, v5, v1
	ds_write_b32 v25, v1 offset:32
; %bb.85:
	s_or_b64 exec, exec, s[4:5]
	v_lshrrev_b32_sdwa v1, s44, v11 dst_sel:DWORD dst_unused:UNUSED_PAD src0_sel:DWORD src1_sel:BYTE_0
	v_and_b32_e32 v1, s15, v1
	v_mad_u32_u24 v2, v1, 36, v27
	; wave barrier
	ds_read_b32 v13, v2 offset:32
	v_and_b32_e32 v2, 1, v1
	v_add_co_u32_e32 v4, vcc, -1, v2
	v_addc_co_u32_e64 v15, s[4:5], 0, -1, vcc
	v_cmp_ne_u32_e32 vcc, 0, v2
	v_xor_b32_e32 v4, vcc_lo, v4
	v_xor_b32_e32 v2, vcc_hi, v15
	v_and_b32_e32 v15, exec_lo, v4
	v_lshlrev_b32_e32 v4, 30, v1
	v_cmp_gt_i64_e32 vcc, 0, v[3:4]
	v_not_b32_e32 v4, v4
	v_ashrrev_i32_e32 v4, 31, v4
	v_xor_b32_e32 v16, vcc_hi, v4
	v_xor_b32_e32 v4, vcc_lo, v4
	v_and_b32_e32 v15, v15, v4
	v_lshlrev_b32_e32 v4, 29, v1
	v_cmp_gt_i64_e32 vcc, 0, v[3:4]
	v_not_b32_e32 v4, v4
	v_and_b32_e32 v2, exec_hi, v2
	v_ashrrev_i32_e32 v4, 31, v4
	v_and_b32_e32 v2, v2, v16
	v_xor_b32_e32 v16, vcc_hi, v4
	v_xor_b32_e32 v4, vcc_lo, v4
	v_and_b32_e32 v15, v15, v4
	v_lshlrev_b32_e32 v4, 28, v1
	v_cmp_gt_i64_e32 vcc, 0, v[3:4]
	v_not_b32_e32 v4, v4
	v_ashrrev_i32_e32 v4, 31, v4
	v_and_b32_e32 v2, v2, v16
	v_xor_b32_e32 v16, vcc_hi, v4
	v_xor_b32_e32 v4, vcc_lo, v4
	v_and_b32_e32 v15, v15, v4
	v_lshlrev_b32_e32 v4, 27, v1
	v_cmp_gt_i64_e32 vcc, 0, v[3:4]
	v_not_b32_e32 v4, v4
	v_ashrrev_i32_e32 v4, 31, v4
	v_and_b32_e32 v2, v2, v16
	v_xor_b32_e32 v16, vcc_hi, v4
	v_xor_b32_e32 v4, vcc_lo, v4
	v_and_b32_e32 v15, v15, v4
	v_lshlrev_b32_e32 v4, 26, v1
	v_cmp_gt_i64_e32 vcc, 0, v[3:4]
	v_not_b32_e32 v4, v4
	v_ashrrev_i32_e32 v4, 31, v4
	v_and_b32_e32 v2, v2, v16
	v_xor_b32_e32 v16, vcc_hi, v4
	v_xor_b32_e32 v4, vcc_lo, v4
	v_and_b32_e32 v15, v15, v4
	v_lshlrev_b32_e32 v4, 25, v1
	v_cmp_gt_i64_e32 vcc, 0, v[3:4]
	v_not_b32_e32 v4, v4
	v_ashrrev_i32_e32 v4, 31, v4
	v_and_b32_e32 v2, v2, v16
	v_xor_b32_e32 v16, vcc_hi, v4
	v_xor_b32_e32 v4, vcc_lo, v4
	v_and_b32_e32 v15, v15, v4
	v_lshlrev_b32_e32 v4, 24, v1
	v_mul_u32_u24_e32 v5, 36, v1
	v_cmp_gt_i64_e32 vcc, 0, v[3:4]
	v_not_b32_e32 v1, v4
	v_ashrrev_i32_e32 v1, 31, v1
	v_xor_b32_e32 v3, vcc_hi, v1
	v_xor_b32_e32 v1, vcc_lo, v1
	v_and_b32_e32 v2, v2, v16
	v_and_b32_e32 v1, v15, v1
	;; [unrolled: 1-line block ×3, first 2 shown]
	v_mbcnt_lo_u32_b32 v3, v1, 0
	v_mbcnt_hi_u32_b32 v15, v2, v3
	v_cmp_ne_u64_e32 vcc, 0, v[1:2]
	v_cmp_eq_u32_e64 s[4:5], 0, v15
	s_and_b64 s[6:7], vcc, s[4:5]
	v_add_u32_e32 v5, v27, v5
	; wave barrier
	s_and_saveexec_b64 s[4:5], s[6:7]
	s_cbranch_execz .LBB267_87
; %bb.86:
	v_bcnt_u32_b32 v1, v1, 0
	v_bcnt_u32_b32 v1, v2, v1
	s_waitcnt lgkmcnt(0)
	v_add_u32_e32 v1, v13, v1
	ds_write_b32 v5, v1 offset:32
.LBB267_87:
	s_or_b64 exec, exec, s[4:5]
	v_lshrrev_b32_sdwa v1, s44, v12 dst_sel:DWORD dst_unused:UNUSED_PAD src0_sel:DWORD src1_sel:BYTE_0
	v_and_b32_e32 v3, s15, v1
	v_and_b32_e32 v2, 1, v3
	v_add_co_u32_e32 v19, vcc, -1, v2
	v_addc_co_u32_e64 v20, s[4:5], 0, -1, vcc
	v_cmp_ne_u32_e32 vcc, 0, v2
	v_mad_u32_u24 v1, v3, 36, v27
	v_xor_b32_e32 v2, vcc_hi, v20
	; wave barrier
	ds_read_b32 v16, v1 offset:32
	v_mov_b32_e32 v1, 0
	v_and_b32_e32 v20, exec_hi, v2
	v_lshlrev_b32_e32 v2, 30, v3
	v_xor_b32_e32 v19, vcc_lo, v19
	v_cmp_gt_i64_e32 vcc, 0, v[1:2]
	v_not_b32_e32 v2, v2
	v_ashrrev_i32_e32 v2, 31, v2
	v_and_b32_e32 v19, exec_lo, v19
	v_xor_b32_e32 v22, vcc_hi, v2
	v_xor_b32_e32 v2, vcc_lo, v2
	v_and_b32_e32 v19, v19, v2
	v_lshlrev_b32_e32 v2, 29, v3
	v_cmp_gt_i64_e32 vcc, 0, v[1:2]
	v_not_b32_e32 v2, v2
	v_ashrrev_i32_e32 v2, 31, v2
	v_and_b32_e32 v20, v20, v22
	v_xor_b32_e32 v22, vcc_hi, v2
	v_xor_b32_e32 v2, vcc_lo, v2
	v_and_b32_e32 v19, v19, v2
	v_lshlrev_b32_e32 v2, 28, v3
	v_cmp_gt_i64_e32 vcc, 0, v[1:2]
	v_not_b32_e32 v2, v2
	v_ashrrev_i32_e32 v2, 31, v2
	v_and_b32_e32 v20, v20, v22
	;; [unrolled: 8-line block ×5, first 2 shown]
	v_xor_b32_e32 v22, vcc_hi, v2
	v_xor_b32_e32 v2, vcc_lo, v2
	v_and_b32_e32 v19, v19, v2
	v_lshlrev_b32_e32 v2, 24, v3
	v_cmp_gt_i64_e32 vcc, 0, v[1:2]
	v_not_b32_e32 v2, v2
	v_ashrrev_i32_e32 v2, 31, v2
	v_mul_u32_u24_e32 v4, 36, v3
	v_xor_b32_e32 v3, vcc_hi, v2
	v_xor_b32_e32 v2, vcc_lo, v2
	v_and_b32_e32 v20, v20, v22
	v_and_b32_e32 v2, v19, v2
	;; [unrolled: 1-line block ×3, first 2 shown]
	v_mbcnt_lo_u32_b32 v19, v2, 0
	v_mbcnt_hi_u32_b32 v19, v3, v19
	v_cmp_ne_u64_e32 vcc, 0, v[2:3]
	v_cmp_eq_u32_e64 s[4:5], 0, v19
	s_and_b64 s[6:7], vcc, s[4:5]
	v_add_u32_e32 v30, v27, v4
	; wave barrier
	s_and_saveexec_b64 s[4:5], s[6:7]
	s_cbranch_execz .LBB267_89
; %bb.88:
	v_bcnt_u32_b32 v2, v2, 0
	v_bcnt_u32_b32 v2, v3, v2
	s_waitcnt lgkmcnt(0)
	v_add_u32_e32 v2, v16, v2
	ds_write_b32 v30, v2 offset:32
.LBB267_89:
	s_or_b64 exec, exec, s[4:5]
	v_lshrrev_b32_sdwa v2, s44, v14 dst_sel:DWORD dst_unused:UNUSED_PAD src0_sel:DWORD src1_sel:BYTE_0
	v_and_b32_e32 v3, s15, v2
	v_mad_u32_u24 v2, v3, 36, v27
	; wave barrier
	ds_read_b32 v20, v2 offset:32
	v_and_b32_e32 v2, 1, v3
	v_add_co_u32_e32 v22, vcc, -1, v2
	v_addc_co_u32_e64 v24, s[4:5], 0, -1, vcc
	v_cmp_ne_u32_e32 vcc, 0, v2
	v_xor_b32_e32 v2, vcc_hi, v24
	v_and_b32_e32 v24, exec_hi, v2
	v_lshlrev_b32_e32 v2, 30, v3
	v_xor_b32_e32 v22, vcc_lo, v22
	v_cmp_gt_i64_e32 vcc, 0, v[1:2]
	v_not_b32_e32 v2, v2
	v_ashrrev_i32_e32 v2, 31, v2
	v_and_b32_e32 v22, exec_lo, v22
	v_xor_b32_e32 v26, vcc_hi, v2
	v_xor_b32_e32 v2, vcc_lo, v2
	v_and_b32_e32 v22, v22, v2
	v_lshlrev_b32_e32 v2, 29, v3
	v_cmp_gt_i64_e32 vcc, 0, v[1:2]
	v_not_b32_e32 v2, v2
	v_ashrrev_i32_e32 v2, 31, v2
	v_and_b32_e32 v24, v24, v26
	v_xor_b32_e32 v26, vcc_hi, v2
	v_xor_b32_e32 v2, vcc_lo, v2
	v_and_b32_e32 v22, v22, v2
	v_lshlrev_b32_e32 v2, 28, v3
	v_cmp_gt_i64_e32 vcc, 0, v[1:2]
	v_not_b32_e32 v2, v2
	v_ashrrev_i32_e32 v2, 31, v2
	v_and_b32_e32 v24, v24, v26
	v_xor_b32_e32 v26, vcc_hi, v2
	v_xor_b32_e32 v2, vcc_lo, v2
	v_and_b32_e32 v22, v22, v2
	v_lshlrev_b32_e32 v2, 27, v3
	v_cmp_gt_i64_e32 vcc, 0, v[1:2]
	v_not_b32_e32 v2, v2
	v_ashrrev_i32_e32 v2, 31, v2
	v_and_b32_e32 v24, v24, v26
	v_xor_b32_e32 v26, vcc_hi, v2
	v_xor_b32_e32 v2, vcc_lo, v2
	v_and_b32_e32 v22, v22, v2
	v_lshlrev_b32_e32 v2, 26, v3
	v_cmp_gt_i64_e32 vcc, 0, v[1:2]
	v_not_b32_e32 v2, v2
	v_ashrrev_i32_e32 v2, 31, v2
	v_and_b32_e32 v24, v24, v26
	v_xor_b32_e32 v26, vcc_hi, v2
	v_xor_b32_e32 v2, vcc_lo, v2
	v_and_b32_e32 v22, v22, v2
	v_lshlrev_b32_e32 v2, 25, v3
	v_cmp_gt_i64_e32 vcc, 0, v[1:2]
	v_not_b32_e32 v2, v2
	v_ashrrev_i32_e32 v2, 31, v2
	v_and_b32_e32 v24, v24, v26
	v_xor_b32_e32 v26, vcc_hi, v2
	v_xor_b32_e32 v2, vcc_lo, v2
	v_and_b32_e32 v22, v22, v2
	v_lshlrev_b32_e32 v2, 24, v3
	v_cmp_gt_i64_e32 vcc, 0, v[1:2]
	v_not_b32_e32 v1, v2
	v_ashrrev_i32_e32 v1, 31, v1
	v_xor_b32_e32 v2, vcc_hi, v1
	v_xor_b32_e32 v1, vcc_lo, v1
	v_and_b32_e32 v24, v24, v26
	v_and_b32_e32 v1, v22, v1
	v_mul_u32_u24_e32 v4, 36, v3
	v_and_b32_e32 v2, v24, v2
	v_mbcnt_lo_u32_b32 v3, v1, 0
	v_mbcnt_hi_u32_b32 v22, v2, v3
	v_cmp_ne_u64_e32 vcc, 0, v[1:2]
	v_cmp_eq_u32_e64 s[4:5], 0, v22
	s_and_b64 s[6:7], vcc, s[4:5]
	v_add_u32_e32 v32, v27, v4
	; wave barrier
	s_and_saveexec_b64 s[4:5], s[6:7]
	s_cbranch_execz .LBB267_91
; %bb.90:
	v_bcnt_u32_b32 v1, v1, 0
	v_bcnt_u32_b32 v1, v2, v1
	s_waitcnt lgkmcnt(0)
	v_add_u32_e32 v1, v20, v1
	ds_write_b32 v32, v1 offset:32
.LBB267_91:
	s_or_b64 exec, exec, s[4:5]
	v_lshrrev_b32_sdwa v1, s44, v17 dst_sel:DWORD dst_unused:UNUSED_PAD src0_sel:DWORD src1_sel:BYTE_0
	v_and_b32_e32 v3, s15, v1
	v_and_b32_e32 v2, 1, v3
	v_add_co_u32_e32 v26, vcc, -1, v2
	v_addc_co_u32_e64 v28, s[4:5], 0, -1, vcc
	v_cmp_ne_u32_e32 vcc, 0, v2
	v_mad_u32_u24 v1, v3, 36, v27
	v_xor_b32_e32 v2, vcc_hi, v28
	; wave barrier
	ds_read_b32 v24, v1 offset:32
	v_mov_b32_e32 v1, 0
	v_and_b32_e32 v28, exec_hi, v2
	v_lshlrev_b32_e32 v2, 30, v3
	v_xor_b32_e32 v26, vcc_lo, v26
	v_cmp_gt_i64_e32 vcc, 0, v[1:2]
	v_not_b32_e32 v2, v2
	v_ashrrev_i32_e32 v2, 31, v2
	v_and_b32_e32 v26, exec_lo, v26
	v_xor_b32_e32 v29, vcc_hi, v2
	v_xor_b32_e32 v2, vcc_lo, v2
	v_and_b32_e32 v26, v26, v2
	v_lshlrev_b32_e32 v2, 29, v3
	v_cmp_gt_i64_e32 vcc, 0, v[1:2]
	v_not_b32_e32 v2, v2
	v_ashrrev_i32_e32 v2, 31, v2
	v_and_b32_e32 v28, v28, v29
	v_xor_b32_e32 v29, vcc_hi, v2
	v_xor_b32_e32 v2, vcc_lo, v2
	v_and_b32_e32 v26, v26, v2
	v_lshlrev_b32_e32 v2, 28, v3
	v_cmp_gt_i64_e32 vcc, 0, v[1:2]
	v_not_b32_e32 v2, v2
	v_ashrrev_i32_e32 v2, 31, v2
	v_and_b32_e32 v28, v28, v29
	v_xor_b32_e32 v29, vcc_hi, v2
	v_xor_b32_e32 v2, vcc_lo, v2
	v_and_b32_e32 v26, v26, v2
	v_lshlrev_b32_e32 v2, 27, v3
	v_cmp_gt_i64_e32 vcc, 0, v[1:2]
	v_not_b32_e32 v2, v2
	v_ashrrev_i32_e32 v2, 31, v2
	v_and_b32_e32 v28, v28, v29
	v_xor_b32_e32 v29, vcc_hi, v2
	v_xor_b32_e32 v2, vcc_lo, v2
	v_and_b32_e32 v26, v26, v2
	v_lshlrev_b32_e32 v2, 26, v3
	v_cmp_gt_i64_e32 vcc, 0, v[1:2]
	v_not_b32_e32 v2, v2
	v_ashrrev_i32_e32 v2, 31, v2
	v_and_b32_e32 v28, v28, v29
	v_xor_b32_e32 v29, vcc_hi, v2
	v_xor_b32_e32 v2, vcc_lo, v2
	v_and_b32_e32 v26, v26, v2
	v_lshlrev_b32_e32 v2, 25, v3
	v_cmp_gt_i64_e32 vcc, 0, v[1:2]
	v_not_b32_e32 v2, v2
	v_ashrrev_i32_e32 v2, 31, v2
	v_and_b32_e32 v28, v28, v29
	v_xor_b32_e32 v29, vcc_hi, v2
	v_xor_b32_e32 v2, vcc_lo, v2
	v_and_b32_e32 v26, v26, v2
	v_lshlrev_b32_e32 v2, 24, v3
	v_cmp_gt_i64_e32 vcc, 0, v[1:2]
	v_not_b32_e32 v2, v2
	v_ashrrev_i32_e32 v2, 31, v2
	v_mul_u32_u24_e32 v4, 36, v3
	v_xor_b32_e32 v3, vcc_hi, v2
	v_xor_b32_e32 v2, vcc_lo, v2
	v_and_b32_e32 v28, v28, v29
	v_and_b32_e32 v2, v26, v2
	;; [unrolled: 1-line block ×3, first 2 shown]
	v_mbcnt_lo_u32_b32 v26, v2, 0
	v_mbcnt_hi_u32_b32 v26, v3, v26
	v_cmp_ne_u64_e32 vcc, 0, v[2:3]
	v_cmp_eq_u32_e64 s[4:5], 0, v26
	s_and_b64 s[6:7], vcc, s[4:5]
	v_add_u32_e32 v33, v27, v4
	; wave barrier
	s_and_saveexec_b64 s[4:5], s[6:7]
	s_cbranch_execz .LBB267_93
; %bb.92:
	v_bcnt_u32_b32 v2, v2, 0
	v_bcnt_u32_b32 v2, v3, v2
	s_waitcnt lgkmcnt(0)
	v_add_u32_e32 v2, v24, v2
	ds_write_b32 v33, v2 offset:32
.LBB267_93:
	s_or_b64 exec, exec, s[4:5]
	v_lshrrev_b32_sdwa v2, s44, v18 dst_sel:DWORD dst_unused:UNUSED_PAD src0_sel:DWORD src1_sel:BYTE_0
	v_and_b32_e32 v3, s15, v2
	v_mad_u32_u24 v2, v3, 36, v27
	; wave barrier
	ds_read_b32 v28, v2 offset:32
	v_and_b32_e32 v2, 1, v3
	v_add_co_u32_e32 v29, vcc, -1, v2
	v_addc_co_u32_e64 v31, s[4:5], 0, -1, vcc
	v_cmp_ne_u32_e32 vcc, 0, v2
	v_xor_b32_e32 v2, vcc_hi, v31
	v_and_b32_e32 v31, exec_hi, v2
	v_lshlrev_b32_e32 v2, 30, v3
	v_xor_b32_e32 v29, vcc_lo, v29
	v_cmp_gt_i64_e32 vcc, 0, v[1:2]
	v_not_b32_e32 v2, v2
	v_ashrrev_i32_e32 v2, 31, v2
	v_and_b32_e32 v29, exec_lo, v29
	v_xor_b32_e32 v34, vcc_hi, v2
	v_xor_b32_e32 v2, vcc_lo, v2
	v_and_b32_e32 v29, v29, v2
	v_lshlrev_b32_e32 v2, 29, v3
	v_cmp_gt_i64_e32 vcc, 0, v[1:2]
	v_not_b32_e32 v2, v2
	v_ashrrev_i32_e32 v2, 31, v2
	v_and_b32_e32 v31, v31, v34
	v_xor_b32_e32 v34, vcc_hi, v2
	v_xor_b32_e32 v2, vcc_lo, v2
	v_and_b32_e32 v29, v29, v2
	v_lshlrev_b32_e32 v2, 28, v3
	v_cmp_gt_i64_e32 vcc, 0, v[1:2]
	v_not_b32_e32 v2, v2
	v_ashrrev_i32_e32 v2, 31, v2
	v_and_b32_e32 v31, v31, v34
	;; [unrolled: 8-line block ×5, first 2 shown]
	v_xor_b32_e32 v34, vcc_hi, v2
	v_xor_b32_e32 v2, vcc_lo, v2
	v_and_b32_e32 v29, v29, v2
	v_lshlrev_b32_e32 v2, 24, v3
	v_cmp_gt_i64_e32 vcc, 0, v[1:2]
	v_not_b32_e32 v1, v2
	v_ashrrev_i32_e32 v1, 31, v1
	v_xor_b32_e32 v2, vcc_hi, v1
	v_xor_b32_e32 v1, vcc_lo, v1
	v_and_b32_e32 v31, v31, v34
	v_and_b32_e32 v1, v29, v1
	v_mul_u32_u24_e32 v4, 36, v3
	v_and_b32_e32 v2, v31, v2
	v_mbcnt_lo_u32_b32 v3, v1, 0
	v_mbcnt_hi_u32_b32 v29, v2, v3
	v_cmp_ne_u64_e32 vcc, 0, v[1:2]
	v_cmp_eq_u32_e64 s[4:5], 0, v29
	s_and_b64 s[6:7], vcc, s[4:5]
	v_add_u32_e32 v34, v27, v4
	; wave barrier
	s_and_saveexec_b64 s[4:5], s[6:7]
	s_cbranch_execz .LBB267_95
; %bb.94:
	v_bcnt_u32_b32 v1, v1, 0
	v_bcnt_u32_b32 v1, v2, v1
	s_waitcnt lgkmcnt(0)
	v_add_u32_e32 v1, v28, v1
	ds_write_b32 v34, v1 offset:32
.LBB267_95:
	s_or_b64 exec, exec, s[4:5]
	; wave barrier
	s_waitcnt lgkmcnt(0)
	s_barrier
	ds_read2_b32 v[3:4], v23 offset0:8 offset1:9
	ds_read2_b32 v[1:2], v23 offset0:10 offset1:11
	ds_read_b32 v27, v23 offset:48
	v_min_u32_e32 v10, 0x1c0, v10
	v_or_b32_e32 v10, 63, v10
	s_waitcnt lgkmcnt(1)
	v_add3_u32 v31, v4, v3, v1
	s_waitcnt lgkmcnt(0)
	v_add3_u32 v27, v31, v2, v27
	v_and_b32_e32 v31, 15, v9
	v_cmp_ne_u32_e32 vcc, 0, v31
	v_mov_b32_dpp v35, v27 row_shr:1 row_mask:0xf bank_mask:0xf
	v_cndmask_b32_e32 v35, 0, v35, vcc
	v_add_u32_e32 v27, v35, v27
	v_cmp_lt_u32_e32 vcc, 1, v31
	s_nop 0
	v_mov_b32_dpp v35, v27 row_shr:2 row_mask:0xf bank_mask:0xf
	v_cndmask_b32_e32 v35, 0, v35, vcc
	v_add_u32_e32 v27, v27, v35
	v_cmp_lt_u32_e32 vcc, 3, v31
	s_nop 0
	;; [unrolled: 5-line block ×3, first 2 shown]
	v_mov_b32_dpp v35, v27 row_shr:8 row_mask:0xf bank_mask:0xf
	v_cndmask_b32_e32 v31, 0, v35, vcc
	v_add_u32_e32 v27, v27, v31
	v_bfe_i32 v35, v9, 4, 1
	v_cmp_lt_u32_e32 vcc, 31, v9
	v_mov_b32_dpp v31, v27 row_bcast:15 row_mask:0xf bank_mask:0xf
	v_and_b32_e32 v31, v35, v31
	v_add_u32_e32 v27, v27, v31
	v_lshrrev_b32_e32 v35, 6, v0
	s_nop 0
	v_mov_b32_dpp v31, v27 row_bcast:31 row_mask:0xf bank_mask:0xf
	v_cndmask_b32_e32 v31, 0, v31, vcc
	v_add_u32_e32 v31, v27, v31
	v_cmp_eq_u32_e32 vcc, v0, v10
	s_and_saveexec_b64 s[4:5], vcc
; %bb.96:
	v_lshlrev_b32_e32 v10, 2, v35
	ds_write_b32 v10, v31
; %bb.97:
	s_or_b64 exec, exec, s[4:5]
	v_cmp_gt_u32_e32 vcc, 8, v0
	v_lshlrev_b32_e32 v27, 2, v0
	s_waitcnt lgkmcnt(0)
	s_barrier
	s_and_saveexec_b64 s[4:5], vcc
	s_cbranch_execz .LBB267_99
; %bb.98:
	ds_read_b32 v10, v27
	v_and_b32_e32 v36, 7, v9
	v_cmp_ne_u32_e32 vcc, 0, v36
	s_waitcnt lgkmcnt(0)
	v_mov_b32_dpp v37, v10 row_shr:1 row_mask:0xf bank_mask:0xf
	v_cndmask_b32_e32 v37, 0, v37, vcc
	v_add_u32_e32 v10, v37, v10
	v_cmp_lt_u32_e32 vcc, 1, v36
	s_nop 0
	v_mov_b32_dpp v37, v10 row_shr:2 row_mask:0xf bank_mask:0xf
	v_cndmask_b32_e32 v37, 0, v37, vcc
	v_add_u32_e32 v10, v10, v37
	v_cmp_lt_u32_e32 vcc, 3, v36
	s_nop 0
	v_mov_b32_dpp v37, v10 row_shr:4 row_mask:0xf bank_mask:0xf
	v_cndmask_b32_e32 v36, 0, v37, vcc
	v_add_u32_e32 v10, v10, v36
	ds_write_b32 v27, v10
.LBB267_99:
	s_or_b64 exec, exec, s[4:5]
	v_cmp_lt_u32_e32 vcc, 63, v0
	v_mov_b32_e32 v10, 0
	s_waitcnt lgkmcnt(0)
	s_barrier
	s_and_saveexec_b64 s[4:5], vcc
; %bb.100:
	v_lshl_add_u32 v10, v35, 2, -4
	ds_read_b32 v10, v10
; %bb.101:
	s_or_b64 exec, exec, s[4:5]
	v_subrev_co_u32_e32 v35, vcc, 1, v9
	v_and_b32_e32 v36, 64, v9
	v_cmp_lt_i32_e64 s[4:5], v35, v36
	v_cndmask_b32_e64 v9, v35, v9, s[4:5]
	s_waitcnt lgkmcnt(0)
	v_add_u32_e32 v31, v10, v31
	v_lshlrev_b32_e32 v9, 2, v9
	ds_bpermute_b32 v9, v9, v31
	s_movk_i32 s4, 0xff
	s_movk_i32 s6, 0x100
	s_waitcnt lgkmcnt(0)
	v_cndmask_b32_e32 v9, v9, v10, vcc
	v_cndmask_b32_e64 v9, v9, 0, s[22:23]
	v_add_u32_e32 v3, v9, v3
	v_add_u32_e32 v4, v3, v4
	;; [unrolled: 1-line block ×4, first 2 shown]
	ds_write2_b32 v23, v9, v3 offset0:8 offset1:9
	ds_write2_b32 v23, v4, v1 offset0:10 offset1:11
	ds_write_b32 v23, v2 offset:48
	s_waitcnt lgkmcnt(0)
	s_barrier
	ds_read_b32 v1, v25 offset:32
	ds_read_b32 v31, v5 offset:32
	;; [unrolled: 1-line block ×6, first 2 shown]
	v_cmp_lt_u32_e32 vcc, s4, v0
	v_cmp_gt_u32_e64 s[4:5], s6, v0
                                        ; implicit-def: $vgpr23
                                        ; implicit-def: $vgpr25
	s_and_saveexec_b64 s[8:9], s[4:5]
	s_cbranch_execz .LBB267_105
; %bb.102:
	v_mul_u32_u24_e32 v2, 36, v0
	ds_read_b32 v23, v2 offset:32
	v_add_u32_e32 v3, 1, v0
	v_cmp_ne_u32_e64 s[6:7], s6, v3
	v_mov_b32_e32 v2, 0xc00
	s_and_saveexec_b64 s[10:11], s[6:7]
; %bb.103:
	v_mul_u32_u24_e32 v2, 36, v3
	ds_read_b32 v2, v2 offset:32
; %bb.104:
	s_or_b64 exec, exec, s[10:11]
	s_waitcnt lgkmcnt(0)
	v_sub_u32_e32 v25, v2, v23
.LBB267_105:
	s_or_b64 exec, exec, s[8:9]
	s_waitcnt lgkmcnt(5)
	v_add_u32_e32 v21, v1, v21
	s_waitcnt lgkmcnt(3)
	v_add3_u32 v2, v19, v16, v30
	v_add3_u32 v1, v15, v13, v31
	s_waitcnt lgkmcnt(2)
	v_add3_u32 v3, v22, v20, v32
	s_waitcnt lgkmcnt(1)
	;; [unrolled: 2-line block ×3, first 2 shown]
	v_add3_u32 v5, v29, v28, v34
	s_barrier
	ds_write_b8 v21, v6 offset:1024
	ds_write_b8 v1, v11 offset:1024
	;; [unrolled: 1-line block ×6, first 2 shown]
	v_mov_b32_e32 v2, 0
	s_and_saveexec_b64 s[6:7], s[4:5]
	s_cbranch_execz .LBB267_115
; %bb.106:
	v_lshl_add_u32 v1, s33, 8, v0
	v_lshlrev_b64 v[3:4], 2, v[1:2]
	v_mov_b32_e32 v9, s35
	v_add_co_u32_e64 v3, s[4:5], s34, v3
	v_addc_co_u32_e64 v4, s[4:5], v9, v4, s[4:5]
	v_or_b32_e32 v1, 2.0, v25
	s_mov_b64 s[8:9], 0
	s_brev_b32 s16, -4
	s_mov_b32 s17, s33
	v_mov_b32_e32 v10, 0
	global_store_dword v[3:4], v1, off
                                        ; implicit-def: $sgpr4_sgpr5
	s_branch .LBB267_109
.LBB267_107:                            ;   in Loop: Header=BB267_109 Depth=1
	s_or_b64 exec, exec, s[12:13]
.LBB267_108:                            ;   in Loop: Header=BB267_109 Depth=1
	s_or_b64 exec, exec, s[10:11]
	v_and_b32_e32 v5, 0x3fffffff, v1
	v_add_u32_e32 v10, v5, v10
	v_cmp_gt_i32_e64 s[4:5], -2.0, v1
	s_and_b64 s[10:11], exec, s[4:5]
	s_or_b64 s[8:9], s[10:11], s[8:9]
	s_andn2_b64 exec, exec, s[8:9]
	s_cbranch_execz .LBB267_114
.LBB267_109:                            ; =>This Loop Header: Depth=1
                                        ;     Child Loop BB267_112 Depth 2
	s_or_b64 s[4:5], s[4:5], exec
	s_cmp_eq_u32 s17, 0
	s_cbranch_scc1 .LBB267_113
; %bb.110:                              ;   in Loop: Header=BB267_109 Depth=1
	s_add_i32 s17, s17, -1
	v_lshl_or_b32 v1, s17, 8, v0
	v_lshlrev_b64 v[5:6], 2, v[1:2]
	v_add_co_u32_e64 v5, s[4:5], s34, v5
	v_addc_co_u32_e64 v6, s[4:5], v9, v6, s[4:5]
	global_load_dword v1, v[5:6], off glc
	s_waitcnt vmcnt(0)
	v_cmp_gt_u32_e64 s[4:5], 2.0, v1
	s_and_saveexec_b64 s[10:11], s[4:5]
	s_cbranch_execz .LBB267_108
; %bb.111:                              ;   in Loop: Header=BB267_109 Depth=1
	s_mov_b64 s[12:13], 0
.LBB267_112:                            ;   Parent Loop BB267_109 Depth=1
                                        ; =>  This Inner Loop Header: Depth=2
	global_load_dword v1, v[5:6], off glc
	s_waitcnt vmcnt(0)
	v_cmp_lt_u32_e64 s[4:5], s16, v1
	s_or_b64 s[12:13], s[4:5], s[12:13]
	s_andn2_b64 exec, exec, s[12:13]
	s_cbranch_execnz .LBB267_112
	s_branch .LBB267_107
.LBB267_113:                            ;   in Loop: Header=BB267_109 Depth=1
                                        ; implicit-def: $sgpr17
	s_and_b64 s[10:11], exec, s[4:5]
	s_or_b64 s[8:9], s[10:11], s[8:9]
	s_andn2_b64 exec, exec, s[8:9]
	s_cbranch_execnz .LBB267_109
.LBB267_114:
	s_or_b64 exec, exec, s[8:9]
	v_add_u32_e32 v1, v10, v25
	v_or_b32_e32 v1, 0x80000000, v1
	global_store_dword v[3:4], v1, off
	global_load_dword v1, v27, s[28:29]
	v_sub_u32_e32 v2, v10, v23
	s_waitcnt vmcnt(0)
	v_add_u32_e32 v1, v2, v1
	ds_write_b32 v27, v1
.LBB267_115:
	s_or_b64 exec, exec, s[6:7]
	s_waitcnt lgkmcnt(0)
	s_barrier
	ds_read_u8 v1, v0 offset:1024
	ds_read_u8 v2, v0 offset:1536
	;; [unrolled: 1-line block ×6, first 2 shown]
	s_waitcnt lgkmcnt(5)
	v_lshrrev_b32_sdwa v9, s44, v1 dst_sel:DWORD dst_unused:UNUSED_PAD src0_sel:DWORD src1_sel:BYTE_0
	s_waitcnt lgkmcnt(4)
	v_lshrrev_b32_sdwa v10, s44, v2 dst_sel:DWORD dst_unused:UNUSED_PAD src0_sel:DWORD src1_sel:BYTE_0
	;; [unrolled: 2-line block ×6, first 2 shown]
	v_and_b32_e32 v14, s15, v9
	v_and_b32_e32 v35, s15, v10
	;; [unrolled: 1-line block ×6, first 2 shown]
	v_lshlrev_b32_e32 v9, 2, v14
	v_lshlrev_b32_e32 v10, 2, v35
	;; [unrolled: 1-line block ×6, first 2 shown]
	ds_read_b32 v9, v9
	ds_read_b32 v10, v10
	;; [unrolled: 1-line block ×6, first 2 shown]
	s_waitcnt lgkmcnt(5)
	v_add_u32_e32 v9, v9, v0
	s_movk_i32 s6, 0x200
	global_store_byte v9, v1, s[38:39]
	s_waitcnt lgkmcnt(4)
	v_add3_u32 v1, v0, v10, s6
	s_movk_i32 s4, 0x400
	global_store_byte v1, v2, s[38:39]
	s_waitcnt lgkmcnt(3)
	v_add3_u32 v1, v11, v0, s4
	;; [unrolled: 4-line block ×5, first 2 shown]
	s_lshl_b64 s[4:5], s[26:27], 3
	s_add_u32 s4, s40, s4
	global_store_byte v1, v6, s[38:39]
	s_addc_u32 s5, s41, s5
	v_lshlrev_b32_e32 v1, 3, v8
	v_mov_b32_e32 v2, s5
	v_add_co_u32_e64 v1, s[4:5], s4, v1
	v_addc_co_u32_e64 v2, s[4:5], 0, v2, s[4:5]
	v_lshlrev_b32_e32 v3, 3, v7
	v_add_co_u32_e64 v17, s[4:5], v1, v3
	v_addc_co_u32_e64 v18, s[4:5], 0, v2, s[4:5]
	global_load_dwordx2 v[1:2], v[17:18], off
	global_load_dwordx2 v[3:4], v[17:18], off offset:512
	global_load_dwordx2 v[5:6], v[17:18], off offset:1024
	;; [unrolled: 1-line block ×5, first 2 shown]
	v_add3_u32 v18, v26, v33, v24
	v_mul_u32_u24_e32 v24, 7, v0
	buffer_store_dword v14, off, s[0:3], 0
	buffer_store_dword v35, off, s[0:3], 0 offset:4
	buffer_store_dword v36, off, s[0:3], 0 offset:8
	;; [unrolled: 1-line block ×5, first 2 shown]
	v_add3_u32 v17, v29, v34, v28
	v_mov_b32_e32 v14, 0
	v_add3_u32 v20, v22, v32, v20
	v_add3_u32 v16, v19, v30, v16
	;; [unrolled: 1-line block ×3, first 2 shown]
	s_mov_b32 s7, 0
	s_mov_b32 s8, 0
	v_add_u32_e32 v19, v0, v24
	v_mov_b32_e32 v22, s43
	s_waitcnt vmcnt(0)
	s_barrier
.LBB267_116:                            ; =>This Inner Loop Header: Depth=1
	v_add_u32_e32 v13, s8, v21
	v_add_u32_e32 v24, s8, v15
	;; [unrolled: 1-line block ×6, first 2 shown]
	v_min_u32_e32 v13, 0x400, v13
	v_min_u32_e32 v24, 0x400, v24
	v_mov_b32_e32 v31, s7
	v_min_u32_e32 v26, 0x400, v26
	v_min_u32_e32 v28, 0x400, v28
	;; [unrolled: 1-line block ×4, first 2 shown]
	v_lshlrev_b32_e32 v13, 3, v13
	v_lshlrev_b32_e32 v24, 3, v24
	;; [unrolled: 1-line block ×6, first 2 shown]
	ds_write_b64 v13, v[1:2] offset:1024
	ds_write_b64 v24, v[3:4] offset:1024
	;; [unrolled: 1-line block ×6, first 2 shown]
	s_waitcnt lgkmcnt(0)
	s_barrier
	buffer_load_dword v13, v31, s[0:3], 0 offen
	buffer_load_dword v24, v31, s[0:3], 0 offen offset:4
	ds_read2st64_b64 v[28:31], v19 offset0:2 offset1:10
	s_addk_i32 s8, 0xfc00
	s_add_i32 s7, s7, 8
	s_cmpk_lg_i32 s8, 0xf400
	s_waitcnt vmcnt(1)
	v_lshlrev_b32_e32 v13, 2, v13
	s_waitcnt vmcnt(0)
	v_lshlrev_b32_e32 v24, 2, v24
	ds_read_b32 v13, v13
	ds_read_b32 v24, v24
	s_waitcnt lgkmcnt(1)
	v_add_u32_e32 v13, v0, v13
	v_lshlrev_b64 v[32:33], 3, v[13:14]
	s_waitcnt lgkmcnt(0)
	v_add3_u32 v13, v0, v24, s6
	v_lshlrev_b64 v[34:35], 3, v[13:14]
	v_add_co_u32_e64 v32, s[4:5], s42, v32
	v_addc_co_u32_e64 v33, s[4:5], v22, v33, s[4:5]
	global_store_dwordx2 v[32:33], v[28:29], off
	v_add_co_u32_e64 v28, s[4:5], s42, v34
	v_add_u32_e32 v0, 0x400, v0
	v_addc_co_u32_e64 v29, s[4:5], v22, v35, s[4:5]
	global_store_dwordx2 v[28:29], v[30:31], off
	s_waitcnt vmcnt(0)
	s_barrier
	s_cbranch_scc1 .LBB267_116
; %bb.117:
	s_add_i32 s14, s14, -1
	s_cmp_eq_u32 s33, s14
	s_cselect_b64 s[4:5], -1, 0
	s_xor_b64 s[6:7], vcc, -1
	s_and_b64 s[4:5], s[6:7], s[4:5]
	s_and_saveexec_b64 s[6:7], s[4:5]
	s_cbranch_execz .LBB267_119
; %bb.118:
	ds_read_b32 v0, v27
	s_waitcnt lgkmcnt(0)
	v_add3_u32 v0, v23, v25, v0
	global_store_dword v27, v0, s[30:31]
.LBB267_119:
	s_endpgm
	.section	.rodata,"a",@progbits
	.p2align	6, 0x0
	.amdhsa_kernel _ZN7rocprim17ROCPRIM_400000_NS6detail17trampoline_kernelINS0_14default_configENS1_35radix_sort_onesweep_config_selectorIhlEEZZNS1_29radix_sort_onesweep_iterationIS3_Lb0EPhS7_N6thrust23THRUST_200600_302600_NS10device_ptrIlEESB_jNS0_19identity_decomposerENS1_16block_id_wrapperIjLb1EEEEE10hipError_tT1_PNSt15iterator_traitsISG_E10value_typeET2_T3_PNSH_ISM_E10value_typeET4_T5_PSR_SS_PNS1_23onesweep_lookback_stateEbbT6_jjT7_P12ihipStream_tbENKUlT_T0_SG_SL_E_clIS7_S7_SB_SB_EEDaSZ_S10_SG_SL_EUlSZ_E_NS1_11comp_targetILNS1_3genE2ELNS1_11target_archE906ELNS1_3gpuE6ELNS1_3repE0EEENS1_47radix_sort_onesweep_sort_config_static_selectorELNS0_4arch9wavefront6targetE1EEEvSG_
		.amdhsa_group_segment_fixed_size 10280
		.amdhsa_private_segment_fixed_size 32
		.amdhsa_kernarg_size 344
		.amdhsa_user_sgpr_count 6
		.amdhsa_user_sgpr_private_segment_buffer 1
		.amdhsa_user_sgpr_dispatch_ptr 0
		.amdhsa_user_sgpr_queue_ptr 0
		.amdhsa_user_sgpr_kernarg_segment_ptr 1
		.amdhsa_user_sgpr_dispatch_id 0
		.amdhsa_user_sgpr_flat_scratch_init 0
		.amdhsa_user_sgpr_private_segment_size 0
		.amdhsa_uses_dynamic_stack 0
		.amdhsa_system_sgpr_private_segment_wavefront_offset 1
		.amdhsa_system_sgpr_workgroup_id_x 1
		.amdhsa_system_sgpr_workgroup_id_y 0
		.amdhsa_system_sgpr_workgroup_id_z 0
		.amdhsa_system_sgpr_workgroup_info 0
		.amdhsa_system_vgpr_workitem_id 2
		.amdhsa_next_free_vgpr 41
		.amdhsa_next_free_sgpr 56
		.amdhsa_reserve_vcc 1
		.amdhsa_reserve_flat_scratch 0
		.amdhsa_float_round_mode_32 0
		.amdhsa_float_round_mode_16_64 0
		.amdhsa_float_denorm_mode_32 3
		.amdhsa_float_denorm_mode_16_64 3
		.amdhsa_dx10_clamp 1
		.amdhsa_ieee_mode 1
		.amdhsa_fp16_overflow 0
		.amdhsa_exception_fp_ieee_invalid_op 0
		.amdhsa_exception_fp_denorm_src 0
		.amdhsa_exception_fp_ieee_div_zero 0
		.amdhsa_exception_fp_ieee_overflow 0
		.amdhsa_exception_fp_ieee_underflow 0
		.amdhsa_exception_fp_ieee_inexact 0
		.amdhsa_exception_int_div_zero 0
	.end_amdhsa_kernel
	.section	.text._ZN7rocprim17ROCPRIM_400000_NS6detail17trampoline_kernelINS0_14default_configENS1_35radix_sort_onesweep_config_selectorIhlEEZZNS1_29radix_sort_onesweep_iterationIS3_Lb0EPhS7_N6thrust23THRUST_200600_302600_NS10device_ptrIlEESB_jNS0_19identity_decomposerENS1_16block_id_wrapperIjLb1EEEEE10hipError_tT1_PNSt15iterator_traitsISG_E10value_typeET2_T3_PNSH_ISM_E10value_typeET4_T5_PSR_SS_PNS1_23onesweep_lookback_stateEbbT6_jjT7_P12ihipStream_tbENKUlT_T0_SG_SL_E_clIS7_S7_SB_SB_EEDaSZ_S10_SG_SL_EUlSZ_E_NS1_11comp_targetILNS1_3genE2ELNS1_11target_archE906ELNS1_3gpuE6ELNS1_3repE0EEENS1_47radix_sort_onesweep_sort_config_static_selectorELNS0_4arch9wavefront6targetE1EEEvSG_,"axG",@progbits,_ZN7rocprim17ROCPRIM_400000_NS6detail17trampoline_kernelINS0_14default_configENS1_35radix_sort_onesweep_config_selectorIhlEEZZNS1_29radix_sort_onesweep_iterationIS3_Lb0EPhS7_N6thrust23THRUST_200600_302600_NS10device_ptrIlEESB_jNS0_19identity_decomposerENS1_16block_id_wrapperIjLb1EEEEE10hipError_tT1_PNSt15iterator_traitsISG_E10value_typeET2_T3_PNSH_ISM_E10value_typeET4_T5_PSR_SS_PNS1_23onesweep_lookback_stateEbbT6_jjT7_P12ihipStream_tbENKUlT_T0_SG_SL_E_clIS7_S7_SB_SB_EEDaSZ_S10_SG_SL_EUlSZ_E_NS1_11comp_targetILNS1_3genE2ELNS1_11target_archE906ELNS1_3gpuE6ELNS1_3repE0EEENS1_47radix_sort_onesweep_sort_config_static_selectorELNS0_4arch9wavefront6targetE1EEEvSG_,comdat
.Lfunc_end267:
	.size	_ZN7rocprim17ROCPRIM_400000_NS6detail17trampoline_kernelINS0_14default_configENS1_35radix_sort_onesweep_config_selectorIhlEEZZNS1_29radix_sort_onesweep_iterationIS3_Lb0EPhS7_N6thrust23THRUST_200600_302600_NS10device_ptrIlEESB_jNS0_19identity_decomposerENS1_16block_id_wrapperIjLb1EEEEE10hipError_tT1_PNSt15iterator_traitsISG_E10value_typeET2_T3_PNSH_ISM_E10value_typeET4_T5_PSR_SS_PNS1_23onesweep_lookback_stateEbbT6_jjT7_P12ihipStream_tbENKUlT_T0_SG_SL_E_clIS7_S7_SB_SB_EEDaSZ_S10_SG_SL_EUlSZ_E_NS1_11comp_targetILNS1_3genE2ELNS1_11target_archE906ELNS1_3gpuE6ELNS1_3repE0EEENS1_47radix_sort_onesweep_sort_config_static_selectorELNS0_4arch9wavefront6targetE1EEEvSG_, .Lfunc_end267-_ZN7rocprim17ROCPRIM_400000_NS6detail17trampoline_kernelINS0_14default_configENS1_35radix_sort_onesweep_config_selectorIhlEEZZNS1_29radix_sort_onesweep_iterationIS3_Lb0EPhS7_N6thrust23THRUST_200600_302600_NS10device_ptrIlEESB_jNS0_19identity_decomposerENS1_16block_id_wrapperIjLb1EEEEE10hipError_tT1_PNSt15iterator_traitsISG_E10value_typeET2_T3_PNSH_ISM_E10value_typeET4_T5_PSR_SS_PNS1_23onesweep_lookback_stateEbbT6_jjT7_P12ihipStream_tbENKUlT_T0_SG_SL_E_clIS7_S7_SB_SB_EEDaSZ_S10_SG_SL_EUlSZ_E_NS1_11comp_targetILNS1_3genE2ELNS1_11target_archE906ELNS1_3gpuE6ELNS1_3repE0EEENS1_47radix_sort_onesweep_sort_config_static_selectorELNS0_4arch9wavefront6targetE1EEEvSG_
                                        ; -- End function
	.set _ZN7rocprim17ROCPRIM_400000_NS6detail17trampoline_kernelINS0_14default_configENS1_35radix_sort_onesweep_config_selectorIhlEEZZNS1_29radix_sort_onesweep_iterationIS3_Lb0EPhS7_N6thrust23THRUST_200600_302600_NS10device_ptrIlEESB_jNS0_19identity_decomposerENS1_16block_id_wrapperIjLb1EEEEE10hipError_tT1_PNSt15iterator_traitsISG_E10value_typeET2_T3_PNSH_ISM_E10value_typeET4_T5_PSR_SS_PNS1_23onesweep_lookback_stateEbbT6_jjT7_P12ihipStream_tbENKUlT_T0_SG_SL_E_clIS7_S7_SB_SB_EEDaSZ_S10_SG_SL_EUlSZ_E_NS1_11comp_targetILNS1_3genE2ELNS1_11target_archE906ELNS1_3gpuE6ELNS1_3repE0EEENS1_47radix_sort_onesweep_sort_config_static_selectorELNS0_4arch9wavefront6targetE1EEEvSG_.num_vgpr, 41
	.set _ZN7rocprim17ROCPRIM_400000_NS6detail17trampoline_kernelINS0_14default_configENS1_35radix_sort_onesweep_config_selectorIhlEEZZNS1_29radix_sort_onesweep_iterationIS3_Lb0EPhS7_N6thrust23THRUST_200600_302600_NS10device_ptrIlEESB_jNS0_19identity_decomposerENS1_16block_id_wrapperIjLb1EEEEE10hipError_tT1_PNSt15iterator_traitsISG_E10value_typeET2_T3_PNSH_ISM_E10value_typeET4_T5_PSR_SS_PNS1_23onesweep_lookback_stateEbbT6_jjT7_P12ihipStream_tbENKUlT_T0_SG_SL_E_clIS7_S7_SB_SB_EEDaSZ_S10_SG_SL_EUlSZ_E_NS1_11comp_targetILNS1_3genE2ELNS1_11target_archE906ELNS1_3gpuE6ELNS1_3repE0EEENS1_47radix_sort_onesweep_sort_config_static_selectorELNS0_4arch9wavefront6targetE1EEEvSG_.num_agpr, 0
	.set _ZN7rocprim17ROCPRIM_400000_NS6detail17trampoline_kernelINS0_14default_configENS1_35radix_sort_onesweep_config_selectorIhlEEZZNS1_29radix_sort_onesweep_iterationIS3_Lb0EPhS7_N6thrust23THRUST_200600_302600_NS10device_ptrIlEESB_jNS0_19identity_decomposerENS1_16block_id_wrapperIjLb1EEEEE10hipError_tT1_PNSt15iterator_traitsISG_E10value_typeET2_T3_PNSH_ISM_E10value_typeET4_T5_PSR_SS_PNS1_23onesweep_lookback_stateEbbT6_jjT7_P12ihipStream_tbENKUlT_T0_SG_SL_E_clIS7_S7_SB_SB_EEDaSZ_S10_SG_SL_EUlSZ_E_NS1_11comp_targetILNS1_3genE2ELNS1_11target_archE906ELNS1_3gpuE6ELNS1_3repE0EEENS1_47radix_sort_onesweep_sort_config_static_selectorELNS0_4arch9wavefront6targetE1EEEvSG_.numbered_sgpr, 56
	.set _ZN7rocprim17ROCPRIM_400000_NS6detail17trampoline_kernelINS0_14default_configENS1_35radix_sort_onesweep_config_selectorIhlEEZZNS1_29radix_sort_onesweep_iterationIS3_Lb0EPhS7_N6thrust23THRUST_200600_302600_NS10device_ptrIlEESB_jNS0_19identity_decomposerENS1_16block_id_wrapperIjLb1EEEEE10hipError_tT1_PNSt15iterator_traitsISG_E10value_typeET2_T3_PNSH_ISM_E10value_typeET4_T5_PSR_SS_PNS1_23onesweep_lookback_stateEbbT6_jjT7_P12ihipStream_tbENKUlT_T0_SG_SL_E_clIS7_S7_SB_SB_EEDaSZ_S10_SG_SL_EUlSZ_E_NS1_11comp_targetILNS1_3genE2ELNS1_11target_archE906ELNS1_3gpuE6ELNS1_3repE0EEENS1_47radix_sort_onesweep_sort_config_static_selectorELNS0_4arch9wavefront6targetE1EEEvSG_.num_named_barrier, 0
	.set _ZN7rocprim17ROCPRIM_400000_NS6detail17trampoline_kernelINS0_14default_configENS1_35radix_sort_onesweep_config_selectorIhlEEZZNS1_29radix_sort_onesweep_iterationIS3_Lb0EPhS7_N6thrust23THRUST_200600_302600_NS10device_ptrIlEESB_jNS0_19identity_decomposerENS1_16block_id_wrapperIjLb1EEEEE10hipError_tT1_PNSt15iterator_traitsISG_E10value_typeET2_T3_PNSH_ISM_E10value_typeET4_T5_PSR_SS_PNS1_23onesweep_lookback_stateEbbT6_jjT7_P12ihipStream_tbENKUlT_T0_SG_SL_E_clIS7_S7_SB_SB_EEDaSZ_S10_SG_SL_EUlSZ_E_NS1_11comp_targetILNS1_3genE2ELNS1_11target_archE906ELNS1_3gpuE6ELNS1_3repE0EEENS1_47radix_sort_onesweep_sort_config_static_selectorELNS0_4arch9wavefront6targetE1EEEvSG_.private_seg_size, 32
	.set _ZN7rocprim17ROCPRIM_400000_NS6detail17trampoline_kernelINS0_14default_configENS1_35radix_sort_onesweep_config_selectorIhlEEZZNS1_29radix_sort_onesweep_iterationIS3_Lb0EPhS7_N6thrust23THRUST_200600_302600_NS10device_ptrIlEESB_jNS0_19identity_decomposerENS1_16block_id_wrapperIjLb1EEEEE10hipError_tT1_PNSt15iterator_traitsISG_E10value_typeET2_T3_PNSH_ISM_E10value_typeET4_T5_PSR_SS_PNS1_23onesweep_lookback_stateEbbT6_jjT7_P12ihipStream_tbENKUlT_T0_SG_SL_E_clIS7_S7_SB_SB_EEDaSZ_S10_SG_SL_EUlSZ_E_NS1_11comp_targetILNS1_3genE2ELNS1_11target_archE906ELNS1_3gpuE6ELNS1_3repE0EEENS1_47radix_sort_onesweep_sort_config_static_selectorELNS0_4arch9wavefront6targetE1EEEvSG_.uses_vcc, 1
	.set _ZN7rocprim17ROCPRIM_400000_NS6detail17trampoline_kernelINS0_14default_configENS1_35radix_sort_onesweep_config_selectorIhlEEZZNS1_29radix_sort_onesweep_iterationIS3_Lb0EPhS7_N6thrust23THRUST_200600_302600_NS10device_ptrIlEESB_jNS0_19identity_decomposerENS1_16block_id_wrapperIjLb1EEEEE10hipError_tT1_PNSt15iterator_traitsISG_E10value_typeET2_T3_PNSH_ISM_E10value_typeET4_T5_PSR_SS_PNS1_23onesweep_lookback_stateEbbT6_jjT7_P12ihipStream_tbENKUlT_T0_SG_SL_E_clIS7_S7_SB_SB_EEDaSZ_S10_SG_SL_EUlSZ_E_NS1_11comp_targetILNS1_3genE2ELNS1_11target_archE906ELNS1_3gpuE6ELNS1_3repE0EEENS1_47radix_sort_onesweep_sort_config_static_selectorELNS0_4arch9wavefront6targetE1EEEvSG_.uses_flat_scratch, 0
	.set _ZN7rocprim17ROCPRIM_400000_NS6detail17trampoline_kernelINS0_14default_configENS1_35radix_sort_onesweep_config_selectorIhlEEZZNS1_29radix_sort_onesweep_iterationIS3_Lb0EPhS7_N6thrust23THRUST_200600_302600_NS10device_ptrIlEESB_jNS0_19identity_decomposerENS1_16block_id_wrapperIjLb1EEEEE10hipError_tT1_PNSt15iterator_traitsISG_E10value_typeET2_T3_PNSH_ISM_E10value_typeET4_T5_PSR_SS_PNS1_23onesweep_lookback_stateEbbT6_jjT7_P12ihipStream_tbENKUlT_T0_SG_SL_E_clIS7_S7_SB_SB_EEDaSZ_S10_SG_SL_EUlSZ_E_NS1_11comp_targetILNS1_3genE2ELNS1_11target_archE906ELNS1_3gpuE6ELNS1_3repE0EEENS1_47radix_sort_onesweep_sort_config_static_selectorELNS0_4arch9wavefront6targetE1EEEvSG_.has_dyn_sized_stack, 0
	.set _ZN7rocprim17ROCPRIM_400000_NS6detail17trampoline_kernelINS0_14default_configENS1_35radix_sort_onesweep_config_selectorIhlEEZZNS1_29radix_sort_onesweep_iterationIS3_Lb0EPhS7_N6thrust23THRUST_200600_302600_NS10device_ptrIlEESB_jNS0_19identity_decomposerENS1_16block_id_wrapperIjLb1EEEEE10hipError_tT1_PNSt15iterator_traitsISG_E10value_typeET2_T3_PNSH_ISM_E10value_typeET4_T5_PSR_SS_PNS1_23onesweep_lookback_stateEbbT6_jjT7_P12ihipStream_tbENKUlT_T0_SG_SL_E_clIS7_S7_SB_SB_EEDaSZ_S10_SG_SL_EUlSZ_E_NS1_11comp_targetILNS1_3genE2ELNS1_11target_archE906ELNS1_3gpuE6ELNS1_3repE0EEENS1_47radix_sort_onesweep_sort_config_static_selectorELNS0_4arch9wavefront6targetE1EEEvSG_.has_recursion, 0
	.set _ZN7rocprim17ROCPRIM_400000_NS6detail17trampoline_kernelINS0_14default_configENS1_35radix_sort_onesweep_config_selectorIhlEEZZNS1_29radix_sort_onesweep_iterationIS3_Lb0EPhS7_N6thrust23THRUST_200600_302600_NS10device_ptrIlEESB_jNS0_19identity_decomposerENS1_16block_id_wrapperIjLb1EEEEE10hipError_tT1_PNSt15iterator_traitsISG_E10value_typeET2_T3_PNSH_ISM_E10value_typeET4_T5_PSR_SS_PNS1_23onesweep_lookback_stateEbbT6_jjT7_P12ihipStream_tbENKUlT_T0_SG_SL_E_clIS7_S7_SB_SB_EEDaSZ_S10_SG_SL_EUlSZ_E_NS1_11comp_targetILNS1_3genE2ELNS1_11target_archE906ELNS1_3gpuE6ELNS1_3repE0EEENS1_47radix_sort_onesweep_sort_config_static_selectorELNS0_4arch9wavefront6targetE1EEEvSG_.has_indirect_call, 0
	.section	.AMDGPU.csdata,"",@progbits
; Kernel info:
; codeLenInByte = 10212
; TotalNumSgprs: 60
; NumVgprs: 41
; ScratchSize: 32
; MemoryBound: 0
; FloatMode: 240
; IeeeMode: 1
; LDSByteSize: 10280 bytes/workgroup (compile time only)
; SGPRBlocks: 7
; VGPRBlocks: 10
; NumSGPRsForWavesPerEU: 60
; NumVGPRsForWavesPerEU: 41
; Occupancy: 5
; WaveLimiterHint : 1
; COMPUTE_PGM_RSRC2:SCRATCH_EN: 1
; COMPUTE_PGM_RSRC2:USER_SGPR: 6
; COMPUTE_PGM_RSRC2:TRAP_HANDLER: 0
; COMPUTE_PGM_RSRC2:TGID_X_EN: 1
; COMPUTE_PGM_RSRC2:TGID_Y_EN: 0
; COMPUTE_PGM_RSRC2:TGID_Z_EN: 0
; COMPUTE_PGM_RSRC2:TIDIG_COMP_CNT: 2
	.section	.text._ZN7rocprim17ROCPRIM_400000_NS6detail17trampoline_kernelINS0_14default_configENS1_35radix_sort_onesweep_config_selectorIhlEEZZNS1_29radix_sort_onesweep_iterationIS3_Lb0EPhS7_N6thrust23THRUST_200600_302600_NS10device_ptrIlEESB_jNS0_19identity_decomposerENS1_16block_id_wrapperIjLb1EEEEE10hipError_tT1_PNSt15iterator_traitsISG_E10value_typeET2_T3_PNSH_ISM_E10value_typeET4_T5_PSR_SS_PNS1_23onesweep_lookback_stateEbbT6_jjT7_P12ihipStream_tbENKUlT_T0_SG_SL_E_clIS7_S7_SB_SB_EEDaSZ_S10_SG_SL_EUlSZ_E_NS1_11comp_targetILNS1_3genE4ELNS1_11target_archE910ELNS1_3gpuE8ELNS1_3repE0EEENS1_47radix_sort_onesweep_sort_config_static_selectorELNS0_4arch9wavefront6targetE1EEEvSG_,"axG",@progbits,_ZN7rocprim17ROCPRIM_400000_NS6detail17trampoline_kernelINS0_14default_configENS1_35radix_sort_onesweep_config_selectorIhlEEZZNS1_29radix_sort_onesweep_iterationIS3_Lb0EPhS7_N6thrust23THRUST_200600_302600_NS10device_ptrIlEESB_jNS0_19identity_decomposerENS1_16block_id_wrapperIjLb1EEEEE10hipError_tT1_PNSt15iterator_traitsISG_E10value_typeET2_T3_PNSH_ISM_E10value_typeET4_T5_PSR_SS_PNS1_23onesweep_lookback_stateEbbT6_jjT7_P12ihipStream_tbENKUlT_T0_SG_SL_E_clIS7_S7_SB_SB_EEDaSZ_S10_SG_SL_EUlSZ_E_NS1_11comp_targetILNS1_3genE4ELNS1_11target_archE910ELNS1_3gpuE8ELNS1_3repE0EEENS1_47radix_sort_onesweep_sort_config_static_selectorELNS0_4arch9wavefront6targetE1EEEvSG_,comdat
	.protected	_ZN7rocprim17ROCPRIM_400000_NS6detail17trampoline_kernelINS0_14default_configENS1_35radix_sort_onesweep_config_selectorIhlEEZZNS1_29radix_sort_onesweep_iterationIS3_Lb0EPhS7_N6thrust23THRUST_200600_302600_NS10device_ptrIlEESB_jNS0_19identity_decomposerENS1_16block_id_wrapperIjLb1EEEEE10hipError_tT1_PNSt15iterator_traitsISG_E10value_typeET2_T3_PNSH_ISM_E10value_typeET4_T5_PSR_SS_PNS1_23onesweep_lookback_stateEbbT6_jjT7_P12ihipStream_tbENKUlT_T0_SG_SL_E_clIS7_S7_SB_SB_EEDaSZ_S10_SG_SL_EUlSZ_E_NS1_11comp_targetILNS1_3genE4ELNS1_11target_archE910ELNS1_3gpuE8ELNS1_3repE0EEENS1_47radix_sort_onesweep_sort_config_static_selectorELNS0_4arch9wavefront6targetE1EEEvSG_ ; -- Begin function _ZN7rocprim17ROCPRIM_400000_NS6detail17trampoline_kernelINS0_14default_configENS1_35radix_sort_onesweep_config_selectorIhlEEZZNS1_29radix_sort_onesweep_iterationIS3_Lb0EPhS7_N6thrust23THRUST_200600_302600_NS10device_ptrIlEESB_jNS0_19identity_decomposerENS1_16block_id_wrapperIjLb1EEEEE10hipError_tT1_PNSt15iterator_traitsISG_E10value_typeET2_T3_PNSH_ISM_E10value_typeET4_T5_PSR_SS_PNS1_23onesweep_lookback_stateEbbT6_jjT7_P12ihipStream_tbENKUlT_T0_SG_SL_E_clIS7_S7_SB_SB_EEDaSZ_S10_SG_SL_EUlSZ_E_NS1_11comp_targetILNS1_3genE4ELNS1_11target_archE910ELNS1_3gpuE8ELNS1_3repE0EEENS1_47radix_sort_onesweep_sort_config_static_selectorELNS0_4arch9wavefront6targetE1EEEvSG_
	.globl	_ZN7rocprim17ROCPRIM_400000_NS6detail17trampoline_kernelINS0_14default_configENS1_35radix_sort_onesweep_config_selectorIhlEEZZNS1_29radix_sort_onesweep_iterationIS3_Lb0EPhS7_N6thrust23THRUST_200600_302600_NS10device_ptrIlEESB_jNS0_19identity_decomposerENS1_16block_id_wrapperIjLb1EEEEE10hipError_tT1_PNSt15iterator_traitsISG_E10value_typeET2_T3_PNSH_ISM_E10value_typeET4_T5_PSR_SS_PNS1_23onesweep_lookback_stateEbbT6_jjT7_P12ihipStream_tbENKUlT_T0_SG_SL_E_clIS7_S7_SB_SB_EEDaSZ_S10_SG_SL_EUlSZ_E_NS1_11comp_targetILNS1_3genE4ELNS1_11target_archE910ELNS1_3gpuE8ELNS1_3repE0EEENS1_47radix_sort_onesweep_sort_config_static_selectorELNS0_4arch9wavefront6targetE1EEEvSG_
	.p2align	8
	.type	_ZN7rocprim17ROCPRIM_400000_NS6detail17trampoline_kernelINS0_14default_configENS1_35radix_sort_onesweep_config_selectorIhlEEZZNS1_29radix_sort_onesweep_iterationIS3_Lb0EPhS7_N6thrust23THRUST_200600_302600_NS10device_ptrIlEESB_jNS0_19identity_decomposerENS1_16block_id_wrapperIjLb1EEEEE10hipError_tT1_PNSt15iterator_traitsISG_E10value_typeET2_T3_PNSH_ISM_E10value_typeET4_T5_PSR_SS_PNS1_23onesweep_lookback_stateEbbT6_jjT7_P12ihipStream_tbENKUlT_T0_SG_SL_E_clIS7_S7_SB_SB_EEDaSZ_S10_SG_SL_EUlSZ_E_NS1_11comp_targetILNS1_3genE4ELNS1_11target_archE910ELNS1_3gpuE8ELNS1_3repE0EEENS1_47radix_sort_onesweep_sort_config_static_selectorELNS0_4arch9wavefront6targetE1EEEvSG_,@function
_ZN7rocprim17ROCPRIM_400000_NS6detail17trampoline_kernelINS0_14default_configENS1_35radix_sort_onesweep_config_selectorIhlEEZZNS1_29radix_sort_onesweep_iterationIS3_Lb0EPhS7_N6thrust23THRUST_200600_302600_NS10device_ptrIlEESB_jNS0_19identity_decomposerENS1_16block_id_wrapperIjLb1EEEEE10hipError_tT1_PNSt15iterator_traitsISG_E10value_typeET2_T3_PNSH_ISM_E10value_typeET4_T5_PSR_SS_PNS1_23onesweep_lookback_stateEbbT6_jjT7_P12ihipStream_tbENKUlT_T0_SG_SL_E_clIS7_S7_SB_SB_EEDaSZ_S10_SG_SL_EUlSZ_E_NS1_11comp_targetILNS1_3genE4ELNS1_11target_archE910ELNS1_3gpuE8ELNS1_3repE0EEENS1_47radix_sort_onesweep_sort_config_static_selectorELNS0_4arch9wavefront6targetE1EEEvSG_: ; @_ZN7rocprim17ROCPRIM_400000_NS6detail17trampoline_kernelINS0_14default_configENS1_35radix_sort_onesweep_config_selectorIhlEEZZNS1_29radix_sort_onesweep_iterationIS3_Lb0EPhS7_N6thrust23THRUST_200600_302600_NS10device_ptrIlEESB_jNS0_19identity_decomposerENS1_16block_id_wrapperIjLb1EEEEE10hipError_tT1_PNSt15iterator_traitsISG_E10value_typeET2_T3_PNSH_ISM_E10value_typeET4_T5_PSR_SS_PNS1_23onesweep_lookback_stateEbbT6_jjT7_P12ihipStream_tbENKUlT_T0_SG_SL_E_clIS7_S7_SB_SB_EEDaSZ_S10_SG_SL_EUlSZ_E_NS1_11comp_targetILNS1_3genE4ELNS1_11target_archE910ELNS1_3gpuE8ELNS1_3repE0EEENS1_47radix_sort_onesweep_sort_config_static_selectorELNS0_4arch9wavefront6targetE1EEEvSG_
; %bb.0:
	.section	.rodata,"a",@progbits
	.p2align	6, 0x0
	.amdhsa_kernel _ZN7rocprim17ROCPRIM_400000_NS6detail17trampoline_kernelINS0_14default_configENS1_35radix_sort_onesweep_config_selectorIhlEEZZNS1_29radix_sort_onesweep_iterationIS3_Lb0EPhS7_N6thrust23THRUST_200600_302600_NS10device_ptrIlEESB_jNS0_19identity_decomposerENS1_16block_id_wrapperIjLb1EEEEE10hipError_tT1_PNSt15iterator_traitsISG_E10value_typeET2_T3_PNSH_ISM_E10value_typeET4_T5_PSR_SS_PNS1_23onesweep_lookback_stateEbbT6_jjT7_P12ihipStream_tbENKUlT_T0_SG_SL_E_clIS7_S7_SB_SB_EEDaSZ_S10_SG_SL_EUlSZ_E_NS1_11comp_targetILNS1_3genE4ELNS1_11target_archE910ELNS1_3gpuE8ELNS1_3repE0EEENS1_47radix_sort_onesweep_sort_config_static_selectorELNS0_4arch9wavefront6targetE1EEEvSG_
		.amdhsa_group_segment_fixed_size 0
		.amdhsa_private_segment_fixed_size 0
		.amdhsa_kernarg_size 88
		.amdhsa_user_sgpr_count 6
		.amdhsa_user_sgpr_private_segment_buffer 1
		.amdhsa_user_sgpr_dispatch_ptr 0
		.amdhsa_user_sgpr_queue_ptr 0
		.amdhsa_user_sgpr_kernarg_segment_ptr 1
		.amdhsa_user_sgpr_dispatch_id 0
		.amdhsa_user_sgpr_flat_scratch_init 0
		.amdhsa_user_sgpr_private_segment_size 0
		.amdhsa_uses_dynamic_stack 0
		.amdhsa_system_sgpr_private_segment_wavefront_offset 0
		.amdhsa_system_sgpr_workgroup_id_x 1
		.amdhsa_system_sgpr_workgroup_id_y 0
		.amdhsa_system_sgpr_workgroup_id_z 0
		.amdhsa_system_sgpr_workgroup_info 0
		.amdhsa_system_vgpr_workitem_id 0
		.amdhsa_next_free_vgpr 1
		.amdhsa_next_free_sgpr 0
		.amdhsa_reserve_vcc 0
		.amdhsa_reserve_flat_scratch 0
		.amdhsa_float_round_mode_32 0
		.amdhsa_float_round_mode_16_64 0
		.amdhsa_float_denorm_mode_32 3
		.amdhsa_float_denorm_mode_16_64 3
		.amdhsa_dx10_clamp 1
		.amdhsa_ieee_mode 1
		.amdhsa_fp16_overflow 0
		.amdhsa_exception_fp_ieee_invalid_op 0
		.amdhsa_exception_fp_denorm_src 0
		.amdhsa_exception_fp_ieee_div_zero 0
		.amdhsa_exception_fp_ieee_overflow 0
		.amdhsa_exception_fp_ieee_underflow 0
		.amdhsa_exception_fp_ieee_inexact 0
		.amdhsa_exception_int_div_zero 0
	.end_amdhsa_kernel
	.section	.text._ZN7rocprim17ROCPRIM_400000_NS6detail17trampoline_kernelINS0_14default_configENS1_35radix_sort_onesweep_config_selectorIhlEEZZNS1_29radix_sort_onesweep_iterationIS3_Lb0EPhS7_N6thrust23THRUST_200600_302600_NS10device_ptrIlEESB_jNS0_19identity_decomposerENS1_16block_id_wrapperIjLb1EEEEE10hipError_tT1_PNSt15iterator_traitsISG_E10value_typeET2_T3_PNSH_ISM_E10value_typeET4_T5_PSR_SS_PNS1_23onesweep_lookback_stateEbbT6_jjT7_P12ihipStream_tbENKUlT_T0_SG_SL_E_clIS7_S7_SB_SB_EEDaSZ_S10_SG_SL_EUlSZ_E_NS1_11comp_targetILNS1_3genE4ELNS1_11target_archE910ELNS1_3gpuE8ELNS1_3repE0EEENS1_47radix_sort_onesweep_sort_config_static_selectorELNS0_4arch9wavefront6targetE1EEEvSG_,"axG",@progbits,_ZN7rocprim17ROCPRIM_400000_NS6detail17trampoline_kernelINS0_14default_configENS1_35radix_sort_onesweep_config_selectorIhlEEZZNS1_29radix_sort_onesweep_iterationIS3_Lb0EPhS7_N6thrust23THRUST_200600_302600_NS10device_ptrIlEESB_jNS0_19identity_decomposerENS1_16block_id_wrapperIjLb1EEEEE10hipError_tT1_PNSt15iterator_traitsISG_E10value_typeET2_T3_PNSH_ISM_E10value_typeET4_T5_PSR_SS_PNS1_23onesweep_lookback_stateEbbT6_jjT7_P12ihipStream_tbENKUlT_T0_SG_SL_E_clIS7_S7_SB_SB_EEDaSZ_S10_SG_SL_EUlSZ_E_NS1_11comp_targetILNS1_3genE4ELNS1_11target_archE910ELNS1_3gpuE8ELNS1_3repE0EEENS1_47radix_sort_onesweep_sort_config_static_selectorELNS0_4arch9wavefront6targetE1EEEvSG_,comdat
.Lfunc_end268:
	.size	_ZN7rocprim17ROCPRIM_400000_NS6detail17trampoline_kernelINS0_14default_configENS1_35radix_sort_onesweep_config_selectorIhlEEZZNS1_29radix_sort_onesweep_iterationIS3_Lb0EPhS7_N6thrust23THRUST_200600_302600_NS10device_ptrIlEESB_jNS0_19identity_decomposerENS1_16block_id_wrapperIjLb1EEEEE10hipError_tT1_PNSt15iterator_traitsISG_E10value_typeET2_T3_PNSH_ISM_E10value_typeET4_T5_PSR_SS_PNS1_23onesweep_lookback_stateEbbT6_jjT7_P12ihipStream_tbENKUlT_T0_SG_SL_E_clIS7_S7_SB_SB_EEDaSZ_S10_SG_SL_EUlSZ_E_NS1_11comp_targetILNS1_3genE4ELNS1_11target_archE910ELNS1_3gpuE8ELNS1_3repE0EEENS1_47radix_sort_onesweep_sort_config_static_selectorELNS0_4arch9wavefront6targetE1EEEvSG_, .Lfunc_end268-_ZN7rocprim17ROCPRIM_400000_NS6detail17trampoline_kernelINS0_14default_configENS1_35radix_sort_onesweep_config_selectorIhlEEZZNS1_29radix_sort_onesweep_iterationIS3_Lb0EPhS7_N6thrust23THRUST_200600_302600_NS10device_ptrIlEESB_jNS0_19identity_decomposerENS1_16block_id_wrapperIjLb1EEEEE10hipError_tT1_PNSt15iterator_traitsISG_E10value_typeET2_T3_PNSH_ISM_E10value_typeET4_T5_PSR_SS_PNS1_23onesweep_lookback_stateEbbT6_jjT7_P12ihipStream_tbENKUlT_T0_SG_SL_E_clIS7_S7_SB_SB_EEDaSZ_S10_SG_SL_EUlSZ_E_NS1_11comp_targetILNS1_3genE4ELNS1_11target_archE910ELNS1_3gpuE8ELNS1_3repE0EEENS1_47radix_sort_onesweep_sort_config_static_selectorELNS0_4arch9wavefront6targetE1EEEvSG_
                                        ; -- End function
	.set _ZN7rocprim17ROCPRIM_400000_NS6detail17trampoline_kernelINS0_14default_configENS1_35radix_sort_onesweep_config_selectorIhlEEZZNS1_29radix_sort_onesweep_iterationIS3_Lb0EPhS7_N6thrust23THRUST_200600_302600_NS10device_ptrIlEESB_jNS0_19identity_decomposerENS1_16block_id_wrapperIjLb1EEEEE10hipError_tT1_PNSt15iterator_traitsISG_E10value_typeET2_T3_PNSH_ISM_E10value_typeET4_T5_PSR_SS_PNS1_23onesweep_lookback_stateEbbT6_jjT7_P12ihipStream_tbENKUlT_T0_SG_SL_E_clIS7_S7_SB_SB_EEDaSZ_S10_SG_SL_EUlSZ_E_NS1_11comp_targetILNS1_3genE4ELNS1_11target_archE910ELNS1_3gpuE8ELNS1_3repE0EEENS1_47radix_sort_onesweep_sort_config_static_selectorELNS0_4arch9wavefront6targetE1EEEvSG_.num_vgpr, 0
	.set _ZN7rocprim17ROCPRIM_400000_NS6detail17trampoline_kernelINS0_14default_configENS1_35radix_sort_onesweep_config_selectorIhlEEZZNS1_29radix_sort_onesweep_iterationIS3_Lb0EPhS7_N6thrust23THRUST_200600_302600_NS10device_ptrIlEESB_jNS0_19identity_decomposerENS1_16block_id_wrapperIjLb1EEEEE10hipError_tT1_PNSt15iterator_traitsISG_E10value_typeET2_T3_PNSH_ISM_E10value_typeET4_T5_PSR_SS_PNS1_23onesweep_lookback_stateEbbT6_jjT7_P12ihipStream_tbENKUlT_T0_SG_SL_E_clIS7_S7_SB_SB_EEDaSZ_S10_SG_SL_EUlSZ_E_NS1_11comp_targetILNS1_3genE4ELNS1_11target_archE910ELNS1_3gpuE8ELNS1_3repE0EEENS1_47radix_sort_onesweep_sort_config_static_selectorELNS0_4arch9wavefront6targetE1EEEvSG_.num_agpr, 0
	.set _ZN7rocprim17ROCPRIM_400000_NS6detail17trampoline_kernelINS0_14default_configENS1_35radix_sort_onesweep_config_selectorIhlEEZZNS1_29radix_sort_onesweep_iterationIS3_Lb0EPhS7_N6thrust23THRUST_200600_302600_NS10device_ptrIlEESB_jNS0_19identity_decomposerENS1_16block_id_wrapperIjLb1EEEEE10hipError_tT1_PNSt15iterator_traitsISG_E10value_typeET2_T3_PNSH_ISM_E10value_typeET4_T5_PSR_SS_PNS1_23onesweep_lookback_stateEbbT6_jjT7_P12ihipStream_tbENKUlT_T0_SG_SL_E_clIS7_S7_SB_SB_EEDaSZ_S10_SG_SL_EUlSZ_E_NS1_11comp_targetILNS1_3genE4ELNS1_11target_archE910ELNS1_3gpuE8ELNS1_3repE0EEENS1_47radix_sort_onesweep_sort_config_static_selectorELNS0_4arch9wavefront6targetE1EEEvSG_.numbered_sgpr, 0
	.set _ZN7rocprim17ROCPRIM_400000_NS6detail17trampoline_kernelINS0_14default_configENS1_35radix_sort_onesweep_config_selectorIhlEEZZNS1_29radix_sort_onesweep_iterationIS3_Lb0EPhS7_N6thrust23THRUST_200600_302600_NS10device_ptrIlEESB_jNS0_19identity_decomposerENS1_16block_id_wrapperIjLb1EEEEE10hipError_tT1_PNSt15iterator_traitsISG_E10value_typeET2_T3_PNSH_ISM_E10value_typeET4_T5_PSR_SS_PNS1_23onesweep_lookback_stateEbbT6_jjT7_P12ihipStream_tbENKUlT_T0_SG_SL_E_clIS7_S7_SB_SB_EEDaSZ_S10_SG_SL_EUlSZ_E_NS1_11comp_targetILNS1_3genE4ELNS1_11target_archE910ELNS1_3gpuE8ELNS1_3repE0EEENS1_47radix_sort_onesweep_sort_config_static_selectorELNS0_4arch9wavefront6targetE1EEEvSG_.num_named_barrier, 0
	.set _ZN7rocprim17ROCPRIM_400000_NS6detail17trampoline_kernelINS0_14default_configENS1_35radix_sort_onesweep_config_selectorIhlEEZZNS1_29radix_sort_onesweep_iterationIS3_Lb0EPhS7_N6thrust23THRUST_200600_302600_NS10device_ptrIlEESB_jNS0_19identity_decomposerENS1_16block_id_wrapperIjLb1EEEEE10hipError_tT1_PNSt15iterator_traitsISG_E10value_typeET2_T3_PNSH_ISM_E10value_typeET4_T5_PSR_SS_PNS1_23onesweep_lookback_stateEbbT6_jjT7_P12ihipStream_tbENKUlT_T0_SG_SL_E_clIS7_S7_SB_SB_EEDaSZ_S10_SG_SL_EUlSZ_E_NS1_11comp_targetILNS1_3genE4ELNS1_11target_archE910ELNS1_3gpuE8ELNS1_3repE0EEENS1_47radix_sort_onesweep_sort_config_static_selectorELNS0_4arch9wavefront6targetE1EEEvSG_.private_seg_size, 0
	.set _ZN7rocprim17ROCPRIM_400000_NS6detail17trampoline_kernelINS0_14default_configENS1_35radix_sort_onesweep_config_selectorIhlEEZZNS1_29radix_sort_onesweep_iterationIS3_Lb0EPhS7_N6thrust23THRUST_200600_302600_NS10device_ptrIlEESB_jNS0_19identity_decomposerENS1_16block_id_wrapperIjLb1EEEEE10hipError_tT1_PNSt15iterator_traitsISG_E10value_typeET2_T3_PNSH_ISM_E10value_typeET4_T5_PSR_SS_PNS1_23onesweep_lookback_stateEbbT6_jjT7_P12ihipStream_tbENKUlT_T0_SG_SL_E_clIS7_S7_SB_SB_EEDaSZ_S10_SG_SL_EUlSZ_E_NS1_11comp_targetILNS1_3genE4ELNS1_11target_archE910ELNS1_3gpuE8ELNS1_3repE0EEENS1_47radix_sort_onesweep_sort_config_static_selectorELNS0_4arch9wavefront6targetE1EEEvSG_.uses_vcc, 0
	.set _ZN7rocprim17ROCPRIM_400000_NS6detail17trampoline_kernelINS0_14default_configENS1_35radix_sort_onesweep_config_selectorIhlEEZZNS1_29radix_sort_onesweep_iterationIS3_Lb0EPhS7_N6thrust23THRUST_200600_302600_NS10device_ptrIlEESB_jNS0_19identity_decomposerENS1_16block_id_wrapperIjLb1EEEEE10hipError_tT1_PNSt15iterator_traitsISG_E10value_typeET2_T3_PNSH_ISM_E10value_typeET4_T5_PSR_SS_PNS1_23onesweep_lookback_stateEbbT6_jjT7_P12ihipStream_tbENKUlT_T0_SG_SL_E_clIS7_S7_SB_SB_EEDaSZ_S10_SG_SL_EUlSZ_E_NS1_11comp_targetILNS1_3genE4ELNS1_11target_archE910ELNS1_3gpuE8ELNS1_3repE0EEENS1_47radix_sort_onesweep_sort_config_static_selectorELNS0_4arch9wavefront6targetE1EEEvSG_.uses_flat_scratch, 0
	.set _ZN7rocprim17ROCPRIM_400000_NS6detail17trampoline_kernelINS0_14default_configENS1_35radix_sort_onesweep_config_selectorIhlEEZZNS1_29radix_sort_onesweep_iterationIS3_Lb0EPhS7_N6thrust23THRUST_200600_302600_NS10device_ptrIlEESB_jNS0_19identity_decomposerENS1_16block_id_wrapperIjLb1EEEEE10hipError_tT1_PNSt15iterator_traitsISG_E10value_typeET2_T3_PNSH_ISM_E10value_typeET4_T5_PSR_SS_PNS1_23onesweep_lookback_stateEbbT6_jjT7_P12ihipStream_tbENKUlT_T0_SG_SL_E_clIS7_S7_SB_SB_EEDaSZ_S10_SG_SL_EUlSZ_E_NS1_11comp_targetILNS1_3genE4ELNS1_11target_archE910ELNS1_3gpuE8ELNS1_3repE0EEENS1_47radix_sort_onesweep_sort_config_static_selectorELNS0_4arch9wavefront6targetE1EEEvSG_.has_dyn_sized_stack, 0
	.set _ZN7rocprim17ROCPRIM_400000_NS6detail17trampoline_kernelINS0_14default_configENS1_35radix_sort_onesweep_config_selectorIhlEEZZNS1_29radix_sort_onesweep_iterationIS3_Lb0EPhS7_N6thrust23THRUST_200600_302600_NS10device_ptrIlEESB_jNS0_19identity_decomposerENS1_16block_id_wrapperIjLb1EEEEE10hipError_tT1_PNSt15iterator_traitsISG_E10value_typeET2_T3_PNSH_ISM_E10value_typeET4_T5_PSR_SS_PNS1_23onesweep_lookback_stateEbbT6_jjT7_P12ihipStream_tbENKUlT_T0_SG_SL_E_clIS7_S7_SB_SB_EEDaSZ_S10_SG_SL_EUlSZ_E_NS1_11comp_targetILNS1_3genE4ELNS1_11target_archE910ELNS1_3gpuE8ELNS1_3repE0EEENS1_47radix_sort_onesweep_sort_config_static_selectorELNS0_4arch9wavefront6targetE1EEEvSG_.has_recursion, 0
	.set _ZN7rocprim17ROCPRIM_400000_NS6detail17trampoline_kernelINS0_14default_configENS1_35radix_sort_onesweep_config_selectorIhlEEZZNS1_29radix_sort_onesweep_iterationIS3_Lb0EPhS7_N6thrust23THRUST_200600_302600_NS10device_ptrIlEESB_jNS0_19identity_decomposerENS1_16block_id_wrapperIjLb1EEEEE10hipError_tT1_PNSt15iterator_traitsISG_E10value_typeET2_T3_PNSH_ISM_E10value_typeET4_T5_PSR_SS_PNS1_23onesweep_lookback_stateEbbT6_jjT7_P12ihipStream_tbENKUlT_T0_SG_SL_E_clIS7_S7_SB_SB_EEDaSZ_S10_SG_SL_EUlSZ_E_NS1_11comp_targetILNS1_3genE4ELNS1_11target_archE910ELNS1_3gpuE8ELNS1_3repE0EEENS1_47radix_sort_onesweep_sort_config_static_selectorELNS0_4arch9wavefront6targetE1EEEvSG_.has_indirect_call, 0
	.section	.AMDGPU.csdata,"",@progbits
; Kernel info:
; codeLenInByte = 0
; TotalNumSgprs: 4
; NumVgprs: 0
; ScratchSize: 0
; MemoryBound: 0
; FloatMode: 240
; IeeeMode: 1
; LDSByteSize: 0 bytes/workgroup (compile time only)
; SGPRBlocks: 0
; VGPRBlocks: 0
; NumSGPRsForWavesPerEU: 4
; NumVGPRsForWavesPerEU: 1
; Occupancy: 10
; WaveLimiterHint : 0
; COMPUTE_PGM_RSRC2:SCRATCH_EN: 0
; COMPUTE_PGM_RSRC2:USER_SGPR: 6
; COMPUTE_PGM_RSRC2:TRAP_HANDLER: 0
; COMPUTE_PGM_RSRC2:TGID_X_EN: 1
; COMPUTE_PGM_RSRC2:TGID_Y_EN: 0
; COMPUTE_PGM_RSRC2:TGID_Z_EN: 0
; COMPUTE_PGM_RSRC2:TIDIG_COMP_CNT: 0
	.section	.text._ZN7rocprim17ROCPRIM_400000_NS6detail17trampoline_kernelINS0_14default_configENS1_35radix_sort_onesweep_config_selectorIhlEEZZNS1_29radix_sort_onesweep_iterationIS3_Lb0EPhS7_N6thrust23THRUST_200600_302600_NS10device_ptrIlEESB_jNS0_19identity_decomposerENS1_16block_id_wrapperIjLb1EEEEE10hipError_tT1_PNSt15iterator_traitsISG_E10value_typeET2_T3_PNSH_ISM_E10value_typeET4_T5_PSR_SS_PNS1_23onesweep_lookback_stateEbbT6_jjT7_P12ihipStream_tbENKUlT_T0_SG_SL_E_clIS7_S7_SB_SB_EEDaSZ_S10_SG_SL_EUlSZ_E_NS1_11comp_targetILNS1_3genE3ELNS1_11target_archE908ELNS1_3gpuE7ELNS1_3repE0EEENS1_47radix_sort_onesweep_sort_config_static_selectorELNS0_4arch9wavefront6targetE1EEEvSG_,"axG",@progbits,_ZN7rocprim17ROCPRIM_400000_NS6detail17trampoline_kernelINS0_14default_configENS1_35radix_sort_onesweep_config_selectorIhlEEZZNS1_29radix_sort_onesweep_iterationIS3_Lb0EPhS7_N6thrust23THRUST_200600_302600_NS10device_ptrIlEESB_jNS0_19identity_decomposerENS1_16block_id_wrapperIjLb1EEEEE10hipError_tT1_PNSt15iterator_traitsISG_E10value_typeET2_T3_PNSH_ISM_E10value_typeET4_T5_PSR_SS_PNS1_23onesweep_lookback_stateEbbT6_jjT7_P12ihipStream_tbENKUlT_T0_SG_SL_E_clIS7_S7_SB_SB_EEDaSZ_S10_SG_SL_EUlSZ_E_NS1_11comp_targetILNS1_3genE3ELNS1_11target_archE908ELNS1_3gpuE7ELNS1_3repE0EEENS1_47radix_sort_onesweep_sort_config_static_selectorELNS0_4arch9wavefront6targetE1EEEvSG_,comdat
	.protected	_ZN7rocprim17ROCPRIM_400000_NS6detail17trampoline_kernelINS0_14default_configENS1_35radix_sort_onesweep_config_selectorIhlEEZZNS1_29radix_sort_onesweep_iterationIS3_Lb0EPhS7_N6thrust23THRUST_200600_302600_NS10device_ptrIlEESB_jNS0_19identity_decomposerENS1_16block_id_wrapperIjLb1EEEEE10hipError_tT1_PNSt15iterator_traitsISG_E10value_typeET2_T3_PNSH_ISM_E10value_typeET4_T5_PSR_SS_PNS1_23onesweep_lookback_stateEbbT6_jjT7_P12ihipStream_tbENKUlT_T0_SG_SL_E_clIS7_S7_SB_SB_EEDaSZ_S10_SG_SL_EUlSZ_E_NS1_11comp_targetILNS1_3genE3ELNS1_11target_archE908ELNS1_3gpuE7ELNS1_3repE0EEENS1_47radix_sort_onesweep_sort_config_static_selectorELNS0_4arch9wavefront6targetE1EEEvSG_ ; -- Begin function _ZN7rocprim17ROCPRIM_400000_NS6detail17trampoline_kernelINS0_14default_configENS1_35radix_sort_onesweep_config_selectorIhlEEZZNS1_29radix_sort_onesweep_iterationIS3_Lb0EPhS7_N6thrust23THRUST_200600_302600_NS10device_ptrIlEESB_jNS0_19identity_decomposerENS1_16block_id_wrapperIjLb1EEEEE10hipError_tT1_PNSt15iterator_traitsISG_E10value_typeET2_T3_PNSH_ISM_E10value_typeET4_T5_PSR_SS_PNS1_23onesweep_lookback_stateEbbT6_jjT7_P12ihipStream_tbENKUlT_T0_SG_SL_E_clIS7_S7_SB_SB_EEDaSZ_S10_SG_SL_EUlSZ_E_NS1_11comp_targetILNS1_3genE3ELNS1_11target_archE908ELNS1_3gpuE7ELNS1_3repE0EEENS1_47radix_sort_onesweep_sort_config_static_selectorELNS0_4arch9wavefront6targetE1EEEvSG_
	.globl	_ZN7rocprim17ROCPRIM_400000_NS6detail17trampoline_kernelINS0_14default_configENS1_35radix_sort_onesweep_config_selectorIhlEEZZNS1_29radix_sort_onesweep_iterationIS3_Lb0EPhS7_N6thrust23THRUST_200600_302600_NS10device_ptrIlEESB_jNS0_19identity_decomposerENS1_16block_id_wrapperIjLb1EEEEE10hipError_tT1_PNSt15iterator_traitsISG_E10value_typeET2_T3_PNSH_ISM_E10value_typeET4_T5_PSR_SS_PNS1_23onesweep_lookback_stateEbbT6_jjT7_P12ihipStream_tbENKUlT_T0_SG_SL_E_clIS7_S7_SB_SB_EEDaSZ_S10_SG_SL_EUlSZ_E_NS1_11comp_targetILNS1_3genE3ELNS1_11target_archE908ELNS1_3gpuE7ELNS1_3repE0EEENS1_47radix_sort_onesweep_sort_config_static_selectorELNS0_4arch9wavefront6targetE1EEEvSG_
	.p2align	8
	.type	_ZN7rocprim17ROCPRIM_400000_NS6detail17trampoline_kernelINS0_14default_configENS1_35radix_sort_onesweep_config_selectorIhlEEZZNS1_29radix_sort_onesweep_iterationIS3_Lb0EPhS7_N6thrust23THRUST_200600_302600_NS10device_ptrIlEESB_jNS0_19identity_decomposerENS1_16block_id_wrapperIjLb1EEEEE10hipError_tT1_PNSt15iterator_traitsISG_E10value_typeET2_T3_PNSH_ISM_E10value_typeET4_T5_PSR_SS_PNS1_23onesweep_lookback_stateEbbT6_jjT7_P12ihipStream_tbENKUlT_T0_SG_SL_E_clIS7_S7_SB_SB_EEDaSZ_S10_SG_SL_EUlSZ_E_NS1_11comp_targetILNS1_3genE3ELNS1_11target_archE908ELNS1_3gpuE7ELNS1_3repE0EEENS1_47radix_sort_onesweep_sort_config_static_selectorELNS0_4arch9wavefront6targetE1EEEvSG_,@function
_ZN7rocprim17ROCPRIM_400000_NS6detail17trampoline_kernelINS0_14default_configENS1_35radix_sort_onesweep_config_selectorIhlEEZZNS1_29radix_sort_onesweep_iterationIS3_Lb0EPhS7_N6thrust23THRUST_200600_302600_NS10device_ptrIlEESB_jNS0_19identity_decomposerENS1_16block_id_wrapperIjLb1EEEEE10hipError_tT1_PNSt15iterator_traitsISG_E10value_typeET2_T3_PNSH_ISM_E10value_typeET4_T5_PSR_SS_PNS1_23onesweep_lookback_stateEbbT6_jjT7_P12ihipStream_tbENKUlT_T0_SG_SL_E_clIS7_S7_SB_SB_EEDaSZ_S10_SG_SL_EUlSZ_E_NS1_11comp_targetILNS1_3genE3ELNS1_11target_archE908ELNS1_3gpuE7ELNS1_3repE0EEENS1_47radix_sort_onesweep_sort_config_static_selectorELNS0_4arch9wavefront6targetE1EEEvSG_: ; @_ZN7rocprim17ROCPRIM_400000_NS6detail17trampoline_kernelINS0_14default_configENS1_35radix_sort_onesweep_config_selectorIhlEEZZNS1_29radix_sort_onesweep_iterationIS3_Lb0EPhS7_N6thrust23THRUST_200600_302600_NS10device_ptrIlEESB_jNS0_19identity_decomposerENS1_16block_id_wrapperIjLb1EEEEE10hipError_tT1_PNSt15iterator_traitsISG_E10value_typeET2_T3_PNSH_ISM_E10value_typeET4_T5_PSR_SS_PNS1_23onesweep_lookback_stateEbbT6_jjT7_P12ihipStream_tbENKUlT_T0_SG_SL_E_clIS7_S7_SB_SB_EEDaSZ_S10_SG_SL_EUlSZ_E_NS1_11comp_targetILNS1_3genE3ELNS1_11target_archE908ELNS1_3gpuE7ELNS1_3repE0EEENS1_47radix_sort_onesweep_sort_config_static_selectorELNS0_4arch9wavefront6targetE1EEEvSG_
; %bb.0:
	.section	.rodata,"a",@progbits
	.p2align	6, 0x0
	.amdhsa_kernel _ZN7rocprim17ROCPRIM_400000_NS6detail17trampoline_kernelINS0_14default_configENS1_35radix_sort_onesweep_config_selectorIhlEEZZNS1_29radix_sort_onesweep_iterationIS3_Lb0EPhS7_N6thrust23THRUST_200600_302600_NS10device_ptrIlEESB_jNS0_19identity_decomposerENS1_16block_id_wrapperIjLb1EEEEE10hipError_tT1_PNSt15iterator_traitsISG_E10value_typeET2_T3_PNSH_ISM_E10value_typeET4_T5_PSR_SS_PNS1_23onesweep_lookback_stateEbbT6_jjT7_P12ihipStream_tbENKUlT_T0_SG_SL_E_clIS7_S7_SB_SB_EEDaSZ_S10_SG_SL_EUlSZ_E_NS1_11comp_targetILNS1_3genE3ELNS1_11target_archE908ELNS1_3gpuE7ELNS1_3repE0EEENS1_47radix_sort_onesweep_sort_config_static_selectorELNS0_4arch9wavefront6targetE1EEEvSG_
		.amdhsa_group_segment_fixed_size 0
		.amdhsa_private_segment_fixed_size 0
		.amdhsa_kernarg_size 88
		.amdhsa_user_sgpr_count 6
		.amdhsa_user_sgpr_private_segment_buffer 1
		.amdhsa_user_sgpr_dispatch_ptr 0
		.amdhsa_user_sgpr_queue_ptr 0
		.amdhsa_user_sgpr_kernarg_segment_ptr 1
		.amdhsa_user_sgpr_dispatch_id 0
		.amdhsa_user_sgpr_flat_scratch_init 0
		.amdhsa_user_sgpr_private_segment_size 0
		.amdhsa_uses_dynamic_stack 0
		.amdhsa_system_sgpr_private_segment_wavefront_offset 0
		.amdhsa_system_sgpr_workgroup_id_x 1
		.amdhsa_system_sgpr_workgroup_id_y 0
		.amdhsa_system_sgpr_workgroup_id_z 0
		.amdhsa_system_sgpr_workgroup_info 0
		.amdhsa_system_vgpr_workitem_id 0
		.amdhsa_next_free_vgpr 1
		.amdhsa_next_free_sgpr 0
		.amdhsa_reserve_vcc 0
		.amdhsa_reserve_flat_scratch 0
		.amdhsa_float_round_mode_32 0
		.amdhsa_float_round_mode_16_64 0
		.amdhsa_float_denorm_mode_32 3
		.amdhsa_float_denorm_mode_16_64 3
		.amdhsa_dx10_clamp 1
		.amdhsa_ieee_mode 1
		.amdhsa_fp16_overflow 0
		.amdhsa_exception_fp_ieee_invalid_op 0
		.amdhsa_exception_fp_denorm_src 0
		.amdhsa_exception_fp_ieee_div_zero 0
		.amdhsa_exception_fp_ieee_overflow 0
		.amdhsa_exception_fp_ieee_underflow 0
		.amdhsa_exception_fp_ieee_inexact 0
		.amdhsa_exception_int_div_zero 0
	.end_amdhsa_kernel
	.section	.text._ZN7rocprim17ROCPRIM_400000_NS6detail17trampoline_kernelINS0_14default_configENS1_35radix_sort_onesweep_config_selectorIhlEEZZNS1_29radix_sort_onesweep_iterationIS3_Lb0EPhS7_N6thrust23THRUST_200600_302600_NS10device_ptrIlEESB_jNS0_19identity_decomposerENS1_16block_id_wrapperIjLb1EEEEE10hipError_tT1_PNSt15iterator_traitsISG_E10value_typeET2_T3_PNSH_ISM_E10value_typeET4_T5_PSR_SS_PNS1_23onesweep_lookback_stateEbbT6_jjT7_P12ihipStream_tbENKUlT_T0_SG_SL_E_clIS7_S7_SB_SB_EEDaSZ_S10_SG_SL_EUlSZ_E_NS1_11comp_targetILNS1_3genE3ELNS1_11target_archE908ELNS1_3gpuE7ELNS1_3repE0EEENS1_47radix_sort_onesweep_sort_config_static_selectorELNS0_4arch9wavefront6targetE1EEEvSG_,"axG",@progbits,_ZN7rocprim17ROCPRIM_400000_NS6detail17trampoline_kernelINS0_14default_configENS1_35radix_sort_onesweep_config_selectorIhlEEZZNS1_29radix_sort_onesweep_iterationIS3_Lb0EPhS7_N6thrust23THRUST_200600_302600_NS10device_ptrIlEESB_jNS0_19identity_decomposerENS1_16block_id_wrapperIjLb1EEEEE10hipError_tT1_PNSt15iterator_traitsISG_E10value_typeET2_T3_PNSH_ISM_E10value_typeET4_T5_PSR_SS_PNS1_23onesweep_lookback_stateEbbT6_jjT7_P12ihipStream_tbENKUlT_T0_SG_SL_E_clIS7_S7_SB_SB_EEDaSZ_S10_SG_SL_EUlSZ_E_NS1_11comp_targetILNS1_3genE3ELNS1_11target_archE908ELNS1_3gpuE7ELNS1_3repE0EEENS1_47radix_sort_onesweep_sort_config_static_selectorELNS0_4arch9wavefront6targetE1EEEvSG_,comdat
.Lfunc_end269:
	.size	_ZN7rocprim17ROCPRIM_400000_NS6detail17trampoline_kernelINS0_14default_configENS1_35radix_sort_onesweep_config_selectorIhlEEZZNS1_29radix_sort_onesweep_iterationIS3_Lb0EPhS7_N6thrust23THRUST_200600_302600_NS10device_ptrIlEESB_jNS0_19identity_decomposerENS1_16block_id_wrapperIjLb1EEEEE10hipError_tT1_PNSt15iterator_traitsISG_E10value_typeET2_T3_PNSH_ISM_E10value_typeET4_T5_PSR_SS_PNS1_23onesweep_lookback_stateEbbT6_jjT7_P12ihipStream_tbENKUlT_T0_SG_SL_E_clIS7_S7_SB_SB_EEDaSZ_S10_SG_SL_EUlSZ_E_NS1_11comp_targetILNS1_3genE3ELNS1_11target_archE908ELNS1_3gpuE7ELNS1_3repE0EEENS1_47radix_sort_onesweep_sort_config_static_selectorELNS0_4arch9wavefront6targetE1EEEvSG_, .Lfunc_end269-_ZN7rocprim17ROCPRIM_400000_NS6detail17trampoline_kernelINS0_14default_configENS1_35radix_sort_onesweep_config_selectorIhlEEZZNS1_29radix_sort_onesweep_iterationIS3_Lb0EPhS7_N6thrust23THRUST_200600_302600_NS10device_ptrIlEESB_jNS0_19identity_decomposerENS1_16block_id_wrapperIjLb1EEEEE10hipError_tT1_PNSt15iterator_traitsISG_E10value_typeET2_T3_PNSH_ISM_E10value_typeET4_T5_PSR_SS_PNS1_23onesweep_lookback_stateEbbT6_jjT7_P12ihipStream_tbENKUlT_T0_SG_SL_E_clIS7_S7_SB_SB_EEDaSZ_S10_SG_SL_EUlSZ_E_NS1_11comp_targetILNS1_3genE3ELNS1_11target_archE908ELNS1_3gpuE7ELNS1_3repE0EEENS1_47radix_sort_onesweep_sort_config_static_selectorELNS0_4arch9wavefront6targetE1EEEvSG_
                                        ; -- End function
	.set _ZN7rocprim17ROCPRIM_400000_NS6detail17trampoline_kernelINS0_14default_configENS1_35radix_sort_onesweep_config_selectorIhlEEZZNS1_29radix_sort_onesweep_iterationIS3_Lb0EPhS7_N6thrust23THRUST_200600_302600_NS10device_ptrIlEESB_jNS0_19identity_decomposerENS1_16block_id_wrapperIjLb1EEEEE10hipError_tT1_PNSt15iterator_traitsISG_E10value_typeET2_T3_PNSH_ISM_E10value_typeET4_T5_PSR_SS_PNS1_23onesweep_lookback_stateEbbT6_jjT7_P12ihipStream_tbENKUlT_T0_SG_SL_E_clIS7_S7_SB_SB_EEDaSZ_S10_SG_SL_EUlSZ_E_NS1_11comp_targetILNS1_3genE3ELNS1_11target_archE908ELNS1_3gpuE7ELNS1_3repE0EEENS1_47radix_sort_onesweep_sort_config_static_selectorELNS0_4arch9wavefront6targetE1EEEvSG_.num_vgpr, 0
	.set _ZN7rocprim17ROCPRIM_400000_NS6detail17trampoline_kernelINS0_14default_configENS1_35radix_sort_onesweep_config_selectorIhlEEZZNS1_29radix_sort_onesweep_iterationIS3_Lb0EPhS7_N6thrust23THRUST_200600_302600_NS10device_ptrIlEESB_jNS0_19identity_decomposerENS1_16block_id_wrapperIjLb1EEEEE10hipError_tT1_PNSt15iterator_traitsISG_E10value_typeET2_T3_PNSH_ISM_E10value_typeET4_T5_PSR_SS_PNS1_23onesweep_lookback_stateEbbT6_jjT7_P12ihipStream_tbENKUlT_T0_SG_SL_E_clIS7_S7_SB_SB_EEDaSZ_S10_SG_SL_EUlSZ_E_NS1_11comp_targetILNS1_3genE3ELNS1_11target_archE908ELNS1_3gpuE7ELNS1_3repE0EEENS1_47radix_sort_onesweep_sort_config_static_selectorELNS0_4arch9wavefront6targetE1EEEvSG_.num_agpr, 0
	.set _ZN7rocprim17ROCPRIM_400000_NS6detail17trampoline_kernelINS0_14default_configENS1_35radix_sort_onesweep_config_selectorIhlEEZZNS1_29radix_sort_onesweep_iterationIS3_Lb0EPhS7_N6thrust23THRUST_200600_302600_NS10device_ptrIlEESB_jNS0_19identity_decomposerENS1_16block_id_wrapperIjLb1EEEEE10hipError_tT1_PNSt15iterator_traitsISG_E10value_typeET2_T3_PNSH_ISM_E10value_typeET4_T5_PSR_SS_PNS1_23onesweep_lookback_stateEbbT6_jjT7_P12ihipStream_tbENKUlT_T0_SG_SL_E_clIS7_S7_SB_SB_EEDaSZ_S10_SG_SL_EUlSZ_E_NS1_11comp_targetILNS1_3genE3ELNS1_11target_archE908ELNS1_3gpuE7ELNS1_3repE0EEENS1_47radix_sort_onesweep_sort_config_static_selectorELNS0_4arch9wavefront6targetE1EEEvSG_.numbered_sgpr, 0
	.set _ZN7rocprim17ROCPRIM_400000_NS6detail17trampoline_kernelINS0_14default_configENS1_35radix_sort_onesweep_config_selectorIhlEEZZNS1_29radix_sort_onesweep_iterationIS3_Lb0EPhS7_N6thrust23THRUST_200600_302600_NS10device_ptrIlEESB_jNS0_19identity_decomposerENS1_16block_id_wrapperIjLb1EEEEE10hipError_tT1_PNSt15iterator_traitsISG_E10value_typeET2_T3_PNSH_ISM_E10value_typeET4_T5_PSR_SS_PNS1_23onesweep_lookback_stateEbbT6_jjT7_P12ihipStream_tbENKUlT_T0_SG_SL_E_clIS7_S7_SB_SB_EEDaSZ_S10_SG_SL_EUlSZ_E_NS1_11comp_targetILNS1_3genE3ELNS1_11target_archE908ELNS1_3gpuE7ELNS1_3repE0EEENS1_47radix_sort_onesweep_sort_config_static_selectorELNS0_4arch9wavefront6targetE1EEEvSG_.num_named_barrier, 0
	.set _ZN7rocprim17ROCPRIM_400000_NS6detail17trampoline_kernelINS0_14default_configENS1_35radix_sort_onesweep_config_selectorIhlEEZZNS1_29radix_sort_onesweep_iterationIS3_Lb0EPhS7_N6thrust23THRUST_200600_302600_NS10device_ptrIlEESB_jNS0_19identity_decomposerENS1_16block_id_wrapperIjLb1EEEEE10hipError_tT1_PNSt15iterator_traitsISG_E10value_typeET2_T3_PNSH_ISM_E10value_typeET4_T5_PSR_SS_PNS1_23onesweep_lookback_stateEbbT6_jjT7_P12ihipStream_tbENKUlT_T0_SG_SL_E_clIS7_S7_SB_SB_EEDaSZ_S10_SG_SL_EUlSZ_E_NS1_11comp_targetILNS1_3genE3ELNS1_11target_archE908ELNS1_3gpuE7ELNS1_3repE0EEENS1_47radix_sort_onesweep_sort_config_static_selectorELNS0_4arch9wavefront6targetE1EEEvSG_.private_seg_size, 0
	.set _ZN7rocprim17ROCPRIM_400000_NS6detail17trampoline_kernelINS0_14default_configENS1_35radix_sort_onesweep_config_selectorIhlEEZZNS1_29radix_sort_onesweep_iterationIS3_Lb0EPhS7_N6thrust23THRUST_200600_302600_NS10device_ptrIlEESB_jNS0_19identity_decomposerENS1_16block_id_wrapperIjLb1EEEEE10hipError_tT1_PNSt15iterator_traitsISG_E10value_typeET2_T3_PNSH_ISM_E10value_typeET4_T5_PSR_SS_PNS1_23onesweep_lookback_stateEbbT6_jjT7_P12ihipStream_tbENKUlT_T0_SG_SL_E_clIS7_S7_SB_SB_EEDaSZ_S10_SG_SL_EUlSZ_E_NS1_11comp_targetILNS1_3genE3ELNS1_11target_archE908ELNS1_3gpuE7ELNS1_3repE0EEENS1_47radix_sort_onesweep_sort_config_static_selectorELNS0_4arch9wavefront6targetE1EEEvSG_.uses_vcc, 0
	.set _ZN7rocprim17ROCPRIM_400000_NS6detail17trampoline_kernelINS0_14default_configENS1_35radix_sort_onesweep_config_selectorIhlEEZZNS1_29radix_sort_onesweep_iterationIS3_Lb0EPhS7_N6thrust23THRUST_200600_302600_NS10device_ptrIlEESB_jNS0_19identity_decomposerENS1_16block_id_wrapperIjLb1EEEEE10hipError_tT1_PNSt15iterator_traitsISG_E10value_typeET2_T3_PNSH_ISM_E10value_typeET4_T5_PSR_SS_PNS1_23onesweep_lookback_stateEbbT6_jjT7_P12ihipStream_tbENKUlT_T0_SG_SL_E_clIS7_S7_SB_SB_EEDaSZ_S10_SG_SL_EUlSZ_E_NS1_11comp_targetILNS1_3genE3ELNS1_11target_archE908ELNS1_3gpuE7ELNS1_3repE0EEENS1_47radix_sort_onesweep_sort_config_static_selectorELNS0_4arch9wavefront6targetE1EEEvSG_.uses_flat_scratch, 0
	.set _ZN7rocprim17ROCPRIM_400000_NS6detail17trampoline_kernelINS0_14default_configENS1_35radix_sort_onesweep_config_selectorIhlEEZZNS1_29radix_sort_onesweep_iterationIS3_Lb0EPhS7_N6thrust23THRUST_200600_302600_NS10device_ptrIlEESB_jNS0_19identity_decomposerENS1_16block_id_wrapperIjLb1EEEEE10hipError_tT1_PNSt15iterator_traitsISG_E10value_typeET2_T3_PNSH_ISM_E10value_typeET4_T5_PSR_SS_PNS1_23onesweep_lookback_stateEbbT6_jjT7_P12ihipStream_tbENKUlT_T0_SG_SL_E_clIS7_S7_SB_SB_EEDaSZ_S10_SG_SL_EUlSZ_E_NS1_11comp_targetILNS1_3genE3ELNS1_11target_archE908ELNS1_3gpuE7ELNS1_3repE0EEENS1_47radix_sort_onesweep_sort_config_static_selectorELNS0_4arch9wavefront6targetE1EEEvSG_.has_dyn_sized_stack, 0
	.set _ZN7rocprim17ROCPRIM_400000_NS6detail17trampoline_kernelINS0_14default_configENS1_35radix_sort_onesweep_config_selectorIhlEEZZNS1_29radix_sort_onesweep_iterationIS3_Lb0EPhS7_N6thrust23THRUST_200600_302600_NS10device_ptrIlEESB_jNS0_19identity_decomposerENS1_16block_id_wrapperIjLb1EEEEE10hipError_tT1_PNSt15iterator_traitsISG_E10value_typeET2_T3_PNSH_ISM_E10value_typeET4_T5_PSR_SS_PNS1_23onesweep_lookback_stateEbbT6_jjT7_P12ihipStream_tbENKUlT_T0_SG_SL_E_clIS7_S7_SB_SB_EEDaSZ_S10_SG_SL_EUlSZ_E_NS1_11comp_targetILNS1_3genE3ELNS1_11target_archE908ELNS1_3gpuE7ELNS1_3repE0EEENS1_47radix_sort_onesweep_sort_config_static_selectorELNS0_4arch9wavefront6targetE1EEEvSG_.has_recursion, 0
	.set _ZN7rocprim17ROCPRIM_400000_NS6detail17trampoline_kernelINS0_14default_configENS1_35radix_sort_onesweep_config_selectorIhlEEZZNS1_29radix_sort_onesweep_iterationIS3_Lb0EPhS7_N6thrust23THRUST_200600_302600_NS10device_ptrIlEESB_jNS0_19identity_decomposerENS1_16block_id_wrapperIjLb1EEEEE10hipError_tT1_PNSt15iterator_traitsISG_E10value_typeET2_T3_PNSH_ISM_E10value_typeET4_T5_PSR_SS_PNS1_23onesweep_lookback_stateEbbT6_jjT7_P12ihipStream_tbENKUlT_T0_SG_SL_E_clIS7_S7_SB_SB_EEDaSZ_S10_SG_SL_EUlSZ_E_NS1_11comp_targetILNS1_3genE3ELNS1_11target_archE908ELNS1_3gpuE7ELNS1_3repE0EEENS1_47radix_sort_onesweep_sort_config_static_selectorELNS0_4arch9wavefront6targetE1EEEvSG_.has_indirect_call, 0
	.section	.AMDGPU.csdata,"",@progbits
; Kernel info:
; codeLenInByte = 0
; TotalNumSgprs: 4
; NumVgprs: 0
; ScratchSize: 0
; MemoryBound: 0
; FloatMode: 240
; IeeeMode: 1
; LDSByteSize: 0 bytes/workgroup (compile time only)
; SGPRBlocks: 0
; VGPRBlocks: 0
; NumSGPRsForWavesPerEU: 4
; NumVGPRsForWavesPerEU: 1
; Occupancy: 10
; WaveLimiterHint : 0
; COMPUTE_PGM_RSRC2:SCRATCH_EN: 0
; COMPUTE_PGM_RSRC2:USER_SGPR: 6
; COMPUTE_PGM_RSRC2:TRAP_HANDLER: 0
; COMPUTE_PGM_RSRC2:TGID_X_EN: 1
; COMPUTE_PGM_RSRC2:TGID_Y_EN: 0
; COMPUTE_PGM_RSRC2:TGID_Z_EN: 0
; COMPUTE_PGM_RSRC2:TIDIG_COMP_CNT: 0
	.section	.text._ZN7rocprim17ROCPRIM_400000_NS6detail17trampoline_kernelINS0_14default_configENS1_35radix_sort_onesweep_config_selectorIhlEEZZNS1_29radix_sort_onesweep_iterationIS3_Lb0EPhS7_N6thrust23THRUST_200600_302600_NS10device_ptrIlEESB_jNS0_19identity_decomposerENS1_16block_id_wrapperIjLb1EEEEE10hipError_tT1_PNSt15iterator_traitsISG_E10value_typeET2_T3_PNSH_ISM_E10value_typeET4_T5_PSR_SS_PNS1_23onesweep_lookback_stateEbbT6_jjT7_P12ihipStream_tbENKUlT_T0_SG_SL_E_clIS7_S7_SB_SB_EEDaSZ_S10_SG_SL_EUlSZ_E_NS1_11comp_targetILNS1_3genE10ELNS1_11target_archE1201ELNS1_3gpuE5ELNS1_3repE0EEENS1_47radix_sort_onesweep_sort_config_static_selectorELNS0_4arch9wavefront6targetE1EEEvSG_,"axG",@progbits,_ZN7rocprim17ROCPRIM_400000_NS6detail17trampoline_kernelINS0_14default_configENS1_35radix_sort_onesweep_config_selectorIhlEEZZNS1_29radix_sort_onesweep_iterationIS3_Lb0EPhS7_N6thrust23THRUST_200600_302600_NS10device_ptrIlEESB_jNS0_19identity_decomposerENS1_16block_id_wrapperIjLb1EEEEE10hipError_tT1_PNSt15iterator_traitsISG_E10value_typeET2_T3_PNSH_ISM_E10value_typeET4_T5_PSR_SS_PNS1_23onesweep_lookback_stateEbbT6_jjT7_P12ihipStream_tbENKUlT_T0_SG_SL_E_clIS7_S7_SB_SB_EEDaSZ_S10_SG_SL_EUlSZ_E_NS1_11comp_targetILNS1_3genE10ELNS1_11target_archE1201ELNS1_3gpuE5ELNS1_3repE0EEENS1_47radix_sort_onesweep_sort_config_static_selectorELNS0_4arch9wavefront6targetE1EEEvSG_,comdat
	.protected	_ZN7rocprim17ROCPRIM_400000_NS6detail17trampoline_kernelINS0_14default_configENS1_35radix_sort_onesweep_config_selectorIhlEEZZNS1_29radix_sort_onesweep_iterationIS3_Lb0EPhS7_N6thrust23THRUST_200600_302600_NS10device_ptrIlEESB_jNS0_19identity_decomposerENS1_16block_id_wrapperIjLb1EEEEE10hipError_tT1_PNSt15iterator_traitsISG_E10value_typeET2_T3_PNSH_ISM_E10value_typeET4_T5_PSR_SS_PNS1_23onesweep_lookback_stateEbbT6_jjT7_P12ihipStream_tbENKUlT_T0_SG_SL_E_clIS7_S7_SB_SB_EEDaSZ_S10_SG_SL_EUlSZ_E_NS1_11comp_targetILNS1_3genE10ELNS1_11target_archE1201ELNS1_3gpuE5ELNS1_3repE0EEENS1_47radix_sort_onesweep_sort_config_static_selectorELNS0_4arch9wavefront6targetE1EEEvSG_ ; -- Begin function _ZN7rocprim17ROCPRIM_400000_NS6detail17trampoline_kernelINS0_14default_configENS1_35radix_sort_onesweep_config_selectorIhlEEZZNS1_29radix_sort_onesweep_iterationIS3_Lb0EPhS7_N6thrust23THRUST_200600_302600_NS10device_ptrIlEESB_jNS0_19identity_decomposerENS1_16block_id_wrapperIjLb1EEEEE10hipError_tT1_PNSt15iterator_traitsISG_E10value_typeET2_T3_PNSH_ISM_E10value_typeET4_T5_PSR_SS_PNS1_23onesweep_lookback_stateEbbT6_jjT7_P12ihipStream_tbENKUlT_T0_SG_SL_E_clIS7_S7_SB_SB_EEDaSZ_S10_SG_SL_EUlSZ_E_NS1_11comp_targetILNS1_3genE10ELNS1_11target_archE1201ELNS1_3gpuE5ELNS1_3repE0EEENS1_47radix_sort_onesweep_sort_config_static_selectorELNS0_4arch9wavefront6targetE1EEEvSG_
	.globl	_ZN7rocprim17ROCPRIM_400000_NS6detail17trampoline_kernelINS0_14default_configENS1_35radix_sort_onesweep_config_selectorIhlEEZZNS1_29radix_sort_onesweep_iterationIS3_Lb0EPhS7_N6thrust23THRUST_200600_302600_NS10device_ptrIlEESB_jNS0_19identity_decomposerENS1_16block_id_wrapperIjLb1EEEEE10hipError_tT1_PNSt15iterator_traitsISG_E10value_typeET2_T3_PNSH_ISM_E10value_typeET4_T5_PSR_SS_PNS1_23onesweep_lookback_stateEbbT6_jjT7_P12ihipStream_tbENKUlT_T0_SG_SL_E_clIS7_S7_SB_SB_EEDaSZ_S10_SG_SL_EUlSZ_E_NS1_11comp_targetILNS1_3genE10ELNS1_11target_archE1201ELNS1_3gpuE5ELNS1_3repE0EEENS1_47radix_sort_onesweep_sort_config_static_selectorELNS0_4arch9wavefront6targetE1EEEvSG_
	.p2align	8
	.type	_ZN7rocprim17ROCPRIM_400000_NS6detail17trampoline_kernelINS0_14default_configENS1_35radix_sort_onesweep_config_selectorIhlEEZZNS1_29radix_sort_onesweep_iterationIS3_Lb0EPhS7_N6thrust23THRUST_200600_302600_NS10device_ptrIlEESB_jNS0_19identity_decomposerENS1_16block_id_wrapperIjLb1EEEEE10hipError_tT1_PNSt15iterator_traitsISG_E10value_typeET2_T3_PNSH_ISM_E10value_typeET4_T5_PSR_SS_PNS1_23onesweep_lookback_stateEbbT6_jjT7_P12ihipStream_tbENKUlT_T0_SG_SL_E_clIS7_S7_SB_SB_EEDaSZ_S10_SG_SL_EUlSZ_E_NS1_11comp_targetILNS1_3genE10ELNS1_11target_archE1201ELNS1_3gpuE5ELNS1_3repE0EEENS1_47radix_sort_onesweep_sort_config_static_selectorELNS0_4arch9wavefront6targetE1EEEvSG_,@function
_ZN7rocprim17ROCPRIM_400000_NS6detail17trampoline_kernelINS0_14default_configENS1_35radix_sort_onesweep_config_selectorIhlEEZZNS1_29radix_sort_onesweep_iterationIS3_Lb0EPhS7_N6thrust23THRUST_200600_302600_NS10device_ptrIlEESB_jNS0_19identity_decomposerENS1_16block_id_wrapperIjLb1EEEEE10hipError_tT1_PNSt15iterator_traitsISG_E10value_typeET2_T3_PNSH_ISM_E10value_typeET4_T5_PSR_SS_PNS1_23onesweep_lookback_stateEbbT6_jjT7_P12ihipStream_tbENKUlT_T0_SG_SL_E_clIS7_S7_SB_SB_EEDaSZ_S10_SG_SL_EUlSZ_E_NS1_11comp_targetILNS1_3genE10ELNS1_11target_archE1201ELNS1_3gpuE5ELNS1_3repE0EEENS1_47radix_sort_onesweep_sort_config_static_selectorELNS0_4arch9wavefront6targetE1EEEvSG_: ; @_ZN7rocprim17ROCPRIM_400000_NS6detail17trampoline_kernelINS0_14default_configENS1_35radix_sort_onesweep_config_selectorIhlEEZZNS1_29radix_sort_onesweep_iterationIS3_Lb0EPhS7_N6thrust23THRUST_200600_302600_NS10device_ptrIlEESB_jNS0_19identity_decomposerENS1_16block_id_wrapperIjLb1EEEEE10hipError_tT1_PNSt15iterator_traitsISG_E10value_typeET2_T3_PNSH_ISM_E10value_typeET4_T5_PSR_SS_PNS1_23onesweep_lookback_stateEbbT6_jjT7_P12ihipStream_tbENKUlT_T0_SG_SL_E_clIS7_S7_SB_SB_EEDaSZ_S10_SG_SL_EUlSZ_E_NS1_11comp_targetILNS1_3genE10ELNS1_11target_archE1201ELNS1_3gpuE5ELNS1_3repE0EEENS1_47radix_sort_onesweep_sort_config_static_selectorELNS0_4arch9wavefront6targetE1EEEvSG_
; %bb.0:
	.section	.rodata,"a",@progbits
	.p2align	6, 0x0
	.amdhsa_kernel _ZN7rocprim17ROCPRIM_400000_NS6detail17trampoline_kernelINS0_14default_configENS1_35radix_sort_onesweep_config_selectorIhlEEZZNS1_29radix_sort_onesweep_iterationIS3_Lb0EPhS7_N6thrust23THRUST_200600_302600_NS10device_ptrIlEESB_jNS0_19identity_decomposerENS1_16block_id_wrapperIjLb1EEEEE10hipError_tT1_PNSt15iterator_traitsISG_E10value_typeET2_T3_PNSH_ISM_E10value_typeET4_T5_PSR_SS_PNS1_23onesweep_lookback_stateEbbT6_jjT7_P12ihipStream_tbENKUlT_T0_SG_SL_E_clIS7_S7_SB_SB_EEDaSZ_S10_SG_SL_EUlSZ_E_NS1_11comp_targetILNS1_3genE10ELNS1_11target_archE1201ELNS1_3gpuE5ELNS1_3repE0EEENS1_47radix_sort_onesweep_sort_config_static_selectorELNS0_4arch9wavefront6targetE1EEEvSG_
		.amdhsa_group_segment_fixed_size 0
		.amdhsa_private_segment_fixed_size 0
		.amdhsa_kernarg_size 88
		.amdhsa_user_sgpr_count 6
		.amdhsa_user_sgpr_private_segment_buffer 1
		.amdhsa_user_sgpr_dispatch_ptr 0
		.amdhsa_user_sgpr_queue_ptr 0
		.amdhsa_user_sgpr_kernarg_segment_ptr 1
		.amdhsa_user_sgpr_dispatch_id 0
		.amdhsa_user_sgpr_flat_scratch_init 0
		.amdhsa_user_sgpr_private_segment_size 0
		.amdhsa_uses_dynamic_stack 0
		.amdhsa_system_sgpr_private_segment_wavefront_offset 0
		.amdhsa_system_sgpr_workgroup_id_x 1
		.amdhsa_system_sgpr_workgroup_id_y 0
		.amdhsa_system_sgpr_workgroup_id_z 0
		.amdhsa_system_sgpr_workgroup_info 0
		.amdhsa_system_vgpr_workitem_id 0
		.amdhsa_next_free_vgpr 1
		.amdhsa_next_free_sgpr 0
		.amdhsa_reserve_vcc 0
		.amdhsa_reserve_flat_scratch 0
		.amdhsa_float_round_mode_32 0
		.amdhsa_float_round_mode_16_64 0
		.amdhsa_float_denorm_mode_32 3
		.amdhsa_float_denorm_mode_16_64 3
		.amdhsa_dx10_clamp 1
		.amdhsa_ieee_mode 1
		.amdhsa_fp16_overflow 0
		.amdhsa_exception_fp_ieee_invalid_op 0
		.amdhsa_exception_fp_denorm_src 0
		.amdhsa_exception_fp_ieee_div_zero 0
		.amdhsa_exception_fp_ieee_overflow 0
		.amdhsa_exception_fp_ieee_underflow 0
		.amdhsa_exception_fp_ieee_inexact 0
		.amdhsa_exception_int_div_zero 0
	.end_amdhsa_kernel
	.section	.text._ZN7rocprim17ROCPRIM_400000_NS6detail17trampoline_kernelINS0_14default_configENS1_35radix_sort_onesweep_config_selectorIhlEEZZNS1_29radix_sort_onesweep_iterationIS3_Lb0EPhS7_N6thrust23THRUST_200600_302600_NS10device_ptrIlEESB_jNS0_19identity_decomposerENS1_16block_id_wrapperIjLb1EEEEE10hipError_tT1_PNSt15iterator_traitsISG_E10value_typeET2_T3_PNSH_ISM_E10value_typeET4_T5_PSR_SS_PNS1_23onesweep_lookback_stateEbbT6_jjT7_P12ihipStream_tbENKUlT_T0_SG_SL_E_clIS7_S7_SB_SB_EEDaSZ_S10_SG_SL_EUlSZ_E_NS1_11comp_targetILNS1_3genE10ELNS1_11target_archE1201ELNS1_3gpuE5ELNS1_3repE0EEENS1_47radix_sort_onesweep_sort_config_static_selectorELNS0_4arch9wavefront6targetE1EEEvSG_,"axG",@progbits,_ZN7rocprim17ROCPRIM_400000_NS6detail17trampoline_kernelINS0_14default_configENS1_35radix_sort_onesweep_config_selectorIhlEEZZNS1_29radix_sort_onesweep_iterationIS3_Lb0EPhS7_N6thrust23THRUST_200600_302600_NS10device_ptrIlEESB_jNS0_19identity_decomposerENS1_16block_id_wrapperIjLb1EEEEE10hipError_tT1_PNSt15iterator_traitsISG_E10value_typeET2_T3_PNSH_ISM_E10value_typeET4_T5_PSR_SS_PNS1_23onesweep_lookback_stateEbbT6_jjT7_P12ihipStream_tbENKUlT_T0_SG_SL_E_clIS7_S7_SB_SB_EEDaSZ_S10_SG_SL_EUlSZ_E_NS1_11comp_targetILNS1_3genE10ELNS1_11target_archE1201ELNS1_3gpuE5ELNS1_3repE0EEENS1_47radix_sort_onesweep_sort_config_static_selectorELNS0_4arch9wavefront6targetE1EEEvSG_,comdat
.Lfunc_end270:
	.size	_ZN7rocprim17ROCPRIM_400000_NS6detail17trampoline_kernelINS0_14default_configENS1_35radix_sort_onesweep_config_selectorIhlEEZZNS1_29radix_sort_onesweep_iterationIS3_Lb0EPhS7_N6thrust23THRUST_200600_302600_NS10device_ptrIlEESB_jNS0_19identity_decomposerENS1_16block_id_wrapperIjLb1EEEEE10hipError_tT1_PNSt15iterator_traitsISG_E10value_typeET2_T3_PNSH_ISM_E10value_typeET4_T5_PSR_SS_PNS1_23onesweep_lookback_stateEbbT6_jjT7_P12ihipStream_tbENKUlT_T0_SG_SL_E_clIS7_S7_SB_SB_EEDaSZ_S10_SG_SL_EUlSZ_E_NS1_11comp_targetILNS1_3genE10ELNS1_11target_archE1201ELNS1_3gpuE5ELNS1_3repE0EEENS1_47radix_sort_onesweep_sort_config_static_selectorELNS0_4arch9wavefront6targetE1EEEvSG_, .Lfunc_end270-_ZN7rocprim17ROCPRIM_400000_NS6detail17trampoline_kernelINS0_14default_configENS1_35radix_sort_onesweep_config_selectorIhlEEZZNS1_29radix_sort_onesweep_iterationIS3_Lb0EPhS7_N6thrust23THRUST_200600_302600_NS10device_ptrIlEESB_jNS0_19identity_decomposerENS1_16block_id_wrapperIjLb1EEEEE10hipError_tT1_PNSt15iterator_traitsISG_E10value_typeET2_T3_PNSH_ISM_E10value_typeET4_T5_PSR_SS_PNS1_23onesweep_lookback_stateEbbT6_jjT7_P12ihipStream_tbENKUlT_T0_SG_SL_E_clIS7_S7_SB_SB_EEDaSZ_S10_SG_SL_EUlSZ_E_NS1_11comp_targetILNS1_3genE10ELNS1_11target_archE1201ELNS1_3gpuE5ELNS1_3repE0EEENS1_47radix_sort_onesweep_sort_config_static_selectorELNS0_4arch9wavefront6targetE1EEEvSG_
                                        ; -- End function
	.set _ZN7rocprim17ROCPRIM_400000_NS6detail17trampoline_kernelINS0_14default_configENS1_35radix_sort_onesweep_config_selectorIhlEEZZNS1_29radix_sort_onesweep_iterationIS3_Lb0EPhS7_N6thrust23THRUST_200600_302600_NS10device_ptrIlEESB_jNS0_19identity_decomposerENS1_16block_id_wrapperIjLb1EEEEE10hipError_tT1_PNSt15iterator_traitsISG_E10value_typeET2_T3_PNSH_ISM_E10value_typeET4_T5_PSR_SS_PNS1_23onesweep_lookback_stateEbbT6_jjT7_P12ihipStream_tbENKUlT_T0_SG_SL_E_clIS7_S7_SB_SB_EEDaSZ_S10_SG_SL_EUlSZ_E_NS1_11comp_targetILNS1_3genE10ELNS1_11target_archE1201ELNS1_3gpuE5ELNS1_3repE0EEENS1_47radix_sort_onesweep_sort_config_static_selectorELNS0_4arch9wavefront6targetE1EEEvSG_.num_vgpr, 0
	.set _ZN7rocprim17ROCPRIM_400000_NS6detail17trampoline_kernelINS0_14default_configENS1_35radix_sort_onesweep_config_selectorIhlEEZZNS1_29radix_sort_onesweep_iterationIS3_Lb0EPhS7_N6thrust23THRUST_200600_302600_NS10device_ptrIlEESB_jNS0_19identity_decomposerENS1_16block_id_wrapperIjLb1EEEEE10hipError_tT1_PNSt15iterator_traitsISG_E10value_typeET2_T3_PNSH_ISM_E10value_typeET4_T5_PSR_SS_PNS1_23onesweep_lookback_stateEbbT6_jjT7_P12ihipStream_tbENKUlT_T0_SG_SL_E_clIS7_S7_SB_SB_EEDaSZ_S10_SG_SL_EUlSZ_E_NS1_11comp_targetILNS1_3genE10ELNS1_11target_archE1201ELNS1_3gpuE5ELNS1_3repE0EEENS1_47radix_sort_onesweep_sort_config_static_selectorELNS0_4arch9wavefront6targetE1EEEvSG_.num_agpr, 0
	.set _ZN7rocprim17ROCPRIM_400000_NS6detail17trampoline_kernelINS0_14default_configENS1_35radix_sort_onesweep_config_selectorIhlEEZZNS1_29radix_sort_onesweep_iterationIS3_Lb0EPhS7_N6thrust23THRUST_200600_302600_NS10device_ptrIlEESB_jNS0_19identity_decomposerENS1_16block_id_wrapperIjLb1EEEEE10hipError_tT1_PNSt15iterator_traitsISG_E10value_typeET2_T3_PNSH_ISM_E10value_typeET4_T5_PSR_SS_PNS1_23onesweep_lookback_stateEbbT6_jjT7_P12ihipStream_tbENKUlT_T0_SG_SL_E_clIS7_S7_SB_SB_EEDaSZ_S10_SG_SL_EUlSZ_E_NS1_11comp_targetILNS1_3genE10ELNS1_11target_archE1201ELNS1_3gpuE5ELNS1_3repE0EEENS1_47radix_sort_onesweep_sort_config_static_selectorELNS0_4arch9wavefront6targetE1EEEvSG_.numbered_sgpr, 0
	.set _ZN7rocprim17ROCPRIM_400000_NS6detail17trampoline_kernelINS0_14default_configENS1_35radix_sort_onesweep_config_selectorIhlEEZZNS1_29radix_sort_onesweep_iterationIS3_Lb0EPhS7_N6thrust23THRUST_200600_302600_NS10device_ptrIlEESB_jNS0_19identity_decomposerENS1_16block_id_wrapperIjLb1EEEEE10hipError_tT1_PNSt15iterator_traitsISG_E10value_typeET2_T3_PNSH_ISM_E10value_typeET4_T5_PSR_SS_PNS1_23onesweep_lookback_stateEbbT6_jjT7_P12ihipStream_tbENKUlT_T0_SG_SL_E_clIS7_S7_SB_SB_EEDaSZ_S10_SG_SL_EUlSZ_E_NS1_11comp_targetILNS1_3genE10ELNS1_11target_archE1201ELNS1_3gpuE5ELNS1_3repE0EEENS1_47radix_sort_onesweep_sort_config_static_selectorELNS0_4arch9wavefront6targetE1EEEvSG_.num_named_barrier, 0
	.set _ZN7rocprim17ROCPRIM_400000_NS6detail17trampoline_kernelINS0_14default_configENS1_35radix_sort_onesweep_config_selectorIhlEEZZNS1_29radix_sort_onesweep_iterationIS3_Lb0EPhS7_N6thrust23THRUST_200600_302600_NS10device_ptrIlEESB_jNS0_19identity_decomposerENS1_16block_id_wrapperIjLb1EEEEE10hipError_tT1_PNSt15iterator_traitsISG_E10value_typeET2_T3_PNSH_ISM_E10value_typeET4_T5_PSR_SS_PNS1_23onesweep_lookback_stateEbbT6_jjT7_P12ihipStream_tbENKUlT_T0_SG_SL_E_clIS7_S7_SB_SB_EEDaSZ_S10_SG_SL_EUlSZ_E_NS1_11comp_targetILNS1_3genE10ELNS1_11target_archE1201ELNS1_3gpuE5ELNS1_3repE0EEENS1_47radix_sort_onesweep_sort_config_static_selectorELNS0_4arch9wavefront6targetE1EEEvSG_.private_seg_size, 0
	.set _ZN7rocprim17ROCPRIM_400000_NS6detail17trampoline_kernelINS0_14default_configENS1_35radix_sort_onesweep_config_selectorIhlEEZZNS1_29radix_sort_onesweep_iterationIS3_Lb0EPhS7_N6thrust23THRUST_200600_302600_NS10device_ptrIlEESB_jNS0_19identity_decomposerENS1_16block_id_wrapperIjLb1EEEEE10hipError_tT1_PNSt15iterator_traitsISG_E10value_typeET2_T3_PNSH_ISM_E10value_typeET4_T5_PSR_SS_PNS1_23onesweep_lookback_stateEbbT6_jjT7_P12ihipStream_tbENKUlT_T0_SG_SL_E_clIS7_S7_SB_SB_EEDaSZ_S10_SG_SL_EUlSZ_E_NS1_11comp_targetILNS1_3genE10ELNS1_11target_archE1201ELNS1_3gpuE5ELNS1_3repE0EEENS1_47radix_sort_onesweep_sort_config_static_selectorELNS0_4arch9wavefront6targetE1EEEvSG_.uses_vcc, 0
	.set _ZN7rocprim17ROCPRIM_400000_NS6detail17trampoline_kernelINS0_14default_configENS1_35radix_sort_onesweep_config_selectorIhlEEZZNS1_29radix_sort_onesweep_iterationIS3_Lb0EPhS7_N6thrust23THRUST_200600_302600_NS10device_ptrIlEESB_jNS0_19identity_decomposerENS1_16block_id_wrapperIjLb1EEEEE10hipError_tT1_PNSt15iterator_traitsISG_E10value_typeET2_T3_PNSH_ISM_E10value_typeET4_T5_PSR_SS_PNS1_23onesweep_lookback_stateEbbT6_jjT7_P12ihipStream_tbENKUlT_T0_SG_SL_E_clIS7_S7_SB_SB_EEDaSZ_S10_SG_SL_EUlSZ_E_NS1_11comp_targetILNS1_3genE10ELNS1_11target_archE1201ELNS1_3gpuE5ELNS1_3repE0EEENS1_47radix_sort_onesweep_sort_config_static_selectorELNS0_4arch9wavefront6targetE1EEEvSG_.uses_flat_scratch, 0
	.set _ZN7rocprim17ROCPRIM_400000_NS6detail17trampoline_kernelINS0_14default_configENS1_35radix_sort_onesweep_config_selectorIhlEEZZNS1_29radix_sort_onesweep_iterationIS3_Lb0EPhS7_N6thrust23THRUST_200600_302600_NS10device_ptrIlEESB_jNS0_19identity_decomposerENS1_16block_id_wrapperIjLb1EEEEE10hipError_tT1_PNSt15iterator_traitsISG_E10value_typeET2_T3_PNSH_ISM_E10value_typeET4_T5_PSR_SS_PNS1_23onesweep_lookback_stateEbbT6_jjT7_P12ihipStream_tbENKUlT_T0_SG_SL_E_clIS7_S7_SB_SB_EEDaSZ_S10_SG_SL_EUlSZ_E_NS1_11comp_targetILNS1_3genE10ELNS1_11target_archE1201ELNS1_3gpuE5ELNS1_3repE0EEENS1_47radix_sort_onesweep_sort_config_static_selectorELNS0_4arch9wavefront6targetE1EEEvSG_.has_dyn_sized_stack, 0
	.set _ZN7rocprim17ROCPRIM_400000_NS6detail17trampoline_kernelINS0_14default_configENS1_35radix_sort_onesweep_config_selectorIhlEEZZNS1_29radix_sort_onesweep_iterationIS3_Lb0EPhS7_N6thrust23THRUST_200600_302600_NS10device_ptrIlEESB_jNS0_19identity_decomposerENS1_16block_id_wrapperIjLb1EEEEE10hipError_tT1_PNSt15iterator_traitsISG_E10value_typeET2_T3_PNSH_ISM_E10value_typeET4_T5_PSR_SS_PNS1_23onesweep_lookback_stateEbbT6_jjT7_P12ihipStream_tbENKUlT_T0_SG_SL_E_clIS7_S7_SB_SB_EEDaSZ_S10_SG_SL_EUlSZ_E_NS1_11comp_targetILNS1_3genE10ELNS1_11target_archE1201ELNS1_3gpuE5ELNS1_3repE0EEENS1_47radix_sort_onesweep_sort_config_static_selectorELNS0_4arch9wavefront6targetE1EEEvSG_.has_recursion, 0
	.set _ZN7rocprim17ROCPRIM_400000_NS6detail17trampoline_kernelINS0_14default_configENS1_35radix_sort_onesweep_config_selectorIhlEEZZNS1_29radix_sort_onesweep_iterationIS3_Lb0EPhS7_N6thrust23THRUST_200600_302600_NS10device_ptrIlEESB_jNS0_19identity_decomposerENS1_16block_id_wrapperIjLb1EEEEE10hipError_tT1_PNSt15iterator_traitsISG_E10value_typeET2_T3_PNSH_ISM_E10value_typeET4_T5_PSR_SS_PNS1_23onesweep_lookback_stateEbbT6_jjT7_P12ihipStream_tbENKUlT_T0_SG_SL_E_clIS7_S7_SB_SB_EEDaSZ_S10_SG_SL_EUlSZ_E_NS1_11comp_targetILNS1_3genE10ELNS1_11target_archE1201ELNS1_3gpuE5ELNS1_3repE0EEENS1_47radix_sort_onesweep_sort_config_static_selectorELNS0_4arch9wavefront6targetE1EEEvSG_.has_indirect_call, 0
	.section	.AMDGPU.csdata,"",@progbits
; Kernel info:
; codeLenInByte = 0
; TotalNumSgprs: 4
; NumVgprs: 0
; ScratchSize: 0
; MemoryBound: 0
; FloatMode: 240
; IeeeMode: 1
; LDSByteSize: 0 bytes/workgroup (compile time only)
; SGPRBlocks: 0
; VGPRBlocks: 0
; NumSGPRsForWavesPerEU: 4
; NumVGPRsForWavesPerEU: 1
; Occupancy: 10
; WaveLimiterHint : 0
; COMPUTE_PGM_RSRC2:SCRATCH_EN: 0
; COMPUTE_PGM_RSRC2:USER_SGPR: 6
; COMPUTE_PGM_RSRC2:TRAP_HANDLER: 0
; COMPUTE_PGM_RSRC2:TGID_X_EN: 1
; COMPUTE_PGM_RSRC2:TGID_Y_EN: 0
; COMPUTE_PGM_RSRC2:TGID_Z_EN: 0
; COMPUTE_PGM_RSRC2:TIDIG_COMP_CNT: 0
	.section	.text._ZN7rocprim17ROCPRIM_400000_NS6detail17trampoline_kernelINS0_14default_configENS1_35radix_sort_onesweep_config_selectorIhlEEZZNS1_29radix_sort_onesweep_iterationIS3_Lb0EPhS7_N6thrust23THRUST_200600_302600_NS10device_ptrIlEESB_jNS0_19identity_decomposerENS1_16block_id_wrapperIjLb1EEEEE10hipError_tT1_PNSt15iterator_traitsISG_E10value_typeET2_T3_PNSH_ISM_E10value_typeET4_T5_PSR_SS_PNS1_23onesweep_lookback_stateEbbT6_jjT7_P12ihipStream_tbENKUlT_T0_SG_SL_E_clIS7_S7_SB_SB_EEDaSZ_S10_SG_SL_EUlSZ_E_NS1_11comp_targetILNS1_3genE9ELNS1_11target_archE1100ELNS1_3gpuE3ELNS1_3repE0EEENS1_47radix_sort_onesweep_sort_config_static_selectorELNS0_4arch9wavefront6targetE1EEEvSG_,"axG",@progbits,_ZN7rocprim17ROCPRIM_400000_NS6detail17trampoline_kernelINS0_14default_configENS1_35radix_sort_onesweep_config_selectorIhlEEZZNS1_29radix_sort_onesweep_iterationIS3_Lb0EPhS7_N6thrust23THRUST_200600_302600_NS10device_ptrIlEESB_jNS0_19identity_decomposerENS1_16block_id_wrapperIjLb1EEEEE10hipError_tT1_PNSt15iterator_traitsISG_E10value_typeET2_T3_PNSH_ISM_E10value_typeET4_T5_PSR_SS_PNS1_23onesweep_lookback_stateEbbT6_jjT7_P12ihipStream_tbENKUlT_T0_SG_SL_E_clIS7_S7_SB_SB_EEDaSZ_S10_SG_SL_EUlSZ_E_NS1_11comp_targetILNS1_3genE9ELNS1_11target_archE1100ELNS1_3gpuE3ELNS1_3repE0EEENS1_47radix_sort_onesweep_sort_config_static_selectorELNS0_4arch9wavefront6targetE1EEEvSG_,comdat
	.protected	_ZN7rocprim17ROCPRIM_400000_NS6detail17trampoline_kernelINS0_14default_configENS1_35radix_sort_onesweep_config_selectorIhlEEZZNS1_29radix_sort_onesweep_iterationIS3_Lb0EPhS7_N6thrust23THRUST_200600_302600_NS10device_ptrIlEESB_jNS0_19identity_decomposerENS1_16block_id_wrapperIjLb1EEEEE10hipError_tT1_PNSt15iterator_traitsISG_E10value_typeET2_T3_PNSH_ISM_E10value_typeET4_T5_PSR_SS_PNS1_23onesweep_lookback_stateEbbT6_jjT7_P12ihipStream_tbENKUlT_T0_SG_SL_E_clIS7_S7_SB_SB_EEDaSZ_S10_SG_SL_EUlSZ_E_NS1_11comp_targetILNS1_3genE9ELNS1_11target_archE1100ELNS1_3gpuE3ELNS1_3repE0EEENS1_47radix_sort_onesweep_sort_config_static_selectorELNS0_4arch9wavefront6targetE1EEEvSG_ ; -- Begin function _ZN7rocprim17ROCPRIM_400000_NS6detail17trampoline_kernelINS0_14default_configENS1_35radix_sort_onesweep_config_selectorIhlEEZZNS1_29radix_sort_onesweep_iterationIS3_Lb0EPhS7_N6thrust23THRUST_200600_302600_NS10device_ptrIlEESB_jNS0_19identity_decomposerENS1_16block_id_wrapperIjLb1EEEEE10hipError_tT1_PNSt15iterator_traitsISG_E10value_typeET2_T3_PNSH_ISM_E10value_typeET4_T5_PSR_SS_PNS1_23onesweep_lookback_stateEbbT6_jjT7_P12ihipStream_tbENKUlT_T0_SG_SL_E_clIS7_S7_SB_SB_EEDaSZ_S10_SG_SL_EUlSZ_E_NS1_11comp_targetILNS1_3genE9ELNS1_11target_archE1100ELNS1_3gpuE3ELNS1_3repE0EEENS1_47radix_sort_onesweep_sort_config_static_selectorELNS0_4arch9wavefront6targetE1EEEvSG_
	.globl	_ZN7rocprim17ROCPRIM_400000_NS6detail17trampoline_kernelINS0_14default_configENS1_35radix_sort_onesweep_config_selectorIhlEEZZNS1_29radix_sort_onesweep_iterationIS3_Lb0EPhS7_N6thrust23THRUST_200600_302600_NS10device_ptrIlEESB_jNS0_19identity_decomposerENS1_16block_id_wrapperIjLb1EEEEE10hipError_tT1_PNSt15iterator_traitsISG_E10value_typeET2_T3_PNSH_ISM_E10value_typeET4_T5_PSR_SS_PNS1_23onesweep_lookback_stateEbbT6_jjT7_P12ihipStream_tbENKUlT_T0_SG_SL_E_clIS7_S7_SB_SB_EEDaSZ_S10_SG_SL_EUlSZ_E_NS1_11comp_targetILNS1_3genE9ELNS1_11target_archE1100ELNS1_3gpuE3ELNS1_3repE0EEENS1_47radix_sort_onesweep_sort_config_static_selectorELNS0_4arch9wavefront6targetE1EEEvSG_
	.p2align	8
	.type	_ZN7rocprim17ROCPRIM_400000_NS6detail17trampoline_kernelINS0_14default_configENS1_35radix_sort_onesweep_config_selectorIhlEEZZNS1_29radix_sort_onesweep_iterationIS3_Lb0EPhS7_N6thrust23THRUST_200600_302600_NS10device_ptrIlEESB_jNS0_19identity_decomposerENS1_16block_id_wrapperIjLb1EEEEE10hipError_tT1_PNSt15iterator_traitsISG_E10value_typeET2_T3_PNSH_ISM_E10value_typeET4_T5_PSR_SS_PNS1_23onesweep_lookback_stateEbbT6_jjT7_P12ihipStream_tbENKUlT_T0_SG_SL_E_clIS7_S7_SB_SB_EEDaSZ_S10_SG_SL_EUlSZ_E_NS1_11comp_targetILNS1_3genE9ELNS1_11target_archE1100ELNS1_3gpuE3ELNS1_3repE0EEENS1_47radix_sort_onesweep_sort_config_static_selectorELNS0_4arch9wavefront6targetE1EEEvSG_,@function
_ZN7rocprim17ROCPRIM_400000_NS6detail17trampoline_kernelINS0_14default_configENS1_35radix_sort_onesweep_config_selectorIhlEEZZNS1_29radix_sort_onesweep_iterationIS3_Lb0EPhS7_N6thrust23THRUST_200600_302600_NS10device_ptrIlEESB_jNS0_19identity_decomposerENS1_16block_id_wrapperIjLb1EEEEE10hipError_tT1_PNSt15iterator_traitsISG_E10value_typeET2_T3_PNSH_ISM_E10value_typeET4_T5_PSR_SS_PNS1_23onesweep_lookback_stateEbbT6_jjT7_P12ihipStream_tbENKUlT_T0_SG_SL_E_clIS7_S7_SB_SB_EEDaSZ_S10_SG_SL_EUlSZ_E_NS1_11comp_targetILNS1_3genE9ELNS1_11target_archE1100ELNS1_3gpuE3ELNS1_3repE0EEENS1_47radix_sort_onesweep_sort_config_static_selectorELNS0_4arch9wavefront6targetE1EEEvSG_: ; @_ZN7rocprim17ROCPRIM_400000_NS6detail17trampoline_kernelINS0_14default_configENS1_35radix_sort_onesweep_config_selectorIhlEEZZNS1_29radix_sort_onesweep_iterationIS3_Lb0EPhS7_N6thrust23THRUST_200600_302600_NS10device_ptrIlEESB_jNS0_19identity_decomposerENS1_16block_id_wrapperIjLb1EEEEE10hipError_tT1_PNSt15iterator_traitsISG_E10value_typeET2_T3_PNSH_ISM_E10value_typeET4_T5_PSR_SS_PNS1_23onesweep_lookback_stateEbbT6_jjT7_P12ihipStream_tbENKUlT_T0_SG_SL_E_clIS7_S7_SB_SB_EEDaSZ_S10_SG_SL_EUlSZ_E_NS1_11comp_targetILNS1_3genE9ELNS1_11target_archE1100ELNS1_3gpuE3ELNS1_3repE0EEENS1_47radix_sort_onesweep_sort_config_static_selectorELNS0_4arch9wavefront6targetE1EEEvSG_
; %bb.0:
	.section	.rodata,"a",@progbits
	.p2align	6, 0x0
	.amdhsa_kernel _ZN7rocprim17ROCPRIM_400000_NS6detail17trampoline_kernelINS0_14default_configENS1_35radix_sort_onesweep_config_selectorIhlEEZZNS1_29radix_sort_onesweep_iterationIS3_Lb0EPhS7_N6thrust23THRUST_200600_302600_NS10device_ptrIlEESB_jNS0_19identity_decomposerENS1_16block_id_wrapperIjLb1EEEEE10hipError_tT1_PNSt15iterator_traitsISG_E10value_typeET2_T3_PNSH_ISM_E10value_typeET4_T5_PSR_SS_PNS1_23onesweep_lookback_stateEbbT6_jjT7_P12ihipStream_tbENKUlT_T0_SG_SL_E_clIS7_S7_SB_SB_EEDaSZ_S10_SG_SL_EUlSZ_E_NS1_11comp_targetILNS1_3genE9ELNS1_11target_archE1100ELNS1_3gpuE3ELNS1_3repE0EEENS1_47radix_sort_onesweep_sort_config_static_selectorELNS0_4arch9wavefront6targetE1EEEvSG_
		.amdhsa_group_segment_fixed_size 0
		.amdhsa_private_segment_fixed_size 0
		.amdhsa_kernarg_size 88
		.amdhsa_user_sgpr_count 6
		.amdhsa_user_sgpr_private_segment_buffer 1
		.amdhsa_user_sgpr_dispatch_ptr 0
		.amdhsa_user_sgpr_queue_ptr 0
		.amdhsa_user_sgpr_kernarg_segment_ptr 1
		.amdhsa_user_sgpr_dispatch_id 0
		.amdhsa_user_sgpr_flat_scratch_init 0
		.amdhsa_user_sgpr_private_segment_size 0
		.amdhsa_uses_dynamic_stack 0
		.amdhsa_system_sgpr_private_segment_wavefront_offset 0
		.amdhsa_system_sgpr_workgroup_id_x 1
		.amdhsa_system_sgpr_workgroup_id_y 0
		.amdhsa_system_sgpr_workgroup_id_z 0
		.amdhsa_system_sgpr_workgroup_info 0
		.amdhsa_system_vgpr_workitem_id 0
		.amdhsa_next_free_vgpr 1
		.amdhsa_next_free_sgpr 0
		.amdhsa_reserve_vcc 0
		.amdhsa_reserve_flat_scratch 0
		.amdhsa_float_round_mode_32 0
		.amdhsa_float_round_mode_16_64 0
		.amdhsa_float_denorm_mode_32 3
		.amdhsa_float_denorm_mode_16_64 3
		.amdhsa_dx10_clamp 1
		.amdhsa_ieee_mode 1
		.amdhsa_fp16_overflow 0
		.amdhsa_exception_fp_ieee_invalid_op 0
		.amdhsa_exception_fp_denorm_src 0
		.amdhsa_exception_fp_ieee_div_zero 0
		.amdhsa_exception_fp_ieee_overflow 0
		.amdhsa_exception_fp_ieee_underflow 0
		.amdhsa_exception_fp_ieee_inexact 0
		.amdhsa_exception_int_div_zero 0
	.end_amdhsa_kernel
	.section	.text._ZN7rocprim17ROCPRIM_400000_NS6detail17trampoline_kernelINS0_14default_configENS1_35radix_sort_onesweep_config_selectorIhlEEZZNS1_29radix_sort_onesweep_iterationIS3_Lb0EPhS7_N6thrust23THRUST_200600_302600_NS10device_ptrIlEESB_jNS0_19identity_decomposerENS1_16block_id_wrapperIjLb1EEEEE10hipError_tT1_PNSt15iterator_traitsISG_E10value_typeET2_T3_PNSH_ISM_E10value_typeET4_T5_PSR_SS_PNS1_23onesweep_lookback_stateEbbT6_jjT7_P12ihipStream_tbENKUlT_T0_SG_SL_E_clIS7_S7_SB_SB_EEDaSZ_S10_SG_SL_EUlSZ_E_NS1_11comp_targetILNS1_3genE9ELNS1_11target_archE1100ELNS1_3gpuE3ELNS1_3repE0EEENS1_47radix_sort_onesweep_sort_config_static_selectorELNS0_4arch9wavefront6targetE1EEEvSG_,"axG",@progbits,_ZN7rocprim17ROCPRIM_400000_NS6detail17trampoline_kernelINS0_14default_configENS1_35radix_sort_onesweep_config_selectorIhlEEZZNS1_29radix_sort_onesweep_iterationIS3_Lb0EPhS7_N6thrust23THRUST_200600_302600_NS10device_ptrIlEESB_jNS0_19identity_decomposerENS1_16block_id_wrapperIjLb1EEEEE10hipError_tT1_PNSt15iterator_traitsISG_E10value_typeET2_T3_PNSH_ISM_E10value_typeET4_T5_PSR_SS_PNS1_23onesweep_lookback_stateEbbT6_jjT7_P12ihipStream_tbENKUlT_T0_SG_SL_E_clIS7_S7_SB_SB_EEDaSZ_S10_SG_SL_EUlSZ_E_NS1_11comp_targetILNS1_3genE9ELNS1_11target_archE1100ELNS1_3gpuE3ELNS1_3repE0EEENS1_47radix_sort_onesweep_sort_config_static_selectorELNS0_4arch9wavefront6targetE1EEEvSG_,comdat
.Lfunc_end271:
	.size	_ZN7rocprim17ROCPRIM_400000_NS6detail17trampoline_kernelINS0_14default_configENS1_35radix_sort_onesweep_config_selectorIhlEEZZNS1_29radix_sort_onesweep_iterationIS3_Lb0EPhS7_N6thrust23THRUST_200600_302600_NS10device_ptrIlEESB_jNS0_19identity_decomposerENS1_16block_id_wrapperIjLb1EEEEE10hipError_tT1_PNSt15iterator_traitsISG_E10value_typeET2_T3_PNSH_ISM_E10value_typeET4_T5_PSR_SS_PNS1_23onesweep_lookback_stateEbbT6_jjT7_P12ihipStream_tbENKUlT_T0_SG_SL_E_clIS7_S7_SB_SB_EEDaSZ_S10_SG_SL_EUlSZ_E_NS1_11comp_targetILNS1_3genE9ELNS1_11target_archE1100ELNS1_3gpuE3ELNS1_3repE0EEENS1_47radix_sort_onesweep_sort_config_static_selectorELNS0_4arch9wavefront6targetE1EEEvSG_, .Lfunc_end271-_ZN7rocprim17ROCPRIM_400000_NS6detail17trampoline_kernelINS0_14default_configENS1_35radix_sort_onesweep_config_selectorIhlEEZZNS1_29radix_sort_onesweep_iterationIS3_Lb0EPhS7_N6thrust23THRUST_200600_302600_NS10device_ptrIlEESB_jNS0_19identity_decomposerENS1_16block_id_wrapperIjLb1EEEEE10hipError_tT1_PNSt15iterator_traitsISG_E10value_typeET2_T3_PNSH_ISM_E10value_typeET4_T5_PSR_SS_PNS1_23onesweep_lookback_stateEbbT6_jjT7_P12ihipStream_tbENKUlT_T0_SG_SL_E_clIS7_S7_SB_SB_EEDaSZ_S10_SG_SL_EUlSZ_E_NS1_11comp_targetILNS1_3genE9ELNS1_11target_archE1100ELNS1_3gpuE3ELNS1_3repE0EEENS1_47radix_sort_onesweep_sort_config_static_selectorELNS0_4arch9wavefront6targetE1EEEvSG_
                                        ; -- End function
	.set _ZN7rocprim17ROCPRIM_400000_NS6detail17trampoline_kernelINS0_14default_configENS1_35radix_sort_onesweep_config_selectorIhlEEZZNS1_29radix_sort_onesweep_iterationIS3_Lb0EPhS7_N6thrust23THRUST_200600_302600_NS10device_ptrIlEESB_jNS0_19identity_decomposerENS1_16block_id_wrapperIjLb1EEEEE10hipError_tT1_PNSt15iterator_traitsISG_E10value_typeET2_T3_PNSH_ISM_E10value_typeET4_T5_PSR_SS_PNS1_23onesweep_lookback_stateEbbT6_jjT7_P12ihipStream_tbENKUlT_T0_SG_SL_E_clIS7_S7_SB_SB_EEDaSZ_S10_SG_SL_EUlSZ_E_NS1_11comp_targetILNS1_3genE9ELNS1_11target_archE1100ELNS1_3gpuE3ELNS1_3repE0EEENS1_47radix_sort_onesweep_sort_config_static_selectorELNS0_4arch9wavefront6targetE1EEEvSG_.num_vgpr, 0
	.set _ZN7rocprim17ROCPRIM_400000_NS6detail17trampoline_kernelINS0_14default_configENS1_35radix_sort_onesweep_config_selectorIhlEEZZNS1_29radix_sort_onesweep_iterationIS3_Lb0EPhS7_N6thrust23THRUST_200600_302600_NS10device_ptrIlEESB_jNS0_19identity_decomposerENS1_16block_id_wrapperIjLb1EEEEE10hipError_tT1_PNSt15iterator_traitsISG_E10value_typeET2_T3_PNSH_ISM_E10value_typeET4_T5_PSR_SS_PNS1_23onesweep_lookback_stateEbbT6_jjT7_P12ihipStream_tbENKUlT_T0_SG_SL_E_clIS7_S7_SB_SB_EEDaSZ_S10_SG_SL_EUlSZ_E_NS1_11comp_targetILNS1_3genE9ELNS1_11target_archE1100ELNS1_3gpuE3ELNS1_3repE0EEENS1_47radix_sort_onesweep_sort_config_static_selectorELNS0_4arch9wavefront6targetE1EEEvSG_.num_agpr, 0
	.set _ZN7rocprim17ROCPRIM_400000_NS6detail17trampoline_kernelINS0_14default_configENS1_35radix_sort_onesweep_config_selectorIhlEEZZNS1_29radix_sort_onesweep_iterationIS3_Lb0EPhS7_N6thrust23THRUST_200600_302600_NS10device_ptrIlEESB_jNS0_19identity_decomposerENS1_16block_id_wrapperIjLb1EEEEE10hipError_tT1_PNSt15iterator_traitsISG_E10value_typeET2_T3_PNSH_ISM_E10value_typeET4_T5_PSR_SS_PNS1_23onesweep_lookback_stateEbbT6_jjT7_P12ihipStream_tbENKUlT_T0_SG_SL_E_clIS7_S7_SB_SB_EEDaSZ_S10_SG_SL_EUlSZ_E_NS1_11comp_targetILNS1_3genE9ELNS1_11target_archE1100ELNS1_3gpuE3ELNS1_3repE0EEENS1_47radix_sort_onesweep_sort_config_static_selectorELNS0_4arch9wavefront6targetE1EEEvSG_.numbered_sgpr, 0
	.set _ZN7rocprim17ROCPRIM_400000_NS6detail17trampoline_kernelINS0_14default_configENS1_35radix_sort_onesweep_config_selectorIhlEEZZNS1_29radix_sort_onesweep_iterationIS3_Lb0EPhS7_N6thrust23THRUST_200600_302600_NS10device_ptrIlEESB_jNS0_19identity_decomposerENS1_16block_id_wrapperIjLb1EEEEE10hipError_tT1_PNSt15iterator_traitsISG_E10value_typeET2_T3_PNSH_ISM_E10value_typeET4_T5_PSR_SS_PNS1_23onesweep_lookback_stateEbbT6_jjT7_P12ihipStream_tbENKUlT_T0_SG_SL_E_clIS7_S7_SB_SB_EEDaSZ_S10_SG_SL_EUlSZ_E_NS1_11comp_targetILNS1_3genE9ELNS1_11target_archE1100ELNS1_3gpuE3ELNS1_3repE0EEENS1_47radix_sort_onesweep_sort_config_static_selectorELNS0_4arch9wavefront6targetE1EEEvSG_.num_named_barrier, 0
	.set _ZN7rocprim17ROCPRIM_400000_NS6detail17trampoline_kernelINS0_14default_configENS1_35radix_sort_onesweep_config_selectorIhlEEZZNS1_29radix_sort_onesweep_iterationIS3_Lb0EPhS7_N6thrust23THRUST_200600_302600_NS10device_ptrIlEESB_jNS0_19identity_decomposerENS1_16block_id_wrapperIjLb1EEEEE10hipError_tT1_PNSt15iterator_traitsISG_E10value_typeET2_T3_PNSH_ISM_E10value_typeET4_T5_PSR_SS_PNS1_23onesweep_lookback_stateEbbT6_jjT7_P12ihipStream_tbENKUlT_T0_SG_SL_E_clIS7_S7_SB_SB_EEDaSZ_S10_SG_SL_EUlSZ_E_NS1_11comp_targetILNS1_3genE9ELNS1_11target_archE1100ELNS1_3gpuE3ELNS1_3repE0EEENS1_47radix_sort_onesweep_sort_config_static_selectorELNS0_4arch9wavefront6targetE1EEEvSG_.private_seg_size, 0
	.set _ZN7rocprim17ROCPRIM_400000_NS6detail17trampoline_kernelINS0_14default_configENS1_35radix_sort_onesweep_config_selectorIhlEEZZNS1_29radix_sort_onesweep_iterationIS3_Lb0EPhS7_N6thrust23THRUST_200600_302600_NS10device_ptrIlEESB_jNS0_19identity_decomposerENS1_16block_id_wrapperIjLb1EEEEE10hipError_tT1_PNSt15iterator_traitsISG_E10value_typeET2_T3_PNSH_ISM_E10value_typeET4_T5_PSR_SS_PNS1_23onesweep_lookback_stateEbbT6_jjT7_P12ihipStream_tbENKUlT_T0_SG_SL_E_clIS7_S7_SB_SB_EEDaSZ_S10_SG_SL_EUlSZ_E_NS1_11comp_targetILNS1_3genE9ELNS1_11target_archE1100ELNS1_3gpuE3ELNS1_3repE0EEENS1_47radix_sort_onesweep_sort_config_static_selectorELNS0_4arch9wavefront6targetE1EEEvSG_.uses_vcc, 0
	.set _ZN7rocprim17ROCPRIM_400000_NS6detail17trampoline_kernelINS0_14default_configENS1_35radix_sort_onesweep_config_selectorIhlEEZZNS1_29radix_sort_onesweep_iterationIS3_Lb0EPhS7_N6thrust23THRUST_200600_302600_NS10device_ptrIlEESB_jNS0_19identity_decomposerENS1_16block_id_wrapperIjLb1EEEEE10hipError_tT1_PNSt15iterator_traitsISG_E10value_typeET2_T3_PNSH_ISM_E10value_typeET4_T5_PSR_SS_PNS1_23onesweep_lookback_stateEbbT6_jjT7_P12ihipStream_tbENKUlT_T0_SG_SL_E_clIS7_S7_SB_SB_EEDaSZ_S10_SG_SL_EUlSZ_E_NS1_11comp_targetILNS1_3genE9ELNS1_11target_archE1100ELNS1_3gpuE3ELNS1_3repE0EEENS1_47radix_sort_onesweep_sort_config_static_selectorELNS0_4arch9wavefront6targetE1EEEvSG_.uses_flat_scratch, 0
	.set _ZN7rocprim17ROCPRIM_400000_NS6detail17trampoline_kernelINS0_14default_configENS1_35radix_sort_onesweep_config_selectorIhlEEZZNS1_29radix_sort_onesweep_iterationIS3_Lb0EPhS7_N6thrust23THRUST_200600_302600_NS10device_ptrIlEESB_jNS0_19identity_decomposerENS1_16block_id_wrapperIjLb1EEEEE10hipError_tT1_PNSt15iterator_traitsISG_E10value_typeET2_T3_PNSH_ISM_E10value_typeET4_T5_PSR_SS_PNS1_23onesweep_lookback_stateEbbT6_jjT7_P12ihipStream_tbENKUlT_T0_SG_SL_E_clIS7_S7_SB_SB_EEDaSZ_S10_SG_SL_EUlSZ_E_NS1_11comp_targetILNS1_3genE9ELNS1_11target_archE1100ELNS1_3gpuE3ELNS1_3repE0EEENS1_47radix_sort_onesweep_sort_config_static_selectorELNS0_4arch9wavefront6targetE1EEEvSG_.has_dyn_sized_stack, 0
	.set _ZN7rocprim17ROCPRIM_400000_NS6detail17trampoline_kernelINS0_14default_configENS1_35radix_sort_onesweep_config_selectorIhlEEZZNS1_29radix_sort_onesweep_iterationIS3_Lb0EPhS7_N6thrust23THRUST_200600_302600_NS10device_ptrIlEESB_jNS0_19identity_decomposerENS1_16block_id_wrapperIjLb1EEEEE10hipError_tT1_PNSt15iterator_traitsISG_E10value_typeET2_T3_PNSH_ISM_E10value_typeET4_T5_PSR_SS_PNS1_23onesweep_lookback_stateEbbT6_jjT7_P12ihipStream_tbENKUlT_T0_SG_SL_E_clIS7_S7_SB_SB_EEDaSZ_S10_SG_SL_EUlSZ_E_NS1_11comp_targetILNS1_3genE9ELNS1_11target_archE1100ELNS1_3gpuE3ELNS1_3repE0EEENS1_47radix_sort_onesweep_sort_config_static_selectorELNS0_4arch9wavefront6targetE1EEEvSG_.has_recursion, 0
	.set _ZN7rocprim17ROCPRIM_400000_NS6detail17trampoline_kernelINS0_14default_configENS1_35radix_sort_onesweep_config_selectorIhlEEZZNS1_29radix_sort_onesweep_iterationIS3_Lb0EPhS7_N6thrust23THRUST_200600_302600_NS10device_ptrIlEESB_jNS0_19identity_decomposerENS1_16block_id_wrapperIjLb1EEEEE10hipError_tT1_PNSt15iterator_traitsISG_E10value_typeET2_T3_PNSH_ISM_E10value_typeET4_T5_PSR_SS_PNS1_23onesweep_lookback_stateEbbT6_jjT7_P12ihipStream_tbENKUlT_T0_SG_SL_E_clIS7_S7_SB_SB_EEDaSZ_S10_SG_SL_EUlSZ_E_NS1_11comp_targetILNS1_3genE9ELNS1_11target_archE1100ELNS1_3gpuE3ELNS1_3repE0EEENS1_47radix_sort_onesweep_sort_config_static_selectorELNS0_4arch9wavefront6targetE1EEEvSG_.has_indirect_call, 0
	.section	.AMDGPU.csdata,"",@progbits
; Kernel info:
; codeLenInByte = 0
; TotalNumSgprs: 4
; NumVgprs: 0
; ScratchSize: 0
; MemoryBound: 0
; FloatMode: 240
; IeeeMode: 1
; LDSByteSize: 0 bytes/workgroup (compile time only)
; SGPRBlocks: 0
; VGPRBlocks: 0
; NumSGPRsForWavesPerEU: 4
; NumVGPRsForWavesPerEU: 1
; Occupancy: 10
; WaveLimiterHint : 0
; COMPUTE_PGM_RSRC2:SCRATCH_EN: 0
; COMPUTE_PGM_RSRC2:USER_SGPR: 6
; COMPUTE_PGM_RSRC2:TRAP_HANDLER: 0
; COMPUTE_PGM_RSRC2:TGID_X_EN: 1
; COMPUTE_PGM_RSRC2:TGID_Y_EN: 0
; COMPUTE_PGM_RSRC2:TGID_Z_EN: 0
; COMPUTE_PGM_RSRC2:TIDIG_COMP_CNT: 0
	.section	.text._ZN7rocprim17ROCPRIM_400000_NS6detail17trampoline_kernelINS0_14default_configENS1_35radix_sort_onesweep_config_selectorIhlEEZZNS1_29radix_sort_onesweep_iterationIS3_Lb0EPhS7_N6thrust23THRUST_200600_302600_NS10device_ptrIlEESB_jNS0_19identity_decomposerENS1_16block_id_wrapperIjLb1EEEEE10hipError_tT1_PNSt15iterator_traitsISG_E10value_typeET2_T3_PNSH_ISM_E10value_typeET4_T5_PSR_SS_PNS1_23onesweep_lookback_stateEbbT6_jjT7_P12ihipStream_tbENKUlT_T0_SG_SL_E_clIS7_S7_SB_SB_EEDaSZ_S10_SG_SL_EUlSZ_E_NS1_11comp_targetILNS1_3genE8ELNS1_11target_archE1030ELNS1_3gpuE2ELNS1_3repE0EEENS1_47radix_sort_onesweep_sort_config_static_selectorELNS0_4arch9wavefront6targetE1EEEvSG_,"axG",@progbits,_ZN7rocprim17ROCPRIM_400000_NS6detail17trampoline_kernelINS0_14default_configENS1_35radix_sort_onesweep_config_selectorIhlEEZZNS1_29radix_sort_onesweep_iterationIS3_Lb0EPhS7_N6thrust23THRUST_200600_302600_NS10device_ptrIlEESB_jNS0_19identity_decomposerENS1_16block_id_wrapperIjLb1EEEEE10hipError_tT1_PNSt15iterator_traitsISG_E10value_typeET2_T3_PNSH_ISM_E10value_typeET4_T5_PSR_SS_PNS1_23onesweep_lookback_stateEbbT6_jjT7_P12ihipStream_tbENKUlT_T0_SG_SL_E_clIS7_S7_SB_SB_EEDaSZ_S10_SG_SL_EUlSZ_E_NS1_11comp_targetILNS1_3genE8ELNS1_11target_archE1030ELNS1_3gpuE2ELNS1_3repE0EEENS1_47radix_sort_onesweep_sort_config_static_selectorELNS0_4arch9wavefront6targetE1EEEvSG_,comdat
	.protected	_ZN7rocprim17ROCPRIM_400000_NS6detail17trampoline_kernelINS0_14default_configENS1_35radix_sort_onesweep_config_selectorIhlEEZZNS1_29radix_sort_onesweep_iterationIS3_Lb0EPhS7_N6thrust23THRUST_200600_302600_NS10device_ptrIlEESB_jNS0_19identity_decomposerENS1_16block_id_wrapperIjLb1EEEEE10hipError_tT1_PNSt15iterator_traitsISG_E10value_typeET2_T3_PNSH_ISM_E10value_typeET4_T5_PSR_SS_PNS1_23onesweep_lookback_stateEbbT6_jjT7_P12ihipStream_tbENKUlT_T0_SG_SL_E_clIS7_S7_SB_SB_EEDaSZ_S10_SG_SL_EUlSZ_E_NS1_11comp_targetILNS1_3genE8ELNS1_11target_archE1030ELNS1_3gpuE2ELNS1_3repE0EEENS1_47radix_sort_onesweep_sort_config_static_selectorELNS0_4arch9wavefront6targetE1EEEvSG_ ; -- Begin function _ZN7rocprim17ROCPRIM_400000_NS6detail17trampoline_kernelINS0_14default_configENS1_35radix_sort_onesweep_config_selectorIhlEEZZNS1_29radix_sort_onesweep_iterationIS3_Lb0EPhS7_N6thrust23THRUST_200600_302600_NS10device_ptrIlEESB_jNS0_19identity_decomposerENS1_16block_id_wrapperIjLb1EEEEE10hipError_tT1_PNSt15iterator_traitsISG_E10value_typeET2_T3_PNSH_ISM_E10value_typeET4_T5_PSR_SS_PNS1_23onesweep_lookback_stateEbbT6_jjT7_P12ihipStream_tbENKUlT_T0_SG_SL_E_clIS7_S7_SB_SB_EEDaSZ_S10_SG_SL_EUlSZ_E_NS1_11comp_targetILNS1_3genE8ELNS1_11target_archE1030ELNS1_3gpuE2ELNS1_3repE0EEENS1_47radix_sort_onesweep_sort_config_static_selectorELNS0_4arch9wavefront6targetE1EEEvSG_
	.globl	_ZN7rocprim17ROCPRIM_400000_NS6detail17trampoline_kernelINS0_14default_configENS1_35radix_sort_onesweep_config_selectorIhlEEZZNS1_29radix_sort_onesweep_iterationIS3_Lb0EPhS7_N6thrust23THRUST_200600_302600_NS10device_ptrIlEESB_jNS0_19identity_decomposerENS1_16block_id_wrapperIjLb1EEEEE10hipError_tT1_PNSt15iterator_traitsISG_E10value_typeET2_T3_PNSH_ISM_E10value_typeET4_T5_PSR_SS_PNS1_23onesweep_lookback_stateEbbT6_jjT7_P12ihipStream_tbENKUlT_T0_SG_SL_E_clIS7_S7_SB_SB_EEDaSZ_S10_SG_SL_EUlSZ_E_NS1_11comp_targetILNS1_3genE8ELNS1_11target_archE1030ELNS1_3gpuE2ELNS1_3repE0EEENS1_47radix_sort_onesweep_sort_config_static_selectorELNS0_4arch9wavefront6targetE1EEEvSG_
	.p2align	8
	.type	_ZN7rocprim17ROCPRIM_400000_NS6detail17trampoline_kernelINS0_14default_configENS1_35radix_sort_onesweep_config_selectorIhlEEZZNS1_29radix_sort_onesweep_iterationIS3_Lb0EPhS7_N6thrust23THRUST_200600_302600_NS10device_ptrIlEESB_jNS0_19identity_decomposerENS1_16block_id_wrapperIjLb1EEEEE10hipError_tT1_PNSt15iterator_traitsISG_E10value_typeET2_T3_PNSH_ISM_E10value_typeET4_T5_PSR_SS_PNS1_23onesweep_lookback_stateEbbT6_jjT7_P12ihipStream_tbENKUlT_T0_SG_SL_E_clIS7_S7_SB_SB_EEDaSZ_S10_SG_SL_EUlSZ_E_NS1_11comp_targetILNS1_3genE8ELNS1_11target_archE1030ELNS1_3gpuE2ELNS1_3repE0EEENS1_47radix_sort_onesweep_sort_config_static_selectorELNS0_4arch9wavefront6targetE1EEEvSG_,@function
_ZN7rocprim17ROCPRIM_400000_NS6detail17trampoline_kernelINS0_14default_configENS1_35radix_sort_onesweep_config_selectorIhlEEZZNS1_29radix_sort_onesweep_iterationIS3_Lb0EPhS7_N6thrust23THRUST_200600_302600_NS10device_ptrIlEESB_jNS0_19identity_decomposerENS1_16block_id_wrapperIjLb1EEEEE10hipError_tT1_PNSt15iterator_traitsISG_E10value_typeET2_T3_PNSH_ISM_E10value_typeET4_T5_PSR_SS_PNS1_23onesweep_lookback_stateEbbT6_jjT7_P12ihipStream_tbENKUlT_T0_SG_SL_E_clIS7_S7_SB_SB_EEDaSZ_S10_SG_SL_EUlSZ_E_NS1_11comp_targetILNS1_3genE8ELNS1_11target_archE1030ELNS1_3gpuE2ELNS1_3repE0EEENS1_47radix_sort_onesweep_sort_config_static_selectorELNS0_4arch9wavefront6targetE1EEEvSG_: ; @_ZN7rocprim17ROCPRIM_400000_NS6detail17trampoline_kernelINS0_14default_configENS1_35radix_sort_onesweep_config_selectorIhlEEZZNS1_29radix_sort_onesweep_iterationIS3_Lb0EPhS7_N6thrust23THRUST_200600_302600_NS10device_ptrIlEESB_jNS0_19identity_decomposerENS1_16block_id_wrapperIjLb1EEEEE10hipError_tT1_PNSt15iterator_traitsISG_E10value_typeET2_T3_PNSH_ISM_E10value_typeET4_T5_PSR_SS_PNS1_23onesweep_lookback_stateEbbT6_jjT7_P12ihipStream_tbENKUlT_T0_SG_SL_E_clIS7_S7_SB_SB_EEDaSZ_S10_SG_SL_EUlSZ_E_NS1_11comp_targetILNS1_3genE8ELNS1_11target_archE1030ELNS1_3gpuE2ELNS1_3repE0EEENS1_47radix_sort_onesweep_sort_config_static_selectorELNS0_4arch9wavefront6targetE1EEEvSG_
; %bb.0:
	.section	.rodata,"a",@progbits
	.p2align	6, 0x0
	.amdhsa_kernel _ZN7rocprim17ROCPRIM_400000_NS6detail17trampoline_kernelINS0_14default_configENS1_35radix_sort_onesweep_config_selectorIhlEEZZNS1_29radix_sort_onesweep_iterationIS3_Lb0EPhS7_N6thrust23THRUST_200600_302600_NS10device_ptrIlEESB_jNS0_19identity_decomposerENS1_16block_id_wrapperIjLb1EEEEE10hipError_tT1_PNSt15iterator_traitsISG_E10value_typeET2_T3_PNSH_ISM_E10value_typeET4_T5_PSR_SS_PNS1_23onesweep_lookback_stateEbbT6_jjT7_P12ihipStream_tbENKUlT_T0_SG_SL_E_clIS7_S7_SB_SB_EEDaSZ_S10_SG_SL_EUlSZ_E_NS1_11comp_targetILNS1_3genE8ELNS1_11target_archE1030ELNS1_3gpuE2ELNS1_3repE0EEENS1_47radix_sort_onesweep_sort_config_static_selectorELNS0_4arch9wavefront6targetE1EEEvSG_
		.amdhsa_group_segment_fixed_size 0
		.amdhsa_private_segment_fixed_size 0
		.amdhsa_kernarg_size 88
		.amdhsa_user_sgpr_count 6
		.amdhsa_user_sgpr_private_segment_buffer 1
		.amdhsa_user_sgpr_dispatch_ptr 0
		.amdhsa_user_sgpr_queue_ptr 0
		.amdhsa_user_sgpr_kernarg_segment_ptr 1
		.amdhsa_user_sgpr_dispatch_id 0
		.amdhsa_user_sgpr_flat_scratch_init 0
		.amdhsa_user_sgpr_private_segment_size 0
		.amdhsa_uses_dynamic_stack 0
		.amdhsa_system_sgpr_private_segment_wavefront_offset 0
		.amdhsa_system_sgpr_workgroup_id_x 1
		.amdhsa_system_sgpr_workgroup_id_y 0
		.amdhsa_system_sgpr_workgroup_id_z 0
		.amdhsa_system_sgpr_workgroup_info 0
		.amdhsa_system_vgpr_workitem_id 0
		.amdhsa_next_free_vgpr 1
		.amdhsa_next_free_sgpr 0
		.amdhsa_reserve_vcc 0
		.amdhsa_reserve_flat_scratch 0
		.amdhsa_float_round_mode_32 0
		.amdhsa_float_round_mode_16_64 0
		.amdhsa_float_denorm_mode_32 3
		.amdhsa_float_denorm_mode_16_64 3
		.amdhsa_dx10_clamp 1
		.amdhsa_ieee_mode 1
		.amdhsa_fp16_overflow 0
		.amdhsa_exception_fp_ieee_invalid_op 0
		.amdhsa_exception_fp_denorm_src 0
		.amdhsa_exception_fp_ieee_div_zero 0
		.amdhsa_exception_fp_ieee_overflow 0
		.amdhsa_exception_fp_ieee_underflow 0
		.amdhsa_exception_fp_ieee_inexact 0
		.amdhsa_exception_int_div_zero 0
	.end_amdhsa_kernel
	.section	.text._ZN7rocprim17ROCPRIM_400000_NS6detail17trampoline_kernelINS0_14default_configENS1_35radix_sort_onesweep_config_selectorIhlEEZZNS1_29radix_sort_onesweep_iterationIS3_Lb0EPhS7_N6thrust23THRUST_200600_302600_NS10device_ptrIlEESB_jNS0_19identity_decomposerENS1_16block_id_wrapperIjLb1EEEEE10hipError_tT1_PNSt15iterator_traitsISG_E10value_typeET2_T3_PNSH_ISM_E10value_typeET4_T5_PSR_SS_PNS1_23onesweep_lookback_stateEbbT6_jjT7_P12ihipStream_tbENKUlT_T0_SG_SL_E_clIS7_S7_SB_SB_EEDaSZ_S10_SG_SL_EUlSZ_E_NS1_11comp_targetILNS1_3genE8ELNS1_11target_archE1030ELNS1_3gpuE2ELNS1_3repE0EEENS1_47radix_sort_onesweep_sort_config_static_selectorELNS0_4arch9wavefront6targetE1EEEvSG_,"axG",@progbits,_ZN7rocprim17ROCPRIM_400000_NS6detail17trampoline_kernelINS0_14default_configENS1_35radix_sort_onesweep_config_selectorIhlEEZZNS1_29radix_sort_onesweep_iterationIS3_Lb0EPhS7_N6thrust23THRUST_200600_302600_NS10device_ptrIlEESB_jNS0_19identity_decomposerENS1_16block_id_wrapperIjLb1EEEEE10hipError_tT1_PNSt15iterator_traitsISG_E10value_typeET2_T3_PNSH_ISM_E10value_typeET4_T5_PSR_SS_PNS1_23onesweep_lookback_stateEbbT6_jjT7_P12ihipStream_tbENKUlT_T0_SG_SL_E_clIS7_S7_SB_SB_EEDaSZ_S10_SG_SL_EUlSZ_E_NS1_11comp_targetILNS1_3genE8ELNS1_11target_archE1030ELNS1_3gpuE2ELNS1_3repE0EEENS1_47radix_sort_onesweep_sort_config_static_selectorELNS0_4arch9wavefront6targetE1EEEvSG_,comdat
.Lfunc_end272:
	.size	_ZN7rocprim17ROCPRIM_400000_NS6detail17trampoline_kernelINS0_14default_configENS1_35radix_sort_onesweep_config_selectorIhlEEZZNS1_29radix_sort_onesweep_iterationIS3_Lb0EPhS7_N6thrust23THRUST_200600_302600_NS10device_ptrIlEESB_jNS0_19identity_decomposerENS1_16block_id_wrapperIjLb1EEEEE10hipError_tT1_PNSt15iterator_traitsISG_E10value_typeET2_T3_PNSH_ISM_E10value_typeET4_T5_PSR_SS_PNS1_23onesweep_lookback_stateEbbT6_jjT7_P12ihipStream_tbENKUlT_T0_SG_SL_E_clIS7_S7_SB_SB_EEDaSZ_S10_SG_SL_EUlSZ_E_NS1_11comp_targetILNS1_3genE8ELNS1_11target_archE1030ELNS1_3gpuE2ELNS1_3repE0EEENS1_47radix_sort_onesweep_sort_config_static_selectorELNS0_4arch9wavefront6targetE1EEEvSG_, .Lfunc_end272-_ZN7rocprim17ROCPRIM_400000_NS6detail17trampoline_kernelINS0_14default_configENS1_35radix_sort_onesweep_config_selectorIhlEEZZNS1_29radix_sort_onesweep_iterationIS3_Lb0EPhS7_N6thrust23THRUST_200600_302600_NS10device_ptrIlEESB_jNS0_19identity_decomposerENS1_16block_id_wrapperIjLb1EEEEE10hipError_tT1_PNSt15iterator_traitsISG_E10value_typeET2_T3_PNSH_ISM_E10value_typeET4_T5_PSR_SS_PNS1_23onesweep_lookback_stateEbbT6_jjT7_P12ihipStream_tbENKUlT_T0_SG_SL_E_clIS7_S7_SB_SB_EEDaSZ_S10_SG_SL_EUlSZ_E_NS1_11comp_targetILNS1_3genE8ELNS1_11target_archE1030ELNS1_3gpuE2ELNS1_3repE0EEENS1_47radix_sort_onesweep_sort_config_static_selectorELNS0_4arch9wavefront6targetE1EEEvSG_
                                        ; -- End function
	.set _ZN7rocprim17ROCPRIM_400000_NS6detail17trampoline_kernelINS0_14default_configENS1_35radix_sort_onesweep_config_selectorIhlEEZZNS1_29radix_sort_onesweep_iterationIS3_Lb0EPhS7_N6thrust23THRUST_200600_302600_NS10device_ptrIlEESB_jNS0_19identity_decomposerENS1_16block_id_wrapperIjLb1EEEEE10hipError_tT1_PNSt15iterator_traitsISG_E10value_typeET2_T3_PNSH_ISM_E10value_typeET4_T5_PSR_SS_PNS1_23onesweep_lookback_stateEbbT6_jjT7_P12ihipStream_tbENKUlT_T0_SG_SL_E_clIS7_S7_SB_SB_EEDaSZ_S10_SG_SL_EUlSZ_E_NS1_11comp_targetILNS1_3genE8ELNS1_11target_archE1030ELNS1_3gpuE2ELNS1_3repE0EEENS1_47radix_sort_onesweep_sort_config_static_selectorELNS0_4arch9wavefront6targetE1EEEvSG_.num_vgpr, 0
	.set _ZN7rocprim17ROCPRIM_400000_NS6detail17trampoline_kernelINS0_14default_configENS1_35radix_sort_onesweep_config_selectorIhlEEZZNS1_29radix_sort_onesweep_iterationIS3_Lb0EPhS7_N6thrust23THRUST_200600_302600_NS10device_ptrIlEESB_jNS0_19identity_decomposerENS1_16block_id_wrapperIjLb1EEEEE10hipError_tT1_PNSt15iterator_traitsISG_E10value_typeET2_T3_PNSH_ISM_E10value_typeET4_T5_PSR_SS_PNS1_23onesweep_lookback_stateEbbT6_jjT7_P12ihipStream_tbENKUlT_T0_SG_SL_E_clIS7_S7_SB_SB_EEDaSZ_S10_SG_SL_EUlSZ_E_NS1_11comp_targetILNS1_3genE8ELNS1_11target_archE1030ELNS1_3gpuE2ELNS1_3repE0EEENS1_47radix_sort_onesweep_sort_config_static_selectorELNS0_4arch9wavefront6targetE1EEEvSG_.num_agpr, 0
	.set _ZN7rocprim17ROCPRIM_400000_NS6detail17trampoline_kernelINS0_14default_configENS1_35radix_sort_onesweep_config_selectorIhlEEZZNS1_29radix_sort_onesweep_iterationIS3_Lb0EPhS7_N6thrust23THRUST_200600_302600_NS10device_ptrIlEESB_jNS0_19identity_decomposerENS1_16block_id_wrapperIjLb1EEEEE10hipError_tT1_PNSt15iterator_traitsISG_E10value_typeET2_T3_PNSH_ISM_E10value_typeET4_T5_PSR_SS_PNS1_23onesweep_lookback_stateEbbT6_jjT7_P12ihipStream_tbENKUlT_T0_SG_SL_E_clIS7_S7_SB_SB_EEDaSZ_S10_SG_SL_EUlSZ_E_NS1_11comp_targetILNS1_3genE8ELNS1_11target_archE1030ELNS1_3gpuE2ELNS1_3repE0EEENS1_47radix_sort_onesweep_sort_config_static_selectorELNS0_4arch9wavefront6targetE1EEEvSG_.numbered_sgpr, 0
	.set _ZN7rocprim17ROCPRIM_400000_NS6detail17trampoline_kernelINS0_14default_configENS1_35radix_sort_onesweep_config_selectorIhlEEZZNS1_29radix_sort_onesweep_iterationIS3_Lb0EPhS7_N6thrust23THRUST_200600_302600_NS10device_ptrIlEESB_jNS0_19identity_decomposerENS1_16block_id_wrapperIjLb1EEEEE10hipError_tT1_PNSt15iterator_traitsISG_E10value_typeET2_T3_PNSH_ISM_E10value_typeET4_T5_PSR_SS_PNS1_23onesweep_lookback_stateEbbT6_jjT7_P12ihipStream_tbENKUlT_T0_SG_SL_E_clIS7_S7_SB_SB_EEDaSZ_S10_SG_SL_EUlSZ_E_NS1_11comp_targetILNS1_3genE8ELNS1_11target_archE1030ELNS1_3gpuE2ELNS1_3repE0EEENS1_47radix_sort_onesweep_sort_config_static_selectorELNS0_4arch9wavefront6targetE1EEEvSG_.num_named_barrier, 0
	.set _ZN7rocprim17ROCPRIM_400000_NS6detail17trampoline_kernelINS0_14default_configENS1_35radix_sort_onesweep_config_selectorIhlEEZZNS1_29radix_sort_onesweep_iterationIS3_Lb0EPhS7_N6thrust23THRUST_200600_302600_NS10device_ptrIlEESB_jNS0_19identity_decomposerENS1_16block_id_wrapperIjLb1EEEEE10hipError_tT1_PNSt15iterator_traitsISG_E10value_typeET2_T3_PNSH_ISM_E10value_typeET4_T5_PSR_SS_PNS1_23onesweep_lookback_stateEbbT6_jjT7_P12ihipStream_tbENKUlT_T0_SG_SL_E_clIS7_S7_SB_SB_EEDaSZ_S10_SG_SL_EUlSZ_E_NS1_11comp_targetILNS1_3genE8ELNS1_11target_archE1030ELNS1_3gpuE2ELNS1_3repE0EEENS1_47radix_sort_onesweep_sort_config_static_selectorELNS0_4arch9wavefront6targetE1EEEvSG_.private_seg_size, 0
	.set _ZN7rocprim17ROCPRIM_400000_NS6detail17trampoline_kernelINS0_14default_configENS1_35radix_sort_onesweep_config_selectorIhlEEZZNS1_29radix_sort_onesweep_iterationIS3_Lb0EPhS7_N6thrust23THRUST_200600_302600_NS10device_ptrIlEESB_jNS0_19identity_decomposerENS1_16block_id_wrapperIjLb1EEEEE10hipError_tT1_PNSt15iterator_traitsISG_E10value_typeET2_T3_PNSH_ISM_E10value_typeET4_T5_PSR_SS_PNS1_23onesweep_lookback_stateEbbT6_jjT7_P12ihipStream_tbENKUlT_T0_SG_SL_E_clIS7_S7_SB_SB_EEDaSZ_S10_SG_SL_EUlSZ_E_NS1_11comp_targetILNS1_3genE8ELNS1_11target_archE1030ELNS1_3gpuE2ELNS1_3repE0EEENS1_47radix_sort_onesweep_sort_config_static_selectorELNS0_4arch9wavefront6targetE1EEEvSG_.uses_vcc, 0
	.set _ZN7rocprim17ROCPRIM_400000_NS6detail17trampoline_kernelINS0_14default_configENS1_35radix_sort_onesweep_config_selectorIhlEEZZNS1_29radix_sort_onesweep_iterationIS3_Lb0EPhS7_N6thrust23THRUST_200600_302600_NS10device_ptrIlEESB_jNS0_19identity_decomposerENS1_16block_id_wrapperIjLb1EEEEE10hipError_tT1_PNSt15iterator_traitsISG_E10value_typeET2_T3_PNSH_ISM_E10value_typeET4_T5_PSR_SS_PNS1_23onesweep_lookback_stateEbbT6_jjT7_P12ihipStream_tbENKUlT_T0_SG_SL_E_clIS7_S7_SB_SB_EEDaSZ_S10_SG_SL_EUlSZ_E_NS1_11comp_targetILNS1_3genE8ELNS1_11target_archE1030ELNS1_3gpuE2ELNS1_3repE0EEENS1_47radix_sort_onesweep_sort_config_static_selectorELNS0_4arch9wavefront6targetE1EEEvSG_.uses_flat_scratch, 0
	.set _ZN7rocprim17ROCPRIM_400000_NS6detail17trampoline_kernelINS0_14default_configENS1_35radix_sort_onesweep_config_selectorIhlEEZZNS1_29radix_sort_onesweep_iterationIS3_Lb0EPhS7_N6thrust23THRUST_200600_302600_NS10device_ptrIlEESB_jNS0_19identity_decomposerENS1_16block_id_wrapperIjLb1EEEEE10hipError_tT1_PNSt15iterator_traitsISG_E10value_typeET2_T3_PNSH_ISM_E10value_typeET4_T5_PSR_SS_PNS1_23onesweep_lookback_stateEbbT6_jjT7_P12ihipStream_tbENKUlT_T0_SG_SL_E_clIS7_S7_SB_SB_EEDaSZ_S10_SG_SL_EUlSZ_E_NS1_11comp_targetILNS1_3genE8ELNS1_11target_archE1030ELNS1_3gpuE2ELNS1_3repE0EEENS1_47radix_sort_onesweep_sort_config_static_selectorELNS0_4arch9wavefront6targetE1EEEvSG_.has_dyn_sized_stack, 0
	.set _ZN7rocprim17ROCPRIM_400000_NS6detail17trampoline_kernelINS0_14default_configENS1_35radix_sort_onesweep_config_selectorIhlEEZZNS1_29radix_sort_onesweep_iterationIS3_Lb0EPhS7_N6thrust23THRUST_200600_302600_NS10device_ptrIlEESB_jNS0_19identity_decomposerENS1_16block_id_wrapperIjLb1EEEEE10hipError_tT1_PNSt15iterator_traitsISG_E10value_typeET2_T3_PNSH_ISM_E10value_typeET4_T5_PSR_SS_PNS1_23onesweep_lookback_stateEbbT6_jjT7_P12ihipStream_tbENKUlT_T0_SG_SL_E_clIS7_S7_SB_SB_EEDaSZ_S10_SG_SL_EUlSZ_E_NS1_11comp_targetILNS1_3genE8ELNS1_11target_archE1030ELNS1_3gpuE2ELNS1_3repE0EEENS1_47radix_sort_onesweep_sort_config_static_selectorELNS0_4arch9wavefront6targetE1EEEvSG_.has_recursion, 0
	.set _ZN7rocprim17ROCPRIM_400000_NS6detail17trampoline_kernelINS0_14default_configENS1_35radix_sort_onesweep_config_selectorIhlEEZZNS1_29radix_sort_onesweep_iterationIS3_Lb0EPhS7_N6thrust23THRUST_200600_302600_NS10device_ptrIlEESB_jNS0_19identity_decomposerENS1_16block_id_wrapperIjLb1EEEEE10hipError_tT1_PNSt15iterator_traitsISG_E10value_typeET2_T3_PNSH_ISM_E10value_typeET4_T5_PSR_SS_PNS1_23onesweep_lookback_stateEbbT6_jjT7_P12ihipStream_tbENKUlT_T0_SG_SL_E_clIS7_S7_SB_SB_EEDaSZ_S10_SG_SL_EUlSZ_E_NS1_11comp_targetILNS1_3genE8ELNS1_11target_archE1030ELNS1_3gpuE2ELNS1_3repE0EEENS1_47radix_sort_onesweep_sort_config_static_selectorELNS0_4arch9wavefront6targetE1EEEvSG_.has_indirect_call, 0
	.section	.AMDGPU.csdata,"",@progbits
; Kernel info:
; codeLenInByte = 0
; TotalNumSgprs: 4
; NumVgprs: 0
; ScratchSize: 0
; MemoryBound: 0
; FloatMode: 240
; IeeeMode: 1
; LDSByteSize: 0 bytes/workgroup (compile time only)
; SGPRBlocks: 0
; VGPRBlocks: 0
; NumSGPRsForWavesPerEU: 4
; NumVGPRsForWavesPerEU: 1
; Occupancy: 10
; WaveLimiterHint : 0
; COMPUTE_PGM_RSRC2:SCRATCH_EN: 0
; COMPUTE_PGM_RSRC2:USER_SGPR: 6
; COMPUTE_PGM_RSRC2:TRAP_HANDLER: 0
; COMPUTE_PGM_RSRC2:TGID_X_EN: 1
; COMPUTE_PGM_RSRC2:TGID_Y_EN: 0
; COMPUTE_PGM_RSRC2:TGID_Z_EN: 0
; COMPUTE_PGM_RSRC2:TIDIG_COMP_CNT: 0
	.section	.text._ZN7rocprim17ROCPRIM_400000_NS6detail17trampoline_kernelINS0_14default_configENS1_35radix_sort_onesweep_config_selectorIhlEEZZNS1_29radix_sort_onesweep_iterationIS3_Lb0EPhS7_N6thrust23THRUST_200600_302600_NS10device_ptrIlEESB_jNS0_19identity_decomposerENS1_16block_id_wrapperIjLb1EEEEE10hipError_tT1_PNSt15iterator_traitsISG_E10value_typeET2_T3_PNSH_ISM_E10value_typeET4_T5_PSR_SS_PNS1_23onesweep_lookback_stateEbbT6_jjT7_P12ihipStream_tbENKUlT_T0_SG_SL_E_clIS7_S7_SB_PlEEDaSZ_S10_SG_SL_EUlSZ_E_NS1_11comp_targetILNS1_3genE0ELNS1_11target_archE4294967295ELNS1_3gpuE0ELNS1_3repE0EEENS1_47radix_sort_onesweep_sort_config_static_selectorELNS0_4arch9wavefront6targetE1EEEvSG_,"axG",@progbits,_ZN7rocprim17ROCPRIM_400000_NS6detail17trampoline_kernelINS0_14default_configENS1_35radix_sort_onesweep_config_selectorIhlEEZZNS1_29radix_sort_onesweep_iterationIS3_Lb0EPhS7_N6thrust23THRUST_200600_302600_NS10device_ptrIlEESB_jNS0_19identity_decomposerENS1_16block_id_wrapperIjLb1EEEEE10hipError_tT1_PNSt15iterator_traitsISG_E10value_typeET2_T3_PNSH_ISM_E10value_typeET4_T5_PSR_SS_PNS1_23onesweep_lookback_stateEbbT6_jjT7_P12ihipStream_tbENKUlT_T0_SG_SL_E_clIS7_S7_SB_PlEEDaSZ_S10_SG_SL_EUlSZ_E_NS1_11comp_targetILNS1_3genE0ELNS1_11target_archE4294967295ELNS1_3gpuE0ELNS1_3repE0EEENS1_47radix_sort_onesweep_sort_config_static_selectorELNS0_4arch9wavefront6targetE1EEEvSG_,comdat
	.protected	_ZN7rocprim17ROCPRIM_400000_NS6detail17trampoline_kernelINS0_14default_configENS1_35radix_sort_onesweep_config_selectorIhlEEZZNS1_29radix_sort_onesweep_iterationIS3_Lb0EPhS7_N6thrust23THRUST_200600_302600_NS10device_ptrIlEESB_jNS0_19identity_decomposerENS1_16block_id_wrapperIjLb1EEEEE10hipError_tT1_PNSt15iterator_traitsISG_E10value_typeET2_T3_PNSH_ISM_E10value_typeET4_T5_PSR_SS_PNS1_23onesweep_lookback_stateEbbT6_jjT7_P12ihipStream_tbENKUlT_T0_SG_SL_E_clIS7_S7_SB_PlEEDaSZ_S10_SG_SL_EUlSZ_E_NS1_11comp_targetILNS1_3genE0ELNS1_11target_archE4294967295ELNS1_3gpuE0ELNS1_3repE0EEENS1_47radix_sort_onesweep_sort_config_static_selectorELNS0_4arch9wavefront6targetE1EEEvSG_ ; -- Begin function _ZN7rocprim17ROCPRIM_400000_NS6detail17trampoline_kernelINS0_14default_configENS1_35radix_sort_onesweep_config_selectorIhlEEZZNS1_29radix_sort_onesweep_iterationIS3_Lb0EPhS7_N6thrust23THRUST_200600_302600_NS10device_ptrIlEESB_jNS0_19identity_decomposerENS1_16block_id_wrapperIjLb1EEEEE10hipError_tT1_PNSt15iterator_traitsISG_E10value_typeET2_T3_PNSH_ISM_E10value_typeET4_T5_PSR_SS_PNS1_23onesweep_lookback_stateEbbT6_jjT7_P12ihipStream_tbENKUlT_T0_SG_SL_E_clIS7_S7_SB_PlEEDaSZ_S10_SG_SL_EUlSZ_E_NS1_11comp_targetILNS1_3genE0ELNS1_11target_archE4294967295ELNS1_3gpuE0ELNS1_3repE0EEENS1_47radix_sort_onesweep_sort_config_static_selectorELNS0_4arch9wavefront6targetE1EEEvSG_
	.globl	_ZN7rocprim17ROCPRIM_400000_NS6detail17trampoline_kernelINS0_14default_configENS1_35radix_sort_onesweep_config_selectorIhlEEZZNS1_29radix_sort_onesweep_iterationIS3_Lb0EPhS7_N6thrust23THRUST_200600_302600_NS10device_ptrIlEESB_jNS0_19identity_decomposerENS1_16block_id_wrapperIjLb1EEEEE10hipError_tT1_PNSt15iterator_traitsISG_E10value_typeET2_T3_PNSH_ISM_E10value_typeET4_T5_PSR_SS_PNS1_23onesweep_lookback_stateEbbT6_jjT7_P12ihipStream_tbENKUlT_T0_SG_SL_E_clIS7_S7_SB_PlEEDaSZ_S10_SG_SL_EUlSZ_E_NS1_11comp_targetILNS1_3genE0ELNS1_11target_archE4294967295ELNS1_3gpuE0ELNS1_3repE0EEENS1_47radix_sort_onesweep_sort_config_static_selectorELNS0_4arch9wavefront6targetE1EEEvSG_
	.p2align	8
	.type	_ZN7rocprim17ROCPRIM_400000_NS6detail17trampoline_kernelINS0_14default_configENS1_35radix_sort_onesweep_config_selectorIhlEEZZNS1_29radix_sort_onesweep_iterationIS3_Lb0EPhS7_N6thrust23THRUST_200600_302600_NS10device_ptrIlEESB_jNS0_19identity_decomposerENS1_16block_id_wrapperIjLb1EEEEE10hipError_tT1_PNSt15iterator_traitsISG_E10value_typeET2_T3_PNSH_ISM_E10value_typeET4_T5_PSR_SS_PNS1_23onesweep_lookback_stateEbbT6_jjT7_P12ihipStream_tbENKUlT_T0_SG_SL_E_clIS7_S7_SB_PlEEDaSZ_S10_SG_SL_EUlSZ_E_NS1_11comp_targetILNS1_3genE0ELNS1_11target_archE4294967295ELNS1_3gpuE0ELNS1_3repE0EEENS1_47radix_sort_onesweep_sort_config_static_selectorELNS0_4arch9wavefront6targetE1EEEvSG_,@function
_ZN7rocprim17ROCPRIM_400000_NS6detail17trampoline_kernelINS0_14default_configENS1_35radix_sort_onesweep_config_selectorIhlEEZZNS1_29radix_sort_onesweep_iterationIS3_Lb0EPhS7_N6thrust23THRUST_200600_302600_NS10device_ptrIlEESB_jNS0_19identity_decomposerENS1_16block_id_wrapperIjLb1EEEEE10hipError_tT1_PNSt15iterator_traitsISG_E10value_typeET2_T3_PNSH_ISM_E10value_typeET4_T5_PSR_SS_PNS1_23onesweep_lookback_stateEbbT6_jjT7_P12ihipStream_tbENKUlT_T0_SG_SL_E_clIS7_S7_SB_PlEEDaSZ_S10_SG_SL_EUlSZ_E_NS1_11comp_targetILNS1_3genE0ELNS1_11target_archE4294967295ELNS1_3gpuE0ELNS1_3repE0EEENS1_47radix_sort_onesweep_sort_config_static_selectorELNS0_4arch9wavefront6targetE1EEEvSG_: ; @_ZN7rocprim17ROCPRIM_400000_NS6detail17trampoline_kernelINS0_14default_configENS1_35radix_sort_onesweep_config_selectorIhlEEZZNS1_29radix_sort_onesweep_iterationIS3_Lb0EPhS7_N6thrust23THRUST_200600_302600_NS10device_ptrIlEESB_jNS0_19identity_decomposerENS1_16block_id_wrapperIjLb1EEEEE10hipError_tT1_PNSt15iterator_traitsISG_E10value_typeET2_T3_PNSH_ISM_E10value_typeET4_T5_PSR_SS_PNS1_23onesweep_lookback_stateEbbT6_jjT7_P12ihipStream_tbENKUlT_T0_SG_SL_E_clIS7_S7_SB_PlEEDaSZ_S10_SG_SL_EUlSZ_E_NS1_11comp_targetILNS1_3genE0ELNS1_11target_archE4294967295ELNS1_3gpuE0ELNS1_3repE0EEENS1_47radix_sort_onesweep_sort_config_static_selectorELNS0_4arch9wavefront6targetE1EEEvSG_
; %bb.0:
	.section	.rodata,"a",@progbits
	.p2align	6, 0x0
	.amdhsa_kernel _ZN7rocprim17ROCPRIM_400000_NS6detail17trampoline_kernelINS0_14default_configENS1_35radix_sort_onesweep_config_selectorIhlEEZZNS1_29radix_sort_onesweep_iterationIS3_Lb0EPhS7_N6thrust23THRUST_200600_302600_NS10device_ptrIlEESB_jNS0_19identity_decomposerENS1_16block_id_wrapperIjLb1EEEEE10hipError_tT1_PNSt15iterator_traitsISG_E10value_typeET2_T3_PNSH_ISM_E10value_typeET4_T5_PSR_SS_PNS1_23onesweep_lookback_stateEbbT6_jjT7_P12ihipStream_tbENKUlT_T0_SG_SL_E_clIS7_S7_SB_PlEEDaSZ_S10_SG_SL_EUlSZ_E_NS1_11comp_targetILNS1_3genE0ELNS1_11target_archE4294967295ELNS1_3gpuE0ELNS1_3repE0EEENS1_47radix_sort_onesweep_sort_config_static_selectorELNS0_4arch9wavefront6targetE1EEEvSG_
		.amdhsa_group_segment_fixed_size 0
		.amdhsa_private_segment_fixed_size 0
		.amdhsa_kernarg_size 88
		.amdhsa_user_sgpr_count 6
		.amdhsa_user_sgpr_private_segment_buffer 1
		.amdhsa_user_sgpr_dispatch_ptr 0
		.amdhsa_user_sgpr_queue_ptr 0
		.amdhsa_user_sgpr_kernarg_segment_ptr 1
		.amdhsa_user_sgpr_dispatch_id 0
		.amdhsa_user_sgpr_flat_scratch_init 0
		.amdhsa_user_sgpr_private_segment_size 0
		.amdhsa_uses_dynamic_stack 0
		.amdhsa_system_sgpr_private_segment_wavefront_offset 0
		.amdhsa_system_sgpr_workgroup_id_x 1
		.amdhsa_system_sgpr_workgroup_id_y 0
		.amdhsa_system_sgpr_workgroup_id_z 0
		.amdhsa_system_sgpr_workgroup_info 0
		.amdhsa_system_vgpr_workitem_id 0
		.amdhsa_next_free_vgpr 1
		.amdhsa_next_free_sgpr 0
		.amdhsa_reserve_vcc 0
		.amdhsa_reserve_flat_scratch 0
		.amdhsa_float_round_mode_32 0
		.amdhsa_float_round_mode_16_64 0
		.amdhsa_float_denorm_mode_32 3
		.amdhsa_float_denorm_mode_16_64 3
		.amdhsa_dx10_clamp 1
		.amdhsa_ieee_mode 1
		.amdhsa_fp16_overflow 0
		.amdhsa_exception_fp_ieee_invalid_op 0
		.amdhsa_exception_fp_denorm_src 0
		.amdhsa_exception_fp_ieee_div_zero 0
		.amdhsa_exception_fp_ieee_overflow 0
		.amdhsa_exception_fp_ieee_underflow 0
		.amdhsa_exception_fp_ieee_inexact 0
		.amdhsa_exception_int_div_zero 0
	.end_amdhsa_kernel
	.section	.text._ZN7rocprim17ROCPRIM_400000_NS6detail17trampoline_kernelINS0_14default_configENS1_35radix_sort_onesweep_config_selectorIhlEEZZNS1_29radix_sort_onesweep_iterationIS3_Lb0EPhS7_N6thrust23THRUST_200600_302600_NS10device_ptrIlEESB_jNS0_19identity_decomposerENS1_16block_id_wrapperIjLb1EEEEE10hipError_tT1_PNSt15iterator_traitsISG_E10value_typeET2_T3_PNSH_ISM_E10value_typeET4_T5_PSR_SS_PNS1_23onesweep_lookback_stateEbbT6_jjT7_P12ihipStream_tbENKUlT_T0_SG_SL_E_clIS7_S7_SB_PlEEDaSZ_S10_SG_SL_EUlSZ_E_NS1_11comp_targetILNS1_3genE0ELNS1_11target_archE4294967295ELNS1_3gpuE0ELNS1_3repE0EEENS1_47radix_sort_onesweep_sort_config_static_selectorELNS0_4arch9wavefront6targetE1EEEvSG_,"axG",@progbits,_ZN7rocprim17ROCPRIM_400000_NS6detail17trampoline_kernelINS0_14default_configENS1_35radix_sort_onesweep_config_selectorIhlEEZZNS1_29radix_sort_onesweep_iterationIS3_Lb0EPhS7_N6thrust23THRUST_200600_302600_NS10device_ptrIlEESB_jNS0_19identity_decomposerENS1_16block_id_wrapperIjLb1EEEEE10hipError_tT1_PNSt15iterator_traitsISG_E10value_typeET2_T3_PNSH_ISM_E10value_typeET4_T5_PSR_SS_PNS1_23onesweep_lookback_stateEbbT6_jjT7_P12ihipStream_tbENKUlT_T0_SG_SL_E_clIS7_S7_SB_PlEEDaSZ_S10_SG_SL_EUlSZ_E_NS1_11comp_targetILNS1_3genE0ELNS1_11target_archE4294967295ELNS1_3gpuE0ELNS1_3repE0EEENS1_47radix_sort_onesweep_sort_config_static_selectorELNS0_4arch9wavefront6targetE1EEEvSG_,comdat
.Lfunc_end273:
	.size	_ZN7rocprim17ROCPRIM_400000_NS6detail17trampoline_kernelINS0_14default_configENS1_35radix_sort_onesweep_config_selectorIhlEEZZNS1_29radix_sort_onesweep_iterationIS3_Lb0EPhS7_N6thrust23THRUST_200600_302600_NS10device_ptrIlEESB_jNS0_19identity_decomposerENS1_16block_id_wrapperIjLb1EEEEE10hipError_tT1_PNSt15iterator_traitsISG_E10value_typeET2_T3_PNSH_ISM_E10value_typeET4_T5_PSR_SS_PNS1_23onesweep_lookback_stateEbbT6_jjT7_P12ihipStream_tbENKUlT_T0_SG_SL_E_clIS7_S7_SB_PlEEDaSZ_S10_SG_SL_EUlSZ_E_NS1_11comp_targetILNS1_3genE0ELNS1_11target_archE4294967295ELNS1_3gpuE0ELNS1_3repE0EEENS1_47radix_sort_onesweep_sort_config_static_selectorELNS0_4arch9wavefront6targetE1EEEvSG_, .Lfunc_end273-_ZN7rocprim17ROCPRIM_400000_NS6detail17trampoline_kernelINS0_14default_configENS1_35radix_sort_onesweep_config_selectorIhlEEZZNS1_29radix_sort_onesweep_iterationIS3_Lb0EPhS7_N6thrust23THRUST_200600_302600_NS10device_ptrIlEESB_jNS0_19identity_decomposerENS1_16block_id_wrapperIjLb1EEEEE10hipError_tT1_PNSt15iterator_traitsISG_E10value_typeET2_T3_PNSH_ISM_E10value_typeET4_T5_PSR_SS_PNS1_23onesweep_lookback_stateEbbT6_jjT7_P12ihipStream_tbENKUlT_T0_SG_SL_E_clIS7_S7_SB_PlEEDaSZ_S10_SG_SL_EUlSZ_E_NS1_11comp_targetILNS1_3genE0ELNS1_11target_archE4294967295ELNS1_3gpuE0ELNS1_3repE0EEENS1_47radix_sort_onesweep_sort_config_static_selectorELNS0_4arch9wavefront6targetE1EEEvSG_
                                        ; -- End function
	.set _ZN7rocprim17ROCPRIM_400000_NS6detail17trampoline_kernelINS0_14default_configENS1_35radix_sort_onesweep_config_selectorIhlEEZZNS1_29radix_sort_onesweep_iterationIS3_Lb0EPhS7_N6thrust23THRUST_200600_302600_NS10device_ptrIlEESB_jNS0_19identity_decomposerENS1_16block_id_wrapperIjLb1EEEEE10hipError_tT1_PNSt15iterator_traitsISG_E10value_typeET2_T3_PNSH_ISM_E10value_typeET4_T5_PSR_SS_PNS1_23onesweep_lookback_stateEbbT6_jjT7_P12ihipStream_tbENKUlT_T0_SG_SL_E_clIS7_S7_SB_PlEEDaSZ_S10_SG_SL_EUlSZ_E_NS1_11comp_targetILNS1_3genE0ELNS1_11target_archE4294967295ELNS1_3gpuE0ELNS1_3repE0EEENS1_47radix_sort_onesweep_sort_config_static_selectorELNS0_4arch9wavefront6targetE1EEEvSG_.num_vgpr, 0
	.set _ZN7rocprim17ROCPRIM_400000_NS6detail17trampoline_kernelINS0_14default_configENS1_35radix_sort_onesweep_config_selectorIhlEEZZNS1_29radix_sort_onesweep_iterationIS3_Lb0EPhS7_N6thrust23THRUST_200600_302600_NS10device_ptrIlEESB_jNS0_19identity_decomposerENS1_16block_id_wrapperIjLb1EEEEE10hipError_tT1_PNSt15iterator_traitsISG_E10value_typeET2_T3_PNSH_ISM_E10value_typeET4_T5_PSR_SS_PNS1_23onesweep_lookback_stateEbbT6_jjT7_P12ihipStream_tbENKUlT_T0_SG_SL_E_clIS7_S7_SB_PlEEDaSZ_S10_SG_SL_EUlSZ_E_NS1_11comp_targetILNS1_3genE0ELNS1_11target_archE4294967295ELNS1_3gpuE0ELNS1_3repE0EEENS1_47radix_sort_onesweep_sort_config_static_selectorELNS0_4arch9wavefront6targetE1EEEvSG_.num_agpr, 0
	.set _ZN7rocprim17ROCPRIM_400000_NS6detail17trampoline_kernelINS0_14default_configENS1_35radix_sort_onesweep_config_selectorIhlEEZZNS1_29radix_sort_onesweep_iterationIS3_Lb0EPhS7_N6thrust23THRUST_200600_302600_NS10device_ptrIlEESB_jNS0_19identity_decomposerENS1_16block_id_wrapperIjLb1EEEEE10hipError_tT1_PNSt15iterator_traitsISG_E10value_typeET2_T3_PNSH_ISM_E10value_typeET4_T5_PSR_SS_PNS1_23onesweep_lookback_stateEbbT6_jjT7_P12ihipStream_tbENKUlT_T0_SG_SL_E_clIS7_S7_SB_PlEEDaSZ_S10_SG_SL_EUlSZ_E_NS1_11comp_targetILNS1_3genE0ELNS1_11target_archE4294967295ELNS1_3gpuE0ELNS1_3repE0EEENS1_47radix_sort_onesweep_sort_config_static_selectorELNS0_4arch9wavefront6targetE1EEEvSG_.numbered_sgpr, 0
	.set _ZN7rocprim17ROCPRIM_400000_NS6detail17trampoline_kernelINS0_14default_configENS1_35radix_sort_onesweep_config_selectorIhlEEZZNS1_29radix_sort_onesweep_iterationIS3_Lb0EPhS7_N6thrust23THRUST_200600_302600_NS10device_ptrIlEESB_jNS0_19identity_decomposerENS1_16block_id_wrapperIjLb1EEEEE10hipError_tT1_PNSt15iterator_traitsISG_E10value_typeET2_T3_PNSH_ISM_E10value_typeET4_T5_PSR_SS_PNS1_23onesweep_lookback_stateEbbT6_jjT7_P12ihipStream_tbENKUlT_T0_SG_SL_E_clIS7_S7_SB_PlEEDaSZ_S10_SG_SL_EUlSZ_E_NS1_11comp_targetILNS1_3genE0ELNS1_11target_archE4294967295ELNS1_3gpuE0ELNS1_3repE0EEENS1_47radix_sort_onesweep_sort_config_static_selectorELNS0_4arch9wavefront6targetE1EEEvSG_.num_named_barrier, 0
	.set _ZN7rocprim17ROCPRIM_400000_NS6detail17trampoline_kernelINS0_14default_configENS1_35radix_sort_onesweep_config_selectorIhlEEZZNS1_29radix_sort_onesweep_iterationIS3_Lb0EPhS7_N6thrust23THRUST_200600_302600_NS10device_ptrIlEESB_jNS0_19identity_decomposerENS1_16block_id_wrapperIjLb1EEEEE10hipError_tT1_PNSt15iterator_traitsISG_E10value_typeET2_T3_PNSH_ISM_E10value_typeET4_T5_PSR_SS_PNS1_23onesweep_lookback_stateEbbT6_jjT7_P12ihipStream_tbENKUlT_T0_SG_SL_E_clIS7_S7_SB_PlEEDaSZ_S10_SG_SL_EUlSZ_E_NS1_11comp_targetILNS1_3genE0ELNS1_11target_archE4294967295ELNS1_3gpuE0ELNS1_3repE0EEENS1_47radix_sort_onesweep_sort_config_static_selectorELNS0_4arch9wavefront6targetE1EEEvSG_.private_seg_size, 0
	.set _ZN7rocprim17ROCPRIM_400000_NS6detail17trampoline_kernelINS0_14default_configENS1_35radix_sort_onesweep_config_selectorIhlEEZZNS1_29radix_sort_onesweep_iterationIS3_Lb0EPhS7_N6thrust23THRUST_200600_302600_NS10device_ptrIlEESB_jNS0_19identity_decomposerENS1_16block_id_wrapperIjLb1EEEEE10hipError_tT1_PNSt15iterator_traitsISG_E10value_typeET2_T3_PNSH_ISM_E10value_typeET4_T5_PSR_SS_PNS1_23onesweep_lookback_stateEbbT6_jjT7_P12ihipStream_tbENKUlT_T0_SG_SL_E_clIS7_S7_SB_PlEEDaSZ_S10_SG_SL_EUlSZ_E_NS1_11comp_targetILNS1_3genE0ELNS1_11target_archE4294967295ELNS1_3gpuE0ELNS1_3repE0EEENS1_47radix_sort_onesweep_sort_config_static_selectorELNS0_4arch9wavefront6targetE1EEEvSG_.uses_vcc, 0
	.set _ZN7rocprim17ROCPRIM_400000_NS6detail17trampoline_kernelINS0_14default_configENS1_35radix_sort_onesweep_config_selectorIhlEEZZNS1_29radix_sort_onesweep_iterationIS3_Lb0EPhS7_N6thrust23THRUST_200600_302600_NS10device_ptrIlEESB_jNS0_19identity_decomposerENS1_16block_id_wrapperIjLb1EEEEE10hipError_tT1_PNSt15iterator_traitsISG_E10value_typeET2_T3_PNSH_ISM_E10value_typeET4_T5_PSR_SS_PNS1_23onesweep_lookback_stateEbbT6_jjT7_P12ihipStream_tbENKUlT_T0_SG_SL_E_clIS7_S7_SB_PlEEDaSZ_S10_SG_SL_EUlSZ_E_NS1_11comp_targetILNS1_3genE0ELNS1_11target_archE4294967295ELNS1_3gpuE0ELNS1_3repE0EEENS1_47radix_sort_onesweep_sort_config_static_selectorELNS0_4arch9wavefront6targetE1EEEvSG_.uses_flat_scratch, 0
	.set _ZN7rocprim17ROCPRIM_400000_NS6detail17trampoline_kernelINS0_14default_configENS1_35radix_sort_onesweep_config_selectorIhlEEZZNS1_29radix_sort_onesweep_iterationIS3_Lb0EPhS7_N6thrust23THRUST_200600_302600_NS10device_ptrIlEESB_jNS0_19identity_decomposerENS1_16block_id_wrapperIjLb1EEEEE10hipError_tT1_PNSt15iterator_traitsISG_E10value_typeET2_T3_PNSH_ISM_E10value_typeET4_T5_PSR_SS_PNS1_23onesweep_lookback_stateEbbT6_jjT7_P12ihipStream_tbENKUlT_T0_SG_SL_E_clIS7_S7_SB_PlEEDaSZ_S10_SG_SL_EUlSZ_E_NS1_11comp_targetILNS1_3genE0ELNS1_11target_archE4294967295ELNS1_3gpuE0ELNS1_3repE0EEENS1_47radix_sort_onesweep_sort_config_static_selectorELNS0_4arch9wavefront6targetE1EEEvSG_.has_dyn_sized_stack, 0
	.set _ZN7rocprim17ROCPRIM_400000_NS6detail17trampoline_kernelINS0_14default_configENS1_35radix_sort_onesweep_config_selectorIhlEEZZNS1_29radix_sort_onesweep_iterationIS3_Lb0EPhS7_N6thrust23THRUST_200600_302600_NS10device_ptrIlEESB_jNS0_19identity_decomposerENS1_16block_id_wrapperIjLb1EEEEE10hipError_tT1_PNSt15iterator_traitsISG_E10value_typeET2_T3_PNSH_ISM_E10value_typeET4_T5_PSR_SS_PNS1_23onesweep_lookback_stateEbbT6_jjT7_P12ihipStream_tbENKUlT_T0_SG_SL_E_clIS7_S7_SB_PlEEDaSZ_S10_SG_SL_EUlSZ_E_NS1_11comp_targetILNS1_3genE0ELNS1_11target_archE4294967295ELNS1_3gpuE0ELNS1_3repE0EEENS1_47radix_sort_onesweep_sort_config_static_selectorELNS0_4arch9wavefront6targetE1EEEvSG_.has_recursion, 0
	.set _ZN7rocprim17ROCPRIM_400000_NS6detail17trampoline_kernelINS0_14default_configENS1_35radix_sort_onesweep_config_selectorIhlEEZZNS1_29radix_sort_onesweep_iterationIS3_Lb0EPhS7_N6thrust23THRUST_200600_302600_NS10device_ptrIlEESB_jNS0_19identity_decomposerENS1_16block_id_wrapperIjLb1EEEEE10hipError_tT1_PNSt15iterator_traitsISG_E10value_typeET2_T3_PNSH_ISM_E10value_typeET4_T5_PSR_SS_PNS1_23onesweep_lookback_stateEbbT6_jjT7_P12ihipStream_tbENKUlT_T0_SG_SL_E_clIS7_S7_SB_PlEEDaSZ_S10_SG_SL_EUlSZ_E_NS1_11comp_targetILNS1_3genE0ELNS1_11target_archE4294967295ELNS1_3gpuE0ELNS1_3repE0EEENS1_47radix_sort_onesweep_sort_config_static_selectorELNS0_4arch9wavefront6targetE1EEEvSG_.has_indirect_call, 0
	.section	.AMDGPU.csdata,"",@progbits
; Kernel info:
; codeLenInByte = 0
; TotalNumSgprs: 4
; NumVgprs: 0
; ScratchSize: 0
; MemoryBound: 0
; FloatMode: 240
; IeeeMode: 1
; LDSByteSize: 0 bytes/workgroup (compile time only)
; SGPRBlocks: 0
; VGPRBlocks: 0
; NumSGPRsForWavesPerEU: 4
; NumVGPRsForWavesPerEU: 1
; Occupancy: 10
; WaveLimiterHint : 0
; COMPUTE_PGM_RSRC2:SCRATCH_EN: 0
; COMPUTE_PGM_RSRC2:USER_SGPR: 6
; COMPUTE_PGM_RSRC2:TRAP_HANDLER: 0
; COMPUTE_PGM_RSRC2:TGID_X_EN: 1
; COMPUTE_PGM_RSRC2:TGID_Y_EN: 0
; COMPUTE_PGM_RSRC2:TGID_Z_EN: 0
; COMPUTE_PGM_RSRC2:TIDIG_COMP_CNT: 0
	.section	.text._ZN7rocprim17ROCPRIM_400000_NS6detail17trampoline_kernelINS0_14default_configENS1_35radix_sort_onesweep_config_selectorIhlEEZZNS1_29radix_sort_onesweep_iterationIS3_Lb0EPhS7_N6thrust23THRUST_200600_302600_NS10device_ptrIlEESB_jNS0_19identity_decomposerENS1_16block_id_wrapperIjLb1EEEEE10hipError_tT1_PNSt15iterator_traitsISG_E10value_typeET2_T3_PNSH_ISM_E10value_typeET4_T5_PSR_SS_PNS1_23onesweep_lookback_stateEbbT6_jjT7_P12ihipStream_tbENKUlT_T0_SG_SL_E_clIS7_S7_SB_PlEEDaSZ_S10_SG_SL_EUlSZ_E_NS1_11comp_targetILNS1_3genE6ELNS1_11target_archE950ELNS1_3gpuE13ELNS1_3repE0EEENS1_47radix_sort_onesweep_sort_config_static_selectorELNS0_4arch9wavefront6targetE1EEEvSG_,"axG",@progbits,_ZN7rocprim17ROCPRIM_400000_NS6detail17trampoline_kernelINS0_14default_configENS1_35radix_sort_onesweep_config_selectorIhlEEZZNS1_29radix_sort_onesweep_iterationIS3_Lb0EPhS7_N6thrust23THRUST_200600_302600_NS10device_ptrIlEESB_jNS0_19identity_decomposerENS1_16block_id_wrapperIjLb1EEEEE10hipError_tT1_PNSt15iterator_traitsISG_E10value_typeET2_T3_PNSH_ISM_E10value_typeET4_T5_PSR_SS_PNS1_23onesweep_lookback_stateEbbT6_jjT7_P12ihipStream_tbENKUlT_T0_SG_SL_E_clIS7_S7_SB_PlEEDaSZ_S10_SG_SL_EUlSZ_E_NS1_11comp_targetILNS1_3genE6ELNS1_11target_archE950ELNS1_3gpuE13ELNS1_3repE0EEENS1_47radix_sort_onesweep_sort_config_static_selectorELNS0_4arch9wavefront6targetE1EEEvSG_,comdat
	.protected	_ZN7rocprim17ROCPRIM_400000_NS6detail17trampoline_kernelINS0_14default_configENS1_35radix_sort_onesweep_config_selectorIhlEEZZNS1_29radix_sort_onesweep_iterationIS3_Lb0EPhS7_N6thrust23THRUST_200600_302600_NS10device_ptrIlEESB_jNS0_19identity_decomposerENS1_16block_id_wrapperIjLb1EEEEE10hipError_tT1_PNSt15iterator_traitsISG_E10value_typeET2_T3_PNSH_ISM_E10value_typeET4_T5_PSR_SS_PNS1_23onesweep_lookback_stateEbbT6_jjT7_P12ihipStream_tbENKUlT_T0_SG_SL_E_clIS7_S7_SB_PlEEDaSZ_S10_SG_SL_EUlSZ_E_NS1_11comp_targetILNS1_3genE6ELNS1_11target_archE950ELNS1_3gpuE13ELNS1_3repE0EEENS1_47radix_sort_onesweep_sort_config_static_selectorELNS0_4arch9wavefront6targetE1EEEvSG_ ; -- Begin function _ZN7rocprim17ROCPRIM_400000_NS6detail17trampoline_kernelINS0_14default_configENS1_35radix_sort_onesweep_config_selectorIhlEEZZNS1_29radix_sort_onesweep_iterationIS3_Lb0EPhS7_N6thrust23THRUST_200600_302600_NS10device_ptrIlEESB_jNS0_19identity_decomposerENS1_16block_id_wrapperIjLb1EEEEE10hipError_tT1_PNSt15iterator_traitsISG_E10value_typeET2_T3_PNSH_ISM_E10value_typeET4_T5_PSR_SS_PNS1_23onesweep_lookback_stateEbbT6_jjT7_P12ihipStream_tbENKUlT_T0_SG_SL_E_clIS7_S7_SB_PlEEDaSZ_S10_SG_SL_EUlSZ_E_NS1_11comp_targetILNS1_3genE6ELNS1_11target_archE950ELNS1_3gpuE13ELNS1_3repE0EEENS1_47radix_sort_onesweep_sort_config_static_selectorELNS0_4arch9wavefront6targetE1EEEvSG_
	.globl	_ZN7rocprim17ROCPRIM_400000_NS6detail17trampoline_kernelINS0_14default_configENS1_35radix_sort_onesweep_config_selectorIhlEEZZNS1_29radix_sort_onesweep_iterationIS3_Lb0EPhS7_N6thrust23THRUST_200600_302600_NS10device_ptrIlEESB_jNS0_19identity_decomposerENS1_16block_id_wrapperIjLb1EEEEE10hipError_tT1_PNSt15iterator_traitsISG_E10value_typeET2_T3_PNSH_ISM_E10value_typeET4_T5_PSR_SS_PNS1_23onesweep_lookback_stateEbbT6_jjT7_P12ihipStream_tbENKUlT_T0_SG_SL_E_clIS7_S7_SB_PlEEDaSZ_S10_SG_SL_EUlSZ_E_NS1_11comp_targetILNS1_3genE6ELNS1_11target_archE950ELNS1_3gpuE13ELNS1_3repE0EEENS1_47radix_sort_onesweep_sort_config_static_selectorELNS0_4arch9wavefront6targetE1EEEvSG_
	.p2align	8
	.type	_ZN7rocprim17ROCPRIM_400000_NS6detail17trampoline_kernelINS0_14default_configENS1_35radix_sort_onesweep_config_selectorIhlEEZZNS1_29radix_sort_onesweep_iterationIS3_Lb0EPhS7_N6thrust23THRUST_200600_302600_NS10device_ptrIlEESB_jNS0_19identity_decomposerENS1_16block_id_wrapperIjLb1EEEEE10hipError_tT1_PNSt15iterator_traitsISG_E10value_typeET2_T3_PNSH_ISM_E10value_typeET4_T5_PSR_SS_PNS1_23onesweep_lookback_stateEbbT6_jjT7_P12ihipStream_tbENKUlT_T0_SG_SL_E_clIS7_S7_SB_PlEEDaSZ_S10_SG_SL_EUlSZ_E_NS1_11comp_targetILNS1_3genE6ELNS1_11target_archE950ELNS1_3gpuE13ELNS1_3repE0EEENS1_47radix_sort_onesweep_sort_config_static_selectorELNS0_4arch9wavefront6targetE1EEEvSG_,@function
_ZN7rocprim17ROCPRIM_400000_NS6detail17trampoline_kernelINS0_14default_configENS1_35radix_sort_onesweep_config_selectorIhlEEZZNS1_29radix_sort_onesweep_iterationIS3_Lb0EPhS7_N6thrust23THRUST_200600_302600_NS10device_ptrIlEESB_jNS0_19identity_decomposerENS1_16block_id_wrapperIjLb1EEEEE10hipError_tT1_PNSt15iterator_traitsISG_E10value_typeET2_T3_PNSH_ISM_E10value_typeET4_T5_PSR_SS_PNS1_23onesweep_lookback_stateEbbT6_jjT7_P12ihipStream_tbENKUlT_T0_SG_SL_E_clIS7_S7_SB_PlEEDaSZ_S10_SG_SL_EUlSZ_E_NS1_11comp_targetILNS1_3genE6ELNS1_11target_archE950ELNS1_3gpuE13ELNS1_3repE0EEENS1_47radix_sort_onesweep_sort_config_static_selectorELNS0_4arch9wavefront6targetE1EEEvSG_: ; @_ZN7rocprim17ROCPRIM_400000_NS6detail17trampoline_kernelINS0_14default_configENS1_35radix_sort_onesweep_config_selectorIhlEEZZNS1_29radix_sort_onesweep_iterationIS3_Lb0EPhS7_N6thrust23THRUST_200600_302600_NS10device_ptrIlEESB_jNS0_19identity_decomposerENS1_16block_id_wrapperIjLb1EEEEE10hipError_tT1_PNSt15iterator_traitsISG_E10value_typeET2_T3_PNSH_ISM_E10value_typeET4_T5_PSR_SS_PNS1_23onesweep_lookback_stateEbbT6_jjT7_P12ihipStream_tbENKUlT_T0_SG_SL_E_clIS7_S7_SB_PlEEDaSZ_S10_SG_SL_EUlSZ_E_NS1_11comp_targetILNS1_3genE6ELNS1_11target_archE950ELNS1_3gpuE13ELNS1_3repE0EEENS1_47radix_sort_onesweep_sort_config_static_selectorELNS0_4arch9wavefront6targetE1EEEvSG_
; %bb.0:
	.section	.rodata,"a",@progbits
	.p2align	6, 0x0
	.amdhsa_kernel _ZN7rocprim17ROCPRIM_400000_NS6detail17trampoline_kernelINS0_14default_configENS1_35radix_sort_onesweep_config_selectorIhlEEZZNS1_29radix_sort_onesweep_iterationIS3_Lb0EPhS7_N6thrust23THRUST_200600_302600_NS10device_ptrIlEESB_jNS0_19identity_decomposerENS1_16block_id_wrapperIjLb1EEEEE10hipError_tT1_PNSt15iterator_traitsISG_E10value_typeET2_T3_PNSH_ISM_E10value_typeET4_T5_PSR_SS_PNS1_23onesweep_lookback_stateEbbT6_jjT7_P12ihipStream_tbENKUlT_T0_SG_SL_E_clIS7_S7_SB_PlEEDaSZ_S10_SG_SL_EUlSZ_E_NS1_11comp_targetILNS1_3genE6ELNS1_11target_archE950ELNS1_3gpuE13ELNS1_3repE0EEENS1_47radix_sort_onesweep_sort_config_static_selectorELNS0_4arch9wavefront6targetE1EEEvSG_
		.amdhsa_group_segment_fixed_size 0
		.amdhsa_private_segment_fixed_size 0
		.amdhsa_kernarg_size 88
		.amdhsa_user_sgpr_count 6
		.amdhsa_user_sgpr_private_segment_buffer 1
		.amdhsa_user_sgpr_dispatch_ptr 0
		.amdhsa_user_sgpr_queue_ptr 0
		.amdhsa_user_sgpr_kernarg_segment_ptr 1
		.amdhsa_user_sgpr_dispatch_id 0
		.amdhsa_user_sgpr_flat_scratch_init 0
		.amdhsa_user_sgpr_private_segment_size 0
		.amdhsa_uses_dynamic_stack 0
		.amdhsa_system_sgpr_private_segment_wavefront_offset 0
		.amdhsa_system_sgpr_workgroup_id_x 1
		.amdhsa_system_sgpr_workgroup_id_y 0
		.amdhsa_system_sgpr_workgroup_id_z 0
		.amdhsa_system_sgpr_workgroup_info 0
		.amdhsa_system_vgpr_workitem_id 0
		.amdhsa_next_free_vgpr 1
		.amdhsa_next_free_sgpr 0
		.amdhsa_reserve_vcc 0
		.amdhsa_reserve_flat_scratch 0
		.amdhsa_float_round_mode_32 0
		.amdhsa_float_round_mode_16_64 0
		.amdhsa_float_denorm_mode_32 3
		.amdhsa_float_denorm_mode_16_64 3
		.amdhsa_dx10_clamp 1
		.amdhsa_ieee_mode 1
		.amdhsa_fp16_overflow 0
		.amdhsa_exception_fp_ieee_invalid_op 0
		.amdhsa_exception_fp_denorm_src 0
		.amdhsa_exception_fp_ieee_div_zero 0
		.amdhsa_exception_fp_ieee_overflow 0
		.amdhsa_exception_fp_ieee_underflow 0
		.amdhsa_exception_fp_ieee_inexact 0
		.amdhsa_exception_int_div_zero 0
	.end_amdhsa_kernel
	.section	.text._ZN7rocprim17ROCPRIM_400000_NS6detail17trampoline_kernelINS0_14default_configENS1_35radix_sort_onesweep_config_selectorIhlEEZZNS1_29radix_sort_onesweep_iterationIS3_Lb0EPhS7_N6thrust23THRUST_200600_302600_NS10device_ptrIlEESB_jNS0_19identity_decomposerENS1_16block_id_wrapperIjLb1EEEEE10hipError_tT1_PNSt15iterator_traitsISG_E10value_typeET2_T3_PNSH_ISM_E10value_typeET4_T5_PSR_SS_PNS1_23onesweep_lookback_stateEbbT6_jjT7_P12ihipStream_tbENKUlT_T0_SG_SL_E_clIS7_S7_SB_PlEEDaSZ_S10_SG_SL_EUlSZ_E_NS1_11comp_targetILNS1_3genE6ELNS1_11target_archE950ELNS1_3gpuE13ELNS1_3repE0EEENS1_47radix_sort_onesweep_sort_config_static_selectorELNS0_4arch9wavefront6targetE1EEEvSG_,"axG",@progbits,_ZN7rocprim17ROCPRIM_400000_NS6detail17trampoline_kernelINS0_14default_configENS1_35radix_sort_onesweep_config_selectorIhlEEZZNS1_29radix_sort_onesweep_iterationIS3_Lb0EPhS7_N6thrust23THRUST_200600_302600_NS10device_ptrIlEESB_jNS0_19identity_decomposerENS1_16block_id_wrapperIjLb1EEEEE10hipError_tT1_PNSt15iterator_traitsISG_E10value_typeET2_T3_PNSH_ISM_E10value_typeET4_T5_PSR_SS_PNS1_23onesweep_lookback_stateEbbT6_jjT7_P12ihipStream_tbENKUlT_T0_SG_SL_E_clIS7_S7_SB_PlEEDaSZ_S10_SG_SL_EUlSZ_E_NS1_11comp_targetILNS1_3genE6ELNS1_11target_archE950ELNS1_3gpuE13ELNS1_3repE0EEENS1_47radix_sort_onesweep_sort_config_static_selectorELNS0_4arch9wavefront6targetE1EEEvSG_,comdat
.Lfunc_end274:
	.size	_ZN7rocprim17ROCPRIM_400000_NS6detail17trampoline_kernelINS0_14default_configENS1_35radix_sort_onesweep_config_selectorIhlEEZZNS1_29radix_sort_onesweep_iterationIS3_Lb0EPhS7_N6thrust23THRUST_200600_302600_NS10device_ptrIlEESB_jNS0_19identity_decomposerENS1_16block_id_wrapperIjLb1EEEEE10hipError_tT1_PNSt15iterator_traitsISG_E10value_typeET2_T3_PNSH_ISM_E10value_typeET4_T5_PSR_SS_PNS1_23onesweep_lookback_stateEbbT6_jjT7_P12ihipStream_tbENKUlT_T0_SG_SL_E_clIS7_S7_SB_PlEEDaSZ_S10_SG_SL_EUlSZ_E_NS1_11comp_targetILNS1_3genE6ELNS1_11target_archE950ELNS1_3gpuE13ELNS1_3repE0EEENS1_47radix_sort_onesweep_sort_config_static_selectorELNS0_4arch9wavefront6targetE1EEEvSG_, .Lfunc_end274-_ZN7rocprim17ROCPRIM_400000_NS6detail17trampoline_kernelINS0_14default_configENS1_35radix_sort_onesweep_config_selectorIhlEEZZNS1_29radix_sort_onesweep_iterationIS3_Lb0EPhS7_N6thrust23THRUST_200600_302600_NS10device_ptrIlEESB_jNS0_19identity_decomposerENS1_16block_id_wrapperIjLb1EEEEE10hipError_tT1_PNSt15iterator_traitsISG_E10value_typeET2_T3_PNSH_ISM_E10value_typeET4_T5_PSR_SS_PNS1_23onesweep_lookback_stateEbbT6_jjT7_P12ihipStream_tbENKUlT_T0_SG_SL_E_clIS7_S7_SB_PlEEDaSZ_S10_SG_SL_EUlSZ_E_NS1_11comp_targetILNS1_3genE6ELNS1_11target_archE950ELNS1_3gpuE13ELNS1_3repE0EEENS1_47radix_sort_onesweep_sort_config_static_selectorELNS0_4arch9wavefront6targetE1EEEvSG_
                                        ; -- End function
	.set _ZN7rocprim17ROCPRIM_400000_NS6detail17trampoline_kernelINS0_14default_configENS1_35radix_sort_onesweep_config_selectorIhlEEZZNS1_29radix_sort_onesweep_iterationIS3_Lb0EPhS7_N6thrust23THRUST_200600_302600_NS10device_ptrIlEESB_jNS0_19identity_decomposerENS1_16block_id_wrapperIjLb1EEEEE10hipError_tT1_PNSt15iterator_traitsISG_E10value_typeET2_T3_PNSH_ISM_E10value_typeET4_T5_PSR_SS_PNS1_23onesweep_lookback_stateEbbT6_jjT7_P12ihipStream_tbENKUlT_T0_SG_SL_E_clIS7_S7_SB_PlEEDaSZ_S10_SG_SL_EUlSZ_E_NS1_11comp_targetILNS1_3genE6ELNS1_11target_archE950ELNS1_3gpuE13ELNS1_3repE0EEENS1_47radix_sort_onesweep_sort_config_static_selectorELNS0_4arch9wavefront6targetE1EEEvSG_.num_vgpr, 0
	.set _ZN7rocprim17ROCPRIM_400000_NS6detail17trampoline_kernelINS0_14default_configENS1_35radix_sort_onesweep_config_selectorIhlEEZZNS1_29radix_sort_onesweep_iterationIS3_Lb0EPhS7_N6thrust23THRUST_200600_302600_NS10device_ptrIlEESB_jNS0_19identity_decomposerENS1_16block_id_wrapperIjLb1EEEEE10hipError_tT1_PNSt15iterator_traitsISG_E10value_typeET2_T3_PNSH_ISM_E10value_typeET4_T5_PSR_SS_PNS1_23onesweep_lookback_stateEbbT6_jjT7_P12ihipStream_tbENKUlT_T0_SG_SL_E_clIS7_S7_SB_PlEEDaSZ_S10_SG_SL_EUlSZ_E_NS1_11comp_targetILNS1_3genE6ELNS1_11target_archE950ELNS1_3gpuE13ELNS1_3repE0EEENS1_47radix_sort_onesweep_sort_config_static_selectorELNS0_4arch9wavefront6targetE1EEEvSG_.num_agpr, 0
	.set _ZN7rocprim17ROCPRIM_400000_NS6detail17trampoline_kernelINS0_14default_configENS1_35radix_sort_onesweep_config_selectorIhlEEZZNS1_29radix_sort_onesweep_iterationIS3_Lb0EPhS7_N6thrust23THRUST_200600_302600_NS10device_ptrIlEESB_jNS0_19identity_decomposerENS1_16block_id_wrapperIjLb1EEEEE10hipError_tT1_PNSt15iterator_traitsISG_E10value_typeET2_T3_PNSH_ISM_E10value_typeET4_T5_PSR_SS_PNS1_23onesweep_lookback_stateEbbT6_jjT7_P12ihipStream_tbENKUlT_T0_SG_SL_E_clIS7_S7_SB_PlEEDaSZ_S10_SG_SL_EUlSZ_E_NS1_11comp_targetILNS1_3genE6ELNS1_11target_archE950ELNS1_3gpuE13ELNS1_3repE0EEENS1_47radix_sort_onesweep_sort_config_static_selectorELNS0_4arch9wavefront6targetE1EEEvSG_.numbered_sgpr, 0
	.set _ZN7rocprim17ROCPRIM_400000_NS6detail17trampoline_kernelINS0_14default_configENS1_35radix_sort_onesweep_config_selectorIhlEEZZNS1_29radix_sort_onesweep_iterationIS3_Lb0EPhS7_N6thrust23THRUST_200600_302600_NS10device_ptrIlEESB_jNS0_19identity_decomposerENS1_16block_id_wrapperIjLb1EEEEE10hipError_tT1_PNSt15iterator_traitsISG_E10value_typeET2_T3_PNSH_ISM_E10value_typeET4_T5_PSR_SS_PNS1_23onesweep_lookback_stateEbbT6_jjT7_P12ihipStream_tbENKUlT_T0_SG_SL_E_clIS7_S7_SB_PlEEDaSZ_S10_SG_SL_EUlSZ_E_NS1_11comp_targetILNS1_3genE6ELNS1_11target_archE950ELNS1_3gpuE13ELNS1_3repE0EEENS1_47radix_sort_onesweep_sort_config_static_selectorELNS0_4arch9wavefront6targetE1EEEvSG_.num_named_barrier, 0
	.set _ZN7rocprim17ROCPRIM_400000_NS6detail17trampoline_kernelINS0_14default_configENS1_35radix_sort_onesweep_config_selectorIhlEEZZNS1_29radix_sort_onesweep_iterationIS3_Lb0EPhS7_N6thrust23THRUST_200600_302600_NS10device_ptrIlEESB_jNS0_19identity_decomposerENS1_16block_id_wrapperIjLb1EEEEE10hipError_tT1_PNSt15iterator_traitsISG_E10value_typeET2_T3_PNSH_ISM_E10value_typeET4_T5_PSR_SS_PNS1_23onesweep_lookback_stateEbbT6_jjT7_P12ihipStream_tbENKUlT_T0_SG_SL_E_clIS7_S7_SB_PlEEDaSZ_S10_SG_SL_EUlSZ_E_NS1_11comp_targetILNS1_3genE6ELNS1_11target_archE950ELNS1_3gpuE13ELNS1_3repE0EEENS1_47radix_sort_onesweep_sort_config_static_selectorELNS0_4arch9wavefront6targetE1EEEvSG_.private_seg_size, 0
	.set _ZN7rocprim17ROCPRIM_400000_NS6detail17trampoline_kernelINS0_14default_configENS1_35radix_sort_onesweep_config_selectorIhlEEZZNS1_29radix_sort_onesweep_iterationIS3_Lb0EPhS7_N6thrust23THRUST_200600_302600_NS10device_ptrIlEESB_jNS0_19identity_decomposerENS1_16block_id_wrapperIjLb1EEEEE10hipError_tT1_PNSt15iterator_traitsISG_E10value_typeET2_T3_PNSH_ISM_E10value_typeET4_T5_PSR_SS_PNS1_23onesweep_lookback_stateEbbT6_jjT7_P12ihipStream_tbENKUlT_T0_SG_SL_E_clIS7_S7_SB_PlEEDaSZ_S10_SG_SL_EUlSZ_E_NS1_11comp_targetILNS1_3genE6ELNS1_11target_archE950ELNS1_3gpuE13ELNS1_3repE0EEENS1_47radix_sort_onesweep_sort_config_static_selectorELNS0_4arch9wavefront6targetE1EEEvSG_.uses_vcc, 0
	.set _ZN7rocprim17ROCPRIM_400000_NS6detail17trampoline_kernelINS0_14default_configENS1_35radix_sort_onesweep_config_selectorIhlEEZZNS1_29radix_sort_onesweep_iterationIS3_Lb0EPhS7_N6thrust23THRUST_200600_302600_NS10device_ptrIlEESB_jNS0_19identity_decomposerENS1_16block_id_wrapperIjLb1EEEEE10hipError_tT1_PNSt15iterator_traitsISG_E10value_typeET2_T3_PNSH_ISM_E10value_typeET4_T5_PSR_SS_PNS1_23onesweep_lookback_stateEbbT6_jjT7_P12ihipStream_tbENKUlT_T0_SG_SL_E_clIS7_S7_SB_PlEEDaSZ_S10_SG_SL_EUlSZ_E_NS1_11comp_targetILNS1_3genE6ELNS1_11target_archE950ELNS1_3gpuE13ELNS1_3repE0EEENS1_47radix_sort_onesweep_sort_config_static_selectorELNS0_4arch9wavefront6targetE1EEEvSG_.uses_flat_scratch, 0
	.set _ZN7rocprim17ROCPRIM_400000_NS6detail17trampoline_kernelINS0_14default_configENS1_35radix_sort_onesweep_config_selectorIhlEEZZNS1_29radix_sort_onesweep_iterationIS3_Lb0EPhS7_N6thrust23THRUST_200600_302600_NS10device_ptrIlEESB_jNS0_19identity_decomposerENS1_16block_id_wrapperIjLb1EEEEE10hipError_tT1_PNSt15iterator_traitsISG_E10value_typeET2_T3_PNSH_ISM_E10value_typeET4_T5_PSR_SS_PNS1_23onesweep_lookback_stateEbbT6_jjT7_P12ihipStream_tbENKUlT_T0_SG_SL_E_clIS7_S7_SB_PlEEDaSZ_S10_SG_SL_EUlSZ_E_NS1_11comp_targetILNS1_3genE6ELNS1_11target_archE950ELNS1_3gpuE13ELNS1_3repE0EEENS1_47radix_sort_onesweep_sort_config_static_selectorELNS0_4arch9wavefront6targetE1EEEvSG_.has_dyn_sized_stack, 0
	.set _ZN7rocprim17ROCPRIM_400000_NS6detail17trampoline_kernelINS0_14default_configENS1_35radix_sort_onesweep_config_selectorIhlEEZZNS1_29radix_sort_onesweep_iterationIS3_Lb0EPhS7_N6thrust23THRUST_200600_302600_NS10device_ptrIlEESB_jNS0_19identity_decomposerENS1_16block_id_wrapperIjLb1EEEEE10hipError_tT1_PNSt15iterator_traitsISG_E10value_typeET2_T3_PNSH_ISM_E10value_typeET4_T5_PSR_SS_PNS1_23onesweep_lookback_stateEbbT6_jjT7_P12ihipStream_tbENKUlT_T0_SG_SL_E_clIS7_S7_SB_PlEEDaSZ_S10_SG_SL_EUlSZ_E_NS1_11comp_targetILNS1_3genE6ELNS1_11target_archE950ELNS1_3gpuE13ELNS1_3repE0EEENS1_47radix_sort_onesweep_sort_config_static_selectorELNS0_4arch9wavefront6targetE1EEEvSG_.has_recursion, 0
	.set _ZN7rocprim17ROCPRIM_400000_NS6detail17trampoline_kernelINS0_14default_configENS1_35radix_sort_onesweep_config_selectorIhlEEZZNS1_29radix_sort_onesweep_iterationIS3_Lb0EPhS7_N6thrust23THRUST_200600_302600_NS10device_ptrIlEESB_jNS0_19identity_decomposerENS1_16block_id_wrapperIjLb1EEEEE10hipError_tT1_PNSt15iterator_traitsISG_E10value_typeET2_T3_PNSH_ISM_E10value_typeET4_T5_PSR_SS_PNS1_23onesweep_lookback_stateEbbT6_jjT7_P12ihipStream_tbENKUlT_T0_SG_SL_E_clIS7_S7_SB_PlEEDaSZ_S10_SG_SL_EUlSZ_E_NS1_11comp_targetILNS1_3genE6ELNS1_11target_archE950ELNS1_3gpuE13ELNS1_3repE0EEENS1_47radix_sort_onesweep_sort_config_static_selectorELNS0_4arch9wavefront6targetE1EEEvSG_.has_indirect_call, 0
	.section	.AMDGPU.csdata,"",@progbits
; Kernel info:
; codeLenInByte = 0
; TotalNumSgprs: 4
; NumVgprs: 0
; ScratchSize: 0
; MemoryBound: 0
; FloatMode: 240
; IeeeMode: 1
; LDSByteSize: 0 bytes/workgroup (compile time only)
; SGPRBlocks: 0
; VGPRBlocks: 0
; NumSGPRsForWavesPerEU: 4
; NumVGPRsForWavesPerEU: 1
; Occupancy: 10
; WaveLimiterHint : 0
; COMPUTE_PGM_RSRC2:SCRATCH_EN: 0
; COMPUTE_PGM_RSRC2:USER_SGPR: 6
; COMPUTE_PGM_RSRC2:TRAP_HANDLER: 0
; COMPUTE_PGM_RSRC2:TGID_X_EN: 1
; COMPUTE_PGM_RSRC2:TGID_Y_EN: 0
; COMPUTE_PGM_RSRC2:TGID_Z_EN: 0
; COMPUTE_PGM_RSRC2:TIDIG_COMP_CNT: 0
	.section	.text._ZN7rocprim17ROCPRIM_400000_NS6detail17trampoline_kernelINS0_14default_configENS1_35radix_sort_onesweep_config_selectorIhlEEZZNS1_29radix_sort_onesweep_iterationIS3_Lb0EPhS7_N6thrust23THRUST_200600_302600_NS10device_ptrIlEESB_jNS0_19identity_decomposerENS1_16block_id_wrapperIjLb1EEEEE10hipError_tT1_PNSt15iterator_traitsISG_E10value_typeET2_T3_PNSH_ISM_E10value_typeET4_T5_PSR_SS_PNS1_23onesweep_lookback_stateEbbT6_jjT7_P12ihipStream_tbENKUlT_T0_SG_SL_E_clIS7_S7_SB_PlEEDaSZ_S10_SG_SL_EUlSZ_E_NS1_11comp_targetILNS1_3genE5ELNS1_11target_archE942ELNS1_3gpuE9ELNS1_3repE0EEENS1_47radix_sort_onesweep_sort_config_static_selectorELNS0_4arch9wavefront6targetE1EEEvSG_,"axG",@progbits,_ZN7rocprim17ROCPRIM_400000_NS6detail17trampoline_kernelINS0_14default_configENS1_35radix_sort_onesweep_config_selectorIhlEEZZNS1_29radix_sort_onesweep_iterationIS3_Lb0EPhS7_N6thrust23THRUST_200600_302600_NS10device_ptrIlEESB_jNS0_19identity_decomposerENS1_16block_id_wrapperIjLb1EEEEE10hipError_tT1_PNSt15iterator_traitsISG_E10value_typeET2_T3_PNSH_ISM_E10value_typeET4_T5_PSR_SS_PNS1_23onesweep_lookback_stateEbbT6_jjT7_P12ihipStream_tbENKUlT_T0_SG_SL_E_clIS7_S7_SB_PlEEDaSZ_S10_SG_SL_EUlSZ_E_NS1_11comp_targetILNS1_3genE5ELNS1_11target_archE942ELNS1_3gpuE9ELNS1_3repE0EEENS1_47radix_sort_onesweep_sort_config_static_selectorELNS0_4arch9wavefront6targetE1EEEvSG_,comdat
	.protected	_ZN7rocprim17ROCPRIM_400000_NS6detail17trampoline_kernelINS0_14default_configENS1_35radix_sort_onesweep_config_selectorIhlEEZZNS1_29radix_sort_onesweep_iterationIS3_Lb0EPhS7_N6thrust23THRUST_200600_302600_NS10device_ptrIlEESB_jNS0_19identity_decomposerENS1_16block_id_wrapperIjLb1EEEEE10hipError_tT1_PNSt15iterator_traitsISG_E10value_typeET2_T3_PNSH_ISM_E10value_typeET4_T5_PSR_SS_PNS1_23onesweep_lookback_stateEbbT6_jjT7_P12ihipStream_tbENKUlT_T0_SG_SL_E_clIS7_S7_SB_PlEEDaSZ_S10_SG_SL_EUlSZ_E_NS1_11comp_targetILNS1_3genE5ELNS1_11target_archE942ELNS1_3gpuE9ELNS1_3repE0EEENS1_47radix_sort_onesweep_sort_config_static_selectorELNS0_4arch9wavefront6targetE1EEEvSG_ ; -- Begin function _ZN7rocprim17ROCPRIM_400000_NS6detail17trampoline_kernelINS0_14default_configENS1_35radix_sort_onesweep_config_selectorIhlEEZZNS1_29radix_sort_onesweep_iterationIS3_Lb0EPhS7_N6thrust23THRUST_200600_302600_NS10device_ptrIlEESB_jNS0_19identity_decomposerENS1_16block_id_wrapperIjLb1EEEEE10hipError_tT1_PNSt15iterator_traitsISG_E10value_typeET2_T3_PNSH_ISM_E10value_typeET4_T5_PSR_SS_PNS1_23onesweep_lookback_stateEbbT6_jjT7_P12ihipStream_tbENKUlT_T0_SG_SL_E_clIS7_S7_SB_PlEEDaSZ_S10_SG_SL_EUlSZ_E_NS1_11comp_targetILNS1_3genE5ELNS1_11target_archE942ELNS1_3gpuE9ELNS1_3repE0EEENS1_47radix_sort_onesweep_sort_config_static_selectorELNS0_4arch9wavefront6targetE1EEEvSG_
	.globl	_ZN7rocprim17ROCPRIM_400000_NS6detail17trampoline_kernelINS0_14default_configENS1_35radix_sort_onesweep_config_selectorIhlEEZZNS1_29radix_sort_onesweep_iterationIS3_Lb0EPhS7_N6thrust23THRUST_200600_302600_NS10device_ptrIlEESB_jNS0_19identity_decomposerENS1_16block_id_wrapperIjLb1EEEEE10hipError_tT1_PNSt15iterator_traitsISG_E10value_typeET2_T3_PNSH_ISM_E10value_typeET4_T5_PSR_SS_PNS1_23onesweep_lookback_stateEbbT6_jjT7_P12ihipStream_tbENKUlT_T0_SG_SL_E_clIS7_S7_SB_PlEEDaSZ_S10_SG_SL_EUlSZ_E_NS1_11comp_targetILNS1_3genE5ELNS1_11target_archE942ELNS1_3gpuE9ELNS1_3repE0EEENS1_47radix_sort_onesweep_sort_config_static_selectorELNS0_4arch9wavefront6targetE1EEEvSG_
	.p2align	8
	.type	_ZN7rocprim17ROCPRIM_400000_NS6detail17trampoline_kernelINS0_14default_configENS1_35radix_sort_onesweep_config_selectorIhlEEZZNS1_29radix_sort_onesweep_iterationIS3_Lb0EPhS7_N6thrust23THRUST_200600_302600_NS10device_ptrIlEESB_jNS0_19identity_decomposerENS1_16block_id_wrapperIjLb1EEEEE10hipError_tT1_PNSt15iterator_traitsISG_E10value_typeET2_T3_PNSH_ISM_E10value_typeET4_T5_PSR_SS_PNS1_23onesweep_lookback_stateEbbT6_jjT7_P12ihipStream_tbENKUlT_T0_SG_SL_E_clIS7_S7_SB_PlEEDaSZ_S10_SG_SL_EUlSZ_E_NS1_11comp_targetILNS1_3genE5ELNS1_11target_archE942ELNS1_3gpuE9ELNS1_3repE0EEENS1_47radix_sort_onesweep_sort_config_static_selectorELNS0_4arch9wavefront6targetE1EEEvSG_,@function
_ZN7rocprim17ROCPRIM_400000_NS6detail17trampoline_kernelINS0_14default_configENS1_35radix_sort_onesweep_config_selectorIhlEEZZNS1_29radix_sort_onesweep_iterationIS3_Lb0EPhS7_N6thrust23THRUST_200600_302600_NS10device_ptrIlEESB_jNS0_19identity_decomposerENS1_16block_id_wrapperIjLb1EEEEE10hipError_tT1_PNSt15iterator_traitsISG_E10value_typeET2_T3_PNSH_ISM_E10value_typeET4_T5_PSR_SS_PNS1_23onesweep_lookback_stateEbbT6_jjT7_P12ihipStream_tbENKUlT_T0_SG_SL_E_clIS7_S7_SB_PlEEDaSZ_S10_SG_SL_EUlSZ_E_NS1_11comp_targetILNS1_3genE5ELNS1_11target_archE942ELNS1_3gpuE9ELNS1_3repE0EEENS1_47radix_sort_onesweep_sort_config_static_selectorELNS0_4arch9wavefront6targetE1EEEvSG_: ; @_ZN7rocprim17ROCPRIM_400000_NS6detail17trampoline_kernelINS0_14default_configENS1_35radix_sort_onesweep_config_selectorIhlEEZZNS1_29radix_sort_onesweep_iterationIS3_Lb0EPhS7_N6thrust23THRUST_200600_302600_NS10device_ptrIlEESB_jNS0_19identity_decomposerENS1_16block_id_wrapperIjLb1EEEEE10hipError_tT1_PNSt15iterator_traitsISG_E10value_typeET2_T3_PNSH_ISM_E10value_typeET4_T5_PSR_SS_PNS1_23onesweep_lookback_stateEbbT6_jjT7_P12ihipStream_tbENKUlT_T0_SG_SL_E_clIS7_S7_SB_PlEEDaSZ_S10_SG_SL_EUlSZ_E_NS1_11comp_targetILNS1_3genE5ELNS1_11target_archE942ELNS1_3gpuE9ELNS1_3repE0EEENS1_47radix_sort_onesweep_sort_config_static_selectorELNS0_4arch9wavefront6targetE1EEEvSG_
; %bb.0:
	.section	.rodata,"a",@progbits
	.p2align	6, 0x0
	.amdhsa_kernel _ZN7rocprim17ROCPRIM_400000_NS6detail17trampoline_kernelINS0_14default_configENS1_35radix_sort_onesweep_config_selectorIhlEEZZNS1_29radix_sort_onesweep_iterationIS3_Lb0EPhS7_N6thrust23THRUST_200600_302600_NS10device_ptrIlEESB_jNS0_19identity_decomposerENS1_16block_id_wrapperIjLb1EEEEE10hipError_tT1_PNSt15iterator_traitsISG_E10value_typeET2_T3_PNSH_ISM_E10value_typeET4_T5_PSR_SS_PNS1_23onesweep_lookback_stateEbbT6_jjT7_P12ihipStream_tbENKUlT_T0_SG_SL_E_clIS7_S7_SB_PlEEDaSZ_S10_SG_SL_EUlSZ_E_NS1_11comp_targetILNS1_3genE5ELNS1_11target_archE942ELNS1_3gpuE9ELNS1_3repE0EEENS1_47radix_sort_onesweep_sort_config_static_selectorELNS0_4arch9wavefront6targetE1EEEvSG_
		.amdhsa_group_segment_fixed_size 0
		.amdhsa_private_segment_fixed_size 0
		.amdhsa_kernarg_size 88
		.amdhsa_user_sgpr_count 6
		.amdhsa_user_sgpr_private_segment_buffer 1
		.amdhsa_user_sgpr_dispatch_ptr 0
		.amdhsa_user_sgpr_queue_ptr 0
		.amdhsa_user_sgpr_kernarg_segment_ptr 1
		.amdhsa_user_sgpr_dispatch_id 0
		.amdhsa_user_sgpr_flat_scratch_init 0
		.amdhsa_user_sgpr_private_segment_size 0
		.amdhsa_uses_dynamic_stack 0
		.amdhsa_system_sgpr_private_segment_wavefront_offset 0
		.amdhsa_system_sgpr_workgroup_id_x 1
		.amdhsa_system_sgpr_workgroup_id_y 0
		.amdhsa_system_sgpr_workgroup_id_z 0
		.amdhsa_system_sgpr_workgroup_info 0
		.amdhsa_system_vgpr_workitem_id 0
		.amdhsa_next_free_vgpr 1
		.amdhsa_next_free_sgpr 0
		.amdhsa_reserve_vcc 0
		.amdhsa_reserve_flat_scratch 0
		.amdhsa_float_round_mode_32 0
		.amdhsa_float_round_mode_16_64 0
		.amdhsa_float_denorm_mode_32 3
		.amdhsa_float_denorm_mode_16_64 3
		.amdhsa_dx10_clamp 1
		.amdhsa_ieee_mode 1
		.amdhsa_fp16_overflow 0
		.amdhsa_exception_fp_ieee_invalid_op 0
		.amdhsa_exception_fp_denorm_src 0
		.amdhsa_exception_fp_ieee_div_zero 0
		.amdhsa_exception_fp_ieee_overflow 0
		.amdhsa_exception_fp_ieee_underflow 0
		.amdhsa_exception_fp_ieee_inexact 0
		.amdhsa_exception_int_div_zero 0
	.end_amdhsa_kernel
	.section	.text._ZN7rocprim17ROCPRIM_400000_NS6detail17trampoline_kernelINS0_14default_configENS1_35radix_sort_onesweep_config_selectorIhlEEZZNS1_29radix_sort_onesweep_iterationIS3_Lb0EPhS7_N6thrust23THRUST_200600_302600_NS10device_ptrIlEESB_jNS0_19identity_decomposerENS1_16block_id_wrapperIjLb1EEEEE10hipError_tT1_PNSt15iterator_traitsISG_E10value_typeET2_T3_PNSH_ISM_E10value_typeET4_T5_PSR_SS_PNS1_23onesweep_lookback_stateEbbT6_jjT7_P12ihipStream_tbENKUlT_T0_SG_SL_E_clIS7_S7_SB_PlEEDaSZ_S10_SG_SL_EUlSZ_E_NS1_11comp_targetILNS1_3genE5ELNS1_11target_archE942ELNS1_3gpuE9ELNS1_3repE0EEENS1_47radix_sort_onesweep_sort_config_static_selectorELNS0_4arch9wavefront6targetE1EEEvSG_,"axG",@progbits,_ZN7rocprim17ROCPRIM_400000_NS6detail17trampoline_kernelINS0_14default_configENS1_35radix_sort_onesweep_config_selectorIhlEEZZNS1_29radix_sort_onesweep_iterationIS3_Lb0EPhS7_N6thrust23THRUST_200600_302600_NS10device_ptrIlEESB_jNS0_19identity_decomposerENS1_16block_id_wrapperIjLb1EEEEE10hipError_tT1_PNSt15iterator_traitsISG_E10value_typeET2_T3_PNSH_ISM_E10value_typeET4_T5_PSR_SS_PNS1_23onesweep_lookback_stateEbbT6_jjT7_P12ihipStream_tbENKUlT_T0_SG_SL_E_clIS7_S7_SB_PlEEDaSZ_S10_SG_SL_EUlSZ_E_NS1_11comp_targetILNS1_3genE5ELNS1_11target_archE942ELNS1_3gpuE9ELNS1_3repE0EEENS1_47radix_sort_onesweep_sort_config_static_selectorELNS0_4arch9wavefront6targetE1EEEvSG_,comdat
.Lfunc_end275:
	.size	_ZN7rocprim17ROCPRIM_400000_NS6detail17trampoline_kernelINS0_14default_configENS1_35radix_sort_onesweep_config_selectorIhlEEZZNS1_29radix_sort_onesweep_iterationIS3_Lb0EPhS7_N6thrust23THRUST_200600_302600_NS10device_ptrIlEESB_jNS0_19identity_decomposerENS1_16block_id_wrapperIjLb1EEEEE10hipError_tT1_PNSt15iterator_traitsISG_E10value_typeET2_T3_PNSH_ISM_E10value_typeET4_T5_PSR_SS_PNS1_23onesweep_lookback_stateEbbT6_jjT7_P12ihipStream_tbENKUlT_T0_SG_SL_E_clIS7_S7_SB_PlEEDaSZ_S10_SG_SL_EUlSZ_E_NS1_11comp_targetILNS1_3genE5ELNS1_11target_archE942ELNS1_3gpuE9ELNS1_3repE0EEENS1_47radix_sort_onesweep_sort_config_static_selectorELNS0_4arch9wavefront6targetE1EEEvSG_, .Lfunc_end275-_ZN7rocprim17ROCPRIM_400000_NS6detail17trampoline_kernelINS0_14default_configENS1_35radix_sort_onesweep_config_selectorIhlEEZZNS1_29radix_sort_onesweep_iterationIS3_Lb0EPhS7_N6thrust23THRUST_200600_302600_NS10device_ptrIlEESB_jNS0_19identity_decomposerENS1_16block_id_wrapperIjLb1EEEEE10hipError_tT1_PNSt15iterator_traitsISG_E10value_typeET2_T3_PNSH_ISM_E10value_typeET4_T5_PSR_SS_PNS1_23onesweep_lookback_stateEbbT6_jjT7_P12ihipStream_tbENKUlT_T0_SG_SL_E_clIS7_S7_SB_PlEEDaSZ_S10_SG_SL_EUlSZ_E_NS1_11comp_targetILNS1_3genE5ELNS1_11target_archE942ELNS1_3gpuE9ELNS1_3repE0EEENS1_47radix_sort_onesweep_sort_config_static_selectorELNS0_4arch9wavefront6targetE1EEEvSG_
                                        ; -- End function
	.set _ZN7rocprim17ROCPRIM_400000_NS6detail17trampoline_kernelINS0_14default_configENS1_35radix_sort_onesweep_config_selectorIhlEEZZNS1_29radix_sort_onesweep_iterationIS3_Lb0EPhS7_N6thrust23THRUST_200600_302600_NS10device_ptrIlEESB_jNS0_19identity_decomposerENS1_16block_id_wrapperIjLb1EEEEE10hipError_tT1_PNSt15iterator_traitsISG_E10value_typeET2_T3_PNSH_ISM_E10value_typeET4_T5_PSR_SS_PNS1_23onesweep_lookback_stateEbbT6_jjT7_P12ihipStream_tbENKUlT_T0_SG_SL_E_clIS7_S7_SB_PlEEDaSZ_S10_SG_SL_EUlSZ_E_NS1_11comp_targetILNS1_3genE5ELNS1_11target_archE942ELNS1_3gpuE9ELNS1_3repE0EEENS1_47radix_sort_onesweep_sort_config_static_selectorELNS0_4arch9wavefront6targetE1EEEvSG_.num_vgpr, 0
	.set _ZN7rocprim17ROCPRIM_400000_NS6detail17trampoline_kernelINS0_14default_configENS1_35radix_sort_onesweep_config_selectorIhlEEZZNS1_29radix_sort_onesweep_iterationIS3_Lb0EPhS7_N6thrust23THRUST_200600_302600_NS10device_ptrIlEESB_jNS0_19identity_decomposerENS1_16block_id_wrapperIjLb1EEEEE10hipError_tT1_PNSt15iterator_traitsISG_E10value_typeET2_T3_PNSH_ISM_E10value_typeET4_T5_PSR_SS_PNS1_23onesweep_lookback_stateEbbT6_jjT7_P12ihipStream_tbENKUlT_T0_SG_SL_E_clIS7_S7_SB_PlEEDaSZ_S10_SG_SL_EUlSZ_E_NS1_11comp_targetILNS1_3genE5ELNS1_11target_archE942ELNS1_3gpuE9ELNS1_3repE0EEENS1_47radix_sort_onesweep_sort_config_static_selectorELNS0_4arch9wavefront6targetE1EEEvSG_.num_agpr, 0
	.set _ZN7rocprim17ROCPRIM_400000_NS6detail17trampoline_kernelINS0_14default_configENS1_35radix_sort_onesweep_config_selectorIhlEEZZNS1_29radix_sort_onesweep_iterationIS3_Lb0EPhS7_N6thrust23THRUST_200600_302600_NS10device_ptrIlEESB_jNS0_19identity_decomposerENS1_16block_id_wrapperIjLb1EEEEE10hipError_tT1_PNSt15iterator_traitsISG_E10value_typeET2_T3_PNSH_ISM_E10value_typeET4_T5_PSR_SS_PNS1_23onesweep_lookback_stateEbbT6_jjT7_P12ihipStream_tbENKUlT_T0_SG_SL_E_clIS7_S7_SB_PlEEDaSZ_S10_SG_SL_EUlSZ_E_NS1_11comp_targetILNS1_3genE5ELNS1_11target_archE942ELNS1_3gpuE9ELNS1_3repE0EEENS1_47radix_sort_onesweep_sort_config_static_selectorELNS0_4arch9wavefront6targetE1EEEvSG_.numbered_sgpr, 0
	.set _ZN7rocprim17ROCPRIM_400000_NS6detail17trampoline_kernelINS0_14default_configENS1_35radix_sort_onesweep_config_selectorIhlEEZZNS1_29radix_sort_onesweep_iterationIS3_Lb0EPhS7_N6thrust23THRUST_200600_302600_NS10device_ptrIlEESB_jNS0_19identity_decomposerENS1_16block_id_wrapperIjLb1EEEEE10hipError_tT1_PNSt15iterator_traitsISG_E10value_typeET2_T3_PNSH_ISM_E10value_typeET4_T5_PSR_SS_PNS1_23onesweep_lookback_stateEbbT6_jjT7_P12ihipStream_tbENKUlT_T0_SG_SL_E_clIS7_S7_SB_PlEEDaSZ_S10_SG_SL_EUlSZ_E_NS1_11comp_targetILNS1_3genE5ELNS1_11target_archE942ELNS1_3gpuE9ELNS1_3repE0EEENS1_47radix_sort_onesweep_sort_config_static_selectorELNS0_4arch9wavefront6targetE1EEEvSG_.num_named_barrier, 0
	.set _ZN7rocprim17ROCPRIM_400000_NS6detail17trampoline_kernelINS0_14default_configENS1_35radix_sort_onesweep_config_selectorIhlEEZZNS1_29radix_sort_onesweep_iterationIS3_Lb0EPhS7_N6thrust23THRUST_200600_302600_NS10device_ptrIlEESB_jNS0_19identity_decomposerENS1_16block_id_wrapperIjLb1EEEEE10hipError_tT1_PNSt15iterator_traitsISG_E10value_typeET2_T3_PNSH_ISM_E10value_typeET4_T5_PSR_SS_PNS1_23onesweep_lookback_stateEbbT6_jjT7_P12ihipStream_tbENKUlT_T0_SG_SL_E_clIS7_S7_SB_PlEEDaSZ_S10_SG_SL_EUlSZ_E_NS1_11comp_targetILNS1_3genE5ELNS1_11target_archE942ELNS1_3gpuE9ELNS1_3repE0EEENS1_47radix_sort_onesweep_sort_config_static_selectorELNS0_4arch9wavefront6targetE1EEEvSG_.private_seg_size, 0
	.set _ZN7rocprim17ROCPRIM_400000_NS6detail17trampoline_kernelINS0_14default_configENS1_35radix_sort_onesweep_config_selectorIhlEEZZNS1_29radix_sort_onesweep_iterationIS3_Lb0EPhS7_N6thrust23THRUST_200600_302600_NS10device_ptrIlEESB_jNS0_19identity_decomposerENS1_16block_id_wrapperIjLb1EEEEE10hipError_tT1_PNSt15iterator_traitsISG_E10value_typeET2_T3_PNSH_ISM_E10value_typeET4_T5_PSR_SS_PNS1_23onesweep_lookback_stateEbbT6_jjT7_P12ihipStream_tbENKUlT_T0_SG_SL_E_clIS7_S7_SB_PlEEDaSZ_S10_SG_SL_EUlSZ_E_NS1_11comp_targetILNS1_3genE5ELNS1_11target_archE942ELNS1_3gpuE9ELNS1_3repE0EEENS1_47radix_sort_onesweep_sort_config_static_selectorELNS0_4arch9wavefront6targetE1EEEvSG_.uses_vcc, 0
	.set _ZN7rocprim17ROCPRIM_400000_NS6detail17trampoline_kernelINS0_14default_configENS1_35radix_sort_onesweep_config_selectorIhlEEZZNS1_29radix_sort_onesweep_iterationIS3_Lb0EPhS7_N6thrust23THRUST_200600_302600_NS10device_ptrIlEESB_jNS0_19identity_decomposerENS1_16block_id_wrapperIjLb1EEEEE10hipError_tT1_PNSt15iterator_traitsISG_E10value_typeET2_T3_PNSH_ISM_E10value_typeET4_T5_PSR_SS_PNS1_23onesweep_lookback_stateEbbT6_jjT7_P12ihipStream_tbENKUlT_T0_SG_SL_E_clIS7_S7_SB_PlEEDaSZ_S10_SG_SL_EUlSZ_E_NS1_11comp_targetILNS1_3genE5ELNS1_11target_archE942ELNS1_3gpuE9ELNS1_3repE0EEENS1_47radix_sort_onesweep_sort_config_static_selectorELNS0_4arch9wavefront6targetE1EEEvSG_.uses_flat_scratch, 0
	.set _ZN7rocprim17ROCPRIM_400000_NS6detail17trampoline_kernelINS0_14default_configENS1_35radix_sort_onesweep_config_selectorIhlEEZZNS1_29radix_sort_onesweep_iterationIS3_Lb0EPhS7_N6thrust23THRUST_200600_302600_NS10device_ptrIlEESB_jNS0_19identity_decomposerENS1_16block_id_wrapperIjLb1EEEEE10hipError_tT1_PNSt15iterator_traitsISG_E10value_typeET2_T3_PNSH_ISM_E10value_typeET4_T5_PSR_SS_PNS1_23onesweep_lookback_stateEbbT6_jjT7_P12ihipStream_tbENKUlT_T0_SG_SL_E_clIS7_S7_SB_PlEEDaSZ_S10_SG_SL_EUlSZ_E_NS1_11comp_targetILNS1_3genE5ELNS1_11target_archE942ELNS1_3gpuE9ELNS1_3repE0EEENS1_47radix_sort_onesweep_sort_config_static_selectorELNS0_4arch9wavefront6targetE1EEEvSG_.has_dyn_sized_stack, 0
	.set _ZN7rocprim17ROCPRIM_400000_NS6detail17trampoline_kernelINS0_14default_configENS1_35radix_sort_onesweep_config_selectorIhlEEZZNS1_29radix_sort_onesweep_iterationIS3_Lb0EPhS7_N6thrust23THRUST_200600_302600_NS10device_ptrIlEESB_jNS0_19identity_decomposerENS1_16block_id_wrapperIjLb1EEEEE10hipError_tT1_PNSt15iterator_traitsISG_E10value_typeET2_T3_PNSH_ISM_E10value_typeET4_T5_PSR_SS_PNS1_23onesweep_lookback_stateEbbT6_jjT7_P12ihipStream_tbENKUlT_T0_SG_SL_E_clIS7_S7_SB_PlEEDaSZ_S10_SG_SL_EUlSZ_E_NS1_11comp_targetILNS1_3genE5ELNS1_11target_archE942ELNS1_3gpuE9ELNS1_3repE0EEENS1_47radix_sort_onesweep_sort_config_static_selectorELNS0_4arch9wavefront6targetE1EEEvSG_.has_recursion, 0
	.set _ZN7rocprim17ROCPRIM_400000_NS6detail17trampoline_kernelINS0_14default_configENS1_35radix_sort_onesweep_config_selectorIhlEEZZNS1_29radix_sort_onesweep_iterationIS3_Lb0EPhS7_N6thrust23THRUST_200600_302600_NS10device_ptrIlEESB_jNS0_19identity_decomposerENS1_16block_id_wrapperIjLb1EEEEE10hipError_tT1_PNSt15iterator_traitsISG_E10value_typeET2_T3_PNSH_ISM_E10value_typeET4_T5_PSR_SS_PNS1_23onesweep_lookback_stateEbbT6_jjT7_P12ihipStream_tbENKUlT_T0_SG_SL_E_clIS7_S7_SB_PlEEDaSZ_S10_SG_SL_EUlSZ_E_NS1_11comp_targetILNS1_3genE5ELNS1_11target_archE942ELNS1_3gpuE9ELNS1_3repE0EEENS1_47radix_sort_onesweep_sort_config_static_selectorELNS0_4arch9wavefront6targetE1EEEvSG_.has_indirect_call, 0
	.section	.AMDGPU.csdata,"",@progbits
; Kernel info:
; codeLenInByte = 0
; TotalNumSgprs: 4
; NumVgprs: 0
; ScratchSize: 0
; MemoryBound: 0
; FloatMode: 240
; IeeeMode: 1
; LDSByteSize: 0 bytes/workgroup (compile time only)
; SGPRBlocks: 0
; VGPRBlocks: 0
; NumSGPRsForWavesPerEU: 4
; NumVGPRsForWavesPerEU: 1
; Occupancy: 10
; WaveLimiterHint : 0
; COMPUTE_PGM_RSRC2:SCRATCH_EN: 0
; COMPUTE_PGM_RSRC2:USER_SGPR: 6
; COMPUTE_PGM_RSRC2:TRAP_HANDLER: 0
; COMPUTE_PGM_RSRC2:TGID_X_EN: 1
; COMPUTE_PGM_RSRC2:TGID_Y_EN: 0
; COMPUTE_PGM_RSRC2:TGID_Z_EN: 0
; COMPUTE_PGM_RSRC2:TIDIG_COMP_CNT: 0
	.section	.text._ZN7rocprim17ROCPRIM_400000_NS6detail17trampoline_kernelINS0_14default_configENS1_35radix_sort_onesweep_config_selectorIhlEEZZNS1_29radix_sort_onesweep_iterationIS3_Lb0EPhS7_N6thrust23THRUST_200600_302600_NS10device_ptrIlEESB_jNS0_19identity_decomposerENS1_16block_id_wrapperIjLb1EEEEE10hipError_tT1_PNSt15iterator_traitsISG_E10value_typeET2_T3_PNSH_ISM_E10value_typeET4_T5_PSR_SS_PNS1_23onesweep_lookback_stateEbbT6_jjT7_P12ihipStream_tbENKUlT_T0_SG_SL_E_clIS7_S7_SB_PlEEDaSZ_S10_SG_SL_EUlSZ_E_NS1_11comp_targetILNS1_3genE2ELNS1_11target_archE906ELNS1_3gpuE6ELNS1_3repE0EEENS1_47radix_sort_onesweep_sort_config_static_selectorELNS0_4arch9wavefront6targetE1EEEvSG_,"axG",@progbits,_ZN7rocprim17ROCPRIM_400000_NS6detail17trampoline_kernelINS0_14default_configENS1_35radix_sort_onesweep_config_selectorIhlEEZZNS1_29radix_sort_onesweep_iterationIS3_Lb0EPhS7_N6thrust23THRUST_200600_302600_NS10device_ptrIlEESB_jNS0_19identity_decomposerENS1_16block_id_wrapperIjLb1EEEEE10hipError_tT1_PNSt15iterator_traitsISG_E10value_typeET2_T3_PNSH_ISM_E10value_typeET4_T5_PSR_SS_PNS1_23onesweep_lookback_stateEbbT6_jjT7_P12ihipStream_tbENKUlT_T0_SG_SL_E_clIS7_S7_SB_PlEEDaSZ_S10_SG_SL_EUlSZ_E_NS1_11comp_targetILNS1_3genE2ELNS1_11target_archE906ELNS1_3gpuE6ELNS1_3repE0EEENS1_47radix_sort_onesweep_sort_config_static_selectorELNS0_4arch9wavefront6targetE1EEEvSG_,comdat
	.protected	_ZN7rocprim17ROCPRIM_400000_NS6detail17trampoline_kernelINS0_14default_configENS1_35radix_sort_onesweep_config_selectorIhlEEZZNS1_29radix_sort_onesweep_iterationIS3_Lb0EPhS7_N6thrust23THRUST_200600_302600_NS10device_ptrIlEESB_jNS0_19identity_decomposerENS1_16block_id_wrapperIjLb1EEEEE10hipError_tT1_PNSt15iterator_traitsISG_E10value_typeET2_T3_PNSH_ISM_E10value_typeET4_T5_PSR_SS_PNS1_23onesweep_lookback_stateEbbT6_jjT7_P12ihipStream_tbENKUlT_T0_SG_SL_E_clIS7_S7_SB_PlEEDaSZ_S10_SG_SL_EUlSZ_E_NS1_11comp_targetILNS1_3genE2ELNS1_11target_archE906ELNS1_3gpuE6ELNS1_3repE0EEENS1_47radix_sort_onesweep_sort_config_static_selectorELNS0_4arch9wavefront6targetE1EEEvSG_ ; -- Begin function _ZN7rocprim17ROCPRIM_400000_NS6detail17trampoline_kernelINS0_14default_configENS1_35radix_sort_onesweep_config_selectorIhlEEZZNS1_29radix_sort_onesweep_iterationIS3_Lb0EPhS7_N6thrust23THRUST_200600_302600_NS10device_ptrIlEESB_jNS0_19identity_decomposerENS1_16block_id_wrapperIjLb1EEEEE10hipError_tT1_PNSt15iterator_traitsISG_E10value_typeET2_T3_PNSH_ISM_E10value_typeET4_T5_PSR_SS_PNS1_23onesweep_lookback_stateEbbT6_jjT7_P12ihipStream_tbENKUlT_T0_SG_SL_E_clIS7_S7_SB_PlEEDaSZ_S10_SG_SL_EUlSZ_E_NS1_11comp_targetILNS1_3genE2ELNS1_11target_archE906ELNS1_3gpuE6ELNS1_3repE0EEENS1_47radix_sort_onesweep_sort_config_static_selectorELNS0_4arch9wavefront6targetE1EEEvSG_
	.globl	_ZN7rocprim17ROCPRIM_400000_NS6detail17trampoline_kernelINS0_14default_configENS1_35radix_sort_onesweep_config_selectorIhlEEZZNS1_29radix_sort_onesweep_iterationIS3_Lb0EPhS7_N6thrust23THRUST_200600_302600_NS10device_ptrIlEESB_jNS0_19identity_decomposerENS1_16block_id_wrapperIjLb1EEEEE10hipError_tT1_PNSt15iterator_traitsISG_E10value_typeET2_T3_PNSH_ISM_E10value_typeET4_T5_PSR_SS_PNS1_23onesweep_lookback_stateEbbT6_jjT7_P12ihipStream_tbENKUlT_T0_SG_SL_E_clIS7_S7_SB_PlEEDaSZ_S10_SG_SL_EUlSZ_E_NS1_11comp_targetILNS1_3genE2ELNS1_11target_archE906ELNS1_3gpuE6ELNS1_3repE0EEENS1_47radix_sort_onesweep_sort_config_static_selectorELNS0_4arch9wavefront6targetE1EEEvSG_
	.p2align	8
	.type	_ZN7rocprim17ROCPRIM_400000_NS6detail17trampoline_kernelINS0_14default_configENS1_35radix_sort_onesweep_config_selectorIhlEEZZNS1_29radix_sort_onesweep_iterationIS3_Lb0EPhS7_N6thrust23THRUST_200600_302600_NS10device_ptrIlEESB_jNS0_19identity_decomposerENS1_16block_id_wrapperIjLb1EEEEE10hipError_tT1_PNSt15iterator_traitsISG_E10value_typeET2_T3_PNSH_ISM_E10value_typeET4_T5_PSR_SS_PNS1_23onesweep_lookback_stateEbbT6_jjT7_P12ihipStream_tbENKUlT_T0_SG_SL_E_clIS7_S7_SB_PlEEDaSZ_S10_SG_SL_EUlSZ_E_NS1_11comp_targetILNS1_3genE2ELNS1_11target_archE906ELNS1_3gpuE6ELNS1_3repE0EEENS1_47radix_sort_onesweep_sort_config_static_selectorELNS0_4arch9wavefront6targetE1EEEvSG_,@function
_ZN7rocprim17ROCPRIM_400000_NS6detail17trampoline_kernelINS0_14default_configENS1_35radix_sort_onesweep_config_selectorIhlEEZZNS1_29radix_sort_onesweep_iterationIS3_Lb0EPhS7_N6thrust23THRUST_200600_302600_NS10device_ptrIlEESB_jNS0_19identity_decomposerENS1_16block_id_wrapperIjLb1EEEEE10hipError_tT1_PNSt15iterator_traitsISG_E10value_typeET2_T3_PNSH_ISM_E10value_typeET4_T5_PSR_SS_PNS1_23onesweep_lookback_stateEbbT6_jjT7_P12ihipStream_tbENKUlT_T0_SG_SL_E_clIS7_S7_SB_PlEEDaSZ_S10_SG_SL_EUlSZ_E_NS1_11comp_targetILNS1_3genE2ELNS1_11target_archE906ELNS1_3gpuE6ELNS1_3repE0EEENS1_47radix_sort_onesweep_sort_config_static_selectorELNS0_4arch9wavefront6targetE1EEEvSG_: ; @_ZN7rocprim17ROCPRIM_400000_NS6detail17trampoline_kernelINS0_14default_configENS1_35radix_sort_onesweep_config_selectorIhlEEZZNS1_29radix_sort_onesweep_iterationIS3_Lb0EPhS7_N6thrust23THRUST_200600_302600_NS10device_ptrIlEESB_jNS0_19identity_decomposerENS1_16block_id_wrapperIjLb1EEEEE10hipError_tT1_PNSt15iterator_traitsISG_E10value_typeET2_T3_PNSH_ISM_E10value_typeET4_T5_PSR_SS_PNS1_23onesweep_lookback_stateEbbT6_jjT7_P12ihipStream_tbENKUlT_T0_SG_SL_E_clIS7_S7_SB_PlEEDaSZ_S10_SG_SL_EUlSZ_E_NS1_11comp_targetILNS1_3genE2ELNS1_11target_archE906ELNS1_3gpuE6ELNS1_3repE0EEENS1_47radix_sort_onesweep_sort_config_static_selectorELNS0_4arch9wavefront6targetE1EEEvSG_
; %bb.0:
	s_load_dwordx4 s[28:31], s[4:5], 0x28
	s_load_dwordx2 s[34:35], s[4:5], 0x38
	s_load_dwordx4 s[44:47], s[4:5], 0x44
	s_add_u32 s0, s0, s7
	s_addc_u32 s1, s1, 0
	v_cmp_eq_u32_e64 s[22:23], 0, v0
	s_and_saveexec_b64 s[8:9], s[22:23]
	s_cbranch_execz .LBB276_4
; %bb.1:
	s_mov_b64 s[12:13], exec
	v_mbcnt_lo_u32_b32 v3, s12, 0
	v_mbcnt_hi_u32_b32 v3, s13, v3
	v_cmp_eq_u32_e32 vcc, 0, v3
                                        ; implicit-def: $vgpr4
	s_and_saveexec_b64 s[10:11], vcc
	s_cbranch_execz .LBB276_3
; %bb.2:
	s_load_dwordx2 s[14:15], s[4:5], 0x50
	s_bcnt1_i32_b64 s7, s[12:13]
	v_mov_b32_e32 v4, 0
	v_mov_b32_e32 v5, s7
	s_waitcnt lgkmcnt(0)
	global_atomic_add v4, v4, v5, s[14:15] glc
.LBB276_3:
	s_or_b64 exec, exec, s[10:11]
	s_waitcnt vmcnt(0)
	v_readfirstlane_b32 s7, v4
	v_add_u32_e32 v3, s7, v3
	v_mov_b32_e32 v4, 0
	ds_write_b32 v4, v3 offset:10272
.LBB276_4:
	s_or_b64 exec, exec, s[8:9]
	v_mov_b32_e32 v3, 0
	s_load_dwordx8 s[36:43], s[4:5], 0x0
	s_load_dword s7, s[4:5], 0x20
	s_waitcnt lgkmcnt(0)
	s_barrier
	ds_read_b32 v3, v3 offset:10272
	s_mov_b64 s[8:9], -1
	v_mbcnt_lo_u32_b32 v17, -1, 0
	s_waitcnt lgkmcnt(0)
	s_barrier
	v_readfirstlane_b32 s33, v3
	v_cmp_le_u32_e32 vcc, s46, v3
	s_mul_i32 s26, s33, 0xc00
	s_cbranch_vccz .LBB276_82
; %bb.5:
	s_mul_i32 s8, s46, 0xfffff400
	s_add_i32 s7, s8, s7
	s_add_u32 s8, s36, s26
	v_mbcnt_hi_u32_b32 v13, -1, v17
	s_addc_u32 s9, s37, 0
	v_and_b32_e32 v10, 63, v13
	v_and_b32_e32 v16, 0x1c0, v0
	v_mov_b32_e32 v3, s9
	v_add_co_u32_e32 v4, vcc, s8, v10
	v_mul_u32_u24_e32 v9, 6, v16
	v_addc_co_u32_e32 v5, vcc, 0, v3, vcc
	v_add_co_u32_e32 v3, vcc, v4, v9
	v_addc_co_u32_e32 v4, vcc, 0, v5, vcc
	v_or_b32_e32 v6, v10, v9
	s_mov_b32 s27, 0
	v_cmp_gt_u32_e32 vcc, s7, v6
	v_mov_b32_e32 v5, 0xff
	v_mov_b32_e32 v7, 0xff
	;; [unrolled: 1-line block ×3, first 2 shown]
	s_and_saveexec_b64 s[8:9], vcc
	s_cbranch_execz .LBB276_7
; %bb.6:
	global_load_ubyte v8, v[3:4], off
	s_waitcnt vmcnt(0)
	v_and_b32_e32 v5, 0xff, v8
.LBB276_7:
	s_or_b64 exec, exec, s[8:9]
	v_or_b32_e32 v11, 64, v6
	v_cmp_gt_u32_e64 s[8:9], s7, v11
	v_mov_b32_e32 v18, 0xff
	s_and_saveexec_b64 s[10:11], s[8:9]
	s_cbranch_execz .LBB276_9
; %bb.8:
	global_load_ubyte v7, v[3:4], off offset:64
	s_waitcnt vmcnt(0)
	v_and_b32_e32 v18, 0xff, v7
.LBB276_9:
	s_or_b64 exec, exec, s[10:11]
	v_add_u32_e32 v11, 0x80, v6
	v_cmp_gt_u32_e64 s[10:11], s7, v11
	v_mov_b32_e32 v20, 0xff
	v_mov_b32_e32 v11, 0xff
	;; [unrolled: 1-line block ×3, first 2 shown]
	s_and_saveexec_b64 s[12:13], s[10:11]
	s_cbranch_execz .LBB276_11
; %bb.10:
	global_load_ubyte v12, v[3:4], off offset:128
	s_waitcnt vmcnt(0)
	v_and_b32_e32 v20, 0xff, v12
.LBB276_11:
	s_or_b64 exec, exec, s[12:13]
	v_add_u32_e32 v14, 0xc0, v6
	v_cmp_gt_u32_e64 s[12:13], s7, v14
	v_mov_b32_e32 v23, 0xff
	s_and_saveexec_b64 s[14:15], s[12:13]
	s_cbranch_execz .LBB276_13
; %bb.12:
	global_load_ubyte v11, v[3:4], off offset:192
	s_waitcnt vmcnt(0)
	v_and_b32_e32 v23, 0xff, v11
.LBB276_13:
	s_or_b64 exec, exec, s[14:15]
	v_add_u32_e32 v14, 0x100, v6
	v_cmp_gt_u32_e64 s[14:15], s7, v14
	v_mov_b32_e32 v26, 0xff
	v_mov_b32_e32 v14, 0xff
	;; [unrolled: 1-line block ×3, first 2 shown]
	s_and_saveexec_b64 s[16:17], s[14:15]
	s_cbranch_execz .LBB276_15
; %bb.14:
	global_load_ubyte v15, v[3:4], off offset:256
	s_waitcnt vmcnt(0)
	v_and_b32_e32 v26, 0xff, v15
.LBB276_15:
	s_or_b64 exec, exec, s[16:17]
	v_add_u32_e32 v6, 0x140, v6
	v_cmp_gt_u32_e64 s[16:17], s7, v6
	v_mov_b32_e32 v6, 0xff
	s_and_saveexec_b64 s[18:19], s[16:17]
	s_cbranch_execz .LBB276_17
; %bb.16:
	global_load_ubyte v14, v[3:4], off offset:320
	s_waitcnt vmcnt(0)
	v_and_b32_e32 v6, 0xff, v14
.LBB276_17:
	s_or_b64 exec, exec, s[18:19]
	s_load_dword s18, s[4:5], 0x64
	s_load_dword s52, s[4:5], 0x58
	s_add_u32 s19, s4, 0x58
	s_addc_u32 s20, s5, 0
	v_mov_b32_e32 v3, 0
	s_waitcnt lgkmcnt(0)
	s_lshr_b32 s21, s18, 16
	s_cmp_lt_u32 s6, s52
	s_cselect_b32 s18, 12, 18
	s_add_u32 s18, s19, s18
	s_addc_u32 s19, s20, 0
	global_load_ushort v19, v3, s[18:19]
	s_lshl_b32 s18, -1, s45
	v_lshrrev_b32_e32 v4, s44, v5
	s_not_b32 s53, s18
	v_and_b32_e32 v22, s53, v4
	v_and_b32_e32 v24, 1, v22
	v_add_co_u32_e64 v25, s[18:19], -1, v24
	v_lshlrev_b32_e32 v4, 30, v22
	v_addc_co_u32_e64 v28, s[18:19], 0, -1, s[18:19]
	v_mad_u32_u24 v5, v2, s21, v1
	v_cmp_ne_u32_e64 s[18:19], 0, v24
	v_cmp_gt_i64_e64 s[20:21], 0, v[3:4]
	v_not_b32_e32 v24, v4
	v_lshlrev_b32_e32 v4, 29, v22
	v_xor_b32_e32 v28, s19, v28
	v_xor_b32_e32 v25, s18, v25
	v_ashrrev_i32_e32 v24, 31, v24
	v_cmp_gt_i64_e64 s[18:19], 0, v[3:4]
	v_not_b32_e32 v29, v4
	v_lshlrev_b32_e32 v4, 28, v22
	v_and_b32_e32 v28, exec_hi, v28
	v_and_b32_e32 v25, exec_lo, v25
	v_xor_b32_e32 v30, s21, v24
	v_xor_b32_e32 v24, s20, v24
	v_ashrrev_i32_e32 v29, 31, v29
	v_cmp_gt_i64_e64 s[20:21], 0, v[3:4]
	v_not_b32_e32 v31, v4
	v_lshlrev_b32_e32 v4, 27, v22
	v_and_b32_e32 v28, v28, v30
	v_and_b32_e32 v24, v25, v24
	v_xor_b32_e32 v25, s19, v29
	v_xor_b32_e32 v29, s18, v29
	v_ashrrev_i32_e32 v30, 31, v31
	v_cmp_gt_i64_e64 s[18:19], 0, v[3:4]
	v_not_b32_e32 v31, v4
	v_lshlrev_b32_e32 v4, 26, v22
	v_and_b32_e32 v25, v28, v25
	v_and_b32_e32 v24, v24, v29
	;; [unrolled: 8-line block ×3, first 2 shown]
	v_xor_b32_e32 v28, s19, v30
	v_xor_b32_e32 v29, s18, v30
	v_ashrrev_i32_e32 v30, 31, v31
	v_cmp_gt_i64_e64 s[18:19], 0, v[3:4]
	v_not_b32_e32 v31, v4
	v_mul_u32_u24_e32 v27, 36, v22
	v_lshlrev_b32_e32 v4, 24, v22
	v_and_b32_e32 v22, v25, v28
	v_and_b32_e32 v24, v24, v29
	v_xor_b32_e32 v25, s21, v30
	v_xor_b32_e32 v28, s20, v30
	v_ashrrev_i32_e32 v29, 31, v31
	v_and_b32_e32 v22, v22, v25
	v_and_b32_e32 v24, v24, v28
	v_xor_b32_e32 v25, s19, v29
	v_xor_b32_e32 v28, s18, v29
	v_and_b32_e32 v22, v22, v25
	v_and_b32_e32 v28, v24, v28
	v_cmp_gt_i64_e64 s[20:21], 0, v[3:4]
	v_not_b32_e32 v4, v4
	v_ashrrev_i32_e32 v4, 31, v4
	v_xor_b32_e32 v29, s21, v4
	v_xor_b32_e32 v4, s20, v4
	v_and_b32_e32 v4, v28, v4
	v_mul_u32_u24_e32 v21, 20, v0
	ds_write2_b32 v21, v3, v3 offset0:8 offset1:9
	ds_write2_b32 v21, v3, v3 offset0:10 offset1:11
	ds_write_b32 v21, v3 offset:48
	s_waitcnt vmcnt(0) lgkmcnt(0)
	s_barrier
	; wave barrier
	v_mad_u64_u32 v[24:25], s[18:19], v5, v19, v[0:1]
	v_and_b32_e32 v5, v22, v29
	v_cmp_ne_u64_e64 s[18:19], 0, v[4:5]
	v_lshrrev_b32_e32 v19, 4, v24
	v_and_b32_e32 v31, 0xffffffc, v19
	v_mbcnt_lo_u32_b32 v19, v4, 0
	v_mbcnt_hi_u32_b32 v24, v5, v19
	v_cmp_eq_u32_e64 s[20:21], 0, v24
	s_and_b64 s[20:21], s[18:19], s[20:21]
	v_add_u32_e32 v27, v31, v27
	s_and_saveexec_b64 s[18:19], s[20:21]
; %bb.18:
	v_bcnt_u32_b32 v4, v4, 0
	v_bcnt_u32_b32 v4, v5, v4
	ds_write_b32 v27, v4 offset:32
; %bb.19:
	s_or_b64 exec, exec, s[18:19]
	v_lshrrev_b32_e32 v4, s44, v18
	v_and_b32_e32 v5, s53, v4
	v_mad_u32_u24 v4, v5, 36, v31
	; wave barrier
	ds_read_b32 v18, v4 offset:32
	v_and_b32_e32 v4, 1, v5
	v_add_co_u32_e64 v19, s[18:19], -1, v4
	v_addc_co_u32_e64 v25, s[18:19], 0, -1, s[18:19]
	v_cmp_ne_u32_e64 s[18:19], 0, v4
	v_xor_b32_e32 v4, s19, v25
	v_and_b32_e32 v25, exec_hi, v4
	v_lshlrev_b32_e32 v4, 30, v5
	v_xor_b32_e32 v19, s18, v19
	v_cmp_gt_i64_e64 s[18:19], 0, v[3:4]
	v_not_b32_e32 v4, v4
	v_ashrrev_i32_e32 v4, 31, v4
	v_and_b32_e32 v19, exec_lo, v19
	v_xor_b32_e32 v28, s19, v4
	v_xor_b32_e32 v4, s18, v4
	v_and_b32_e32 v19, v19, v4
	v_lshlrev_b32_e32 v4, 29, v5
	v_cmp_gt_i64_e64 s[18:19], 0, v[3:4]
	v_not_b32_e32 v4, v4
	v_ashrrev_i32_e32 v4, 31, v4
	v_and_b32_e32 v25, v25, v28
	v_xor_b32_e32 v28, s19, v4
	v_xor_b32_e32 v4, s18, v4
	v_and_b32_e32 v19, v19, v4
	v_lshlrev_b32_e32 v4, 28, v5
	v_cmp_gt_i64_e64 s[18:19], 0, v[3:4]
	v_not_b32_e32 v4, v4
	v_ashrrev_i32_e32 v4, 31, v4
	v_and_b32_e32 v25, v25, v28
	;; [unrolled: 8-line block ×5, first 2 shown]
	v_xor_b32_e32 v28, s19, v4
	v_xor_b32_e32 v4, s18, v4
	v_and_b32_e32 v19, v19, v4
	v_lshlrev_b32_e32 v4, 24, v5
	v_cmp_gt_i64_e64 s[18:19], 0, v[3:4]
	v_not_b32_e32 v3, v4
	v_ashrrev_i32_e32 v3, 31, v3
	v_xor_b32_e32 v4, s19, v3
	v_xor_b32_e32 v3, s18, v3
	v_and_b32_e32 v25, v25, v28
	v_and_b32_e32 v3, v19, v3
	v_mul_u32_u24_e32 v22, 36, v5
	v_and_b32_e32 v4, v25, v4
	v_mbcnt_lo_u32_b32 v5, v3, 0
	v_mbcnt_hi_u32_b32 v19, v4, v5
	v_cmp_ne_u64_e64 s[18:19], 0, v[3:4]
	v_cmp_eq_u32_e64 s[20:21], 0, v19
	s_and_b64 s[20:21], s[18:19], s[20:21]
	v_add_u32_e32 v30, v31, v22
	; wave barrier
	s_and_saveexec_b64 s[18:19], s[20:21]
	s_cbranch_execz .LBB276_21
; %bb.20:
	v_bcnt_u32_b32 v3, v3, 0
	v_bcnt_u32_b32 v3, v4, v3
	s_waitcnt lgkmcnt(0)
	v_add_u32_e32 v3, v18, v3
	ds_write_b32 v30, v3 offset:32
.LBB276_21:
	s_or_b64 exec, exec, s[18:19]
	v_lshrrev_b32_e32 v3, s44, v20
	v_and_b32_e32 v5, s53, v3
	v_and_b32_e32 v4, 1, v5
	v_add_co_u32_e64 v22, s[18:19], -1, v4
	v_addc_co_u32_e64 v28, s[18:19], 0, -1, s[18:19]
	v_cmp_ne_u32_e64 s[18:19], 0, v4
	v_mad_u32_u24 v3, v5, 36, v31
	v_xor_b32_e32 v4, s19, v28
	; wave barrier
	ds_read_b32 v20, v3 offset:32
	v_mov_b32_e32 v3, 0
	v_and_b32_e32 v28, exec_hi, v4
	v_lshlrev_b32_e32 v4, 30, v5
	v_xor_b32_e32 v22, s18, v22
	v_cmp_gt_i64_e64 s[18:19], 0, v[3:4]
	v_not_b32_e32 v4, v4
	v_ashrrev_i32_e32 v4, 31, v4
	v_and_b32_e32 v22, exec_lo, v22
	v_xor_b32_e32 v29, s19, v4
	v_xor_b32_e32 v4, s18, v4
	v_and_b32_e32 v22, v22, v4
	v_lshlrev_b32_e32 v4, 29, v5
	v_cmp_gt_i64_e64 s[18:19], 0, v[3:4]
	v_not_b32_e32 v4, v4
	v_ashrrev_i32_e32 v4, 31, v4
	v_and_b32_e32 v28, v28, v29
	v_xor_b32_e32 v29, s19, v4
	v_xor_b32_e32 v4, s18, v4
	v_and_b32_e32 v22, v22, v4
	v_lshlrev_b32_e32 v4, 28, v5
	v_cmp_gt_i64_e64 s[18:19], 0, v[3:4]
	v_not_b32_e32 v4, v4
	v_ashrrev_i32_e32 v4, 31, v4
	v_and_b32_e32 v28, v28, v29
	;; [unrolled: 8-line block ×5, first 2 shown]
	v_xor_b32_e32 v29, s19, v4
	v_xor_b32_e32 v4, s18, v4
	v_and_b32_e32 v22, v22, v4
	v_lshlrev_b32_e32 v4, 24, v5
	v_cmp_gt_i64_e64 s[18:19], 0, v[3:4]
	v_not_b32_e32 v4, v4
	v_ashrrev_i32_e32 v4, 31, v4
	v_mul_u32_u24_e32 v25, 36, v5
	v_xor_b32_e32 v5, s19, v4
	v_xor_b32_e32 v4, s18, v4
	v_and_b32_e32 v28, v28, v29
	v_and_b32_e32 v4, v22, v4
	;; [unrolled: 1-line block ×3, first 2 shown]
	v_mbcnt_lo_u32_b32 v22, v4, 0
	v_mbcnt_hi_u32_b32 v22, v5, v22
	v_cmp_ne_u64_e64 s[18:19], 0, v[4:5]
	v_cmp_eq_u32_e64 s[20:21], 0, v22
	s_and_b64 s[20:21], s[18:19], s[20:21]
	v_add_u32_e32 v33, v31, v25
	; wave barrier
	s_and_saveexec_b64 s[18:19], s[20:21]
	s_cbranch_execz .LBB276_23
; %bb.22:
	v_bcnt_u32_b32 v4, v4, 0
	v_bcnt_u32_b32 v4, v5, v4
	s_waitcnt lgkmcnt(0)
	v_add_u32_e32 v4, v20, v4
	ds_write_b32 v33, v4 offset:32
.LBB276_23:
	s_or_b64 exec, exec, s[18:19]
	v_lshrrev_b32_e32 v4, s44, v23
	v_and_b32_e32 v5, s53, v4
	v_mad_u32_u24 v4, v5, 36, v31
	; wave barrier
	ds_read_b32 v23, v4 offset:32
	v_and_b32_e32 v4, 1, v5
	v_add_co_u32_e64 v25, s[18:19], -1, v4
	v_addc_co_u32_e64 v29, s[18:19], 0, -1, s[18:19]
	v_cmp_ne_u32_e64 s[18:19], 0, v4
	v_xor_b32_e32 v4, s19, v29
	v_and_b32_e32 v29, exec_hi, v4
	v_lshlrev_b32_e32 v4, 30, v5
	v_xor_b32_e32 v25, s18, v25
	v_cmp_gt_i64_e64 s[18:19], 0, v[3:4]
	v_not_b32_e32 v4, v4
	v_ashrrev_i32_e32 v4, 31, v4
	v_and_b32_e32 v25, exec_lo, v25
	v_xor_b32_e32 v32, s19, v4
	v_xor_b32_e32 v4, s18, v4
	v_and_b32_e32 v25, v25, v4
	v_lshlrev_b32_e32 v4, 29, v5
	v_cmp_gt_i64_e64 s[18:19], 0, v[3:4]
	v_not_b32_e32 v4, v4
	v_ashrrev_i32_e32 v4, 31, v4
	v_and_b32_e32 v29, v29, v32
	v_xor_b32_e32 v32, s19, v4
	v_xor_b32_e32 v4, s18, v4
	v_and_b32_e32 v25, v25, v4
	v_lshlrev_b32_e32 v4, 28, v5
	v_cmp_gt_i64_e64 s[18:19], 0, v[3:4]
	v_not_b32_e32 v4, v4
	v_ashrrev_i32_e32 v4, 31, v4
	v_and_b32_e32 v29, v29, v32
	v_xor_b32_e32 v32, s19, v4
	v_xor_b32_e32 v4, s18, v4
	v_and_b32_e32 v25, v25, v4
	v_lshlrev_b32_e32 v4, 27, v5
	v_cmp_gt_i64_e64 s[18:19], 0, v[3:4]
	v_not_b32_e32 v4, v4
	v_ashrrev_i32_e32 v4, 31, v4
	v_and_b32_e32 v29, v29, v32
	v_xor_b32_e32 v32, s19, v4
	v_xor_b32_e32 v4, s18, v4
	v_and_b32_e32 v25, v25, v4
	v_lshlrev_b32_e32 v4, 26, v5
	v_cmp_gt_i64_e64 s[18:19], 0, v[3:4]
	v_not_b32_e32 v4, v4
	v_ashrrev_i32_e32 v4, 31, v4
	v_and_b32_e32 v29, v29, v32
	v_xor_b32_e32 v32, s19, v4
	v_xor_b32_e32 v4, s18, v4
	v_and_b32_e32 v25, v25, v4
	v_lshlrev_b32_e32 v4, 25, v5
	v_cmp_gt_i64_e64 s[18:19], 0, v[3:4]
	v_not_b32_e32 v4, v4
	v_ashrrev_i32_e32 v4, 31, v4
	v_and_b32_e32 v29, v29, v32
	v_xor_b32_e32 v32, s19, v4
	v_xor_b32_e32 v4, s18, v4
	v_and_b32_e32 v25, v25, v4
	v_lshlrev_b32_e32 v4, 24, v5
	v_cmp_gt_i64_e64 s[18:19], 0, v[3:4]
	v_not_b32_e32 v3, v4
	v_ashrrev_i32_e32 v3, 31, v3
	v_xor_b32_e32 v4, s19, v3
	v_xor_b32_e32 v3, s18, v3
	v_and_b32_e32 v29, v29, v32
	v_and_b32_e32 v3, v25, v3
	v_mul_u32_u24_e32 v28, 36, v5
	v_and_b32_e32 v4, v29, v4
	v_mbcnt_lo_u32_b32 v5, v3, 0
	v_mbcnt_hi_u32_b32 v25, v4, v5
	v_cmp_ne_u64_e64 s[18:19], 0, v[3:4]
	v_cmp_eq_u32_e64 s[20:21], 0, v25
	s_and_b64 s[20:21], s[18:19], s[20:21]
	v_add_u32_e32 v34, v31, v28
	; wave barrier
	s_and_saveexec_b64 s[18:19], s[20:21]
	s_cbranch_execz .LBB276_25
; %bb.24:
	v_bcnt_u32_b32 v3, v3, 0
	v_bcnt_u32_b32 v3, v4, v3
	s_waitcnt lgkmcnt(0)
	v_add_u32_e32 v3, v23, v3
	ds_write_b32 v34, v3 offset:32
.LBB276_25:
	s_or_b64 exec, exec, s[18:19]
	v_lshrrev_b32_e32 v3, s44, v26
	v_and_b32_e32 v5, s53, v3
	v_and_b32_e32 v4, 1, v5
	v_add_co_u32_e64 v28, s[18:19], -1, v4
	v_addc_co_u32_e64 v32, s[18:19], 0, -1, s[18:19]
	v_cmp_ne_u32_e64 s[18:19], 0, v4
	v_mad_u32_u24 v3, v5, 36, v31
	v_xor_b32_e32 v4, s19, v32
	; wave barrier
	ds_read_b32 v26, v3 offset:32
	v_mov_b32_e32 v3, 0
	v_and_b32_e32 v32, exec_hi, v4
	v_lshlrev_b32_e32 v4, 30, v5
	v_xor_b32_e32 v28, s18, v28
	v_cmp_gt_i64_e64 s[18:19], 0, v[3:4]
	v_not_b32_e32 v4, v4
	v_ashrrev_i32_e32 v4, 31, v4
	v_and_b32_e32 v28, exec_lo, v28
	v_xor_b32_e32 v35, s19, v4
	v_xor_b32_e32 v4, s18, v4
	v_and_b32_e32 v28, v28, v4
	v_lshlrev_b32_e32 v4, 29, v5
	v_cmp_gt_i64_e64 s[18:19], 0, v[3:4]
	v_not_b32_e32 v4, v4
	v_ashrrev_i32_e32 v4, 31, v4
	v_and_b32_e32 v32, v32, v35
	v_xor_b32_e32 v35, s19, v4
	v_xor_b32_e32 v4, s18, v4
	v_and_b32_e32 v28, v28, v4
	v_lshlrev_b32_e32 v4, 28, v5
	v_cmp_gt_i64_e64 s[18:19], 0, v[3:4]
	v_not_b32_e32 v4, v4
	v_ashrrev_i32_e32 v4, 31, v4
	v_and_b32_e32 v32, v32, v35
	;; [unrolled: 8-line block ×5, first 2 shown]
	v_xor_b32_e32 v35, s19, v4
	v_xor_b32_e32 v4, s18, v4
	v_and_b32_e32 v28, v28, v4
	v_lshlrev_b32_e32 v4, 24, v5
	v_cmp_gt_i64_e64 s[18:19], 0, v[3:4]
	v_not_b32_e32 v4, v4
	v_ashrrev_i32_e32 v4, 31, v4
	v_mul_u32_u24_e32 v29, 36, v5
	v_xor_b32_e32 v5, s19, v4
	v_xor_b32_e32 v4, s18, v4
	v_and_b32_e32 v32, v32, v35
	v_and_b32_e32 v4, v28, v4
	;; [unrolled: 1-line block ×3, first 2 shown]
	v_mbcnt_lo_u32_b32 v28, v4, 0
	v_mbcnt_hi_u32_b32 v28, v5, v28
	v_cmp_ne_u64_e64 s[18:19], 0, v[4:5]
	v_cmp_eq_u32_e64 s[20:21], 0, v28
	s_and_b64 s[20:21], s[18:19], s[20:21]
	v_add_u32_e32 v35, v31, v29
	; wave barrier
	s_and_saveexec_b64 s[18:19], s[20:21]
	s_cbranch_execz .LBB276_27
; %bb.26:
	v_bcnt_u32_b32 v4, v4, 0
	v_bcnt_u32_b32 v4, v5, v4
	s_waitcnt lgkmcnt(0)
	v_add_u32_e32 v4, v26, v4
	ds_write_b32 v35, v4 offset:32
.LBB276_27:
	s_or_b64 exec, exec, s[18:19]
	v_lshrrev_b32_e32 v4, s44, v6
	v_and_b32_e32 v5, s53, v4
	v_mad_u32_u24 v4, v5, 36, v31
	; wave barrier
	ds_read_b32 v29, v4 offset:32
	v_and_b32_e32 v4, 1, v5
	v_add_co_u32_e64 v32, s[18:19], -1, v4
	v_addc_co_u32_e64 v36, s[18:19], 0, -1, s[18:19]
	v_cmp_ne_u32_e64 s[18:19], 0, v4
	v_xor_b32_e32 v4, s19, v36
	v_and_b32_e32 v36, exec_hi, v4
	v_lshlrev_b32_e32 v4, 30, v5
	v_xor_b32_e32 v32, s18, v32
	v_cmp_gt_i64_e64 s[18:19], 0, v[3:4]
	v_not_b32_e32 v4, v4
	v_ashrrev_i32_e32 v4, 31, v4
	v_and_b32_e32 v32, exec_lo, v32
	v_xor_b32_e32 v37, s19, v4
	v_xor_b32_e32 v4, s18, v4
	v_and_b32_e32 v32, v32, v4
	v_lshlrev_b32_e32 v4, 29, v5
	v_cmp_gt_i64_e64 s[18:19], 0, v[3:4]
	v_not_b32_e32 v4, v4
	v_ashrrev_i32_e32 v4, 31, v4
	v_and_b32_e32 v36, v36, v37
	v_xor_b32_e32 v37, s19, v4
	v_xor_b32_e32 v4, s18, v4
	v_and_b32_e32 v32, v32, v4
	v_lshlrev_b32_e32 v4, 28, v5
	v_cmp_gt_i64_e64 s[18:19], 0, v[3:4]
	v_not_b32_e32 v4, v4
	v_ashrrev_i32_e32 v4, 31, v4
	v_and_b32_e32 v36, v36, v37
	;; [unrolled: 8-line block ×5, first 2 shown]
	v_xor_b32_e32 v37, s19, v4
	v_xor_b32_e32 v4, s18, v4
	v_and_b32_e32 v32, v32, v4
	v_lshlrev_b32_e32 v4, 24, v5
	v_cmp_gt_i64_e64 s[18:19], 0, v[3:4]
	v_not_b32_e32 v3, v4
	v_ashrrev_i32_e32 v3, 31, v3
	v_xor_b32_e32 v4, s19, v3
	v_xor_b32_e32 v3, s18, v3
	v_and_b32_e32 v36, v36, v37
	v_and_b32_e32 v3, v32, v3
	v_mul_u32_u24_e32 v6, 36, v5
	v_and_b32_e32 v4, v36, v4
	v_mbcnt_lo_u32_b32 v5, v3, 0
	v_mbcnt_hi_u32_b32 v32, v4, v5
	v_cmp_ne_u64_e64 s[18:19], 0, v[3:4]
	v_cmp_eq_u32_e64 s[20:21], 0, v32
	s_and_b64 s[20:21], s[18:19], s[20:21]
	v_add_u32_e32 v36, v31, v6
	; wave barrier
	s_and_saveexec_b64 s[18:19], s[20:21]
	s_cbranch_execz .LBB276_29
; %bb.28:
	v_bcnt_u32_b32 v3, v3, 0
	v_bcnt_u32_b32 v3, v4, v3
	s_waitcnt lgkmcnt(0)
	v_add_u32_e32 v3, v29, v3
	ds_write_b32 v36, v3 offset:32
.LBB276_29:
	s_or_b64 exec, exec, s[18:19]
	; wave barrier
	s_waitcnt lgkmcnt(0)
	s_barrier
	ds_read2_b32 v[5:6], v21 offset0:8 offset1:9
	ds_read2_b32 v[3:4], v21 offset0:10 offset1:11
	ds_read_b32 v31, v21 offset:48
	v_min_u32_e32 v16, 0x1c0, v16
	v_or_b32_e32 v16, 63, v16
	s_waitcnt lgkmcnt(1)
	v_add3_u32 v37, v6, v5, v3
	s_waitcnt lgkmcnt(0)
	v_add3_u32 v31, v37, v4, v31
	v_and_b32_e32 v37, 15, v13
	v_cmp_ne_u32_e64 s[18:19], 0, v37
	v_mov_b32_dpp v38, v31 row_shr:1 row_mask:0xf bank_mask:0xf
	v_cndmask_b32_e64 v38, 0, v38, s[18:19]
	v_add_u32_e32 v31, v38, v31
	v_cmp_lt_u32_e64 s[18:19], 1, v37
	s_nop 0
	v_mov_b32_dpp v38, v31 row_shr:2 row_mask:0xf bank_mask:0xf
	v_cndmask_b32_e64 v38, 0, v38, s[18:19]
	v_add_u32_e32 v31, v31, v38
	v_cmp_lt_u32_e64 s[18:19], 3, v37
	s_nop 0
	v_mov_b32_dpp v38, v31 row_shr:4 row_mask:0xf bank_mask:0xf
	v_cndmask_b32_e64 v38, 0, v38, s[18:19]
	v_add_u32_e32 v31, v31, v38
	v_cmp_lt_u32_e64 s[18:19], 7, v37
	s_nop 0
	v_mov_b32_dpp v38, v31 row_shr:8 row_mask:0xf bank_mask:0xf
	v_cndmask_b32_e64 v37, 0, v38, s[18:19]
	v_add_u32_e32 v31, v31, v37
	v_bfe_i32 v38, v13, 4, 1
	v_cmp_lt_u32_e64 s[18:19], 31, v13
	v_mov_b32_dpp v37, v31 row_bcast:15 row_mask:0xf bank_mask:0xf
	v_and_b32_e32 v37, v38, v37
	v_add_u32_e32 v31, v31, v37
	s_nop 1
	v_mov_b32_dpp v37, v31 row_bcast:31 row_mask:0xf bank_mask:0xf
	v_cndmask_b32_e64 v37, 0, v37, s[18:19]
	v_add_u32_e32 v31, v31, v37
	v_lshrrev_b32_e32 v37, 6, v0
	v_cmp_eq_u32_e64 s[18:19], v0, v16
	s_and_saveexec_b64 s[20:21], s[18:19]
; %bb.30:
	v_lshlrev_b32_e32 v16, 2, v37
	ds_write_b32 v16, v31
; %bb.31:
	s_or_b64 exec, exec, s[20:21]
	v_cmp_gt_u32_e64 s[18:19], 8, v0
	s_waitcnt lgkmcnt(0)
	s_barrier
	s_and_saveexec_b64 s[24:25], s[18:19]
	s_cbranch_execz .LBB276_33
; %bb.32:
	v_lshlrev_b32_e32 v16, 2, v0
	ds_read_b32 v38, v16
	v_and_b32_e32 v39, 7, v13
	v_cmp_ne_u32_e64 s[18:19], 0, v39
	v_cmp_lt_u32_e64 s[20:21], 1, v39
	s_waitcnt lgkmcnt(0)
	v_mov_b32_dpp v40, v38 row_shr:1 row_mask:0xf bank_mask:0xf
	v_cndmask_b32_e64 v40, 0, v40, s[18:19]
	v_add_u32_e32 v38, v40, v38
	v_cmp_lt_u32_e64 s[18:19], 3, v39
	s_nop 0
	v_mov_b32_dpp v40, v38 row_shr:2 row_mask:0xf bank_mask:0xf
	v_cndmask_b32_e64 v40, 0, v40, s[20:21]
	v_add_u32_e32 v38, v38, v40
	s_nop 1
	v_mov_b32_dpp v40, v38 row_shr:4 row_mask:0xf bank_mask:0xf
	v_cndmask_b32_e64 v39, 0, v40, s[18:19]
	v_add_u32_e32 v38, v38, v39
	ds_write_b32 v16, v38
.LBB276_33:
	s_or_b64 exec, exec, s[24:25]
	v_cmp_lt_u32_e64 s[18:19], 63, v0
	v_mov_b32_e32 v16, 0
	s_waitcnt lgkmcnt(0)
	s_barrier
	s_and_saveexec_b64 s[20:21], s[18:19]
; %bb.34:
	v_lshl_add_u32 v16, v37, 2, -4
	ds_read_b32 v16, v16
; %bb.35:
	s_or_b64 exec, exec, s[20:21]
	v_subrev_co_u32_e64 v37, s[18:19], 1, v13
	v_and_b32_e32 v38, 64, v13
	v_cmp_lt_i32_e64 s[20:21], v37, v38
	v_cndmask_b32_e64 v13, v37, v13, s[20:21]
	s_waitcnt lgkmcnt(0)
	v_add_u32_e32 v31, v16, v31
	v_lshlrev_b32_e32 v13, 2, v13
	ds_bpermute_b32 v13, v13, v31
	s_movk_i32 s24, 0x100
	v_cmp_gt_u32_e64 s[20:21], s24, v0
	s_waitcnt lgkmcnt(0)
	v_cndmask_b32_e64 v13, v13, v16, s[18:19]
	v_cndmask_b32_e64 v13, v13, 0, s[22:23]
	v_add_u32_e32 v5, v13, v5
	v_add_u32_e32 v6, v5, v6
	;; [unrolled: 1-line block ×4, first 2 shown]
	ds_write2_b32 v21, v13, v5 offset0:8 offset1:9
	ds_write2_b32 v21, v6, v3 offset0:10 offset1:11
	ds_write_b32 v21, v4 offset:48
	s_waitcnt lgkmcnt(0)
	s_barrier
	ds_read_b32 v3, v27 offset:32
	ds_read_b32 v31, v30 offset:32
	;; [unrolled: 1-line block ×6, first 2 shown]
	s_movk_i32 s18, 0xff
	v_cmp_lt_u32_e64 s[18:19], s18, v0
                                        ; implicit-def: $vgpr21
                                        ; implicit-def: $vgpr27
	s_and_saveexec_b64 s[46:47], s[20:21]
	s_cbranch_execz .LBB276_39
; %bb.36:
	v_mul_u32_u24_e32 v4, 36, v0
	ds_read_b32 v21, v4 offset:32
	v_add_u32_e32 v5, 1, v0
	v_cmp_ne_u32_e64 s[24:25], s24, v5
	v_mov_b32_e32 v4, 0xc00
	s_and_saveexec_b64 s[48:49], s[24:25]
; %bb.37:
	v_mul_u32_u24_e32 v4, 36, v5
	ds_read_b32 v4, v4 offset:32
; %bb.38:
	s_or_b64 exec, exec, s[48:49]
	s_waitcnt lgkmcnt(0)
	v_sub_u32_e32 v27, v4, v21
.LBB276_39:
	s_or_b64 exec, exec, s[46:47]
	s_waitcnt lgkmcnt(5)
	v_add_u32_e32 v24, v3, v24
	s_waitcnt lgkmcnt(3)
	v_add3_u32 v4, v22, v20, v33
	v_add3_u32 v3, v19, v18, v31
	s_waitcnt lgkmcnt(2)
	v_add3_u32 v5, v25, v23, v34
	s_waitcnt lgkmcnt(1)
	;; [unrolled: 2-line block ×3, first 2 shown]
	v_add3_u32 v13, v32, v29, v36
	s_barrier
	ds_write_b8 v24, v8 offset:1024
	ds_write_b8 v3, v7 offset:1024
	;; [unrolled: 1-line block ×6, first 2 shown]
	v_mov_b32_e32 v4, 0
	v_lshlrev_b32_e32 v30, 2, v0
	s_and_saveexec_b64 s[24:25], s[20:21]
	s_cbranch_execz .LBB276_49
; %bb.40:
	v_lshl_add_u32 v3, s33, 8, v0
	v_lshlrev_b64 v[5:6], 2, v[3:4]
	v_mov_b32_e32 v11, s35
	v_add_co_u32_e64 v5, s[20:21], s34, v5
	v_addc_co_u32_e64 v6, s[20:21], v11, v6, s[20:21]
	v_or_b32_e32 v3, 2.0, v27
	s_mov_b64 s[46:47], 0
	s_brev_b32 s54, -4
	s_mov_b32 s55, s33
	v_mov_b32_e32 v12, 0
	global_store_dword v[5:6], v3, off
                                        ; implicit-def: $sgpr20_sgpr21
	s_branch .LBB276_43
.LBB276_41:                             ;   in Loop: Header=BB276_43 Depth=1
	s_or_b64 exec, exec, s[50:51]
.LBB276_42:                             ;   in Loop: Header=BB276_43 Depth=1
	s_or_b64 exec, exec, s[48:49]
	v_and_b32_e32 v7, 0x3fffffff, v3
	v_add_u32_e32 v12, v7, v12
	v_cmp_gt_i32_e64 s[20:21], -2.0, v3
	s_and_b64 s[48:49], exec, s[20:21]
	s_or_b64 s[46:47], s[48:49], s[46:47]
	s_andn2_b64 exec, exec, s[46:47]
	s_cbranch_execz .LBB276_48
.LBB276_43:                             ; =>This Loop Header: Depth=1
                                        ;     Child Loop BB276_46 Depth 2
	s_or_b64 s[20:21], s[20:21], exec
	s_cmp_eq_u32 s55, 0
	s_cbranch_scc1 .LBB276_47
; %bb.44:                               ;   in Loop: Header=BB276_43 Depth=1
	s_add_i32 s55, s55, -1
	v_lshl_or_b32 v3, s55, 8, v0
	v_lshlrev_b64 v[7:8], 2, v[3:4]
	v_add_co_u32_e64 v7, s[20:21], s34, v7
	v_addc_co_u32_e64 v8, s[20:21], v11, v8, s[20:21]
	global_load_dword v3, v[7:8], off glc
	s_waitcnt vmcnt(0)
	v_cmp_gt_u32_e64 s[20:21], 2.0, v3
	s_and_saveexec_b64 s[48:49], s[20:21]
	s_cbranch_execz .LBB276_42
; %bb.45:                               ;   in Loop: Header=BB276_43 Depth=1
	s_mov_b64 s[50:51], 0
.LBB276_46:                             ;   Parent Loop BB276_43 Depth=1
                                        ; =>  This Inner Loop Header: Depth=2
	global_load_dword v3, v[7:8], off glc
	s_waitcnt vmcnt(0)
	v_cmp_lt_u32_e64 s[20:21], s54, v3
	s_or_b64 s[50:51], s[20:21], s[50:51]
	s_andn2_b64 exec, exec, s[50:51]
	s_cbranch_execnz .LBB276_46
	s_branch .LBB276_41
.LBB276_47:                             ;   in Loop: Header=BB276_43 Depth=1
                                        ; implicit-def: $sgpr55
	s_and_b64 s[48:49], exec, s[20:21]
	s_or_b64 s[46:47], s[48:49], s[46:47]
	s_andn2_b64 exec, exec, s[46:47]
	s_cbranch_execnz .LBB276_43
.LBB276_48:
	s_or_b64 exec, exec, s[46:47]
	v_add_u32_e32 v3, v12, v27
	v_or_b32_e32 v3, 0x80000000, v3
	global_store_dword v[5:6], v3, off
	global_load_dword v3, v30, s[28:29]
	v_sub_u32_e32 v4, v12, v21
	s_waitcnt vmcnt(0)
	v_add_u32_e32 v3, v4, v3
	ds_write_b32 v30, v3
.LBB276_49:
	s_or_b64 exec, exec, s[24:25]
	v_cmp_gt_u32_e64 s[20:21], s7, v0
	s_waitcnt lgkmcnt(0)
	s_barrier
	s_and_saveexec_b64 s[24:25], s[20:21]
	s_cbranch_execz .LBB276_51
; %bb.50:
	ds_read_u8 v3, v0 offset:1024
	s_waitcnt lgkmcnt(0)
	v_lshrrev_b32_sdwa v4, s44, v3 dst_sel:DWORD dst_unused:UNUSED_PAD src0_sel:DWORD src1_sel:BYTE_0
	v_and_b32_e32 v4, s53, v4
	v_lshlrev_b32_e32 v5, 2, v4
	ds_read_b32 v5, v5
	buffer_store_dword v4, off, s[0:3], 0
	s_waitcnt lgkmcnt(0)
	v_add_u32_e32 v5, v5, v0
	global_store_byte v5, v3, s[38:39]
.LBB276_51:
	s_or_b64 exec, exec, s[24:25]
	v_or_b32_e32 v3, 0x200, v0
	v_cmp_gt_u32_e64 s[20:21], s7, v3
	s_and_saveexec_b64 s[24:25], s[20:21]
	s_cbranch_execz .LBB276_53
; %bb.52:
	ds_read_u8 v4, v0 offset:1536
	s_waitcnt lgkmcnt(0)
	v_lshrrev_b32_sdwa v5, s44, v4 dst_sel:DWORD dst_unused:UNUSED_PAD src0_sel:DWORD src1_sel:BYTE_0
	v_and_b32_e32 v5, s53, v5
	v_lshlrev_b32_e32 v6, 2, v5
	ds_read_b32 v6, v6
	buffer_store_dword v5, off, s[0:3], 0 offset:4
	s_waitcnt lgkmcnt(0)
	v_add_u32_e32 v3, v6, v3
	global_store_byte v3, v4, s[38:39]
.LBB276_53:
	s_or_b64 exec, exec, s[24:25]
	v_or_b32_e32 v3, 0x400, v0
	v_cmp_gt_u32_e64 s[20:21], s7, v3
	s_and_saveexec_b64 s[24:25], s[20:21]
	s_cbranch_execz .LBB276_55
; %bb.54:
	ds_read_u8 v4, v0 offset:2048
	s_waitcnt lgkmcnt(0)
	v_lshrrev_b32_sdwa v5, s44, v4 dst_sel:DWORD dst_unused:UNUSED_PAD src0_sel:DWORD src1_sel:BYTE_0
	v_and_b32_e32 v5, s53, v5
	v_lshlrev_b32_e32 v6, 2, v5
	ds_read_b32 v6, v6
	buffer_store_dword v5, off, s[0:3], 0 offset:8
	s_waitcnt lgkmcnt(0)
	v_add_u32_e32 v3, v6, v3
	global_store_byte v3, v4, s[38:39]
.LBB276_55:
	;; [unrolled: 17-line block ×5, first 2 shown]
	s_or_b64 exec, exec, s[24:25]
	s_lshl_b64 s[20:21], s[26:27], 3
	s_add_u32 s20, s40, s20
	s_addc_u32 s21, s41, s21
	v_lshlrev_b32_e32 v3, 3, v10
	v_mov_b32_e32 v4, s21
	v_add_co_u32_e64 v3, s[20:21], s20, v3
	v_addc_co_u32_e64 v4, s[20:21], 0, v4, s[20:21]
	v_lshlrev_b32_e32 v5, 3, v9
	v_add_co_u32_e64 v15, s[20:21], v3, v5
	v_addc_co_u32_e64 v16, s[20:21], 0, v4, s[20:21]
                                        ; implicit-def: $vgpr3_vgpr4
	s_and_saveexec_b64 s[20:21], vcc
	s_xor_b64 s[20:21], exec, s[20:21]
	s_cbranch_execz .LBB276_67
; %bb.62:
	global_load_dwordx2 v[3:4], v[15:16], off
	s_or_b64 exec, exec, s[20:21]
                                        ; implicit-def: $vgpr5_vgpr6
	s_and_saveexec_b64 s[20:21], s[8:9]
	s_cbranch_execnz .LBB276_68
.LBB276_63:
	s_or_b64 exec, exec, s[20:21]
                                        ; implicit-def: $vgpr7_vgpr8
	s_and_saveexec_b64 s[8:9], s[10:11]
	s_cbranch_execz .LBB276_69
.LBB276_64:
	global_load_dwordx2 v[7:8], v[15:16], off offset:1024
	s_or_b64 exec, exec, s[8:9]
                                        ; implicit-def: $vgpr9_vgpr10
	s_and_saveexec_b64 s[8:9], s[12:13]
	s_cbranch_execnz .LBB276_70
.LBB276_65:
	s_or_b64 exec, exec, s[8:9]
                                        ; implicit-def: $vgpr11_vgpr12
	s_and_saveexec_b64 s[8:9], s[14:15]
	s_cbranch_execz .LBB276_71
.LBB276_66:
	global_load_dwordx2 v[11:12], v[15:16], off offset:2048
	s_or_b64 exec, exec, s[8:9]
                                        ; implicit-def: $vgpr13_vgpr14
	s_and_saveexec_b64 s[8:9], s[16:17]
	s_cbranch_execnz .LBB276_72
	s_branch .LBB276_73
.LBB276_67:
	s_or_b64 exec, exec, s[20:21]
                                        ; implicit-def: $vgpr5_vgpr6
	s_and_saveexec_b64 s[20:21], s[8:9]
	s_cbranch_execz .LBB276_63
.LBB276_68:
	global_load_dwordx2 v[5:6], v[15:16], off offset:512
	s_or_b64 exec, exec, s[20:21]
                                        ; implicit-def: $vgpr7_vgpr8
	s_and_saveexec_b64 s[8:9], s[10:11]
	s_cbranch_execnz .LBB276_64
.LBB276_69:
	s_or_b64 exec, exec, s[8:9]
                                        ; implicit-def: $vgpr9_vgpr10
	s_and_saveexec_b64 s[8:9], s[12:13]
	s_cbranch_execz .LBB276_65
.LBB276_70:
	global_load_dwordx2 v[9:10], v[15:16], off offset:1536
	s_or_b64 exec, exec, s[8:9]
                                        ; implicit-def: $vgpr11_vgpr12
	s_and_saveexec_b64 s[8:9], s[14:15]
	s_cbranch_execnz .LBB276_66
.LBB276_71:
	s_or_b64 exec, exec, s[8:9]
                                        ; implicit-def: $vgpr13_vgpr14
	s_and_saveexec_b64 s[8:9], s[16:17]
	s_cbranch_execz .LBB276_73
.LBB276_72:
	global_load_dwordx2 v[13:14], v[15:16], off offset:2560
.LBB276_73:
	s_or_b64 exec, exec, s[8:9]
	v_lshlrev_b32_e32 v37, 3, v0
	v_add3_u32 v29, v32, v36, v29
	v_add3_u32 v26, v28, v35, v26
	;; [unrolled: 1-line block ×5, first 2 shown]
	s_mov_b32 s10, 0
	s_mov_b32 s11, 0
	v_mov_b32_e32 v16, 0
	s_movk_i32 s12, 0x200
	v_mov_b32_e32 v19, v0
	s_waitcnt vmcnt(0)
	s_barrier
	s_branch .LBB276_75
.LBB276_74:                             ;   in Loop: Header=BB276_75 Depth=1
	s_or_b64 exec, exec, s[8:9]
	s_addk_i32 s11, 0xfc00
	s_add_i32 s10, s10, 8
	s_cmpk_eq_i32 s11, 0xf400
	v_add_u32_e32 v19, 0x400, v19
	s_waitcnt vmcnt(0)
	s_barrier
	s_cbranch_scc1 .LBB276_79
.LBB276_75:                             ; =>This Inner Loop Header: Depth=1
	v_add_u32_e32 v15, s11, v24
	v_min_u32_e32 v15, 0x400, v15
	v_lshlrev_b32_e32 v15, 3, v15
	ds_write_b64 v15, v[3:4] offset:1024
	v_add_u32_e32 v15, s11, v18
	v_min_u32_e32 v15, 0x400, v15
	v_lshlrev_b32_e32 v15, 3, v15
	ds_write_b64 v15, v[5:6] offset:1024
	v_add_u32_e32 v15, s11, v20
	v_min_u32_e32 v15, 0x400, v15
	v_lshlrev_b32_e32 v15, 3, v15
	ds_write_b64 v15, v[7:8] offset:1024
	v_add_u32_e32 v15, s11, v23
	v_min_u32_e32 v15, 0x400, v15
	v_lshlrev_b32_e32 v15, 3, v15
	ds_write_b64 v15, v[9:10] offset:1024
	v_add_u32_e32 v15, s11, v26
	v_min_u32_e32 v15, 0x400, v15
	v_lshlrev_b32_e32 v15, 3, v15
	ds_write_b64 v15, v[11:12] offset:1024
	v_add_u32_e32 v15, s11, v29
	v_min_u32_e32 v15, 0x400, v15
	v_lshlrev_b32_e32 v15, 3, v15
	v_cmp_gt_u32_e32 vcc, s7, v19
	ds_write_b64 v15, v[13:14] offset:1024
	s_waitcnt lgkmcnt(0)
	s_barrier
	s_and_saveexec_b64 s[8:9], vcc
	s_cbranch_execz .LBB276_77
; %bb.76:                               ;   in Loop: Header=BB276_75 Depth=1
	v_mov_b32_e32 v15, s10
	buffer_load_dword v15, v15, s[0:3], 0 offen
	v_mov_b32_e32 v22, s43
	s_waitcnt vmcnt(0)
	v_lshlrev_b32_e32 v15, 2, v15
	ds_read_b32 v15, v15
	ds_read_b64 v[31:32], v37 offset:1024
	s_waitcnt lgkmcnt(1)
	v_add_u32_e32 v15, v19, v15
	v_lshlrev_b64 v[33:34], 3, v[15:16]
	v_add_co_u32_e32 v33, vcc, s42, v33
	v_addc_co_u32_e32 v34, vcc, v22, v34, vcc
	s_waitcnt lgkmcnt(0)
	global_store_dwordx2 v[33:34], v[31:32], off
.LBB276_77:                             ;   in Loop: Header=BB276_75 Depth=1
	s_or_b64 exec, exec, s[8:9]
	v_add_u32_e32 v15, 0x200, v19
	v_cmp_gt_u32_e32 vcc, s7, v15
	s_and_saveexec_b64 s[8:9], vcc
	s_cbranch_execz .LBB276_74
; %bb.78:                               ;   in Loop: Header=BB276_75 Depth=1
	v_mov_b32_e32 v15, s10
	buffer_load_dword v15, v15, s[0:3], 0 offen offset:4
	v_mov_b32_e32 v22, s43
	s_waitcnt vmcnt(0)
	v_lshlrev_b32_e32 v15, 2, v15
	ds_read_b32 v15, v15
	ds_read_b64 v[31:32], v37 offset:5120
	s_waitcnt lgkmcnt(1)
	v_add3_u32 v15, v19, v15, s12
	v_lshlrev_b64 v[33:34], 3, v[15:16]
	v_add_co_u32_e32 v33, vcc, s42, v33
	v_addc_co_u32_e32 v34, vcc, v22, v34, vcc
	s_waitcnt lgkmcnt(0)
	global_store_dwordx2 v[33:34], v[31:32], off
	s_branch .LBB276_74
.LBB276_79:
	s_add_i32 s52, s52, -1
	s_cmp_eq_u32 s33, s52
	s_cselect_b64 s[8:9], -1, 0
	s_xor_b64 s[10:11], s[18:19], -1
	s_and_b64 s[10:11], s[10:11], s[8:9]
	s_and_saveexec_b64 s[8:9], s[10:11]
	s_cbranch_execz .LBB276_81
; %bb.80:
	ds_read_b32 v3, v30
	s_waitcnt lgkmcnt(0)
	v_add3_u32 v3, v21, v27, v3
	global_store_dword v30, v3, s[30:31]
.LBB276_81:
	s_or_b64 exec, exec, s[8:9]
	s_mov_b64 s[8:9], 0
.LBB276_82:
	s_and_b64 vcc, exec, s[8:9]
	s_cbranch_vccz .LBB276_119
; %bb.83:
	s_add_u32 s7, s36, s26
	v_mbcnt_hi_u32_b32 v9, -1, v17
	s_addc_u32 s8, s37, 0
	v_and_b32_e32 v8, 63, v9
	v_and_b32_e32 v10, 0x1c0, v0
	v_mov_b32_e32 v3, s8
	v_add_co_u32_e32 v4, vcc, s7, v8
	v_mul_u32_u24_e32 v7, 6, v10
	v_addc_co_u32_e32 v3, vcc, 0, v3, vcc
	v_add_co_u32_e32 v4, vcc, v4, v7
	v_addc_co_u32_e32 v5, vcc, 0, v3, vcc
	global_load_ubyte v6, v[4:5], off
	s_load_dword s7, s[4:5], 0x64
	s_load_dword s14, s[4:5], 0x58
	s_add_u32 s4, s4, 0x58
	s_addc_u32 s5, s5, 0
	v_mov_b32_e32 v3, 0
	s_waitcnt lgkmcnt(0)
	s_lshr_b32 s7, s7, 16
	s_cmp_lt_u32 s6, s14
	s_cselect_b32 s6, 12, 18
	s_add_u32 s4, s4, s6
	s_addc_u32 s5, s5, 0
	global_load_ushort v13, v3, s[4:5]
	global_load_ubyte v11, v[4:5], off offset:64
	global_load_ubyte v12, v[4:5], off offset:128
	;; [unrolled: 1-line block ×5, first 2 shown]
	s_lshl_b32 s4, -1, s45
	s_not_b32 s15, s4
	v_mad_u32_u24 v1, v2, s7, v1
	s_mov_b32 s27, 0
	v_mul_u32_u24_e32 v23, 20, v0
	ds_write2_b32 v23, v3, v3 offset0:8 offset1:9
	ds_write2_b32 v23, v3, v3 offset0:10 offset1:11
	ds_write_b32 v23, v3 offset:48
	s_waitcnt vmcnt(0) lgkmcnt(0)
	s_barrier
	; wave barrier
	v_lshrrev_b32_sdwa v4, s44, v6 dst_sel:DWORD dst_unused:UNUSED_PAD src0_sel:DWORD src1_sel:BYTE_0
	v_and_b32_e32 v15, s15, v4
	v_and_b32_e32 v5, 1, v15
	v_add_co_u32_e32 v16, vcc, -1, v5
	v_lshlrev_b32_e32 v4, 30, v15
	v_addc_co_u32_e64 v19, s[4:5], 0, -1, vcc
	v_cmp_ne_u32_e32 vcc, 0, v5
	v_cmp_gt_i64_e64 s[4:5], 0, v[3:4]
	v_not_b32_e32 v5, v4
	v_lshlrev_b32_e32 v4, 29, v15
	v_xor_b32_e32 v19, vcc_hi, v19
	v_ashrrev_i32_e32 v5, 31, v5
	v_xor_b32_e32 v16, vcc_lo, v16
	v_cmp_gt_i64_e32 vcc, 0, v[3:4]
	v_not_b32_e32 v20, v4
	v_lshlrev_b32_e32 v4, 28, v15
	v_and_b32_e32 v19, exec_hi, v19
	v_xor_b32_e32 v21, s5, v5
	v_and_b32_e32 v16, exec_lo, v16
	v_xor_b32_e32 v5, s4, v5
	v_ashrrev_i32_e32 v20, 31, v20
	v_cmp_gt_i64_e64 s[4:5], 0, v[3:4]
	v_not_b32_e32 v22, v4
	v_lshlrev_b32_e32 v4, 27, v15
	v_and_b32_e32 v19, v19, v21
	v_and_b32_e32 v5, v16, v5
	v_xor_b32_e32 v16, vcc_hi, v20
	v_xor_b32_e32 v20, vcc_lo, v20
	v_ashrrev_i32_e32 v21, 31, v22
	v_cmp_gt_i64_e32 vcc, 0, v[3:4]
	v_not_b32_e32 v22, v4
	v_lshlrev_b32_e32 v4, 26, v15
	v_and_b32_e32 v16, v19, v16
	v_and_b32_e32 v5, v5, v20
	v_xor_b32_e32 v19, s5, v21
	v_xor_b32_e32 v20, s4, v21
	v_ashrrev_i32_e32 v21, 31, v22
	v_cmp_gt_i64_e64 s[4:5], 0, v[3:4]
	v_not_b32_e32 v22, v4
	v_lshlrev_b32_e32 v4, 25, v15
	v_and_b32_e32 v16, v16, v19
	v_and_b32_e32 v5, v5, v20
	v_xor_b32_e32 v19, vcc_hi, v21
	v_xor_b32_e32 v20, vcc_lo, v21
	v_ashrrev_i32_e32 v21, 31, v22
	v_cmp_gt_i64_e32 vcc, 0, v[3:4]
	v_not_b32_e32 v22, v4
	v_lshlrev_b32_e32 v4, 24, v15
	v_and_b32_e32 v16, v16, v19
	v_and_b32_e32 v5, v5, v20
	v_xor_b32_e32 v19, s5, v21
	v_xor_b32_e32 v20, s4, v21
	v_ashrrev_i32_e32 v21, 31, v22
	v_cmp_gt_i64_e64 s[4:5], 0, v[3:4]
	v_not_b32_e32 v4, v4
	v_and_b32_e32 v16, v16, v19
	v_and_b32_e32 v5, v5, v20
	v_xor_b32_e32 v19, vcc_hi, v21
	v_xor_b32_e32 v20, vcc_lo, v21
	v_ashrrev_i32_e32 v4, 31, v4
	v_and_b32_e32 v16, v16, v19
	v_and_b32_e32 v19, v5, v20
	v_xor_b32_e32 v5, s5, v4
	v_xor_b32_e32 v4, s4, v4
	v_mad_u64_u32 v[1:2], s[4:5], v1, v13, v[0:1]
	v_and_b32_e32 v4, v19, v4
	v_and_b32_e32 v5, v16, v5
	v_mbcnt_lo_u32_b32 v2, v4, 0
	v_lshrrev_b32_e32 v1, 4, v1
	v_mbcnt_hi_u32_b32 v21, v5, v2
	v_cmp_ne_u64_e32 vcc, 0, v[4:5]
	v_and_b32_e32 v27, 0xffffffc, v1
	v_mul_u32_u24_e32 v1, 36, v15
	v_cmp_eq_u32_e64 s[4:5], 0, v21
	s_and_b64 s[6:7], vcc, s[4:5]
	v_add_u32_e32 v25, v27, v1
	s_and_saveexec_b64 s[4:5], s[6:7]
; %bb.84:
	v_bcnt_u32_b32 v1, v4, 0
	v_bcnt_u32_b32 v1, v5, v1
	ds_write_b32 v25, v1 offset:32
; %bb.85:
	s_or_b64 exec, exec, s[4:5]
	v_lshrrev_b32_sdwa v1, s44, v11 dst_sel:DWORD dst_unused:UNUSED_PAD src0_sel:DWORD src1_sel:BYTE_0
	v_and_b32_e32 v1, s15, v1
	v_mad_u32_u24 v2, v1, 36, v27
	; wave barrier
	ds_read_b32 v13, v2 offset:32
	v_and_b32_e32 v2, 1, v1
	v_add_co_u32_e32 v4, vcc, -1, v2
	v_addc_co_u32_e64 v15, s[4:5], 0, -1, vcc
	v_cmp_ne_u32_e32 vcc, 0, v2
	v_xor_b32_e32 v4, vcc_lo, v4
	v_xor_b32_e32 v2, vcc_hi, v15
	v_and_b32_e32 v15, exec_lo, v4
	v_lshlrev_b32_e32 v4, 30, v1
	v_cmp_gt_i64_e32 vcc, 0, v[3:4]
	v_not_b32_e32 v4, v4
	v_ashrrev_i32_e32 v4, 31, v4
	v_xor_b32_e32 v16, vcc_hi, v4
	v_xor_b32_e32 v4, vcc_lo, v4
	v_and_b32_e32 v15, v15, v4
	v_lshlrev_b32_e32 v4, 29, v1
	v_cmp_gt_i64_e32 vcc, 0, v[3:4]
	v_not_b32_e32 v4, v4
	v_and_b32_e32 v2, exec_hi, v2
	v_ashrrev_i32_e32 v4, 31, v4
	v_and_b32_e32 v2, v2, v16
	v_xor_b32_e32 v16, vcc_hi, v4
	v_xor_b32_e32 v4, vcc_lo, v4
	v_and_b32_e32 v15, v15, v4
	v_lshlrev_b32_e32 v4, 28, v1
	v_cmp_gt_i64_e32 vcc, 0, v[3:4]
	v_not_b32_e32 v4, v4
	v_ashrrev_i32_e32 v4, 31, v4
	v_and_b32_e32 v2, v2, v16
	v_xor_b32_e32 v16, vcc_hi, v4
	v_xor_b32_e32 v4, vcc_lo, v4
	v_and_b32_e32 v15, v15, v4
	v_lshlrev_b32_e32 v4, 27, v1
	v_cmp_gt_i64_e32 vcc, 0, v[3:4]
	v_not_b32_e32 v4, v4
	;; [unrolled: 8-line block ×4, first 2 shown]
	v_ashrrev_i32_e32 v4, 31, v4
	v_and_b32_e32 v2, v2, v16
	v_xor_b32_e32 v16, vcc_hi, v4
	v_xor_b32_e32 v4, vcc_lo, v4
	v_and_b32_e32 v15, v15, v4
	v_lshlrev_b32_e32 v4, 24, v1
	v_mul_u32_u24_e32 v5, 36, v1
	v_cmp_gt_i64_e32 vcc, 0, v[3:4]
	v_not_b32_e32 v1, v4
	v_ashrrev_i32_e32 v1, 31, v1
	v_xor_b32_e32 v3, vcc_hi, v1
	v_xor_b32_e32 v1, vcc_lo, v1
	v_and_b32_e32 v2, v2, v16
	v_and_b32_e32 v1, v15, v1
	;; [unrolled: 1-line block ×3, first 2 shown]
	v_mbcnt_lo_u32_b32 v3, v1, 0
	v_mbcnt_hi_u32_b32 v15, v2, v3
	v_cmp_ne_u64_e32 vcc, 0, v[1:2]
	v_cmp_eq_u32_e64 s[4:5], 0, v15
	s_and_b64 s[6:7], vcc, s[4:5]
	v_add_u32_e32 v5, v27, v5
	; wave barrier
	s_and_saveexec_b64 s[4:5], s[6:7]
	s_cbranch_execz .LBB276_87
; %bb.86:
	v_bcnt_u32_b32 v1, v1, 0
	v_bcnt_u32_b32 v1, v2, v1
	s_waitcnt lgkmcnt(0)
	v_add_u32_e32 v1, v13, v1
	ds_write_b32 v5, v1 offset:32
.LBB276_87:
	s_or_b64 exec, exec, s[4:5]
	v_lshrrev_b32_sdwa v1, s44, v12 dst_sel:DWORD dst_unused:UNUSED_PAD src0_sel:DWORD src1_sel:BYTE_0
	v_and_b32_e32 v3, s15, v1
	v_and_b32_e32 v2, 1, v3
	v_add_co_u32_e32 v19, vcc, -1, v2
	v_addc_co_u32_e64 v20, s[4:5], 0, -1, vcc
	v_cmp_ne_u32_e32 vcc, 0, v2
	v_mad_u32_u24 v1, v3, 36, v27
	v_xor_b32_e32 v2, vcc_hi, v20
	; wave barrier
	ds_read_b32 v16, v1 offset:32
	v_mov_b32_e32 v1, 0
	v_and_b32_e32 v20, exec_hi, v2
	v_lshlrev_b32_e32 v2, 30, v3
	v_xor_b32_e32 v19, vcc_lo, v19
	v_cmp_gt_i64_e32 vcc, 0, v[1:2]
	v_not_b32_e32 v2, v2
	v_ashrrev_i32_e32 v2, 31, v2
	v_and_b32_e32 v19, exec_lo, v19
	v_xor_b32_e32 v22, vcc_hi, v2
	v_xor_b32_e32 v2, vcc_lo, v2
	v_and_b32_e32 v19, v19, v2
	v_lshlrev_b32_e32 v2, 29, v3
	v_cmp_gt_i64_e32 vcc, 0, v[1:2]
	v_not_b32_e32 v2, v2
	v_ashrrev_i32_e32 v2, 31, v2
	v_and_b32_e32 v20, v20, v22
	v_xor_b32_e32 v22, vcc_hi, v2
	v_xor_b32_e32 v2, vcc_lo, v2
	v_and_b32_e32 v19, v19, v2
	v_lshlrev_b32_e32 v2, 28, v3
	v_cmp_gt_i64_e32 vcc, 0, v[1:2]
	v_not_b32_e32 v2, v2
	v_ashrrev_i32_e32 v2, 31, v2
	v_and_b32_e32 v20, v20, v22
	v_xor_b32_e32 v22, vcc_hi, v2
	v_xor_b32_e32 v2, vcc_lo, v2
	v_and_b32_e32 v19, v19, v2
	v_lshlrev_b32_e32 v2, 27, v3
	v_cmp_gt_i64_e32 vcc, 0, v[1:2]
	v_not_b32_e32 v2, v2
	v_ashrrev_i32_e32 v2, 31, v2
	v_and_b32_e32 v20, v20, v22
	v_xor_b32_e32 v22, vcc_hi, v2
	v_xor_b32_e32 v2, vcc_lo, v2
	v_and_b32_e32 v19, v19, v2
	v_lshlrev_b32_e32 v2, 26, v3
	v_cmp_gt_i64_e32 vcc, 0, v[1:2]
	v_not_b32_e32 v2, v2
	v_ashrrev_i32_e32 v2, 31, v2
	v_and_b32_e32 v20, v20, v22
	v_xor_b32_e32 v22, vcc_hi, v2
	v_xor_b32_e32 v2, vcc_lo, v2
	v_and_b32_e32 v19, v19, v2
	v_lshlrev_b32_e32 v2, 25, v3
	v_cmp_gt_i64_e32 vcc, 0, v[1:2]
	v_not_b32_e32 v2, v2
	v_ashrrev_i32_e32 v2, 31, v2
	v_and_b32_e32 v20, v20, v22
	v_xor_b32_e32 v22, vcc_hi, v2
	v_xor_b32_e32 v2, vcc_lo, v2
	v_and_b32_e32 v19, v19, v2
	v_lshlrev_b32_e32 v2, 24, v3
	v_cmp_gt_i64_e32 vcc, 0, v[1:2]
	v_not_b32_e32 v2, v2
	v_ashrrev_i32_e32 v2, 31, v2
	v_mul_u32_u24_e32 v4, 36, v3
	v_xor_b32_e32 v3, vcc_hi, v2
	v_xor_b32_e32 v2, vcc_lo, v2
	v_and_b32_e32 v20, v20, v22
	v_and_b32_e32 v2, v19, v2
	;; [unrolled: 1-line block ×3, first 2 shown]
	v_mbcnt_lo_u32_b32 v19, v2, 0
	v_mbcnt_hi_u32_b32 v19, v3, v19
	v_cmp_ne_u64_e32 vcc, 0, v[2:3]
	v_cmp_eq_u32_e64 s[4:5], 0, v19
	s_and_b64 s[6:7], vcc, s[4:5]
	v_add_u32_e32 v30, v27, v4
	; wave barrier
	s_and_saveexec_b64 s[4:5], s[6:7]
	s_cbranch_execz .LBB276_89
; %bb.88:
	v_bcnt_u32_b32 v2, v2, 0
	v_bcnt_u32_b32 v2, v3, v2
	s_waitcnt lgkmcnt(0)
	v_add_u32_e32 v2, v16, v2
	ds_write_b32 v30, v2 offset:32
.LBB276_89:
	s_or_b64 exec, exec, s[4:5]
	v_lshrrev_b32_sdwa v2, s44, v14 dst_sel:DWORD dst_unused:UNUSED_PAD src0_sel:DWORD src1_sel:BYTE_0
	v_and_b32_e32 v3, s15, v2
	v_mad_u32_u24 v2, v3, 36, v27
	; wave barrier
	ds_read_b32 v20, v2 offset:32
	v_and_b32_e32 v2, 1, v3
	v_add_co_u32_e32 v22, vcc, -1, v2
	v_addc_co_u32_e64 v24, s[4:5], 0, -1, vcc
	v_cmp_ne_u32_e32 vcc, 0, v2
	v_xor_b32_e32 v2, vcc_hi, v24
	v_and_b32_e32 v24, exec_hi, v2
	v_lshlrev_b32_e32 v2, 30, v3
	v_xor_b32_e32 v22, vcc_lo, v22
	v_cmp_gt_i64_e32 vcc, 0, v[1:2]
	v_not_b32_e32 v2, v2
	v_ashrrev_i32_e32 v2, 31, v2
	v_and_b32_e32 v22, exec_lo, v22
	v_xor_b32_e32 v26, vcc_hi, v2
	v_xor_b32_e32 v2, vcc_lo, v2
	v_and_b32_e32 v22, v22, v2
	v_lshlrev_b32_e32 v2, 29, v3
	v_cmp_gt_i64_e32 vcc, 0, v[1:2]
	v_not_b32_e32 v2, v2
	v_ashrrev_i32_e32 v2, 31, v2
	v_and_b32_e32 v24, v24, v26
	v_xor_b32_e32 v26, vcc_hi, v2
	v_xor_b32_e32 v2, vcc_lo, v2
	v_and_b32_e32 v22, v22, v2
	v_lshlrev_b32_e32 v2, 28, v3
	v_cmp_gt_i64_e32 vcc, 0, v[1:2]
	v_not_b32_e32 v2, v2
	v_ashrrev_i32_e32 v2, 31, v2
	v_and_b32_e32 v24, v24, v26
	;; [unrolled: 8-line block ×5, first 2 shown]
	v_xor_b32_e32 v26, vcc_hi, v2
	v_xor_b32_e32 v2, vcc_lo, v2
	v_and_b32_e32 v22, v22, v2
	v_lshlrev_b32_e32 v2, 24, v3
	v_cmp_gt_i64_e32 vcc, 0, v[1:2]
	v_not_b32_e32 v1, v2
	v_ashrrev_i32_e32 v1, 31, v1
	v_xor_b32_e32 v2, vcc_hi, v1
	v_xor_b32_e32 v1, vcc_lo, v1
	v_and_b32_e32 v24, v24, v26
	v_and_b32_e32 v1, v22, v1
	v_mul_u32_u24_e32 v4, 36, v3
	v_and_b32_e32 v2, v24, v2
	v_mbcnt_lo_u32_b32 v3, v1, 0
	v_mbcnt_hi_u32_b32 v22, v2, v3
	v_cmp_ne_u64_e32 vcc, 0, v[1:2]
	v_cmp_eq_u32_e64 s[4:5], 0, v22
	s_and_b64 s[6:7], vcc, s[4:5]
	v_add_u32_e32 v32, v27, v4
	; wave barrier
	s_and_saveexec_b64 s[4:5], s[6:7]
	s_cbranch_execz .LBB276_91
; %bb.90:
	v_bcnt_u32_b32 v1, v1, 0
	v_bcnt_u32_b32 v1, v2, v1
	s_waitcnt lgkmcnt(0)
	v_add_u32_e32 v1, v20, v1
	ds_write_b32 v32, v1 offset:32
.LBB276_91:
	s_or_b64 exec, exec, s[4:5]
	v_lshrrev_b32_sdwa v1, s44, v17 dst_sel:DWORD dst_unused:UNUSED_PAD src0_sel:DWORD src1_sel:BYTE_0
	v_and_b32_e32 v3, s15, v1
	v_and_b32_e32 v2, 1, v3
	v_add_co_u32_e32 v26, vcc, -1, v2
	v_addc_co_u32_e64 v28, s[4:5], 0, -1, vcc
	v_cmp_ne_u32_e32 vcc, 0, v2
	v_mad_u32_u24 v1, v3, 36, v27
	v_xor_b32_e32 v2, vcc_hi, v28
	; wave barrier
	ds_read_b32 v24, v1 offset:32
	v_mov_b32_e32 v1, 0
	v_and_b32_e32 v28, exec_hi, v2
	v_lshlrev_b32_e32 v2, 30, v3
	v_xor_b32_e32 v26, vcc_lo, v26
	v_cmp_gt_i64_e32 vcc, 0, v[1:2]
	v_not_b32_e32 v2, v2
	v_ashrrev_i32_e32 v2, 31, v2
	v_and_b32_e32 v26, exec_lo, v26
	v_xor_b32_e32 v29, vcc_hi, v2
	v_xor_b32_e32 v2, vcc_lo, v2
	v_and_b32_e32 v26, v26, v2
	v_lshlrev_b32_e32 v2, 29, v3
	v_cmp_gt_i64_e32 vcc, 0, v[1:2]
	v_not_b32_e32 v2, v2
	v_ashrrev_i32_e32 v2, 31, v2
	v_and_b32_e32 v28, v28, v29
	v_xor_b32_e32 v29, vcc_hi, v2
	v_xor_b32_e32 v2, vcc_lo, v2
	v_and_b32_e32 v26, v26, v2
	v_lshlrev_b32_e32 v2, 28, v3
	v_cmp_gt_i64_e32 vcc, 0, v[1:2]
	v_not_b32_e32 v2, v2
	v_ashrrev_i32_e32 v2, 31, v2
	v_and_b32_e32 v28, v28, v29
	;; [unrolled: 8-line block ×5, first 2 shown]
	v_xor_b32_e32 v29, vcc_hi, v2
	v_xor_b32_e32 v2, vcc_lo, v2
	v_and_b32_e32 v26, v26, v2
	v_lshlrev_b32_e32 v2, 24, v3
	v_cmp_gt_i64_e32 vcc, 0, v[1:2]
	v_not_b32_e32 v2, v2
	v_ashrrev_i32_e32 v2, 31, v2
	v_mul_u32_u24_e32 v4, 36, v3
	v_xor_b32_e32 v3, vcc_hi, v2
	v_xor_b32_e32 v2, vcc_lo, v2
	v_and_b32_e32 v28, v28, v29
	v_and_b32_e32 v2, v26, v2
	;; [unrolled: 1-line block ×3, first 2 shown]
	v_mbcnt_lo_u32_b32 v26, v2, 0
	v_mbcnt_hi_u32_b32 v26, v3, v26
	v_cmp_ne_u64_e32 vcc, 0, v[2:3]
	v_cmp_eq_u32_e64 s[4:5], 0, v26
	s_and_b64 s[6:7], vcc, s[4:5]
	v_add_u32_e32 v33, v27, v4
	; wave barrier
	s_and_saveexec_b64 s[4:5], s[6:7]
	s_cbranch_execz .LBB276_93
; %bb.92:
	v_bcnt_u32_b32 v2, v2, 0
	v_bcnt_u32_b32 v2, v3, v2
	s_waitcnt lgkmcnt(0)
	v_add_u32_e32 v2, v24, v2
	ds_write_b32 v33, v2 offset:32
.LBB276_93:
	s_or_b64 exec, exec, s[4:5]
	v_lshrrev_b32_sdwa v2, s44, v18 dst_sel:DWORD dst_unused:UNUSED_PAD src0_sel:DWORD src1_sel:BYTE_0
	v_and_b32_e32 v3, s15, v2
	v_mad_u32_u24 v2, v3, 36, v27
	; wave barrier
	ds_read_b32 v28, v2 offset:32
	v_and_b32_e32 v2, 1, v3
	v_add_co_u32_e32 v29, vcc, -1, v2
	v_addc_co_u32_e64 v31, s[4:5], 0, -1, vcc
	v_cmp_ne_u32_e32 vcc, 0, v2
	v_xor_b32_e32 v2, vcc_hi, v31
	v_and_b32_e32 v31, exec_hi, v2
	v_lshlrev_b32_e32 v2, 30, v3
	v_xor_b32_e32 v29, vcc_lo, v29
	v_cmp_gt_i64_e32 vcc, 0, v[1:2]
	v_not_b32_e32 v2, v2
	v_ashrrev_i32_e32 v2, 31, v2
	v_and_b32_e32 v29, exec_lo, v29
	v_xor_b32_e32 v34, vcc_hi, v2
	v_xor_b32_e32 v2, vcc_lo, v2
	v_and_b32_e32 v29, v29, v2
	v_lshlrev_b32_e32 v2, 29, v3
	v_cmp_gt_i64_e32 vcc, 0, v[1:2]
	v_not_b32_e32 v2, v2
	v_ashrrev_i32_e32 v2, 31, v2
	v_and_b32_e32 v31, v31, v34
	v_xor_b32_e32 v34, vcc_hi, v2
	v_xor_b32_e32 v2, vcc_lo, v2
	v_and_b32_e32 v29, v29, v2
	v_lshlrev_b32_e32 v2, 28, v3
	v_cmp_gt_i64_e32 vcc, 0, v[1:2]
	v_not_b32_e32 v2, v2
	v_ashrrev_i32_e32 v2, 31, v2
	v_and_b32_e32 v31, v31, v34
	;; [unrolled: 8-line block ×5, first 2 shown]
	v_xor_b32_e32 v34, vcc_hi, v2
	v_xor_b32_e32 v2, vcc_lo, v2
	v_and_b32_e32 v29, v29, v2
	v_lshlrev_b32_e32 v2, 24, v3
	v_cmp_gt_i64_e32 vcc, 0, v[1:2]
	v_not_b32_e32 v1, v2
	v_ashrrev_i32_e32 v1, 31, v1
	v_xor_b32_e32 v2, vcc_hi, v1
	v_xor_b32_e32 v1, vcc_lo, v1
	v_and_b32_e32 v31, v31, v34
	v_and_b32_e32 v1, v29, v1
	v_mul_u32_u24_e32 v4, 36, v3
	v_and_b32_e32 v2, v31, v2
	v_mbcnt_lo_u32_b32 v3, v1, 0
	v_mbcnt_hi_u32_b32 v29, v2, v3
	v_cmp_ne_u64_e32 vcc, 0, v[1:2]
	v_cmp_eq_u32_e64 s[4:5], 0, v29
	s_and_b64 s[6:7], vcc, s[4:5]
	v_add_u32_e32 v34, v27, v4
	; wave barrier
	s_and_saveexec_b64 s[4:5], s[6:7]
	s_cbranch_execz .LBB276_95
; %bb.94:
	v_bcnt_u32_b32 v1, v1, 0
	v_bcnt_u32_b32 v1, v2, v1
	s_waitcnt lgkmcnt(0)
	v_add_u32_e32 v1, v28, v1
	ds_write_b32 v34, v1 offset:32
.LBB276_95:
	s_or_b64 exec, exec, s[4:5]
	; wave barrier
	s_waitcnt lgkmcnt(0)
	s_barrier
	ds_read2_b32 v[3:4], v23 offset0:8 offset1:9
	ds_read2_b32 v[1:2], v23 offset0:10 offset1:11
	ds_read_b32 v27, v23 offset:48
	v_min_u32_e32 v10, 0x1c0, v10
	v_or_b32_e32 v10, 63, v10
	s_waitcnt lgkmcnt(1)
	v_add3_u32 v31, v4, v3, v1
	s_waitcnt lgkmcnt(0)
	v_add3_u32 v27, v31, v2, v27
	v_and_b32_e32 v31, 15, v9
	v_cmp_ne_u32_e32 vcc, 0, v31
	v_mov_b32_dpp v35, v27 row_shr:1 row_mask:0xf bank_mask:0xf
	v_cndmask_b32_e32 v35, 0, v35, vcc
	v_add_u32_e32 v27, v35, v27
	v_cmp_lt_u32_e32 vcc, 1, v31
	s_nop 0
	v_mov_b32_dpp v35, v27 row_shr:2 row_mask:0xf bank_mask:0xf
	v_cndmask_b32_e32 v35, 0, v35, vcc
	v_add_u32_e32 v27, v27, v35
	v_cmp_lt_u32_e32 vcc, 3, v31
	s_nop 0
	;; [unrolled: 5-line block ×3, first 2 shown]
	v_mov_b32_dpp v35, v27 row_shr:8 row_mask:0xf bank_mask:0xf
	v_cndmask_b32_e32 v31, 0, v35, vcc
	v_add_u32_e32 v27, v27, v31
	v_bfe_i32 v35, v9, 4, 1
	v_cmp_lt_u32_e32 vcc, 31, v9
	v_mov_b32_dpp v31, v27 row_bcast:15 row_mask:0xf bank_mask:0xf
	v_and_b32_e32 v31, v35, v31
	v_add_u32_e32 v27, v27, v31
	v_lshrrev_b32_e32 v35, 6, v0
	s_nop 0
	v_mov_b32_dpp v31, v27 row_bcast:31 row_mask:0xf bank_mask:0xf
	v_cndmask_b32_e32 v31, 0, v31, vcc
	v_add_u32_e32 v31, v27, v31
	v_cmp_eq_u32_e32 vcc, v0, v10
	s_and_saveexec_b64 s[4:5], vcc
; %bb.96:
	v_lshlrev_b32_e32 v10, 2, v35
	ds_write_b32 v10, v31
; %bb.97:
	s_or_b64 exec, exec, s[4:5]
	v_cmp_gt_u32_e32 vcc, 8, v0
	v_lshlrev_b32_e32 v27, 2, v0
	s_waitcnt lgkmcnt(0)
	s_barrier
	s_and_saveexec_b64 s[4:5], vcc
	s_cbranch_execz .LBB276_99
; %bb.98:
	ds_read_b32 v10, v27
	v_and_b32_e32 v36, 7, v9
	v_cmp_ne_u32_e32 vcc, 0, v36
	s_waitcnt lgkmcnt(0)
	v_mov_b32_dpp v37, v10 row_shr:1 row_mask:0xf bank_mask:0xf
	v_cndmask_b32_e32 v37, 0, v37, vcc
	v_add_u32_e32 v10, v37, v10
	v_cmp_lt_u32_e32 vcc, 1, v36
	s_nop 0
	v_mov_b32_dpp v37, v10 row_shr:2 row_mask:0xf bank_mask:0xf
	v_cndmask_b32_e32 v37, 0, v37, vcc
	v_add_u32_e32 v10, v10, v37
	v_cmp_lt_u32_e32 vcc, 3, v36
	s_nop 0
	v_mov_b32_dpp v37, v10 row_shr:4 row_mask:0xf bank_mask:0xf
	v_cndmask_b32_e32 v36, 0, v37, vcc
	v_add_u32_e32 v10, v10, v36
	ds_write_b32 v27, v10
.LBB276_99:
	s_or_b64 exec, exec, s[4:5]
	v_cmp_lt_u32_e32 vcc, 63, v0
	v_mov_b32_e32 v10, 0
	s_waitcnt lgkmcnt(0)
	s_barrier
	s_and_saveexec_b64 s[4:5], vcc
; %bb.100:
	v_lshl_add_u32 v10, v35, 2, -4
	ds_read_b32 v10, v10
; %bb.101:
	s_or_b64 exec, exec, s[4:5]
	v_subrev_co_u32_e32 v35, vcc, 1, v9
	v_and_b32_e32 v36, 64, v9
	v_cmp_lt_i32_e64 s[4:5], v35, v36
	v_cndmask_b32_e64 v9, v35, v9, s[4:5]
	s_waitcnt lgkmcnt(0)
	v_add_u32_e32 v31, v10, v31
	v_lshlrev_b32_e32 v9, 2, v9
	ds_bpermute_b32 v9, v9, v31
	s_movk_i32 s4, 0xff
	s_movk_i32 s6, 0x100
	s_waitcnt lgkmcnt(0)
	v_cndmask_b32_e32 v9, v9, v10, vcc
	v_cndmask_b32_e64 v9, v9, 0, s[22:23]
	v_add_u32_e32 v3, v9, v3
	v_add_u32_e32 v4, v3, v4
	;; [unrolled: 1-line block ×4, first 2 shown]
	ds_write2_b32 v23, v9, v3 offset0:8 offset1:9
	ds_write2_b32 v23, v4, v1 offset0:10 offset1:11
	ds_write_b32 v23, v2 offset:48
	s_waitcnt lgkmcnt(0)
	s_barrier
	ds_read_b32 v1, v25 offset:32
	ds_read_b32 v31, v5 offset:32
	;; [unrolled: 1-line block ×6, first 2 shown]
	v_cmp_lt_u32_e32 vcc, s4, v0
	v_cmp_gt_u32_e64 s[4:5], s6, v0
                                        ; implicit-def: $vgpr23
                                        ; implicit-def: $vgpr25
	s_and_saveexec_b64 s[8:9], s[4:5]
	s_cbranch_execz .LBB276_105
; %bb.102:
	v_mul_u32_u24_e32 v2, 36, v0
	ds_read_b32 v23, v2 offset:32
	v_add_u32_e32 v3, 1, v0
	v_cmp_ne_u32_e64 s[6:7], s6, v3
	v_mov_b32_e32 v2, 0xc00
	s_and_saveexec_b64 s[10:11], s[6:7]
; %bb.103:
	v_mul_u32_u24_e32 v2, 36, v3
	ds_read_b32 v2, v2 offset:32
; %bb.104:
	s_or_b64 exec, exec, s[10:11]
	s_waitcnt lgkmcnt(0)
	v_sub_u32_e32 v25, v2, v23
.LBB276_105:
	s_or_b64 exec, exec, s[8:9]
	s_waitcnt lgkmcnt(5)
	v_add_u32_e32 v21, v1, v21
	s_waitcnt lgkmcnt(3)
	v_add3_u32 v2, v19, v16, v30
	v_add3_u32 v1, v15, v13, v31
	s_waitcnt lgkmcnt(2)
	v_add3_u32 v3, v22, v20, v32
	s_waitcnt lgkmcnt(1)
	v_add3_u32 v4, v26, v24, v33
	s_waitcnt lgkmcnt(0)
	v_add3_u32 v5, v29, v28, v34
	s_barrier
	ds_write_b8 v21, v6 offset:1024
	ds_write_b8 v1, v11 offset:1024
	ds_write_b8 v2, v12 offset:1024
	ds_write_b8 v3, v14 offset:1024
	ds_write_b8 v4, v17 offset:1024
	ds_write_b8 v5, v18 offset:1024
	v_mov_b32_e32 v2, 0
	s_and_saveexec_b64 s[6:7], s[4:5]
	s_cbranch_execz .LBB276_115
; %bb.106:
	v_lshl_add_u32 v1, s33, 8, v0
	v_lshlrev_b64 v[3:4], 2, v[1:2]
	v_mov_b32_e32 v9, s35
	v_add_co_u32_e64 v3, s[4:5], s34, v3
	v_addc_co_u32_e64 v4, s[4:5], v9, v4, s[4:5]
	v_or_b32_e32 v1, 2.0, v25
	s_mov_b64 s[8:9], 0
	s_brev_b32 s16, -4
	s_mov_b32 s17, s33
	v_mov_b32_e32 v10, 0
	global_store_dword v[3:4], v1, off
                                        ; implicit-def: $sgpr4_sgpr5
	s_branch .LBB276_109
.LBB276_107:                            ;   in Loop: Header=BB276_109 Depth=1
	s_or_b64 exec, exec, s[12:13]
.LBB276_108:                            ;   in Loop: Header=BB276_109 Depth=1
	s_or_b64 exec, exec, s[10:11]
	v_and_b32_e32 v5, 0x3fffffff, v1
	v_add_u32_e32 v10, v5, v10
	v_cmp_gt_i32_e64 s[4:5], -2.0, v1
	s_and_b64 s[10:11], exec, s[4:5]
	s_or_b64 s[8:9], s[10:11], s[8:9]
	s_andn2_b64 exec, exec, s[8:9]
	s_cbranch_execz .LBB276_114
.LBB276_109:                            ; =>This Loop Header: Depth=1
                                        ;     Child Loop BB276_112 Depth 2
	s_or_b64 s[4:5], s[4:5], exec
	s_cmp_eq_u32 s17, 0
	s_cbranch_scc1 .LBB276_113
; %bb.110:                              ;   in Loop: Header=BB276_109 Depth=1
	s_add_i32 s17, s17, -1
	v_lshl_or_b32 v1, s17, 8, v0
	v_lshlrev_b64 v[5:6], 2, v[1:2]
	v_add_co_u32_e64 v5, s[4:5], s34, v5
	v_addc_co_u32_e64 v6, s[4:5], v9, v6, s[4:5]
	global_load_dword v1, v[5:6], off glc
	s_waitcnt vmcnt(0)
	v_cmp_gt_u32_e64 s[4:5], 2.0, v1
	s_and_saveexec_b64 s[10:11], s[4:5]
	s_cbranch_execz .LBB276_108
; %bb.111:                              ;   in Loop: Header=BB276_109 Depth=1
	s_mov_b64 s[12:13], 0
.LBB276_112:                            ;   Parent Loop BB276_109 Depth=1
                                        ; =>  This Inner Loop Header: Depth=2
	global_load_dword v1, v[5:6], off glc
	s_waitcnt vmcnt(0)
	v_cmp_lt_u32_e64 s[4:5], s16, v1
	s_or_b64 s[12:13], s[4:5], s[12:13]
	s_andn2_b64 exec, exec, s[12:13]
	s_cbranch_execnz .LBB276_112
	s_branch .LBB276_107
.LBB276_113:                            ;   in Loop: Header=BB276_109 Depth=1
                                        ; implicit-def: $sgpr17
	s_and_b64 s[10:11], exec, s[4:5]
	s_or_b64 s[8:9], s[10:11], s[8:9]
	s_andn2_b64 exec, exec, s[8:9]
	s_cbranch_execnz .LBB276_109
.LBB276_114:
	s_or_b64 exec, exec, s[8:9]
	v_add_u32_e32 v1, v10, v25
	v_or_b32_e32 v1, 0x80000000, v1
	global_store_dword v[3:4], v1, off
	global_load_dword v1, v27, s[28:29]
	v_sub_u32_e32 v2, v10, v23
	s_waitcnt vmcnt(0)
	v_add_u32_e32 v1, v2, v1
	ds_write_b32 v27, v1
.LBB276_115:
	s_or_b64 exec, exec, s[6:7]
	s_waitcnt lgkmcnt(0)
	s_barrier
	ds_read_u8 v1, v0 offset:1024
	ds_read_u8 v2, v0 offset:1536
	;; [unrolled: 1-line block ×6, first 2 shown]
	s_waitcnt lgkmcnt(5)
	v_lshrrev_b32_sdwa v9, s44, v1 dst_sel:DWORD dst_unused:UNUSED_PAD src0_sel:DWORD src1_sel:BYTE_0
	s_waitcnt lgkmcnt(4)
	v_lshrrev_b32_sdwa v10, s44, v2 dst_sel:DWORD dst_unused:UNUSED_PAD src0_sel:DWORD src1_sel:BYTE_0
	;; [unrolled: 2-line block ×6, first 2 shown]
	v_and_b32_e32 v14, s15, v9
	v_and_b32_e32 v35, s15, v10
	;; [unrolled: 1-line block ×6, first 2 shown]
	v_lshlrev_b32_e32 v9, 2, v14
	v_lshlrev_b32_e32 v10, 2, v35
	;; [unrolled: 1-line block ×6, first 2 shown]
	ds_read_b32 v9, v9
	ds_read_b32 v10, v10
	;; [unrolled: 1-line block ×6, first 2 shown]
	s_waitcnt lgkmcnt(5)
	v_add_u32_e32 v9, v9, v0
	s_movk_i32 s6, 0x200
	global_store_byte v9, v1, s[38:39]
	s_waitcnt lgkmcnt(4)
	v_add3_u32 v1, v0, v10, s6
	s_movk_i32 s4, 0x400
	global_store_byte v1, v2, s[38:39]
	s_waitcnt lgkmcnt(3)
	v_add3_u32 v1, v11, v0, s4
	;; [unrolled: 4-line block ×5, first 2 shown]
	s_lshl_b64 s[4:5], s[26:27], 3
	s_add_u32 s4, s40, s4
	global_store_byte v1, v6, s[38:39]
	s_addc_u32 s5, s41, s5
	v_lshlrev_b32_e32 v1, 3, v8
	v_mov_b32_e32 v2, s5
	v_add_co_u32_e64 v1, s[4:5], s4, v1
	v_addc_co_u32_e64 v2, s[4:5], 0, v2, s[4:5]
	v_lshlrev_b32_e32 v3, 3, v7
	v_add_co_u32_e64 v17, s[4:5], v1, v3
	v_addc_co_u32_e64 v18, s[4:5], 0, v2, s[4:5]
	global_load_dwordx2 v[1:2], v[17:18], off
	global_load_dwordx2 v[3:4], v[17:18], off offset:512
	global_load_dwordx2 v[5:6], v[17:18], off offset:1024
	;; [unrolled: 1-line block ×5, first 2 shown]
	v_add3_u32 v18, v26, v33, v24
	v_mul_u32_u24_e32 v24, 7, v0
	buffer_store_dword v14, off, s[0:3], 0
	buffer_store_dword v35, off, s[0:3], 0 offset:4
	buffer_store_dword v36, off, s[0:3], 0 offset:8
	;; [unrolled: 1-line block ×5, first 2 shown]
	v_add3_u32 v17, v29, v34, v28
	v_mov_b32_e32 v14, 0
	v_add3_u32 v20, v22, v32, v20
	v_add3_u32 v16, v19, v30, v16
	;; [unrolled: 1-line block ×3, first 2 shown]
	s_mov_b32 s7, 0
	s_mov_b32 s8, 0
	v_add_u32_e32 v19, v0, v24
	v_mov_b32_e32 v22, s43
	s_waitcnt vmcnt(0)
	s_barrier
.LBB276_116:                            ; =>This Inner Loop Header: Depth=1
	v_add_u32_e32 v13, s8, v21
	v_add_u32_e32 v24, s8, v15
	;; [unrolled: 1-line block ×6, first 2 shown]
	v_min_u32_e32 v13, 0x400, v13
	v_min_u32_e32 v24, 0x400, v24
	v_mov_b32_e32 v31, s7
	v_min_u32_e32 v26, 0x400, v26
	v_min_u32_e32 v28, 0x400, v28
	;; [unrolled: 1-line block ×4, first 2 shown]
	v_lshlrev_b32_e32 v13, 3, v13
	v_lshlrev_b32_e32 v24, 3, v24
	;; [unrolled: 1-line block ×6, first 2 shown]
	ds_write_b64 v13, v[1:2] offset:1024
	ds_write_b64 v24, v[3:4] offset:1024
	ds_write_b64 v26, v[5:6] offset:1024
	ds_write_b64 v28, v[7:8] offset:1024
	ds_write_b64 v29, v[9:10] offset:1024
	ds_write_b64 v30, v[11:12] offset:1024
	s_waitcnt lgkmcnt(0)
	s_barrier
	buffer_load_dword v13, v31, s[0:3], 0 offen
	buffer_load_dword v24, v31, s[0:3], 0 offen offset:4
	ds_read2st64_b64 v[28:31], v19 offset0:2 offset1:10
	s_addk_i32 s8, 0xfc00
	s_add_i32 s7, s7, 8
	s_cmpk_lg_i32 s8, 0xf400
	s_waitcnt vmcnt(1)
	v_lshlrev_b32_e32 v13, 2, v13
	s_waitcnt vmcnt(0)
	v_lshlrev_b32_e32 v24, 2, v24
	ds_read_b32 v13, v13
	ds_read_b32 v24, v24
	s_waitcnt lgkmcnt(1)
	v_add_u32_e32 v13, v0, v13
	v_lshlrev_b64 v[32:33], 3, v[13:14]
	s_waitcnt lgkmcnt(0)
	v_add3_u32 v13, v0, v24, s6
	v_lshlrev_b64 v[34:35], 3, v[13:14]
	v_add_co_u32_e64 v32, s[4:5], s42, v32
	v_addc_co_u32_e64 v33, s[4:5], v22, v33, s[4:5]
	global_store_dwordx2 v[32:33], v[28:29], off
	v_add_co_u32_e64 v28, s[4:5], s42, v34
	v_add_u32_e32 v0, 0x400, v0
	v_addc_co_u32_e64 v29, s[4:5], v22, v35, s[4:5]
	global_store_dwordx2 v[28:29], v[30:31], off
	s_waitcnt vmcnt(0)
	s_barrier
	s_cbranch_scc1 .LBB276_116
; %bb.117:
	s_add_i32 s14, s14, -1
	s_cmp_eq_u32 s33, s14
	s_cselect_b64 s[4:5], -1, 0
	s_xor_b64 s[6:7], vcc, -1
	s_and_b64 s[4:5], s[6:7], s[4:5]
	s_and_saveexec_b64 s[6:7], s[4:5]
	s_cbranch_execz .LBB276_119
; %bb.118:
	ds_read_b32 v0, v27
	s_waitcnt lgkmcnt(0)
	v_add3_u32 v0, v23, v25, v0
	global_store_dword v27, v0, s[30:31]
.LBB276_119:
	s_endpgm
	.section	.rodata,"a",@progbits
	.p2align	6, 0x0
	.amdhsa_kernel _ZN7rocprim17ROCPRIM_400000_NS6detail17trampoline_kernelINS0_14default_configENS1_35radix_sort_onesweep_config_selectorIhlEEZZNS1_29radix_sort_onesweep_iterationIS3_Lb0EPhS7_N6thrust23THRUST_200600_302600_NS10device_ptrIlEESB_jNS0_19identity_decomposerENS1_16block_id_wrapperIjLb1EEEEE10hipError_tT1_PNSt15iterator_traitsISG_E10value_typeET2_T3_PNSH_ISM_E10value_typeET4_T5_PSR_SS_PNS1_23onesweep_lookback_stateEbbT6_jjT7_P12ihipStream_tbENKUlT_T0_SG_SL_E_clIS7_S7_SB_PlEEDaSZ_S10_SG_SL_EUlSZ_E_NS1_11comp_targetILNS1_3genE2ELNS1_11target_archE906ELNS1_3gpuE6ELNS1_3repE0EEENS1_47radix_sort_onesweep_sort_config_static_selectorELNS0_4arch9wavefront6targetE1EEEvSG_
		.amdhsa_group_segment_fixed_size 10280
		.amdhsa_private_segment_fixed_size 32
		.amdhsa_kernarg_size 344
		.amdhsa_user_sgpr_count 6
		.amdhsa_user_sgpr_private_segment_buffer 1
		.amdhsa_user_sgpr_dispatch_ptr 0
		.amdhsa_user_sgpr_queue_ptr 0
		.amdhsa_user_sgpr_kernarg_segment_ptr 1
		.amdhsa_user_sgpr_dispatch_id 0
		.amdhsa_user_sgpr_flat_scratch_init 0
		.amdhsa_user_sgpr_private_segment_size 0
		.amdhsa_uses_dynamic_stack 0
		.amdhsa_system_sgpr_private_segment_wavefront_offset 1
		.amdhsa_system_sgpr_workgroup_id_x 1
		.amdhsa_system_sgpr_workgroup_id_y 0
		.amdhsa_system_sgpr_workgroup_id_z 0
		.amdhsa_system_sgpr_workgroup_info 0
		.amdhsa_system_vgpr_workitem_id 2
		.amdhsa_next_free_vgpr 41
		.amdhsa_next_free_sgpr 56
		.amdhsa_reserve_vcc 1
		.amdhsa_reserve_flat_scratch 0
		.amdhsa_float_round_mode_32 0
		.amdhsa_float_round_mode_16_64 0
		.amdhsa_float_denorm_mode_32 3
		.amdhsa_float_denorm_mode_16_64 3
		.amdhsa_dx10_clamp 1
		.amdhsa_ieee_mode 1
		.amdhsa_fp16_overflow 0
		.amdhsa_exception_fp_ieee_invalid_op 0
		.amdhsa_exception_fp_denorm_src 0
		.amdhsa_exception_fp_ieee_div_zero 0
		.amdhsa_exception_fp_ieee_overflow 0
		.amdhsa_exception_fp_ieee_underflow 0
		.amdhsa_exception_fp_ieee_inexact 0
		.amdhsa_exception_int_div_zero 0
	.end_amdhsa_kernel
	.section	.text._ZN7rocprim17ROCPRIM_400000_NS6detail17trampoline_kernelINS0_14default_configENS1_35radix_sort_onesweep_config_selectorIhlEEZZNS1_29radix_sort_onesweep_iterationIS3_Lb0EPhS7_N6thrust23THRUST_200600_302600_NS10device_ptrIlEESB_jNS0_19identity_decomposerENS1_16block_id_wrapperIjLb1EEEEE10hipError_tT1_PNSt15iterator_traitsISG_E10value_typeET2_T3_PNSH_ISM_E10value_typeET4_T5_PSR_SS_PNS1_23onesweep_lookback_stateEbbT6_jjT7_P12ihipStream_tbENKUlT_T0_SG_SL_E_clIS7_S7_SB_PlEEDaSZ_S10_SG_SL_EUlSZ_E_NS1_11comp_targetILNS1_3genE2ELNS1_11target_archE906ELNS1_3gpuE6ELNS1_3repE0EEENS1_47radix_sort_onesweep_sort_config_static_selectorELNS0_4arch9wavefront6targetE1EEEvSG_,"axG",@progbits,_ZN7rocprim17ROCPRIM_400000_NS6detail17trampoline_kernelINS0_14default_configENS1_35radix_sort_onesweep_config_selectorIhlEEZZNS1_29radix_sort_onesweep_iterationIS3_Lb0EPhS7_N6thrust23THRUST_200600_302600_NS10device_ptrIlEESB_jNS0_19identity_decomposerENS1_16block_id_wrapperIjLb1EEEEE10hipError_tT1_PNSt15iterator_traitsISG_E10value_typeET2_T3_PNSH_ISM_E10value_typeET4_T5_PSR_SS_PNS1_23onesweep_lookback_stateEbbT6_jjT7_P12ihipStream_tbENKUlT_T0_SG_SL_E_clIS7_S7_SB_PlEEDaSZ_S10_SG_SL_EUlSZ_E_NS1_11comp_targetILNS1_3genE2ELNS1_11target_archE906ELNS1_3gpuE6ELNS1_3repE0EEENS1_47radix_sort_onesweep_sort_config_static_selectorELNS0_4arch9wavefront6targetE1EEEvSG_,comdat
.Lfunc_end276:
	.size	_ZN7rocprim17ROCPRIM_400000_NS6detail17trampoline_kernelINS0_14default_configENS1_35radix_sort_onesweep_config_selectorIhlEEZZNS1_29radix_sort_onesweep_iterationIS3_Lb0EPhS7_N6thrust23THRUST_200600_302600_NS10device_ptrIlEESB_jNS0_19identity_decomposerENS1_16block_id_wrapperIjLb1EEEEE10hipError_tT1_PNSt15iterator_traitsISG_E10value_typeET2_T3_PNSH_ISM_E10value_typeET4_T5_PSR_SS_PNS1_23onesweep_lookback_stateEbbT6_jjT7_P12ihipStream_tbENKUlT_T0_SG_SL_E_clIS7_S7_SB_PlEEDaSZ_S10_SG_SL_EUlSZ_E_NS1_11comp_targetILNS1_3genE2ELNS1_11target_archE906ELNS1_3gpuE6ELNS1_3repE0EEENS1_47radix_sort_onesweep_sort_config_static_selectorELNS0_4arch9wavefront6targetE1EEEvSG_, .Lfunc_end276-_ZN7rocprim17ROCPRIM_400000_NS6detail17trampoline_kernelINS0_14default_configENS1_35radix_sort_onesweep_config_selectorIhlEEZZNS1_29radix_sort_onesweep_iterationIS3_Lb0EPhS7_N6thrust23THRUST_200600_302600_NS10device_ptrIlEESB_jNS0_19identity_decomposerENS1_16block_id_wrapperIjLb1EEEEE10hipError_tT1_PNSt15iterator_traitsISG_E10value_typeET2_T3_PNSH_ISM_E10value_typeET4_T5_PSR_SS_PNS1_23onesweep_lookback_stateEbbT6_jjT7_P12ihipStream_tbENKUlT_T0_SG_SL_E_clIS7_S7_SB_PlEEDaSZ_S10_SG_SL_EUlSZ_E_NS1_11comp_targetILNS1_3genE2ELNS1_11target_archE906ELNS1_3gpuE6ELNS1_3repE0EEENS1_47radix_sort_onesweep_sort_config_static_selectorELNS0_4arch9wavefront6targetE1EEEvSG_
                                        ; -- End function
	.set _ZN7rocprim17ROCPRIM_400000_NS6detail17trampoline_kernelINS0_14default_configENS1_35radix_sort_onesweep_config_selectorIhlEEZZNS1_29radix_sort_onesweep_iterationIS3_Lb0EPhS7_N6thrust23THRUST_200600_302600_NS10device_ptrIlEESB_jNS0_19identity_decomposerENS1_16block_id_wrapperIjLb1EEEEE10hipError_tT1_PNSt15iterator_traitsISG_E10value_typeET2_T3_PNSH_ISM_E10value_typeET4_T5_PSR_SS_PNS1_23onesweep_lookback_stateEbbT6_jjT7_P12ihipStream_tbENKUlT_T0_SG_SL_E_clIS7_S7_SB_PlEEDaSZ_S10_SG_SL_EUlSZ_E_NS1_11comp_targetILNS1_3genE2ELNS1_11target_archE906ELNS1_3gpuE6ELNS1_3repE0EEENS1_47radix_sort_onesweep_sort_config_static_selectorELNS0_4arch9wavefront6targetE1EEEvSG_.num_vgpr, 41
	.set _ZN7rocprim17ROCPRIM_400000_NS6detail17trampoline_kernelINS0_14default_configENS1_35radix_sort_onesweep_config_selectorIhlEEZZNS1_29radix_sort_onesweep_iterationIS3_Lb0EPhS7_N6thrust23THRUST_200600_302600_NS10device_ptrIlEESB_jNS0_19identity_decomposerENS1_16block_id_wrapperIjLb1EEEEE10hipError_tT1_PNSt15iterator_traitsISG_E10value_typeET2_T3_PNSH_ISM_E10value_typeET4_T5_PSR_SS_PNS1_23onesweep_lookback_stateEbbT6_jjT7_P12ihipStream_tbENKUlT_T0_SG_SL_E_clIS7_S7_SB_PlEEDaSZ_S10_SG_SL_EUlSZ_E_NS1_11comp_targetILNS1_3genE2ELNS1_11target_archE906ELNS1_3gpuE6ELNS1_3repE0EEENS1_47radix_sort_onesweep_sort_config_static_selectorELNS0_4arch9wavefront6targetE1EEEvSG_.num_agpr, 0
	.set _ZN7rocprim17ROCPRIM_400000_NS6detail17trampoline_kernelINS0_14default_configENS1_35radix_sort_onesweep_config_selectorIhlEEZZNS1_29radix_sort_onesweep_iterationIS3_Lb0EPhS7_N6thrust23THRUST_200600_302600_NS10device_ptrIlEESB_jNS0_19identity_decomposerENS1_16block_id_wrapperIjLb1EEEEE10hipError_tT1_PNSt15iterator_traitsISG_E10value_typeET2_T3_PNSH_ISM_E10value_typeET4_T5_PSR_SS_PNS1_23onesweep_lookback_stateEbbT6_jjT7_P12ihipStream_tbENKUlT_T0_SG_SL_E_clIS7_S7_SB_PlEEDaSZ_S10_SG_SL_EUlSZ_E_NS1_11comp_targetILNS1_3genE2ELNS1_11target_archE906ELNS1_3gpuE6ELNS1_3repE0EEENS1_47radix_sort_onesweep_sort_config_static_selectorELNS0_4arch9wavefront6targetE1EEEvSG_.numbered_sgpr, 56
	.set _ZN7rocprim17ROCPRIM_400000_NS6detail17trampoline_kernelINS0_14default_configENS1_35radix_sort_onesweep_config_selectorIhlEEZZNS1_29radix_sort_onesweep_iterationIS3_Lb0EPhS7_N6thrust23THRUST_200600_302600_NS10device_ptrIlEESB_jNS0_19identity_decomposerENS1_16block_id_wrapperIjLb1EEEEE10hipError_tT1_PNSt15iterator_traitsISG_E10value_typeET2_T3_PNSH_ISM_E10value_typeET4_T5_PSR_SS_PNS1_23onesweep_lookback_stateEbbT6_jjT7_P12ihipStream_tbENKUlT_T0_SG_SL_E_clIS7_S7_SB_PlEEDaSZ_S10_SG_SL_EUlSZ_E_NS1_11comp_targetILNS1_3genE2ELNS1_11target_archE906ELNS1_3gpuE6ELNS1_3repE0EEENS1_47radix_sort_onesweep_sort_config_static_selectorELNS0_4arch9wavefront6targetE1EEEvSG_.num_named_barrier, 0
	.set _ZN7rocprim17ROCPRIM_400000_NS6detail17trampoline_kernelINS0_14default_configENS1_35radix_sort_onesweep_config_selectorIhlEEZZNS1_29radix_sort_onesweep_iterationIS3_Lb0EPhS7_N6thrust23THRUST_200600_302600_NS10device_ptrIlEESB_jNS0_19identity_decomposerENS1_16block_id_wrapperIjLb1EEEEE10hipError_tT1_PNSt15iterator_traitsISG_E10value_typeET2_T3_PNSH_ISM_E10value_typeET4_T5_PSR_SS_PNS1_23onesweep_lookback_stateEbbT6_jjT7_P12ihipStream_tbENKUlT_T0_SG_SL_E_clIS7_S7_SB_PlEEDaSZ_S10_SG_SL_EUlSZ_E_NS1_11comp_targetILNS1_3genE2ELNS1_11target_archE906ELNS1_3gpuE6ELNS1_3repE0EEENS1_47radix_sort_onesweep_sort_config_static_selectorELNS0_4arch9wavefront6targetE1EEEvSG_.private_seg_size, 32
	.set _ZN7rocprim17ROCPRIM_400000_NS6detail17trampoline_kernelINS0_14default_configENS1_35radix_sort_onesweep_config_selectorIhlEEZZNS1_29radix_sort_onesweep_iterationIS3_Lb0EPhS7_N6thrust23THRUST_200600_302600_NS10device_ptrIlEESB_jNS0_19identity_decomposerENS1_16block_id_wrapperIjLb1EEEEE10hipError_tT1_PNSt15iterator_traitsISG_E10value_typeET2_T3_PNSH_ISM_E10value_typeET4_T5_PSR_SS_PNS1_23onesweep_lookback_stateEbbT6_jjT7_P12ihipStream_tbENKUlT_T0_SG_SL_E_clIS7_S7_SB_PlEEDaSZ_S10_SG_SL_EUlSZ_E_NS1_11comp_targetILNS1_3genE2ELNS1_11target_archE906ELNS1_3gpuE6ELNS1_3repE0EEENS1_47radix_sort_onesweep_sort_config_static_selectorELNS0_4arch9wavefront6targetE1EEEvSG_.uses_vcc, 1
	.set _ZN7rocprim17ROCPRIM_400000_NS6detail17trampoline_kernelINS0_14default_configENS1_35radix_sort_onesweep_config_selectorIhlEEZZNS1_29radix_sort_onesweep_iterationIS3_Lb0EPhS7_N6thrust23THRUST_200600_302600_NS10device_ptrIlEESB_jNS0_19identity_decomposerENS1_16block_id_wrapperIjLb1EEEEE10hipError_tT1_PNSt15iterator_traitsISG_E10value_typeET2_T3_PNSH_ISM_E10value_typeET4_T5_PSR_SS_PNS1_23onesweep_lookback_stateEbbT6_jjT7_P12ihipStream_tbENKUlT_T0_SG_SL_E_clIS7_S7_SB_PlEEDaSZ_S10_SG_SL_EUlSZ_E_NS1_11comp_targetILNS1_3genE2ELNS1_11target_archE906ELNS1_3gpuE6ELNS1_3repE0EEENS1_47radix_sort_onesweep_sort_config_static_selectorELNS0_4arch9wavefront6targetE1EEEvSG_.uses_flat_scratch, 0
	.set _ZN7rocprim17ROCPRIM_400000_NS6detail17trampoline_kernelINS0_14default_configENS1_35radix_sort_onesweep_config_selectorIhlEEZZNS1_29radix_sort_onesweep_iterationIS3_Lb0EPhS7_N6thrust23THRUST_200600_302600_NS10device_ptrIlEESB_jNS0_19identity_decomposerENS1_16block_id_wrapperIjLb1EEEEE10hipError_tT1_PNSt15iterator_traitsISG_E10value_typeET2_T3_PNSH_ISM_E10value_typeET4_T5_PSR_SS_PNS1_23onesweep_lookback_stateEbbT6_jjT7_P12ihipStream_tbENKUlT_T0_SG_SL_E_clIS7_S7_SB_PlEEDaSZ_S10_SG_SL_EUlSZ_E_NS1_11comp_targetILNS1_3genE2ELNS1_11target_archE906ELNS1_3gpuE6ELNS1_3repE0EEENS1_47radix_sort_onesweep_sort_config_static_selectorELNS0_4arch9wavefront6targetE1EEEvSG_.has_dyn_sized_stack, 0
	.set _ZN7rocprim17ROCPRIM_400000_NS6detail17trampoline_kernelINS0_14default_configENS1_35radix_sort_onesweep_config_selectorIhlEEZZNS1_29radix_sort_onesweep_iterationIS3_Lb0EPhS7_N6thrust23THRUST_200600_302600_NS10device_ptrIlEESB_jNS0_19identity_decomposerENS1_16block_id_wrapperIjLb1EEEEE10hipError_tT1_PNSt15iterator_traitsISG_E10value_typeET2_T3_PNSH_ISM_E10value_typeET4_T5_PSR_SS_PNS1_23onesweep_lookback_stateEbbT6_jjT7_P12ihipStream_tbENKUlT_T0_SG_SL_E_clIS7_S7_SB_PlEEDaSZ_S10_SG_SL_EUlSZ_E_NS1_11comp_targetILNS1_3genE2ELNS1_11target_archE906ELNS1_3gpuE6ELNS1_3repE0EEENS1_47radix_sort_onesweep_sort_config_static_selectorELNS0_4arch9wavefront6targetE1EEEvSG_.has_recursion, 0
	.set _ZN7rocprim17ROCPRIM_400000_NS6detail17trampoline_kernelINS0_14default_configENS1_35radix_sort_onesweep_config_selectorIhlEEZZNS1_29radix_sort_onesweep_iterationIS3_Lb0EPhS7_N6thrust23THRUST_200600_302600_NS10device_ptrIlEESB_jNS0_19identity_decomposerENS1_16block_id_wrapperIjLb1EEEEE10hipError_tT1_PNSt15iterator_traitsISG_E10value_typeET2_T3_PNSH_ISM_E10value_typeET4_T5_PSR_SS_PNS1_23onesweep_lookback_stateEbbT6_jjT7_P12ihipStream_tbENKUlT_T0_SG_SL_E_clIS7_S7_SB_PlEEDaSZ_S10_SG_SL_EUlSZ_E_NS1_11comp_targetILNS1_3genE2ELNS1_11target_archE906ELNS1_3gpuE6ELNS1_3repE0EEENS1_47radix_sort_onesweep_sort_config_static_selectorELNS0_4arch9wavefront6targetE1EEEvSG_.has_indirect_call, 0
	.section	.AMDGPU.csdata,"",@progbits
; Kernel info:
; codeLenInByte = 10212
; TotalNumSgprs: 60
; NumVgprs: 41
; ScratchSize: 32
; MemoryBound: 0
; FloatMode: 240
; IeeeMode: 1
; LDSByteSize: 10280 bytes/workgroup (compile time only)
; SGPRBlocks: 7
; VGPRBlocks: 10
; NumSGPRsForWavesPerEU: 60
; NumVGPRsForWavesPerEU: 41
; Occupancy: 5
; WaveLimiterHint : 1
; COMPUTE_PGM_RSRC2:SCRATCH_EN: 1
; COMPUTE_PGM_RSRC2:USER_SGPR: 6
; COMPUTE_PGM_RSRC2:TRAP_HANDLER: 0
; COMPUTE_PGM_RSRC2:TGID_X_EN: 1
; COMPUTE_PGM_RSRC2:TGID_Y_EN: 0
; COMPUTE_PGM_RSRC2:TGID_Z_EN: 0
; COMPUTE_PGM_RSRC2:TIDIG_COMP_CNT: 2
	.section	.text._ZN7rocprim17ROCPRIM_400000_NS6detail17trampoline_kernelINS0_14default_configENS1_35radix_sort_onesweep_config_selectorIhlEEZZNS1_29radix_sort_onesweep_iterationIS3_Lb0EPhS7_N6thrust23THRUST_200600_302600_NS10device_ptrIlEESB_jNS0_19identity_decomposerENS1_16block_id_wrapperIjLb1EEEEE10hipError_tT1_PNSt15iterator_traitsISG_E10value_typeET2_T3_PNSH_ISM_E10value_typeET4_T5_PSR_SS_PNS1_23onesweep_lookback_stateEbbT6_jjT7_P12ihipStream_tbENKUlT_T0_SG_SL_E_clIS7_S7_SB_PlEEDaSZ_S10_SG_SL_EUlSZ_E_NS1_11comp_targetILNS1_3genE4ELNS1_11target_archE910ELNS1_3gpuE8ELNS1_3repE0EEENS1_47radix_sort_onesweep_sort_config_static_selectorELNS0_4arch9wavefront6targetE1EEEvSG_,"axG",@progbits,_ZN7rocprim17ROCPRIM_400000_NS6detail17trampoline_kernelINS0_14default_configENS1_35radix_sort_onesweep_config_selectorIhlEEZZNS1_29radix_sort_onesweep_iterationIS3_Lb0EPhS7_N6thrust23THRUST_200600_302600_NS10device_ptrIlEESB_jNS0_19identity_decomposerENS1_16block_id_wrapperIjLb1EEEEE10hipError_tT1_PNSt15iterator_traitsISG_E10value_typeET2_T3_PNSH_ISM_E10value_typeET4_T5_PSR_SS_PNS1_23onesweep_lookback_stateEbbT6_jjT7_P12ihipStream_tbENKUlT_T0_SG_SL_E_clIS7_S7_SB_PlEEDaSZ_S10_SG_SL_EUlSZ_E_NS1_11comp_targetILNS1_3genE4ELNS1_11target_archE910ELNS1_3gpuE8ELNS1_3repE0EEENS1_47radix_sort_onesweep_sort_config_static_selectorELNS0_4arch9wavefront6targetE1EEEvSG_,comdat
	.protected	_ZN7rocprim17ROCPRIM_400000_NS6detail17trampoline_kernelINS0_14default_configENS1_35radix_sort_onesweep_config_selectorIhlEEZZNS1_29radix_sort_onesweep_iterationIS3_Lb0EPhS7_N6thrust23THRUST_200600_302600_NS10device_ptrIlEESB_jNS0_19identity_decomposerENS1_16block_id_wrapperIjLb1EEEEE10hipError_tT1_PNSt15iterator_traitsISG_E10value_typeET2_T3_PNSH_ISM_E10value_typeET4_T5_PSR_SS_PNS1_23onesweep_lookback_stateEbbT6_jjT7_P12ihipStream_tbENKUlT_T0_SG_SL_E_clIS7_S7_SB_PlEEDaSZ_S10_SG_SL_EUlSZ_E_NS1_11comp_targetILNS1_3genE4ELNS1_11target_archE910ELNS1_3gpuE8ELNS1_3repE0EEENS1_47radix_sort_onesweep_sort_config_static_selectorELNS0_4arch9wavefront6targetE1EEEvSG_ ; -- Begin function _ZN7rocprim17ROCPRIM_400000_NS6detail17trampoline_kernelINS0_14default_configENS1_35radix_sort_onesweep_config_selectorIhlEEZZNS1_29radix_sort_onesweep_iterationIS3_Lb0EPhS7_N6thrust23THRUST_200600_302600_NS10device_ptrIlEESB_jNS0_19identity_decomposerENS1_16block_id_wrapperIjLb1EEEEE10hipError_tT1_PNSt15iterator_traitsISG_E10value_typeET2_T3_PNSH_ISM_E10value_typeET4_T5_PSR_SS_PNS1_23onesweep_lookback_stateEbbT6_jjT7_P12ihipStream_tbENKUlT_T0_SG_SL_E_clIS7_S7_SB_PlEEDaSZ_S10_SG_SL_EUlSZ_E_NS1_11comp_targetILNS1_3genE4ELNS1_11target_archE910ELNS1_3gpuE8ELNS1_3repE0EEENS1_47radix_sort_onesweep_sort_config_static_selectorELNS0_4arch9wavefront6targetE1EEEvSG_
	.globl	_ZN7rocprim17ROCPRIM_400000_NS6detail17trampoline_kernelINS0_14default_configENS1_35radix_sort_onesweep_config_selectorIhlEEZZNS1_29radix_sort_onesweep_iterationIS3_Lb0EPhS7_N6thrust23THRUST_200600_302600_NS10device_ptrIlEESB_jNS0_19identity_decomposerENS1_16block_id_wrapperIjLb1EEEEE10hipError_tT1_PNSt15iterator_traitsISG_E10value_typeET2_T3_PNSH_ISM_E10value_typeET4_T5_PSR_SS_PNS1_23onesweep_lookback_stateEbbT6_jjT7_P12ihipStream_tbENKUlT_T0_SG_SL_E_clIS7_S7_SB_PlEEDaSZ_S10_SG_SL_EUlSZ_E_NS1_11comp_targetILNS1_3genE4ELNS1_11target_archE910ELNS1_3gpuE8ELNS1_3repE0EEENS1_47radix_sort_onesweep_sort_config_static_selectorELNS0_4arch9wavefront6targetE1EEEvSG_
	.p2align	8
	.type	_ZN7rocprim17ROCPRIM_400000_NS6detail17trampoline_kernelINS0_14default_configENS1_35radix_sort_onesweep_config_selectorIhlEEZZNS1_29radix_sort_onesweep_iterationIS3_Lb0EPhS7_N6thrust23THRUST_200600_302600_NS10device_ptrIlEESB_jNS0_19identity_decomposerENS1_16block_id_wrapperIjLb1EEEEE10hipError_tT1_PNSt15iterator_traitsISG_E10value_typeET2_T3_PNSH_ISM_E10value_typeET4_T5_PSR_SS_PNS1_23onesweep_lookback_stateEbbT6_jjT7_P12ihipStream_tbENKUlT_T0_SG_SL_E_clIS7_S7_SB_PlEEDaSZ_S10_SG_SL_EUlSZ_E_NS1_11comp_targetILNS1_3genE4ELNS1_11target_archE910ELNS1_3gpuE8ELNS1_3repE0EEENS1_47radix_sort_onesweep_sort_config_static_selectorELNS0_4arch9wavefront6targetE1EEEvSG_,@function
_ZN7rocprim17ROCPRIM_400000_NS6detail17trampoline_kernelINS0_14default_configENS1_35radix_sort_onesweep_config_selectorIhlEEZZNS1_29radix_sort_onesweep_iterationIS3_Lb0EPhS7_N6thrust23THRUST_200600_302600_NS10device_ptrIlEESB_jNS0_19identity_decomposerENS1_16block_id_wrapperIjLb1EEEEE10hipError_tT1_PNSt15iterator_traitsISG_E10value_typeET2_T3_PNSH_ISM_E10value_typeET4_T5_PSR_SS_PNS1_23onesweep_lookback_stateEbbT6_jjT7_P12ihipStream_tbENKUlT_T0_SG_SL_E_clIS7_S7_SB_PlEEDaSZ_S10_SG_SL_EUlSZ_E_NS1_11comp_targetILNS1_3genE4ELNS1_11target_archE910ELNS1_3gpuE8ELNS1_3repE0EEENS1_47radix_sort_onesweep_sort_config_static_selectorELNS0_4arch9wavefront6targetE1EEEvSG_: ; @_ZN7rocprim17ROCPRIM_400000_NS6detail17trampoline_kernelINS0_14default_configENS1_35radix_sort_onesweep_config_selectorIhlEEZZNS1_29radix_sort_onesweep_iterationIS3_Lb0EPhS7_N6thrust23THRUST_200600_302600_NS10device_ptrIlEESB_jNS0_19identity_decomposerENS1_16block_id_wrapperIjLb1EEEEE10hipError_tT1_PNSt15iterator_traitsISG_E10value_typeET2_T3_PNSH_ISM_E10value_typeET4_T5_PSR_SS_PNS1_23onesweep_lookback_stateEbbT6_jjT7_P12ihipStream_tbENKUlT_T0_SG_SL_E_clIS7_S7_SB_PlEEDaSZ_S10_SG_SL_EUlSZ_E_NS1_11comp_targetILNS1_3genE4ELNS1_11target_archE910ELNS1_3gpuE8ELNS1_3repE0EEENS1_47radix_sort_onesweep_sort_config_static_selectorELNS0_4arch9wavefront6targetE1EEEvSG_
; %bb.0:
	.section	.rodata,"a",@progbits
	.p2align	6, 0x0
	.amdhsa_kernel _ZN7rocprim17ROCPRIM_400000_NS6detail17trampoline_kernelINS0_14default_configENS1_35radix_sort_onesweep_config_selectorIhlEEZZNS1_29radix_sort_onesweep_iterationIS3_Lb0EPhS7_N6thrust23THRUST_200600_302600_NS10device_ptrIlEESB_jNS0_19identity_decomposerENS1_16block_id_wrapperIjLb1EEEEE10hipError_tT1_PNSt15iterator_traitsISG_E10value_typeET2_T3_PNSH_ISM_E10value_typeET4_T5_PSR_SS_PNS1_23onesweep_lookback_stateEbbT6_jjT7_P12ihipStream_tbENKUlT_T0_SG_SL_E_clIS7_S7_SB_PlEEDaSZ_S10_SG_SL_EUlSZ_E_NS1_11comp_targetILNS1_3genE4ELNS1_11target_archE910ELNS1_3gpuE8ELNS1_3repE0EEENS1_47radix_sort_onesweep_sort_config_static_selectorELNS0_4arch9wavefront6targetE1EEEvSG_
		.amdhsa_group_segment_fixed_size 0
		.amdhsa_private_segment_fixed_size 0
		.amdhsa_kernarg_size 88
		.amdhsa_user_sgpr_count 6
		.amdhsa_user_sgpr_private_segment_buffer 1
		.amdhsa_user_sgpr_dispatch_ptr 0
		.amdhsa_user_sgpr_queue_ptr 0
		.amdhsa_user_sgpr_kernarg_segment_ptr 1
		.amdhsa_user_sgpr_dispatch_id 0
		.amdhsa_user_sgpr_flat_scratch_init 0
		.amdhsa_user_sgpr_private_segment_size 0
		.amdhsa_uses_dynamic_stack 0
		.amdhsa_system_sgpr_private_segment_wavefront_offset 0
		.amdhsa_system_sgpr_workgroup_id_x 1
		.amdhsa_system_sgpr_workgroup_id_y 0
		.amdhsa_system_sgpr_workgroup_id_z 0
		.amdhsa_system_sgpr_workgroup_info 0
		.amdhsa_system_vgpr_workitem_id 0
		.amdhsa_next_free_vgpr 1
		.amdhsa_next_free_sgpr 0
		.amdhsa_reserve_vcc 0
		.amdhsa_reserve_flat_scratch 0
		.amdhsa_float_round_mode_32 0
		.amdhsa_float_round_mode_16_64 0
		.amdhsa_float_denorm_mode_32 3
		.amdhsa_float_denorm_mode_16_64 3
		.amdhsa_dx10_clamp 1
		.amdhsa_ieee_mode 1
		.amdhsa_fp16_overflow 0
		.amdhsa_exception_fp_ieee_invalid_op 0
		.amdhsa_exception_fp_denorm_src 0
		.amdhsa_exception_fp_ieee_div_zero 0
		.amdhsa_exception_fp_ieee_overflow 0
		.amdhsa_exception_fp_ieee_underflow 0
		.amdhsa_exception_fp_ieee_inexact 0
		.amdhsa_exception_int_div_zero 0
	.end_amdhsa_kernel
	.section	.text._ZN7rocprim17ROCPRIM_400000_NS6detail17trampoline_kernelINS0_14default_configENS1_35radix_sort_onesweep_config_selectorIhlEEZZNS1_29radix_sort_onesweep_iterationIS3_Lb0EPhS7_N6thrust23THRUST_200600_302600_NS10device_ptrIlEESB_jNS0_19identity_decomposerENS1_16block_id_wrapperIjLb1EEEEE10hipError_tT1_PNSt15iterator_traitsISG_E10value_typeET2_T3_PNSH_ISM_E10value_typeET4_T5_PSR_SS_PNS1_23onesweep_lookback_stateEbbT6_jjT7_P12ihipStream_tbENKUlT_T0_SG_SL_E_clIS7_S7_SB_PlEEDaSZ_S10_SG_SL_EUlSZ_E_NS1_11comp_targetILNS1_3genE4ELNS1_11target_archE910ELNS1_3gpuE8ELNS1_3repE0EEENS1_47radix_sort_onesweep_sort_config_static_selectorELNS0_4arch9wavefront6targetE1EEEvSG_,"axG",@progbits,_ZN7rocprim17ROCPRIM_400000_NS6detail17trampoline_kernelINS0_14default_configENS1_35radix_sort_onesweep_config_selectorIhlEEZZNS1_29radix_sort_onesweep_iterationIS3_Lb0EPhS7_N6thrust23THRUST_200600_302600_NS10device_ptrIlEESB_jNS0_19identity_decomposerENS1_16block_id_wrapperIjLb1EEEEE10hipError_tT1_PNSt15iterator_traitsISG_E10value_typeET2_T3_PNSH_ISM_E10value_typeET4_T5_PSR_SS_PNS1_23onesweep_lookback_stateEbbT6_jjT7_P12ihipStream_tbENKUlT_T0_SG_SL_E_clIS7_S7_SB_PlEEDaSZ_S10_SG_SL_EUlSZ_E_NS1_11comp_targetILNS1_3genE4ELNS1_11target_archE910ELNS1_3gpuE8ELNS1_3repE0EEENS1_47radix_sort_onesweep_sort_config_static_selectorELNS0_4arch9wavefront6targetE1EEEvSG_,comdat
.Lfunc_end277:
	.size	_ZN7rocprim17ROCPRIM_400000_NS6detail17trampoline_kernelINS0_14default_configENS1_35radix_sort_onesweep_config_selectorIhlEEZZNS1_29radix_sort_onesweep_iterationIS3_Lb0EPhS7_N6thrust23THRUST_200600_302600_NS10device_ptrIlEESB_jNS0_19identity_decomposerENS1_16block_id_wrapperIjLb1EEEEE10hipError_tT1_PNSt15iterator_traitsISG_E10value_typeET2_T3_PNSH_ISM_E10value_typeET4_T5_PSR_SS_PNS1_23onesweep_lookback_stateEbbT6_jjT7_P12ihipStream_tbENKUlT_T0_SG_SL_E_clIS7_S7_SB_PlEEDaSZ_S10_SG_SL_EUlSZ_E_NS1_11comp_targetILNS1_3genE4ELNS1_11target_archE910ELNS1_3gpuE8ELNS1_3repE0EEENS1_47radix_sort_onesweep_sort_config_static_selectorELNS0_4arch9wavefront6targetE1EEEvSG_, .Lfunc_end277-_ZN7rocprim17ROCPRIM_400000_NS6detail17trampoline_kernelINS0_14default_configENS1_35radix_sort_onesweep_config_selectorIhlEEZZNS1_29radix_sort_onesweep_iterationIS3_Lb0EPhS7_N6thrust23THRUST_200600_302600_NS10device_ptrIlEESB_jNS0_19identity_decomposerENS1_16block_id_wrapperIjLb1EEEEE10hipError_tT1_PNSt15iterator_traitsISG_E10value_typeET2_T3_PNSH_ISM_E10value_typeET4_T5_PSR_SS_PNS1_23onesweep_lookback_stateEbbT6_jjT7_P12ihipStream_tbENKUlT_T0_SG_SL_E_clIS7_S7_SB_PlEEDaSZ_S10_SG_SL_EUlSZ_E_NS1_11comp_targetILNS1_3genE4ELNS1_11target_archE910ELNS1_3gpuE8ELNS1_3repE0EEENS1_47radix_sort_onesweep_sort_config_static_selectorELNS0_4arch9wavefront6targetE1EEEvSG_
                                        ; -- End function
	.set _ZN7rocprim17ROCPRIM_400000_NS6detail17trampoline_kernelINS0_14default_configENS1_35radix_sort_onesweep_config_selectorIhlEEZZNS1_29radix_sort_onesweep_iterationIS3_Lb0EPhS7_N6thrust23THRUST_200600_302600_NS10device_ptrIlEESB_jNS0_19identity_decomposerENS1_16block_id_wrapperIjLb1EEEEE10hipError_tT1_PNSt15iterator_traitsISG_E10value_typeET2_T3_PNSH_ISM_E10value_typeET4_T5_PSR_SS_PNS1_23onesweep_lookback_stateEbbT6_jjT7_P12ihipStream_tbENKUlT_T0_SG_SL_E_clIS7_S7_SB_PlEEDaSZ_S10_SG_SL_EUlSZ_E_NS1_11comp_targetILNS1_3genE4ELNS1_11target_archE910ELNS1_3gpuE8ELNS1_3repE0EEENS1_47radix_sort_onesweep_sort_config_static_selectorELNS0_4arch9wavefront6targetE1EEEvSG_.num_vgpr, 0
	.set _ZN7rocprim17ROCPRIM_400000_NS6detail17trampoline_kernelINS0_14default_configENS1_35radix_sort_onesweep_config_selectorIhlEEZZNS1_29radix_sort_onesweep_iterationIS3_Lb0EPhS7_N6thrust23THRUST_200600_302600_NS10device_ptrIlEESB_jNS0_19identity_decomposerENS1_16block_id_wrapperIjLb1EEEEE10hipError_tT1_PNSt15iterator_traitsISG_E10value_typeET2_T3_PNSH_ISM_E10value_typeET4_T5_PSR_SS_PNS1_23onesweep_lookback_stateEbbT6_jjT7_P12ihipStream_tbENKUlT_T0_SG_SL_E_clIS7_S7_SB_PlEEDaSZ_S10_SG_SL_EUlSZ_E_NS1_11comp_targetILNS1_3genE4ELNS1_11target_archE910ELNS1_3gpuE8ELNS1_3repE0EEENS1_47radix_sort_onesweep_sort_config_static_selectorELNS0_4arch9wavefront6targetE1EEEvSG_.num_agpr, 0
	.set _ZN7rocprim17ROCPRIM_400000_NS6detail17trampoline_kernelINS0_14default_configENS1_35radix_sort_onesweep_config_selectorIhlEEZZNS1_29radix_sort_onesweep_iterationIS3_Lb0EPhS7_N6thrust23THRUST_200600_302600_NS10device_ptrIlEESB_jNS0_19identity_decomposerENS1_16block_id_wrapperIjLb1EEEEE10hipError_tT1_PNSt15iterator_traitsISG_E10value_typeET2_T3_PNSH_ISM_E10value_typeET4_T5_PSR_SS_PNS1_23onesweep_lookback_stateEbbT6_jjT7_P12ihipStream_tbENKUlT_T0_SG_SL_E_clIS7_S7_SB_PlEEDaSZ_S10_SG_SL_EUlSZ_E_NS1_11comp_targetILNS1_3genE4ELNS1_11target_archE910ELNS1_3gpuE8ELNS1_3repE0EEENS1_47radix_sort_onesweep_sort_config_static_selectorELNS0_4arch9wavefront6targetE1EEEvSG_.numbered_sgpr, 0
	.set _ZN7rocprim17ROCPRIM_400000_NS6detail17trampoline_kernelINS0_14default_configENS1_35radix_sort_onesweep_config_selectorIhlEEZZNS1_29radix_sort_onesweep_iterationIS3_Lb0EPhS7_N6thrust23THRUST_200600_302600_NS10device_ptrIlEESB_jNS0_19identity_decomposerENS1_16block_id_wrapperIjLb1EEEEE10hipError_tT1_PNSt15iterator_traitsISG_E10value_typeET2_T3_PNSH_ISM_E10value_typeET4_T5_PSR_SS_PNS1_23onesweep_lookback_stateEbbT6_jjT7_P12ihipStream_tbENKUlT_T0_SG_SL_E_clIS7_S7_SB_PlEEDaSZ_S10_SG_SL_EUlSZ_E_NS1_11comp_targetILNS1_3genE4ELNS1_11target_archE910ELNS1_3gpuE8ELNS1_3repE0EEENS1_47radix_sort_onesweep_sort_config_static_selectorELNS0_4arch9wavefront6targetE1EEEvSG_.num_named_barrier, 0
	.set _ZN7rocprim17ROCPRIM_400000_NS6detail17trampoline_kernelINS0_14default_configENS1_35radix_sort_onesweep_config_selectorIhlEEZZNS1_29radix_sort_onesweep_iterationIS3_Lb0EPhS7_N6thrust23THRUST_200600_302600_NS10device_ptrIlEESB_jNS0_19identity_decomposerENS1_16block_id_wrapperIjLb1EEEEE10hipError_tT1_PNSt15iterator_traitsISG_E10value_typeET2_T3_PNSH_ISM_E10value_typeET4_T5_PSR_SS_PNS1_23onesweep_lookback_stateEbbT6_jjT7_P12ihipStream_tbENKUlT_T0_SG_SL_E_clIS7_S7_SB_PlEEDaSZ_S10_SG_SL_EUlSZ_E_NS1_11comp_targetILNS1_3genE4ELNS1_11target_archE910ELNS1_3gpuE8ELNS1_3repE0EEENS1_47radix_sort_onesweep_sort_config_static_selectorELNS0_4arch9wavefront6targetE1EEEvSG_.private_seg_size, 0
	.set _ZN7rocprim17ROCPRIM_400000_NS6detail17trampoline_kernelINS0_14default_configENS1_35radix_sort_onesweep_config_selectorIhlEEZZNS1_29radix_sort_onesweep_iterationIS3_Lb0EPhS7_N6thrust23THRUST_200600_302600_NS10device_ptrIlEESB_jNS0_19identity_decomposerENS1_16block_id_wrapperIjLb1EEEEE10hipError_tT1_PNSt15iterator_traitsISG_E10value_typeET2_T3_PNSH_ISM_E10value_typeET4_T5_PSR_SS_PNS1_23onesweep_lookback_stateEbbT6_jjT7_P12ihipStream_tbENKUlT_T0_SG_SL_E_clIS7_S7_SB_PlEEDaSZ_S10_SG_SL_EUlSZ_E_NS1_11comp_targetILNS1_3genE4ELNS1_11target_archE910ELNS1_3gpuE8ELNS1_3repE0EEENS1_47radix_sort_onesweep_sort_config_static_selectorELNS0_4arch9wavefront6targetE1EEEvSG_.uses_vcc, 0
	.set _ZN7rocprim17ROCPRIM_400000_NS6detail17trampoline_kernelINS0_14default_configENS1_35radix_sort_onesweep_config_selectorIhlEEZZNS1_29radix_sort_onesweep_iterationIS3_Lb0EPhS7_N6thrust23THRUST_200600_302600_NS10device_ptrIlEESB_jNS0_19identity_decomposerENS1_16block_id_wrapperIjLb1EEEEE10hipError_tT1_PNSt15iterator_traitsISG_E10value_typeET2_T3_PNSH_ISM_E10value_typeET4_T5_PSR_SS_PNS1_23onesweep_lookback_stateEbbT6_jjT7_P12ihipStream_tbENKUlT_T0_SG_SL_E_clIS7_S7_SB_PlEEDaSZ_S10_SG_SL_EUlSZ_E_NS1_11comp_targetILNS1_3genE4ELNS1_11target_archE910ELNS1_3gpuE8ELNS1_3repE0EEENS1_47radix_sort_onesweep_sort_config_static_selectorELNS0_4arch9wavefront6targetE1EEEvSG_.uses_flat_scratch, 0
	.set _ZN7rocprim17ROCPRIM_400000_NS6detail17trampoline_kernelINS0_14default_configENS1_35radix_sort_onesweep_config_selectorIhlEEZZNS1_29radix_sort_onesweep_iterationIS3_Lb0EPhS7_N6thrust23THRUST_200600_302600_NS10device_ptrIlEESB_jNS0_19identity_decomposerENS1_16block_id_wrapperIjLb1EEEEE10hipError_tT1_PNSt15iterator_traitsISG_E10value_typeET2_T3_PNSH_ISM_E10value_typeET4_T5_PSR_SS_PNS1_23onesweep_lookback_stateEbbT6_jjT7_P12ihipStream_tbENKUlT_T0_SG_SL_E_clIS7_S7_SB_PlEEDaSZ_S10_SG_SL_EUlSZ_E_NS1_11comp_targetILNS1_3genE4ELNS1_11target_archE910ELNS1_3gpuE8ELNS1_3repE0EEENS1_47radix_sort_onesweep_sort_config_static_selectorELNS0_4arch9wavefront6targetE1EEEvSG_.has_dyn_sized_stack, 0
	.set _ZN7rocprim17ROCPRIM_400000_NS6detail17trampoline_kernelINS0_14default_configENS1_35radix_sort_onesweep_config_selectorIhlEEZZNS1_29radix_sort_onesweep_iterationIS3_Lb0EPhS7_N6thrust23THRUST_200600_302600_NS10device_ptrIlEESB_jNS0_19identity_decomposerENS1_16block_id_wrapperIjLb1EEEEE10hipError_tT1_PNSt15iterator_traitsISG_E10value_typeET2_T3_PNSH_ISM_E10value_typeET4_T5_PSR_SS_PNS1_23onesweep_lookback_stateEbbT6_jjT7_P12ihipStream_tbENKUlT_T0_SG_SL_E_clIS7_S7_SB_PlEEDaSZ_S10_SG_SL_EUlSZ_E_NS1_11comp_targetILNS1_3genE4ELNS1_11target_archE910ELNS1_3gpuE8ELNS1_3repE0EEENS1_47radix_sort_onesweep_sort_config_static_selectorELNS0_4arch9wavefront6targetE1EEEvSG_.has_recursion, 0
	.set _ZN7rocprim17ROCPRIM_400000_NS6detail17trampoline_kernelINS0_14default_configENS1_35radix_sort_onesweep_config_selectorIhlEEZZNS1_29radix_sort_onesweep_iterationIS3_Lb0EPhS7_N6thrust23THRUST_200600_302600_NS10device_ptrIlEESB_jNS0_19identity_decomposerENS1_16block_id_wrapperIjLb1EEEEE10hipError_tT1_PNSt15iterator_traitsISG_E10value_typeET2_T3_PNSH_ISM_E10value_typeET4_T5_PSR_SS_PNS1_23onesweep_lookback_stateEbbT6_jjT7_P12ihipStream_tbENKUlT_T0_SG_SL_E_clIS7_S7_SB_PlEEDaSZ_S10_SG_SL_EUlSZ_E_NS1_11comp_targetILNS1_3genE4ELNS1_11target_archE910ELNS1_3gpuE8ELNS1_3repE0EEENS1_47radix_sort_onesweep_sort_config_static_selectorELNS0_4arch9wavefront6targetE1EEEvSG_.has_indirect_call, 0
	.section	.AMDGPU.csdata,"",@progbits
; Kernel info:
; codeLenInByte = 0
; TotalNumSgprs: 4
; NumVgprs: 0
; ScratchSize: 0
; MemoryBound: 0
; FloatMode: 240
; IeeeMode: 1
; LDSByteSize: 0 bytes/workgroup (compile time only)
; SGPRBlocks: 0
; VGPRBlocks: 0
; NumSGPRsForWavesPerEU: 4
; NumVGPRsForWavesPerEU: 1
; Occupancy: 10
; WaveLimiterHint : 0
; COMPUTE_PGM_RSRC2:SCRATCH_EN: 0
; COMPUTE_PGM_RSRC2:USER_SGPR: 6
; COMPUTE_PGM_RSRC2:TRAP_HANDLER: 0
; COMPUTE_PGM_RSRC2:TGID_X_EN: 1
; COMPUTE_PGM_RSRC2:TGID_Y_EN: 0
; COMPUTE_PGM_RSRC2:TGID_Z_EN: 0
; COMPUTE_PGM_RSRC2:TIDIG_COMP_CNT: 0
	.section	.text._ZN7rocprim17ROCPRIM_400000_NS6detail17trampoline_kernelINS0_14default_configENS1_35radix_sort_onesweep_config_selectorIhlEEZZNS1_29radix_sort_onesweep_iterationIS3_Lb0EPhS7_N6thrust23THRUST_200600_302600_NS10device_ptrIlEESB_jNS0_19identity_decomposerENS1_16block_id_wrapperIjLb1EEEEE10hipError_tT1_PNSt15iterator_traitsISG_E10value_typeET2_T3_PNSH_ISM_E10value_typeET4_T5_PSR_SS_PNS1_23onesweep_lookback_stateEbbT6_jjT7_P12ihipStream_tbENKUlT_T0_SG_SL_E_clIS7_S7_SB_PlEEDaSZ_S10_SG_SL_EUlSZ_E_NS1_11comp_targetILNS1_3genE3ELNS1_11target_archE908ELNS1_3gpuE7ELNS1_3repE0EEENS1_47radix_sort_onesweep_sort_config_static_selectorELNS0_4arch9wavefront6targetE1EEEvSG_,"axG",@progbits,_ZN7rocprim17ROCPRIM_400000_NS6detail17trampoline_kernelINS0_14default_configENS1_35radix_sort_onesweep_config_selectorIhlEEZZNS1_29radix_sort_onesweep_iterationIS3_Lb0EPhS7_N6thrust23THRUST_200600_302600_NS10device_ptrIlEESB_jNS0_19identity_decomposerENS1_16block_id_wrapperIjLb1EEEEE10hipError_tT1_PNSt15iterator_traitsISG_E10value_typeET2_T3_PNSH_ISM_E10value_typeET4_T5_PSR_SS_PNS1_23onesweep_lookback_stateEbbT6_jjT7_P12ihipStream_tbENKUlT_T0_SG_SL_E_clIS7_S7_SB_PlEEDaSZ_S10_SG_SL_EUlSZ_E_NS1_11comp_targetILNS1_3genE3ELNS1_11target_archE908ELNS1_3gpuE7ELNS1_3repE0EEENS1_47radix_sort_onesweep_sort_config_static_selectorELNS0_4arch9wavefront6targetE1EEEvSG_,comdat
	.protected	_ZN7rocprim17ROCPRIM_400000_NS6detail17trampoline_kernelINS0_14default_configENS1_35radix_sort_onesweep_config_selectorIhlEEZZNS1_29radix_sort_onesweep_iterationIS3_Lb0EPhS7_N6thrust23THRUST_200600_302600_NS10device_ptrIlEESB_jNS0_19identity_decomposerENS1_16block_id_wrapperIjLb1EEEEE10hipError_tT1_PNSt15iterator_traitsISG_E10value_typeET2_T3_PNSH_ISM_E10value_typeET4_T5_PSR_SS_PNS1_23onesweep_lookback_stateEbbT6_jjT7_P12ihipStream_tbENKUlT_T0_SG_SL_E_clIS7_S7_SB_PlEEDaSZ_S10_SG_SL_EUlSZ_E_NS1_11comp_targetILNS1_3genE3ELNS1_11target_archE908ELNS1_3gpuE7ELNS1_3repE0EEENS1_47radix_sort_onesweep_sort_config_static_selectorELNS0_4arch9wavefront6targetE1EEEvSG_ ; -- Begin function _ZN7rocprim17ROCPRIM_400000_NS6detail17trampoline_kernelINS0_14default_configENS1_35radix_sort_onesweep_config_selectorIhlEEZZNS1_29radix_sort_onesweep_iterationIS3_Lb0EPhS7_N6thrust23THRUST_200600_302600_NS10device_ptrIlEESB_jNS0_19identity_decomposerENS1_16block_id_wrapperIjLb1EEEEE10hipError_tT1_PNSt15iterator_traitsISG_E10value_typeET2_T3_PNSH_ISM_E10value_typeET4_T5_PSR_SS_PNS1_23onesweep_lookback_stateEbbT6_jjT7_P12ihipStream_tbENKUlT_T0_SG_SL_E_clIS7_S7_SB_PlEEDaSZ_S10_SG_SL_EUlSZ_E_NS1_11comp_targetILNS1_3genE3ELNS1_11target_archE908ELNS1_3gpuE7ELNS1_3repE0EEENS1_47radix_sort_onesweep_sort_config_static_selectorELNS0_4arch9wavefront6targetE1EEEvSG_
	.globl	_ZN7rocprim17ROCPRIM_400000_NS6detail17trampoline_kernelINS0_14default_configENS1_35radix_sort_onesweep_config_selectorIhlEEZZNS1_29radix_sort_onesweep_iterationIS3_Lb0EPhS7_N6thrust23THRUST_200600_302600_NS10device_ptrIlEESB_jNS0_19identity_decomposerENS1_16block_id_wrapperIjLb1EEEEE10hipError_tT1_PNSt15iterator_traitsISG_E10value_typeET2_T3_PNSH_ISM_E10value_typeET4_T5_PSR_SS_PNS1_23onesweep_lookback_stateEbbT6_jjT7_P12ihipStream_tbENKUlT_T0_SG_SL_E_clIS7_S7_SB_PlEEDaSZ_S10_SG_SL_EUlSZ_E_NS1_11comp_targetILNS1_3genE3ELNS1_11target_archE908ELNS1_3gpuE7ELNS1_3repE0EEENS1_47radix_sort_onesweep_sort_config_static_selectorELNS0_4arch9wavefront6targetE1EEEvSG_
	.p2align	8
	.type	_ZN7rocprim17ROCPRIM_400000_NS6detail17trampoline_kernelINS0_14default_configENS1_35radix_sort_onesweep_config_selectorIhlEEZZNS1_29radix_sort_onesweep_iterationIS3_Lb0EPhS7_N6thrust23THRUST_200600_302600_NS10device_ptrIlEESB_jNS0_19identity_decomposerENS1_16block_id_wrapperIjLb1EEEEE10hipError_tT1_PNSt15iterator_traitsISG_E10value_typeET2_T3_PNSH_ISM_E10value_typeET4_T5_PSR_SS_PNS1_23onesweep_lookback_stateEbbT6_jjT7_P12ihipStream_tbENKUlT_T0_SG_SL_E_clIS7_S7_SB_PlEEDaSZ_S10_SG_SL_EUlSZ_E_NS1_11comp_targetILNS1_3genE3ELNS1_11target_archE908ELNS1_3gpuE7ELNS1_3repE0EEENS1_47radix_sort_onesweep_sort_config_static_selectorELNS0_4arch9wavefront6targetE1EEEvSG_,@function
_ZN7rocprim17ROCPRIM_400000_NS6detail17trampoline_kernelINS0_14default_configENS1_35radix_sort_onesweep_config_selectorIhlEEZZNS1_29radix_sort_onesweep_iterationIS3_Lb0EPhS7_N6thrust23THRUST_200600_302600_NS10device_ptrIlEESB_jNS0_19identity_decomposerENS1_16block_id_wrapperIjLb1EEEEE10hipError_tT1_PNSt15iterator_traitsISG_E10value_typeET2_T3_PNSH_ISM_E10value_typeET4_T5_PSR_SS_PNS1_23onesweep_lookback_stateEbbT6_jjT7_P12ihipStream_tbENKUlT_T0_SG_SL_E_clIS7_S7_SB_PlEEDaSZ_S10_SG_SL_EUlSZ_E_NS1_11comp_targetILNS1_3genE3ELNS1_11target_archE908ELNS1_3gpuE7ELNS1_3repE0EEENS1_47radix_sort_onesweep_sort_config_static_selectorELNS0_4arch9wavefront6targetE1EEEvSG_: ; @_ZN7rocprim17ROCPRIM_400000_NS6detail17trampoline_kernelINS0_14default_configENS1_35radix_sort_onesweep_config_selectorIhlEEZZNS1_29radix_sort_onesweep_iterationIS3_Lb0EPhS7_N6thrust23THRUST_200600_302600_NS10device_ptrIlEESB_jNS0_19identity_decomposerENS1_16block_id_wrapperIjLb1EEEEE10hipError_tT1_PNSt15iterator_traitsISG_E10value_typeET2_T3_PNSH_ISM_E10value_typeET4_T5_PSR_SS_PNS1_23onesweep_lookback_stateEbbT6_jjT7_P12ihipStream_tbENKUlT_T0_SG_SL_E_clIS7_S7_SB_PlEEDaSZ_S10_SG_SL_EUlSZ_E_NS1_11comp_targetILNS1_3genE3ELNS1_11target_archE908ELNS1_3gpuE7ELNS1_3repE0EEENS1_47radix_sort_onesweep_sort_config_static_selectorELNS0_4arch9wavefront6targetE1EEEvSG_
; %bb.0:
	.section	.rodata,"a",@progbits
	.p2align	6, 0x0
	.amdhsa_kernel _ZN7rocprim17ROCPRIM_400000_NS6detail17trampoline_kernelINS0_14default_configENS1_35radix_sort_onesweep_config_selectorIhlEEZZNS1_29radix_sort_onesweep_iterationIS3_Lb0EPhS7_N6thrust23THRUST_200600_302600_NS10device_ptrIlEESB_jNS0_19identity_decomposerENS1_16block_id_wrapperIjLb1EEEEE10hipError_tT1_PNSt15iterator_traitsISG_E10value_typeET2_T3_PNSH_ISM_E10value_typeET4_T5_PSR_SS_PNS1_23onesweep_lookback_stateEbbT6_jjT7_P12ihipStream_tbENKUlT_T0_SG_SL_E_clIS7_S7_SB_PlEEDaSZ_S10_SG_SL_EUlSZ_E_NS1_11comp_targetILNS1_3genE3ELNS1_11target_archE908ELNS1_3gpuE7ELNS1_3repE0EEENS1_47radix_sort_onesweep_sort_config_static_selectorELNS0_4arch9wavefront6targetE1EEEvSG_
		.amdhsa_group_segment_fixed_size 0
		.amdhsa_private_segment_fixed_size 0
		.amdhsa_kernarg_size 88
		.amdhsa_user_sgpr_count 6
		.amdhsa_user_sgpr_private_segment_buffer 1
		.amdhsa_user_sgpr_dispatch_ptr 0
		.amdhsa_user_sgpr_queue_ptr 0
		.amdhsa_user_sgpr_kernarg_segment_ptr 1
		.amdhsa_user_sgpr_dispatch_id 0
		.amdhsa_user_sgpr_flat_scratch_init 0
		.amdhsa_user_sgpr_private_segment_size 0
		.amdhsa_uses_dynamic_stack 0
		.amdhsa_system_sgpr_private_segment_wavefront_offset 0
		.amdhsa_system_sgpr_workgroup_id_x 1
		.amdhsa_system_sgpr_workgroup_id_y 0
		.amdhsa_system_sgpr_workgroup_id_z 0
		.amdhsa_system_sgpr_workgroup_info 0
		.amdhsa_system_vgpr_workitem_id 0
		.amdhsa_next_free_vgpr 1
		.amdhsa_next_free_sgpr 0
		.amdhsa_reserve_vcc 0
		.amdhsa_reserve_flat_scratch 0
		.amdhsa_float_round_mode_32 0
		.amdhsa_float_round_mode_16_64 0
		.amdhsa_float_denorm_mode_32 3
		.amdhsa_float_denorm_mode_16_64 3
		.amdhsa_dx10_clamp 1
		.amdhsa_ieee_mode 1
		.amdhsa_fp16_overflow 0
		.amdhsa_exception_fp_ieee_invalid_op 0
		.amdhsa_exception_fp_denorm_src 0
		.amdhsa_exception_fp_ieee_div_zero 0
		.amdhsa_exception_fp_ieee_overflow 0
		.amdhsa_exception_fp_ieee_underflow 0
		.amdhsa_exception_fp_ieee_inexact 0
		.amdhsa_exception_int_div_zero 0
	.end_amdhsa_kernel
	.section	.text._ZN7rocprim17ROCPRIM_400000_NS6detail17trampoline_kernelINS0_14default_configENS1_35radix_sort_onesweep_config_selectorIhlEEZZNS1_29radix_sort_onesweep_iterationIS3_Lb0EPhS7_N6thrust23THRUST_200600_302600_NS10device_ptrIlEESB_jNS0_19identity_decomposerENS1_16block_id_wrapperIjLb1EEEEE10hipError_tT1_PNSt15iterator_traitsISG_E10value_typeET2_T3_PNSH_ISM_E10value_typeET4_T5_PSR_SS_PNS1_23onesweep_lookback_stateEbbT6_jjT7_P12ihipStream_tbENKUlT_T0_SG_SL_E_clIS7_S7_SB_PlEEDaSZ_S10_SG_SL_EUlSZ_E_NS1_11comp_targetILNS1_3genE3ELNS1_11target_archE908ELNS1_3gpuE7ELNS1_3repE0EEENS1_47radix_sort_onesweep_sort_config_static_selectorELNS0_4arch9wavefront6targetE1EEEvSG_,"axG",@progbits,_ZN7rocprim17ROCPRIM_400000_NS6detail17trampoline_kernelINS0_14default_configENS1_35radix_sort_onesweep_config_selectorIhlEEZZNS1_29radix_sort_onesweep_iterationIS3_Lb0EPhS7_N6thrust23THRUST_200600_302600_NS10device_ptrIlEESB_jNS0_19identity_decomposerENS1_16block_id_wrapperIjLb1EEEEE10hipError_tT1_PNSt15iterator_traitsISG_E10value_typeET2_T3_PNSH_ISM_E10value_typeET4_T5_PSR_SS_PNS1_23onesweep_lookback_stateEbbT6_jjT7_P12ihipStream_tbENKUlT_T0_SG_SL_E_clIS7_S7_SB_PlEEDaSZ_S10_SG_SL_EUlSZ_E_NS1_11comp_targetILNS1_3genE3ELNS1_11target_archE908ELNS1_3gpuE7ELNS1_3repE0EEENS1_47radix_sort_onesweep_sort_config_static_selectorELNS0_4arch9wavefront6targetE1EEEvSG_,comdat
.Lfunc_end278:
	.size	_ZN7rocprim17ROCPRIM_400000_NS6detail17trampoline_kernelINS0_14default_configENS1_35radix_sort_onesweep_config_selectorIhlEEZZNS1_29radix_sort_onesweep_iterationIS3_Lb0EPhS7_N6thrust23THRUST_200600_302600_NS10device_ptrIlEESB_jNS0_19identity_decomposerENS1_16block_id_wrapperIjLb1EEEEE10hipError_tT1_PNSt15iterator_traitsISG_E10value_typeET2_T3_PNSH_ISM_E10value_typeET4_T5_PSR_SS_PNS1_23onesweep_lookback_stateEbbT6_jjT7_P12ihipStream_tbENKUlT_T0_SG_SL_E_clIS7_S7_SB_PlEEDaSZ_S10_SG_SL_EUlSZ_E_NS1_11comp_targetILNS1_3genE3ELNS1_11target_archE908ELNS1_3gpuE7ELNS1_3repE0EEENS1_47radix_sort_onesweep_sort_config_static_selectorELNS0_4arch9wavefront6targetE1EEEvSG_, .Lfunc_end278-_ZN7rocprim17ROCPRIM_400000_NS6detail17trampoline_kernelINS0_14default_configENS1_35radix_sort_onesweep_config_selectorIhlEEZZNS1_29radix_sort_onesweep_iterationIS3_Lb0EPhS7_N6thrust23THRUST_200600_302600_NS10device_ptrIlEESB_jNS0_19identity_decomposerENS1_16block_id_wrapperIjLb1EEEEE10hipError_tT1_PNSt15iterator_traitsISG_E10value_typeET2_T3_PNSH_ISM_E10value_typeET4_T5_PSR_SS_PNS1_23onesweep_lookback_stateEbbT6_jjT7_P12ihipStream_tbENKUlT_T0_SG_SL_E_clIS7_S7_SB_PlEEDaSZ_S10_SG_SL_EUlSZ_E_NS1_11comp_targetILNS1_3genE3ELNS1_11target_archE908ELNS1_3gpuE7ELNS1_3repE0EEENS1_47radix_sort_onesweep_sort_config_static_selectorELNS0_4arch9wavefront6targetE1EEEvSG_
                                        ; -- End function
	.set _ZN7rocprim17ROCPRIM_400000_NS6detail17trampoline_kernelINS0_14default_configENS1_35radix_sort_onesweep_config_selectorIhlEEZZNS1_29radix_sort_onesweep_iterationIS3_Lb0EPhS7_N6thrust23THRUST_200600_302600_NS10device_ptrIlEESB_jNS0_19identity_decomposerENS1_16block_id_wrapperIjLb1EEEEE10hipError_tT1_PNSt15iterator_traitsISG_E10value_typeET2_T3_PNSH_ISM_E10value_typeET4_T5_PSR_SS_PNS1_23onesweep_lookback_stateEbbT6_jjT7_P12ihipStream_tbENKUlT_T0_SG_SL_E_clIS7_S7_SB_PlEEDaSZ_S10_SG_SL_EUlSZ_E_NS1_11comp_targetILNS1_3genE3ELNS1_11target_archE908ELNS1_3gpuE7ELNS1_3repE0EEENS1_47radix_sort_onesweep_sort_config_static_selectorELNS0_4arch9wavefront6targetE1EEEvSG_.num_vgpr, 0
	.set _ZN7rocprim17ROCPRIM_400000_NS6detail17trampoline_kernelINS0_14default_configENS1_35radix_sort_onesweep_config_selectorIhlEEZZNS1_29radix_sort_onesweep_iterationIS3_Lb0EPhS7_N6thrust23THRUST_200600_302600_NS10device_ptrIlEESB_jNS0_19identity_decomposerENS1_16block_id_wrapperIjLb1EEEEE10hipError_tT1_PNSt15iterator_traitsISG_E10value_typeET2_T3_PNSH_ISM_E10value_typeET4_T5_PSR_SS_PNS1_23onesweep_lookback_stateEbbT6_jjT7_P12ihipStream_tbENKUlT_T0_SG_SL_E_clIS7_S7_SB_PlEEDaSZ_S10_SG_SL_EUlSZ_E_NS1_11comp_targetILNS1_3genE3ELNS1_11target_archE908ELNS1_3gpuE7ELNS1_3repE0EEENS1_47radix_sort_onesweep_sort_config_static_selectorELNS0_4arch9wavefront6targetE1EEEvSG_.num_agpr, 0
	.set _ZN7rocprim17ROCPRIM_400000_NS6detail17trampoline_kernelINS0_14default_configENS1_35radix_sort_onesweep_config_selectorIhlEEZZNS1_29radix_sort_onesweep_iterationIS3_Lb0EPhS7_N6thrust23THRUST_200600_302600_NS10device_ptrIlEESB_jNS0_19identity_decomposerENS1_16block_id_wrapperIjLb1EEEEE10hipError_tT1_PNSt15iterator_traitsISG_E10value_typeET2_T3_PNSH_ISM_E10value_typeET4_T5_PSR_SS_PNS1_23onesweep_lookback_stateEbbT6_jjT7_P12ihipStream_tbENKUlT_T0_SG_SL_E_clIS7_S7_SB_PlEEDaSZ_S10_SG_SL_EUlSZ_E_NS1_11comp_targetILNS1_3genE3ELNS1_11target_archE908ELNS1_3gpuE7ELNS1_3repE0EEENS1_47radix_sort_onesweep_sort_config_static_selectorELNS0_4arch9wavefront6targetE1EEEvSG_.numbered_sgpr, 0
	.set _ZN7rocprim17ROCPRIM_400000_NS6detail17trampoline_kernelINS0_14default_configENS1_35radix_sort_onesweep_config_selectorIhlEEZZNS1_29radix_sort_onesweep_iterationIS3_Lb0EPhS7_N6thrust23THRUST_200600_302600_NS10device_ptrIlEESB_jNS0_19identity_decomposerENS1_16block_id_wrapperIjLb1EEEEE10hipError_tT1_PNSt15iterator_traitsISG_E10value_typeET2_T3_PNSH_ISM_E10value_typeET4_T5_PSR_SS_PNS1_23onesweep_lookback_stateEbbT6_jjT7_P12ihipStream_tbENKUlT_T0_SG_SL_E_clIS7_S7_SB_PlEEDaSZ_S10_SG_SL_EUlSZ_E_NS1_11comp_targetILNS1_3genE3ELNS1_11target_archE908ELNS1_3gpuE7ELNS1_3repE0EEENS1_47radix_sort_onesweep_sort_config_static_selectorELNS0_4arch9wavefront6targetE1EEEvSG_.num_named_barrier, 0
	.set _ZN7rocprim17ROCPRIM_400000_NS6detail17trampoline_kernelINS0_14default_configENS1_35radix_sort_onesweep_config_selectorIhlEEZZNS1_29radix_sort_onesweep_iterationIS3_Lb0EPhS7_N6thrust23THRUST_200600_302600_NS10device_ptrIlEESB_jNS0_19identity_decomposerENS1_16block_id_wrapperIjLb1EEEEE10hipError_tT1_PNSt15iterator_traitsISG_E10value_typeET2_T3_PNSH_ISM_E10value_typeET4_T5_PSR_SS_PNS1_23onesweep_lookback_stateEbbT6_jjT7_P12ihipStream_tbENKUlT_T0_SG_SL_E_clIS7_S7_SB_PlEEDaSZ_S10_SG_SL_EUlSZ_E_NS1_11comp_targetILNS1_3genE3ELNS1_11target_archE908ELNS1_3gpuE7ELNS1_3repE0EEENS1_47radix_sort_onesweep_sort_config_static_selectorELNS0_4arch9wavefront6targetE1EEEvSG_.private_seg_size, 0
	.set _ZN7rocprim17ROCPRIM_400000_NS6detail17trampoline_kernelINS0_14default_configENS1_35radix_sort_onesweep_config_selectorIhlEEZZNS1_29radix_sort_onesweep_iterationIS3_Lb0EPhS7_N6thrust23THRUST_200600_302600_NS10device_ptrIlEESB_jNS0_19identity_decomposerENS1_16block_id_wrapperIjLb1EEEEE10hipError_tT1_PNSt15iterator_traitsISG_E10value_typeET2_T3_PNSH_ISM_E10value_typeET4_T5_PSR_SS_PNS1_23onesweep_lookback_stateEbbT6_jjT7_P12ihipStream_tbENKUlT_T0_SG_SL_E_clIS7_S7_SB_PlEEDaSZ_S10_SG_SL_EUlSZ_E_NS1_11comp_targetILNS1_3genE3ELNS1_11target_archE908ELNS1_3gpuE7ELNS1_3repE0EEENS1_47radix_sort_onesweep_sort_config_static_selectorELNS0_4arch9wavefront6targetE1EEEvSG_.uses_vcc, 0
	.set _ZN7rocprim17ROCPRIM_400000_NS6detail17trampoline_kernelINS0_14default_configENS1_35radix_sort_onesweep_config_selectorIhlEEZZNS1_29radix_sort_onesweep_iterationIS3_Lb0EPhS7_N6thrust23THRUST_200600_302600_NS10device_ptrIlEESB_jNS0_19identity_decomposerENS1_16block_id_wrapperIjLb1EEEEE10hipError_tT1_PNSt15iterator_traitsISG_E10value_typeET2_T3_PNSH_ISM_E10value_typeET4_T5_PSR_SS_PNS1_23onesweep_lookback_stateEbbT6_jjT7_P12ihipStream_tbENKUlT_T0_SG_SL_E_clIS7_S7_SB_PlEEDaSZ_S10_SG_SL_EUlSZ_E_NS1_11comp_targetILNS1_3genE3ELNS1_11target_archE908ELNS1_3gpuE7ELNS1_3repE0EEENS1_47radix_sort_onesweep_sort_config_static_selectorELNS0_4arch9wavefront6targetE1EEEvSG_.uses_flat_scratch, 0
	.set _ZN7rocprim17ROCPRIM_400000_NS6detail17trampoline_kernelINS0_14default_configENS1_35radix_sort_onesweep_config_selectorIhlEEZZNS1_29radix_sort_onesweep_iterationIS3_Lb0EPhS7_N6thrust23THRUST_200600_302600_NS10device_ptrIlEESB_jNS0_19identity_decomposerENS1_16block_id_wrapperIjLb1EEEEE10hipError_tT1_PNSt15iterator_traitsISG_E10value_typeET2_T3_PNSH_ISM_E10value_typeET4_T5_PSR_SS_PNS1_23onesweep_lookback_stateEbbT6_jjT7_P12ihipStream_tbENKUlT_T0_SG_SL_E_clIS7_S7_SB_PlEEDaSZ_S10_SG_SL_EUlSZ_E_NS1_11comp_targetILNS1_3genE3ELNS1_11target_archE908ELNS1_3gpuE7ELNS1_3repE0EEENS1_47radix_sort_onesweep_sort_config_static_selectorELNS0_4arch9wavefront6targetE1EEEvSG_.has_dyn_sized_stack, 0
	.set _ZN7rocprim17ROCPRIM_400000_NS6detail17trampoline_kernelINS0_14default_configENS1_35radix_sort_onesweep_config_selectorIhlEEZZNS1_29radix_sort_onesweep_iterationIS3_Lb0EPhS7_N6thrust23THRUST_200600_302600_NS10device_ptrIlEESB_jNS0_19identity_decomposerENS1_16block_id_wrapperIjLb1EEEEE10hipError_tT1_PNSt15iterator_traitsISG_E10value_typeET2_T3_PNSH_ISM_E10value_typeET4_T5_PSR_SS_PNS1_23onesweep_lookback_stateEbbT6_jjT7_P12ihipStream_tbENKUlT_T0_SG_SL_E_clIS7_S7_SB_PlEEDaSZ_S10_SG_SL_EUlSZ_E_NS1_11comp_targetILNS1_3genE3ELNS1_11target_archE908ELNS1_3gpuE7ELNS1_3repE0EEENS1_47radix_sort_onesweep_sort_config_static_selectorELNS0_4arch9wavefront6targetE1EEEvSG_.has_recursion, 0
	.set _ZN7rocprim17ROCPRIM_400000_NS6detail17trampoline_kernelINS0_14default_configENS1_35radix_sort_onesweep_config_selectorIhlEEZZNS1_29radix_sort_onesweep_iterationIS3_Lb0EPhS7_N6thrust23THRUST_200600_302600_NS10device_ptrIlEESB_jNS0_19identity_decomposerENS1_16block_id_wrapperIjLb1EEEEE10hipError_tT1_PNSt15iterator_traitsISG_E10value_typeET2_T3_PNSH_ISM_E10value_typeET4_T5_PSR_SS_PNS1_23onesweep_lookback_stateEbbT6_jjT7_P12ihipStream_tbENKUlT_T0_SG_SL_E_clIS7_S7_SB_PlEEDaSZ_S10_SG_SL_EUlSZ_E_NS1_11comp_targetILNS1_3genE3ELNS1_11target_archE908ELNS1_3gpuE7ELNS1_3repE0EEENS1_47radix_sort_onesweep_sort_config_static_selectorELNS0_4arch9wavefront6targetE1EEEvSG_.has_indirect_call, 0
	.section	.AMDGPU.csdata,"",@progbits
; Kernel info:
; codeLenInByte = 0
; TotalNumSgprs: 4
; NumVgprs: 0
; ScratchSize: 0
; MemoryBound: 0
; FloatMode: 240
; IeeeMode: 1
; LDSByteSize: 0 bytes/workgroup (compile time only)
; SGPRBlocks: 0
; VGPRBlocks: 0
; NumSGPRsForWavesPerEU: 4
; NumVGPRsForWavesPerEU: 1
; Occupancy: 10
; WaveLimiterHint : 0
; COMPUTE_PGM_RSRC2:SCRATCH_EN: 0
; COMPUTE_PGM_RSRC2:USER_SGPR: 6
; COMPUTE_PGM_RSRC2:TRAP_HANDLER: 0
; COMPUTE_PGM_RSRC2:TGID_X_EN: 1
; COMPUTE_PGM_RSRC2:TGID_Y_EN: 0
; COMPUTE_PGM_RSRC2:TGID_Z_EN: 0
; COMPUTE_PGM_RSRC2:TIDIG_COMP_CNT: 0
	.section	.text._ZN7rocprim17ROCPRIM_400000_NS6detail17trampoline_kernelINS0_14default_configENS1_35radix_sort_onesweep_config_selectorIhlEEZZNS1_29radix_sort_onesweep_iterationIS3_Lb0EPhS7_N6thrust23THRUST_200600_302600_NS10device_ptrIlEESB_jNS0_19identity_decomposerENS1_16block_id_wrapperIjLb1EEEEE10hipError_tT1_PNSt15iterator_traitsISG_E10value_typeET2_T3_PNSH_ISM_E10value_typeET4_T5_PSR_SS_PNS1_23onesweep_lookback_stateEbbT6_jjT7_P12ihipStream_tbENKUlT_T0_SG_SL_E_clIS7_S7_SB_PlEEDaSZ_S10_SG_SL_EUlSZ_E_NS1_11comp_targetILNS1_3genE10ELNS1_11target_archE1201ELNS1_3gpuE5ELNS1_3repE0EEENS1_47radix_sort_onesweep_sort_config_static_selectorELNS0_4arch9wavefront6targetE1EEEvSG_,"axG",@progbits,_ZN7rocprim17ROCPRIM_400000_NS6detail17trampoline_kernelINS0_14default_configENS1_35radix_sort_onesweep_config_selectorIhlEEZZNS1_29radix_sort_onesweep_iterationIS3_Lb0EPhS7_N6thrust23THRUST_200600_302600_NS10device_ptrIlEESB_jNS0_19identity_decomposerENS1_16block_id_wrapperIjLb1EEEEE10hipError_tT1_PNSt15iterator_traitsISG_E10value_typeET2_T3_PNSH_ISM_E10value_typeET4_T5_PSR_SS_PNS1_23onesweep_lookback_stateEbbT6_jjT7_P12ihipStream_tbENKUlT_T0_SG_SL_E_clIS7_S7_SB_PlEEDaSZ_S10_SG_SL_EUlSZ_E_NS1_11comp_targetILNS1_3genE10ELNS1_11target_archE1201ELNS1_3gpuE5ELNS1_3repE0EEENS1_47radix_sort_onesweep_sort_config_static_selectorELNS0_4arch9wavefront6targetE1EEEvSG_,comdat
	.protected	_ZN7rocprim17ROCPRIM_400000_NS6detail17trampoline_kernelINS0_14default_configENS1_35radix_sort_onesweep_config_selectorIhlEEZZNS1_29radix_sort_onesweep_iterationIS3_Lb0EPhS7_N6thrust23THRUST_200600_302600_NS10device_ptrIlEESB_jNS0_19identity_decomposerENS1_16block_id_wrapperIjLb1EEEEE10hipError_tT1_PNSt15iterator_traitsISG_E10value_typeET2_T3_PNSH_ISM_E10value_typeET4_T5_PSR_SS_PNS1_23onesweep_lookback_stateEbbT6_jjT7_P12ihipStream_tbENKUlT_T0_SG_SL_E_clIS7_S7_SB_PlEEDaSZ_S10_SG_SL_EUlSZ_E_NS1_11comp_targetILNS1_3genE10ELNS1_11target_archE1201ELNS1_3gpuE5ELNS1_3repE0EEENS1_47radix_sort_onesweep_sort_config_static_selectorELNS0_4arch9wavefront6targetE1EEEvSG_ ; -- Begin function _ZN7rocprim17ROCPRIM_400000_NS6detail17trampoline_kernelINS0_14default_configENS1_35radix_sort_onesweep_config_selectorIhlEEZZNS1_29radix_sort_onesweep_iterationIS3_Lb0EPhS7_N6thrust23THRUST_200600_302600_NS10device_ptrIlEESB_jNS0_19identity_decomposerENS1_16block_id_wrapperIjLb1EEEEE10hipError_tT1_PNSt15iterator_traitsISG_E10value_typeET2_T3_PNSH_ISM_E10value_typeET4_T5_PSR_SS_PNS1_23onesweep_lookback_stateEbbT6_jjT7_P12ihipStream_tbENKUlT_T0_SG_SL_E_clIS7_S7_SB_PlEEDaSZ_S10_SG_SL_EUlSZ_E_NS1_11comp_targetILNS1_3genE10ELNS1_11target_archE1201ELNS1_3gpuE5ELNS1_3repE0EEENS1_47radix_sort_onesweep_sort_config_static_selectorELNS0_4arch9wavefront6targetE1EEEvSG_
	.globl	_ZN7rocprim17ROCPRIM_400000_NS6detail17trampoline_kernelINS0_14default_configENS1_35radix_sort_onesweep_config_selectorIhlEEZZNS1_29radix_sort_onesweep_iterationIS3_Lb0EPhS7_N6thrust23THRUST_200600_302600_NS10device_ptrIlEESB_jNS0_19identity_decomposerENS1_16block_id_wrapperIjLb1EEEEE10hipError_tT1_PNSt15iterator_traitsISG_E10value_typeET2_T3_PNSH_ISM_E10value_typeET4_T5_PSR_SS_PNS1_23onesweep_lookback_stateEbbT6_jjT7_P12ihipStream_tbENKUlT_T0_SG_SL_E_clIS7_S7_SB_PlEEDaSZ_S10_SG_SL_EUlSZ_E_NS1_11comp_targetILNS1_3genE10ELNS1_11target_archE1201ELNS1_3gpuE5ELNS1_3repE0EEENS1_47radix_sort_onesweep_sort_config_static_selectorELNS0_4arch9wavefront6targetE1EEEvSG_
	.p2align	8
	.type	_ZN7rocprim17ROCPRIM_400000_NS6detail17trampoline_kernelINS0_14default_configENS1_35radix_sort_onesweep_config_selectorIhlEEZZNS1_29radix_sort_onesweep_iterationIS3_Lb0EPhS7_N6thrust23THRUST_200600_302600_NS10device_ptrIlEESB_jNS0_19identity_decomposerENS1_16block_id_wrapperIjLb1EEEEE10hipError_tT1_PNSt15iterator_traitsISG_E10value_typeET2_T3_PNSH_ISM_E10value_typeET4_T5_PSR_SS_PNS1_23onesweep_lookback_stateEbbT6_jjT7_P12ihipStream_tbENKUlT_T0_SG_SL_E_clIS7_S7_SB_PlEEDaSZ_S10_SG_SL_EUlSZ_E_NS1_11comp_targetILNS1_3genE10ELNS1_11target_archE1201ELNS1_3gpuE5ELNS1_3repE0EEENS1_47radix_sort_onesweep_sort_config_static_selectorELNS0_4arch9wavefront6targetE1EEEvSG_,@function
_ZN7rocprim17ROCPRIM_400000_NS6detail17trampoline_kernelINS0_14default_configENS1_35radix_sort_onesweep_config_selectorIhlEEZZNS1_29radix_sort_onesweep_iterationIS3_Lb0EPhS7_N6thrust23THRUST_200600_302600_NS10device_ptrIlEESB_jNS0_19identity_decomposerENS1_16block_id_wrapperIjLb1EEEEE10hipError_tT1_PNSt15iterator_traitsISG_E10value_typeET2_T3_PNSH_ISM_E10value_typeET4_T5_PSR_SS_PNS1_23onesweep_lookback_stateEbbT6_jjT7_P12ihipStream_tbENKUlT_T0_SG_SL_E_clIS7_S7_SB_PlEEDaSZ_S10_SG_SL_EUlSZ_E_NS1_11comp_targetILNS1_3genE10ELNS1_11target_archE1201ELNS1_3gpuE5ELNS1_3repE0EEENS1_47radix_sort_onesweep_sort_config_static_selectorELNS0_4arch9wavefront6targetE1EEEvSG_: ; @_ZN7rocprim17ROCPRIM_400000_NS6detail17trampoline_kernelINS0_14default_configENS1_35radix_sort_onesweep_config_selectorIhlEEZZNS1_29radix_sort_onesweep_iterationIS3_Lb0EPhS7_N6thrust23THRUST_200600_302600_NS10device_ptrIlEESB_jNS0_19identity_decomposerENS1_16block_id_wrapperIjLb1EEEEE10hipError_tT1_PNSt15iterator_traitsISG_E10value_typeET2_T3_PNSH_ISM_E10value_typeET4_T5_PSR_SS_PNS1_23onesweep_lookback_stateEbbT6_jjT7_P12ihipStream_tbENKUlT_T0_SG_SL_E_clIS7_S7_SB_PlEEDaSZ_S10_SG_SL_EUlSZ_E_NS1_11comp_targetILNS1_3genE10ELNS1_11target_archE1201ELNS1_3gpuE5ELNS1_3repE0EEENS1_47radix_sort_onesweep_sort_config_static_selectorELNS0_4arch9wavefront6targetE1EEEvSG_
; %bb.0:
	.section	.rodata,"a",@progbits
	.p2align	6, 0x0
	.amdhsa_kernel _ZN7rocprim17ROCPRIM_400000_NS6detail17trampoline_kernelINS0_14default_configENS1_35radix_sort_onesweep_config_selectorIhlEEZZNS1_29radix_sort_onesweep_iterationIS3_Lb0EPhS7_N6thrust23THRUST_200600_302600_NS10device_ptrIlEESB_jNS0_19identity_decomposerENS1_16block_id_wrapperIjLb1EEEEE10hipError_tT1_PNSt15iterator_traitsISG_E10value_typeET2_T3_PNSH_ISM_E10value_typeET4_T5_PSR_SS_PNS1_23onesweep_lookback_stateEbbT6_jjT7_P12ihipStream_tbENKUlT_T0_SG_SL_E_clIS7_S7_SB_PlEEDaSZ_S10_SG_SL_EUlSZ_E_NS1_11comp_targetILNS1_3genE10ELNS1_11target_archE1201ELNS1_3gpuE5ELNS1_3repE0EEENS1_47radix_sort_onesweep_sort_config_static_selectorELNS0_4arch9wavefront6targetE1EEEvSG_
		.amdhsa_group_segment_fixed_size 0
		.amdhsa_private_segment_fixed_size 0
		.amdhsa_kernarg_size 88
		.amdhsa_user_sgpr_count 6
		.amdhsa_user_sgpr_private_segment_buffer 1
		.amdhsa_user_sgpr_dispatch_ptr 0
		.amdhsa_user_sgpr_queue_ptr 0
		.amdhsa_user_sgpr_kernarg_segment_ptr 1
		.amdhsa_user_sgpr_dispatch_id 0
		.amdhsa_user_sgpr_flat_scratch_init 0
		.amdhsa_user_sgpr_private_segment_size 0
		.amdhsa_uses_dynamic_stack 0
		.amdhsa_system_sgpr_private_segment_wavefront_offset 0
		.amdhsa_system_sgpr_workgroup_id_x 1
		.amdhsa_system_sgpr_workgroup_id_y 0
		.amdhsa_system_sgpr_workgroup_id_z 0
		.amdhsa_system_sgpr_workgroup_info 0
		.amdhsa_system_vgpr_workitem_id 0
		.amdhsa_next_free_vgpr 1
		.amdhsa_next_free_sgpr 0
		.amdhsa_reserve_vcc 0
		.amdhsa_reserve_flat_scratch 0
		.amdhsa_float_round_mode_32 0
		.amdhsa_float_round_mode_16_64 0
		.amdhsa_float_denorm_mode_32 3
		.amdhsa_float_denorm_mode_16_64 3
		.amdhsa_dx10_clamp 1
		.amdhsa_ieee_mode 1
		.amdhsa_fp16_overflow 0
		.amdhsa_exception_fp_ieee_invalid_op 0
		.amdhsa_exception_fp_denorm_src 0
		.amdhsa_exception_fp_ieee_div_zero 0
		.amdhsa_exception_fp_ieee_overflow 0
		.amdhsa_exception_fp_ieee_underflow 0
		.amdhsa_exception_fp_ieee_inexact 0
		.amdhsa_exception_int_div_zero 0
	.end_amdhsa_kernel
	.section	.text._ZN7rocprim17ROCPRIM_400000_NS6detail17trampoline_kernelINS0_14default_configENS1_35radix_sort_onesweep_config_selectorIhlEEZZNS1_29radix_sort_onesweep_iterationIS3_Lb0EPhS7_N6thrust23THRUST_200600_302600_NS10device_ptrIlEESB_jNS0_19identity_decomposerENS1_16block_id_wrapperIjLb1EEEEE10hipError_tT1_PNSt15iterator_traitsISG_E10value_typeET2_T3_PNSH_ISM_E10value_typeET4_T5_PSR_SS_PNS1_23onesweep_lookback_stateEbbT6_jjT7_P12ihipStream_tbENKUlT_T0_SG_SL_E_clIS7_S7_SB_PlEEDaSZ_S10_SG_SL_EUlSZ_E_NS1_11comp_targetILNS1_3genE10ELNS1_11target_archE1201ELNS1_3gpuE5ELNS1_3repE0EEENS1_47radix_sort_onesweep_sort_config_static_selectorELNS0_4arch9wavefront6targetE1EEEvSG_,"axG",@progbits,_ZN7rocprim17ROCPRIM_400000_NS6detail17trampoline_kernelINS0_14default_configENS1_35radix_sort_onesweep_config_selectorIhlEEZZNS1_29radix_sort_onesweep_iterationIS3_Lb0EPhS7_N6thrust23THRUST_200600_302600_NS10device_ptrIlEESB_jNS0_19identity_decomposerENS1_16block_id_wrapperIjLb1EEEEE10hipError_tT1_PNSt15iterator_traitsISG_E10value_typeET2_T3_PNSH_ISM_E10value_typeET4_T5_PSR_SS_PNS1_23onesweep_lookback_stateEbbT6_jjT7_P12ihipStream_tbENKUlT_T0_SG_SL_E_clIS7_S7_SB_PlEEDaSZ_S10_SG_SL_EUlSZ_E_NS1_11comp_targetILNS1_3genE10ELNS1_11target_archE1201ELNS1_3gpuE5ELNS1_3repE0EEENS1_47radix_sort_onesweep_sort_config_static_selectorELNS0_4arch9wavefront6targetE1EEEvSG_,comdat
.Lfunc_end279:
	.size	_ZN7rocprim17ROCPRIM_400000_NS6detail17trampoline_kernelINS0_14default_configENS1_35radix_sort_onesweep_config_selectorIhlEEZZNS1_29radix_sort_onesweep_iterationIS3_Lb0EPhS7_N6thrust23THRUST_200600_302600_NS10device_ptrIlEESB_jNS0_19identity_decomposerENS1_16block_id_wrapperIjLb1EEEEE10hipError_tT1_PNSt15iterator_traitsISG_E10value_typeET2_T3_PNSH_ISM_E10value_typeET4_T5_PSR_SS_PNS1_23onesweep_lookback_stateEbbT6_jjT7_P12ihipStream_tbENKUlT_T0_SG_SL_E_clIS7_S7_SB_PlEEDaSZ_S10_SG_SL_EUlSZ_E_NS1_11comp_targetILNS1_3genE10ELNS1_11target_archE1201ELNS1_3gpuE5ELNS1_3repE0EEENS1_47radix_sort_onesweep_sort_config_static_selectorELNS0_4arch9wavefront6targetE1EEEvSG_, .Lfunc_end279-_ZN7rocprim17ROCPRIM_400000_NS6detail17trampoline_kernelINS0_14default_configENS1_35radix_sort_onesweep_config_selectorIhlEEZZNS1_29radix_sort_onesweep_iterationIS3_Lb0EPhS7_N6thrust23THRUST_200600_302600_NS10device_ptrIlEESB_jNS0_19identity_decomposerENS1_16block_id_wrapperIjLb1EEEEE10hipError_tT1_PNSt15iterator_traitsISG_E10value_typeET2_T3_PNSH_ISM_E10value_typeET4_T5_PSR_SS_PNS1_23onesweep_lookback_stateEbbT6_jjT7_P12ihipStream_tbENKUlT_T0_SG_SL_E_clIS7_S7_SB_PlEEDaSZ_S10_SG_SL_EUlSZ_E_NS1_11comp_targetILNS1_3genE10ELNS1_11target_archE1201ELNS1_3gpuE5ELNS1_3repE0EEENS1_47radix_sort_onesweep_sort_config_static_selectorELNS0_4arch9wavefront6targetE1EEEvSG_
                                        ; -- End function
	.set _ZN7rocprim17ROCPRIM_400000_NS6detail17trampoline_kernelINS0_14default_configENS1_35radix_sort_onesweep_config_selectorIhlEEZZNS1_29radix_sort_onesweep_iterationIS3_Lb0EPhS7_N6thrust23THRUST_200600_302600_NS10device_ptrIlEESB_jNS0_19identity_decomposerENS1_16block_id_wrapperIjLb1EEEEE10hipError_tT1_PNSt15iterator_traitsISG_E10value_typeET2_T3_PNSH_ISM_E10value_typeET4_T5_PSR_SS_PNS1_23onesweep_lookback_stateEbbT6_jjT7_P12ihipStream_tbENKUlT_T0_SG_SL_E_clIS7_S7_SB_PlEEDaSZ_S10_SG_SL_EUlSZ_E_NS1_11comp_targetILNS1_3genE10ELNS1_11target_archE1201ELNS1_3gpuE5ELNS1_3repE0EEENS1_47radix_sort_onesweep_sort_config_static_selectorELNS0_4arch9wavefront6targetE1EEEvSG_.num_vgpr, 0
	.set _ZN7rocprim17ROCPRIM_400000_NS6detail17trampoline_kernelINS0_14default_configENS1_35radix_sort_onesweep_config_selectorIhlEEZZNS1_29radix_sort_onesweep_iterationIS3_Lb0EPhS7_N6thrust23THRUST_200600_302600_NS10device_ptrIlEESB_jNS0_19identity_decomposerENS1_16block_id_wrapperIjLb1EEEEE10hipError_tT1_PNSt15iterator_traitsISG_E10value_typeET2_T3_PNSH_ISM_E10value_typeET4_T5_PSR_SS_PNS1_23onesweep_lookback_stateEbbT6_jjT7_P12ihipStream_tbENKUlT_T0_SG_SL_E_clIS7_S7_SB_PlEEDaSZ_S10_SG_SL_EUlSZ_E_NS1_11comp_targetILNS1_3genE10ELNS1_11target_archE1201ELNS1_3gpuE5ELNS1_3repE0EEENS1_47radix_sort_onesweep_sort_config_static_selectorELNS0_4arch9wavefront6targetE1EEEvSG_.num_agpr, 0
	.set _ZN7rocprim17ROCPRIM_400000_NS6detail17trampoline_kernelINS0_14default_configENS1_35radix_sort_onesweep_config_selectorIhlEEZZNS1_29radix_sort_onesweep_iterationIS3_Lb0EPhS7_N6thrust23THRUST_200600_302600_NS10device_ptrIlEESB_jNS0_19identity_decomposerENS1_16block_id_wrapperIjLb1EEEEE10hipError_tT1_PNSt15iterator_traitsISG_E10value_typeET2_T3_PNSH_ISM_E10value_typeET4_T5_PSR_SS_PNS1_23onesweep_lookback_stateEbbT6_jjT7_P12ihipStream_tbENKUlT_T0_SG_SL_E_clIS7_S7_SB_PlEEDaSZ_S10_SG_SL_EUlSZ_E_NS1_11comp_targetILNS1_3genE10ELNS1_11target_archE1201ELNS1_3gpuE5ELNS1_3repE0EEENS1_47radix_sort_onesweep_sort_config_static_selectorELNS0_4arch9wavefront6targetE1EEEvSG_.numbered_sgpr, 0
	.set _ZN7rocprim17ROCPRIM_400000_NS6detail17trampoline_kernelINS0_14default_configENS1_35radix_sort_onesweep_config_selectorIhlEEZZNS1_29radix_sort_onesweep_iterationIS3_Lb0EPhS7_N6thrust23THRUST_200600_302600_NS10device_ptrIlEESB_jNS0_19identity_decomposerENS1_16block_id_wrapperIjLb1EEEEE10hipError_tT1_PNSt15iterator_traitsISG_E10value_typeET2_T3_PNSH_ISM_E10value_typeET4_T5_PSR_SS_PNS1_23onesweep_lookback_stateEbbT6_jjT7_P12ihipStream_tbENKUlT_T0_SG_SL_E_clIS7_S7_SB_PlEEDaSZ_S10_SG_SL_EUlSZ_E_NS1_11comp_targetILNS1_3genE10ELNS1_11target_archE1201ELNS1_3gpuE5ELNS1_3repE0EEENS1_47radix_sort_onesweep_sort_config_static_selectorELNS0_4arch9wavefront6targetE1EEEvSG_.num_named_barrier, 0
	.set _ZN7rocprim17ROCPRIM_400000_NS6detail17trampoline_kernelINS0_14default_configENS1_35radix_sort_onesweep_config_selectorIhlEEZZNS1_29radix_sort_onesweep_iterationIS3_Lb0EPhS7_N6thrust23THRUST_200600_302600_NS10device_ptrIlEESB_jNS0_19identity_decomposerENS1_16block_id_wrapperIjLb1EEEEE10hipError_tT1_PNSt15iterator_traitsISG_E10value_typeET2_T3_PNSH_ISM_E10value_typeET4_T5_PSR_SS_PNS1_23onesweep_lookback_stateEbbT6_jjT7_P12ihipStream_tbENKUlT_T0_SG_SL_E_clIS7_S7_SB_PlEEDaSZ_S10_SG_SL_EUlSZ_E_NS1_11comp_targetILNS1_3genE10ELNS1_11target_archE1201ELNS1_3gpuE5ELNS1_3repE0EEENS1_47radix_sort_onesweep_sort_config_static_selectorELNS0_4arch9wavefront6targetE1EEEvSG_.private_seg_size, 0
	.set _ZN7rocprim17ROCPRIM_400000_NS6detail17trampoline_kernelINS0_14default_configENS1_35radix_sort_onesweep_config_selectorIhlEEZZNS1_29radix_sort_onesweep_iterationIS3_Lb0EPhS7_N6thrust23THRUST_200600_302600_NS10device_ptrIlEESB_jNS0_19identity_decomposerENS1_16block_id_wrapperIjLb1EEEEE10hipError_tT1_PNSt15iterator_traitsISG_E10value_typeET2_T3_PNSH_ISM_E10value_typeET4_T5_PSR_SS_PNS1_23onesweep_lookback_stateEbbT6_jjT7_P12ihipStream_tbENKUlT_T0_SG_SL_E_clIS7_S7_SB_PlEEDaSZ_S10_SG_SL_EUlSZ_E_NS1_11comp_targetILNS1_3genE10ELNS1_11target_archE1201ELNS1_3gpuE5ELNS1_3repE0EEENS1_47radix_sort_onesweep_sort_config_static_selectorELNS0_4arch9wavefront6targetE1EEEvSG_.uses_vcc, 0
	.set _ZN7rocprim17ROCPRIM_400000_NS6detail17trampoline_kernelINS0_14default_configENS1_35radix_sort_onesweep_config_selectorIhlEEZZNS1_29radix_sort_onesweep_iterationIS3_Lb0EPhS7_N6thrust23THRUST_200600_302600_NS10device_ptrIlEESB_jNS0_19identity_decomposerENS1_16block_id_wrapperIjLb1EEEEE10hipError_tT1_PNSt15iterator_traitsISG_E10value_typeET2_T3_PNSH_ISM_E10value_typeET4_T5_PSR_SS_PNS1_23onesweep_lookback_stateEbbT6_jjT7_P12ihipStream_tbENKUlT_T0_SG_SL_E_clIS7_S7_SB_PlEEDaSZ_S10_SG_SL_EUlSZ_E_NS1_11comp_targetILNS1_3genE10ELNS1_11target_archE1201ELNS1_3gpuE5ELNS1_3repE0EEENS1_47radix_sort_onesweep_sort_config_static_selectorELNS0_4arch9wavefront6targetE1EEEvSG_.uses_flat_scratch, 0
	.set _ZN7rocprim17ROCPRIM_400000_NS6detail17trampoline_kernelINS0_14default_configENS1_35radix_sort_onesweep_config_selectorIhlEEZZNS1_29radix_sort_onesweep_iterationIS3_Lb0EPhS7_N6thrust23THRUST_200600_302600_NS10device_ptrIlEESB_jNS0_19identity_decomposerENS1_16block_id_wrapperIjLb1EEEEE10hipError_tT1_PNSt15iterator_traitsISG_E10value_typeET2_T3_PNSH_ISM_E10value_typeET4_T5_PSR_SS_PNS1_23onesweep_lookback_stateEbbT6_jjT7_P12ihipStream_tbENKUlT_T0_SG_SL_E_clIS7_S7_SB_PlEEDaSZ_S10_SG_SL_EUlSZ_E_NS1_11comp_targetILNS1_3genE10ELNS1_11target_archE1201ELNS1_3gpuE5ELNS1_3repE0EEENS1_47radix_sort_onesweep_sort_config_static_selectorELNS0_4arch9wavefront6targetE1EEEvSG_.has_dyn_sized_stack, 0
	.set _ZN7rocprim17ROCPRIM_400000_NS6detail17trampoline_kernelINS0_14default_configENS1_35radix_sort_onesweep_config_selectorIhlEEZZNS1_29radix_sort_onesweep_iterationIS3_Lb0EPhS7_N6thrust23THRUST_200600_302600_NS10device_ptrIlEESB_jNS0_19identity_decomposerENS1_16block_id_wrapperIjLb1EEEEE10hipError_tT1_PNSt15iterator_traitsISG_E10value_typeET2_T3_PNSH_ISM_E10value_typeET4_T5_PSR_SS_PNS1_23onesweep_lookback_stateEbbT6_jjT7_P12ihipStream_tbENKUlT_T0_SG_SL_E_clIS7_S7_SB_PlEEDaSZ_S10_SG_SL_EUlSZ_E_NS1_11comp_targetILNS1_3genE10ELNS1_11target_archE1201ELNS1_3gpuE5ELNS1_3repE0EEENS1_47radix_sort_onesweep_sort_config_static_selectorELNS0_4arch9wavefront6targetE1EEEvSG_.has_recursion, 0
	.set _ZN7rocprim17ROCPRIM_400000_NS6detail17trampoline_kernelINS0_14default_configENS1_35radix_sort_onesweep_config_selectorIhlEEZZNS1_29radix_sort_onesweep_iterationIS3_Lb0EPhS7_N6thrust23THRUST_200600_302600_NS10device_ptrIlEESB_jNS0_19identity_decomposerENS1_16block_id_wrapperIjLb1EEEEE10hipError_tT1_PNSt15iterator_traitsISG_E10value_typeET2_T3_PNSH_ISM_E10value_typeET4_T5_PSR_SS_PNS1_23onesweep_lookback_stateEbbT6_jjT7_P12ihipStream_tbENKUlT_T0_SG_SL_E_clIS7_S7_SB_PlEEDaSZ_S10_SG_SL_EUlSZ_E_NS1_11comp_targetILNS1_3genE10ELNS1_11target_archE1201ELNS1_3gpuE5ELNS1_3repE0EEENS1_47radix_sort_onesweep_sort_config_static_selectorELNS0_4arch9wavefront6targetE1EEEvSG_.has_indirect_call, 0
	.section	.AMDGPU.csdata,"",@progbits
; Kernel info:
; codeLenInByte = 0
; TotalNumSgprs: 4
; NumVgprs: 0
; ScratchSize: 0
; MemoryBound: 0
; FloatMode: 240
; IeeeMode: 1
; LDSByteSize: 0 bytes/workgroup (compile time only)
; SGPRBlocks: 0
; VGPRBlocks: 0
; NumSGPRsForWavesPerEU: 4
; NumVGPRsForWavesPerEU: 1
; Occupancy: 10
; WaveLimiterHint : 0
; COMPUTE_PGM_RSRC2:SCRATCH_EN: 0
; COMPUTE_PGM_RSRC2:USER_SGPR: 6
; COMPUTE_PGM_RSRC2:TRAP_HANDLER: 0
; COMPUTE_PGM_RSRC2:TGID_X_EN: 1
; COMPUTE_PGM_RSRC2:TGID_Y_EN: 0
; COMPUTE_PGM_RSRC2:TGID_Z_EN: 0
; COMPUTE_PGM_RSRC2:TIDIG_COMP_CNT: 0
	.section	.text._ZN7rocprim17ROCPRIM_400000_NS6detail17trampoline_kernelINS0_14default_configENS1_35radix_sort_onesweep_config_selectorIhlEEZZNS1_29radix_sort_onesweep_iterationIS3_Lb0EPhS7_N6thrust23THRUST_200600_302600_NS10device_ptrIlEESB_jNS0_19identity_decomposerENS1_16block_id_wrapperIjLb1EEEEE10hipError_tT1_PNSt15iterator_traitsISG_E10value_typeET2_T3_PNSH_ISM_E10value_typeET4_T5_PSR_SS_PNS1_23onesweep_lookback_stateEbbT6_jjT7_P12ihipStream_tbENKUlT_T0_SG_SL_E_clIS7_S7_SB_PlEEDaSZ_S10_SG_SL_EUlSZ_E_NS1_11comp_targetILNS1_3genE9ELNS1_11target_archE1100ELNS1_3gpuE3ELNS1_3repE0EEENS1_47radix_sort_onesweep_sort_config_static_selectorELNS0_4arch9wavefront6targetE1EEEvSG_,"axG",@progbits,_ZN7rocprim17ROCPRIM_400000_NS6detail17trampoline_kernelINS0_14default_configENS1_35radix_sort_onesweep_config_selectorIhlEEZZNS1_29radix_sort_onesweep_iterationIS3_Lb0EPhS7_N6thrust23THRUST_200600_302600_NS10device_ptrIlEESB_jNS0_19identity_decomposerENS1_16block_id_wrapperIjLb1EEEEE10hipError_tT1_PNSt15iterator_traitsISG_E10value_typeET2_T3_PNSH_ISM_E10value_typeET4_T5_PSR_SS_PNS1_23onesweep_lookback_stateEbbT6_jjT7_P12ihipStream_tbENKUlT_T0_SG_SL_E_clIS7_S7_SB_PlEEDaSZ_S10_SG_SL_EUlSZ_E_NS1_11comp_targetILNS1_3genE9ELNS1_11target_archE1100ELNS1_3gpuE3ELNS1_3repE0EEENS1_47radix_sort_onesweep_sort_config_static_selectorELNS0_4arch9wavefront6targetE1EEEvSG_,comdat
	.protected	_ZN7rocprim17ROCPRIM_400000_NS6detail17trampoline_kernelINS0_14default_configENS1_35radix_sort_onesweep_config_selectorIhlEEZZNS1_29radix_sort_onesweep_iterationIS3_Lb0EPhS7_N6thrust23THRUST_200600_302600_NS10device_ptrIlEESB_jNS0_19identity_decomposerENS1_16block_id_wrapperIjLb1EEEEE10hipError_tT1_PNSt15iterator_traitsISG_E10value_typeET2_T3_PNSH_ISM_E10value_typeET4_T5_PSR_SS_PNS1_23onesweep_lookback_stateEbbT6_jjT7_P12ihipStream_tbENKUlT_T0_SG_SL_E_clIS7_S7_SB_PlEEDaSZ_S10_SG_SL_EUlSZ_E_NS1_11comp_targetILNS1_3genE9ELNS1_11target_archE1100ELNS1_3gpuE3ELNS1_3repE0EEENS1_47radix_sort_onesweep_sort_config_static_selectorELNS0_4arch9wavefront6targetE1EEEvSG_ ; -- Begin function _ZN7rocprim17ROCPRIM_400000_NS6detail17trampoline_kernelINS0_14default_configENS1_35radix_sort_onesweep_config_selectorIhlEEZZNS1_29radix_sort_onesweep_iterationIS3_Lb0EPhS7_N6thrust23THRUST_200600_302600_NS10device_ptrIlEESB_jNS0_19identity_decomposerENS1_16block_id_wrapperIjLb1EEEEE10hipError_tT1_PNSt15iterator_traitsISG_E10value_typeET2_T3_PNSH_ISM_E10value_typeET4_T5_PSR_SS_PNS1_23onesweep_lookback_stateEbbT6_jjT7_P12ihipStream_tbENKUlT_T0_SG_SL_E_clIS7_S7_SB_PlEEDaSZ_S10_SG_SL_EUlSZ_E_NS1_11comp_targetILNS1_3genE9ELNS1_11target_archE1100ELNS1_3gpuE3ELNS1_3repE0EEENS1_47radix_sort_onesweep_sort_config_static_selectorELNS0_4arch9wavefront6targetE1EEEvSG_
	.globl	_ZN7rocprim17ROCPRIM_400000_NS6detail17trampoline_kernelINS0_14default_configENS1_35radix_sort_onesweep_config_selectorIhlEEZZNS1_29radix_sort_onesweep_iterationIS3_Lb0EPhS7_N6thrust23THRUST_200600_302600_NS10device_ptrIlEESB_jNS0_19identity_decomposerENS1_16block_id_wrapperIjLb1EEEEE10hipError_tT1_PNSt15iterator_traitsISG_E10value_typeET2_T3_PNSH_ISM_E10value_typeET4_T5_PSR_SS_PNS1_23onesweep_lookback_stateEbbT6_jjT7_P12ihipStream_tbENKUlT_T0_SG_SL_E_clIS7_S7_SB_PlEEDaSZ_S10_SG_SL_EUlSZ_E_NS1_11comp_targetILNS1_3genE9ELNS1_11target_archE1100ELNS1_3gpuE3ELNS1_3repE0EEENS1_47radix_sort_onesweep_sort_config_static_selectorELNS0_4arch9wavefront6targetE1EEEvSG_
	.p2align	8
	.type	_ZN7rocprim17ROCPRIM_400000_NS6detail17trampoline_kernelINS0_14default_configENS1_35radix_sort_onesweep_config_selectorIhlEEZZNS1_29radix_sort_onesweep_iterationIS3_Lb0EPhS7_N6thrust23THRUST_200600_302600_NS10device_ptrIlEESB_jNS0_19identity_decomposerENS1_16block_id_wrapperIjLb1EEEEE10hipError_tT1_PNSt15iterator_traitsISG_E10value_typeET2_T3_PNSH_ISM_E10value_typeET4_T5_PSR_SS_PNS1_23onesweep_lookback_stateEbbT6_jjT7_P12ihipStream_tbENKUlT_T0_SG_SL_E_clIS7_S7_SB_PlEEDaSZ_S10_SG_SL_EUlSZ_E_NS1_11comp_targetILNS1_3genE9ELNS1_11target_archE1100ELNS1_3gpuE3ELNS1_3repE0EEENS1_47radix_sort_onesweep_sort_config_static_selectorELNS0_4arch9wavefront6targetE1EEEvSG_,@function
_ZN7rocprim17ROCPRIM_400000_NS6detail17trampoline_kernelINS0_14default_configENS1_35radix_sort_onesweep_config_selectorIhlEEZZNS1_29radix_sort_onesweep_iterationIS3_Lb0EPhS7_N6thrust23THRUST_200600_302600_NS10device_ptrIlEESB_jNS0_19identity_decomposerENS1_16block_id_wrapperIjLb1EEEEE10hipError_tT1_PNSt15iterator_traitsISG_E10value_typeET2_T3_PNSH_ISM_E10value_typeET4_T5_PSR_SS_PNS1_23onesweep_lookback_stateEbbT6_jjT7_P12ihipStream_tbENKUlT_T0_SG_SL_E_clIS7_S7_SB_PlEEDaSZ_S10_SG_SL_EUlSZ_E_NS1_11comp_targetILNS1_3genE9ELNS1_11target_archE1100ELNS1_3gpuE3ELNS1_3repE0EEENS1_47radix_sort_onesweep_sort_config_static_selectorELNS0_4arch9wavefront6targetE1EEEvSG_: ; @_ZN7rocprim17ROCPRIM_400000_NS6detail17trampoline_kernelINS0_14default_configENS1_35radix_sort_onesweep_config_selectorIhlEEZZNS1_29radix_sort_onesweep_iterationIS3_Lb0EPhS7_N6thrust23THRUST_200600_302600_NS10device_ptrIlEESB_jNS0_19identity_decomposerENS1_16block_id_wrapperIjLb1EEEEE10hipError_tT1_PNSt15iterator_traitsISG_E10value_typeET2_T3_PNSH_ISM_E10value_typeET4_T5_PSR_SS_PNS1_23onesweep_lookback_stateEbbT6_jjT7_P12ihipStream_tbENKUlT_T0_SG_SL_E_clIS7_S7_SB_PlEEDaSZ_S10_SG_SL_EUlSZ_E_NS1_11comp_targetILNS1_3genE9ELNS1_11target_archE1100ELNS1_3gpuE3ELNS1_3repE0EEENS1_47radix_sort_onesweep_sort_config_static_selectorELNS0_4arch9wavefront6targetE1EEEvSG_
; %bb.0:
	.section	.rodata,"a",@progbits
	.p2align	6, 0x0
	.amdhsa_kernel _ZN7rocprim17ROCPRIM_400000_NS6detail17trampoline_kernelINS0_14default_configENS1_35radix_sort_onesweep_config_selectorIhlEEZZNS1_29radix_sort_onesweep_iterationIS3_Lb0EPhS7_N6thrust23THRUST_200600_302600_NS10device_ptrIlEESB_jNS0_19identity_decomposerENS1_16block_id_wrapperIjLb1EEEEE10hipError_tT1_PNSt15iterator_traitsISG_E10value_typeET2_T3_PNSH_ISM_E10value_typeET4_T5_PSR_SS_PNS1_23onesweep_lookback_stateEbbT6_jjT7_P12ihipStream_tbENKUlT_T0_SG_SL_E_clIS7_S7_SB_PlEEDaSZ_S10_SG_SL_EUlSZ_E_NS1_11comp_targetILNS1_3genE9ELNS1_11target_archE1100ELNS1_3gpuE3ELNS1_3repE0EEENS1_47radix_sort_onesweep_sort_config_static_selectorELNS0_4arch9wavefront6targetE1EEEvSG_
		.amdhsa_group_segment_fixed_size 0
		.amdhsa_private_segment_fixed_size 0
		.amdhsa_kernarg_size 88
		.amdhsa_user_sgpr_count 6
		.amdhsa_user_sgpr_private_segment_buffer 1
		.amdhsa_user_sgpr_dispatch_ptr 0
		.amdhsa_user_sgpr_queue_ptr 0
		.amdhsa_user_sgpr_kernarg_segment_ptr 1
		.amdhsa_user_sgpr_dispatch_id 0
		.amdhsa_user_sgpr_flat_scratch_init 0
		.amdhsa_user_sgpr_private_segment_size 0
		.amdhsa_uses_dynamic_stack 0
		.amdhsa_system_sgpr_private_segment_wavefront_offset 0
		.amdhsa_system_sgpr_workgroup_id_x 1
		.amdhsa_system_sgpr_workgroup_id_y 0
		.amdhsa_system_sgpr_workgroup_id_z 0
		.amdhsa_system_sgpr_workgroup_info 0
		.amdhsa_system_vgpr_workitem_id 0
		.amdhsa_next_free_vgpr 1
		.amdhsa_next_free_sgpr 0
		.amdhsa_reserve_vcc 0
		.amdhsa_reserve_flat_scratch 0
		.amdhsa_float_round_mode_32 0
		.amdhsa_float_round_mode_16_64 0
		.amdhsa_float_denorm_mode_32 3
		.amdhsa_float_denorm_mode_16_64 3
		.amdhsa_dx10_clamp 1
		.amdhsa_ieee_mode 1
		.amdhsa_fp16_overflow 0
		.amdhsa_exception_fp_ieee_invalid_op 0
		.amdhsa_exception_fp_denorm_src 0
		.amdhsa_exception_fp_ieee_div_zero 0
		.amdhsa_exception_fp_ieee_overflow 0
		.amdhsa_exception_fp_ieee_underflow 0
		.amdhsa_exception_fp_ieee_inexact 0
		.amdhsa_exception_int_div_zero 0
	.end_amdhsa_kernel
	.section	.text._ZN7rocprim17ROCPRIM_400000_NS6detail17trampoline_kernelINS0_14default_configENS1_35radix_sort_onesweep_config_selectorIhlEEZZNS1_29radix_sort_onesweep_iterationIS3_Lb0EPhS7_N6thrust23THRUST_200600_302600_NS10device_ptrIlEESB_jNS0_19identity_decomposerENS1_16block_id_wrapperIjLb1EEEEE10hipError_tT1_PNSt15iterator_traitsISG_E10value_typeET2_T3_PNSH_ISM_E10value_typeET4_T5_PSR_SS_PNS1_23onesweep_lookback_stateEbbT6_jjT7_P12ihipStream_tbENKUlT_T0_SG_SL_E_clIS7_S7_SB_PlEEDaSZ_S10_SG_SL_EUlSZ_E_NS1_11comp_targetILNS1_3genE9ELNS1_11target_archE1100ELNS1_3gpuE3ELNS1_3repE0EEENS1_47radix_sort_onesweep_sort_config_static_selectorELNS0_4arch9wavefront6targetE1EEEvSG_,"axG",@progbits,_ZN7rocprim17ROCPRIM_400000_NS6detail17trampoline_kernelINS0_14default_configENS1_35radix_sort_onesweep_config_selectorIhlEEZZNS1_29radix_sort_onesweep_iterationIS3_Lb0EPhS7_N6thrust23THRUST_200600_302600_NS10device_ptrIlEESB_jNS0_19identity_decomposerENS1_16block_id_wrapperIjLb1EEEEE10hipError_tT1_PNSt15iterator_traitsISG_E10value_typeET2_T3_PNSH_ISM_E10value_typeET4_T5_PSR_SS_PNS1_23onesweep_lookback_stateEbbT6_jjT7_P12ihipStream_tbENKUlT_T0_SG_SL_E_clIS7_S7_SB_PlEEDaSZ_S10_SG_SL_EUlSZ_E_NS1_11comp_targetILNS1_3genE9ELNS1_11target_archE1100ELNS1_3gpuE3ELNS1_3repE0EEENS1_47radix_sort_onesweep_sort_config_static_selectorELNS0_4arch9wavefront6targetE1EEEvSG_,comdat
.Lfunc_end280:
	.size	_ZN7rocprim17ROCPRIM_400000_NS6detail17trampoline_kernelINS0_14default_configENS1_35radix_sort_onesweep_config_selectorIhlEEZZNS1_29radix_sort_onesweep_iterationIS3_Lb0EPhS7_N6thrust23THRUST_200600_302600_NS10device_ptrIlEESB_jNS0_19identity_decomposerENS1_16block_id_wrapperIjLb1EEEEE10hipError_tT1_PNSt15iterator_traitsISG_E10value_typeET2_T3_PNSH_ISM_E10value_typeET4_T5_PSR_SS_PNS1_23onesweep_lookback_stateEbbT6_jjT7_P12ihipStream_tbENKUlT_T0_SG_SL_E_clIS7_S7_SB_PlEEDaSZ_S10_SG_SL_EUlSZ_E_NS1_11comp_targetILNS1_3genE9ELNS1_11target_archE1100ELNS1_3gpuE3ELNS1_3repE0EEENS1_47radix_sort_onesweep_sort_config_static_selectorELNS0_4arch9wavefront6targetE1EEEvSG_, .Lfunc_end280-_ZN7rocprim17ROCPRIM_400000_NS6detail17trampoline_kernelINS0_14default_configENS1_35radix_sort_onesweep_config_selectorIhlEEZZNS1_29radix_sort_onesweep_iterationIS3_Lb0EPhS7_N6thrust23THRUST_200600_302600_NS10device_ptrIlEESB_jNS0_19identity_decomposerENS1_16block_id_wrapperIjLb1EEEEE10hipError_tT1_PNSt15iterator_traitsISG_E10value_typeET2_T3_PNSH_ISM_E10value_typeET4_T5_PSR_SS_PNS1_23onesweep_lookback_stateEbbT6_jjT7_P12ihipStream_tbENKUlT_T0_SG_SL_E_clIS7_S7_SB_PlEEDaSZ_S10_SG_SL_EUlSZ_E_NS1_11comp_targetILNS1_3genE9ELNS1_11target_archE1100ELNS1_3gpuE3ELNS1_3repE0EEENS1_47radix_sort_onesweep_sort_config_static_selectorELNS0_4arch9wavefront6targetE1EEEvSG_
                                        ; -- End function
	.set _ZN7rocprim17ROCPRIM_400000_NS6detail17trampoline_kernelINS0_14default_configENS1_35radix_sort_onesweep_config_selectorIhlEEZZNS1_29radix_sort_onesweep_iterationIS3_Lb0EPhS7_N6thrust23THRUST_200600_302600_NS10device_ptrIlEESB_jNS0_19identity_decomposerENS1_16block_id_wrapperIjLb1EEEEE10hipError_tT1_PNSt15iterator_traitsISG_E10value_typeET2_T3_PNSH_ISM_E10value_typeET4_T5_PSR_SS_PNS1_23onesweep_lookback_stateEbbT6_jjT7_P12ihipStream_tbENKUlT_T0_SG_SL_E_clIS7_S7_SB_PlEEDaSZ_S10_SG_SL_EUlSZ_E_NS1_11comp_targetILNS1_3genE9ELNS1_11target_archE1100ELNS1_3gpuE3ELNS1_3repE0EEENS1_47radix_sort_onesweep_sort_config_static_selectorELNS0_4arch9wavefront6targetE1EEEvSG_.num_vgpr, 0
	.set _ZN7rocprim17ROCPRIM_400000_NS6detail17trampoline_kernelINS0_14default_configENS1_35radix_sort_onesweep_config_selectorIhlEEZZNS1_29radix_sort_onesweep_iterationIS3_Lb0EPhS7_N6thrust23THRUST_200600_302600_NS10device_ptrIlEESB_jNS0_19identity_decomposerENS1_16block_id_wrapperIjLb1EEEEE10hipError_tT1_PNSt15iterator_traitsISG_E10value_typeET2_T3_PNSH_ISM_E10value_typeET4_T5_PSR_SS_PNS1_23onesweep_lookback_stateEbbT6_jjT7_P12ihipStream_tbENKUlT_T0_SG_SL_E_clIS7_S7_SB_PlEEDaSZ_S10_SG_SL_EUlSZ_E_NS1_11comp_targetILNS1_3genE9ELNS1_11target_archE1100ELNS1_3gpuE3ELNS1_3repE0EEENS1_47radix_sort_onesweep_sort_config_static_selectorELNS0_4arch9wavefront6targetE1EEEvSG_.num_agpr, 0
	.set _ZN7rocprim17ROCPRIM_400000_NS6detail17trampoline_kernelINS0_14default_configENS1_35radix_sort_onesweep_config_selectorIhlEEZZNS1_29radix_sort_onesweep_iterationIS3_Lb0EPhS7_N6thrust23THRUST_200600_302600_NS10device_ptrIlEESB_jNS0_19identity_decomposerENS1_16block_id_wrapperIjLb1EEEEE10hipError_tT1_PNSt15iterator_traitsISG_E10value_typeET2_T3_PNSH_ISM_E10value_typeET4_T5_PSR_SS_PNS1_23onesweep_lookback_stateEbbT6_jjT7_P12ihipStream_tbENKUlT_T0_SG_SL_E_clIS7_S7_SB_PlEEDaSZ_S10_SG_SL_EUlSZ_E_NS1_11comp_targetILNS1_3genE9ELNS1_11target_archE1100ELNS1_3gpuE3ELNS1_3repE0EEENS1_47radix_sort_onesweep_sort_config_static_selectorELNS0_4arch9wavefront6targetE1EEEvSG_.numbered_sgpr, 0
	.set _ZN7rocprim17ROCPRIM_400000_NS6detail17trampoline_kernelINS0_14default_configENS1_35radix_sort_onesweep_config_selectorIhlEEZZNS1_29radix_sort_onesweep_iterationIS3_Lb0EPhS7_N6thrust23THRUST_200600_302600_NS10device_ptrIlEESB_jNS0_19identity_decomposerENS1_16block_id_wrapperIjLb1EEEEE10hipError_tT1_PNSt15iterator_traitsISG_E10value_typeET2_T3_PNSH_ISM_E10value_typeET4_T5_PSR_SS_PNS1_23onesweep_lookback_stateEbbT6_jjT7_P12ihipStream_tbENKUlT_T0_SG_SL_E_clIS7_S7_SB_PlEEDaSZ_S10_SG_SL_EUlSZ_E_NS1_11comp_targetILNS1_3genE9ELNS1_11target_archE1100ELNS1_3gpuE3ELNS1_3repE0EEENS1_47radix_sort_onesweep_sort_config_static_selectorELNS0_4arch9wavefront6targetE1EEEvSG_.num_named_barrier, 0
	.set _ZN7rocprim17ROCPRIM_400000_NS6detail17trampoline_kernelINS0_14default_configENS1_35radix_sort_onesweep_config_selectorIhlEEZZNS1_29radix_sort_onesweep_iterationIS3_Lb0EPhS7_N6thrust23THRUST_200600_302600_NS10device_ptrIlEESB_jNS0_19identity_decomposerENS1_16block_id_wrapperIjLb1EEEEE10hipError_tT1_PNSt15iterator_traitsISG_E10value_typeET2_T3_PNSH_ISM_E10value_typeET4_T5_PSR_SS_PNS1_23onesweep_lookback_stateEbbT6_jjT7_P12ihipStream_tbENKUlT_T0_SG_SL_E_clIS7_S7_SB_PlEEDaSZ_S10_SG_SL_EUlSZ_E_NS1_11comp_targetILNS1_3genE9ELNS1_11target_archE1100ELNS1_3gpuE3ELNS1_3repE0EEENS1_47radix_sort_onesweep_sort_config_static_selectorELNS0_4arch9wavefront6targetE1EEEvSG_.private_seg_size, 0
	.set _ZN7rocprim17ROCPRIM_400000_NS6detail17trampoline_kernelINS0_14default_configENS1_35radix_sort_onesweep_config_selectorIhlEEZZNS1_29radix_sort_onesweep_iterationIS3_Lb0EPhS7_N6thrust23THRUST_200600_302600_NS10device_ptrIlEESB_jNS0_19identity_decomposerENS1_16block_id_wrapperIjLb1EEEEE10hipError_tT1_PNSt15iterator_traitsISG_E10value_typeET2_T3_PNSH_ISM_E10value_typeET4_T5_PSR_SS_PNS1_23onesweep_lookback_stateEbbT6_jjT7_P12ihipStream_tbENKUlT_T0_SG_SL_E_clIS7_S7_SB_PlEEDaSZ_S10_SG_SL_EUlSZ_E_NS1_11comp_targetILNS1_3genE9ELNS1_11target_archE1100ELNS1_3gpuE3ELNS1_3repE0EEENS1_47radix_sort_onesweep_sort_config_static_selectorELNS0_4arch9wavefront6targetE1EEEvSG_.uses_vcc, 0
	.set _ZN7rocprim17ROCPRIM_400000_NS6detail17trampoline_kernelINS0_14default_configENS1_35radix_sort_onesweep_config_selectorIhlEEZZNS1_29radix_sort_onesweep_iterationIS3_Lb0EPhS7_N6thrust23THRUST_200600_302600_NS10device_ptrIlEESB_jNS0_19identity_decomposerENS1_16block_id_wrapperIjLb1EEEEE10hipError_tT1_PNSt15iterator_traitsISG_E10value_typeET2_T3_PNSH_ISM_E10value_typeET4_T5_PSR_SS_PNS1_23onesweep_lookback_stateEbbT6_jjT7_P12ihipStream_tbENKUlT_T0_SG_SL_E_clIS7_S7_SB_PlEEDaSZ_S10_SG_SL_EUlSZ_E_NS1_11comp_targetILNS1_3genE9ELNS1_11target_archE1100ELNS1_3gpuE3ELNS1_3repE0EEENS1_47radix_sort_onesweep_sort_config_static_selectorELNS0_4arch9wavefront6targetE1EEEvSG_.uses_flat_scratch, 0
	.set _ZN7rocprim17ROCPRIM_400000_NS6detail17trampoline_kernelINS0_14default_configENS1_35radix_sort_onesweep_config_selectorIhlEEZZNS1_29radix_sort_onesweep_iterationIS3_Lb0EPhS7_N6thrust23THRUST_200600_302600_NS10device_ptrIlEESB_jNS0_19identity_decomposerENS1_16block_id_wrapperIjLb1EEEEE10hipError_tT1_PNSt15iterator_traitsISG_E10value_typeET2_T3_PNSH_ISM_E10value_typeET4_T5_PSR_SS_PNS1_23onesweep_lookback_stateEbbT6_jjT7_P12ihipStream_tbENKUlT_T0_SG_SL_E_clIS7_S7_SB_PlEEDaSZ_S10_SG_SL_EUlSZ_E_NS1_11comp_targetILNS1_3genE9ELNS1_11target_archE1100ELNS1_3gpuE3ELNS1_3repE0EEENS1_47radix_sort_onesweep_sort_config_static_selectorELNS0_4arch9wavefront6targetE1EEEvSG_.has_dyn_sized_stack, 0
	.set _ZN7rocprim17ROCPRIM_400000_NS6detail17trampoline_kernelINS0_14default_configENS1_35radix_sort_onesweep_config_selectorIhlEEZZNS1_29radix_sort_onesweep_iterationIS3_Lb0EPhS7_N6thrust23THRUST_200600_302600_NS10device_ptrIlEESB_jNS0_19identity_decomposerENS1_16block_id_wrapperIjLb1EEEEE10hipError_tT1_PNSt15iterator_traitsISG_E10value_typeET2_T3_PNSH_ISM_E10value_typeET4_T5_PSR_SS_PNS1_23onesweep_lookback_stateEbbT6_jjT7_P12ihipStream_tbENKUlT_T0_SG_SL_E_clIS7_S7_SB_PlEEDaSZ_S10_SG_SL_EUlSZ_E_NS1_11comp_targetILNS1_3genE9ELNS1_11target_archE1100ELNS1_3gpuE3ELNS1_3repE0EEENS1_47radix_sort_onesweep_sort_config_static_selectorELNS0_4arch9wavefront6targetE1EEEvSG_.has_recursion, 0
	.set _ZN7rocprim17ROCPRIM_400000_NS6detail17trampoline_kernelINS0_14default_configENS1_35radix_sort_onesweep_config_selectorIhlEEZZNS1_29radix_sort_onesweep_iterationIS3_Lb0EPhS7_N6thrust23THRUST_200600_302600_NS10device_ptrIlEESB_jNS0_19identity_decomposerENS1_16block_id_wrapperIjLb1EEEEE10hipError_tT1_PNSt15iterator_traitsISG_E10value_typeET2_T3_PNSH_ISM_E10value_typeET4_T5_PSR_SS_PNS1_23onesweep_lookback_stateEbbT6_jjT7_P12ihipStream_tbENKUlT_T0_SG_SL_E_clIS7_S7_SB_PlEEDaSZ_S10_SG_SL_EUlSZ_E_NS1_11comp_targetILNS1_3genE9ELNS1_11target_archE1100ELNS1_3gpuE3ELNS1_3repE0EEENS1_47radix_sort_onesweep_sort_config_static_selectorELNS0_4arch9wavefront6targetE1EEEvSG_.has_indirect_call, 0
	.section	.AMDGPU.csdata,"",@progbits
; Kernel info:
; codeLenInByte = 0
; TotalNumSgprs: 4
; NumVgprs: 0
; ScratchSize: 0
; MemoryBound: 0
; FloatMode: 240
; IeeeMode: 1
; LDSByteSize: 0 bytes/workgroup (compile time only)
; SGPRBlocks: 0
; VGPRBlocks: 0
; NumSGPRsForWavesPerEU: 4
; NumVGPRsForWavesPerEU: 1
; Occupancy: 10
; WaveLimiterHint : 0
; COMPUTE_PGM_RSRC2:SCRATCH_EN: 0
; COMPUTE_PGM_RSRC2:USER_SGPR: 6
; COMPUTE_PGM_RSRC2:TRAP_HANDLER: 0
; COMPUTE_PGM_RSRC2:TGID_X_EN: 1
; COMPUTE_PGM_RSRC2:TGID_Y_EN: 0
; COMPUTE_PGM_RSRC2:TGID_Z_EN: 0
; COMPUTE_PGM_RSRC2:TIDIG_COMP_CNT: 0
	.section	.text._ZN7rocprim17ROCPRIM_400000_NS6detail17trampoline_kernelINS0_14default_configENS1_35radix_sort_onesweep_config_selectorIhlEEZZNS1_29radix_sort_onesweep_iterationIS3_Lb0EPhS7_N6thrust23THRUST_200600_302600_NS10device_ptrIlEESB_jNS0_19identity_decomposerENS1_16block_id_wrapperIjLb1EEEEE10hipError_tT1_PNSt15iterator_traitsISG_E10value_typeET2_T3_PNSH_ISM_E10value_typeET4_T5_PSR_SS_PNS1_23onesweep_lookback_stateEbbT6_jjT7_P12ihipStream_tbENKUlT_T0_SG_SL_E_clIS7_S7_SB_PlEEDaSZ_S10_SG_SL_EUlSZ_E_NS1_11comp_targetILNS1_3genE8ELNS1_11target_archE1030ELNS1_3gpuE2ELNS1_3repE0EEENS1_47radix_sort_onesweep_sort_config_static_selectorELNS0_4arch9wavefront6targetE1EEEvSG_,"axG",@progbits,_ZN7rocprim17ROCPRIM_400000_NS6detail17trampoline_kernelINS0_14default_configENS1_35radix_sort_onesweep_config_selectorIhlEEZZNS1_29radix_sort_onesweep_iterationIS3_Lb0EPhS7_N6thrust23THRUST_200600_302600_NS10device_ptrIlEESB_jNS0_19identity_decomposerENS1_16block_id_wrapperIjLb1EEEEE10hipError_tT1_PNSt15iterator_traitsISG_E10value_typeET2_T3_PNSH_ISM_E10value_typeET4_T5_PSR_SS_PNS1_23onesweep_lookback_stateEbbT6_jjT7_P12ihipStream_tbENKUlT_T0_SG_SL_E_clIS7_S7_SB_PlEEDaSZ_S10_SG_SL_EUlSZ_E_NS1_11comp_targetILNS1_3genE8ELNS1_11target_archE1030ELNS1_3gpuE2ELNS1_3repE0EEENS1_47radix_sort_onesweep_sort_config_static_selectorELNS0_4arch9wavefront6targetE1EEEvSG_,comdat
	.protected	_ZN7rocprim17ROCPRIM_400000_NS6detail17trampoline_kernelINS0_14default_configENS1_35radix_sort_onesweep_config_selectorIhlEEZZNS1_29radix_sort_onesweep_iterationIS3_Lb0EPhS7_N6thrust23THRUST_200600_302600_NS10device_ptrIlEESB_jNS0_19identity_decomposerENS1_16block_id_wrapperIjLb1EEEEE10hipError_tT1_PNSt15iterator_traitsISG_E10value_typeET2_T3_PNSH_ISM_E10value_typeET4_T5_PSR_SS_PNS1_23onesweep_lookback_stateEbbT6_jjT7_P12ihipStream_tbENKUlT_T0_SG_SL_E_clIS7_S7_SB_PlEEDaSZ_S10_SG_SL_EUlSZ_E_NS1_11comp_targetILNS1_3genE8ELNS1_11target_archE1030ELNS1_3gpuE2ELNS1_3repE0EEENS1_47radix_sort_onesweep_sort_config_static_selectorELNS0_4arch9wavefront6targetE1EEEvSG_ ; -- Begin function _ZN7rocprim17ROCPRIM_400000_NS6detail17trampoline_kernelINS0_14default_configENS1_35radix_sort_onesweep_config_selectorIhlEEZZNS1_29radix_sort_onesweep_iterationIS3_Lb0EPhS7_N6thrust23THRUST_200600_302600_NS10device_ptrIlEESB_jNS0_19identity_decomposerENS1_16block_id_wrapperIjLb1EEEEE10hipError_tT1_PNSt15iterator_traitsISG_E10value_typeET2_T3_PNSH_ISM_E10value_typeET4_T5_PSR_SS_PNS1_23onesweep_lookback_stateEbbT6_jjT7_P12ihipStream_tbENKUlT_T0_SG_SL_E_clIS7_S7_SB_PlEEDaSZ_S10_SG_SL_EUlSZ_E_NS1_11comp_targetILNS1_3genE8ELNS1_11target_archE1030ELNS1_3gpuE2ELNS1_3repE0EEENS1_47radix_sort_onesweep_sort_config_static_selectorELNS0_4arch9wavefront6targetE1EEEvSG_
	.globl	_ZN7rocprim17ROCPRIM_400000_NS6detail17trampoline_kernelINS0_14default_configENS1_35radix_sort_onesweep_config_selectorIhlEEZZNS1_29radix_sort_onesweep_iterationIS3_Lb0EPhS7_N6thrust23THRUST_200600_302600_NS10device_ptrIlEESB_jNS0_19identity_decomposerENS1_16block_id_wrapperIjLb1EEEEE10hipError_tT1_PNSt15iterator_traitsISG_E10value_typeET2_T3_PNSH_ISM_E10value_typeET4_T5_PSR_SS_PNS1_23onesweep_lookback_stateEbbT6_jjT7_P12ihipStream_tbENKUlT_T0_SG_SL_E_clIS7_S7_SB_PlEEDaSZ_S10_SG_SL_EUlSZ_E_NS1_11comp_targetILNS1_3genE8ELNS1_11target_archE1030ELNS1_3gpuE2ELNS1_3repE0EEENS1_47radix_sort_onesweep_sort_config_static_selectorELNS0_4arch9wavefront6targetE1EEEvSG_
	.p2align	8
	.type	_ZN7rocprim17ROCPRIM_400000_NS6detail17trampoline_kernelINS0_14default_configENS1_35radix_sort_onesweep_config_selectorIhlEEZZNS1_29radix_sort_onesweep_iterationIS3_Lb0EPhS7_N6thrust23THRUST_200600_302600_NS10device_ptrIlEESB_jNS0_19identity_decomposerENS1_16block_id_wrapperIjLb1EEEEE10hipError_tT1_PNSt15iterator_traitsISG_E10value_typeET2_T3_PNSH_ISM_E10value_typeET4_T5_PSR_SS_PNS1_23onesweep_lookback_stateEbbT6_jjT7_P12ihipStream_tbENKUlT_T0_SG_SL_E_clIS7_S7_SB_PlEEDaSZ_S10_SG_SL_EUlSZ_E_NS1_11comp_targetILNS1_3genE8ELNS1_11target_archE1030ELNS1_3gpuE2ELNS1_3repE0EEENS1_47radix_sort_onesweep_sort_config_static_selectorELNS0_4arch9wavefront6targetE1EEEvSG_,@function
_ZN7rocprim17ROCPRIM_400000_NS6detail17trampoline_kernelINS0_14default_configENS1_35radix_sort_onesweep_config_selectorIhlEEZZNS1_29radix_sort_onesweep_iterationIS3_Lb0EPhS7_N6thrust23THRUST_200600_302600_NS10device_ptrIlEESB_jNS0_19identity_decomposerENS1_16block_id_wrapperIjLb1EEEEE10hipError_tT1_PNSt15iterator_traitsISG_E10value_typeET2_T3_PNSH_ISM_E10value_typeET4_T5_PSR_SS_PNS1_23onesweep_lookback_stateEbbT6_jjT7_P12ihipStream_tbENKUlT_T0_SG_SL_E_clIS7_S7_SB_PlEEDaSZ_S10_SG_SL_EUlSZ_E_NS1_11comp_targetILNS1_3genE8ELNS1_11target_archE1030ELNS1_3gpuE2ELNS1_3repE0EEENS1_47radix_sort_onesweep_sort_config_static_selectorELNS0_4arch9wavefront6targetE1EEEvSG_: ; @_ZN7rocprim17ROCPRIM_400000_NS6detail17trampoline_kernelINS0_14default_configENS1_35radix_sort_onesweep_config_selectorIhlEEZZNS1_29radix_sort_onesweep_iterationIS3_Lb0EPhS7_N6thrust23THRUST_200600_302600_NS10device_ptrIlEESB_jNS0_19identity_decomposerENS1_16block_id_wrapperIjLb1EEEEE10hipError_tT1_PNSt15iterator_traitsISG_E10value_typeET2_T3_PNSH_ISM_E10value_typeET4_T5_PSR_SS_PNS1_23onesweep_lookback_stateEbbT6_jjT7_P12ihipStream_tbENKUlT_T0_SG_SL_E_clIS7_S7_SB_PlEEDaSZ_S10_SG_SL_EUlSZ_E_NS1_11comp_targetILNS1_3genE8ELNS1_11target_archE1030ELNS1_3gpuE2ELNS1_3repE0EEENS1_47radix_sort_onesweep_sort_config_static_selectorELNS0_4arch9wavefront6targetE1EEEvSG_
; %bb.0:
	.section	.rodata,"a",@progbits
	.p2align	6, 0x0
	.amdhsa_kernel _ZN7rocprim17ROCPRIM_400000_NS6detail17trampoline_kernelINS0_14default_configENS1_35radix_sort_onesweep_config_selectorIhlEEZZNS1_29radix_sort_onesweep_iterationIS3_Lb0EPhS7_N6thrust23THRUST_200600_302600_NS10device_ptrIlEESB_jNS0_19identity_decomposerENS1_16block_id_wrapperIjLb1EEEEE10hipError_tT1_PNSt15iterator_traitsISG_E10value_typeET2_T3_PNSH_ISM_E10value_typeET4_T5_PSR_SS_PNS1_23onesweep_lookback_stateEbbT6_jjT7_P12ihipStream_tbENKUlT_T0_SG_SL_E_clIS7_S7_SB_PlEEDaSZ_S10_SG_SL_EUlSZ_E_NS1_11comp_targetILNS1_3genE8ELNS1_11target_archE1030ELNS1_3gpuE2ELNS1_3repE0EEENS1_47radix_sort_onesweep_sort_config_static_selectorELNS0_4arch9wavefront6targetE1EEEvSG_
		.amdhsa_group_segment_fixed_size 0
		.amdhsa_private_segment_fixed_size 0
		.amdhsa_kernarg_size 88
		.amdhsa_user_sgpr_count 6
		.amdhsa_user_sgpr_private_segment_buffer 1
		.amdhsa_user_sgpr_dispatch_ptr 0
		.amdhsa_user_sgpr_queue_ptr 0
		.amdhsa_user_sgpr_kernarg_segment_ptr 1
		.amdhsa_user_sgpr_dispatch_id 0
		.amdhsa_user_sgpr_flat_scratch_init 0
		.amdhsa_user_sgpr_private_segment_size 0
		.amdhsa_uses_dynamic_stack 0
		.amdhsa_system_sgpr_private_segment_wavefront_offset 0
		.amdhsa_system_sgpr_workgroup_id_x 1
		.amdhsa_system_sgpr_workgroup_id_y 0
		.amdhsa_system_sgpr_workgroup_id_z 0
		.amdhsa_system_sgpr_workgroup_info 0
		.amdhsa_system_vgpr_workitem_id 0
		.amdhsa_next_free_vgpr 1
		.amdhsa_next_free_sgpr 0
		.amdhsa_reserve_vcc 0
		.amdhsa_reserve_flat_scratch 0
		.amdhsa_float_round_mode_32 0
		.amdhsa_float_round_mode_16_64 0
		.amdhsa_float_denorm_mode_32 3
		.amdhsa_float_denorm_mode_16_64 3
		.amdhsa_dx10_clamp 1
		.amdhsa_ieee_mode 1
		.amdhsa_fp16_overflow 0
		.amdhsa_exception_fp_ieee_invalid_op 0
		.amdhsa_exception_fp_denorm_src 0
		.amdhsa_exception_fp_ieee_div_zero 0
		.amdhsa_exception_fp_ieee_overflow 0
		.amdhsa_exception_fp_ieee_underflow 0
		.amdhsa_exception_fp_ieee_inexact 0
		.amdhsa_exception_int_div_zero 0
	.end_amdhsa_kernel
	.section	.text._ZN7rocprim17ROCPRIM_400000_NS6detail17trampoline_kernelINS0_14default_configENS1_35radix_sort_onesweep_config_selectorIhlEEZZNS1_29radix_sort_onesweep_iterationIS3_Lb0EPhS7_N6thrust23THRUST_200600_302600_NS10device_ptrIlEESB_jNS0_19identity_decomposerENS1_16block_id_wrapperIjLb1EEEEE10hipError_tT1_PNSt15iterator_traitsISG_E10value_typeET2_T3_PNSH_ISM_E10value_typeET4_T5_PSR_SS_PNS1_23onesweep_lookback_stateEbbT6_jjT7_P12ihipStream_tbENKUlT_T0_SG_SL_E_clIS7_S7_SB_PlEEDaSZ_S10_SG_SL_EUlSZ_E_NS1_11comp_targetILNS1_3genE8ELNS1_11target_archE1030ELNS1_3gpuE2ELNS1_3repE0EEENS1_47radix_sort_onesweep_sort_config_static_selectorELNS0_4arch9wavefront6targetE1EEEvSG_,"axG",@progbits,_ZN7rocprim17ROCPRIM_400000_NS6detail17trampoline_kernelINS0_14default_configENS1_35radix_sort_onesweep_config_selectorIhlEEZZNS1_29radix_sort_onesweep_iterationIS3_Lb0EPhS7_N6thrust23THRUST_200600_302600_NS10device_ptrIlEESB_jNS0_19identity_decomposerENS1_16block_id_wrapperIjLb1EEEEE10hipError_tT1_PNSt15iterator_traitsISG_E10value_typeET2_T3_PNSH_ISM_E10value_typeET4_T5_PSR_SS_PNS1_23onesweep_lookback_stateEbbT6_jjT7_P12ihipStream_tbENKUlT_T0_SG_SL_E_clIS7_S7_SB_PlEEDaSZ_S10_SG_SL_EUlSZ_E_NS1_11comp_targetILNS1_3genE8ELNS1_11target_archE1030ELNS1_3gpuE2ELNS1_3repE0EEENS1_47radix_sort_onesweep_sort_config_static_selectorELNS0_4arch9wavefront6targetE1EEEvSG_,comdat
.Lfunc_end281:
	.size	_ZN7rocprim17ROCPRIM_400000_NS6detail17trampoline_kernelINS0_14default_configENS1_35radix_sort_onesweep_config_selectorIhlEEZZNS1_29radix_sort_onesweep_iterationIS3_Lb0EPhS7_N6thrust23THRUST_200600_302600_NS10device_ptrIlEESB_jNS0_19identity_decomposerENS1_16block_id_wrapperIjLb1EEEEE10hipError_tT1_PNSt15iterator_traitsISG_E10value_typeET2_T3_PNSH_ISM_E10value_typeET4_T5_PSR_SS_PNS1_23onesweep_lookback_stateEbbT6_jjT7_P12ihipStream_tbENKUlT_T0_SG_SL_E_clIS7_S7_SB_PlEEDaSZ_S10_SG_SL_EUlSZ_E_NS1_11comp_targetILNS1_3genE8ELNS1_11target_archE1030ELNS1_3gpuE2ELNS1_3repE0EEENS1_47radix_sort_onesweep_sort_config_static_selectorELNS0_4arch9wavefront6targetE1EEEvSG_, .Lfunc_end281-_ZN7rocprim17ROCPRIM_400000_NS6detail17trampoline_kernelINS0_14default_configENS1_35radix_sort_onesweep_config_selectorIhlEEZZNS1_29radix_sort_onesweep_iterationIS3_Lb0EPhS7_N6thrust23THRUST_200600_302600_NS10device_ptrIlEESB_jNS0_19identity_decomposerENS1_16block_id_wrapperIjLb1EEEEE10hipError_tT1_PNSt15iterator_traitsISG_E10value_typeET2_T3_PNSH_ISM_E10value_typeET4_T5_PSR_SS_PNS1_23onesweep_lookback_stateEbbT6_jjT7_P12ihipStream_tbENKUlT_T0_SG_SL_E_clIS7_S7_SB_PlEEDaSZ_S10_SG_SL_EUlSZ_E_NS1_11comp_targetILNS1_3genE8ELNS1_11target_archE1030ELNS1_3gpuE2ELNS1_3repE0EEENS1_47radix_sort_onesweep_sort_config_static_selectorELNS0_4arch9wavefront6targetE1EEEvSG_
                                        ; -- End function
	.set _ZN7rocprim17ROCPRIM_400000_NS6detail17trampoline_kernelINS0_14default_configENS1_35radix_sort_onesweep_config_selectorIhlEEZZNS1_29radix_sort_onesweep_iterationIS3_Lb0EPhS7_N6thrust23THRUST_200600_302600_NS10device_ptrIlEESB_jNS0_19identity_decomposerENS1_16block_id_wrapperIjLb1EEEEE10hipError_tT1_PNSt15iterator_traitsISG_E10value_typeET2_T3_PNSH_ISM_E10value_typeET4_T5_PSR_SS_PNS1_23onesweep_lookback_stateEbbT6_jjT7_P12ihipStream_tbENKUlT_T0_SG_SL_E_clIS7_S7_SB_PlEEDaSZ_S10_SG_SL_EUlSZ_E_NS1_11comp_targetILNS1_3genE8ELNS1_11target_archE1030ELNS1_3gpuE2ELNS1_3repE0EEENS1_47radix_sort_onesweep_sort_config_static_selectorELNS0_4arch9wavefront6targetE1EEEvSG_.num_vgpr, 0
	.set _ZN7rocprim17ROCPRIM_400000_NS6detail17trampoline_kernelINS0_14default_configENS1_35radix_sort_onesweep_config_selectorIhlEEZZNS1_29radix_sort_onesweep_iterationIS3_Lb0EPhS7_N6thrust23THRUST_200600_302600_NS10device_ptrIlEESB_jNS0_19identity_decomposerENS1_16block_id_wrapperIjLb1EEEEE10hipError_tT1_PNSt15iterator_traitsISG_E10value_typeET2_T3_PNSH_ISM_E10value_typeET4_T5_PSR_SS_PNS1_23onesweep_lookback_stateEbbT6_jjT7_P12ihipStream_tbENKUlT_T0_SG_SL_E_clIS7_S7_SB_PlEEDaSZ_S10_SG_SL_EUlSZ_E_NS1_11comp_targetILNS1_3genE8ELNS1_11target_archE1030ELNS1_3gpuE2ELNS1_3repE0EEENS1_47radix_sort_onesweep_sort_config_static_selectorELNS0_4arch9wavefront6targetE1EEEvSG_.num_agpr, 0
	.set _ZN7rocprim17ROCPRIM_400000_NS6detail17trampoline_kernelINS0_14default_configENS1_35radix_sort_onesweep_config_selectorIhlEEZZNS1_29radix_sort_onesweep_iterationIS3_Lb0EPhS7_N6thrust23THRUST_200600_302600_NS10device_ptrIlEESB_jNS0_19identity_decomposerENS1_16block_id_wrapperIjLb1EEEEE10hipError_tT1_PNSt15iterator_traitsISG_E10value_typeET2_T3_PNSH_ISM_E10value_typeET4_T5_PSR_SS_PNS1_23onesweep_lookback_stateEbbT6_jjT7_P12ihipStream_tbENKUlT_T0_SG_SL_E_clIS7_S7_SB_PlEEDaSZ_S10_SG_SL_EUlSZ_E_NS1_11comp_targetILNS1_3genE8ELNS1_11target_archE1030ELNS1_3gpuE2ELNS1_3repE0EEENS1_47radix_sort_onesweep_sort_config_static_selectorELNS0_4arch9wavefront6targetE1EEEvSG_.numbered_sgpr, 0
	.set _ZN7rocprim17ROCPRIM_400000_NS6detail17trampoline_kernelINS0_14default_configENS1_35radix_sort_onesweep_config_selectorIhlEEZZNS1_29radix_sort_onesweep_iterationIS3_Lb0EPhS7_N6thrust23THRUST_200600_302600_NS10device_ptrIlEESB_jNS0_19identity_decomposerENS1_16block_id_wrapperIjLb1EEEEE10hipError_tT1_PNSt15iterator_traitsISG_E10value_typeET2_T3_PNSH_ISM_E10value_typeET4_T5_PSR_SS_PNS1_23onesweep_lookback_stateEbbT6_jjT7_P12ihipStream_tbENKUlT_T0_SG_SL_E_clIS7_S7_SB_PlEEDaSZ_S10_SG_SL_EUlSZ_E_NS1_11comp_targetILNS1_3genE8ELNS1_11target_archE1030ELNS1_3gpuE2ELNS1_3repE0EEENS1_47radix_sort_onesweep_sort_config_static_selectorELNS0_4arch9wavefront6targetE1EEEvSG_.num_named_barrier, 0
	.set _ZN7rocprim17ROCPRIM_400000_NS6detail17trampoline_kernelINS0_14default_configENS1_35radix_sort_onesweep_config_selectorIhlEEZZNS1_29radix_sort_onesweep_iterationIS3_Lb0EPhS7_N6thrust23THRUST_200600_302600_NS10device_ptrIlEESB_jNS0_19identity_decomposerENS1_16block_id_wrapperIjLb1EEEEE10hipError_tT1_PNSt15iterator_traitsISG_E10value_typeET2_T3_PNSH_ISM_E10value_typeET4_T5_PSR_SS_PNS1_23onesweep_lookback_stateEbbT6_jjT7_P12ihipStream_tbENKUlT_T0_SG_SL_E_clIS7_S7_SB_PlEEDaSZ_S10_SG_SL_EUlSZ_E_NS1_11comp_targetILNS1_3genE8ELNS1_11target_archE1030ELNS1_3gpuE2ELNS1_3repE0EEENS1_47radix_sort_onesweep_sort_config_static_selectorELNS0_4arch9wavefront6targetE1EEEvSG_.private_seg_size, 0
	.set _ZN7rocprim17ROCPRIM_400000_NS6detail17trampoline_kernelINS0_14default_configENS1_35radix_sort_onesweep_config_selectorIhlEEZZNS1_29radix_sort_onesweep_iterationIS3_Lb0EPhS7_N6thrust23THRUST_200600_302600_NS10device_ptrIlEESB_jNS0_19identity_decomposerENS1_16block_id_wrapperIjLb1EEEEE10hipError_tT1_PNSt15iterator_traitsISG_E10value_typeET2_T3_PNSH_ISM_E10value_typeET4_T5_PSR_SS_PNS1_23onesweep_lookback_stateEbbT6_jjT7_P12ihipStream_tbENKUlT_T0_SG_SL_E_clIS7_S7_SB_PlEEDaSZ_S10_SG_SL_EUlSZ_E_NS1_11comp_targetILNS1_3genE8ELNS1_11target_archE1030ELNS1_3gpuE2ELNS1_3repE0EEENS1_47radix_sort_onesweep_sort_config_static_selectorELNS0_4arch9wavefront6targetE1EEEvSG_.uses_vcc, 0
	.set _ZN7rocprim17ROCPRIM_400000_NS6detail17trampoline_kernelINS0_14default_configENS1_35radix_sort_onesweep_config_selectorIhlEEZZNS1_29radix_sort_onesweep_iterationIS3_Lb0EPhS7_N6thrust23THRUST_200600_302600_NS10device_ptrIlEESB_jNS0_19identity_decomposerENS1_16block_id_wrapperIjLb1EEEEE10hipError_tT1_PNSt15iterator_traitsISG_E10value_typeET2_T3_PNSH_ISM_E10value_typeET4_T5_PSR_SS_PNS1_23onesweep_lookback_stateEbbT6_jjT7_P12ihipStream_tbENKUlT_T0_SG_SL_E_clIS7_S7_SB_PlEEDaSZ_S10_SG_SL_EUlSZ_E_NS1_11comp_targetILNS1_3genE8ELNS1_11target_archE1030ELNS1_3gpuE2ELNS1_3repE0EEENS1_47radix_sort_onesweep_sort_config_static_selectorELNS0_4arch9wavefront6targetE1EEEvSG_.uses_flat_scratch, 0
	.set _ZN7rocprim17ROCPRIM_400000_NS6detail17trampoline_kernelINS0_14default_configENS1_35radix_sort_onesweep_config_selectorIhlEEZZNS1_29radix_sort_onesweep_iterationIS3_Lb0EPhS7_N6thrust23THRUST_200600_302600_NS10device_ptrIlEESB_jNS0_19identity_decomposerENS1_16block_id_wrapperIjLb1EEEEE10hipError_tT1_PNSt15iterator_traitsISG_E10value_typeET2_T3_PNSH_ISM_E10value_typeET4_T5_PSR_SS_PNS1_23onesweep_lookback_stateEbbT6_jjT7_P12ihipStream_tbENKUlT_T0_SG_SL_E_clIS7_S7_SB_PlEEDaSZ_S10_SG_SL_EUlSZ_E_NS1_11comp_targetILNS1_3genE8ELNS1_11target_archE1030ELNS1_3gpuE2ELNS1_3repE0EEENS1_47radix_sort_onesweep_sort_config_static_selectorELNS0_4arch9wavefront6targetE1EEEvSG_.has_dyn_sized_stack, 0
	.set _ZN7rocprim17ROCPRIM_400000_NS6detail17trampoline_kernelINS0_14default_configENS1_35radix_sort_onesweep_config_selectorIhlEEZZNS1_29radix_sort_onesweep_iterationIS3_Lb0EPhS7_N6thrust23THRUST_200600_302600_NS10device_ptrIlEESB_jNS0_19identity_decomposerENS1_16block_id_wrapperIjLb1EEEEE10hipError_tT1_PNSt15iterator_traitsISG_E10value_typeET2_T3_PNSH_ISM_E10value_typeET4_T5_PSR_SS_PNS1_23onesweep_lookback_stateEbbT6_jjT7_P12ihipStream_tbENKUlT_T0_SG_SL_E_clIS7_S7_SB_PlEEDaSZ_S10_SG_SL_EUlSZ_E_NS1_11comp_targetILNS1_3genE8ELNS1_11target_archE1030ELNS1_3gpuE2ELNS1_3repE0EEENS1_47radix_sort_onesweep_sort_config_static_selectorELNS0_4arch9wavefront6targetE1EEEvSG_.has_recursion, 0
	.set _ZN7rocprim17ROCPRIM_400000_NS6detail17trampoline_kernelINS0_14default_configENS1_35radix_sort_onesweep_config_selectorIhlEEZZNS1_29radix_sort_onesweep_iterationIS3_Lb0EPhS7_N6thrust23THRUST_200600_302600_NS10device_ptrIlEESB_jNS0_19identity_decomposerENS1_16block_id_wrapperIjLb1EEEEE10hipError_tT1_PNSt15iterator_traitsISG_E10value_typeET2_T3_PNSH_ISM_E10value_typeET4_T5_PSR_SS_PNS1_23onesweep_lookback_stateEbbT6_jjT7_P12ihipStream_tbENKUlT_T0_SG_SL_E_clIS7_S7_SB_PlEEDaSZ_S10_SG_SL_EUlSZ_E_NS1_11comp_targetILNS1_3genE8ELNS1_11target_archE1030ELNS1_3gpuE2ELNS1_3repE0EEENS1_47radix_sort_onesweep_sort_config_static_selectorELNS0_4arch9wavefront6targetE1EEEvSG_.has_indirect_call, 0
	.section	.AMDGPU.csdata,"",@progbits
; Kernel info:
; codeLenInByte = 0
; TotalNumSgprs: 4
; NumVgprs: 0
; ScratchSize: 0
; MemoryBound: 0
; FloatMode: 240
; IeeeMode: 1
; LDSByteSize: 0 bytes/workgroup (compile time only)
; SGPRBlocks: 0
; VGPRBlocks: 0
; NumSGPRsForWavesPerEU: 4
; NumVGPRsForWavesPerEU: 1
; Occupancy: 10
; WaveLimiterHint : 0
; COMPUTE_PGM_RSRC2:SCRATCH_EN: 0
; COMPUTE_PGM_RSRC2:USER_SGPR: 6
; COMPUTE_PGM_RSRC2:TRAP_HANDLER: 0
; COMPUTE_PGM_RSRC2:TGID_X_EN: 1
; COMPUTE_PGM_RSRC2:TGID_Y_EN: 0
; COMPUTE_PGM_RSRC2:TGID_Z_EN: 0
; COMPUTE_PGM_RSRC2:TIDIG_COMP_CNT: 0
	.section	.text._ZN7rocprim17ROCPRIM_400000_NS6detail17trampoline_kernelINS0_14default_configENS1_35radix_sort_onesweep_config_selectorIhlEEZZNS1_29radix_sort_onesweep_iterationIS3_Lb0EPhS7_N6thrust23THRUST_200600_302600_NS10device_ptrIlEESB_jNS0_19identity_decomposerENS1_16block_id_wrapperIjLb1EEEEE10hipError_tT1_PNSt15iterator_traitsISG_E10value_typeET2_T3_PNSH_ISM_E10value_typeET4_T5_PSR_SS_PNS1_23onesweep_lookback_stateEbbT6_jjT7_P12ihipStream_tbENKUlT_T0_SG_SL_E_clIS7_S7_PlSB_EEDaSZ_S10_SG_SL_EUlSZ_E_NS1_11comp_targetILNS1_3genE0ELNS1_11target_archE4294967295ELNS1_3gpuE0ELNS1_3repE0EEENS1_47radix_sort_onesweep_sort_config_static_selectorELNS0_4arch9wavefront6targetE1EEEvSG_,"axG",@progbits,_ZN7rocprim17ROCPRIM_400000_NS6detail17trampoline_kernelINS0_14default_configENS1_35radix_sort_onesweep_config_selectorIhlEEZZNS1_29radix_sort_onesweep_iterationIS3_Lb0EPhS7_N6thrust23THRUST_200600_302600_NS10device_ptrIlEESB_jNS0_19identity_decomposerENS1_16block_id_wrapperIjLb1EEEEE10hipError_tT1_PNSt15iterator_traitsISG_E10value_typeET2_T3_PNSH_ISM_E10value_typeET4_T5_PSR_SS_PNS1_23onesweep_lookback_stateEbbT6_jjT7_P12ihipStream_tbENKUlT_T0_SG_SL_E_clIS7_S7_PlSB_EEDaSZ_S10_SG_SL_EUlSZ_E_NS1_11comp_targetILNS1_3genE0ELNS1_11target_archE4294967295ELNS1_3gpuE0ELNS1_3repE0EEENS1_47radix_sort_onesweep_sort_config_static_selectorELNS0_4arch9wavefront6targetE1EEEvSG_,comdat
	.protected	_ZN7rocprim17ROCPRIM_400000_NS6detail17trampoline_kernelINS0_14default_configENS1_35radix_sort_onesweep_config_selectorIhlEEZZNS1_29radix_sort_onesweep_iterationIS3_Lb0EPhS7_N6thrust23THRUST_200600_302600_NS10device_ptrIlEESB_jNS0_19identity_decomposerENS1_16block_id_wrapperIjLb1EEEEE10hipError_tT1_PNSt15iterator_traitsISG_E10value_typeET2_T3_PNSH_ISM_E10value_typeET4_T5_PSR_SS_PNS1_23onesweep_lookback_stateEbbT6_jjT7_P12ihipStream_tbENKUlT_T0_SG_SL_E_clIS7_S7_PlSB_EEDaSZ_S10_SG_SL_EUlSZ_E_NS1_11comp_targetILNS1_3genE0ELNS1_11target_archE4294967295ELNS1_3gpuE0ELNS1_3repE0EEENS1_47radix_sort_onesweep_sort_config_static_selectorELNS0_4arch9wavefront6targetE1EEEvSG_ ; -- Begin function _ZN7rocprim17ROCPRIM_400000_NS6detail17trampoline_kernelINS0_14default_configENS1_35radix_sort_onesweep_config_selectorIhlEEZZNS1_29radix_sort_onesweep_iterationIS3_Lb0EPhS7_N6thrust23THRUST_200600_302600_NS10device_ptrIlEESB_jNS0_19identity_decomposerENS1_16block_id_wrapperIjLb1EEEEE10hipError_tT1_PNSt15iterator_traitsISG_E10value_typeET2_T3_PNSH_ISM_E10value_typeET4_T5_PSR_SS_PNS1_23onesweep_lookback_stateEbbT6_jjT7_P12ihipStream_tbENKUlT_T0_SG_SL_E_clIS7_S7_PlSB_EEDaSZ_S10_SG_SL_EUlSZ_E_NS1_11comp_targetILNS1_3genE0ELNS1_11target_archE4294967295ELNS1_3gpuE0ELNS1_3repE0EEENS1_47radix_sort_onesweep_sort_config_static_selectorELNS0_4arch9wavefront6targetE1EEEvSG_
	.globl	_ZN7rocprim17ROCPRIM_400000_NS6detail17trampoline_kernelINS0_14default_configENS1_35radix_sort_onesweep_config_selectorIhlEEZZNS1_29radix_sort_onesweep_iterationIS3_Lb0EPhS7_N6thrust23THRUST_200600_302600_NS10device_ptrIlEESB_jNS0_19identity_decomposerENS1_16block_id_wrapperIjLb1EEEEE10hipError_tT1_PNSt15iterator_traitsISG_E10value_typeET2_T3_PNSH_ISM_E10value_typeET4_T5_PSR_SS_PNS1_23onesweep_lookback_stateEbbT6_jjT7_P12ihipStream_tbENKUlT_T0_SG_SL_E_clIS7_S7_PlSB_EEDaSZ_S10_SG_SL_EUlSZ_E_NS1_11comp_targetILNS1_3genE0ELNS1_11target_archE4294967295ELNS1_3gpuE0ELNS1_3repE0EEENS1_47radix_sort_onesweep_sort_config_static_selectorELNS0_4arch9wavefront6targetE1EEEvSG_
	.p2align	8
	.type	_ZN7rocprim17ROCPRIM_400000_NS6detail17trampoline_kernelINS0_14default_configENS1_35radix_sort_onesweep_config_selectorIhlEEZZNS1_29radix_sort_onesweep_iterationIS3_Lb0EPhS7_N6thrust23THRUST_200600_302600_NS10device_ptrIlEESB_jNS0_19identity_decomposerENS1_16block_id_wrapperIjLb1EEEEE10hipError_tT1_PNSt15iterator_traitsISG_E10value_typeET2_T3_PNSH_ISM_E10value_typeET4_T5_PSR_SS_PNS1_23onesweep_lookback_stateEbbT6_jjT7_P12ihipStream_tbENKUlT_T0_SG_SL_E_clIS7_S7_PlSB_EEDaSZ_S10_SG_SL_EUlSZ_E_NS1_11comp_targetILNS1_3genE0ELNS1_11target_archE4294967295ELNS1_3gpuE0ELNS1_3repE0EEENS1_47radix_sort_onesweep_sort_config_static_selectorELNS0_4arch9wavefront6targetE1EEEvSG_,@function
_ZN7rocprim17ROCPRIM_400000_NS6detail17trampoline_kernelINS0_14default_configENS1_35radix_sort_onesweep_config_selectorIhlEEZZNS1_29radix_sort_onesweep_iterationIS3_Lb0EPhS7_N6thrust23THRUST_200600_302600_NS10device_ptrIlEESB_jNS0_19identity_decomposerENS1_16block_id_wrapperIjLb1EEEEE10hipError_tT1_PNSt15iterator_traitsISG_E10value_typeET2_T3_PNSH_ISM_E10value_typeET4_T5_PSR_SS_PNS1_23onesweep_lookback_stateEbbT6_jjT7_P12ihipStream_tbENKUlT_T0_SG_SL_E_clIS7_S7_PlSB_EEDaSZ_S10_SG_SL_EUlSZ_E_NS1_11comp_targetILNS1_3genE0ELNS1_11target_archE4294967295ELNS1_3gpuE0ELNS1_3repE0EEENS1_47radix_sort_onesweep_sort_config_static_selectorELNS0_4arch9wavefront6targetE1EEEvSG_: ; @_ZN7rocprim17ROCPRIM_400000_NS6detail17trampoline_kernelINS0_14default_configENS1_35radix_sort_onesweep_config_selectorIhlEEZZNS1_29radix_sort_onesweep_iterationIS3_Lb0EPhS7_N6thrust23THRUST_200600_302600_NS10device_ptrIlEESB_jNS0_19identity_decomposerENS1_16block_id_wrapperIjLb1EEEEE10hipError_tT1_PNSt15iterator_traitsISG_E10value_typeET2_T3_PNSH_ISM_E10value_typeET4_T5_PSR_SS_PNS1_23onesweep_lookback_stateEbbT6_jjT7_P12ihipStream_tbENKUlT_T0_SG_SL_E_clIS7_S7_PlSB_EEDaSZ_S10_SG_SL_EUlSZ_E_NS1_11comp_targetILNS1_3genE0ELNS1_11target_archE4294967295ELNS1_3gpuE0ELNS1_3repE0EEENS1_47radix_sort_onesweep_sort_config_static_selectorELNS0_4arch9wavefront6targetE1EEEvSG_
; %bb.0:
	.section	.rodata,"a",@progbits
	.p2align	6, 0x0
	.amdhsa_kernel _ZN7rocprim17ROCPRIM_400000_NS6detail17trampoline_kernelINS0_14default_configENS1_35radix_sort_onesweep_config_selectorIhlEEZZNS1_29radix_sort_onesweep_iterationIS3_Lb0EPhS7_N6thrust23THRUST_200600_302600_NS10device_ptrIlEESB_jNS0_19identity_decomposerENS1_16block_id_wrapperIjLb1EEEEE10hipError_tT1_PNSt15iterator_traitsISG_E10value_typeET2_T3_PNSH_ISM_E10value_typeET4_T5_PSR_SS_PNS1_23onesweep_lookback_stateEbbT6_jjT7_P12ihipStream_tbENKUlT_T0_SG_SL_E_clIS7_S7_PlSB_EEDaSZ_S10_SG_SL_EUlSZ_E_NS1_11comp_targetILNS1_3genE0ELNS1_11target_archE4294967295ELNS1_3gpuE0ELNS1_3repE0EEENS1_47radix_sort_onesweep_sort_config_static_selectorELNS0_4arch9wavefront6targetE1EEEvSG_
		.amdhsa_group_segment_fixed_size 0
		.amdhsa_private_segment_fixed_size 0
		.amdhsa_kernarg_size 88
		.amdhsa_user_sgpr_count 6
		.amdhsa_user_sgpr_private_segment_buffer 1
		.amdhsa_user_sgpr_dispatch_ptr 0
		.amdhsa_user_sgpr_queue_ptr 0
		.amdhsa_user_sgpr_kernarg_segment_ptr 1
		.amdhsa_user_sgpr_dispatch_id 0
		.amdhsa_user_sgpr_flat_scratch_init 0
		.amdhsa_user_sgpr_private_segment_size 0
		.amdhsa_uses_dynamic_stack 0
		.amdhsa_system_sgpr_private_segment_wavefront_offset 0
		.amdhsa_system_sgpr_workgroup_id_x 1
		.amdhsa_system_sgpr_workgroup_id_y 0
		.amdhsa_system_sgpr_workgroup_id_z 0
		.amdhsa_system_sgpr_workgroup_info 0
		.amdhsa_system_vgpr_workitem_id 0
		.amdhsa_next_free_vgpr 1
		.amdhsa_next_free_sgpr 0
		.amdhsa_reserve_vcc 0
		.amdhsa_reserve_flat_scratch 0
		.amdhsa_float_round_mode_32 0
		.amdhsa_float_round_mode_16_64 0
		.amdhsa_float_denorm_mode_32 3
		.amdhsa_float_denorm_mode_16_64 3
		.amdhsa_dx10_clamp 1
		.amdhsa_ieee_mode 1
		.amdhsa_fp16_overflow 0
		.amdhsa_exception_fp_ieee_invalid_op 0
		.amdhsa_exception_fp_denorm_src 0
		.amdhsa_exception_fp_ieee_div_zero 0
		.amdhsa_exception_fp_ieee_overflow 0
		.amdhsa_exception_fp_ieee_underflow 0
		.amdhsa_exception_fp_ieee_inexact 0
		.amdhsa_exception_int_div_zero 0
	.end_amdhsa_kernel
	.section	.text._ZN7rocprim17ROCPRIM_400000_NS6detail17trampoline_kernelINS0_14default_configENS1_35radix_sort_onesweep_config_selectorIhlEEZZNS1_29radix_sort_onesweep_iterationIS3_Lb0EPhS7_N6thrust23THRUST_200600_302600_NS10device_ptrIlEESB_jNS0_19identity_decomposerENS1_16block_id_wrapperIjLb1EEEEE10hipError_tT1_PNSt15iterator_traitsISG_E10value_typeET2_T3_PNSH_ISM_E10value_typeET4_T5_PSR_SS_PNS1_23onesweep_lookback_stateEbbT6_jjT7_P12ihipStream_tbENKUlT_T0_SG_SL_E_clIS7_S7_PlSB_EEDaSZ_S10_SG_SL_EUlSZ_E_NS1_11comp_targetILNS1_3genE0ELNS1_11target_archE4294967295ELNS1_3gpuE0ELNS1_3repE0EEENS1_47radix_sort_onesweep_sort_config_static_selectorELNS0_4arch9wavefront6targetE1EEEvSG_,"axG",@progbits,_ZN7rocprim17ROCPRIM_400000_NS6detail17trampoline_kernelINS0_14default_configENS1_35radix_sort_onesweep_config_selectorIhlEEZZNS1_29radix_sort_onesweep_iterationIS3_Lb0EPhS7_N6thrust23THRUST_200600_302600_NS10device_ptrIlEESB_jNS0_19identity_decomposerENS1_16block_id_wrapperIjLb1EEEEE10hipError_tT1_PNSt15iterator_traitsISG_E10value_typeET2_T3_PNSH_ISM_E10value_typeET4_T5_PSR_SS_PNS1_23onesweep_lookback_stateEbbT6_jjT7_P12ihipStream_tbENKUlT_T0_SG_SL_E_clIS7_S7_PlSB_EEDaSZ_S10_SG_SL_EUlSZ_E_NS1_11comp_targetILNS1_3genE0ELNS1_11target_archE4294967295ELNS1_3gpuE0ELNS1_3repE0EEENS1_47radix_sort_onesweep_sort_config_static_selectorELNS0_4arch9wavefront6targetE1EEEvSG_,comdat
.Lfunc_end282:
	.size	_ZN7rocprim17ROCPRIM_400000_NS6detail17trampoline_kernelINS0_14default_configENS1_35radix_sort_onesweep_config_selectorIhlEEZZNS1_29radix_sort_onesweep_iterationIS3_Lb0EPhS7_N6thrust23THRUST_200600_302600_NS10device_ptrIlEESB_jNS0_19identity_decomposerENS1_16block_id_wrapperIjLb1EEEEE10hipError_tT1_PNSt15iterator_traitsISG_E10value_typeET2_T3_PNSH_ISM_E10value_typeET4_T5_PSR_SS_PNS1_23onesweep_lookback_stateEbbT6_jjT7_P12ihipStream_tbENKUlT_T0_SG_SL_E_clIS7_S7_PlSB_EEDaSZ_S10_SG_SL_EUlSZ_E_NS1_11comp_targetILNS1_3genE0ELNS1_11target_archE4294967295ELNS1_3gpuE0ELNS1_3repE0EEENS1_47radix_sort_onesweep_sort_config_static_selectorELNS0_4arch9wavefront6targetE1EEEvSG_, .Lfunc_end282-_ZN7rocprim17ROCPRIM_400000_NS6detail17trampoline_kernelINS0_14default_configENS1_35radix_sort_onesweep_config_selectorIhlEEZZNS1_29radix_sort_onesweep_iterationIS3_Lb0EPhS7_N6thrust23THRUST_200600_302600_NS10device_ptrIlEESB_jNS0_19identity_decomposerENS1_16block_id_wrapperIjLb1EEEEE10hipError_tT1_PNSt15iterator_traitsISG_E10value_typeET2_T3_PNSH_ISM_E10value_typeET4_T5_PSR_SS_PNS1_23onesweep_lookback_stateEbbT6_jjT7_P12ihipStream_tbENKUlT_T0_SG_SL_E_clIS7_S7_PlSB_EEDaSZ_S10_SG_SL_EUlSZ_E_NS1_11comp_targetILNS1_3genE0ELNS1_11target_archE4294967295ELNS1_3gpuE0ELNS1_3repE0EEENS1_47radix_sort_onesweep_sort_config_static_selectorELNS0_4arch9wavefront6targetE1EEEvSG_
                                        ; -- End function
	.set _ZN7rocprim17ROCPRIM_400000_NS6detail17trampoline_kernelINS0_14default_configENS1_35radix_sort_onesweep_config_selectorIhlEEZZNS1_29radix_sort_onesweep_iterationIS3_Lb0EPhS7_N6thrust23THRUST_200600_302600_NS10device_ptrIlEESB_jNS0_19identity_decomposerENS1_16block_id_wrapperIjLb1EEEEE10hipError_tT1_PNSt15iterator_traitsISG_E10value_typeET2_T3_PNSH_ISM_E10value_typeET4_T5_PSR_SS_PNS1_23onesweep_lookback_stateEbbT6_jjT7_P12ihipStream_tbENKUlT_T0_SG_SL_E_clIS7_S7_PlSB_EEDaSZ_S10_SG_SL_EUlSZ_E_NS1_11comp_targetILNS1_3genE0ELNS1_11target_archE4294967295ELNS1_3gpuE0ELNS1_3repE0EEENS1_47radix_sort_onesweep_sort_config_static_selectorELNS0_4arch9wavefront6targetE1EEEvSG_.num_vgpr, 0
	.set _ZN7rocprim17ROCPRIM_400000_NS6detail17trampoline_kernelINS0_14default_configENS1_35radix_sort_onesweep_config_selectorIhlEEZZNS1_29radix_sort_onesweep_iterationIS3_Lb0EPhS7_N6thrust23THRUST_200600_302600_NS10device_ptrIlEESB_jNS0_19identity_decomposerENS1_16block_id_wrapperIjLb1EEEEE10hipError_tT1_PNSt15iterator_traitsISG_E10value_typeET2_T3_PNSH_ISM_E10value_typeET4_T5_PSR_SS_PNS1_23onesweep_lookback_stateEbbT6_jjT7_P12ihipStream_tbENKUlT_T0_SG_SL_E_clIS7_S7_PlSB_EEDaSZ_S10_SG_SL_EUlSZ_E_NS1_11comp_targetILNS1_3genE0ELNS1_11target_archE4294967295ELNS1_3gpuE0ELNS1_3repE0EEENS1_47radix_sort_onesweep_sort_config_static_selectorELNS0_4arch9wavefront6targetE1EEEvSG_.num_agpr, 0
	.set _ZN7rocprim17ROCPRIM_400000_NS6detail17trampoline_kernelINS0_14default_configENS1_35radix_sort_onesweep_config_selectorIhlEEZZNS1_29radix_sort_onesweep_iterationIS3_Lb0EPhS7_N6thrust23THRUST_200600_302600_NS10device_ptrIlEESB_jNS0_19identity_decomposerENS1_16block_id_wrapperIjLb1EEEEE10hipError_tT1_PNSt15iterator_traitsISG_E10value_typeET2_T3_PNSH_ISM_E10value_typeET4_T5_PSR_SS_PNS1_23onesweep_lookback_stateEbbT6_jjT7_P12ihipStream_tbENKUlT_T0_SG_SL_E_clIS7_S7_PlSB_EEDaSZ_S10_SG_SL_EUlSZ_E_NS1_11comp_targetILNS1_3genE0ELNS1_11target_archE4294967295ELNS1_3gpuE0ELNS1_3repE0EEENS1_47radix_sort_onesweep_sort_config_static_selectorELNS0_4arch9wavefront6targetE1EEEvSG_.numbered_sgpr, 0
	.set _ZN7rocprim17ROCPRIM_400000_NS6detail17trampoline_kernelINS0_14default_configENS1_35radix_sort_onesweep_config_selectorIhlEEZZNS1_29radix_sort_onesweep_iterationIS3_Lb0EPhS7_N6thrust23THRUST_200600_302600_NS10device_ptrIlEESB_jNS0_19identity_decomposerENS1_16block_id_wrapperIjLb1EEEEE10hipError_tT1_PNSt15iterator_traitsISG_E10value_typeET2_T3_PNSH_ISM_E10value_typeET4_T5_PSR_SS_PNS1_23onesweep_lookback_stateEbbT6_jjT7_P12ihipStream_tbENKUlT_T0_SG_SL_E_clIS7_S7_PlSB_EEDaSZ_S10_SG_SL_EUlSZ_E_NS1_11comp_targetILNS1_3genE0ELNS1_11target_archE4294967295ELNS1_3gpuE0ELNS1_3repE0EEENS1_47radix_sort_onesweep_sort_config_static_selectorELNS0_4arch9wavefront6targetE1EEEvSG_.num_named_barrier, 0
	.set _ZN7rocprim17ROCPRIM_400000_NS6detail17trampoline_kernelINS0_14default_configENS1_35radix_sort_onesweep_config_selectorIhlEEZZNS1_29radix_sort_onesweep_iterationIS3_Lb0EPhS7_N6thrust23THRUST_200600_302600_NS10device_ptrIlEESB_jNS0_19identity_decomposerENS1_16block_id_wrapperIjLb1EEEEE10hipError_tT1_PNSt15iterator_traitsISG_E10value_typeET2_T3_PNSH_ISM_E10value_typeET4_T5_PSR_SS_PNS1_23onesweep_lookback_stateEbbT6_jjT7_P12ihipStream_tbENKUlT_T0_SG_SL_E_clIS7_S7_PlSB_EEDaSZ_S10_SG_SL_EUlSZ_E_NS1_11comp_targetILNS1_3genE0ELNS1_11target_archE4294967295ELNS1_3gpuE0ELNS1_3repE0EEENS1_47radix_sort_onesweep_sort_config_static_selectorELNS0_4arch9wavefront6targetE1EEEvSG_.private_seg_size, 0
	.set _ZN7rocprim17ROCPRIM_400000_NS6detail17trampoline_kernelINS0_14default_configENS1_35radix_sort_onesweep_config_selectorIhlEEZZNS1_29radix_sort_onesweep_iterationIS3_Lb0EPhS7_N6thrust23THRUST_200600_302600_NS10device_ptrIlEESB_jNS0_19identity_decomposerENS1_16block_id_wrapperIjLb1EEEEE10hipError_tT1_PNSt15iterator_traitsISG_E10value_typeET2_T3_PNSH_ISM_E10value_typeET4_T5_PSR_SS_PNS1_23onesweep_lookback_stateEbbT6_jjT7_P12ihipStream_tbENKUlT_T0_SG_SL_E_clIS7_S7_PlSB_EEDaSZ_S10_SG_SL_EUlSZ_E_NS1_11comp_targetILNS1_3genE0ELNS1_11target_archE4294967295ELNS1_3gpuE0ELNS1_3repE0EEENS1_47radix_sort_onesweep_sort_config_static_selectorELNS0_4arch9wavefront6targetE1EEEvSG_.uses_vcc, 0
	.set _ZN7rocprim17ROCPRIM_400000_NS6detail17trampoline_kernelINS0_14default_configENS1_35radix_sort_onesweep_config_selectorIhlEEZZNS1_29radix_sort_onesweep_iterationIS3_Lb0EPhS7_N6thrust23THRUST_200600_302600_NS10device_ptrIlEESB_jNS0_19identity_decomposerENS1_16block_id_wrapperIjLb1EEEEE10hipError_tT1_PNSt15iterator_traitsISG_E10value_typeET2_T3_PNSH_ISM_E10value_typeET4_T5_PSR_SS_PNS1_23onesweep_lookback_stateEbbT6_jjT7_P12ihipStream_tbENKUlT_T0_SG_SL_E_clIS7_S7_PlSB_EEDaSZ_S10_SG_SL_EUlSZ_E_NS1_11comp_targetILNS1_3genE0ELNS1_11target_archE4294967295ELNS1_3gpuE0ELNS1_3repE0EEENS1_47radix_sort_onesweep_sort_config_static_selectorELNS0_4arch9wavefront6targetE1EEEvSG_.uses_flat_scratch, 0
	.set _ZN7rocprim17ROCPRIM_400000_NS6detail17trampoline_kernelINS0_14default_configENS1_35radix_sort_onesweep_config_selectorIhlEEZZNS1_29radix_sort_onesweep_iterationIS3_Lb0EPhS7_N6thrust23THRUST_200600_302600_NS10device_ptrIlEESB_jNS0_19identity_decomposerENS1_16block_id_wrapperIjLb1EEEEE10hipError_tT1_PNSt15iterator_traitsISG_E10value_typeET2_T3_PNSH_ISM_E10value_typeET4_T5_PSR_SS_PNS1_23onesweep_lookback_stateEbbT6_jjT7_P12ihipStream_tbENKUlT_T0_SG_SL_E_clIS7_S7_PlSB_EEDaSZ_S10_SG_SL_EUlSZ_E_NS1_11comp_targetILNS1_3genE0ELNS1_11target_archE4294967295ELNS1_3gpuE0ELNS1_3repE0EEENS1_47radix_sort_onesweep_sort_config_static_selectorELNS0_4arch9wavefront6targetE1EEEvSG_.has_dyn_sized_stack, 0
	.set _ZN7rocprim17ROCPRIM_400000_NS6detail17trampoline_kernelINS0_14default_configENS1_35radix_sort_onesweep_config_selectorIhlEEZZNS1_29radix_sort_onesweep_iterationIS3_Lb0EPhS7_N6thrust23THRUST_200600_302600_NS10device_ptrIlEESB_jNS0_19identity_decomposerENS1_16block_id_wrapperIjLb1EEEEE10hipError_tT1_PNSt15iterator_traitsISG_E10value_typeET2_T3_PNSH_ISM_E10value_typeET4_T5_PSR_SS_PNS1_23onesweep_lookback_stateEbbT6_jjT7_P12ihipStream_tbENKUlT_T0_SG_SL_E_clIS7_S7_PlSB_EEDaSZ_S10_SG_SL_EUlSZ_E_NS1_11comp_targetILNS1_3genE0ELNS1_11target_archE4294967295ELNS1_3gpuE0ELNS1_3repE0EEENS1_47radix_sort_onesweep_sort_config_static_selectorELNS0_4arch9wavefront6targetE1EEEvSG_.has_recursion, 0
	.set _ZN7rocprim17ROCPRIM_400000_NS6detail17trampoline_kernelINS0_14default_configENS1_35radix_sort_onesweep_config_selectorIhlEEZZNS1_29radix_sort_onesweep_iterationIS3_Lb0EPhS7_N6thrust23THRUST_200600_302600_NS10device_ptrIlEESB_jNS0_19identity_decomposerENS1_16block_id_wrapperIjLb1EEEEE10hipError_tT1_PNSt15iterator_traitsISG_E10value_typeET2_T3_PNSH_ISM_E10value_typeET4_T5_PSR_SS_PNS1_23onesweep_lookback_stateEbbT6_jjT7_P12ihipStream_tbENKUlT_T0_SG_SL_E_clIS7_S7_PlSB_EEDaSZ_S10_SG_SL_EUlSZ_E_NS1_11comp_targetILNS1_3genE0ELNS1_11target_archE4294967295ELNS1_3gpuE0ELNS1_3repE0EEENS1_47radix_sort_onesweep_sort_config_static_selectorELNS0_4arch9wavefront6targetE1EEEvSG_.has_indirect_call, 0
	.section	.AMDGPU.csdata,"",@progbits
; Kernel info:
; codeLenInByte = 0
; TotalNumSgprs: 4
; NumVgprs: 0
; ScratchSize: 0
; MemoryBound: 0
; FloatMode: 240
; IeeeMode: 1
; LDSByteSize: 0 bytes/workgroup (compile time only)
; SGPRBlocks: 0
; VGPRBlocks: 0
; NumSGPRsForWavesPerEU: 4
; NumVGPRsForWavesPerEU: 1
; Occupancy: 10
; WaveLimiterHint : 0
; COMPUTE_PGM_RSRC2:SCRATCH_EN: 0
; COMPUTE_PGM_RSRC2:USER_SGPR: 6
; COMPUTE_PGM_RSRC2:TRAP_HANDLER: 0
; COMPUTE_PGM_RSRC2:TGID_X_EN: 1
; COMPUTE_PGM_RSRC2:TGID_Y_EN: 0
; COMPUTE_PGM_RSRC2:TGID_Z_EN: 0
; COMPUTE_PGM_RSRC2:TIDIG_COMP_CNT: 0
	.section	.text._ZN7rocprim17ROCPRIM_400000_NS6detail17trampoline_kernelINS0_14default_configENS1_35radix_sort_onesweep_config_selectorIhlEEZZNS1_29radix_sort_onesweep_iterationIS3_Lb0EPhS7_N6thrust23THRUST_200600_302600_NS10device_ptrIlEESB_jNS0_19identity_decomposerENS1_16block_id_wrapperIjLb1EEEEE10hipError_tT1_PNSt15iterator_traitsISG_E10value_typeET2_T3_PNSH_ISM_E10value_typeET4_T5_PSR_SS_PNS1_23onesweep_lookback_stateEbbT6_jjT7_P12ihipStream_tbENKUlT_T0_SG_SL_E_clIS7_S7_PlSB_EEDaSZ_S10_SG_SL_EUlSZ_E_NS1_11comp_targetILNS1_3genE6ELNS1_11target_archE950ELNS1_3gpuE13ELNS1_3repE0EEENS1_47radix_sort_onesweep_sort_config_static_selectorELNS0_4arch9wavefront6targetE1EEEvSG_,"axG",@progbits,_ZN7rocprim17ROCPRIM_400000_NS6detail17trampoline_kernelINS0_14default_configENS1_35radix_sort_onesweep_config_selectorIhlEEZZNS1_29radix_sort_onesweep_iterationIS3_Lb0EPhS7_N6thrust23THRUST_200600_302600_NS10device_ptrIlEESB_jNS0_19identity_decomposerENS1_16block_id_wrapperIjLb1EEEEE10hipError_tT1_PNSt15iterator_traitsISG_E10value_typeET2_T3_PNSH_ISM_E10value_typeET4_T5_PSR_SS_PNS1_23onesweep_lookback_stateEbbT6_jjT7_P12ihipStream_tbENKUlT_T0_SG_SL_E_clIS7_S7_PlSB_EEDaSZ_S10_SG_SL_EUlSZ_E_NS1_11comp_targetILNS1_3genE6ELNS1_11target_archE950ELNS1_3gpuE13ELNS1_3repE0EEENS1_47radix_sort_onesweep_sort_config_static_selectorELNS0_4arch9wavefront6targetE1EEEvSG_,comdat
	.protected	_ZN7rocprim17ROCPRIM_400000_NS6detail17trampoline_kernelINS0_14default_configENS1_35radix_sort_onesweep_config_selectorIhlEEZZNS1_29radix_sort_onesweep_iterationIS3_Lb0EPhS7_N6thrust23THRUST_200600_302600_NS10device_ptrIlEESB_jNS0_19identity_decomposerENS1_16block_id_wrapperIjLb1EEEEE10hipError_tT1_PNSt15iterator_traitsISG_E10value_typeET2_T3_PNSH_ISM_E10value_typeET4_T5_PSR_SS_PNS1_23onesweep_lookback_stateEbbT6_jjT7_P12ihipStream_tbENKUlT_T0_SG_SL_E_clIS7_S7_PlSB_EEDaSZ_S10_SG_SL_EUlSZ_E_NS1_11comp_targetILNS1_3genE6ELNS1_11target_archE950ELNS1_3gpuE13ELNS1_3repE0EEENS1_47radix_sort_onesweep_sort_config_static_selectorELNS0_4arch9wavefront6targetE1EEEvSG_ ; -- Begin function _ZN7rocprim17ROCPRIM_400000_NS6detail17trampoline_kernelINS0_14default_configENS1_35radix_sort_onesweep_config_selectorIhlEEZZNS1_29radix_sort_onesweep_iterationIS3_Lb0EPhS7_N6thrust23THRUST_200600_302600_NS10device_ptrIlEESB_jNS0_19identity_decomposerENS1_16block_id_wrapperIjLb1EEEEE10hipError_tT1_PNSt15iterator_traitsISG_E10value_typeET2_T3_PNSH_ISM_E10value_typeET4_T5_PSR_SS_PNS1_23onesweep_lookback_stateEbbT6_jjT7_P12ihipStream_tbENKUlT_T0_SG_SL_E_clIS7_S7_PlSB_EEDaSZ_S10_SG_SL_EUlSZ_E_NS1_11comp_targetILNS1_3genE6ELNS1_11target_archE950ELNS1_3gpuE13ELNS1_3repE0EEENS1_47radix_sort_onesweep_sort_config_static_selectorELNS0_4arch9wavefront6targetE1EEEvSG_
	.globl	_ZN7rocprim17ROCPRIM_400000_NS6detail17trampoline_kernelINS0_14default_configENS1_35radix_sort_onesweep_config_selectorIhlEEZZNS1_29radix_sort_onesweep_iterationIS3_Lb0EPhS7_N6thrust23THRUST_200600_302600_NS10device_ptrIlEESB_jNS0_19identity_decomposerENS1_16block_id_wrapperIjLb1EEEEE10hipError_tT1_PNSt15iterator_traitsISG_E10value_typeET2_T3_PNSH_ISM_E10value_typeET4_T5_PSR_SS_PNS1_23onesweep_lookback_stateEbbT6_jjT7_P12ihipStream_tbENKUlT_T0_SG_SL_E_clIS7_S7_PlSB_EEDaSZ_S10_SG_SL_EUlSZ_E_NS1_11comp_targetILNS1_3genE6ELNS1_11target_archE950ELNS1_3gpuE13ELNS1_3repE0EEENS1_47radix_sort_onesweep_sort_config_static_selectorELNS0_4arch9wavefront6targetE1EEEvSG_
	.p2align	8
	.type	_ZN7rocprim17ROCPRIM_400000_NS6detail17trampoline_kernelINS0_14default_configENS1_35radix_sort_onesweep_config_selectorIhlEEZZNS1_29radix_sort_onesweep_iterationIS3_Lb0EPhS7_N6thrust23THRUST_200600_302600_NS10device_ptrIlEESB_jNS0_19identity_decomposerENS1_16block_id_wrapperIjLb1EEEEE10hipError_tT1_PNSt15iterator_traitsISG_E10value_typeET2_T3_PNSH_ISM_E10value_typeET4_T5_PSR_SS_PNS1_23onesweep_lookback_stateEbbT6_jjT7_P12ihipStream_tbENKUlT_T0_SG_SL_E_clIS7_S7_PlSB_EEDaSZ_S10_SG_SL_EUlSZ_E_NS1_11comp_targetILNS1_3genE6ELNS1_11target_archE950ELNS1_3gpuE13ELNS1_3repE0EEENS1_47radix_sort_onesweep_sort_config_static_selectorELNS0_4arch9wavefront6targetE1EEEvSG_,@function
_ZN7rocprim17ROCPRIM_400000_NS6detail17trampoline_kernelINS0_14default_configENS1_35radix_sort_onesweep_config_selectorIhlEEZZNS1_29radix_sort_onesweep_iterationIS3_Lb0EPhS7_N6thrust23THRUST_200600_302600_NS10device_ptrIlEESB_jNS0_19identity_decomposerENS1_16block_id_wrapperIjLb1EEEEE10hipError_tT1_PNSt15iterator_traitsISG_E10value_typeET2_T3_PNSH_ISM_E10value_typeET4_T5_PSR_SS_PNS1_23onesweep_lookback_stateEbbT6_jjT7_P12ihipStream_tbENKUlT_T0_SG_SL_E_clIS7_S7_PlSB_EEDaSZ_S10_SG_SL_EUlSZ_E_NS1_11comp_targetILNS1_3genE6ELNS1_11target_archE950ELNS1_3gpuE13ELNS1_3repE0EEENS1_47radix_sort_onesweep_sort_config_static_selectorELNS0_4arch9wavefront6targetE1EEEvSG_: ; @_ZN7rocprim17ROCPRIM_400000_NS6detail17trampoline_kernelINS0_14default_configENS1_35radix_sort_onesweep_config_selectorIhlEEZZNS1_29radix_sort_onesweep_iterationIS3_Lb0EPhS7_N6thrust23THRUST_200600_302600_NS10device_ptrIlEESB_jNS0_19identity_decomposerENS1_16block_id_wrapperIjLb1EEEEE10hipError_tT1_PNSt15iterator_traitsISG_E10value_typeET2_T3_PNSH_ISM_E10value_typeET4_T5_PSR_SS_PNS1_23onesweep_lookback_stateEbbT6_jjT7_P12ihipStream_tbENKUlT_T0_SG_SL_E_clIS7_S7_PlSB_EEDaSZ_S10_SG_SL_EUlSZ_E_NS1_11comp_targetILNS1_3genE6ELNS1_11target_archE950ELNS1_3gpuE13ELNS1_3repE0EEENS1_47radix_sort_onesweep_sort_config_static_selectorELNS0_4arch9wavefront6targetE1EEEvSG_
; %bb.0:
	.section	.rodata,"a",@progbits
	.p2align	6, 0x0
	.amdhsa_kernel _ZN7rocprim17ROCPRIM_400000_NS6detail17trampoline_kernelINS0_14default_configENS1_35radix_sort_onesweep_config_selectorIhlEEZZNS1_29radix_sort_onesweep_iterationIS3_Lb0EPhS7_N6thrust23THRUST_200600_302600_NS10device_ptrIlEESB_jNS0_19identity_decomposerENS1_16block_id_wrapperIjLb1EEEEE10hipError_tT1_PNSt15iterator_traitsISG_E10value_typeET2_T3_PNSH_ISM_E10value_typeET4_T5_PSR_SS_PNS1_23onesweep_lookback_stateEbbT6_jjT7_P12ihipStream_tbENKUlT_T0_SG_SL_E_clIS7_S7_PlSB_EEDaSZ_S10_SG_SL_EUlSZ_E_NS1_11comp_targetILNS1_3genE6ELNS1_11target_archE950ELNS1_3gpuE13ELNS1_3repE0EEENS1_47radix_sort_onesweep_sort_config_static_selectorELNS0_4arch9wavefront6targetE1EEEvSG_
		.amdhsa_group_segment_fixed_size 0
		.amdhsa_private_segment_fixed_size 0
		.amdhsa_kernarg_size 88
		.amdhsa_user_sgpr_count 6
		.amdhsa_user_sgpr_private_segment_buffer 1
		.amdhsa_user_sgpr_dispatch_ptr 0
		.amdhsa_user_sgpr_queue_ptr 0
		.amdhsa_user_sgpr_kernarg_segment_ptr 1
		.amdhsa_user_sgpr_dispatch_id 0
		.amdhsa_user_sgpr_flat_scratch_init 0
		.amdhsa_user_sgpr_private_segment_size 0
		.amdhsa_uses_dynamic_stack 0
		.amdhsa_system_sgpr_private_segment_wavefront_offset 0
		.amdhsa_system_sgpr_workgroup_id_x 1
		.amdhsa_system_sgpr_workgroup_id_y 0
		.amdhsa_system_sgpr_workgroup_id_z 0
		.amdhsa_system_sgpr_workgroup_info 0
		.amdhsa_system_vgpr_workitem_id 0
		.amdhsa_next_free_vgpr 1
		.amdhsa_next_free_sgpr 0
		.amdhsa_reserve_vcc 0
		.amdhsa_reserve_flat_scratch 0
		.amdhsa_float_round_mode_32 0
		.amdhsa_float_round_mode_16_64 0
		.amdhsa_float_denorm_mode_32 3
		.amdhsa_float_denorm_mode_16_64 3
		.amdhsa_dx10_clamp 1
		.amdhsa_ieee_mode 1
		.amdhsa_fp16_overflow 0
		.amdhsa_exception_fp_ieee_invalid_op 0
		.amdhsa_exception_fp_denorm_src 0
		.amdhsa_exception_fp_ieee_div_zero 0
		.amdhsa_exception_fp_ieee_overflow 0
		.amdhsa_exception_fp_ieee_underflow 0
		.amdhsa_exception_fp_ieee_inexact 0
		.amdhsa_exception_int_div_zero 0
	.end_amdhsa_kernel
	.section	.text._ZN7rocprim17ROCPRIM_400000_NS6detail17trampoline_kernelINS0_14default_configENS1_35radix_sort_onesweep_config_selectorIhlEEZZNS1_29radix_sort_onesweep_iterationIS3_Lb0EPhS7_N6thrust23THRUST_200600_302600_NS10device_ptrIlEESB_jNS0_19identity_decomposerENS1_16block_id_wrapperIjLb1EEEEE10hipError_tT1_PNSt15iterator_traitsISG_E10value_typeET2_T3_PNSH_ISM_E10value_typeET4_T5_PSR_SS_PNS1_23onesweep_lookback_stateEbbT6_jjT7_P12ihipStream_tbENKUlT_T0_SG_SL_E_clIS7_S7_PlSB_EEDaSZ_S10_SG_SL_EUlSZ_E_NS1_11comp_targetILNS1_3genE6ELNS1_11target_archE950ELNS1_3gpuE13ELNS1_3repE0EEENS1_47radix_sort_onesweep_sort_config_static_selectorELNS0_4arch9wavefront6targetE1EEEvSG_,"axG",@progbits,_ZN7rocprim17ROCPRIM_400000_NS6detail17trampoline_kernelINS0_14default_configENS1_35radix_sort_onesweep_config_selectorIhlEEZZNS1_29radix_sort_onesweep_iterationIS3_Lb0EPhS7_N6thrust23THRUST_200600_302600_NS10device_ptrIlEESB_jNS0_19identity_decomposerENS1_16block_id_wrapperIjLb1EEEEE10hipError_tT1_PNSt15iterator_traitsISG_E10value_typeET2_T3_PNSH_ISM_E10value_typeET4_T5_PSR_SS_PNS1_23onesweep_lookback_stateEbbT6_jjT7_P12ihipStream_tbENKUlT_T0_SG_SL_E_clIS7_S7_PlSB_EEDaSZ_S10_SG_SL_EUlSZ_E_NS1_11comp_targetILNS1_3genE6ELNS1_11target_archE950ELNS1_3gpuE13ELNS1_3repE0EEENS1_47radix_sort_onesweep_sort_config_static_selectorELNS0_4arch9wavefront6targetE1EEEvSG_,comdat
.Lfunc_end283:
	.size	_ZN7rocprim17ROCPRIM_400000_NS6detail17trampoline_kernelINS0_14default_configENS1_35radix_sort_onesweep_config_selectorIhlEEZZNS1_29radix_sort_onesweep_iterationIS3_Lb0EPhS7_N6thrust23THRUST_200600_302600_NS10device_ptrIlEESB_jNS0_19identity_decomposerENS1_16block_id_wrapperIjLb1EEEEE10hipError_tT1_PNSt15iterator_traitsISG_E10value_typeET2_T3_PNSH_ISM_E10value_typeET4_T5_PSR_SS_PNS1_23onesweep_lookback_stateEbbT6_jjT7_P12ihipStream_tbENKUlT_T0_SG_SL_E_clIS7_S7_PlSB_EEDaSZ_S10_SG_SL_EUlSZ_E_NS1_11comp_targetILNS1_3genE6ELNS1_11target_archE950ELNS1_3gpuE13ELNS1_3repE0EEENS1_47radix_sort_onesweep_sort_config_static_selectorELNS0_4arch9wavefront6targetE1EEEvSG_, .Lfunc_end283-_ZN7rocprim17ROCPRIM_400000_NS6detail17trampoline_kernelINS0_14default_configENS1_35radix_sort_onesweep_config_selectorIhlEEZZNS1_29radix_sort_onesweep_iterationIS3_Lb0EPhS7_N6thrust23THRUST_200600_302600_NS10device_ptrIlEESB_jNS0_19identity_decomposerENS1_16block_id_wrapperIjLb1EEEEE10hipError_tT1_PNSt15iterator_traitsISG_E10value_typeET2_T3_PNSH_ISM_E10value_typeET4_T5_PSR_SS_PNS1_23onesweep_lookback_stateEbbT6_jjT7_P12ihipStream_tbENKUlT_T0_SG_SL_E_clIS7_S7_PlSB_EEDaSZ_S10_SG_SL_EUlSZ_E_NS1_11comp_targetILNS1_3genE6ELNS1_11target_archE950ELNS1_3gpuE13ELNS1_3repE0EEENS1_47radix_sort_onesweep_sort_config_static_selectorELNS0_4arch9wavefront6targetE1EEEvSG_
                                        ; -- End function
	.set _ZN7rocprim17ROCPRIM_400000_NS6detail17trampoline_kernelINS0_14default_configENS1_35radix_sort_onesweep_config_selectorIhlEEZZNS1_29radix_sort_onesweep_iterationIS3_Lb0EPhS7_N6thrust23THRUST_200600_302600_NS10device_ptrIlEESB_jNS0_19identity_decomposerENS1_16block_id_wrapperIjLb1EEEEE10hipError_tT1_PNSt15iterator_traitsISG_E10value_typeET2_T3_PNSH_ISM_E10value_typeET4_T5_PSR_SS_PNS1_23onesweep_lookback_stateEbbT6_jjT7_P12ihipStream_tbENKUlT_T0_SG_SL_E_clIS7_S7_PlSB_EEDaSZ_S10_SG_SL_EUlSZ_E_NS1_11comp_targetILNS1_3genE6ELNS1_11target_archE950ELNS1_3gpuE13ELNS1_3repE0EEENS1_47radix_sort_onesweep_sort_config_static_selectorELNS0_4arch9wavefront6targetE1EEEvSG_.num_vgpr, 0
	.set _ZN7rocprim17ROCPRIM_400000_NS6detail17trampoline_kernelINS0_14default_configENS1_35radix_sort_onesweep_config_selectorIhlEEZZNS1_29radix_sort_onesweep_iterationIS3_Lb0EPhS7_N6thrust23THRUST_200600_302600_NS10device_ptrIlEESB_jNS0_19identity_decomposerENS1_16block_id_wrapperIjLb1EEEEE10hipError_tT1_PNSt15iterator_traitsISG_E10value_typeET2_T3_PNSH_ISM_E10value_typeET4_T5_PSR_SS_PNS1_23onesweep_lookback_stateEbbT6_jjT7_P12ihipStream_tbENKUlT_T0_SG_SL_E_clIS7_S7_PlSB_EEDaSZ_S10_SG_SL_EUlSZ_E_NS1_11comp_targetILNS1_3genE6ELNS1_11target_archE950ELNS1_3gpuE13ELNS1_3repE0EEENS1_47radix_sort_onesweep_sort_config_static_selectorELNS0_4arch9wavefront6targetE1EEEvSG_.num_agpr, 0
	.set _ZN7rocprim17ROCPRIM_400000_NS6detail17trampoline_kernelINS0_14default_configENS1_35radix_sort_onesweep_config_selectorIhlEEZZNS1_29radix_sort_onesweep_iterationIS3_Lb0EPhS7_N6thrust23THRUST_200600_302600_NS10device_ptrIlEESB_jNS0_19identity_decomposerENS1_16block_id_wrapperIjLb1EEEEE10hipError_tT1_PNSt15iterator_traitsISG_E10value_typeET2_T3_PNSH_ISM_E10value_typeET4_T5_PSR_SS_PNS1_23onesweep_lookback_stateEbbT6_jjT7_P12ihipStream_tbENKUlT_T0_SG_SL_E_clIS7_S7_PlSB_EEDaSZ_S10_SG_SL_EUlSZ_E_NS1_11comp_targetILNS1_3genE6ELNS1_11target_archE950ELNS1_3gpuE13ELNS1_3repE0EEENS1_47radix_sort_onesweep_sort_config_static_selectorELNS0_4arch9wavefront6targetE1EEEvSG_.numbered_sgpr, 0
	.set _ZN7rocprim17ROCPRIM_400000_NS6detail17trampoline_kernelINS0_14default_configENS1_35radix_sort_onesweep_config_selectorIhlEEZZNS1_29radix_sort_onesweep_iterationIS3_Lb0EPhS7_N6thrust23THRUST_200600_302600_NS10device_ptrIlEESB_jNS0_19identity_decomposerENS1_16block_id_wrapperIjLb1EEEEE10hipError_tT1_PNSt15iterator_traitsISG_E10value_typeET2_T3_PNSH_ISM_E10value_typeET4_T5_PSR_SS_PNS1_23onesweep_lookback_stateEbbT6_jjT7_P12ihipStream_tbENKUlT_T0_SG_SL_E_clIS7_S7_PlSB_EEDaSZ_S10_SG_SL_EUlSZ_E_NS1_11comp_targetILNS1_3genE6ELNS1_11target_archE950ELNS1_3gpuE13ELNS1_3repE0EEENS1_47radix_sort_onesweep_sort_config_static_selectorELNS0_4arch9wavefront6targetE1EEEvSG_.num_named_barrier, 0
	.set _ZN7rocprim17ROCPRIM_400000_NS6detail17trampoline_kernelINS0_14default_configENS1_35radix_sort_onesweep_config_selectorIhlEEZZNS1_29radix_sort_onesweep_iterationIS3_Lb0EPhS7_N6thrust23THRUST_200600_302600_NS10device_ptrIlEESB_jNS0_19identity_decomposerENS1_16block_id_wrapperIjLb1EEEEE10hipError_tT1_PNSt15iterator_traitsISG_E10value_typeET2_T3_PNSH_ISM_E10value_typeET4_T5_PSR_SS_PNS1_23onesweep_lookback_stateEbbT6_jjT7_P12ihipStream_tbENKUlT_T0_SG_SL_E_clIS7_S7_PlSB_EEDaSZ_S10_SG_SL_EUlSZ_E_NS1_11comp_targetILNS1_3genE6ELNS1_11target_archE950ELNS1_3gpuE13ELNS1_3repE0EEENS1_47radix_sort_onesweep_sort_config_static_selectorELNS0_4arch9wavefront6targetE1EEEvSG_.private_seg_size, 0
	.set _ZN7rocprim17ROCPRIM_400000_NS6detail17trampoline_kernelINS0_14default_configENS1_35radix_sort_onesweep_config_selectorIhlEEZZNS1_29radix_sort_onesweep_iterationIS3_Lb0EPhS7_N6thrust23THRUST_200600_302600_NS10device_ptrIlEESB_jNS0_19identity_decomposerENS1_16block_id_wrapperIjLb1EEEEE10hipError_tT1_PNSt15iterator_traitsISG_E10value_typeET2_T3_PNSH_ISM_E10value_typeET4_T5_PSR_SS_PNS1_23onesweep_lookback_stateEbbT6_jjT7_P12ihipStream_tbENKUlT_T0_SG_SL_E_clIS7_S7_PlSB_EEDaSZ_S10_SG_SL_EUlSZ_E_NS1_11comp_targetILNS1_3genE6ELNS1_11target_archE950ELNS1_3gpuE13ELNS1_3repE0EEENS1_47radix_sort_onesweep_sort_config_static_selectorELNS0_4arch9wavefront6targetE1EEEvSG_.uses_vcc, 0
	.set _ZN7rocprim17ROCPRIM_400000_NS6detail17trampoline_kernelINS0_14default_configENS1_35radix_sort_onesweep_config_selectorIhlEEZZNS1_29radix_sort_onesweep_iterationIS3_Lb0EPhS7_N6thrust23THRUST_200600_302600_NS10device_ptrIlEESB_jNS0_19identity_decomposerENS1_16block_id_wrapperIjLb1EEEEE10hipError_tT1_PNSt15iterator_traitsISG_E10value_typeET2_T3_PNSH_ISM_E10value_typeET4_T5_PSR_SS_PNS1_23onesweep_lookback_stateEbbT6_jjT7_P12ihipStream_tbENKUlT_T0_SG_SL_E_clIS7_S7_PlSB_EEDaSZ_S10_SG_SL_EUlSZ_E_NS1_11comp_targetILNS1_3genE6ELNS1_11target_archE950ELNS1_3gpuE13ELNS1_3repE0EEENS1_47radix_sort_onesweep_sort_config_static_selectorELNS0_4arch9wavefront6targetE1EEEvSG_.uses_flat_scratch, 0
	.set _ZN7rocprim17ROCPRIM_400000_NS6detail17trampoline_kernelINS0_14default_configENS1_35radix_sort_onesweep_config_selectorIhlEEZZNS1_29radix_sort_onesweep_iterationIS3_Lb0EPhS7_N6thrust23THRUST_200600_302600_NS10device_ptrIlEESB_jNS0_19identity_decomposerENS1_16block_id_wrapperIjLb1EEEEE10hipError_tT1_PNSt15iterator_traitsISG_E10value_typeET2_T3_PNSH_ISM_E10value_typeET4_T5_PSR_SS_PNS1_23onesweep_lookback_stateEbbT6_jjT7_P12ihipStream_tbENKUlT_T0_SG_SL_E_clIS7_S7_PlSB_EEDaSZ_S10_SG_SL_EUlSZ_E_NS1_11comp_targetILNS1_3genE6ELNS1_11target_archE950ELNS1_3gpuE13ELNS1_3repE0EEENS1_47radix_sort_onesweep_sort_config_static_selectorELNS0_4arch9wavefront6targetE1EEEvSG_.has_dyn_sized_stack, 0
	.set _ZN7rocprim17ROCPRIM_400000_NS6detail17trampoline_kernelINS0_14default_configENS1_35radix_sort_onesweep_config_selectorIhlEEZZNS1_29radix_sort_onesweep_iterationIS3_Lb0EPhS7_N6thrust23THRUST_200600_302600_NS10device_ptrIlEESB_jNS0_19identity_decomposerENS1_16block_id_wrapperIjLb1EEEEE10hipError_tT1_PNSt15iterator_traitsISG_E10value_typeET2_T3_PNSH_ISM_E10value_typeET4_T5_PSR_SS_PNS1_23onesweep_lookback_stateEbbT6_jjT7_P12ihipStream_tbENKUlT_T0_SG_SL_E_clIS7_S7_PlSB_EEDaSZ_S10_SG_SL_EUlSZ_E_NS1_11comp_targetILNS1_3genE6ELNS1_11target_archE950ELNS1_3gpuE13ELNS1_3repE0EEENS1_47radix_sort_onesweep_sort_config_static_selectorELNS0_4arch9wavefront6targetE1EEEvSG_.has_recursion, 0
	.set _ZN7rocprim17ROCPRIM_400000_NS6detail17trampoline_kernelINS0_14default_configENS1_35radix_sort_onesweep_config_selectorIhlEEZZNS1_29radix_sort_onesweep_iterationIS3_Lb0EPhS7_N6thrust23THRUST_200600_302600_NS10device_ptrIlEESB_jNS0_19identity_decomposerENS1_16block_id_wrapperIjLb1EEEEE10hipError_tT1_PNSt15iterator_traitsISG_E10value_typeET2_T3_PNSH_ISM_E10value_typeET4_T5_PSR_SS_PNS1_23onesweep_lookback_stateEbbT6_jjT7_P12ihipStream_tbENKUlT_T0_SG_SL_E_clIS7_S7_PlSB_EEDaSZ_S10_SG_SL_EUlSZ_E_NS1_11comp_targetILNS1_3genE6ELNS1_11target_archE950ELNS1_3gpuE13ELNS1_3repE0EEENS1_47radix_sort_onesweep_sort_config_static_selectorELNS0_4arch9wavefront6targetE1EEEvSG_.has_indirect_call, 0
	.section	.AMDGPU.csdata,"",@progbits
; Kernel info:
; codeLenInByte = 0
; TotalNumSgprs: 4
; NumVgprs: 0
; ScratchSize: 0
; MemoryBound: 0
; FloatMode: 240
; IeeeMode: 1
; LDSByteSize: 0 bytes/workgroup (compile time only)
; SGPRBlocks: 0
; VGPRBlocks: 0
; NumSGPRsForWavesPerEU: 4
; NumVGPRsForWavesPerEU: 1
; Occupancy: 10
; WaveLimiterHint : 0
; COMPUTE_PGM_RSRC2:SCRATCH_EN: 0
; COMPUTE_PGM_RSRC2:USER_SGPR: 6
; COMPUTE_PGM_RSRC2:TRAP_HANDLER: 0
; COMPUTE_PGM_RSRC2:TGID_X_EN: 1
; COMPUTE_PGM_RSRC2:TGID_Y_EN: 0
; COMPUTE_PGM_RSRC2:TGID_Z_EN: 0
; COMPUTE_PGM_RSRC2:TIDIG_COMP_CNT: 0
	.section	.text._ZN7rocprim17ROCPRIM_400000_NS6detail17trampoline_kernelINS0_14default_configENS1_35radix_sort_onesweep_config_selectorIhlEEZZNS1_29radix_sort_onesweep_iterationIS3_Lb0EPhS7_N6thrust23THRUST_200600_302600_NS10device_ptrIlEESB_jNS0_19identity_decomposerENS1_16block_id_wrapperIjLb1EEEEE10hipError_tT1_PNSt15iterator_traitsISG_E10value_typeET2_T3_PNSH_ISM_E10value_typeET4_T5_PSR_SS_PNS1_23onesweep_lookback_stateEbbT6_jjT7_P12ihipStream_tbENKUlT_T0_SG_SL_E_clIS7_S7_PlSB_EEDaSZ_S10_SG_SL_EUlSZ_E_NS1_11comp_targetILNS1_3genE5ELNS1_11target_archE942ELNS1_3gpuE9ELNS1_3repE0EEENS1_47radix_sort_onesweep_sort_config_static_selectorELNS0_4arch9wavefront6targetE1EEEvSG_,"axG",@progbits,_ZN7rocprim17ROCPRIM_400000_NS6detail17trampoline_kernelINS0_14default_configENS1_35radix_sort_onesweep_config_selectorIhlEEZZNS1_29radix_sort_onesweep_iterationIS3_Lb0EPhS7_N6thrust23THRUST_200600_302600_NS10device_ptrIlEESB_jNS0_19identity_decomposerENS1_16block_id_wrapperIjLb1EEEEE10hipError_tT1_PNSt15iterator_traitsISG_E10value_typeET2_T3_PNSH_ISM_E10value_typeET4_T5_PSR_SS_PNS1_23onesweep_lookback_stateEbbT6_jjT7_P12ihipStream_tbENKUlT_T0_SG_SL_E_clIS7_S7_PlSB_EEDaSZ_S10_SG_SL_EUlSZ_E_NS1_11comp_targetILNS1_3genE5ELNS1_11target_archE942ELNS1_3gpuE9ELNS1_3repE0EEENS1_47radix_sort_onesweep_sort_config_static_selectorELNS0_4arch9wavefront6targetE1EEEvSG_,comdat
	.protected	_ZN7rocprim17ROCPRIM_400000_NS6detail17trampoline_kernelINS0_14default_configENS1_35radix_sort_onesweep_config_selectorIhlEEZZNS1_29radix_sort_onesweep_iterationIS3_Lb0EPhS7_N6thrust23THRUST_200600_302600_NS10device_ptrIlEESB_jNS0_19identity_decomposerENS1_16block_id_wrapperIjLb1EEEEE10hipError_tT1_PNSt15iterator_traitsISG_E10value_typeET2_T3_PNSH_ISM_E10value_typeET4_T5_PSR_SS_PNS1_23onesweep_lookback_stateEbbT6_jjT7_P12ihipStream_tbENKUlT_T0_SG_SL_E_clIS7_S7_PlSB_EEDaSZ_S10_SG_SL_EUlSZ_E_NS1_11comp_targetILNS1_3genE5ELNS1_11target_archE942ELNS1_3gpuE9ELNS1_3repE0EEENS1_47radix_sort_onesweep_sort_config_static_selectorELNS0_4arch9wavefront6targetE1EEEvSG_ ; -- Begin function _ZN7rocprim17ROCPRIM_400000_NS6detail17trampoline_kernelINS0_14default_configENS1_35radix_sort_onesweep_config_selectorIhlEEZZNS1_29radix_sort_onesweep_iterationIS3_Lb0EPhS7_N6thrust23THRUST_200600_302600_NS10device_ptrIlEESB_jNS0_19identity_decomposerENS1_16block_id_wrapperIjLb1EEEEE10hipError_tT1_PNSt15iterator_traitsISG_E10value_typeET2_T3_PNSH_ISM_E10value_typeET4_T5_PSR_SS_PNS1_23onesweep_lookback_stateEbbT6_jjT7_P12ihipStream_tbENKUlT_T0_SG_SL_E_clIS7_S7_PlSB_EEDaSZ_S10_SG_SL_EUlSZ_E_NS1_11comp_targetILNS1_3genE5ELNS1_11target_archE942ELNS1_3gpuE9ELNS1_3repE0EEENS1_47radix_sort_onesweep_sort_config_static_selectorELNS0_4arch9wavefront6targetE1EEEvSG_
	.globl	_ZN7rocprim17ROCPRIM_400000_NS6detail17trampoline_kernelINS0_14default_configENS1_35radix_sort_onesweep_config_selectorIhlEEZZNS1_29radix_sort_onesweep_iterationIS3_Lb0EPhS7_N6thrust23THRUST_200600_302600_NS10device_ptrIlEESB_jNS0_19identity_decomposerENS1_16block_id_wrapperIjLb1EEEEE10hipError_tT1_PNSt15iterator_traitsISG_E10value_typeET2_T3_PNSH_ISM_E10value_typeET4_T5_PSR_SS_PNS1_23onesweep_lookback_stateEbbT6_jjT7_P12ihipStream_tbENKUlT_T0_SG_SL_E_clIS7_S7_PlSB_EEDaSZ_S10_SG_SL_EUlSZ_E_NS1_11comp_targetILNS1_3genE5ELNS1_11target_archE942ELNS1_3gpuE9ELNS1_3repE0EEENS1_47radix_sort_onesweep_sort_config_static_selectorELNS0_4arch9wavefront6targetE1EEEvSG_
	.p2align	8
	.type	_ZN7rocprim17ROCPRIM_400000_NS6detail17trampoline_kernelINS0_14default_configENS1_35radix_sort_onesweep_config_selectorIhlEEZZNS1_29radix_sort_onesweep_iterationIS3_Lb0EPhS7_N6thrust23THRUST_200600_302600_NS10device_ptrIlEESB_jNS0_19identity_decomposerENS1_16block_id_wrapperIjLb1EEEEE10hipError_tT1_PNSt15iterator_traitsISG_E10value_typeET2_T3_PNSH_ISM_E10value_typeET4_T5_PSR_SS_PNS1_23onesweep_lookback_stateEbbT6_jjT7_P12ihipStream_tbENKUlT_T0_SG_SL_E_clIS7_S7_PlSB_EEDaSZ_S10_SG_SL_EUlSZ_E_NS1_11comp_targetILNS1_3genE5ELNS1_11target_archE942ELNS1_3gpuE9ELNS1_3repE0EEENS1_47radix_sort_onesweep_sort_config_static_selectorELNS0_4arch9wavefront6targetE1EEEvSG_,@function
_ZN7rocprim17ROCPRIM_400000_NS6detail17trampoline_kernelINS0_14default_configENS1_35radix_sort_onesweep_config_selectorIhlEEZZNS1_29radix_sort_onesweep_iterationIS3_Lb0EPhS7_N6thrust23THRUST_200600_302600_NS10device_ptrIlEESB_jNS0_19identity_decomposerENS1_16block_id_wrapperIjLb1EEEEE10hipError_tT1_PNSt15iterator_traitsISG_E10value_typeET2_T3_PNSH_ISM_E10value_typeET4_T5_PSR_SS_PNS1_23onesweep_lookback_stateEbbT6_jjT7_P12ihipStream_tbENKUlT_T0_SG_SL_E_clIS7_S7_PlSB_EEDaSZ_S10_SG_SL_EUlSZ_E_NS1_11comp_targetILNS1_3genE5ELNS1_11target_archE942ELNS1_3gpuE9ELNS1_3repE0EEENS1_47radix_sort_onesweep_sort_config_static_selectorELNS0_4arch9wavefront6targetE1EEEvSG_: ; @_ZN7rocprim17ROCPRIM_400000_NS6detail17trampoline_kernelINS0_14default_configENS1_35radix_sort_onesweep_config_selectorIhlEEZZNS1_29radix_sort_onesweep_iterationIS3_Lb0EPhS7_N6thrust23THRUST_200600_302600_NS10device_ptrIlEESB_jNS0_19identity_decomposerENS1_16block_id_wrapperIjLb1EEEEE10hipError_tT1_PNSt15iterator_traitsISG_E10value_typeET2_T3_PNSH_ISM_E10value_typeET4_T5_PSR_SS_PNS1_23onesweep_lookback_stateEbbT6_jjT7_P12ihipStream_tbENKUlT_T0_SG_SL_E_clIS7_S7_PlSB_EEDaSZ_S10_SG_SL_EUlSZ_E_NS1_11comp_targetILNS1_3genE5ELNS1_11target_archE942ELNS1_3gpuE9ELNS1_3repE0EEENS1_47radix_sort_onesweep_sort_config_static_selectorELNS0_4arch9wavefront6targetE1EEEvSG_
; %bb.0:
	.section	.rodata,"a",@progbits
	.p2align	6, 0x0
	.amdhsa_kernel _ZN7rocprim17ROCPRIM_400000_NS6detail17trampoline_kernelINS0_14default_configENS1_35radix_sort_onesweep_config_selectorIhlEEZZNS1_29radix_sort_onesweep_iterationIS3_Lb0EPhS7_N6thrust23THRUST_200600_302600_NS10device_ptrIlEESB_jNS0_19identity_decomposerENS1_16block_id_wrapperIjLb1EEEEE10hipError_tT1_PNSt15iterator_traitsISG_E10value_typeET2_T3_PNSH_ISM_E10value_typeET4_T5_PSR_SS_PNS1_23onesweep_lookback_stateEbbT6_jjT7_P12ihipStream_tbENKUlT_T0_SG_SL_E_clIS7_S7_PlSB_EEDaSZ_S10_SG_SL_EUlSZ_E_NS1_11comp_targetILNS1_3genE5ELNS1_11target_archE942ELNS1_3gpuE9ELNS1_3repE0EEENS1_47radix_sort_onesweep_sort_config_static_selectorELNS0_4arch9wavefront6targetE1EEEvSG_
		.amdhsa_group_segment_fixed_size 0
		.amdhsa_private_segment_fixed_size 0
		.amdhsa_kernarg_size 88
		.amdhsa_user_sgpr_count 6
		.amdhsa_user_sgpr_private_segment_buffer 1
		.amdhsa_user_sgpr_dispatch_ptr 0
		.amdhsa_user_sgpr_queue_ptr 0
		.amdhsa_user_sgpr_kernarg_segment_ptr 1
		.amdhsa_user_sgpr_dispatch_id 0
		.amdhsa_user_sgpr_flat_scratch_init 0
		.amdhsa_user_sgpr_private_segment_size 0
		.amdhsa_uses_dynamic_stack 0
		.amdhsa_system_sgpr_private_segment_wavefront_offset 0
		.amdhsa_system_sgpr_workgroup_id_x 1
		.amdhsa_system_sgpr_workgroup_id_y 0
		.amdhsa_system_sgpr_workgroup_id_z 0
		.amdhsa_system_sgpr_workgroup_info 0
		.amdhsa_system_vgpr_workitem_id 0
		.amdhsa_next_free_vgpr 1
		.amdhsa_next_free_sgpr 0
		.amdhsa_reserve_vcc 0
		.amdhsa_reserve_flat_scratch 0
		.amdhsa_float_round_mode_32 0
		.amdhsa_float_round_mode_16_64 0
		.amdhsa_float_denorm_mode_32 3
		.amdhsa_float_denorm_mode_16_64 3
		.amdhsa_dx10_clamp 1
		.amdhsa_ieee_mode 1
		.amdhsa_fp16_overflow 0
		.amdhsa_exception_fp_ieee_invalid_op 0
		.amdhsa_exception_fp_denorm_src 0
		.amdhsa_exception_fp_ieee_div_zero 0
		.amdhsa_exception_fp_ieee_overflow 0
		.amdhsa_exception_fp_ieee_underflow 0
		.amdhsa_exception_fp_ieee_inexact 0
		.amdhsa_exception_int_div_zero 0
	.end_amdhsa_kernel
	.section	.text._ZN7rocprim17ROCPRIM_400000_NS6detail17trampoline_kernelINS0_14default_configENS1_35radix_sort_onesweep_config_selectorIhlEEZZNS1_29radix_sort_onesweep_iterationIS3_Lb0EPhS7_N6thrust23THRUST_200600_302600_NS10device_ptrIlEESB_jNS0_19identity_decomposerENS1_16block_id_wrapperIjLb1EEEEE10hipError_tT1_PNSt15iterator_traitsISG_E10value_typeET2_T3_PNSH_ISM_E10value_typeET4_T5_PSR_SS_PNS1_23onesweep_lookback_stateEbbT6_jjT7_P12ihipStream_tbENKUlT_T0_SG_SL_E_clIS7_S7_PlSB_EEDaSZ_S10_SG_SL_EUlSZ_E_NS1_11comp_targetILNS1_3genE5ELNS1_11target_archE942ELNS1_3gpuE9ELNS1_3repE0EEENS1_47radix_sort_onesweep_sort_config_static_selectorELNS0_4arch9wavefront6targetE1EEEvSG_,"axG",@progbits,_ZN7rocprim17ROCPRIM_400000_NS6detail17trampoline_kernelINS0_14default_configENS1_35radix_sort_onesweep_config_selectorIhlEEZZNS1_29radix_sort_onesweep_iterationIS3_Lb0EPhS7_N6thrust23THRUST_200600_302600_NS10device_ptrIlEESB_jNS0_19identity_decomposerENS1_16block_id_wrapperIjLb1EEEEE10hipError_tT1_PNSt15iterator_traitsISG_E10value_typeET2_T3_PNSH_ISM_E10value_typeET4_T5_PSR_SS_PNS1_23onesweep_lookback_stateEbbT6_jjT7_P12ihipStream_tbENKUlT_T0_SG_SL_E_clIS7_S7_PlSB_EEDaSZ_S10_SG_SL_EUlSZ_E_NS1_11comp_targetILNS1_3genE5ELNS1_11target_archE942ELNS1_3gpuE9ELNS1_3repE0EEENS1_47radix_sort_onesweep_sort_config_static_selectorELNS0_4arch9wavefront6targetE1EEEvSG_,comdat
.Lfunc_end284:
	.size	_ZN7rocprim17ROCPRIM_400000_NS6detail17trampoline_kernelINS0_14default_configENS1_35radix_sort_onesweep_config_selectorIhlEEZZNS1_29radix_sort_onesweep_iterationIS3_Lb0EPhS7_N6thrust23THRUST_200600_302600_NS10device_ptrIlEESB_jNS0_19identity_decomposerENS1_16block_id_wrapperIjLb1EEEEE10hipError_tT1_PNSt15iterator_traitsISG_E10value_typeET2_T3_PNSH_ISM_E10value_typeET4_T5_PSR_SS_PNS1_23onesweep_lookback_stateEbbT6_jjT7_P12ihipStream_tbENKUlT_T0_SG_SL_E_clIS7_S7_PlSB_EEDaSZ_S10_SG_SL_EUlSZ_E_NS1_11comp_targetILNS1_3genE5ELNS1_11target_archE942ELNS1_3gpuE9ELNS1_3repE0EEENS1_47radix_sort_onesweep_sort_config_static_selectorELNS0_4arch9wavefront6targetE1EEEvSG_, .Lfunc_end284-_ZN7rocprim17ROCPRIM_400000_NS6detail17trampoline_kernelINS0_14default_configENS1_35radix_sort_onesweep_config_selectorIhlEEZZNS1_29radix_sort_onesweep_iterationIS3_Lb0EPhS7_N6thrust23THRUST_200600_302600_NS10device_ptrIlEESB_jNS0_19identity_decomposerENS1_16block_id_wrapperIjLb1EEEEE10hipError_tT1_PNSt15iterator_traitsISG_E10value_typeET2_T3_PNSH_ISM_E10value_typeET4_T5_PSR_SS_PNS1_23onesweep_lookback_stateEbbT6_jjT7_P12ihipStream_tbENKUlT_T0_SG_SL_E_clIS7_S7_PlSB_EEDaSZ_S10_SG_SL_EUlSZ_E_NS1_11comp_targetILNS1_3genE5ELNS1_11target_archE942ELNS1_3gpuE9ELNS1_3repE0EEENS1_47radix_sort_onesweep_sort_config_static_selectorELNS0_4arch9wavefront6targetE1EEEvSG_
                                        ; -- End function
	.set _ZN7rocprim17ROCPRIM_400000_NS6detail17trampoline_kernelINS0_14default_configENS1_35radix_sort_onesweep_config_selectorIhlEEZZNS1_29radix_sort_onesweep_iterationIS3_Lb0EPhS7_N6thrust23THRUST_200600_302600_NS10device_ptrIlEESB_jNS0_19identity_decomposerENS1_16block_id_wrapperIjLb1EEEEE10hipError_tT1_PNSt15iterator_traitsISG_E10value_typeET2_T3_PNSH_ISM_E10value_typeET4_T5_PSR_SS_PNS1_23onesweep_lookback_stateEbbT6_jjT7_P12ihipStream_tbENKUlT_T0_SG_SL_E_clIS7_S7_PlSB_EEDaSZ_S10_SG_SL_EUlSZ_E_NS1_11comp_targetILNS1_3genE5ELNS1_11target_archE942ELNS1_3gpuE9ELNS1_3repE0EEENS1_47radix_sort_onesweep_sort_config_static_selectorELNS0_4arch9wavefront6targetE1EEEvSG_.num_vgpr, 0
	.set _ZN7rocprim17ROCPRIM_400000_NS6detail17trampoline_kernelINS0_14default_configENS1_35radix_sort_onesweep_config_selectorIhlEEZZNS1_29radix_sort_onesweep_iterationIS3_Lb0EPhS7_N6thrust23THRUST_200600_302600_NS10device_ptrIlEESB_jNS0_19identity_decomposerENS1_16block_id_wrapperIjLb1EEEEE10hipError_tT1_PNSt15iterator_traitsISG_E10value_typeET2_T3_PNSH_ISM_E10value_typeET4_T5_PSR_SS_PNS1_23onesweep_lookback_stateEbbT6_jjT7_P12ihipStream_tbENKUlT_T0_SG_SL_E_clIS7_S7_PlSB_EEDaSZ_S10_SG_SL_EUlSZ_E_NS1_11comp_targetILNS1_3genE5ELNS1_11target_archE942ELNS1_3gpuE9ELNS1_3repE0EEENS1_47radix_sort_onesweep_sort_config_static_selectorELNS0_4arch9wavefront6targetE1EEEvSG_.num_agpr, 0
	.set _ZN7rocprim17ROCPRIM_400000_NS6detail17trampoline_kernelINS0_14default_configENS1_35radix_sort_onesweep_config_selectorIhlEEZZNS1_29radix_sort_onesweep_iterationIS3_Lb0EPhS7_N6thrust23THRUST_200600_302600_NS10device_ptrIlEESB_jNS0_19identity_decomposerENS1_16block_id_wrapperIjLb1EEEEE10hipError_tT1_PNSt15iterator_traitsISG_E10value_typeET2_T3_PNSH_ISM_E10value_typeET4_T5_PSR_SS_PNS1_23onesweep_lookback_stateEbbT6_jjT7_P12ihipStream_tbENKUlT_T0_SG_SL_E_clIS7_S7_PlSB_EEDaSZ_S10_SG_SL_EUlSZ_E_NS1_11comp_targetILNS1_3genE5ELNS1_11target_archE942ELNS1_3gpuE9ELNS1_3repE0EEENS1_47radix_sort_onesweep_sort_config_static_selectorELNS0_4arch9wavefront6targetE1EEEvSG_.numbered_sgpr, 0
	.set _ZN7rocprim17ROCPRIM_400000_NS6detail17trampoline_kernelINS0_14default_configENS1_35radix_sort_onesweep_config_selectorIhlEEZZNS1_29radix_sort_onesweep_iterationIS3_Lb0EPhS7_N6thrust23THRUST_200600_302600_NS10device_ptrIlEESB_jNS0_19identity_decomposerENS1_16block_id_wrapperIjLb1EEEEE10hipError_tT1_PNSt15iterator_traitsISG_E10value_typeET2_T3_PNSH_ISM_E10value_typeET4_T5_PSR_SS_PNS1_23onesweep_lookback_stateEbbT6_jjT7_P12ihipStream_tbENKUlT_T0_SG_SL_E_clIS7_S7_PlSB_EEDaSZ_S10_SG_SL_EUlSZ_E_NS1_11comp_targetILNS1_3genE5ELNS1_11target_archE942ELNS1_3gpuE9ELNS1_3repE0EEENS1_47radix_sort_onesweep_sort_config_static_selectorELNS0_4arch9wavefront6targetE1EEEvSG_.num_named_barrier, 0
	.set _ZN7rocprim17ROCPRIM_400000_NS6detail17trampoline_kernelINS0_14default_configENS1_35radix_sort_onesweep_config_selectorIhlEEZZNS1_29radix_sort_onesweep_iterationIS3_Lb0EPhS7_N6thrust23THRUST_200600_302600_NS10device_ptrIlEESB_jNS0_19identity_decomposerENS1_16block_id_wrapperIjLb1EEEEE10hipError_tT1_PNSt15iterator_traitsISG_E10value_typeET2_T3_PNSH_ISM_E10value_typeET4_T5_PSR_SS_PNS1_23onesweep_lookback_stateEbbT6_jjT7_P12ihipStream_tbENKUlT_T0_SG_SL_E_clIS7_S7_PlSB_EEDaSZ_S10_SG_SL_EUlSZ_E_NS1_11comp_targetILNS1_3genE5ELNS1_11target_archE942ELNS1_3gpuE9ELNS1_3repE0EEENS1_47radix_sort_onesweep_sort_config_static_selectorELNS0_4arch9wavefront6targetE1EEEvSG_.private_seg_size, 0
	.set _ZN7rocprim17ROCPRIM_400000_NS6detail17trampoline_kernelINS0_14default_configENS1_35radix_sort_onesweep_config_selectorIhlEEZZNS1_29radix_sort_onesweep_iterationIS3_Lb0EPhS7_N6thrust23THRUST_200600_302600_NS10device_ptrIlEESB_jNS0_19identity_decomposerENS1_16block_id_wrapperIjLb1EEEEE10hipError_tT1_PNSt15iterator_traitsISG_E10value_typeET2_T3_PNSH_ISM_E10value_typeET4_T5_PSR_SS_PNS1_23onesweep_lookback_stateEbbT6_jjT7_P12ihipStream_tbENKUlT_T0_SG_SL_E_clIS7_S7_PlSB_EEDaSZ_S10_SG_SL_EUlSZ_E_NS1_11comp_targetILNS1_3genE5ELNS1_11target_archE942ELNS1_3gpuE9ELNS1_3repE0EEENS1_47radix_sort_onesweep_sort_config_static_selectorELNS0_4arch9wavefront6targetE1EEEvSG_.uses_vcc, 0
	.set _ZN7rocprim17ROCPRIM_400000_NS6detail17trampoline_kernelINS0_14default_configENS1_35radix_sort_onesweep_config_selectorIhlEEZZNS1_29radix_sort_onesweep_iterationIS3_Lb0EPhS7_N6thrust23THRUST_200600_302600_NS10device_ptrIlEESB_jNS0_19identity_decomposerENS1_16block_id_wrapperIjLb1EEEEE10hipError_tT1_PNSt15iterator_traitsISG_E10value_typeET2_T3_PNSH_ISM_E10value_typeET4_T5_PSR_SS_PNS1_23onesweep_lookback_stateEbbT6_jjT7_P12ihipStream_tbENKUlT_T0_SG_SL_E_clIS7_S7_PlSB_EEDaSZ_S10_SG_SL_EUlSZ_E_NS1_11comp_targetILNS1_3genE5ELNS1_11target_archE942ELNS1_3gpuE9ELNS1_3repE0EEENS1_47radix_sort_onesweep_sort_config_static_selectorELNS0_4arch9wavefront6targetE1EEEvSG_.uses_flat_scratch, 0
	.set _ZN7rocprim17ROCPRIM_400000_NS6detail17trampoline_kernelINS0_14default_configENS1_35radix_sort_onesweep_config_selectorIhlEEZZNS1_29radix_sort_onesweep_iterationIS3_Lb0EPhS7_N6thrust23THRUST_200600_302600_NS10device_ptrIlEESB_jNS0_19identity_decomposerENS1_16block_id_wrapperIjLb1EEEEE10hipError_tT1_PNSt15iterator_traitsISG_E10value_typeET2_T3_PNSH_ISM_E10value_typeET4_T5_PSR_SS_PNS1_23onesweep_lookback_stateEbbT6_jjT7_P12ihipStream_tbENKUlT_T0_SG_SL_E_clIS7_S7_PlSB_EEDaSZ_S10_SG_SL_EUlSZ_E_NS1_11comp_targetILNS1_3genE5ELNS1_11target_archE942ELNS1_3gpuE9ELNS1_3repE0EEENS1_47radix_sort_onesweep_sort_config_static_selectorELNS0_4arch9wavefront6targetE1EEEvSG_.has_dyn_sized_stack, 0
	.set _ZN7rocprim17ROCPRIM_400000_NS6detail17trampoline_kernelINS0_14default_configENS1_35radix_sort_onesweep_config_selectorIhlEEZZNS1_29radix_sort_onesweep_iterationIS3_Lb0EPhS7_N6thrust23THRUST_200600_302600_NS10device_ptrIlEESB_jNS0_19identity_decomposerENS1_16block_id_wrapperIjLb1EEEEE10hipError_tT1_PNSt15iterator_traitsISG_E10value_typeET2_T3_PNSH_ISM_E10value_typeET4_T5_PSR_SS_PNS1_23onesweep_lookback_stateEbbT6_jjT7_P12ihipStream_tbENKUlT_T0_SG_SL_E_clIS7_S7_PlSB_EEDaSZ_S10_SG_SL_EUlSZ_E_NS1_11comp_targetILNS1_3genE5ELNS1_11target_archE942ELNS1_3gpuE9ELNS1_3repE0EEENS1_47radix_sort_onesweep_sort_config_static_selectorELNS0_4arch9wavefront6targetE1EEEvSG_.has_recursion, 0
	.set _ZN7rocprim17ROCPRIM_400000_NS6detail17trampoline_kernelINS0_14default_configENS1_35radix_sort_onesweep_config_selectorIhlEEZZNS1_29radix_sort_onesweep_iterationIS3_Lb0EPhS7_N6thrust23THRUST_200600_302600_NS10device_ptrIlEESB_jNS0_19identity_decomposerENS1_16block_id_wrapperIjLb1EEEEE10hipError_tT1_PNSt15iterator_traitsISG_E10value_typeET2_T3_PNSH_ISM_E10value_typeET4_T5_PSR_SS_PNS1_23onesweep_lookback_stateEbbT6_jjT7_P12ihipStream_tbENKUlT_T0_SG_SL_E_clIS7_S7_PlSB_EEDaSZ_S10_SG_SL_EUlSZ_E_NS1_11comp_targetILNS1_3genE5ELNS1_11target_archE942ELNS1_3gpuE9ELNS1_3repE0EEENS1_47radix_sort_onesweep_sort_config_static_selectorELNS0_4arch9wavefront6targetE1EEEvSG_.has_indirect_call, 0
	.section	.AMDGPU.csdata,"",@progbits
; Kernel info:
; codeLenInByte = 0
; TotalNumSgprs: 4
; NumVgprs: 0
; ScratchSize: 0
; MemoryBound: 0
; FloatMode: 240
; IeeeMode: 1
; LDSByteSize: 0 bytes/workgroup (compile time only)
; SGPRBlocks: 0
; VGPRBlocks: 0
; NumSGPRsForWavesPerEU: 4
; NumVGPRsForWavesPerEU: 1
; Occupancy: 10
; WaveLimiterHint : 0
; COMPUTE_PGM_RSRC2:SCRATCH_EN: 0
; COMPUTE_PGM_RSRC2:USER_SGPR: 6
; COMPUTE_PGM_RSRC2:TRAP_HANDLER: 0
; COMPUTE_PGM_RSRC2:TGID_X_EN: 1
; COMPUTE_PGM_RSRC2:TGID_Y_EN: 0
; COMPUTE_PGM_RSRC2:TGID_Z_EN: 0
; COMPUTE_PGM_RSRC2:TIDIG_COMP_CNT: 0
	.section	.text._ZN7rocprim17ROCPRIM_400000_NS6detail17trampoline_kernelINS0_14default_configENS1_35radix_sort_onesweep_config_selectorIhlEEZZNS1_29radix_sort_onesweep_iterationIS3_Lb0EPhS7_N6thrust23THRUST_200600_302600_NS10device_ptrIlEESB_jNS0_19identity_decomposerENS1_16block_id_wrapperIjLb1EEEEE10hipError_tT1_PNSt15iterator_traitsISG_E10value_typeET2_T3_PNSH_ISM_E10value_typeET4_T5_PSR_SS_PNS1_23onesweep_lookback_stateEbbT6_jjT7_P12ihipStream_tbENKUlT_T0_SG_SL_E_clIS7_S7_PlSB_EEDaSZ_S10_SG_SL_EUlSZ_E_NS1_11comp_targetILNS1_3genE2ELNS1_11target_archE906ELNS1_3gpuE6ELNS1_3repE0EEENS1_47radix_sort_onesweep_sort_config_static_selectorELNS0_4arch9wavefront6targetE1EEEvSG_,"axG",@progbits,_ZN7rocprim17ROCPRIM_400000_NS6detail17trampoline_kernelINS0_14default_configENS1_35radix_sort_onesweep_config_selectorIhlEEZZNS1_29radix_sort_onesweep_iterationIS3_Lb0EPhS7_N6thrust23THRUST_200600_302600_NS10device_ptrIlEESB_jNS0_19identity_decomposerENS1_16block_id_wrapperIjLb1EEEEE10hipError_tT1_PNSt15iterator_traitsISG_E10value_typeET2_T3_PNSH_ISM_E10value_typeET4_T5_PSR_SS_PNS1_23onesweep_lookback_stateEbbT6_jjT7_P12ihipStream_tbENKUlT_T0_SG_SL_E_clIS7_S7_PlSB_EEDaSZ_S10_SG_SL_EUlSZ_E_NS1_11comp_targetILNS1_3genE2ELNS1_11target_archE906ELNS1_3gpuE6ELNS1_3repE0EEENS1_47radix_sort_onesweep_sort_config_static_selectorELNS0_4arch9wavefront6targetE1EEEvSG_,comdat
	.protected	_ZN7rocprim17ROCPRIM_400000_NS6detail17trampoline_kernelINS0_14default_configENS1_35radix_sort_onesweep_config_selectorIhlEEZZNS1_29radix_sort_onesweep_iterationIS3_Lb0EPhS7_N6thrust23THRUST_200600_302600_NS10device_ptrIlEESB_jNS0_19identity_decomposerENS1_16block_id_wrapperIjLb1EEEEE10hipError_tT1_PNSt15iterator_traitsISG_E10value_typeET2_T3_PNSH_ISM_E10value_typeET4_T5_PSR_SS_PNS1_23onesweep_lookback_stateEbbT6_jjT7_P12ihipStream_tbENKUlT_T0_SG_SL_E_clIS7_S7_PlSB_EEDaSZ_S10_SG_SL_EUlSZ_E_NS1_11comp_targetILNS1_3genE2ELNS1_11target_archE906ELNS1_3gpuE6ELNS1_3repE0EEENS1_47radix_sort_onesweep_sort_config_static_selectorELNS0_4arch9wavefront6targetE1EEEvSG_ ; -- Begin function _ZN7rocprim17ROCPRIM_400000_NS6detail17trampoline_kernelINS0_14default_configENS1_35radix_sort_onesweep_config_selectorIhlEEZZNS1_29radix_sort_onesweep_iterationIS3_Lb0EPhS7_N6thrust23THRUST_200600_302600_NS10device_ptrIlEESB_jNS0_19identity_decomposerENS1_16block_id_wrapperIjLb1EEEEE10hipError_tT1_PNSt15iterator_traitsISG_E10value_typeET2_T3_PNSH_ISM_E10value_typeET4_T5_PSR_SS_PNS1_23onesweep_lookback_stateEbbT6_jjT7_P12ihipStream_tbENKUlT_T0_SG_SL_E_clIS7_S7_PlSB_EEDaSZ_S10_SG_SL_EUlSZ_E_NS1_11comp_targetILNS1_3genE2ELNS1_11target_archE906ELNS1_3gpuE6ELNS1_3repE0EEENS1_47radix_sort_onesweep_sort_config_static_selectorELNS0_4arch9wavefront6targetE1EEEvSG_
	.globl	_ZN7rocprim17ROCPRIM_400000_NS6detail17trampoline_kernelINS0_14default_configENS1_35radix_sort_onesweep_config_selectorIhlEEZZNS1_29radix_sort_onesweep_iterationIS3_Lb0EPhS7_N6thrust23THRUST_200600_302600_NS10device_ptrIlEESB_jNS0_19identity_decomposerENS1_16block_id_wrapperIjLb1EEEEE10hipError_tT1_PNSt15iterator_traitsISG_E10value_typeET2_T3_PNSH_ISM_E10value_typeET4_T5_PSR_SS_PNS1_23onesweep_lookback_stateEbbT6_jjT7_P12ihipStream_tbENKUlT_T0_SG_SL_E_clIS7_S7_PlSB_EEDaSZ_S10_SG_SL_EUlSZ_E_NS1_11comp_targetILNS1_3genE2ELNS1_11target_archE906ELNS1_3gpuE6ELNS1_3repE0EEENS1_47radix_sort_onesweep_sort_config_static_selectorELNS0_4arch9wavefront6targetE1EEEvSG_
	.p2align	8
	.type	_ZN7rocprim17ROCPRIM_400000_NS6detail17trampoline_kernelINS0_14default_configENS1_35radix_sort_onesweep_config_selectorIhlEEZZNS1_29radix_sort_onesweep_iterationIS3_Lb0EPhS7_N6thrust23THRUST_200600_302600_NS10device_ptrIlEESB_jNS0_19identity_decomposerENS1_16block_id_wrapperIjLb1EEEEE10hipError_tT1_PNSt15iterator_traitsISG_E10value_typeET2_T3_PNSH_ISM_E10value_typeET4_T5_PSR_SS_PNS1_23onesweep_lookback_stateEbbT6_jjT7_P12ihipStream_tbENKUlT_T0_SG_SL_E_clIS7_S7_PlSB_EEDaSZ_S10_SG_SL_EUlSZ_E_NS1_11comp_targetILNS1_3genE2ELNS1_11target_archE906ELNS1_3gpuE6ELNS1_3repE0EEENS1_47radix_sort_onesweep_sort_config_static_selectorELNS0_4arch9wavefront6targetE1EEEvSG_,@function
_ZN7rocprim17ROCPRIM_400000_NS6detail17trampoline_kernelINS0_14default_configENS1_35radix_sort_onesweep_config_selectorIhlEEZZNS1_29radix_sort_onesweep_iterationIS3_Lb0EPhS7_N6thrust23THRUST_200600_302600_NS10device_ptrIlEESB_jNS0_19identity_decomposerENS1_16block_id_wrapperIjLb1EEEEE10hipError_tT1_PNSt15iterator_traitsISG_E10value_typeET2_T3_PNSH_ISM_E10value_typeET4_T5_PSR_SS_PNS1_23onesweep_lookback_stateEbbT6_jjT7_P12ihipStream_tbENKUlT_T0_SG_SL_E_clIS7_S7_PlSB_EEDaSZ_S10_SG_SL_EUlSZ_E_NS1_11comp_targetILNS1_3genE2ELNS1_11target_archE906ELNS1_3gpuE6ELNS1_3repE0EEENS1_47radix_sort_onesweep_sort_config_static_selectorELNS0_4arch9wavefront6targetE1EEEvSG_: ; @_ZN7rocprim17ROCPRIM_400000_NS6detail17trampoline_kernelINS0_14default_configENS1_35radix_sort_onesweep_config_selectorIhlEEZZNS1_29radix_sort_onesweep_iterationIS3_Lb0EPhS7_N6thrust23THRUST_200600_302600_NS10device_ptrIlEESB_jNS0_19identity_decomposerENS1_16block_id_wrapperIjLb1EEEEE10hipError_tT1_PNSt15iterator_traitsISG_E10value_typeET2_T3_PNSH_ISM_E10value_typeET4_T5_PSR_SS_PNS1_23onesweep_lookback_stateEbbT6_jjT7_P12ihipStream_tbENKUlT_T0_SG_SL_E_clIS7_S7_PlSB_EEDaSZ_S10_SG_SL_EUlSZ_E_NS1_11comp_targetILNS1_3genE2ELNS1_11target_archE906ELNS1_3gpuE6ELNS1_3repE0EEENS1_47radix_sort_onesweep_sort_config_static_selectorELNS0_4arch9wavefront6targetE1EEEvSG_
; %bb.0:
	s_load_dwordx4 s[28:31], s[4:5], 0x28
	s_load_dwordx2 s[34:35], s[4:5], 0x38
	s_load_dwordx4 s[44:47], s[4:5], 0x44
	s_add_u32 s0, s0, s7
	s_addc_u32 s1, s1, 0
	v_cmp_eq_u32_e64 s[22:23], 0, v0
	s_and_saveexec_b64 s[8:9], s[22:23]
	s_cbranch_execz .LBB285_4
; %bb.1:
	s_mov_b64 s[12:13], exec
	v_mbcnt_lo_u32_b32 v3, s12, 0
	v_mbcnt_hi_u32_b32 v3, s13, v3
	v_cmp_eq_u32_e32 vcc, 0, v3
                                        ; implicit-def: $vgpr4
	s_and_saveexec_b64 s[10:11], vcc
	s_cbranch_execz .LBB285_3
; %bb.2:
	s_load_dwordx2 s[14:15], s[4:5], 0x50
	s_bcnt1_i32_b64 s7, s[12:13]
	v_mov_b32_e32 v4, 0
	v_mov_b32_e32 v5, s7
	s_waitcnt lgkmcnt(0)
	global_atomic_add v4, v4, v5, s[14:15] glc
.LBB285_3:
	s_or_b64 exec, exec, s[10:11]
	s_waitcnt vmcnt(0)
	v_readfirstlane_b32 s7, v4
	v_add_u32_e32 v3, s7, v3
	v_mov_b32_e32 v4, 0
	ds_write_b32 v4, v3 offset:10272
.LBB285_4:
	s_or_b64 exec, exec, s[8:9]
	v_mov_b32_e32 v3, 0
	s_load_dwordx8 s[36:43], s[4:5], 0x0
	s_load_dword s7, s[4:5], 0x20
	s_waitcnt lgkmcnt(0)
	s_barrier
	ds_read_b32 v3, v3 offset:10272
	s_mov_b64 s[8:9], -1
	v_mbcnt_lo_u32_b32 v17, -1, 0
	s_waitcnt lgkmcnt(0)
	s_barrier
	v_readfirstlane_b32 s33, v3
	v_cmp_le_u32_e32 vcc, s46, v3
	s_mul_i32 s26, s33, 0xc00
	s_cbranch_vccz .LBB285_82
; %bb.5:
	s_mul_i32 s8, s46, 0xfffff400
	s_add_i32 s7, s8, s7
	s_add_u32 s8, s36, s26
	v_mbcnt_hi_u32_b32 v13, -1, v17
	s_addc_u32 s9, s37, 0
	v_and_b32_e32 v10, 63, v13
	v_and_b32_e32 v16, 0x1c0, v0
	v_mov_b32_e32 v3, s9
	v_add_co_u32_e32 v4, vcc, s8, v10
	v_mul_u32_u24_e32 v9, 6, v16
	v_addc_co_u32_e32 v5, vcc, 0, v3, vcc
	v_add_co_u32_e32 v3, vcc, v4, v9
	v_addc_co_u32_e32 v4, vcc, 0, v5, vcc
	v_or_b32_e32 v6, v10, v9
	s_mov_b32 s27, 0
	v_cmp_gt_u32_e32 vcc, s7, v6
	v_mov_b32_e32 v5, 0xff
	v_mov_b32_e32 v7, 0xff
	v_mov_b32_e32 v8, 0xff
	s_and_saveexec_b64 s[8:9], vcc
	s_cbranch_execz .LBB285_7
; %bb.6:
	global_load_ubyte v8, v[3:4], off
	s_waitcnt vmcnt(0)
	v_and_b32_e32 v5, 0xff, v8
.LBB285_7:
	s_or_b64 exec, exec, s[8:9]
	v_or_b32_e32 v11, 64, v6
	v_cmp_gt_u32_e64 s[8:9], s7, v11
	v_mov_b32_e32 v18, 0xff
	s_and_saveexec_b64 s[10:11], s[8:9]
	s_cbranch_execz .LBB285_9
; %bb.8:
	global_load_ubyte v7, v[3:4], off offset:64
	s_waitcnt vmcnt(0)
	v_and_b32_e32 v18, 0xff, v7
.LBB285_9:
	s_or_b64 exec, exec, s[10:11]
	v_add_u32_e32 v11, 0x80, v6
	v_cmp_gt_u32_e64 s[10:11], s7, v11
	v_mov_b32_e32 v20, 0xff
	v_mov_b32_e32 v11, 0xff
	;; [unrolled: 1-line block ×3, first 2 shown]
	s_and_saveexec_b64 s[12:13], s[10:11]
	s_cbranch_execz .LBB285_11
; %bb.10:
	global_load_ubyte v12, v[3:4], off offset:128
	s_waitcnt vmcnt(0)
	v_and_b32_e32 v20, 0xff, v12
.LBB285_11:
	s_or_b64 exec, exec, s[12:13]
	v_add_u32_e32 v14, 0xc0, v6
	v_cmp_gt_u32_e64 s[12:13], s7, v14
	v_mov_b32_e32 v23, 0xff
	s_and_saveexec_b64 s[14:15], s[12:13]
	s_cbranch_execz .LBB285_13
; %bb.12:
	global_load_ubyte v11, v[3:4], off offset:192
	s_waitcnt vmcnt(0)
	v_and_b32_e32 v23, 0xff, v11
.LBB285_13:
	s_or_b64 exec, exec, s[14:15]
	v_add_u32_e32 v14, 0x100, v6
	v_cmp_gt_u32_e64 s[14:15], s7, v14
	v_mov_b32_e32 v26, 0xff
	v_mov_b32_e32 v14, 0xff
	;; [unrolled: 1-line block ×3, first 2 shown]
	s_and_saveexec_b64 s[16:17], s[14:15]
	s_cbranch_execz .LBB285_15
; %bb.14:
	global_load_ubyte v15, v[3:4], off offset:256
	s_waitcnt vmcnt(0)
	v_and_b32_e32 v26, 0xff, v15
.LBB285_15:
	s_or_b64 exec, exec, s[16:17]
	v_add_u32_e32 v6, 0x140, v6
	v_cmp_gt_u32_e64 s[16:17], s7, v6
	v_mov_b32_e32 v6, 0xff
	s_and_saveexec_b64 s[18:19], s[16:17]
	s_cbranch_execz .LBB285_17
; %bb.16:
	global_load_ubyte v14, v[3:4], off offset:320
	s_waitcnt vmcnt(0)
	v_and_b32_e32 v6, 0xff, v14
.LBB285_17:
	s_or_b64 exec, exec, s[18:19]
	s_load_dword s18, s[4:5], 0x64
	s_load_dword s52, s[4:5], 0x58
	s_add_u32 s19, s4, 0x58
	s_addc_u32 s20, s5, 0
	v_mov_b32_e32 v3, 0
	s_waitcnt lgkmcnt(0)
	s_lshr_b32 s21, s18, 16
	s_cmp_lt_u32 s6, s52
	s_cselect_b32 s18, 12, 18
	s_add_u32 s18, s19, s18
	s_addc_u32 s19, s20, 0
	global_load_ushort v19, v3, s[18:19]
	s_lshl_b32 s18, -1, s45
	v_lshrrev_b32_e32 v4, s44, v5
	s_not_b32 s53, s18
	v_and_b32_e32 v22, s53, v4
	v_and_b32_e32 v24, 1, v22
	v_add_co_u32_e64 v25, s[18:19], -1, v24
	v_lshlrev_b32_e32 v4, 30, v22
	v_addc_co_u32_e64 v28, s[18:19], 0, -1, s[18:19]
	v_mad_u32_u24 v5, v2, s21, v1
	v_cmp_ne_u32_e64 s[18:19], 0, v24
	v_cmp_gt_i64_e64 s[20:21], 0, v[3:4]
	v_not_b32_e32 v24, v4
	v_lshlrev_b32_e32 v4, 29, v22
	v_xor_b32_e32 v28, s19, v28
	v_xor_b32_e32 v25, s18, v25
	v_ashrrev_i32_e32 v24, 31, v24
	v_cmp_gt_i64_e64 s[18:19], 0, v[3:4]
	v_not_b32_e32 v29, v4
	v_lshlrev_b32_e32 v4, 28, v22
	v_and_b32_e32 v28, exec_hi, v28
	v_and_b32_e32 v25, exec_lo, v25
	v_xor_b32_e32 v30, s21, v24
	v_xor_b32_e32 v24, s20, v24
	v_ashrrev_i32_e32 v29, 31, v29
	v_cmp_gt_i64_e64 s[20:21], 0, v[3:4]
	v_not_b32_e32 v31, v4
	v_lshlrev_b32_e32 v4, 27, v22
	v_and_b32_e32 v28, v28, v30
	v_and_b32_e32 v24, v25, v24
	v_xor_b32_e32 v25, s19, v29
	v_xor_b32_e32 v29, s18, v29
	v_ashrrev_i32_e32 v30, 31, v31
	v_cmp_gt_i64_e64 s[18:19], 0, v[3:4]
	v_not_b32_e32 v31, v4
	v_lshlrev_b32_e32 v4, 26, v22
	v_and_b32_e32 v25, v28, v25
	v_and_b32_e32 v24, v24, v29
	;; [unrolled: 8-line block ×3, first 2 shown]
	v_xor_b32_e32 v28, s19, v30
	v_xor_b32_e32 v29, s18, v30
	v_ashrrev_i32_e32 v30, 31, v31
	v_cmp_gt_i64_e64 s[18:19], 0, v[3:4]
	v_not_b32_e32 v31, v4
	v_mul_u32_u24_e32 v27, 36, v22
	v_lshlrev_b32_e32 v4, 24, v22
	v_and_b32_e32 v22, v25, v28
	v_and_b32_e32 v24, v24, v29
	v_xor_b32_e32 v25, s21, v30
	v_xor_b32_e32 v28, s20, v30
	v_ashrrev_i32_e32 v29, 31, v31
	v_and_b32_e32 v22, v22, v25
	v_and_b32_e32 v24, v24, v28
	v_xor_b32_e32 v25, s19, v29
	v_xor_b32_e32 v28, s18, v29
	v_and_b32_e32 v22, v22, v25
	v_and_b32_e32 v28, v24, v28
	v_cmp_gt_i64_e64 s[20:21], 0, v[3:4]
	v_not_b32_e32 v4, v4
	v_ashrrev_i32_e32 v4, 31, v4
	v_xor_b32_e32 v29, s21, v4
	v_xor_b32_e32 v4, s20, v4
	v_and_b32_e32 v4, v28, v4
	v_mul_u32_u24_e32 v21, 20, v0
	ds_write2_b32 v21, v3, v3 offset0:8 offset1:9
	ds_write2_b32 v21, v3, v3 offset0:10 offset1:11
	ds_write_b32 v21, v3 offset:48
	s_waitcnt vmcnt(0) lgkmcnt(0)
	s_barrier
	; wave barrier
	v_mad_u64_u32 v[24:25], s[18:19], v5, v19, v[0:1]
	v_and_b32_e32 v5, v22, v29
	v_cmp_ne_u64_e64 s[18:19], 0, v[4:5]
	v_lshrrev_b32_e32 v19, 4, v24
	v_and_b32_e32 v31, 0xffffffc, v19
	v_mbcnt_lo_u32_b32 v19, v4, 0
	v_mbcnt_hi_u32_b32 v24, v5, v19
	v_cmp_eq_u32_e64 s[20:21], 0, v24
	s_and_b64 s[20:21], s[18:19], s[20:21]
	v_add_u32_e32 v27, v31, v27
	s_and_saveexec_b64 s[18:19], s[20:21]
; %bb.18:
	v_bcnt_u32_b32 v4, v4, 0
	v_bcnt_u32_b32 v4, v5, v4
	ds_write_b32 v27, v4 offset:32
; %bb.19:
	s_or_b64 exec, exec, s[18:19]
	v_lshrrev_b32_e32 v4, s44, v18
	v_and_b32_e32 v5, s53, v4
	v_mad_u32_u24 v4, v5, 36, v31
	; wave barrier
	ds_read_b32 v18, v4 offset:32
	v_and_b32_e32 v4, 1, v5
	v_add_co_u32_e64 v19, s[18:19], -1, v4
	v_addc_co_u32_e64 v25, s[18:19], 0, -1, s[18:19]
	v_cmp_ne_u32_e64 s[18:19], 0, v4
	v_xor_b32_e32 v4, s19, v25
	v_and_b32_e32 v25, exec_hi, v4
	v_lshlrev_b32_e32 v4, 30, v5
	v_xor_b32_e32 v19, s18, v19
	v_cmp_gt_i64_e64 s[18:19], 0, v[3:4]
	v_not_b32_e32 v4, v4
	v_ashrrev_i32_e32 v4, 31, v4
	v_and_b32_e32 v19, exec_lo, v19
	v_xor_b32_e32 v28, s19, v4
	v_xor_b32_e32 v4, s18, v4
	v_and_b32_e32 v19, v19, v4
	v_lshlrev_b32_e32 v4, 29, v5
	v_cmp_gt_i64_e64 s[18:19], 0, v[3:4]
	v_not_b32_e32 v4, v4
	v_ashrrev_i32_e32 v4, 31, v4
	v_and_b32_e32 v25, v25, v28
	v_xor_b32_e32 v28, s19, v4
	v_xor_b32_e32 v4, s18, v4
	v_and_b32_e32 v19, v19, v4
	v_lshlrev_b32_e32 v4, 28, v5
	v_cmp_gt_i64_e64 s[18:19], 0, v[3:4]
	v_not_b32_e32 v4, v4
	v_ashrrev_i32_e32 v4, 31, v4
	v_and_b32_e32 v25, v25, v28
	;; [unrolled: 8-line block ×5, first 2 shown]
	v_xor_b32_e32 v28, s19, v4
	v_xor_b32_e32 v4, s18, v4
	v_and_b32_e32 v19, v19, v4
	v_lshlrev_b32_e32 v4, 24, v5
	v_cmp_gt_i64_e64 s[18:19], 0, v[3:4]
	v_not_b32_e32 v3, v4
	v_ashrrev_i32_e32 v3, 31, v3
	v_xor_b32_e32 v4, s19, v3
	v_xor_b32_e32 v3, s18, v3
	v_and_b32_e32 v25, v25, v28
	v_and_b32_e32 v3, v19, v3
	v_mul_u32_u24_e32 v22, 36, v5
	v_and_b32_e32 v4, v25, v4
	v_mbcnt_lo_u32_b32 v5, v3, 0
	v_mbcnt_hi_u32_b32 v19, v4, v5
	v_cmp_ne_u64_e64 s[18:19], 0, v[3:4]
	v_cmp_eq_u32_e64 s[20:21], 0, v19
	s_and_b64 s[20:21], s[18:19], s[20:21]
	v_add_u32_e32 v30, v31, v22
	; wave barrier
	s_and_saveexec_b64 s[18:19], s[20:21]
	s_cbranch_execz .LBB285_21
; %bb.20:
	v_bcnt_u32_b32 v3, v3, 0
	v_bcnt_u32_b32 v3, v4, v3
	s_waitcnt lgkmcnt(0)
	v_add_u32_e32 v3, v18, v3
	ds_write_b32 v30, v3 offset:32
.LBB285_21:
	s_or_b64 exec, exec, s[18:19]
	v_lshrrev_b32_e32 v3, s44, v20
	v_and_b32_e32 v5, s53, v3
	v_and_b32_e32 v4, 1, v5
	v_add_co_u32_e64 v22, s[18:19], -1, v4
	v_addc_co_u32_e64 v28, s[18:19], 0, -1, s[18:19]
	v_cmp_ne_u32_e64 s[18:19], 0, v4
	v_mad_u32_u24 v3, v5, 36, v31
	v_xor_b32_e32 v4, s19, v28
	; wave barrier
	ds_read_b32 v20, v3 offset:32
	v_mov_b32_e32 v3, 0
	v_and_b32_e32 v28, exec_hi, v4
	v_lshlrev_b32_e32 v4, 30, v5
	v_xor_b32_e32 v22, s18, v22
	v_cmp_gt_i64_e64 s[18:19], 0, v[3:4]
	v_not_b32_e32 v4, v4
	v_ashrrev_i32_e32 v4, 31, v4
	v_and_b32_e32 v22, exec_lo, v22
	v_xor_b32_e32 v29, s19, v4
	v_xor_b32_e32 v4, s18, v4
	v_and_b32_e32 v22, v22, v4
	v_lshlrev_b32_e32 v4, 29, v5
	v_cmp_gt_i64_e64 s[18:19], 0, v[3:4]
	v_not_b32_e32 v4, v4
	v_ashrrev_i32_e32 v4, 31, v4
	v_and_b32_e32 v28, v28, v29
	v_xor_b32_e32 v29, s19, v4
	v_xor_b32_e32 v4, s18, v4
	v_and_b32_e32 v22, v22, v4
	v_lshlrev_b32_e32 v4, 28, v5
	v_cmp_gt_i64_e64 s[18:19], 0, v[3:4]
	v_not_b32_e32 v4, v4
	v_ashrrev_i32_e32 v4, 31, v4
	v_and_b32_e32 v28, v28, v29
	v_xor_b32_e32 v29, s19, v4
	v_xor_b32_e32 v4, s18, v4
	v_and_b32_e32 v22, v22, v4
	v_lshlrev_b32_e32 v4, 27, v5
	v_cmp_gt_i64_e64 s[18:19], 0, v[3:4]
	v_not_b32_e32 v4, v4
	v_ashrrev_i32_e32 v4, 31, v4
	v_and_b32_e32 v28, v28, v29
	v_xor_b32_e32 v29, s19, v4
	v_xor_b32_e32 v4, s18, v4
	v_and_b32_e32 v22, v22, v4
	v_lshlrev_b32_e32 v4, 26, v5
	v_cmp_gt_i64_e64 s[18:19], 0, v[3:4]
	v_not_b32_e32 v4, v4
	v_ashrrev_i32_e32 v4, 31, v4
	v_and_b32_e32 v28, v28, v29
	v_xor_b32_e32 v29, s19, v4
	v_xor_b32_e32 v4, s18, v4
	v_and_b32_e32 v22, v22, v4
	v_lshlrev_b32_e32 v4, 25, v5
	v_cmp_gt_i64_e64 s[18:19], 0, v[3:4]
	v_not_b32_e32 v4, v4
	v_ashrrev_i32_e32 v4, 31, v4
	v_and_b32_e32 v28, v28, v29
	v_xor_b32_e32 v29, s19, v4
	v_xor_b32_e32 v4, s18, v4
	v_and_b32_e32 v22, v22, v4
	v_lshlrev_b32_e32 v4, 24, v5
	v_cmp_gt_i64_e64 s[18:19], 0, v[3:4]
	v_not_b32_e32 v4, v4
	v_ashrrev_i32_e32 v4, 31, v4
	v_mul_u32_u24_e32 v25, 36, v5
	v_xor_b32_e32 v5, s19, v4
	v_xor_b32_e32 v4, s18, v4
	v_and_b32_e32 v28, v28, v29
	v_and_b32_e32 v4, v22, v4
	;; [unrolled: 1-line block ×3, first 2 shown]
	v_mbcnt_lo_u32_b32 v22, v4, 0
	v_mbcnt_hi_u32_b32 v22, v5, v22
	v_cmp_ne_u64_e64 s[18:19], 0, v[4:5]
	v_cmp_eq_u32_e64 s[20:21], 0, v22
	s_and_b64 s[20:21], s[18:19], s[20:21]
	v_add_u32_e32 v33, v31, v25
	; wave barrier
	s_and_saveexec_b64 s[18:19], s[20:21]
	s_cbranch_execz .LBB285_23
; %bb.22:
	v_bcnt_u32_b32 v4, v4, 0
	v_bcnt_u32_b32 v4, v5, v4
	s_waitcnt lgkmcnt(0)
	v_add_u32_e32 v4, v20, v4
	ds_write_b32 v33, v4 offset:32
.LBB285_23:
	s_or_b64 exec, exec, s[18:19]
	v_lshrrev_b32_e32 v4, s44, v23
	v_and_b32_e32 v5, s53, v4
	v_mad_u32_u24 v4, v5, 36, v31
	; wave barrier
	ds_read_b32 v23, v4 offset:32
	v_and_b32_e32 v4, 1, v5
	v_add_co_u32_e64 v25, s[18:19], -1, v4
	v_addc_co_u32_e64 v29, s[18:19], 0, -1, s[18:19]
	v_cmp_ne_u32_e64 s[18:19], 0, v4
	v_xor_b32_e32 v4, s19, v29
	v_and_b32_e32 v29, exec_hi, v4
	v_lshlrev_b32_e32 v4, 30, v5
	v_xor_b32_e32 v25, s18, v25
	v_cmp_gt_i64_e64 s[18:19], 0, v[3:4]
	v_not_b32_e32 v4, v4
	v_ashrrev_i32_e32 v4, 31, v4
	v_and_b32_e32 v25, exec_lo, v25
	v_xor_b32_e32 v32, s19, v4
	v_xor_b32_e32 v4, s18, v4
	v_and_b32_e32 v25, v25, v4
	v_lshlrev_b32_e32 v4, 29, v5
	v_cmp_gt_i64_e64 s[18:19], 0, v[3:4]
	v_not_b32_e32 v4, v4
	v_ashrrev_i32_e32 v4, 31, v4
	v_and_b32_e32 v29, v29, v32
	v_xor_b32_e32 v32, s19, v4
	v_xor_b32_e32 v4, s18, v4
	v_and_b32_e32 v25, v25, v4
	v_lshlrev_b32_e32 v4, 28, v5
	v_cmp_gt_i64_e64 s[18:19], 0, v[3:4]
	v_not_b32_e32 v4, v4
	v_ashrrev_i32_e32 v4, 31, v4
	v_and_b32_e32 v29, v29, v32
	;; [unrolled: 8-line block ×5, first 2 shown]
	v_xor_b32_e32 v32, s19, v4
	v_xor_b32_e32 v4, s18, v4
	v_and_b32_e32 v25, v25, v4
	v_lshlrev_b32_e32 v4, 24, v5
	v_cmp_gt_i64_e64 s[18:19], 0, v[3:4]
	v_not_b32_e32 v3, v4
	v_ashrrev_i32_e32 v3, 31, v3
	v_xor_b32_e32 v4, s19, v3
	v_xor_b32_e32 v3, s18, v3
	v_and_b32_e32 v29, v29, v32
	v_and_b32_e32 v3, v25, v3
	v_mul_u32_u24_e32 v28, 36, v5
	v_and_b32_e32 v4, v29, v4
	v_mbcnt_lo_u32_b32 v5, v3, 0
	v_mbcnt_hi_u32_b32 v25, v4, v5
	v_cmp_ne_u64_e64 s[18:19], 0, v[3:4]
	v_cmp_eq_u32_e64 s[20:21], 0, v25
	s_and_b64 s[20:21], s[18:19], s[20:21]
	v_add_u32_e32 v34, v31, v28
	; wave barrier
	s_and_saveexec_b64 s[18:19], s[20:21]
	s_cbranch_execz .LBB285_25
; %bb.24:
	v_bcnt_u32_b32 v3, v3, 0
	v_bcnt_u32_b32 v3, v4, v3
	s_waitcnt lgkmcnt(0)
	v_add_u32_e32 v3, v23, v3
	ds_write_b32 v34, v3 offset:32
.LBB285_25:
	s_or_b64 exec, exec, s[18:19]
	v_lshrrev_b32_e32 v3, s44, v26
	v_and_b32_e32 v5, s53, v3
	v_and_b32_e32 v4, 1, v5
	v_add_co_u32_e64 v28, s[18:19], -1, v4
	v_addc_co_u32_e64 v32, s[18:19], 0, -1, s[18:19]
	v_cmp_ne_u32_e64 s[18:19], 0, v4
	v_mad_u32_u24 v3, v5, 36, v31
	v_xor_b32_e32 v4, s19, v32
	; wave barrier
	ds_read_b32 v26, v3 offset:32
	v_mov_b32_e32 v3, 0
	v_and_b32_e32 v32, exec_hi, v4
	v_lshlrev_b32_e32 v4, 30, v5
	v_xor_b32_e32 v28, s18, v28
	v_cmp_gt_i64_e64 s[18:19], 0, v[3:4]
	v_not_b32_e32 v4, v4
	v_ashrrev_i32_e32 v4, 31, v4
	v_and_b32_e32 v28, exec_lo, v28
	v_xor_b32_e32 v35, s19, v4
	v_xor_b32_e32 v4, s18, v4
	v_and_b32_e32 v28, v28, v4
	v_lshlrev_b32_e32 v4, 29, v5
	v_cmp_gt_i64_e64 s[18:19], 0, v[3:4]
	v_not_b32_e32 v4, v4
	v_ashrrev_i32_e32 v4, 31, v4
	v_and_b32_e32 v32, v32, v35
	v_xor_b32_e32 v35, s19, v4
	v_xor_b32_e32 v4, s18, v4
	v_and_b32_e32 v28, v28, v4
	v_lshlrev_b32_e32 v4, 28, v5
	v_cmp_gt_i64_e64 s[18:19], 0, v[3:4]
	v_not_b32_e32 v4, v4
	v_ashrrev_i32_e32 v4, 31, v4
	v_and_b32_e32 v32, v32, v35
	;; [unrolled: 8-line block ×5, first 2 shown]
	v_xor_b32_e32 v35, s19, v4
	v_xor_b32_e32 v4, s18, v4
	v_and_b32_e32 v28, v28, v4
	v_lshlrev_b32_e32 v4, 24, v5
	v_cmp_gt_i64_e64 s[18:19], 0, v[3:4]
	v_not_b32_e32 v4, v4
	v_ashrrev_i32_e32 v4, 31, v4
	v_mul_u32_u24_e32 v29, 36, v5
	v_xor_b32_e32 v5, s19, v4
	v_xor_b32_e32 v4, s18, v4
	v_and_b32_e32 v32, v32, v35
	v_and_b32_e32 v4, v28, v4
	;; [unrolled: 1-line block ×3, first 2 shown]
	v_mbcnt_lo_u32_b32 v28, v4, 0
	v_mbcnt_hi_u32_b32 v28, v5, v28
	v_cmp_ne_u64_e64 s[18:19], 0, v[4:5]
	v_cmp_eq_u32_e64 s[20:21], 0, v28
	s_and_b64 s[20:21], s[18:19], s[20:21]
	v_add_u32_e32 v35, v31, v29
	; wave barrier
	s_and_saveexec_b64 s[18:19], s[20:21]
	s_cbranch_execz .LBB285_27
; %bb.26:
	v_bcnt_u32_b32 v4, v4, 0
	v_bcnt_u32_b32 v4, v5, v4
	s_waitcnt lgkmcnt(0)
	v_add_u32_e32 v4, v26, v4
	ds_write_b32 v35, v4 offset:32
.LBB285_27:
	s_or_b64 exec, exec, s[18:19]
	v_lshrrev_b32_e32 v4, s44, v6
	v_and_b32_e32 v5, s53, v4
	v_mad_u32_u24 v4, v5, 36, v31
	; wave barrier
	ds_read_b32 v29, v4 offset:32
	v_and_b32_e32 v4, 1, v5
	v_add_co_u32_e64 v32, s[18:19], -1, v4
	v_addc_co_u32_e64 v36, s[18:19], 0, -1, s[18:19]
	v_cmp_ne_u32_e64 s[18:19], 0, v4
	v_xor_b32_e32 v4, s19, v36
	v_and_b32_e32 v36, exec_hi, v4
	v_lshlrev_b32_e32 v4, 30, v5
	v_xor_b32_e32 v32, s18, v32
	v_cmp_gt_i64_e64 s[18:19], 0, v[3:4]
	v_not_b32_e32 v4, v4
	v_ashrrev_i32_e32 v4, 31, v4
	v_and_b32_e32 v32, exec_lo, v32
	v_xor_b32_e32 v37, s19, v4
	v_xor_b32_e32 v4, s18, v4
	v_and_b32_e32 v32, v32, v4
	v_lshlrev_b32_e32 v4, 29, v5
	v_cmp_gt_i64_e64 s[18:19], 0, v[3:4]
	v_not_b32_e32 v4, v4
	v_ashrrev_i32_e32 v4, 31, v4
	v_and_b32_e32 v36, v36, v37
	v_xor_b32_e32 v37, s19, v4
	v_xor_b32_e32 v4, s18, v4
	v_and_b32_e32 v32, v32, v4
	v_lshlrev_b32_e32 v4, 28, v5
	v_cmp_gt_i64_e64 s[18:19], 0, v[3:4]
	v_not_b32_e32 v4, v4
	v_ashrrev_i32_e32 v4, 31, v4
	v_and_b32_e32 v36, v36, v37
	;; [unrolled: 8-line block ×5, first 2 shown]
	v_xor_b32_e32 v37, s19, v4
	v_xor_b32_e32 v4, s18, v4
	v_and_b32_e32 v32, v32, v4
	v_lshlrev_b32_e32 v4, 24, v5
	v_cmp_gt_i64_e64 s[18:19], 0, v[3:4]
	v_not_b32_e32 v3, v4
	v_ashrrev_i32_e32 v3, 31, v3
	v_xor_b32_e32 v4, s19, v3
	v_xor_b32_e32 v3, s18, v3
	v_and_b32_e32 v36, v36, v37
	v_and_b32_e32 v3, v32, v3
	v_mul_u32_u24_e32 v6, 36, v5
	v_and_b32_e32 v4, v36, v4
	v_mbcnt_lo_u32_b32 v5, v3, 0
	v_mbcnt_hi_u32_b32 v32, v4, v5
	v_cmp_ne_u64_e64 s[18:19], 0, v[3:4]
	v_cmp_eq_u32_e64 s[20:21], 0, v32
	s_and_b64 s[20:21], s[18:19], s[20:21]
	v_add_u32_e32 v36, v31, v6
	; wave barrier
	s_and_saveexec_b64 s[18:19], s[20:21]
	s_cbranch_execz .LBB285_29
; %bb.28:
	v_bcnt_u32_b32 v3, v3, 0
	v_bcnt_u32_b32 v3, v4, v3
	s_waitcnt lgkmcnt(0)
	v_add_u32_e32 v3, v29, v3
	ds_write_b32 v36, v3 offset:32
.LBB285_29:
	s_or_b64 exec, exec, s[18:19]
	; wave barrier
	s_waitcnt lgkmcnt(0)
	s_barrier
	ds_read2_b32 v[5:6], v21 offset0:8 offset1:9
	ds_read2_b32 v[3:4], v21 offset0:10 offset1:11
	ds_read_b32 v31, v21 offset:48
	v_min_u32_e32 v16, 0x1c0, v16
	v_or_b32_e32 v16, 63, v16
	s_waitcnt lgkmcnt(1)
	v_add3_u32 v37, v6, v5, v3
	s_waitcnt lgkmcnt(0)
	v_add3_u32 v31, v37, v4, v31
	v_and_b32_e32 v37, 15, v13
	v_cmp_ne_u32_e64 s[18:19], 0, v37
	v_mov_b32_dpp v38, v31 row_shr:1 row_mask:0xf bank_mask:0xf
	v_cndmask_b32_e64 v38, 0, v38, s[18:19]
	v_add_u32_e32 v31, v38, v31
	v_cmp_lt_u32_e64 s[18:19], 1, v37
	s_nop 0
	v_mov_b32_dpp v38, v31 row_shr:2 row_mask:0xf bank_mask:0xf
	v_cndmask_b32_e64 v38, 0, v38, s[18:19]
	v_add_u32_e32 v31, v31, v38
	v_cmp_lt_u32_e64 s[18:19], 3, v37
	s_nop 0
	;; [unrolled: 5-line block ×3, first 2 shown]
	v_mov_b32_dpp v38, v31 row_shr:8 row_mask:0xf bank_mask:0xf
	v_cndmask_b32_e64 v37, 0, v38, s[18:19]
	v_add_u32_e32 v31, v31, v37
	v_bfe_i32 v38, v13, 4, 1
	v_cmp_lt_u32_e64 s[18:19], 31, v13
	v_mov_b32_dpp v37, v31 row_bcast:15 row_mask:0xf bank_mask:0xf
	v_and_b32_e32 v37, v38, v37
	v_add_u32_e32 v31, v31, v37
	s_nop 1
	v_mov_b32_dpp v37, v31 row_bcast:31 row_mask:0xf bank_mask:0xf
	v_cndmask_b32_e64 v37, 0, v37, s[18:19]
	v_add_u32_e32 v31, v31, v37
	v_lshrrev_b32_e32 v37, 6, v0
	v_cmp_eq_u32_e64 s[18:19], v0, v16
	s_and_saveexec_b64 s[20:21], s[18:19]
; %bb.30:
	v_lshlrev_b32_e32 v16, 2, v37
	ds_write_b32 v16, v31
; %bb.31:
	s_or_b64 exec, exec, s[20:21]
	v_cmp_gt_u32_e64 s[18:19], 8, v0
	s_waitcnt lgkmcnt(0)
	s_barrier
	s_and_saveexec_b64 s[24:25], s[18:19]
	s_cbranch_execz .LBB285_33
; %bb.32:
	v_lshlrev_b32_e32 v16, 2, v0
	ds_read_b32 v38, v16
	v_and_b32_e32 v39, 7, v13
	v_cmp_ne_u32_e64 s[18:19], 0, v39
	v_cmp_lt_u32_e64 s[20:21], 1, v39
	s_waitcnt lgkmcnt(0)
	v_mov_b32_dpp v40, v38 row_shr:1 row_mask:0xf bank_mask:0xf
	v_cndmask_b32_e64 v40, 0, v40, s[18:19]
	v_add_u32_e32 v38, v40, v38
	v_cmp_lt_u32_e64 s[18:19], 3, v39
	s_nop 0
	v_mov_b32_dpp v40, v38 row_shr:2 row_mask:0xf bank_mask:0xf
	v_cndmask_b32_e64 v40, 0, v40, s[20:21]
	v_add_u32_e32 v38, v38, v40
	s_nop 1
	v_mov_b32_dpp v40, v38 row_shr:4 row_mask:0xf bank_mask:0xf
	v_cndmask_b32_e64 v39, 0, v40, s[18:19]
	v_add_u32_e32 v38, v38, v39
	ds_write_b32 v16, v38
.LBB285_33:
	s_or_b64 exec, exec, s[24:25]
	v_cmp_lt_u32_e64 s[18:19], 63, v0
	v_mov_b32_e32 v16, 0
	s_waitcnt lgkmcnt(0)
	s_barrier
	s_and_saveexec_b64 s[20:21], s[18:19]
; %bb.34:
	v_lshl_add_u32 v16, v37, 2, -4
	ds_read_b32 v16, v16
; %bb.35:
	s_or_b64 exec, exec, s[20:21]
	v_subrev_co_u32_e64 v37, s[18:19], 1, v13
	v_and_b32_e32 v38, 64, v13
	v_cmp_lt_i32_e64 s[20:21], v37, v38
	v_cndmask_b32_e64 v13, v37, v13, s[20:21]
	s_waitcnt lgkmcnt(0)
	v_add_u32_e32 v31, v16, v31
	v_lshlrev_b32_e32 v13, 2, v13
	ds_bpermute_b32 v13, v13, v31
	s_movk_i32 s24, 0x100
	v_cmp_gt_u32_e64 s[20:21], s24, v0
	s_waitcnt lgkmcnt(0)
	v_cndmask_b32_e64 v13, v13, v16, s[18:19]
	v_cndmask_b32_e64 v13, v13, 0, s[22:23]
	v_add_u32_e32 v5, v13, v5
	v_add_u32_e32 v6, v5, v6
	;; [unrolled: 1-line block ×4, first 2 shown]
	ds_write2_b32 v21, v13, v5 offset0:8 offset1:9
	ds_write2_b32 v21, v6, v3 offset0:10 offset1:11
	ds_write_b32 v21, v4 offset:48
	s_waitcnt lgkmcnt(0)
	s_barrier
	ds_read_b32 v3, v27 offset:32
	ds_read_b32 v31, v30 offset:32
	;; [unrolled: 1-line block ×6, first 2 shown]
	s_movk_i32 s18, 0xff
	v_cmp_lt_u32_e64 s[18:19], s18, v0
                                        ; implicit-def: $vgpr21
                                        ; implicit-def: $vgpr27
	s_and_saveexec_b64 s[46:47], s[20:21]
	s_cbranch_execz .LBB285_39
; %bb.36:
	v_mul_u32_u24_e32 v4, 36, v0
	ds_read_b32 v21, v4 offset:32
	v_add_u32_e32 v5, 1, v0
	v_cmp_ne_u32_e64 s[24:25], s24, v5
	v_mov_b32_e32 v4, 0xc00
	s_and_saveexec_b64 s[48:49], s[24:25]
; %bb.37:
	v_mul_u32_u24_e32 v4, 36, v5
	ds_read_b32 v4, v4 offset:32
; %bb.38:
	s_or_b64 exec, exec, s[48:49]
	s_waitcnt lgkmcnt(0)
	v_sub_u32_e32 v27, v4, v21
.LBB285_39:
	s_or_b64 exec, exec, s[46:47]
	s_waitcnt lgkmcnt(5)
	v_add_u32_e32 v24, v3, v24
	s_waitcnt lgkmcnt(3)
	v_add3_u32 v4, v22, v20, v33
	v_add3_u32 v3, v19, v18, v31
	s_waitcnt lgkmcnt(2)
	v_add3_u32 v5, v25, v23, v34
	s_waitcnt lgkmcnt(1)
	;; [unrolled: 2-line block ×3, first 2 shown]
	v_add3_u32 v13, v32, v29, v36
	s_barrier
	ds_write_b8 v24, v8 offset:1024
	ds_write_b8 v3, v7 offset:1024
	;; [unrolled: 1-line block ×6, first 2 shown]
	v_mov_b32_e32 v4, 0
	v_lshlrev_b32_e32 v30, 2, v0
	s_and_saveexec_b64 s[24:25], s[20:21]
	s_cbranch_execz .LBB285_49
; %bb.40:
	v_lshl_add_u32 v3, s33, 8, v0
	v_lshlrev_b64 v[5:6], 2, v[3:4]
	v_mov_b32_e32 v11, s35
	v_add_co_u32_e64 v5, s[20:21], s34, v5
	v_addc_co_u32_e64 v6, s[20:21], v11, v6, s[20:21]
	v_or_b32_e32 v3, 2.0, v27
	s_mov_b64 s[46:47], 0
	s_brev_b32 s54, -4
	s_mov_b32 s55, s33
	v_mov_b32_e32 v12, 0
	global_store_dword v[5:6], v3, off
                                        ; implicit-def: $sgpr20_sgpr21
	s_branch .LBB285_43
.LBB285_41:                             ;   in Loop: Header=BB285_43 Depth=1
	s_or_b64 exec, exec, s[50:51]
.LBB285_42:                             ;   in Loop: Header=BB285_43 Depth=1
	s_or_b64 exec, exec, s[48:49]
	v_and_b32_e32 v7, 0x3fffffff, v3
	v_add_u32_e32 v12, v7, v12
	v_cmp_gt_i32_e64 s[20:21], -2.0, v3
	s_and_b64 s[48:49], exec, s[20:21]
	s_or_b64 s[46:47], s[48:49], s[46:47]
	s_andn2_b64 exec, exec, s[46:47]
	s_cbranch_execz .LBB285_48
.LBB285_43:                             ; =>This Loop Header: Depth=1
                                        ;     Child Loop BB285_46 Depth 2
	s_or_b64 s[20:21], s[20:21], exec
	s_cmp_eq_u32 s55, 0
	s_cbranch_scc1 .LBB285_47
; %bb.44:                               ;   in Loop: Header=BB285_43 Depth=1
	s_add_i32 s55, s55, -1
	v_lshl_or_b32 v3, s55, 8, v0
	v_lshlrev_b64 v[7:8], 2, v[3:4]
	v_add_co_u32_e64 v7, s[20:21], s34, v7
	v_addc_co_u32_e64 v8, s[20:21], v11, v8, s[20:21]
	global_load_dword v3, v[7:8], off glc
	s_waitcnt vmcnt(0)
	v_cmp_gt_u32_e64 s[20:21], 2.0, v3
	s_and_saveexec_b64 s[48:49], s[20:21]
	s_cbranch_execz .LBB285_42
; %bb.45:                               ;   in Loop: Header=BB285_43 Depth=1
	s_mov_b64 s[50:51], 0
.LBB285_46:                             ;   Parent Loop BB285_43 Depth=1
                                        ; =>  This Inner Loop Header: Depth=2
	global_load_dword v3, v[7:8], off glc
	s_waitcnt vmcnt(0)
	v_cmp_lt_u32_e64 s[20:21], s54, v3
	s_or_b64 s[50:51], s[20:21], s[50:51]
	s_andn2_b64 exec, exec, s[50:51]
	s_cbranch_execnz .LBB285_46
	s_branch .LBB285_41
.LBB285_47:                             ;   in Loop: Header=BB285_43 Depth=1
                                        ; implicit-def: $sgpr55
	s_and_b64 s[48:49], exec, s[20:21]
	s_or_b64 s[46:47], s[48:49], s[46:47]
	s_andn2_b64 exec, exec, s[46:47]
	s_cbranch_execnz .LBB285_43
.LBB285_48:
	s_or_b64 exec, exec, s[46:47]
	v_add_u32_e32 v3, v12, v27
	v_or_b32_e32 v3, 0x80000000, v3
	global_store_dword v[5:6], v3, off
	global_load_dword v3, v30, s[28:29]
	v_sub_u32_e32 v4, v12, v21
	s_waitcnt vmcnt(0)
	v_add_u32_e32 v3, v4, v3
	ds_write_b32 v30, v3
.LBB285_49:
	s_or_b64 exec, exec, s[24:25]
	v_cmp_gt_u32_e64 s[20:21], s7, v0
	s_waitcnt lgkmcnt(0)
	s_barrier
	s_and_saveexec_b64 s[24:25], s[20:21]
	s_cbranch_execz .LBB285_51
; %bb.50:
	ds_read_u8 v3, v0 offset:1024
	s_waitcnt lgkmcnt(0)
	v_lshrrev_b32_sdwa v4, s44, v3 dst_sel:DWORD dst_unused:UNUSED_PAD src0_sel:DWORD src1_sel:BYTE_0
	v_and_b32_e32 v4, s53, v4
	v_lshlrev_b32_e32 v5, 2, v4
	ds_read_b32 v5, v5
	buffer_store_dword v4, off, s[0:3], 0
	s_waitcnt lgkmcnt(0)
	v_add_u32_e32 v5, v5, v0
	global_store_byte v5, v3, s[38:39]
.LBB285_51:
	s_or_b64 exec, exec, s[24:25]
	v_or_b32_e32 v3, 0x200, v0
	v_cmp_gt_u32_e64 s[20:21], s7, v3
	s_and_saveexec_b64 s[24:25], s[20:21]
	s_cbranch_execz .LBB285_53
; %bb.52:
	ds_read_u8 v4, v0 offset:1536
	s_waitcnt lgkmcnt(0)
	v_lshrrev_b32_sdwa v5, s44, v4 dst_sel:DWORD dst_unused:UNUSED_PAD src0_sel:DWORD src1_sel:BYTE_0
	v_and_b32_e32 v5, s53, v5
	v_lshlrev_b32_e32 v6, 2, v5
	ds_read_b32 v6, v6
	buffer_store_dword v5, off, s[0:3], 0 offset:4
	s_waitcnt lgkmcnt(0)
	v_add_u32_e32 v3, v6, v3
	global_store_byte v3, v4, s[38:39]
.LBB285_53:
	s_or_b64 exec, exec, s[24:25]
	v_or_b32_e32 v3, 0x400, v0
	v_cmp_gt_u32_e64 s[20:21], s7, v3
	s_and_saveexec_b64 s[24:25], s[20:21]
	s_cbranch_execz .LBB285_55
; %bb.54:
	ds_read_u8 v4, v0 offset:2048
	s_waitcnt lgkmcnt(0)
	v_lshrrev_b32_sdwa v5, s44, v4 dst_sel:DWORD dst_unused:UNUSED_PAD src0_sel:DWORD src1_sel:BYTE_0
	v_and_b32_e32 v5, s53, v5
	v_lshlrev_b32_e32 v6, 2, v5
	ds_read_b32 v6, v6
	buffer_store_dword v5, off, s[0:3], 0 offset:8
	s_waitcnt lgkmcnt(0)
	v_add_u32_e32 v3, v6, v3
	global_store_byte v3, v4, s[38:39]
.LBB285_55:
	;; [unrolled: 17-line block ×5, first 2 shown]
	s_or_b64 exec, exec, s[24:25]
	s_lshl_b64 s[20:21], s[26:27], 3
	s_add_u32 s20, s40, s20
	s_addc_u32 s21, s41, s21
	v_lshlrev_b32_e32 v3, 3, v10
	v_mov_b32_e32 v4, s21
	v_add_co_u32_e64 v3, s[20:21], s20, v3
	v_addc_co_u32_e64 v4, s[20:21], 0, v4, s[20:21]
	v_lshlrev_b32_e32 v5, 3, v9
	v_add_co_u32_e64 v15, s[20:21], v3, v5
	v_addc_co_u32_e64 v16, s[20:21], 0, v4, s[20:21]
                                        ; implicit-def: $vgpr3_vgpr4
	s_and_saveexec_b64 s[20:21], vcc
	s_xor_b64 s[20:21], exec, s[20:21]
	s_cbranch_execz .LBB285_67
; %bb.62:
	global_load_dwordx2 v[3:4], v[15:16], off
	s_or_b64 exec, exec, s[20:21]
                                        ; implicit-def: $vgpr5_vgpr6
	s_and_saveexec_b64 s[20:21], s[8:9]
	s_cbranch_execnz .LBB285_68
.LBB285_63:
	s_or_b64 exec, exec, s[20:21]
                                        ; implicit-def: $vgpr7_vgpr8
	s_and_saveexec_b64 s[8:9], s[10:11]
	s_cbranch_execz .LBB285_69
.LBB285_64:
	global_load_dwordx2 v[7:8], v[15:16], off offset:1024
	s_or_b64 exec, exec, s[8:9]
                                        ; implicit-def: $vgpr9_vgpr10
	s_and_saveexec_b64 s[8:9], s[12:13]
	s_cbranch_execnz .LBB285_70
.LBB285_65:
	s_or_b64 exec, exec, s[8:9]
                                        ; implicit-def: $vgpr11_vgpr12
	s_and_saveexec_b64 s[8:9], s[14:15]
	s_cbranch_execz .LBB285_71
.LBB285_66:
	global_load_dwordx2 v[11:12], v[15:16], off offset:2048
	s_or_b64 exec, exec, s[8:9]
                                        ; implicit-def: $vgpr13_vgpr14
	s_and_saveexec_b64 s[8:9], s[16:17]
	s_cbranch_execnz .LBB285_72
	s_branch .LBB285_73
.LBB285_67:
	s_or_b64 exec, exec, s[20:21]
                                        ; implicit-def: $vgpr5_vgpr6
	s_and_saveexec_b64 s[20:21], s[8:9]
	s_cbranch_execz .LBB285_63
.LBB285_68:
	global_load_dwordx2 v[5:6], v[15:16], off offset:512
	s_or_b64 exec, exec, s[20:21]
                                        ; implicit-def: $vgpr7_vgpr8
	s_and_saveexec_b64 s[8:9], s[10:11]
	s_cbranch_execnz .LBB285_64
.LBB285_69:
	s_or_b64 exec, exec, s[8:9]
                                        ; implicit-def: $vgpr9_vgpr10
	s_and_saveexec_b64 s[8:9], s[12:13]
	s_cbranch_execz .LBB285_65
.LBB285_70:
	global_load_dwordx2 v[9:10], v[15:16], off offset:1536
	s_or_b64 exec, exec, s[8:9]
                                        ; implicit-def: $vgpr11_vgpr12
	s_and_saveexec_b64 s[8:9], s[14:15]
	s_cbranch_execnz .LBB285_66
.LBB285_71:
	s_or_b64 exec, exec, s[8:9]
                                        ; implicit-def: $vgpr13_vgpr14
	s_and_saveexec_b64 s[8:9], s[16:17]
	s_cbranch_execz .LBB285_73
.LBB285_72:
	global_load_dwordx2 v[13:14], v[15:16], off offset:2560
.LBB285_73:
	s_or_b64 exec, exec, s[8:9]
	v_lshlrev_b32_e32 v37, 3, v0
	v_add3_u32 v29, v32, v36, v29
	v_add3_u32 v26, v28, v35, v26
	;; [unrolled: 1-line block ×5, first 2 shown]
	s_mov_b32 s10, 0
	s_mov_b32 s11, 0
	v_mov_b32_e32 v16, 0
	s_movk_i32 s12, 0x200
	v_mov_b32_e32 v19, v0
	s_waitcnt vmcnt(0)
	s_barrier
	s_branch .LBB285_75
.LBB285_74:                             ;   in Loop: Header=BB285_75 Depth=1
	s_or_b64 exec, exec, s[8:9]
	s_addk_i32 s11, 0xfc00
	s_add_i32 s10, s10, 8
	s_cmpk_eq_i32 s11, 0xf400
	v_add_u32_e32 v19, 0x400, v19
	s_waitcnt vmcnt(0)
	s_barrier
	s_cbranch_scc1 .LBB285_79
.LBB285_75:                             ; =>This Inner Loop Header: Depth=1
	v_add_u32_e32 v15, s11, v24
	v_min_u32_e32 v15, 0x400, v15
	v_lshlrev_b32_e32 v15, 3, v15
	ds_write_b64 v15, v[3:4] offset:1024
	v_add_u32_e32 v15, s11, v18
	v_min_u32_e32 v15, 0x400, v15
	v_lshlrev_b32_e32 v15, 3, v15
	ds_write_b64 v15, v[5:6] offset:1024
	;; [unrolled: 4-line block ×5, first 2 shown]
	v_add_u32_e32 v15, s11, v29
	v_min_u32_e32 v15, 0x400, v15
	v_lshlrev_b32_e32 v15, 3, v15
	v_cmp_gt_u32_e32 vcc, s7, v19
	ds_write_b64 v15, v[13:14] offset:1024
	s_waitcnt lgkmcnt(0)
	s_barrier
	s_and_saveexec_b64 s[8:9], vcc
	s_cbranch_execz .LBB285_77
; %bb.76:                               ;   in Loop: Header=BB285_75 Depth=1
	v_mov_b32_e32 v15, s10
	buffer_load_dword v15, v15, s[0:3], 0 offen
	v_mov_b32_e32 v22, s43
	s_waitcnt vmcnt(0)
	v_lshlrev_b32_e32 v15, 2, v15
	ds_read_b32 v15, v15
	ds_read_b64 v[31:32], v37 offset:1024
	s_waitcnt lgkmcnt(1)
	v_add_u32_e32 v15, v19, v15
	v_lshlrev_b64 v[33:34], 3, v[15:16]
	v_add_co_u32_e32 v33, vcc, s42, v33
	v_addc_co_u32_e32 v34, vcc, v22, v34, vcc
	s_waitcnt lgkmcnt(0)
	global_store_dwordx2 v[33:34], v[31:32], off
.LBB285_77:                             ;   in Loop: Header=BB285_75 Depth=1
	s_or_b64 exec, exec, s[8:9]
	v_add_u32_e32 v15, 0x200, v19
	v_cmp_gt_u32_e32 vcc, s7, v15
	s_and_saveexec_b64 s[8:9], vcc
	s_cbranch_execz .LBB285_74
; %bb.78:                               ;   in Loop: Header=BB285_75 Depth=1
	v_mov_b32_e32 v15, s10
	buffer_load_dword v15, v15, s[0:3], 0 offen offset:4
	v_mov_b32_e32 v22, s43
	s_waitcnt vmcnt(0)
	v_lshlrev_b32_e32 v15, 2, v15
	ds_read_b32 v15, v15
	ds_read_b64 v[31:32], v37 offset:5120
	s_waitcnt lgkmcnt(1)
	v_add3_u32 v15, v19, v15, s12
	v_lshlrev_b64 v[33:34], 3, v[15:16]
	v_add_co_u32_e32 v33, vcc, s42, v33
	v_addc_co_u32_e32 v34, vcc, v22, v34, vcc
	s_waitcnt lgkmcnt(0)
	global_store_dwordx2 v[33:34], v[31:32], off
	s_branch .LBB285_74
.LBB285_79:
	s_add_i32 s52, s52, -1
	s_cmp_eq_u32 s33, s52
	s_cselect_b64 s[8:9], -1, 0
	s_xor_b64 s[10:11], s[18:19], -1
	s_and_b64 s[10:11], s[10:11], s[8:9]
	s_and_saveexec_b64 s[8:9], s[10:11]
	s_cbranch_execz .LBB285_81
; %bb.80:
	ds_read_b32 v3, v30
	s_waitcnt lgkmcnt(0)
	v_add3_u32 v3, v21, v27, v3
	global_store_dword v30, v3, s[30:31]
.LBB285_81:
	s_or_b64 exec, exec, s[8:9]
	s_mov_b64 s[8:9], 0
.LBB285_82:
	s_and_b64 vcc, exec, s[8:9]
	s_cbranch_vccz .LBB285_119
; %bb.83:
	s_add_u32 s7, s36, s26
	v_mbcnt_hi_u32_b32 v9, -1, v17
	s_addc_u32 s8, s37, 0
	v_and_b32_e32 v8, 63, v9
	v_and_b32_e32 v10, 0x1c0, v0
	v_mov_b32_e32 v3, s8
	v_add_co_u32_e32 v4, vcc, s7, v8
	v_mul_u32_u24_e32 v7, 6, v10
	v_addc_co_u32_e32 v3, vcc, 0, v3, vcc
	v_add_co_u32_e32 v4, vcc, v4, v7
	v_addc_co_u32_e32 v5, vcc, 0, v3, vcc
	global_load_ubyte v6, v[4:5], off
	s_load_dword s7, s[4:5], 0x64
	s_load_dword s14, s[4:5], 0x58
	s_add_u32 s4, s4, 0x58
	s_addc_u32 s5, s5, 0
	v_mov_b32_e32 v3, 0
	s_waitcnt lgkmcnt(0)
	s_lshr_b32 s7, s7, 16
	s_cmp_lt_u32 s6, s14
	s_cselect_b32 s6, 12, 18
	s_add_u32 s4, s4, s6
	s_addc_u32 s5, s5, 0
	global_load_ushort v13, v3, s[4:5]
	global_load_ubyte v11, v[4:5], off offset:64
	global_load_ubyte v12, v[4:5], off offset:128
	;; [unrolled: 1-line block ×5, first 2 shown]
	s_lshl_b32 s4, -1, s45
	s_not_b32 s15, s4
	v_mad_u32_u24 v1, v2, s7, v1
	s_mov_b32 s27, 0
	v_mul_u32_u24_e32 v23, 20, v0
	ds_write2_b32 v23, v3, v3 offset0:8 offset1:9
	ds_write2_b32 v23, v3, v3 offset0:10 offset1:11
	ds_write_b32 v23, v3 offset:48
	s_waitcnt vmcnt(0) lgkmcnt(0)
	s_barrier
	; wave barrier
	v_lshrrev_b32_sdwa v4, s44, v6 dst_sel:DWORD dst_unused:UNUSED_PAD src0_sel:DWORD src1_sel:BYTE_0
	v_and_b32_e32 v15, s15, v4
	v_and_b32_e32 v5, 1, v15
	v_add_co_u32_e32 v16, vcc, -1, v5
	v_lshlrev_b32_e32 v4, 30, v15
	v_addc_co_u32_e64 v19, s[4:5], 0, -1, vcc
	v_cmp_ne_u32_e32 vcc, 0, v5
	v_cmp_gt_i64_e64 s[4:5], 0, v[3:4]
	v_not_b32_e32 v5, v4
	v_lshlrev_b32_e32 v4, 29, v15
	v_xor_b32_e32 v19, vcc_hi, v19
	v_ashrrev_i32_e32 v5, 31, v5
	v_xor_b32_e32 v16, vcc_lo, v16
	v_cmp_gt_i64_e32 vcc, 0, v[3:4]
	v_not_b32_e32 v20, v4
	v_lshlrev_b32_e32 v4, 28, v15
	v_and_b32_e32 v19, exec_hi, v19
	v_xor_b32_e32 v21, s5, v5
	v_and_b32_e32 v16, exec_lo, v16
	v_xor_b32_e32 v5, s4, v5
	v_ashrrev_i32_e32 v20, 31, v20
	v_cmp_gt_i64_e64 s[4:5], 0, v[3:4]
	v_not_b32_e32 v22, v4
	v_lshlrev_b32_e32 v4, 27, v15
	v_and_b32_e32 v19, v19, v21
	v_and_b32_e32 v5, v16, v5
	v_xor_b32_e32 v16, vcc_hi, v20
	v_xor_b32_e32 v20, vcc_lo, v20
	v_ashrrev_i32_e32 v21, 31, v22
	v_cmp_gt_i64_e32 vcc, 0, v[3:4]
	v_not_b32_e32 v22, v4
	v_lshlrev_b32_e32 v4, 26, v15
	v_and_b32_e32 v16, v19, v16
	v_and_b32_e32 v5, v5, v20
	v_xor_b32_e32 v19, s5, v21
	v_xor_b32_e32 v20, s4, v21
	v_ashrrev_i32_e32 v21, 31, v22
	v_cmp_gt_i64_e64 s[4:5], 0, v[3:4]
	v_not_b32_e32 v22, v4
	v_lshlrev_b32_e32 v4, 25, v15
	v_and_b32_e32 v16, v16, v19
	v_and_b32_e32 v5, v5, v20
	v_xor_b32_e32 v19, vcc_hi, v21
	v_xor_b32_e32 v20, vcc_lo, v21
	v_ashrrev_i32_e32 v21, 31, v22
	v_cmp_gt_i64_e32 vcc, 0, v[3:4]
	v_not_b32_e32 v22, v4
	v_lshlrev_b32_e32 v4, 24, v15
	v_and_b32_e32 v16, v16, v19
	v_and_b32_e32 v5, v5, v20
	v_xor_b32_e32 v19, s5, v21
	v_xor_b32_e32 v20, s4, v21
	v_ashrrev_i32_e32 v21, 31, v22
	v_cmp_gt_i64_e64 s[4:5], 0, v[3:4]
	v_not_b32_e32 v4, v4
	v_and_b32_e32 v16, v16, v19
	v_and_b32_e32 v5, v5, v20
	v_xor_b32_e32 v19, vcc_hi, v21
	v_xor_b32_e32 v20, vcc_lo, v21
	v_ashrrev_i32_e32 v4, 31, v4
	v_and_b32_e32 v16, v16, v19
	v_and_b32_e32 v19, v5, v20
	v_xor_b32_e32 v5, s5, v4
	v_xor_b32_e32 v4, s4, v4
	v_mad_u64_u32 v[1:2], s[4:5], v1, v13, v[0:1]
	v_and_b32_e32 v4, v19, v4
	v_and_b32_e32 v5, v16, v5
	v_mbcnt_lo_u32_b32 v2, v4, 0
	v_lshrrev_b32_e32 v1, 4, v1
	v_mbcnt_hi_u32_b32 v21, v5, v2
	v_cmp_ne_u64_e32 vcc, 0, v[4:5]
	v_and_b32_e32 v27, 0xffffffc, v1
	v_mul_u32_u24_e32 v1, 36, v15
	v_cmp_eq_u32_e64 s[4:5], 0, v21
	s_and_b64 s[6:7], vcc, s[4:5]
	v_add_u32_e32 v25, v27, v1
	s_and_saveexec_b64 s[4:5], s[6:7]
; %bb.84:
	v_bcnt_u32_b32 v1, v4, 0
	v_bcnt_u32_b32 v1, v5, v1
	ds_write_b32 v25, v1 offset:32
; %bb.85:
	s_or_b64 exec, exec, s[4:5]
	v_lshrrev_b32_sdwa v1, s44, v11 dst_sel:DWORD dst_unused:UNUSED_PAD src0_sel:DWORD src1_sel:BYTE_0
	v_and_b32_e32 v1, s15, v1
	v_mad_u32_u24 v2, v1, 36, v27
	; wave barrier
	ds_read_b32 v13, v2 offset:32
	v_and_b32_e32 v2, 1, v1
	v_add_co_u32_e32 v4, vcc, -1, v2
	v_addc_co_u32_e64 v15, s[4:5], 0, -1, vcc
	v_cmp_ne_u32_e32 vcc, 0, v2
	v_xor_b32_e32 v4, vcc_lo, v4
	v_xor_b32_e32 v2, vcc_hi, v15
	v_and_b32_e32 v15, exec_lo, v4
	v_lshlrev_b32_e32 v4, 30, v1
	v_cmp_gt_i64_e32 vcc, 0, v[3:4]
	v_not_b32_e32 v4, v4
	v_ashrrev_i32_e32 v4, 31, v4
	v_xor_b32_e32 v16, vcc_hi, v4
	v_xor_b32_e32 v4, vcc_lo, v4
	v_and_b32_e32 v15, v15, v4
	v_lshlrev_b32_e32 v4, 29, v1
	v_cmp_gt_i64_e32 vcc, 0, v[3:4]
	v_not_b32_e32 v4, v4
	v_and_b32_e32 v2, exec_hi, v2
	v_ashrrev_i32_e32 v4, 31, v4
	v_and_b32_e32 v2, v2, v16
	v_xor_b32_e32 v16, vcc_hi, v4
	v_xor_b32_e32 v4, vcc_lo, v4
	v_and_b32_e32 v15, v15, v4
	v_lshlrev_b32_e32 v4, 28, v1
	v_cmp_gt_i64_e32 vcc, 0, v[3:4]
	v_not_b32_e32 v4, v4
	v_ashrrev_i32_e32 v4, 31, v4
	v_and_b32_e32 v2, v2, v16
	v_xor_b32_e32 v16, vcc_hi, v4
	v_xor_b32_e32 v4, vcc_lo, v4
	v_and_b32_e32 v15, v15, v4
	v_lshlrev_b32_e32 v4, 27, v1
	v_cmp_gt_i64_e32 vcc, 0, v[3:4]
	v_not_b32_e32 v4, v4
	;; [unrolled: 8-line block ×4, first 2 shown]
	v_ashrrev_i32_e32 v4, 31, v4
	v_and_b32_e32 v2, v2, v16
	v_xor_b32_e32 v16, vcc_hi, v4
	v_xor_b32_e32 v4, vcc_lo, v4
	v_and_b32_e32 v15, v15, v4
	v_lshlrev_b32_e32 v4, 24, v1
	v_mul_u32_u24_e32 v5, 36, v1
	v_cmp_gt_i64_e32 vcc, 0, v[3:4]
	v_not_b32_e32 v1, v4
	v_ashrrev_i32_e32 v1, 31, v1
	v_xor_b32_e32 v3, vcc_hi, v1
	v_xor_b32_e32 v1, vcc_lo, v1
	v_and_b32_e32 v2, v2, v16
	v_and_b32_e32 v1, v15, v1
	;; [unrolled: 1-line block ×3, first 2 shown]
	v_mbcnt_lo_u32_b32 v3, v1, 0
	v_mbcnt_hi_u32_b32 v15, v2, v3
	v_cmp_ne_u64_e32 vcc, 0, v[1:2]
	v_cmp_eq_u32_e64 s[4:5], 0, v15
	s_and_b64 s[6:7], vcc, s[4:5]
	v_add_u32_e32 v5, v27, v5
	; wave barrier
	s_and_saveexec_b64 s[4:5], s[6:7]
	s_cbranch_execz .LBB285_87
; %bb.86:
	v_bcnt_u32_b32 v1, v1, 0
	v_bcnt_u32_b32 v1, v2, v1
	s_waitcnt lgkmcnt(0)
	v_add_u32_e32 v1, v13, v1
	ds_write_b32 v5, v1 offset:32
.LBB285_87:
	s_or_b64 exec, exec, s[4:5]
	v_lshrrev_b32_sdwa v1, s44, v12 dst_sel:DWORD dst_unused:UNUSED_PAD src0_sel:DWORD src1_sel:BYTE_0
	v_and_b32_e32 v3, s15, v1
	v_and_b32_e32 v2, 1, v3
	v_add_co_u32_e32 v19, vcc, -1, v2
	v_addc_co_u32_e64 v20, s[4:5], 0, -1, vcc
	v_cmp_ne_u32_e32 vcc, 0, v2
	v_mad_u32_u24 v1, v3, 36, v27
	v_xor_b32_e32 v2, vcc_hi, v20
	; wave barrier
	ds_read_b32 v16, v1 offset:32
	v_mov_b32_e32 v1, 0
	v_and_b32_e32 v20, exec_hi, v2
	v_lshlrev_b32_e32 v2, 30, v3
	v_xor_b32_e32 v19, vcc_lo, v19
	v_cmp_gt_i64_e32 vcc, 0, v[1:2]
	v_not_b32_e32 v2, v2
	v_ashrrev_i32_e32 v2, 31, v2
	v_and_b32_e32 v19, exec_lo, v19
	v_xor_b32_e32 v22, vcc_hi, v2
	v_xor_b32_e32 v2, vcc_lo, v2
	v_and_b32_e32 v19, v19, v2
	v_lshlrev_b32_e32 v2, 29, v3
	v_cmp_gt_i64_e32 vcc, 0, v[1:2]
	v_not_b32_e32 v2, v2
	v_ashrrev_i32_e32 v2, 31, v2
	v_and_b32_e32 v20, v20, v22
	v_xor_b32_e32 v22, vcc_hi, v2
	v_xor_b32_e32 v2, vcc_lo, v2
	v_and_b32_e32 v19, v19, v2
	v_lshlrev_b32_e32 v2, 28, v3
	v_cmp_gt_i64_e32 vcc, 0, v[1:2]
	v_not_b32_e32 v2, v2
	v_ashrrev_i32_e32 v2, 31, v2
	v_and_b32_e32 v20, v20, v22
	;; [unrolled: 8-line block ×5, first 2 shown]
	v_xor_b32_e32 v22, vcc_hi, v2
	v_xor_b32_e32 v2, vcc_lo, v2
	v_and_b32_e32 v19, v19, v2
	v_lshlrev_b32_e32 v2, 24, v3
	v_cmp_gt_i64_e32 vcc, 0, v[1:2]
	v_not_b32_e32 v2, v2
	v_ashrrev_i32_e32 v2, 31, v2
	v_mul_u32_u24_e32 v4, 36, v3
	v_xor_b32_e32 v3, vcc_hi, v2
	v_xor_b32_e32 v2, vcc_lo, v2
	v_and_b32_e32 v20, v20, v22
	v_and_b32_e32 v2, v19, v2
	;; [unrolled: 1-line block ×3, first 2 shown]
	v_mbcnt_lo_u32_b32 v19, v2, 0
	v_mbcnt_hi_u32_b32 v19, v3, v19
	v_cmp_ne_u64_e32 vcc, 0, v[2:3]
	v_cmp_eq_u32_e64 s[4:5], 0, v19
	s_and_b64 s[6:7], vcc, s[4:5]
	v_add_u32_e32 v30, v27, v4
	; wave barrier
	s_and_saveexec_b64 s[4:5], s[6:7]
	s_cbranch_execz .LBB285_89
; %bb.88:
	v_bcnt_u32_b32 v2, v2, 0
	v_bcnt_u32_b32 v2, v3, v2
	s_waitcnt lgkmcnt(0)
	v_add_u32_e32 v2, v16, v2
	ds_write_b32 v30, v2 offset:32
.LBB285_89:
	s_or_b64 exec, exec, s[4:5]
	v_lshrrev_b32_sdwa v2, s44, v14 dst_sel:DWORD dst_unused:UNUSED_PAD src0_sel:DWORD src1_sel:BYTE_0
	v_and_b32_e32 v3, s15, v2
	v_mad_u32_u24 v2, v3, 36, v27
	; wave barrier
	ds_read_b32 v20, v2 offset:32
	v_and_b32_e32 v2, 1, v3
	v_add_co_u32_e32 v22, vcc, -1, v2
	v_addc_co_u32_e64 v24, s[4:5], 0, -1, vcc
	v_cmp_ne_u32_e32 vcc, 0, v2
	v_xor_b32_e32 v2, vcc_hi, v24
	v_and_b32_e32 v24, exec_hi, v2
	v_lshlrev_b32_e32 v2, 30, v3
	v_xor_b32_e32 v22, vcc_lo, v22
	v_cmp_gt_i64_e32 vcc, 0, v[1:2]
	v_not_b32_e32 v2, v2
	v_ashrrev_i32_e32 v2, 31, v2
	v_and_b32_e32 v22, exec_lo, v22
	v_xor_b32_e32 v26, vcc_hi, v2
	v_xor_b32_e32 v2, vcc_lo, v2
	v_and_b32_e32 v22, v22, v2
	v_lshlrev_b32_e32 v2, 29, v3
	v_cmp_gt_i64_e32 vcc, 0, v[1:2]
	v_not_b32_e32 v2, v2
	v_ashrrev_i32_e32 v2, 31, v2
	v_and_b32_e32 v24, v24, v26
	v_xor_b32_e32 v26, vcc_hi, v2
	v_xor_b32_e32 v2, vcc_lo, v2
	v_and_b32_e32 v22, v22, v2
	v_lshlrev_b32_e32 v2, 28, v3
	v_cmp_gt_i64_e32 vcc, 0, v[1:2]
	v_not_b32_e32 v2, v2
	v_ashrrev_i32_e32 v2, 31, v2
	v_and_b32_e32 v24, v24, v26
	;; [unrolled: 8-line block ×5, first 2 shown]
	v_xor_b32_e32 v26, vcc_hi, v2
	v_xor_b32_e32 v2, vcc_lo, v2
	v_and_b32_e32 v22, v22, v2
	v_lshlrev_b32_e32 v2, 24, v3
	v_cmp_gt_i64_e32 vcc, 0, v[1:2]
	v_not_b32_e32 v1, v2
	v_ashrrev_i32_e32 v1, 31, v1
	v_xor_b32_e32 v2, vcc_hi, v1
	v_xor_b32_e32 v1, vcc_lo, v1
	v_and_b32_e32 v24, v24, v26
	v_and_b32_e32 v1, v22, v1
	v_mul_u32_u24_e32 v4, 36, v3
	v_and_b32_e32 v2, v24, v2
	v_mbcnt_lo_u32_b32 v3, v1, 0
	v_mbcnt_hi_u32_b32 v22, v2, v3
	v_cmp_ne_u64_e32 vcc, 0, v[1:2]
	v_cmp_eq_u32_e64 s[4:5], 0, v22
	s_and_b64 s[6:7], vcc, s[4:5]
	v_add_u32_e32 v32, v27, v4
	; wave barrier
	s_and_saveexec_b64 s[4:5], s[6:7]
	s_cbranch_execz .LBB285_91
; %bb.90:
	v_bcnt_u32_b32 v1, v1, 0
	v_bcnt_u32_b32 v1, v2, v1
	s_waitcnt lgkmcnt(0)
	v_add_u32_e32 v1, v20, v1
	ds_write_b32 v32, v1 offset:32
.LBB285_91:
	s_or_b64 exec, exec, s[4:5]
	v_lshrrev_b32_sdwa v1, s44, v17 dst_sel:DWORD dst_unused:UNUSED_PAD src0_sel:DWORD src1_sel:BYTE_0
	v_and_b32_e32 v3, s15, v1
	v_and_b32_e32 v2, 1, v3
	v_add_co_u32_e32 v26, vcc, -1, v2
	v_addc_co_u32_e64 v28, s[4:5], 0, -1, vcc
	v_cmp_ne_u32_e32 vcc, 0, v2
	v_mad_u32_u24 v1, v3, 36, v27
	v_xor_b32_e32 v2, vcc_hi, v28
	; wave barrier
	ds_read_b32 v24, v1 offset:32
	v_mov_b32_e32 v1, 0
	v_and_b32_e32 v28, exec_hi, v2
	v_lshlrev_b32_e32 v2, 30, v3
	v_xor_b32_e32 v26, vcc_lo, v26
	v_cmp_gt_i64_e32 vcc, 0, v[1:2]
	v_not_b32_e32 v2, v2
	v_ashrrev_i32_e32 v2, 31, v2
	v_and_b32_e32 v26, exec_lo, v26
	v_xor_b32_e32 v29, vcc_hi, v2
	v_xor_b32_e32 v2, vcc_lo, v2
	v_and_b32_e32 v26, v26, v2
	v_lshlrev_b32_e32 v2, 29, v3
	v_cmp_gt_i64_e32 vcc, 0, v[1:2]
	v_not_b32_e32 v2, v2
	v_ashrrev_i32_e32 v2, 31, v2
	v_and_b32_e32 v28, v28, v29
	v_xor_b32_e32 v29, vcc_hi, v2
	v_xor_b32_e32 v2, vcc_lo, v2
	v_and_b32_e32 v26, v26, v2
	v_lshlrev_b32_e32 v2, 28, v3
	v_cmp_gt_i64_e32 vcc, 0, v[1:2]
	v_not_b32_e32 v2, v2
	v_ashrrev_i32_e32 v2, 31, v2
	v_and_b32_e32 v28, v28, v29
	;; [unrolled: 8-line block ×5, first 2 shown]
	v_xor_b32_e32 v29, vcc_hi, v2
	v_xor_b32_e32 v2, vcc_lo, v2
	v_and_b32_e32 v26, v26, v2
	v_lshlrev_b32_e32 v2, 24, v3
	v_cmp_gt_i64_e32 vcc, 0, v[1:2]
	v_not_b32_e32 v2, v2
	v_ashrrev_i32_e32 v2, 31, v2
	v_mul_u32_u24_e32 v4, 36, v3
	v_xor_b32_e32 v3, vcc_hi, v2
	v_xor_b32_e32 v2, vcc_lo, v2
	v_and_b32_e32 v28, v28, v29
	v_and_b32_e32 v2, v26, v2
	;; [unrolled: 1-line block ×3, first 2 shown]
	v_mbcnt_lo_u32_b32 v26, v2, 0
	v_mbcnt_hi_u32_b32 v26, v3, v26
	v_cmp_ne_u64_e32 vcc, 0, v[2:3]
	v_cmp_eq_u32_e64 s[4:5], 0, v26
	s_and_b64 s[6:7], vcc, s[4:5]
	v_add_u32_e32 v33, v27, v4
	; wave barrier
	s_and_saveexec_b64 s[4:5], s[6:7]
	s_cbranch_execz .LBB285_93
; %bb.92:
	v_bcnt_u32_b32 v2, v2, 0
	v_bcnt_u32_b32 v2, v3, v2
	s_waitcnt lgkmcnt(0)
	v_add_u32_e32 v2, v24, v2
	ds_write_b32 v33, v2 offset:32
.LBB285_93:
	s_or_b64 exec, exec, s[4:5]
	v_lshrrev_b32_sdwa v2, s44, v18 dst_sel:DWORD dst_unused:UNUSED_PAD src0_sel:DWORD src1_sel:BYTE_0
	v_and_b32_e32 v3, s15, v2
	v_mad_u32_u24 v2, v3, 36, v27
	; wave barrier
	ds_read_b32 v28, v2 offset:32
	v_and_b32_e32 v2, 1, v3
	v_add_co_u32_e32 v29, vcc, -1, v2
	v_addc_co_u32_e64 v31, s[4:5], 0, -1, vcc
	v_cmp_ne_u32_e32 vcc, 0, v2
	v_xor_b32_e32 v2, vcc_hi, v31
	v_and_b32_e32 v31, exec_hi, v2
	v_lshlrev_b32_e32 v2, 30, v3
	v_xor_b32_e32 v29, vcc_lo, v29
	v_cmp_gt_i64_e32 vcc, 0, v[1:2]
	v_not_b32_e32 v2, v2
	v_ashrrev_i32_e32 v2, 31, v2
	v_and_b32_e32 v29, exec_lo, v29
	v_xor_b32_e32 v34, vcc_hi, v2
	v_xor_b32_e32 v2, vcc_lo, v2
	v_and_b32_e32 v29, v29, v2
	v_lshlrev_b32_e32 v2, 29, v3
	v_cmp_gt_i64_e32 vcc, 0, v[1:2]
	v_not_b32_e32 v2, v2
	v_ashrrev_i32_e32 v2, 31, v2
	v_and_b32_e32 v31, v31, v34
	v_xor_b32_e32 v34, vcc_hi, v2
	v_xor_b32_e32 v2, vcc_lo, v2
	v_and_b32_e32 v29, v29, v2
	v_lshlrev_b32_e32 v2, 28, v3
	v_cmp_gt_i64_e32 vcc, 0, v[1:2]
	v_not_b32_e32 v2, v2
	v_ashrrev_i32_e32 v2, 31, v2
	v_and_b32_e32 v31, v31, v34
	;; [unrolled: 8-line block ×5, first 2 shown]
	v_xor_b32_e32 v34, vcc_hi, v2
	v_xor_b32_e32 v2, vcc_lo, v2
	v_and_b32_e32 v29, v29, v2
	v_lshlrev_b32_e32 v2, 24, v3
	v_cmp_gt_i64_e32 vcc, 0, v[1:2]
	v_not_b32_e32 v1, v2
	v_ashrrev_i32_e32 v1, 31, v1
	v_xor_b32_e32 v2, vcc_hi, v1
	v_xor_b32_e32 v1, vcc_lo, v1
	v_and_b32_e32 v31, v31, v34
	v_and_b32_e32 v1, v29, v1
	v_mul_u32_u24_e32 v4, 36, v3
	v_and_b32_e32 v2, v31, v2
	v_mbcnt_lo_u32_b32 v3, v1, 0
	v_mbcnt_hi_u32_b32 v29, v2, v3
	v_cmp_ne_u64_e32 vcc, 0, v[1:2]
	v_cmp_eq_u32_e64 s[4:5], 0, v29
	s_and_b64 s[6:7], vcc, s[4:5]
	v_add_u32_e32 v34, v27, v4
	; wave barrier
	s_and_saveexec_b64 s[4:5], s[6:7]
	s_cbranch_execz .LBB285_95
; %bb.94:
	v_bcnt_u32_b32 v1, v1, 0
	v_bcnt_u32_b32 v1, v2, v1
	s_waitcnt lgkmcnt(0)
	v_add_u32_e32 v1, v28, v1
	ds_write_b32 v34, v1 offset:32
.LBB285_95:
	s_or_b64 exec, exec, s[4:5]
	; wave barrier
	s_waitcnt lgkmcnt(0)
	s_barrier
	ds_read2_b32 v[3:4], v23 offset0:8 offset1:9
	ds_read2_b32 v[1:2], v23 offset0:10 offset1:11
	ds_read_b32 v27, v23 offset:48
	v_min_u32_e32 v10, 0x1c0, v10
	v_or_b32_e32 v10, 63, v10
	s_waitcnt lgkmcnt(1)
	v_add3_u32 v31, v4, v3, v1
	s_waitcnt lgkmcnt(0)
	v_add3_u32 v27, v31, v2, v27
	v_and_b32_e32 v31, 15, v9
	v_cmp_ne_u32_e32 vcc, 0, v31
	v_mov_b32_dpp v35, v27 row_shr:1 row_mask:0xf bank_mask:0xf
	v_cndmask_b32_e32 v35, 0, v35, vcc
	v_add_u32_e32 v27, v35, v27
	v_cmp_lt_u32_e32 vcc, 1, v31
	s_nop 0
	v_mov_b32_dpp v35, v27 row_shr:2 row_mask:0xf bank_mask:0xf
	v_cndmask_b32_e32 v35, 0, v35, vcc
	v_add_u32_e32 v27, v27, v35
	v_cmp_lt_u32_e32 vcc, 3, v31
	s_nop 0
	;; [unrolled: 5-line block ×3, first 2 shown]
	v_mov_b32_dpp v35, v27 row_shr:8 row_mask:0xf bank_mask:0xf
	v_cndmask_b32_e32 v31, 0, v35, vcc
	v_add_u32_e32 v27, v27, v31
	v_bfe_i32 v35, v9, 4, 1
	v_cmp_lt_u32_e32 vcc, 31, v9
	v_mov_b32_dpp v31, v27 row_bcast:15 row_mask:0xf bank_mask:0xf
	v_and_b32_e32 v31, v35, v31
	v_add_u32_e32 v27, v27, v31
	v_lshrrev_b32_e32 v35, 6, v0
	s_nop 0
	v_mov_b32_dpp v31, v27 row_bcast:31 row_mask:0xf bank_mask:0xf
	v_cndmask_b32_e32 v31, 0, v31, vcc
	v_add_u32_e32 v31, v27, v31
	v_cmp_eq_u32_e32 vcc, v0, v10
	s_and_saveexec_b64 s[4:5], vcc
; %bb.96:
	v_lshlrev_b32_e32 v10, 2, v35
	ds_write_b32 v10, v31
; %bb.97:
	s_or_b64 exec, exec, s[4:5]
	v_cmp_gt_u32_e32 vcc, 8, v0
	v_lshlrev_b32_e32 v27, 2, v0
	s_waitcnt lgkmcnt(0)
	s_barrier
	s_and_saveexec_b64 s[4:5], vcc
	s_cbranch_execz .LBB285_99
; %bb.98:
	ds_read_b32 v10, v27
	v_and_b32_e32 v36, 7, v9
	v_cmp_ne_u32_e32 vcc, 0, v36
	s_waitcnt lgkmcnt(0)
	v_mov_b32_dpp v37, v10 row_shr:1 row_mask:0xf bank_mask:0xf
	v_cndmask_b32_e32 v37, 0, v37, vcc
	v_add_u32_e32 v10, v37, v10
	v_cmp_lt_u32_e32 vcc, 1, v36
	s_nop 0
	v_mov_b32_dpp v37, v10 row_shr:2 row_mask:0xf bank_mask:0xf
	v_cndmask_b32_e32 v37, 0, v37, vcc
	v_add_u32_e32 v10, v10, v37
	v_cmp_lt_u32_e32 vcc, 3, v36
	s_nop 0
	v_mov_b32_dpp v37, v10 row_shr:4 row_mask:0xf bank_mask:0xf
	v_cndmask_b32_e32 v36, 0, v37, vcc
	v_add_u32_e32 v10, v10, v36
	ds_write_b32 v27, v10
.LBB285_99:
	s_or_b64 exec, exec, s[4:5]
	v_cmp_lt_u32_e32 vcc, 63, v0
	v_mov_b32_e32 v10, 0
	s_waitcnt lgkmcnt(0)
	s_barrier
	s_and_saveexec_b64 s[4:5], vcc
; %bb.100:
	v_lshl_add_u32 v10, v35, 2, -4
	ds_read_b32 v10, v10
; %bb.101:
	s_or_b64 exec, exec, s[4:5]
	v_subrev_co_u32_e32 v35, vcc, 1, v9
	v_and_b32_e32 v36, 64, v9
	v_cmp_lt_i32_e64 s[4:5], v35, v36
	v_cndmask_b32_e64 v9, v35, v9, s[4:5]
	s_waitcnt lgkmcnt(0)
	v_add_u32_e32 v31, v10, v31
	v_lshlrev_b32_e32 v9, 2, v9
	ds_bpermute_b32 v9, v9, v31
	s_movk_i32 s4, 0xff
	s_movk_i32 s6, 0x100
	s_waitcnt lgkmcnt(0)
	v_cndmask_b32_e32 v9, v9, v10, vcc
	v_cndmask_b32_e64 v9, v9, 0, s[22:23]
	v_add_u32_e32 v3, v9, v3
	v_add_u32_e32 v4, v3, v4
	;; [unrolled: 1-line block ×4, first 2 shown]
	ds_write2_b32 v23, v9, v3 offset0:8 offset1:9
	ds_write2_b32 v23, v4, v1 offset0:10 offset1:11
	ds_write_b32 v23, v2 offset:48
	s_waitcnt lgkmcnt(0)
	s_barrier
	ds_read_b32 v1, v25 offset:32
	ds_read_b32 v31, v5 offset:32
	;; [unrolled: 1-line block ×6, first 2 shown]
	v_cmp_lt_u32_e32 vcc, s4, v0
	v_cmp_gt_u32_e64 s[4:5], s6, v0
                                        ; implicit-def: $vgpr23
                                        ; implicit-def: $vgpr25
	s_and_saveexec_b64 s[8:9], s[4:5]
	s_cbranch_execz .LBB285_105
; %bb.102:
	v_mul_u32_u24_e32 v2, 36, v0
	ds_read_b32 v23, v2 offset:32
	v_add_u32_e32 v3, 1, v0
	v_cmp_ne_u32_e64 s[6:7], s6, v3
	v_mov_b32_e32 v2, 0xc00
	s_and_saveexec_b64 s[10:11], s[6:7]
; %bb.103:
	v_mul_u32_u24_e32 v2, 36, v3
	ds_read_b32 v2, v2 offset:32
; %bb.104:
	s_or_b64 exec, exec, s[10:11]
	s_waitcnt lgkmcnt(0)
	v_sub_u32_e32 v25, v2, v23
.LBB285_105:
	s_or_b64 exec, exec, s[8:9]
	s_waitcnt lgkmcnt(5)
	v_add_u32_e32 v21, v1, v21
	s_waitcnt lgkmcnt(3)
	v_add3_u32 v2, v19, v16, v30
	v_add3_u32 v1, v15, v13, v31
	s_waitcnt lgkmcnt(2)
	v_add3_u32 v3, v22, v20, v32
	s_waitcnt lgkmcnt(1)
	;; [unrolled: 2-line block ×3, first 2 shown]
	v_add3_u32 v5, v29, v28, v34
	s_barrier
	ds_write_b8 v21, v6 offset:1024
	ds_write_b8 v1, v11 offset:1024
	;; [unrolled: 1-line block ×6, first 2 shown]
	v_mov_b32_e32 v2, 0
	s_and_saveexec_b64 s[6:7], s[4:5]
	s_cbranch_execz .LBB285_115
; %bb.106:
	v_lshl_add_u32 v1, s33, 8, v0
	v_lshlrev_b64 v[3:4], 2, v[1:2]
	v_mov_b32_e32 v9, s35
	v_add_co_u32_e64 v3, s[4:5], s34, v3
	v_addc_co_u32_e64 v4, s[4:5], v9, v4, s[4:5]
	v_or_b32_e32 v1, 2.0, v25
	s_mov_b64 s[8:9], 0
	s_brev_b32 s16, -4
	s_mov_b32 s17, s33
	v_mov_b32_e32 v10, 0
	global_store_dword v[3:4], v1, off
                                        ; implicit-def: $sgpr4_sgpr5
	s_branch .LBB285_109
.LBB285_107:                            ;   in Loop: Header=BB285_109 Depth=1
	s_or_b64 exec, exec, s[12:13]
.LBB285_108:                            ;   in Loop: Header=BB285_109 Depth=1
	s_or_b64 exec, exec, s[10:11]
	v_and_b32_e32 v5, 0x3fffffff, v1
	v_add_u32_e32 v10, v5, v10
	v_cmp_gt_i32_e64 s[4:5], -2.0, v1
	s_and_b64 s[10:11], exec, s[4:5]
	s_or_b64 s[8:9], s[10:11], s[8:9]
	s_andn2_b64 exec, exec, s[8:9]
	s_cbranch_execz .LBB285_114
.LBB285_109:                            ; =>This Loop Header: Depth=1
                                        ;     Child Loop BB285_112 Depth 2
	s_or_b64 s[4:5], s[4:5], exec
	s_cmp_eq_u32 s17, 0
	s_cbranch_scc1 .LBB285_113
; %bb.110:                              ;   in Loop: Header=BB285_109 Depth=1
	s_add_i32 s17, s17, -1
	v_lshl_or_b32 v1, s17, 8, v0
	v_lshlrev_b64 v[5:6], 2, v[1:2]
	v_add_co_u32_e64 v5, s[4:5], s34, v5
	v_addc_co_u32_e64 v6, s[4:5], v9, v6, s[4:5]
	global_load_dword v1, v[5:6], off glc
	s_waitcnt vmcnt(0)
	v_cmp_gt_u32_e64 s[4:5], 2.0, v1
	s_and_saveexec_b64 s[10:11], s[4:5]
	s_cbranch_execz .LBB285_108
; %bb.111:                              ;   in Loop: Header=BB285_109 Depth=1
	s_mov_b64 s[12:13], 0
.LBB285_112:                            ;   Parent Loop BB285_109 Depth=1
                                        ; =>  This Inner Loop Header: Depth=2
	global_load_dword v1, v[5:6], off glc
	s_waitcnt vmcnt(0)
	v_cmp_lt_u32_e64 s[4:5], s16, v1
	s_or_b64 s[12:13], s[4:5], s[12:13]
	s_andn2_b64 exec, exec, s[12:13]
	s_cbranch_execnz .LBB285_112
	s_branch .LBB285_107
.LBB285_113:                            ;   in Loop: Header=BB285_109 Depth=1
                                        ; implicit-def: $sgpr17
	s_and_b64 s[10:11], exec, s[4:5]
	s_or_b64 s[8:9], s[10:11], s[8:9]
	s_andn2_b64 exec, exec, s[8:9]
	s_cbranch_execnz .LBB285_109
.LBB285_114:
	s_or_b64 exec, exec, s[8:9]
	v_add_u32_e32 v1, v10, v25
	v_or_b32_e32 v1, 0x80000000, v1
	global_store_dword v[3:4], v1, off
	global_load_dword v1, v27, s[28:29]
	v_sub_u32_e32 v2, v10, v23
	s_waitcnt vmcnt(0)
	v_add_u32_e32 v1, v2, v1
	ds_write_b32 v27, v1
.LBB285_115:
	s_or_b64 exec, exec, s[6:7]
	s_waitcnt lgkmcnt(0)
	s_barrier
	ds_read_u8 v1, v0 offset:1024
	ds_read_u8 v2, v0 offset:1536
	;; [unrolled: 1-line block ×6, first 2 shown]
	s_waitcnt lgkmcnt(5)
	v_lshrrev_b32_sdwa v9, s44, v1 dst_sel:DWORD dst_unused:UNUSED_PAD src0_sel:DWORD src1_sel:BYTE_0
	s_waitcnt lgkmcnt(4)
	v_lshrrev_b32_sdwa v10, s44, v2 dst_sel:DWORD dst_unused:UNUSED_PAD src0_sel:DWORD src1_sel:BYTE_0
	;; [unrolled: 2-line block ×6, first 2 shown]
	v_and_b32_e32 v14, s15, v9
	v_and_b32_e32 v35, s15, v10
	;; [unrolled: 1-line block ×6, first 2 shown]
	v_lshlrev_b32_e32 v9, 2, v14
	v_lshlrev_b32_e32 v10, 2, v35
	;; [unrolled: 1-line block ×6, first 2 shown]
	ds_read_b32 v9, v9
	ds_read_b32 v10, v10
	;; [unrolled: 1-line block ×6, first 2 shown]
	s_waitcnt lgkmcnt(5)
	v_add_u32_e32 v9, v9, v0
	s_movk_i32 s6, 0x200
	global_store_byte v9, v1, s[38:39]
	s_waitcnt lgkmcnt(4)
	v_add3_u32 v1, v0, v10, s6
	s_movk_i32 s4, 0x400
	global_store_byte v1, v2, s[38:39]
	s_waitcnt lgkmcnt(3)
	v_add3_u32 v1, v11, v0, s4
	;; [unrolled: 4-line block ×5, first 2 shown]
	s_lshl_b64 s[4:5], s[26:27], 3
	s_add_u32 s4, s40, s4
	global_store_byte v1, v6, s[38:39]
	s_addc_u32 s5, s41, s5
	v_lshlrev_b32_e32 v1, 3, v8
	v_mov_b32_e32 v2, s5
	v_add_co_u32_e64 v1, s[4:5], s4, v1
	v_addc_co_u32_e64 v2, s[4:5], 0, v2, s[4:5]
	v_lshlrev_b32_e32 v3, 3, v7
	v_add_co_u32_e64 v17, s[4:5], v1, v3
	v_addc_co_u32_e64 v18, s[4:5], 0, v2, s[4:5]
	global_load_dwordx2 v[1:2], v[17:18], off
	global_load_dwordx2 v[3:4], v[17:18], off offset:512
	global_load_dwordx2 v[5:6], v[17:18], off offset:1024
	;; [unrolled: 1-line block ×5, first 2 shown]
	v_add3_u32 v18, v26, v33, v24
	v_mul_u32_u24_e32 v24, 7, v0
	buffer_store_dword v14, off, s[0:3], 0
	buffer_store_dword v35, off, s[0:3], 0 offset:4
	buffer_store_dword v36, off, s[0:3], 0 offset:8
	;; [unrolled: 1-line block ×5, first 2 shown]
	v_add3_u32 v17, v29, v34, v28
	v_mov_b32_e32 v14, 0
	v_add3_u32 v20, v22, v32, v20
	v_add3_u32 v16, v19, v30, v16
	;; [unrolled: 1-line block ×3, first 2 shown]
	s_mov_b32 s7, 0
	s_mov_b32 s8, 0
	v_add_u32_e32 v19, v0, v24
	v_mov_b32_e32 v22, s43
	s_waitcnt vmcnt(0)
	s_barrier
.LBB285_116:                            ; =>This Inner Loop Header: Depth=1
	v_add_u32_e32 v13, s8, v21
	v_add_u32_e32 v24, s8, v15
	;; [unrolled: 1-line block ×6, first 2 shown]
	v_min_u32_e32 v13, 0x400, v13
	v_min_u32_e32 v24, 0x400, v24
	v_mov_b32_e32 v31, s7
	v_min_u32_e32 v26, 0x400, v26
	v_min_u32_e32 v28, 0x400, v28
	;; [unrolled: 1-line block ×4, first 2 shown]
	v_lshlrev_b32_e32 v13, 3, v13
	v_lshlrev_b32_e32 v24, 3, v24
	v_lshlrev_b32_e32 v26, 3, v26
	v_lshlrev_b32_e32 v28, 3, v28
	v_lshlrev_b32_e32 v29, 3, v29
	v_lshlrev_b32_e32 v30, 3, v30
	ds_write_b64 v13, v[1:2] offset:1024
	ds_write_b64 v24, v[3:4] offset:1024
	;; [unrolled: 1-line block ×6, first 2 shown]
	s_waitcnt lgkmcnt(0)
	s_barrier
	buffer_load_dword v13, v31, s[0:3], 0 offen
	buffer_load_dword v24, v31, s[0:3], 0 offen offset:4
	ds_read2st64_b64 v[28:31], v19 offset0:2 offset1:10
	s_addk_i32 s8, 0xfc00
	s_add_i32 s7, s7, 8
	s_cmpk_lg_i32 s8, 0xf400
	s_waitcnt vmcnt(1)
	v_lshlrev_b32_e32 v13, 2, v13
	s_waitcnt vmcnt(0)
	v_lshlrev_b32_e32 v24, 2, v24
	ds_read_b32 v13, v13
	ds_read_b32 v24, v24
	s_waitcnt lgkmcnt(1)
	v_add_u32_e32 v13, v0, v13
	v_lshlrev_b64 v[32:33], 3, v[13:14]
	s_waitcnt lgkmcnt(0)
	v_add3_u32 v13, v0, v24, s6
	v_lshlrev_b64 v[34:35], 3, v[13:14]
	v_add_co_u32_e64 v32, s[4:5], s42, v32
	v_addc_co_u32_e64 v33, s[4:5], v22, v33, s[4:5]
	global_store_dwordx2 v[32:33], v[28:29], off
	v_add_co_u32_e64 v28, s[4:5], s42, v34
	v_add_u32_e32 v0, 0x400, v0
	v_addc_co_u32_e64 v29, s[4:5], v22, v35, s[4:5]
	global_store_dwordx2 v[28:29], v[30:31], off
	s_waitcnt vmcnt(0)
	s_barrier
	s_cbranch_scc1 .LBB285_116
; %bb.117:
	s_add_i32 s14, s14, -1
	s_cmp_eq_u32 s33, s14
	s_cselect_b64 s[4:5], -1, 0
	s_xor_b64 s[6:7], vcc, -1
	s_and_b64 s[4:5], s[6:7], s[4:5]
	s_and_saveexec_b64 s[6:7], s[4:5]
	s_cbranch_execz .LBB285_119
; %bb.118:
	ds_read_b32 v0, v27
	s_waitcnt lgkmcnt(0)
	v_add3_u32 v0, v23, v25, v0
	global_store_dword v27, v0, s[30:31]
.LBB285_119:
	s_endpgm
	.section	.rodata,"a",@progbits
	.p2align	6, 0x0
	.amdhsa_kernel _ZN7rocprim17ROCPRIM_400000_NS6detail17trampoline_kernelINS0_14default_configENS1_35radix_sort_onesweep_config_selectorIhlEEZZNS1_29radix_sort_onesweep_iterationIS3_Lb0EPhS7_N6thrust23THRUST_200600_302600_NS10device_ptrIlEESB_jNS0_19identity_decomposerENS1_16block_id_wrapperIjLb1EEEEE10hipError_tT1_PNSt15iterator_traitsISG_E10value_typeET2_T3_PNSH_ISM_E10value_typeET4_T5_PSR_SS_PNS1_23onesweep_lookback_stateEbbT6_jjT7_P12ihipStream_tbENKUlT_T0_SG_SL_E_clIS7_S7_PlSB_EEDaSZ_S10_SG_SL_EUlSZ_E_NS1_11comp_targetILNS1_3genE2ELNS1_11target_archE906ELNS1_3gpuE6ELNS1_3repE0EEENS1_47radix_sort_onesweep_sort_config_static_selectorELNS0_4arch9wavefront6targetE1EEEvSG_
		.amdhsa_group_segment_fixed_size 10280
		.amdhsa_private_segment_fixed_size 32
		.amdhsa_kernarg_size 344
		.amdhsa_user_sgpr_count 6
		.amdhsa_user_sgpr_private_segment_buffer 1
		.amdhsa_user_sgpr_dispatch_ptr 0
		.amdhsa_user_sgpr_queue_ptr 0
		.amdhsa_user_sgpr_kernarg_segment_ptr 1
		.amdhsa_user_sgpr_dispatch_id 0
		.amdhsa_user_sgpr_flat_scratch_init 0
		.amdhsa_user_sgpr_private_segment_size 0
		.amdhsa_uses_dynamic_stack 0
		.amdhsa_system_sgpr_private_segment_wavefront_offset 1
		.amdhsa_system_sgpr_workgroup_id_x 1
		.amdhsa_system_sgpr_workgroup_id_y 0
		.amdhsa_system_sgpr_workgroup_id_z 0
		.amdhsa_system_sgpr_workgroup_info 0
		.amdhsa_system_vgpr_workitem_id 2
		.amdhsa_next_free_vgpr 41
		.amdhsa_next_free_sgpr 56
		.amdhsa_reserve_vcc 1
		.amdhsa_reserve_flat_scratch 0
		.amdhsa_float_round_mode_32 0
		.amdhsa_float_round_mode_16_64 0
		.amdhsa_float_denorm_mode_32 3
		.amdhsa_float_denorm_mode_16_64 3
		.amdhsa_dx10_clamp 1
		.amdhsa_ieee_mode 1
		.amdhsa_fp16_overflow 0
		.amdhsa_exception_fp_ieee_invalid_op 0
		.amdhsa_exception_fp_denorm_src 0
		.amdhsa_exception_fp_ieee_div_zero 0
		.amdhsa_exception_fp_ieee_overflow 0
		.amdhsa_exception_fp_ieee_underflow 0
		.amdhsa_exception_fp_ieee_inexact 0
		.amdhsa_exception_int_div_zero 0
	.end_amdhsa_kernel
	.section	.text._ZN7rocprim17ROCPRIM_400000_NS6detail17trampoline_kernelINS0_14default_configENS1_35radix_sort_onesweep_config_selectorIhlEEZZNS1_29radix_sort_onesweep_iterationIS3_Lb0EPhS7_N6thrust23THRUST_200600_302600_NS10device_ptrIlEESB_jNS0_19identity_decomposerENS1_16block_id_wrapperIjLb1EEEEE10hipError_tT1_PNSt15iterator_traitsISG_E10value_typeET2_T3_PNSH_ISM_E10value_typeET4_T5_PSR_SS_PNS1_23onesweep_lookback_stateEbbT6_jjT7_P12ihipStream_tbENKUlT_T0_SG_SL_E_clIS7_S7_PlSB_EEDaSZ_S10_SG_SL_EUlSZ_E_NS1_11comp_targetILNS1_3genE2ELNS1_11target_archE906ELNS1_3gpuE6ELNS1_3repE0EEENS1_47radix_sort_onesweep_sort_config_static_selectorELNS0_4arch9wavefront6targetE1EEEvSG_,"axG",@progbits,_ZN7rocprim17ROCPRIM_400000_NS6detail17trampoline_kernelINS0_14default_configENS1_35radix_sort_onesweep_config_selectorIhlEEZZNS1_29radix_sort_onesweep_iterationIS3_Lb0EPhS7_N6thrust23THRUST_200600_302600_NS10device_ptrIlEESB_jNS0_19identity_decomposerENS1_16block_id_wrapperIjLb1EEEEE10hipError_tT1_PNSt15iterator_traitsISG_E10value_typeET2_T3_PNSH_ISM_E10value_typeET4_T5_PSR_SS_PNS1_23onesweep_lookback_stateEbbT6_jjT7_P12ihipStream_tbENKUlT_T0_SG_SL_E_clIS7_S7_PlSB_EEDaSZ_S10_SG_SL_EUlSZ_E_NS1_11comp_targetILNS1_3genE2ELNS1_11target_archE906ELNS1_3gpuE6ELNS1_3repE0EEENS1_47radix_sort_onesweep_sort_config_static_selectorELNS0_4arch9wavefront6targetE1EEEvSG_,comdat
.Lfunc_end285:
	.size	_ZN7rocprim17ROCPRIM_400000_NS6detail17trampoline_kernelINS0_14default_configENS1_35radix_sort_onesweep_config_selectorIhlEEZZNS1_29radix_sort_onesweep_iterationIS3_Lb0EPhS7_N6thrust23THRUST_200600_302600_NS10device_ptrIlEESB_jNS0_19identity_decomposerENS1_16block_id_wrapperIjLb1EEEEE10hipError_tT1_PNSt15iterator_traitsISG_E10value_typeET2_T3_PNSH_ISM_E10value_typeET4_T5_PSR_SS_PNS1_23onesweep_lookback_stateEbbT6_jjT7_P12ihipStream_tbENKUlT_T0_SG_SL_E_clIS7_S7_PlSB_EEDaSZ_S10_SG_SL_EUlSZ_E_NS1_11comp_targetILNS1_3genE2ELNS1_11target_archE906ELNS1_3gpuE6ELNS1_3repE0EEENS1_47radix_sort_onesweep_sort_config_static_selectorELNS0_4arch9wavefront6targetE1EEEvSG_, .Lfunc_end285-_ZN7rocprim17ROCPRIM_400000_NS6detail17trampoline_kernelINS0_14default_configENS1_35radix_sort_onesweep_config_selectorIhlEEZZNS1_29radix_sort_onesweep_iterationIS3_Lb0EPhS7_N6thrust23THRUST_200600_302600_NS10device_ptrIlEESB_jNS0_19identity_decomposerENS1_16block_id_wrapperIjLb1EEEEE10hipError_tT1_PNSt15iterator_traitsISG_E10value_typeET2_T3_PNSH_ISM_E10value_typeET4_T5_PSR_SS_PNS1_23onesweep_lookback_stateEbbT6_jjT7_P12ihipStream_tbENKUlT_T0_SG_SL_E_clIS7_S7_PlSB_EEDaSZ_S10_SG_SL_EUlSZ_E_NS1_11comp_targetILNS1_3genE2ELNS1_11target_archE906ELNS1_3gpuE6ELNS1_3repE0EEENS1_47radix_sort_onesweep_sort_config_static_selectorELNS0_4arch9wavefront6targetE1EEEvSG_
                                        ; -- End function
	.set _ZN7rocprim17ROCPRIM_400000_NS6detail17trampoline_kernelINS0_14default_configENS1_35radix_sort_onesweep_config_selectorIhlEEZZNS1_29radix_sort_onesweep_iterationIS3_Lb0EPhS7_N6thrust23THRUST_200600_302600_NS10device_ptrIlEESB_jNS0_19identity_decomposerENS1_16block_id_wrapperIjLb1EEEEE10hipError_tT1_PNSt15iterator_traitsISG_E10value_typeET2_T3_PNSH_ISM_E10value_typeET4_T5_PSR_SS_PNS1_23onesweep_lookback_stateEbbT6_jjT7_P12ihipStream_tbENKUlT_T0_SG_SL_E_clIS7_S7_PlSB_EEDaSZ_S10_SG_SL_EUlSZ_E_NS1_11comp_targetILNS1_3genE2ELNS1_11target_archE906ELNS1_3gpuE6ELNS1_3repE0EEENS1_47radix_sort_onesweep_sort_config_static_selectorELNS0_4arch9wavefront6targetE1EEEvSG_.num_vgpr, 41
	.set _ZN7rocprim17ROCPRIM_400000_NS6detail17trampoline_kernelINS0_14default_configENS1_35radix_sort_onesweep_config_selectorIhlEEZZNS1_29radix_sort_onesweep_iterationIS3_Lb0EPhS7_N6thrust23THRUST_200600_302600_NS10device_ptrIlEESB_jNS0_19identity_decomposerENS1_16block_id_wrapperIjLb1EEEEE10hipError_tT1_PNSt15iterator_traitsISG_E10value_typeET2_T3_PNSH_ISM_E10value_typeET4_T5_PSR_SS_PNS1_23onesweep_lookback_stateEbbT6_jjT7_P12ihipStream_tbENKUlT_T0_SG_SL_E_clIS7_S7_PlSB_EEDaSZ_S10_SG_SL_EUlSZ_E_NS1_11comp_targetILNS1_3genE2ELNS1_11target_archE906ELNS1_3gpuE6ELNS1_3repE0EEENS1_47radix_sort_onesweep_sort_config_static_selectorELNS0_4arch9wavefront6targetE1EEEvSG_.num_agpr, 0
	.set _ZN7rocprim17ROCPRIM_400000_NS6detail17trampoline_kernelINS0_14default_configENS1_35radix_sort_onesweep_config_selectorIhlEEZZNS1_29radix_sort_onesweep_iterationIS3_Lb0EPhS7_N6thrust23THRUST_200600_302600_NS10device_ptrIlEESB_jNS0_19identity_decomposerENS1_16block_id_wrapperIjLb1EEEEE10hipError_tT1_PNSt15iterator_traitsISG_E10value_typeET2_T3_PNSH_ISM_E10value_typeET4_T5_PSR_SS_PNS1_23onesweep_lookback_stateEbbT6_jjT7_P12ihipStream_tbENKUlT_T0_SG_SL_E_clIS7_S7_PlSB_EEDaSZ_S10_SG_SL_EUlSZ_E_NS1_11comp_targetILNS1_3genE2ELNS1_11target_archE906ELNS1_3gpuE6ELNS1_3repE0EEENS1_47radix_sort_onesweep_sort_config_static_selectorELNS0_4arch9wavefront6targetE1EEEvSG_.numbered_sgpr, 56
	.set _ZN7rocprim17ROCPRIM_400000_NS6detail17trampoline_kernelINS0_14default_configENS1_35radix_sort_onesweep_config_selectorIhlEEZZNS1_29radix_sort_onesweep_iterationIS3_Lb0EPhS7_N6thrust23THRUST_200600_302600_NS10device_ptrIlEESB_jNS0_19identity_decomposerENS1_16block_id_wrapperIjLb1EEEEE10hipError_tT1_PNSt15iterator_traitsISG_E10value_typeET2_T3_PNSH_ISM_E10value_typeET4_T5_PSR_SS_PNS1_23onesweep_lookback_stateEbbT6_jjT7_P12ihipStream_tbENKUlT_T0_SG_SL_E_clIS7_S7_PlSB_EEDaSZ_S10_SG_SL_EUlSZ_E_NS1_11comp_targetILNS1_3genE2ELNS1_11target_archE906ELNS1_3gpuE6ELNS1_3repE0EEENS1_47radix_sort_onesweep_sort_config_static_selectorELNS0_4arch9wavefront6targetE1EEEvSG_.num_named_barrier, 0
	.set _ZN7rocprim17ROCPRIM_400000_NS6detail17trampoline_kernelINS0_14default_configENS1_35radix_sort_onesweep_config_selectorIhlEEZZNS1_29radix_sort_onesweep_iterationIS3_Lb0EPhS7_N6thrust23THRUST_200600_302600_NS10device_ptrIlEESB_jNS0_19identity_decomposerENS1_16block_id_wrapperIjLb1EEEEE10hipError_tT1_PNSt15iterator_traitsISG_E10value_typeET2_T3_PNSH_ISM_E10value_typeET4_T5_PSR_SS_PNS1_23onesweep_lookback_stateEbbT6_jjT7_P12ihipStream_tbENKUlT_T0_SG_SL_E_clIS7_S7_PlSB_EEDaSZ_S10_SG_SL_EUlSZ_E_NS1_11comp_targetILNS1_3genE2ELNS1_11target_archE906ELNS1_3gpuE6ELNS1_3repE0EEENS1_47radix_sort_onesweep_sort_config_static_selectorELNS0_4arch9wavefront6targetE1EEEvSG_.private_seg_size, 32
	.set _ZN7rocprim17ROCPRIM_400000_NS6detail17trampoline_kernelINS0_14default_configENS1_35radix_sort_onesweep_config_selectorIhlEEZZNS1_29radix_sort_onesweep_iterationIS3_Lb0EPhS7_N6thrust23THRUST_200600_302600_NS10device_ptrIlEESB_jNS0_19identity_decomposerENS1_16block_id_wrapperIjLb1EEEEE10hipError_tT1_PNSt15iterator_traitsISG_E10value_typeET2_T3_PNSH_ISM_E10value_typeET4_T5_PSR_SS_PNS1_23onesweep_lookback_stateEbbT6_jjT7_P12ihipStream_tbENKUlT_T0_SG_SL_E_clIS7_S7_PlSB_EEDaSZ_S10_SG_SL_EUlSZ_E_NS1_11comp_targetILNS1_3genE2ELNS1_11target_archE906ELNS1_3gpuE6ELNS1_3repE0EEENS1_47radix_sort_onesweep_sort_config_static_selectorELNS0_4arch9wavefront6targetE1EEEvSG_.uses_vcc, 1
	.set _ZN7rocprim17ROCPRIM_400000_NS6detail17trampoline_kernelINS0_14default_configENS1_35radix_sort_onesweep_config_selectorIhlEEZZNS1_29radix_sort_onesweep_iterationIS3_Lb0EPhS7_N6thrust23THRUST_200600_302600_NS10device_ptrIlEESB_jNS0_19identity_decomposerENS1_16block_id_wrapperIjLb1EEEEE10hipError_tT1_PNSt15iterator_traitsISG_E10value_typeET2_T3_PNSH_ISM_E10value_typeET4_T5_PSR_SS_PNS1_23onesweep_lookback_stateEbbT6_jjT7_P12ihipStream_tbENKUlT_T0_SG_SL_E_clIS7_S7_PlSB_EEDaSZ_S10_SG_SL_EUlSZ_E_NS1_11comp_targetILNS1_3genE2ELNS1_11target_archE906ELNS1_3gpuE6ELNS1_3repE0EEENS1_47radix_sort_onesweep_sort_config_static_selectorELNS0_4arch9wavefront6targetE1EEEvSG_.uses_flat_scratch, 0
	.set _ZN7rocprim17ROCPRIM_400000_NS6detail17trampoline_kernelINS0_14default_configENS1_35radix_sort_onesweep_config_selectorIhlEEZZNS1_29radix_sort_onesweep_iterationIS3_Lb0EPhS7_N6thrust23THRUST_200600_302600_NS10device_ptrIlEESB_jNS0_19identity_decomposerENS1_16block_id_wrapperIjLb1EEEEE10hipError_tT1_PNSt15iterator_traitsISG_E10value_typeET2_T3_PNSH_ISM_E10value_typeET4_T5_PSR_SS_PNS1_23onesweep_lookback_stateEbbT6_jjT7_P12ihipStream_tbENKUlT_T0_SG_SL_E_clIS7_S7_PlSB_EEDaSZ_S10_SG_SL_EUlSZ_E_NS1_11comp_targetILNS1_3genE2ELNS1_11target_archE906ELNS1_3gpuE6ELNS1_3repE0EEENS1_47radix_sort_onesweep_sort_config_static_selectorELNS0_4arch9wavefront6targetE1EEEvSG_.has_dyn_sized_stack, 0
	.set _ZN7rocprim17ROCPRIM_400000_NS6detail17trampoline_kernelINS0_14default_configENS1_35radix_sort_onesweep_config_selectorIhlEEZZNS1_29radix_sort_onesweep_iterationIS3_Lb0EPhS7_N6thrust23THRUST_200600_302600_NS10device_ptrIlEESB_jNS0_19identity_decomposerENS1_16block_id_wrapperIjLb1EEEEE10hipError_tT1_PNSt15iterator_traitsISG_E10value_typeET2_T3_PNSH_ISM_E10value_typeET4_T5_PSR_SS_PNS1_23onesweep_lookback_stateEbbT6_jjT7_P12ihipStream_tbENKUlT_T0_SG_SL_E_clIS7_S7_PlSB_EEDaSZ_S10_SG_SL_EUlSZ_E_NS1_11comp_targetILNS1_3genE2ELNS1_11target_archE906ELNS1_3gpuE6ELNS1_3repE0EEENS1_47radix_sort_onesweep_sort_config_static_selectorELNS0_4arch9wavefront6targetE1EEEvSG_.has_recursion, 0
	.set _ZN7rocprim17ROCPRIM_400000_NS6detail17trampoline_kernelINS0_14default_configENS1_35radix_sort_onesweep_config_selectorIhlEEZZNS1_29radix_sort_onesweep_iterationIS3_Lb0EPhS7_N6thrust23THRUST_200600_302600_NS10device_ptrIlEESB_jNS0_19identity_decomposerENS1_16block_id_wrapperIjLb1EEEEE10hipError_tT1_PNSt15iterator_traitsISG_E10value_typeET2_T3_PNSH_ISM_E10value_typeET4_T5_PSR_SS_PNS1_23onesweep_lookback_stateEbbT6_jjT7_P12ihipStream_tbENKUlT_T0_SG_SL_E_clIS7_S7_PlSB_EEDaSZ_S10_SG_SL_EUlSZ_E_NS1_11comp_targetILNS1_3genE2ELNS1_11target_archE906ELNS1_3gpuE6ELNS1_3repE0EEENS1_47radix_sort_onesweep_sort_config_static_selectorELNS0_4arch9wavefront6targetE1EEEvSG_.has_indirect_call, 0
	.section	.AMDGPU.csdata,"",@progbits
; Kernel info:
; codeLenInByte = 10212
; TotalNumSgprs: 60
; NumVgprs: 41
; ScratchSize: 32
; MemoryBound: 0
; FloatMode: 240
; IeeeMode: 1
; LDSByteSize: 10280 bytes/workgroup (compile time only)
; SGPRBlocks: 7
; VGPRBlocks: 10
; NumSGPRsForWavesPerEU: 60
; NumVGPRsForWavesPerEU: 41
; Occupancy: 5
; WaveLimiterHint : 1
; COMPUTE_PGM_RSRC2:SCRATCH_EN: 1
; COMPUTE_PGM_RSRC2:USER_SGPR: 6
; COMPUTE_PGM_RSRC2:TRAP_HANDLER: 0
; COMPUTE_PGM_RSRC2:TGID_X_EN: 1
; COMPUTE_PGM_RSRC2:TGID_Y_EN: 0
; COMPUTE_PGM_RSRC2:TGID_Z_EN: 0
; COMPUTE_PGM_RSRC2:TIDIG_COMP_CNT: 2
	.section	.text._ZN7rocprim17ROCPRIM_400000_NS6detail17trampoline_kernelINS0_14default_configENS1_35radix_sort_onesweep_config_selectorIhlEEZZNS1_29radix_sort_onesweep_iterationIS3_Lb0EPhS7_N6thrust23THRUST_200600_302600_NS10device_ptrIlEESB_jNS0_19identity_decomposerENS1_16block_id_wrapperIjLb1EEEEE10hipError_tT1_PNSt15iterator_traitsISG_E10value_typeET2_T3_PNSH_ISM_E10value_typeET4_T5_PSR_SS_PNS1_23onesweep_lookback_stateEbbT6_jjT7_P12ihipStream_tbENKUlT_T0_SG_SL_E_clIS7_S7_PlSB_EEDaSZ_S10_SG_SL_EUlSZ_E_NS1_11comp_targetILNS1_3genE4ELNS1_11target_archE910ELNS1_3gpuE8ELNS1_3repE0EEENS1_47radix_sort_onesweep_sort_config_static_selectorELNS0_4arch9wavefront6targetE1EEEvSG_,"axG",@progbits,_ZN7rocprim17ROCPRIM_400000_NS6detail17trampoline_kernelINS0_14default_configENS1_35radix_sort_onesweep_config_selectorIhlEEZZNS1_29radix_sort_onesweep_iterationIS3_Lb0EPhS7_N6thrust23THRUST_200600_302600_NS10device_ptrIlEESB_jNS0_19identity_decomposerENS1_16block_id_wrapperIjLb1EEEEE10hipError_tT1_PNSt15iterator_traitsISG_E10value_typeET2_T3_PNSH_ISM_E10value_typeET4_T5_PSR_SS_PNS1_23onesweep_lookback_stateEbbT6_jjT7_P12ihipStream_tbENKUlT_T0_SG_SL_E_clIS7_S7_PlSB_EEDaSZ_S10_SG_SL_EUlSZ_E_NS1_11comp_targetILNS1_3genE4ELNS1_11target_archE910ELNS1_3gpuE8ELNS1_3repE0EEENS1_47radix_sort_onesweep_sort_config_static_selectorELNS0_4arch9wavefront6targetE1EEEvSG_,comdat
	.protected	_ZN7rocprim17ROCPRIM_400000_NS6detail17trampoline_kernelINS0_14default_configENS1_35radix_sort_onesweep_config_selectorIhlEEZZNS1_29radix_sort_onesweep_iterationIS3_Lb0EPhS7_N6thrust23THRUST_200600_302600_NS10device_ptrIlEESB_jNS0_19identity_decomposerENS1_16block_id_wrapperIjLb1EEEEE10hipError_tT1_PNSt15iterator_traitsISG_E10value_typeET2_T3_PNSH_ISM_E10value_typeET4_T5_PSR_SS_PNS1_23onesweep_lookback_stateEbbT6_jjT7_P12ihipStream_tbENKUlT_T0_SG_SL_E_clIS7_S7_PlSB_EEDaSZ_S10_SG_SL_EUlSZ_E_NS1_11comp_targetILNS1_3genE4ELNS1_11target_archE910ELNS1_3gpuE8ELNS1_3repE0EEENS1_47radix_sort_onesweep_sort_config_static_selectorELNS0_4arch9wavefront6targetE1EEEvSG_ ; -- Begin function _ZN7rocprim17ROCPRIM_400000_NS6detail17trampoline_kernelINS0_14default_configENS1_35radix_sort_onesweep_config_selectorIhlEEZZNS1_29radix_sort_onesweep_iterationIS3_Lb0EPhS7_N6thrust23THRUST_200600_302600_NS10device_ptrIlEESB_jNS0_19identity_decomposerENS1_16block_id_wrapperIjLb1EEEEE10hipError_tT1_PNSt15iterator_traitsISG_E10value_typeET2_T3_PNSH_ISM_E10value_typeET4_T5_PSR_SS_PNS1_23onesweep_lookback_stateEbbT6_jjT7_P12ihipStream_tbENKUlT_T0_SG_SL_E_clIS7_S7_PlSB_EEDaSZ_S10_SG_SL_EUlSZ_E_NS1_11comp_targetILNS1_3genE4ELNS1_11target_archE910ELNS1_3gpuE8ELNS1_3repE0EEENS1_47radix_sort_onesweep_sort_config_static_selectorELNS0_4arch9wavefront6targetE1EEEvSG_
	.globl	_ZN7rocprim17ROCPRIM_400000_NS6detail17trampoline_kernelINS0_14default_configENS1_35radix_sort_onesweep_config_selectorIhlEEZZNS1_29radix_sort_onesweep_iterationIS3_Lb0EPhS7_N6thrust23THRUST_200600_302600_NS10device_ptrIlEESB_jNS0_19identity_decomposerENS1_16block_id_wrapperIjLb1EEEEE10hipError_tT1_PNSt15iterator_traitsISG_E10value_typeET2_T3_PNSH_ISM_E10value_typeET4_T5_PSR_SS_PNS1_23onesweep_lookback_stateEbbT6_jjT7_P12ihipStream_tbENKUlT_T0_SG_SL_E_clIS7_S7_PlSB_EEDaSZ_S10_SG_SL_EUlSZ_E_NS1_11comp_targetILNS1_3genE4ELNS1_11target_archE910ELNS1_3gpuE8ELNS1_3repE0EEENS1_47radix_sort_onesweep_sort_config_static_selectorELNS0_4arch9wavefront6targetE1EEEvSG_
	.p2align	8
	.type	_ZN7rocprim17ROCPRIM_400000_NS6detail17trampoline_kernelINS0_14default_configENS1_35radix_sort_onesweep_config_selectorIhlEEZZNS1_29radix_sort_onesweep_iterationIS3_Lb0EPhS7_N6thrust23THRUST_200600_302600_NS10device_ptrIlEESB_jNS0_19identity_decomposerENS1_16block_id_wrapperIjLb1EEEEE10hipError_tT1_PNSt15iterator_traitsISG_E10value_typeET2_T3_PNSH_ISM_E10value_typeET4_T5_PSR_SS_PNS1_23onesweep_lookback_stateEbbT6_jjT7_P12ihipStream_tbENKUlT_T0_SG_SL_E_clIS7_S7_PlSB_EEDaSZ_S10_SG_SL_EUlSZ_E_NS1_11comp_targetILNS1_3genE4ELNS1_11target_archE910ELNS1_3gpuE8ELNS1_3repE0EEENS1_47radix_sort_onesweep_sort_config_static_selectorELNS0_4arch9wavefront6targetE1EEEvSG_,@function
_ZN7rocprim17ROCPRIM_400000_NS6detail17trampoline_kernelINS0_14default_configENS1_35radix_sort_onesweep_config_selectorIhlEEZZNS1_29radix_sort_onesweep_iterationIS3_Lb0EPhS7_N6thrust23THRUST_200600_302600_NS10device_ptrIlEESB_jNS0_19identity_decomposerENS1_16block_id_wrapperIjLb1EEEEE10hipError_tT1_PNSt15iterator_traitsISG_E10value_typeET2_T3_PNSH_ISM_E10value_typeET4_T5_PSR_SS_PNS1_23onesweep_lookback_stateEbbT6_jjT7_P12ihipStream_tbENKUlT_T0_SG_SL_E_clIS7_S7_PlSB_EEDaSZ_S10_SG_SL_EUlSZ_E_NS1_11comp_targetILNS1_3genE4ELNS1_11target_archE910ELNS1_3gpuE8ELNS1_3repE0EEENS1_47radix_sort_onesweep_sort_config_static_selectorELNS0_4arch9wavefront6targetE1EEEvSG_: ; @_ZN7rocprim17ROCPRIM_400000_NS6detail17trampoline_kernelINS0_14default_configENS1_35radix_sort_onesweep_config_selectorIhlEEZZNS1_29radix_sort_onesweep_iterationIS3_Lb0EPhS7_N6thrust23THRUST_200600_302600_NS10device_ptrIlEESB_jNS0_19identity_decomposerENS1_16block_id_wrapperIjLb1EEEEE10hipError_tT1_PNSt15iterator_traitsISG_E10value_typeET2_T3_PNSH_ISM_E10value_typeET4_T5_PSR_SS_PNS1_23onesweep_lookback_stateEbbT6_jjT7_P12ihipStream_tbENKUlT_T0_SG_SL_E_clIS7_S7_PlSB_EEDaSZ_S10_SG_SL_EUlSZ_E_NS1_11comp_targetILNS1_3genE4ELNS1_11target_archE910ELNS1_3gpuE8ELNS1_3repE0EEENS1_47radix_sort_onesweep_sort_config_static_selectorELNS0_4arch9wavefront6targetE1EEEvSG_
; %bb.0:
	.section	.rodata,"a",@progbits
	.p2align	6, 0x0
	.amdhsa_kernel _ZN7rocprim17ROCPRIM_400000_NS6detail17trampoline_kernelINS0_14default_configENS1_35radix_sort_onesweep_config_selectorIhlEEZZNS1_29radix_sort_onesweep_iterationIS3_Lb0EPhS7_N6thrust23THRUST_200600_302600_NS10device_ptrIlEESB_jNS0_19identity_decomposerENS1_16block_id_wrapperIjLb1EEEEE10hipError_tT1_PNSt15iterator_traitsISG_E10value_typeET2_T3_PNSH_ISM_E10value_typeET4_T5_PSR_SS_PNS1_23onesweep_lookback_stateEbbT6_jjT7_P12ihipStream_tbENKUlT_T0_SG_SL_E_clIS7_S7_PlSB_EEDaSZ_S10_SG_SL_EUlSZ_E_NS1_11comp_targetILNS1_3genE4ELNS1_11target_archE910ELNS1_3gpuE8ELNS1_3repE0EEENS1_47radix_sort_onesweep_sort_config_static_selectorELNS0_4arch9wavefront6targetE1EEEvSG_
		.amdhsa_group_segment_fixed_size 0
		.amdhsa_private_segment_fixed_size 0
		.amdhsa_kernarg_size 88
		.amdhsa_user_sgpr_count 6
		.amdhsa_user_sgpr_private_segment_buffer 1
		.amdhsa_user_sgpr_dispatch_ptr 0
		.amdhsa_user_sgpr_queue_ptr 0
		.amdhsa_user_sgpr_kernarg_segment_ptr 1
		.amdhsa_user_sgpr_dispatch_id 0
		.amdhsa_user_sgpr_flat_scratch_init 0
		.amdhsa_user_sgpr_private_segment_size 0
		.amdhsa_uses_dynamic_stack 0
		.amdhsa_system_sgpr_private_segment_wavefront_offset 0
		.amdhsa_system_sgpr_workgroup_id_x 1
		.amdhsa_system_sgpr_workgroup_id_y 0
		.amdhsa_system_sgpr_workgroup_id_z 0
		.amdhsa_system_sgpr_workgroup_info 0
		.amdhsa_system_vgpr_workitem_id 0
		.amdhsa_next_free_vgpr 1
		.amdhsa_next_free_sgpr 0
		.amdhsa_reserve_vcc 0
		.amdhsa_reserve_flat_scratch 0
		.amdhsa_float_round_mode_32 0
		.amdhsa_float_round_mode_16_64 0
		.amdhsa_float_denorm_mode_32 3
		.amdhsa_float_denorm_mode_16_64 3
		.amdhsa_dx10_clamp 1
		.amdhsa_ieee_mode 1
		.amdhsa_fp16_overflow 0
		.amdhsa_exception_fp_ieee_invalid_op 0
		.amdhsa_exception_fp_denorm_src 0
		.amdhsa_exception_fp_ieee_div_zero 0
		.amdhsa_exception_fp_ieee_overflow 0
		.amdhsa_exception_fp_ieee_underflow 0
		.amdhsa_exception_fp_ieee_inexact 0
		.amdhsa_exception_int_div_zero 0
	.end_amdhsa_kernel
	.section	.text._ZN7rocprim17ROCPRIM_400000_NS6detail17trampoline_kernelINS0_14default_configENS1_35radix_sort_onesweep_config_selectorIhlEEZZNS1_29radix_sort_onesweep_iterationIS3_Lb0EPhS7_N6thrust23THRUST_200600_302600_NS10device_ptrIlEESB_jNS0_19identity_decomposerENS1_16block_id_wrapperIjLb1EEEEE10hipError_tT1_PNSt15iterator_traitsISG_E10value_typeET2_T3_PNSH_ISM_E10value_typeET4_T5_PSR_SS_PNS1_23onesweep_lookback_stateEbbT6_jjT7_P12ihipStream_tbENKUlT_T0_SG_SL_E_clIS7_S7_PlSB_EEDaSZ_S10_SG_SL_EUlSZ_E_NS1_11comp_targetILNS1_3genE4ELNS1_11target_archE910ELNS1_3gpuE8ELNS1_3repE0EEENS1_47radix_sort_onesweep_sort_config_static_selectorELNS0_4arch9wavefront6targetE1EEEvSG_,"axG",@progbits,_ZN7rocprim17ROCPRIM_400000_NS6detail17trampoline_kernelINS0_14default_configENS1_35radix_sort_onesweep_config_selectorIhlEEZZNS1_29radix_sort_onesweep_iterationIS3_Lb0EPhS7_N6thrust23THRUST_200600_302600_NS10device_ptrIlEESB_jNS0_19identity_decomposerENS1_16block_id_wrapperIjLb1EEEEE10hipError_tT1_PNSt15iterator_traitsISG_E10value_typeET2_T3_PNSH_ISM_E10value_typeET4_T5_PSR_SS_PNS1_23onesweep_lookback_stateEbbT6_jjT7_P12ihipStream_tbENKUlT_T0_SG_SL_E_clIS7_S7_PlSB_EEDaSZ_S10_SG_SL_EUlSZ_E_NS1_11comp_targetILNS1_3genE4ELNS1_11target_archE910ELNS1_3gpuE8ELNS1_3repE0EEENS1_47radix_sort_onesweep_sort_config_static_selectorELNS0_4arch9wavefront6targetE1EEEvSG_,comdat
.Lfunc_end286:
	.size	_ZN7rocprim17ROCPRIM_400000_NS6detail17trampoline_kernelINS0_14default_configENS1_35radix_sort_onesweep_config_selectorIhlEEZZNS1_29radix_sort_onesweep_iterationIS3_Lb0EPhS7_N6thrust23THRUST_200600_302600_NS10device_ptrIlEESB_jNS0_19identity_decomposerENS1_16block_id_wrapperIjLb1EEEEE10hipError_tT1_PNSt15iterator_traitsISG_E10value_typeET2_T3_PNSH_ISM_E10value_typeET4_T5_PSR_SS_PNS1_23onesweep_lookback_stateEbbT6_jjT7_P12ihipStream_tbENKUlT_T0_SG_SL_E_clIS7_S7_PlSB_EEDaSZ_S10_SG_SL_EUlSZ_E_NS1_11comp_targetILNS1_3genE4ELNS1_11target_archE910ELNS1_3gpuE8ELNS1_3repE0EEENS1_47radix_sort_onesweep_sort_config_static_selectorELNS0_4arch9wavefront6targetE1EEEvSG_, .Lfunc_end286-_ZN7rocprim17ROCPRIM_400000_NS6detail17trampoline_kernelINS0_14default_configENS1_35radix_sort_onesweep_config_selectorIhlEEZZNS1_29radix_sort_onesweep_iterationIS3_Lb0EPhS7_N6thrust23THRUST_200600_302600_NS10device_ptrIlEESB_jNS0_19identity_decomposerENS1_16block_id_wrapperIjLb1EEEEE10hipError_tT1_PNSt15iterator_traitsISG_E10value_typeET2_T3_PNSH_ISM_E10value_typeET4_T5_PSR_SS_PNS1_23onesweep_lookback_stateEbbT6_jjT7_P12ihipStream_tbENKUlT_T0_SG_SL_E_clIS7_S7_PlSB_EEDaSZ_S10_SG_SL_EUlSZ_E_NS1_11comp_targetILNS1_3genE4ELNS1_11target_archE910ELNS1_3gpuE8ELNS1_3repE0EEENS1_47radix_sort_onesweep_sort_config_static_selectorELNS0_4arch9wavefront6targetE1EEEvSG_
                                        ; -- End function
	.set _ZN7rocprim17ROCPRIM_400000_NS6detail17trampoline_kernelINS0_14default_configENS1_35radix_sort_onesweep_config_selectorIhlEEZZNS1_29radix_sort_onesweep_iterationIS3_Lb0EPhS7_N6thrust23THRUST_200600_302600_NS10device_ptrIlEESB_jNS0_19identity_decomposerENS1_16block_id_wrapperIjLb1EEEEE10hipError_tT1_PNSt15iterator_traitsISG_E10value_typeET2_T3_PNSH_ISM_E10value_typeET4_T5_PSR_SS_PNS1_23onesweep_lookback_stateEbbT6_jjT7_P12ihipStream_tbENKUlT_T0_SG_SL_E_clIS7_S7_PlSB_EEDaSZ_S10_SG_SL_EUlSZ_E_NS1_11comp_targetILNS1_3genE4ELNS1_11target_archE910ELNS1_3gpuE8ELNS1_3repE0EEENS1_47radix_sort_onesweep_sort_config_static_selectorELNS0_4arch9wavefront6targetE1EEEvSG_.num_vgpr, 0
	.set _ZN7rocprim17ROCPRIM_400000_NS6detail17trampoline_kernelINS0_14default_configENS1_35radix_sort_onesweep_config_selectorIhlEEZZNS1_29radix_sort_onesweep_iterationIS3_Lb0EPhS7_N6thrust23THRUST_200600_302600_NS10device_ptrIlEESB_jNS0_19identity_decomposerENS1_16block_id_wrapperIjLb1EEEEE10hipError_tT1_PNSt15iterator_traitsISG_E10value_typeET2_T3_PNSH_ISM_E10value_typeET4_T5_PSR_SS_PNS1_23onesweep_lookback_stateEbbT6_jjT7_P12ihipStream_tbENKUlT_T0_SG_SL_E_clIS7_S7_PlSB_EEDaSZ_S10_SG_SL_EUlSZ_E_NS1_11comp_targetILNS1_3genE4ELNS1_11target_archE910ELNS1_3gpuE8ELNS1_3repE0EEENS1_47radix_sort_onesweep_sort_config_static_selectorELNS0_4arch9wavefront6targetE1EEEvSG_.num_agpr, 0
	.set _ZN7rocprim17ROCPRIM_400000_NS6detail17trampoline_kernelINS0_14default_configENS1_35radix_sort_onesweep_config_selectorIhlEEZZNS1_29radix_sort_onesweep_iterationIS3_Lb0EPhS7_N6thrust23THRUST_200600_302600_NS10device_ptrIlEESB_jNS0_19identity_decomposerENS1_16block_id_wrapperIjLb1EEEEE10hipError_tT1_PNSt15iterator_traitsISG_E10value_typeET2_T3_PNSH_ISM_E10value_typeET4_T5_PSR_SS_PNS1_23onesweep_lookback_stateEbbT6_jjT7_P12ihipStream_tbENKUlT_T0_SG_SL_E_clIS7_S7_PlSB_EEDaSZ_S10_SG_SL_EUlSZ_E_NS1_11comp_targetILNS1_3genE4ELNS1_11target_archE910ELNS1_3gpuE8ELNS1_3repE0EEENS1_47radix_sort_onesweep_sort_config_static_selectorELNS0_4arch9wavefront6targetE1EEEvSG_.numbered_sgpr, 0
	.set _ZN7rocprim17ROCPRIM_400000_NS6detail17trampoline_kernelINS0_14default_configENS1_35radix_sort_onesweep_config_selectorIhlEEZZNS1_29radix_sort_onesweep_iterationIS3_Lb0EPhS7_N6thrust23THRUST_200600_302600_NS10device_ptrIlEESB_jNS0_19identity_decomposerENS1_16block_id_wrapperIjLb1EEEEE10hipError_tT1_PNSt15iterator_traitsISG_E10value_typeET2_T3_PNSH_ISM_E10value_typeET4_T5_PSR_SS_PNS1_23onesweep_lookback_stateEbbT6_jjT7_P12ihipStream_tbENKUlT_T0_SG_SL_E_clIS7_S7_PlSB_EEDaSZ_S10_SG_SL_EUlSZ_E_NS1_11comp_targetILNS1_3genE4ELNS1_11target_archE910ELNS1_3gpuE8ELNS1_3repE0EEENS1_47radix_sort_onesweep_sort_config_static_selectorELNS0_4arch9wavefront6targetE1EEEvSG_.num_named_barrier, 0
	.set _ZN7rocprim17ROCPRIM_400000_NS6detail17trampoline_kernelINS0_14default_configENS1_35radix_sort_onesweep_config_selectorIhlEEZZNS1_29radix_sort_onesweep_iterationIS3_Lb0EPhS7_N6thrust23THRUST_200600_302600_NS10device_ptrIlEESB_jNS0_19identity_decomposerENS1_16block_id_wrapperIjLb1EEEEE10hipError_tT1_PNSt15iterator_traitsISG_E10value_typeET2_T3_PNSH_ISM_E10value_typeET4_T5_PSR_SS_PNS1_23onesweep_lookback_stateEbbT6_jjT7_P12ihipStream_tbENKUlT_T0_SG_SL_E_clIS7_S7_PlSB_EEDaSZ_S10_SG_SL_EUlSZ_E_NS1_11comp_targetILNS1_3genE4ELNS1_11target_archE910ELNS1_3gpuE8ELNS1_3repE0EEENS1_47radix_sort_onesweep_sort_config_static_selectorELNS0_4arch9wavefront6targetE1EEEvSG_.private_seg_size, 0
	.set _ZN7rocprim17ROCPRIM_400000_NS6detail17trampoline_kernelINS0_14default_configENS1_35radix_sort_onesweep_config_selectorIhlEEZZNS1_29radix_sort_onesweep_iterationIS3_Lb0EPhS7_N6thrust23THRUST_200600_302600_NS10device_ptrIlEESB_jNS0_19identity_decomposerENS1_16block_id_wrapperIjLb1EEEEE10hipError_tT1_PNSt15iterator_traitsISG_E10value_typeET2_T3_PNSH_ISM_E10value_typeET4_T5_PSR_SS_PNS1_23onesweep_lookback_stateEbbT6_jjT7_P12ihipStream_tbENKUlT_T0_SG_SL_E_clIS7_S7_PlSB_EEDaSZ_S10_SG_SL_EUlSZ_E_NS1_11comp_targetILNS1_3genE4ELNS1_11target_archE910ELNS1_3gpuE8ELNS1_3repE0EEENS1_47radix_sort_onesweep_sort_config_static_selectorELNS0_4arch9wavefront6targetE1EEEvSG_.uses_vcc, 0
	.set _ZN7rocprim17ROCPRIM_400000_NS6detail17trampoline_kernelINS0_14default_configENS1_35radix_sort_onesweep_config_selectorIhlEEZZNS1_29radix_sort_onesweep_iterationIS3_Lb0EPhS7_N6thrust23THRUST_200600_302600_NS10device_ptrIlEESB_jNS0_19identity_decomposerENS1_16block_id_wrapperIjLb1EEEEE10hipError_tT1_PNSt15iterator_traitsISG_E10value_typeET2_T3_PNSH_ISM_E10value_typeET4_T5_PSR_SS_PNS1_23onesweep_lookback_stateEbbT6_jjT7_P12ihipStream_tbENKUlT_T0_SG_SL_E_clIS7_S7_PlSB_EEDaSZ_S10_SG_SL_EUlSZ_E_NS1_11comp_targetILNS1_3genE4ELNS1_11target_archE910ELNS1_3gpuE8ELNS1_3repE0EEENS1_47radix_sort_onesweep_sort_config_static_selectorELNS0_4arch9wavefront6targetE1EEEvSG_.uses_flat_scratch, 0
	.set _ZN7rocprim17ROCPRIM_400000_NS6detail17trampoline_kernelINS0_14default_configENS1_35radix_sort_onesweep_config_selectorIhlEEZZNS1_29radix_sort_onesweep_iterationIS3_Lb0EPhS7_N6thrust23THRUST_200600_302600_NS10device_ptrIlEESB_jNS0_19identity_decomposerENS1_16block_id_wrapperIjLb1EEEEE10hipError_tT1_PNSt15iterator_traitsISG_E10value_typeET2_T3_PNSH_ISM_E10value_typeET4_T5_PSR_SS_PNS1_23onesweep_lookback_stateEbbT6_jjT7_P12ihipStream_tbENKUlT_T0_SG_SL_E_clIS7_S7_PlSB_EEDaSZ_S10_SG_SL_EUlSZ_E_NS1_11comp_targetILNS1_3genE4ELNS1_11target_archE910ELNS1_3gpuE8ELNS1_3repE0EEENS1_47radix_sort_onesweep_sort_config_static_selectorELNS0_4arch9wavefront6targetE1EEEvSG_.has_dyn_sized_stack, 0
	.set _ZN7rocprim17ROCPRIM_400000_NS6detail17trampoline_kernelINS0_14default_configENS1_35radix_sort_onesweep_config_selectorIhlEEZZNS1_29radix_sort_onesweep_iterationIS3_Lb0EPhS7_N6thrust23THRUST_200600_302600_NS10device_ptrIlEESB_jNS0_19identity_decomposerENS1_16block_id_wrapperIjLb1EEEEE10hipError_tT1_PNSt15iterator_traitsISG_E10value_typeET2_T3_PNSH_ISM_E10value_typeET4_T5_PSR_SS_PNS1_23onesweep_lookback_stateEbbT6_jjT7_P12ihipStream_tbENKUlT_T0_SG_SL_E_clIS7_S7_PlSB_EEDaSZ_S10_SG_SL_EUlSZ_E_NS1_11comp_targetILNS1_3genE4ELNS1_11target_archE910ELNS1_3gpuE8ELNS1_3repE0EEENS1_47radix_sort_onesweep_sort_config_static_selectorELNS0_4arch9wavefront6targetE1EEEvSG_.has_recursion, 0
	.set _ZN7rocprim17ROCPRIM_400000_NS6detail17trampoline_kernelINS0_14default_configENS1_35radix_sort_onesweep_config_selectorIhlEEZZNS1_29radix_sort_onesweep_iterationIS3_Lb0EPhS7_N6thrust23THRUST_200600_302600_NS10device_ptrIlEESB_jNS0_19identity_decomposerENS1_16block_id_wrapperIjLb1EEEEE10hipError_tT1_PNSt15iterator_traitsISG_E10value_typeET2_T3_PNSH_ISM_E10value_typeET4_T5_PSR_SS_PNS1_23onesweep_lookback_stateEbbT6_jjT7_P12ihipStream_tbENKUlT_T0_SG_SL_E_clIS7_S7_PlSB_EEDaSZ_S10_SG_SL_EUlSZ_E_NS1_11comp_targetILNS1_3genE4ELNS1_11target_archE910ELNS1_3gpuE8ELNS1_3repE0EEENS1_47radix_sort_onesweep_sort_config_static_selectorELNS0_4arch9wavefront6targetE1EEEvSG_.has_indirect_call, 0
	.section	.AMDGPU.csdata,"",@progbits
; Kernel info:
; codeLenInByte = 0
; TotalNumSgprs: 4
; NumVgprs: 0
; ScratchSize: 0
; MemoryBound: 0
; FloatMode: 240
; IeeeMode: 1
; LDSByteSize: 0 bytes/workgroup (compile time only)
; SGPRBlocks: 0
; VGPRBlocks: 0
; NumSGPRsForWavesPerEU: 4
; NumVGPRsForWavesPerEU: 1
; Occupancy: 10
; WaveLimiterHint : 0
; COMPUTE_PGM_RSRC2:SCRATCH_EN: 0
; COMPUTE_PGM_RSRC2:USER_SGPR: 6
; COMPUTE_PGM_RSRC2:TRAP_HANDLER: 0
; COMPUTE_PGM_RSRC2:TGID_X_EN: 1
; COMPUTE_PGM_RSRC2:TGID_Y_EN: 0
; COMPUTE_PGM_RSRC2:TGID_Z_EN: 0
; COMPUTE_PGM_RSRC2:TIDIG_COMP_CNT: 0
	.section	.text._ZN7rocprim17ROCPRIM_400000_NS6detail17trampoline_kernelINS0_14default_configENS1_35radix_sort_onesweep_config_selectorIhlEEZZNS1_29radix_sort_onesweep_iterationIS3_Lb0EPhS7_N6thrust23THRUST_200600_302600_NS10device_ptrIlEESB_jNS0_19identity_decomposerENS1_16block_id_wrapperIjLb1EEEEE10hipError_tT1_PNSt15iterator_traitsISG_E10value_typeET2_T3_PNSH_ISM_E10value_typeET4_T5_PSR_SS_PNS1_23onesweep_lookback_stateEbbT6_jjT7_P12ihipStream_tbENKUlT_T0_SG_SL_E_clIS7_S7_PlSB_EEDaSZ_S10_SG_SL_EUlSZ_E_NS1_11comp_targetILNS1_3genE3ELNS1_11target_archE908ELNS1_3gpuE7ELNS1_3repE0EEENS1_47radix_sort_onesweep_sort_config_static_selectorELNS0_4arch9wavefront6targetE1EEEvSG_,"axG",@progbits,_ZN7rocprim17ROCPRIM_400000_NS6detail17trampoline_kernelINS0_14default_configENS1_35radix_sort_onesweep_config_selectorIhlEEZZNS1_29radix_sort_onesweep_iterationIS3_Lb0EPhS7_N6thrust23THRUST_200600_302600_NS10device_ptrIlEESB_jNS0_19identity_decomposerENS1_16block_id_wrapperIjLb1EEEEE10hipError_tT1_PNSt15iterator_traitsISG_E10value_typeET2_T3_PNSH_ISM_E10value_typeET4_T5_PSR_SS_PNS1_23onesweep_lookback_stateEbbT6_jjT7_P12ihipStream_tbENKUlT_T0_SG_SL_E_clIS7_S7_PlSB_EEDaSZ_S10_SG_SL_EUlSZ_E_NS1_11comp_targetILNS1_3genE3ELNS1_11target_archE908ELNS1_3gpuE7ELNS1_3repE0EEENS1_47radix_sort_onesweep_sort_config_static_selectorELNS0_4arch9wavefront6targetE1EEEvSG_,comdat
	.protected	_ZN7rocprim17ROCPRIM_400000_NS6detail17trampoline_kernelINS0_14default_configENS1_35radix_sort_onesweep_config_selectorIhlEEZZNS1_29radix_sort_onesweep_iterationIS3_Lb0EPhS7_N6thrust23THRUST_200600_302600_NS10device_ptrIlEESB_jNS0_19identity_decomposerENS1_16block_id_wrapperIjLb1EEEEE10hipError_tT1_PNSt15iterator_traitsISG_E10value_typeET2_T3_PNSH_ISM_E10value_typeET4_T5_PSR_SS_PNS1_23onesweep_lookback_stateEbbT6_jjT7_P12ihipStream_tbENKUlT_T0_SG_SL_E_clIS7_S7_PlSB_EEDaSZ_S10_SG_SL_EUlSZ_E_NS1_11comp_targetILNS1_3genE3ELNS1_11target_archE908ELNS1_3gpuE7ELNS1_3repE0EEENS1_47radix_sort_onesweep_sort_config_static_selectorELNS0_4arch9wavefront6targetE1EEEvSG_ ; -- Begin function _ZN7rocprim17ROCPRIM_400000_NS6detail17trampoline_kernelINS0_14default_configENS1_35radix_sort_onesweep_config_selectorIhlEEZZNS1_29radix_sort_onesweep_iterationIS3_Lb0EPhS7_N6thrust23THRUST_200600_302600_NS10device_ptrIlEESB_jNS0_19identity_decomposerENS1_16block_id_wrapperIjLb1EEEEE10hipError_tT1_PNSt15iterator_traitsISG_E10value_typeET2_T3_PNSH_ISM_E10value_typeET4_T5_PSR_SS_PNS1_23onesweep_lookback_stateEbbT6_jjT7_P12ihipStream_tbENKUlT_T0_SG_SL_E_clIS7_S7_PlSB_EEDaSZ_S10_SG_SL_EUlSZ_E_NS1_11comp_targetILNS1_3genE3ELNS1_11target_archE908ELNS1_3gpuE7ELNS1_3repE0EEENS1_47radix_sort_onesweep_sort_config_static_selectorELNS0_4arch9wavefront6targetE1EEEvSG_
	.globl	_ZN7rocprim17ROCPRIM_400000_NS6detail17trampoline_kernelINS0_14default_configENS1_35radix_sort_onesweep_config_selectorIhlEEZZNS1_29radix_sort_onesweep_iterationIS3_Lb0EPhS7_N6thrust23THRUST_200600_302600_NS10device_ptrIlEESB_jNS0_19identity_decomposerENS1_16block_id_wrapperIjLb1EEEEE10hipError_tT1_PNSt15iterator_traitsISG_E10value_typeET2_T3_PNSH_ISM_E10value_typeET4_T5_PSR_SS_PNS1_23onesweep_lookback_stateEbbT6_jjT7_P12ihipStream_tbENKUlT_T0_SG_SL_E_clIS7_S7_PlSB_EEDaSZ_S10_SG_SL_EUlSZ_E_NS1_11comp_targetILNS1_3genE3ELNS1_11target_archE908ELNS1_3gpuE7ELNS1_3repE0EEENS1_47radix_sort_onesweep_sort_config_static_selectorELNS0_4arch9wavefront6targetE1EEEvSG_
	.p2align	8
	.type	_ZN7rocprim17ROCPRIM_400000_NS6detail17trampoline_kernelINS0_14default_configENS1_35radix_sort_onesweep_config_selectorIhlEEZZNS1_29radix_sort_onesweep_iterationIS3_Lb0EPhS7_N6thrust23THRUST_200600_302600_NS10device_ptrIlEESB_jNS0_19identity_decomposerENS1_16block_id_wrapperIjLb1EEEEE10hipError_tT1_PNSt15iterator_traitsISG_E10value_typeET2_T3_PNSH_ISM_E10value_typeET4_T5_PSR_SS_PNS1_23onesweep_lookback_stateEbbT6_jjT7_P12ihipStream_tbENKUlT_T0_SG_SL_E_clIS7_S7_PlSB_EEDaSZ_S10_SG_SL_EUlSZ_E_NS1_11comp_targetILNS1_3genE3ELNS1_11target_archE908ELNS1_3gpuE7ELNS1_3repE0EEENS1_47radix_sort_onesweep_sort_config_static_selectorELNS0_4arch9wavefront6targetE1EEEvSG_,@function
_ZN7rocprim17ROCPRIM_400000_NS6detail17trampoline_kernelINS0_14default_configENS1_35radix_sort_onesweep_config_selectorIhlEEZZNS1_29radix_sort_onesweep_iterationIS3_Lb0EPhS7_N6thrust23THRUST_200600_302600_NS10device_ptrIlEESB_jNS0_19identity_decomposerENS1_16block_id_wrapperIjLb1EEEEE10hipError_tT1_PNSt15iterator_traitsISG_E10value_typeET2_T3_PNSH_ISM_E10value_typeET4_T5_PSR_SS_PNS1_23onesweep_lookback_stateEbbT6_jjT7_P12ihipStream_tbENKUlT_T0_SG_SL_E_clIS7_S7_PlSB_EEDaSZ_S10_SG_SL_EUlSZ_E_NS1_11comp_targetILNS1_3genE3ELNS1_11target_archE908ELNS1_3gpuE7ELNS1_3repE0EEENS1_47radix_sort_onesweep_sort_config_static_selectorELNS0_4arch9wavefront6targetE1EEEvSG_: ; @_ZN7rocprim17ROCPRIM_400000_NS6detail17trampoline_kernelINS0_14default_configENS1_35radix_sort_onesweep_config_selectorIhlEEZZNS1_29radix_sort_onesweep_iterationIS3_Lb0EPhS7_N6thrust23THRUST_200600_302600_NS10device_ptrIlEESB_jNS0_19identity_decomposerENS1_16block_id_wrapperIjLb1EEEEE10hipError_tT1_PNSt15iterator_traitsISG_E10value_typeET2_T3_PNSH_ISM_E10value_typeET4_T5_PSR_SS_PNS1_23onesweep_lookback_stateEbbT6_jjT7_P12ihipStream_tbENKUlT_T0_SG_SL_E_clIS7_S7_PlSB_EEDaSZ_S10_SG_SL_EUlSZ_E_NS1_11comp_targetILNS1_3genE3ELNS1_11target_archE908ELNS1_3gpuE7ELNS1_3repE0EEENS1_47radix_sort_onesweep_sort_config_static_selectorELNS0_4arch9wavefront6targetE1EEEvSG_
; %bb.0:
	.section	.rodata,"a",@progbits
	.p2align	6, 0x0
	.amdhsa_kernel _ZN7rocprim17ROCPRIM_400000_NS6detail17trampoline_kernelINS0_14default_configENS1_35radix_sort_onesweep_config_selectorIhlEEZZNS1_29radix_sort_onesweep_iterationIS3_Lb0EPhS7_N6thrust23THRUST_200600_302600_NS10device_ptrIlEESB_jNS0_19identity_decomposerENS1_16block_id_wrapperIjLb1EEEEE10hipError_tT1_PNSt15iterator_traitsISG_E10value_typeET2_T3_PNSH_ISM_E10value_typeET4_T5_PSR_SS_PNS1_23onesweep_lookback_stateEbbT6_jjT7_P12ihipStream_tbENKUlT_T0_SG_SL_E_clIS7_S7_PlSB_EEDaSZ_S10_SG_SL_EUlSZ_E_NS1_11comp_targetILNS1_3genE3ELNS1_11target_archE908ELNS1_3gpuE7ELNS1_3repE0EEENS1_47radix_sort_onesweep_sort_config_static_selectorELNS0_4arch9wavefront6targetE1EEEvSG_
		.amdhsa_group_segment_fixed_size 0
		.amdhsa_private_segment_fixed_size 0
		.amdhsa_kernarg_size 88
		.amdhsa_user_sgpr_count 6
		.amdhsa_user_sgpr_private_segment_buffer 1
		.amdhsa_user_sgpr_dispatch_ptr 0
		.amdhsa_user_sgpr_queue_ptr 0
		.amdhsa_user_sgpr_kernarg_segment_ptr 1
		.amdhsa_user_sgpr_dispatch_id 0
		.amdhsa_user_sgpr_flat_scratch_init 0
		.amdhsa_user_sgpr_private_segment_size 0
		.amdhsa_uses_dynamic_stack 0
		.amdhsa_system_sgpr_private_segment_wavefront_offset 0
		.amdhsa_system_sgpr_workgroup_id_x 1
		.amdhsa_system_sgpr_workgroup_id_y 0
		.amdhsa_system_sgpr_workgroup_id_z 0
		.amdhsa_system_sgpr_workgroup_info 0
		.amdhsa_system_vgpr_workitem_id 0
		.amdhsa_next_free_vgpr 1
		.amdhsa_next_free_sgpr 0
		.amdhsa_reserve_vcc 0
		.amdhsa_reserve_flat_scratch 0
		.amdhsa_float_round_mode_32 0
		.amdhsa_float_round_mode_16_64 0
		.amdhsa_float_denorm_mode_32 3
		.amdhsa_float_denorm_mode_16_64 3
		.amdhsa_dx10_clamp 1
		.amdhsa_ieee_mode 1
		.amdhsa_fp16_overflow 0
		.amdhsa_exception_fp_ieee_invalid_op 0
		.amdhsa_exception_fp_denorm_src 0
		.amdhsa_exception_fp_ieee_div_zero 0
		.amdhsa_exception_fp_ieee_overflow 0
		.amdhsa_exception_fp_ieee_underflow 0
		.amdhsa_exception_fp_ieee_inexact 0
		.amdhsa_exception_int_div_zero 0
	.end_amdhsa_kernel
	.section	.text._ZN7rocprim17ROCPRIM_400000_NS6detail17trampoline_kernelINS0_14default_configENS1_35radix_sort_onesweep_config_selectorIhlEEZZNS1_29radix_sort_onesweep_iterationIS3_Lb0EPhS7_N6thrust23THRUST_200600_302600_NS10device_ptrIlEESB_jNS0_19identity_decomposerENS1_16block_id_wrapperIjLb1EEEEE10hipError_tT1_PNSt15iterator_traitsISG_E10value_typeET2_T3_PNSH_ISM_E10value_typeET4_T5_PSR_SS_PNS1_23onesweep_lookback_stateEbbT6_jjT7_P12ihipStream_tbENKUlT_T0_SG_SL_E_clIS7_S7_PlSB_EEDaSZ_S10_SG_SL_EUlSZ_E_NS1_11comp_targetILNS1_3genE3ELNS1_11target_archE908ELNS1_3gpuE7ELNS1_3repE0EEENS1_47radix_sort_onesweep_sort_config_static_selectorELNS0_4arch9wavefront6targetE1EEEvSG_,"axG",@progbits,_ZN7rocprim17ROCPRIM_400000_NS6detail17trampoline_kernelINS0_14default_configENS1_35radix_sort_onesweep_config_selectorIhlEEZZNS1_29radix_sort_onesweep_iterationIS3_Lb0EPhS7_N6thrust23THRUST_200600_302600_NS10device_ptrIlEESB_jNS0_19identity_decomposerENS1_16block_id_wrapperIjLb1EEEEE10hipError_tT1_PNSt15iterator_traitsISG_E10value_typeET2_T3_PNSH_ISM_E10value_typeET4_T5_PSR_SS_PNS1_23onesweep_lookback_stateEbbT6_jjT7_P12ihipStream_tbENKUlT_T0_SG_SL_E_clIS7_S7_PlSB_EEDaSZ_S10_SG_SL_EUlSZ_E_NS1_11comp_targetILNS1_3genE3ELNS1_11target_archE908ELNS1_3gpuE7ELNS1_3repE0EEENS1_47radix_sort_onesweep_sort_config_static_selectorELNS0_4arch9wavefront6targetE1EEEvSG_,comdat
.Lfunc_end287:
	.size	_ZN7rocprim17ROCPRIM_400000_NS6detail17trampoline_kernelINS0_14default_configENS1_35radix_sort_onesweep_config_selectorIhlEEZZNS1_29radix_sort_onesweep_iterationIS3_Lb0EPhS7_N6thrust23THRUST_200600_302600_NS10device_ptrIlEESB_jNS0_19identity_decomposerENS1_16block_id_wrapperIjLb1EEEEE10hipError_tT1_PNSt15iterator_traitsISG_E10value_typeET2_T3_PNSH_ISM_E10value_typeET4_T5_PSR_SS_PNS1_23onesweep_lookback_stateEbbT6_jjT7_P12ihipStream_tbENKUlT_T0_SG_SL_E_clIS7_S7_PlSB_EEDaSZ_S10_SG_SL_EUlSZ_E_NS1_11comp_targetILNS1_3genE3ELNS1_11target_archE908ELNS1_3gpuE7ELNS1_3repE0EEENS1_47radix_sort_onesweep_sort_config_static_selectorELNS0_4arch9wavefront6targetE1EEEvSG_, .Lfunc_end287-_ZN7rocprim17ROCPRIM_400000_NS6detail17trampoline_kernelINS0_14default_configENS1_35radix_sort_onesweep_config_selectorIhlEEZZNS1_29radix_sort_onesweep_iterationIS3_Lb0EPhS7_N6thrust23THRUST_200600_302600_NS10device_ptrIlEESB_jNS0_19identity_decomposerENS1_16block_id_wrapperIjLb1EEEEE10hipError_tT1_PNSt15iterator_traitsISG_E10value_typeET2_T3_PNSH_ISM_E10value_typeET4_T5_PSR_SS_PNS1_23onesweep_lookback_stateEbbT6_jjT7_P12ihipStream_tbENKUlT_T0_SG_SL_E_clIS7_S7_PlSB_EEDaSZ_S10_SG_SL_EUlSZ_E_NS1_11comp_targetILNS1_3genE3ELNS1_11target_archE908ELNS1_3gpuE7ELNS1_3repE0EEENS1_47radix_sort_onesweep_sort_config_static_selectorELNS0_4arch9wavefront6targetE1EEEvSG_
                                        ; -- End function
	.set _ZN7rocprim17ROCPRIM_400000_NS6detail17trampoline_kernelINS0_14default_configENS1_35radix_sort_onesweep_config_selectorIhlEEZZNS1_29radix_sort_onesweep_iterationIS3_Lb0EPhS7_N6thrust23THRUST_200600_302600_NS10device_ptrIlEESB_jNS0_19identity_decomposerENS1_16block_id_wrapperIjLb1EEEEE10hipError_tT1_PNSt15iterator_traitsISG_E10value_typeET2_T3_PNSH_ISM_E10value_typeET4_T5_PSR_SS_PNS1_23onesweep_lookback_stateEbbT6_jjT7_P12ihipStream_tbENKUlT_T0_SG_SL_E_clIS7_S7_PlSB_EEDaSZ_S10_SG_SL_EUlSZ_E_NS1_11comp_targetILNS1_3genE3ELNS1_11target_archE908ELNS1_3gpuE7ELNS1_3repE0EEENS1_47radix_sort_onesweep_sort_config_static_selectorELNS0_4arch9wavefront6targetE1EEEvSG_.num_vgpr, 0
	.set _ZN7rocprim17ROCPRIM_400000_NS6detail17trampoline_kernelINS0_14default_configENS1_35radix_sort_onesweep_config_selectorIhlEEZZNS1_29radix_sort_onesweep_iterationIS3_Lb0EPhS7_N6thrust23THRUST_200600_302600_NS10device_ptrIlEESB_jNS0_19identity_decomposerENS1_16block_id_wrapperIjLb1EEEEE10hipError_tT1_PNSt15iterator_traitsISG_E10value_typeET2_T3_PNSH_ISM_E10value_typeET4_T5_PSR_SS_PNS1_23onesweep_lookback_stateEbbT6_jjT7_P12ihipStream_tbENKUlT_T0_SG_SL_E_clIS7_S7_PlSB_EEDaSZ_S10_SG_SL_EUlSZ_E_NS1_11comp_targetILNS1_3genE3ELNS1_11target_archE908ELNS1_3gpuE7ELNS1_3repE0EEENS1_47radix_sort_onesweep_sort_config_static_selectorELNS0_4arch9wavefront6targetE1EEEvSG_.num_agpr, 0
	.set _ZN7rocprim17ROCPRIM_400000_NS6detail17trampoline_kernelINS0_14default_configENS1_35radix_sort_onesweep_config_selectorIhlEEZZNS1_29radix_sort_onesweep_iterationIS3_Lb0EPhS7_N6thrust23THRUST_200600_302600_NS10device_ptrIlEESB_jNS0_19identity_decomposerENS1_16block_id_wrapperIjLb1EEEEE10hipError_tT1_PNSt15iterator_traitsISG_E10value_typeET2_T3_PNSH_ISM_E10value_typeET4_T5_PSR_SS_PNS1_23onesweep_lookback_stateEbbT6_jjT7_P12ihipStream_tbENKUlT_T0_SG_SL_E_clIS7_S7_PlSB_EEDaSZ_S10_SG_SL_EUlSZ_E_NS1_11comp_targetILNS1_3genE3ELNS1_11target_archE908ELNS1_3gpuE7ELNS1_3repE0EEENS1_47radix_sort_onesweep_sort_config_static_selectorELNS0_4arch9wavefront6targetE1EEEvSG_.numbered_sgpr, 0
	.set _ZN7rocprim17ROCPRIM_400000_NS6detail17trampoline_kernelINS0_14default_configENS1_35radix_sort_onesweep_config_selectorIhlEEZZNS1_29radix_sort_onesweep_iterationIS3_Lb0EPhS7_N6thrust23THRUST_200600_302600_NS10device_ptrIlEESB_jNS0_19identity_decomposerENS1_16block_id_wrapperIjLb1EEEEE10hipError_tT1_PNSt15iterator_traitsISG_E10value_typeET2_T3_PNSH_ISM_E10value_typeET4_T5_PSR_SS_PNS1_23onesweep_lookback_stateEbbT6_jjT7_P12ihipStream_tbENKUlT_T0_SG_SL_E_clIS7_S7_PlSB_EEDaSZ_S10_SG_SL_EUlSZ_E_NS1_11comp_targetILNS1_3genE3ELNS1_11target_archE908ELNS1_3gpuE7ELNS1_3repE0EEENS1_47radix_sort_onesweep_sort_config_static_selectorELNS0_4arch9wavefront6targetE1EEEvSG_.num_named_barrier, 0
	.set _ZN7rocprim17ROCPRIM_400000_NS6detail17trampoline_kernelINS0_14default_configENS1_35radix_sort_onesweep_config_selectorIhlEEZZNS1_29radix_sort_onesweep_iterationIS3_Lb0EPhS7_N6thrust23THRUST_200600_302600_NS10device_ptrIlEESB_jNS0_19identity_decomposerENS1_16block_id_wrapperIjLb1EEEEE10hipError_tT1_PNSt15iterator_traitsISG_E10value_typeET2_T3_PNSH_ISM_E10value_typeET4_T5_PSR_SS_PNS1_23onesweep_lookback_stateEbbT6_jjT7_P12ihipStream_tbENKUlT_T0_SG_SL_E_clIS7_S7_PlSB_EEDaSZ_S10_SG_SL_EUlSZ_E_NS1_11comp_targetILNS1_3genE3ELNS1_11target_archE908ELNS1_3gpuE7ELNS1_3repE0EEENS1_47radix_sort_onesweep_sort_config_static_selectorELNS0_4arch9wavefront6targetE1EEEvSG_.private_seg_size, 0
	.set _ZN7rocprim17ROCPRIM_400000_NS6detail17trampoline_kernelINS0_14default_configENS1_35radix_sort_onesweep_config_selectorIhlEEZZNS1_29radix_sort_onesweep_iterationIS3_Lb0EPhS7_N6thrust23THRUST_200600_302600_NS10device_ptrIlEESB_jNS0_19identity_decomposerENS1_16block_id_wrapperIjLb1EEEEE10hipError_tT1_PNSt15iterator_traitsISG_E10value_typeET2_T3_PNSH_ISM_E10value_typeET4_T5_PSR_SS_PNS1_23onesweep_lookback_stateEbbT6_jjT7_P12ihipStream_tbENKUlT_T0_SG_SL_E_clIS7_S7_PlSB_EEDaSZ_S10_SG_SL_EUlSZ_E_NS1_11comp_targetILNS1_3genE3ELNS1_11target_archE908ELNS1_3gpuE7ELNS1_3repE0EEENS1_47radix_sort_onesweep_sort_config_static_selectorELNS0_4arch9wavefront6targetE1EEEvSG_.uses_vcc, 0
	.set _ZN7rocprim17ROCPRIM_400000_NS6detail17trampoline_kernelINS0_14default_configENS1_35radix_sort_onesweep_config_selectorIhlEEZZNS1_29radix_sort_onesweep_iterationIS3_Lb0EPhS7_N6thrust23THRUST_200600_302600_NS10device_ptrIlEESB_jNS0_19identity_decomposerENS1_16block_id_wrapperIjLb1EEEEE10hipError_tT1_PNSt15iterator_traitsISG_E10value_typeET2_T3_PNSH_ISM_E10value_typeET4_T5_PSR_SS_PNS1_23onesweep_lookback_stateEbbT6_jjT7_P12ihipStream_tbENKUlT_T0_SG_SL_E_clIS7_S7_PlSB_EEDaSZ_S10_SG_SL_EUlSZ_E_NS1_11comp_targetILNS1_3genE3ELNS1_11target_archE908ELNS1_3gpuE7ELNS1_3repE0EEENS1_47radix_sort_onesweep_sort_config_static_selectorELNS0_4arch9wavefront6targetE1EEEvSG_.uses_flat_scratch, 0
	.set _ZN7rocprim17ROCPRIM_400000_NS6detail17trampoline_kernelINS0_14default_configENS1_35radix_sort_onesweep_config_selectorIhlEEZZNS1_29radix_sort_onesweep_iterationIS3_Lb0EPhS7_N6thrust23THRUST_200600_302600_NS10device_ptrIlEESB_jNS0_19identity_decomposerENS1_16block_id_wrapperIjLb1EEEEE10hipError_tT1_PNSt15iterator_traitsISG_E10value_typeET2_T3_PNSH_ISM_E10value_typeET4_T5_PSR_SS_PNS1_23onesweep_lookback_stateEbbT6_jjT7_P12ihipStream_tbENKUlT_T0_SG_SL_E_clIS7_S7_PlSB_EEDaSZ_S10_SG_SL_EUlSZ_E_NS1_11comp_targetILNS1_3genE3ELNS1_11target_archE908ELNS1_3gpuE7ELNS1_3repE0EEENS1_47radix_sort_onesweep_sort_config_static_selectorELNS0_4arch9wavefront6targetE1EEEvSG_.has_dyn_sized_stack, 0
	.set _ZN7rocprim17ROCPRIM_400000_NS6detail17trampoline_kernelINS0_14default_configENS1_35radix_sort_onesweep_config_selectorIhlEEZZNS1_29radix_sort_onesweep_iterationIS3_Lb0EPhS7_N6thrust23THRUST_200600_302600_NS10device_ptrIlEESB_jNS0_19identity_decomposerENS1_16block_id_wrapperIjLb1EEEEE10hipError_tT1_PNSt15iterator_traitsISG_E10value_typeET2_T3_PNSH_ISM_E10value_typeET4_T5_PSR_SS_PNS1_23onesweep_lookback_stateEbbT6_jjT7_P12ihipStream_tbENKUlT_T0_SG_SL_E_clIS7_S7_PlSB_EEDaSZ_S10_SG_SL_EUlSZ_E_NS1_11comp_targetILNS1_3genE3ELNS1_11target_archE908ELNS1_3gpuE7ELNS1_3repE0EEENS1_47radix_sort_onesweep_sort_config_static_selectorELNS0_4arch9wavefront6targetE1EEEvSG_.has_recursion, 0
	.set _ZN7rocprim17ROCPRIM_400000_NS6detail17trampoline_kernelINS0_14default_configENS1_35radix_sort_onesweep_config_selectorIhlEEZZNS1_29radix_sort_onesweep_iterationIS3_Lb0EPhS7_N6thrust23THRUST_200600_302600_NS10device_ptrIlEESB_jNS0_19identity_decomposerENS1_16block_id_wrapperIjLb1EEEEE10hipError_tT1_PNSt15iterator_traitsISG_E10value_typeET2_T3_PNSH_ISM_E10value_typeET4_T5_PSR_SS_PNS1_23onesweep_lookback_stateEbbT6_jjT7_P12ihipStream_tbENKUlT_T0_SG_SL_E_clIS7_S7_PlSB_EEDaSZ_S10_SG_SL_EUlSZ_E_NS1_11comp_targetILNS1_3genE3ELNS1_11target_archE908ELNS1_3gpuE7ELNS1_3repE0EEENS1_47radix_sort_onesweep_sort_config_static_selectorELNS0_4arch9wavefront6targetE1EEEvSG_.has_indirect_call, 0
	.section	.AMDGPU.csdata,"",@progbits
; Kernel info:
; codeLenInByte = 0
; TotalNumSgprs: 4
; NumVgprs: 0
; ScratchSize: 0
; MemoryBound: 0
; FloatMode: 240
; IeeeMode: 1
; LDSByteSize: 0 bytes/workgroup (compile time only)
; SGPRBlocks: 0
; VGPRBlocks: 0
; NumSGPRsForWavesPerEU: 4
; NumVGPRsForWavesPerEU: 1
; Occupancy: 10
; WaveLimiterHint : 0
; COMPUTE_PGM_RSRC2:SCRATCH_EN: 0
; COMPUTE_PGM_RSRC2:USER_SGPR: 6
; COMPUTE_PGM_RSRC2:TRAP_HANDLER: 0
; COMPUTE_PGM_RSRC2:TGID_X_EN: 1
; COMPUTE_PGM_RSRC2:TGID_Y_EN: 0
; COMPUTE_PGM_RSRC2:TGID_Z_EN: 0
; COMPUTE_PGM_RSRC2:TIDIG_COMP_CNT: 0
	.section	.text._ZN7rocprim17ROCPRIM_400000_NS6detail17trampoline_kernelINS0_14default_configENS1_35radix_sort_onesweep_config_selectorIhlEEZZNS1_29radix_sort_onesweep_iterationIS3_Lb0EPhS7_N6thrust23THRUST_200600_302600_NS10device_ptrIlEESB_jNS0_19identity_decomposerENS1_16block_id_wrapperIjLb1EEEEE10hipError_tT1_PNSt15iterator_traitsISG_E10value_typeET2_T3_PNSH_ISM_E10value_typeET4_T5_PSR_SS_PNS1_23onesweep_lookback_stateEbbT6_jjT7_P12ihipStream_tbENKUlT_T0_SG_SL_E_clIS7_S7_PlSB_EEDaSZ_S10_SG_SL_EUlSZ_E_NS1_11comp_targetILNS1_3genE10ELNS1_11target_archE1201ELNS1_3gpuE5ELNS1_3repE0EEENS1_47radix_sort_onesweep_sort_config_static_selectorELNS0_4arch9wavefront6targetE1EEEvSG_,"axG",@progbits,_ZN7rocprim17ROCPRIM_400000_NS6detail17trampoline_kernelINS0_14default_configENS1_35radix_sort_onesweep_config_selectorIhlEEZZNS1_29radix_sort_onesweep_iterationIS3_Lb0EPhS7_N6thrust23THRUST_200600_302600_NS10device_ptrIlEESB_jNS0_19identity_decomposerENS1_16block_id_wrapperIjLb1EEEEE10hipError_tT1_PNSt15iterator_traitsISG_E10value_typeET2_T3_PNSH_ISM_E10value_typeET4_T5_PSR_SS_PNS1_23onesweep_lookback_stateEbbT6_jjT7_P12ihipStream_tbENKUlT_T0_SG_SL_E_clIS7_S7_PlSB_EEDaSZ_S10_SG_SL_EUlSZ_E_NS1_11comp_targetILNS1_3genE10ELNS1_11target_archE1201ELNS1_3gpuE5ELNS1_3repE0EEENS1_47radix_sort_onesweep_sort_config_static_selectorELNS0_4arch9wavefront6targetE1EEEvSG_,comdat
	.protected	_ZN7rocprim17ROCPRIM_400000_NS6detail17trampoline_kernelINS0_14default_configENS1_35radix_sort_onesweep_config_selectorIhlEEZZNS1_29radix_sort_onesweep_iterationIS3_Lb0EPhS7_N6thrust23THRUST_200600_302600_NS10device_ptrIlEESB_jNS0_19identity_decomposerENS1_16block_id_wrapperIjLb1EEEEE10hipError_tT1_PNSt15iterator_traitsISG_E10value_typeET2_T3_PNSH_ISM_E10value_typeET4_T5_PSR_SS_PNS1_23onesweep_lookback_stateEbbT6_jjT7_P12ihipStream_tbENKUlT_T0_SG_SL_E_clIS7_S7_PlSB_EEDaSZ_S10_SG_SL_EUlSZ_E_NS1_11comp_targetILNS1_3genE10ELNS1_11target_archE1201ELNS1_3gpuE5ELNS1_3repE0EEENS1_47radix_sort_onesweep_sort_config_static_selectorELNS0_4arch9wavefront6targetE1EEEvSG_ ; -- Begin function _ZN7rocprim17ROCPRIM_400000_NS6detail17trampoline_kernelINS0_14default_configENS1_35radix_sort_onesweep_config_selectorIhlEEZZNS1_29radix_sort_onesweep_iterationIS3_Lb0EPhS7_N6thrust23THRUST_200600_302600_NS10device_ptrIlEESB_jNS0_19identity_decomposerENS1_16block_id_wrapperIjLb1EEEEE10hipError_tT1_PNSt15iterator_traitsISG_E10value_typeET2_T3_PNSH_ISM_E10value_typeET4_T5_PSR_SS_PNS1_23onesweep_lookback_stateEbbT6_jjT7_P12ihipStream_tbENKUlT_T0_SG_SL_E_clIS7_S7_PlSB_EEDaSZ_S10_SG_SL_EUlSZ_E_NS1_11comp_targetILNS1_3genE10ELNS1_11target_archE1201ELNS1_3gpuE5ELNS1_3repE0EEENS1_47radix_sort_onesweep_sort_config_static_selectorELNS0_4arch9wavefront6targetE1EEEvSG_
	.globl	_ZN7rocprim17ROCPRIM_400000_NS6detail17trampoline_kernelINS0_14default_configENS1_35radix_sort_onesweep_config_selectorIhlEEZZNS1_29radix_sort_onesweep_iterationIS3_Lb0EPhS7_N6thrust23THRUST_200600_302600_NS10device_ptrIlEESB_jNS0_19identity_decomposerENS1_16block_id_wrapperIjLb1EEEEE10hipError_tT1_PNSt15iterator_traitsISG_E10value_typeET2_T3_PNSH_ISM_E10value_typeET4_T5_PSR_SS_PNS1_23onesweep_lookback_stateEbbT6_jjT7_P12ihipStream_tbENKUlT_T0_SG_SL_E_clIS7_S7_PlSB_EEDaSZ_S10_SG_SL_EUlSZ_E_NS1_11comp_targetILNS1_3genE10ELNS1_11target_archE1201ELNS1_3gpuE5ELNS1_3repE0EEENS1_47radix_sort_onesweep_sort_config_static_selectorELNS0_4arch9wavefront6targetE1EEEvSG_
	.p2align	8
	.type	_ZN7rocprim17ROCPRIM_400000_NS6detail17trampoline_kernelINS0_14default_configENS1_35radix_sort_onesweep_config_selectorIhlEEZZNS1_29radix_sort_onesweep_iterationIS3_Lb0EPhS7_N6thrust23THRUST_200600_302600_NS10device_ptrIlEESB_jNS0_19identity_decomposerENS1_16block_id_wrapperIjLb1EEEEE10hipError_tT1_PNSt15iterator_traitsISG_E10value_typeET2_T3_PNSH_ISM_E10value_typeET4_T5_PSR_SS_PNS1_23onesweep_lookback_stateEbbT6_jjT7_P12ihipStream_tbENKUlT_T0_SG_SL_E_clIS7_S7_PlSB_EEDaSZ_S10_SG_SL_EUlSZ_E_NS1_11comp_targetILNS1_3genE10ELNS1_11target_archE1201ELNS1_3gpuE5ELNS1_3repE0EEENS1_47radix_sort_onesweep_sort_config_static_selectorELNS0_4arch9wavefront6targetE1EEEvSG_,@function
_ZN7rocprim17ROCPRIM_400000_NS6detail17trampoline_kernelINS0_14default_configENS1_35radix_sort_onesweep_config_selectorIhlEEZZNS1_29radix_sort_onesweep_iterationIS3_Lb0EPhS7_N6thrust23THRUST_200600_302600_NS10device_ptrIlEESB_jNS0_19identity_decomposerENS1_16block_id_wrapperIjLb1EEEEE10hipError_tT1_PNSt15iterator_traitsISG_E10value_typeET2_T3_PNSH_ISM_E10value_typeET4_T5_PSR_SS_PNS1_23onesweep_lookback_stateEbbT6_jjT7_P12ihipStream_tbENKUlT_T0_SG_SL_E_clIS7_S7_PlSB_EEDaSZ_S10_SG_SL_EUlSZ_E_NS1_11comp_targetILNS1_3genE10ELNS1_11target_archE1201ELNS1_3gpuE5ELNS1_3repE0EEENS1_47radix_sort_onesweep_sort_config_static_selectorELNS0_4arch9wavefront6targetE1EEEvSG_: ; @_ZN7rocprim17ROCPRIM_400000_NS6detail17trampoline_kernelINS0_14default_configENS1_35radix_sort_onesweep_config_selectorIhlEEZZNS1_29radix_sort_onesweep_iterationIS3_Lb0EPhS7_N6thrust23THRUST_200600_302600_NS10device_ptrIlEESB_jNS0_19identity_decomposerENS1_16block_id_wrapperIjLb1EEEEE10hipError_tT1_PNSt15iterator_traitsISG_E10value_typeET2_T3_PNSH_ISM_E10value_typeET4_T5_PSR_SS_PNS1_23onesweep_lookback_stateEbbT6_jjT7_P12ihipStream_tbENKUlT_T0_SG_SL_E_clIS7_S7_PlSB_EEDaSZ_S10_SG_SL_EUlSZ_E_NS1_11comp_targetILNS1_3genE10ELNS1_11target_archE1201ELNS1_3gpuE5ELNS1_3repE0EEENS1_47radix_sort_onesweep_sort_config_static_selectorELNS0_4arch9wavefront6targetE1EEEvSG_
; %bb.0:
	.section	.rodata,"a",@progbits
	.p2align	6, 0x0
	.amdhsa_kernel _ZN7rocprim17ROCPRIM_400000_NS6detail17trampoline_kernelINS0_14default_configENS1_35radix_sort_onesweep_config_selectorIhlEEZZNS1_29radix_sort_onesweep_iterationIS3_Lb0EPhS7_N6thrust23THRUST_200600_302600_NS10device_ptrIlEESB_jNS0_19identity_decomposerENS1_16block_id_wrapperIjLb1EEEEE10hipError_tT1_PNSt15iterator_traitsISG_E10value_typeET2_T3_PNSH_ISM_E10value_typeET4_T5_PSR_SS_PNS1_23onesweep_lookback_stateEbbT6_jjT7_P12ihipStream_tbENKUlT_T0_SG_SL_E_clIS7_S7_PlSB_EEDaSZ_S10_SG_SL_EUlSZ_E_NS1_11comp_targetILNS1_3genE10ELNS1_11target_archE1201ELNS1_3gpuE5ELNS1_3repE0EEENS1_47radix_sort_onesweep_sort_config_static_selectorELNS0_4arch9wavefront6targetE1EEEvSG_
		.amdhsa_group_segment_fixed_size 0
		.amdhsa_private_segment_fixed_size 0
		.amdhsa_kernarg_size 88
		.amdhsa_user_sgpr_count 6
		.amdhsa_user_sgpr_private_segment_buffer 1
		.amdhsa_user_sgpr_dispatch_ptr 0
		.amdhsa_user_sgpr_queue_ptr 0
		.amdhsa_user_sgpr_kernarg_segment_ptr 1
		.amdhsa_user_sgpr_dispatch_id 0
		.amdhsa_user_sgpr_flat_scratch_init 0
		.amdhsa_user_sgpr_private_segment_size 0
		.amdhsa_uses_dynamic_stack 0
		.amdhsa_system_sgpr_private_segment_wavefront_offset 0
		.amdhsa_system_sgpr_workgroup_id_x 1
		.amdhsa_system_sgpr_workgroup_id_y 0
		.amdhsa_system_sgpr_workgroup_id_z 0
		.amdhsa_system_sgpr_workgroup_info 0
		.amdhsa_system_vgpr_workitem_id 0
		.amdhsa_next_free_vgpr 1
		.amdhsa_next_free_sgpr 0
		.amdhsa_reserve_vcc 0
		.amdhsa_reserve_flat_scratch 0
		.amdhsa_float_round_mode_32 0
		.amdhsa_float_round_mode_16_64 0
		.amdhsa_float_denorm_mode_32 3
		.amdhsa_float_denorm_mode_16_64 3
		.amdhsa_dx10_clamp 1
		.amdhsa_ieee_mode 1
		.amdhsa_fp16_overflow 0
		.amdhsa_exception_fp_ieee_invalid_op 0
		.amdhsa_exception_fp_denorm_src 0
		.amdhsa_exception_fp_ieee_div_zero 0
		.amdhsa_exception_fp_ieee_overflow 0
		.amdhsa_exception_fp_ieee_underflow 0
		.amdhsa_exception_fp_ieee_inexact 0
		.amdhsa_exception_int_div_zero 0
	.end_amdhsa_kernel
	.section	.text._ZN7rocprim17ROCPRIM_400000_NS6detail17trampoline_kernelINS0_14default_configENS1_35radix_sort_onesweep_config_selectorIhlEEZZNS1_29radix_sort_onesweep_iterationIS3_Lb0EPhS7_N6thrust23THRUST_200600_302600_NS10device_ptrIlEESB_jNS0_19identity_decomposerENS1_16block_id_wrapperIjLb1EEEEE10hipError_tT1_PNSt15iterator_traitsISG_E10value_typeET2_T3_PNSH_ISM_E10value_typeET4_T5_PSR_SS_PNS1_23onesweep_lookback_stateEbbT6_jjT7_P12ihipStream_tbENKUlT_T0_SG_SL_E_clIS7_S7_PlSB_EEDaSZ_S10_SG_SL_EUlSZ_E_NS1_11comp_targetILNS1_3genE10ELNS1_11target_archE1201ELNS1_3gpuE5ELNS1_3repE0EEENS1_47radix_sort_onesweep_sort_config_static_selectorELNS0_4arch9wavefront6targetE1EEEvSG_,"axG",@progbits,_ZN7rocprim17ROCPRIM_400000_NS6detail17trampoline_kernelINS0_14default_configENS1_35radix_sort_onesweep_config_selectorIhlEEZZNS1_29radix_sort_onesweep_iterationIS3_Lb0EPhS7_N6thrust23THRUST_200600_302600_NS10device_ptrIlEESB_jNS0_19identity_decomposerENS1_16block_id_wrapperIjLb1EEEEE10hipError_tT1_PNSt15iterator_traitsISG_E10value_typeET2_T3_PNSH_ISM_E10value_typeET4_T5_PSR_SS_PNS1_23onesweep_lookback_stateEbbT6_jjT7_P12ihipStream_tbENKUlT_T0_SG_SL_E_clIS7_S7_PlSB_EEDaSZ_S10_SG_SL_EUlSZ_E_NS1_11comp_targetILNS1_3genE10ELNS1_11target_archE1201ELNS1_3gpuE5ELNS1_3repE0EEENS1_47radix_sort_onesweep_sort_config_static_selectorELNS0_4arch9wavefront6targetE1EEEvSG_,comdat
.Lfunc_end288:
	.size	_ZN7rocprim17ROCPRIM_400000_NS6detail17trampoline_kernelINS0_14default_configENS1_35radix_sort_onesweep_config_selectorIhlEEZZNS1_29radix_sort_onesweep_iterationIS3_Lb0EPhS7_N6thrust23THRUST_200600_302600_NS10device_ptrIlEESB_jNS0_19identity_decomposerENS1_16block_id_wrapperIjLb1EEEEE10hipError_tT1_PNSt15iterator_traitsISG_E10value_typeET2_T3_PNSH_ISM_E10value_typeET4_T5_PSR_SS_PNS1_23onesweep_lookback_stateEbbT6_jjT7_P12ihipStream_tbENKUlT_T0_SG_SL_E_clIS7_S7_PlSB_EEDaSZ_S10_SG_SL_EUlSZ_E_NS1_11comp_targetILNS1_3genE10ELNS1_11target_archE1201ELNS1_3gpuE5ELNS1_3repE0EEENS1_47radix_sort_onesweep_sort_config_static_selectorELNS0_4arch9wavefront6targetE1EEEvSG_, .Lfunc_end288-_ZN7rocprim17ROCPRIM_400000_NS6detail17trampoline_kernelINS0_14default_configENS1_35radix_sort_onesweep_config_selectorIhlEEZZNS1_29radix_sort_onesweep_iterationIS3_Lb0EPhS7_N6thrust23THRUST_200600_302600_NS10device_ptrIlEESB_jNS0_19identity_decomposerENS1_16block_id_wrapperIjLb1EEEEE10hipError_tT1_PNSt15iterator_traitsISG_E10value_typeET2_T3_PNSH_ISM_E10value_typeET4_T5_PSR_SS_PNS1_23onesweep_lookback_stateEbbT6_jjT7_P12ihipStream_tbENKUlT_T0_SG_SL_E_clIS7_S7_PlSB_EEDaSZ_S10_SG_SL_EUlSZ_E_NS1_11comp_targetILNS1_3genE10ELNS1_11target_archE1201ELNS1_3gpuE5ELNS1_3repE0EEENS1_47radix_sort_onesweep_sort_config_static_selectorELNS0_4arch9wavefront6targetE1EEEvSG_
                                        ; -- End function
	.set _ZN7rocprim17ROCPRIM_400000_NS6detail17trampoline_kernelINS0_14default_configENS1_35radix_sort_onesweep_config_selectorIhlEEZZNS1_29radix_sort_onesweep_iterationIS3_Lb0EPhS7_N6thrust23THRUST_200600_302600_NS10device_ptrIlEESB_jNS0_19identity_decomposerENS1_16block_id_wrapperIjLb1EEEEE10hipError_tT1_PNSt15iterator_traitsISG_E10value_typeET2_T3_PNSH_ISM_E10value_typeET4_T5_PSR_SS_PNS1_23onesweep_lookback_stateEbbT6_jjT7_P12ihipStream_tbENKUlT_T0_SG_SL_E_clIS7_S7_PlSB_EEDaSZ_S10_SG_SL_EUlSZ_E_NS1_11comp_targetILNS1_3genE10ELNS1_11target_archE1201ELNS1_3gpuE5ELNS1_3repE0EEENS1_47radix_sort_onesweep_sort_config_static_selectorELNS0_4arch9wavefront6targetE1EEEvSG_.num_vgpr, 0
	.set _ZN7rocprim17ROCPRIM_400000_NS6detail17trampoline_kernelINS0_14default_configENS1_35radix_sort_onesweep_config_selectorIhlEEZZNS1_29radix_sort_onesweep_iterationIS3_Lb0EPhS7_N6thrust23THRUST_200600_302600_NS10device_ptrIlEESB_jNS0_19identity_decomposerENS1_16block_id_wrapperIjLb1EEEEE10hipError_tT1_PNSt15iterator_traitsISG_E10value_typeET2_T3_PNSH_ISM_E10value_typeET4_T5_PSR_SS_PNS1_23onesweep_lookback_stateEbbT6_jjT7_P12ihipStream_tbENKUlT_T0_SG_SL_E_clIS7_S7_PlSB_EEDaSZ_S10_SG_SL_EUlSZ_E_NS1_11comp_targetILNS1_3genE10ELNS1_11target_archE1201ELNS1_3gpuE5ELNS1_3repE0EEENS1_47radix_sort_onesweep_sort_config_static_selectorELNS0_4arch9wavefront6targetE1EEEvSG_.num_agpr, 0
	.set _ZN7rocprim17ROCPRIM_400000_NS6detail17trampoline_kernelINS0_14default_configENS1_35radix_sort_onesweep_config_selectorIhlEEZZNS1_29radix_sort_onesweep_iterationIS3_Lb0EPhS7_N6thrust23THRUST_200600_302600_NS10device_ptrIlEESB_jNS0_19identity_decomposerENS1_16block_id_wrapperIjLb1EEEEE10hipError_tT1_PNSt15iterator_traitsISG_E10value_typeET2_T3_PNSH_ISM_E10value_typeET4_T5_PSR_SS_PNS1_23onesweep_lookback_stateEbbT6_jjT7_P12ihipStream_tbENKUlT_T0_SG_SL_E_clIS7_S7_PlSB_EEDaSZ_S10_SG_SL_EUlSZ_E_NS1_11comp_targetILNS1_3genE10ELNS1_11target_archE1201ELNS1_3gpuE5ELNS1_3repE0EEENS1_47radix_sort_onesweep_sort_config_static_selectorELNS0_4arch9wavefront6targetE1EEEvSG_.numbered_sgpr, 0
	.set _ZN7rocprim17ROCPRIM_400000_NS6detail17trampoline_kernelINS0_14default_configENS1_35radix_sort_onesweep_config_selectorIhlEEZZNS1_29radix_sort_onesweep_iterationIS3_Lb0EPhS7_N6thrust23THRUST_200600_302600_NS10device_ptrIlEESB_jNS0_19identity_decomposerENS1_16block_id_wrapperIjLb1EEEEE10hipError_tT1_PNSt15iterator_traitsISG_E10value_typeET2_T3_PNSH_ISM_E10value_typeET4_T5_PSR_SS_PNS1_23onesweep_lookback_stateEbbT6_jjT7_P12ihipStream_tbENKUlT_T0_SG_SL_E_clIS7_S7_PlSB_EEDaSZ_S10_SG_SL_EUlSZ_E_NS1_11comp_targetILNS1_3genE10ELNS1_11target_archE1201ELNS1_3gpuE5ELNS1_3repE0EEENS1_47radix_sort_onesweep_sort_config_static_selectorELNS0_4arch9wavefront6targetE1EEEvSG_.num_named_barrier, 0
	.set _ZN7rocprim17ROCPRIM_400000_NS6detail17trampoline_kernelINS0_14default_configENS1_35radix_sort_onesweep_config_selectorIhlEEZZNS1_29radix_sort_onesweep_iterationIS3_Lb0EPhS7_N6thrust23THRUST_200600_302600_NS10device_ptrIlEESB_jNS0_19identity_decomposerENS1_16block_id_wrapperIjLb1EEEEE10hipError_tT1_PNSt15iterator_traitsISG_E10value_typeET2_T3_PNSH_ISM_E10value_typeET4_T5_PSR_SS_PNS1_23onesweep_lookback_stateEbbT6_jjT7_P12ihipStream_tbENKUlT_T0_SG_SL_E_clIS7_S7_PlSB_EEDaSZ_S10_SG_SL_EUlSZ_E_NS1_11comp_targetILNS1_3genE10ELNS1_11target_archE1201ELNS1_3gpuE5ELNS1_3repE0EEENS1_47radix_sort_onesweep_sort_config_static_selectorELNS0_4arch9wavefront6targetE1EEEvSG_.private_seg_size, 0
	.set _ZN7rocprim17ROCPRIM_400000_NS6detail17trampoline_kernelINS0_14default_configENS1_35radix_sort_onesweep_config_selectorIhlEEZZNS1_29radix_sort_onesweep_iterationIS3_Lb0EPhS7_N6thrust23THRUST_200600_302600_NS10device_ptrIlEESB_jNS0_19identity_decomposerENS1_16block_id_wrapperIjLb1EEEEE10hipError_tT1_PNSt15iterator_traitsISG_E10value_typeET2_T3_PNSH_ISM_E10value_typeET4_T5_PSR_SS_PNS1_23onesweep_lookback_stateEbbT6_jjT7_P12ihipStream_tbENKUlT_T0_SG_SL_E_clIS7_S7_PlSB_EEDaSZ_S10_SG_SL_EUlSZ_E_NS1_11comp_targetILNS1_3genE10ELNS1_11target_archE1201ELNS1_3gpuE5ELNS1_3repE0EEENS1_47radix_sort_onesweep_sort_config_static_selectorELNS0_4arch9wavefront6targetE1EEEvSG_.uses_vcc, 0
	.set _ZN7rocprim17ROCPRIM_400000_NS6detail17trampoline_kernelINS0_14default_configENS1_35radix_sort_onesweep_config_selectorIhlEEZZNS1_29radix_sort_onesweep_iterationIS3_Lb0EPhS7_N6thrust23THRUST_200600_302600_NS10device_ptrIlEESB_jNS0_19identity_decomposerENS1_16block_id_wrapperIjLb1EEEEE10hipError_tT1_PNSt15iterator_traitsISG_E10value_typeET2_T3_PNSH_ISM_E10value_typeET4_T5_PSR_SS_PNS1_23onesweep_lookback_stateEbbT6_jjT7_P12ihipStream_tbENKUlT_T0_SG_SL_E_clIS7_S7_PlSB_EEDaSZ_S10_SG_SL_EUlSZ_E_NS1_11comp_targetILNS1_3genE10ELNS1_11target_archE1201ELNS1_3gpuE5ELNS1_3repE0EEENS1_47radix_sort_onesweep_sort_config_static_selectorELNS0_4arch9wavefront6targetE1EEEvSG_.uses_flat_scratch, 0
	.set _ZN7rocprim17ROCPRIM_400000_NS6detail17trampoline_kernelINS0_14default_configENS1_35radix_sort_onesweep_config_selectorIhlEEZZNS1_29radix_sort_onesweep_iterationIS3_Lb0EPhS7_N6thrust23THRUST_200600_302600_NS10device_ptrIlEESB_jNS0_19identity_decomposerENS1_16block_id_wrapperIjLb1EEEEE10hipError_tT1_PNSt15iterator_traitsISG_E10value_typeET2_T3_PNSH_ISM_E10value_typeET4_T5_PSR_SS_PNS1_23onesweep_lookback_stateEbbT6_jjT7_P12ihipStream_tbENKUlT_T0_SG_SL_E_clIS7_S7_PlSB_EEDaSZ_S10_SG_SL_EUlSZ_E_NS1_11comp_targetILNS1_3genE10ELNS1_11target_archE1201ELNS1_3gpuE5ELNS1_3repE0EEENS1_47radix_sort_onesweep_sort_config_static_selectorELNS0_4arch9wavefront6targetE1EEEvSG_.has_dyn_sized_stack, 0
	.set _ZN7rocprim17ROCPRIM_400000_NS6detail17trampoline_kernelINS0_14default_configENS1_35radix_sort_onesweep_config_selectorIhlEEZZNS1_29radix_sort_onesweep_iterationIS3_Lb0EPhS7_N6thrust23THRUST_200600_302600_NS10device_ptrIlEESB_jNS0_19identity_decomposerENS1_16block_id_wrapperIjLb1EEEEE10hipError_tT1_PNSt15iterator_traitsISG_E10value_typeET2_T3_PNSH_ISM_E10value_typeET4_T5_PSR_SS_PNS1_23onesweep_lookback_stateEbbT6_jjT7_P12ihipStream_tbENKUlT_T0_SG_SL_E_clIS7_S7_PlSB_EEDaSZ_S10_SG_SL_EUlSZ_E_NS1_11comp_targetILNS1_3genE10ELNS1_11target_archE1201ELNS1_3gpuE5ELNS1_3repE0EEENS1_47radix_sort_onesweep_sort_config_static_selectorELNS0_4arch9wavefront6targetE1EEEvSG_.has_recursion, 0
	.set _ZN7rocprim17ROCPRIM_400000_NS6detail17trampoline_kernelINS0_14default_configENS1_35radix_sort_onesweep_config_selectorIhlEEZZNS1_29radix_sort_onesweep_iterationIS3_Lb0EPhS7_N6thrust23THRUST_200600_302600_NS10device_ptrIlEESB_jNS0_19identity_decomposerENS1_16block_id_wrapperIjLb1EEEEE10hipError_tT1_PNSt15iterator_traitsISG_E10value_typeET2_T3_PNSH_ISM_E10value_typeET4_T5_PSR_SS_PNS1_23onesweep_lookback_stateEbbT6_jjT7_P12ihipStream_tbENKUlT_T0_SG_SL_E_clIS7_S7_PlSB_EEDaSZ_S10_SG_SL_EUlSZ_E_NS1_11comp_targetILNS1_3genE10ELNS1_11target_archE1201ELNS1_3gpuE5ELNS1_3repE0EEENS1_47radix_sort_onesweep_sort_config_static_selectorELNS0_4arch9wavefront6targetE1EEEvSG_.has_indirect_call, 0
	.section	.AMDGPU.csdata,"",@progbits
; Kernel info:
; codeLenInByte = 0
; TotalNumSgprs: 4
; NumVgprs: 0
; ScratchSize: 0
; MemoryBound: 0
; FloatMode: 240
; IeeeMode: 1
; LDSByteSize: 0 bytes/workgroup (compile time only)
; SGPRBlocks: 0
; VGPRBlocks: 0
; NumSGPRsForWavesPerEU: 4
; NumVGPRsForWavesPerEU: 1
; Occupancy: 10
; WaveLimiterHint : 0
; COMPUTE_PGM_RSRC2:SCRATCH_EN: 0
; COMPUTE_PGM_RSRC2:USER_SGPR: 6
; COMPUTE_PGM_RSRC2:TRAP_HANDLER: 0
; COMPUTE_PGM_RSRC2:TGID_X_EN: 1
; COMPUTE_PGM_RSRC2:TGID_Y_EN: 0
; COMPUTE_PGM_RSRC2:TGID_Z_EN: 0
; COMPUTE_PGM_RSRC2:TIDIG_COMP_CNT: 0
	.section	.text._ZN7rocprim17ROCPRIM_400000_NS6detail17trampoline_kernelINS0_14default_configENS1_35radix_sort_onesweep_config_selectorIhlEEZZNS1_29radix_sort_onesweep_iterationIS3_Lb0EPhS7_N6thrust23THRUST_200600_302600_NS10device_ptrIlEESB_jNS0_19identity_decomposerENS1_16block_id_wrapperIjLb1EEEEE10hipError_tT1_PNSt15iterator_traitsISG_E10value_typeET2_T3_PNSH_ISM_E10value_typeET4_T5_PSR_SS_PNS1_23onesweep_lookback_stateEbbT6_jjT7_P12ihipStream_tbENKUlT_T0_SG_SL_E_clIS7_S7_PlSB_EEDaSZ_S10_SG_SL_EUlSZ_E_NS1_11comp_targetILNS1_3genE9ELNS1_11target_archE1100ELNS1_3gpuE3ELNS1_3repE0EEENS1_47radix_sort_onesweep_sort_config_static_selectorELNS0_4arch9wavefront6targetE1EEEvSG_,"axG",@progbits,_ZN7rocprim17ROCPRIM_400000_NS6detail17trampoline_kernelINS0_14default_configENS1_35radix_sort_onesweep_config_selectorIhlEEZZNS1_29radix_sort_onesweep_iterationIS3_Lb0EPhS7_N6thrust23THRUST_200600_302600_NS10device_ptrIlEESB_jNS0_19identity_decomposerENS1_16block_id_wrapperIjLb1EEEEE10hipError_tT1_PNSt15iterator_traitsISG_E10value_typeET2_T3_PNSH_ISM_E10value_typeET4_T5_PSR_SS_PNS1_23onesweep_lookback_stateEbbT6_jjT7_P12ihipStream_tbENKUlT_T0_SG_SL_E_clIS7_S7_PlSB_EEDaSZ_S10_SG_SL_EUlSZ_E_NS1_11comp_targetILNS1_3genE9ELNS1_11target_archE1100ELNS1_3gpuE3ELNS1_3repE0EEENS1_47radix_sort_onesweep_sort_config_static_selectorELNS0_4arch9wavefront6targetE1EEEvSG_,comdat
	.protected	_ZN7rocprim17ROCPRIM_400000_NS6detail17trampoline_kernelINS0_14default_configENS1_35radix_sort_onesweep_config_selectorIhlEEZZNS1_29radix_sort_onesweep_iterationIS3_Lb0EPhS7_N6thrust23THRUST_200600_302600_NS10device_ptrIlEESB_jNS0_19identity_decomposerENS1_16block_id_wrapperIjLb1EEEEE10hipError_tT1_PNSt15iterator_traitsISG_E10value_typeET2_T3_PNSH_ISM_E10value_typeET4_T5_PSR_SS_PNS1_23onesweep_lookback_stateEbbT6_jjT7_P12ihipStream_tbENKUlT_T0_SG_SL_E_clIS7_S7_PlSB_EEDaSZ_S10_SG_SL_EUlSZ_E_NS1_11comp_targetILNS1_3genE9ELNS1_11target_archE1100ELNS1_3gpuE3ELNS1_3repE0EEENS1_47radix_sort_onesweep_sort_config_static_selectorELNS0_4arch9wavefront6targetE1EEEvSG_ ; -- Begin function _ZN7rocprim17ROCPRIM_400000_NS6detail17trampoline_kernelINS0_14default_configENS1_35radix_sort_onesweep_config_selectorIhlEEZZNS1_29radix_sort_onesweep_iterationIS3_Lb0EPhS7_N6thrust23THRUST_200600_302600_NS10device_ptrIlEESB_jNS0_19identity_decomposerENS1_16block_id_wrapperIjLb1EEEEE10hipError_tT1_PNSt15iterator_traitsISG_E10value_typeET2_T3_PNSH_ISM_E10value_typeET4_T5_PSR_SS_PNS1_23onesweep_lookback_stateEbbT6_jjT7_P12ihipStream_tbENKUlT_T0_SG_SL_E_clIS7_S7_PlSB_EEDaSZ_S10_SG_SL_EUlSZ_E_NS1_11comp_targetILNS1_3genE9ELNS1_11target_archE1100ELNS1_3gpuE3ELNS1_3repE0EEENS1_47radix_sort_onesweep_sort_config_static_selectorELNS0_4arch9wavefront6targetE1EEEvSG_
	.globl	_ZN7rocprim17ROCPRIM_400000_NS6detail17trampoline_kernelINS0_14default_configENS1_35radix_sort_onesweep_config_selectorIhlEEZZNS1_29radix_sort_onesweep_iterationIS3_Lb0EPhS7_N6thrust23THRUST_200600_302600_NS10device_ptrIlEESB_jNS0_19identity_decomposerENS1_16block_id_wrapperIjLb1EEEEE10hipError_tT1_PNSt15iterator_traitsISG_E10value_typeET2_T3_PNSH_ISM_E10value_typeET4_T5_PSR_SS_PNS1_23onesweep_lookback_stateEbbT6_jjT7_P12ihipStream_tbENKUlT_T0_SG_SL_E_clIS7_S7_PlSB_EEDaSZ_S10_SG_SL_EUlSZ_E_NS1_11comp_targetILNS1_3genE9ELNS1_11target_archE1100ELNS1_3gpuE3ELNS1_3repE0EEENS1_47radix_sort_onesweep_sort_config_static_selectorELNS0_4arch9wavefront6targetE1EEEvSG_
	.p2align	8
	.type	_ZN7rocprim17ROCPRIM_400000_NS6detail17trampoline_kernelINS0_14default_configENS1_35radix_sort_onesweep_config_selectorIhlEEZZNS1_29radix_sort_onesweep_iterationIS3_Lb0EPhS7_N6thrust23THRUST_200600_302600_NS10device_ptrIlEESB_jNS0_19identity_decomposerENS1_16block_id_wrapperIjLb1EEEEE10hipError_tT1_PNSt15iterator_traitsISG_E10value_typeET2_T3_PNSH_ISM_E10value_typeET4_T5_PSR_SS_PNS1_23onesweep_lookback_stateEbbT6_jjT7_P12ihipStream_tbENKUlT_T0_SG_SL_E_clIS7_S7_PlSB_EEDaSZ_S10_SG_SL_EUlSZ_E_NS1_11comp_targetILNS1_3genE9ELNS1_11target_archE1100ELNS1_3gpuE3ELNS1_3repE0EEENS1_47radix_sort_onesweep_sort_config_static_selectorELNS0_4arch9wavefront6targetE1EEEvSG_,@function
_ZN7rocprim17ROCPRIM_400000_NS6detail17trampoline_kernelINS0_14default_configENS1_35radix_sort_onesweep_config_selectorIhlEEZZNS1_29radix_sort_onesweep_iterationIS3_Lb0EPhS7_N6thrust23THRUST_200600_302600_NS10device_ptrIlEESB_jNS0_19identity_decomposerENS1_16block_id_wrapperIjLb1EEEEE10hipError_tT1_PNSt15iterator_traitsISG_E10value_typeET2_T3_PNSH_ISM_E10value_typeET4_T5_PSR_SS_PNS1_23onesweep_lookback_stateEbbT6_jjT7_P12ihipStream_tbENKUlT_T0_SG_SL_E_clIS7_S7_PlSB_EEDaSZ_S10_SG_SL_EUlSZ_E_NS1_11comp_targetILNS1_3genE9ELNS1_11target_archE1100ELNS1_3gpuE3ELNS1_3repE0EEENS1_47radix_sort_onesweep_sort_config_static_selectorELNS0_4arch9wavefront6targetE1EEEvSG_: ; @_ZN7rocprim17ROCPRIM_400000_NS6detail17trampoline_kernelINS0_14default_configENS1_35radix_sort_onesweep_config_selectorIhlEEZZNS1_29radix_sort_onesweep_iterationIS3_Lb0EPhS7_N6thrust23THRUST_200600_302600_NS10device_ptrIlEESB_jNS0_19identity_decomposerENS1_16block_id_wrapperIjLb1EEEEE10hipError_tT1_PNSt15iterator_traitsISG_E10value_typeET2_T3_PNSH_ISM_E10value_typeET4_T5_PSR_SS_PNS1_23onesweep_lookback_stateEbbT6_jjT7_P12ihipStream_tbENKUlT_T0_SG_SL_E_clIS7_S7_PlSB_EEDaSZ_S10_SG_SL_EUlSZ_E_NS1_11comp_targetILNS1_3genE9ELNS1_11target_archE1100ELNS1_3gpuE3ELNS1_3repE0EEENS1_47radix_sort_onesweep_sort_config_static_selectorELNS0_4arch9wavefront6targetE1EEEvSG_
; %bb.0:
	.section	.rodata,"a",@progbits
	.p2align	6, 0x0
	.amdhsa_kernel _ZN7rocprim17ROCPRIM_400000_NS6detail17trampoline_kernelINS0_14default_configENS1_35radix_sort_onesweep_config_selectorIhlEEZZNS1_29radix_sort_onesweep_iterationIS3_Lb0EPhS7_N6thrust23THRUST_200600_302600_NS10device_ptrIlEESB_jNS0_19identity_decomposerENS1_16block_id_wrapperIjLb1EEEEE10hipError_tT1_PNSt15iterator_traitsISG_E10value_typeET2_T3_PNSH_ISM_E10value_typeET4_T5_PSR_SS_PNS1_23onesweep_lookback_stateEbbT6_jjT7_P12ihipStream_tbENKUlT_T0_SG_SL_E_clIS7_S7_PlSB_EEDaSZ_S10_SG_SL_EUlSZ_E_NS1_11comp_targetILNS1_3genE9ELNS1_11target_archE1100ELNS1_3gpuE3ELNS1_3repE0EEENS1_47radix_sort_onesweep_sort_config_static_selectorELNS0_4arch9wavefront6targetE1EEEvSG_
		.amdhsa_group_segment_fixed_size 0
		.amdhsa_private_segment_fixed_size 0
		.amdhsa_kernarg_size 88
		.amdhsa_user_sgpr_count 6
		.amdhsa_user_sgpr_private_segment_buffer 1
		.amdhsa_user_sgpr_dispatch_ptr 0
		.amdhsa_user_sgpr_queue_ptr 0
		.amdhsa_user_sgpr_kernarg_segment_ptr 1
		.amdhsa_user_sgpr_dispatch_id 0
		.amdhsa_user_sgpr_flat_scratch_init 0
		.amdhsa_user_sgpr_private_segment_size 0
		.amdhsa_uses_dynamic_stack 0
		.amdhsa_system_sgpr_private_segment_wavefront_offset 0
		.amdhsa_system_sgpr_workgroup_id_x 1
		.amdhsa_system_sgpr_workgroup_id_y 0
		.amdhsa_system_sgpr_workgroup_id_z 0
		.amdhsa_system_sgpr_workgroup_info 0
		.amdhsa_system_vgpr_workitem_id 0
		.amdhsa_next_free_vgpr 1
		.amdhsa_next_free_sgpr 0
		.amdhsa_reserve_vcc 0
		.amdhsa_reserve_flat_scratch 0
		.amdhsa_float_round_mode_32 0
		.amdhsa_float_round_mode_16_64 0
		.amdhsa_float_denorm_mode_32 3
		.amdhsa_float_denorm_mode_16_64 3
		.amdhsa_dx10_clamp 1
		.amdhsa_ieee_mode 1
		.amdhsa_fp16_overflow 0
		.amdhsa_exception_fp_ieee_invalid_op 0
		.amdhsa_exception_fp_denorm_src 0
		.amdhsa_exception_fp_ieee_div_zero 0
		.amdhsa_exception_fp_ieee_overflow 0
		.amdhsa_exception_fp_ieee_underflow 0
		.amdhsa_exception_fp_ieee_inexact 0
		.amdhsa_exception_int_div_zero 0
	.end_amdhsa_kernel
	.section	.text._ZN7rocprim17ROCPRIM_400000_NS6detail17trampoline_kernelINS0_14default_configENS1_35radix_sort_onesweep_config_selectorIhlEEZZNS1_29radix_sort_onesweep_iterationIS3_Lb0EPhS7_N6thrust23THRUST_200600_302600_NS10device_ptrIlEESB_jNS0_19identity_decomposerENS1_16block_id_wrapperIjLb1EEEEE10hipError_tT1_PNSt15iterator_traitsISG_E10value_typeET2_T3_PNSH_ISM_E10value_typeET4_T5_PSR_SS_PNS1_23onesweep_lookback_stateEbbT6_jjT7_P12ihipStream_tbENKUlT_T0_SG_SL_E_clIS7_S7_PlSB_EEDaSZ_S10_SG_SL_EUlSZ_E_NS1_11comp_targetILNS1_3genE9ELNS1_11target_archE1100ELNS1_3gpuE3ELNS1_3repE0EEENS1_47radix_sort_onesweep_sort_config_static_selectorELNS0_4arch9wavefront6targetE1EEEvSG_,"axG",@progbits,_ZN7rocprim17ROCPRIM_400000_NS6detail17trampoline_kernelINS0_14default_configENS1_35radix_sort_onesweep_config_selectorIhlEEZZNS1_29radix_sort_onesweep_iterationIS3_Lb0EPhS7_N6thrust23THRUST_200600_302600_NS10device_ptrIlEESB_jNS0_19identity_decomposerENS1_16block_id_wrapperIjLb1EEEEE10hipError_tT1_PNSt15iterator_traitsISG_E10value_typeET2_T3_PNSH_ISM_E10value_typeET4_T5_PSR_SS_PNS1_23onesweep_lookback_stateEbbT6_jjT7_P12ihipStream_tbENKUlT_T0_SG_SL_E_clIS7_S7_PlSB_EEDaSZ_S10_SG_SL_EUlSZ_E_NS1_11comp_targetILNS1_3genE9ELNS1_11target_archE1100ELNS1_3gpuE3ELNS1_3repE0EEENS1_47radix_sort_onesweep_sort_config_static_selectorELNS0_4arch9wavefront6targetE1EEEvSG_,comdat
.Lfunc_end289:
	.size	_ZN7rocprim17ROCPRIM_400000_NS6detail17trampoline_kernelINS0_14default_configENS1_35radix_sort_onesweep_config_selectorIhlEEZZNS1_29radix_sort_onesweep_iterationIS3_Lb0EPhS7_N6thrust23THRUST_200600_302600_NS10device_ptrIlEESB_jNS0_19identity_decomposerENS1_16block_id_wrapperIjLb1EEEEE10hipError_tT1_PNSt15iterator_traitsISG_E10value_typeET2_T3_PNSH_ISM_E10value_typeET4_T5_PSR_SS_PNS1_23onesweep_lookback_stateEbbT6_jjT7_P12ihipStream_tbENKUlT_T0_SG_SL_E_clIS7_S7_PlSB_EEDaSZ_S10_SG_SL_EUlSZ_E_NS1_11comp_targetILNS1_3genE9ELNS1_11target_archE1100ELNS1_3gpuE3ELNS1_3repE0EEENS1_47radix_sort_onesweep_sort_config_static_selectorELNS0_4arch9wavefront6targetE1EEEvSG_, .Lfunc_end289-_ZN7rocprim17ROCPRIM_400000_NS6detail17trampoline_kernelINS0_14default_configENS1_35radix_sort_onesweep_config_selectorIhlEEZZNS1_29radix_sort_onesweep_iterationIS3_Lb0EPhS7_N6thrust23THRUST_200600_302600_NS10device_ptrIlEESB_jNS0_19identity_decomposerENS1_16block_id_wrapperIjLb1EEEEE10hipError_tT1_PNSt15iterator_traitsISG_E10value_typeET2_T3_PNSH_ISM_E10value_typeET4_T5_PSR_SS_PNS1_23onesweep_lookback_stateEbbT6_jjT7_P12ihipStream_tbENKUlT_T0_SG_SL_E_clIS7_S7_PlSB_EEDaSZ_S10_SG_SL_EUlSZ_E_NS1_11comp_targetILNS1_3genE9ELNS1_11target_archE1100ELNS1_3gpuE3ELNS1_3repE0EEENS1_47radix_sort_onesweep_sort_config_static_selectorELNS0_4arch9wavefront6targetE1EEEvSG_
                                        ; -- End function
	.set _ZN7rocprim17ROCPRIM_400000_NS6detail17trampoline_kernelINS0_14default_configENS1_35radix_sort_onesweep_config_selectorIhlEEZZNS1_29radix_sort_onesweep_iterationIS3_Lb0EPhS7_N6thrust23THRUST_200600_302600_NS10device_ptrIlEESB_jNS0_19identity_decomposerENS1_16block_id_wrapperIjLb1EEEEE10hipError_tT1_PNSt15iterator_traitsISG_E10value_typeET2_T3_PNSH_ISM_E10value_typeET4_T5_PSR_SS_PNS1_23onesweep_lookback_stateEbbT6_jjT7_P12ihipStream_tbENKUlT_T0_SG_SL_E_clIS7_S7_PlSB_EEDaSZ_S10_SG_SL_EUlSZ_E_NS1_11comp_targetILNS1_3genE9ELNS1_11target_archE1100ELNS1_3gpuE3ELNS1_3repE0EEENS1_47radix_sort_onesweep_sort_config_static_selectorELNS0_4arch9wavefront6targetE1EEEvSG_.num_vgpr, 0
	.set _ZN7rocprim17ROCPRIM_400000_NS6detail17trampoline_kernelINS0_14default_configENS1_35radix_sort_onesweep_config_selectorIhlEEZZNS1_29radix_sort_onesweep_iterationIS3_Lb0EPhS7_N6thrust23THRUST_200600_302600_NS10device_ptrIlEESB_jNS0_19identity_decomposerENS1_16block_id_wrapperIjLb1EEEEE10hipError_tT1_PNSt15iterator_traitsISG_E10value_typeET2_T3_PNSH_ISM_E10value_typeET4_T5_PSR_SS_PNS1_23onesweep_lookback_stateEbbT6_jjT7_P12ihipStream_tbENKUlT_T0_SG_SL_E_clIS7_S7_PlSB_EEDaSZ_S10_SG_SL_EUlSZ_E_NS1_11comp_targetILNS1_3genE9ELNS1_11target_archE1100ELNS1_3gpuE3ELNS1_3repE0EEENS1_47radix_sort_onesweep_sort_config_static_selectorELNS0_4arch9wavefront6targetE1EEEvSG_.num_agpr, 0
	.set _ZN7rocprim17ROCPRIM_400000_NS6detail17trampoline_kernelINS0_14default_configENS1_35radix_sort_onesweep_config_selectorIhlEEZZNS1_29radix_sort_onesweep_iterationIS3_Lb0EPhS7_N6thrust23THRUST_200600_302600_NS10device_ptrIlEESB_jNS0_19identity_decomposerENS1_16block_id_wrapperIjLb1EEEEE10hipError_tT1_PNSt15iterator_traitsISG_E10value_typeET2_T3_PNSH_ISM_E10value_typeET4_T5_PSR_SS_PNS1_23onesweep_lookback_stateEbbT6_jjT7_P12ihipStream_tbENKUlT_T0_SG_SL_E_clIS7_S7_PlSB_EEDaSZ_S10_SG_SL_EUlSZ_E_NS1_11comp_targetILNS1_3genE9ELNS1_11target_archE1100ELNS1_3gpuE3ELNS1_3repE0EEENS1_47radix_sort_onesweep_sort_config_static_selectorELNS0_4arch9wavefront6targetE1EEEvSG_.numbered_sgpr, 0
	.set _ZN7rocprim17ROCPRIM_400000_NS6detail17trampoline_kernelINS0_14default_configENS1_35radix_sort_onesweep_config_selectorIhlEEZZNS1_29radix_sort_onesweep_iterationIS3_Lb0EPhS7_N6thrust23THRUST_200600_302600_NS10device_ptrIlEESB_jNS0_19identity_decomposerENS1_16block_id_wrapperIjLb1EEEEE10hipError_tT1_PNSt15iterator_traitsISG_E10value_typeET2_T3_PNSH_ISM_E10value_typeET4_T5_PSR_SS_PNS1_23onesweep_lookback_stateEbbT6_jjT7_P12ihipStream_tbENKUlT_T0_SG_SL_E_clIS7_S7_PlSB_EEDaSZ_S10_SG_SL_EUlSZ_E_NS1_11comp_targetILNS1_3genE9ELNS1_11target_archE1100ELNS1_3gpuE3ELNS1_3repE0EEENS1_47radix_sort_onesweep_sort_config_static_selectorELNS0_4arch9wavefront6targetE1EEEvSG_.num_named_barrier, 0
	.set _ZN7rocprim17ROCPRIM_400000_NS6detail17trampoline_kernelINS0_14default_configENS1_35radix_sort_onesweep_config_selectorIhlEEZZNS1_29radix_sort_onesweep_iterationIS3_Lb0EPhS7_N6thrust23THRUST_200600_302600_NS10device_ptrIlEESB_jNS0_19identity_decomposerENS1_16block_id_wrapperIjLb1EEEEE10hipError_tT1_PNSt15iterator_traitsISG_E10value_typeET2_T3_PNSH_ISM_E10value_typeET4_T5_PSR_SS_PNS1_23onesweep_lookback_stateEbbT6_jjT7_P12ihipStream_tbENKUlT_T0_SG_SL_E_clIS7_S7_PlSB_EEDaSZ_S10_SG_SL_EUlSZ_E_NS1_11comp_targetILNS1_3genE9ELNS1_11target_archE1100ELNS1_3gpuE3ELNS1_3repE0EEENS1_47radix_sort_onesweep_sort_config_static_selectorELNS0_4arch9wavefront6targetE1EEEvSG_.private_seg_size, 0
	.set _ZN7rocprim17ROCPRIM_400000_NS6detail17trampoline_kernelINS0_14default_configENS1_35radix_sort_onesweep_config_selectorIhlEEZZNS1_29radix_sort_onesweep_iterationIS3_Lb0EPhS7_N6thrust23THRUST_200600_302600_NS10device_ptrIlEESB_jNS0_19identity_decomposerENS1_16block_id_wrapperIjLb1EEEEE10hipError_tT1_PNSt15iterator_traitsISG_E10value_typeET2_T3_PNSH_ISM_E10value_typeET4_T5_PSR_SS_PNS1_23onesweep_lookback_stateEbbT6_jjT7_P12ihipStream_tbENKUlT_T0_SG_SL_E_clIS7_S7_PlSB_EEDaSZ_S10_SG_SL_EUlSZ_E_NS1_11comp_targetILNS1_3genE9ELNS1_11target_archE1100ELNS1_3gpuE3ELNS1_3repE0EEENS1_47radix_sort_onesweep_sort_config_static_selectorELNS0_4arch9wavefront6targetE1EEEvSG_.uses_vcc, 0
	.set _ZN7rocprim17ROCPRIM_400000_NS6detail17trampoline_kernelINS0_14default_configENS1_35radix_sort_onesweep_config_selectorIhlEEZZNS1_29radix_sort_onesweep_iterationIS3_Lb0EPhS7_N6thrust23THRUST_200600_302600_NS10device_ptrIlEESB_jNS0_19identity_decomposerENS1_16block_id_wrapperIjLb1EEEEE10hipError_tT1_PNSt15iterator_traitsISG_E10value_typeET2_T3_PNSH_ISM_E10value_typeET4_T5_PSR_SS_PNS1_23onesweep_lookback_stateEbbT6_jjT7_P12ihipStream_tbENKUlT_T0_SG_SL_E_clIS7_S7_PlSB_EEDaSZ_S10_SG_SL_EUlSZ_E_NS1_11comp_targetILNS1_3genE9ELNS1_11target_archE1100ELNS1_3gpuE3ELNS1_3repE0EEENS1_47radix_sort_onesweep_sort_config_static_selectorELNS0_4arch9wavefront6targetE1EEEvSG_.uses_flat_scratch, 0
	.set _ZN7rocprim17ROCPRIM_400000_NS6detail17trampoline_kernelINS0_14default_configENS1_35radix_sort_onesweep_config_selectorIhlEEZZNS1_29radix_sort_onesweep_iterationIS3_Lb0EPhS7_N6thrust23THRUST_200600_302600_NS10device_ptrIlEESB_jNS0_19identity_decomposerENS1_16block_id_wrapperIjLb1EEEEE10hipError_tT1_PNSt15iterator_traitsISG_E10value_typeET2_T3_PNSH_ISM_E10value_typeET4_T5_PSR_SS_PNS1_23onesweep_lookback_stateEbbT6_jjT7_P12ihipStream_tbENKUlT_T0_SG_SL_E_clIS7_S7_PlSB_EEDaSZ_S10_SG_SL_EUlSZ_E_NS1_11comp_targetILNS1_3genE9ELNS1_11target_archE1100ELNS1_3gpuE3ELNS1_3repE0EEENS1_47radix_sort_onesweep_sort_config_static_selectorELNS0_4arch9wavefront6targetE1EEEvSG_.has_dyn_sized_stack, 0
	.set _ZN7rocprim17ROCPRIM_400000_NS6detail17trampoline_kernelINS0_14default_configENS1_35radix_sort_onesweep_config_selectorIhlEEZZNS1_29radix_sort_onesweep_iterationIS3_Lb0EPhS7_N6thrust23THRUST_200600_302600_NS10device_ptrIlEESB_jNS0_19identity_decomposerENS1_16block_id_wrapperIjLb1EEEEE10hipError_tT1_PNSt15iterator_traitsISG_E10value_typeET2_T3_PNSH_ISM_E10value_typeET4_T5_PSR_SS_PNS1_23onesweep_lookback_stateEbbT6_jjT7_P12ihipStream_tbENKUlT_T0_SG_SL_E_clIS7_S7_PlSB_EEDaSZ_S10_SG_SL_EUlSZ_E_NS1_11comp_targetILNS1_3genE9ELNS1_11target_archE1100ELNS1_3gpuE3ELNS1_3repE0EEENS1_47radix_sort_onesweep_sort_config_static_selectorELNS0_4arch9wavefront6targetE1EEEvSG_.has_recursion, 0
	.set _ZN7rocprim17ROCPRIM_400000_NS6detail17trampoline_kernelINS0_14default_configENS1_35radix_sort_onesweep_config_selectorIhlEEZZNS1_29radix_sort_onesweep_iterationIS3_Lb0EPhS7_N6thrust23THRUST_200600_302600_NS10device_ptrIlEESB_jNS0_19identity_decomposerENS1_16block_id_wrapperIjLb1EEEEE10hipError_tT1_PNSt15iterator_traitsISG_E10value_typeET2_T3_PNSH_ISM_E10value_typeET4_T5_PSR_SS_PNS1_23onesweep_lookback_stateEbbT6_jjT7_P12ihipStream_tbENKUlT_T0_SG_SL_E_clIS7_S7_PlSB_EEDaSZ_S10_SG_SL_EUlSZ_E_NS1_11comp_targetILNS1_3genE9ELNS1_11target_archE1100ELNS1_3gpuE3ELNS1_3repE0EEENS1_47radix_sort_onesweep_sort_config_static_selectorELNS0_4arch9wavefront6targetE1EEEvSG_.has_indirect_call, 0
	.section	.AMDGPU.csdata,"",@progbits
; Kernel info:
; codeLenInByte = 0
; TotalNumSgprs: 4
; NumVgprs: 0
; ScratchSize: 0
; MemoryBound: 0
; FloatMode: 240
; IeeeMode: 1
; LDSByteSize: 0 bytes/workgroup (compile time only)
; SGPRBlocks: 0
; VGPRBlocks: 0
; NumSGPRsForWavesPerEU: 4
; NumVGPRsForWavesPerEU: 1
; Occupancy: 10
; WaveLimiterHint : 0
; COMPUTE_PGM_RSRC2:SCRATCH_EN: 0
; COMPUTE_PGM_RSRC2:USER_SGPR: 6
; COMPUTE_PGM_RSRC2:TRAP_HANDLER: 0
; COMPUTE_PGM_RSRC2:TGID_X_EN: 1
; COMPUTE_PGM_RSRC2:TGID_Y_EN: 0
; COMPUTE_PGM_RSRC2:TGID_Z_EN: 0
; COMPUTE_PGM_RSRC2:TIDIG_COMP_CNT: 0
	.section	.text._ZN7rocprim17ROCPRIM_400000_NS6detail17trampoline_kernelINS0_14default_configENS1_35radix_sort_onesweep_config_selectorIhlEEZZNS1_29radix_sort_onesweep_iterationIS3_Lb0EPhS7_N6thrust23THRUST_200600_302600_NS10device_ptrIlEESB_jNS0_19identity_decomposerENS1_16block_id_wrapperIjLb1EEEEE10hipError_tT1_PNSt15iterator_traitsISG_E10value_typeET2_T3_PNSH_ISM_E10value_typeET4_T5_PSR_SS_PNS1_23onesweep_lookback_stateEbbT6_jjT7_P12ihipStream_tbENKUlT_T0_SG_SL_E_clIS7_S7_PlSB_EEDaSZ_S10_SG_SL_EUlSZ_E_NS1_11comp_targetILNS1_3genE8ELNS1_11target_archE1030ELNS1_3gpuE2ELNS1_3repE0EEENS1_47radix_sort_onesweep_sort_config_static_selectorELNS0_4arch9wavefront6targetE1EEEvSG_,"axG",@progbits,_ZN7rocprim17ROCPRIM_400000_NS6detail17trampoline_kernelINS0_14default_configENS1_35radix_sort_onesweep_config_selectorIhlEEZZNS1_29radix_sort_onesweep_iterationIS3_Lb0EPhS7_N6thrust23THRUST_200600_302600_NS10device_ptrIlEESB_jNS0_19identity_decomposerENS1_16block_id_wrapperIjLb1EEEEE10hipError_tT1_PNSt15iterator_traitsISG_E10value_typeET2_T3_PNSH_ISM_E10value_typeET4_T5_PSR_SS_PNS1_23onesweep_lookback_stateEbbT6_jjT7_P12ihipStream_tbENKUlT_T0_SG_SL_E_clIS7_S7_PlSB_EEDaSZ_S10_SG_SL_EUlSZ_E_NS1_11comp_targetILNS1_3genE8ELNS1_11target_archE1030ELNS1_3gpuE2ELNS1_3repE0EEENS1_47radix_sort_onesweep_sort_config_static_selectorELNS0_4arch9wavefront6targetE1EEEvSG_,comdat
	.protected	_ZN7rocprim17ROCPRIM_400000_NS6detail17trampoline_kernelINS0_14default_configENS1_35radix_sort_onesweep_config_selectorIhlEEZZNS1_29radix_sort_onesweep_iterationIS3_Lb0EPhS7_N6thrust23THRUST_200600_302600_NS10device_ptrIlEESB_jNS0_19identity_decomposerENS1_16block_id_wrapperIjLb1EEEEE10hipError_tT1_PNSt15iterator_traitsISG_E10value_typeET2_T3_PNSH_ISM_E10value_typeET4_T5_PSR_SS_PNS1_23onesweep_lookback_stateEbbT6_jjT7_P12ihipStream_tbENKUlT_T0_SG_SL_E_clIS7_S7_PlSB_EEDaSZ_S10_SG_SL_EUlSZ_E_NS1_11comp_targetILNS1_3genE8ELNS1_11target_archE1030ELNS1_3gpuE2ELNS1_3repE0EEENS1_47radix_sort_onesweep_sort_config_static_selectorELNS0_4arch9wavefront6targetE1EEEvSG_ ; -- Begin function _ZN7rocprim17ROCPRIM_400000_NS6detail17trampoline_kernelINS0_14default_configENS1_35radix_sort_onesweep_config_selectorIhlEEZZNS1_29radix_sort_onesweep_iterationIS3_Lb0EPhS7_N6thrust23THRUST_200600_302600_NS10device_ptrIlEESB_jNS0_19identity_decomposerENS1_16block_id_wrapperIjLb1EEEEE10hipError_tT1_PNSt15iterator_traitsISG_E10value_typeET2_T3_PNSH_ISM_E10value_typeET4_T5_PSR_SS_PNS1_23onesweep_lookback_stateEbbT6_jjT7_P12ihipStream_tbENKUlT_T0_SG_SL_E_clIS7_S7_PlSB_EEDaSZ_S10_SG_SL_EUlSZ_E_NS1_11comp_targetILNS1_3genE8ELNS1_11target_archE1030ELNS1_3gpuE2ELNS1_3repE0EEENS1_47radix_sort_onesweep_sort_config_static_selectorELNS0_4arch9wavefront6targetE1EEEvSG_
	.globl	_ZN7rocprim17ROCPRIM_400000_NS6detail17trampoline_kernelINS0_14default_configENS1_35radix_sort_onesweep_config_selectorIhlEEZZNS1_29radix_sort_onesweep_iterationIS3_Lb0EPhS7_N6thrust23THRUST_200600_302600_NS10device_ptrIlEESB_jNS0_19identity_decomposerENS1_16block_id_wrapperIjLb1EEEEE10hipError_tT1_PNSt15iterator_traitsISG_E10value_typeET2_T3_PNSH_ISM_E10value_typeET4_T5_PSR_SS_PNS1_23onesweep_lookback_stateEbbT6_jjT7_P12ihipStream_tbENKUlT_T0_SG_SL_E_clIS7_S7_PlSB_EEDaSZ_S10_SG_SL_EUlSZ_E_NS1_11comp_targetILNS1_3genE8ELNS1_11target_archE1030ELNS1_3gpuE2ELNS1_3repE0EEENS1_47radix_sort_onesweep_sort_config_static_selectorELNS0_4arch9wavefront6targetE1EEEvSG_
	.p2align	8
	.type	_ZN7rocprim17ROCPRIM_400000_NS6detail17trampoline_kernelINS0_14default_configENS1_35radix_sort_onesweep_config_selectorIhlEEZZNS1_29radix_sort_onesweep_iterationIS3_Lb0EPhS7_N6thrust23THRUST_200600_302600_NS10device_ptrIlEESB_jNS0_19identity_decomposerENS1_16block_id_wrapperIjLb1EEEEE10hipError_tT1_PNSt15iterator_traitsISG_E10value_typeET2_T3_PNSH_ISM_E10value_typeET4_T5_PSR_SS_PNS1_23onesweep_lookback_stateEbbT6_jjT7_P12ihipStream_tbENKUlT_T0_SG_SL_E_clIS7_S7_PlSB_EEDaSZ_S10_SG_SL_EUlSZ_E_NS1_11comp_targetILNS1_3genE8ELNS1_11target_archE1030ELNS1_3gpuE2ELNS1_3repE0EEENS1_47radix_sort_onesweep_sort_config_static_selectorELNS0_4arch9wavefront6targetE1EEEvSG_,@function
_ZN7rocprim17ROCPRIM_400000_NS6detail17trampoline_kernelINS0_14default_configENS1_35radix_sort_onesweep_config_selectorIhlEEZZNS1_29radix_sort_onesweep_iterationIS3_Lb0EPhS7_N6thrust23THRUST_200600_302600_NS10device_ptrIlEESB_jNS0_19identity_decomposerENS1_16block_id_wrapperIjLb1EEEEE10hipError_tT1_PNSt15iterator_traitsISG_E10value_typeET2_T3_PNSH_ISM_E10value_typeET4_T5_PSR_SS_PNS1_23onesweep_lookback_stateEbbT6_jjT7_P12ihipStream_tbENKUlT_T0_SG_SL_E_clIS7_S7_PlSB_EEDaSZ_S10_SG_SL_EUlSZ_E_NS1_11comp_targetILNS1_3genE8ELNS1_11target_archE1030ELNS1_3gpuE2ELNS1_3repE0EEENS1_47radix_sort_onesweep_sort_config_static_selectorELNS0_4arch9wavefront6targetE1EEEvSG_: ; @_ZN7rocprim17ROCPRIM_400000_NS6detail17trampoline_kernelINS0_14default_configENS1_35radix_sort_onesweep_config_selectorIhlEEZZNS1_29radix_sort_onesweep_iterationIS3_Lb0EPhS7_N6thrust23THRUST_200600_302600_NS10device_ptrIlEESB_jNS0_19identity_decomposerENS1_16block_id_wrapperIjLb1EEEEE10hipError_tT1_PNSt15iterator_traitsISG_E10value_typeET2_T3_PNSH_ISM_E10value_typeET4_T5_PSR_SS_PNS1_23onesweep_lookback_stateEbbT6_jjT7_P12ihipStream_tbENKUlT_T0_SG_SL_E_clIS7_S7_PlSB_EEDaSZ_S10_SG_SL_EUlSZ_E_NS1_11comp_targetILNS1_3genE8ELNS1_11target_archE1030ELNS1_3gpuE2ELNS1_3repE0EEENS1_47radix_sort_onesweep_sort_config_static_selectorELNS0_4arch9wavefront6targetE1EEEvSG_
; %bb.0:
	.section	.rodata,"a",@progbits
	.p2align	6, 0x0
	.amdhsa_kernel _ZN7rocprim17ROCPRIM_400000_NS6detail17trampoline_kernelINS0_14default_configENS1_35radix_sort_onesweep_config_selectorIhlEEZZNS1_29radix_sort_onesweep_iterationIS3_Lb0EPhS7_N6thrust23THRUST_200600_302600_NS10device_ptrIlEESB_jNS0_19identity_decomposerENS1_16block_id_wrapperIjLb1EEEEE10hipError_tT1_PNSt15iterator_traitsISG_E10value_typeET2_T3_PNSH_ISM_E10value_typeET4_T5_PSR_SS_PNS1_23onesweep_lookback_stateEbbT6_jjT7_P12ihipStream_tbENKUlT_T0_SG_SL_E_clIS7_S7_PlSB_EEDaSZ_S10_SG_SL_EUlSZ_E_NS1_11comp_targetILNS1_3genE8ELNS1_11target_archE1030ELNS1_3gpuE2ELNS1_3repE0EEENS1_47radix_sort_onesweep_sort_config_static_selectorELNS0_4arch9wavefront6targetE1EEEvSG_
		.amdhsa_group_segment_fixed_size 0
		.amdhsa_private_segment_fixed_size 0
		.amdhsa_kernarg_size 88
		.amdhsa_user_sgpr_count 6
		.amdhsa_user_sgpr_private_segment_buffer 1
		.amdhsa_user_sgpr_dispatch_ptr 0
		.amdhsa_user_sgpr_queue_ptr 0
		.amdhsa_user_sgpr_kernarg_segment_ptr 1
		.amdhsa_user_sgpr_dispatch_id 0
		.amdhsa_user_sgpr_flat_scratch_init 0
		.amdhsa_user_sgpr_private_segment_size 0
		.amdhsa_uses_dynamic_stack 0
		.amdhsa_system_sgpr_private_segment_wavefront_offset 0
		.amdhsa_system_sgpr_workgroup_id_x 1
		.amdhsa_system_sgpr_workgroup_id_y 0
		.amdhsa_system_sgpr_workgroup_id_z 0
		.amdhsa_system_sgpr_workgroup_info 0
		.amdhsa_system_vgpr_workitem_id 0
		.amdhsa_next_free_vgpr 1
		.amdhsa_next_free_sgpr 0
		.amdhsa_reserve_vcc 0
		.amdhsa_reserve_flat_scratch 0
		.amdhsa_float_round_mode_32 0
		.amdhsa_float_round_mode_16_64 0
		.amdhsa_float_denorm_mode_32 3
		.amdhsa_float_denorm_mode_16_64 3
		.amdhsa_dx10_clamp 1
		.amdhsa_ieee_mode 1
		.amdhsa_fp16_overflow 0
		.amdhsa_exception_fp_ieee_invalid_op 0
		.amdhsa_exception_fp_denorm_src 0
		.amdhsa_exception_fp_ieee_div_zero 0
		.amdhsa_exception_fp_ieee_overflow 0
		.amdhsa_exception_fp_ieee_underflow 0
		.amdhsa_exception_fp_ieee_inexact 0
		.amdhsa_exception_int_div_zero 0
	.end_amdhsa_kernel
	.section	.text._ZN7rocprim17ROCPRIM_400000_NS6detail17trampoline_kernelINS0_14default_configENS1_35radix_sort_onesweep_config_selectorIhlEEZZNS1_29radix_sort_onesweep_iterationIS3_Lb0EPhS7_N6thrust23THRUST_200600_302600_NS10device_ptrIlEESB_jNS0_19identity_decomposerENS1_16block_id_wrapperIjLb1EEEEE10hipError_tT1_PNSt15iterator_traitsISG_E10value_typeET2_T3_PNSH_ISM_E10value_typeET4_T5_PSR_SS_PNS1_23onesweep_lookback_stateEbbT6_jjT7_P12ihipStream_tbENKUlT_T0_SG_SL_E_clIS7_S7_PlSB_EEDaSZ_S10_SG_SL_EUlSZ_E_NS1_11comp_targetILNS1_3genE8ELNS1_11target_archE1030ELNS1_3gpuE2ELNS1_3repE0EEENS1_47radix_sort_onesweep_sort_config_static_selectorELNS0_4arch9wavefront6targetE1EEEvSG_,"axG",@progbits,_ZN7rocprim17ROCPRIM_400000_NS6detail17trampoline_kernelINS0_14default_configENS1_35radix_sort_onesweep_config_selectorIhlEEZZNS1_29radix_sort_onesweep_iterationIS3_Lb0EPhS7_N6thrust23THRUST_200600_302600_NS10device_ptrIlEESB_jNS0_19identity_decomposerENS1_16block_id_wrapperIjLb1EEEEE10hipError_tT1_PNSt15iterator_traitsISG_E10value_typeET2_T3_PNSH_ISM_E10value_typeET4_T5_PSR_SS_PNS1_23onesweep_lookback_stateEbbT6_jjT7_P12ihipStream_tbENKUlT_T0_SG_SL_E_clIS7_S7_PlSB_EEDaSZ_S10_SG_SL_EUlSZ_E_NS1_11comp_targetILNS1_3genE8ELNS1_11target_archE1030ELNS1_3gpuE2ELNS1_3repE0EEENS1_47radix_sort_onesweep_sort_config_static_selectorELNS0_4arch9wavefront6targetE1EEEvSG_,comdat
.Lfunc_end290:
	.size	_ZN7rocprim17ROCPRIM_400000_NS6detail17trampoline_kernelINS0_14default_configENS1_35radix_sort_onesweep_config_selectorIhlEEZZNS1_29radix_sort_onesweep_iterationIS3_Lb0EPhS7_N6thrust23THRUST_200600_302600_NS10device_ptrIlEESB_jNS0_19identity_decomposerENS1_16block_id_wrapperIjLb1EEEEE10hipError_tT1_PNSt15iterator_traitsISG_E10value_typeET2_T3_PNSH_ISM_E10value_typeET4_T5_PSR_SS_PNS1_23onesweep_lookback_stateEbbT6_jjT7_P12ihipStream_tbENKUlT_T0_SG_SL_E_clIS7_S7_PlSB_EEDaSZ_S10_SG_SL_EUlSZ_E_NS1_11comp_targetILNS1_3genE8ELNS1_11target_archE1030ELNS1_3gpuE2ELNS1_3repE0EEENS1_47radix_sort_onesweep_sort_config_static_selectorELNS0_4arch9wavefront6targetE1EEEvSG_, .Lfunc_end290-_ZN7rocprim17ROCPRIM_400000_NS6detail17trampoline_kernelINS0_14default_configENS1_35radix_sort_onesweep_config_selectorIhlEEZZNS1_29radix_sort_onesweep_iterationIS3_Lb0EPhS7_N6thrust23THRUST_200600_302600_NS10device_ptrIlEESB_jNS0_19identity_decomposerENS1_16block_id_wrapperIjLb1EEEEE10hipError_tT1_PNSt15iterator_traitsISG_E10value_typeET2_T3_PNSH_ISM_E10value_typeET4_T5_PSR_SS_PNS1_23onesweep_lookback_stateEbbT6_jjT7_P12ihipStream_tbENKUlT_T0_SG_SL_E_clIS7_S7_PlSB_EEDaSZ_S10_SG_SL_EUlSZ_E_NS1_11comp_targetILNS1_3genE8ELNS1_11target_archE1030ELNS1_3gpuE2ELNS1_3repE0EEENS1_47radix_sort_onesweep_sort_config_static_selectorELNS0_4arch9wavefront6targetE1EEEvSG_
                                        ; -- End function
	.set _ZN7rocprim17ROCPRIM_400000_NS6detail17trampoline_kernelINS0_14default_configENS1_35radix_sort_onesweep_config_selectorIhlEEZZNS1_29radix_sort_onesweep_iterationIS3_Lb0EPhS7_N6thrust23THRUST_200600_302600_NS10device_ptrIlEESB_jNS0_19identity_decomposerENS1_16block_id_wrapperIjLb1EEEEE10hipError_tT1_PNSt15iterator_traitsISG_E10value_typeET2_T3_PNSH_ISM_E10value_typeET4_T5_PSR_SS_PNS1_23onesweep_lookback_stateEbbT6_jjT7_P12ihipStream_tbENKUlT_T0_SG_SL_E_clIS7_S7_PlSB_EEDaSZ_S10_SG_SL_EUlSZ_E_NS1_11comp_targetILNS1_3genE8ELNS1_11target_archE1030ELNS1_3gpuE2ELNS1_3repE0EEENS1_47radix_sort_onesweep_sort_config_static_selectorELNS0_4arch9wavefront6targetE1EEEvSG_.num_vgpr, 0
	.set _ZN7rocprim17ROCPRIM_400000_NS6detail17trampoline_kernelINS0_14default_configENS1_35radix_sort_onesweep_config_selectorIhlEEZZNS1_29radix_sort_onesweep_iterationIS3_Lb0EPhS7_N6thrust23THRUST_200600_302600_NS10device_ptrIlEESB_jNS0_19identity_decomposerENS1_16block_id_wrapperIjLb1EEEEE10hipError_tT1_PNSt15iterator_traitsISG_E10value_typeET2_T3_PNSH_ISM_E10value_typeET4_T5_PSR_SS_PNS1_23onesweep_lookback_stateEbbT6_jjT7_P12ihipStream_tbENKUlT_T0_SG_SL_E_clIS7_S7_PlSB_EEDaSZ_S10_SG_SL_EUlSZ_E_NS1_11comp_targetILNS1_3genE8ELNS1_11target_archE1030ELNS1_3gpuE2ELNS1_3repE0EEENS1_47radix_sort_onesweep_sort_config_static_selectorELNS0_4arch9wavefront6targetE1EEEvSG_.num_agpr, 0
	.set _ZN7rocprim17ROCPRIM_400000_NS6detail17trampoline_kernelINS0_14default_configENS1_35radix_sort_onesweep_config_selectorIhlEEZZNS1_29radix_sort_onesweep_iterationIS3_Lb0EPhS7_N6thrust23THRUST_200600_302600_NS10device_ptrIlEESB_jNS0_19identity_decomposerENS1_16block_id_wrapperIjLb1EEEEE10hipError_tT1_PNSt15iterator_traitsISG_E10value_typeET2_T3_PNSH_ISM_E10value_typeET4_T5_PSR_SS_PNS1_23onesweep_lookback_stateEbbT6_jjT7_P12ihipStream_tbENKUlT_T0_SG_SL_E_clIS7_S7_PlSB_EEDaSZ_S10_SG_SL_EUlSZ_E_NS1_11comp_targetILNS1_3genE8ELNS1_11target_archE1030ELNS1_3gpuE2ELNS1_3repE0EEENS1_47radix_sort_onesweep_sort_config_static_selectorELNS0_4arch9wavefront6targetE1EEEvSG_.numbered_sgpr, 0
	.set _ZN7rocprim17ROCPRIM_400000_NS6detail17trampoline_kernelINS0_14default_configENS1_35radix_sort_onesweep_config_selectorIhlEEZZNS1_29radix_sort_onesweep_iterationIS3_Lb0EPhS7_N6thrust23THRUST_200600_302600_NS10device_ptrIlEESB_jNS0_19identity_decomposerENS1_16block_id_wrapperIjLb1EEEEE10hipError_tT1_PNSt15iterator_traitsISG_E10value_typeET2_T3_PNSH_ISM_E10value_typeET4_T5_PSR_SS_PNS1_23onesweep_lookback_stateEbbT6_jjT7_P12ihipStream_tbENKUlT_T0_SG_SL_E_clIS7_S7_PlSB_EEDaSZ_S10_SG_SL_EUlSZ_E_NS1_11comp_targetILNS1_3genE8ELNS1_11target_archE1030ELNS1_3gpuE2ELNS1_3repE0EEENS1_47radix_sort_onesweep_sort_config_static_selectorELNS0_4arch9wavefront6targetE1EEEvSG_.num_named_barrier, 0
	.set _ZN7rocprim17ROCPRIM_400000_NS6detail17trampoline_kernelINS0_14default_configENS1_35radix_sort_onesweep_config_selectorIhlEEZZNS1_29radix_sort_onesweep_iterationIS3_Lb0EPhS7_N6thrust23THRUST_200600_302600_NS10device_ptrIlEESB_jNS0_19identity_decomposerENS1_16block_id_wrapperIjLb1EEEEE10hipError_tT1_PNSt15iterator_traitsISG_E10value_typeET2_T3_PNSH_ISM_E10value_typeET4_T5_PSR_SS_PNS1_23onesweep_lookback_stateEbbT6_jjT7_P12ihipStream_tbENKUlT_T0_SG_SL_E_clIS7_S7_PlSB_EEDaSZ_S10_SG_SL_EUlSZ_E_NS1_11comp_targetILNS1_3genE8ELNS1_11target_archE1030ELNS1_3gpuE2ELNS1_3repE0EEENS1_47radix_sort_onesweep_sort_config_static_selectorELNS0_4arch9wavefront6targetE1EEEvSG_.private_seg_size, 0
	.set _ZN7rocprim17ROCPRIM_400000_NS6detail17trampoline_kernelINS0_14default_configENS1_35radix_sort_onesweep_config_selectorIhlEEZZNS1_29radix_sort_onesweep_iterationIS3_Lb0EPhS7_N6thrust23THRUST_200600_302600_NS10device_ptrIlEESB_jNS0_19identity_decomposerENS1_16block_id_wrapperIjLb1EEEEE10hipError_tT1_PNSt15iterator_traitsISG_E10value_typeET2_T3_PNSH_ISM_E10value_typeET4_T5_PSR_SS_PNS1_23onesweep_lookback_stateEbbT6_jjT7_P12ihipStream_tbENKUlT_T0_SG_SL_E_clIS7_S7_PlSB_EEDaSZ_S10_SG_SL_EUlSZ_E_NS1_11comp_targetILNS1_3genE8ELNS1_11target_archE1030ELNS1_3gpuE2ELNS1_3repE0EEENS1_47radix_sort_onesweep_sort_config_static_selectorELNS0_4arch9wavefront6targetE1EEEvSG_.uses_vcc, 0
	.set _ZN7rocprim17ROCPRIM_400000_NS6detail17trampoline_kernelINS0_14default_configENS1_35radix_sort_onesweep_config_selectorIhlEEZZNS1_29radix_sort_onesweep_iterationIS3_Lb0EPhS7_N6thrust23THRUST_200600_302600_NS10device_ptrIlEESB_jNS0_19identity_decomposerENS1_16block_id_wrapperIjLb1EEEEE10hipError_tT1_PNSt15iterator_traitsISG_E10value_typeET2_T3_PNSH_ISM_E10value_typeET4_T5_PSR_SS_PNS1_23onesweep_lookback_stateEbbT6_jjT7_P12ihipStream_tbENKUlT_T0_SG_SL_E_clIS7_S7_PlSB_EEDaSZ_S10_SG_SL_EUlSZ_E_NS1_11comp_targetILNS1_3genE8ELNS1_11target_archE1030ELNS1_3gpuE2ELNS1_3repE0EEENS1_47radix_sort_onesweep_sort_config_static_selectorELNS0_4arch9wavefront6targetE1EEEvSG_.uses_flat_scratch, 0
	.set _ZN7rocprim17ROCPRIM_400000_NS6detail17trampoline_kernelINS0_14default_configENS1_35radix_sort_onesweep_config_selectorIhlEEZZNS1_29radix_sort_onesweep_iterationIS3_Lb0EPhS7_N6thrust23THRUST_200600_302600_NS10device_ptrIlEESB_jNS0_19identity_decomposerENS1_16block_id_wrapperIjLb1EEEEE10hipError_tT1_PNSt15iterator_traitsISG_E10value_typeET2_T3_PNSH_ISM_E10value_typeET4_T5_PSR_SS_PNS1_23onesweep_lookback_stateEbbT6_jjT7_P12ihipStream_tbENKUlT_T0_SG_SL_E_clIS7_S7_PlSB_EEDaSZ_S10_SG_SL_EUlSZ_E_NS1_11comp_targetILNS1_3genE8ELNS1_11target_archE1030ELNS1_3gpuE2ELNS1_3repE0EEENS1_47radix_sort_onesweep_sort_config_static_selectorELNS0_4arch9wavefront6targetE1EEEvSG_.has_dyn_sized_stack, 0
	.set _ZN7rocprim17ROCPRIM_400000_NS6detail17trampoline_kernelINS0_14default_configENS1_35radix_sort_onesweep_config_selectorIhlEEZZNS1_29radix_sort_onesweep_iterationIS3_Lb0EPhS7_N6thrust23THRUST_200600_302600_NS10device_ptrIlEESB_jNS0_19identity_decomposerENS1_16block_id_wrapperIjLb1EEEEE10hipError_tT1_PNSt15iterator_traitsISG_E10value_typeET2_T3_PNSH_ISM_E10value_typeET4_T5_PSR_SS_PNS1_23onesweep_lookback_stateEbbT6_jjT7_P12ihipStream_tbENKUlT_T0_SG_SL_E_clIS7_S7_PlSB_EEDaSZ_S10_SG_SL_EUlSZ_E_NS1_11comp_targetILNS1_3genE8ELNS1_11target_archE1030ELNS1_3gpuE2ELNS1_3repE0EEENS1_47radix_sort_onesweep_sort_config_static_selectorELNS0_4arch9wavefront6targetE1EEEvSG_.has_recursion, 0
	.set _ZN7rocprim17ROCPRIM_400000_NS6detail17trampoline_kernelINS0_14default_configENS1_35radix_sort_onesweep_config_selectorIhlEEZZNS1_29radix_sort_onesweep_iterationIS3_Lb0EPhS7_N6thrust23THRUST_200600_302600_NS10device_ptrIlEESB_jNS0_19identity_decomposerENS1_16block_id_wrapperIjLb1EEEEE10hipError_tT1_PNSt15iterator_traitsISG_E10value_typeET2_T3_PNSH_ISM_E10value_typeET4_T5_PSR_SS_PNS1_23onesweep_lookback_stateEbbT6_jjT7_P12ihipStream_tbENKUlT_T0_SG_SL_E_clIS7_S7_PlSB_EEDaSZ_S10_SG_SL_EUlSZ_E_NS1_11comp_targetILNS1_3genE8ELNS1_11target_archE1030ELNS1_3gpuE2ELNS1_3repE0EEENS1_47radix_sort_onesweep_sort_config_static_selectorELNS0_4arch9wavefront6targetE1EEEvSG_.has_indirect_call, 0
	.section	.AMDGPU.csdata,"",@progbits
; Kernel info:
; codeLenInByte = 0
; TotalNumSgprs: 4
; NumVgprs: 0
; ScratchSize: 0
; MemoryBound: 0
; FloatMode: 240
; IeeeMode: 1
; LDSByteSize: 0 bytes/workgroup (compile time only)
; SGPRBlocks: 0
; VGPRBlocks: 0
; NumSGPRsForWavesPerEU: 4
; NumVGPRsForWavesPerEU: 1
; Occupancy: 10
; WaveLimiterHint : 0
; COMPUTE_PGM_RSRC2:SCRATCH_EN: 0
; COMPUTE_PGM_RSRC2:USER_SGPR: 6
; COMPUTE_PGM_RSRC2:TRAP_HANDLER: 0
; COMPUTE_PGM_RSRC2:TGID_X_EN: 1
; COMPUTE_PGM_RSRC2:TGID_Y_EN: 0
; COMPUTE_PGM_RSRC2:TGID_Z_EN: 0
; COMPUTE_PGM_RSRC2:TIDIG_COMP_CNT: 0
	.section	.text._ZN7rocprim17ROCPRIM_400000_NS6detail17trampoline_kernelINS0_14default_configENS1_35radix_sort_onesweep_config_selectorIhlEEZZNS1_29radix_sort_onesweep_iterationIS3_Lb0EPhS7_N6thrust23THRUST_200600_302600_NS10device_ptrIlEESB_jNS0_19identity_decomposerENS1_16block_id_wrapperIjLb0EEEEE10hipError_tT1_PNSt15iterator_traitsISG_E10value_typeET2_T3_PNSH_ISM_E10value_typeET4_T5_PSR_SS_PNS1_23onesweep_lookback_stateEbbT6_jjT7_P12ihipStream_tbENKUlT_T0_SG_SL_E_clIS7_S7_SB_SB_EEDaSZ_S10_SG_SL_EUlSZ_E_NS1_11comp_targetILNS1_3genE0ELNS1_11target_archE4294967295ELNS1_3gpuE0ELNS1_3repE0EEENS1_47radix_sort_onesweep_sort_config_static_selectorELNS0_4arch9wavefront6targetE1EEEvSG_,"axG",@progbits,_ZN7rocprim17ROCPRIM_400000_NS6detail17trampoline_kernelINS0_14default_configENS1_35radix_sort_onesweep_config_selectorIhlEEZZNS1_29radix_sort_onesweep_iterationIS3_Lb0EPhS7_N6thrust23THRUST_200600_302600_NS10device_ptrIlEESB_jNS0_19identity_decomposerENS1_16block_id_wrapperIjLb0EEEEE10hipError_tT1_PNSt15iterator_traitsISG_E10value_typeET2_T3_PNSH_ISM_E10value_typeET4_T5_PSR_SS_PNS1_23onesweep_lookback_stateEbbT6_jjT7_P12ihipStream_tbENKUlT_T0_SG_SL_E_clIS7_S7_SB_SB_EEDaSZ_S10_SG_SL_EUlSZ_E_NS1_11comp_targetILNS1_3genE0ELNS1_11target_archE4294967295ELNS1_3gpuE0ELNS1_3repE0EEENS1_47radix_sort_onesweep_sort_config_static_selectorELNS0_4arch9wavefront6targetE1EEEvSG_,comdat
	.protected	_ZN7rocprim17ROCPRIM_400000_NS6detail17trampoline_kernelINS0_14default_configENS1_35radix_sort_onesweep_config_selectorIhlEEZZNS1_29radix_sort_onesweep_iterationIS3_Lb0EPhS7_N6thrust23THRUST_200600_302600_NS10device_ptrIlEESB_jNS0_19identity_decomposerENS1_16block_id_wrapperIjLb0EEEEE10hipError_tT1_PNSt15iterator_traitsISG_E10value_typeET2_T3_PNSH_ISM_E10value_typeET4_T5_PSR_SS_PNS1_23onesweep_lookback_stateEbbT6_jjT7_P12ihipStream_tbENKUlT_T0_SG_SL_E_clIS7_S7_SB_SB_EEDaSZ_S10_SG_SL_EUlSZ_E_NS1_11comp_targetILNS1_3genE0ELNS1_11target_archE4294967295ELNS1_3gpuE0ELNS1_3repE0EEENS1_47radix_sort_onesweep_sort_config_static_selectorELNS0_4arch9wavefront6targetE1EEEvSG_ ; -- Begin function _ZN7rocprim17ROCPRIM_400000_NS6detail17trampoline_kernelINS0_14default_configENS1_35radix_sort_onesweep_config_selectorIhlEEZZNS1_29radix_sort_onesweep_iterationIS3_Lb0EPhS7_N6thrust23THRUST_200600_302600_NS10device_ptrIlEESB_jNS0_19identity_decomposerENS1_16block_id_wrapperIjLb0EEEEE10hipError_tT1_PNSt15iterator_traitsISG_E10value_typeET2_T3_PNSH_ISM_E10value_typeET4_T5_PSR_SS_PNS1_23onesweep_lookback_stateEbbT6_jjT7_P12ihipStream_tbENKUlT_T0_SG_SL_E_clIS7_S7_SB_SB_EEDaSZ_S10_SG_SL_EUlSZ_E_NS1_11comp_targetILNS1_3genE0ELNS1_11target_archE4294967295ELNS1_3gpuE0ELNS1_3repE0EEENS1_47radix_sort_onesweep_sort_config_static_selectorELNS0_4arch9wavefront6targetE1EEEvSG_
	.globl	_ZN7rocprim17ROCPRIM_400000_NS6detail17trampoline_kernelINS0_14default_configENS1_35radix_sort_onesweep_config_selectorIhlEEZZNS1_29radix_sort_onesweep_iterationIS3_Lb0EPhS7_N6thrust23THRUST_200600_302600_NS10device_ptrIlEESB_jNS0_19identity_decomposerENS1_16block_id_wrapperIjLb0EEEEE10hipError_tT1_PNSt15iterator_traitsISG_E10value_typeET2_T3_PNSH_ISM_E10value_typeET4_T5_PSR_SS_PNS1_23onesweep_lookback_stateEbbT6_jjT7_P12ihipStream_tbENKUlT_T0_SG_SL_E_clIS7_S7_SB_SB_EEDaSZ_S10_SG_SL_EUlSZ_E_NS1_11comp_targetILNS1_3genE0ELNS1_11target_archE4294967295ELNS1_3gpuE0ELNS1_3repE0EEENS1_47radix_sort_onesweep_sort_config_static_selectorELNS0_4arch9wavefront6targetE1EEEvSG_
	.p2align	8
	.type	_ZN7rocprim17ROCPRIM_400000_NS6detail17trampoline_kernelINS0_14default_configENS1_35radix_sort_onesweep_config_selectorIhlEEZZNS1_29radix_sort_onesweep_iterationIS3_Lb0EPhS7_N6thrust23THRUST_200600_302600_NS10device_ptrIlEESB_jNS0_19identity_decomposerENS1_16block_id_wrapperIjLb0EEEEE10hipError_tT1_PNSt15iterator_traitsISG_E10value_typeET2_T3_PNSH_ISM_E10value_typeET4_T5_PSR_SS_PNS1_23onesweep_lookback_stateEbbT6_jjT7_P12ihipStream_tbENKUlT_T0_SG_SL_E_clIS7_S7_SB_SB_EEDaSZ_S10_SG_SL_EUlSZ_E_NS1_11comp_targetILNS1_3genE0ELNS1_11target_archE4294967295ELNS1_3gpuE0ELNS1_3repE0EEENS1_47radix_sort_onesweep_sort_config_static_selectorELNS0_4arch9wavefront6targetE1EEEvSG_,@function
_ZN7rocprim17ROCPRIM_400000_NS6detail17trampoline_kernelINS0_14default_configENS1_35radix_sort_onesweep_config_selectorIhlEEZZNS1_29radix_sort_onesweep_iterationIS3_Lb0EPhS7_N6thrust23THRUST_200600_302600_NS10device_ptrIlEESB_jNS0_19identity_decomposerENS1_16block_id_wrapperIjLb0EEEEE10hipError_tT1_PNSt15iterator_traitsISG_E10value_typeET2_T3_PNSH_ISM_E10value_typeET4_T5_PSR_SS_PNS1_23onesweep_lookback_stateEbbT6_jjT7_P12ihipStream_tbENKUlT_T0_SG_SL_E_clIS7_S7_SB_SB_EEDaSZ_S10_SG_SL_EUlSZ_E_NS1_11comp_targetILNS1_3genE0ELNS1_11target_archE4294967295ELNS1_3gpuE0ELNS1_3repE0EEENS1_47radix_sort_onesweep_sort_config_static_selectorELNS0_4arch9wavefront6targetE1EEEvSG_: ; @_ZN7rocprim17ROCPRIM_400000_NS6detail17trampoline_kernelINS0_14default_configENS1_35radix_sort_onesweep_config_selectorIhlEEZZNS1_29radix_sort_onesweep_iterationIS3_Lb0EPhS7_N6thrust23THRUST_200600_302600_NS10device_ptrIlEESB_jNS0_19identity_decomposerENS1_16block_id_wrapperIjLb0EEEEE10hipError_tT1_PNSt15iterator_traitsISG_E10value_typeET2_T3_PNSH_ISM_E10value_typeET4_T5_PSR_SS_PNS1_23onesweep_lookback_stateEbbT6_jjT7_P12ihipStream_tbENKUlT_T0_SG_SL_E_clIS7_S7_SB_SB_EEDaSZ_S10_SG_SL_EUlSZ_E_NS1_11comp_targetILNS1_3genE0ELNS1_11target_archE4294967295ELNS1_3gpuE0ELNS1_3repE0EEENS1_47radix_sort_onesweep_sort_config_static_selectorELNS0_4arch9wavefront6targetE1EEEvSG_
; %bb.0:
	.section	.rodata,"a",@progbits
	.p2align	6, 0x0
	.amdhsa_kernel _ZN7rocprim17ROCPRIM_400000_NS6detail17trampoline_kernelINS0_14default_configENS1_35radix_sort_onesweep_config_selectorIhlEEZZNS1_29radix_sort_onesweep_iterationIS3_Lb0EPhS7_N6thrust23THRUST_200600_302600_NS10device_ptrIlEESB_jNS0_19identity_decomposerENS1_16block_id_wrapperIjLb0EEEEE10hipError_tT1_PNSt15iterator_traitsISG_E10value_typeET2_T3_PNSH_ISM_E10value_typeET4_T5_PSR_SS_PNS1_23onesweep_lookback_stateEbbT6_jjT7_P12ihipStream_tbENKUlT_T0_SG_SL_E_clIS7_S7_SB_SB_EEDaSZ_S10_SG_SL_EUlSZ_E_NS1_11comp_targetILNS1_3genE0ELNS1_11target_archE4294967295ELNS1_3gpuE0ELNS1_3repE0EEENS1_47radix_sort_onesweep_sort_config_static_selectorELNS0_4arch9wavefront6targetE1EEEvSG_
		.amdhsa_group_segment_fixed_size 0
		.amdhsa_private_segment_fixed_size 0
		.amdhsa_kernarg_size 88
		.amdhsa_user_sgpr_count 6
		.amdhsa_user_sgpr_private_segment_buffer 1
		.amdhsa_user_sgpr_dispatch_ptr 0
		.amdhsa_user_sgpr_queue_ptr 0
		.amdhsa_user_sgpr_kernarg_segment_ptr 1
		.amdhsa_user_sgpr_dispatch_id 0
		.amdhsa_user_sgpr_flat_scratch_init 0
		.amdhsa_user_sgpr_private_segment_size 0
		.amdhsa_uses_dynamic_stack 0
		.amdhsa_system_sgpr_private_segment_wavefront_offset 0
		.amdhsa_system_sgpr_workgroup_id_x 1
		.amdhsa_system_sgpr_workgroup_id_y 0
		.amdhsa_system_sgpr_workgroup_id_z 0
		.amdhsa_system_sgpr_workgroup_info 0
		.amdhsa_system_vgpr_workitem_id 0
		.amdhsa_next_free_vgpr 1
		.amdhsa_next_free_sgpr 0
		.amdhsa_reserve_vcc 0
		.amdhsa_reserve_flat_scratch 0
		.amdhsa_float_round_mode_32 0
		.amdhsa_float_round_mode_16_64 0
		.amdhsa_float_denorm_mode_32 3
		.amdhsa_float_denorm_mode_16_64 3
		.amdhsa_dx10_clamp 1
		.amdhsa_ieee_mode 1
		.amdhsa_fp16_overflow 0
		.amdhsa_exception_fp_ieee_invalid_op 0
		.amdhsa_exception_fp_denorm_src 0
		.amdhsa_exception_fp_ieee_div_zero 0
		.amdhsa_exception_fp_ieee_overflow 0
		.amdhsa_exception_fp_ieee_underflow 0
		.amdhsa_exception_fp_ieee_inexact 0
		.amdhsa_exception_int_div_zero 0
	.end_amdhsa_kernel
	.section	.text._ZN7rocprim17ROCPRIM_400000_NS6detail17trampoline_kernelINS0_14default_configENS1_35radix_sort_onesweep_config_selectorIhlEEZZNS1_29radix_sort_onesweep_iterationIS3_Lb0EPhS7_N6thrust23THRUST_200600_302600_NS10device_ptrIlEESB_jNS0_19identity_decomposerENS1_16block_id_wrapperIjLb0EEEEE10hipError_tT1_PNSt15iterator_traitsISG_E10value_typeET2_T3_PNSH_ISM_E10value_typeET4_T5_PSR_SS_PNS1_23onesweep_lookback_stateEbbT6_jjT7_P12ihipStream_tbENKUlT_T0_SG_SL_E_clIS7_S7_SB_SB_EEDaSZ_S10_SG_SL_EUlSZ_E_NS1_11comp_targetILNS1_3genE0ELNS1_11target_archE4294967295ELNS1_3gpuE0ELNS1_3repE0EEENS1_47radix_sort_onesweep_sort_config_static_selectorELNS0_4arch9wavefront6targetE1EEEvSG_,"axG",@progbits,_ZN7rocprim17ROCPRIM_400000_NS6detail17trampoline_kernelINS0_14default_configENS1_35radix_sort_onesweep_config_selectorIhlEEZZNS1_29radix_sort_onesweep_iterationIS3_Lb0EPhS7_N6thrust23THRUST_200600_302600_NS10device_ptrIlEESB_jNS0_19identity_decomposerENS1_16block_id_wrapperIjLb0EEEEE10hipError_tT1_PNSt15iterator_traitsISG_E10value_typeET2_T3_PNSH_ISM_E10value_typeET4_T5_PSR_SS_PNS1_23onesweep_lookback_stateEbbT6_jjT7_P12ihipStream_tbENKUlT_T0_SG_SL_E_clIS7_S7_SB_SB_EEDaSZ_S10_SG_SL_EUlSZ_E_NS1_11comp_targetILNS1_3genE0ELNS1_11target_archE4294967295ELNS1_3gpuE0ELNS1_3repE0EEENS1_47radix_sort_onesweep_sort_config_static_selectorELNS0_4arch9wavefront6targetE1EEEvSG_,comdat
.Lfunc_end291:
	.size	_ZN7rocprim17ROCPRIM_400000_NS6detail17trampoline_kernelINS0_14default_configENS1_35radix_sort_onesweep_config_selectorIhlEEZZNS1_29radix_sort_onesweep_iterationIS3_Lb0EPhS7_N6thrust23THRUST_200600_302600_NS10device_ptrIlEESB_jNS0_19identity_decomposerENS1_16block_id_wrapperIjLb0EEEEE10hipError_tT1_PNSt15iterator_traitsISG_E10value_typeET2_T3_PNSH_ISM_E10value_typeET4_T5_PSR_SS_PNS1_23onesweep_lookback_stateEbbT6_jjT7_P12ihipStream_tbENKUlT_T0_SG_SL_E_clIS7_S7_SB_SB_EEDaSZ_S10_SG_SL_EUlSZ_E_NS1_11comp_targetILNS1_3genE0ELNS1_11target_archE4294967295ELNS1_3gpuE0ELNS1_3repE0EEENS1_47radix_sort_onesweep_sort_config_static_selectorELNS0_4arch9wavefront6targetE1EEEvSG_, .Lfunc_end291-_ZN7rocprim17ROCPRIM_400000_NS6detail17trampoline_kernelINS0_14default_configENS1_35radix_sort_onesweep_config_selectorIhlEEZZNS1_29radix_sort_onesweep_iterationIS3_Lb0EPhS7_N6thrust23THRUST_200600_302600_NS10device_ptrIlEESB_jNS0_19identity_decomposerENS1_16block_id_wrapperIjLb0EEEEE10hipError_tT1_PNSt15iterator_traitsISG_E10value_typeET2_T3_PNSH_ISM_E10value_typeET4_T5_PSR_SS_PNS1_23onesweep_lookback_stateEbbT6_jjT7_P12ihipStream_tbENKUlT_T0_SG_SL_E_clIS7_S7_SB_SB_EEDaSZ_S10_SG_SL_EUlSZ_E_NS1_11comp_targetILNS1_3genE0ELNS1_11target_archE4294967295ELNS1_3gpuE0ELNS1_3repE0EEENS1_47radix_sort_onesweep_sort_config_static_selectorELNS0_4arch9wavefront6targetE1EEEvSG_
                                        ; -- End function
	.set _ZN7rocprim17ROCPRIM_400000_NS6detail17trampoline_kernelINS0_14default_configENS1_35radix_sort_onesweep_config_selectorIhlEEZZNS1_29radix_sort_onesweep_iterationIS3_Lb0EPhS7_N6thrust23THRUST_200600_302600_NS10device_ptrIlEESB_jNS0_19identity_decomposerENS1_16block_id_wrapperIjLb0EEEEE10hipError_tT1_PNSt15iterator_traitsISG_E10value_typeET2_T3_PNSH_ISM_E10value_typeET4_T5_PSR_SS_PNS1_23onesweep_lookback_stateEbbT6_jjT7_P12ihipStream_tbENKUlT_T0_SG_SL_E_clIS7_S7_SB_SB_EEDaSZ_S10_SG_SL_EUlSZ_E_NS1_11comp_targetILNS1_3genE0ELNS1_11target_archE4294967295ELNS1_3gpuE0ELNS1_3repE0EEENS1_47radix_sort_onesweep_sort_config_static_selectorELNS0_4arch9wavefront6targetE1EEEvSG_.num_vgpr, 0
	.set _ZN7rocprim17ROCPRIM_400000_NS6detail17trampoline_kernelINS0_14default_configENS1_35radix_sort_onesweep_config_selectorIhlEEZZNS1_29radix_sort_onesweep_iterationIS3_Lb0EPhS7_N6thrust23THRUST_200600_302600_NS10device_ptrIlEESB_jNS0_19identity_decomposerENS1_16block_id_wrapperIjLb0EEEEE10hipError_tT1_PNSt15iterator_traitsISG_E10value_typeET2_T3_PNSH_ISM_E10value_typeET4_T5_PSR_SS_PNS1_23onesweep_lookback_stateEbbT6_jjT7_P12ihipStream_tbENKUlT_T0_SG_SL_E_clIS7_S7_SB_SB_EEDaSZ_S10_SG_SL_EUlSZ_E_NS1_11comp_targetILNS1_3genE0ELNS1_11target_archE4294967295ELNS1_3gpuE0ELNS1_3repE0EEENS1_47radix_sort_onesweep_sort_config_static_selectorELNS0_4arch9wavefront6targetE1EEEvSG_.num_agpr, 0
	.set _ZN7rocprim17ROCPRIM_400000_NS6detail17trampoline_kernelINS0_14default_configENS1_35radix_sort_onesweep_config_selectorIhlEEZZNS1_29radix_sort_onesweep_iterationIS3_Lb0EPhS7_N6thrust23THRUST_200600_302600_NS10device_ptrIlEESB_jNS0_19identity_decomposerENS1_16block_id_wrapperIjLb0EEEEE10hipError_tT1_PNSt15iterator_traitsISG_E10value_typeET2_T3_PNSH_ISM_E10value_typeET4_T5_PSR_SS_PNS1_23onesweep_lookback_stateEbbT6_jjT7_P12ihipStream_tbENKUlT_T0_SG_SL_E_clIS7_S7_SB_SB_EEDaSZ_S10_SG_SL_EUlSZ_E_NS1_11comp_targetILNS1_3genE0ELNS1_11target_archE4294967295ELNS1_3gpuE0ELNS1_3repE0EEENS1_47radix_sort_onesweep_sort_config_static_selectorELNS0_4arch9wavefront6targetE1EEEvSG_.numbered_sgpr, 0
	.set _ZN7rocprim17ROCPRIM_400000_NS6detail17trampoline_kernelINS0_14default_configENS1_35radix_sort_onesweep_config_selectorIhlEEZZNS1_29radix_sort_onesweep_iterationIS3_Lb0EPhS7_N6thrust23THRUST_200600_302600_NS10device_ptrIlEESB_jNS0_19identity_decomposerENS1_16block_id_wrapperIjLb0EEEEE10hipError_tT1_PNSt15iterator_traitsISG_E10value_typeET2_T3_PNSH_ISM_E10value_typeET4_T5_PSR_SS_PNS1_23onesweep_lookback_stateEbbT6_jjT7_P12ihipStream_tbENKUlT_T0_SG_SL_E_clIS7_S7_SB_SB_EEDaSZ_S10_SG_SL_EUlSZ_E_NS1_11comp_targetILNS1_3genE0ELNS1_11target_archE4294967295ELNS1_3gpuE0ELNS1_3repE0EEENS1_47radix_sort_onesweep_sort_config_static_selectorELNS0_4arch9wavefront6targetE1EEEvSG_.num_named_barrier, 0
	.set _ZN7rocprim17ROCPRIM_400000_NS6detail17trampoline_kernelINS0_14default_configENS1_35radix_sort_onesweep_config_selectorIhlEEZZNS1_29radix_sort_onesweep_iterationIS3_Lb0EPhS7_N6thrust23THRUST_200600_302600_NS10device_ptrIlEESB_jNS0_19identity_decomposerENS1_16block_id_wrapperIjLb0EEEEE10hipError_tT1_PNSt15iterator_traitsISG_E10value_typeET2_T3_PNSH_ISM_E10value_typeET4_T5_PSR_SS_PNS1_23onesweep_lookback_stateEbbT6_jjT7_P12ihipStream_tbENKUlT_T0_SG_SL_E_clIS7_S7_SB_SB_EEDaSZ_S10_SG_SL_EUlSZ_E_NS1_11comp_targetILNS1_3genE0ELNS1_11target_archE4294967295ELNS1_3gpuE0ELNS1_3repE0EEENS1_47radix_sort_onesweep_sort_config_static_selectorELNS0_4arch9wavefront6targetE1EEEvSG_.private_seg_size, 0
	.set _ZN7rocprim17ROCPRIM_400000_NS6detail17trampoline_kernelINS0_14default_configENS1_35radix_sort_onesweep_config_selectorIhlEEZZNS1_29radix_sort_onesweep_iterationIS3_Lb0EPhS7_N6thrust23THRUST_200600_302600_NS10device_ptrIlEESB_jNS0_19identity_decomposerENS1_16block_id_wrapperIjLb0EEEEE10hipError_tT1_PNSt15iterator_traitsISG_E10value_typeET2_T3_PNSH_ISM_E10value_typeET4_T5_PSR_SS_PNS1_23onesweep_lookback_stateEbbT6_jjT7_P12ihipStream_tbENKUlT_T0_SG_SL_E_clIS7_S7_SB_SB_EEDaSZ_S10_SG_SL_EUlSZ_E_NS1_11comp_targetILNS1_3genE0ELNS1_11target_archE4294967295ELNS1_3gpuE0ELNS1_3repE0EEENS1_47radix_sort_onesweep_sort_config_static_selectorELNS0_4arch9wavefront6targetE1EEEvSG_.uses_vcc, 0
	.set _ZN7rocprim17ROCPRIM_400000_NS6detail17trampoline_kernelINS0_14default_configENS1_35radix_sort_onesweep_config_selectorIhlEEZZNS1_29radix_sort_onesweep_iterationIS3_Lb0EPhS7_N6thrust23THRUST_200600_302600_NS10device_ptrIlEESB_jNS0_19identity_decomposerENS1_16block_id_wrapperIjLb0EEEEE10hipError_tT1_PNSt15iterator_traitsISG_E10value_typeET2_T3_PNSH_ISM_E10value_typeET4_T5_PSR_SS_PNS1_23onesweep_lookback_stateEbbT6_jjT7_P12ihipStream_tbENKUlT_T0_SG_SL_E_clIS7_S7_SB_SB_EEDaSZ_S10_SG_SL_EUlSZ_E_NS1_11comp_targetILNS1_3genE0ELNS1_11target_archE4294967295ELNS1_3gpuE0ELNS1_3repE0EEENS1_47radix_sort_onesweep_sort_config_static_selectorELNS0_4arch9wavefront6targetE1EEEvSG_.uses_flat_scratch, 0
	.set _ZN7rocprim17ROCPRIM_400000_NS6detail17trampoline_kernelINS0_14default_configENS1_35radix_sort_onesweep_config_selectorIhlEEZZNS1_29radix_sort_onesweep_iterationIS3_Lb0EPhS7_N6thrust23THRUST_200600_302600_NS10device_ptrIlEESB_jNS0_19identity_decomposerENS1_16block_id_wrapperIjLb0EEEEE10hipError_tT1_PNSt15iterator_traitsISG_E10value_typeET2_T3_PNSH_ISM_E10value_typeET4_T5_PSR_SS_PNS1_23onesweep_lookback_stateEbbT6_jjT7_P12ihipStream_tbENKUlT_T0_SG_SL_E_clIS7_S7_SB_SB_EEDaSZ_S10_SG_SL_EUlSZ_E_NS1_11comp_targetILNS1_3genE0ELNS1_11target_archE4294967295ELNS1_3gpuE0ELNS1_3repE0EEENS1_47radix_sort_onesweep_sort_config_static_selectorELNS0_4arch9wavefront6targetE1EEEvSG_.has_dyn_sized_stack, 0
	.set _ZN7rocprim17ROCPRIM_400000_NS6detail17trampoline_kernelINS0_14default_configENS1_35radix_sort_onesweep_config_selectorIhlEEZZNS1_29radix_sort_onesweep_iterationIS3_Lb0EPhS7_N6thrust23THRUST_200600_302600_NS10device_ptrIlEESB_jNS0_19identity_decomposerENS1_16block_id_wrapperIjLb0EEEEE10hipError_tT1_PNSt15iterator_traitsISG_E10value_typeET2_T3_PNSH_ISM_E10value_typeET4_T5_PSR_SS_PNS1_23onesweep_lookback_stateEbbT6_jjT7_P12ihipStream_tbENKUlT_T0_SG_SL_E_clIS7_S7_SB_SB_EEDaSZ_S10_SG_SL_EUlSZ_E_NS1_11comp_targetILNS1_3genE0ELNS1_11target_archE4294967295ELNS1_3gpuE0ELNS1_3repE0EEENS1_47radix_sort_onesweep_sort_config_static_selectorELNS0_4arch9wavefront6targetE1EEEvSG_.has_recursion, 0
	.set _ZN7rocprim17ROCPRIM_400000_NS6detail17trampoline_kernelINS0_14default_configENS1_35radix_sort_onesweep_config_selectorIhlEEZZNS1_29radix_sort_onesweep_iterationIS3_Lb0EPhS7_N6thrust23THRUST_200600_302600_NS10device_ptrIlEESB_jNS0_19identity_decomposerENS1_16block_id_wrapperIjLb0EEEEE10hipError_tT1_PNSt15iterator_traitsISG_E10value_typeET2_T3_PNSH_ISM_E10value_typeET4_T5_PSR_SS_PNS1_23onesweep_lookback_stateEbbT6_jjT7_P12ihipStream_tbENKUlT_T0_SG_SL_E_clIS7_S7_SB_SB_EEDaSZ_S10_SG_SL_EUlSZ_E_NS1_11comp_targetILNS1_3genE0ELNS1_11target_archE4294967295ELNS1_3gpuE0ELNS1_3repE0EEENS1_47radix_sort_onesweep_sort_config_static_selectorELNS0_4arch9wavefront6targetE1EEEvSG_.has_indirect_call, 0
	.section	.AMDGPU.csdata,"",@progbits
; Kernel info:
; codeLenInByte = 0
; TotalNumSgprs: 4
; NumVgprs: 0
; ScratchSize: 0
; MemoryBound: 0
; FloatMode: 240
; IeeeMode: 1
; LDSByteSize: 0 bytes/workgroup (compile time only)
; SGPRBlocks: 0
; VGPRBlocks: 0
; NumSGPRsForWavesPerEU: 4
; NumVGPRsForWavesPerEU: 1
; Occupancy: 10
; WaveLimiterHint : 0
; COMPUTE_PGM_RSRC2:SCRATCH_EN: 0
; COMPUTE_PGM_RSRC2:USER_SGPR: 6
; COMPUTE_PGM_RSRC2:TRAP_HANDLER: 0
; COMPUTE_PGM_RSRC2:TGID_X_EN: 1
; COMPUTE_PGM_RSRC2:TGID_Y_EN: 0
; COMPUTE_PGM_RSRC2:TGID_Z_EN: 0
; COMPUTE_PGM_RSRC2:TIDIG_COMP_CNT: 0
	.section	.text._ZN7rocprim17ROCPRIM_400000_NS6detail17trampoline_kernelINS0_14default_configENS1_35radix_sort_onesweep_config_selectorIhlEEZZNS1_29radix_sort_onesweep_iterationIS3_Lb0EPhS7_N6thrust23THRUST_200600_302600_NS10device_ptrIlEESB_jNS0_19identity_decomposerENS1_16block_id_wrapperIjLb0EEEEE10hipError_tT1_PNSt15iterator_traitsISG_E10value_typeET2_T3_PNSH_ISM_E10value_typeET4_T5_PSR_SS_PNS1_23onesweep_lookback_stateEbbT6_jjT7_P12ihipStream_tbENKUlT_T0_SG_SL_E_clIS7_S7_SB_SB_EEDaSZ_S10_SG_SL_EUlSZ_E_NS1_11comp_targetILNS1_3genE6ELNS1_11target_archE950ELNS1_3gpuE13ELNS1_3repE0EEENS1_47radix_sort_onesweep_sort_config_static_selectorELNS0_4arch9wavefront6targetE1EEEvSG_,"axG",@progbits,_ZN7rocprim17ROCPRIM_400000_NS6detail17trampoline_kernelINS0_14default_configENS1_35radix_sort_onesweep_config_selectorIhlEEZZNS1_29radix_sort_onesweep_iterationIS3_Lb0EPhS7_N6thrust23THRUST_200600_302600_NS10device_ptrIlEESB_jNS0_19identity_decomposerENS1_16block_id_wrapperIjLb0EEEEE10hipError_tT1_PNSt15iterator_traitsISG_E10value_typeET2_T3_PNSH_ISM_E10value_typeET4_T5_PSR_SS_PNS1_23onesweep_lookback_stateEbbT6_jjT7_P12ihipStream_tbENKUlT_T0_SG_SL_E_clIS7_S7_SB_SB_EEDaSZ_S10_SG_SL_EUlSZ_E_NS1_11comp_targetILNS1_3genE6ELNS1_11target_archE950ELNS1_3gpuE13ELNS1_3repE0EEENS1_47radix_sort_onesweep_sort_config_static_selectorELNS0_4arch9wavefront6targetE1EEEvSG_,comdat
	.protected	_ZN7rocprim17ROCPRIM_400000_NS6detail17trampoline_kernelINS0_14default_configENS1_35radix_sort_onesweep_config_selectorIhlEEZZNS1_29radix_sort_onesweep_iterationIS3_Lb0EPhS7_N6thrust23THRUST_200600_302600_NS10device_ptrIlEESB_jNS0_19identity_decomposerENS1_16block_id_wrapperIjLb0EEEEE10hipError_tT1_PNSt15iterator_traitsISG_E10value_typeET2_T3_PNSH_ISM_E10value_typeET4_T5_PSR_SS_PNS1_23onesweep_lookback_stateEbbT6_jjT7_P12ihipStream_tbENKUlT_T0_SG_SL_E_clIS7_S7_SB_SB_EEDaSZ_S10_SG_SL_EUlSZ_E_NS1_11comp_targetILNS1_3genE6ELNS1_11target_archE950ELNS1_3gpuE13ELNS1_3repE0EEENS1_47radix_sort_onesweep_sort_config_static_selectorELNS0_4arch9wavefront6targetE1EEEvSG_ ; -- Begin function _ZN7rocprim17ROCPRIM_400000_NS6detail17trampoline_kernelINS0_14default_configENS1_35radix_sort_onesweep_config_selectorIhlEEZZNS1_29radix_sort_onesweep_iterationIS3_Lb0EPhS7_N6thrust23THRUST_200600_302600_NS10device_ptrIlEESB_jNS0_19identity_decomposerENS1_16block_id_wrapperIjLb0EEEEE10hipError_tT1_PNSt15iterator_traitsISG_E10value_typeET2_T3_PNSH_ISM_E10value_typeET4_T5_PSR_SS_PNS1_23onesweep_lookback_stateEbbT6_jjT7_P12ihipStream_tbENKUlT_T0_SG_SL_E_clIS7_S7_SB_SB_EEDaSZ_S10_SG_SL_EUlSZ_E_NS1_11comp_targetILNS1_3genE6ELNS1_11target_archE950ELNS1_3gpuE13ELNS1_3repE0EEENS1_47radix_sort_onesweep_sort_config_static_selectorELNS0_4arch9wavefront6targetE1EEEvSG_
	.globl	_ZN7rocprim17ROCPRIM_400000_NS6detail17trampoline_kernelINS0_14default_configENS1_35radix_sort_onesweep_config_selectorIhlEEZZNS1_29radix_sort_onesweep_iterationIS3_Lb0EPhS7_N6thrust23THRUST_200600_302600_NS10device_ptrIlEESB_jNS0_19identity_decomposerENS1_16block_id_wrapperIjLb0EEEEE10hipError_tT1_PNSt15iterator_traitsISG_E10value_typeET2_T3_PNSH_ISM_E10value_typeET4_T5_PSR_SS_PNS1_23onesweep_lookback_stateEbbT6_jjT7_P12ihipStream_tbENKUlT_T0_SG_SL_E_clIS7_S7_SB_SB_EEDaSZ_S10_SG_SL_EUlSZ_E_NS1_11comp_targetILNS1_3genE6ELNS1_11target_archE950ELNS1_3gpuE13ELNS1_3repE0EEENS1_47radix_sort_onesweep_sort_config_static_selectorELNS0_4arch9wavefront6targetE1EEEvSG_
	.p2align	8
	.type	_ZN7rocprim17ROCPRIM_400000_NS6detail17trampoline_kernelINS0_14default_configENS1_35radix_sort_onesweep_config_selectorIhlEEZZNS1_29radix_sort_onesweep_iterationIS3_Lb0EPhS7_N6thrust23THRUST_200600_302600_NS10device_ptrIlEESB_jNS0_19identity_decomposerENS1_16block_id_wrapperIjLb0EEEEE10hipError_tT1_PNSt15iterator_traitsISG_E10value_typeET2_T3_PNSH_ISM_E10value_typeET4_T5_PSR_SS_PNS1_23onesweep_lookback_stateEbbT6_jjT7_P12ihipStream_tbENKUlT_T0_SG_SL_E_clIS7_S7_SB_SB_EEDaSZ_S10_SG_SL_EUlSZ_E_NS1_11comp_targetILNS1_3genE6ELNS1_11target_archE950ELNS1_3gpuE13ELNS1_3repE0EEENS1_47radix_sort_onesweep_sort_config_static_selectorELNS0_4arch9wavefront6targetE1EEEvSG_,@function
_ZN7rocprim17ROCPRIM_400000_NS6detail17trampoline_kernelINS0_14default_configENS1_35radix_sort_onesweep_config_selectorIhlEEZZNS1_29radix_sort_onesweep_iterationIS3_Lb0EPhS7_N6thrust23THRUST_200600_302600_NS10device_ptrIlEESB_jNS0_19identity_decomposerENS1_16block_id_wrapperIjLb0EEEEE10hipError_tT1_PNSt15iterator_traitsISG_E10value_typeET2_T3_PNSH_ISM_E10value_typeET4_T5_PSR_SS_PNS1_23onesweep_lookback_stateEbbT6_jjT7_P12ihipStream_tbENKUlT_T0_SG_SL_E_clIS7_S7_SB_SB_EEDaSZ_S10_SG_SL_EUlSZ_E_NS1_11comp_targetILNS1_3genE6ELNS1_11target_archE950ELNS1_3gpuE13ELNS1_3repE0EEENS1_47radix_sort_onesweep_sort_config_static_selectorELNS0_4arch9wavefront6targetE1EEEvSG_: ; @_ZN7rocprim17ROCPRIM_400000_NS6detail17trampoline_kernelINS0_14default_configENS1_35radix_sort_onesweep_config_selectorIhlEEZZNS1_29radix_sort_onesweep_iterationIS3_Lb0EPhS7_N6thrust23THRUST_200600_302600_NS10device_ptrIlEESB_jNS0_19identity_decomposerENS1_16block_id_wrapperIjLb0EEEEE10hipError_tT1_PNSt15iterator_traitsISG_E10value_typeET2_T3_PNSH_ISM_E10value_typeET4_T5_PSR_SS_PNS1_23onesweep_lookback_stateEbbT6_jjT7_P12ihipStream_tbENKUlT_T0_SG_SL_E_clIS7_S7_SB_SB_EEDaSZ_S10_SG_SL_EUlSZ_E_NS1_11comp_targetILNS1_3genE6ELNS1_11target_archE950ELNS1_3gpuE13ELNS1_3repE0EEENS1_47radix_sort_onesweep_sort_config_static_selectorELNS0_4arch9wavefront6targetE1EEEvSG_
; %bb.0:
	.section	.rodata,"a",@progbits
	.p2align	6, 0x0
	.amdhsa_kernel _ZN7rocprim17ROCPRIM_400000_NS6detail17trampoline_kernelINS0_14default_configENS1_35radix_sort_onesweep_config_selectorIhlEEZZNS1_29radix_sort_onesweep_iterationIS3_Lb0EPhS7_N6thrust23THRUST_200600_302600_NS10device_ptrIlEESB_jNS0_19identity_decomposerENS1_16block_id_wrapperIjLb0EEEEE10hipError_tT1_PNSt15iterator_traitsISG_E10value_typeET2_T3_PNSH_ISM_E10value_typeET4_T5_PSR_SS_PNS1_23onesweep_lookback_stateEbbT6_jjT7_P12ihipStream_tbENKUlT_T0_SG_SL_E_clIS7_S7_SB_SB_EEDaSZ_S10_SG_SL_EUlSZ_E_NS1_11comp_targetILNS1_3genE6ELNS1_11target_archE950ELNS1_3gpuE13ELNS1_3repE0EEENS1_47radix_sort_onesweep_sort_config_static_selectorELNS0_4arch9wavefront6targetE1EEEvSG_
		.amdhsa_group_segment_fixed_size 0
		.amdhsa_private_segment_fixed_size 0
		.amdhsa_kernarg_size 88
		.amdhsa_user_sgpr_count 6
		.amdhsa_user_sgpr_private_segment_buffer 1
		.amdhsa_user_sgpr_dispatch_ptr 0
		.amdhsa_user_sgpr_queue_ptr 0
		.amdhsa_user_sgpr_kernarg_segment_ptr 1
		.amdhsa_user_sgpr_dispatch_id 0
		.amdhsa_user_sgpr_flat_scratch_init 0
		.amdhsa_user_sgpr_private_segment_size 0
		.amdhsa_uses_dynamic_stack 0
		.amdhsa_system_sgpr_private_segment_wavefront_offset 0
		.amdhsa_system_sgpr_workgroup_id_x 1
		.amdhsa_system_sgpr_workgroup_id_y 0
		.amdhsa_system_sgpr_workgroup_id_z 0
		.amdhsa_system_sgpr_workgroup_info 0
		.amdhsa_system_vgpr_workitem_id 0
		.amdhsa_next_free_vgpr 1
		.amdhsa_next_free_sgpr 0
		.amdhsa_reserve_vcc 0
		.amdhsa_reserve_flat_scratch 0
		.amdhsa_float_round_mode_32 0
		.amdhsa_float_round_mode_16_64 0
		.amdhsa_float_denorm_mode_32 3
		.amdhsa_float_denorm_mode_16_64 3
		.amdhsa_dx10_clamp 1
		.amdhsa_ieee_mode 1
		.amdhsa_fp16_overflow 0
		.amdhsa_exception_fp_ieee_invalid_op 0
		.amdhsa_exception_fp_denorm_src 0
		.amdhsa_exception_fp_ieee_div_zero 0
		.amdhsa_exception_fp_ieee_overflow 0
		.amdhsa_exception_fp_ieee_underflow 0
		.amdhsa_exception_fp_ieee_inexact 0
		.amdhsa_exception_int_div_zero 0
	.end_amdhsa_kernel
	.section	.text._ZN7rocprim17ROCPRIM_400000_NS6detail17trampoline_kernelINS0_14default_configENS1_35radix_sort_onesweep_config_selectorIhlEEZZNS1_29radix_sort_onesweep_iterationIS3_Lb0EPhS7_N6thrust23THRUST_200600_302600_NS10device_ptrIlEESB_jNS0_19identity_decomposerENS1_16block_id_wrapperIjLb0EEEEE10hipError_tT1_PNSt15iterator_traitsISG_E10value_typeET2_T3_PNSH_ISM_E10value_typeET4_T5_PSR_SS_PNS1_23onesweep_lookback_stateEbbT6_jjT7_P12ihipStream_tbENKUlT_T0_SG_SL_E_clIS7_S7_SB_SB_EEDaSZ_S10_SG_SL_EUlSZ_E_NS1_11comp_targetILNS1_3genE6ELNS1_11target_archE950ELNS1_3gpuE13ELNS1_3repE0EEENS1_47radix_sort_onesweep_sort_config_static_selectorELNS0_4arch9wavefront6targetE1EEEvSG_,"axG",@progbits,_ZN7rocprim17ROCPRIM_400000_NS6detail17trampoline_kernelINS0_14default_configENS1_35radix_sort_onesweep_config_selectorIhlEEZZNS1_29radix_sort_onesweep_iterationIS3_Lb0EPhS7_N6thrust23THRUST_200600_302600_NS10device_ptrIlEESB_jNS0_19identity_decomposerENS1_16block_id_wrapperIjLb0EEEEE10hipError_tT1_PNSt15iterator_traitsISG_E10value_typeET2_T3_PNSH_ISM_E10value_typeET4_T5_PSR_SS_PNS1_23onesweep_lookback_stateEbbT6_jjT7_P12ihipStream_tbENKUlT_T0_SG_SL_E_clIS7_S7_SB_SB_EEDaSZ_S10_SG_SL_EUlSZ_E_NS1_11comp_targetILNS1_3genE6ELNS1_11target_archE950ELNS1_3gpuE13ELNS1_3repE0EEENS1_47radix_sort_onesweep_sort_config_static_selectorELNS0_4arch9wavefront6targetE1EEEvSG_,comdat
.Lfunc_end292:
	.size	_ZN7rocprim17ROCPRIM_400000_NS6detail17trampoline_kernelINS0_14default_configENS1_35radix_sort_onesweep_config_selectorIhlEEZZNS1_29radix_sort_onesweep_iterationIS3_Lb0EPhS7_N6thrust23THRUST_200600_302600_NS10device_ptrIlEESB_jNS0_19identity_decomposerENS1_16block_id_wrapperIjLb0EEEEE10hipError_tT1_PNSt15iterator_traitsISG_E10value_typeET2_T3_PNSH_ISM_E10value_typeET4_T5_PSR_SS_PNS1_23onesweep_lookback_stateEbbT6_jjT7_P12ihipStream_tbENKUlT_T0_SG_SL_E_clIS7_S7_SB_SB_EEDaSZ_S10_SG_SL_EUlSZ_E_NS1_11comp_targetILNS1_3genE6ELNS1_11target_archE950ELNS1_3gpuE13ELNS1_3repE0EEENS1_47radix_sort_onesweep_sort_config_static_selectorELNS0_4arch9wavefront6targetE1EEEvSG_, .Lfunc_end292-_ZN7rocprim17ROCPRIM_400000_NS6detail17trampoline_kernelINS0_14default_configENS1_35radix_sort_onesweep_config_selectorIhlEEZZNS1_29radix_sort_onesweep_iterationIS3_Lb0EPhS7_N6thrust23THRUST_200600_302600_NS10device_ptrIlEESB_jNS0_19identity_decomposerENS1_16block_id_wrapperIjLb0EEEEE10hipError_tT1_PNSt15iterator_traitsISG_E10value_typeET2_T3_PNSH_ISM_E10value_typeET4_T5_PSR_SS_PNS1_23onesweep_lookback_stateEbbT6_jjT7_P12ihipStream_tbENKUlT_T0_SG_SL_E_clIS7_S7_SB_SB_EEDaSZ_S10_SG_SL_EUlSZ_E_NS1_11comp_targetILNS1_3genE6ELNS1_11target_archE950ELNS1_3gpuE13ELNS1_3repE0EEENS1_47radix_sort_onesweep_sort_config_static_selectorELNS0_4arch9wavefront6targetE1EEEvSG_
                                        ; -- End function
	.set _ZN7rocprim17ROCPRIM_400000_NS6detail17trampoline_kernelINS0_14default_configENS1_35radix_sort_onesweep_config_selectorIhlEEZZNS1_29radix_sort_onesweep_iterationIS3_Lb0EPhS7_N6thrust23THRUST_200600_302600_NS10device_ptrIlEESB_jNS0_19identity_decomposerENS1_16block_id_wrapperIjLb0EEEEE10hipError_tT1_PNSt15iterator_traitsISG_E10value_typeET2_T3_PNSH_ISM_E10value_typeET4_T5_PSR_SS_PNS1_23onesweep_lookback_stateEbbT6_jjT7_P12ihipStream_tbENKUlT_T0_SG_SL_E_clIS7_S7_SB_SB_EEDaSZ_S10_SG_SL_EUlSZ_E_NS1_11comp_targetILNS1_3genE6ELNS1_11target_archE950ELNS1_3gpuE13ELNS1_3repE0EEENS1_47radix_sort_onesweep_sort_config_static_selectorELNS0_4arch9wavefront6targetE1EEEvSG_.num_vgpr, 0
	.set _ZN7rocprim17ROCPRIM_400000_NS6detail17trampoline_kernelINS0_14default_configENS1_35radix_sort_onesweep_config_selectorIhlEEZZNS1_29radix_sort_onesweep_iterationIS3_Lb0EPhS7_N6thrust23THRUST_200600_302600_NS10device_ptrIlEESB_jNS0_19identity_decomposerENS1_16block_id_wrapperIjLb0EEEEE10hipError_tT1_PNSt15iterator_traitsISG_E10value_typeET2_T3_PNSH_ISM_E10value_typeET4_T5_PSR_SS_PNS1_23onesweep_lookback_stateEbbT6_jjT7_P12ihipStream_tbENKUlT_T0_SG_SL_E_clIS7_S7_SB_SB_EEDaSZ_S10_SG_SL_EUlSZ_E_NS1_11comp_targetILNS1_3genE6ELNS1_11target_archE950ELNS1_3gpuE13ELNS1_3repE0EEENS1_47radix_sort_onesweep_sort_config_static_selectorELNS0_4arch9wavefront6targetE1EEEvSG_.num_agpr, 0
	.set _ZN7rocprim17ROCPRIM_400000_NS6detail17trampoline_kernelINS0_14default_configENS1_35radix_sort_onesweep_config_selectorIhlEEZZNS1_29radix_sort_onesweep_iterationIS3_Lb0EPhS7_N6thrust23THRUST_200600_302600_NS10device_ptrIlEESB_jNS0_19identity_decomposerENS1_16block_id_wrapperIjLb0EEEEE10hipError_tT1_PNSt15iterator_traitsISG_E10value_typeET2_T3_PNSH_ISM_E10value_typeET4_T5_PSR_SS_PNS1_23onesweep_lookback_stateEbbT6_jjT7_P12ihipStream_tbENKUlT_T0_SG_SL_E_clIS7_S7_SB_SB_EEDaSZ_S10_SG_SL_EUlSZ_E_NS1_11comp_targetILNS1_3genE6ELNS1_11target_archE950ELNS1_3gpuE13ELNS1_3repE0EEENS1_47radix_sort_onesweep_sort_config_static_selectorELNS0_4arch9wavefront6targetE1EEEvSG_.numbered_sgpr, 0
	.set _ZN7rocprim17ROCPRIM_400000_NS6detail17trampoline_kernelINS0_14default_configENS1_35radix_sort_onesweep_config_selectorIhlEEZZNS1_29radix_sort_onesweep_iterationIS3_Lb0EPhS7_N6thrust23THRUST_200600_302600_NS10device_ptrIlEESB_jNS0_19identity_decomposerENS1_16block_id_wrapperIjLb0EEEEE10hipError_tT1_PNSt15iterator_traitsISG_E10value_typeET2_T3_PNSH_ISM_E10value_typeET4_T5_PSR_SS_PNS1_23onesweep_lookback_stateEbbT6_jjT7_P12ihipStream_tbENKUlT_T0_SG_SL_E_clIS7_S7_SB_SB_EEDaSZ_S10_SG_SL_EUlSZ_E_NS1_11comp_targetILNS1_3genE6ELNS1_11target_archE950ELNS1_3gpuE13ELNS1_3repE0EEENS1_47radix_sort_onesweep_sort_config_static_selectorELNS0_4arch9wavefront6targetE1EEEvSG_.num_named_barrier, 0
	.set _ZN7rocprim17ROCPRIM_400000_NS6detail17trampoline_kernelINS0_14default_configENS1_35radix_sort_onesweep_config_selectorIhlEEZZNS1_29radix_sort_onesweep_iterationIS3_Lb0EPhS7_N6thrust23THRUST_200600_302600_NS10device_ptrIlEESB_jNS0_19identity_decomposerENS1_16block_id_wrapperIjLb0EEEEE10hipError_tT1_PNSt15iterator_traitsISG_E10value_typeET2_T3_PNSH_ISM_E10value_typeET4_T5_PSR_SS_PNS1_23onesweep_lookback_stateEbbT6_jjT7_P12ihipStream_tbENKUlT_T0_SG_SL_E_clIS7_S7_SB_SB_EEDaSZ_S10_SG_SL_EUlSZ_E_NS1_11comp_targetILNS1_3genE6ELNS1_11target_archE950ELNS1_3gpuE13ELNS1_3repE0EEENS1_47radix_sort_onesweep_sort_config_static_selectorELNS0_4arch9wavefront6targetE1EEEvSG_.private_seg_size, 0
	.set _ZN7rocprim17ROCPRIM_400000_NS6detail17trampoline_kernelINS0_14default_configENS1_35radix_sort_onesweep_config_selectorIhlEEZZNS1_29radix_sort_onesweep_iterationIS3_Lb0EPhS7_N6thrust23THRUST_200600_302600_NS10device_ptrIlEESB_jNS0_19identity_decomposerENS1_16block_id_wrapperIjLb0EEEEE10hipError_tT1_PNSt15iterator_traitsISG_E10value_typeET2_T3_PNSH_ISM_E10value_typeET4_T5_PSR_SS_PNS1_23onesweep_lookback_stateEbbT6_jjT7_P12ihipStream_tbENKUlT_T0_SG_SL_E_clIS7_S7_SB_SB_EEDaSZ_S10_SG_SL_EUlSZ_E_NS1_11comp_targetILNS1_3genE6ELNS1_11target_archE950ELNS1_3gpuE13ELNS1_3repE0EEENS1_47radix_sort_onesweep_sort_config_static_selectorELNS0_4arch9wavefront6targetE1EEEvSG_.uses_vcc, 0
	.set _ZN7rocprim17ROCPRIM_400000_NS6detail17trampoline_kernelINS0_14default_configENS1_35radix_sort_onesweep_config_selectorIhlEEZZNS1_29radix_sort_onesweep_iterationIS3_Lb0EPhS7_N6thrust23THRUST_200600_302600_NS10device_ptrIlEESB_jNS0_19identity_decomposerENS1_16block_id_wrapperIjLb0EEEEE10hipError_tT1_PNSt15iterator_traitsISG_E10value_typeET2_T3_PNSH_ISM_E10value_typeET4_T5_PSR_SS_PNS1_23onesweep_lookback_stateEbbT6_jjT7_P12ihipStream_tbENKUlT_T0_SG_SL_E_clIS7_S7_SB_SB_EEDaSZ_S10_SG_SL_EUlSZ_E_NS1_11comp_targetILNS1_3genE6ELNS1_11target_archE950ELNS1_3gpuE13ELNS1_3repE0EEENS1_47radix_sort_onesweep_sort_config_static_selectorELNS0_4arch9wavefront6targetE1EEEvSG_.uses_flat_scratch, 0
	.set _ZN7rocprim17ROCPRIM_400000_NS6detail17trampoline_kernelINS0_14default_configENS1_35radix_sort_onesweep_config_selectorIhlEEZZNS1_29radix_sort_onesweep_iterationIS3_Lb0EPhS7_N6thrust23THRUST_200600_302600_NS10device_ptrIlEESB_jNS0_19identity_decomposerENS1_16block_id_wrapperIjLb0EEEEE10hipError_tT1_PNSt15iterator_traitsISG_E10value_typeET2_T3_PNSH_ISM_E10value_typeET4_T5_PSR_SS_PNS1_23onesweep_lookback_stateEbbT6_jjT7_P12ihipStream_tbENKUlT_T0_SG_SL_E_clIS7_S7_SB_SB_EEDaSZ_S10_SG_SL_EUlSZ_E_NS1_11comp_targetILNS1_3genE6ELNS1_11target_archE950ELNS1_3gpuE13ELNS1_3repE0EEENS1_47radix_sort_onesweep_sort_config_static_selectorELNS0_4arch9wavefront6targetE1EEEvSG_.has_dyn_sized_stack, 0
	.set _ZN7rocprim17ROCPRIM_400000_NS6detail17trampoline_kernelINS0_14default_configENS1_35radix_sort_onesweep_config_selectorIhlEEZZNS1_29radix_sort_onesweep_iterationIS3_Lb0EPhS7_N6thrust23THRUST_200600_302600_NS10device_ptrIlEESB_jNS0_19identity_decomposerENS1_16block_id_wrapperIjLb0EEEEE10hipError_tT1_PNSt15iterator_traitsISG_E10value_typeET2_T3_PNSH_ISM_E10value_typeET4_T5_PSR_SS_PNS1_23onesweep_lookback_stateEbbT6_jjT7_P12ihipStream_tbENKUlT_T0_SG_SL_E_clIS7_S7_SB_SB_EEDaSZ_S10_SG_SL_EUlSZ_E_NS1_11comp_targetILNS1_3genE6ELNS1_11target_archE950ELNS1_3gpuE13ELNS1_3repE0EEENS1_47radix_sort_onesweep_sort_config_static_selectorELNS0_4arch9wavefront6targetE1EEEvSG_.has_recursion, 0
	.set _ZN7rocprim17ROCPRIM_400000_NS6detail17trampoline_kernelINS0_14default_configENS1_35radix_sort_onesweep_config_selectorIhlEEZZNS1_29radix_sort_onesweep_iterationIS3_Lb0EPhS7_N6thrust23THRUST_200600_302600_NS10device_ptrIlEESB_jNS0_19identity_decomposerENS1_16block_id_wrapperIjLb0EEEEE10hipError_tT1_PNSt15iterator_traitsISG_E10value_typeET2_T3_PNSH_ISM_E10value_typeET4_T5_PSR_SS_PNS1_23onesweep_lookback_stateEbbT6_jjT7_P12ihipStream_tbENKUlT_T0_SG_SL_E_clIS7_S7_SB_SB_EEDaSZ_S10_SG_SL_EUlSZ_E_NS1_11comp_targetILNS1_3genE6ELNS1_11target_archE950ELNS1_3gpuE13ELNS1_3repE0EEENS1_47radix_sort_onesweep_sort_config_static_selectorELNS0_4arch9wavefront6targetE1EEEvSG_.has_indirect_call, 0
	.section	.AMDGPU.csdata,"",@progbits
; Kernel info:
; codeLenInByte = 0
; TotalNumSgprs: 4
; NumVgprs: 0
; ScratchSize: 0
; MemoryBound: 0
; FloatMode: 240
; IeeeMode: 1
; LDSByteSize: 0 bytes/workgroup (compile time only)
; SGPRBlocks: 0
; VGPRBlocks: 0
; NumSGPRsForWavesPerEU: 4
; NumVGPRsForWavesPerEU: 1
; Occupancy: 10
; WaveLimiterHint : 0
; COMPUTE_PGM_RSRC2:SCRATCH_EN: 0
; COMPUTE_PGM_RSRC2:USER_SGPR: 6
; COMPUTE_PGM_RSRC2:TRAP_HANDLER: 0
; COMPUTE_PGM_RSRC2:TGID_X_EN: 1
; COMPUTE_PGM_RSRC2:TGID_Y_EN: 0
; COMPUTE_PGM_RSRC2:TGID_Z_EN: 0
; COMPUTE_PGM_RSRC2:TIDIG_COMP_CNT: 0
	.section	.text._ZN7rocprim17ROCPRIM_400000_NS6detail17trampoline_kernelINS0_14default_configENS1_35radix_sort_onesweep_config_selectorIhlEEZZNS1_29radix_sort_onesweep_iterationIS3_Lb0EPhS7_N6thrust23THRUST_200600_302600_NS10device_ptrIlEESB_jNS0_19identity_decomposerENS1_16block_id_wrapperIjLb0EEEEE10hipError_tT1_PNSt15iterator_traitsISG_E10value_typeET2_T3_PNSH_ISM_E10value_typeET4_T5_PSR_SS_PNS1_23onesweep_lookback_stateEbbT6_jjT7_P12ihipStream_tbENKUlT_T0_SG_SL_E_clIS7_S7_SB_SB_EEDaSZ_S10_SG_SL_EUlSZ_E_NS1_11comp_targetILNS1_3genE5ELNS1_11target_archE942ELNS1_3gpuE9ELNS1_3repE0EEENS1_47radix_sort_onesweep_sort_config_static_selectorELNS0_4arch9wavefront6targetE1EEEvSG_,"axG",@progbits,_ZN7rocprim17ROCPRIM_400000_NS6detail17trampoline_kernelINS0_14default_configENS1_35radix_sort_onesweep_config_selectorIhlEEZZNS1_29radix_sort_onesweep_iterationIS3_Lb0EPhS7_N6thrust23THRUST_200600_302600_NS10device_ptrIlEESB_jNS0_19identity_decomposerENS1_16block_id_wrapperIjLb0EEEEE10hipError_tT1_PNSt15iterator_traitsISG_E10value_typeET2_T3_PNSH_ISM_E10value_typeET4_T5_PSR_SS_PNS1_23onesweep_lookback_stateEbbT6_jjT7_P12ihipStream_tbENKUlT_T0_SG_SL_E_clIS7_S7_SB_SB_EEDaSZ_S10_SG_SL_EUlSZ_E_NS1_11comp_targetILNS1_3genE5ELNS1_11target_archE942ELNS1_3gpuE9ELNS1_3repE0EEENS1_47radix_sort_onesweep_sort_config_static_selectorELNS0_4arch9wavefront6targetE1EEEvSG_,comdat
	.protected	_ZN7rocprim17ROCPRIM_400000_NS6detail17trampoline_kernelINS0_14default_configENS1_35radix_sort_onesweep_config_selectorIhlEEZZNS1_29radix_sort_onesweep_iterationIS3_Lb0EPhS7_N6thrust23THRUST_200600_302600_NS10device_ptrIlEESB_jNS0_19identity_decomposerENS1_16block_id_wrapperIjLb0EEEEE10hipError_tT1_PNSt15iterator_traitsISG_E10value_typeET2_T3_PNSH_ISM_E10value_typeET4_T5_PSR_SS_PNS1_23onesweep_lookback_stateEbbT6_jjT7_P12ihipStream_tbENKUlT_T0_SG_SL_E_clIS7_S7_SB_SB_EEDaSZ_S10_SG_SL_EUlSZ_E_NS1_11comp_targetILNS1_3genE5ELNS1_11target_archE942ELNS1_3gpuE9ELNS1_3repE0EEENS1_47radix_sort_onesweep_sort_config_static_selectorELNS0_4arch9wavefront6targetE1EEEvSG_ ; -- Begin function _ZN7rocprim17ROCPRIM_400000_NS6detail17trampoline_kernelINS0_14default_configENS1_35radix_sort_onesweep_config_selectorIhlEEZZNS1_29radix_sort_onesweep_iterationIS3_Lb0EPhS7_N6thrust23THRUST_200600_302600_NS10device_ptrIlEESB_jNS0_19identity_decomposerENS1_16block_id_wrapperIjLb0EEEEE10hipError_tT1_PNSt15iterator_traitsISG_E10value_typeET2_T3_PNSH_ISM_E10value_typeET4_T5_PSR_SS_PNS1_23onesweep_lookback_stateEbbT6_jjT7_P12ihipStream_tbENKUlT_T0_SG_SL_E_clIS7_S7_SB_SB_EEDaSZ_S10_SG_SL_EUlSZ_E_NS1_11comp_targetILNS1_3genE5ELNS1_11target_archE942ELNS1_3gpuE9ELNS1_3repE0EEENS1_47radix_sort_onesweep_sort_config_static_selectorELNS0_4arch9wavefront6targetE1EEEvSG_
	.globl	_ZN7rocprim17ROCPRIM_400000_NS6detail17trampoline_kernelINS0_14default_configENS1_35radix_sort_onesweep_config_selectorIhlEEZZNS1_29radix_sort_onesweep_iterationIS3_Lb0EPhS7_N6thrust23THRUST_200600_302600_NS10device_ptrIlEESB_jNS0_19identity_decomposerENS1_16block_id_wrapperIjLb0EEEEE10hipError_tT1_PNSt15iterator_traitsISG_E10value_typeET2_T3_PNSH_ISM_E10value_typeET4_T5_PSR_SS_PNS1_23onesweep_lookback_stateEbbT6_jjT7_P12ihipStream_tbENKUlT_T0_SG_SL_E_clIS7_S7_SB_SB_EEDaSZ_S10_SG_SL_EUlSZ_E_NS1_11comp_targetILNS1_3genE5ELNS1_11target_archE942ELNS1_3gpuE9ELNS1_3repE0EEENS1_47radix_sort_onesweep_sort_config_static_selectorELNS0_4arch9wavefront6targetE1EEEvSG_
	.p2align	8
	.type	_ZN7rocprim17ROCPRIM_400000_NS6detail17trampoline_kernelINS0_14default_configENS1_35radix_sort_onesweep_config_selectorIhlEEZZNS1_29radix_sort_onesweep_iterationIS3_Lb0EPhS7_N6thrust23THRUST_200600_302600_NS10device_ptrIlEESB_jNS0_19identity_decomposerENS1_16block_id_wrapperIjLb0EEEEE10hipError_tT1_PNSt15iterator_traitsISG_E10value_typeET2_T3_PNSH_ISM_E10value_typeET4_T5_PSR_SS_PNS1_23onesweep_lookback_stateEbbT6_jjT7_P12ihipStream_tbENKUlT_T0_SG_SL_E_clIS7_S7_SB_SB_EEDaSZ_S10_SG_SL_EUlSZ_E_NS1_11comp_targetILNS1_3genE5ELNS1_11target_archE942ELNS1_3gpuE9ELNS1_3repE0EEENS1_47radix_sort_onesweep_sort_config_static_selectorELNS0_4arch9wavefront6targetE1EEEvSG_,@function
_ZN7rocprim17ROCPRIM_400000_NS6detail17trampoline_kernelINS0_14default_configENS1_35radix_sort_onesweep_config_selectorIhlEEZZNS1_29radix_sort_onesweep_iterationIS3_Lb0EPhS7_N6thrust23THRUST_200600_302600_NS10device_ptrIlEESB_jNS0_19identity_decomposerENS1_16block_id_wrapperIjLb0EEEEE10hipError_tT1_PNSt15iterator_traitsISG_E10value_typeET2_T3_PNSH_ISM_E10value_typeET4_T5_PSR_SS_PNS1_23onesweep_lookback_stateEbbT6_jjT7_P12ihipStream_tbENKUlT_T0_SG_SL_E_clIS7_S7_SB_SB_EEDaSZ_S10_SG_SL_EUlSZ_E_NS1_11comp_targetILNS1_3genE5ELNS1_11target_archE942ELNS1_3gpuE9ELNS1_3repE0EEENS1_47radix_sort_onesweep_sort_config_static_selectorELNS0_4arch9wavefront6targetE1EEEvSG_: ; @_ZN7rocprim17ROCPRIM_400000_NS6detail17trampoline_kernelINS0_14default_configENS1_35radix_sort_onesweep_config_selectorIhlEEZZNS1_29radix_sort_onesweep_iterationIS3_Lb0EPhS7_N6thrust23THRUST_200600_302600_NS10device_ptrIlEESB_jNS0_19identity_decomposerENS1_16block_id_wrapperIjLb0EEEEE10hipError_tT1_PNSt15iterator_traitsISG_E10value_typeET2_T3_PNSH_ISM_E10value_typeET4_T5_PSR_SS_PNS1_23onesweep_lookback_stateEbbT6_jjT7_P12ihipStream_tbENKUlT_T0_SG_SL_E_clIS7_S7_SB_SB_EEDaSZ_S10_SG_SL_EUlSZ_E_NS1_11comp_targetILNS1_3genE5ELNS1_11target_archE942ELNS1_3gpuE9ELNS1_3repE0EEENS1_47radix_sort_onesweep_sort_config_static_selectorELNS0_4arch9wavefront6targetE1EEEvSG_
; %bb.0:
	.section	.rodata,"a",@progbits
	.p2align	6, 0x0
	.amdhsa_kernel _ZN7rocprim17ROCPRIM_400000_NS6detail17trampoline_kernelINS0_14default_configENS1_35radix_sort_onesweep_config_selectorIhlEEZZNS1_29radix_sort_onesweep_iterationIS3_Lb0EPhS7_N6thrust23THRUST_200600_302600_NS10device_ptrIlEESB_jNS0_19identity_decomposerENS1_16block_id_wrapperIjLb0EEEEE10hipError_tT1_PNSt15iterator_traitsISG_E10value_typeET2_T3_PNSH_ISM_E10value_typeET4_T5_PSR_SS_PNS1_23onesweep_lookback_stateEbbT6_jjT7_P12ihipStream_tbENKUlT_T0_SG_SL_E_clIS7_S7_SB_SB_EEDaSZ_S10_SG_SL_EUlSZ_E_NS1_11comp_targetILNS1_3genE5ELNS1_11target_archE942ELNS1_3gpuE9ELNS1_3repE0EEENS1_47radix_sort_onesweep_sort_config_static_selectorELNS0_4arch9wavefront6targetE1EEEvSG_
		.amdhsa_group_segment_fixed_size 0
		.amdhsa_private_segment_fixed_size 0
		.amdhsa_kernarg_size 88
		.amdhsa_user_sgpr_count 6
		.amdhsa_user_sgpr_private_segment_buffer 1
		.amdhsa_user_sgpr_dispatch_ptr 0
		.amdhsa_user_sgpr_queue_ptr 0
		.amdhsa_user_sgpr_kernarg_segment_ptr 1
		.amdhsa_user_sgpr_dispatch_id 0
		.amdhsa_user_sgpr_flat_scratch_init 0
		.amdhsa_user_sgpr_private_segment_size 0
		.amdhsa_uses_dynamic_stack 0
		.amdhsa_system_sgpr_private_segment_wavefront_offset 0
		.amdhsa_system_sgpr_workgroup_id_x 1
		.amdhsa_system_sgpr_workgroup_id_y 0
		.amdhsa_system_sgpr_workgroup_id_z 0
		.amdhsa_system_sgpr_workgroup_info 0
		.amdhsa_system_vgpr_workitem_id 0
		.amdhsa_next_free_vgpr 1
		.amdhsa_next_free_sgpr 0
		.amdhsa_reserve_vcc 0
		.amdhsa_reserve_flat_scratch 0
		.amdhsa_float_round_mode_32 0
		.amdhsa_float_round_mode_16_64 0
		.amdhsa_float_denorm_mode_32 3
		.amdhsa_float_denorm_mode_16_64 3
		.amdhsa_dx10_clamp 1
		.amdhsa_ieee_mode 1
		.amdhsa_fp16_overflow 0
		.amdhsa_exception_fp_ieee_invalid_op 0
		.amdhsa_exception_fp_denorm_src 0
		.amdhsa_exception_fp_ieee_div_zero 0
		.amdhsa_exception_fp_ieee_overflow 0
		.amdhsa_exception_fp_ieee_underflow 0
		.amdhsa_exception_fp_ieee_inexact 0
		.amdhsa_exception_int_div_zero 0
	.end_amdhsa_kernel
	.section	.text._ZN7rocprim17ROCPRIM_400000_NS6detail17trampoline_kernelINS0_14default_configENS1_35radix_sort_onesweep_config_selectorIhlEEZZNS1_29radix_sort_onesweep_iterationIS3_Lb0EPhS7_N6thrust23THRUST_200600_302600_NS10device_ptrIlEESB_jNS0_19identity_decomposerENS1_16block_id_wrapperIjLb0EEEEE10hipError_tT1_PNSt15iterator_traitsISG_E10value_typeET2_T3_PNSH_ISM_E10value_typeET4_T5_PSR_SS_PNS1_23onesweep_lookback_stateEbbT6_jjT7_P12ihipStream_tbENKUlT_T0_SG_SL_E_clIS7_S7_SB_SB_EEDaSZ_S10_SG_SL_EUlSZ_E_NS1_11comp_targetILNS1_3genE5ELNS1_11target_archE942ELNS1_3gpuE9ELNS1_3repE0EEENS1_47radix_sort_onesweep_sort_config_static_selectorELNS0_4arch9wavefront6targetE1EEEvSG_,"axG",@progbits,_ZN7rocprim17ROCPRIM_400000_NS6detail17trampoline_kernelINS0_14default_configENS1_35radix_sort_onesweep_config_selectorIhlEEZZNS1_29radix_sort_onesweep_iterationIS3_Lb0EPhS7_N6thrust23THRUST_200600_302600_NS10device_ptrIlEESB_jNS0_19identity_decomposerENS1_16block_id_wrapperIjLb0EEEEE10hipError_tT1_PNSt15iterator_traitsISG_E10value_typeET2_T3_PNSH_ISM_E10value_typeET4_T5_PSR_SS_PNS1_23onesweep_lookback_stateEbbT6_jjT7_P12ihipStream_tbENKUlT_T0_SG_SL_E_clIS7_S7_SB_SB_EEDaSZ_S10_SG_SL_EUlSZ_E_NS1_11comp_targetILNS1_3genE5ELNS1_11target_archE942ELNS1_3gpuE9ELNS1_3repE0EEENS1_47radix_sort_onesweep_sort_config_static_selectorELNS0_4arch9wavefront6targetE1EEEvSG_,comdat
.Lfunc_end293:
	.size	_ZN7rocprim17ROCPRIM_400000_NS6detail17trampoline_kernelINS0_14default_configENS1_35radix_sort_onesweep_config_selectorIhlEEZZNS1_29radix_sort_onesweep_iterationIS3_Lb0EPhS7_N6thrust23THRUST_200600_302600_NS10device_ptrIlEESB_jNS0_19identity_decomposerENS1_16block_id_wrapperIjLb0EEEEE10hipError_tT1_PNSt15iterator_traitsISG_E10value_typeET2_T3_PNSH_ISM_E10value_typeET4_T5_PSR_SS_PNS1_23onesweep_lookback_stateEbbT6_jjT7_P12ihipStream_tbENKUlT_T0_SG_SL_E_clIS7_S7_SB_SB_EEDaSZ_S10_SG_SL_EUlSZ_E_NS1_11comp_targetILNS1_3genE5ELNS1_11target_archE942ELNS1_3gpuE9ELNS1_3repE0EEENS1_47radix_sort_onesweep_sort_config_static_selectorELNS0_4arch9wavefront6targetE1EEEvSG_, .Lfunc_end293-_ZN7rocprim17ROCPRIM_400000_NS6detail17trampoline_kernelINS0_14default_configENS1_35radix_sort_onesweep_config_selectorIhlEEZZNS1_29radix_sort_onesweep_iterationIS3_Lb0EPhS7_N6thrust23THRUST_200600_302600_NS10device_ptrIlEESB_jNS0_19identity_decomposerENS1_16block_id_wrapperIjLb0EEEEE10hipError_tT1_PNSt15iterator_traitsISG_E10value_typeET2_T3_PNSH_ISM_E10value_typeET4_T5_PSR_SS_PNS1_23onesweep_lookback_stateEbbT6_jjT7_P12ihipStream_tbENKUlT_T0_SG_SL_E_clIS7_S7_SB_SB_EEDaSZ_S10_SG_SL_EUlSZ_E_NS1_11comp_targetILNS1_3genE5ELNS1_11target_archE942ELNS1_3gpuE9ELNS1_3repE0EEENS1_47radix_sort_onesweep_sort_config_static_selectorELNS0_4arch9wavefront6targetE1EEEvSG_
                                        ; -- End function
	.set _ZN7rocprim17ROCPRIM_400000_NS6detail17trampoline_kernelINS0_14default_configENS1_35radix_sort_onesweep_config_selectorIhlEEZZNS1_29radix_sort_onesweep_iterationIS3_Lb0EPhS7_N6thrust23THRUST_200600_302600_NS10device_ptrIlEESB_jNS0_19identity_decomposerENS1_16block_id_wrapperIjLb0EEEEE10hipError_tT1_PNSt15iterator_traitsISG_E10value_typeET2_T3_PNSH_ISM_E10value_typeET4_T5_PSR_SS_PNS1_23onesweep_lookback_stateEbbT6_jjT7_P12ihipStream_tbENKUlT_T0_SG_SL_E_clIS7_S7_SB_SB_EEDaSZ_S10_SG_SL_EUlSZ_E_NS1_11comp_targetILNS1_3genE5ELNS1_11target_archE942ELNS1_3gpuE9ELNS1_3repE0EEENS1_47radix_sort_onesweep_sort_config_static_selectorELNS0_4arch9wavefront6targetE1EEEvSG_.num_vgpr, 0
	.set _ZN7rocprim17ROCPRIM_400000_NS6detail17trampoline_kernelINS0_14default_configENS1_35radix_sort_onesweep_config_selectorIhlEEZZNS1_29radix_sort_onesweep_iterationIS3_Lb0EPhS7_N6thrust23THRUST_200600_302600_NS10device_ptrIlEESB_jNS0_19identity_decomposerENS1_16block_id_wrapperIjLb0EEEEE10hipError_tT1_PNSt15iterator_traitsISG_E10value_typeET2_T3_PNSH_ISM_E10value_typeET4_T5_PSR_SS_PNS1_23onesweep_lookback_stateEbbT6_jjT7_P12ihipStream_tbENKUlT_T0_SG_SL_E_clIS7_S7_SB_SB_EEDaSZ_S10_SG_SL_EUlSZ_E_NS1_11comp_targetILNS1_3genE5ELNS1_11target_archE942ELNS1_3gpuE9ELNS1_3repE0EEENS1_47radix_sort_onesweep_sort_config_static_selectorELNS0_4arch9wavefront6targetE1EEEvSG_.num_agpr, 0
	.set _ZN7rocprim17ROCPRIM_400000_NS6detail17trampoline_kernelINS0_14default_configENS1_35radix_sort_onesweep_config_selectorIhlEEZZNS1_29radix_sort_onesweep_iterationIS3_Lb0EPhS7_N6thrust23THRUST_200600_302600_NS10device_ptrIlEESB_jNS0_19identity_decomposerENS1_16block_id_wrapperIjLb0EEEEE10hipError_tT1_PNSt15iterator_traitsISG_E10value_typeET2_T3_PNSH_ISM_E10value_typeET4_T5_PSR_SS_PNS1_23onesweep_lookback_stateEbbT6_jjT7_P12ihipStream_tbENKUlT_T0_SG_SL_E_clIS7_S7_SB_SB_EEDaSZ_S10_SG_SL_EUlSZ_E_NS1_11comp_targetILNS1_3genE5ELNS1_11target_archE942ELNS1_3gpuE9ELNS1_3repE0EEENS1_47radix_sort_onesweep_sort_config_static_selectorELNS0_4arch9wavefront6targetE1EEEvSG_.numbered_sgpr, 0
	.set _ZN7rocprim17ROCPRIM_400000_NS6detail17trampoline_kernelINS0_14default_configENS1_35radix_sort_onesweep_config_selectorIhlEEZZNS1_29radix_sort_onesweep_iterationIS3_Lb0EPhS7_N6thrust23THRUST_200600_302600_NS10device_ptrIlEESB_jNS0_19identity_decomposerENS1_16block_id_wrapperIjLb0EEEEE10hipError_tT1_PNSt15iterator_traitsISG_E10value_typeET2_T3_PNSH_ISM_E10value_typeET4_T5_PSR_SS_PNS1_23onesweep_lookback_stateEbbT6_jjT7_P12ihipStream_tbENKUlT_T0_SG_SL_E_clIS7_S7_SB_SB_EEDaSZ_S10_SG_SL_EUlSZ_E_NS1_11comp_targetILNS1_3genE5ELNS1_11target_archE942ELNS1_3gpuE9ELNS1_3repE0EEENS1_47radix_sort_onesweep_sort_config_static_selectorELNS0_4arch9wavefront6targetE1EEEvSG_.num_named_barrier, 0
	.set _ZN7rocprim17ROCPRIM_400000_NS6detail17trampoline_kernelINS0_14default_configENS1_35radix_sort_onesweep_config_selectorIhlEEZZNS1_29radix_sort_onesweep_iterationIS3_Lb0EPhS7_N6thrust23THRUST_200600_302600_NS10device_ptrIlEESB_jNS0_19identity_decomposerENS1_16block_id_wrapperIjLb0EEEEE10hipError_tT1_PNSt15iterator_traitsISG_E10value_typeET2_T3_PNSH_ISM_E10value_typeET4_T5_PSR_SS_PNS1_23onesweep_lookback_stateEbbT6_jjT7_P12ihipStream_tbENKUlT_T0_SG_SL_E_clIS7_S7_SB_SB_EEDaSZ_S10_SG_SL_EUlSZ_E_NS1_11comp_targetILNS1_3genE5ELNS1_11target_archE942ELNS1_3gpuE9ELNS1_3repE0EEENS1_47radix_sort_onesweep_sort_config_static_selectorELNS0_4arch9wavefront6targetE1EEEvSG_.private_seg_size, 0
	.set _ZN7rocprim17ROCPRIM_400000_NS6detail17trampoline_kernelINS0_14default_configENS1_35radix_sort_onesweep_config_selectorIhlEEZZNS1_29radix_sort_onesweep_iterationIS3_Lb0EPhS7_N6thrust23THRUST_200600_302600_NS10device_ptrIlEESB_jNS0_19identity_decomposerENS1_16block_id_wrapperIjLb0EEEEE10hipError_tT1_PNSt15iterator_traitsISG_E10value_typeET2_T3_PNSH_ISM_E10value_typeET4_T5_PSR_SS_PNS1_23onesweep_lookback_stateEbbT6_jjT7_P12ihipStream_tbENKUlT_T0_SG_SL_E_clIS7_S7_SB_SB_EEDaSZ_S10_SG_SL_EUlSZ_E_NS1_11comp_targetILNS1_3genE5ELNS1_11target_archE942ELNS1_3gpuE9ELNS1_3repE0EEENS1_47radix_sort_onesweep_sort_config_static_selectorELNS0_4arch9wavefront6targetE1EEEvSG_.uses_vcc, 0
	.set _ZN7rocprim17ROCPRIM_400000_NS6detail17trampoline_kernelINS0_14default_configENS1_35radix_sort_onesweep_config_selectorIhlEEZZNS1_29radix_sort_onesweep_iterationIS3_Lb0EPhS7_N6thrust23THRUST_200600_302600_NS10device_ptrIlEESB_jNS0_19identity_decomposerENS1_16block_id_wrapperIjLb0EEEEE10hipError_tT1_PNSt15iterator_traitsISG_E10value_typeET2_T3_PNSH_ISM_E10value_typeET4_T5_PSR_SS_PNS1_23onesweep_lookback_stateEbbT6_jjT7_P12ihipStream_tbENKUlT_T0_SG_SL_E_clIS7_S7_SB_SB_EEDaSZ_S10_SG_SL_EUlSZ_E_NS1_11comp_targetILNS1_3genE5ELNS1_11target_archE942ELNS1_3gpuE9ELNS1_3repE0EEENS1_47radix_sort_onesweep_sort_config_static_selectorELNS0_4arch9wavefront6targetE1EEEvSG_.uses_flat_scratch, 0
	.set _ZN7rocprim17ROCPRIM_400000_NS6detail17trampoline_kernelINS0_14default_configENS1_35radix_sort_onesweep_config_selectorIhlEEZZNS1_29radix_sort_onesweep_iterationIS3_Lb0EPhS7_N6thrust23THRUST_200600_302600_NS10device_ptrIlEESB_jNS0_19identity_decomposerENS1_16block_id_wrapperIjLb0EEEEE10hipError_tT1_PNSt15iterator_traitsISG_E10value_typeET2_T3_PNSH_ISM_E10value_typeET4_T5_PSR_SS_PNS1_23onesweep_lookback_stateEbbT6_jjT7_P12ihipStream_tbENKUlT_T0_SG_SL_E_clIS7_S7_SB_SB_EEDaSZ_S10_SG_SL_EUlSZ_E_NS1_11comp_targetILNS1_3genE5ELNS1_11target_archE942ELNS1_3gpuE9ELNS1_3repE0EEENS1_47radix_sort_onesweep_sort_config_static_selectorELNS0_4arch9wavefront6targetE1EEEvSG_.has_dyn_sized_stack, 0
	.set _ZN7rocprim17ROCPRIM_400000_NS6detail17trampoline_kernelINS0_14default_configENS1_35radix_sort_onesweep_config_selectorIhlEEZZNS1_29radix_sort_onesweep_iterationIS3_Lb0EPhS7_N6thrust23THRUST_200600_302600_NS10device_ptrIlEESB_jNS0_19identity_decomposerENS1_16block_id_wrapperIjLb0EEEEE10hipError_tT1_PNSt15iterator_traitsISG_E10value_typeET2_T3_PNSH_ISM_E10value_typeET4_T5_PSR_SS_PNS1_23onesweep_lookback_stateEbbT6_jjT7_P12ihipStream_tbENKUlT_T0_SG_SL_E_clIS7_S7_SB_SB_EEDaSZ_S10_SG_SL_EUlSZ_E_NS1_11comp_targetILNS1_3genE5ELNS1_11target_archE942ELNS1_3gpuE9ELNS1_3repE0EEENS1_47radix_sort_onesweep_sort_config_static_selectorELNS0_4arch9wavefront6targetE1EEEvSG_.has_recursion, 0
	.set _ZN7rocprim17ROCPRIM_400000_NS6detail17trampoline_kernelINS0_14default_configENS1_35radix_sort_onesweep_config_selectorIhlEEZZNS1_29radix_sort_onesweep_iterationIS3_Lb0EPhS7_N6thrust23THRUST_200600_302600_NS10device_ptrIlEESB_jNS0_19identity_decomposerENS1_16block_id_wrapperIjLb0EEEEE10hipError_tT1_PNSt15iterator_traitsISG_E10value_typeET2_T3_PNSH_ISM_E10value_typeET4_T5_PSR_SS_PNS1_23onesweep_lookback_stateEbbT6_jjT7_P12ihipStream_tbENKUlT_T0_SG_SL_E_clIS7_S7_SB_SB_EEDaSZ_S10_SG_SL_EUlSZ_E_NS1_11comp_targetILNS1_3genE5ELNS1_11target_archE942ELNS1_3gpuE9ELNS1_3repE0EEENS1_47radix_sort_onesweep_sort_config_static_selectorELNS0_4arch9wavefront6targetE1EEEvSG_.has_indirect_call, 0
	.section	.AMDGPU.csdata,"",@progbits
; Kernel info:
; codeLenInByte = 0
; TotalNumSgprs: 4
; NumVgprs: 0
; ScratchSize: 0
; MemoryBound: 0
; FloatMode: 240
; IeeeMode: 1
; LDSByteSize: 0 bytes/workgroup (compile time only)
; SGPRBlocks: 0
; VGPRBlocks: 0
; NumSGPRsForWavesPerEU: 4
; NumVGPRsForWavesPerEU: 1
; Occupancy: 10
; WaveLimiterHint : 0
; COMPUTE_PGM_RSRC2:SCRATCH_EN: 0
; COMPUTE_PGM_RSRC2:USER_SGPR: 6
; COMPUTE_PGM_RSRC2:TRAP_HANDLER: 0
; COMPUTE_PGM_RSRC2:TGID_X_EN: 1
; COMPUTE_PGM_RSRC2:TGID_Y_EN: 0
; COMPUTE_PGM_RSRC2:TGID_Z_EN: 0
; COMPUTE_PGM_RSRC2:TIDIG_COMP_CNT: 0
	.section	.text._ZN7rocprim17ROCPRIM_400000_NS6detail17trampoline_kernelINS0_14default_configENS1_35radix_sort_onesweep_config_selectorIhlEEZZNS1_29radix_sort_onesweep_iterationIS3_Lb0EPhS7_N6thrust23THRUST_200600_302600_NS10device_ptrIlEESB_jNS0_19identity_decomposerENS1_16block_id_wrapperIjLb0EEEEE10hipError_tT1_PNSt15iterator_traitsISG_E10value_typeET2_T3_PNSH_ISM_E10value_typeET4_T5_PSR_SS_PNS1_23onesweep_lookback_stateEbbT6_jjT7_P12ihipStream_tbENKUlT_T0_SG_SL_E_clIS7_S7_SB_SB_EEDaSZ_S10_SG_SL_EUlSZ_E_NS1_11comp_targetILNS1_3genE2ELNS1_11target_archE906ELNS1_3gpuE6ELNS1_3repE0EEENS1_47radix_sort_onesweep_sort_config_static_selectorELNS0_4arch9wavefront6targetE1EEEvSG_,"axG",@progbits,_ZN7rocprim17ROCPRIM_400000_NS6detail17trampoline_kernelINS0_14default_configENS1_35radix_sort_onesweep_config_selectorIhlEEZZNS1_29radix_sort_onesweep_iterationIS3_Lb0EPhS7_N6thrust23THRUST_200600_302600_NS10device_ptrIlEESB_jNS0_19identity_decomposerENS1_16block_id_wrapperIjLb0EEEEE10hipError_tT1_PNSt15iterator_traitsISG_E10value_typeET2_T3_PNSH_ISM_E10value_typeET4_T5_PSR_SS_PNS1_23onesweep_lookback_stateEbbT6_jjT7_P12ihipStream_tbENKUlT_T0_SG_SL_E_clIS7_S7_SB_SB_EEDaSZ_S10_SG_SL_EUlSZ_E_NS1_11comp_targetILNS1_3genE2ELNS1_11target_archE906ELNS1_3gpuE6ELNS1_3repE0EEENS1_47radix_sort_onesweep_sort_config_static_selectorELNS0_4arch9wavefront6targetE1EEEvSG_,comdat
	.protected	_ZN7rocprim17ROCPRIM_400000_NS6detail17trampoline_kernelINS0_14default_configENS1_35radix_sort_onesweep_config_selectorIhlEEZZNS1_29radix_sort_onesweep_iterationIS3_Lb0EPhS7_N6thrust23THRUST_200600_302600_NS10device_ptrIlEESB_jNS0_19identity_decomposerENS1_16block_id_wrapperIjLb0EEEEE10hipError_tT1_PNSt15iterator_traitsISG_E10value_typeET2_T3_PNSH_ISM_E10value_typeET4_T5_PSR_SS_PNS1_23onesweep_lookback_stateEbbT6_jjT7_P12ihipStream_tbENKUlT_T0_SG_SL_E_clIS7_S7_SB_SB_EEDaSZ_S10_SG_SL_EUlSZ_E_NS1_11comp_targetILNS1_3genE2ELNS1_11target_archE906ELNS1_3gpuE6ELNS1_3repE0EEENS1_47radix_sort_onesweep_sort_config_static_selectorELNS0_4arch9wavefront6targetE1EEEvSG_ ; -- Begin function _ZN7rocprim17ROCPRIM_400000_NS6detail17trampoline_kernelINS0_14default_configENS1_35radix_sort_onesweep_config_selectorIhlEEZZNS1_29radix_sort_onesweep_iterationIS3_Lb0EPhS7_N6thrust23THRUST_200600_302600_NS10device_ptrIlEESB_jNS0_19identity_decomposerENS1_16block_id_wrapperIjLb0EEEEE10hipError_tT1_PNSt15iterator_traitsISG_E10value_typeET2_T3_PNSH_ISM_E10value_typeET4_T5_PSR_SS_PNS1_23onesweep_lookback_stateEbbT6_jjT7_P12ihipStream_tbENKUlT_T0_SG_SL_E_clIS7_S7_SB_SB_EEDaSZ_S10_SG_SL_EUlSZ_E_NS1_11comp_targetILNS1_3genE2ELNS1_11target_archE906ELNS1_3gpuE6ELNS1_3repE0EEENS1_47radix_sort_onesweep_sort_config_static_selectorELNS0_4arch9wavefront6targetE1EEEvSG_
	.globl	_ZN7rocprim17ROCPRIM_400000_NS6detail17trampoline_kernelINS0_14default_configENS1_35radix_sort_onesweep_config_selectorIhlEEZZNS1_29radix_sort_onesweep_iterationIS3_Lb0EPhS7_N6thrust23THRUST_200600_302600_NS10device_ptrIlEESB_jNS0_19identity_decomposerENS1_16block_id_wrapperIjLb0EEEEE10hipError_tT1_PNSt15iterator_traitsISG_E10value_typeET2_T3_PNSH_ISM_E10value_typeET4_T5_PSR_SS_PNS1_23onesweep_lookback_stateEbbT6_jjT7_P12ihipStream_tbENKUlT_T0_SG_SL_E_clIS7_S7_SB_SB_EEDaSZ_S10_SG_SL_EUlSZ_E_NS1_11comp_targetILNS1_3genE2ELNS1_11target_archE906ELNS1_3gpuE6ELNS1_3repE0EEENS1_47radix_sort_onesweep_sort_config_static_selectorELNS0_4arch9wavefront6targetE1EEEvSG_
	.p2align	8
	.type	_ZN7rocprim17ROCPRIM_400000_NS6detail17trampoline_kernelINS0_14default_configENS1_35radix_sort_onesweep_config_selectorIhlEEZZNS1_29radix_sort_onesweep_iterationIS3_Lb0EPhS7_N6thrust23THRUST_200600_302600_NS10device_ptrIlEESB_jNS0_19identity_decomposerENS1_16block_id_wrapperIjLb0EEEEE10hipError_tT1_PNSt15iterator_traitsISG_E10value_typeET2_T3_PNSH_ISM_E10value_typeET4_T5_PSR_SS_PNS1_23onesweep_lookback_stateEbbT6_jjT7_P12ihipStream_tbENKUlT_T0_SG_SL_E_clIS7_S7_SB_SB_EEDaSZ_S10_SG_SL_EUlSZ_E_NS1_11comp_targetILNS1_3genE2ELNS1_11target_archE906ELNS1_3gpuE6ELNS1_3repE0EEENS1_47radix_sort_onesweep_sort_config_static_selectorELNS0_4arch9wavefront6targetE1EEEvSG_,@function
_ZN7rocprim17ROCPRIM_400000_NS6detail17trampoline_kernelINS0_14default_configENS1_35radix_sort_onesweep_config_selectorIhlEEZZNS1_29radix_sort_onesweep_iterationIS3_Lb0EPhS7_N6thrust23THRUST_200600_302600_NS10device_ptrIlEESB_jNS0_19identity_decomposerENS1_16block_id_wrapperIjLb0EEEEE10hipError_tT1_PNSt15iterator_traitsISG_E10value_typeET2_T3_PNSH_ISM_E10value_typeET4_T5_PSR_SS_PNS1_23onesweep_lookback_stateEbbT6_jjT7_P12ihipStream_tbENKUlT_T0_SG_SL_E_clIS7_S7_SB_SB_EEDaSZ_S10_SG_SL_EUlSZ_E_NS1_11comp_targetILNS1_3genE2ELNS1_11target_archE906ELNS1_3gpuE6ELNS1_3repE0EEENS1_47radix_sort_onesweep_sort_config_static_selectorELNS0_4arch9wavefront6targetE1EEEvSG_: ; @_ZN7rocprim17ROCPRIM_400000_NS6detail17trampoline_kernelINS0_14default_configENS1_35radix_sort_onesweep_config_selectorIhlEEZZNS1_29radix_sort_onesweep_iterationIS3_Lb0EPhS7_N6thrust23THRUST_200600_302600_NS10device_ptrIlEESB_jNS0_19identity_decomposerENS1_16block_id_wrapperIjLb0EEEEE10hipError_tT1_PNSt15iterator_traitsISG_E10value_typeET2_T3_PNSH_ISM_E10value_typeET4_T5_PSR_SS_PNS1_23onesweep_lookback_stateEbbT6_jjT7_P12ihipStream_tbENKUlT_T0_SG_SL_E_clIS7_S7_SB_SB_EEDaSZ_S10_SG_SL_EUlSZ_E_NS1_11comp_targetILNS1_3genE2ELNS1_11target_archE906ELNS1_3gpuE6ELNS1_3repE0EEENS1_47radix_sort_onesweep_sort_config_static_selectorELNS0_4arch9wavefront6targetE1EEEvSG_
; %bb.0:
	s_add_u32 s0, s0, s7
	s_load_dwordx4 s[40:43], s[4:5], 0x44
	s_load_dwordx8 s[24:31], s[4:5], 0x0
	s_load_dwordx4 s[36:39], s[4:5], 0x28
	s_load_dwordx2 s[44:45], s[4:5], 0x38
	s_addc_u32 s1, s1, 0
	s_mov_b64 s[8:9], -1
	s_waitcnt lgkmcnt(0)
	s_cmp_ge_u32 s6, s42
	s_mul_i32 s34, s6, 0xc00
	v_mbcnt_lo_u32_b32 v17, -1, 0
	s_cbranch_scc0 .LBB294_78
; %bb.1:
	s_load_dword s7, s[4:5], 0x20
	s_mul_i32 s8, s42, 0xfffff400
	v_mbcnt_hi_u32_b32 v13, -1, v17
	v_and_b32_e32 v10, 63, v13
	v_and_b32_e32 v16, 0x1c0, v0
	s_waitcnt lgkmcnt(0)
	s_add_i32 s7, s7, s8
	s_add_u32 s8, s24, s34
	s_addc_u32 s9, s25, 0
	v_mov_b32_e32 v3, s9
	v_add_co_u32_e32 v4, vcc, s8, v10
	v_mul_u32_u24_e32 v9, 6, v16
	v_addc_co_u32_e32 v5, vcc, 0, v3, vcc
	v_add_co_u32_e32 v3, vcc, v4, v9
	v_addc_co_u32_e32 v4, vcc, 0, v5, vcc
	v_or_b32_e32 v6, v10, v9
	s_mov_b32 s35, 0
	v_cmp_gt_u32_e32 vcc, s7, v6
	v_mov_b32_e32 v5, 0xff
	v_mov_b32_e32 v7, 0xff
	v_mov_b32_e32 v8, 0xff
	s_and_saveexec_b64 s[8:9], vcc
	s_cbranch_execz .LBB294_3
; %bb.2:
	global_load_ubyte v8, v[3:4], off
	s_waitcnt vmcnt(0)
	v_and_b32_e32 v5, 0xff, v8
.LBB294_3:
	s_or_b64 exec, exec, s[8:9]
	v_or_b32_e32 v11, 64, v6
	v_cmp_gt_u32_e64 s[20:21], s7, v11
	v_mov_b32_e32 v18, 0xff
	s_and_saveexec_b64 s[8:9], s[20:21]
	s_cbranch_execz .LBB294_5
; %bb.4:
	global_load_ubyte v7, v[3:4], off offset:64
	s_waitcnt vmcnt(0)
	v_and_b32_e32 v18, 0xff, v7
.LBB294_5:
	s_or_b64 exec, exec, s[8:9]
	v_add_u32_e32 v11, 0x80, v6
	v_cmp_gt_u32_e64 s[8:9], s7, v11
	v_mov_b32_e32 v20, 0xff
	v_mov_b32_e32 v11, 0xff
	;; [unrolled: 1-line block ×3, first 2 shown]
	s_and_saveexec_b64 s[10:11], s[8:9]
	s_cbranch_execz .LBB294_7
; %bb.6:
	global_load_ubyte v12, v[3:4], off offset:128
	s_waitcnt vmcnt(0)
	v_and_b32_e32 v20, 0xff, v12
.LBB294_7:
	s_or_b64 exec, exec, s[10:11]
	v_add_u32_e32 v14, 0xc0, v6
	v_cmp_gt_u32_e64 s[10:11], s7, v14
	v_mov_b32_e32 v23, 0xff
	s_and_saveexec_b64 s[12:13], s[10:11]
	s_cbranch_execz .LBB294_9
; %bb.8:
	global_load_ubyte v11, v[3:4], off offset:192
	s_waitcnt vmcnt(0)
	v_and_b32_e32 v23, 0xff, v11
.LBB294_9:
	s_or_b64 exec, exec, s[12:13]
	v_add_u32_e32 v14, 0x100, v6
	v_cmp_gt_u32_e64 s[12:13], s7, v14
	v_mov_b32_e32 v26, 0xff
	v_mov_b32_e32 v14, 0xff
	;; [unrolled: 1-line block ×3, first 2 shown]
	s_and_saveexec_b64 s[14:15], s[12:13]
	s_cbranch_execz .LBB294_11
; %bb.10:
	global_load_ubyte v15, v[3:4], off offset:256
	s_waitcnt vmcnt(0)
	v_and_b32_e32 v26, 0xff, v15
.LBB294_11:
	s_or_b64 exec, exec, s[14:15]
	v_add_u32_e32 v6, 0x140, v6
	v_cmp_gt_u32_e64 s[14:15], s7, v6
	v_mov_b32_e32 v6, 0xff
	s_and_saveexec_b64 s[16:17], s[14:15]
	s_cbranch_execz .LBB294_13
; %bb.12:
	global_load_ubyte v14, v[3:4], off offset:320
	s_waitcnt vmcnt(0)
	v_and_b32_e32 v6, 0xff, v14
.LBB294_13:
	s_or_b64 exec, exec, s[16:17]
	s_load_dword s16, s[4:5], 0x64
	s_load_dword s33, s[4:5], 0x58
	s_add_u32 s17, s4, 0x58
	s_addc_u32 s18, s5, 0
	v_mov_b32_e32 v3, 0
	s_waitcnt lgkmcnt(0)
	s_lshr_b32 s19, s16, 16
	s_cmp_lt_u32 s6, s33
	s_cselect_b32 s16, 12, 18
	s_add_u32 s16, s17, s16
	s_addc_u32 s17, s18, 0
	global_load_ushort v19, v3, s[16:17]
	s_lshl_b32 s16, -1, s41
	v_lshrrev_b32_e32 v4, s40, v5
	s_not_b32 s50, s16
	v_and_b32_e32 v22, s50, v4
	v_and_b32_e32 v24, 1, v22
	v_add_co_u32_e64 v25, s[16:17], -1, v24
	v_lshlrev_b32_e32 v4, 30, v22
	v_addc_co_u32_e64 v28, s[16:17], 0, -1, s[16:17]
	v_mad_u32_u24 v5, v2, s19, v1
	v_cmp_ne_u32_e64 s[16:17], 0, v24
	v_cmp_gt_i64_e64 s[18:19], 0, v[3:4]
	v_not_b32_e32 v24, v4
	v_lshlrev_b32_e32 v4, 29, v22
	v_xor_b32_e32 v28, s17, v28
	v_xor_b32_e32 v25, s16, v25
	v_ashrrev_i32_e32 v24, 31, v24
	v_cmp_gt_i64_e64 s[16:17], 0, v[3:4]
	v_not_b32_e32 v29, v4
	v_lshlrev_b32_e32 v4, 28, v22
	v_and_b32_e32 v28, exec_hi, v28
	v_and_b32_e32 v25, exec_lo, v25
	v_xor_b32_e32 v30, s19, v24
	v_xor_b32_e32 v24, s18, v24
	v_ashrrev_i32_e32 v29, 31, v29
	v_cmp_gt_i64_e64 s[18:19], 0, v[3:4]
	v_not_b32_e32 v31, v4
	v_lshlrev_b32_e32 v4, 27, v22
	v_and_b32_e32 v28, v28, v30
	v_and_b32_e32 v24, v25, v24
	v_xor_b32_e32 v25, s17, v29
	v_xor_b32_e32 v29, s16, v29
	v_ashrrev_i32_e32 v30, 31, v31
	v_cmp_gt_i64_e64 s[16:17], 0, v[3:4]
	v_not_b32_e32 v31, v4
	v_lshlrev_b32_e32 v4, 26, v22
	v_and_b32_e32 v25, v28, v25
	v_and_b32_e32 v24, v24, v29
	;; [unrolled: 8-line block ×3, first 2 shown]
	v_xor_b32_e32 v28, s17, v30
	v_xor_b32_e32 v29, s16, v30
	v_ashrrev_i32_e32 v30, 31, v31
	v_cmp_gt_i64_e64 s[16:17], 0, v[3:4]
	v_not_b32_e32 v31, v4
	v_mul_u32_u24_e32 v27, 36, v22
	v_lshlrev_b32_e32 v4, 24, v22
	v_and_b32_e32 v22, v25, v28
	v_and_b32_e32 v24, v24, v29
	v_xor_b32_e32 v25, s19, v30
	v_xor_b32_e32 v28, s18, v30
	v_ashrrev_i32_e32 v29, 31, v31
	v_and_b32_e32 v22, v22, v25
	v_and_b32_e32 v24, v24, v28
	v_xor_b32_e32 v25, s17, v29
	v_xor_b32_e32 v28, s16, v29
	v_and_b32_e32 v22, v22, v25
	v_and_b32_e32 v28, v24, v28
	v_cmp_gt_i64_e64 s[18:19], 0, v[3:4]
	v_not_b32_e32 v4, v4
	v_ashrrev_i32_e32 v4, 31, v4
	v_xor_b32_e32 v29, s19, v4
	v_xor_b32_e32 v4, s18, v4
	v_and_b32_e32 v4, v28, v4
	v_mul_u32_u24_e32 v21, 20, v0
	ds_write2_b32 v21, v3, v3 offset0:8 offset1:9
	ds_write2_b32 v21, v3, v3 offset0:10 offset1:11
	ds_write_b32 v21, v3 offset:48
	s_waitcnt vmcnt(0) lgkmcnt(0)
	s_barrier
	; wave barrier
	v_mad_u64_u32 v[24:25], s[16:17], v5, v19, v[0:1]
	v_and_b32_e32 v5, v22, v29
	v_cmp_ne_u64_e64 s[16:17], 0, v[4:5]
	v_lshrrev_b32_e32 v19, 4, v24
	v_and_b32_e32 v31, 0xffffffc, v19
	v_mbcnt_lo_u32_b32 v19, v4, 0
	v_mbcnt_hi_u32_b32 v24, v5, v19
	v_cmp_eq_u32_e64 s[18:19], 0, v24
	s_and_b64 s[18:19], s[16:17], s[18:19]
	v_add_u32_e32 v27, v31, v27
	s_and_saveexec_b64 s[16:17], s[18:19]
; %bb.14:
	v_bcnt_u32_b32 v4, v4, 0
	v_bcnt_u32_b32 v4, v5, v4
	ds_write_b32 v27, v4 offset:32
; %bb.15:
	s_or_b64 exec, exec, s[16:17]
	v_lshrrev_b32_e32 v4, s40, v18
	v_and_b32_e32 v5, s50, v4
	v_mad_u32_u24 v4, v5, 36, v31
	; wave barrier
	ds_read_b32 v18, v4 offset:32
	v_and_b32_e32 v4, 1, v5
	v_add_co_u32_e64 v19, s[16:17], -1, v4
	v_addc_co_u32_e64 v25, s[16:17], 0, -1, s[16:17]
	v_cmp_ne_u32_e64 s[16:17], 0, v4
	v_xor_b32_e32 v4, s17, v25
	v_and_b32_e32 v25, exec_hi, v4
	v_lshlrev_b32_e32 v4, 30, v5
	v_xor_b32_e32 v19, s16, v19
	v_cmp_gt_i64_e64 s[16:17], 0, v[3:4]
	v_not_b32_e32 v4, v4
	v_ashrrev_i32_e32 v4, 31, v4
	v_and_b32_e32 v19, exec_lo, v19
	v_xor_b32_e32 v28, s17, v4
	v_xor_b32_e32 v4, s16, v4
	v_and_b32_e32 v19, v19, v4
	v_lshlrev_b32_e32 v4, 29, v5
	v_cmp_gt_i64_e64 s[16:17], 0, v[3:4]
	v_not_b32_e32 v4, v4
	v_ashrrev_i32_e32 v4, 31, v4
	v_and_b32_e32 v25, v25, v28
	v_xor_b32_e32 v28, s17, v4
	v_xor_b32_e32 v4, s16, v4
	v_and_b32_e32 v19, v19, v4
	v_lshlrev_b32_e32 v4, 28, v5
	v_cmp_gt_i64_e64 s[16:17], 0, v[3:4]
	v_not_b32_e32 v4, v4
	v_ashrrev_i32_e32 v4, 31, v4
	v_and_b32_e32 v25, v25, v28
	;; [unrolled: 8-line block ×5, first 2 shown]
	v_xor_b32_e32 v28, s17, v4
	v_xor_b32_e32 v4, s16, v4
	v_and_b32_e32 v19, v19, v4
	v_lshlrev_b32_e32 v4, 24, v5
	v_cmp_gt_i64_e64 s[16:17], 0, v[3:4]
	v_not_b32_e32 v3, v4
	v_ashrrev_i32_e32 v3, 31, v3
	v_xor_b32_e32 v4, s17, v3
	v_xor_b32_e32 v3, s16, v3
	v_and_b32_e32 v25, v25, v28
	v_and_b32_e32 v3, v19, v3
	v_mul_u32_u24_e32 v22, 36, v5
	v_and_b32_e32 v4, v25, v4
	v_mbcnt_lo_u32_b32 v5, v3, 0
	v_mbcnt_hi_u32_b32 v19, v4, v5
	v_cmp_ne_u64_e64 s[16:17], 0, v[3:4]
	v_cmp_eq_u32_e64 s[18:19], 0, v19
	s_and_b64 s[18:19], s[16:17], s[18:19]
	v_add_u32_e32 v30, v31, v22
	; wave barrier
	s_and_saveexec_b64 s[16:17], s[18:19]
	s_cbranch_execz .LBB294_17
; %bb.16:
	v_bcnt_u32_b32 v3, v3, 0
	v_bcnt_u32_b32 v3, v4, v3
	s_waitcnt lgkmcnt(0)
	v_add_u32_e32 v3, v18, v3
	ds_write_b32 v30, v3 offset:32
.LBB294_17:
	s_or_b64 exec, exec, s[16:17]
	v_lshrrev_b32_e32 v3, s40, v20
	v_and_b32_e32 v5, s50, v3
	v_and_b32_e32 v4, 1, v5
	v_add_co_u32_e64 v22, s[16:17], -1, v4
	v_addc_co_u32_e64 v28, s[16:17], 0, -1, s[16:17]
	v_cmp_ne_u32_e64 s[16:17], 0, v4
	v_mad_u32_u24 v3, v5, 36, v31
	v_xor_b32_e32 v4, s17, v28
	; wave barrier
	ds_read_b32 v20, v3 offset:32
	v_mov_b32_e32 v3, 0
	v_and_b32_e32 v28, exec_hi, v4
	v_lshlrev_b32_e32 v4, 30, v5
	v_xor_b32_e32 v22, s16, v22
	v_cmp_gt_i64_e64 s[16:17], 0, v[3:4]
	v_not_b32_e32 v4, v4
	v_ashrrev_i32_e32 v4, 31, v4
	v_and_b32_e32 v22, exec_lo, v22
	v_xor_b32_e32 v29, s17, v4
	v_xor_b32_e32 v4, s16, v4
	v_and_b32_e32 v22, v22, v4
	v_lshlrev_b32_e32 v4, 29, v5
	v_cmp_gt_i64_e64 s[16:17], 0, v[3:4]
	v_not_b32_e32 v4, v4
	v_ashrrev_i32_e32 v4, 31, v4
	v_and_b32_e32 v28, v28, v29
	v_xor_b32_e32 v29, s17, v4
	v_xor_b32_e32 v4, s16, v4
	v_and_b32_e32 v22, v22, v4
	v_lshlrev_b32_e32 v4, 28, v5
	v_cmp_gt_i64_e64 s[16:17], 0, v[3:4]
	v_not_b32_e32 v4, v4
	v_ashrrev_i32_e32 v4, 31, v4
	v_and_b32_e32 v28, v28, v29
	;; [unrolled: 8-line block ×5, first 2 shown]
	v_xor_b32_e32 v29, s17, v4
	v_xor_b32_e32 v4, s16, v4
	v_and_b32_e32 v22, v22, v4
	v_lshlrev_b32_e32 v4, 24, v5
	v_cmp_gt_i64_e64 s[16:17], 0, v[3:4]
	v_not_b32_e32 v4, v4
	v_ashrrev_i32_e32 v4, 31, v4
	v_mul_u32_u24_e32 v25, 36, v5
	v_xor_b32_e32 v5, s17, v4
	v_xor_b32_e32 v4, s16, v4
	v_and_b32_e32 v28, v28, v29
	v_and_b32_e32 v4, v22, v4
	;; [unrolled: 1-line block ×3, first 2 shown]
	v_mbcnt_lo_u32_b32 v22, v4, 0
	v_mbcnt_hi_u32_b32 v22, v5, v22
	v_cmp_ne_u64_e64 s[16:17], 0, v[4:5]
	v_cmp_eq_u32_e64 s[18:19], 0, v22
	s_and_b64 s[18:19], s[16:17], s[18:19]
	v_add_u32_e32 v33, v31, v25
	; wave barrier
	s_and_saveexec_b64 s[16:17], s[18:19]
	s_cbranch_execz .LBB294_19
; %bb.18:
	v_bcnt_u32_b32 v4, v4, 0
	v_bcnt_u32_b32 v4, v5, v4
	s_waitcnt lgkmcnt(0)
	v_add_u32_e32 v4, v20, v4
	ds_write_b32 v33, v4 offset:32
.LBB294_19:
	s_or_b64 exec, exec, s[16:17]
	v_lshrrev_b32_e32 v4, s40, v23
	v_and_b32_e32 v5, s50, v4
	v_mad_u32_u24 v4, v5, 36, v31
	; wave barrier
	ds_read_b32 v23, v4 offset:32
	v_and_b32_e32 v4, 1, v5
	v_add_co_u32_e64 v25, s[16:17], -1, v4
	v_addc_co_u32_e64 v29, s[16:17], 0, -1, s[16:17]
	v_cmp_ne_u32_e64 s[16:17], 0, v4
	v_xor_b32_e32 v4, s17, v29
	v_and_b32_e32 v29, exec_hi, v4
	v_lshlrev_b32_e32 v4, 30, v5
	v_xor_b32_e32 v25, s16, v25
	v_cmp_gt_i64_e64 s[16:17], 0, v[3:4]
	v_not_b32_e32 v4, v4
	v_ashrrev_i32_e32 v4, 31, v4
	v_and_b32_e32 v25, exec_lo, v25
	v_xor_b32_e32 v32, s17, v4
	v_xor_b32_e32 v4, s16, v4
	v_and_b32_e32 v25, v25, v4
	v_lshlrev_b32_e32 v4, 29, v5
	v_cmp_gt_i64_e64 s[16:17], 0, v[3:4]
	v_not_b32_e32 v4, v4
	v_ashrrev_i32_e32 v4, 31, v4
	v_and_b32_e32 v29, v29, v32
	v_xor_b32_e32 v32, s17, v4
	v_xor_b32_e32 v4, s16, v4
	v_and_b32_e32 v25, v25, v4
	v_lshlrev_b32_e32 v4, 28, v5
	v_cmp_gt_i64_e64 s[16:17], 0, v[3:4]
	v_not_b32_e32 v4, v4
	v_ashrrev_i32_e32 v4, 31, v4
	v_and_b32_e32 v29, v29, v32
	;; [unrolled: 8-line block ×5, first 2 shown]
	v_xor_b32_e32 v32, s17, v4
	v_xor_b32_e32 v4, s16, v4
	v_and_b32_e32 v25, v25, v4
	v_lshlrev_b32_e32 v4, 24, v5
	v_cmp_gt_i64_e64 s[16:17], 0, v[3:4]
	v_not_b32_e32 v3, v4
	v_ashrrev_i32_e32 v3, 31, v3
	v_xor_b32_e32 v4, s17, v3
	v_xor_b32_e32 v3, s16, v3
	v_and_b32_e32 v29, v29, v32
	v_and_b32_e32 v3, v25, v3
	v_mul_u32_u24_e32 v28, 36, v5
	v_and_b32_e32 v4, v29, v4
	v_mbcnt_lo_u32_b32 v5, v3, 0
	v_mbcnt_hi_u32_b32 v25, v4, v5
	v_cmp_ne_u64_e64 s[16:17], 0, v[3:4]
	v_cmp_eq_u32_e64 s[18:19], 0, v25
	s_and_b64 s[18:19], s[16:17], s[18:19]
	v_add_u32_e32 v34, v31, v28
	; wave barrier
	s_and_saveexec_b64 s[16:17], s[18:19]
	s_cbranch_execz .LBB294_21
; %bb.20:
	v_bcnt_u32_b32 v3, v3, 0
	v_bcnt_u32_b32 v3, v4, v3
	s_waitcnt lgkmcnt(0)
	v_add_u32_e32 v3, v23, v3
	ds_write_b32 v34, v3 offset:32
.LBB294_21:
	s_or_b64 exec, exec, s[16:17]
	v_lshrrev_b32_e32 v3, s40, v26
	v_and_b32_e32 v5, s50, v3
	v_and_b32_e32 v4, 1, v5
	v_add_co_u32_e64 v28, s[16:17], -1, v4
	v_addc_co_u32_e64 v32, s[16:17], 0, -1, s[16:17]
	v_cmp_ne_u32_e64 s[16:17], 0, v4
	v_mad_u32_u24 v3, v5, 36, v31
	v_xor_b32_e32 v4, s17, v32
	; wave barrier
	ds_read_b32 v26, v3 offset:32
	v_mov_b32_e32 v3, 0
	v_and_b32_e32 v32, exec_hi, v4
	v_lshlrev_b32_e32 v4, 30, v5
	v_xor_b32_e32 v28, s16, v28
	v_cmp_gt_i64_e64 s[16:17], 0, v[3:4]
	v_not_b32_e32 v4, v4
	v_ashrrev_i32_e32 v4, 31, v4
	v_and_b32_e32 v28, exec_lo, v28
	v_xor_b32_e32 v35, s17, v4
	v_xor_b32_e32 v4, s16, v4
	v_and_b32_e32 v28, v28, v4
	v_lshlrev_b32_e32 v4, 29, v5
	v_cmp_gt_i64_e64 s[16:17], 0, v[3:4]
	v_not_b32_e32 v4, v4
	v_ashrrev_i32_e32 v4, 31, v4
	v_and_b32_e32 v32, v32, v35
	v_xor_b32_e32 v35, s17, v4
	v_xor_b32_e32 v4, s16, v4
	v_and_b32_e32 v28, v28, v4
	v_lshlrev_b32_e32 v4, 28, v5
	v_cmp_gt_i64_e64 s[16:17], 0, v[3:4]
	v_not_b32_e32 v4, v4
	v_ashrrev_i32_e32 v4, 31, v4
	v_and_b32_e32 v32, v32, v35
	;; [unrolled: 8-line block ×5, first 2 shown]
	v_xor_b32_e32 v35, s17, v4
	v_xor_b32_e32 v4, s16, v4
	v_and_b32_e32 v28, v28, v4
	v_lshlrev_b32_e32 v4, 24, v5
	v_cmp_gt_i64_e64 s[16:17], 0, v[3:4]
	v_not_b32_e32 v4, v4
	v_ashrrev_i32_e32 v4, 31, v4
	v_mul_u32_u24_e32 v29, 36, v5
	v_xor_b32_e32 v5, s17, v4
	v_xor_b32_e32 v4, s16, v4
	v_and_b32_e32 v32, v32, v35
	v_and_b32_e32 v4, v28, v4
	v_and_b32_e32 v5, v32, v5
	v_mbcnt_lo_u32_b32 v28, v4, 0
	v_mbcnt_hi_u32_b32 v28, v5, v28
	v_cmp_ne_u64_e64 s[16:17], 0, v[4:5]
	v_cmp_eq_u32_e64 s[18:19], 0, v28
	s_and_b64 s[18:19], s[16:17], s[18:19]
	v_add_u32_e32 v35, v31, v29
	; wave barrier
	s_and_saveexec_b64 s[16:17], s[18:19]
	s_cbranch_execz .LBB294_23
; %bb.22:
	v_bcnt_u32_b32 v4, v4, 0
	v_bcnt_u32_b32 v4, v5, v4
	s_waitcnt lgkmcnt(0)
	v_add_u32_e32 v4, v26, v4
	ds_write_b32 v35, v4 offset:32
.LBB294_23:
	s_or_b64 exec, exec, s[16:17]
	v_lshrrev_b32_e32 v4, s40, v6
	v_and_b32_e32 v5, s50, v4
	v_mad_u32_u24 v4, v5, 36, v31
	; wave barrier
	ds_read_b32 v29, v4 offset:32
	v_and_b32_e32 v4, 1, v5
	v_add_co_u32_e64 v32, s[16:17], -1, v4
	v_addc_co_u32_e64 v36, s[16:17], 0, -1, s[16:17]
	v_cmp_ne_u32_e64 s[16:17], 0, v4
	v_xor_b32_e32 v4, s17, v36
	v_and_b32_e32 v36, exec_hi, v4
	v_lshlrev_b32_e32 v4, 30, v5
	v_xor_b32_e32 v32, s16, v32
	v_cmp_gt_i64_e64 s[16:17], 0, v[3:4]
	v_not_b32_e32 v4, v4
	v_ashrrev_i32_e32 v4, 31, v4
	v_and_b32_e32 v32, exec_lo, v32
	v_xor_b32_e32 v37, s17, v4
	v_xor_b32_e32 v4, s16, v4
	v_and_b32_e32 v32, v32, v4
	v_lshlrev_b32_e32 v4, 29, v5
	v_cmp_gt_i64_e64 s[16:17], 0, v[3:4]
	v_not_b32_e32 v4, v4
	v_ashrrev_i32_e32 v4, 31, v4
	v_and_b32_e32 v36, v36, v37
	v_xor_b32_e32 v37, s17, v4
	v_xor_b32_e32 v4, s16, v4
	v_and_b32_e32 v32, v32, v4
	v_lshlrev_b32_e32 v4, 28, v5
	v_cmp_gt_i64_e64 s[16:17], 0, v[3:4]
	v_not_b32_e32 v4, v4
	v_ashrrev_i32_e32 v4, 31, v4
	v_and_b32_e32 v36, v36, v37
	v_xor_b32_e32 v37, s17, v4
	v_xor_b32_e32 v4, s16, v4
	v_and_b32_e32 v32, v32, v4
	v_lshlrev_b32_e32 v4, 27, v5
	v_cmp_gt_i64_e64 s[16:17], 0, v[3:4]
	v_not_b32_e32 v4, v4
	v_ashrrev_i32_e32 v4, 31, v4
	v_and_b32_e32 v36, v36, v37
	v_xor_b32_e32 v37, s17, v4
	v_xor_b32_e32 v4, s16, v4
	v_and_b32_e32 v32, v32, v4
	v_lshlrev_b32_e32 v4, 26, v5
	v_cmp_gt_i64_e64 s[16:17], 0, v[3:4]
	v_not_b32_e32 v4, v4
	v_ashrrev_i32_e32 v4, 31, v4
	v_and_b32_e32 v36, v36, v37
	v_xor_b32_e32 v37, s17, v4
	v_xor_b32_e32 v4, s16, v4
	v_and_b32_e32 v32, v32, v4
	v_lshlrev_b32_e32 v4, 25, v5
	v_cmp_gt_i64_e64 s[16:17], 0, v[3:4]
	v_not_b32_e32 v4, v4
	v_ashrrev_i32_e32 v4, 31, v4
	v_and_b32_e32 v36, v36, v37
	v_xor_b32_e32 v37, s17, v4
	v_xor_b32_e32 v4, s16, v4
	v_and_b32_e32 v32, v32, v4
	v_lshlrev_b32_e32 v4, 24, v5
	v_cmp_gt_i64_e64 s[16:17], 0, v[3:4]
	v_not_b32_e32 v3, v4
	v_ashrrev_i32_e32 v3, 31, v3
	v_xor_b32_e32 v4, s17, v3
	v_xor_b32_e32 v3, s16, v3
	v_and_b32_e32 v36, v36, v37
	v_and_b32_e32 v3, v32, v3
	v_mul_u32_u24_e32 v6, 36, v5
	v_and_b32_e32 v4, v36, v4
	v_mbcnt_lo_u32_b32 v5, v3, 0
	v_mbcnt_hi_u32_b32 v32, v4, v5
	v_cmp_ne_u64_e64 s[16:17], 0, v[3:4]
	v_cmp_eq_u32_e64 s[18:19], 0, v32
	s_and_b64 s[18:19], s[16:17], s[18:19]
	v_add_u32_e32 v36, v31, v6
	; wave barrier
	s_and_saveexec_b64 s[16:17], s[18:19]
	s_cbranch_execz .LBB294_25
; %bb.24:
	v_bcnt_u32_b32 v3, v3, 0
	v_bcnt_u32_b32 v3, v4, v3
	s_waitcnt lgkmcnt(0)
	v_add_u32_e32 v3, v29, v3
	ds_write_b32 v36, v3 offset:32
.LBB294_25:
	s_or_b64 exec, exec, s[16:17]
	; wave barrier
	s_waitcnt lgkmcnt(0)
	s_barrier
	ds_read2_b32 v[5:6], v21 offset0:8 offset1:9
	ds_read2_b32 v[3:4], v21 offset0:10 offset1:11
	ds_read_b32 v31, v21 offset:48
	v_min_u32_e32 v16, 0x1c0, v16
	v_or_b32_e32 v16, 63, v16
	s_waitcnt lgkmcnt(1)
	v_add3_u32 v37, v6, v5, v3
	s_waitcnt lgkmcnt(0)
	v_add3_u32 v31, v37, v4, v31
	v_and_b32_e32 v37, 15, v13
	v_cmp_ne_u32_e64 s[16:17], 0, v37
	v_mov_b32_dpp v38, v31 row_shr:1 row_mask:0xf bank_mask:0xf
	v_cndmask_b32_e64 v38, 0, v38, s[16:17]
	v_add_u32_e32 v31, v38, v31
	v_cmp_lt_u32_e64 s[16:17], 1, v37
	s_nop 0
	v_mov_b32_dpp v38, v31 row_shr:2 row_mask:0xf bank_mask:0xf
	v_cndmask_b32_e64 v38, 0, v38, s[16:17]
	v_add_u32_e32 v31, v31, v38
	v_cmp_lt_u32_e64 s[16:17], 3, v37
	s_nop 0
	;; [unrolled: 5-line block ×3, first 2 shown]
	v_mov_b32_dpp v38, v31 row_shr:8 row_mask:0xf bank_mask:0xf
	v_cndmask_b32_e64 v37, 0, v38, s[16:17]
	v_add_u32_e32 v31, v31, v37
	v_bfe_i32 v38, v13, 4, 1
	v_cmp_lt_u32_e64 s[16:17], 31, v13
	v_mov_b32_dpp v37, v31 row_bcast:15 row_mask:0xf bank_mask:0xf
	v_and_b32_e32 v37, v38, v37
	v_add_u32_e32 v31, v31, v37
	s_nop 1
	v_mov_b32_dpp v37, v31 row_bcast:31 row_mask:0xf bank_mask:0xf
	v_cndmask_b32_e64 v37, 0, v37, s[16:17]
	v_add_u32_e32 v31, v31, v37
	v_lshrrev_b32_e32 v37, 6, v0
	v_cmp_eq_u32_e64 s[16:17], v0, v16
	s_and_saveexec_b64 s[18:19], s[16:17]
; %bb.26:
	v_lshlrev_b32_e32 v16, 2, v37
	ds_write_b32 v16, v31
; %bb.27:
	s_or_b64 exec, exec, s[18:19]
	v_cmp_gt_u32_e64 s[16:17], 8, v0
	s_waitcnt lgkmcnt(0)
	s_barrier
	s_and_saveexec_b64 s[22:23], s[16:17]
	s_cbranch_execz .LBB294_29
; %bb.28:
	v_lshlrev_b32_e32 v16, 2, v0
	ds_read_b32 v38, v16
	v_and_b32_e32 v39, 7, v13
	v_cmp_ne_u32_e64 s[16:17], 0, v39
	v_cmp_lt_u32_e64 s[18:19], 1, v39
	s_waitcnt lgkmcnt(0)
	v_mov_b32_dpp v40, v38 row_shr:1 row_mask:0xf bank_mask:0xf
	v_cndmask_b32_e64 v40, 0, v40, s[16:17]
	v_add_u32_e32 v38, v40, v38
	v_cmp_lt_u32_e64 s[16:17], 3, v39
	s_nop 0
	v_mov_b32_dpp v40, v38 row_shr:2 row_mask:0xf bank_mask:0xf
	v_cndmask_b32_e64 v40, 0, v40, s[18:19]
	v_add_u32_e32 v38, v38, v40
	s_nop 1
	v_mov_b32_dpp v40, v38 row_shr:4 row_mask:0xf bank_mask:0xf
	v_cndmask_b32_e64 v39, 0, v40, s[16:17]
	v_add_u32_e32 v38, v38, v39
	ds_write_b32 v16, v38
.LBB294_29:
	s_or_b64 exec, exec, s[22:23]
	v_cmp_lt_u32_e64 s[16:17], 63, v0
	v_mov_b32_e32 v16, 0
	s_waitcnt lgkmcnt(0)
	s_barrier
	s_and_saveexec_b64 s[18:19], s[16:17]
; %bb.30:
	v_lshl_add_u32 v16, v37, 2, -4
	ds_read_b32 v16, v16
; %bb.31:
	s_or_b64 exec, exec, s[18:19]
	v_subrev_co_u32_e64 v37, s[16:17], 1, v13
	v_and_b32_e32 v38, 64, v13
	v_cmp_lt_i32_e64 s[18:19], v37, v38
	v_cndmask_b32_e64 v13, v37, v13, s[18:19]
	s_waitcnt lgkmcnt(0)
	v_add_u32_e32 v31, v16, v31
	v_lshlrev_b32_e32 v13, 2, v13
	ds_bpermute_b32 v13, v13, v31
	s_movk_i32 s22, 0x100
	v_cmp_gt_u32_e64 s[18:19], s22, v0
	s_waitcnt lgkmcnt(0)
	v_cndmask_b32_e64 v13, v13, v16, s[16:17]
	v_cmp_ne_u32_e64 s[16:17], 0, v0
	v_cndmask_b32_e64 v13, 0, v13, s[16:17]
	v_add_u32_e32 v5, v13, v5
	v_add_u32_e32 v6, v5, v6
	;; [unrolled: 1-line block ×4, first 2 shown]
	ds_write2_b32 v21, v13, v5 offset0:8 offset1:9
	ds_write2_b32 v21, v6, v3 offset0:10 offset1:11
	ds_write_b32 v21, v4 offset:48
	s_waitcnt lgkmcnt(0)
	s_barrier
	ds_read_b32 v3, v27 offset:32
	ds_read_b32 v31, v30 offset:32
	;; [unrolled: 1-line block ×6, first 2 shown]
	s_movk_i32 s16, 0xff
	v_cmp_lt_u32_e64 s[16:17], s16, v0
                                        ; implicit-def: $vgpr21
                                        ; implicit-def: $vgpr27
	s_and_saveexec_b64 s[42:43], s[18:19]
	s_cbranch_execz .LBB294_35
; %bb.32:
	v_mul_u32_u24_e32 v4, 36, v0
	ds_read_b32 v21, v4 offset:32
	v_add_u32_e32 v5, 1, v0
	v_cmp_ne_u32_e64 s[22:23], s22, v5
	v_mov_b32_e32 v4, 0xc00
	s_and_saveexec_b64 s[46:47], s[22:23]
; %bb.33:
	v_mul_u32_u24_e32 v4, 36, v5
	ds_read_b32 v4, v4 offset:32
; %bb.34:
	s_or_b64 exec, exec, s[46:47]
	s_waitcnt lgkmcnt(0)
	v_sub_u32_e32 v27, v4, v21
.LBB294_35:
	s_or_b64 exec, exec, s[42:43]
	s_waitcnt lgkmcnt(5)
	v_add_u32_e32 v24, v3, v24
	s_waitcnt lgkmcnt(3)
	v_add3_u32 v4, v22, v20, v33
	v_add3_u32 v3, v19, v18, v31
	s_waitcnt lgkmcnt(2)
	v_add3_u32 v5, v25, v23, v34
	s_waitcnt lgkmcnt(1)
	v_add3_u32 v6, v28, v26, v35
	s_waitcnt lgkmcnt(0)
	v_add3_u32 v13, v32, v29, v36
	s_barrier
	ds_write_b8 v24, v8 offset:1024
	ds_write_b8 v3, v7 offset:1024
	;; [unrolled: 1-line block ×6, first 2 shown]
	v_mov_b32_e32 v4, 0
	v_lshlrev_b32_e32 v30, 2, v0
	s_and_saveexec_b64 s[22:23], s[18:19]
	s_cbranch_execz .LBB294_45
; %bb.36:
	v_lshl_add_u32 v3, s6, 8, v0
	v_lshlrev_b64 v[5:6], 2, v[3:4]
	v_mov_b32_e32 v11, s45
	v_add_co_u32_e64 v5, s[18:19], s44, v5
	v_addc_co_u32_e64 v6, s[18:19], v11, v6, s[18:19]
	v_or_b32_e32 v3, 2.0, v27
	s_mov_b64 s[42:43], 0
	s_brev_b32 s51, -4
	s_mov_b32 s52, s6
	v_mov_b32_e32 v12, 0
	global_store_dword v[5:6], v3, off
                                        ; implicit-def: $sgpr18_sgpr19
	s_branch .LBB294_39
.LBB294_37:                             ;   in Loop: Header=BB294_39 Depth=1
	s_or_b64 exec, exec, s[48:49]
.LBB294_38:                             ;   in Loop: Header=BB294_39 Depth=1
	s_or_b64 exec, exec, s[46:47]
	v_and_b32_e32 v7, 0x3fffffff, v3
	v_add_u32_e32 v12, v7, v12
	v_cmp_gt_i32_e64 s[18:19], -2.0, v3
	s_and_b64 s[46:47], exec, s[18:19]
	s_or_b64 s[42:43], s[46:47], s[42:43]
	s_andn2_b64 exec, exec, s[42:43]
	s_cbranch_execz .LBB294_44
.LBB294_39:                             ; =>This Loop Header: Depth=1
                                        ;     Child Loop BB294_42 Depth 2
	s_or_b64 s[18:19], s[18:19], exec
	s_cmp_eq_u32 s52, 0
	s_cbranch_scc1 .LBB294_43
; %bb.40:                               ;   in Loop: Header=BB294_39 Depth=1
	s_add_i32 s52, s52, -1
	v_lshl_or_b32 v3, s52, 8, v0
	v_lshlrev_b64 v[7:8], 2, v[3:4]
	v_add_co_u32_e64 v7, s[18:19], s44, v7
	v_addc_co_u32_e64 v8, s[18:19], v11, v8, s[18:19]
	global_load_dword v3, v[7:8], off glc
	s_waitcnt vmcnt(0)
	v_cmp_gt_u32_e64 s[18:19], 2.0, v3
	s_and_saveexec_b64 s[46:47], s[18:19]
	s_cbranch_execz .LBB294_38
; %bb.41:                               ;   in Loop: Header=BB294_39 Depth=1
	s_mov_b64 s[48:49], 0
.LBB294_42:                             ;   Parent Loop BB294_39 Depth=1
                                        ; =>  This Inner Loop Header: Depth=2
	global_load_dword v3, v[7:8], off glc
	s_waitcnt vmcnt(0)
	v_cmp_lt_u32_e64 s[18:19], s51, v3
	s_or_b64 s[48:49], s[18:19], s[48:49]
	s_andn2_b64 exec, exec, s[48:49]
	s_cbranch_execnz .LBB294_42
	s_branch .LBB294_37
.LBB294_43:                             ;   in Loop: Header=BB294_39 Depth=1
                                        ; implicit-def: $sgpr52
	s_and_b64 s[46:47], exec, s[18:19]
	s_or_b64 s[42:43], s[46:47], s[42:43]
	s_andn2_b64 exec, exec, s[42:43]
	s_cbranch_execnz .LBB294_39
.LBB294_44:
	s_or_b64 exec, exec, s[42:43]
	v_add_u32_e32 v3, v12, v27
	v_or_b32_e32 v3, 0x80000000, v3
	global_store_dword v[5:6], v3, off
	global_load_dword v3, v30, s[36:37]
	v_sub_u32_e32 v4, v12, v21
	s_waitcnt vmcnt(0)
	v_add_u32_e32 v3, v4, v3
	ds_write_b32 v30, v3
.LBB294_45:
	s_or_b64 exec, exec, s[22:23]
	v_cmp_gt_u32_e64 s[18:19], s7, v0
	s_waitcnt lgkmcnt(0)
	s_barrier
	s_and_saveexec_b64 s[22:23], s[18:19]
	s_cbranch_execz .LBB294_47
; %bb.46:
	ds_read_u8 v3, v0 offset:1024
	s_waitcnt lgkmcnt(0)
	v_lshrrev_b32_sdwa v4, s40, v3 dst_sel:DWORD dst_unused:UNUSED_PAD src0_sel:DWORD src1_sel:BYTE_0
	v_and_b32_e32 v4, s50, v4
	v_lshlrev_b32_e32 v5, 2, v4
	ds_read_b32 v5, v5
	buffer_store_dword v4, off, s[0:3], 0
	s_waitcnt lgkmcnt(0)
	v_add_u32_e32 v5, v5, v0
	global_store_byte v5, v3, s[26:27]
.LBB294_47:
	s_or_b64 exec, exec, s[22:23]
	v_or_b32_e32 v3, 0x200, v0
	v_cmp_gt_u32_e64 s[18:19], s7, v3
	s_and_saveexec_b64 s[22:23], s[18:19]
	s_cbranch_execz .LBB294_49
; %bb.48:
	ds_read_u8 v4, v0 offset:1536
	s_waitcnt lgkmcnt(0)
	v_lshrrev_b32_sdwa v5, s40, v4 dst_sel:DWORD dst_unused:UNUSED_PAD src0_sel:DWORD src1_sel:BYTE_0
	v_and_b32_e32 v5, s50, v5
	v_lshlrev_b32_e32 v6, 2, v5
	ds_read_b32 v6, v6
	buffer_store_dword v5, off, s[0:3], 0 offset:4
	s_waitcnt lgkmcnt(0)
	v_add_u32_e32 v3, v6, v3
	global_store_byte v3, v4, s[26:27]
.LBB294_49:
	s_or_b64 exec, exec, s[22:23]
	v_or_b32_e32 v3, 0x400, v0
	v_cmp_gt_u32_e64 s[18:19], s7, v3
	s_and_saveexec_b64 s[22:23], s[18:19]
	s_cbranch_execz .LBB294_51
; %bb.50:
	ds_read_u8 v4, v0 offset:2048
	s_waitcnt lgkmcnt(0)
	v_lshrrev_b32_sdwa v5, s40, v4 dst_sel:DWORD dst_unused:UNUSED_PAD src0_sel:DWORD src1_sel:BYTE_0
	v_and_b32_e32 v5, s50, v5
	v_lshlrev_b32_e32 v6, 2, v5
	ds_read_b32 v6, v6
	buffer_store_dword v5, off, s[0:3], 0 offset:8
	s_waitcnt lgkmcnt(0)
	v_add_u32_e32 v3, v6, v3
	global_store_byte v3, v4, s[26:27]
.LBB294_51:
	;; [unrolled: 17-line block ×5, first 2 shown]
	s_or_b64 exec, exec, s[22:23]
	s_lshl_b64 s[18:19], s[34:35], 3
	s_add_u32 s18, s28, s18
	s_addc_u32 s19, s29, s19
	v_lshlrev_b32_e32 v3, 3, v10
	v_mov_b32_e32 v4, s19
	v_add_co_u32_e64 v3, s[18:19], s18, v3
	v_addc_co_u32_e64 v4, s[18:19], 0, v4, s[18:19]
	v_lshlrev_b32_e32 v5, 3, v9
	v_add_co_u32_e64 v15, s[18:19], v3, v5
	v_addc_co_u32_e64 v16, s[18:19], 0, v4, s[18:19]
                                        ; implicit-def: $vgpr3_vgpr4
	s_and_saveexec_b64 s[18:19], vcc
	s_xor_b64 s[18:19], exec, s[18:19]
	s_cbranch_execz .LBB294_63
; %bb.58:
	global_load_dwordx2 v[3:4], v[15:16], off
	s_or_b64 exec, exec, s[18:19]
                                        ; implicit-def: $vgpr5_vgpr6
	s_and_saveexec_b64 s[18:19], s[20:21]
	s_cbranch_execnz .LBB294_64
.LBB294_59:
	s_or_b64 exec, exec, s[18:19]
                                        ; implicit-def: $vgpr7_vgpr8
	s_and_saveexec_b64 s[18:19], s[8:9]
	s_cbranch_execz .LBB294_65
.LBB294_60:
	global_load_dwordx2 v[7:8], v[15:16], off offset:1024
	s_or_b64 exec, exec, s[18:19]
                                        ; implicit-def: $vgpr9_vgpr10
	s_and_saveexec_b64 s[8:9], s[10:11]
	s_cbranch_execnz .LBB294_66
.LBB294_61:
	s_or_b64 exec, exec, s[8:9]
                                        ; implicit-def: $vgpr11_vgpr12
	s_and_saveexec_b64 s[8:9], s[12:13]
	s_cbranch_execz .LBB294_67
.LBB294_62:
	global_load_dwordx2 v[11:12], v[15:16], off offset:2048
	s_or_b64 exec, exec, s[8:9]
                                        ; implicit-def: $vgpr13_vgpr14
	s_and_saveexec_b64 s[8:9], s[14:15]
	s_cbranch_execnz .LBB294_68
	s_branch .LBB294_69
.LBB294_63:
	s_or_b64 exec, exec, s[18:19]
                                        ; implicit-def: $vgpr5_vgpr6
	s_and_saveexec_b64 s[18:19], s[20:21]
	s_cbranch_execz .LBB294_59
.LBB294_64:
	global_load_dwordx2 v[5:6], v[15:16], off offset:512
	s_or_b64 exec, exec, s[18:19]
                                        ; implicit-def: $vgpr7_vgpr8
	s_and_saveexec_b64 s[18:19], s[8:9]
	s_cbranch_execnz .LBB294_60
.LBB294_65:
	s_or_b64 exec, exec, s[18:19]
                                        ; implicit-def: $vgpr9_vgpr10
	s_and_saveexec_b64 s[8:9], s[10:11]
	s_cbranch_execz .LBB294_61
.LBB294_66:
	global_load_dwordx2 v[9:10], v[15:16], off offset:1536
	s_or_b64 exec, exec, s[8:9]
                                        ; implicit-def: $vgpr11_vgpr12
	s_and_saveexec_b64 s[8:9], s[12:13]
	s_cbranch_execnz .LBB294_62
.LBB294_67:
	s_or_b64 exec, exec, s[8:9]
                                        ; implicit-def: $vgpr13_vgpr14
	s_and_saveexec_b64 s[8:9], s[14:15]
	s_cbranch_execz .LBB294_69
.LBB294_68:
	global_load_dwordx2 v[13:14], v[15:16], off offset:2560
.LBB294_69:
	s_or_b64 exec, exec, s[8:9]
	v_lshlrev_b32_e32 v37, 3, v0
	v_add3_u32 v29, v32, v36, v29
	v_add3_u32 v26, v28, v35, v26
	;; [unrolled: 1-line block ×5, first 2 shown]
	s_mov_b32 s10, 0
	s_mov_b32 s11, 0
	v_mov_b32_e32 v16, 0
	s_movk_i32 s12, 0x200
	v_mov_b32_e32 v19, v0
	s_waitcnt vmcnt(0)
	s_barrier
	s_branch .LBB294_71
.LBB294_70:                             ;   in Loop: Header=BB294_71 Depth=1
	s_or_b64 exec, exec, s[8:9]
	s_addk_i32 s11, 0xfc00
	s_add_i32 s10, s10, 8
	s_cmpk_eq_i32 s11, 0xf400
	v_add_u32_e32 v19, 0x400, v19
	s_waitcnt vmcnt(0)
	s_barrier
	s_cbranch_scc1 .LBB294_75
.LBB294_71:                             ; =>This Inner Loop Header: Depth=1
	v_add_u32_e32 v15, s11, v24
	v_min_u32_e32 v15, 0x400, v15
	v_lshlrev_b32_e32 v15, 3, v15
	ds_write_b64 v15, v[3:4] offset:1024
	v_add_u32_e32 v15, s11, v18
	v_min_u32_e32 v15, 0x400, v15
	v_lshlrev_b32_e32 v15, 3, v15
	ds_write_b64 v15, v[5:6] offset:1024
	;; [unrolled: 4-line block ×5, first 2 shown]
	v_add_u32_e32 v15, s11, v29
	v_min_u32_e32 v15, 0x400, v15
	v_lshlrev_b32_e32 v15, 3, v15
	v_cmp_gt_u32_e32 vcc, s7, v19
	ds_write_b64 v15, v[13:14] offset:1024
	s_waitcnt lgkmcnt(0)
	s_barrier
	s_and_saveexec_b64 s[8:9], vcc
	s_cbranch_execz .LBB294_73
; %bb.72:                               ;   in Loop: Header=BB294_71 Depth=1
	v_mov_b32_e32 v15, s10
	buffer_load_dword v15, v15, s[0:3], 0 offen
	v_mov_b32_e32 v22, s31
	s_waitcnt vmcnt(0)
	v_lshlrev_b32_e32 v15, 2, v15
	ds_read_b32 v15, v15
	ds_read_b64 v[31:32], v37 offset:1024
	s_waitcnt lgkmcnt(1)
	v_add_u32_e32 v15, v19, v15
	v_lshlrev_b64 v[33:34], 3, v[15:16]
	v_add_co_u32_e32 v33, vcc, s30, v33
	v_addc_co_u32_e32 v34, vcc, v22, v34, vcc
	s_waitcnt lgkmcnt(0)
	global_store_dwordx2 v[33:34], v[31:32], off
.LBB294_73:                             ;   in Loop: Header=BB294_71 Depth=1
	s_or_b64 exec, exec, s[8:9]
	v_add_u32_e32 v15, 0x200, v19
	v_cmp_gt_u32_e32 vcc, s7, v15
	s_and_saveexec_b64 s[8:9], vcc
	s_cbranch_execz .LBB294_70
; %bb.74:                               ;   in Loop: Header=BB294_71 Depth=1
	v_mov_b32_e32 v15, s10
	buffer_load_dword v15, v15, s[0:3], 0 offen offset:4
	v_mov_b32_e32 v22, s31
	s_waitcnt vmcnt(0)
	v_lshlrev_b32_e32 v15, 2, v15
	ds_read_b32 v15, v15
	ds_read_b64 v[31:32], v37 offset:5120
	s_waitcnt lgkmcnt(1)
	v_add3_u32 v15, v19, v15, s12
	v_lshlrev_b64 v[33:34], 3, v[15:16]
	v_add_co_u32_e32 v33, vcc, s30, v33
	v_addc_co_u32_e32 v34, vcc, v22, v34, vcc
	s_waitcnt lgkmcnt(0)
	global_store_dwordx2 v[33:34], v[31:32], off
	s_branch .LBB294_70
.LBB294_75:
	s_add_i32 s33, s33, -1
	s_cmp_eq_u32 s6, s33
	s_cselect_b64 s[8:9], -1, 0
	s_xor_b64 s[10:11], s[16:17], -1
	s_and_b64 s[10:11], s[10:11], s[8:9]
	s_and_saveexec_b64 s[8:9], s[10:11]
	s_cbranch_execz .LBB294_77
; %bb.76:
	ds_read_b32 v3, v30
	s_waitcnt lgkmcnt(0)
	v_add3_u32 v3, v21, v27, v3
	global_store_dword v30, v3, s[38:39]
.LBB294_77:
	s_or_b64 exec, exec, s[8:9]
	s_mov_b64 s[8:9], 0
.LBB294_78:
	s_and_b64 vcc, exec, s[8:9]
	s_cbranch_vccz .LBB294_115
; %bb.79:
	s_add_u32 s7, s24, s34
	v_mbcnt_hi_u32_b32 v9, -1, v17
	s_addc_u32 s8, s25, 0
	v_and_b32_e32 v8, 63, v9
	v_and_b32_e32 v10, 0x1c0, v0
	v_mov_b32_e32 v3, s8
	v_add_co_u32_e32 v4, vcc, s7, v8
	v_mul_u32_u24_e32 v7, 6, v10
	v_addc_co_u32_e32 v3, vcc, 0, v3, vcc
	v_add_co_u32_e32 v4, vcc, v4, v7
	v_addc_co_u32_e32 v5, vcc, 0, v3, vcc
	global_load_ubyte v6, v[4:5], off
	s_load_dword s8, s[4:5], 0x64
	s_load_dword s7, s[4:5], 0x58
	s_add_u32 s4, s4, 0x58
	s_addc_u32 s5, s5, 0
	v_mov_b32_e32 v3, 0
	s_waitcnt lgkmcnt(0)
	s_lshr_b32 s8, s8, 16
	s_cmp_lt_u32 s6, s7
	s_cselect_b32 s9, 12, 18
	s_add_u32 s4, s4, s9
	s_addc_u32 s5, s5, 0
	global_load_ushort v13, v3, s[4:5]
	global_load_ubyte v11, v[4:5], off offset:64
	global_load_ubyte v12, v[4:5], off offset:128
	;; [unrolled: 1-line block ×5, first 2 shown]
	s_lshl_b32 s4, -1, s41
	s_not_b32 s16, s4
	v_mad_u32_u24 v1, v2, s8, v1
	s_mov_b32 s35, 0
	v_mul_u32_u24_e32 v23, 20, v0
	ds_write2_b32 v23, v3, v3 offset0:8 offset1:9
	ds_write2_b32 v23, v3, v3 offset0:10 offset1:11
	ds_write_b32 v23, v3 offset:48
	s_waitcnt vmcnt(0) lgkmcnt(0)
	s_barrier
	; wave barrier
	v_lshrrev_b32_sdwa v4, s40, v6 dst_sel:DWORD dst_unused:UNUSED_PAD src0_sel:DWORD src1_sel:BYTE_0
	v_and_b32_e32 v15, s16, v4
	v_and_b32_e32 v5, 1, v15
	v_add_co_u32_e32 v16, vcc, -1, v5
	v_lshlrev_b32_e32 v4, 30, v15
	v_addc_co_u32_e64 v19, s[4:5], 0, -1, vcc
	v_cmp_ne_u32_e32 vcc, 0, v5
	v_cmp_gt_i64_e64 s[4:5], 0, v[3:4]
	v_not_b32_e32 v5, v4
	v_lshlrev_b32_e32 v4, 29, v15
	v_xor_b32_e32 v19, vcc_hi, v19
	v_ashrrev_i32_e32 v5, 31, v5
	v_xor_b32_e32 v16, vcc_lo, v16
	v_cmp_gt_i64_e32 vcc, 0, v[3:4]
	v_not_b32_e32 v20, v4
	v_lshlrev_b32_e32 v4, 28, v15
	v_and_b32_e32 v19, exec_hi, v19
	v_xor_b32_e32 v21, s5, v5
	v_and_b32_e32 v16, exec_lo, v16
	v_xor_b32_e32 v5, s4, v5
	v_ashrrev_i32_e32 v20, 31, v20
	v_cmp_gt_i64_e64 s[4:5], 0, v[3:4]
	v_not_b32_e32 v22, v4
	v_lshlrev_b32_e32 v4, 27, v15
	v_and_b32_e32 v19, v19, v21
	v_and_b32_e32 v5, v16, v5
	v_xor_b32_e32 v16, vcc_hi, v20
	v_xor_b32_e32 v20, vcc_lo, v20
	v_ashrrev_i32_e32 v21, 31, v22
	v_cmp_gt_i64_e32 vcc, 0, v[3:4]
	v_not_b32_e32 v22, v4
	v_lshlrev_b32_e32 v4, 26, v15
	v_and_b32_e32 v16, v19, v16
	v_and_b32_e32 v5, v5, v20
	v_xor_b32_e32 v19, s5, v21
	v_xor_b32_e32 v20, s4, v21
	v_ashrrev_i32_e32 v21, 31, v22
	v_cmp_gt_i64_e64 s[4:5], 0, v[3:4]
	v_not_b32_e32 v22, v4
	v_lshlrev_b32_e32 v4, 25, v15
	v_and_b32_e32 v16, v16, v19
	v_and_b32_e32 v5, v5, v20
	v_xor_b32_e32 v19, vcc_hi, v21
	v_xor_b32_e32 v20, vcc_lo, v21
	v_ashrrev_i32_e32 v21, 31, v22
	v_cmp_gt_i64_e32 vcc, 0, v[3:4]
	v_not_b32_e32 v22, v4
	v_lshlrev_b32_e32 v4, 24, v15
	v_and_b32_e32 v16, v16, v19
	v_and_b32_e32 v5, v5, v20
	v_xor_b32_e32 v19, s5, v21
	v_xor_b32_e32 v20, s4, v21
	v_ashrrev_i32_e32 v21, 31, v22
	v_cmp_gt_i64_e64 s[4:5], 0, v[3:4]
	v_not_b32_e32 v4, v4
	v_and_b32_e32 v16, v16, v19
	v_and_b32_e32 v5, v5, v20
	v_xor_b32_e32 v19, vcc_hi, v21
	v_xor_b32_e32 v20, vcc_lo, v21
	v_ashrrev_i32_e32 v4, 31, v4
	v_and_b32_e32 v16, v16, v19
	v_and_b32_e32 v19, v5, v20
	v_xor_b32_e32 v5, s5, v4
	v_xor_b32_e32 v4, s4, v4
	v_mad_u64_u32 v[1:2], s[4:5], v1, v13, v[0:1]
	v_and_b32_e32 v4, v19, v4
	v_and_b32_e32 v5, v16, v5
	v_mbcnt_lo_u32_b32 v2, v4, 0
	v_lshrrev_b32_e32 v1, 4, v1
	v_mbcnt_hi_u32_b32 v21, v5, v2
	v_cmp_ne_u64_e32 vcc, 0, v[4:5]
	v_and_b32_e32 v27, 0xffffffc, v1
	v_mul_u32_u24_e32 v1, 36, v15
	v_cmp_eq_u32_e64 s[4:5], 0, v21
	s_and_b64 s[8:9], vcc, s[4:5]
	v_add_u32_e32 v25, v27, v1
	s_and_saveexec_b64 s[4:5], s[8:9]
; %bb.80:
	v_bcnt_u32_b32 v1, v4, 0
	v_bcnt_u32_b32 v1, v5, v1
	ds_write_b32 v25, v1 offset:32
; %bb.81:
	s_or_b64 exec, exec, s[4:5]
	v_lshrrev_b32_sdwa v1, s40, v11 dst_sel:DWORD dst_unused:UNUSED_PAD src0_sel:DWORD src1_sel:BYTE_0
	v_and_b32_e32 v1, s16, v1
	v_mad_u32_u24 v2, v1, 36, v27
	; wave barrier
	ds_read_b32 v13, v2 offset:32
	v_and_b32_e32 v2, 1, v1
	v_add_co_u32_e32 v4, vcc, -1, v2
	v_addc_co_u32_e64 v15, s[4:5], 0, -1, vcc
	v_cmp_ne_u32_e32 vcc, 0, v2
	v_xor_b32_e32 v4, vcc_lo, v4
	v_xor_b32_e32 v2, vcc_hi, v15
	v_and_b32_e32 v15, exec_lo, v4
	v_lshlrev_b32_e32 v4, 30, v1
	v_cmp_gt_i64_e32 vcc, 0, v[3:4]
	v_not_b32_e32 v4, v4
	v_ashrrev_i32_e32 v4, 31, v4
	v_xor_b32_e32 v16, vcc_hi, v4
	v_xor_b32_e32 v4, vcc_lo, v4
	v_and_b32_e32 v15, v15, v4
	v_lshlrev_b32_e32 v4, 29, v1
	v_cmp_gt_i64_e32 vcc, 0, v[3:4]
	v_not_b32_e32 v4, v4
	v_and_b32_e32 v2, exec_hi, v2
	v_ashrrev_i32_e32 v4, 31, v4
	v_and_b32_e32 v2, v2, v16
	v_xor_b32_e32 v16, vcc_hi, v4
	v_xor_b32_e32 v4, vcc_lo, v4
	v_and_b32_e32 v15, v15, v4
	v_lshlrev_b32_e32 v4, 28, v1
	v_cmp_gt_i64_e32 vcc, 0, v[3:4]
	v_not_b32_e32 v4, v4
	v_ashrrev_i32_e32 v4, 31, v4
	v_and_b32_e32 v2, v2, v16
	v_xor_b32_e32 v16, vcc_hi, v4
	v_xor_b32_e32 v4, vcc_lo, v4
	v_and_b32_e32 v15, v15, v4
	v_lshlrev_b32_e32 v4, 27, v1
	v_cmp_gt_i64_e32 vcc, 0, v[3:4]
	v_not_b32_e32 v4, v4
	;; [unrolled: 8-line block ×4, first 2 shown]
	v_ashrrev_i32_e32 v4, 31, v4
	v_and_b32_e32 v2, v2, v16
	v_xor_b32_e32 v16, vcc_hi, v4
	v_xor_b32_e32 v4, vcc_lo, v4
	v_and_b32_e32 v15, v15, v4
	v_lshlrev_b32_e32 v4, 24, v1
	v_mul_u32_u24_e32 v5, 36, v1
	v_cmp_gt_i64_e32 vcc, 0, v[3:4]
	v_not_b32_e32 v1, v4
	v_ashrrev_i32_e32 v1, 31, v1
	v_xor_b32_e32 v3, vcc_hi, v1
	v_xor_b32_e32 v1, vcc_lo, v1
	v_and_b32_e32 v2, v2, v16
	v_and_b32_e32 v1, v15, v1
	;; [unrolled: 1-line block ×3, first 2 shown]
	v_mbcnt_lo_u32_b32 v3, v1, 0
	v_mbcnt_hi_u32_b32 v15, v2, v3
	v_cmp_ne_u64_e32 vcc, 0, v[1:2]
	v_cmp_eq_u32_e64 s[4:5], 0, v15
	s_and_b64 s[8:9], vcc, s[4:5]
	v_add_u32_e32 v5, v27, v5
	; wave barrier
	s_and_saveexec_b64 s[4:5], s[8:9]
	s_cbranch_execz .LBB294_83
; %bb.82:
	v_bcnt_u32_b32 v1, v1, 0
	v_bcnt_u32_b32 v1, v2, v1
	s_waitcnt lgkmcnt(0)
	v_add_u32_e32 v1, v13, v1
	ds_write_b32 v5, v1 offset:32
.LBB294_83:
	s_or_b64 exec, exec, s[4:5]
	v_lshrrev_b32_sdwa v1, s40, v12 dst_sel:DWORD dst_unused:UNUSED_PAD src0_sel:DWORD src1_sel:BYTE_0
	v_and_b32_e32 v3, s16, v1
	v_and_b32_e32 v2, 1, v3
	v_add_co_u32_e32 v19, vcc, -1, v2
	v_addc_co_u32_e64 v20, s[4:5], 0, -1, vcc
	v_cmp_ne_u32_e32 vcc, 0, v2
	v_mad_u32_u24 v1, v3, 36, v27
	v_xor_b32_e32 v2, vcc_hi, v20
	; wave barrier
	ds_read_b32 v16, v1 offset:32
	v_mov_b32_e32 v1, 0
	v_and_b32_e32 v20, exec_hi, v2
	v_lshlrev_b32_e32 v2, 30, v3
	v_xor_b32_e32 v19, vcc_lo, v19
	v_cmp_gt_i64_e32 vcc, 0, v[1:2]
	v_not_b32_e32 v2, v2
	v_ashrrev_i32_e32 v2, 31, v2
	v_and_b32_e32 v19, exec_lo, v19
	v_xor_b32_e32 v22, vcc_hi, v2
	v_xor_b32_e32 v2, vcc_lo, v2
	v_and_b32_e32 v19, v19, v2
	v_lshlrev_b32_e32 v2, 29, v3
	v_cmp_gt_i64_e32 vcc, 0, v[1:2]
	v_not_b32_e32 v2, v2
	v_ashrrev_i32_e32 v2, 31, v2
	v_and_b32_e32 v20, v20, v22
	v_xor_b32_e32 v22, vcc_hi, v2
	v_xor_b32_e32 v2, vcc_lo, v2
	v_and_b32_e32 v19, v19, v2
	v_lshlrev_b32_e32 v2, 28, v3
	v_cmp_gt_i64_e32 vcc, 0, v[1:2]
	v_not_b32_e32 v2, v2
	v_ashrrev_i32_e32 v2, 31, v2
	v_and_b32_e32 v20, v20, v22
	;; [unrolled: 8-line block ×5, first 2 shown]
	v_xor_b32_e32 v22, vcc_hi, v2
	v_xor_b32_e32 v2, vcc_lo, v2
	v_and_b32_e32 v19, v19, v2
	v_lshlrev_b32_e32 v2, 24, v3
	v_cmp_gt_i64_e32 vcc, 0, v[1:2]
	v_not_b32_e32 v2, v2
	v_ashrrev_i32_e32 v2, 31, v2
	v_mul_u32_u24_e32 v4, 36, v3
	v_xor_b32_e32 v3, vcc_hi, v2
	v_xor_b32_e32 v2, vcc_lo, v2
	v_and_b32_e32 v20, v20, v22
	v_and_b32_e32 v2, v19, v2
	;; [unrolled: 1-line block ×3, first 2 shown]
	v_mbcnt_lo_u32_b32 v19, v2, 0
	v_mbcnt_hi_u32_b32 v19, v3, v19
	v_cmp_ne_u64_e32 vcc, 0, v[2:3]
	v_cmp_eq_u32_e64 s[4:5], 0, v19
	s_and_b64 s[8:9], vcc, s[4:5]
	v_add_u32_e32 v30, v27, v4
	; wave barrier
	s_and_saveexec_b64 s[4:5], s[8:9]
	s_cbranch_execz .LBB294_85
; %bb.84:
	v_bcnt_u32_b32 v2, v2, 0
	v_bcnt_u32_b32 v2, v3, v2
	s_waitcnt lgkmcnt(0)
	v_add_u32_e32 v2, v16, v2
	ds_write_b32 v30, v2 offset:32
.LBB294_85:
	s_or_b64 exec, exec, s[4:5]
	v_lshrrev_b32_sdwa v2, s40, v14 dst_sel:DWORD dst_unused:UNUSED_PAD src0_sel:DWORD src1_sel:BYTE_0
	v_and_b32_e32 v3, s16, v2
	v_mad_u32_u24 v2, v3, 36, v27
	; wave barrier
	ds_read_b32 v20, v2 offset:32
	v_and_b32_e32 v2, 1, v3
	v_add_co_u32_e32 v22, vcc, -1, v2
	v_addc_co_u32_e64 v24, s[4:5], 0, -1, vcc
	v_cmp_ne_u32_e32 vcc, 0, v2
	v_xor_b32_e32 v2, vcc_hi, v24
	v_and_b32_e32 v24, exec_hi, v2
	v_lshlrev_b32_e32 v2, 30, v3
	v_xor_b32_e32 v22, vcc_lo, v22
	v_cmp_gt_i64_e32 vcc, 0, v[1:2]
	v_not_b32_e32 v2, v2
	v_ashrrev_i32_e32 v2, 31, v2
	v_and_b32_e32 v22, exec_lo, v22
	v_xor_b32_e32 v26, vcc_hi, v2
	v_xor_b32_e32 v2, vcc_lo, v2
	v_and_b32_e32 v22, v22, v2
	v_lshlrev_b32_e32 v2, 29, v3
	v_cmp_gt_i64_e32 vcc, 0, v[1:2]
	v_not_b32_e32 v2, v2
	v_ashrrev_i32_e32 v2, 31, v2
	v_and_b32_e32 v24, v24, v26
	v_xor_b32_e32 v26, vcc_hi, v2
	v_xor_b32_e32 v2, vcc_lo, v2
	v_and_b32_e32 v22, v22, v2
	v_lshlrev_b32_e32 v2, 28, v3
	v_cmp_gt_i64_e32 vcc, 0, v[1:2]
	v_not_b32_e32 v2, v2
	v_ashrrev_i32_e32 v2, 31, v2
	v_and_b32_e32 v24, v24, v26
	;; [unrolled: 8-line block ×5, first 2 shown]
	v_xor_b32_e32 v26, vcc_hi, v2
	v_xor_b32_e32 v2, vcc_lo, v2
	v_and_b32_e32 v22, v22, v2
	v_lshlrev_b32_e32 v2, 24, v3
	v_cmp_gt_i64_e32 vcc, 0, v[1:2]
	v_not_b32_e32 v1, v2
	v_ashrrev_i32_e32 v1, 31, v1
	v_xor_b32_e32 v2, vcc_hi, v1
	v_xor_b32_e32 v1, vcc_lo, v1
	v_and_b32_e32 v24, v24, v26
	v_and_b32_e32 v1, v22, v1
	v_mul_u32_u24_e32 v4, 36, v3
	v_and_b32_e32 v2, v24, v2
	v_mbcnt_lo_u32_b32 v3, v1, 0
	v_mbcnt_hi_u32_b32 v22, v2, v3
	v_cmp_ne_u64_e32 vcc, 0, v[1:2]
	v_cmp_eq_u32_e64 s[4:5], 0, v22
	s_and_b64 s[8:9], vcc, s[4:5]
	v_add_u32_e32 v32, v27, v4
	; wave barrier
	s_and_saveexec_b64 s[4:5], s[8:9]
	s_cbranch_execz .LBB294_87
; %bb.86:
	v_bcnt_u32_b32 v1, v1, 0
	v_bcnt_u32_b32 v1, v2, v1
	s_waitcnt lgkmcnt(0)
	v_add_u32_e32 v1, v20, v1
	ds_write_b32 v32, v1 offset:32
.LBB294_87:
	s_or_b64 exec, exec, s[4:5]
	v_lshrrev_b32_sdwa v1, s40, v17 dst_sel:DWORD dst_unused:UNUSED_PAD src0_sel:DWORD src1_sel:BYTE_0
	v_and_b32_e32 v3, s16, v1
	v_and_b32_e32 v2, 1, v3
	v_add_co_u32_e32 v26, vcc, -1, v2
	v_addc_co_u32_e64 v28, s[4:5], 0, -1, vcc
	v_cmp_ne_u32_e32 vcc, 0, v2
	v_mad_u32_u24 v1, v3, 36, v27
	v_xor_b32_e32 v2, vcc_hi, v28
	; wave barrier
	ds_read_b32 v24, v1 offset:32
	v_mov_b32_e32 v1, 0
	v_and_b32_e32 v28, exec_hi, v2
	v_lshlrev_b32_e32 v2, 30, v3
	v_xor_b32_e32 v26, vcc_lo, v26
	v_cmp_gt_i64_e32 vcc, 0, v[1:2]
	v_not_b32_e32 v2, v2
	v_ashrrev_i32_e32 v2, 31, v2
	v_and_b32_e32 v26, exec_lo, v26
	v_xor_b32_e32 v29, vcc_hi, v2
	v_xor_b32_e32 v2, vcc_lo, v2
	v_and_b32_e32 v26, v26, v2
	v_lshlrev_b32_e32 v2, 29, v3
	v_cmp_gt_i64_e32 vcc, 0, v[1:2]
	v_not_b32_e32 v2, v2
	v_ashrrev_i32_e32 v2, 31, v2
	v_and_b32_e32 v28, v28, v29
	v_xor_b32_e32 v29, vcc_hi, v2
	v_xor_b32_e32 v2, vcc_lo, v2
	v_and_b32_e32 v26, v26, v2
	v_lshlrev_b32_e32 v2, 28, v3
	v_cmp_gt_i64_e32 vcc, 0, v[1:2]
	v_not_b32_e32 v2, v2
	v_ashrrev_i32_e32 v2, 31, v2
	v_and_b32_e32 v28, v28, v29
	;; [unrolled: 8-line block ×5, first 2 shown]
	v_xor_b32_e32 v29, vcc_hi, v2
	v_xor_b32_e32 v2, vcc_lo, v2
	v_and_b32_e32 v26, v26, v2
	v_lshlrev_b32_e32 v2, 24, v3
	v_cmp_gt_i64_e32 vcc, 0, v[1:2]
	v_not_b32_e32 v2, v2
	v_ashrrev_i32_e32 v2, 31, v2
	v_mul_u32_u24_e32 v4, 36, v3
	v_xor_b32_e32 v3, vcc_hi, v2
	v_xor_b32_e32 v2, vcc_lo, v2
	v_and_b32_e32 v28, v28, v29
	v_and_b32_e32 v2, v26, v2
	;; [unrolled: 1-line block ×3, first 2 shown]
	v_mbcnt_lo_u32_b32 v26, v2, 0
	v_mbcnt_hi_u32_b32 v26, v3, v26
	v_cmp_ne_u64_e32 vcc, 0, v[2:3]
	v_cmp_eq_u32_e64 s[4:5], 0, v26
	s_and_b64 s[8:9], vcc, s[4:5]
	v_add_u32_e32 v33, v27, v4
	; wave barrier
	s_and_saveexec_b64 s[4:5], s[8:9]
	s_cbranch_execz .LBB294_89
; %bb.88:
	v_bcnt_u32_b32 v2, v2, 0
	v_bcnt_u32_b32 v2, v3, v2
	s_waitcnt lgkmcnt(0)
	v_add_u32_e32 v2, v24, v2
	ds_write_b32 v33, v2 offset:32
.LBB294_89:
	s_or_b64 exec, exec, s[4:5]
	v_lshrrev_b32_sdwa v2, s40, v18 dst_sel:DWORD dst_unused:UNUSED_PAD src0_sel:DWORD src1_sel:BYTE_0
	v_and_b32_e32 v3, s16, v2
	v_mad_u32_u24 v2, v3, 36, v27
	; wave barrier
	ds_read_b32 v28, v2 offset:32
	v_and_b32_e32 v2, 1, v3
	v_add_co_u32_e32 v29, vcc, -1, v2
	v_addc_co_u32_e64 v31, s[4:5], 0, -1, vcc
	v_cmp_ne_u32_e32 vcc, 0, v2
	v_xor_b32_e32 v2, vcc_hi, v31
	v_and_b32_e32 v31, exec_hi, v2
	v_lshlrev_b32_e32 v2, 30, v3
	v_xor_b32_e32 v29, vcc_lo, v29
	v_cmp_gt_i64_e32 vcc, 0, v[1:2]
	v_not_b32_e32 v2, v2
	v_ashrrev_i32_e32 v2, 31, v2
	v_and_b32_e32 v29, exec_lo, v29
	v_xor_b32_e32 v34, vcc_hi, v2
	v_xor_b32_e32 v2, vcc_lo, v2
	v_and_b32_e32 v29, v29, v2
	v_lshlrev_b32_e32 v2, 29, v3
	v_cmp_gt_i64_e32 vcc, 0, v[1:2]
	v_not_b32_e32 v2, v2
	v_ashrrev_i32_e32 v2, 31, v2
	v_and_b32_e32 v31, v31, v34
	v_xor_b32_e32 v34, vcc_hi, v2
	v_xor_b32_e32 v2, vcc_lo, v2
	v_and_b32_e32 v29, v29, v2
	v_lshlrev_b32_e32 v2, 28, v3
	v_cmp_gt_i64_e32 vcc, 0, v[1:2]
	v_not_b32_e32 v2, v2
	v_ashrrev_i32_e32 v2, 31, v2
	v_and_b32_e32 v31, v31, v34
	;; [unrolled: 8-line block ×5, first 2 shown]
	v_xor_b32_e32 v34, vcc_hi, v2
	v_xor_b32_e32 v2, vcc_lo, v2
	v_and_b32_e32 v29, v29, v2
	v_lshlrev_b32_e32 v2, 24, v3
	v_cmp_gt_i64_e32 vcc, 0, v[1:2]
	v_not_b32_e32 v1, v2
	v_ashrrev_i32_e32 v1, 31, v1
	v_xor_b32_e32 v2, vcc_hi, v1
	v_xor_b32_e32 v1, vcc_lo, v1
	v_and_b32_e32 v31, v31, v34
	v_and_b32_e32 v1, v29, v1
	v_mul_u32_u24_e32 v4, 36, v3
	v_and_b32_e32 v2, v31, v2
	v_mbcnt_lo_u32_b32 v3, v1, 0
	v_mbcnt_hi_u32_b32 v29, v2, v3
	v_cmp_ne_u64_e32 vcc, 0, v[1:2]
	v_cmp_eq_u32_e64 s[4:5], 0, v29
	s_and_b64 s[8:9], vcc, s[4:5]
	v_add_u32_e32 v34, v27, v4
	; wave barrier
	s_and_saveexec_b64 s[4:5], s[8:9]
	s_cbranch_execz .LBB294_91
; %bb.90:
	v_bcnt_u32_b32 v1, v1, 0
	v_bcnt_u32_b32 v1, v2, v1
	s_waitcnt lgkmcnt(0)
	v_add_u32_e32 v1, v28, v1
	ds_write_b32 v34, v1 offset:32
.LBB294_91:
	s_or_b64 exec, exec, s[4:5]
	; wave barrier
	s_waitcnt lgkmcnt(0)
	s_barrier
	ds_read2_b32 v[3:4], v23 offset0:8 offset1:9
	ds_read2_b32 v[1:2], v23 offset0:10 offset1:11
	ds_read_b32 v27, v23 offset:48
	v_min_u32_e32 v10, 0x1c0, v10
	v_or_b32_e32 v10, 63, v10
	s_waitcnt lgkmcnt(1)
	v_add3_u32 v31, v4, v3, v1
	s_waitcnt lgkmcnt(0)
	v_add3_u32 v27, v31, v2, v27
	v_and_b32_e32 v31, 15, v9
	v_cmp_ne_u32_e32 vcc, 0, v31
	v_mov_b32_dpp v35, v27 row_shr:1 row_mask:0xf bank_mask:0xf
	v_cndmask_b32_e32 v35, 0, v35, vcc
	v_add_u32_e32 v27, v35, v27
	v_cmp_lt_u32_e32 vcc, 1, v31
	s_nop 0
	v_mov_b32_dpp v35, v27 row_shr:2 row_mask:0xf bank_mask:0xf
	v_cndmask_b32_e32 v35, 0, v35, vcc
	v_add_u32_e32 v27, v27, v35
	v_cmp_lt_u32_e32 vcc, 3, v31
	s_nop 0
	v_mov_b32_dpp v35, v27 row_shr:4 row_mask:0xf bank_mask:0xf
	v_cndmask_b32_e32 v35, 0, v35, vcc
	v_add_u32_e32 v27, v27, v35
	v_cmp_lt_u32_e32 vcc, 7, v31
	s_nop 0
	v_mov_b32_dpp v35, v27 row_shr:8 row_mask:0xf bank_mask:0xf
	v_cndmask_b32_e32 v31, 0, v35, vcc
	v_add_u32_e32 v27, v27, v31
	v_bfe_i32 v35, v9, 4, 1
	v_cmp_lt_u32_e32 vcc, 31, v9
	v_mov_b32_dpp v31, v27 row_bcast:15 row_mask:0xf bank_mask:0xf
	v_and_b32_e32 v31, v35, v31
	v_add_u32_e32 v27, v27, v31
	v_lshrrev_b32_e32 v35, 6, v0
	s_nop 0
	v_mov_b32_dpp v31, v27 row_bcast:31 row_mask:0xf bank_mask:0xf
	v_cndmask_b32_e32 v31, 0, v31, vcc
	v_add_u32_e32 v31, v27, v31
	v_cmp_eq_u32_e32 vcc, v0, v10
	s_and_saveexec_b64 s[4:5], vcc
; %bb.92:
	v_lshlrev_b32_e32 v10, 2, v35
	ds_write_b32 v10, v31
; %bb.93:
	s_or_b64 exec, exec, s[4:5]
	v_cmp_gt_u32_e32 vcc, 8, v0
	v_lshlrev_b32_e32 v27, 2, v0
	s_waitcnt lgkmcnt(0)
	s_barrier
	s_and_saveexec_b64 s[4:5], vcc
	s_cbranch_execz .LBB294_95
; %bb.94:
	ds_read_b32 v10, v27
	v_and_b32_e32 v36, 7, v9
	v_cmp_ne_u32_e32 vcc, 0, v36
	s_waitcnt lgkmcnt(0)
	v_mov_b32_dpp v37, v10 row_shr:1 row_mask:0xf bank_mask:0xf
	v_cndmask_b32_e32 v37, 0, v37, vcc
	v_add_u32_e32 v10, v37, v10
	v_cmp_lt_u32_e32 vcc, 1, v36
	s_nop 0
	v_mov_b32_dpp v37, v10 row_shr:2 row_mask:0xf bank_mask:0xf
	v_cndmask_b32_e32 v37, 0, v37, vcc
	v_add_u32_e32 v10, v10, v37
	v_cmp_lt_u32_e32 vcc, 3, v36
	s_nop 0
	v_mov_b32_dpp v37, v10 row_shr:4 row_mask:0xf bank_mask:0xf
	v_cndmask_b32_e32 v36, 0, v37, vcc
	v_add_u32_e32 v10, v10, v36
	ds_write_b32 v27, v10
.LBB294_95:
	s_or_b64 exec, exec, s[4:5]
	v_cmp_lt_u32_e32 vcc, 63, v0
	v_mov_b32_e32 v10, 0
	s_waitcnt lgkmcnt(0)
	s_barrier
	s_and_saveexec_b64 s[4:5], vcc
; %bb.96:
	v_lshl_add_u32 v10, v35, 2, -4
	ds_read_b32 v10, v10
; %bb.97:
	s_or_b64 exec, exec, s[4:5]
	v_subrev_co_u32_e32 v35, vcc, 1, v9
	v_and_b32_e32 v36, 64, v9
	v_cmp_lt_i32_e64 s[4:5], v35, v36
	v_cndmask_b32_e64 v9, v35, v9, s[4:5]
	s_waitcnt lgkmcnt(0)
	v_add_u32_e32 v31, v10, v31
	v_lshlrev_b32_e32 v9, 2, v9
	ds_bpermute_b32 v9, v9, v31
	s_movk_i32 s4, 0xff
	s_movk_i32 s8, 0x100
	s_waitcnt lgkmcnt(0)
	v_cndmask_b32_e32 v9, v9, v10, vcc
	v_cmp_ne_u32_e32 vcc, 0, v0
	v_cndmask_b32_e32 v9, 0, v9, vcc
	v_add_u32_e32 v3, v9, v3
	v_add_u32_e32 v4, v3, v4
	;; [unrolled: 1-line block ×4, first 2 shown]
	ds_write2_b32 v23, v9, v3 offset0:8 offset1:9
	ds_write2_b32 v23, v4, v1 offset0:10 offset1:11
	ds_write_b32 v23, v2 offset:48
	s_waitcnt lgkmcnt(0)
	s_barrier
	ds_read_b32 v1, v25 offset:32
	ds_read_b32 v31, v5 offset:32
	;; [unrolled: 1-line block ×6, first 2 shown]
	v_cmp_lt_u32_e32 vcc, s4, v0
	v_cmp_gt_u32_e64 s[4:5], s8, v0
                                        ; implicit-def: $vgpr23
                                        ; implicit-def: $vgpr25
	s_and_saveexec_b64 s[10:11], s[4:5]
	s_cbranch_execz .LBB294_101
; %bb.98:
	v_mul_u32_u24_e32 v2, 36, v0
	ds_read_b32 v23, v2 offset:32
	v_add_u32_e32 v3, 1, v0
	v_cmp_ne_u32_e64 s[8:9], s8, v3
	v_mov_b32_e32 v2, 0xc00
	s_and_saveexec_b64 s[12:13], s[8:9]
; %bb.99:
	v_mul_u32_u24_e32 v2, 36, v3
	ds_read_b32 v2, v2 offset:32
; %bb.100:
	s_or_b64 exec, exec, s[12:13]
	s_waitcnt lgkmcnt(0)
	v_sub_u32_e32 v25, v2, v23
.LBB294_101:
	s_or_b64 exec, exec, s[10:11]
	s_waitcnt lgkmcnt(5)
	v_add_u32_e32 v21, v1, v21
	s_waitcnt lgkmcnt(3)
	v_add3_u32 v2, v19, v16, v30
	v_add3_u32 v1, v15, v13, v31
	s_waitcnt lgkmcnt(2)
	v_add3_u32 v3, v22, v20, v32
	s_waitcnt lgkmcnt(1)
	;; [unrolled: 2-line block ×3, first 2 shown]
	v_add3_u32 v5, v29, v28, v34
	s_barrier
	ds_write_b8 v21, v6 offset:1024
	ds_write_b8 v1, v11 offset:1024
	;; [unrolled: 1-line block ×6, first 2 shown]
	v_mov_b32_e32 v2, 0
	s_and_saveexec_b64 s[8:9], s[4:5]
	s_cbranch_execz .LBB294_111
; %bb.102:
	v_lshl_add_u32 v1, s6, 8, v0
	v_lshlrev_b64 v[3:4], 2, v[1:2]
	v_mov_b32_e32 v9, s45
	v_add_co_u32_e64 v3, s[4:5], s44, v3
	v_addc_co_u32_e64 v4, s[4:5], v9, v4, s[4:5]
	v_or_b32_e32 v1, 2.0, v25
	s_mov_b64 s[10:11], 0
	s_brev_b32 s17, -4
	s_mov_b32 s18, s6
	v_mov_b32_e32 v10, 0
	global_store_dword v[3:4], v1, off
                                        ; implicit-def: $sgpr4_sgpr5
	s_branch .LBB294_105
.LBB294_103:                            ;   in Loop: Header=BB294_105 Depth=1
	s_or_b64 exec, exec, s[14:15]
.LBB294_104:                            ;   in Loop: Header=BB294_105 Depth=1
	s_or_b64 exec, exec, s[12:13]
	v_and_b32_e32 v5, 0x3fffffff, v1
	v_add_u32_e32 v10, v5, v10
	v_cmp_gt_i32_e64 s[4:5], -2.0, v1
	s_and_b64 s[12:13], exec, s[4:5]
	s_or_b64 s[10:11], s[12:13], s[10:11]
	s_andn2_b64 exec, exec, s[10:11]
	s_cbranch_execz .LBB294_110
.LBB294_105:                            ; =>This Loop Header: Depth=1
                                        ;     Child Loop BB294_108 Depth 2
	s_or_b64 s[4:5], s[4:5], exec
	s_cmp_eq_u32 s18, 0
	s_cbranch_scc1 .LBB294_109
; %bb.106:                              ;   in Loop: Header=BB294_105 Depth=1
	s_add_i32 s18, s18, -1
	v_lshl_or_b32 v1, s18, 8, v0
	v_lshlrev_b64 v[5:6], 2, v[1:2]
	v_add_co_u32_e64 v5, s[4:5], s44, v5
	v_addc_co_u32_e64 v6, s[4:5], v9, v6, s[4:5]
	global_load_dword v1, v[5:6], off glc
	s_waitcnt vmcnt(0)
	v_cmp_gt_u32_e64 s[4:5], 2.0, v1
	s_and_saveexec_b64 s[12:13], s[4:5]
	s_cbranch_execz .LBB294_104
; %bb.107:                              ;   in Loop: Header=BB294_105 Depth=1
	s_mov_b64 s[14:15], 0
.LBB294_108:                            ;   Parent Loop BB294_105 Depth=1
                                        ; =>  This Inner Loop Header: Depth=2
	global_load_dword v1, v[5:6], off glc
	s_waitcnt vmcnt(0)
	v_cmp_lt_u32_e64 s[4:5], s17, v1
	s_or_b64 s[14:15], s[4:5], s[14:15]
	s_andn2_b64 exec, exec, s[14:15]
	s_cbranch_execnz .LBB294_108
	s_branch .LBB294_103
.LBB294_109:                            ;   in Loop: Header=BB294_105 Depth=1
                                        ; implicit-def: $sgpr18
	s_and_b64 s[12:13], exec, s[4:5]
	s_or_b64 s[10:11], s[12:13], s[10:11]
	s_andn2_b64 exec, exec, s[10:11]
	s_cbranch_execnz .LBB294_105
.LBB294_110:
	s_or_b64 exec, exec, s[10:11]
	v_add_u32_e32 v1, v10, v25
	v_or_b32_e32 v1, 0x80000000, v1
	global_store_dword v[3:4], v1, off
	global_load_dword v1, v27, s[36:37]
	v_sub_u32_e32 v2, v10, v23
	s_waitcnt vmcnt(0)
	v_add_u32_e32 v1, v2, v1
	ds_write_b32 v27, v1
.LBB294_111:
	s_or_b64 exec, exec, s[8:9]
	s_waitcnt lgkmcnt(0)
	s_barrier
	ds_read_u8 v1, v0 offset:1024
	ds_read_u8 v2, v0 offset:1536
	;; [unrolled: 1-line block ×6, first 2 shown]
	s_waitcnt lgkmcnt(5)
	v_lshrrev_b32_sdwa v9, s40, v1 dst_sel:DWORD dst_unused:UNUSED_PAD src0_sel:DWORD src1_sel:BYTE_0
	s_waitcnt lgkmcnt(4)
	v_lshrrev_b32_sdwa v10, s40, v2 dst_sel:DWORD dst_unused:UNUSED_PAD src0_sel:DWORD src1_sel:BYTE_0
	;; [unrolled: 2-line block ×6, first 2 shown]
	v_and_b32_e32 v14, s16, v9
	v_and_b32_e32 v35, s16, v10
	;; [unrolled: 1-line block ×6, first 2 shown]
	v_lshlrev_b32_e32 v9, 2, v14
	v_lshlrev_b32_e32 v10, 2, v35
	;; [unrolled: 1-line block ×6, first 2 shown]
	ds_read_b32 v9, v9
	ds_read_b32 v10, v10
	;; [unrolled: 1-line block ×6, first 2 shown]
	s_waitcnt lgkmcnt(5)
	v_add_u32_e32 v9, v9, v0
	s_movk_i32 s8, 0x200
	global_store_byte v9, v1, s[26:27]
	s_waitcnt lgkmcnt(4)
	v_add3_u32 v1, v0, v10, s8
	s_movk_i32 s4, 0x400
	global_store_byte v1, v2, s[26:27]
	s_waitcnt lgkmcnt(3)
	v_add3_u32 v1, v11, v0, s4
	;; [unrolled: 4-line block ×5, first 2 shown]
	s_lshl_b64 s[4:5], s[34:35], 3
	s_add_u32 s4, s28, s4
	global_store_byte v1, v6, s[26:27]
	s_addc_u32 s5, s29, s5
	v_lshlrev_b32_e32 v1, 3, v8
	v_mov_b32_e32 v2, s5
	v_add_co_u32_e64 v1, s[4:5], s4, v1
	v_addc_co_u32_e64 v2, s[4:5], 0, v2, s[4:5]
	v_lshlrev_b32_e32 v3, 3, v7
	v_add_co_u32_e64 v17, s[4:5], v1, v3
	v_addc_co_u32_e64 v18, s[4:5], 0, v2, s[4:5]
	global_load_dwordx2 v[1:2], v[17:18], off
	global_load_dwordx2 v[3:4], v[17:18], off offset:512
	global_load_dwordx2 v[5:6], v[17:18], off offset:1024
	;; [unrolled: 1-line block ×5, first 2 shown]
	v_add3_u32 v18, v26, v33, v24
	v_mul_u32_u24_e32 v24, 7, v0
	buffer_store_dword v14, off, s[0:3], 0
	buffer_store_dword v35, off, s[0:3], 0 offset:4
	buffer_store_dword v36, off, s[0:3], 0 offset:8
	;; [unrolled: 1-line block ×5, first 2 shown]
	v_add3_u32 v17, v29, v34, v28
	v_mov_b32_e32 v14, 0
	v_add3_u32 v20, v22, v32, v20
	v_add3_u32 v16, v19, v30, v16
	;; [unrolled: 1-line block ×3, first 2 shown]
	s_mov_b32 s9, 0
	s_mov_b32 s10, 0
	v_add_u32_e32 v19, v0, v24
	v_mov_b32_e32 v22, s31
	s_waitcnt vmcnt(0)
	s_barrier
.LBB294_112:                            ; =>This Inner Loop Header: Depth=1
	v_add_u32_e32 v13, s10, v21
	v_add_u32_e32 v24, s10, v15
	;; [unrolled: 1-line block ×6, first 2 shown]
	v_min_u32_e32 v13, 0x400, v13
	v_min_u32_e32 v24, 0x400, v24
	v_mov_b32_e32 v31, s9
	v_min_u32_e32 v26, 0x400, v26
	v_min_u32_e32 v28, 0x400, v28
	;; [unrolled: 1-line block ×4, first 2 shown]
	v_lshlrev_b32_e32 v13, 3, v13
	v_lshlrev_b32_e32 v24, 3, v24
	v_lshlrev_b32_e32 v26, 3, v26
	v_lshlrev_b32_e32 v28, 3, v28
	v_lshlrev_b32_e32 v29, 3, v29
	v_lshlrev_b32_e32 v30, 3, v30
	ds_write_b64 v13, v[1:2] offset:1024
	ds_write_b64 v24, v[3:4] offset:1024
	;; [unrolled: 1-line block ×6, first 2 shown]
	s_waitcnt lgkmcnt(0)
	s_barrier
	buffer_load_dword v13, v31, s[0:3], 0 offen
	buffer_load_dword v24, v31, s[0:3], 0 offen offset:4
	ds_read2st64_b64 v[28:31], v19 offset0:2 offset1:10
	s_addk_i32 s10, 0xfc00
	s_add_i32 s9, s9, 8
	s_cmpk_lg_i32 s10, 0xf400
	s_waitcnt vmcnt(1)
	v_lshlrev_b32_e32 v13, 2, v13
	s_waitcnt vmcnt(0)
	v_lshlrev_b32_e32 v24, 2, v24
	ds_read_b32 v13, v13
	ds_read_b32 v24, v24
	s_waitcnt lgkmcnt(1)
	v_add_u32_e32 v13, v0, v13
	v_lshlrev_b64 v[32:33], 3, v[13:14]
	s_waitcnt lgkmcnt(0)
	v_add3_u32 v13, v0, v24, s8
	v_lshlrev_b64 v[34:35], 3, v[13:14]
	v_add_co_u32_e64 v32, s[4:5], s30, v32
	v_addc_co_u32_e64 v33, s[4:5], v22, v33, s[4:5]
	global_store_dwordx2 v[32:33], v[28:29], off
	v_add_co_u32_e64 v28, s[4:5], s30, v34
	v_add_u32_e32 v0, 0x400, v0
	v_addc_co_u32_e64 v29, s[4:5], v22, v35, s[4:5]
	global_store_dwordx2 v[28:29], v[30:31], off
	s_waitcnt vmcnt(0)
	s_barrier
	s_cbranch_scc1 .LBB294_112
; %bb.113:
	s_add_i32 s7, s7, -1
	s_cmp_eq_u32 s6, s7
	s_cselect_b64 s[4:5], -1, 0
	s_xor_b64 s[6:7], vcc, -1
	s_and_b64 s[4:5], s[6:7], s[4:5]
	s_and_saveexec_b64 s[6:7], s[4:5]
	s_cbranch_execz .LBB294_115
; %bb.114:
	ds_read_b32 v0, v27
	s_waitcnt lgkmcnt(0)
	v_add3_u32 v0, v23, v25, v0
	global_store_dword v27, v0, s[38:39]
.LBB294_115:
	s_endpgm
	.section	.rodata,"a",@progbits
	.p2align	6, 0x0
	.amdhsa_kernel _ZN7rocprim17ROCPRIM_400000_NS6detail17trampoline_kernelINS0_14default_configENS1_35radix_sort_onesweep_config_selectorIhlEEZZNS1_29radix_sort_onesweep_iterationIS3_Lb0EPhS7_N6thrust23THRUST_200600_302600_NS10device_ptrIlEESB_jNS0_19identity_decomposerENS1_16block_id_wrapperIjLb0EEEEE10hipError_tT1_PNSt15iterator_traitsISG_E10value_typeET2_T3_PNSH_ISM_E10value_typeET4_T5_PSR_SS_PNS1_23onesweep_lookback_stateEbbT6_jjT7_P12ihipStream_tbENKUlT_T0_SG_SL_E_clIS7_S7_SB_SB_EEDaSZ_S10_SG_SL_EUlSZ_E_NS1_11comp_targetILNS1_3genE2ELNS1_11target_archE906ELNS1_3gpuE6ELNS1_3repE0EEENS1_47radix_sort_onesweep_sort_config_static_selectorELNS0_4arch9wavefront6targetE1EEEvSG_
		.amdhsa_group_segment_fixed_size 10280
		.amdhsa_private_segment_fixed_size 32
		.amdhsa_kernarg_size 344
		.amdhsa_user_sgpr_count 6
		.amdhsa_user_sgpr_private_segment_buffer 1
		.amdhsa_user_sgpr_dispatch_ptr 0
		.amdhsa_user_sgpr_queue_ptr 0
		.amdhsa_user_sgpr_kernarg_segment_ptr 1
		.amdhsa_user_sgpr_dispatch_id 0
		.amdhsa_user_sgpr_flat_scratch_init 0
		.amdhsa_user_sgpr_private_segment_size 0
		.amdhsa_uses_dynamic_stack 0
		.amdhsa_system_sgpr_private_segment_wavefront_offset 1
		.amdhsa_system_sgpr_workgroup_id_x 1
		.amdhsa_system_sgpr_workgroup_id_y 0
		.amdhsa_system_sgpr_workgroup_id_z 0
		.amdhsa_system_sgpr_workgroup_info 0
		.amdhsa_system_vgpr_workitem_id 2
		.amdhsa_next_free_vgpr 41
		.amdhsa_next_free_sgpr 53
		.amdhsa_reserve_vcc 1
		.amdhsa_reserve_flat_scratch 0
		.amdhsa_float_round_mode_32 0
		.amdhsa_float_round_mode_16_64 0
		.amdhsa_float_denorm_mode_32 3
		.amdhsa_float_denorm_mode_16_64 3
		.amdhsa_dx10_clamp 1
		.amdhsa_ieee_mode 1
		.amdhsa_fp16_overflow 0
		.amdhsa_exception_fp_ieee_invalid_op 0
		.amdhsa_exception_fp_denorm_src 0
		.amdhsa_exception_fp_ieee_div_zero 0
		.amdhsa_exception_fp_ieee_overflow 0
		.amdhsa_exception_fp_ieee_underflow 0
		.amdhsa_exception_fp_ieee_inexact 0
		.amdhsa_exception_int_div_zero 0
	.end_amdhsa_kernel
	.section	.text._ZN7rocprim17ROCPRIM_400000_NS6detail17trampoline_kernelINS0_14default_configENS1_35radix_sort_onesweep_config_selectorIhlEEZZNS1_29radix_sort_onesweep_iterationIS3_Lb0EPhS7_N6thrust23THRUST_200600_302600_NS10device_ptrIlEESB_jNS0_19identity_decomposerENS1_16block_id_wrapperIjLb0EEEEE10hipError_tT1_PNSt15iterator_traitsISG_E10value_typeET2_T3_PNSH_ISM_E10value_typeET4_T5_PSR_SS_PNS1_23onesweep_lookback_stateEbbT6_jjT7_P12ihipStream_tbENKUlT_T0_SG_SL_E_clIS7_S7_SB_SB_EEDaSZ_S10_SG_SL_EUlSZ_E_NS1_11comp_targetILNS1_3genE2ELNS1_11target_archE906ELNS1_3gpuE6ELNS1_3repE0EEENS1_47radix_sort_onesweep_sort_config_static_selectorELNS0_4arch9wavefront6targetE1EEEvSG_,"axG",@progbits,_ZN7rocprim17ROCPRIM_400000_NS6detail17trampoline_kernelINS0_14default_configENS1_35radix_sort_onesweep_config_selectorIhlEEZZNS1_29radix_sort_onesweep_iterationIS3_Lb0EPhS7_N6thrust23THRUST_200600_302600_NS10device_ptrIlEESB_jNS0_19identity_decomposerENS1_16block_id_wrapperIjLb0EEEEE10hipError_tT1_PNSt15iterator_traitsISG_E10value_typeET2_T3_PNSH_ISM_E10value_typeET4_T5_PSR_SS_PNS1_23onesweep_lookback_stateEbbT6_jjT7_P12ihipStream_tbENKUlT_T0_SG_SL_E_clIS7_S7_SB_SB_EEDaSZ_S10_SG_SL_EUlSZ_E_NS1_11comp_targetILNS1_3genE2ELNS1_11target_archE906ELNS1_3gpuE6ELNS1_3repE0EEENS1_47radix_sort_onesweep_sort_config_static_selectorELNS0_4arch9wavefront6targetE1EEEvSG_,comdat
.Lfunc_end294:
	.size	_ZN7rocprim17ROCPRIM_400000_NS6detail17trampoline_kernelINS0_14default_configENS1_35radix_sort_onesweep_config_selectorIhlEEZZNS1_29radix_sort_onesweep_iterationIS3_Lb0EPhS7_N6thrust23THRUST_200600_302600_NS10device_ptrIlEESB_jNS0_19identity_decomposerENS1_16block_id_wrapperIjLb0EEEEE10hipError_tT1_PNSt15iterator_traitsISG_E10value_typeET2_T3_PNSH_ISM_E10value_typeET4_T5_PSR_SS_PNS1_23onesweep_lookback_stateEbbT6_jjT7_P12ihipStream_tbENKUlT_T0_SG_SL_E_clIS7_S7_SB_SB_EEDaSZ_S10_SG_SL_EUlSZ_E_NS1_11comp_targetILNS1_3genE2ELNS1_11target_archE906ELNS1_3gpuE6ELNS1_3repE0EEENS1_47radix_sort_onesweep_sort_config_static_selectorELNS0_4arch9wavefront6targetE1EEEvSG_, .Lfunc_end294-_ZN7rocprim17ROCPRIM_400000_NS6detail17trampoline_kernelINS0_14default_configENS1_35radix_sort_onesweep_config_selectorIhlEEZZNS1_29radix_sort_onesweep_iterationIS3_Lb0EPhS7_N6thrust23THRUST_200600_302600_NS10device_ptrIlEESB_jNS0_19identity_decomposerENS1_16block_id_wrapperIjLb0EEEEE10hipError_tT1_PNSt15iterator_traitsISG_E10value_typeET2_T3_PNSH_ISM_E10value_typeET4_T5_PSR_SS_PNS1_23onesweep_lookback_stateEbbT6_jjT7_P12ihipStream_tbENKUlT_T0_SG_SL_E_clIS7_S7_SB_SB_EEDaSZ_S10_SG_SL_EUlSZ_E_NS1_11comp_targetILNS1_3genE2ELNS1_11target_archE906ELNS1_3gpuE6ELNS1_3repE0EEENS1_47radix_sort_onesweep_sort_config_static_selectorELNS0_4arch9wavefront6targetE1EEEvSG_
                                        ; -- End function
	.set _ZN7rocprim17ROCPRIM_400000_NS6detail17trampoline_kernelINS0_14default_configENS1_35radix_sort_onesweep_config_selectorIhlEEZZNS1_29radix_sort_onesweep_iterationIS3_Lb0EPhS7_N6thrust23THRUST_200600_302600_NS10device_ptrIlEESB_jNS0_19identity_decomposerENS1_16block_id_wrapperIjLb0EEEEE10hipError_tT1_PNSt15iterator_traitsISG_E10value_typeET2_T3_PNSH_ISM_E10value_typeET4_T5_PSR_SS_PNS1_23onesweep_lookback_stateEbbT6_jjT7_P12ihipStream_tbENKUlT_T0_SG_SL_E_clIS7_S7_SB_SB_EEDaSZ_S10_SG_SL_EUlSZ_E_NS1_11comp_targetILNS1_3genE2ELNS1_11target_archE906ELNS1_3gpuE6ELNS1_3repE0EEENS1_47radix_sort_onesweep_sort_config_static_selectorELNS0_4arch9wavefront6targetE1EEEvSG_.num_vgpr, 41
	.set _ZN7rocprim17ROCPRIM_400000_NS6detail17trampoline_kernelINS0_14default_configENS1_35radix_sort_onesweep_config_selectorIhlEEZZNS1_29radix_sort_onesweep_iterationIS3_Lb0EPhS7_N6thrust23THRUST_200600_302600_NS10device_ptrIlEESB_jNS0_19identity_decomposerENS1_16block_id_wrapperIjLb0EEEEE10hipError_tT1_PNSt15iterator_traitsISG_E10value_typeET2_T3_PNSH_ISM_E10value_typeET4_T5_PSR_SS_PNS1_23onesweep_lookback_stateEbbT6_jjT7_P12ihipStream_tbENKUlT_T0_SG_SL_E_clIS7_S7_SB_SB_EEDaSZ_S10_SG_SL_EUlSZ_E_NS1_11comp_targetILNS1_3genE2ELNS1_11target_archE906ELNS1_3gpuE6ELNS1_3repE0EEENS1_47radix_sort_onesweep_sort_config_static_selectorELNS0_4arch9wavefront6targetE1EEEvSG_.num_agpr, 0
	.set _ZN7rocprim17ROCPRIM_400000_NS6detail17trampoline_kernelINS0_14default_configENS1_35radix_sort_onesweep_config_selectorIhlEEZZNS1_29radix_sort_onesweep_iterationIS3_Lb0EPhS7_N6thrust23THRUST_200600_302600_NS10device_ptrIlEESB_jNS0_19identity_decomposerENS1_16block_id_wrapperIjLb0EEEEE10hipError_tT1_PNSt15iterator_traitsISG_E10value_typeET2_T3_PNSH_ISM_E10value_typeET4_T5_PSR_SS_PNS1_23onesweep_lookback_stateEbbT6_jjT7_P12ihipStream_tbENKUlT_T0_SG_SL_E_clIS7_S7_SB_SB_EEDaSZ_S10_SG_SL_EUlSZ_E_NS1_11comp_targetILNS1_3genE2ELNS1_11target_archE906ELNS1_3gpuE6ELNS1_3repE0EEENS1_47radix_sort_onesweep_sort_config_static_selectorELNS0_4arch9wavefront6targetE1EEEvSG_.numbered_sgpr, 53
	.set _ZN7rocprim17ROCPRIM_400000_NS6detail17trampoline_kernelINS0_14default_configENS1_35radix_sort_onesweep_config_selectorIhlEEZZNS1_29radix_sort_onesweep_iterationIS3_Lb0EPhS7_N6thrust23THRUST_200600_302600_NS10device_ptrIlEESB_jNS0_19identity_decomposerENS1_16block_id_wrapperIjLb0EEEEE10hipError_tT1_PNSt15iterator_traitsISG_E10value_typeET2_T3_PNSH_ISM_E10value_typeET4_T5_PSR_SS_PNS1_23onesweep_lookback_stateEbbT6_jjT7_P12ihipStream_tbENKUlT_T0_SG_SL_E_clIS7_S7_SB_SB_EEDaSZ_S10_SG_SL_EUlSZ_E_NS1_11comp_targetILNS1_3genE2ELNS1_11target_archE906ELNS1_3gpuE6ELNS1_3repE0EEENS1_47radix_sort_onesweep_sort_config_static_selectorELNS0_4arch9wavefront6targetE1EEEvSG_.num_named_barrier, 0
	.set _ZN7rocprim17ROCPRIM_400000_NS6detail17trampoline_kernelINS0_14default_configENS1_35radix_sort_onesweep_config_selectorIhlEEZZNS1_29radix_sort_onesweep_iterationIS3_Lb0EPhS7_N6thrust23THRUST_200600_302600_NS10device_ptrIlEESB_jNS0_19identity_decomposerENS1_16block_id_wrapperIjLb0EEEEE10hipError_tT1_PNSt15iterator_traitsISG_E10value_typeET2_T3_PNSH_ISM_E10value_typeET4_T5_PSR_SS_PNS1_23onesweep_lookback_stateEbbT6_jjT7_P12ihipStream_tbENKUlT_T0_SG_SL_E_clIS7_S7_SB_SB_EEDaSZ_S10_SG_SL_EUlSZ_E_NS1_11comp_targetILNS1_3genE2ELNS1_11target_archE906ELNS1_3gpuE6ELNS1_3repE0EEENS1_47radix_sort_onesweep_sort_config_static_selectorELNS0_4arch9wavefront6targetE1EEEvSG_.private_seg_size, 32
	.set _ZN7rocprim17ROCPRIM_400000_NS6detail17trampoline_kernelINS0_14default_configENS1_35radix_sort_onesweep_config_selectorIhlEEZZNS1_29radix_sort_onesweep_iterationIS3_Lb0EPhS7_N6thrust23THRUST_200600_302600_NS10device_ptrIlEESB_jNS0_19identity_decomposerENS1_16block_id_wrapperIjLb0EEEEE10hipError_tT1_PNSt15iterator_traitsISG_E10value_typeET2_T3_PNSH_ISM_E10value_typeET4_T5_PSR_SS_PNS1_23onesweep_lookback_stateEbbT6_jjT7_P12ihipStream_tbENKUlT_T0_SG_SL_E_clIS7_S7_SB_SB_EEDaSZ_S10_SG_SL_EUlSZ_E_NS1_11comp_targetILNS1_3genE2ELNS1_11target_archE906ELNS1_3gpuE6ELNS1_3repE0EEENS1_47radix_sort_onesweep_sort_config_static_selectorELNS0_4arch9wavefront6targetE1EEEvSG_.uses_vcc, 1
	.set _ZN7rocprim17ROCPRIM_400000_NS6detail17trampoline_kernelINS0_14default_configENS1_35radix_sort_onesweep_config_selectorIhlEEZZNS1_29radix_sort_onesweep_iterationIS3_Lb0EPhS7_N6thrust23THRUST_200600_302600_NS10device_ptrIlEESB_jNS0_19identity_decomposerENS1_16block_id_wrapperIjLb0EEEEE10hipError_tT1_PNSt15iterator_traitsISG_E10value_typeET2_T3_PNSH_ISM_E10value_typeET4_T5_PSR_SS_PNS1_23onesweep_lookback_stateEbbT6_jjT7_P12ihipStream_tbENKUlT_T0_SG_SL_E_clIS7_S7_SB_SB_EEDaSZ_S10_SG_SL_EUlSZ_E_NS1_11comp_targetILNS1_3genE2ELNS1_11target_archE906ELNS1_3gpuE6ELNS1_3repE0EEENS1_47radix_sort_onesweep_sort_config_static_selectorELNS0_4arch9wavefront6targetE1EEEvSG_.uses_flat_scratch, 0
	.set _ZN7rocprim17ROCPRIM_400000_NS6detail17trampoline_kernelINS0_14default_configENS1_35radix_sort_onesweep_config_selectorIhlEEZZNS1_29radix_sort_onesweep_iterationIS3_Lb0EPhS7_N6thrust23THRUST_200600_302600_NS10device_ptrIlEESB_jNS0_19identity_decomposerENS1_16block_id_wrapperIjLb0EEEEE10hipError_tT1_PNSt15iterator_traitsISG_E10value_typeET2_T3_PNSH_ISM_E10value_typeET4_T5_PSR_SS_PNS1_23onesweep_lookback_stateEbbT6_jjT7_P12ihipStream_tbENKUlT_T0_SG_SL_E_clIS7_S7_SB_SB_EEDaSZ_S10_SG_SL_EUlSZ_E_NS1_11comp_targetILNS1_3genE2ELNS1_11target_archE906ELNS1_3gpuE6ELNS1_3repE0EEENS1_47radix_sort_onesweep_sort_config_static_selectorELNS0_4arch9wavefront6targetE1EEEvSG_.has_dyn_sized_stack, 0
	.set _ZN7rocprim17ROCPRIM_400000_NS6detail17trampoline_kernelINS0_14default_configENS1_35radix_sort_onesweep_config_selectorIhlEEZZNS1_29radix_sort_onesweep_iterationIS3_Lb0EPhS7_N6thrust23THRUST_200600_302600_NS10device_ptrIlEESB_jNS0_19identity_decomposerENS1_16block_id_wrapperIjLb0EEEEE10hipError_tT1_PNSt15iterator_traitsISG_E10value_typeET2_T3_PNSH_ISM_E10value_typeET4_T5_PSR_SS_PNS1_23onesweep_lookback_stateEbbT6_jjT7_P12ihipStream_tbENKUlT_T0_SG_SL_E_clIS7_S7_SB_SB_EEDaSZ_S10_SG_SL_EUlSZ_E_NS1_11comp_targetILNS1_3genE2ELNS1_11target_archE906ELNS1_3gpuE6ELNS1_3repE0EEENS1_47radix_sort_onesweep_sort_config_static_selectorELNS0_4arch9wavefront6targetE1EEEvSG_.has_recursion, 0
	.set _ZN7rocprim17ROCPRIM_400000_NS6detail17trampoline_kernelINS0_14default_configENS1_35radix_sort_onesweep_config_selectorIhlEEZZNS1_29radix_sort_onesweep_iterationIS3_Lb0EPhS7_N6thrust23THRUST_200600_302600_NS10device_ptrIlEESB_jNS0_19identity_decomposerENS1_16block_id_wrapperIjLb0EEEEE10hipError_tT1_PNSt15iterator_traitsISG_E10value_typeET2_T3_PNSH_ISM_E10value_typeET4_T5_PSR_SS_PNS1_23onesweep_lookback_stateEbbT6_jjT7_P12ihipStream_tbENKUlT_T0_SG_SL_E_clIS7_S7_SB_SB_EEDaSZ_S10_SG_SL_EUlSZ_E_NS1_11comp_targetILNS1_3genE2ELNS1_11target_archE906ELNS1_3gpuE6ELNS1_3repE0EEENS1_47radix_sort_onesweep_sort_config_static_selectorELNS0_4arch9wavefront6targetE1EEEvSG_.has_indirect_call, 0
	.section	.AMDGPU.csdata,"",@progbits
; Kernel info:
; codeLenInByte = 10084
; TotalNumSgprs: 57
; NumVgprs: 41
; ScratchSize: 32
; MemoryBound: 0
; FloatMode: 240
; IeeeMode: 1
; LDSByteSize: 10280 bytes/workgroup (compile time only)
; SGPRBlocks: 7
; VGPRBlocks: 10
; NumSGPRsForWavesPerEU: 57
; NumVGPRsForWavesPerEU: 41
; Occupancy: 5
; WaveLimiterHint : 1
; COMPUTE_PGM_RSRC2:SCRATCH_EN: 1
; COMPUTE_PGM_RSRC2:USER_SGPR: 6
; COMPUTE_PGM_RSRC2:TRAP_HANDLER: 0
; COMPUTE_PGM_RSRC2:TGID_X_EN: 1
; COMPUTE_PGM_RSRC2:TGID_Y_EN: 0
; COMPUTE_PGM_RSRC2:TGID_Z_EN: 0
; COMPUTE_PGM_RSRC2:TIDIG_COMP_CNT: 2
	.section	.text._ZN7rocprim17ROCPRIM_400000_NS6detail17trampoline_kernelINS0_14default_configENS1_35radix_sort_onesweep_config_selectorIhlEEZZNS1_29radix_sort_onesweep_iterationIS3_Lb0EPhS7_N6thrust23THRUST_200600_302600_NS10device_ptrIlEESB_jNS0_19identity_decomposerENS1_16block_id_wrapperIjLb0EEEEE10hipError_tT1_PNSt15iterator_traitsISG_E10value_typeET2_T3_PNSH_ISM_E10value_typeET4_T5_PSR_SS_PNS1_23onesweep_lookback_stateEbbT6_jjT7_P12ihipStream_tbENKUlT_T0_SG_SL_E_clIS7_S7_SB_SB_EEDaSZ_S10_SG_SL_EUlSZ_E_NS1_11comp_targetILNS1_3genE4ELNS1_11target_archE910ELNS1_3gpuE8ELNS1_3repE0EEENS1_47radix_sort_onesweep_sort_config_static_selectorELNS0_4arch9wavefront6targetE1EEEvSG_,"axG",@progbits,_ZN7rocprim17ROCPRIM_400000_NS6detail17trampoline_kernelINS0_14default_configENS1_35radix_sort_onesweep_config_selectorIhlEEZZNS1_29radix_sort_onesweep_iterationIS3_Lb0EPhS7_N6thrust23THRUST_200600_302600_NS10device_ptrIlEESB_jNS0_19identity_decomposerENS1_16block_id_wrapperIjLb0EEEEE10hipError_tT1_PNSt15iterator_traitsISG_E10value_typeET2_T3_PNSH_ISM_E10value_typeET4_T5_PSR_SS_PNS1_23onesweep_lookback_stateEbbT6_jjT7_P12ihipStream_tbENKUlT_T0_SG_SL_E_clIS7_S7_SB_SB_EEDaSZ_S10_SG_SL_EUlSZ_E_NS1_11comp_targetILNS1_3genE4ELNS1_11target_archE910ELNS1_3gpuE8ELNS1_3repE0EEENS1_47radix_sort_onesweep_sort_config_static_selectorELNS0_4arch9wavefront6targetE1EEEvSG_,comdat
	.protected	_ZN7rocprim17ROCPRIM_400000_NS6detail17trampoline_kernelINS0_14default_configENS1_35radix_sort_onesweep_config_selectorIhlEEZZNS1_29radix_sort_onesweep_iterationIS3_Lb0EPhS7_N6thrust23THRUST_200600_302600_NS10device_ptrIlEESB_jNS0_19identity_decomposerENS1_16block_id_wrapperIjLb0EEEEE10hipError_tT1_PNSt15iterator_traitsISG_E10value_typeET2_T3_PNSH_ISM_E10value_typeET4_T5_PSR_SS_PNS1_23onesweep_lookback_stateEbbT6_jjT7_P12ihipStream_tbENKUlT_T0_SG_SL_E_clIS7_S7_SB_SB_EEDaSZ_S10_SG_SL_EUlSZ_E_NS1_11comp_targetILNS1_3genE4ELNS1_11target_archE910ELNS1_3gpuE8ELNS1_3repE0EEENS1_47radix_sort_onesweep_sort_config_static_selectorELNS0_4arch9wavefront6targetE1EEEvSG_ ; -- Begin function _ZN7rocprim17ROCPRIM_400000_NS6detail17trampoline_kernelINS0_14default_configENS1_35radix_sort_onesweep_config_selectorIhlEEZZNS1_29radix_sort_onesweep_iterationIS3_Lb0EPhS7_N6thrust23THRUST_200600_302600_NS10device_ptrIlEESB_jNS0_19identity_decomposerENS1_16block_id_wrapperIjLb0EEEEE10hipError_tT1_PNSt15iterator_traitsISG_E10value_typeET2_T3_PNSH_ISM_E10value_typeET4_T5_PSR_SS_PNS1_23onesweep_lookback_stateEbbT6_jjT7_P12ihipStream_tbENKUlT_T0_SG_SL_E_clIS7_S7_SB_SB_EEDaSZ_S10_SG_SL_EUlSZ_E_NS1_11comp_targetILNS1_3genE4ELNS1_11target_archE910ELNS1_3gpuE8ELNS1_3repE0EEENS1_47radix_sort_onesweep_sort_config_static_selectorELNS0_4arch9wavefront6targetE1EEEvSG_
	.globl	_ZN7rocprim17ROCPRIM_400000_NS6detail17trampoline_kernelINS0_14default_configENS1_35radix_sort_onesweep_config_selectorIhlEEZZNS1_29radix_sort_onesweep_iterationIS3_Lb0EPhS7_N6thrust23THRUST_200600_302600_NS10device_ptrIlEESB_jNS0_19identity_decomposerENS1_16block_id_wrapperIjLb0EEEEE10hipError_tT1_PNSt15iterator_traitsISG_E10value_typeET2_T3_PNSH_ISM_E10value_typeET4_T5_PSR_SS_PNS1_23onesweep_lookback_stateEbbT6_jjT7_P12ihipStream_tbENKUlT_T0_SG_SL_E_clIS7_S7_SB_SB_EEDaSZ_S10_SG_SL_EUlSZ_E_NS1_11comp_targetILNS1_3genE4ELNS1_11target_archE910ELNS1_3gpuE8ELNS1_3repE0EEENS1_47radix_sort_onesweep_sort_config_static_selectorELNS0_4arch9wavefront6targetE1EEEvSG_
	.p2align	8
	.type	_ZN7rocprim17ROCPRIM_400000_NS6detail17trampoline_kernelINS0_14default_configENS1_35radix_sort_onesweep_config_selectorIhlEEZZNS1_29radix_sort_onesweep_iterationIS3_Lb0EPhS7_N6thrust23THRUST_200600_302600_NS10device_ptrIlEESB_jNS0_19identity_decomposerENS1_16block_id_wrapperIjLb0EEEEE10hipError_tT1_PNSt15iterator_traitsISG_E10value_typeET2_T3_PNSH_ISM_E10value_typeET4_T5_PSR_SS_PNS1_23onesweep_lookback_stateEbbT6_jjT7_P12ihipStream_tbENKUlT_T0_SG_SL_E_clIS7_S7_SB_SB_EEDaSZ_S10_SG_SL_EUlSZ_E_NS1_11comp_targetILNS1_3genE4ELNS1_11target_archE910ELNS1_3gpuE8ELNS1_3repE0EEENS1_47radix_sort_onesweep_sort_config_static_selectorELNS0_4arch9wavefront6targetE1EEEvSG_,@function
_ZN7rocprim17ROCPRIM_400000_NS6detail17trampoline_kernelINS0_14default_configENS1_35radix_sort_onesweep_config_selectorIhlEEZZNS1_29radix_sort_onesweep_iterationIS3_Lb0EPhS7_N6thrust23THRUST_200600_302600_NS10device_ptrIlEESB_jNS0_19identity_decomposerENS1_16block_id_wrapperIjLb0EEEEE10hipError_tT1_PNSt15iterator_traitsISG_E10value_typeET2_T3_PNSH_ISM_E10value_typeET4_T5_PSR_SS_PNS1_23onesweep_lookback_stateEbbT6_jjT7_P12ihipStream_tbENKUlT_T0_SG_SL_E_clIS7_S7_SB_SB_EEDaSZ_S10_SG_SL_EUlSZ_E_NS1_11comp_targetILNS1_3genE4ELNS1_11target_archE910ELNS1_3gpuE8ELNS1_3repE0EEENS1_47radix_sort_onesweep_sort_config_static_selectorELNS0_4arch9wavefront6targetE1EEEvSG_: ; @_ZN7rocprim17ROCPRIM_400000_NS6detail17trampoline_kernelINS0_14default_configENS1_35radix_sort_onesweep_config_selectorIhlEEZZNS1_29radix_sort_onesweep_iterationIS3_Lb0EPhS7_N6thrust23THRUST_200600_302600_NS10device_ptrIlEESB_jNS0_19identity_decomposerENS1_16block_id_wrapperIjLb0EEEEE10hipError_tT1_PNSt15iterator_traitsISG_E10value_typeET2_T3_PNSH_ISM_E10value_typeET4_T5_PSR_SS_PNS1_23onesweep_lookback_stateEbbT6_jjT7_P12ihipStream_tbENKUlT_T0_SG_SL_E_clIS7_S7_SB_SB_EEDaSZ_S10_SG_SL_EUlSZ_E_NS1_11comp_targetILNS1_3genE4ELNS1_11target_archE910ELNS1_3gpuE8ELNS1_3repE0EEENS1_47radix_sort_onesweep_sort_config_static_selectorELNS0_4arch9wavefront6targetE1EEEvSG_
; %bb.0:
	.section	.rodata,"a",@progbits
	.p2align	6, 0x0
	.amdhsa_kernel _ZN7rocprim17ROCPRIM_400000_NS6detail17trampoline_kernelINS0_14default_configENS1_35radix_sort_onesweep_config_selectorIhlEEZZNS1_29radix_sort_onesweep_iterationIS3_Lb0EPhS7_N6thrust23THRUST_200600_302600_NS10device_ptrIlEESB_jNS0_19identity_decomposerENS1_16block_id_wrapperIjLb0EEEEE10hipError_tT1_PNSt15iterator_traitsISG_E10value_typeET2_T3_PNSH_ISM_E10value_typeET4_T5_PSR_SS_PNS1_23onesweep_lookback_stateEbbT6_jjT7_P12ihipStream_tbENKUlT_T0_SG_SL_E_clIS7_S7_SB_SB_EEDaSZ_S10_SG_SL_EUlSZ_E_NS1_11comp_targetILNS1_3genE4ELNS1_11target_archE910ELNS1_3gpuE8ELNS1_3repE0EEENS1_47radix_sort_onesweep_sort_config_static_selectorELNS0_4arch9wavefront6targetE1EEEvSG_
		.amdhsa_group_segment_fixed_size 0
		.amdhsa_private_segment_fixed_size 0
		.amdhsa_kernarg_size 88
		.amdhsa_user_sgpr_count 6
		.amdhsa_user_sgpr_private_segment_buffer 1
		.amdhsa_user_sgpr_dispatch_ptr 0
		.amdhsa_user_sgpr_queue_ptr 0
		.amdhsa_user_sgpr_kernarg_segment_ptr 1
		.amdhsa_user_sgpr_dispatch_id 0
		.amdhsa_user_sgpr_flat_scratch_init 0
		.amdhsa_user_sgpr_private_segment_size 0
		.amdhsa_uses_dynamic_stack 0
		.amdhsa_system_sgpr_private_segment_wavefront_offset 0
		.amdhsa_system_sgpr_workgroup_id_x 1
		.amdhsa_system_sgpr_workgroup_id_y 0
		.amdhsa_system_sgpr_workgroup_id_z 0
		.amdhsa_system_sgpr_workgroup_info 0
		.amdhsa_system_vgpr_workitem_id 0
		.amdhsa_next_free_vgpr 1
		.amdhsa_next_free_sgpr 0
		.amdhsa_reserve_vcc 0
		.amdhsa_reserve_flat_scratch 0
		.amdhsa_float_round_mode_32 0
		.amdhsa_float_round_mode_16_64 0
		.amdhsa_float_denorm_mode_32 3
		.amdhsa_float_denorm_mode_16_64 3
		.amdhsa_dx10_clamp 1
		.amdhsa_ieee_mode 1
		.amdhsa_fp16_overflow 0
		.amdhsa_exception_fp_ieee_invalid_op 0
		.amdhsa_exception_fp_denorm_src 0
		.amdhsa_exception_fp_ieee_div_zero 0
		.amdhsa_exception_fp_ieee_overflow 0
		.amdhsa_exception_fp_ieee_underflow 0
		.amdhsa_exception_fp_ieee_inexact 0
		.amdhsa_exception_int_div_zero 0
	.end_amdhsa_kernel
	.section	.text._ZN7rocprim17ROCPRIM_400000_NS6detail17trampoline_kernelINS0_14default_configENS1_35radix_sort_onesweep_config_selectorIhlEEZZNS1_29radix_sort_onesweep_iterationIS3_Lb0EPhS7_N6thrust23THRUST_200600_302600_NS10device_ptrIlEESB_jNS0_19identity_decomposerENS1_16block_id_wrapperIjLb0EEEEE10hipError_tT1_PNSt15iterator_traitsISG_E10value_typeET2_T3_PNSH_ISM_E10value_typeET4_T5_PSR_SS_PNS1_23onesweep_lookback_stateEbbT6_jjT7_P12ihipStream_tbENKUlT_T0_SG_SL_E_clIS7_S7_SB_SB_EEDaSZ_S10_SG_SL_EUlSZ_E_NS1_11comp_targetILNS1_3genE4ELNS1_11target_archE910ELNS1_3gpuE8ELNS1_3repE0EEENS1_47radix_sort_onesweep_sort_config_static_selectorELNS0_4arch9wavefront6targetE1EEEvSG_,"axG",@progbits,_ZN7rocprim17ROCPRIM_400000_NS6detail17trampoline_kernelINS0_14default_configENS1_35radix_sort_onesweep_config_selectorIhlEEZZNS1_29radix_sort_onesweep_iterationIS3_Lb0EPhS7_N6thrust23THRUST_200600_302600_NS10device_ptrIlEESB_jNS0_19identity_decomposerENS1_16block_id_wrapperIjLb0EEEEE10hipError_tT1_PNSt15iterator_traitsISG_E10value_typeET2_T3_PNSH_ISM_E10value_typeET4_T5_PSR_SS_PNS1_23onesweep_lookback_stateEbbT6_jjT7_P12ihipStream_tbENKUlT_T0_SG_SL_E_clIS7_S7_SB_SB_EEDaSZ_S10_SG_SL_EUlSZ_E_NS1_11comp_targetILNS1_3genE4ELNS1_11target_archE910ELNS1_3gpuE8ELNS1_3repE0EEENS1_47radix_sort_onesweep_sort_config_static_selectorELNS0_4arch9wavefront6targetE1EEEvSG_,comdat
.Lfunc_end295:
	.size	_ZN7rocprim17ROCPRIM_400000_NS6detail17trampoline_kernelINS0_14default_configENS1_35radix_sort_onesweep_config_selectorIhlEEZZNS1_29radix_sort_onesweep_iterationIS3_Lb0EPhS7_N6thrust23THRUST_200600_302600_NS10device_ptrIlEESB_jNS0_19identity_decomposerENS1_16block_id_wrapperIjLb0EEEEE10hipError_tT1_PNSt15iterator_traitsISG_E10value_typeET2_T3_PNSH_ISM_E10value_typeET4_T5_PSR_SS_PNS1_23onesweep_lookback_stateEbbT6_jjT7_P12ihipStream_tbENKUlT_T0_SG_SL_E_clIS7_S7_SB_SB_EEDaSZ_S10_SG_SL_EUlSZ_E_NS1_11comp_targetILNS1_3genE4ELNS1_11target_archE910ELNS1_3gpuE8ELNS1_3repE0EEENS1_47radix_sort_onesweep_sort_config_static_selectorELNS0_4arch9wavefront6targetE1EEEvSG_, .Lfunc_end295-_ZN7rocprim17ROCPRIM_400000_NS6detail17trampoline_kernelINS0_14default_configENS1_35radix_sort_onesweep_config_selectorIhlEEZZNS1_29radix_sort_onesweep_iterationIS3_Lb0EPhS7_N6thrust23THRUST_200600_302600_NS10device_ptrIlEESB_jNS0_19identity_decomposerENS1_16block_id_wrapperIjLb0EEEEE10hipError_tT1_PNSt15iterator_traitsISG_E10value_typeET2_T3_PNSH_ISM_E10value_typeET4_T5_PSR_SS_PNS1_23onesweep_lookback_stateEbbT6_jjT7_P12ihipStream_tbENKUlT_T0_SG_SL_E_clIS7_S7_SB_SB_EEDaSZ_S10_SG_SL_EUlSZ_E_NS1_11comp_targetILNS1_3genE4ELNS1_11target_archE910ELNS1_3gpuE8ELNS1_3repE0EEENS1_47radix_sort_onesweep_sort_config_static_selectorELNS0_4arch9wavefront6targetE1EEEvSG_
                                        ; -- End function
	.set _ZN7rocprim17ROCPRIM_400000_NS6detail17trampoline_kernelINS0_14default_configENS1_35radix_sort_onesweep_config_selectorIhlEEZZNS1_29radix_sort_onesweep_iterationIS3_Lb0EPhS7_N6thrust23THRUST_200600_302600_NS10device_ptrIlEESB_jNS0_19identity_decomposerENS1_16block_id_wrapperIjLb0EEEEE10hipError_tT1_PNSt15iterator_traitsISG_E10value_typeET2_T3_PNSH_ISM_E10value_typeET4_T5_PSR_SS_PNS1_23onesweep_lookback_stateEbbT6_jjT7_P12ihipStream_tbENKUlT_T0_SG_SL_E_clIS7_S7_SB_SB_EEDaSZ_S10_SG_SL_EUlSZ_E_NS1_11comp_targetILNS1_3genE4ELNS1_11target_archE910ELNS1_3gpuE8ELNS1_3repE0EEENS1_47radix_sort_onesweep_sort_config_static_selectorELNS0_4arch9wavefront6targetE1EEEvSG_.num_vgpr, 0
	.set _ZN7rocprim17ROCPRIM_400000_NS6detail17trampoline_kernelINS0_14default_configENS1_35radix_sort_onesweep_config_selectorIhlEEZZNS1_29radix_sort_onesweep_iterationIS3_Lb0EPhS7_N6thrust23THRUST_200600_302600_NS10device_ptrIlEESB_jNS0_19identity_decomposerENS1_16block_id_wrapperIjLb0EEEEE10hipError_tT1_PNSt15iterator_traitsISG_E10value_typeET2_T3_PNSH_ISM_E10value_typeET4_T5_PSR_SS_PNS1_23onesweep_lookback_stateEbbT6_jjT7_P12ihipStream_tbENKUlT_T0_SG_SL_E_clIS7_S7_SB_SB_EEDaSZ_S10_SG_SL_EUlSZ_E_NS1_11comp_targetILNS1_3genE4ELNS1_11target_archE910ELNS1_3gpuE8ELNS1_3repE0EEENS1_47radix_sort_onesweep_sort_config_static_selectorELNS0_4arch9wavefront6targetE1EEEvSG_.num_agpr, 0
	.set _ZN7rocprim17ROCPRIM_400000_NS6detail17trampoline_kernelINS0_14default_configENS1_35radix_sort_onesweep_config_selectorIhlEEZZNS1_29radix_sort_onesweep_iterationIS3_Lb0EPhS7_N6thrust23THRUST_200600_302600_NS10device_ptrIlEESB_jNS0_19identity_decomposerENS1_16block_id_wrapperIjLb0EEEEE10hipError_tT1_PNSt15iterator_traitsISG_E10value_typeET2_T3_PNSH_ISM_E10value_typeET4_T5_PSR_SS_PNS1_23onesweep_lookback_stateEbbT6_jjT7_P12ihipStream_tbENKUlT_T0_SG_SL_E_clIS7_S7_SB_SB_EEDaSZ_S10_SG_SL_EUlSZ_E_NS1_11comp_targetILNS1_3genE4ELNS1_11target_archE910ELNS1_3gpuE8ELNS1_3repE0EEENS1_47radix_sort_onesweep_sort_config_static_selectorELNS0_4arch9wavefront6targetE1EEEvSG_.numbered_sgpr, 0
	.set _ZN7rocprim17ROCPRIM_400000_NS6detail17trampoline_kernelINS0_14default_configENS1_35radix_sort_onesweep_config_selectorIhlEEZZNS1_29radix_sort_onesweep_iterationIS3_Lb0EPhS7_N6thrust23THRUST_200600_302600_NS10device_ptrIlEESB_jNS0_19identity_decomposerENS1_16block_id_wrapperIjLb0EEEEE10hipError_tT1_PNSt15iterator_traitsISG_E10value_typeET2_T3_PNSH_ISM_E10value_typeET4_T5_PSR_SS_PNS1_23onesweep_lookback_stateEbbT6_jjT7_P12ihipStream_tbENKUlT_T0_SG_SL_E_clIS7_S7_SB_SB_EEDaSZ_S10_SG_SL_EUlSZ_E_NS1_11comp_targetILNS1_3genE4ELNS1_11target_archE910ELNS1_3gpuE8ELNS1_3repE0EEENS1_47radix_sort_onesweep_sort_config_static_selectorELNS0_4arch9wavefront6targetE1EEEvSG_.num_named_barrier, 0
	.set _ZN7rocprim17ROCPRIM_400000_NS6detail17trampoline_kernelINS0_14default_configENS1_35radix_sort_onesweep_config_selectorIhlEEZZNS1_29radix_sort_onesweep_iterationIS3_Lb0EPhS7_N6thrust23THRUST_200600_302600_NS10device_ptrIlEESB_jNS0_19identity_decomposerENS1_16block_id_wrapperIjLb0EEEEE10hipError_tT1_PNSt15iterator_traitsISG_E10value_typeET2_T3_PNSH_ISM_E10value_typeET4_T5_PSR_SS_PNS1_23onesweep_lookback_stateEbbT6_jjT7_P12ihipStream_tbENKUlT_T0_SG_SL_E_clIS7_S7_SB_SB_EEDaSZ_S10_SG_SL_EUlSZ_E_NS1_11comp_targetILNS1_3genE4ELNS1_11target_archE910ELNS1_3gpuE8ELNS1_3repE0EEENS1_47radix_sort_onesweep_sort_config_static_selectorELNS0_4arch9wavefront6targetE1EEEvSG_.private_seg_size, 0
	.set _ZN7rocprim17ROCPRIM_400000_NS6detail17trampoline_kernelINS0_14default_configENS1_35radix_sort_onesweep_config_selectorIhlEEZZNS1_29radix_sort_onesweep_iterationIS3_Lb0EPhS7_N6thrust23THRUST_200600_302600_NS10device_ptrIlEESB_jNS0_19identity_decomposerENS1_16block_id_wrapperIjLb0EEEEE10hipError_tT1_PNSt15iterator_traitsISG_E10value_typeET2_T3_PNSH_ISM_E10value_typeET4_T5_PSR_SS_PNS1_23onesweep_lookback_stateEbbT6_jjT7_P12ihipStream_tbENKUlT_T0_SG_SL_E_clIS7_S7_SB_SB_EEDaSZ_S10_SG_SL_EUlSZ_E_NS1_11comp_targetILNS1_3genE4ELNS1_11target_archE910ELNS1_3gpuE8ELNS1_3repE0EEENS1_47radix_sort_onesweep_sort_config_static_selectorELNS0_4arch9wavefront6targetE1EEEvSG_.uses_vcc, 0
	.set _ZN7rocprim17ROCPRIM_400000_NS6detail17trampoline_kernelINS0_14default_configENS1_35radix_sort_onesweep_config_selectorIhlEEZZNS1_29radix_sort_onesweep_iterationIS3_Lb0EPhS7_N6thrust23THRUST_200600_302600_NS10device_ptrIlEESB_jNS0_19identity_decomposerENS1_16block_id_wrapperIjLb0EEEEE10hipError_tT1_PNSt15iterator_traitsISG_E10value_typeET2_T3_PNSH_ISM_E10value_typeET4_T5_PSR_SS_PNS1_23onesweep_lookback_stateEbbT6_jjT7_P12ihipStream_tbENKUlT_T0_SG_SL_E_clIS7_S7_SB_SB_EEDaSZ_S10_SG_SL_EUlSZ_E_NS1_11comp_targetILNS1_3genE4ELNS1_11target_archE910ELNS1_3gpuE8ELNS1_3repE0EEENS1_47radix_sort_onesweep_sort_config_static_selectorELNS0_4arch9wavefront6targetE1EEEvSG_.uses_flat_scratch, 0
	.set _ZN7rocprim17ROCPRIM_400000_NS6detail17trampoline_kernelINS0_14default_configENS1_35radix_sort_onesweep_config_selectorIhlEEZZNS1_29radix_sort_onesweep_iterationIS3_Lb0EPhS7_N6thrust23THRUST_200600_302600_NS10device_ptrIlEESB_jNS0_19identity_decomposerENS1_16block_id_wrapperIjLb0EEEEE10hipError_tT1_PNSt15iterator_traitsISG_E10value_typeET2_T3_PNSH_ISM_E10value_typeET4_T5_PSR_SS_PNS1_23onesweep_lookback_stateEbbT6_jjT7_P12ihipStream_tbENKUlT_T0_SG_SL_E_clIS7_S7_SB_SB_EEDaSZ_S10_SG_SL_EUlSZ_E_NS1_11comp_targetILNS1_3genE4ELNS1_11target_archE910ELNS1_3gpuE8ELNS1_3repE0EEENS1_47radix_sort_onesweep_sort_config_static_selectorELNS0_4arch9wavefront6targetE1EEEvSG_.has_dyn_sized_stack, 0
	.set _ZN7rocprim17ROCPRIM_400000_NS6detail17trampoline_kernelINS0_14default_configENS1_35radix_sort_onesweep_config_selectorIhlEEZZNS1_29radix_sort_onesweep_iterationIS3_Lb0EPhS7_N6thrust23THRUST_200600_302600_NS10device_ptrIlEESB_jNS0_19identity_decomposerENS1_16block_id_wrapperIjLb0EEEEE10hipError_tT1_PNSt15iterator_traitsISG_E10value_typeET2_T3_PNSH_ISM_E10value_typeET4_T5_PSR_SS_PNS1_23onesweep_lookback_stateEbbT6_jjT7_P12ihipStream_tbENKUlT_T0_SG_SL_E_clIS7_S7_SB_SB_EEDaSZ_S10_SG_SL_EUlSZ_E_NS1_11comp_targetILNS1_3genE4ELNS1_11target_archE910ELNS1_3gpuE8ELNS1_3repE0EEENS1_47radix_sort_onesweep_sort_config_static_selectorELNS0_4arch9wavefront6targetE1EEEvSG_.has_recursion, 0
	.set _ZN7rocprim17ROCPRIM_400000_NS6detail17trampoline_kernelINS0_14default_configENS1_35radix_sort_onesweep_config_selectorIhlEEZZNS1_29radix_sort_onesweep_iterationIS3_Lb0EPhS7_N6thrust23THRUST_200600_302600_NS10device_ptrIlEESB_jNS0_19identity_decomposerENS1_16block_id_wrapperIjLb0EEEEE10hipError_tT1_PNSt15iterator_traitsISG_E10value_typeET2_T3_PNSH_ISM_E10value_typeET4_T5_PSR_SS_PNS1_23onesweep_lookback_stateEbbT6_jjT7_P12ihipStream_tbENKUlT_T0_SG_SL_E_clIS7_S7_SB_SB_EEDaSZ_S10_SG_SL_EUlSZ_E_NS1_11comp_targetILNS1_3genE4ELNS1_11target_archE910ELNS1_3gpuE8ELNS1_3repE0EEENS1_47radix_sort_onesweep_sort_config_static_selectorELNS0_4arch9wavefront6targetE1EEEvSG_.has_indirect_call, 0
	.section	.AMDGPU.csdata,"",@progbits
; Kernel info:
; codeLenInByte = 0
; TotalNumSgprs: 4
; NumVgprs: 0
; ScratchSize: 0
; MemoryBound: 0
; FloatMode: 240
; IeeeMode: 1
; LDSByteSize: 0 bytes/workgroup (compile time only)
; SGPRBlocks: 0
; VGPRBlocks: 0
; NumSGPRsForWavesPerEU: 4
; NumVGPRsForWavesPerEU: 1
; Occupancy: 10
; WaveLimiterHint : 0
; COMPUTE_PGM_RSRC2:SCRATCH_EN: 0
; COMPUTE_PGM_RSRC2:USER_SGPR: 6
; COMPUTE_PGM_RSRC2:TRAP_HANDLER: 0
; COMPUTE_PGM_RSRC2:TGID_X_EN: 1
; COMPUTE_PGM_RSRC2:TGID_Y_EN: 0
; COMPUTE_PGM_RSRC2:TGID_Z_EN: 0
; COMPUTE_PGM_RSRC2:TIDIG_COMP_CNT: 0
	.section	.text._ZN7rocprim17ROCPRIM_400000_NS6detail17trampoline_kernelINS0_14default_configENS1_35radix_sort_onesweep_config_selectorIhlEEZZNS1_29radix_sort_onesweep_iterationIS3_Lb0EPhS7_N6thrust23THRUST_200600_302600_NS10device_ptrIlEESB_jNS0_19identity_decomposerENS1_16block_id_wrapperIjLb0EEEEE10hipError_tT1_PNSt15iterator_traitsISG_E10value_typeET2_T3_PNSH_ISM_E10value_typeET4_T5_PSR_SS_PNS1_23onesweep_lookback_stateEbbT6_jjT7_P12ihipStream_tbENKUlT_T0_SG_SL_E_clIS7_S7_SB_SB_EEDaSZ_S10_SG_SL_EUlSZ_E_NS1_11comp_targetILNS1_3genE3ELNS1_11target_archE908ELNS1_3gpuE7ELNS1_3repE0EEENS1_47radix_sort_onesweep_sort_config_static_selectorELNS0_4arch9wavefront6targetE1EEEvSG_,"axG",@progbits,_ZN7rocprim17ROCPRIM_400000_NS6detail17trampoline_kernelINS0_14default_configENS1_35radix_sort_onesweep_config_selectorIhlEEZZNS1_29radix_sort_onesweep_iterationIS3_Lb0EPhS7_N6thrust23THRUST_200600_302600_NS10device_ptrIlEESB_jNS0_19identity_decomposerENS1_16block_id_wrapperIjLb0EEEEE10hipError_tT1_PNSt15iterator_traitsISG_E10value_typeET2_T3_PNSH_ISM_E10value_typeET4_T5_PSR_SS_PNS1_23onesweep_lookback_stateEbbT6_jjT7_P12ihipStream_tbENKUlT_T0_SG_SL_E_clIS7_S7_SB_SB_EEDaSZ_S10_SG_SL_EUlSZ_E_NS1_11comp_targetILNS1_3genE3ELNS1_11target_archE908ELNS1_3gpuE7ELNS1_3repE0EEENS1_47radix_sort_onesweep_sort_config_static_selectorELNS0_4arch9wavefront6targetE1EEEvSG_,comdat
	.protected	_ZN7rocprim17ROCPRIM_400000_NS6detail17trampoline_kernelINS0_14default_configENS1_35radix_sort_onesweep_config_selectorIhlEEZZNS1_29radix_sort_onesweep_iterationIS3_Lb0EPhS7_N6thrust23THRUST_200600_302600_NS10device_ptrIlEESB_jNS0_19identity_decomposerENS1_16block_id_wrapperIjLb0EEEEE10hipError_tT1_PNSt15iterator_traitsISG_E10value_typeET2_T3_PNSH_ISM_E10value_typeET4_T5_PSR_SS_PNS1_23onesweep_lookback_stateEbbT6_jjT7_P12ihipStream_tbENKUlT_T0_SG_SL_E_clIS7_S7_SB_SB_EEDaSZ_S10_SG_SL_EUlSZ_E_NS1_11comp_targetILNS1_3genE3ELNS1_11target_archE908ELNS1_3gpuE7ELNS1_3repE0EEENS1_47radix_sort_onesweep_sort_config_static_selectorELNS0_4arch9wavefront6targetE1EEEvSG_ ; -- Begin function _ZN7rocprim17ROCPRIM_400000_NS6detail17trampoline_kernelINS0_14default_configENS1_35radix_sort_onesweep_config_selectorIhlEEZZNS1_29radix_sort_onesweep_iterationIS3_Lb0EPhS7_N6thrust23THRUST_200600_302600_NS10device_ptrIlEESB_jNS0_19identity_decomposerENS1_16block_id_wrapperIjLb0EEEEE10hipError_tT1_PNSt15iterator_traitsISG_E10value_typeET2_T3_PNSH_ISM_E10value_typeET4_T5_PSR_SS_PNS1_23onesweep_lookback_stateEbbT6_jjT7_P12ihipStream_tbENKUlT_T0_SG_SL_E_clIS7_S7_SB_SB_EEDaSZ_S10_SG_SL_EUlSZ_E_NS1_11comp_targetILNS1_3genE3ELNS1_11target_archE908ELNS1_3gpuE7ELNS1_3repE0EEENS1_47radix_sort_onesweep_sort_config_static_selectorELNS0_4arch9wavefront6targetE1EEEvSG_
	.globl	_ZN7rocprim17ROCPRIM_400000_NS6detail17trampoline_kernelINS0_14default_configENS1_35radix_sort_onesweep_config_selectorIhlEEZZNS1_29radix_sort_onesweep_iterationIS3_Lb0EPhS7_N6thrust23THRUST_200600_302600_NS10device_ptrIlEESB_jNS0_19identity_decomposerENS1_16block_id_wrapperIjLb0EEEEE10hipError_tT1_PNSt15iterator_traitsISG_E10value_typeET2_T3_PNSH_ISM_E10value_typeET4_T5_PSR_SS_PNS1_23onesweep_lookback_stateEbbT6_jjT7_P12ihipStream_tbENKUlT_T0_SG_SL_E_clIS7_S7_SB_SB_EEDaSZ_S10_SG_SL_EUlSZ_E_NS1_11comp_targetILNS1_3genE3ELNS1_11target_archE908ELNS1_3gpuE7ELNS1_3repE0EEENS1_47radix_sort_onesweep_sort_config_static_selectorELNS0_4arch9wavefront6targetE1EEEvSG_
	.p2align	8
	.type	_ZN7rocprim17ROCPRIM_400000_NS6detail17trampoline_kernelINS0_14default_configENS1_35radix_sort_onesweep_config_selectorIhlEEZZNS1_29radix_sort_onesweep_iterationIS3_Lb0EPhS7_N6thrust23THRUST_200600_302600_NS10device_ptrIlEESB_jNS0_19identity_decomposerENS1_16block_id_wrapperIjLb0EEEEE10hipError_tT1_PNSt15iterator_traitsISG_E10value_typeET2_T3_PNSH_ISM_E10value_typeET4_T5_PSR_SS_PNS1_23onesweep_lookback_stateEbbT6_jjT7_P12ihipStream_tbENKUlT_T0_SG_SL_E_clIS7_S7_SB_SB_EEDaSZ_S10_SG_SL_EUlSZ_E_NS1_11comp_targetILNS1_3genE3ELNS1_11target_archE908ELNS1_3gpuE7ELNS1_3repE0EEENS1_47radix_sort_onesweep_sort_config_static_selectorELNS0_4arch9wavefront6targetE1EEEvSG_,@function
_ZN7rocprim17ROCPRIM_400000_NS6detail17trampoline_kernelINS0_14default_configENS1_35radix_sort_onesweep_config_selectorIhlEEZZNS1_29radix_sort_onesweep_iterationIS3_Lb0EPhS7_N6thrust23THRUST_200600_302600_NS10device_ptrIlEESB_jNS0_19identity_decomposerENS1_16block_id_wrapperIjLb0EEEEE10hipError_tT1_PNSt15iterator_traitsISG_E10value_typeET2_T3_PNSH_ISM_E10value_typeET4_T5_PSR_SS_PNS1_23onesweep_lookback_stateEbbT6_jjT7_P12ihipStream_tbENKUlT_T0_SG_SL_E_clIS7_S7_SB_SB_EEDaSZ_S10_SG_SL_EUlSZ_E_NS1_11comp_targetILNS1_3genE3ELNS1_11target_archE908ELNS1_3gpuE7ELNS1_3repE0EEENS1_47radix_sort_onesweep_sort_config_static_selectorELNS0_4arch9wavefront6targetE1EEEvSG_: ; @_ZN7rocprim17ROCPRIM_400000_NS6detail17trampoline_kernelINS0_14default_configENS1_35radix_sort_onesweep_config_selectorIhlEEZZNS1_29radix_sort_onesweep_iterationIS3_Lb0EPhS7_N6thrust23THRUST_200600_302600_NS10device_ptrIlEESB_jNS0_19identity_decomposerENS1_16block_id_wrapperIjLb0EEEEE10hipError_tT1_PNSt15iterator_traitsISG_E10value_typeET2_T3_PNSH_ISM_E10value_typeET4_T5_PSR_SS_PNS1_23onesweep_lookback_stateEbbT6_jjT7_P12ihipStream_tbENKUlT_T0_SG_SL_E_clIS7_S7_SB_SB_EEDaSZ_S10_SG_SL_EUlSZ_E_NS1_11comp_targetILNS1_3genE3ELNS1_11target_archE908ELNS1_3gpuE7ELNS1_3repE0EEENS1_47radix_sort_onesweep_sort_config_static_selectorELNS0_4arch9wavefront6targetE1EEEvSG_
; %bb.0:
	.section	.rodata,"a",@progbits
	.p2align	6, 0x0
	.amdhsa_kernel _ZN7rocprim17ROCPRIM_400000_NS6detail17trampoline_kernelINS0_14default_configENS1_35radix_sort_onesweep_config_selectorIhlEEZZNS1_29radix_sort_onesweep_iterationIS3_Lb0EPhS7_N6thrust23THRUST_200600_302600_NS10device_ptrIlEESB_jNS0_19identity_decomposerENS1_16block_id_wrapperIjLb0EEEEE10hipError_tT1_PNSt15iterator_traitsISG_E10value_typeET2_T3_PNSH_ISM_E10value_typeET4_T5_PSR_SS_PNS1_23onesweep_lookback_stateEbbT6_jjT7_P12ihipStream_tbENKUlT_T0_SG_SL_E_clIS7_S7_SB_SB_EEDaSZ_S10_SG_SL_EUlSZ_E_NS1_11comp_targetILNS1_3genE3ELNS1_11target_archE908ELNS1_3gpuE7ELNS1_3repE0EEENS1_47radix_sort_onesweep_sort_config_static_selectorELNS0_4arch9wavefront6targetE1EEEvSG_
		.amdhsa_group_segment_fixed_size 0
		.amdhsa_private_segment_fixed_size 0
		.amdhsa_kernarg_size 88
		.amdhsa_user_sgpr_count 6
		.amdhsa_user_sgpr_private_segment_buffer 1
		.amdhsa_user_sgpr_dispatch_ptr 0
		.amdhsa_user_sgpr_queue_ptr 0
		.amdhsa_user_sgpr_kernarg_segment_ptr 1
		.amdhsa_user_sgpr_dispatch_id 0
		.amdhsa_user_sgpr_flat_scratch_init 0
		.amdhsa_user_sgpr_private_segment_size 0
		.amdhsa_uses_dynamic_stack 0
		.amdhsa_system_sgpr_private_segment_wavefront_offset 0
		.amdhsa_system_sgpr_workgroup_id_x 1
		.amdhsa_system_sgpr_workgroup_id_y 0
		.amdhsa_system_sgpr_workgroup_id_z 0
		.amdhsa_system_sgpr_workgroup_info 0
		.amdhsa_system_vgpr_workitem_id 0
		.amdhsa_next_free_vgpr 1
		.amdhsa_next_free_sgpr 0
		.amdhsa_reserve_vcc 0
		.amdhsa_reserve_flat_scratch 0
		.amdhsa_float_round_mode_32 0
		.amdhsa_float_round_mode_16_64 0
		.amdhsa_float_denorm_mode_32 3
		.amdhsa_float_denorm_mode_16_64 3
		.amdhsa_dx10_clamp 1
		.amdhsa_ieee_mode 1
		.amdhsa_fp16_overflow 0
		.amdhsa_exception_fp_ieee_invalid_op 0
		.amdhsa_exception_fp_denorm_src 0
		.amdhsa_exception_fp_ieee_div_zero 0
		.amdhsa_exception_fp_ieee_overflow 0
		.amdhsa_exception_fp_ieee_underflow 0
		.amdhsa_exception_fp_ieee_inexact 0
		.amdhsa_exception_int_div_zero 0
	.end_amdhsa_kernel
	.section	.text._ZN7rocprim17ROCPRIM_400000_NS6detail17trampoline_kernelINS0_14default_configENS1_35radix_sort_onesweep_config_selectorIhlEEZZNS1_29radix_sort_onesweep_iterationIS3_Lb0EPhS7_N6thrust23THRUST_200600_302600_NS10device_ptrIlEESB_jNS0_19identity_decomposerENS1_16block_id_wrapperIjLb0EEEEE10hipError_tT1_PNSt15iterator_traitsISG_E10value_typeET2_T3_PNSH_ISM_E10value_typeET4_T5_PSR_SS_PNS1_23onesweep_lookback_stateEbbT6_jjT7_P12ihipStream_tbENKUlT_T0_SG_SL_E_clIS7_S7_SB_SB_EEDaSZ_S10_SG_SL_EUlSZ_E_NS1_11comp_targetILNS1_3genE3ELNS1_11target_archE908ELNS1_3gpuE7ELNS1_3repE0EEENS1_47radix_sort_onesweep_sort_config_static_selectorELNS0_4arch9wavefront6targetE1EEEvSG_,"axG",@progbits,_ZN7rocprim17ROCPRIM_400000_NS6detail17trampoline_kernelINS0_14default_configENS1_35radix_sort_onesweep_config_selectorIhlEEZZNS1_29radix_sort_onesweep_iterationIS3_Lb0EPhS7_N6thrust23THRUST_200600_302600_NS10device_ptrIlEESB_jNS0_19identity_decomposerENS1_16block_id_wrapperIjLb0EEEEE10hipError_tT1_PNSt15iterator_traitsISG_E10value_typeET2_T3_PNSH_ISM_E10value_typeET4_T5_PSR_SS_PNS1_23onesweep_lookback_stateEbbT6_jjT7_P12ihipStream_tbENKUlT_T0_SG_SL_E_clIS7_S7_SB_SB_EEDaSZ_S10_SG_SL_EUlSZ_E_NS1_11comp_targetILNS1_3genE3ELNS1_11target_archE908ELNS1_3gpuE7ELNS1_3repE0EEENS1_47radix_sort_onesweep_sort_config_static_selectorELNS0_4arch9wavefront6targetE1EEEvSG_,comdat
.Lfunc_end296:
	.size	_ZN7rocprim17ROCPRIM_400000_NS6detail17trampoline_kernelINS0_14default_configENS1_35radix_sort_onesweep_config_selectorIhlEEZZNS1_29radix_sort_onesweep_iterationIS3_Lb0EPhS7_N6thrust23THRUST_200600_302600_NS10device_ptrIlEESB_jNS0_19identity_decomposerENS1_16block_id_wrapperIjLb0EEEEE10hipError_tT1_PNSt15iterator_traitsISG_E10value_typeET2_T3_PNSH_ISM_E10value_typeET4_T5_PSR_SS_PNS1_23onesweep_lookback_stateEbbT6_jjT7_P12ihipStream_tbENKUlT_T0_SG_SL_E_clIS7_S7_SB_SB_EEDaSZ_S10_SG_SL_EUlSZ_E_NS1_11comp_targetILNS1_3genE3ELNS1_11target_archE908ELNS1_3gpuE7ELNS1_3repE0EEENS1_47radix_sort_onesweep_sort_config_static_selectorELNS0_4arch9wavefront6targetE1EEEvSG_, .Lfunc_end296-_ZN7rocprim17ROCPRIM_400000_NS6detail17trampoline_kernelINS0_14default_configENS1_35radix_sort_onesweep_config_selectorIhlEEZZNS1_29radix_sort_onesweep_iterationIS3_Lb0EPhS7_N6thrust23THRUST_200600_302600_NS10device_ptrIlEESB_jNS0_19identity_decomposerENS1_16block_id_wrapperIjLb0EEEEE10hipError_tT1_PNSt15iterator_traitsISG_E10value_typeET2_T3_PNSH_ISM_E10value_typeET4_T5_PSR_SS_PNS1_23onesweep_lookback_stateEbbT6_jjT7_P12ihipStream_tbENKUlT_T0_SG_SL_E_clIS7_S7_SB_SB_EEDaSZ_S10_SG_SL_EUlSZ_E_NS1_11comp_targetILNS1_3genE3ELNS1_11target_archE908ELNS1_3gpuE7ELNS1_3repE0EEENS1_47radix_sort_onesweep_sort_config_static_selectorELNS0_4arch9wavefront6targetE1EEEvSG_
                                        ; -- End function
	.set _ZN7rocprim17ROCPRIM_400000_NS6detail17trampoline_kernelINS0_14default_configENS1_35radix_sort_onesweep_config_selectorIhlEEZZNS1_29radix_sort_onesweep_iterationIS3_Lb0EPhS7_N6thrust23THRUST_200600_302600_NS10device_ptrIlEESB_jNS0_19identity_decomposerENS1_16block_id_wrapperIjLb0EEEEE10hipError_tT1_PNSt15iterator_traitsISG_E10value_typeET2_T3_PNSH_ISM_E10value_typeET4_T5_PSR_SS_PNS1_23onesweep_lookback_stateEbbT6_jjT7_P12ihipStream_tbENKUlT_T0_SG_SL_E_clIS7_S7_SB_SB_EEDaSZ_S10_SG_SL_EUlSZ_E_NS1_11comp_targetILNS1_3genE3ELNS1_11target_archE908ELNS1_3gpuE7ELNS1_3repE0EEENS1_47radix_sort_onesweep_sort_config_static_selectorELNS0_4arch9wavefront6targetE1EEEvSG_.num_vgpr, 0
	.set _ZN7rocprim17ROCPRIM_400000_NS6detail17trampoline_kernelINS0_14default_configENS1_35radix_sort_onesweep_config_selectorIhlEEZZNS1_29radix_sort_onesweep_iterationIS3_Lb0EPhS7_N6thrust23THRUST_200600_302600_NS10device_ptrIlEESB_jNS0_19identity_decomposerENS1_16block_id_wrapperIjLb0EEEEE10hipError_tT1_PNSt15iterator_traitsISG_E10value_typeET2_T3_PNSH_ISM_E10value_typeET4_T5_PSR_SS_PNS1_23onesweep_lookback_stateEbbT6_jjT7_P12ihipStream_tbENKUlT_T0_SG_SL_E_clIS7_S7_SB_SB_EEDaSZ_S10_SG_SL_EUlSZ_E_NS1_11comp_targetILNS1_3genE3ELNS1_11target_archE908ELNS1_3gpuE7ELNS1_3repE0EEENS1_47radix_sort_onesweep_sort_config_static_selectorELNS0_4arch9wavefront6targetE1EEEvSG_.num_agpr, 0
	.set _ZN7rocprim17ROCPRIM_400000_NS6detail17trampoline_kernelINS0_14default_configENS1_35radix_sort_onesweep_config_selectorIhlEEZZNS1_29radix_sort_onesweep_iterationIS3_Lb0EPhS7_N6thrust23THRUST_200600_302600_NS10device_ptrIlEESB_jNS0_19identity_decomposerENS1_16block_id_wrapperIjLb0EEEEE10hipError_tT1_PNSt15iterator_traitsISG_E10value_typeET2_T3_PNSH_ISM_E10value_typeET4_T5_PSR_SS_PNS1_23onesweep_lookback_stateEbbT6_jjT7_P12ihipStream_tbENKUlT_T0_SG_SL_E_clIS7_S7_SB_SB_EEDaSZ_S10_SG_SL_EUlSZ_E_NS1_11comp_targetILNS1_3genE3ELNS1_11target_archE908ELNS1_3gpuE7ELNS1_3repE0EEENS1_47radix_sort_onesweep_sort_config_static_selectorELNS0_4arch9wavefront6targetE1EEEvSG_.numbered_sgpr, 0
	.set _ZN7rocprim17ROCPRIM_400000_NS6detail17trampoline_kernelINS0_14default_configENS1_35radix_sort_onesweep_config_selectorIhlEEZZNS1_29radix_sort_onesweep_iterationIS3_Lb0EPhS7_N6thrust23THRUST_200600_302600_NS10device_ptrIlEESB_jNS0_19identity_decomposerENS1_16block_id_wrapperIjLb0EEEEE10hipError_tT1_PNSt15iterator_traitsISG_E10value_typeET2_T3_PNSH_ISM_E10value_typeET4_T5_PSR_SS_PNS1_23onesweep_lookback_stateEbbT6_jjT7_P12ihipStream_tbENKUlT_T0_SG_SL_E_clIS7_S7_SB_SB_EEDaSZ_S10_SG_SL_EUlSZ_E_NS1_11comp_targetILNS1_3genE3ELNS1_11target_archE908ELNS1_3gpuE7ELNS1_3repE0EEENS1_47radix_sort_onesweep_sort_config_static_selectorELNS0_4arch9wavefront6targetE1EEEvSG_.num_named_barrier, 0
	.set _ZN7rocprim17ROCPRIM_400000_NS6detail17trampoline_kernelINS0_14default_configENS1_35radix_sort_onesweep_config_selectorIhlEEZZNS1_29radix_sort_onesweep_iterationIS3_Lb0EPhS7_N6thrust23THRUST_200600_302600_NS10device_ptrIlEESB_jNS0_19identity_decomposerENS1_16block_id_wrapperIjLb0EEEEE10hipError_tT1_PNSt15iterator_traitsISG_E10value_typeET2_T3_PNSH_ISM_E10value_typeET4_T5_PSR_SS_PNS1_23onesweep_lookback_stateEbbT6_jjT7_P12ihipStream_tbENKUlT_T0_SG_SL_E_clIS7_S7_SB_SB_EEDaSZ_S10_SG_SL_EUlSZ_E_NS1_11comp_targetILNS1_3genE3ELNS1_11target_archE908ELNS1_3gpuE7ELNS1_3repE0EEENS1_47radix_sort_onesweep_sort_config_static_selectorELNS0_4arch9wavefront6targetE1EEEvSG_.private_seg_size, 0
	.set _ZN7rocprim17ROCPRIM_400000_NS6detail17trampoline_kernelINS0_14default_configENS1_35radix_sort_onesweep_config_selectorIhlEEZZNS1_29radix_sort_onesweep_iterationIS3_Lb0EPhS7_N6thrust23THRUST_200600_302600_NS10device_ptrIlEESB_jNS0_19identity_decomposerENS1_16block_id_wrapperIjLb0EEEEE10hipError_tT1_PNSt15iterator_traitsISG_E10value_typeET2_T3_PNSH_ISM_E10value_typeET4_T5_PSR_SS_PNS1_23onesweep_lookback_stateEbbT6_jjT7_P12ihipStream_tbENKUlT_T0_SG_SL_E_clIS7_S7_SB_SB_EEDaSZ_S10_SG_SL_EUlSZ_E_NS1_11comp_targetILNS1_3genE3ELNS1_11target_archE908ELNS1_3gpuE7ELNS1_3repE0EEENS1_47radix_sort_onesweep_sort_config_static_selectorELNS0_4arch9wavefront6targetE1EEEvSG_.uses_vcc, 0
	.set _ZN7rocprim17ROCPRIM_400000_NS6detail17trampoline_kernelINS0_14default_configENS1_35radix_sort_onesweep_config_selectorIhlEEZZNS1_29radix_sort_onesweep_iterationIS3_Lb0EPhS7_N6thrust23THRUST_200600_302600_NS10device_ptrIlEESB_jNS0_19identity_decomposerENS1_16block_id_wrapperIjLb0EEEEE10hipError_tT1_PNSt15iterator_traitsISG_E10value_typeET2_T3_PNSH_ISM_E10value_typeET4_T5_PSR_SS_PNS1_23onesweep_lookback_stateEbbT6_jjT7_P12ihipStream_tbENKUlT_T0_SG_SL_E_clIS7_S7_SB_SB_EEDaSZ_S10_SG_SL_EUlSZ_E_NS1_11comp_targetILNS1_3genE3ELNS1_11target_archE908ELNS1_3gpuE7ELNS1_3repE0EEENS1_47radix_sort_onesweep_sort_config_static_selectorELNS0_4arch9wavefront6targetE1EEEvSG_.uses_flat_scratch, 0
	.set _ZN7rocprim17ROCPRIM_400000_NS6detail17trampoline_kernelINS0_14default_configENS1_35radix_sort_onesweep_config_selectorIhlEEZZNS1_29radix_sort_onesweep_iterationIS3_Lb0EPhS7_N6thrust23THRUST_200600_302600_NS10device_ptrIlEESB_jNS0_19identity_decomposerENS1_16block_id_wrapperIjLb0EEEEE10hipError_tT1_PNSt15iterator_traitsISG_E10value_typeET2_T3_PNSH_ISM_E10value_typeET4_T5_PSR_SS_PNS1_23onesweep_lookback_stateEbbT6_jjT7_P12ihipStream_tbENKUlT_T0_SG_SL_E_clIS7_S7_SB_SB_EEDaSZ_S10_SG_SL_EUlSZ_E_NS1_11comp_targetILNS1_3genE3ELNS1_11target_archE908ELNS1_3gpuE7ELNS1_3repE0EEENS1_47radix_sort_onesweep_sort_config_static_selectorELNS0_4arch9wavefront6targetE1EEEvSG_.has_dyn_sized_stack, 0
	.set _ZN7rocprim17ROCPRIM_400000_NS6detail17trampoline_kernelINS0_14default_configENS1_35radix_sort_onesweep_config_selectorIhlEEZZNS1_29radix_sort_onesweep_iterationIS3_Lb0EPhS7_N6thrust23THRUST_200600_302600_NS10device_ptrIlEESB_jNS0_19identity_decomposerENS1_16block_id_wrapperIjLb0EEEEE10hipError_tT1_PNSt15iterator_traitsISG_E10value_typeET2_T3_PNSH_ISM_E10value_typeET4_T5_PSR_SS_PNS1_23onesweep_lookback_stateEbbT6_jjT7_P12ihipStream_tbENKUlT_T0_SG_SL_E_clIS7_S7_SB_SB_EEDaSZ_S10_SG_SL_EUlSZ_E_NS1_11comp_targetILNS1_3genE3ELNS1_11target_archE908ELNS1_3gpuE7ELNS1_3repE0EEENS1_47radix_sort_onesweep_sort_config_static_selectorELNS0_4arch9wavefront6targetE1EEEvSG_.has_recursion, 0
	.set _ZN7rocprim17ROCPRIM_400000_NS6detail17trampoline_kernelINS0_14default_configENS1_35radix_sort_onesweep_config_selectorIhlEEZZNS1_29radix_sort_onesweep_iterationIS3_Lb0EPhS7_N6thrust23THRUST_200600_302600_NS10device_ptrIlEESB_jNS0_19identity_decomposerENS1_16block_id_wrapperIjLb0EEEEE10hipError_tT1_PNSt15iterator_traitsISG_E10value_typeET2_T3_PNSH_ISM_E10value_typeET4_T5_PSR_SS_PNS1_23onesweep_lookback_stateEbbT6_jjT7_P12ihipStream_tbENKUlT_T0_SG_SL_E_clIS7_S7_SB_SB_EEDaSZ_S10_SG_SL_EUlSZ_E_NS1_11comp_targetILNS1_3genE3ELNS1_11target_archE908ELNS1_3gpuE7ELNS1_3repE0EEENS1_47radix_sort_onesweep_sort_config_static_selectorELNS0_4arch9wavefront6targetE1EEEvSG_.has_indirect_call, 0
	.section	.AMDGPU.csdata,"",@progbits
; Kernel info:
; codeLenInByte = 0
; TotalNumSgprs: 4
; NumVgprs: 0
; ScratchSize: 0
; MemoryBound: 0
; FloatMode: 240
; IeeeMode: 1
; LDSByteSize: 0 bytes/workgroup (compile time only)
; SGPRBlocks: 0
; VGPRBlocks: 0
; NumSGPRsForWavesPerEU: 4
; NumVGPRsForWavesPerEU: 1
; Occupancy: 10
; WaveLimiterHint : 0
; COMPUTE_PGM_RSRC2:SCRATCH_EN: 0
; COMPUTE_PGM_RSRC2:USER_SGPR: 6
; COMPUTE_PGM_RSRC2:TRAP_HANDLER: 0
; COMPUTE_PGM_RSRC2:TGID_X_EN: 1
; COMPUTE_PGM_RSRC2:TGID_Y_EN: 0
; COMPUTE_PGM_RSRC2:TGID_Z_EN: 0
; COMPUTE_PGM_RSRC2:TIDIG_COMP_CNT: 0
	.section	.text._ZN7rocprim17ROCPRIM_400000_NS6detail17trampoline_kernelINS0_14default_configENS1_35radix_sort_onesweep_config_selectorIhlEEZZNS1_29radix_sort_onesweep_iterationIS3_Lb0EPhS7_N6thrust23THRUST_200600_302600_NS10device_ptrIlEESB_jNS0_19identity_decomposerENS1_16block_id_wrapperIjLb0EEEEE10hipError_tT1_PNSt15iterator_traitsISG_E10value_typeET2_T3_PNSH_ISM_E10value_typeET4_T5_PSR_SS_PNS1_23onesweep_lookback_stateEbbT6_jjT7_P12ihipStream_tbENKUlT_T0_SG_SL_E_clIS7_S7_SB_SB_EEDaSZ_S10_SG_SL_EUlSZ_E_NS1_11comp_targetILNS1_3genE10ELNS1_11target_archE1201ELNS1_3gpuE5ELNS1_3repE0EEENS1_47radix_sort_onesweep_sort_config_static_selectorELNS0_4arch9wavefront6targetE1EEEvSG_,"axG",@progbits,_ZN7rocprim17ROCPRIM_400000_NS6detail17trampoline_kernelINS0_14default_configENS1_35radix_sort_onesweep_config_selectorIhlEEZZNS1_29radix_sort_onesweep_iterationIS3_Lb0EPhS7_N6thrust23THRUST_200600_302600_NS10device_ptrIlEESB_jNS0_19identity_decomposerENS1_16block_id_wrapperIjLb0EEEEE10hipError_tT1_PNSt15iterator_traitsISG_E10value_typeET2_T3_PNSH_ISM_E10value_typeET4_T5_PSR_SS_PNS1_23onesweep_lookback_stateEbbT6_jjT7_P12ihipStream_tbENKUlT_T0_SG_SL_E_clIS7_S7_SB_SB_EEDaSZ_S10_SG_SL_EUlSZ_E_NS1_11comp_targetILNS1_3genE10ELNS1_11target_archE1201ELNS1_3gpuE5ELNS1_3repE0EEENS1_47radix_sort_onesweep_sort_config_static_selectorELNS0_4arch9wavefront6targetE1EEEvSG_,comdat
	.protected	_ZN7rocprim17ROCPRIM_400000_NS6detail17trampoline_kernelINS0_14default_configENS1_35radix_sort_onesweep_config_selectorIhlEEZZNS1_29radix_sort_onesweep_iterationIS3_Lb0EPhS7_N6thrust23THRUST_200600_302600_NS10device_ptrIlEESB_jNS0_19identity_decomposerENS1_16block_id_wrapperIjLb0EEEEE10hipError_tT1_PNSt15iterator_traitsISG_E10value_typeET2_T3_PNSH_ISM_E10value_typeET4_T5_PSR_SS_PNS1_23onesweep_lookback_stateEbbT6_jjT7_P12ihipStream_tbENKUlT_T0_SG_SL_E_clIS7_S7_SB_SB_EEDaSZ_S10_SG_SL_EUlSZ_E_NS1_11comp_targetILNS1_3genE10ELNS1_11target_archE1201ELNS1_3gpuE5ELNS1_3repE0EEENS1_47radix_sort_onesweep_sort_config_static_selectorELNS0_4arch9wavefront6targetE1EEEvSG_ ; -- Begin function _ZN7rocprim17ROCPRIM_400000_NS6detail17trampoline_kernelINS0_14default_configENS1_35radix_sort_onesweep_config_selectorIhlEEZZNS1_29radix_sort_onesweep_iterationIS3_Lb0EPhS7_N6thrust23THRUST_200600_302600_NS10device_ptrIlEESB_jNS0_19identity_decomposerENS1_16block_id_wrapperIjLb0EEEEE10hipError_tT1_PNSt15iterator_traitsISG_E10value_typeET2_T3_PNSH_ISM_E10value_typeET4_T5_PSR_SS_PNS1_23onesweep_lookback_stateEbbT6_jjT7_P12ihipStream_tbENKUlT_T0_SG_SL_E_clIS7_S7_SB_SB_EEDaSZ_S10_SG_SL_EUlSZ_E_NS1_11comp_targetILNS1_3genE10ELNS1_11target_archE1201ELNS1_3gpuE5ELNS1_3repE0EEENS1_47radix_sort_onesweep_sort_config_static_selectorELNS0_4arch9wavefront6targetE1EEEvSG_
	.globl	_ZN7rocprim17ROCPRIM_400000_NS6detail17trampoline_kernelINS0_14default_configENS1_35radix_sort_onesweep_config_selectorIhlEEZZNS1_29radix_sort_onesweep_iterationIS3_Lb0EPhS7_N6thrust23THRUST_200600_302600_NS10device_ptrIlEESB_jNS0_19identity_decomposerENS1_16block_id_wrapperIjLb0EEEEE10hipError_tT1_PNSt15iterator_traitsISG_E10value_typeET2_T3_PNSH_ISM_E10value_typeET4_T5_PSR_SS_PNS1_23onesweep_lookback_stateEbbT6_jjT7_P12ihipStream_tbENKUlT_T0_SG_SL_E_clIS7_S7_SB_SB_EEDaSZ_S10_SG_SL_EUlSZ_E_NS1_11comp_targetILNS1_3genE10ELNS1_11target_archE1201ELNS1_3gpuE5ELNS1_3repE0EEENS1_47radix_sort_onesweep_sort_config_static_selectorELNS0_4arch9wavefront6targetE1EEEvSG_
	.p2align	8
	.type	_ZN7rocprim17ROCPRIM_400000_NS6detail17trampoline_kernelINS0_14default_configENS1_35radix_sort_onesweep_config_selectorIhlEEZZNS1_29radix_sort_onesweep_iterationIS3_Lb0EPhS7_N6thrust23THRUST_200600_302600_NS10device_ptrIlEESB_jNS0_19identity_decomposerENS1_16block_id_wrapperIjLb0EEEEE10hipError_tT1_PNSt15iterator_traitsISG_E10value_typeET2_T3_PNSH_ISM_E10value_typeET4_T5_PSR_SS_PNS1_23onesweep_lookback_stateEbbT6_jjT7_P12ihipStream_tbENKUlT_T0_SG_SL_E_clIS7_S7_SB_SB_EEDaSZ_S10_SG_SL_EUlSZ_E_NS1_11comp_targetILNS1_3genE10ELNS1_11target_archE1201ELNS1_3gpuE5ELNS1_3repE0EEENS1_47radix_sort_onesweep_sort_config_static_selectorELNS0_4arch9wavefront6targetE1EEEvSG_,@function
_ZN7rocprim17ROCPRIM_400000_NS6detail17trampoline_kernelINS0_14default_configENS1_35radix_sort_onesweep_config_selectorIhlEEZZNS1_29radix_sort_onesweep_iterationIS3_Lb0EPhS7_N6thrust23THRUST_200600_302600_NS10device_ptrIlEESB_jNS0_19identity_decomposerENS1_16block_id_wrapperIjLb0EEEEE10hipError_tT1_PNSt15iterator_traitsISG_E10value_typeET2_T3_PNSH_ISM_E10value_typeET4_T5_PSR_SS_PNS1_23onesweep_lookback_stateEbbT6_jjT7_P12ihipStream_tbENKUlT_T0_SG_SL_E_clIS7_S7_SB_SB_EEDaSZ_S10_SG_SL_EUlSZ_E_NS1_11comp_targetILNS1_3genE10ELNS1_11target_archE1201ELNS1_3gpuE5ELNS1_3repE0EEENS1_47radix_sort_onesweep_sort_config_static_selectorELNS0_4arch9wavefront6targetE1EEEvSG_: ; @_ZN7rocprim17ROCPRIM_400000_NS6detail17trampoline_kernelINS0_14default_configENS1_35radix_sort_onesweep_config_selectorIhlEEZZNS1_29radix_sort_onesweep_iterationIS3_Lb0EPhS7_N6thrust23THRUST_200600_302600_NS10device_ptrIlEESB_jNS0_19identity_decomposerENS1_16block_id_wrapperIjLb0EEEEE10hipError_tT1_PNSt15iterator_traitsISG_E10value_typeET2_T3_PNSH_ISM_E10value_typeET4_T5_PSR_SS_PNS1_23onesweep_lookback_stateEbbT6_jjT7_P12ihipStream_tbENKUlT_T0_SG_SL_E_clIS7_S7_SB_SB_EEDaSZ_S10_SG_SL_EUlSZ_E_NS1_11comp_targetILNS1_3genE10ELNS1_11target_archE1201ELNS1_3gpuE5ELNS1_3repE0EEENS1_47radix_sort_onesweep_sort_config_static_selectorELNS0_4arch9wavefront6targetE1EEEvSG_
; %bb.0:
	.section	.rodata,"a",@progbits
	.p2align	6, 0x0
	.amdhsa_kernel _ZN7rocprim17ROCPRIM_400000_NS6detail17trampoline_kernelINS0_14default_configENS1_35radix_sort_onesweep_config_selectorIhlEEZZNS1_29radix_sort_onesweep_iterationIS3_Lb0EPhS7_N6thrust23THRUST_200600_302600_NS10device_ptrIlEESB_jNS0_19identity_decomposerENS1_16block_id_wrapperIjLb0EEEEE10hipError_tT1_PNSt15iterator_traitsISG_E10value_typeET2_T3_PNSH_ISM_E10value_typeET4_T5_PSR_SS_PNS1_23onesweep_lookback_stateEbbT6_jjT7_P12ihipStream_tbENKUlT_T0_SG_SL_E_clIS7_S7_SB_SB_EEDaSZ_S10_SG_SL_EUlSZ_E_NS1_11comp_targetILNS1_3genE10ELNS1_11target_archE1201ELNS1_3gpuE5ELNS1_3repE0EEENS1_47radix_sort_onesweep_sort_config_static_selectorELNS0_4arch9wavefront6targetE1EEEvSG_
		.amdhsa_group_segment_fixed_size 0
		.amdhsa_private_segment_fixed_size 0
		.amdhsa_kernarg_size 88
		.amdhsa_user_sgpr_count 6
		.amdhsa_user_sgpr_private_segment_buffer 1
		.amdhsa_user_sgpr_dispatch_ptr 0
		.amdhsa_user_sgpr_queue_ptr 0
		.amdhsa_user_sgpr_kernarg_segment_ptr 1
		.amdhsa_user_sgpr_dispatch_id 0
		.amdhsa_user_sgpr_flat_scratch_init 0
		.amdhsa_user_sgpr_private_segment_size 0
		.amdhsa_uses_dynamic_stack 0
		.amdhsa_system_sgpr_private_segment_wavefront_offset 0
		.amdhsa_system_sgpr_workgroup_id_x 1
		.amdhsa_system_sgpr_workgroup_id_y 0
		.amdhsa_system_sgpr_workgroup_id_z 0
		.amdhsa_system_sgpr_workgroup_info 0
		.amdhsa_system_vgpr_workitem_id 0
		.amdhsa_next_free_vgpr 1
		.amdhsa_next_free_sgpr 0
		.amdhsa_reserve_vcc 0
		.amdhsa_reserve_flat_scratch 0
		.amdhsa_float_round_mode_32 0
		.amdhsa_float_round_mode_16_64 0
		.amdhsa_float_denorm_mode_32 3
		.amdhsa_float_denorm_mode_16_64 3
		.amdhsa_dx10_clamp 1
		.amdhsa_ieee_mode 1
		.amdhsa_fp16_overflow 0
		.amdhsa_exception_fp_ieee_invalid_op 0
		.amdhsa_exception_fp_denorm_src 0
		.amdhsa_exception_fp_ieee_div_zero 0
		.amdhsa_exception_fp_ieee_overflow 0
		.amdhsa_exception_fp_ieee_underflow 0
		.amdhsa_exception_fp_ieee_inexact 0
		.amdhsa_exception_int_div_zero 0
	.end_amdhsa_kernel
	.section	.text._ZN7rocprim17ROCPRIM_400000_NS6detail17trampoline_kernelINS0_14default_configENS1_35radix_sort_onesweep_config_selectorIhlEEZZNS1_29radix_sort_onesweep_iterationIS3_Lb0EPhS7_N6thrust23THRUST_200600_302600_NS10device_ptrIlEESB_jNS0_19identity_decomposerENS1_16block_id_wrapperIjLb0EEEEE10hipError_tT1_PNSt15iterator_traitsISG_E10value_typeET2_T3_PNSH_ISM_E10value_typeET4_T5_PSR_SS_PNS1_23onesweep_lookback_stateEbbT6_jjT7_P12ihipStream_tbENKUlT_T0_SG_SL_E_clIS7_S7_SB_SB_EEDaSZ_S10_SG_SL_EUlSZ_E_NS1_11comp_targetILNS1_3genE10ELNS1_11target_archE1201ELNS1_3gpuE5ELNS1_3repE0EEENS1_47radix_sort_onesweep_sort_config_static_selectorELNS0_4arch9wavefront6targetE1EEEvSG_,"axG",@progbits,_ZN7rocprim17ROCPRIM_400000_NS6detail17trampoline_kernelINS0_14default_configENS1_35radix_sort_onesweep_config_selectorIhlEEZZNS1_29radix_sort_onesweep_iterationIS3_Lb0EPhS7_N6thrust23THRUST_200600_302600_NS10device_ptrIlEESB_jNS0_19identity_decomposerENS1_16block_id_wrapperIjLb0EEEEE10hipError_tT1_PNSt15iterator_traitsISG_E10value_typeET2_T3_PNSH_ISM_E10value_typeET4_T5_PSR_SS_PNS1_23onesweep_lookback_stateEbbT6_jjT7_P12ihipStream_tbENKUlT_T0_SG_SL_E_clIS7_S7_SB_SB_EEDaSZ_S10_SG_SL_EUlSZ_E_NS1_11comp_targetILNS1_3genE10ELNS1_11target_archE1201ELNS1_3gpuE5ELNS1_3repE0EEENS1_47radix_sort_onesweep_sort_config_static_selectorELNS0_4arch9wavefront6targetE1EEEvSG_,comdat
.Lfunc_end297:
	.size	_ZN7rocprim17ROCPRIM_400000_NS6detail17trampoline_kernelINS0_14default_configENS1_35radix_sort_onesweep_config_selectorIhlEEZZNS1_29radix_sort_onesweep_iterationIS3_Lb0EPhS7_N6thrust23THRUST_200600_302600_NS10device_ptrIlEESB_jNS0_19identity_decomposerENS1_16block_id_wrapperIjLb0EEEEE10hipError_tT1_PNSt15iterator_traitsISG_E10value_typeET2_T3_PNSH_ISM_E10value_typeET4_T5_PSR_SS_PNS1_23onesweep_lookback_stateEbbT6_jjT7_P12ihipStream_tbENKUlT_T0_SG_SL_E_clIS7_S7_SB_SB_EEDaSZ_S10_SG_SL_EUlSZ_E_NS1_11comp_targetILNS1_3genE10ELNS1_11target_archE1201ELNS1_3gpuE5ELNS1_3repE0EEENS1_47radix_sort_onesweep_sort_config_static_selectorELNS0_4arch9wavefront6targetE1EEEvSG_, .Lfunc_end297-_ZN7rocprim17ROCPRIM_400000_NS6detail17trampoline_kernelINS0_14default_configENS1_35radix_sort_onesweep_config_selectorIhlEEZZNS1_29radix_sort_onesweep_iterationIS3_Lb0EPhS7_N6thrust23THRUST_200600_302600_NS10device_ptrIlEESB_jNS0_19identity_decomposerENS1_16block_id_wrapperIjLb0EEEEE10hipError_tT1_PNSt15iterator_traitsISG_E10value_typeET2_T3_PNSH_ISM_E10value_typeET4_T5_PSR_SS_PNS1_23onesweep_lookback_stateEbbT6_jjT7_P12ihipStream_tbENKUlT_T0_SG_SL_E_clIS7_S7_SB_SB_EEDaSZ_S10_SG_SL_EUlSZ_E_NS1_11comp_targetILNS1_3genE10ELNS1_11target_archE1201ELNS1_3gpuE5ELNS1_3repE0EEENS1_47radix_sort_onesweep_sort_config_static_selectorELNS0_4arch9wavefront6targetE1EEEvSG_
                                        ; -- End function
	.set _ZN7rocprim17ROCPRIM_400000_NS6detail17trampoline_kernelINS0_14default_configENS1_35radix_sort_onesweep_config_selectorIhlEEZZNS1_29radix_sort_onesweep_iterationIS3_Lb0EPhS7_N6thrust23THRUST_200600_302600_NS10device_ptrIlEESB_jNS0_19identity_decomposerENS1_16block_id_wrapperIjLb0EEEEE10hipError_tT1_PNSt15iterator_traitsISG_E10value_typeET2_T3_PNSH_ISM_E10value_typeET4_T5_PSR_SS_PNS1_23onesweep_lookback_stateEbbT6_jjT7_P12ihipStream_tbENKUlT_T0_SG_SL_E_clIS7_S7_SB_SB_EEDaSZ_S10_SG_SL_EUlSZ_E_NS1_11comp_targetILNS1_3genE10ELNS1_11target_archE1201ELNS1_3gpuE5ELNS1_3repE0EEENS1_47radix_sort_onesweep_sort_config_static_selectorELNS0_4arch9wavefront6targetE1EEEvSG_.num_vgpr, 0
	.set _ZN7rocprim17ROCPRIM_400000_NS6detail17trampoline_kernelINS0_14default_configENS1_35radix_sort_onesweep_config_selectorIhlEEZZNS1_29radix_sort_onesweep_iterationIS3_Lb0EPhS7_N6thrust23THRUST_200600_302600_NS10device_ptrIlEESB_jNS0_19identity_decomposerENS1_16block_id_wrapperIjLb0EEEEE10hipError_tT1_PNSt15iterator_traitsISG_E10value_typeET2_T3_PNSH_ISM_E10value_typeET4_T5_PSR_SS_PNS1_23onesweep_lookback_stateEbbT6_jjT7_P12ihipStream_tbENKUlT_T0_SG_SL_E_clIS7_S7_SB_SB_EEDaSZ_S10_SG_SL_EUlSZ_E_NS1_11comp_targetILNS1_3genE10ELNS1_11target_archE1201ELNS1_3gpuE5ELNS1_3repE0EEENS1_47radix_sort_onesweep_sort_config_static_selectorELNS0_4arch9wavefront6targetE1EEEvSG_.num_agpr, 0
	.set _ZN7rocprim17ROCPRIM_400000_NS6detail17trampoline_kernelINS0_14default_configENS1_35radix_sort_onesweep_config_selectorIhlEEZZNS1_29radix_sort_onesweep_iterationIS3_Lb0EPhS7_N6thrust23THRUST_200600_302600_NS10device_ptrIlEESB_jNS0_19identity_decomposerENS1_16block_id_wrapperIjLb0EEEEE10hipError_tT1_PNSt15iterator_traitsISG_E10value_typeET2_T3_PNSH_ISM_E10value_typeET4_T5_PSR_SS_PNS1_23onesweep_lookback_stateEbbT6_jjT7_P12ihipStream_tbENKUlT_T0_SG_SL_E_clIS7_S7_SB_SB_EEDaSZ_S10_SG_SL_EUlSZ_E_NS1_11comp_targetILNS1_3genE10ELNS1_11target_archE1201ELNS1_3gpuE5ELNS1_3repE0EEENS1_47radix_sort_onesweep_sort_config_static_selectorELNS0_4arch9wavefront6targetE1EEEvSG_.numbered_sgpr, 0
	.set _ZN7rocprim17ROCPRIM_400000_NS6detail17trampoline_kernelINS0_14default_configENS1_35radix_sort_onesweep_config_selectorIhlEEZZNS1_29radix_sort_onesweep_iterationIS3_Lb0EPhS7_N6thrust23THRUST_200600_302600_NS10device_ptrIlEESB_jNS0_19identity_decomposerENS1_16block_id_wrapperIjLb0EEEEE10hipError_tT1_PNSt15iterator_traitsISG_E10value_typeET2_T3_PNSH_ISM_E10value_typeET4_T5_PSR_SS_PNS1_23onesweep_lookback_stateEbbT6_jjT7_P12ihipStream_tbENKUlT_T0_SG_SL_E_clIS7_S7_SB_SB_EEDaSZ_S10_SG_SL_EUlSZ_E_NS1_11comp_targetILNS1_3genE10ELNS1_11target_archE1201ELNS1_3gpuE5ELNS1_3repE0EEENS1_47radix_sort_onesweep_sort_config_static_selectorELNS0_4arch9wavefront6targetE1EEEvSG_.num_named_barrier, 0
	.set _ZN7rocprim17ROCPRIM_400000_NS6detail17trampoline_kernelINS0_14default_configENS1_35radix_sort_onesweep_config_selectorIhlEEZZNS1_29radix_sort_onesweep_iterationIS3_Lb0EPhS7_N6thrust23THRUST_200600_302600_NS10device_ptrIlEESB_jNS0_19identity_decomposerENS1_16block_id_wrapperIjLb0EEEEE10hipError_tT1_PNSt15iterator_traitsISG_E10value_typeET2_T3_PNSH_ISM_E10value_typeET4_T5_PSR_SS_PNS1_23onesweep_lookback_stateEbbT6_jjT7_P12ihipStream_tbENKUlT_T0_SG_SL_E_clIS7_S7_SB_SB_EEDaSZ_S10_SG_SL_EUlSZ_E_NS1_11comp_targetILNS1_3genE10ELNS1_11target_archE1201ELNS1_3gpuE5ELNS1_3repE0EEENS1_47radix_sort_onesweep_sort_config_static_selectorELNS0_4arch9wavefront6targetE1EEEvSG_.private_seg_size, 0
	.set _ZN7rocprim17ROCPRIM_400000_NS6detail17trampoline_kernelINS0_14default_configENS1_35radix_sort_onesweep_config_selectorIhlEEZZNS1_29radix_sort_onesweep_iterationIS3_Lb0EPhS7_N6thrust23THRUST_200600_302600_NS10device_ptrIlEESB_jNS0_19identity_decomposerENS1_16block_id_wrapperIjLb0EEEEE10hipError_tT1_PNSt15iterator_traitsISG_E10value_typeET2_T3_PNSH_ISM_E10value_typeET4_T5_PSR_SS_PNS1_23onesweep_lookback_stateEbbT6_jjT7_P12ihipStream_tbENKUlT_T0_SG_SL_E_clIS7_S7_SB_SB_EEDaSZ_S10_SG_SL_EUlSZ_E_NS1_11comp_targetILNS1_3genE10ELNS1_11target_archE1201ELNS1_3gpuE5ELNS1_3repE0EEENS1_47radix_sort_onesweep_sort_config_static_selectorELNS0_4arch9wavefront6targetE1EEEvSG_.uses_vcc, 0
	.set _ZN7rocprim17ROCPRIM_400000_NS6detail17trampoline_kernelINS0_14default_configENS1_35radix_sort_onesweep_config_selectorIhlEEZZNS1_29radix_sort_onesweep_iterationIS3_Lb0EPhS7_N6thrust23THRUST_200600_302600_NS10device_ptrIlEESB_jNS0_19identity_decomposerENS1_16block_id_wrapperIjLb0EEEEE10hipError_tT1_PNSt15iterator_traitsISG_E10value_typeET2_T3_PNSH_ISM_E10value_typeET4_T5_PSR_SS_PNS1_23onesweep_lookback_stateEbbT6_jjT7_P12ihipStream_tbENKUlT_T0_SG_SL_E_clIS7_S7_SB_SB_EEDaSZ_S10_SG_SL_EUlSZ_E_NS1_11comp_targetILNS1_3genE10ELNS1_11target_archE1201ELNS1_3gpuE5ELNS1_3repE0EEENS1_47radix_sort_onesweep_sort_config_static_selectorELNS0_4arch9wavefront6targetE1EEEvSG_.uses_flat_scratch, 0
	.set _ZN7rocprim17ROCPRIM_400000_NS6detail17trampoline_kernelINS0_14default_configENS1_35radix_sort_onesweep_config_selectorIhlEEZZNS1_29radix_sort_onesweep_iterationIS3_Lb0EPhS7_N6thrust23THRUST_200600_302600_NS10device_ptrIlEESB_jNS0_19identity_decomposerENS1_16block_id_wrapperIjLb0EEEEE10hipError_tT1_PNSt15iterator_traitsISG_E10value_typeET2_T3_PNSH_ISM_E10value_typeET4_T5_PSR_SS_PNS1_23onesweep_lookback_stateEbbT6_jjT7_P12ihipStream_tbENKUlT_T0_SG_SL_E_clIS7_S7_SB_SB_EEDaSZ_S10_SG_SL_EUlSZ_E_NS1_11comp_targetILNS1_3genE10ELNS1_11target_archE1201ELNS1_3gpuE5ELNS1_3repE0EEENS1_47radix_sort_onesweep_sort_config_static_selectorELNS0_4arch9wavefront6targetE1EEEvSG_.has_dyn_sized_stack, 0
	.set _ZN7rocprim17ROCPRIM_400000_NS6detail17trampoline_kernelINS0_14default_configENS1_35radix_sort_onesweep_config_selectorIhlEEZZNS1_29radix_sort_onesweep_iterationIS3_Lb0EPhS7_N6thrust23THRUST_200600_302600_NS10device_ptrIlEESB_jNS0_19identity_decomposerENS1_16block_id_wrapperIjLb0EEEEE10hipError_tT1_PNSt15iterator_traitsISG_E10value_typeET2_T3_PNSH_ISM_E10value_typeET4_T5_PSR_SS_PNS1_23onesweep_lookback_stateEbbT6_jjT7_P12ihipStream_tbENKUlT_T0_SG_SL_E_clIS7_S7_SB_SB_EEDaSZ_S10_SG_SL_EUlSZ_E_NS1_11comp_targetILNS1_3genE10ELNS1_11target_archE1201ELNS1_3gpuE5ELNS1_3repE0EEENS1_47radix_sort_onesweep_sort_config_static_selectorELNS0_4arch9wavefront6targetE1EEEvSG_.has_recursion, 0
	.set _ZN7rocprim17ROCPRIM_400000_NS6detail17trampoline_kernelINS0_14default_configENS1_35radix_sort_onesweep_config_selectorIhlEEZZNS1_29radix_sort_onesweep_iterationIS3_Lb0EPhS7_N6thrust23THRUST_200600_302600_NS10device_ptrIlEESB_jNS0_19identity_decomposerENS1_16block_id_wrapperIjLb0EEEEE10hipError_tT1_PNSt15iterator_traitsISG_E10value_typeET2_T3_PNSH_ISM_E10value_typeET4_T5_PSR_SS_PNS1_23onesweep_lookback_stateEbbT6_jjT7_P12ihipStream_tbENKUlT_T0_SG_SL_E_clIS7_S7_SB_SB_EEDaSZ_S10_SG_SL_EUlSZ_E_NS1_11comp_targetILNS1_3genE10ELNS1_11target_archE1201ELNS1_3gpuE5ELNS1_3repE0EEENS1_47radix_sort_onesweep_sort_config_static_selectorELNS0_4arch9wavefront6targetE1EEEvSG_.has_indirect_call, 0
	.section	.AMDGPU.csdata,"",@progbits
; Kernel info:
; codeLenInByte = 0
; TotalNumSgprs: 4
; NumVgprs: 0
; ScratchSize: 0
; MemoryBound: 0
; FloatMode: 240
; IeeeMode: 1
; LDSByteSize: 0 bytes/workgroup (compile time only)
; SGPRBlocks: 0
; VGPRBlocks: 0
; NumSGPRsForWavesPerEU: 4
; NumVGPRsForWavesPerEU: 1
; Occupancy: 10
; WaveLimiterHint : 0
; COMPUTE_PGM_RSRC2:SCRATCH_EN: 0
; COMPUTE_PGM_RSRC2:USER_SGPR: 6
; COMPUTE_PGM_RSRC2:TRAP_HANDLER: 0
; COMPUTE_PGM_RSRC2:TGID_X_EN: 1
; COMPUTE_PGM_RSRC2:TGID_Y_EN: 0
; COMPUTE_PGM_RSRC2:TGID_Z_EN: 0
; COMPUTE_PGM_RSRC2:TIDIG_COMP_CNT: 0
	.section	.text._ZN7rocprim17ROCPRIM_400000_NS6detail17trampoline_kernelINS0_14default_configENS1_35radix_sort_onesweep_config_selectorIhlEEZZNS1_29radix_sort_onesweep_iterationIS3_Lb0EPhS7_N6thrust23THRUST_200600_302600_NS10device_ptrIlEESB_jNS0_19identity_decomposerENS1_16block_id_wrapperIjLb0EEEEE10hipError_tT1_PNSt15iterator_traitsISG_E10value_typeET2_T3_PNSH_ISM_E10value_typeET4_T5_PSR_SS_PNS1_23onesweep_lookback_stateEbbT6_jjT7_P12ihipStream_tbENKUlT_T0_SG_SL_E_clIS7_S7_SB_SB_EEDaSZ_S10_SG_SL_EUlSZ_E_NS1_11comp_targetILNS1_3genE9ELNS1_11target_archE1100ELNS1_3gpuE3ELNS1_3repE0EEENS1_47radix_sort_onesweep_sort_config_static_selectorELNS0_4arch9wavefront6targetE1EEEvSG_,"axG",@progbits,_ZN7rocprim17ROCPRIM_400000_NS6detail17trampoline_kernelINS0_14default_configENS1_35radix_sort_onesweep_config_selectorIhlEEZZNS1_29radix_sort_onesweep_iterationIS3_Lb0EPhS7_N6thrust23THRUST_200600_302600_NS10device_ptrIlEESB_jNS0_19identity_decomposerENS1_16block_id_wrapperIjLb0EEEEE10hipError_tT1_PNSt15iterator_traitsISG_E10value_typeET2_T3_PNSH_ISM_E10value_typeET4_T5_PSR_SS_PNS1_23onesweep_lookback_stateEbbT6_jjT7_P12ihipStream_tbENKUlT_T0_SG_SL_E_clIS7_S7_SB_SB_EEDaSZ_S10_SG_SL_EUlSZ_E_NS1_11comp_targetILNS1_3genE9ELNS1_11target_archE1100ELNS1_3gpuE3ELNS1_3repE0EEENS1_47radix_sort_onesweep_sort_config_static_selectorELNS0_4arch9wavefront6targetE1EEEvSG_,comdat
	.protected	_ZN7rocprim17ROCPRIM_400000_NS6detail17trampoline_kernelINS0_14default_configENS1_35radix_sort_onesweep_config_selectorIhlEEZZNS1_29radix_sort_onesweep_iterationIS3_Lb0EPhS7_N6thrust23THRUST_200600_302600_NS10device_ptrIlEESB_jNS0_19identity_decomposerENS1_16block_id_wrapperIjLb0EEEEE10hipError_tT1_PNSt15iterator_traitsISG_E10value_typeET2_T3_PNSH_ISM_E10value_typeET4_T5_PSR_SS_PNS1_23onesweep_lookback_stateEbbT6_jjT7_P12ihipStream_tbENKUlT_T0_SG_SL_E_clIS7_S7_SB_SB_EEDaSZ_S10_SG_SL_EUlSZ_E_NS1_11comp_targetILNS1_3genE9ELNS1_11target_archE1100ELNS1_3gpuE3ELNS1_3repE0EEENS1_47radix_sort_onesweep_sort_config_static_selectorELNS0_4arch9wavefront6targetE1EEEvSG_ ; -- Begin function _ZN7rocprim17ROCPRIM_400000_NS6detail17trampoline_kernelINS0_14default_configENS1_35radix_sort_onesweep_config_selectorIhlEEZZNS1_29radix_sort_onesweep_iterationIS3_Lb0EPhS7_N6thrust23THRUST_200600_302600_NS10device_ptrIlEESB_jNS0_19identity_decomposerENS1_16block_id_wrapperIjLb0EEEEE10hipError_tT1_PNSt15iterator_traitsISG_E10value_typeET2_T3_PNSH_ISM_E10value_typeET4_T5_PSR_SS_PNS1_23onesweep_lookback_stateEbbT6_jjT7_P12ihipStream_tbENKUlT_T0_SG_SL_E_clIS7_S7_SB_SB_EEDaSZ_S10_SG_SL_EUlSZ_E_NS1_11comp_targetILNS1_3genE9ELNS1_11target_archE1100ELNS1_3gpuE3ELNS1_3repE0EEENS1_47radix_sort_onesweep_sort_config_static_selectorELNS0_4arch9wavefront6targetE1EEEvSG_
	.globl	_ZN7rocprim17ROCPRIM_400000_NS6detail17trampoline_kernelINS0_14default_configENS1_35radix_sort_onesweep_config_selectorIhlEEZZNS1_29radix_sort_onesweep_iterationIS3_Lb0EPhS7_N6thrust23THRUST_200600_302600_NS10device_ptrIlEESB_jNS0_19identity_decomposerENS1_16block_id_wrapperIjLb0EEEEE10hipError_tT1_PNSt15iterator_traitsISG_E10value_typeET2_T3_PNSH_ISM_E10value_typeET4_T5_PSR_SS_PNS1_23onesweep_lookback_stateEbbT6_jjT7_P12ihipStream_tbENKUlT_T0_SG_SL_E_clIS7_S7_SB_SB_EEDaSZ_S10_SG_SL_EUlSZ_E_NS1_11comp_targetILNS1_3genE9ELNS1_11target_archE1100ELNS1_3gpuE3ELNS1_3repE0EEENS1_47radix_sort_onesweep_sort_config_static_selectorELNS0_4arch9wavefront6targetE1EEEvSG_
	.p2align	8
	.type	_ZN7rocprim17ROCPRIM_400000_NS6detail17trampoline_kernelINS0_14default_configENS1_35radix_sort_onesweep_config_selectorIhlEEZZNS1_29radix_sort_onesweep_iterationIS3_Lb0EPhS7_N6thrust23THRUST_200600_302600_NS10device_ptrIlEESB_jNS0_19identity_decomposerENS1_16block_id_wrapperIjLb0EEEEE10hipError_tT1_PNSt15iterator_traitsISG_E10value_typeET2_T3_PNSH_ISM_E10value_typeET4_T5_PSR_SS_PNS1_23onesweep_lookback_stateEbbT6_jjT7_P12ihipStream_tbENKUlT_T0_SG_SL_E_clIS7_S7_SB_SB_EEDaSZ_S10_SG_SL_EUlSZ_E_NS1_11comp_targetILNS1_3genE9ELNS1_11target_archE1100ELNS1_3gpuE3ELNS1_3repE0EEENS1_47radix_sort_onesweep_sort_config_static_selectorELNS0_4arch9wavefront6targetE1EEEvSG_,@function
_ZN7rocprim17ROCPRIM_400000_NS6detail17trampoline_kernelINS0_14default_configENS1_35radix_sort_onesweep_config_selectorIhlEEZZNS1_29radix_sort_onesweep_iterationIS3_Lb0EPhS7_N6thrust23THRUST_200600_302600_NS10device_ptrIlEESB_jNS0_19identity_decomposerENS1_16block_id_wrapperIjLb0EEEEE10hipError_tT1_PNSt15iterator_traitsISG_E10value_typeET2_T3_PNSH_ISM_E10value_typeET4_T5_PSR_SS_PNS1_23onesweep_lookback_stateEbbT6_jjT7_P12ihipStream_tbENKUlT_T0_SG_SL_E_clIS7_S7_SB_SB_EEDaSZ_S10_SG_SL_EUlSZ_E_NS1_11comp_targetILNS1_3genE9ELNS1_11target_archE1100ELNS1_3gpuE3ELNS1_3repE0EEENS1_47radix_sort_onesweep_sort_config_static_selectorELNS0_4arch9wavefront6targetE1EEEvSG_: ; @_ZN7rocprim17ROCPRIM_400000_NS6detail17trampoline_kernelINS0_14default_configENS1_35radix_sort_onesweep_config_selectorIhlEEZZNS1_29radix_sort_onesweep_iterationIS3_Lb0EPhS7_N6thrust23THRUST_200600_302600_NS10device_ptrIlEESB_jNS0_19identity_decomposerENS1_16block_id_wrapperIjLb0EEEEE10hipError_tT1_PNSt15iterator_traitsISG_E10value_typeET2_T3_PNSH_ISM_E10value_typeET4_T5_PSR_SS_PNS1_23onesweep_lookback_stateEbbT6_jjT7_P12ihipStream_tbENKUlT_T0_SG_SL_E_clIS7_S7_SB_SB_EEDaSZ_S10_SG_SL_EUlSZ_E_NS1_11comp_targetILNS1_3genE9ELNS1_11target_archE1100ELNS1_3gpuE3ELNS1_3repE0EEENS1_47radix_sort_onesweep_sort_config_static_selectorELNS0_4arch9wavefront6targetE1EEEvSG_
; %bb.0:
	.section	.rodata,"a",@progbits
	.p2align	6, 0x0
	.amdhsa_kernel _ZN7rocprim17ROCPRIM_400000_NS6detail17trampoline_kernelINS0_14default_configENS1_35radix_sort_onesweep_config_selectorIhlEEZZNS1_29radix_sort_onesweep_iterationIS3_Lb0EPhS7_N6thrust23THRUST_200600_302600_NS10device_ptrIlEESB_jNS0_19identity_decomposerENS1_16block_id_wrapperIjLb0EEEEE10hipError_tT1_PNSt15iterator_traitsISG_E10value_typeET2_T3_PNSH_ISM_E10value_typeET4_T5_PSR_SS_PNS1_23onesweep_lookback_stateEbbT6_jjT7_P12ihipStream_tbENKUlT_T0_SG_SL_E_clIS7_S7_SB_SB_EEDaSZ_S10_SG_SL_EUlSZ_E_NS1_11comp_targetILNS1_3genE9ELNS1_11target_archE1100ELNS1_3gpuE3ELNS1_3repE0EEENS1_47radix_sort_onesweep_sort_config_static_selectorELNS0_4arch9wavefront6targetE1EEEvSG_
		.amdhsa_group_segment_fixed_size 0
		.amdhsa_private_segment_fixed_size 0
		.amdhsa_kernarg_size 88
		.amdhsa_user_sgpr_count 6
		.amdhsa_user_sgpr_private_segment_buffer 1
		.amdhsa_user_sgpr_dispatch_ptr 0
		.amdhsa_user_sgpr_queue_ptr 0
		.amdhsa_user_sgpr_kernarg_segment_ptr 1
		.amdhsa_user_sgpr_dispatch_id 0
		.amdhsa_user_sgpr_flat_scratch_init 0
		.amdhsa_user_sgpr_private_segment_size 0
		.amdhsa_uses_dynamic_stack 0
		.amdhsa_system_sgpr_private_segment_wavefront_offset 0
		.amdhsa_system_sgpr_workgroup_id_x 1
		.amdhsa_system_sgpr_workgroup_id_y 0
		.amdhsa_system_sgpr_workgroup_id_z 0
		.amdhsa_system_sgpr_workgroup_info 0
		.amdhsa_system_vgpr_workitem_id 0
		.amdhsa_next_free_vgpr 1
		.amdhsa_next_free_sgpr 0
		.amdhsa_reserve_vcc 0
		.amdhsa_reserve_flat_scratch 0
		.amdhsa_float_round_mode_32 0
		.amdhsa_float_round_mode_16_64 0
		.amdhsa_float_denorm_mode_32 3
		.amdhsa_float_denorm_mode_16_64 3
		.amdhsa_dx10_clamp 1
		.amdhsa_ieee_mode 1
		.amdhsa_fp16_overflow 0
		.amdhsa_exception_fp_ieee_invalid_op 0
		.amdhsa_exception_fp_denorm_src 0
		.amdhsa_exception_fp_ieee_div_zero 0
		.amdhsa_exception_fp_ieee_overflow 0
		.amdhsa_exception_fp_ieee_underflow 0
		.amdhsa_exception_fp_ieee_inexact 0
		.amdhsa_exception_int_div_zero 0
	.end_amdhsa_kernel
	.section	.text._ZN7rocprim17ROCPRIM_400000_NS6detail17trampoline_kernelINS0_14default_configENS1_35radix_sort_onesweep_config_selectorIhlEEZZNS1_29radix_sort_onesweep_iterationIS3_Lb0EPhS7_N6thrust23THRUST_200600_302600_NS10device_ptrIlEESB_jNS0_19identity_decomposerENS1_16block_id_wrapperIjLb0EEEEE10hipError_tT1_PNSt15iterator_traitsISG_E10value_typeET2_T3_PNSH_ISM_E10value_typeET4_T5_PSR_SS_PNS1_23onesweep_lookback_stateEbbT6_jjT7_P12ihipStream_tbENKUlT_T0_SG_SL_E_clIS7_S7_SB_SB_EEDaSZ_S10_SG_SL_EUlSZ_E_NS1_11comp_targetILNS1_3genE9ELNS1_11target_archE1100ELNS1_3gpuE3ELNS1_3repE0EEENS1_47radix_sort_onesweep_sort_config_static_selectorELNS0_4arch9wavefront6targetE1EEEvSG_,"axG",@progbits,_ZN7rocprim17ROCPRIM_400000_NS6detail17trampoline_kernelINS0_14default_configENS1_35radix_sort_onesweep_config_selectorIhlEEZZNS1_29radix_sort_onesweep_iterationIS3_Lb0EPhS7_N6thrust23THRUST_200600_302600_NS10device_ptrIlEESB_jNS0_19identity_decomposerENS1_16block_id_wrapperIjLb0EEEEE10hipError_tT1_PNSt15iterator_traitsISG_E10value_typeET2_T3_PNSH_ISM_E10value_typeET4_T5_PSR_SS_PNS1_23onesweep_lookback_stateEbbT6_jjT7_P12ihipStream_tbENKUlT_T0_SG_SL_E_clIS7_S7_SB_SB_EEDaSZ_S10_SG_SL_EUlSZ_E_NS1_11comp_targetILNS1_3genE9ELNS1_11target_archE1100ELNS1_3gpuE3ELNS1_3repE0EEENS1_47radix_sort_onesweep_sort_config_static_selectorELNS0_4arch9wavefront6targetE1EEEvSG_,comdat
.Lfunc_end298:
	.size	_ZN7rocprim17ROCPRIM_400000_NS6detail17trampoline_kernelINS0_14default_configENS1_35radix_sort_onesweep_config_selectorIhlEEZZNS1_29radix_sort_onesweep_iterationIS3_Lb0EPhS7_N6thrust23THRUST_200600_302600_NS10device_ptrIlEESB_jNS0_19identity_decomposerENS1_16block_id_wrapperIjLb0EEEEE10hipError_tT1_PNSt15iterator_traitsISG_E10value_typeET2_T3_PNSH_ISM_E10value_typeET4_T5_PSR_SS_PNS1_23onesweep_lookback_stateEbbT6_jjT7_P12ihipStream_tbENKUlT_T0_SG_SL_E_clIS7_S7_SB_SB_EEDaSZ_S10_SG_SL_EUlSZ_E_NS1_11comp_targetILNS1_3genE9ELNS1_11target_archE1100ELNS1_3gpuE3ELNS1_3repE0EEENS1_47radix_sort_onesweep_sort_config_static_selectorELNS0_4arch9wavefront6targetE1EEEvSG_, .Lfunc_end298-_ZN7rocprim17ROCPRIM_400000_NS6detail17trampoline_kernelINS0_14default_configENS1_35radix_sort_onesweep_config_selectorIhlEEZZNS1_29radix_sort_onesweep_iterationIS3_Lb0EPhS7_N6thrust23THRUST_200600_302600_NS10device_ptrIlEESB_jNS0_19identity_decomposerENS1_16block_id_wrapperIjLb0EEEEE10hipError_tT1_PNSt15iterator_traitsISG_E10value_typeET2_T3_PNSH_ISM_E10value_typeET4_T5_PSR_SS_PNS1_23onesweep_lookback_stateEbbT6_jjT7_P12ihipStream_tbENKUlT_T0_SG_SL_E_clIS7_S7_SB_SB_EEDaSZ_S10_SG_SL_EUlSZ_E_NS1_11comp_targetILNS1_3genE9ELNS1_11target_archE1100ELNS1_3gpuE3ELNS1_3repE0EEENS1_47radix_sort_onesweep_sort_config_static_selectorELNS0_4arch9wavefront6targetE1EEEvSG_
                                        ; -- End function
	.set _ZN7rocprim17ROCPRIM_400000_NS6detail17trampoline_kernelINS0_14default_configENS1_35radix_sort_onesweep_config_selectorIhlEEZZNS1_29radix_sort_onesweep_iterationIS3_Lb0EPhS7_N6thrust23THRUST_200600_302600_NS10device_ptrIlEESB_jNS0_19identity_decomposerENS1_16block_id_wrapperIjLb0EEEEE10hipError_tT1_PNSt15iterator_traitsISG_E10value_typeET2_T3_PNSH_ISM_E10value_typeET4_T5_PSR_SS_PNS1_23onesweep_lookback_stateEbbT6_jjT7_P12ihipStream_tbENKUlT_T0_SG_SL_E_clIS7_S7_SB_SB_EEDaSZ_S10_SG_SL_EUlSZ_E_NS1_11comp_targetILNS1_3genE9ELNS1_11target_archE1100ELNS1_3gpuE3ELNS1_3repE0EEENS1_47radix_sort_onesweep_sort_config_static_selectorELNS0_4arch9wavefront6targetE1EEEvSG_.num_vgpr, 0
	.set _ZN7rocprim17ROCPRIM_400000_NS6detail17trampoline_kernelINS0_14default_configENS1_35radix_sort_onesweep_config_selectorIhlEEZZNS1_29radix_sort_onesweep_iterationIS3_Lb0EPhS7_N6thrust23THRUST_200600_302600_NS10device_ptrIlEESB_jNS0_19identity_decomposerENS1_16block_id_wrapperIjLb0EEEEE10hipError_tT1_PNSt15iterator_traitsISG_E10value_typeET2_T3_PNSH_ISM_E10value_typeET4_T5_PSR_SS_PNS1_23onesweep_lookback_stateEbbT6_jjT7_P12ihipStream_tbENKUlT_T0_SG_SL_E_clIS7_S7_SB_SB_EEDaSZ_S10_SG_SL_EUlSZ_E_NS1_11comp_targetILNS1_3genE9ELNS1_11target_archE1100ELNS1_3gpuE3ELNS1_3repE0EEENS1_47radix_sort_onesweep_sort_config_static_selectorELNS0_4arch9wavefront6targetE1EEEvSG_.num_agpr, 0
	.set _ZN7rocprim17ROCPRIM_400000_NS6detail17trampoline_kernelINS0_14default_configENS1_35radix_sort_onesweep_config_selectorIhlEEZZNS1_29radix_sort_onesweep_iterationIS3_Lb0EPhS7_N6thrust23THRUST_200600_302600_NS10device_ptrIlEESB_jNS0_19identity_decomposerENS1_16block_id_wrapperIjLb0EEEEE10hipError_tT1_PNSt15iterator_traitsISG_E10value_typeET2_T3_PNSH_ISM_E10value_typeET4_T5_PSR_SS_PNS1_23onesweep_lookback_stateEbbT6_jjT7_P12ihipStream_tbENKUlT_T0_SG_SL_E_clIS7_S7_SB_SB_EEDaSZ_S10_SG_SL_EUlSZ_E_NS1_11comp_targetILNS1_3genE9ELNS1_11target_archE1100ELNS1_3gpuE3ELNS1_3repE0EEENS1_47radix_sort_onesweep_sort_config_static_selectorELNS0_4arch9wavefront6targetE1EEEvSG_.numbered_sgpr, 0
	.set _ZN7rocprim17ROCPRIM_400000_NS6detail17trampoline_kernelINS0_14default_configENS1_35radix_sort_onesweep_config_selectorIhlEEZZNS1_29radix_sort_onesweep_iterationIS3_Lb0EPhS7_N6thrust23THRUST_200600_302600_NS10device_ptrIlEESB_jNS0_19identity_decomposerENS1_16block_id_wrapperIjLb0EEEEE10hipError_tT1_PNSt15iterator_traitsISG_E10value_typeET2_T3_PNSH_ISM_E10value_typeET4_T5_PSR_SS_PNS1_23onesweep_lookback_stateEbbT6_jjT7_P12ihipStream_tbENKUlT_T0_SG_SL_E_clIS7_S7_SB_SB_EEDaSZ_S10_SG_SL_EUlSZ_E_NS1_11comp_targetILNS1_3genE9ELNS1_11target_archE1100ELNS1_3gpuE3ELNS1_3repE0EEENS1_47radix_sort_onesweep_sort_config_static_selectorELNS0_4arch9wavefront6targetE1EEEvSG_.num_named_barrier, 0
	.set _ZN7rocprim17ROCPRIM_400000_NS6detail17trampoline_kernelINS0_14default_configENS1_35radix_sort_onesweep_config_selectorIhlEEZZNS1_29radix_sort_onesweep_iterationIS3_Lb0EPhS7_N6thrust23THRUST_200600_302600_NS10device_ptrIlEESB_jNS0_19identity_decomposerENS1_16block_id_wrapperIjLb0EEEEE10hipError_tT1_PNSt15iterator_traitsISG_E10value_typeET2_T3_PNSH_ISM_E10value_typeET4_T5_PSR_SS_PNS1_23onesweep_lookback_stateEbbT6_jjT7_P12ihipStream_tbENKUlT_T0_SG_SL_E_clIS7_S7_SB_SB_EEDaSZ_S10_SG_SL_EUlSZ_E_NS1_11comp_targetILNS1_3genE9ELNS1_11target_archE1100ELNS1_3gpuE3ELNS1_3repE0EEENS1_47radix_sort_onesweep_sort_config_static_selectorELNS0_4arch9wavefront6targetE1EEEvSG_.private_seg_size, 0
	.set _ZN7rocprim17ROCPRIM_400000_NS6detail17trampoline_kernelINS0_14default_configENS1_35radix_sort_onesweep_config_selectorIhlEEZZNS1_29radix_sort_onesweep_iterationIS3_Lb0EPhS7_N6thrust23THRUST_200600_302600_NS10device_ptrIlEESB_jNS0_19identity_decomposerENS1_16block_id_wrapperIjLb0EEEEE10hipError_tT1_PNSt15iterator_traitsISG_E10value_typeET2_T3_PNSH_ISM_E10value_typeET4_T5_PSR_SS_PNS1_23onesweep_lookback_stateEbbT6_jjT7_P12ihipStream_tbENKUlT_T0_SG_SL_E_clIS7_S7_SB_SB_EEDaSZ_S10_SG_SL_EUlSZ_E_NS1_11comp_targetILNS1_3genE9ELNS1_11target_archE1100ELNS1_3gpuE3ELNS1_3repE0EEENS1_47radix_sort_onesweep_sort_config_static_selectorELNS0_4arch9wavefront6targetE1EEEvSG_.uses_vcc, 0
	.set _ZN7rocprim17ROCPRIM_400000_NS6detail17trampoline_kernelINS0_14default_configENS1_35radix_sort_onesweep_config_selectorIhlEEZZNS1_29radix_sort_onesweep_iterationIS3_Lb0EPhS7_N6thrust23THRUST_200600_302600_NS10device_ptrIlEESB_jNS0_19identity_decomposerENS1_16block_id_wrapperIjLb0EEEEE10hipError_tT1_PNSt15iterator_traitsISG_E10value_typeET2_T3_PNSH_ISM_E10value_typeET4_T5_PSR_SS_PNS1_23onesweep_lookback_stateEbbT6_jjT7_P12ihipStream_tbENKUlT_T0_SG_SL_E_clIS7_S7_SB_SB_EEDaSZ_S10_SG_SL_EUlSZ_E_NS1_11comp_targetILNS1_3genE9ELNS1_11target_archE1100ELNS1_3gpuE3ELNS1_3repE0EEENS1_47radix_sort_onesweep_sort_config_static_selectorELNS0_4arch9wavefront6targetE1EEEvSG_.uses_flat_scratch, 0
	.set _ZN7rocprim17ROCPRIM_400000_NS6detail17trampoline_kernelINS0_14default_configENS1_35radix_sort_onesweep_config_selectorIhlEEZZNS1_29radix_sort_onesweep_iterationIS3_Lb0EPhS7_N6thrust23THRUST_200600_302600_NS10device_ptrIlEESB_jNS0_19identity_decomposerENS1_16block_id_wrapperIjLb0EEEEE10hipError_tT1_PNSt15iterator_traitsISG_E10value_typeET2_T3_PNSH_ISM_E10value_typeET4_T5_PSR_SS_PNS1_23onesweep_lookback_stateEbbT6_jjT7_P12ihipStream_tbENKUlT_T0_SG_SL_E_clIS7_S7_SB_SB_EEDaSZ_S10_SG_SL_EUlSZ_E_NS1_11comp_targetILNS1_3genE9ELNS1_11target_archE1100ELNS1_3gpuE3ELNS1_3repE0EEENS1_47radix_sort_onesweep_sort_config_static_selectorELNS0_4arch9wavefront6targetE1EEEvSG_.has_dyn_sized_stack, 0
	.set _ZN7rocprim17ROCPRIM_400000_NS6detail17trampoline_kernelINS0_14default_configENS1_35radix_sort_onesweep_config_selectorIhlEEZZNS1_29radix_sort_onesweep_iterationIS3_Lb0EPhS7_N6thrust23THRUST_200600_302600_NS10device_ptrIlEESB_jNS0_19identity_decomposerENS1_16block_id_wrapperIjLb0EEEEE10hipError_tT1_PNSt15iterator_traitsISG_E10value_typeET2_T3_PNSH_ISM_E10value_typeET4_T5_PSR_SS_PNS1_23onesweep_lookback_stateEbbT6_jjT7_P12ihipStream_tbENKUlT_T0_SG_SL_E_clIS7_S7_SB_SB_EEDaSZ_S10_SG_SL_EUlSZ_E_NS1_11comp_targetILNS1_3genE9ELNS1_11target_archE1100ELNS1_3gpuE3ELNS1_3repE0EEENS1_47radix_sort_onesweep_sort_config_static_selectorELNS0_4arch9wavefront6targetE1EEEvSG_.has_recursion, 0
	.set _ZN7rocprim17ROCPRIM_400000_NS6detail17trampoline_kernelINS0_14default_configENS1_35radix_sort_onesweep_config_selectorIhlEEZZNS1_29radix_sort_onesweep_iterationIS3_Lb0EPhS7_N6thrust23THRUST_200600_302600_NS10device_ptrIlEESB_jNS0_19identity_decomposerENS1_16block_id_wrapperIjLb0EEEEE10hipError_tT1_PNSt15iterator_traitsISG_E10value_typeET2_T3_PNSH_ISM_E10value_typeET4_T5_PSR_SS_PNS1_23onesweep_lookback_stateEbbT6_jjT7_P12ihipStream_tbENKUlT_T0_SG_SL_E_clIS7_S7_SB_SB_EEDaSZ_S10_SG_SL_EUlSZ_E_NS1_11comp_targetILNS1_3genE9ELNS1_11target_archE1100ELNS1_3gpuE3ELNS1_3repE0EEENS1_47radix_sort_onesweep_sort_config_static_selectorELNS0_4arch9wavefront6targetE1EEEvSG_.has_indirect_call, 0
	.section	.AMDGPU.csdata,"",@progbits
; Kernel info:
; codeLenInByte = 0
; TotalNumSgprs: 4
; NumVgprs: 0
; ScratchSize: 0
; MemoryBound: 0
; FloatMode: 240
; IeeeMode: 1
; LDSByteSize: 0 bytes/workgroup (compile time only)
; SGPRBlocks: 0
; VGPRBlocks: 0
; NumSGPRsForWavesPerEU: 4
; NumVGPRsForWavesPerEU: 1
; Occupancy: 10
; WaveLimiterHint : 0
; COMPUTE_PGM_RSRC2:SCRATCH_EN: 0
; COMPUTE_PGM_RSRC2:USER_SGPR: 6
; COMPUTE_PGM_RSRC2:TRAP_HANDLER: 0
; COMPUTE_PGM_RSRC2:TGID_X_EN: 1
; COMPUTE_PGM_RSRC2:TGID_Y_EN: 0
; COMPUTE_PGM_RSRC2:TGID_Z_EN: 0
; COMPUTE_PGM_RSRC2:TIDIG_COMP_CNT: 0
	.section	.text._ZN7rocprim17ROCPRIM_400000_NS6detail17trampoline_kernelINS0_14default_configENS1_35radix_sort_onesweep_config_selectorIhlEEZZNS1_29radix_sort_onesweep_iterationIS3_Lb0EPhS7_N6thrust23THRUST_200600_302600_NS10device_ptrIlEESB_jNS0_19identity_decomposerENS1_16block_id_wrapperIjLb0EEEEE10hipError_tT1_PNSt15iterator_traitsISG_E10value_typeET2_T3_PNSH_ISM_E10value_typeET4_T5_PSR_SS_PNS1_23onesweep_lookback_stateEbbT6_jjT7_P12ihipStream_tbENKUlT_T0_SG_SL_E_clIS7_S7_SB_SB_EEDaSZ_S10_SG_SL_EUlSZ_E_NS1_11comp_targetILNS1_3genE8ELNS1_11target_archE1030ELNS1_3gpuE2ELNS1_3repE0EEENS1_47radix_sort_onesweep_sort_config_static_selectorELNS0_4arch9wavefront6targetE1EEEvSG_,"axG",@progbits,_ZN7rocprim17ROCPRIM_400000_NS6detail17trampoline_kernelINS0_14default_configENS1_35radix_sort_onesweep_config_selectorIhlEEZZNS1_29radix_sort_onesweep_iterationIS3_Lb0EPhS7_N6thrust23THRUST_200600_302600_NS10device_ptrIlEESB_jNS0_19identity_decomposerENS1_16block_id_wrapperIjLb0EEEEE10hipError_tT1_PNSt15iterator_traitsISG_E10value_typeET2_T3_PNSH_ISM_E10value_typeET4_T5_PSR_SS_PNS1_23onesweep_lookback_stateEbbT6_jjT7_P12ihipStream_tbENKUlT_T0_SG_SL_E_clIS7_S7_SB_SB_EEDaSZ_S10_SG_SL_EUlSZ_E_NS1_11comp_targetILNS1_3genE8ELNS1_11target_archE1030ELNS1_3gpuE2ELNS1_3repE0EEENS1_47radix_sort_onesweep_sort_config_static_selectorELNS0_4arch9wavefront6targetE1EEEvSG_,comdat
	.protected	_ZN7rocprim17ROCPRIM_400000_NS6detail17trampoline_kernelINS0_14default_configENS1_35radix_sort_onesweep_config_selectorIhlEEZZNS1_29radix_sort_onesweep_iterationIS3_Lb0EPhS7_N6thrust23THRUST_200600_302600_NS10device_ptrIlEESB_jNS0_19identity_decomposerENS1_16block_id_wrapperIjLb0EEEEE10hipError_tT1_PNSt15iterator_traitsISG_E10value_typeET2_T3_PNSH_ISM_E10value_typeET4_T5_PSR_SS_PNS1_23onesweep_lookback_stateEbbT6_jjT7_P12ihipStream_tbENKUlT_T0_SG_SL_E_clIS7_S7_SB_SB_EEDaSZ_S10_SG_SL_EUlSZ_E_NS1_11comp_targetILNS1_3genE8ELNS1_11target_archE1030ELNS1_3gpuE2ELNS1_3repE0EEENS1_47radix_sort_onesweep_sort_config_static_selectorELNS0_4arch9wavefront6targetE1EEEvSG_ ; -- Begin function _ZN7rocprim17ROCPRIM_400000_NS6detail17trampoline_kernelINS0_14default_configENS1_35radix_sort_onesweep_config_selectorIhlEEZZNS1_29radix_sort_onesweep_iterationIS3_Lb0EPhS7_N6thrust23THRUST_200600_302600_NS10device_ptrIlEESB_jNS0_19identity_decomposerENS1_16block_id_wrapperIjLb0EEEEE10hipError_tT1_PNSt15iterator_traitsISG_E10value_typeET2_T3_PNSH_ISM_E10value_typeET4_T5_PSR_SS_PNS1_23onesweep_lookback_stateEbbT6_jjT7_P12ihipStream_tbENKUlT_T0_SG_SL_E_clIS7_S7_SB_SB_EEDaSZ_S10_SG_SL_EUlSZ_E_NS1_11comp_targetILNS1_3genE8ELNS1_11target_archE1030ELNS1_3gpuE2ELNS1_3repE0EEENS1_47radix_sort_onesweep_sort_config_static_selectorELNS0_4arch9wavefront6targetE1EEEvSG_
	.globl	_ZN7rocprim17ROCPRIM_400000_NS6detail17trampoline_kernelINS0_14default_configENS1_35radix_sort_onesweep_config_selectorIhlEEZZNS1_29radix_sort_onesweep_iterationIS3_Lb0EPhS7_N6thrust23THRUST_200600_302600_NS10device_ptrIlEESB_jNS0_19identity_decomposerENS1_16block_id_wrapperIjLb0EEEEE10hipError_tT1_PNSt15iterator_traitsISG_E10value_typeET2_T3_PNSH_ISM_E10value_typeET4_T5_PSR_SS_PNS1_23onesweep_lookback_stateEbbT6_jjT7_P12ihipStream_tbENKUlT_T0_SG_SL_E_clIS7_S7_SB_SB_EEDaSZ_S10_SG_SL_EUlSZ_E_NS1_11comp_targetILNS1_3genE8ELNS1_11target_archE1030ELNS1_3gpuE2ELNS1_3repE0EEENS1_47radix_sort_onesweep_sort_config_static_selectorELNS0_4arch9wavefront6targetE1EEEvSG_
	.p2align	8
	.type	_ZN7rocprim17ROCPRIM_400000_NS6detail17trampoline_kernelINS0_14default_configENS1_35radix_sort_onesweep_config_selectorIhlEEZZNS1_29radix_sort_onesweep_iterationIS3_Lb0EPhS7_N6thrust23THRUST_200600_302600_NS10device_ptrIlEESB_jNS0_19identity_decomposerENS1_16block_id_wrapperIjLb0EEEEE10hipError_tT1_PNSt15iterator_traitsISG_E10value_typeET2_T3_PNSH_ISM_E10value_typeET4_T5_PSR_SS_PNS1_23onesweep_lookback_stateEbbT6_jjT7_P12ihipStream_tbENKUlT_T0_SG_SL_E_clIS7_S7_SB_SB_EEDaSZ_S10_SG_SL_EUlSZ_E_NS1_11comp_targetILNS1_3genE8ELNS1_11target_archE1030ELNS1_3gpuE2ELNS1_3repE0EEENS1_47radix_sort_onesweep_sort_config_static_selectorELNS0_4arch9wavefront6targetE1EEEvSG_,@function
_ZN7rocprim17ROCPRIM_400000_NS6detail17trampoline_kernelINS0_14default_configENS1_35radix_sort_onesweep_config_selectorIhlEEZZNS1_29radix_sort_onesweep_iterationIS3_Lb0EPhS7_N6thrust23THRUST_200600_302600_NS10device_ptrIlEESB_jNS0_19identity_decomposerENS1_16block_id_wrapperIjLb0EEEEE10hipError_tT1_PNSt15iterator_traitsISG_E10value_typeET2_T3_PNSH_ISM_E10value_typeET4_T5_PSR_SS_PNS1_23onesweep_lookback_stateEbbT6_jjT7_P12ihipStream_tbENKUlT_T0_SG_SL_E_clIS7_S7_SB_SB_EEDaSZ_S10_SG_SL_EUlSZ_E_NS1_11comp_targetILNS1_3genE8ELNS1_11target_archE1030ELNS1_3gpuE2ELNS1_3repE0EEENS1_47radix_sort_onesweep_sort_config_static_selectorELNS0_4arch9wavefront6targetE1EEEvSG_: ; @_ZN7rocprim17ROCPRIM_400000_NS6detail17trampoline_kernelINS0_14default_configENS1_35radix_sort_onesweep_config_selectorIhlEEZZNS1_29radix_sort_onesweep_iterationIS3_Lb0EPhS7_N6thrust23THRUST_200600_302600_NS10device_ptrIlEESB_jNS0_19identity_decomposerENS1_16block_id_wrapperIjLb0EEEEE10hipError_tT1_PNSt15iterator_traitsISG_E10value_typeET2_T3_PNSH_ISM_E10value_typeET4_T5_PSR_SS_PNS1_23onesweep_lookback_stateEbbT6_jjT7_P12ihipStream_tbENKUlT_T0_SG_SL_E_clIS7_S7_SB_SB_EEDaSZ_S10_SG_SL_EUlSZ_E_NS1_11comp_targetILNS1_3genE8ELNS1_11target_archE1030ELNS1_3gpuE2ELNS1_3repE0EEENS1_47radix_sort_onesweep_sort_config_static_selectorELNS0_4arch9wavefront6targetE1EEEvSG_
; %bb.0:
	.section	.rodata,"a",@progbits
	.p2align	6, 0x0
	.amdhsa_kernel _ZN7rocprim17ROCPRIM_400000_NS6detail17trampoline_kernelINS0_14default_configENS1_35radix_sort_onesweep_config_selectorIhlEEZZNS1_29radix_sort_onesweep_iterationIS3_Lb0EPhS7_N6thrust23THRUST_200600_302600_NS10device_ptrIlEESB_jNS0_19identity_decomposerENS1_16block_id_wrapperIjLb0EEEEE10hipError_tT1_PNSt15iterator_traitsISG_E10value_typeET2_T3_PNSH_ISM_E10value_typeET4_T5_PSR_SS_PNS1_23onesweep_lookback_stateEbbT6_jjT7_P12ihipStream_tbENKUlT_T0_SG_SL_E_clIS7_S7_SB_SB_EEDaSZ_S10_SG_SL_EUlSZ_E_NS1_11comp_targetILNS1_3genE8ELNS1_11target_archE1030ELNS1_3gpuE2ELNS1_3repE0EEENS1_47radix_sort_onesweep_sort_config_static_selectorELNS0_4arch9wavefront6targetE1EEEvSG_
		.amdhsa_group_segment_fixed_size 0
		.amdhsa_private_segment_fixed_size 0
		.amdhsa_kernarg_size 88
		.amdhsa_user_sgpr_count 6
		.amdhsa_user_sgpr_private_segment_buffer 1
		.amdhsa_user_sgpr_dispatch_ptr 0
		.amdhsa_user_sgpr_queue_ptr 0
		.amdhsa_user_sgpr_kernarg_segment_ptr 1
		.amdhsa_user_sgpr_dispatch_id 0
		.amdhsa_user_sgpr_flat_scratch_init 0
		.amdhsa_user_sgpr_private_segment_size 0
		.amdhsa_uses_dynamic_stack 0
		.amdhsa_system_sgpr_private_segment_wavefront_offset 0
		.amdhsa_system_sgpr_workgroup_id_x 1
		.amdhsa_system_sgpr_workgroup_id_y 0
		.amdhsa_system_sgpr_workgroup_id_z 0
		.amdhsa_system_sgpr_workgroup_info 0
		.amdhsa_system_vgpr_workitem_id 0
		.amdhsa_next_free_vgpr 1
		.amdhsa_next_free_sgpr 0
		.amdhsa_reserve_vcc 0
		.amdhsa_reserve_flat_scratch 0
		.amdhsa_float_round_mode_32 0
		.amdhsa_float_round_mode_16_64 0
		.amdhsa_float_denorm_mode_32 3
		.amdhsa_float_denorm_mode_16_64 3
		.amdhsa_dx10_clamp 1
		.amdhsa_ieee_mode 1
		.amdhsa_fp16_overflow 0
		.amdhsa_exception_fp_ieee_invalid_op 0
		.amdhsa_exception_fp_denorm_src 0
		.amdhsa_exception_fp_ieee_div_zero 0
		.amdhsa_exception_fp_ieee_overflow 0
		.amdhsa_exception_fp_ieee_underflow 0
		.amdhsa_exception_fp_ieee_inexact 0
		.amdhsa_exception_int_div_zero 0
	.end_amdhsa_kernel
	.section	.text._ZN7rocprim17ROCPRIM_400000_NS6detail17trampoline_kernelINS0_14default_configENS1_35radix_sort_onesweep_config_selectorIhlEEZZNS1_29radix_sort_onesweep_iterationIS3_Lb0EPhS7_N6thrust23THRUST_200600_302600_NS10device_ptrIlEESB_jNS0_19identity_decomposerENS1_16block_id_wrapperIjLb0EEEEE10hipError_tT1_PNSt15iterator_traitsISG_E10value_typeET2_T3_PNSH_ISM_E10value_typeET4_T5_PSR_SS_PNS1_23onesweep_lookback_stateEbbT6_jjT7_P12ihipStream_tbENKUlT_T0_SG_SL_E_clIS7_S7_SB_SB_EEDaSZ_S10_SG_SL_EUlSZ_E_NS1_11comp_targetILNS1_3genE8ELNS1_11target_archE1030ELNS1_3gpuE2ELNS1_3repE0EEENS1_47radix_sort_onesweep_sort_config_static_selectorELNS0_4arch9wavefront6targetE1EEEvSG_,"axG",@progbits,_ZN7rocprim17ROCPRIM_400000_NS6detail17trampoline_kernelINS0_14default_configENS1_35radix_sort_onesweep_config_selectorIhlEEZZNS1_29radix_sort_onesweep_iterationIS3_Lb0EPhS7_N6thrust23THRUST_200600_302600_NS10device_ptrIlEESB_jNS0_19identity_decomposerENS1_16block_id_wrapperIjLb0EEEEE10hipError_tT1_PNSt15iterator_traitsISG_E10value_typeET2_T3_PNSH_ISM_E10value_typeET4_T5_PSR_SS_PNS1_23onesweep_lookback_stateEbbT6_jjT7_P12ihipStream_tbENKUlT_T0_SG_SL_E_clIS7_S7_SB_SB_EEDaSZ_S10_SG_SL_EUlSZ_E_NS1_11comp_targetILNS1_3genE8ELNS1_11target_archE1030ELNS1_3gpuE2ELNS1_3repE0EEENS1_47radix_sort_onesweep_sort_config_static_selectorELNS0_4arch9wavefront6targetE1EEEvSG_,comdat
.Lfunc_end299:
	.size	_ZN7rocprim17ROCPRIM_400000_NS6detail17trampoline_kernelINS0_14default_configENS1_35radix_sort_onesweep_config_selectorIhlEEZZNS1_29radix_sort_onesweep_iterationIS3_Lb0EPhS7_N6thrust23THRUST_200600_302600_NS10device_ptrIlEESB_jNS0_19identity_decomposerENS1_16block_id_wrapperIjLb0EEEEE10hipError_tT1_PNSt15iterator_traitsISG_E10value_typeET2_T3_PNSH_ISM_E10value_typeET4_T5_PSR_SS_PNS1_23onesweep_lookback_stateEbbT6_jjT7_P12ihipStream_tbENKUlT_T0_SG_SL_E_clIS7_S7_SB_SB_EEDaSZ_S10_SG_SL_EUlSZ_E_NS1_11comp_targetILNS1_3genE8ELNS1_11target_archE1030ELNS1_3gpuE2ELNS1_3repE0EEENS1_47radix_sort_onesweep_sort_config_static_selectorELNS0_4arch9wavefront6targetE1EEEvSG_, .Lfunc_end299-_ZN7rocprim17ROCPRIM_400000_NS6detail17trampoline_kernelINS0_14default_configENS1_35radix_sort_onesweep_config_selectorIhlEEZZNS1_29radix_sort_onesweep_iterationIS3_Lb0EPhS7_N6thrust23THRUST_200600_302600_NS10device_ptrIlEESB_jNS0_19identity_decomposerENS1_16block_id_wrapperIjLb0EEEEE10hipError_tT1_PNSt15iterator_traitsISG_E10value_typeET2_T3_PNSH_ISM_E10value_typeET4_T5_PSR_SS_PNS1_23onesweep_lookback_stateEbbT6_jjT7_P12ihipStream_tbENKUlT_T0_SG_SL_E_clIS7_S7_SB_SB_EEDaSZ_S10_SG_SL_EUlSZ_E_NS1_11comp_targetILNS1_3genE8ELNS1_11target_archE1030ELNS1_3gpuE2ELNS1_3repE0EEENS1_47radix_sort_onesweep_sort_config_static_selectorELNS0_4arch9wavefront6targetE1EEEvSG_
                                        ; -- End function
	.set _ZN7rocprim17ROCPRIM_400000_NS6detail17trampoline_kernelINS0_14default_configENS1_35radix_sort_onesweep_config_selectorIhlEEZZNS1_29radix_sort_onesweep_iterationIS3_Lb0EPhS7_N6thrust23THRUST_200600_302600_NS10device_ptrIlEESB_jNS0_19identity_decomposerENS1_16block_id_wrapperIjLb0EEEEE10hipError_tT1_PNSt15iterator_traitsISG_E10value_typeET2_T3_PNSH_ISM_E10value_typeET4_T5_PSR_SS_PNS1_23onesweep_lookback_stateEbbT6_jjT7_P12ihipStream_tbENKUlT_T0_SG_SL_E_clIS7_S7_SB_SB_EEDaSZ_S10_SG_SL_EUlSZ_E_NS1_11comp_targetILNS1_3genE8ELNS1_11target_archE1030ELNS1_3gpuE2ELNS1_3repE0EEENS1_47radix_sort_onesweep_sort_config_static_selectorELNS0_4arch9wavefront6targetE1EEEvSG_.num_vgpr, 0
	.set _ZN7rocprim17ROCPRIM_400000_NS6detail17trampoline_kernelINS0_14default_configENS1_35radix_sort_onesweep_config_selectorIhlEEZZNS1_29radix_sort_onesweep_iterationIS3_Lb0EPhS7_N6thrust23THRUST_200600_302600_NS10device_ptrIlEESB_jNS0_19identity_decomposerENS1_16block_id_wrapperIjLb0EEEEE10hipError_tT1_PNSt15iterator_traitsISG_E10value_typeET2_T3_PNSH_ISM_E10value_typeET4_T5_PSR_SS_PNS1_23onesweep_lookback_stateEbbT6_jjT7_P12ihipStream_tbENKUlT_T0_SG_SL_E_clIS7_S7_SB_SB_EEDaSZ_S10_SG_SL_EUlSZ_E_NS1_11comp_targetILNS1_3genE8ELNS1_11target_archE1030ELNS1_3gpuE2ELNS1_3repE0EEENS1_47radix_sort_onesweep_sort_config_static_selectorELNS0_4arch9wavefront6targetE1EEEvSG_.num_agpr, 0
	.set _ZN7rocprim17ROCPRIM_400000_NS6detail17trampoline_kernelINS0_14default_configENS1_35radix_sort_onesweep_config_selectorIhlEEZZNS1_29radix_sort_onesweep_iterationIS3_Lb0EPhS7_N6thrust23THRUST_200600_302600_NS10device_ptrIlEESB_jNS0_19identity_decomposerENS1_16block_id_wrapperIjLb0EEEEE10hipError_tT1_PNSt15iterator_traitsISG_E10value_typeET2_T3_PNSH_ISM_E10value_typeET4_T5_PSR_SS_PNS1_23onesweep_lookback_stateEbbT6_jjT7_P12ihipStream_tbENKUlT_T0_SG_SL_E_clIS7_S7_SB_SB_EEDaSZ_S10_SG_SL_EUlSZ_E_NS1_11comp_targetILNS1_3genE8ELNS1_11target_archE1030ELNS1_3gpuE2ELNS1_3repE0EEENS1_47radix_sort_onesweep_sort_config_static_selectorELNS0_4arch9wavefront6targetE1EEEvSG_.numbered_sgpr, 0
	.set _ZN7rocprim17ROCPRIM_400000_NS6detail17trampoline_kernelINS0_14default_configENS1_35radix_sort_onesweep_config_selectorIhlEEZZNS1_29radix_sort_onesweep_iterationIS3_Lb0EPhS7_N6thrust23THRUST_200600_302600_NS10device_ptrIlEESB_jNS0_19identity_decomposerENS1_16block_id_wrapperIjLb0EEEEE10hipError_tT1_PNSt15iterator_traitsISG_E10value_typeET2_T3_PNSH_ISM_E10value_typeET4_T5_PSR_SS_PNS1_23onesweep_lookback_stateEbbT6_jjT7_P12ihipStream_tbENKUlT_T0_SG_SL_E_clIS7_S7_SB_SB_EEDaSZ_S10_SG_SL_EUlSZ_E_NS1_11comp_targetILNS1_3genE8ELNS1_11target_archE1030ELNS1_3gpuE2ELNS1_3repE0EEENS1_47radix_sort_onesweep_sort_config_static_selectorELNS0_4arch9wavefront6targetE1EEEvSG_.num_named_barrier, 0
	.set _ZN7rocprim17ROCPRIM_400000_NS6detail17trampoline_kernelINS0_14default_configENS1_35radix_sort_onesweep_config_selectorIhlEEZZNS1_29radix_sort_onesweep_iterationIS3_Lb0EPhS7_N6thrust23THRUST_200600_302600_NS10device_ptrIlEESB_jNS0_19identity_decomposerENS1_16block_id_wrapperIjLb0EEEEE10hipError_tT1_PNSt15iterator_traitsISG_E10value_typeET2_T3_PNSH_ISM_E10value_typeET4_T5_PSR_SS_PNS1_23onesweep_lookback_stateEbbT6_jjT7_P12ihipStream_tbENKUlT_T0_SG_SL_E_clIS7_S7_SB_SB_EEDaSZ_S10_SG_SL_EUlSZ_E_NS1_11comp_targetILNS1_3genE8ELNS1_11target_archE1030ELNS1_3gpuE2ELNS1_3repE0EEENS1_47radix_sort_onesweep_sort_config_static_selectorELNS0_4arch9wavefront6targetE1EEEvSG_.private_seg_size, 0
	.set _ZN7rocprim17ROCPRIM_400000_NS6detail17trampoline_kernelINS0_14default_configENS1_35radix_sort_onesweep_config_selectorIhlEEZZNS1_29radix_sort_onesweep_iterationIS3_Lb0EPhS7_N6thrust23THRUST_200600_302600_NS10device_ptrIlEESB_jNS0_19identity_decomposerENS1_16block_id_wrapperIjLb0EEEEE10hipError_tT1_PNSt15iterator_traitsISG_E10value_typeET2_T3_PNSH_ISM_E10value_typeET4_T5_PSR_SS_PNS1_23onesweep_lookback_stateEbbT6_jjT7_P12ihipStream_tbENKUlT_T0_SG_SL_E_clIS7_S7_SB_SB_EEDaSZ_S10_SG_SL_EUlSZ_E_NS1_11comp_targetILNS1_3genE8ELNS1_11target_archE1030ELNS1_3gpuE2ELNS1_3repE0EEENS1_47radix_sort_onesweep_sort_config_static_selectorELNS0_4arch9wavefront6targetE1EEEvSG_.uses_vcc, 0
	.set _ZN7rocprim17ROCPRIM_400000_NS6detail17trampoline_kernelINS0_14default_configENS1_35radix_sort_onesweep_config_selectorIhlEEZZNS1_29radix_sort_onesweep_iterationIS3_Lb0EPhS7_N6thrust23THRUST_200600_302600_NS10device_ptrIlEESB_jNS0_19identity_decomposerENS1_16block_id_wrapperIjLb0EEEEE10hipError_tT1_PNSt15iterator_traitsISG_E10value_typeET2_T3_PNSH_ISM_E10value_typeET4_T5_PSR_SS_PNS1_23onesweep_lookback_stateEbbT6_jjT7_P12ihipStream_tbENKUlT_T0_SG_SL_E_clIS7_S7_SB_SB_EEDaSZ_S10_SG_SL_EUlSZ_E_NS1_11comp_targetILNS1_3genE8ELNS1_11target_archE1030ELNS1_3gpuE2ELNS1_3repE0EEENS1_47radix_sort_onesweep_sort_config_static_selectorELNS0_4arch9wavefront6targetE1EEEvSG_.uses_flat_scratch, 0
	.set _ZN7rocprim17ROCPRIM_400000_NS6detail17trampoline_kernelINS0_14default_configENS1_35radix_sort_onesweep_config_selectorIhlEEZZNS1_29radix_sort_onesweep_iterationIS3_Lb0EPhS7_N6thrust23THRUST_200600_302600_NS10device_ptrIlEESB_jNS0_19identity_decomposerENS1_16block_id_wrapperIjLb0EEEEE10hipError_tT1_PNSt15iterator_traitsISG_E10value_typeET2_T3_PNSH_ISM_E10value_typeET4_T5_PSR_SS_PNS1_23onesweep_lookback_stateEbbT6_jjT7_P12ihipStream_tbENKUlT_T0_SG_SL_E_clIS7_S7_SB_SB_EEDaSZ_S10_SG_SL_EUlSZ_E_NS1_11comp_targetILNS1_3genE8ELNS1_11target_archE1030ELNS1_3gpuE2ELNS1_3repE0EEENS1_47radix_sort_onesweep_sort_config_static_selectorELNS0_4arch9wavefront6targetE1EEEvSG_.has_dyn_sized_stack, 0
	.set _ZN7rocprim17ROCPRIM_400000_NS6detail17trampoline_kernelINS0_14default_configENS1_35radix_sort_onesweep_config_selectorIhlEEZZNS1_29radix_sort_onesweep_iterationIS3_Lb0EPhS7_N6thrust23THRUST_200600_302600_NS10device_ptrIlEESB_jNS0_19identity_decomposerENS1_16block_id_wrapperIjLb0EEEEE10hipError_tT1_PNSt15iterator_traitsISG_E10value_typeET2_T3_PNSH_ISM_E10value_typeET4_T5_PSR_SS_PNS1_23onesweep_lookback_stateEbbT6_jjT7_P12ihipStream_tbENKUlT_T0_SG_SL_E_clIS7_S7_SB_SB_EEDaSZ_S10_SG_SL_EUlSZ_E_NS1_11comp_targetILNS1_3genE8ELNS1_11target_archE1030ELNS1_3gpuE2ELNS1_3repE0EEENS1_47radix_sort_onesweep_sort_config_static_selectorELNS0_4arch9wavefront6targetE1EEEvSG_.has_recursion, 0
	.set _ZN7rocprim17ROCPRIM_400000_NS6detail17trampoline_kernelINS0_14default_configENS1_35radix_sort_onesweep_config_selectorIhlEEZZNS1_29radix_sort_onesweep_iterationIS3_Lb0EPhS7_N6thrust23THRUST_200600_302600_NS10device_ptrIlEESB_jNS0_19identity_decomposerENS1_16block_id_wrapperIjLb0EEEEE10hipError_tT1_PNSt15iterator_traitsISG_E10value_typeET2_T3_PNSH_ISM_E10value_typeET4_T5_PSR_SS_PNS1_23onesweep_lookback_stateEbbT6_jjT7_P12ihipStream_tbENKUlT_T0_SG_SL_E_clIS7_S7_SB_SB_EEDaSZ_S10_SG_SL_EUlSZ_E_NS1_11comp_targetILNS1_3genE8ELNS1_11target_archE1030ELNS1_3gpuE2ELNS1_3repE0EEENS1_47radix_sort_onesweep_sort_config_static_selectorELNS0_4arch9wavefront6targetE1EEEvSG_.has_indirect_call, 0
	.section	.AMDGPU.csdata,"",@progbits
; Kernel info:
; codeLenInByte = 0
; TotalNumSgprs: 4
; NumVgprs: 0
; ScratchSize: 0
; MemoryBound: 0
; FloatMode: 240
; IeeeMode: 1
; LDSByteSize: 0 bytes/workgroup (compile time only)
; SGPRBlocks: 0
; VGPRBlocks: 0
; NumSGPRsForWavesPerEU: 4
; NumVGPRsForWavesPerEU: 1
; Occupancy: 10
; WaveLimiterHint : 0
; COMPUTE_PGM_RSRC2:SCRATCH_EN: 0
; COMPUTE_PGM_RSRC2:USER_SGPR: 6
; COMPUTE_PGM_RSRC2:TRAP_HANDLER: 0
; COMPUTE_PGM_RSRC2:TGID_X_EN: 1
; COMPUTE_PGM_RSRC2:TGID_Y_EN: 0
; COMPUTE_PGM_RSRC2:TGID_Z_EN: 0
; COMPUTE_PGM_RSRC2:TIDIG_COMP_CNT: 0
	.section	.text._ZN7rocprim17ROCPRIM_400000_NS6detail17trampoline_kernelINS0_14default_configENS1_35radix_sort_onesweep_config_selectorIhlEEZZNS1_29radix_sort_onesweep_iterationIS3_Lb0EPhS7_N6thrust23THRUST_200600_302600_NS10device_ptrIlEESB_jNS0_19identity_decomposerENS1_16block_id_wrapperIjLb0EEEEE10hipError_tT1_PNSt15iterator_traitsISG_E10value_typeET2_T3_PNSH_ISM_E10value_typeET4_T5_PSR_SS_PNS1_23onesweep_lookback_stateEbbT6_jjT7_P12ihipStream_tbENKUlT_T0_SG_SL_E_clIS7_S7_SB_PlEEDaSZ_S10_SG_SL_EUlSZ_E_NS1_11comp_targetILNS1_3genE0ELNS1_11target_archE4294967295ELNS1_3gpuE0ELNS1_3repE0EEENS1_47radix_sort_onesweep_sort_config_static_selectorELNS0_4arch9wavefront6targetE1EEEvSG_,"axG",@progbits,_ZN7rocprim17ROCPRIM_400000_NS6detail17trampoline_kernelINS0_14default_configENS1_35radix_sort_onesweep_config_selectorIhlEEZZNS1_29radix_sort_onesweep_iterationIS3_Lb0EPhS7_N6thrust23THRUST_200600_302600_NS10device_ptrIlEESB_jNS0_19identity_decomposerENS1_16block_id_wrapperIjLb0EEEEE10hipError_tT1_PNSt15iterator_traitsISG_E10value_typeET2_T3_PNSH_ISM_E10value_typeET4_T5_PSR_SS_PNS1_23onesweep_lookback_stateEbbT6_jjT7_P12ihipStream_tbENKUlT_T0_SG_SL_E_clIS7_S7_SB_PlEEDaSZ_S10_SG_SL_EUlSZ_E_NS1_11comp_targetILNS1_3genE0ELNS1_11target_archE4294967295ELNS1_3gpuE0ELNS1_3repE0EEENS1_47radix_sort_onesweep_sort_config_static_selectorELNS0_4arch9wavefront6targetE1EEEvSG_,comdat
	.protected	_ZN7rocprim17ROCPRIM_400000_NS6detail17trampoline_kernelINS0_14default_configENS1_35radix_sort_onesweep_config_selectorIhlEEZZNS1_29radix_sort_onesweep_iterationIS3_Lb0EPhS7_N6thrust23THRUST_200600_302600_NS10device_ptrIlEESB_jNS0_19identity_decomposerENS1_16block_id_wrapperIjLb0EEEEE10hipError_tT1_PNSt15iterator_traitsISG_E10value_typeET2_T3_PNSH_ISM_E10value_typeET4_T5_PSR_SS_PNS1_23onesweep_lookback_stateEbbT6_jjT7_P12ihipStream_tbENKUlT_T0_SG_SL_E_clIS7_S7_SB_PlEEDaSZ_S10_SG_SL_EUlSZ_E_NS1_11comp_targetILNS1_3genE0ELNS1_11target_archE4294967295ELNS1_3gpuE0ELNS1_3repE0EEENS1_47radix_sort_onesweep_sort_config_static_selectorELNS0_4arch9wavefront6targetE1EEEvSG_ ; -- Begin function _ZN7rocprim17ROCPRIM_400000_NS6detail17trampoline_kernelINS0_14default_configENS1_35radix_sort_onesweep_config_selectorIhlEEZZNS1_29radix_sort_onesweep_iterationIS3_Lb0EPhS7_N6thrust23THRUST_200600_302600_NS10device_ptrIlEESB_jNS0_19identity_decomposerENS1_16block_id_wrapperIjLb0EEEEE10hipError_tT1_PNSt15iterator_traitsISG_E10value_typeET2_T3_PNSH_ISM_E10value_typeET4_T5_PSR_SS_PNS1_23onesweep_lookback_stateEbbT6_jjT7_P12ihipStream_tbENKUlT_T0_SG_SL_E_clIS7_S7_SB_PlEEDaSZ_S10_SG_SL_EUlSZ_E_NS1_11comp_targetILNS1_3genE0ELNS1_11target_archE4294967295ELNS1_3gpuE0ELNS1_3repE0EEENS1_47radix_sort_onesweep_sort_config_static_selectorELNS0_4arch9wavefront6targetE1EEEvSG_
	.globl	_ZN7rocprim17ROCPRIM_400000_NS6detail17trampoline_kernelINS0_14default_configENS1_35radix_sort_onesweep_config_selectorIhlEEZZNS1_29radix_sort_onesweep_iterationIS3_Lb0EPhS7_N6thrust23THRUST_200600_302600_NS10device_ptrIlEESB_jNS0_19identity_decomposerENS1_16block_id_wrapperIjLb0EEEEE10hipError_tT1_PNSt15iterator_traitsISG_E10value_typeET2_T3_PNSH_ISM_E10value_typeET4_T5_PSR_SS_PNS1_23onesweep_lookback_stateEbbT6_jjT7_P12ihipStream_tbENKUlT_T0_SG_SL_E_clIS7_S7_SB_PlEEDaSZ_S10_SG_SL_EUlSZ_E_NS1_11comp_targetILNS1_3genE0ELNS1_11target_archE4294967295ELNS1_3gpuE0ELNS1_3repE0EEENS1_47radix_sort_onesweep_sort_config_static_selectorELNS0_4arch9wavefront6targetE1EEEvSG_
	.p2align	8
	.type	_ZN7rocprim17ROCPRIM_400000_NS6detail17trampoline_kernelINS0_14default_configENS1_35radix_sort_onesweep_config_selectorIhlEEZZNS1_29radix_sort_onesweep_iterationIS3_Lb0EPhS7_N6thrust23THRUST_200600_302600_NS10device_ptrIlEESB_jNS0_19identity_decomposerENS1_16block_id_wrapperIjLb0EEEEE10hipError_tT1_PNSt15iterator_traitsISG_E10value_typeET2_T3_PNSH_ISM_E10value_typeET4_T5_PSR_SS_PNS1_23onesweep_lookback_stateEbbT6_jjT7_P12ihipStream_tbENKUlT_T0_SG_SL_E_clIS7_S7_SB_PlEEDaSZ_S10_SG_SL_EUlSZ_E_NS1_11comp_targetILNS1_3genE0ELNS1_11target_archE4294967295ELNS1_3gpuE0ELNS1_3repE0EEENS1_47radix_sort_onesweep_sort_config_static_selectorELNS0_4arch9wavefront6targetE1EEEvSG_,@function
_ZN7rocprim17ROCPRIM_400000_NS6detail17trampoline_kernelINS0_14default_configENS1_35radix_sort_onesweep_config_selectorIhlEEZZNS1_29radix_sort_onesweep_iterationIS3_Lb0EPhS7_N6thrust23THRUST_200600_302600_NS10device_ptrIlEESB_jNS0_19identity_decomposerENS1_16block_id_wrapperIjLb0EEEEE10hipError_tT1_PNSt15iterator_traitsISG_E10value_typeET2_T3_PNSH_ISM_E10value_typeET4_T5_PSR_SS_PNS1_23onesweep_lookback_stateEbbT6_jjT7_P12ihipStream_tbENKUlT_T0_SG_SL_E_clIS7_S7_SB_PlEEDaSZ_S10_SG_SL_EUlSZ_E_NS1_11comp_targetILNS1_3genE0ELNS1_11target_archE4294967295ELNS1_3gpuE0ELNS1_3repE0EEENS1_47radix_sort_onesweep_sort_config_static_selectorELNS0_4arch9wavefront6targetE1EEEvSG_: ; @_ZN7rocprim17ROCPRIM_400000_NS6detail17trampoline_kernelINS0_14default_configENS1_35radix_sort_onesweep_config_selectorIhlEEZZNS1_29radix_sort_onesweep_iterationIS3_Lb0EPhS7_N6thrust23THRUST_200600_302600_NS10device_ptrIlEESB_jNS0_19identity_decomposerENS1_16block_id_wrapperIjLb0EEEEE10hipError_tT1_PNSt15iterator_traitsISG_E10value_typeET2_T3_PNSH_ISM_E10value_typeET4_T5_PSR_SS_PNS1_23onesweep_lookback_stateEbbT6_jjT7_P12ihipStream_tbENKUlT_T0_SG_SL_E_clIS7_S7_SB_PlEEDaSZ_S10_SG_SL_EUlSZ_E_NS1_11comp_targetILNS1_3genE0ELNS1_11target_archE4294967295ELNS1_3gpuE0ELNS1_3repE0EEENS1_47radix_sort_onesweep_sort_config_static_selectorELNS0_4arch9wavefront6targetE1EEEvSG_
; %bb.0:
	.section	.rodata,"a",@progbits
	.p2align	6, 0x0
	.amdhsa_kernel _ZN7rocprim17ROCPRIM_400000_NS6detail17trampoline_kernelINS0_14default_configENS1_35radix_sort_onesweep_config_selectorIhlEEZZNS1_29radix_sort_onesweep_iterationIS3_Lb0EPhS7_N6thrust23THRUST_200600_302600_NS10device_ptrIlEESB_jNS0_19identity_decomposerENS1_16block_id_wrapperIjLb0EEEEE10hipError_tT1_PNSt15iterator_traitsISG_E10value_typeET2_T3_PNSH_ISM_E10value_typeET4_T5_PSR_SS_PNS1_23onesweep_lookback_stateEbbT6_jjT7_P12ihipStream_tbENKUlT_T0_SG_SL_E_clIS7_S7_SB_PlEEDaSZ_S10_SG_SL_EUlSZ_E_NS1_11comp_targetILNS1_3genE0ELNS1_11target_archE4294967295ELNS1_3gpuE0ELNS1_3repE0EEENS1_47radix_sort_onesweep_sort_config_static_selectorELNS0_4arch9wavefront6targetE1EEEvSG_
		.amdhsa_group_segment_fixed_size 0
		.amdhsa_private_segment_fixed_size 0
		.amdhsa_kernarg_size 88
		.amdhsa_user_sgpr_count 6
		.amdhsa_user_sgpr_private_segment_buffer 1
		.amdhsa_user_sgpr_dispatch_ptr 0
		.amdhsa_user_sgpr_queue_ptr 0
		.amdhsa_user_sgpr_kernarg_segment_ptr 1
		.amdhsa_user_sgpr_dispatch_id 0
		.amdhsa_user_sgpr_flat_scratch_init 0
		.amdhsa_user_sgpr_private_segment_size 0
		.amdhsa_uses_dynamic_stack 0
		.amdhsa_system_sgpr_private_segment_wavefront_offset 0
		.amdhsa_system_sgpr_workgroup_id_x 1
		.amdhsa_system_sgpr_workgroup_id_y 0
		.amdhsa_system_sgpr_workgroup_id_z 0
		.amdhsa_system_sgpr_workgroup_info 0
		.amdhsa_system_vgpr_workitem_id 0
		.amdhsa_next_free_vgpr 1
		.amdhsa_next_free_sgpr 0
		.amdhsa_reserve_vcc 0
		.amdhsa_reserve_flat_scratch 0
		.amdhsa_float_round_mode_32 0
		.amdhsa_float_round_mode_16_64 0
		.amdhsa_float_denorm_mode_32 3
		.amdhsa_float_denorm_mode_16_64 3
		.amdhsa_dx10_clamp 1
		.amdhsa_ieee_mode 1
		.amdhsa_fp16_overflow 0
		.amdhsa_exception_fp_ieee_invalid_op 0
		.amdhsa_exception_fp_denorm_src 0
		.amdhsa_exception_fp_ieee_div_zero 0
		.amdhsa_exception_fp_ieee_overflow 0
		.amdhsa_exception_fp_ieee_underflow 0
		.amdhsa_exception_fp_ieee_inexact 0
		.amdhsa_exception_int_div_zero 0
	.end_amdhsa_kernel
	.section	.text._ZN7rocprim17ROCPRIM_400000_NS6detail17trampoline_kernelINS0_14default_configENS1_35radix_sort_onesweep_config_selectorIhlEEZZNS1_29radix_sort_onesweep_iterationIS3_Lb0EPhS7_N6thrust23THRUST_200600_302600_NS10device_ptrIlEESB_jNS0_19identity_decomposerENS1_16block_id_wrapperIjLb0EEEEE10hipError_tT1_PNSt15iterator_traitsISG_E10value_typeET2_T3_PNSH_ISM_E10value_typeET4_T5_PSR_SS_PNS1_23onesweep_lookback_stateEbbT6_jjT7_P12ihipStream_tbENKUlT_T0_SG_SL_E_clIS7_S7_SB_PlEEDaSZ_S10_SG_SL_EUlSZ_E_NS1_11comp_targetILNS1_3genE0ELNS1_11target_archE4294967295ELNS1_3gpuE0ELNS1_3repE0EEENS1_47radix_sort_onesweep_sort_config_static_selectorELNS0_4arch9wavefront6targetE1EEEvSG_,"axG",@progbits,_ZN7rocprim17ROCPRIM_400000_NS6detail17trampoline_kernelINS0_14default_configENS1_35radix_sort_onesweep_config_selectorIhlEEZZNS1_29radix_sort_onesweep_iterationIS3_Lb0EPhS7_N6thrust23THRUST_200600_302600_NS10device_ptrIlEESB_jNS0_19identity_decomposerENS1_16block_id_wrapperIjLb0EEEEE10hipError_tT1_PNSt15iterator_traitsISG_E10value_typeET2_T3_PNSH_ISM_E10value_typeET4_T5_PSR_SS_PNS1_23onesweep_lookback_stateEbbT6_jjT7_P12ihipStream_tbENKUlT_T0_SG_SL_E_clIS7_S7_SB_PlEEDaSZ_S10_SG_SL_EUlSZ_E_NS1_11comp_targetILNS1_3genE0ELNS1_11target_archE4294967295ELNS1_3gpuE0ELNS1_3repE0EEENS1_47radix_sort_onesweep_sort_config_static_selectorELNS0_4arch9wavefront6targetE1EEEvSG_,comdat
.Lfunc_end300:
	.size	_ZN7rocprim17ROCPRIM_400000_NS6detail17trampoline_kernelINS0_14default_configENS1_35radix_sort_onesweep_config_selectorIhlEEZZNS1_29radix_sort_onesweep_iterationIS3_Lb0EPhS7_N6thrust23THRUST_200600_302600_NS10device_ptrIlEESB_jNS0_19identity_decomposerENS1_16block_id_wrapperIjLb0EEEEE10hipError_tT1_PNSt15iterator_traitsISG_E10value_typeET2_T3_PNSH_ISM_E10value_typeET4_T5_PSR_SS_PNS1_23onesweep_lookback_stateEbbT6_jjT7_P12ihipStream_tbENKUlT_T0_SG_SL_E_clIS7_S7_SB_PlEEDaSZ_S10_SG_SL_EUlSZ_E_NS1_11comp_targetILNS1_3genE0ELNS1_11target_archE4294967295ELNS1_3gpuE0ELNS1_3repE0EEENS1_47radix_sort_onesweep_sort_config_static_selectorELNS0_4arch9wavefront6targetE1EEEvSG_, .Lfunc_end300-_ZN7rocprim17ROCPRIM_400000_NS6detail17trampoline_kernelINS0_14default_configENS1_35radix_sort_onesweep_config_selectorIhlEEZZNS1_29radix_sort_onesweep_iterationIS3_Lb0EPhS7_N6thrust23THRUST_200600_302600_NS10device_ptrIlEESB_jNS0_19identity_decomposerENS1_16block_id_wrapperIjLb0EEEEE10hipError_tT1_PNSt15iterator_traitsISG_E10value_typeET2_T3_PNSH_ISM_E10value_typeET4_T5_PSR_SS_PNS1_23onesweep_lookback_stateEbbT6_jjT7_P12ihipStream_tbENKUlT_T0_SG_SL_E_clIS7_S7_SB_PlEEDaSZ_S10_SG_SL_EUlSZ_E_NS1_11comp_targetILNS1_3genE0ELNS1_11target_archE4294967295ELNS1_3gpuE0ELNS1_3repE0EEENS1_47radix_sort_onesweep_sort_config_static_selectorELNS0_4arch9wavefront6targetE1EEEvSG_
                                        ; -- End function
	.set _ZN7rocprim17ROCPRIM_400000_NS6detail17trampoline_kernelINS0_14default_configENS1_35radix_sort_onesweep_config_selectorIhlEEZZNS1_29radix_sort_onesweep_iterationIS3_Lb0EPhS7_N6thrust23THRUST_200600_302600_NS10device_ptrIlEESB_jNS0_19identity_decomposerENS1_16block_id_wrapperIjLb0EEEEE10hipError_tT1_PNSt15iterator_traitsISG_E10value_typeET2_T3_PNSH_ISM_E10value_typeET4_T5_PSR_SS_PNS1_23onesweep_lookback_stateEbbT6_jjT7_P12ihipStream_tbENKUlT_T0_SG_SL_E_clIS7_S7_SB_PlEEDaSZ_S10_SG_SL_EUlSZ_E_NS1_11comp_targetILNS1_3genE0ELNS1_11target_archE4294967295ELNS1_3gpuE0ELNS1_3repE0EEENS1_47radix_sort_onesweep_sort_config_static_selectorELNS0_4arch9wavefront6targetE1EEEvSG_.num_vgpr, 0
	.set _ZN7rocprim17ROCPRIM_400000_NS6detail17trampoline_kernelINS0_14default_configENS1_35radix_sort_onesweep_config_selectorIhlEEZZNS1_29radix_sort_onesweep_iterationIS3_Lb0EPhS7_N6thrust23THRUST_200600_302600_NS10device_ptrIlEESB_jNS0_19identity_decomposerENS1_16block_id_wrapperIjLb0EEEEE10hipError_tT1_PNSt15iterator_traitsISG_E10value_typeET2_T3_PNSH_ISM_E10value_typeET4_T5_PSR_SS_PNS1_23onesweep_lookback_stateEbbT6_jjT7_P12ihipStream_tbENKUlT_T0_SG_SL_E_clIS7_S7_SB_PlEEDaSZ_S10_SG_SL_EUlSZ_E_NS1_11comp_targetILNS1_3genE0ELNS1_11target_archE4294967295ELNS1_3gpuE0ELNS1_3repE0EEENS1_47radix_sort_onesweep_sort_config_static_selectorELNS0_4arch9wavefront6targetE1EEEvSG_.num_agpr, 0
	.set _ZN7rocprim17ROCPRIM_400000_NS6detail17trampoline_kernelINS0_14default_configENS1_35radix_sort_onesweep_config_selectorIhlEEZZNS1_29radix_sort_onesweep_iterationIS3_Lb0EPhS7_N6thrust23THRUST_200600_302600_NS10device_ptrIlEESB_jNS0_19identity_decomposerENS1_16block_id_wrapperIjLb0EEEEE10hipError_tT1_PNSt15iterator_traitsISG_E10value_typeET2_T3_PNSH_ISM_E10value_typeET4_T5_PSR_SS_PNS1_23onesweep_lookback_stateEbbT6_jjT7_P12ihipStream_tbENKUlT_T0_SG_SL_E_clIS7_S7_SB_PlEEDaSZ_S10_SG_SL_EUlSZ_E_NS1_11comp_targetILNS1_3genE0ELNS1_11target_archE4294967295ELNS1_3gpuE0ELNS1_3repE0EEENS1_47radix_sort_onesweep_sort_config_static_selectorELNS0_4arch9wavefront6targetE1EEEvSG_.numbered_sgpr, 0
	.set _ZN7rocprim17ROCPRIM_400000_NS6detail17trampoline_kernelINS0_14default_configENS1_35radix_sort_onesweep_config_selectorIhlEEZZNS1_29radix_sort_onesweep_iterationIS3_Lb0EPhS7_N6thrust23THRUST_200600_302600_NS10device_ptrIlEESB_jNS0_19identity_decomposerENS1_16block_id_wrapperIjLb0EEEEE10hipError_tT1_PNSt15iterator_traitsISG_E10value_typeET2_T3_PNSH_ISM_E10value_typeET4_T5_PSR_SS_PNS1_23onesweep_lookback_stateEbbT6_jjT7_P12ihipStream_tbENKUlT_T0_SG_SL_E_clIS7_S7_SB_PlEEDaSZ_S10_SG_SL_EUlSZ_E_NS1_11comp_targetILNS1_3genE0ELNS1_11target_archE4294967295ELNS1_3gpuE0ELNS1_3repE0EEENS1_47radix_sort_onesweep_sort_config_static_selectorELNS0_4arch9wavefront6targetE1EEEvSG_.num_named_barrier, 0
	.set _ZN7rocprim17ROCPRIM_400000_NS6detail17trampoline_kernelINS0_14default_configENS1_35radix_sort_onesweep_config_selectorIhlEEZZNS1_29radix_sort_onesweep_iterationIS3_Lb0EPhS7_N6thrust23THRUST_200600_302600_NS10device_ptrIlEESB_jNS0_19identity_decomposerENS1_16block_id_wrapperIjLb0EEEEE10hipError_tT1_PNSt15iterator_traitsISG_E10value_typeET2_T3_PNSH_ISM_E10value_typeET4_T5_PSR_SS_PNS1_23onesweep_lookback_stateEbbT6_jjT7_P12ihipStream_tbENKUlT_T0_SG_SL_E_clIS7_S7_SB_PlEEDaSZ_S10_SG_SL_EUlSZ_E_NS1_11comp_targetILNS1_3genE0ELNS1_11target_archE4294967295ELNS1_3gpuE0ELNS1_3repE0EEENS1_47radix_sort_onesweep_sort_config_static_selectorELNS0_4arch9wavefront6targetE1EEEvSG_.private_seg_size, 0
	.set _ZN7rocprim17ROCPRIM_400000_NS6detail17trampoline_kernelINS0_14default_configENS1_35radix_sort_onesweep_config_selectorIhlEEZZNS1_29radix_sort_onesweep_iterationIS3_Lb0EPhS7_N6thrust23THRUST_200600_302600_NS10device_ptrIlEESB_jNS0_19identity_decomposerENS1_16block_id_wrapperIjLb0EEEEE10hipError_tT1_PNSt15iterator_traitsISG_E10value_typeET2_T3_PNSH_ISM_E10value_typeET4_T5_PSR_SS_PNS1_23onesweep_lookback_stateEbbT6_jjT7_P12ihipStream_tbENKUlT_T0_SG_SL_E_clIS7_S7_SB_PlEEDaSZ_S10_SG_SL_EUlSZ_E_NS1_11comp_targetILNS1_3genE0ELNS1_11target_archE4294967295ELNS1_3gpuE0ELNS1_3repE0EEENS1_47radix_sort_onesweep_sort_config_static_selectorELNS0_4arch9wavefront6targetE1EEEvSG_.uses_vcc, 0
	.set _ZN7rocprim17ROCPRIM_400000_NS6detail17trampoline_kernelINS0_14default_configENS1_35radix_sort_onesweep_config_selectorIhlEEZZNS1_29radix_sort_onesweep_iterationIS3_Lb0EPhS7_N6thrust23THRUST_200600_302600_NS10device_ptrIlEESB_jNS0_19identity_decomposerENS1_16block_id_wrapperIjLb0EEEEE10hipError_tT1_PNSt15iterator_traitsISG_E10value_typeET2_T3_PNSH_ISM_E10value_typeET4_T5_PSR_SS_PNS1_23onesweep_lookback_stateEbbT6_jjT7_P12ihipStream_tbENKUlT_T0_SG_SL_E_clIS7_S7_SB_PlEEDaSZ_S10_SG_SL_EUlSZ_E_NS1_11comp_targetILNS1_3genE0ELNS1_11target_archE4294967295ELNS1_3gpuE0ELNS1_3repE0EEENS1_47radix_sort_onesweep_sort_config_static_selectorELNS0_4arch9wavefront6targetE1EEEvSG_.uses_flat_scratch, 0
	.set _ZN7rocprim17ROCPRIM_400000_NS6detail17trampoline_kernelINS0_14default_configENS1_35radix_sort_onesweep_config_selectorIhlEEZZNS1_29radix_sort_onesweep_iterationIS3_Lb0EPhS7_N6thrust23THRUST_200600_302600_NS10device_ptrIlEESB_jNS0_19identity_decomposerENS1_16block_id_wrapperIjLb0EEEEE10hipError_tT1_PNSt15iterator_traitsISG_E10value_typeET2_T3_PNSH_ISM_E10value_typeET4_T5_PSR_SS_PNS1_23onesweep_lookback_stateEbbT6_jjT7_P12ihipStream_tbENKUlT_T0_SG_SL_E_clIS7_S7_SB_PlEEDaSZ_S10_SG_SL_EUlSZ_E_NS1_11comp_targetILNS1_3genE0ELNS1_11target_archE4294967295ELNS1_3gpuE0ELNS1_3repE0EEENS1_47radix_sort_onesweep_sort_config_static_selectorELNS0_4arch9wavefront6targetE1EEEvSG_.has_dyn_sized_stack, 0
	.set _ZN7rocprim17ROCPRIM_400000_NS6detail17trampoline_kernelINS0_14default_configENS1_35radix_sort_onesweep_config_selectorIhlEEZZNS1_29radix_sort_onesweep_iterationIS3_Lb0EPhS7_N6thrust23THRUST_200600_302600_NS10device_ptrIlEESB_jNS0_19identity_decomposerENS1_16block_id_wrapperIjLb0EEEEE10hipError_tT1_PNSt15iterator_traitsISG_E10value_typeET2_T3_PNSH_ISM_E10value_typeET4_T5_PSR_SS_PNS1_23onesweep_lookback_stateEbbT6_jjT7_P12ihipStream_tbENKUlT_T0_SG_SL_E_clIS7_S7_SB_PlEEDaSZ_S10_SG_SL_EUlSZ_E_NS1_11comp_targetILNS1_3genE0ELNS1_11target_archE4294967295ELNS1_3gpuE0ELNS1_3repE0EEENS1_47radix_sort_onesweep_sort_config_static_selectorELNS0_4arch9wavefront6targetE1EEEvSG_.has_recursion, 0
	.set _ZN7rocprim17ROCPRIM_400000_NS6detail17trampoline_kernelINS0_14default_configENS1_35radix_sort_onesweep_config_selectorIhlEEZZNS1_29radix_sort_onesweep_iterationIS3_Lb0EPhS7_N6thrust23THRUST_200600_302600_NS10device_ptrIlEESB_jNS0_19identity_decomposerENS1_16block_id_wrapperIjLb0EEEEE10hipError_tT1_PNSt15iterator_traitsISG_E10value_typeET2_T3_PNSH_ISM_E10value_typeET4_T5_PSR_SS_PNS1_23onesweep_lookback_stateEbbT6_jjT7_P12ihipStream_tbENKUlT_T0_SG_SL_E_clIS7_S7_SB_PlEEDaSZ_S10_SG_SL_EUlSZ_E_NS1_11comp_targetILNS1_3genE0ELNS1_11target_archE4294967295ELNS1_3gpuE0ELNS1_3repE0EEENS1_47radix_sort_onesweep_sort_config_static_selectorELNS0_4arch9wavefront6targetE1EEEvSG_.has_indirect_call, 0
	.section	.AMDGPU.csdata,"",@progbits
; Kernel info:
; codeLenInByte = 0
; TotalNumSgprs: 4
; NumVgprs: 0
; ScratchSize: 0
; MemoryBound: 0
; FloatMode: 240
; IeeeMode: 1
; LDSByteSize: 0 bytes/workgroup (compile time only)
; SGPRBlocks: 0
; VGPRBlocks: 0
; NumSGPRsForWavesPerEU: 4
; NumVGPRsForWavesPerEU: 1
; Occupancy: 10
; WaveLimiterHint : 0
; COMPUTE_PGM_RSRC2:SCRATCH_EN: 0
; COMPUTE_PGM_RSRC2:USER_SGPR: 6
; COMPUTE_PGM_RSRC2:TRAP_HANDLER: 0
; COMPUTE_PGM_RSRC2:TGID_X_EN: 1
; COMPUTE_PGM_RSRC2:TGID_Y_EN: 0
; COMPUTE_PGM_RSRC2:TGID_Z_EN: 0
; COMPUTE_PGM_RSRC2:TIDIG_COMP_CNT: 0
	.section	.text._ZN7rocprim17ROCPRIM_400000_NS6detail17trampoline_kernelINS0_14default_configENS1_35radix_sort_onesweep_config_selectorIhlEEZZNS1_29radix_sort_onesweep_iterationIS3_Lb0EPhS7_N6thrust23THRUST_200600_302600_NS10device_ptrIlEESB_jNS0_19identity_decomposerENS1_16block_id_wrapperIjLb0EEEEE10hipError_tT1_PNSt15iterator_traitsISG_E10value_typeET2_T3_PNSH_ISM_E10value_typeET4_T5_PSR_SS_PNS1_23onesweep_lookback_stateEbbT6_jjT7_P12ihipStream_tbENKUlT_T0_SG_SL_E_clIS7_S7_SB_PlEEDaSZ_S10_SG_SL_EUlSZ_E_NS1_11comp_targetILNS1_3genE6ELNS1_11target_archE950ELNS1_3gpuE13ELNS1_3repE0EEENS1_47radix_sort_onesweep_sort_config_static_selectorELNS0_4arch9wavefront6targetE1EEEvSG_,"axG",@progbits,_ZN7rocprim17ROCPRIM_400000_NS6detail17trampoline_kernelINS0_14default_configENS1_35radix_sort_onesweep_config_selectorIhlEEZZNS1_29radix_sort_onesweep_iterationIS3_Lb0EPhS7_N6thrust23THRUST_200600_302600_NS10device_ptrIlEESB_jNS0_19identity_decomposerENS1_16block_id_wrapperIjLb0EEEEE10hipError_tT1_PNSt15iterator_traitsISG_E10value_typeET2_T3_PNSH_ISM_E10value_typeET4_T5_PSR_SS_PNS1_23onesweep_lookback_stateEbbT6_jjT7_P12ihipStream_tbENKUlT_T0_SG_SL_E_clIS7_S7_SB_PlEEDaSZ_S10_SG_SL_EUlSZ_E_NS1_11comp_targetILNS1_3genE6ELNS1_11target_archE950ELNS1_3gpuE13ELNS1_3repE0EEENS1_47radix_sort_onesweep_sort_config_static_selectorELNS0_4arch9wavefront6targetE1EEEvSG_,comdat
	.protected	_ZN7rocprim17ROCPRIM_400000_NS6detail17trampoline_kernelINS0_14default_configENS1_35radix_sort_onesweep_config_selectorIhlEEZZNS1_29radix_sort_onesweep_iterationIS3_Lb0EPhS7_N6thrust23THRUST_200600_302600_NS10device_ptrIlEESB_jNS0_19identity_decomposerENS1_16block_id_wrapperIjLb0EEEEE10hipError_tT1_PNSt15iterator_traitsISG_E10value_typeET2_T3_PNSH_ISM_E10value_typeET4_T5_PSR_SS_PNS1_23onesweep_lookback_stateEbbT6_jjT7_P12ihipStream_tbENKUlT_T0_SG_SL_E_clIS7_S7_SB_PlEEDaSZ_S10_SG_SL_EUlSZ_E_NS1_11comp_targetILNS1_3genE6ELNS1_11target_archE950ELNS1_3gpuE13ELNS1_3repE0EEENS1_47radix_sort_onesweep_sort_config_static_selectorELNS0_4arch9wavefront6targetE1EEEvSG_ ; -- Begin function _ZN7rocprim17ROCPRIM_400000_NS6detail17trampoline_kernelINS0_14default_configENS1_35radix_sort_onesweep_config_selectorIhlEEZZNS1_29radix_sort_onesweep_iterationIS3_Lb0EPhS7_N6thrust23THRUST_200600_302600_NS10device_ptrIlEESB_jNS0_19identity_decomposerENS1_16block_id_wrapperIjLb0EEEEE10hipError_tT1_PNSt15iterator_traitsISG_E10value_typeET2_T3_PNSH_ISM_E10value_typeET4_T5_PSR_SS_PNS1_23onesweep_lookback_stateEbbT6_jjT7_P12ihipStream_tbENKUlT_T0_SG_SL_E_clIS7_S7_SB_PlEEDaSZ_S10_SG_SL_EUlSZ_E_NS1_11comp_targetILNS1_3genE6ELNS1_11target_archE950ELNS1_3gpuE13ELNS1_3repE0EEENS1_47radix_sort_onesweep_sort_config_static_selectorELNS0_4arch9wavefront6targetE1EEEvSG_
	.globl	_ZN7rocprim17ROCPRIM_400000_NS6detail17trampoline_kernelINS0_14default_configENS1_35radix_sort_onesweep_config_selectorIhlEEZZNS1_29radix_sort_onesweep_iterationIS3_Lb0EPhS7_N6thrust23THRUST_200600_302600_NS10device_ptrIlEESB_jNS0_19identity_decomposerENS1_16block_id_wrapperIjLb0EEEEE10hipError_tT1_PNSt15iterator_traitsISG_E10value_typeET2_T3_PNSH_ISM_E10value_typeET4_T5_PSR_SS_PNS1_23onesweep_lookback_stateEbbT6_jjT7_P12ihipStream_tbENKUlT_T0_SG_SL_E_clIS7_S7_SB_PlEEDaSZ_S10_SG_SL_EUlSZ_E_NS1_11comp_targetILNS1_3genE6ELNS1_11target_archE950ELNS1_3gpuE13ELNS1_3repE0EEENS1_47radix_sort_onesweep_sort_config_static_selectorELNS0_4arch9wavefront6targetE1EEEvSG_
	.p2align	8
	.type	_ZN7rocprim17ROCPRIM_400000_NS6detail17trampoline_kernelINS0_14default_configENS1_35radix_sort_onesweep_config_selectorIhlEEZZNS1_29radix_sort_onesweep_iterationIS3_Lb0EPhS7_N6thrust23THRUST_200600_302600_NS10device_ptrIlEESB_jNS0_19identity_decomposerENS1_16block_id_wrapperIjLb0EEEEE10hipError_tT1_PNSt15iterator_traitsISG_E10value_typeET2_T3_PNSH_ISM_E10value_typeET4_T5_PSR_SS_PNS1_23onesweep_lookback_stateEbbT6_jjT7_P12ihipStream_tbENKUlT_T0_SG_SL_E_clIS7_S7_SB_PlEEDaSZ_S10_SG_SL_EUlSZ_E_NS1_11comp_targetILNS1_3genE6ELNS1_11target_archE950ELNS1_3gpuE13ELNS1_3repE0EEENS1_47radix_sort_onesweep_sort_config_static_selectorELNS0_4arch9wavefront6targetE1EEEvSG_,@function
_ZN7rocprim17ROCPRIM_400000_NS6detail17trampoline_kernelINS0_14default_configENS1_35radix_sort_onesweep_config_selectorIhlEEZZNS1_29radix_sort_onesweep_iterationIS3_Lb0EPhS7_N6thrust23THRUST_200600_302600_NS10device_ptrIlEESB_jNS0_19identity_decomposerENS1_16block_id_wrapperIjLb0EEEEE10hipError_tT1_PNSt15iterator_traitsISG_E10value_typeET2_T3_PNSH_ISM_E10value_typeET4_T5_PSR_SS_PNS1_23onesweep_lookback_stateEbbT6_jjT7_P12ihipStream_tbENKUlT_T0_SG_SL_E_clIS7_S7_SB_PlEEDaSZ_S10_SG_SL_EUlSZ_E_NS1_11comp_targetILNS1_3genE6ELNS1_11target_archE950ELNS1_3gpuE13ELNS1_3repE0EEENS1_47radix_sort_onesweep_sort_config_static_selectorELNS0_4arch9wavefront6targetE1EEEvSG_: ; @_ZN7rocprim17ROCPRIM_400000_NS6detail17trampoline_kernelINS0_14default_configENS1_35radix_sort_onesweep_config_selectorIhlEEZZNS1_29radix_sort_onesweep_iterationIS3_Lb0EPhS7_N6thrust23THRUST_200600_302600_NS10device_ptrIlEESB_jNS0_19identity_decomposerENS1_16block_id_wrapperIjLb0EEEEE10hipError_tT1_PNSt15iterator_traitsISG_E10value_typeET2_T3_PNSH_ISM_E10value_typeET4_T5_PSR_SS_PNS1_23onesweep_lookback_stateEbbT6_jjT7_P12ihipStream_tbENKUlT_T0_SG_SL_E_clIS7_S7_SB_PlEEDaSZ_S10_SG_SL_EUlSZ_E_NS1_11comp_targetILNS1_3genE6ELNS1_11target_archE950ELNS1_3gpuE13ELNS1_3repE0EEENS1_47radix_sort_onesweep_sort_config_static_selectorELNS0_4arch9wavefront6targetE1EEEvSG_
; %bb.0:
	.section	.rodata,"a",@progbits
	.p2align	6, 0x0
	.amdhsa_kernel _ZN7rocprim17ROCPRIM_400000_NS6detail17trampoline_kernelINS0_14default_configENS1_35radix_sort_onesweep_config_selectorIhlEEZZNS1_29radix_sort_onesweep_iterationIS3_Lb0EPhS7_N6thrust23THRUST_200600_302600_NS10device_ptrIlEESB_jNS0_19identity_decomposerENS1_16block_id_wrapperIjLb0EEEEE10hipError_tT1_PNSt15iterator_traitsISG_E10value_typeET2_T3_PNSH_ISM_E10value_typeET4_T5_PSR_SS_PNS1_23onesweep_lookback_stateEbbT6_jjT7_P12ihipStream_tbENKUlT_T0_SG_SL_E_clIS7_S7_SB_PlEEDaSZ_S10_SG_SL_EUlSZ_E_NS1_11comp_targetILNS1_3genE6ELNS1_11target_archE950ELNS1_3gpuE13ELNS1_3repE0EEENS1_47radix_sort_onesweep_sort_config_static_selectorELNS0_4arch9wavefront6targetE1EEEvSG_
		.amdhsa_group_segment_fixed_size 0
		.amdhsa_private_segment_fixed_size 0
		.amdhsa_kernarg_size 88
		.amdhsa_user_sgpr_count 6
		.amdhsa_user_sgpr_private_segment_buffer 1
		.amdhsa_user_sgpr_dispatch_ptr 0
		.amdhsa_user_sgpr_queue_ptr 0
		.amdhsa_user_sgpr_kernarg_segment_ptr 1
		.amdhsa_user_sgpr_dispatch_id 0
		.amdhsa_user_sgpr_flat_scratch_init 0
		.amdhsa_user_sgpr_private_segment_size 0
		.amdhsa_uses_dynamic_stack 0
		.amdhsa_system_sgpr_private_segment_wavefront_offset 0
		.amdhsa_system_sgpr_workgroup_id_x 1
		.amdhsa_system_sgpr_workgroup_id_y 0
		.amdhsa_system_sgpr_workgroup_id_z 0
		.amdhsa_system_sgpr_workgroup_info 0
		.amdhsa_system_vgpr_workitem_id 0
		.amdhsa_next_free_vgpr 1
		.amdhsa_next_free_sgpr 0
		.amdhsa_reserve_vcc 0
		.amdhsa_reserve_flat_scratch 0
		.amdhsa_float_round_mode_32 0
		.amdhsa_float_round_mode_16_64 0
		.amdhsa_float_denorm_mode_32 3
		.amdhsa_float_denorm_mode_16_64 3
		.amdhsa_dx10_clamp 1
		.amdhsa_ieee_mode 1
		.amdhsa_fp16_overflow 0
		.amdhsa_exception_fp_ieee_invalid_op 0
		.amdhsa_exception_fp_denorm_src 0
		.amdhsa_exception_fp_ieee_div_zero 0
		.amdhsa_exception_fp_ieee_overflow 0
		.amdhsa_exception_fp_ieee_underflow 0
		.amdhsa_exception_fp_ieee_inexact 0
		.amdhsa_exception_int_div_zero 0
	.end_amdhsa_kernel
	.section	.text._ZN7rocprim17ROCPRIM_400000_NS6detail17trampoline_kernelINS0_14default_configENS1_35radix_sort_onesweep_config_selectorIhlEEZZNS1_29radix_sort_onesweep_iterationIS3_Lb0EPhS7_N6thrust23THRUST_200600_302600_NS10device_ptrIlEESB_jNS0_19identity_decomposerENS1_16block_id_wrapperIjLb0EEEEE10hipError_tT1_PNSt15iterator_traitsISG_E10value_typeET2_T3_PNSH_ISM_E10value_typeET4_T5_PSR_SS_PNS1_23onesweep_lookback_stateEbbT6_jjT7_P12ihipStream_tbENKUlT_T0_SG_SL_E_clIS7_S7_SB_PlEEDaSZ_S10_SG_SL_EUlSZ_E_NS1_11comp_targetILNS1_3genE6ELNS1_11target_archE950ELNS1_3gpuE13ELNS1_3repE0EEENS1_47radix_sort_onesweep_sort_config_static_selectorELNS0_4arch9wavefront6targetE1EEEvSG_,"axG",@progbits,_ZN7rocprim17ROCPRIM_400000_NS6detail17trampoline_kernelINS0_14default_configENS1_35radix_sort_onesweep_config_selectorIhlEEZZNS1_29radix_sort_onesweep_iterationIS3_Lb0EPhS7_N6thrust23THRUST_200600_302600_NS10device_ptrIlEESB_jNS0_19identity_decomposerENS1_16block_id_wrapperIjLb0EEEEE10hipError_tT1_PNSt15iterator_traitsISG_E10value_typeET2_T3_PNSH_ISM_E10value_typeET4_T5_PSR_SS_PNS1_23onesweep_lookback_stateEbbT6_jjT7_P12ihipStream_tbENKUlT_T0_SG_SL_E_clIS7_S7_SB_PlEEDaSZ_S10_SG_SL_EUlSZ_E_NS1_11comp_targetILNS1_3genE6ELNS1_11target_archE950ELNS1_3gpuE13ELNS1_3repE0EEENS1_47radix_sort_onesweep_sort_config_static_selectorELNS0_4arch9wavefront6targetE1EEEvSG_,comdat
.Lfunc_end301:
	.size	_ZN7rocprim17ROCPRIM_400000_NS6detail17trampoline_kernelINS0_14default_configENS1_35radix_sort_onesweep_config_selectorIhlEEZZNS1_29radix_sort_onesweep_iterationIS3_Lb0EPhS7_N6thrust23THRUST_200600_302600_NS10device_ptrIlEESB_jNS0_19identity_decomposerENS1_16block_id_wrapperIjLb0EEEEE10hipError_tT1_PNSt15iterator_traitsISG_E10value_typeET2_T3_PNSH_ISM_E10value_typeET4_T5_PSR_SS_PNS1_23onesweep_lookback_stateEbbT6_jjT7_P12ihipStream_tbENKUlT_T0_SG_SL_E_clIS7_S7_SB_PlEEDaSZ_S10_SG_SL_EUlSZ_E_NS1_11comp_targetILNS1_3genE6ELNS1_11target_archE950ELNS1_3gpuE13ELNS1_3repE0EEENS1_47radix_sort_onesweep_sort_config_static_selectorELNS0_4arch9wavefront6targetE1EEEvSG_, .Lfunc_end301-_ZN7rocprim17ROCPRIM_400000_NS6detail17trampoline_kernelINS0_14default_configENS1_35radix_sort_onesweep_config_selectorIhlEEZZNS1_29radix_sort_onesweep_iterationIS3_Lb0EPhS7_N6thrust23THRUST_200600_302600_NS10device_ptrIlEESB_jNS0_19identity_decomposerENS1_16block_id_wrapperIjLb0EEEEE10hipError_tT1_PNSt15iterator_traitsISG_E10value_typeET2_T3_PNSH_ISM_E10value_typeET4_T5_PSR_SS_PNS1_23onesweep_lookback_stateEbbT6_jjT7_P12ihipStream_tbENKUlT_T0_SG_SL_E_clIS7_S7_SB_PlEEDaSZ_S10_SG_SL_EUlSZ_E_NS1_11comp_targetILNS1_3genE6ELNS1_11target_archE950ELNS1_3gpuE13ELNS1_3repE0EEENS1_47radix_sort_onesweep_sort_config_static_selectorELNS0_4arch9wavefront6targetE1EEEvSG_
                                        ; -- End function
	.set _ZN7rocprim17ROCPRIM_400000_NS6detail17trampoline_kernelINS0_14default_configENS1_35radix_sort_onesweep_config_selectorIhlEEZZNS1_29radix_sort_onesweep_iterationIS3_Lb0EPhS7_N6thrust23THRUST_200600_302600_NS10device_ptrIlEESB_jNS0_19identity_decomposerENS1_16block_id_wrapperIjLb0EEEEE10hipError_tT1_PNSt15iterator_traitsISG_E10value_typeET2_T3_PNSH_ISM_E10value_typeET4_T5_PSR_SS_PNS1_23onesweep_lookback_stateEbbT6_jjT7_P12ihipStream_tbENKUlT_T0_SG_SL_E_clIS7_S7_SB_PlEEDaSZ_S10_SG_SL_EUlSZ_E_NS1_11comp_targetILNS1_3genE6ELNS1_11target_archE950ELNS1_3gpuE13ELNS1_3repE0EEENS1_47radix_sort_onesweep_sort_config_static_selectorELNS0_4arch9wavefront6targetE1EEEvSG_.num_vgpr, 0
	.set _ZN7rocprim17ROCPRIM_400000_NS6detail17trampoline_kernelINS0_14default_configENS1_35radix_sort_onesweep_config_selectorIhlEEZZNS1_29radix_sort_onesweep_iterationIS3_Lb0EPhS7_N6thrust23THRUST_200600_302600_NS10device_ptrIlEESB_jNS0_19identity_decomposerENS1_16block_id_wrapperIjLb0EEEEE10hipError_tT1_PNSt15iterator_traitsISG_E10value_typeET2_T3_PNSH_ISM_E10value_typeET4_T5_PSR_SS_PNS1_23onesweep_lookback_stateEbbT6_jjT7_P12ihipStream_tbENKUlT_T0_SG_SL_E_clIS7_S7_SB_PlEEDaSZ_S10_SG_SL_EUlSZ_E_NS1_11comp_targetILNS1_3genE6ELNS1_11target_archE950ELNS1_3gpuE13ELNS1_3repE0EEENS1_47radix_sort_onesweep_sort_config_static_selectorELNS0_4arch9wavefront6targetE1EEEvSG_.num_agpr, 0
	.set _ZN7rocprim17ROCPRIM_400000_NS6detail17trampoline_kernelINS0_14default_configENS1_35radix_sort_onesweep_config_selectorIhlEEZZNS1_29radix_sort_onesweep_iterationIS3_Lb0EPhS7_N6thrust23THRUST_200600_302600_NS10device_ptrIlEESB_jNS0_19identity_decomposerENS1_16block_id_wrapperIjLb0EEEEE10hipError_tT1_PNSt15iterator_traitsISG_E10value_typeET2_T3_PNSH_ISM_E10value_typeET4_T5_PSR_SS_PNS1_23onesweep_lookback_stateEbbT6_jjT7_P12ihipStream_tbENKUlT_T0_SG_SL_E_clIS7_S7_SB_PlEEDaSZ_S10_SG_SL_EUlSZ_E_NS1_11comp_targetILNS1_3genE6ELNS1_11target_archE950ELNS1_3gpuE13ELNS1_3repE0EEENS1_47radix_sort_onesweep_sort_config_static_selectorELNS0_4arch9wavefront6targetE1EEEvSG_.numbered_sgpr, 0
	.set _ZN7rocprim17ROCPRIM_400000_NS6detail17trampoline_kernelINS0_14default_configENS1_35radix_sort_onesweep_config_selectorIhlEEZZNS1_29radix_sort_onesweep_iterationIS3_Lb0EPhS7_N6thrust23THRUST_200600_302600_NS10device_ptrIlEESB_jNS0_19identity_decomposerENS1_16block_id_wrapperIjLb0EEEEE10hipError_tT1_PNSt15iterator_traitsISG_E10value_typeET2_T3_PNSH_ISM_E10value_typeET4_T5_PSR_SS_PNS1_23onesweep_lookback_stateEbbT6_jjT7_P12ihipStream_tbENKUlT_T0_SG_SL_E_clIS7_S7_SB_PlEEDaSZ_S10_SG_SL_EUlSZ_E_NS1_11comp_targetILNS1_3genE6ELNS1_11target_archE950ELNS1_3gpuE13ELNS1_3repE0EEENS1_47radix_sort_onesweep_sort_config_static_selectorELNS0_4arch9wavefront6targetE1EEEvSG_.num_named_barrier, 0
	.set _ZN7rocprim17ROCPRIM_400000_NS6detail17trampoline_kernelINS0_14default_configENS1_35radix_sort_onesweep_config_selectorIhlEEZZNS1_29radix_sort_onesweep_iterationIS3_Lb0EPhS7_N6thrust23THRUST_200600_302600_NS10device_ptrIlEESB_jNS0_19identity_decomposerENS1_16block_id_wrapperIjLb0EEEEE10hipError_tT1_PNSt15iterator_traitsISG_E10value_typeET2_T3_PNSH_ISM_E10value_typeET4_T5_PSR_SS_PNS1_23onesweep_lookback_stateEbbT6_jjT7_P12ihipStream_tbENKUlT_T0_SG_SL_E_clIS7_S7_SB_PlEEDaSZ_S10_SG_SL_EUlSZ_E_NS1_11comp_targetILNS1_3genE6ELNS1_11target_archE950ELNS1_3gpuE13ELNS1_3repE0EEENS1_47radix_sort_onesweep_sort_config_static_selectorELNS0_4arch9wavefront6targetE1EEEvSG_.private_seg_size, 0
	.set _ZN7rocprim17ROCPRIM_400000_NS6detail17trampoline_kernelINS0_14default_configENS1_35radix_sort_onesweep_config_selectorIhlEEZZNS1_29radix_sort_onesweep_iterationIS3_Lb0EPhS7_N6thrust23THRUST_200600_302600_NS10device_ptrIlEESB_jNS0_19identity_decomposerENS1_16block_id_wrapperIjLb0EEEEE10hipError_tT1_PNSt15iterator_traitsISG_E10value_typeET2_T3_PNSH_ISM_E10value_typeET4_T5_PSR_SS_PNS1_23onesweep_lookback_stateEbbT6_jjT7_P12ihipStream_tbENKUlT_T0_SG_SL_E_clIS7_S7_SB_PlEEDaSZ_S10_SG_SL_EUlSZ_E_NS1_11comp_targetILNS1_3genE6ELNS1_11target_archE950ELNS1_3gpuE13ELNS1_3repE0EEENS1_47radix_sort_onesweep_sort_config_static_selectorELNS0_4arch9wavefront6targetE1EEEvSG_.uses_vcc, 0
	.set _ZN7rocprim17ROCPRIM_400000_NS6detail17trampoline_kernelINS0_14default_configENS1_35radix_sort_onesweep_config_selectorIhlEEZZNS1_29radix_sort_onesweep_iterationIS3_Lb0EPhS7_N6thrust23THRUST_200600_302600_NS10device_ptrIlEESB_jNS0_19identity_decomposerENS1_16block_id_wrapperIjLb0EEEEE10hipError_tT1_PNSt15iterator_traitsISG_E10value_typeET2_T3_PNSH_ISM_E10value_typeET4_T5_PSR_SS_PNS1_23onesweep_lookback_stateEbbT6_jjT7_P12ihipStream_tbENKUlT_T0_SG_SL_E_clIS7_S7_SB_PlEEDaSZ_S10_SG_SL_EUlSZ_E_NS1_11comp_targetILNS1_3genE6ELNS1_11target_archE950ELNS1_3gpuE13ELNS1_3repE0EEENS1_47radix_sort_onesweep_sort_config_static_selectorELNS0_4arch9wavefront6targetE1EEEvSG_.uses_flat_scratch, 0
	.set _ZN7rocprim17ROCPRIM_400000_NS6detail17trampoline_kernelINS0_14default_configENS1_35radix_sort_onesweep_config_selectorIhlEEZZNS1_29radix_sort_onesweep_iterationIS3_Lb0EPhS7_N6thrust23THRUST_200600_302600_NS10device_ptrIlEESB_jNS0_19identity_decomposerENS1_16block_id_wrapperIjLb0EEEEE10hipError_tT1_PNSt15iterator_traitsISG_E10value_typeET2_T3_PNSH_ISM_E10value_typeET4_T5_PSR_SS_PNS1_23onesweep_lookback_stateEbbT6_jjT7_P12ihipStream_tbENKUlT_T0_SG_SL_E_clIS7_S7_SB_PlEEDaSZ_S10_SG_SL_EUlSZ_E_NS1_11comp_targetILNS1_3genE6ELNS1_11target_archE950ELNS1_3gpuE13ELNS1_3repE0EEENS1_47radix_sort_onesweep_sort_config_static_selectorELNS0_4arch9wavefront6targetE1EEEvSG_.has_dyn_sized_stack, 0
	.set _ZN7rocprim17ROCPRIM_400000_NS6detail17trampoline_kernelINS0_14default_configENS1_35radix_sort_onesweep_config_selectorIhlEEZZNS1_29radix_sort_onesweep_iterationIS3_Lb0EPhS7_N6thrust23THRUST_200600_302600_NS10device_ptrIlEESB_jNS0_19identity_decomposerENS1_16block_id_wrapperIjLb0EEEEE10hipError_tT1_PNSt15iterator_traitsISG_E10value_typeET2_T3_PNSH_ISM_E10value_typeET4_T5_PSR_SS_PNS1_23onesweep_lookback_stateEbbT6_jjT7_P12ihipStream_tbENKUlT_T0_SG_SL_E_clIS7_S7_SB_PlEEDaSZ_S10_SG_SL_EUlSZ_E_NS1_11comp_targetILNS1_3genE6ELNS1_11target_archE950ELNS1_3gpuE13ELNS1_3repE0EEENS1_47radix_sort_onesweep_sort_config_static_selectorELNS0_4arch9wavefront6targetE1EEEvSG_.has_recursion, 0
	.set _ZN7rocprim17ROCPRIM_400000_NS6detail17trampoline_kernelINS0_14default_configENS1_35radix_sort_onesweep_config_selectorIhlEEZZNS1_29radix_sort_onesweep_iterationIS3_Lb0EPhS7_N6thrust23THRUST_200600_302600_NS10device_ptrIlEESB_jNS0_19identity_decomposerENS1_16block_id_wrapperIjLb0EEEEE10hipError_tT1_PNSt15iterator_traitsISG_E10value_typeET2_T3_PNSH_ISM_E10value_typeET4_T5_PSR_SS_PNS1_23onesweep_lookback_stateEbbT6_jjT7_P12ihipStream_tbENKUlT_T0_SG_SL_E_clIS7_S7_SB_PlEEDaSZ_S10_SG_SL_EUlSZ_E_NS1_11comp_targetILNS1_3genE6ELNS1_11target_archE950ELNS1_3gpuE13ELNS1_3repE0EEENS1_47radix_sort_onesweep_sort_config_static_selectorELNS0_4arch9wavefront6targetE1EEEvSG_.has_indirect_call, 0
	.section	.AMDGPU.csdata,"",@progbits
; Kernel info:
; codeLenInByte = 0
; TotalNumSgprs: 4
; NumVgprs: 0
; ScratchSize: 0
; MemoryBound: 0
; FloatMode: 240
; IeeeMode: 1
; LDSByteSize: 0 bytes/workgroup (compile time only)
; SGPRBlocks: 0
; VGPRBlocks: 0
; NumSGPRsForWavesPerEU: 4
; NumVGPRsForWavesPerEU: 1
; Occupancy: 10
; WaveLimiterHint : 0
; COMPUTE_PGM_RSRC2:SCRATCH_EN: 0
; COMPUTE_PGM_RSRC2:USER_SGPR: 6
; COMPUTE_PGM_RSRC2:TRAP_HANDLER: 0
; COMPUTE_PGM_RSRC2:TGID_X_EN: 1
; COMPUTE_PGM_RSRC2:TGID_Y_EN: 0
; COMPUTE_PGM_RSRC2:TGID_Z_EN: 0
; COMPUTE_PGM_RSRC2:TIDIG_COMP_CNT: 0
	.section	.text._ZN7rocprim17ROCPRIM_400000_NS6detail17trampoline_kernelINS0_14default_configENS1_35radix_sort_onesweep_config_selectorIhlEEZZNS1_29radix_sort_onesweep_iterationIS3_Lb0EPhS7_N6thrust23THRUST_200600_302600_NS10device_ptrIlEESB_jNS0_19identity_decomposerENS1_16block_id_wrapperIjLb0EEEEE10hipError_tT1_PNSt15iterator_traitsISG_E10value_typeET2_T3_PNSH_ISM_E10value_typeET4_T5_PSR_SS_PNS1_23onesweep_lookback_stateEbbT6_jjT7_P12ihipStream_tbENKUlT_T0_SG_SL_E_clIS7_S7_SB_PlEEDaSZ_S10_SG_SL_EUlSZ_E_NS1_11comp_targetILNS1_3genE5ELNS1_11target_archE942ELNS1_3gpuE9ELNS1_3repE0EEENS1_47radix_sort_onesweep_sort_config_static_selectorELNS0_4arch9wavefront6targetE1EEEvSG_,"axG",@progbits,_ZN7rocprim17ROCPRIM_400000_NS6detail17trampoline_kernelINS0_14default_configENS1_35radix_sort_onesweep_config_selectorIhlEEZZNS1_29radix_sort_onesweep_iterationIS3_Lb0EPhS7_N6thrust23THRUST_200600_302600_NS10device_ptrIlEESB_jNS0_19identity_decomposerENS1_16block_id_wrapperIjLb0EEEEE10hipError_tT1_PNSt15iterator_traitsISG_E10value_typeET2_T3_PNSH_ISM_E10value_typeET4_T5_PSR_SS_PNS1_23onesweep_lookback_stateEbbT6_jjT7_P12ihipStream_tbENKUlT_T0_SG_SL_E_clIS7_S7_SB_PlEEDaSZ_S10_SG_SL_EUlSZ_E_NS1_11comp_targetILNS1_3genE5ELNS1_11target_archE942ELNS1_3gpuE9ELNS1_3repE0EEENS1_47radix_sort_onesweep_sort_config_static_selectorELNS0_4arch9wavefront6targetE1EEEvSG_,comdat
	.protected	_ZN7rocprim17ROCPRIM_400000_NS6detail17trampoline_kernelINS0_14default_configENS1_35radix_sort_onesweep_config_selectorIhlEEZZNS1_29radix_sort_onesweep_iterationIS3_Lb0EPhS7_N6thrust23THRUST_200600_302600_NS10device_ptrIlEESB_jNS0_19identity_decomposerENS1_16block_id_wrapperIjLb0EEEEE10hipError_tT1_PNSt15iterator_traitsISG_E10value_typeET2_T3_PNSH_ISM_E10value_typeET4_T5_PSR_SS_PNS1_23onesweep_lookback_stateEbbT6_jjT7_P12ihipStream_tbENKUlT_T0_SG_SL_E_clIS7_S7_SB_PlEEDaSZ_S10_SG_SL_EUlSZ_E_NS1_11comp_targetILNS1_3genE5ELNS1_11target_archE942ELNS1_3gpuE9ELNS1_3repE0EEENS1_47radix_sort_onesweep_sort_config_static_selectorELNS0_4arch9wavefront6targetE1EEEvSG_ ; -- Begin function _ZN7rocprim17ROCPRIM_400000_NS6detail17trampoline_kernelINS0_14default_configENS1_35radix_sort_onesweep_config_selectorIhlEEZZNS1_29radix_sort_onesweep_iterationIS3_Lb0EPhS7_N6thrust23THRUST_200600_302600_NS10device_ptrIlEESB_jNS0_19identity_decomposerENS1_16block_id_wrapperIjLb0EEEEE10hipError_tT1_PNSt15iterator_traitsISG_E10value_typeET2_T3_PNSH_ISM_E10value_typeET4_T5_PSR_SS_PNS1_23onesweep_lookback_stateEbbT6_jjT7_P12ihipStream_tbENKUlT_T0_SG_SL_E_clIS7_S7_SB_PlEEDaSZ_S10_SG_SL_EUlSZ_E_NS1_11comp_targetILNS1_3genE5ELNS1_11target_archE942ELNS1_3gpuE9ELNS1_3repE0EEENS1_47radix_sort_onesweep_sort_config_static_selectorELNS0_4arch9wavefront6targetE1EEEvSG_
	.globl	_ZN7rocprim17ROCPRIM_400000_NS6detail17trampoline_kernelINS0_14default_configENS1_35radix_sort_onesweep_config_selectorIhlEEZZNS1_29radix_sort_onesweep_iterationIS3_Lb0EPhS7_N6thrust23THRUST_200600_302600_NS10device_ptrIlEESB_jNS0_19identity_decomposerENS1_16block_id_wrapperIjLb0EEEEE10hipError_tT1_PNSt15iterator_traitsISG_E10value_typeET2_T3_PNSH_ISM_E10value_typeET4_T5_PSR_SS_PNS1_23onesweep_lookback_stateEbbT6_jjT7_P12ihipStream_tbENKUlT_T0_SG_SL_E_clIS7_S7_SB_PlEEDaSZ_S10_SG_SL_EUlSZ_E_NS1_11comp_targetILNS1_3genE5ELNS1_11target_archE942ELNS1_3gpuE9ELNS1_3repE0EEENS1_47radix_sort_onesweep_sort_config_static_selectorELNS0_4arch9wavefront6targetE1EEEvSG_
	.p2align	8
	.type	_ZN7rocprim17ROCPRIM_400000_NS6detail17trampoline_kernelINS0_14default_configENS1_35radix_sort_onesweep_config_selectorIhlEEZZNS1_29radix_sort_onesweep_iterationIS3_Lb0EPhS7_N6thrust23THRUST_200600_302600_NS10device_ptrIlEESB_jNS0_19identity_decomposerENS1_16block_id_wrapperIjLb0EEEEE10hipError_tT1_PNSt15iterator_traitsISG_E10value_typeET2_T3_PNSH_ISM_E10value_typeET4_T5_PSR_SS_PNS1_23onesweep_lookback_stateEbbT6_jjT7_P12ihipStream_tbENKUlT_T0_SG_SL_E_clIS7_S7_SB_PlEEDaSZ_S10_SG_SL_EUlSZ_E_NS1_11comp_targetILNS1_3genE5ELNS1_11target_archE942ELNS1_3gpuE9ELNS1_3repE0EEENS1_47radix_sort_onesweep_sort_config_static_selectorELNS0_4arch9wavefront6targetE1EEEvSG_,@function
_ZN7rocprim17ROCPRIM_400000_NS6detail17trampoline_kernelINS0_14default_configENS1_35radix_sort_onesweep_config_selectorIhlEEZZNS1_29radix_sort_onesweep_iterationIS3_Lb0EPhS7_N6thrust23THRUST_200600_302600_NS10device_ptrIlEESB_jNS0_19identity_decomposerENS1_16block_id_wrapperIjLb0EEEEE10hipError_tT1_PNSt15iterator_traitsISG_E10value_typeET2_T3_PNSH_ISM_E10value_typeET4_T5_PSR_SS_PNS1_23onesweep_lookback_stateEbbT6_jjT7_P12ihipStream_tbENKUlT_T0_SG_SL_E_clIS7_S7_SB_PlEEDaSZ_S10_SG_SL_EUlSZ_E_NS1_11comp_targetILNS1_3genE5ELNS1_11target_archE942ELNS1_3gpuE9ELNS1_3repE0EEENS1_47radix_sort_onesweep_sort_config_static_selectorELNS0_4arch9wavefront6targetE1EEEvSG_: ; @_ZN7rocprim17ROCPRIM_400000_NS6detail17trampoline_kernelINS0_14default_configENS1_35radix_sort_onesweep_config_selectorIhlEEZZNS1_29radix_sort_onesweep_iterationIS3_Lb0EPhS7_N6thrust23THRUST_200600_302600_NS10device_ptrIlEESB_jNS0_19identity_decomposerENS1_16block_id_wrapperIjLb0EEEEE10hipError_tT1_PNSt15iterator_traitsISG_E10value_typeET2_T3_PNSH_ISM_E10value_typeET4_T5_PSR_SS_PNS1_23onesweep_lookback_stateEbbT6_jjT7_P12ihipStream_tbENKUlT_T0_SG_SL_E_clIS7_S7_SB_PlEEDaSZ_S10_SG_SL_EUlSZ_E_NS1_11comp_targetILNS1_3genE5ELNS1_11target_archE942ELNS1_3gpuE9ELNS1_3repE0EEENS1_47radix_sort_onesweep_sort_config_static_selectorELNS0_4arch9wavefront6targetE1EEEvSG_
; %bb.0:
	.section	.rodata,"a",@progbits
	.p2align	6, 0x0
	.amdhsa_kernel _ZN7rocprim17ROCPRIM_400000_NS6detail17trampoline_kernelINS0_14default_configENS1_35radix_sort_onesweep_config_selectorIhlEEZZNS1_29radix_sort_onesweep_iterationIS3_Lb0EPhS7_N6thrust23THRUST_200600_302600_NS10device_ptrIlEESB_jNS0_19identity_decomposerENS1_16block_id_wrapperIjLb0EEEEE10hipError_tT1_PNSt15iterator_traitsISG_E10value_typeET2_T3_PNSH_ISM_E10value_typeET4_T5_PSR_SS_PNS1_23onesweep_lookback_stateEbbT6_jjT7_P12ihipStream_tbENKUlT_T0_SG_SL_E_clIS7_S7_SB_PlEEDaSZ_S10_SG_SL_EUlSZ_E_NS1_11comp_targetILNS1_3genE5ELNS1_11target_archE942ELNS1_3gpuE9ELNS1_3repE0EEENS1_47radix_sort_onesweep_sort_config_static_selectorELNS0_4arch9wavefront6targetE1EEEvSG_
		.amdhsa_group_segment_fixed_size 0
		.amdhsa_private_segment_fixed_size 0
		.amdhsa_kernarg_size 88
		.amdhsa_user_sgpr_count 6
		.amdhsa_user_sgpr_private_segment_buffer 1
		.amdhsa_user_sgpr_dispatch_ptr 0
		.amdhsa_user_sgpr_queue_ptr 0
		.amdhsa_user_sgpr_kernarg_segment_ptr 1
		.amdhsa_user_sgpr_dispatch_id 0
		.amdhsa_user_sgpr_flat_scratch_init 0
		.amdhsa_user_sgpr_private_segment_size 0
		.amdhsa_uses_dynamic_stack 0
		.amdhsa_system_sgpr_private_segment_wavefront_offset 0
		.amdhsa_system_sgpr_workgroup_id_x 1
		.amdhsa_system_sgpr_workgroup_id_y 0
		.amdhsa_system_sgpr_workgroup_id_z 0
		.amdhsa_system_sgpr_workgroup_info 0
		.amdhsa_system_vgpr_workitem_id 0
		.amdhsa_next_free_vgpr 1
		.amdhsa_next_free_sgpr 0
		.amdhsa_reserve_vcc 0
		.amdhsa_reserve_flat_scratch 0
		.amdhsa_float_round_mode_32 0
		.amdhsa_float_round_mode_16_64 0
		.amdhsa_float_denorm_mode_32 3
		.amdhsa_float_denorm_mode_16_64 3
		.amdhsa_dx10_clamp 1
		.amdhsa_ieee_mode 1
		.amdhsa_fp16_overflow 0
		.amdhsa_exception_fp_ieee_invalid_op 0
		.amdhsa_exception_fp_denorm_src 0
		.amdhsa_exception_fp_ieee_div_zero 0
		.amdhsa_exception_fp_ieee_overflow 0
		.amdhsa_exception_fp_ieee_underflow 0
		.amdhsa_exception_fp_ieee_inexact 0
		.amdhsa_exception_int_div_zero 0
	.end_amdhsa_kernel
	.section	.text._ZN7rocprim17ROCPRIM_400000_NS6detail17trampoline_kernelINS0_14default_configENS1_35radix_sort_onesweep_config_selectorIhlEEZZNS1_29radix_sort_onesweep_iterationIS3_Lb0EPhS7_N6thrust23THRUST_200600_302600_NS10device_ptrIlEESB_jNS0_19identity_decomposerENS1_16block_id_wrapperIjLb0EEEEE10hipError_tT1_PNSt15iterator_traitsISG_E10value_typeET2_T3_PNSH_ISM_E10value_typeET4_T5_PSR_SS_PNS1_23onesweep_lookback_stateEbbT6_jjT7_P12ihipStream_tbENKUlT_T0_SG_SL_E_clIS7_S7_SB_PlEEDaSZ_S10_SG_SL_EUlSZ_E_NS1_11comp_targetILNS1_3genE5ELNS1_11target_archE942ELNS1_3gpuE9ELNS1_3repE0EEENS1_47radix_sort_onesweep_sort_config_static_selectorELNS0_4arch9wavefront6targetE1EEEvSG_,"axG",@progbits,_ZN7rocprim17ROCPRIM_400000_NS6detail17trampoline_kernelINS0_14default_configENS1_35radix_sort_onesweep_config_selectorIhlEEZZNS1_29radix_sort_onesweep_iterationIS3_Lb0EPhS7_N6thrust23THRUST_200600_302600_NS10device_ptrIlEESB_jNS0_19identity_decomposerENS1_16block_id_wrapperIjLb0EEEEE10hipError_tT1_PNSt15iterator_traitsISG_E10value_typeET2_T3_PNSH_ISM_E10value_typeET4_T5_PSR_SS_PNS1_23onesweep_lookback_stateEbbT6_jjT7_P12ihipStream_tbENKUlT_T0_SG_SL_E_clIS7_S7_SB_PlEEDaSZ_S10_SG_SL_EUlSZ_E_NS1_11comp_targetILNS1_3genE5ELNS1_11target_archE942ELNS1_3gpuE9ELNS1_3repE0EEENS1_47radix_sort_onesweep_sort_config_static_selectorELNS0_4arch9wavefront6targetE1EEEvSG_,comdat
.Lfunc_end302:
	.size	_ZN7rocprim17ROCPRIM_400000_NS6detail17trampoline_kernelINS0_14default_configENS1_35radix_sort_onesweep_config_selectorIhlEEZZNS1_29radix_sort_onesweep_iterationIS3_Lb0EPhS7_N6thrust23THRUST_200600_302600_NS10device_ptrIlEESB_jNS0_19identity_decomposerENS1_16block_id_wrapperIjLb0EEEEE10hipError_tT1_PNSt15iterator_traitsISG_E10value_typeET2_T3_PNSH_ISM_E10value_typeET4_T5_PSR_SS_PNS1_23onesweep_lookback_stateEbbT6_jjT7_P12ihipStream_tbENKUlT_T0_SG_SL_E_clIS7_S7_SB_PlEEDaSZ_S10_SG_SL_EUlSZ_E_NS1_11comp_targetILNS1_3genE5ELNS1_11target_archE942ELNS1_3gpuE9ELNS1_3repE0EEENS1_47radix_sort_onesweep_sort_config_static_selectorELNS0_4arch9wavefront6targetE1EEEvSG_, .Lfunc_end302-_ZN7rocprim17ROCPRIM_400000_NS6detail17trampoline_kernelINS0_14default_configENS1_35radix_sort_onesweep_config_selectorIhlEEZZNS1_29radix_sort_onesweep_iterationIS3_Lb0EPhS7_N6thrust23THRUST_200600_302600_NS10device_ptrIlEESB_jNS0_19identity_decomposerENS1_16block_id_wrapperIjLb0EEEEE10hipError_tT1_PNSt15iterator_traitsISG_E10value_typeET2_T3_PNSH_ISM_E10value_typeET4_T5_PSR_SS_PNS1_23onesweep_lookback_stateEbbT6_jjT7_P12ihipStream_tbENKUlT_T0_SG_SL_E_clIS7_S7_SB_PlEEDaSZ_S10_SG_SL_EUlSZ_E_NS1_11comp_targetILNS1_3genE5ELNS1_11target_archE942ELNS1_3gpuE9ELNS1_3repE0EEENS1_47radix_sort_onesweep_sort_config_static_selectorELNS0_4arch9wavefront6targetE1EEEvSG_
                                        ; -- End function
	.set _ZN7rocprim17ROCPRIM_400000_NS6detail17trampoline_kernelINS0_14default_configENS1_35radix_sort_onesweep_config_selectorIhlEEZZNS1_29radix_sort_onesweep_iterationIS3_Lb0EPhS7_N6thrust23THRUST_200600_302600_NS10device_ptrIlEESB_jNS0_19identity_decomposerENS1_16block_id_wrapperIjLb0EEEEE10hipError_tT1_PNSt15iterator_traitsISG_E10value_typeET2_T3_PNSH_ISM_E10value_typeET4_T5_PSR_SS_PNS1_23onesweep_lookback_stateEbbT6_jjT7_P12ihipStream_tbENKUlT_T0_SG_SL_E_clIS7_S7_SB_PlEEDaSZ_S10_SG_SL_EUlSZ_E_NS1_11comp_targetILNS1_3genE5ELNS1_11target_archE942ELNS1_3gpuE9ELNS1_3repE0EEENS1_47radix_sort_onesweep_sort_config_static_selectorELNS0_4arch9wavefront6targetE1EEEvSG_.num_vgpr, 0
	.set _ZN7rocprim17ROCPRIM_400000_NS6detail17trampoline_kernelINS0_14default_configENS1_35radix_sort_onesweep_config_selectorIhlEEZZNS1_29radix_sort_onesweep_iterationIS3_Lb0EPhS7_N6thrust23THRUST_200600_302600_NS10device_ptrIlEESB_jNS0_19identity_decomposerENS1_16block_id_wrapperIjLb0EEEEE10hipError_tT1_PNSt15iterator_traitsISG_E10value_typeET2_T3_PNSH_ISM_E10value_typeET4_T5_PSR_SS_PNS1_23onesweep_lookback_stateEbbT6_jjT7_P12ihipStream_tbENKUlT_T0_SG_SL_E_clIS7_S7_SB_PlEEDaSZ_S10_SG_SL_EUlSZ_E_NS1_11comp_targetILNS1_3genE5ELNS1_11target_archE942ELNS1_3gpuE9ELNS1_3repE0EEENS1_47radix_sort_onesweep_sort_config_static_selectorELNS0_4arch9wavefront6targetE1EEEvSG_.num_agpr, 0
	.set _ZN7rocprim17ROCPRIM_400000_NS6detail17trampoline_kernelINS0_14default_configENS1_35radix_sort_onesweep_config_selectorIhlEEZZNS1_29radix_sort_onesweep_iterationIS3_Lb0EPhS7_N6thrust23THRUST_200600_302600_NS10device_ptrIlEESB_jNS0_19identity_decomposerENS1_16block_id_wrapperIjLb0EEEEE10hipError_tT1_PNSt15iterator_traitsISG_E10value_typeET2_T3_PNSH_ISM_E10value_typeET4_T5_PSR_SS_PNS1_23onesweep_lookback_stateEbbT6_jjT7_P12ihipStream_tbENKUlT_T0_SG_SL_E_clIS7_S7_SB_PlEEDaSZ_S10_SG_SL_EUlSZ_E_NS1_11comp_targetILNS1_3genE5ELNS1_11target_archE942ELNS1_3gpuE9ELNS1_3repE0EEENS1_47radix_sort_onesweep_sort_config_static_selectorELNS0_4arch9wavefront6targetE1EEEvSG_.numbered_sgpr, 0
	.set _ZN7rocprim17ROCPRIM_400000_NS6detail17trampoline_kernelINS0_14default_configENS1_35radix_sort_onesweep_config_selectorIhlEEZZNS1_29radix_sort_onesweep_iterationIS3_Lb0EPhS7_N6thrust23THRUST_200600_302600_NS10device_ptrIlEESB_jNS0_19identity_decomposerENS1_16block_id_wrapperIjLb0EEEEE10hipError_tT1_PNSt15iterator_traitsISG_E10value_typeET2_T3_PNSH_ISM_E10value_typeET4_T5_PSR_SS_PNS1_23onesweep_lookback_stateEbbT6_jjT7_P12ihipStream_tbENKUlT_T0_SG_SL_E_clIS7_S7_SB_PlEEDaSZ_S10_SG_SL_EUlSZ_E_NS1_11comp_targetILNS1_3genE5ELNS1_11target_archE942ELNS1_3gpuE9ELNS1_3repE0EEENS1_47radix_sort_onesweep_sort_config_static_selectorELNS0_4arch9wavefront6targetE1EEEvSG_.num_named_barrier, 0
	.set _ZN7rocprim17ROCPRIM_400000_NS6detail17trampoline_kernelINS0_14default_configENS1_35radix_sort_onesweep_config_selectorIhlEEZZNS1_29radix_sort_onesweep_iterationIS3_Lb0EPhS7_N6thrust23THRUST_200600_302600_NS10device_ptrIlEESB_jNS0_19identity_decomposerENS1_16block_id_wrapperIjLb0EEEEE10hipError_tT1_PNSt15iterator_traitsISG_E10value_typeET2_T3_PNSH_ISM_E10value_typeET4_T5_PSR_SS_PNS1_23onesweep_lookback_stateEbbT6_jjT7_P12ihipStream_tbENKUlT_T0_SG_SL_E_clIS7_S7_SB_PlEEDaSZ_S10_SG_SL_EUlSZ_E_NS1_11comp_targetILNS1_3genE5ELNS1_11target_archE942ELNS1_3gpuE9ELNS1_3repE0EEENS1_47radix_sort_onesweep_sort_config_static_selectorELNS0_4arch9wavefront6targetE1EEEvSG_.private_seg_size, 0
	.set _ZN7rocprim17ROCPRIM_400000_NS6detail17trampoline_kernelINS0_14default_configENS1_35radix_sort_onesweep_config_selectorIhlEEZZNS1_29radix_sort_onesweep_iterationIS3_Lb0EPhS7_N6thrust23THRUST_200600_302600_NS10device_ptrIlEESB_jNS0_19identity_decomposerENS1_16block_id_wrapperIjLb0EEEEE10hipError_tT1_PNSt15iterator_traitsISG_E10value_typeET2_T3_PNSH_ISM_E10value_typeET4_T5_PSR_SS_PNS1_23onesweep_lookback_stateEbbT6_jjT7_P12ihipStream_tbENKUlT_T0_SG_SL_E_clIS7_S7_SB_PlEEDaSZ_S10_SG_SL_EUlSZ_E_NS1_11comp_targetILNS1_3genE5ELNS1_11target_archE942ELNS1_3gpuE9ELNS1_3repE0EEENS1_47radix_sort_onesweep_sort_config_static_selectorELNS0_4arch9wavefront6targetE1EEEvSG_.uses_vcc, 0
	.set _ZN7rocprim17ROCPRIM_400000_NS6detail17trampoline_kernelINS0_14default_configENS1_35radix_sort_onesweep_config_selectorIhlEEZZNS1_29radix_sort_onesweep_iterationIS3_Lb0EPhS7_N6thrust23THRUST_200600_302600_NS10device_ptrIlEESB_jNS0_19identity_decomposerENS1_16block_id_wrapperIjLb0EEEEE10hipError_tT1_PNSt15iterator_traitsISG_E10value_typeET2_T3_PNSH_ISM_E10value_typeET4_T5_PSR_SS_PNS1_23onesweep_lookback_stateEbbT6_jjT7_P12ihipStream_tbENKUlT_T0_SG_SL_E_clIS7_S7_SB_PlEEDaSZ_S10_SG_SL_EUlSZ_E_NS1_11comp_targetILNS1_3genE5ELNS1_11target_archE942ELNS1_3gpuE9ELNS1_3repE0EEENS1_47radix_sort_onesweep_sort_config_static_selectorELNS0_4arch9wavefront6targetE1EEEvSG_.uses_flat_scratch, 0
	.set _ZN7rocprim17ROCPRIM_400000_NS6detail17trampoline_kernelINS0_14default_configENS1_35radix_sort_onesweep_config_selectorIhlEEZZNS1_29radix_sort_onesweep_iterationIS3_Lb0EPhS7_N6thrust23THRUST_200600_302600_NS10device_ptrIlEESB_jNS0_19identity_decomposerENS1_16block_id_wrapperIjLb0EEEEE10hipError_tT1_PNSt15iterator_traitsISG_E10value_typeET2_T3_PNSH_ISM_E10value_typeET4_T5_PSR_SS_PNS1_23onesweep_lookback_stateEbbT6_jjT7_P12ihipStream_tbENKUlT_T0_SG_SL_E_clIS7_S7_SB_PlEEDaSZ_S10_SG_SL_EUlSZ_E_NS1_11comp_targetILNS1_3genE5ELNS1_11target_archE942ELNS1_3gpuE9ELNS1_3repE0EEENS1_47radix_sort_onesweep_sort_config_static_selectorELNS0_4arch9wavefront6targetE1EEEvSG_.has_dyn_sized_stack, 0
	.set _ZN7rocprim17ROCPRIM_400000_NS6detail17trampoline_kernelINS0_14default_configENS1_35radix_sort_onesweep_config_selectorIhlEEZZNS1_29radix_sort_onesweep_iterationIS3_Lb0EPhS7_N6thrust23THRUST_200600_302600_NS10device_ptrIlEESB_jNS0_19identity_decomposerENS1_16block_id_wrapperIjLb0EEEEE10hipError_tT1_PNSt15iterator_traitsISG_E10value_typeET2_T3_PNSH_ISM_E10value_typeET4_T5_PSR_SS_PNS1_23onesweep_lookback_stateEbbT6_jjT7_P12ihipStream_tbENKUlT_T0_SG_SL_E_clIS7_S7_SB_PlEEDaSZ_S10_SG_SL_EUlSZ_E_NS1_11comp_targetILNS1_3genE5ELNS1_11target_archE942ELNS1_3gpuE9ELNS1_3repE0EEENS1_47radix_sort_onesweep_sort_config_static_selectorELNS0_4arch9wavefront6targetE1EEEvSG_.has_recursion, 0
	.set _ZN7rocprim17ROCPRIM_400000_NS6detail17trampoline_kernelINS0_14default_configENS1_35radix_sort_onesweep_config_selectorIhlEEZZNS1_29radix_sort_onesweep_iterationIS3_Lb0EPhS7_N6thrust23THRUST_200600_302600_NS10device_ptrIlEESB_jNS0_19identity_decomposerENS1_16block_id_wrapperIjLb0EEEEE10hipError_tT1_PNSt15iterator_traitsISG_E10value_typeET2_T3_PNSH_ISM_E10value_typeET4_T5_PSR_SS_PNS1_23onesweep_lookback_stateEbbT6_jjT7_P12ihipStream_tbENKUlT_T0_SG_SL_E_clIS7_S7_SB_PlEEDaSZ_S10_SG_SL_EUlSZ_E_NS1_11comp_targetILNS1_3genE5ELNS1_11target_archE942ELNS1_3gpuE9ELNS1_3repE0EEENS1_47radix_sort_onesweep_sort_config_static_selectorELNS0_4arch9wavefront6targetE1EEEvSG_.has_indirect_call, 0
	.section	.AMDGPU.csdata,"",@progbits
; Kernel info:
; codeLenInByte = 0
; TotalNumSgprs: 4
; NumVgprs: 0
; ScratchSize: 0
; MemoryBound: 0
; FloatMode: 240
; IeeeMode: 1
; LDSByteSize: 0 bytes/workgroup (compile time only)
; SGPRBlocks: 0
; VGPRBlocks: 0
; NumSGPRsForWavesPerEU: 4
; NumVGPRsForWavesPerEU: 1
; Occupancy: 10
; WaveLimiterHint : 0
; COMPUTE_PGM_RSRC2:SCRATCH_EN: 0
; COMPUTE_PGM_RSRC2:USER_SGPR: 6
; COMPUTE_PGM_RSRC2:TRAP_HANDLER: 0
; COMPUTE_PGM_RSRC2:TGID_X_EN: 1
; COMPUTE_PGM_RSRC2:TGID_Y_EN: 0
; COMPUTE_PGM_RSRC2:TGID_Z_EN: 0
; COMPUTE_PGM_RSRC2:TIDIG_COMP_CNT: 0
	.section	.text._ZN7rocprim17ROCPRIM_400000_NS6detail17trampoline_kernelINS0_14default_configENS1_35radix_sort_onesweep_config_selectorIhlEEZZNS1_29radix_sort_onesweep_iterationIS3_Lb0EPhS7_N6thrust23THRUST_200600_302600_NS10device_ptrIlEESB_jNS0_19identity_decomposerENS1_16block_id_wrapperIjLb0EEEEE10hipError_tT1_PNSt15iterator_traitsISG_E10value_typeET2_T3_PNSH_ISM_E10value_typeET4_T5_PSR_SS_PNS1_23onesweep_lookback_stateEbbT6_jjT7_P12ihipStream_tbENKUlT_T0_SG_SL_E_clIS7_S7_SB_PlEEDaSZ_S10_SG_SL_EUlSZ_E_NS1_11comp_targetILNS1_3genE2ELNS1_11target_archE906ELNS1_3gpuE6ELNS1_3repE0EEENS1_47radix_sort_onesweep_sort_config_static_selectorELNS0_4arch9wavefront6targetE1EEEvSG_,"axG",@progbits,_ZN7rocprim17ROCPRIM_400000_NS6detail17trampoline_kernelINS0_14default_configENS1_35radix_sort_onesweep_config_selectorIhlEEZZNS1_29radix_sort_onesweep_iterationIS3_Lb0EPhS7_N6thrust23THRUST_200600_302600_NS10device_ptrIlEESB_jNS0_19identity_decomposerENS1_16block_id_wrapperIjLb0EEEEE10hipError_tT1_PNSt15iterator_traitsISG_E10value_typeET2_T3_PNSH_ISM_E10value_typeET4_T5_PSR_SS_PNS1_23onesweep_lookback_stateEbbT6_jjT7_P12ihipStream_tbENKUlT_T0_SG_SL_E_clIS7_S7_SB_PlEEDaSZ_S10_SG_SL_EUlSZ_E_NS1_11comp_targetILNS1_3genE2ELNS1_11target_archE906ELNS1_3gpuE6ELNS1_3repE0EEENS1_47radix_sort_onesweep_sort_config_static_selectorELNS0_4arch9wavefront6targetE1EEEvSG_,comdat
	.protected	_ZN7rocprim17ROCPRIM_400000_NS6detail17trampoline_kernelINS0_14default_configENS1_35radix_sort_onesweep_config_selectorIhlEEZZNS1_29radix_sort_onesweep_iterationIS3_Lb0EPhS7_N6thrust23THRUST_200600_302600_NS10device_ptrIlEESB_jNS0_19identity_decomposerENS1_16block_id_wrapperIjLb0EEEEE10hipError_tT1_PNSt15iterator_traitsISG_E10value_typeET2_T3_PNSH_ISM_E10value_typeET4_T5_PSR_SS_PNS1_23onesweep_lookback_stateEbbT6_jjT7_P12ihipStream_tbENKUlT_T0_SG_SL_E_clIS7_S7_SB_PlEEDaSZ_S10_SG_SL_EUlSZ_E_NS1_11comp_targetILNS1_3genE2ELNS1_11target_archE906ELNS1_3gpuE6ELNS1_3repE0EEENS1_47radix_sort_onesweep_sort_config_static_selectorELNS0_4arch9wavefront6targetE1EEEvSG_ ; -- Begin function _ZN7rocprim17ROCPRIM_400000_NS6detail17trampoline_kernelINS0_14default_configENS1_35radix_sort_onesweep_config_selectorIhlEEZZNS1_29radix_sort_onesweep_iterationIS3_Lb0EPhS7_N6thrust23THRUST_200600_302600_NS10device_ptrIlEESB_jNS0_19identity_decomposerENS1_16block_id_wrapperIjLb0EEEEE10hipError_tT1_PNSt15iterator_traitsISG_E10value_typeET2_T3_PNSH_ISM_E10value_typeET4_T5_PSR_SS_PNS1_23onesweep_lookback_stateEbbT6_jjT7_P12ihipStream_tbENKUlT_T0_SG_SL_E_clIS7_S7_SB_PlEEDaSZ_S10_SG_SL_EUlSZ_E_NS1_11comp_targetILNS1_3genE2ELNS1_11target_archE906ELNS1_3gpuE6ELNS1_3repE0EEENS1_47radix_sort_onesweep_sort_config_static_selectorELNS0_4arch9wavefront6targetE1EEEvSG_
	.globl	_ZN7rocprim17ROCPRIM_400000_NS6detail17trampoline_kernelINS0_14default_configENS1_35radix_sort_onesweep_config_selectorIhlEEZZNS1_29radix_sort_onesweep_iterationIS3_Lb0EPhS7_N6thrust23THRUST_200600_302600_NS10device_ptrIlEESB_jNS0_19identity_decomposerENS1_16block_id_wrapperIjLb0EEEEE10hipError_tT1_PNSt15iterator_traitsISG_E10value_typeET2_T3_PNSH_ISM_E10value_typeET4_T5_PSR_SS_PNS1_23onesweep_lookback_stateEbbT6_jjT7_P12ihipStream_tbENKUlT_T0_SG_SL_E_clIS7_S7_SB_PlEEDaSZ_S10_SG_SL_EUlSZ_E_NS1_11comp_targetILNS1_3genE2ELNS1_11target_archE906ELNS1_3gpuE6ELNS1_3repE0EEENS1_47radix_sort_onesweep_sort_config_static_selectorELNS0_4arch9wavefront6targetE1EEEvSG_
	.p2align	8
	.type	_ZN7rocprim17ROCPRIM_400000_NS6detail17trampoline_kernelINS0_14default_configENS1_35radix_sort_onesweep_config_selectorIhlEEZZNS1_29radix_sort_onesweep_iterationIS3_Lb0EPhS7_N6thrust23THRUST_200600_302600_NS10device_ptrIlEESB_jNS0_19identity_decomposerENS1_16block_id_wrapperIjLb0EEEEE10hipError_tT1_PNSt15iterator_traitsISG_E10value_typeET2_T3_PNSH_ISM_E10value_typeET4_T5_PSR_SS_PNS1_23onesweep_lookback_stateEbbT6_jjT7_P12ihipStream_tbENKUlT_T0_SG_SL_E_clIS7_S7_SB_PlEEDaSZ_S10_SG_SL_EUlSZ_E_NS1_11comp_targetILNS1_3genE2ELNS1_11target_archE906ELNS1_3gpuE6ELNS1_3repE0EEENS1_47radix_sort_onesweep_sort_config_static_selectorELNS0_4arch9wavefront6targetE1EEEvSG_,@function
_ZN7rocprim17ROCPRIM_400000_NS6detail17trampoline_kernelINS0_14default_configENS1_35radix_sort_onesweep_config_selectorIhlEEZZNS1_29radix_sort_onesweep_iterationIS3_Lb0EPhS7_N6thrust23THRUST_200600_302600_NS10device_ptrIlEESB_jNS0_19identity_decomposerENS1_16block_id_wrapperIjLb0EEEEE10hipError_tT1_PNSt15iterator_traitsISG_E10value_typeET2_T3_PNSH_ISM_E10value_typeET4_T5_PSR_SS_PNS1_23onesweep_lookback_stateEbbT6_jjT7_P12ihipStream_tbENKUlT_T0_SG_SL_E_clIS7_S7_SB_PlEEDaSZ_S10_SG_SL_EUlSZ_E_NS1_11comp_targetILNS1_3genE2ELNS1_11target_archE906ELNS1_3gpuE6ELNS1_3repE0EEENS1_47radix_sort_onesweep_sort_config_static_selectorELNS0_4arch9wavefront6targetE1EEEvSG_: ; @_ZN7rocprim17ROCPRIM_400000_NS6detail17trampoline_kernelINS0_14default_configENS1_35radix_sort_onesweep_config_selectorIhlEEZZNS1_29radix_sort_onesweep_iterationIS3_Lb0EPhS7_N6thrust23THRUST_200600_302600_NS10device_ptrIlEESB_jNS0_19identity_decomposerENS1_16block_id_wrapperIjLb0EEEEE10hipError_tT1_PNSt15iterator_traitsISG_E10value_typeET2_T3_PNSH_ISM_E10value_typeET4_T5_PSR_SS_PNS1_23onesweep_lookback_stateEbbT6_jjT7_P12ihipStream_tbENKUlT_T0_SG_SL_E_clIS7_S7_SB_PlEEDaSZ_S10_SG_SL_EUlSZ_E_NS1_11comp_targetILNS1_3genE2ELNS1_11target_archE906ELNS1_3gpuE6ELNS1_3repE0EEENS1_47radix_sort_onesweep_sort_config_static_selectorELNS0_4arch9wavefront6targetE1EEEvSG_
; %bb.0:
	s_add_u32 s0, s0, s7
	s_load_dwordx4 s[40:43], s[4:5], 0x44
	s_load_dwordx8 s[24:31], s[4:5], 0x0
	s_load_dwordx4 s[36:39], s[4:5], 0x28
	s_load_dwordx2 s[44:45], s[4:5], 0x38
	s_addc_u32 s1, s1, 0
	s_mov_b64 s[8:9], -1
	s_waitcnt lgkmcnt(0)
	s_cmp_ge_u32 s6, s42
	s_mul_i32 s34, s6, 0xc00
	v_mbcnt_lo_u32_b32 v17, -1, 0
	s_cbranch_scc0 .LBB303_78
; %bb.1:
	s_load_dword s7, s[4:5], 0x20
	s_mul_i32 s8, s42, 0xfffff400
	v_mbcnt_hi_u32_b32 v13, -1, v17
	v_and_b32_e32 v10, 63, v13
	v_and_b32_e32 v16, 0x1c0, v0
	s_waitcnt lgkmcnt(0)
	s_add_i32 s7, s7, s8
	s_add_u32 s8, s24, s34
	s_addc_u32 s9, s25, 0
	v_mov_b32_e32 v3, s9
	v_add_co_u32_e32 v4, vcc, s8, v10
	v_mul_u32_u24_e32 v9, 6, v16
	v_addc_co_u32_e32 v5, vcc, 0, v3, vcc
	v_add_co_u32_e32 v3, vcc, v4, v9
	v_addc_co_u32_e32 v4, vcc, 0, v5, vcc
	v_or_b32_e32 v6, v10, v9
	s_mov_b32 s35, 0
	v_cmp_gt_u32_e32 vcc, s7, v6
	v_mov_b32_e32 v5, 0xff
	v_mov_b32_e32 v7, 0xff
	;; [unrolled: 1-line block ×3, first 2 shown]
	s_and_saveexec_b64 s[8:9], vcc
	s_cbranch_execz .LBB303_3
; %bb.2:
	global_load_ubyte v8, v[3:4], off
	s_waitcnt vmcnt(0)
	v_and_b32_e32 v5, 0xff, v8
.LBB303_3:
	s_or_b64 exec, exec, s[8:9]
	v_or_b32_e32 v11, 64, v6
	v_cmp_gt_u32_e64 s[20:21], s7, v11
	v_mov_b32_e32 v18, 0xff
	s_and_saveexec_b64 s[8:9], s[20:21]
	s_cbranch_execz .LBB303_5
; %bb.4:
	global_load_ubyte v7, v[3:4], off offset:64
	s_waitcnt vmcnt(0)
	v_and_b32_e32 v18, 0xff, v7
.LBB303_5:
	s_or_b64 exec, exec, s[8:9]
	v_add_u32_e32 v11, 0x80, v6
	v_cmp_gt_u32_e64 s[8:9], s7, v11
	v_mov_b32_e32 v20, 0xff
	v_mov_b32_e32 v11, 0xff
	v_mov_b32_e32 v12, 0xff
	s_and_saveexec_b64 s[10:11], s[8:9]
	s_cbranch_execz .LBB303_7
; %bb.6:
	global_load_ubyte v12, v[3:4], off offset:128
	s_waitcnt vmcnt(0)
	v_and_b32_e32 v20, 0xff, v12
.LBB303_7:
	s_or_b64 exec, exec, s[10:11]
	v_add_u32_e32 v14, 0xc0, v6
	v_cmp_gt_u32_e64 s[10:11], s7, v14
	v_mov_b32_e32 v23, 0xff
	s_and_saveexec_b64 s[12:13], s[10:11]
	s_cbranch_execz .LBB303_9
; %bb.8:
	global_load_ubyte v11, v[3:4], off offset:192
	s_waitcnt vmcnt(0)
	v_and_b32_e32 v23, 0xff, v11
.LBB303_9:
	s_or_b64 exec, exec, s[12:13]
	v_add_u32_e32 v14, 0x100, v6
	v_cmp_gt_u32_e64 s[12:13], s7, v14
	v_mov_b32_e32 v26, 0xff
	v_mov_b32_e32 v14, 0xff
	;; [unrolled: 1-line block ×3, first 2 shown]
	s_and_saveexec_b64 s[14:15], s[12:13]
	s_cbranch_execz .LBB303_11
; %bb.10:
	global_load_ubyte v15, v[3:4], off offset:256
	s_waitcnt vmcnt(0)
	v_and_b32_e32 v26, 0xff, v15
.LBB303_11:
	s_or_b64 exec, exec, s[14:15]
	v_add_u32_e32 v6, 0x140, v6
	v_cmp_gt_u32_e64 s[14:15], s7, v6
	v_mov_b32_e32 v6, 0xff
	s_and_saveexec_b64 s[16:17], s[14:15]
	s_cbranch_execz .LBB303_13
; %bb.12:
	global_load_ubyte v14, v[3:4], off offset:320
	s_waitcnt vmcnt(0)
	v_and_b32_e32 v6, 0xff, v14
.LBB303_13:
	s_or_b64 exec, exec, s[16:17]
	s_load_dword s16, s[4:5], 0x64
	s_load_dword s33, s[4:5], 0x58
	s_add_u32 s17, s4, 0x58
	s_addc_u32 s18, s5, 0
	v_mov_b32_e32 v3, 0
	s_waitcnt lgkmcnt(0)
	s_lshr_b32 s19, s16, 16
	s_cmp_lt_u32 s6, s33
	s_cselect_b32 s16, 12, 18
	s_add_u32 s16, s17, s16
	s_addc_u32 s17, s18, 0
	global_load_ushort v19, v3, s[16:17]
	s_lshl_b32 s16, -1, s41
	v_lshrrev_b32_e32 v4, s40, v5
	s_not_b32 s50, s16
	v_and_b32_e32 v22, s50, v4
	v_and_b32_e32 v24, 1, v22
	v_add_co_u32_e64 v25, s[16:17], -1, v24
	v_lshlrev_b32_e32 v4, 30, v22
	v_addc_co_u32_e64 v28, s[16:17], 0, -1, s[16:17]
	v_mad_u32_u24 v5, v2, s19, v1
	v_cmp_ne_u32_e64 s[16:17], 0, v24
	v_cmp_gt_i64_e64 s[18:19], 0, v[3:4]
	v_not_b32_e32 v24, v4
	v_lshlrev_b32_e32 v4, 29, v22
	v_xor_b32_e32 v28, s17, v28
	v_xor_b32_e32 v25, s16, v25
	v_ashrrev_i32_e32 v24, 31, v24
	v_cmp_gt_i64_e64 s[16:17], 0, v[3:4]
	v_not_b32_e32 v29, v4
	v_lshlrev_b32_e32 v4, 28, v22
	v_and_b32_e32 v28, exec_hi, v28
	v_and_b32_e32 v25, exec_lo, v25
	v_xor_b32_e32 v30, s19, v24
	v_xor_b32_e32 v24, s18, v24
	v_ashrrev_i32_e32 v29, 31, v29
	v_cmp_gt_i64_e64 s[18:19], 0, v[3:4]
	v_not_b32_e32 v31, v4
	v_lshlrev_b32_e32 v4, 27, v22
	v_and_b32_e32 v28, v28, v30
	v_and_b32_e32 v24, v25, v24
	v_xor_b32_e32 v25, s17, v29
	v_xor_b32_e32 v29, s16, v29
	v_ashrrev_i32_e32 v30, 31, v31
	v_cmp_gt_i64_e64 s[16:17], 0, v[3:4]
	v_not_b32_e32 v31, v4
	v_lshlrev_b32_e32 v4, 26, v22
	v_and_b32_e32 v25, v28, v25
	v_and_b32_e32 v24, v24, v29
	;; [unrolled: 8-line block ×3, first 2 shown]
	v_xor_b32_e32 v28, s17, v30
	v_xor_b32_e32 v29, s16, v30
	v_ashrrev_i32_e32 v30, 31, v31
	v_cmp_gt_i64_e64 s[16:17], 0, v[3:4]
	v_not_b32_e32 v31, v4
	v_mul_u32_u24_e32 v27, 36, v22
	v_lshlrev_b32_e32 v4, 24, v22
	v_and_b32_e32 v22, v25, v28
	v_and_b32_e32 v24, v24, v29
	v_xor_b32_e32 v25, s19, v30
	v_xor_b32_e32 v28, s18, v30
	v_ashrrev_i32_e32 v29, 31, v31
	v_and_b32_e32 v22, v22, v25
	v_and_b32_e32 v24, v24, v28
	v_xor_b32_e32 v25, s17, v29
	v_xor_b32_e32 v28, s16, v29
	v_and_b32_e32 v22, v22, v25
	v_and_b32_e32 v28, v24, v28
	v_cmp_gt_i64_e64 s[18:19], 0, v[3:4]
	v_not_b32_e32 v4, v4
	v_ashrrev_i32_e32 v4, 31, v4
	v_xor_b32_e32 v29, s19, v4
	v_xor_b32_e32 v4, s18, v4
	v_and_b32_e32 v4, v28, v4
	v_mul_u32_u24_e32 v21, 20, v0
	ds_write2_b32 v21, v3, v3 offset0:8 offset1:9
	ds_write2_b32 v21, v3, v3 offset0:10 offset1:11
	ds_write_b32 v21, v3 offset:48
	s_waitcnt vmcnt(0) lgkmcnt(0)
	s_barrier
	; wave barrier
	v_mad_u64_u32 v[24:25], s[16:17], v5, v19, v[0:1]
	v_and_b32_e32 v5, v22, v29
	v_cmp_ne_u64_e64 s[16:17], 0, v[4:5]
	v_lshrrev_b32_e32 v19, 4, v24
	v_and_b32_e32 v31, 0xffffffc, v19
	v_mbcnt_lo_u32_b32 v19, v4, 0
	v_mbcnt_hi_u32_b32 v24, v5, v19
	v_cmp_eq_u32_e64 s[18:19], 0, v24
	s_and_b64 s[18:19], s[16:17], s[18:19]
	v_add_u32_e32 v27, v31, v27
	s_and_saveexec_b64 s[16:17], s[18:19]
; %bb.14:
	v_bcnt_u32_b32 v4, v4, 0
	v_bcnt_u32_b32 v4, v5, v4
	ds_write_b32 v27, v4 offset:32
; %bb.15:
	s_or_b64 exec, exec, s[16:17]
	v_lshrrev_b32_e32 v4, s40, v18
	v_and_b32_e32 v5, s50, v4
	v_mad_u32_u24 v4, v5, 36, v31
	; wave barrier
	ds_read_b32 v18, v4 offset:32
	v_and_b32_e32 v4, 1, v5
	v_add_co_u32_e64 v19, s[16:17], -1, v4
	v_addc_co_u32_e64 v25, s[16:17], 0, -1, s[16:17]
	v_cmp_ne_u32_e64 s[16:17], 0, v4
	v_xor_b32_e32 v4, s17, v25
	v_and_b32_e32 v25, exec_hi, v4
	v_lshlrev_b32_e32 v4, 30, v5
	v_xor_b32_e32 v19, s16, v19
	v_cmp_gt_i64_e64 s[16:17], 0, v[3:4]
	v_not_b32_e32 v4, v4
	v_ashrrev_i32_e32 v4, 31, v4
	v_and_b32_e32 v19, exec_lo, v19
	v_xor_b32_e32 v28, s17, v4
	v_xor_b32_e32 v4, s16, v4
	v_and_b32_e32 v19, v19, v4
	v_lshlrev_b32_e32 v4, 29, v5
	v_cmp_gt_i64_e64 s[16:17], 0, v[3:4]
	v_not_b32_e32 v4, v4
	v_ashrrev_i32_e32 v4, 31, v4
	v_and_b32_e32 v25, v25, v28
	v_xor_b32_e32 v28, s17, v4
	v_xor_b32_e32 v4, s16, v4
	v_and_b32_e32 v19, v19, v4
	v_lshlrev_b32_e32 v4, 28, v5
	v_cmp_gt_i64_e64 s[16:17], 0, v[3:4]
	v_not_b32_e32 v4, v4
	v_ashrrev_i32_e32 v4, 31, v4
	v_and_b32_e32 v25, v25, v28
	;; [unrolled: 8-line block ×5, first 2 shown]
	v_xor_b32_e32 v28, s17, v4
	v_xor_b32_e32 v4, s16, v4
	v_and_b32_e32 v19, v19, v4
	v_lshlrev_b32_e32 v4, 24, v5
	v_cmp_gt_i64_e64 s[16:17], 0, v[3:4]
	v_not_b32_e32 v3, v4
	v_ashrrev_i32_e32 v3, 31, v3
	v_xor_b32_e32 v4, s17, v3
	v_xor_b32_e32 v3, s16, v3
	v_and_b32_e32 v25, v25, v28
	v_and_b32_e32 v3, v19, v3
	v_mul_u32_u24_e32 v22, 36, v5
	v_and_b32_e32 v4, v25, v4
	v_mbcnt_lo_u32_b32 v5, v3, 0
	v_mbcnt_hi_u32_b32 v19, v4, v5
	v_cmp_ne_u64_e64 s[16:17], 0, v[3:4]
	v_cmp_eq_u32_e64 s[18:19], 0, v19
	s_and_b64 s[18:19], s[16:17], s[18:19]
	v_add_u32_e32 v30, v31, v22
	; wave barrier
	s_and_saveexec_b64 s[16:17], s[18:19]
	s_cbranch_execz .LBB303_17
; %bb.16:
	v_bcnt_u32_b32 v3, v3, 0
	v_bcnt_u32_b32 v3, v4, v3
	s_waitcnt lgkmcnt(0)
	v_add_u32_e32 v3, v18, v3
	ds_write_b32 v30, v3 offset:32
.LBB303_17:
	s_or_b64 exec, exec, s[16:17]
	v_lshrrev_b32_e32 v3, s40, v20
	v_and_b32_e32 v5, s50, v3
	v_and_b32_e32 v4, 1, v5
	v_add_co_u32_e64 v22, s[16:17], -1, v4
	v_addc_co_u32_e64 v28, s[16:17], 0, -1, s[16:17]
	v_cmp_ne_u32_e64 s[16:17], 0, v4
	v_mad_u32_u24 v3, v5, 36, v31
	v_xor_b32_e32 v4, s17, v28
	; wave barrier
	ds_read_b32 v20, v3 offset:32
	v_mov_b32_e32 v3, 0
	v_and_b32_e32 v28, exec_hi, v4
	v_lshlrev_b32_e32 v4, 30, v5
	v_xor_b32_e32 v22, s16, v22
	v_cmp_gt_i64_e64 s[16:17], 0, v[3:4]
	v_not_b32_e32 v4, v4
	v_ashrrev_i32_e32 v4, 31, v4
	v_and_b32_e32 v22, exec_lo, v22
	v_xor_b32_e32 v29, s17, v4
	v_xor_b32_e32 v4, s16, v4
	v_and_b32_e32 v22, v22, v4
	v_lshlrev_b32_e32 v4, 29, v5
	v_cmp_gt_i64_e64 s[16:17], 0, v[3:4]
	v_not_b32_e32 v4, v4
	v_ashrrev_i32_e32 v4, 31, v4
	v_and_b32_e32 v28, v28, v29
	v_xor_b32_e32 v29, s17, v4
	v_xor_b32_e32 v4, s16, v4
	v_and_b32_e32 v22, v22, v4
	v_lshlrev_b32_e32 v4, 28, v5
	v_cmp_gt_i64_e64 s[16:17], 0, v[3:4]
	v_not_b32_e32 v4, v4
	v_ashrrev_i32_e32 v4, 31, v4
	v_and_b32_e32 v28, v28, v29
	v_xor_b32_e32 v29, s17, v4
	v_xor_b32_e32 v4, s16, v4
	v_and_b32_e32 v22, v22, v4
	v_lshlrev_b32_e32 v4, 27, v5
	v_cmp_gt_i64_e64 s[16:17], 0, v[3:4]
	v_not_b32_e32 v4, v4
	v_ashrrev_i32_e32 v4, 31, v4
	v_and_b32_e32 v28, v28, v29
	v_xor_b32_e32 v29, s17, v4
	v_xor_b32_e32 v4, s16, v4
	v_and_b32_e32 v22, v22, v4
	v_lshlrev_b32_e32 v4, 26, v5
	v_cmp_gt_i64_e64 s[16:17], 0, v[3:4]
	v_not_b32_e32 v4, v4
	v_ashrrev_i32_e32 v4, 31, v4
	v_and_b32_e32 v28, v28, v29
	v_xor_b32_e32 v29, s17, v4
	v_xor_b32_e32 v4, s16, v4
	v_and_b32_e32 v22, v22, v4
	v_lshlrev_b32_e32 v4, 25, v5
	v_cmp_gt_i64_e64 s[16:17], 0, v[3:4]
	v_not_b32_e32 v4, v4
	v_ashrrev_i32_e32 v4, 31, v4
	v_and_b32_e32 v28, v28, v29
	v_xor_b32_e32 v29, s17, v4
	v_xor_b32_e32 v4, s16, v4
	v_and_b32_e32 v22, v22, v4
	v_lshlrev_b32_e32 v4, 24, v5
	v_cmp_gt_i64_e64 s[16:17], 0, v[3:4]
	v_not_b32_e32 v4, v4
	v_ashrrev_i32_e32 v4, 31, v4
	v_mul_u32_u24_e32 v25, 36, v5
	v_xor_b32_e32 v5, s17, v4
	v_xor_b32_e32 v4, s16, v4
	v_and_b32_e32 v28, v28, v29
	v_and_b32_e32 v4, v22, v4
	;; [unrolled: 1-line block ×3, first 2 shown]
	v_mbcnt_lo_u32_b32 v22, v4, 0
	v_mbcnt_hi_u32_b32 v22, v5, v22
	v_cmp_ne_u64_e64 s[16:17], 0, v[4:5]
	v_cmp_eq_u32_e64 s[18:19], 0, v22
	s_and_b64 s[18:19], s[16:17], s[18:19]
	v_add_u32_e32 v33, v31, v25
	; wave barrier
	s_and_saveexec_b64 s[16:17], s[18:19]
	s_cbranch_execz .LBB303_19
; %bb.18:
	v_bcnt_u32_b32 v4, v4, 0
	v_bcnt_u32_b32 v4, v5, v4
	s_waitcnt lgkmcnt(0)
	v_add_u32_e32 v4, v20, v4
	ds_write_b32 v33, v4 offset:32
.LBB303_19:
	s_or_b64 exec, exec, s[16:17]
	v_lshrrev_b32_e32 v4, s40, v23
	v_and_b32_e32 v5, s50, v4
	v_mad_u32_u24 v4, v5, 36, v31
	; wave barrier
	ds_read_b32 v23, v4 offset:32
	v_and_b32_e32 v4, 1, v5
	v_add_co_u32_e64 v25, s[16:17], -1, v4
	v_addc_co_u32_e64 v29, s[16:17], 0, -1, s[16:17]
	v_cmp_ne_u32_e64 s[16:17], 0, v4
	v_xor_b32_e32 v4, s17, v29
	v_and_b32_e32 v29, exec_hi, v4
	v_lshlrev_b32_e32 v4, 30, v5
	v_xor_b32_e32 v25, s16, v25
	v_cmp_gt_i64_e64 s[16:17], 0, v[3:4]
	v_not_b32_e32 v4, v4
	v_ashrrev_i32_e32 v4, 31, v4
	v_and_b32_e32 v25, exec_lo, v25
	v_xor_b32_e32 v32, s17, v4
	v_xor_b32_e32 v4, s16, v4
	v_and_b32_e32 v25, v25, v4
	v_lshlrev_b32_e32 v4, 29, v5
	v_cmp_gt_i64_e64 s[16:17], 0, v[3:4]
	v_not_b32_e32 v4, v4
	v_ashrrev_i32_e32 v4, 31, v4
	v_and_b32_e32 v29, v29, v32
	v_xor_b32_e32 v32, s17, v4
	v_xor_b32_e32 v4, s16, v4
	v_and_b32_e32 v25, v25, v4
	v_lshlrev_b32_e32 v4, 28, v5
	v_cmp_gt_i64_e64 s[16:17], 0, v[3:4]
	v_not_b32_e32 v4, v4
	v_ashrrev_i32_e32 v4, 31, v4
	v_and_b32_e32 v29, v29, v32
	;; [unrolled: 8-line block ×5, first 2 shown]
	v_xor_b32_e32 v32, s17, v4
	v_xor_b32_e32 v4, s16, v4
	v_and_b32_e32 v25, v25, v4
	v_lshlrev_b32_e32 v4, 24, v5
	v_cmp_gt_i64_e64 s[16:17], 0, v[3:4]
	v_not_b32_e32 v3, v4
	v_ashrrev_i32_e32 v3, 31, v3
	v_xor_b32_e32 v4, s17, v3
	v_xor_b32_e32 v3, s16, v3
	v_and_b32_e32 v29, v29, v32
	v_and_b32_e32 v3, v25, v3
	v_mul_u32_u24_e32 v28, 36, v5
	v_and_b32_e32 v4, v29, v4
	v_mbcnt_lo_u32_b32 v5, v3, 0
	v_mbcnt_hi_u32_b32 v25, v4, v5
	v_cmp_ne_u64_e64 s[16:17], 0, v[3:4]
	v_cmp_eq_u32_e64 s[18:19], 0, v25
	s_and_b64 s[18:19], s[16:17], s[18:19]
	v_add_u32_e32 v34, v31, v28
	; wave barrier
	s_and_saveexec_b64 s[16:17], s[18:19]
	s_cbranch_execz .LBB303_21
; %bb.20:
	v_bcnt_u32_b32 v3, v3, 0
	v_bcnt_u32_b32 v3, v4, v3
	s_waitcnt lgkmcnt(0)
	v_add_u32_e32 v3, v23, v3
	ds_write_b32 v34, v3 offset:32
.LBB303_21:
	s_or_b64 exec, exec, s[16:17]
	v_lshrrev_b32_e32 v3, s40, v26
	v_and_b32_e32 v5, s50, v3
	v_and_b32_e32 v4, 1, v5
	v_add_co_u32_e64 v28, s[16:17], -1, v4
	v_addc_co_u32_e64 v32, s[16:17], 0, -1, s[16:17]
	v_cmp_ne_u32_e64 s[16:17], 0, v4
	v_mad_u32_u24 v3, v5, 36, v31
	v_xor_b32_e32 v4, s17, v32
	; wave barrier
	ds_read_b32 v26, v3 offset:32
	v_mov_b32_e32 v3, 0
	v_and_b32_e32 v32, exec_hi, v4
	v_lshlrev_b32_e32 v4, 30, v5
	v_xor_b32_e32 v28, s16, v28
	v_cmp_gt_i64_e64 s[16:17], 0, v[3:4]
	v_not_b32_e32 v4, v4
	v_ashrrev_i32_e32 v4, 31, v4
	v_and_b32_e32 v28, exec_lo, v28
	v_xor_b32_e32 v35, s17, v4
	v_xor_b32_e32 v4, s16, v4
	v_and_b32_e32 v28, v28, v4
	v_lshlrev_b32_e32 v4, 29, v5
	v_cmp_gt_i64_e64 s[16:17], 0, v[3:4]
	v_not_b32_e32 v4, v4
	v_ashrrev_i32_e32 v4, 31, v4
	v_and_b32_e32 v32, v32, v35
	v_xor_b32_e32 v35, s17, v4
	v_xor_b32_e32 v4, s16, v4
	v_and_b32_e32 v28, v28, v4
	v_lshlrev_b32_e32 v4, 28, v5
	v_cmp_gt_i64_e64 s[16:17], 0, v[3:4]
	v_not_b32_e32 v4, v4
	v_ashrrev_i32_e32 v4, 31, v4
	v_and_b32_e32 v32, v32, v35
	;; [unrolled: 8-line block ×5, first 2 shown]
	v_xor_b32_e32 v35, s17, v4
	v_xor_b32_e32 v4, s16, v4
	v_and_b32_e32 v28, v28, v4
	v_lshlrev_b32_e32 v4, 24, v5
	v_cmp_gt_i64_e64 s[16:17], 0, v[3:4]
	v_not_b32_e32 v4, v4
	v_ashrrev_i32_e32 v4, 31, v4
	v_mul_u32_u24_e32 v29, 36, v5
	v_xor_b32_e32 v5, s17, v4
	v_xor_b32_e32 v4, s16, v4
	v_and_b32_e32 v32, v32, v35
	v_and_b32_e32 v4, v28, v4
	;; [unrolled: 1-line block ×3, first 2 shown]
	v_mbcnt_lo_u32_b32 v28, v4, 0
	v_mbcnt_hi_u32_b32 v28, v5, v28
	v_cmp_ne_u64_e64 s[16:17], 0, v[4:5]
	v_cmp_eq_u32_e64 s[18:19], 0, v28
	s_and_b64 s[18:19], s[16:17], s[18:19]
	v_add_u32_e32 v35, v31, v29
	; wave barrier
	s_and_saveexec_b64 s[16:17], s[18:19]
	s_cbranch_execz .LBB303_23
; %bb.22:
	v_bcnt_u32_b32 v4, v4, 0
	v_bcnt_u32_b32 v4, v5, v4
	s_waitcnt lgkmcnt(0)
	v_add_u32_e32 v4, v26, v4
	ds_write_b32 v35, v4 offset:32
.LBB303_23:
	s_or_b64 exec, exec, s[16:17]
	v_lshrrev_b32_e32 v4, s40, v6
	v_and_b32_e32 v5, s50, v4
	v_mad_u32_u24 v4, v5, 36, v31
	; wave barrier
	ds_read_b32 v29, v4 offset:32
	v_and_b32_e32 v4, 1, v5
	v_add_co_u32_e64 v32, s[16:17], -1, v4
	v_addc_co_u32_e64 v36, s[16:17], 0, -1, s[16:17]
	v_cmp_ne_u32_e64 s[16:17], 0, v4
	v_xor_b32_e32 v4, s17, v36
	v_and_b32_e32 v36, exec_hi, v4
	v_lshlrev_b32_e32 v4, 30, v5
	v_xor_b32_e32 v32, s16, v32
	v_cmp_gt_i64_e64 s[16:17], 0, v[3:4]
	v_not_b32_e32 v4, v4
	v_ashrrev_i32_e32 v4, 31, v4
	v_and_b32_e32 v32, exec_lo, v32
	v_xor_b32_e32 v37, s17, v4
	v_xor_b32_e32 v4, s16, v4
	v_and_b32_e32 v32, v32, v4
	v_lshlrev_b32_e32 v4, 29, v5
	v_cmp_gt_i64_e64 s[16:17], 0, v[3:4]
	v_not_b32_e32 v4, v4
	v_ashrrev_i32_e32 v4, 31, v4
	v_and_b32_e32 v36, v36, v37
	v_xor_b32_e32 v37, s17, v4
	v_xor_b32_e32 v4, s16, v4
	v_and_b32_e32 v32, v32, v4
	v_lshlrev_b32_e32 v4, 28, v5
	v_cmp_gt_i64_e64 s[16:17], 0, v[3:4]
	v_not_b32_e32 v4, v4
	v_ashrrev_i32_e32 v4, 31, v4
	v_and_b32_e32 v36, v36, v37
	;; [unrolled: 8-line block ×5, first 2 shown]
	v_xor_b32_e32 v37, s17, v4
	v_xor_b32_e32 v4, s16, v4
	v_and_b32_e32 v32, v32, v4
	v_lshlrev_b32_e32 v4, 24, v5
	v_cmp_gt_i64_e64 s[16:17], 0, v[3:4]
	v_not_b32_e32 v3, v4
	v_ashrrev_i32_e32 v3, 31, v3
	v_xor_b32_e32 v4, s17, v3
	v_xor_b32_e32 v3, s16, v3
	v_and_b32_e32 v36, v36, v37
	v_and_b32_e32 v3, v32, v3
	v_mul_u32_u24_e32 v6, 36, v5
	v_and_b32_e32 v4, v36, v4
	v_mbcnt_lo_u32_b32 v5, v3, 0
	v_mbcnt_hi_u32_b32 v32, v4, v5
	v_cmp_ne_u64_e64 s[16:17], 0, v[3:4]
	v_cmp_eq_u32_e64 s[18:19], 0, v32
	s_and_b64 s[18:19], s[16:17], s[18:19]
	v_add_u32_e32 v36, v31, v6
	; wave barrier
	s_and_saveexec_b64 s[16:17], s[18:19]
	s_cbranch_execz .LBB303_25
; %bb.24:
	v_bcnt_u32_b32 v3, v3, 0
	v_bcnt_u32_b32 v3, v4, v3
	s_waitcnt lgkmcnt(0)
	v_add_u32_e32 v3, v29, v3
	ds_write_b32 v36, v3 offset:32
.LBB303_25:
	s_or_b64 exec, exec, s[16:17]
	; wave barrier
	s_waitcnt lgkmcnt(0)
	s_barrier
	ds_read2_b32 v[5:6], v21 offset0:8 offset1:9
	ds_read2_b32 v[3:4], v21 offset0:10 offset1:11
	ds_read_b32 v31, v21 offset:48
	v_min_u32_e32 v16, 0x1c0, v16
	v_or_b32_e32 v16, 63, v16
	s_waitcnt lgkmcnt(1)
	v_add3_u32 v37, v6, v5, v3
	s_waitcnt lgkmcnt(0)
	v_add3_u32 v31, v37, v4, v31
	v_and_b32_e32 v37, 15, v13
	v_cmp_ne_u32_e64 s[16:17], 0, v37
	v_mov_b32_dpp v38, v31 row_shr:1 row_mask:0xf bank_mask:0xf
	v_cndmask_b32_e64 v38, 0, v38, s[16:17]
	v_add_u32_e32 v31, v38, v31
	v_cmp_lt_u32_e64 s[16:17], 1, v37
	s_nop 0
	v_mov_b32_dpp v38, v31 row_shr:2 row_mask:0xf bank_mask:0xf
	v_cndmask_b32_e64 v38, 0, v38, s[16:17]
	v_add_u32_e32 v31, v31, v38
	v_cmp_lt_u32_e64 s[16:17], 3, v37
	s_nop 0
	;; [unrolled: 5-line block ×3, first 2 shown]
	v_mov_b32_dpp v38, v31 row_shr:8 row_mask:0xf bank_mask:0xf
	v_cndmask_b32_e64 v37, 0, v38, s[16:17]
	v_add_u32_e32 v31, v31, v37
	v_bfe_i32 v38, v13, 4, 1
	v_cmp_lt_u32_e64 s[16:17], 31, v13
	v_mov_b32_dpp v37, v31 row_bcast:15 row_mask:0xf bank_mask:0xf
	v_and_b32_e32 v37, v38, v37
	v_add_u32_e32 v31, v31, v37
	s_nop 1
	v_mov_b32_dpp v37, v31 row_bcast:31 row_mask:0xf bank_mask:0xf
	v_cndmask_b32_e64 v37, 0, v37, s[16:17]
	v_add_u32_e32 v31, v31, v37
	v_lshrrev_b32_e32 v37, 6, v0
	v_cmp_eq_u32_e64 s[16:17], v0, v16
	s_and_saveexec_b64 s[18:19], s[16:17]
; %bb.26:
	v_lshlrev_b32_e32 v16, 2, v37
	ds_write_b32 v16, v31
; %bb.27:
	s_or_b64 exec, exec, s[18:19]
	v_cmp_gt_u32_e64 s[16:17], 8, v0
	s_waitcnt lgkmcnt(0)
	s_barrier
	s_and_saveexec_b64 s[22:23], s[16:17]
	s_cbranch_execz .LBB303_29
; %bb.28:
	v_lshlrev_b32_e32 v16, 2, v0
	ds_read_b32 v38, v16
	v_and_b32_e32 v39, 7, v13
	v_cmp_ne_u32_e64 s[16:17], 0, v39
	v_cmp_lt_u32_e64 s[18:19], 1, v39
	s_waitcnt lgkmcnt(0)
	v_mov_b32_dpp v40, v38 row_shr:1 row_mask:0xf bank_mask:0xf
	v_cndmask_b32_e64 v40, 0, v40, s[16:17]
	v_add_u32_e32 v38, v40, v38
	v_cmp_lt_u32_e64 s[16:17], 3, v39
	s_nop 0
	v_mov_b32_dpp v40, v38 row_shr:2 row_mask:0xf bank_mask:0xf
	v_cndmask_b32_e64 v40, 0, v40, s[18:19]
	v_add_u32_e32 v38, v38, v40
	s_nop 1
	v_mov_b32_dpp v40, v38 row_shr:4 row_mask:0xf bank_mask:0xf
	v_cndmask_b32_e64 v39, 0, v40, s[16:17]
	v_add_u32_e32 v38, v38, v39
	ds_write_b32 v16, v38
.LBB303_29:
	s_or_b64 exec, exec, s[22:23]
	v_cmp_lt_u32_e64 s[16:17], 63, v0
	v_mov_b32_e32 v16, 0
	s_waitcnt lgkmcnt(0)
	s_barrier
	s_and_saveexec_b64 s[18:19], s[16:17]
; %bb.30:
	v_lshl_add_u32 v16, v37, 2, -4
	ds_read_b32 v16, v16
; %bb.31:
	s_or_b64 exec, exec, s[18:19]
	v_subrev_co_u32_e64 v37, s[16:17], 1, v13
	v_and_b32_e32 v38, 64, v13
	v_cmp_lt_i32_e64 s[18:19], v37, v38
	v_cndmask_b32_e64 v13, v37, v13, s[18:19]
	s_waitcnt lgkmcnt(0)
	v_add_u32_e32 v31, v16, v31
	v_lshlrev_b32_e32 v13, 2, v13
	ds_bpermute_b32 v13, v13, v31
	s_movk_i32 s22, 0x100
	v_cmp_gt_u32_e64 s[18:19], s22, v0
	s_waitcnt lgkmcnt(0)
	v_cndmask_b32_e64 v13, v13, v16, s[16:17]
	v_cmp_ne_u32_e64 s[16:17], 0, v0
	v_cndmask_b32_e64 v13, 0, v13, s[16:17]
	v_add_u32_e32 v5, v13, v5
	v_add_u32_e32 v6, v5, v6
	;; [unrolled: 1-line block ×4, first 2 shown]
	ds_write2_b32 v21, v13, v5 offset0:8 offset1:9
	ds_write2_b32 v21, v6, v3 offset0:10 offset1:11
	ds_write_b32 v21, v4 offset:48
	s_waitcnt lgkmcnt(0)
	s_barrier
	ds_read_b32 v3, v27 offset:32
	ds_read_b32 v31, v30 offset:32
	;; [unrolled: 1-line block ×6, first 2 shown]
	s_movk_i32 s16, 0xff
	v_cmp_lt_u32_e64 s[16:17], s16, v0
                                        ; implicit-def: $vgpr21
                                        ; implicit-def: $vgpr27
	s_and_saveexec_b64 s[42:43], s[18:19]
	s_cbranch_execz .LBB303_35
; %bb.32:
	v_mul_u32_u24_e32 v4, 36, v0
	ds_read_b32 v21, v4 offset:32
	v_add_u32_e32 v5, 1, v0
	v_cmp_ne_u32_e64 s[22:23], s22, v5
	v_mov_b32_e32 v4, 0xc00
	s_and_saveexec_b64 s[46:47], s[22:23]
; %bb.33:
	v_mul_u32_u24_e32 v4, 36, v5
	ds_read_b32 v4, v4 offset:32
; %bb.34:
	s_or_b64 exec, exec, s[46:47]
	s_waitcnt lgkmcnt(0)
	v_sub_u32_e32 v27, v4, v21
.LBB303_35:
	s_or_b64 exec, exec, s[42:43]
	s_waitcnt lgkmcnt(5)
	v_add_u32_e32 v24, v3, v24
	s_waitcnt lgkmcnt(3)
	v_add3_u32 v4, v22, v20, v33
	v_add3_u32 v3, v19, v18, v31
	s_waitcnt lgkmcnt(2)
	v_add3_u32 v5, v25, v23, v34
	s_waitcnt lgkmcnt(1)
	;; [unrolled: 2-line block ×3, first 2 shown]
	v_add3_u32 v13, v32, v29, v36
	s_barrier
	ds_write_b8 v24, v8 offset:1024
	ds_write_b8 v3, v7 offset:1024
	;; [unrolled: 1-line block ×6, first 2 shown]
	v_mov_b32_e32 v4, 0
	v_lshlrev_b32_e32 v30, 2, v0
	s_and_saveexec_b64 s[22:23], s[18:19]
	s_cbranch_execz .LBB303_45
; %bb.36:
	v_lshl_add_u32 v3, s6, 8, v0
	v_lshlrev_b64 v[5:6], 2, v[3:4]
	v_mov_b32_e32 v11, s45
	v_add_co_u32_e64 v5, s[18:19], s44, v5
	v_addc_co_u32_e64 v6, s[18:19], v11, v6, s[18:19]
	v_or_b32_e32 v3, 2.0, v27
	s_mov_b64 s[42:43], 0
	s_brev_b32 s51, -4
	s_mov_b32 s52, s6
	v_mov_b32_e32 v12, 0
	global_store_dword v[5:6], v3, off
                                        ; implicit-def: $sgpr18_sgpr19
	s_branch .LBB303_39
.LBB303_37:                             ;   in Loop: Header=BB303_39 Depth=1
	s_or_b64 exec, exec, s[48:49]
.LBB303_38:                             ;   in Loop: Header=BB303_39 Depth=1
	s_or_b64 exec, exec, s[46:47]
	v_and_b32_e32 v7, 0x3fffffff, v3
	v_add_u32_e32 v12, v7, v12
	v_cmp_gt_i32_e64 s[18:19], -2.0, v3
	s_and_b64 s[46:47], exec, s[18:19]
	s_or_b64 s[42:43], s[46:47], s[42:43]
	s_andn2_b64 exec, exec, s[42:43]
	s_cbranch_execz .LBB303_44
.LBB303_39:                             ; =>This Loop Header: Depth=1
                                        ;     Child Loop BB303_42 Depth 2
	s_or_b64 s[18:19], s[18:19], exec
	s_cmp_eq_u32 s52, 0
	s_cbranch_scc1 .LBB303_43
; %bb.40:                               ;   in Loop: Header=BB303_39 Depth=1
	s_add_i32 s52, s52, -1
	v_lshl_or_b32 v3, s52, 8, v0
	v_lshlrev_b64 v[7:8], 2, v[3:4]
	v_add_co_u32_e64 v7, s[18:19], s44, v7
	v_addc_co_u32_e64 v8, s[18:19], v11, v8, s[18:19]
	global_load_dword v3, v[7:8], off glc
	s_waitcnt vmcnt(0)
	v_cmp_gt_u32_e64 s[18:19], 2.0, v3
	s_and_saveexec_b64 s[46:47], s[18:19]
	s_cbranch_execz .LBB303_38
; %bb.41:                               ;   in Loop: Header=BB303_39 Depth=1
	s_mov_b64 s[48:49], 0
.LBB303_42:                             ;   Parent Loop BB303_39 Depth=1
                                        ; =>  This Inner Loop Header: Depth=2
	global_load_dword v3, v[7:8], off glc
	s_waitcnt vmcnt(0)
	v_cmp_lt_u32_e64 s[18:19], s51, v3
	s_or_b64 s[48:49], s[18:19], s[48:49]
	s_andn2_b64 exec, exec, s[48:49]
	s_cbranch_execnz .LBB303_42
	s_branch .LBB303_37
.LBB303_43:                             ;   in Loop: Header=BB303_39 Depth=1
                                        ; implicit-def: $sgpr52
	s_and_b64 s[46:47], exec, s[18:19]
	s_or_b64 s[42:43], s[46:47], s[42:43]
	s_andn2_b64 exec, exec, s[42:43]
	s_cbranch_execnz .LBB303_39
.LBB303_44:
	s_or_b64 exec, exec, s[42:43]
	v_add_u32_e32 v3, v12, v27
	v_or_b32_e32 v3, 0x80000000, v3
	global_store_dword v[5:6], v3, off
	global_load_dword v3, v30, s[36:37]
	v_sub_u32_e32 v4, v12, v21
	s_waitcnt vmcnt(0)
	v_add_u32_e32 v3, v4, v3
	ds_write_b32 v30, v3
.LBB303_45:
	s_or_b64 exec, exec, s[22:23]
	v_cmp_gt_u32_e64 s[18:19], s7, v0
	s_waitcnt lgkmcnt(0)
	s_barrier
	s_and_saveexec_b64 s[22:23], s[18:19]
	s_cbranch_execz .LBB303_47
; %bb.46:
	ds_read_u8 v3, v0 offset:1024
	s_waitcnt lgkmcnt(0)
	v_lshrrev_b32_sdwa v4, s40, v3 dst_sel:DWORD dst_unused:UNUSED_PAD src0_sel:DWORD src1_sel:BYTE_0
	v_and_b32_e32 v4, s50, v4
	v_lshlrev_b32_e32 v5, 2, v4
	ds_read_b32 v5, v5
	buffer_store_dword v4, off, s[0:3], 0
	s_waitcnt lgkmcnt(0)
	v_add_u32_e32 v5, v5, v0
	global_store_byte v5, v3, s[26:27]
.LBB303_47:
	s_or_b64 exec, exec, s[22:23]
	v_or_b32_e32 v3, 0x200, v0
	v_cmp_gt_u32_e64 s[18:19], s7, v3
	s_and_saveexec_b64 s[22:23], s[18:19]
	s_cbranch_execz .LBB303_49
; %bb.48:
	ds_read_u8 v4, v0 offset:1536
	s_waitcnt lgkmcnt(0)
	v_lshrrev_b32_sdwa v5, s40, v4 dst_sel:DWORD dst_unused:UNUSED_PAD src0_sel:DWORD src1_sel:BYTE_0
	v_and_b32_e32 v5, s50, v5
	v_lshlrev_b32_e32 v6, 2, v5
	ds_read_b32 v6, v6
	buffer_store_dword v5, off, s[0:3], 0 offset:4
	s_waitcnt lgkmcnt(0)
	v_add_u32_e32 v3, v6, v3
	global_store_byte v3, v4, s[26:27]
.LBB303_49:
	s_or_b64 exec, exec, s[22:23]
	v_or_b32_e32 v3, 0x400, v0
	v_cmp_gt_u32_e64 s[18:19], s7, v3
	s_and_saveexec_b64 s[22:23], s[18:19]
	s_cbranch_execz .LBB303_51
; %bb.50:
	ds_read_u8 v4, v0 offset:2048
	s_waitcnt lgkmcnt(0)
	v_lshrrev_b32_sdwa v5, s40, v4 dst_sel:DWORD dst_unused:UNUSED_PAD src0_sel:DWORD src1_sel:BYTE_0
	v_and_b32_e32 v5, s50, v5
	v_lshlrev_b32_e32 v6, 2, v5
	ds_read_b32 v6, v6
	buffer_store_dword v5, off, s[0:3], 0 offset:8
	s_waitcnt lgkmcnt(0)
	v_add_u32_e32 v3, v6, v3
	global_store_byte v3, v4, s[26:27]
.LBB303_51:
	;; [unrolled: 17-line block ×5, first 2 shown]
	s_or_b64 exec, exec, s[22:23]
	s_lshl_b64 s[18:19], s[34:35], 3
	s_add_u32 s18, s28, s18
	s_addc_u32 s19, s29, s19
	v_lshlrev_b32_e32 v3, 3, v10
	v_mov_b32_e32 v4, s19
	v_add_co_u32_e64 v3, s[18:19], s18, v3
	v_addc_co_u32_e64 v4, s[18:19], 0, v4, s[18:19]
	v_lshlrev_b32_e32 v5, 3, v9
	v_add_co_u32_e64 v15, s[18:19], v3, v5
	v_addc_co_u32_e64 v16, s[18:19], 0, v4, s[18:19]
                                        ; implicit-def: $vgpr3_vgpr4
	s_and_saveexec_b64 s[18:19], vcc
	s_xor_b64 s[18:19], exec, s[18:19]
	s_cbranch_execz .LBB303_63
; %bb.58:
	global_load_dwordx2 v[3:4], v[15:16], off
	s_or_b64 exec, exec, s[18:19]
                                        ; implicit-def: $vgpr5_vgpr6
	s_and_saveexec_b64 s[18:19], s[20:21]
	s_cbranch_execnz .LBB303_64
.LBB303_59:
	s_or_b64 exec, exec, s[18:19]
                                        ; implicit-def: $vgpr7_vgpr8
	s_and_saveexec_b64 s[18:19], s[8:9]
	s_cbranch_execz .LBB303_65
.LBB303_60:
	global_load_dwordx2 v[7:8], v[15:16], off offset:1024
	s_or_b64 exec, exec, s[18:19]
                                        ; implicit-def: $vgpr9_vgpr10
	s_and_saveexec_b64 s[8:9], s[10:11]
	s_cbranch_execnz .LBB303_66
.LBB303_61:
	s_or_b64 exec, exec, s[8:9]
                                        ; implicit-def: $vgpr11_vgpr12
	s_and_saveexec_b64 s[8:9], s[12:13]
	s_cbranch_execz .LBB303_67
.LBB303_62:
	global_load_dwordx2 v[11:12], v[15:16], off offset:2048
	s_or_b64 exec, exec, s[8:9]
                                        ; implicit-def: $vgpr13_vgpr14
	s_and_saveexec_b64 s[8:9], s[14:15]
	s_cbranch_execnz .LBB303_68
	s_branch .LBB303_69
.LBB303_63:
	s_or_b64 exec, exec, s[18:19]
                                        ; implicit-def: $vgpr5_vgpr6
	s_and_saveexec_b64 s[18:19], s[20:21]
	s_cbranch_execz .LBB303_59
.LBB303_64:
	global_load_dwordx2 v[5:6], v[15:16], off offset:512
	s_or_b64 exec, exec, s[18:19]
                                        ; implicit-def: $vgpr7_vgpr8
	s_and_saveexec_b64 s[18:19], s[8:9]
	s_cbranch_execnz .LBB303_60
.LBB303_65:
	s_or_b64 exec, exec, s[18:19]
                                        ; implicit-def: $vgpr9_vgpr10
	s_and_saveexec_b64 s[8:9], s[10:11]
	s_cbranch_execz .LBB303_61
.LBB303_66:
	global_load_dwordx2 v[9:10], v[15:16], off offset:1536
	s_or_b64 exec, exec, s[8:9]
                                        ; implicit-def: $vgpr11_vgpr12
	s_and_saveexec_b64 s[8:9], s[12:13]
	s_cbranch_execnz .LBB303_62
.LBB303_67:
	s_or_b64 exec, exec, s[8:9]
                                        ; implicit-def: $vgpr13_vgpr14
	s_and_saveexec_b64 s[8:9], s[14:15]
	s_cbranch_execz .LBB303_69
.LBB303_68:
	global_load_dwordx2 v[13:14], v[15:16], off offset:2560
.LBB303_69:
	s_or_b64 exec, exec, s[8:9]
	v_lshlrev_b32_e32 v37, 3, v0
	v_add3_u32 v29, v32, v36, v29
	v_add3_u32 v26, v28, v35, v26
	;; [unrolled: 1-line block ×5, first 2 shown]
	s_mov_b32 s10, 0
	s_mov_b32 s11, 0
	v_mov_b32_e32 v16, 0
	s_movk_i32 s12, 0x200
	v_mov_b32_e32 v19, v0
	s_waitcnt vmcnt(0)
	s_barrier
	s_branch .LBB303_71
.LBB303_70:                             ;   in Loop: Header=BB303_71 Depth=1
	s_or_b64 exec, exec, s[8:9]
	s_addk_i32 s11, 0xfc00
	s_add_i32 s10, s10, 8
	s_cmpk_eq_i32 s11, 0xf400
	v_add_u32_e32 v19, 0x400, v19
	s_waitcnt vmcnt(0)
	s_barrier
	s_cbranch_scc1 .LBB303_75
.LBB303_71:                             ; =>This Inner Loop Header: Depth=1
	v_add_u32_e32 v15, s11, v24
	v_min_u32_e32 v15, 0x400, v15
	v_lshlrev_b32_e32 v15, 3, v15
	ds_write_b64 v15, v[3:4] offset:1024
	v_add_u32_e32 v15, s11, v18
	v_min_u32_e32 v15, 0x400, v15
	v_lshlrev_b32_e32 v15, 3, v15
	ds_write_b64 v15, v[5:6] offset:1024
	;; [unrolled: 4-line block ×5, first 2 shown]
	v_add_u32_e32 v15, s11, v29
	v_min_u32_e32 v15, 0x400, v15
	v_lshlrev_b32_e32 v15, 3, v15
	v_cmp_gt_u32_e32 vcc, s7, v19
	ds_write_b64 v15, v[13:14] offset:1024
	s_waitcnt lgkmcnt(0)
	s_barrier
	s_and_saveexec_b64 s[8:9], vcc
	s_cbranch_execz .LBB303_73
; %bb.72:                               ;   in Loop: Header=BB303_71 Depth=1
	v_mov_b32_e32 v15, s10
	buffer_load_dword v15, v15, s[0:3], 0 offen
	v_mov_b32_e32 v22, s31
	s_waitcnt vmcnt(0)
	v_lshlrev_b32_e32 v15, 2, v15
	ds_read_b32 v15, v15
	ds_read_b64 v[31:32], v37 offset:1024
	s_waitcnt lgkmcnt(1)
	v_add_u32_e32 v15, v19, v15
	v_lshlrev_b64 v[33:34], 3, v[15:16]
	v_add_co_u32_e32 v33, vcc, s30, v33
	v_addc_co_u32_e32 v34, vcc, v22, v34, vcc
	s_waitcnt lgkmcnt(0)
	global_store_dwordx2 v[33:34], v[31:32], off
.LBB303_73:                             ;   in Loop: Header=BB303_71 Depth=1
	s_or_b64 exec, exec, s[8:9]
	v_add_u32_e32 v15, 0x200, v19
	v_cmp_gt_u32_e32 vcc, s7, v15
	s_and_saveexec_b64 s[8:9], vcc
	s_cbranch_execz .LBB303_70
; %bb.74:                               ;   in Loop: Header=BB303_71 Depth=1
	v_mov_b32_e32 v15, s10
	buffer_load_dword v15, v15, s[0:3], 0 offen offset:4
	v_mov_b32_e32 v22, s31
	s_waitcnt vmcnt(0)
	v_lshlrev_b32_e32 v15, 2, v15
	ds_read_b32 v15, v15
	ds_read_b64 v[31:32], v37 offset:5120
	s_waitcnt lgkmcnt(1)
	v_add3_u32 v15, v19, v15, s12
	v_lshlrev_b64 v[33:34], 3, v[15:16]
	v_add_co_u32_e32 v33, vcc, s30, v33
	v_addc_co_u32_e32 v34, vcc, v22, v34, vcc
	s_waitcnt lgkmcnt(0)
	global_store_dwordx2 v[33:34], v[31:32], off
	s_branch .LBB303_70
.LBB303_75:
	s_add_i32 s33, s33, -1
	s_cmp_eq_u32 s6, s33
	s_cselect_b64 s[8:9], -1, 0
	s_xor_b64 s[10:11], s[16:17], -1
	s_and_b64 s[10:11], s[10:11], s[8:9]
	s_and_saveexec_b64 s[8:9], s[10:11]
	s_cbranch_execz .LBB303_77
; %bb.76:
	ds_read_b32 v3, v30
	s_waitcnt lgkmcnt(0)
	v_add3_u32 v3, v21, v27, v3
	global_store_dword v30, v3, s[38:39]
.LBB303_77:
	s_or_b64 exec, exec, s[8:9]
	s_mov_b64 s[8:9], 0
.LBB303_78:
	s_and_b64 vcc, exec, s[8:9]
	s_cbranch_vccz .LBB303_115
; %bb.79:
	s_add_u32 s7, s24, s34
	v_mbcnt_hi_u32_b32 v9, -1, v17
	s_addc_u32 s8, s25, 0
	v_and_b32_e32 v8, 63, v9
	v_and_b32_e32 v10, 0x1c0, v0
	v_mov_b32_e32 v3, s8
	v_add_co_u32_e32 v4, vcc, s7, v8
	v_mul_u32_u24_e32 v7, 6, v10
	v_addc_co_u32_e32 v3, vcc, 0, v3, vcc
	v_add_co_u32_e32 v4, vcc, v4, v7
	v_addc_co_u32_e32 v5, vcc, 0, v3, vcc
	global_load_ubyte v6, v[4:5], off
	s_load_dword s8, s[4:5], 0x64
	s_load_dword s7, s[4:5], 0x58
	s_add_u32 s4, s4, 0x58
	s_addc_u32 s5, s5, 0
	v_mov_b32_e32 v3, 0
	s_waitcnt lgkmcnt(0)
	s_lshr_b32 s8, s8, 16
	s_cmp_lt_u32 s6, s7
	s_cselect_b32 s9, 12, 18
	s_add_u32 s4, s4, s9
	s_addc_u32 s5, s5, 0
	global_load_ushort v13, v3, s[4:5]
	global_load_ubyte v11, v[4:5], off offset:64
	global_load_ubyte v12, v[4:5], off offset:128
	;; [unrolled: 1-line block ×5, first 2 shown]
	s_lshl_b32 s4, -1, s41
	s_not_b32 s16, s4
	v_mad_u32_u24 v1, v2, s8, v1
	s_mov_b32 s35, 0
	v_mul_u32_u24_e32 v23, 20, v0
	ds_write2_b32 v23, v3, v3 offset0:8 offset1:9
	ds_write2_b32 v23, v3, v3 offset0:10 offset1:11
	ds_write_b32 v23, v3 offset:48
	s_waitcnt vmcnt(0) lgkmcnt(0)
	s_barrier
	; wave barrier
	v_lshrrev_b32_sdwa v4, s40, v6 dst_sel:DWORD dst_unused:UNUSED_PAD src0_sel:DWORD src1_sel:BYTE_0
	v_and_b32_e32 v15, s16, v4
	v_and_b32_e32 v5, 1, v15
	v_add_co_u32_e32 v16, vcc, -1, v5
	v_lshlrev_b32_e32 v4, 30, v15
	v_addc_co_u32_e64 v19, s[4:5], 0, -1, vcc
	v_cmp_ne_u32_e32 vcc, 0, v5
	v_cmp_gt_i64_e64 s[4:5], 0, v[3:4]
	v_not_b32_e32 v5, v4
	v_lshlrev_b32_e32 v4, 29, v15
	v_xor_b32_e32 v19, vcc_hi, v19
	v_ashrrev_i32_e32 v5, 31, v5
	v_xor_b32_e32 v16, vcc_lo, v16
	v_cmp_gt_i64_e32 vcc, 0, v[3:4]
	v_not_b32_e32 v20, v4
	v_lshlrev_b32_e32 v4, 28, v15
	v_and_b32_e32 v19, exec_hi, v19
	v_xor_b32_e32 v21, s5, v5
	v_and_b32_e32 v16, exec_lo, v16
	v_xor_b32_e32 v5, s4, v5
	v_ashrrev_i32_e32 v20, 31, v20
	v_cmp_gt_i64_e64 s[4:5], 0, v[3:4]
	v_not_b32_e32 v22, v4
	v_lshlrev_b32_e32 v4, 27, v15
	v_and_b32_e32 v19, v19, v21
	v_and_b32_e32 v5, v16, v5
	v_xor_b32_e32 v16, vcc_hi, v20
	v_xor_b32_e32 v20, vcc_lo, v20
	v_ashrrev_i32_e32 v21, 31, v22
	v_cmp_gt_i64_e32 vcc, 0, v[3:4]
	v_not_b32_e32 v22, v4
	v_lshlrev_b32_e32 v4, 26, v15
	v_and_b32_e32 v16, v19, v16
	v_and_b32_e32 v5, v5, v20
	v_xor_b32_e32 v19, s5, v21
	v_xor_b32_e32 v20, s4, v21
	v_ashrrev_i32_e32 v21, 31, v22
	v_cmp_gt_i64_e64 s[4:5], 0, v[3:4]
	v_not_b32_e32 v22, v4
	v_lshlrev_b32_e32 v4, 25, v15
	v_and_b32_e32 v16, v16, v19
	v_and_b32_e32 v5, v5, v20
	v_xor_b32_e32 v19, vcc_hi, v21
	v_xor_b32_e32 v20, vcc_lo, v21
	v_ashrrev_i32_e32 v21, 31, v22
	v_cmp_gt_i64_e32 vcc, 0, v[3:4]
	v_not_b32_e32 v22, v4
	v_lshlrev_b32_e32 v4, 24, v15
	v_and_b32_e32 v16, v16, v19
	v_and_b32_e32 v5, v5, v20
	v_xor_b32_e32 v19, s5, v21
	v_xor_b32_e32 v20, s4, v21
	v_ashrrev_i32_e32 v21, 31, v22
	v_cmp_gt_i64_e64 s[4:5], 0, v[3:4]
	v_not_b32_e32 v4, v4
	v_and_b32_e32 v16, v16, v19
	v_and_b32_e32 v5, v5, v20
	v_xor_b32_e32 v19, vcc_hi, v21
	v_xor_b32_e32 v20, vcc_lo, v21
	v_ashrrev_i32_e32 v4, 31, v4
	v_and_b32_e32 v16, v16, v19
	v_and_b32_e32 v19, v5, v20
	v_xor_b32_e32 v5, s5, v4
	v_xor_b32_e32 v4, s4, v4
	v_mad_u64_u32 v[1:2], s[4:5], v1, v13, v[0:1]
	v_and_b32_e32 v4, v19, v4
	v_and_b32_e32 v5, v16, v5
	v_mbcnt_lo_u32_b32 v2, v4, 0
	v_lshrrev_b32_e32 v1, 4, v1
	v_mbcnt_hi_u32_b32 v21, v5, v2
	v_cmp_ne_u64_e32 vcc, 0, v[4:5]
	v_and_b32_e32 v27, 0xffffffc, v1
	v_mul_u32_u24_e32 v1, 36, v15
	v_cmp_eq_u32_e64 s[4:5], 0, v21
	s_and_b64 s[8:9], vcc, s[4:5]
	v_add_u32_e32 v25, v27, v1
	s_and_saveexec_b64 s[4:5], s[8:9]
; %bb.80:
	v_bcnt_u32_b32 v1, v4, 0
	v_bcnt_u32_b32 v1, v5, v1
	ds_write_b32 v25, v1 offset:32
; %bb.81:
	s_or_b64 exec, exec, s[4:5]
	v_lshrrev_b32_sdwa v1, s40, v11 dst_sel:DWORD dst_unused:UNUSED_PAD src0_sel:DWORD src1_sel:BYTE_0
	v_and_b32_e32 v1, s16, v1
	v_mad_u32_u24 v2, v1, 36, v27
	; wave barrier
	ds_read_b32 v13, v2 offset:32
	v_and_b32_e32 v2, 1, v1
	v_add_co_u32_e32 v4, vcc, -1, v2
	v_addc_co_u32_e64 v15, s[4:5], 0, -1, vcc
	v_cmp_ne_u32_e32 vcc, 0, v2
	v_xor_b32_e32 v4, vcc_lo, v4
	v_xor_b32_e32 v2, vcc_hi, v15
	v_and_b32_e32 v15, exec_lo, v4
	v_lshlrev_b32_e32 v4, 30, v1
	v_cmp_gt_i64_e32 vcc, 0, v[3:4]
	v_not_b32_e32 v4, v4
	v_ashrrev_i32_e32 v4, 31, v4
	v_xor_b32_e32 v16, vcc_hi, v4
	v_xor_b32_e32 v4, vcc_lo, v4
	v_and_b32_e32 v15, v15, v4
	v_lshlrev_b32_e32 v4, 29, v1
	v_cmp_gt_i64_e32 vcc, 0, v[3:4]
	v_not_b32_e32 v4, v4
	v_and_b32_e32 v2, exec_hi, v2
	v_ashrrev_i32_e32 v4, 31, v4
	v_and_b32_e32 v2, v2, v16
	v_xor_b32_e32 v16, vcc_hi, v4
	v_xor_b32_e32 v4, vcc_lo, v4
	v_and_b32_e32 v15, v15, v4
	v_lshlrev_b32_e32 v4, 28, v1
	v_cmp_gt_i64_e32 vcc, 0, v[3:4]
	v_not_b32_e32 v4, v4
	v_ashrrev_i32_e32 v4, 31, v4
	v_and_b32_e32 v2, v2, v16
	v_xor_b32_e32 v16, vcc_hi, v4
	v_xor_b32_e32 v4, vcc_lo, v4
	v_and_b32_e32 v15, v15, v4
	v_lshlrev_b32_e32 v4, 27, v1
	v_cmp_gt_i64_e32 vcc, 0, v[3:4]
	v_not_b32_e32 v4, v4
	;; [unrolled: 8-line block ×4, first 2 shown]
	v_ashrrev_i32_e32 v4, 31, v4
	v_and_b32_e32 v2, v2, v16
	v_xor_b32_e32 v16, vcc_hi, v4
	v_xor_b32_e32 v4, vcc_lo, v4
	v_and_b32_e32 v15, v15, v4
	v_lshlrev_b32_e32 v4, 24, v1
	v_mul_u32_u24_e32 v5, 36, v1
	v_cmp_gt_i64_e32 vcc, 0, v[3:4]
	v_not_b32_e32 v1, v4
	v_ashrrev_i32_e32 v1, 31, v1
	v_xor_b32_e32 v3, vcc_hi, v1
	v_xor_b32_e32 v1, vcc_lo, v1
	v_and_b32_e32 v2, v2, v16
	v_and_b32_e32 v1, v15, v1
	;; [unrolled: 1-line block ×3, first 2 shown]
	v_mbcnt_lo_u32_b32 v3, v1, 0
	v_mbcnt_hi_u32_b32 v15, v2, v3
	v_cmp_ne_u64_e32 vcc, 0, v[1:2]
	v_cmp_eq_u32_e64 s[4:5], 0, v15
	s_and_b64 s[8:9], vcc, s[4:5]
	v_add_u32_e32 v5, v27, v5
	; wave barrier
	s_and_saveexec_b64 s[4:5], s[8:9]
	s_cbranch_execz .LBB303_83
; %bb.82:
	v_bcnt_u32_b32 v1, v1, 0
	v_bcnt_u32_b32 v1, v2, v1
	s_waitcnt lgkmcnt(0)
	v_add_u32_e32 v1, v13, v1
	ds_write_b32 v5, v1 offset:32
.LBB303_83:
	s_or_b64 exec, exec, s[4:5]
	v_lshrrev_b32_sdwa v1, s40, v12 dst_sel:DWORD dst_unused:UNUSED_PAD src0_sel:DWORD src1_sel:BYTE_0
	v_and_b32_e32 v3, s16, v1
	v_and_b32_e32 v2, 1, v3
	v_add_co_u32_e32 v19, vcc, -1, v2
	v_addc_co_u32_e64 v20, s[4:5], 0, -1, vcc
	v_cmp_ne_u32_e32 vcc, 0, v2
	v_mad_u32_u24 v1, v3, 36, v27
	v_xor_b32_e32 v2, vcc_hi, v20
	; wave barrier
	ds_read_b32 v16, v1 offset:32
	v_mov_b32_e32 v1, 0
	v_and_b32_e32 v20, exec_hi, v2
	v_lshlrev_b32_e32 v2, 30, v3
	v_xor_b32_e32 v19, vcc_lo, v19
	v_cmp_gt_i64_e32 vcc, 0, v[1:2]
	v_not_b32_e32 v2, v2
	v_ashrrev_i32_e32 v2, 31, v2
	v_and_b32_e32 v19, exec_lo, v19
	v_xor_b32_e32 v22, vcc_hi, v2
	v_xor_b32_e32 v2, vcc_lo, v2
	v_and_b32_e32 v19, v19, v2
	v_lshlrev_b32_e32 v2, 29, v3
	v_cmp_gt_i64_e32 vcc, 0, v[1:2]
	v_not_b32_e32 v2, v2
	v_ashrrev_i32_e32 v2, 31, v2
	v_and_b32_e32 v20, v20, v22
	v_xor_b32_e32 v22, vcc_hi, v2
	v_xor_b32_e32 v2, vcc_lo, v2
	v_and_b32_e32 v19, v19, v2
	v_lshlrev_b32_e32 v2, 28, v3
	v_cmp_gt_i64_e32 vcc, 0, v[1:2]
	v_not_b32_e32 v2, v2
	v_ashrrev_i32_e32 v2, 31, v2
	v_and_b32_e32 v20, v20, v22
	;; [unrolled: 8-line block ×5, first 2 shown]
	v_xor_b32_e32 v22, vcc_hi, v2
	v_xor_b32_e32 v2, vcc_lo, v2
	v_and_b32_e32 v19, v19, v2
	v_lshlrev_b32_e32 v2, 24, v3
	v_cmp_gt_i64_e32 vcc, 0, v[1:2]
	v_not_b32_e32 v2, v2
	v_ashrrev_i32_e32 v2, 31, v2
	v_mul_u32_u24_e32 v4, 36, v3
	v_xor_b32_e32 v3, vcc_hi, v2
	v_xor_b32_e32 v2, vcc_lo, v2
	v_and_b32_e32 v20, v20, v22
	v_and_b32_e32 v2, v19, v2
	;; [unrolled: 1-line block ×3, first 2 shown]
	v_mbcnt_lo_u32_b32 v19, v2, 0
	v_mbcnt_hi_u32_b32 v19, v3, v19
	v_cmp_ne_u64_e32 vcc, 0, v[2:3]
	v_cmp_eq_u32_e64 s[4:5], 0, v19
	s_and_b64 s[8:9], vcc, s[4:5]
	v_add_u32_e32 v30, v27, v4
	; wave barrier
	s_and_saveexec_b64 s[4:5], s[8:9]
	s_cbranch_execz .LBB303_85
; %bb.84:
	v_bcnt_u32_b32 v2, v2, 0
	v_bcnt_u32_b32 v2, v3, v2
	s_waitcnt lgkmcnt(0)
	v_add_u32_e32 v2, v16, v2
	ds_write_b32 v30, v2 offset:32
.LBB303_85:
	s_or_b64 exec, exec, s[4:5]
	v_lshrrev_b32_sdwa v2, s40, v14 dst_sel:DWORD dst_unused:UNUSED_PAD src0_sel:DWORD src1_sel:BYTE_0
	v_and_b32_e32 v3, s16, v2
	v_mad_u32_u24 v2, v3, 36, v27
	; wave barrier
	ds_read_b32 v20, v2 offset:32
	v_and_b32_e32 v2, 1, v3
	v_add_co_u32_e32 v22, vcc, -1, v2
	v_addc_co_u32_e64 v24, s[4:5], 0, -1, vcc
	v_cmp_ne_u32_e32 vcc, 0, v2
	v_xor_b32_e32 v2, vcc_hi, v24
	v_and_b32_e32 v24, exec_hi, v2
	v_lshlrev_b32_e32 v2, 30, v3
	v_xor_b32_e32 v22, vcc_lo, v22
	v_cmp_gt_i64_e32 vcc, 0, v[1:2]
	v_not_b32_e32 v2, v2
	v_ashrrev_i32_e32 v2, 31, v2
	v_and_b32_e32 v22, exec_lo, v22
	v_xor_b32_e32 v26, vcc_hi, v2
	v_xor_b32_e32 v2, vcc_lo, v2
	v_and_b32_e32 v22, v22, v2
	v_lshlrev_b32_e32 v2, 29, v3
	v_cmp_gt_i64_e32 vcc, 0, v[1:2]
	v_not_b32_e32 v2, v2
	v_ashrrev_i32_e32 v2, 31, v2
	v_and_b32_e32 v24, v24, v26
	v_xor_b32_e32 v26, vcc_hi, v2
	v_xor_b32_e32 v2, vcc_lo, v2
	v_and_b32_e32 v22, v22, v2
	v_lshlrev_b32_e32 v2, 28, v3
	v_cmp_gt_i64_e32 vcc, 0, v[1:2]
	v_not_b32_e32 v2, v2
	v_ashrrev_i32_e32 v2, 31, v2
	v_and_b32_e32 v24, v24, v26
	;; [unrolled: 8-line block ×5, first 2 shown]
	v_xor_b32_e32 v26, vcc_hi, v2
	v_xor_b32_e32 v2, vcc_lo, v2
	v_and_b32_e32 v22, v22, v2
	v_lshlrev_b32_e32 v2, 24, v3
	v_cmp_gt_i64_e32 vcc, 0, v[1:2]
	v_not_b32_e32 v1, v2
	v_ashrrev_i32_e32 v1, 31, v1
	v_xor_b32_e32 v2, vcc_hi, v1
	v_xor_b32_e32 v1, vcc_lo, v1
	v_and_b32_e32 v24, v24, v26
	v_and_b32_e32 v1, v22, v1
	v_mul_u32_u24_e32 v4, 36, v3
	v_and_b32_e32 v2, v24, v2
	v_mbcnt_lo_u32_b32 v3, v1, 0
	v_mbcnt_hi_u32_b32 v22, v2, v3
	v_cmp_ne_u64_e32 vcc, 0, v[1:2]
	v_cmp_eq_u32_e64 s[4:5], 0, v22
	s_and_b64 s[8:9], vcc, s[4:5]
	v_add_u32_e32 v32, v27, v4
	; wave barrier
	s_and_saveexec_b64 s[4:5], s[8:9]
	s_cbranch_execz .LBB303_87
; %bb.86:
	v_bcnt_u32_b32 v1, v1, 0
	v_bcnt_u32_b32 v1, v2, v1
	s_waitcnt lgkmcnt(0)
	v_add_u32_e32 v1, v20, v1
	ds_write_b32 v32, v1 offset:32
.LBB303_87:
	s_or_b64 exec, exec, s[4:5]
	v_lshrrev_b32_sdwa v1, s40, v17 dst_sel:DWORD dst_unused:UNUSED_PAD src0_sel:DWORD src1_sel:BYTE_0
	v_and_b32_e32 v3, s16, v1
	v_and_b32_e32 v2, 1, v3
	v_add_co_u32_e32 v26, vcc, -1, v2
	v_addc_co_u32_e64 v28, s[4:5], 0, -1, vcc
	v_cmp_ne_u32_e32 vcc, 0, v2
	v_mad_u32_u24 v1, v3, 36, v27
	v_xor_b32_e32 v2, vcc_hi, v28
	; wave barrier
	ds_read_b32 v24, v1 offset:32
	v_mov_b32_e32 v1, 0
	v_and_b32_e32 v28, exec_hi, v2
	v_lshlrev_b32_e32 v2, 30, v3
	v_xor_b32_e32 v26, vcc_lo, v26
	v_cmp_gt_i64_e32 vcc, 0, v[1:2]
	v_not_b32_e32 v2, v2
	v_ashrrev_i32_e32 v2, 31, v2
	v_and_b32_e32 v26, exec_lo, v26
	v_xor_b32_e32 v29, vcc_hi, v2
	v_xor_b32_e32 v2, vcc_lo, v2
	v_and_b32_e32 v26, v26, v2
	v_lshlrev_b32_e32 v2, 29, v3
	v_cmp_gt_i64_e32 vcc, 0, v[1:2]
	v_not_b32_e32 v2, v2
	v_ashrrev_i32_e32 v2, 31, v2
	v_and_b32_e32 v28, v28, v29
	v_xor_b32_e32 v29, vcc_hi, v2
	v_xor_b32_e32 v2, vcc_lo, v2
	v_and_b32_e32 v26, v26, v2
	v_lshlrev_b32_e32 v2, 28, v3
	v_cmp_gt_i64_e32 vcc, 0, v[1:2]
	v_not_b32_e32 v2, v2
	v_ashrrev_i32_e32 v2, 31, v2
	v_and_b32_e32 v28, v28, v29
	v_xor_b32_e32 v29, vcc_hi, v2
	v_xor_b32_e32 v2, vcc_lo, v2
	v_and_b32_e32 v26, v26, v2
	v_lshlrev_b32_e32 v2, 27, v3
	v_cmp_gt_i64_e32 vcc, 0, v[1:2]
	v_not_b32_e32 v2, v2
	v_ashrrev_i32_e32 v2, 31, v2
	v_and_b32_e32 v28, v28, v29
	v_xor_b32_e32 v29, vcc_hi, v2
	v_xor_b32_e32 v2, vcc_lo, v2
	v_and_b32_e32 v26, v26, v2
	v_lshlrev_b32_e32 v2, 26, v3
	v_cmp_gt_i64_e32 vcc, 0, v[1:2]
	v_not_b32_e32 v2, v2
	v_ashrrev_i32_e32 v2, 31, v2
	v_and_b32_e32 v28, v28, v29
	v_xor_b32_e32 v29, vcc_hi, v2
	v_xor_b32_e32 v2, vcc_lo, v2
	v_and_b32_e32 v26, v26, v2
	v_lshlrev_b32_e32 v2, 25, v3
	v_cmp_gt_i64_e32 vcc, 0, v[1:2]
	v_not_b32_e32 v2, v2
	v_ashrrev_i32_e32 v2, 31, v2
	v_and_b32_e32 v28, v28, v29
	v_xor_b32_e32 v29, vcc_hi, v2
	v_xor_b32_e32 v2, vcc_lo, v2
	v_and_b32_e32 v26, v26, v2
	v_lshlrev_b32_e32 v2, 24, v3
	v_cmp_gt_i64_e32 vcc, 0, v[1:2]
	v_not_b32_e32 v2, v2
	v_ashrrev_i32_e32 v2, 31, v2
	v_mul_u32_u24_e32 v4, 36, v3
	v_xor_b32_e32 v3, vcc_hi, v2
	v_xor_b32_e32 v2, vcc_lo, v2
	v_and_b32_e32 v28, v28, v29
	v_and_b32_e32 v2, v26, v2
	;; [unrolled: 1-line block ×3, first 2 shown]
	v_mbcnt_lo_u32_b32 v26, v2, 0
	v_mbcnt_hi_u32_b32 v26, v3, v26
	v_cmp_ne_u64_e32 vcc, 0, v[2:3]
	v_cmp_eq_u32_e64 s[4:5], 0, v26
	s_and_b64 s[8:9], vcc, s[4:5]
	v_add_u32_e32 v33, v27, v4
	; wave barrier
	s_and_saveexec_b64 s[4:5], s[8:9]
	s_cbranch_execz .LBB303_89
; %bb.88:
	v_bcnt_u32_b32 v2, v2, 0
	v_bcnt_u32_b32 v2, v3, v2
	s_waitcnt lgkmcnt(0)
	v_add_u32_e32 v2, v24, v2
	ds_write_b32 v33, v2 offset:32
.LBB303_89:
	s_or_b64 exec, exec, s[4:5]
	v_lshrrev_b32_sdwa v2, s40, v18 dst_sel:DWORD dst_unused:UNUSED_PAD src0_sel:DWORD src1_sel:BYTE_0
	v_and_b32_e32 v3, s16, v2
	v_mad_u32_u24 v2, v3, 36, v27
	; wave barrier
	ds_read_b32 v28, v2 offset:32
	v_and_b32_e32 v2, 1, v3
	v_add_co_u32_e32 v29, vcc, -1, v2
	v_addc_co_u32_e64 v31, s[4:5], 0, -1, vcc
	v_cmp_ne_u32_e32 vcc, 0, v2
	v_xor_b32_e32 v2, vcc_hi, v31
	v_and_b32_e32 v31, exec_hi, v2
	v_lshlrev_b32_e32 v2, 30, v3
	v_xor_b32_e32 v29, vcc_lo, v29
	v_cmp_gt_i64_e32 vcc, 0, v[1:2]
	v_not_b32_e32 v2, v2
	v_ashrrev_i32_e32 v2, 31, v2
	v_and_b32_e32 v29, exec_lo, v29
	v_xor_b32_e32 v34, vcc_hi, v2
	v_xor_b32_e32 v2, vcc_lo, v2
	v_and_b32_e32 v29, v29, v2
	v_lshlrev_b32_e32 v2, 29, v3
	v_cmp_gt_i64_e32 vcc, 0, v[1:2]
	v_not_b32_e32 v2, v2
	v_ashrrev_i32_e32 v2, 31, v2
	v_and_b32_e32 v31, v31, v34
	v_xor_b32_e32 v34, vcc_hi, v2
	v_xor_b32_e32 v2, vcc_lo, v2
	v_and_b32_e32 v29, v29, v2
	v_lshlrev_b32_e32 v2, 28, v3
	v_cmp_gt_i64_e32 vcc, 0, v[1:2]
	v_not_b32_e32 v2, v2
	v_ashrrev_i32_e32 v2, 31, v2
	v_and_b32_e32 v31, v31, v34
	;; [unrolled: 8-line block ×5, first 2 shown]
	v_xor_b32_e32 v34, vcc_hi, v2
	v_xor_b32_e32 v2, vcc_lo, v2
	v_and_b32_e32 v29, v29, v2
	v_lshlrev_b32_e32 v2, 24, v3
	v_cmp_gt_i64_e32 vcc, 0, v[1:2]
	v_not_b32_e32 v1, v2
	v_ashrrev_i32_e32 v1, 31, v1
	v_xor_b32_e32 v2, vcc_hi, v1
	v_xor_b32_e32 v1, vcc_lo, v1
	v_and_b32_e32 v31, v31, v34
	v_and_b32_e32 v1, v29, v1
	v_mul_u32_u24_e32 v4, 36, v3
	v_and_b32_e32 v2, v31, v2
	v_mbcnt_lo_u32_b32 v3, v1, 0
	v_mbcnt_hi_u32_b32 v29, v2, v3
	v_cmp_ne_u64_e32 vcc, 0, v[1:2]
	v_cmp_eq_u32_e64 s[4:5], 0, v29
	s_and_b64 s[8:9], vcc, s[4:5]
	v_add_u32_e32 v34, v27, v4
	; wave barrier
	s_and_saveexec_b64 s[4:5], s[8:9]
	s_cbranch_execz .LBB303_91
; %bb.90:
	v_bcnt_u32_b32 v1, v1, 0
	v_bcnt_u32_b32 v1, v2, v1
	s_waitcnt lgkmcnt(0)
	v_add_u32_e32 v1, v28, v1
	ds_write_b32 v34, v1 offset:32
.LBB303_91:
	s_or_b64 exec, exec, s[4:5]
	; wave barrier
	s_waitcnt lgkmcnt(0)
	s_barrier
	ds_read2_b32 v[3:4], v23 offset0:8 offset1:9
	ds_read2_b32 v[1:2], v23 offset0:10 offset1:11
	ds_read_b32 v27, v23 offset:48
	v_min_u32_e32 v10, 0x1c0, v10
	v_or_b32_e32 v10, 63, v10
	s_waitcnt lgkmcnt(1)
	v_add3_u32 v31, v4, v3, v1
	s_waitcnt lgkmcnt(0)
	v_add3_u32 v27, v31, v2, v27
	v_and_b32_e32 v31, 15, v9
	v_cmp_ne_u32_e32 vcc, 0, v31
	v_mov_b32_dpp v35, v27 row_shr:1 row_mask:0xf bank_mask:0xf
	v_cndmask_b32_e32 v35, 0, v35, vcc
	v_add_u32_e32 v27, v35, v27
	v_cmp_lt_u32_e32 vcc, 1, v31
	s_nop 0
	v_mov_b32_dpp v35, v27 row_shr:2 row_mask:0xf bank_mask:0xf
	v_cndmask_b32_e32 v35, 0, v35, vcc
	v_add_u32_e32 v27, v27, v35
	v_cmp_lt_u32_e32 vcc, 3, v31
	s_nop 0
	;; [unrolled: 5-line block ×3, first 2 shown]
	v_mov_b32_dpp v35, v27 row_shr:8 row_mask:0xf bank_mask:0xf
	v_cndmask_b32_e32 v31, 0, v35, vcc
	v_add_u32_e32 v27, v27, v31
	v_bfe_i32 v35, v9, 4, 1
	v_cmp_lt_u32_e32 vcc, 31, v9
	v_mov_b32_dpp v31, v27 row_bcast:15 row_mask:0xf bank_mask:0xf
	v_and_b32_e32 v31, v35, v31
	v_add_u32_e32 v27, v27, v31
	v_lshrrev_b32_e32 v35, 6, v0
	s_nop 0
	v_mov_b32_dpp v31, v27 row_bcast:31 row_mask:0xf bank_mask:0xf
	v_cndmask_b32_e32 v31, 0, v31, vcc
	v_add_u32_e32 v31, v27, v31
	v_cmp_eq_u32_e32 vcc, v0, v10
	s_and_saveexec_b64 s[4:5], vcc
; %bb.92:
	v_lshlrev_b32_e32 v10, 2, v35
	ds_write_b32 v10, v31
; %bb.93:
	s_or_b64 exec, exec, s[4:5]
	v_cmp_gt_u32_e32 vcc, 8, v0
	v_lshlrev_b32_e32 v27, 2, v0
	s_waitcnt lgkmcnt(0)
	s_barrier
	s_and_saveexec_b64 s[4:5], vcc
	s_cbranch_execz .LBB303_95
; %bb.94:
	ds_read_b32 v10, v27
	v_and_b32_e32 v36, 7, v9
	v_cmp_ne_u32_e32 vcc, 0, v36
	s_waitcnt lgkmcnt(0)
	v_mov_b32_dpp v37, v10 row_shr:1 row_mask:0xf bank_mask:0xf
	v_cndmask_b32_e32 v37, 0, v37, vcc
	v_add_u32_e32 v10, v37, v10
	v_cmp_lt_u32_e32 vcc, 1, v36
	s_nop 0
	v_mov_b32_dpp v37, v10 row_shr:2 row_mask:0xf bank_mask:0xf
	v_cndmask_b32_e32 v37, 0, v37, vcc
	v_add_u32_e32 v10, v10, v37
	v_cmp_lt_u32_e32 vcc, 3, v36
	s_nop 0
	v_mov_b32_dpp v37, v10 row_shr:4 row_mask:0xf bank_mask:0xf
	v_cndmask_b32_e32 v36, 0, v37, vcc
	v_add_u32_e32 v10, v10, v36
	ds_write_b32 v27, v10
.LBB303_95:
	s_or_b64 exec, exec, s[4:5]
	v_cmp_lt_u32_e32 vcc, 63, v0
	v_mov_b32_e32 v10, 0
	s_waitcnt lgkmcnt(0)
	s_barrier
	s_and_saveexec_b64 s[4:5], vcc
; %bb.96:
	v_lshl_add_u32 v10, v35, 2, -4
	ds_read_b32 v10, v10
; %bb.97:
	s_or_b64 exec, exec, s[4:5]
	v_subrev_co_u32_e32 v35, vcc, 1, v9
	v_and_b32_e32 v36, 64, v9
	v_cmp_lt_i32_e64 s[4:5], v35, v36
	v_cndmask_b32_e64 v9, v35, v9, s[4:5]
	s_waitcnt lgkmcnt(0)
	v_add_u32_e32 v31, v10, v31
	v_lshlrev_b32_e32 v9, 2, v9
	ds_bpermute_b32 v9, v9, v31
	s_movk_i32 s4, 0xff
	s_movk_i32 s8, 0x100
	s_waitcnt lgkmcnt(0)
	v_cndmask_b32_e32 v9, v9, v10, vcc
	v_cmp_ne_u32_e32 vcc, 0, v0
	v_cndmask_b32_e32 v9, 0, v9, vcc
	v_add_u32_e32 v3, v9, v3
	v_add_u32_e32 v4, v3, v4
	;; [unrolled: 1-line block ×4, first 2 shown]
	ds_write2_b32 v23, v9, v3 offset0:8 offset1:9
	ds_write2_b32 v23, v4, v1 offset0:10 offset1:11
	ds_write_b32 v23, v2 offset:48
	s_waitcnt lgkmcnt(0)
	s_barrier
	ds_read_b32 v1, v25 offset:32
	ds_read_b32 v31, v5 offset:32
	;; [unrolled: 1-line block ×6, first 2 shown]
	v_cmp_lt_u32_e32 vcc, s4, v0
	v_cmp_gt_u32_e64 s[4:5], s8, v0
                                        ; implicit-def: $vgpr23
                                        ; implicit-def: $vgpr25
	s_and_saveexec_b64 s[10:11], s[4:5]
	s_cbranch_execz .LBB303_101
; %bb.98:
	v_mul_u32_u24_e32 v2, 36, v0
	ds_read_b32 v23, v2 offset:32
	v_add_u32_e32 v3, 1, v0
	v_cmp_ne_u32_e64 s[8:9], s8, v3
	v_mov_b32_e32 v2, 0xc00
	s_and_saveexec_b64 s[12:13], s[8:9]
; %bb.99:
	v_mul_u32_u24_e32 v2, 36, v3
	ds_read_b32 v2, v2 offset:32
; %bb.100:
	s_or_b64 exec, exec, s[12:13]
	s_waitcnt lgkmcnt(0)
	v_sub_u32_e32 v25, v2, v23
.LBB303_101:
	s_or_b64 exec, exec, s[10:11]
	s_waitcnt lgkmcnt(5)
	v_add_u32_e32 v21, v1, v21
	s_waitcnt lgkmcnt(3)
	v_add3_u32 v2, v19, v16, v30
	v_add3_u32 v1, v15, v13, v31
	s_waitcnt lgkmcnt(2)
	v_add3_u32 v3, v22, v20, v32
	s_waitcnt lgkmcnt(1)
	;; [unrolled: 2-line block ×3, first 2 shown]
	v_add3_u32 v5, v29, v28, v34
	s_barrier
	ds_write_b8 v21, v6 offset:1024
	ds_write_b8 v1, v11 offset:1024
	;; [unrolled: 1-line block ×6, first 2 shown]
	v_mov_b32_e32 v2, 0
	s_and_saveexec_b64 s[8:9], s[4:5]
	s_cbranch_execz .LBB303_111
; %bb.102:
	v_lshl_add_u32 v1, s6, 8, v0
	v_lshlrev_b64 v[3:4], 2, v[1:2]
	v_mov_b32_e32 v9, s45
	v_add_co_u32_e64 v3, s[4:5], s44, v3
	v_addc_co_u32_e64 v4, s[4:5], v9, v4, s[4:5]
	v_or_b32_e32 v1, 2.0, v25
	s_mov_b64 s[10:11], 0
	s_brev_b32 s17, -4
	s_mov_b32 s18, s6
	v_mov_b32_e32 v10, 0
	global_store_dword v[3:4], v1, off
                                        ; implicit-def: $sgpr4_sgpr5
	s_branch .LBB303_105
.LBB303_103:                            ;   in Loop: Header=BB303_105 Depth=1
	s_or_b64 exec, exec, s[14:15]
.LBB303_104:                            ;   in Loop: Header=BB303_105 Depth=1
	s_or_b64 exec, exec, s[12:13]
	v_and_b32_e32 v5, 0x3fffffff, v1
	v_add_u32_e32 v10, v5, v10
	v_cmp_gt_i32_e64 s[4:5], -2.0, v1
	s_and_b64 s[12:13], exec, s[4:5]
	s_or_b64 s[10:11], s[12:13], s[10:11]
	s_andn2_b64 exec, exec, s[10:11]
	s_cbranch_execz .LBB303_110
.LBB303_105:                            ; =>This Loop Header: Depth=1
                                        ;     Child Loop BB303_108 Depth 2
	s_or_b64 s[4:5], s[4:5], exec
	s_cmp_eq_u32 s18, 0
	s_cbranch_scc1 .LBB303_109
; %bb.106:                              ;   in Loop: Header=BB303_105 Depth=1
	s_add_i32 s18, s18, -1
	v_lshl_or_b32 v1, s18, 8, v0
	v_lshlrev_b64 v[5:6], 2, v[1:2]
	v_add_co_u32_e64 v5, s[4:5], s44, v5
	v_addc_co_u32_e64 v6, s[4:5], v9, v6, s[4:5]
	global_load_dword v1, v[5:6], off glc
	s_waitcnt vmcnt(0)
	v_cmp_gt_u32_e64 s[4:5], 2.0, v1
	s_and_saveexec_b64 s[12:13], s[4:5]
	s_cbranch_execz .LBB303_104
; %bb.107:                              ;   in Loop: Header=BB303_105 Depth=1
	s_mov_b64 s[14:15], 0
.LBB303_108:                            ;   Parent Loop BB303_105 Depth=1
                                        ; =>  This Inner Loop Header: Depth=2
	global_load_dword v1, v[5:6], off glc
	s_waitcnt vmcnt(0)
	v_cmp_lt_u32_e64 s[4:5], s17, v1
	s_or_b64 s[14:15], s[4:5], s[14:15]
	s_andn2_b64 exec, exec, s[14:15]
	s_cbranch_execnz .LBB303_108
	s_branch .LBB303_103
.LBB303_109:                            ;   in Loop: Header=BB303_105 Depth=1
                                        ; implicit-def: $sgpr18
	s_and_b64 s[12:13], exec, s[4:5]
	s_or_b64 s[10:11], s[12:13], s[10:11]
	s_andn2_b64 exec, exec, s[10:11]
	s_cbranch_execnz .LBB303_105
.LBB303_110:
	s_or_b64 exec, exec, s[10:11]
	v_add_u32_e32 v1, v10, v25
	v_or_b32_e32 v1, 0x80000000, v1
	global_store_dword v[3:4], v1, off
	global_load_dword v1, v27, s[36:37]
	v_sub_u32_e32 v2, v10, v23
	s_waitcnt vmcnt(0)
	v_add_u32_e32 v1, v2, v1
	ds_write_b32 v27, v1
.LBB303_111:
	s_or_b64 exec, exec, s[8:9]
	s_waitcnt lgkmcnt(0)
	s_barrier
	ds_read_u8 v1, v0 offset:1024
	ds_read_u8 v2, v0 offset:1536
	;; [unrolled: 1-line block ×6, first 2 shown]
	s_waitcnt lgkmcnt(5)
	v_lshrrev_b32_sdwa v9, s40, v1 dst_sel:DWORD dst_unused:UNUSED_PAD src0_sel:DWORD src1_sel:BYTE_0
	s_waitcnt lgkmcnt(4)
	v_lshrrev_b32_sdwa v10, s40, v2 dst_sel:DWORD dst_unused:UNUSED_PAD src0_sel:DWORD src1_sel:BYTE_0
	;; [unrolled: 2-line block ×6, first 2 shown]
	v_and_b32_e32 v14, s16, v9
	v_and_b32_e32 v35, s16, v10
	;; [unrolled: 1-line block ×6, first 2 shown]
	v_lshlrev_b32_e32 v9, 2, v14
	v_lshlrev_b32_e32 v10, 2, v35
	;; [unrolled: 1-line block ×6, first 2 shown]
	ds_read_b32 v9, v9
	ds_read_b32 v10, v10
	;; [unrolled: 1-line block ×6, first 2 shown]
	s_waitcnt lgkmcnt(5)
	v_add_u32_e32 v9, v9, v0
	s_movk_i32 s8, 0x200
	global_store_byte v9, v1, s[26:27]
	s_waitcnt lgkmcnt(4)
	v_add3_u32 v1, v0, v10, s8
	s_movk_i32 s4, 0x400
	global_store_byte v1, v2, s[26:27]
	s_waitcnt lgkmcnt(3)
	v_add3_u32 v1, v11, v0, s4
	;; [unrolled: 4-line block ×5, first 2 shown]
	s_lshl_b64 s[4:5], s[34:35], 3
	s_add_u32 s4, s28, s4
	global_store_byte v1, v6, s[26:27]
	s_addc_u32 s5, s29, s5
	v_lshlrev_b32_e32 v1, 3, v8
	v_mov_b32_e32 v2, s5
	v_add_co_u32_e64 v1, s[4:5], s4, v1
	v_addc_co_u32_e64 v2, s[4:5], 0, v2, s[4:5]
	v_lshlrev_b32_e32 v3, 3, v7
	v_add_co_u32_e64 v17, s[4:5], v1, v3
	v_addc_co_u32_e64 v18, s[4:5], 0, v2, s[4:5]
	global_load_dwordx2 v[1:2], v[17:18], off
	global_load_dwordx2 v[3:4], v[17:18], off offset:512
	global_load_dwordx2 v[5:6], v[17:18], off offset:1024
	;; [unrolled: 1-line block ×5, first 2 shown]
	v_add3_u32 v18, v26, v33, v24
	v_mul_u32_u24_e32 v24, 7, v0
	buffer_store_dword v14, off, s[0:3], 0
	buffer_store_dword v35, off, s[0:3], 0 offset:4
	buffer_store_dword v36, off, s[0:3], 0 offset:8
	;; [unrolled: 1-line block ×5, first 2 shown]
	v_add3_u32 v17, v29, v34, v28
	v_mov_b32_e32 v14, 0
	v_add3_u32 v20, v22, v32, v20
	v_add3_u32 v16, v19, v30, v16
	;; [unrolled: 1-line block ×3, first 2 shown]
	s_mov_b32 s9, 0
	s_mov_b32 s10, 0
	v_add_u32_e32 v19, v0, v24
	v_mov_b32_e32 v22, s31
	s_waitcnt vmcnt(0)
	s_barrier
.LBB303_112:                            ; =>This Inner Loop Header: Depth=1
	v_add_u32_e32 v13, s10, v21
	v_add_u32_e32 v24, s10, v15
	;; [unrolled: 1-line block ×6, first 2 shown]
	v_min_u32_e32 v13, 0x400, v13
	v_min_u32_e32 v24, 0x400, v24
	v_mov_b32_e32 v31, s9
	v_min_u32_e32 v26, 0x400, v26
	v_min_u32_e32 v28, 0x400, v28
	;; [unrolled: 1-line block ×4, first 2 shown]
	v_lshlrev_b32_e32 v13, 3, v13
	v_lshlrev_b32_e32 v24, 3, v24
	;; [unrolled: 1-line block ×6, first 2 shown]
	ds_write_b64 v13, v[1:2] offset:1024
	ds_write_b64 v24, v[3:4] offset:1024
	;; [unrolled: 1-line block ×6, first 2 shown]
	s_waitcnt lgkmcnt(0)
	s_barrier
	buffer_load_dword v13, v31, s[0:3], 0 offen
	buffer_load_dword v24, v31, s[0:3], 0 offen offset:4
	ds_read2st64_b64 v[28:31], v19 offset0:2 offset1:10
	s_addk_i32 s10, 0xfc00
	s_add_i32 s9, s9, 8
	s_cmpk_lg_i32 s10, 0xf400
	s_waitcnt vmcnt(1)
	v_lshlrev_b32_e32 v13, 2, v13
	s_waitcnt vmcnt(0)
	v_lshlrev_b32_e32 v24, 2, v24
	ds_read_b32 v13, v13
	ds_read_b32 v24, v24
	s_waitcnt lgkmcnt(1)
	v_add_u32_e32 v13, v0, v13
	v_lshlrev_b64 v[32:33], 3, v[13:14]
	s_waitcnt lgkmcnt(0)
	v_add3_u32 v13, v0, v24, s8
	v_lshlrev_b64 v[34:35], 3, v[13:14]
	v_add_co_u32_e64 v32, s[4:5], s30, v32
	v_addc_co_u32_e64 v33, s[4:5], v22, v33, s[4:5]
	global_store_dwordx2 v[32:33], v[28:29], off
	v_add_co_u32_e64 v28, s[4:5], s30, v34
	v_add_u32_e32 v0, 0x400, v0
	v_addc_co_u32_e64 v29, s[4:5], v22, v35, s[4:5]
	global_store_dwordx2 v[28:29], v[30:31], off
	s_waitcnt vmcnt(0)
	s_barrier
	s_cbranch_scc1 .LBB303_112
; %bb.113:
	s_add_i32 s7, s7, -1
	s_cmp_eq_u32 s6, s7
	s_cselect_b64 s[4:5], -1, 0
	s_xor_b64 s[6:7], vcc, -1
	s_and_b64 s[4:5], s[6:7], s[4:5]
	s_and_saveexec_b64 s[6:7], s[4:5]
	s_cbranch_execz .LBB303_115
; %bb.114:
	ds_read_b32 v0, v27
	s_waitcnt lgkmcnt(0)
	v_add3_u32 v0, v23, v25, v0
	global_store_dword v27, v0, s[38:39]
.LBB303_115:
	s_endpgm
	.section	.rodata,"a",@progbits
	.p2align	6, 0x0
	.amdhsa_kernel _ZN7rocprim17ROCPRIM_400000_NS6detail17trampoline_kernelINS0_14default_configENS1_35radix_sort_onesweep_config_selectorIhlEEZZNS1_29radix_sort_onesweep_iterationIS3_Lb0EPhS7_N6thrust23THRUST_200600_302600_NS10device_ptrIlEESB_jNS0_19identity_decomposerENS1_16block_id_wrapperIjLb0EEEEE10hipError_tT1_PNSt15iterator_traitsISG_E10value_typeET2_T3_PNSH_ISM_E10value_typeET4_T5_PSR_SS_PNS1_23onesweep_lookback_stateEbbT6_jjT7_P12ihipStream_tbENKUlT_T0_SG_SL_E_clIS7_S7_SB_PlEEDaSZ_S10_SG_SL_EUlSZ_E_NS1_11comp_targetILNS1_3genE2ELNS1_11target_archE906ELNS1_3gpuE6ELNS1_3repE0EEENS1_47radix_sort_onesweep_sort_config_static_selectorELNS0_4arch9wavefront6targetE1EEEvSG_
		.amdhsa_group_segment_fixed_size 10280
		.amdhsa_private_segment_fixed_size 32
		.amdhsa_kernarg_size 344
		.amdhsa_user_sgpr_count 6
		.amdhsa_user_sgpr_private_segment_buffer 1
		.amdhsa_user_sgpr_dispatch_ptr 0
		.amdhsa_user_sgpr_queue_ptr 0
		.amdhsa_user_sgpr_kernarg_segment_ptr 1
		.amdhsa_user_sgpr_dispatch_id 0
		.amdhsa_user_sgpr_flat_scratch_init 0
		.amdhsa_user_sgpr_private_segment_size 0
		.amdhsa_uses_dynamic_stack 0
		.amdhsa_system_sgpr_private_segment_wavefront_offset 1
		.amdhsa_system_sgpr_workgroup_id_x 1
		.amdhsa_system_sgpr_workgroup_id_y 0
		.amdhsa_system_sgpr_workgroup_id_z 0
		.amdhsa_system_sgpr_workgroup_info 0
		.amdhsa_system_vgpr_workitem_id 2
		.amdhsa_next_free_vgpr 41
		.amdhsa_next_free_sgpr 53
		.amdhsa_reserve_vcc 1
		.amdhsa_reserve_flat_scratch 0
		.amdhsa_float_round_mode_32 0
		.amdhsa_float_round_mode_16_64 0
		.amdhsa_float_denorm_mode_32 3
		.amdhsa_float_denorm_mode_16_64 3
		.amdhsa_dx10_clamp 1
		.amdhsa_ieee_mode 1
		.amdhsa_fp16_overflow 0
		.amdhsa_exception_fp_ieee_invalid_op 0
		.amdhsa_exception_fp_denorm_src 0
		.amdhsa_exception_fp_ieee_div_zero 0
		.amdhsa_exception_fp_ieee_overflow 0
		.amdhsa_exception_fp_ieee_underflow 0
		.amdhsa_exception_fp_ieee_inexact 0
		.amdhsa_exception_int_div_zero 0
	.end_amdhsa_kernel
	.section	.text._ZN7rocprim17ROCPRIM_400000_NS6detail17trampoline_kernelINS0_14default_configENS1_35radix_sort_onesweep_config_selectorIhlEEZZNS1_29radix_sort_onesweep_iterationIS3_Lb0EPhS7_N6thrust23THRUST_200600_302600_NS10device_ptrIlEESB_jNS0_19identity_decomposerENS1_16block_id_wrapperIjLb0EEEEE10hipError_tT1_PNSt15iterator_traitsISG_E10value_typeET2_T3_PNSH_ISM_E10value_typeET4_T5_PSR_SS_PNS1_23onesweep_lookback_stateEbbT6_jjT7_P12ihipStream_tbENKUlT_T0_SG_SL_E_clIS7_S7_SB_PlEEDaSZ_S10_SG_SL_EUlSZ_E_NS1_11comp_targetILNS1_3genE2ELNS1_11target_archE906ELNS1_3gpuE6ELNS1_3repE0EEENS1_47radix_sort_onesweep_sort_config_static_selectorELNS0_4arch9wavefront6targetE1EEEvSG_,"axG",@progbits,_ZN7rocprim17ROCPRIM_400000_NS6detail17trampoline_kernelINS0_14default_configENS1_35radix_sort_onesweep_config_selectorIhlEEZZNS1_29radix_sort_onesweep_iterationIS3_Lb0EPhS7_N6thrust23THRUST_200600_302600_NS10device_ptrIlEESB_jNS0_19identity_decomposerENS1_16block_id_wrapperIjLb0EEEEE10hipError_tT1_PNSt15iterator_traitsISG_E10value_typeET2_T3_PNSH_ISM_E10value_typeET4_T5_PSR_SS_PNS1_23onesweep_lookback_stateEbbT6_jjT7_P12ihipStream_tbENKUlT_T0_SG_SL_E_clIS7_S7_SB_PlEEDaSZ_S10_SG_SL_EUlSZ_E_NS1_11comp_targetILNS1_3genE2ELNS1_11target_archE906ELNS1_3gpuE6ELNS1_3repE0EEENS1_47radix_sort_onesweep_sort_config_static_selectorELNS0_4arch9wavefront6targetE1EEEvSG_,comdat
.Lfunc_end303:
	.size	_ZN7rocprim17ROCPRIM_400000_NS6detail17trampoline_kernelINS0_14default_configENS1_35radix_sort_onesweep_config_selectorIhlEEZZNS1_29radix_sort_onesweep_iterationIS3_Lb0EPhS7_N6thrust23THRUST_200600_302600_NS10device_ptrIlEESB_jNS0_19identity_decomposerENS1_16block_id_wrapperIjLb0EEEEE10hipError_tT1_PNSt15iterator_traitsISG_E10value_typeET2_T3_PNSH_ISM_E10value_typeET4_T5_PSR_SS_PNS1_23onesweep_lookback_stateEbbT6_jjT7_P12ihipStream_tbENKUlT_T0_SG_SL_E_clIS7_S7_SB_PlEEDaSZ_S10_SG_SL_EUlSZ_E_NS1_11comp_targetILNS1_3genE2ELNS1_11target_archE906ELNS1_3gpuE6ELNS1_3repE0EEENS1_47radix_sort_onesweep_sort_config_static_selectorELNS0_4arch9wavefront6targetE1EEEvSG_, .Lfunc_end303-_ZN7rocprim17ROCPRIM_400000_NS6detail17trampoline_kernelINS0_14default_configENS1_35radix_sort_onesweep_config_selectorIhlEEZZNS1_29radix_sort_onesweep_iterationIS3_Lb0EPhS7_N6thrust23THRUST_200600_302600_NS10device_ptrIlEESB_jNS0_19identity_decomposerENS1_16block_id_wrapperIjLb0EEEEE10hipError_tT1_PNSt15iterator_traitsISG_E10value_typeET2_T3_PNSH_ISM_E10value_typeET4_T5_PSR_SS_PNS1_23onesweep_lookback_stateEbbT6_jjT7_P12ihipStream_tbENKUlT_T0_SG_SL_E_clIS7_S7_SB_PlEEDaSZ_S10_SG_SL_EUlSZ_E_NS1_11comp_targetILNS1_3genE2ELNS1_11target_archE906ELNS1_3gpuE6ELNS1_3repE0EEENS1_47radix_sort_onesweep_sort_config_static_selectorELNS0_4arch9wavefront6targetE1EEEvSG_
                                        ; -- End function
	.set _ZN7rocprim17ROCPRIM_400000_NS6detail17trampoline_kernelINS0_14default_configENS1_35radix_sort_onesweep_config_selectorIhlEEZZNS1_29radix_sort_onesweep_iterationIS3_Lb0EPhS7_N6thrust23THRUST_200600_302600_NS10device_ptrIlEESB_jNS0_19identity_decomposerENS1_16block_id_wrapperIjLb0EEEEE10hipError_tT1_PNSt15iterator_traitsISG_E10value_typeET2_T3_PNSH_ISM_E10value_typeET4_T5_PSR_SS_PNS1_23onesweep_lookback_stateEbbT6_jjT7_P12ihipStream_tbENKUlT_T0_SG_SL_E_clIS7_S7_SB_PlEEDaSZ_S10_SG_SL_EUlSZ_E_NS1_11comp_targetILNS1_3genE2ELNS1_11target_archE906ELNS1_3gpuE6ELNS1_3repE0EEENS1_47radix_sort_onesweep_sort_config_static_selectorELNS0_4arch9wavefront6targetE1EEEvSG_.num_vgpr, 41
	.set _ZN7rocprim17ROCPRIM_400000_NS6detail17trampoline_kernelINS0_14default_configENS1_35radix_sort_onesweep_config_selectorIhlEEZZNS1_29radix_sort_onesweep_iterationIS3_Lb0EPhS7_N6thrust23THRUST_200600_302600_NS10device_ptrIlEESB_jNS0_19identity_decomposerENS1_16block_id_wrapperIjLb0EEEEE10hipError_tT1_PNSt15iterator_traitsISG_E10value_typeET2_T3_PNSH_ISM_E10value_typeET4_T5_PSR_SS_PNS1_23onesweep_lookback_stateEbbT6_jjT7_P12ihipStream_tbENKUlT_T0_SG_SL_E_clIS7_S7_SB_PlEEDaSZ_S10_SG_SL_EUlSZ_E_NS1_11comp_targetILNS1_3genE2ELNS1_11target_archE906ELNS1_3gpuE6ELNS1_3repE0EEENS1_47radix_sort_onesweep_sort_config_static_selectorELNS0_4arch9wavefront6targetE1EEEvSG_.num_agpr, 0
	.set _ZN7rocprim17ROCPRIM_400000_NS6detail17trampoline_kernelINS0_14default_configENS1_35radix_sort_onesweep_config_selectorIhlEEZZNS1_29radix_sort_onesweep_iterationIS3_Lb0EPhS7_N6thrust23THRUST_200600_302600_NS10device_ptrIlEESB_jNS0_19identity_decomposerENS1_16block_id_wrapperIjLb0EEEEE10hipError_tT1_PNSt15iterator_traitsISG_E10value_typeET2_T3_PNSH_ISM_E10value_typeET4_T5_PSR_SS_PNS1_23onesweep_lookback_stateEbbT6_jjT7_P12ihipStream_tbENKUlT_T0_SG_SL_E_clIS7_S7_SB_PlEEDaSZ_S10_SG_SL_EUlSZ_E_NS1_11comp_targetILNS1_3genE2ELNS1_11target_archE906ELNS1_3gpuE6ELNS1_3repE0EEENS1_47radix_sort_onesweep_sort_config_static_selectorELNS0_4arch9wavefront6targetE1EEEvSG_.numbered_sgpr, 53
	.set _ZN7rocprim17ROCPRIM_400000_NS6detail17trampoline_kernelINS0_14default_configENS1_35radix_sort_onesweep_config_selectorIhlEEZZNS1_29radix_sort_onesweep_iterationIS3_Lb0EPhS7_N6thrust23THRUST_200600_302600_NS10device_ptrIlEESB_jNS0_19identity_decomposerENS1_16block_id_wrapperIjLb0EEEEE10hipError_tT1_PNSt15iterator_traitsISG_E10value_typeET2_T3_PNSH_ISM_E10value_typeET4_T5_PSR_SS_PNS1_23onesweep_lookback_stateEbbT6_jjT7_P12ihipStream_tbENKUlT_T0_SG_SL_E_clIS7_S7_SB_PlEEDaSZ_S10_SG_SL_EUlSZ_E_NS1_11comp_targetILNS1_3genE2ELNS1_11target_archE906ELNS1_3gpuE6ELNS1_3repE0EEENS1_47radix_sort_onesweep_sort_config_static_selectorELNS0_4arch9wavefront6targetE1EEEvSG_.num_named_barrier, 0
	.set _ZN7rocprim17ROCPRIM_400000_NS6detail17trampoline_kernelINS0_14default_configENS1_35radix_sort_onesweep_config_selectorIhlEEZZNS1_29radix_sort_onesweep_iterationIS3_Lb0EPhS7_N6thrust23THRUST_200600_302600_NS10device_ptrIlEESB_jNS0_19identity_decomposerENS1_16block_id_wrapperIjLb0EEEEE10hipError_tT1_PNSt15iterator_traitsISG_E10value_typeET2_T3_PNSH_ISM_E10value_typeET4_T5_PSR_SS_PNS1_23onesweep_lookback_stateEbbT6_jjT7_P12ihipStream_tbENKUlT_T0_SG_SL_E_clIS7_S7_SB_PlEEDaSZ_S10_SG_SL_EUlSZ_E_NS1_11comp_targetILNS1_3genE2ELNS1_11target_archE906ELNS1_3gpuE6ELNS1_3repE0EEENS1_47radix_sort_onesweep_sort_config_static_selectorELNS0_4arch9wavefront6targetE1EEEvSG_.private_seg_size, 32
	.set _ZN7rocprim17ROCPRIM_400000_NS6detail17trampoline_kernelINS0_14default_configENS1_35radix_sort_onesweep_config_selectorIhlEEZZNS1_29radix_sort_onesweep_iterationIS3_Lb0EPhS7_N6thrust23THRUST_200600_302600_NS10device_ptrIlEESB_jNS0_19identity_decomposerENS1_16block_id_wrapperIjLb0EEEEE10hipError_tT1_PNSt15iterator_traitsISG_E10value_typeET2_T3_PNSH_ISM_E10value_typeET4_T5_PSR_SS_PNS1_23onesweep_lookback_stateEbbT6_jjT7_P12ihipStream_tbENKUlT_T0_SG_SL_E_clIS7_S7_SB_PlEEDaSZ_S10_SG_SL_EUlSZ_E_NS1_11comp_targetILNS1_3genE2ELNS1_11target_archE906ELNS1_3gpuE6ELNS1_3repE0EEENS1_47radix_sort_onesweep_sort_config_static_selectorELNS0_4arch9wavefront6targetE1EEEvSG_.uses_vcc, 1
	.set _ZN7rocprim17ROCPRIM_400000_NS6detail17trampoline_kernelINS0_14default_configENS1_35radix_sort_onesweep_config_selectorIhlEEZZNS1_29radix_sort_onesweep_iterationIS3_Lb0EPhS7_N6thrust23THRUST_200600_302600_NS10device_ptrIlEESB_jNS0_19identity_decomposerENS1_16block_id_wrapperIjLb0EEEEE10hipError_tT1_PNSt15iterator_traitsISG_E10value_typeET2_T3_PNSH_ISM_E10value_typeET4_T5_PSR_SS_PNS1_23onesweep_lookback_stateEbbT6_jjT7_P12ihipStream_tbENKUlT_T0_SG_SL_E_clIS7_S7_SB_PlEEDaSZ_S10_SG_SL_EUlSZ_E_NS1_11comp_targetILNS1_3genE2ELNS1_11target_archE906ELNS1_3gpuE6ELNS1_3repE0EEENS1_47radix_sort_onesweep_sort_config_static_selectorELNS0_4arch9wavefront6targetE1EEEvSG_.uses_flat_scratch, 0
	.set _ZN7rocprim17ROCPRIM_400000_NS6detail17trampoline_kernelINS0_14default_configENS1_35radix_sort_onesweep_config_selectorIhlEEZZNS1_29radix_sort_onesweep_iterationIS3_Lb0EPhS7_N6thrust23THRUST_200600_302600_NS10device_ptrIlEESB_jNS0_19identity_decomposerENS1_16block_id_wrapperIjLb0EEEEE10hipError_tT1_PNSt15iterator_traitsISG_E10value_typeET2_T3_PNSH_ISM_E10value_typeET4_T5_PSR_SS_PNS1_23onesweep_lookback_stateEbbT6_jjT7_P12ihipStream_tbENKUlT_T0_SG_SL_E_clIS7_S7_SB_PlEEDaSZ_S10_SG_SL_EUlSZ_E_NS1_11comp_targetILNS1_3genE2ELNS1_11target_archE906ELNS1_3gpuE6ELNS1_3repE0EEENS1_47radix_sort_onesweep_sort_config_static_selectorELNS0_4arch9wavefront6targetE1EEEvSG_.has_dyn_sized_stack, 0
	.set _ZN7rocprim17ROCPRIM_400000_NS6detail17trampoline_kernelINS0_14default_configENS1_35radix_sort_onesweep_config_selectorIhlEEZZNS1_29radix_sort_onesweep_iterationIS3_Lb0EPhS7_N6thrust23THRUST_200600_302600_NS10device_ptrIlEESB_jNS0_19identity_decomposerENS1_16block_id_wrapperIjLb0EEEEE10hipError_tT1_PNSt15iterator_traitsISG_E10value_typeET2_T3_PNSH_ISM_E10value_typeET4_T5_PSR_SS_PNS1_23onesweep_lookback_stateEbbT6_jjT7_P12ihipStream_tbENKUlT_T0_SG_SL_E_clIS7_S7_SB_PlEEDaSZ_S10_SG_SL_EUlSZ_E_NS1_11comp_targetILNS1_3genE2ELNS1_11target_archE906ELNS1_3gpuE6ELNS1_3repE0EEENS1_47radix_sort_onesweep_sort_config_static_selectorELNS0_4arch9wavefront6targetE1EEEvSG_.has_recursion, 0
	.set _ZN7rocprim17ROCPRIM_400000_NS6detail17trampoline_kernelINS0_14default_configENS1_35radix_sort_onesweep_config_selectorIhlEEZZNS1_29radix_sort_onesweep_iterationIS3_Lb0EPhS7_N6thrust23THRUST_200600_302600_NS10device_ptrIlEESB_jNS0_19identity_decomposerENS1_16block_id_wrapperIjLb0EEEEE10hipError_tT1_PNSt15iterator_traitsISG_E10value_typeET2_T3_PNSH_ISM_E10value_typeET4_T5_PSR_SS_PNS1_23onesweep_lookback_stateEbbT6_jjT7_P12ihipStream_tbENKUlT_T0_SG_SL_E_clIS7_S7_SB_PlEEDaSZ_S10_SG_SL_EUlSZ_E_NS1_11comp_targetILNS1_3genE2ELNS1_11target_archE906ELNS1_3gpuE6ELNS1_3repE0EEENS1_47radix_sort_onesweep_sort_config_static_selectorELNS0_4arch9wavefront6targetE1EEEvSG_.has_indirect_call, 0
	.section	.AMDGPU.csdata,"",@progbits
; Kernel info:
; codeLenInByte = 10084
; TotalNumSgprs: 57
; NumVgprs: 41
; ScratchSize: 32
; MemoryBound: 0
; FloatMode: 240
; IeeeMode: 1
; LDSByteSize: 10280 bytes/workgroup (compile time only)
; SGPRBlocks: 7
; VGPRBlocks: 10
; NumSGPRsForWavesPerEU: 57
; NumVGPRsForWavesPerEU: 41
; Occupancy: 5
; WaveLimiterHint : 1
; COMPUTE_PGM_RSRC2:SCRATCH_EN: 1
; COMPUTE_PGM_RSRC2:USER_SGPR: 6
; COMPUTE_PGM_RSRC2:TRAP_HANDLER: 0
; COMPUTE_PGM_RSRC2:TGID_X_EN: 1
; COMPUTE_PGM_RSRC2:TGID_Y_EN: 0
; COMPUTE_PGM_RSRC2:TGID_Z_EN: 0
; COMPUTE_PGM_RSRC2:TIDIG_COMP_CNT: 2
	.section	.text._ZN7rocprim17ROCPRIM_400000_NS6detail17trampoline_kernelINS0_14default_configENS1_35radix_sort_onesweep_config_selectorIhlEEZZNS1_29radix_sort_onesweep_iterationIS3_Lb0EPhS7_N6thrust23THRUST_200600_302600_NS10device_ptrIlEESB_jNS0_19identity_decomposerENS1_16block_id_wrapperIjLb0EEEEE10hipError_tT1_PNSt15iterator_traitsISG_E10value_typeET2_T3_PNSH_ISM_E10value_typeET4_T5_PSR_SS_PNS1_23onesweep_lookback_stateEbbT6_jjT7_P12ihipStream_tbENKUlT_T0_SG_SL_E_clIS7_S7_SB_PlEEDaSZ_S10_SG_SL_EUlSZ_E_NS1_11comp_targetILNS1_3genE4ELNS1_11target_archE910ELNS1_3gpuE8ELNS1_3repE0EEENS1_47radix_sort_onesweep_sort_config_static_selectorELNS0_4arch9wavefront6targetE1EEEvSG_,"axG",@progbits,_ZN7rocprim17ROCPRIM_400000_NS6detail17trampoline_kernelINS0_14default_configENS1_35radix_sort_onesweep_config_selectorIhlEEZZNS1_29radix_sort_onesweep_iterationIS3_Lb0EPhS7_N6thrust23THRUST_200600_302600_NS10device_ptrIlEESB_jNS0_19identity_decomposerENS1_16block_id_wrapperIjLb0EEEEE10hipError_tT1_PNSt15iterator_traitsISG_E10value_typeET2_T3_PNSH_ISM_E10value_typeET4_T5_PSR_SS_PNS1_23onesweep_lookback_stateEbbT6_jjT7_P12ihipStream_tbENKUlT_T0_SG_SL_E_clIS7_S7_SB_PlEEDaSZ_S10_SG_SL_EUlSZ_E_NS1_11comp_targetILNS1_3genE4ELNS1_11target_archE910ELNS1_3gpuE8ELNS1_3repE0EEENS1_47radix_sort_onesweep_sort_config_static_selectorELNS0_4arch9wavefront6targetE1EEEvSG_,comdat
	.protected	_ZN7rocprim17ROCPRIM_400000_NS6detail17trampoline_kernelINS0_14default_configENS1_35radix_sort_onesweep_config_selectorIhlEEZZNS1_29radix_sort_onesweep_iterationIS3_Lb0EPhS7_N6thrust23THRUST_200600_302600_NS10device_ptrIlEESB_jNS0_19identity_decomposerENS1_16block_id_wrapperIjLb0EEEEE10hipError_tT1_PNSt15iterator_traitsISG_E10value_typeET2_T3_PNSH_ISM_E10value_typeET4_T5_PSR_SS_PNS1_23onesweep_lookback_stateEbbT6_jjT7_P12ihipStream_tbENKUlT_T0_SG_SL_E_clIS7_S7_SB_PlEEDaSZ_S10_SG_SL_EUlSZ_E_NS1_11comp_targetILNS1_3genE4ELNS1_11target_archE910ELNS1_3gpuE8ELNS1_3repE0EEENS1_47radix_sort_onesweep_sort_config_static_selectorELNS0_4arch9wavefront6targetE1EEEvSG_ ; -- Begin function _ZN7rocprim17ROCPRIM_400000_NS6detail17trampoline_kernelINS0_14default_configENS1_35radix_sort_onesweep_config_selectorIhlEEZZNS1_29radix_sort_onesweep_iterationIS3_Lb0EPhS7_N6thrust23THRUST_200600_302600_NS10device_ptrIlEESB_jNS0_19identity_decomposerENS1_16block_id_wrapperIjLb0EEEEE10hipError_tT1_PNSt15iterator_traitsISG_E10value_typeET2_T3_PNSH_ISM_E10value_typeET4_T5_PSR_SS_PNS1_23onesweep_lookback_stateEbbT6_jjT7_P12ihipStream_tbENKUlT_T0_SG_SL_E_clIS7_S7_SB_PlEEDaSZ_S10_SG_SL_EUlSZ_E_NS1_11comp_targetILNS1_3genE4ELNS1_11target_archE910ELNS1_3gpuE8ELNS1_3repE0EEENS1_47radix_sort_onesweep_sort_config_static_selectorELNS0_4arch9wavefront6targetE1EEEvSG_
	.globl	_ZN7rocprim17ROCPRIM_400000_NS6detail17trampoline_kernelINS0_14default_configENS1_35radix_sort_onesweep_config_selectorIhlEEZZNS1_29radix_sort_onesweep_iterationIS3_Lb0EPhS7_N6thrust23THRUST_200600_302600_NS10device_ptrIlEESB_jNS0_19identity_decomposerENS1_16block_id_wrapperIjLb0EEEEE10hipError_tT1_PNSt15iterator_traitsISG_E10value_typeET2_T3_PNSH_ISM_E10value_typeET4_T5_PSR_SS_PNS1_23onesweep_lookback_stateEbbT6_jjT7_P12ihipStream_tbENKUlT_T0_SG_SL_E_clIS7_S7_SB_PlEEDaSZ_S10_SG_SL_EUlSZ_E_NS1_11comp_targetILNS1_3genE4ELNS1_11target_archE910ELNS1_3gpuE8ELNS1_3repE0EEENS1_47radix_sort_onesweep_sort_config_static_selectorELNS0_4arch9wavefront6targetE1EEEvSG_
	.p2align	8
	.type	_ZN7rocprim17ROCPRIM_400000_NS6detail17trampoline_kernelINS0_14default_configENS1_35radix_sort_onesweep_config_selectorIhlEEZZNS1_29radix_sort_onesweep_iterationIS3_Lb0EPhS7_N6thrust23THRUST_200600_302600_NS10device_ptrIlEESB_jNS0_19identity_decomposerENS1_16block_id_wrapperIjLb0EEEEE10hipError_tT1_PNSt15iterator_traitsISG_E10value_typeET2_T3_PNSH_ISM_E10value_typeET4_T5_PSR_SS_PNS1_23onesweep_lookback_stateEbbT6_jjT7_P12ihipStream_tbENKUlT_T0_SG_SL_E_clIS7_S7_SB_PlEEDaSZ_S10_SG_SL_EUlSZ_E_NS1_11comp_targetILNS1_3genE4ELNS1_11target_archE910ELNS1_3gpuE8ELNS1_3repE0EEENS1_47radix_sort_onesweep_sort_config_static_selectorELNS0_4arch9wavefront6targetE1EEEvSG_,@function
_ZN7rocprim17ROCPRIM_400000_NS6detail17trampoline_kernelINS0_14default_configENS1_35radix_sort_onesweep_config_selectorIhlEEZZNS1_29radix_sort_onesweep_iterationIS3_Lb0EPhS7_N6thrust23THRUST_200600_302600_NS10device_ptrIlEESB_jNS0_19identity_decomposerENS1_16block_id_wrapperIjLb0EEEEE10hipError_tT1_PNSt15iterator_traitsISG_E10value_typeET2_T3_PNSH_ISM_E10value_typeET4_T5_PSR_SS_PNS1_23onesweep_lookback_stateEbbT6_jjT7_P12ihipStream_tbENKUlT_T0_SG_SL_E_clIS7_S7_SB_PlEEDaSZ_S10_SG_SL_EUlSZ_E_NS1_11comp_targetILNS1_3genE4ELNS1_11target_archE910ELNS1_3gpuE8ELNS1_3repE0EEENS1_47radix_sort_onesweep_sort_config_static_selectorELNS0_4arch9wavefront6targetE1EEEvSG_: ; @_ZN7rocprim17ROCPRIM_400000_NS6detail17trampoline_kernelINS0_14default_configENS1_35radix_sort_onesweep_config_selectorIhlEEZZNS1_29radix_sort_onesweep_iterationIS3_Lb0EPhS7_N6thrust23THRUST_200600_302600_NS10device_ptrIlEESB_jNS0_19identity_decomposerENS1_16block_id_wrapperIjLb0EEEEE10hipError_tT1_PNSt15iterator_traitsISG_E10value_typeET2_T3_PNSH_ISM_E10value_typeET4_T5_PSR_SS_PNS1_23onesweep_lookback_stateEbbT6_jjT7_P12ihipStream_tbENKUlT_T0_SG_SL_E_clIS7_S7_SB_PlEEDaSZ_S10_SG_SL_EUlSZ_E_NS1_11comp_targetILNS1_3genE4ELNS1_11target_archE910ELNS1_3gpuE8ELNS1_3repE0EEENS1_47radix_sort_onesweep_sort_config_static_selectorELNS0_4arch9wavefront6targetE1EEEvSG_
; %bb.0:
	.section	.rodata,"a",@progbits
	.p2align	6, 0x0
	.amdhsa_kernel _ZN7rocprim17ROCPRIM_400000_NS6detail17trampoline_kernelINS0_14default_configENS1_35radix_sort_onesweep_config_selectorIhlEEZZNS1_29radix_sort_onesweep_iterationIS3_Lb0EPhS7_N6thrust23THRUST_200600_302600_NS10device_ptrIlEESB_jNS0_19identity_decomposerENS1_16block_id_wrapperIjLb0EEEEE10hipError_tT1_PNSt15iterator_traitsISG_E10value_typeET2_T3_PNSH_ISM_E10value_typeET4_T5_PSR_SS_PNS1_23onesweep_lookback_stateEbbT6_jjT7_P12ihipStream_tbENKUlT_T0_SG_SL_E_clIS7_S7_SB_PlEEDaSZ_S10_SG_SL_EUlSZ_E_NS1_11comp_targetILNS1_3genE4ELNS1_11target_archE910ELNS1_3gpuE8ELNS1_3repE0EEENS1_47radix_sort_onesweep_sort_config_static_selectorELNS0_4arch9wavefront6targetE1EEEvSG_
		.amdhsa_group_segment_fixed_size 0
		.amdhsa_private_segment_fixed_size 0
		.amdhsa_kernarg_size 88
		.amdhsa_user_sgpr_count 6
		.amdhsa_user_sgpr_private_segment_buffer 1
		.amdhsa_user_sgpr_dispatch_ptr 0
		.amdhsa_user_sgpr_queue_ptr 0
		.amdhsa_user_sgpr_kernarg_segment_ptr 1
		.amdhsa_user_sgpr_dispatch_id 0
		.amdhsa_user_sgpr_flat_scratch_init 0
		.amdhsa_user_sgpr_private_segment_size 0
		.amdhsa_uses_dynamic_stack 0
		.amdhsa_system_sgpr_private_segment_wavefront_offset 0
		.amdhsa_system_sgpr_workgroup_id_x 1
		.amdhsa_system_sgpr_workgroup_id_y 0
		.amdhsa_system_sgpr_workgroup_id_z 0
		.amdhsa_system_sgpr_workgroup_info 0
		.amdhsa_system_vgpr_workitem_id 0
		.amdhsa_next_free_vgpr 1
		.amdhsa_next_free_sgpr 0
		.amdhsa_reserve_vcc 0
		.amdhsa_reserve_flat_scratch 0
		.amdhsa_float_round_mode_32 0
		.amdhsa_float_round_mode_16_64 0
		.amdhsa_float_denorm_mode_32 3
		.amdhsa_float_denorm_mode_16_64 3
		.amdhsa_dx10_clamp 1
		.amdhsa_ieee_mode 1
		.amdhsa_fp16_overflow 0
		.amdhsa_exception_fp_ieee_invalid_op 0
		.amdhsa_exception_fp_denorm_src 0
		.amdhsa_exception_fp_ieee_div_zero 0
		.amdhsa_exception_fp_ieee_overflow 0
		.amdhsa_exception_fp_ieee_underflow 0
		.amdhsa_exception_fp_ieee_inexact 0
		.amdhsa_exception_int_div_zero 0
	.end_amdhsa_kernel
	.section	.text._ZN7rocprim17ROCPRIM_400000_NS6detail17trampoline_kernelINS0_14default_configENS1_35radix_sort_onesweep_config_selectorIhlEEZZNS1_29radix_sort_onesweep_iterationIS3_Lb0EPhS7_N6thrust23THRUST_200600_302600_NS10device_ptrIlEESB_jNS0_19identity_decomposerENS1_16block_id_wrapperIjLb0EEEEE10hipError_tT1_PNSt15iterator_traitsISG_E10value_typeET2_T3_PNSH_ISM_E10value_typeET4_T5_PSR_SS_PNS1_23onesweep_lookback_stateEbbT6_jjT7_P12ihipStream_tbENKUlT_T0_SG_SL_E_clIS7_S7_SB_PlEEDaSZ_S10_SG_SL_EUlSZ_E_NS1_11comp_targetILNS1_3genE4ELNS1_11target_archE910ELNS1_3gpuE8ELNS1_3repE0EEENS1_47radix_sort_onesweep_sort_config_static_selectorELNS0_4arch9wavefront6targetE1EEEvSG_,"axG",@progbits,_ZN7rocprim17ROCPRIM_400000_NS6detail17trampoline_kernelINS0_14default_configENS1_35radix_sort_onesweep_config_selectorIhlEEZZNS1_29radix_sort_onesweep_iterationIS3_Lb0EPhS7_N6thrust23THRUST_200600_302600_NS10device_ptrIlEESB_jNS0_19identity_decomposerENS1_16block_id_wrapperIjLb0EEEEE10hipError_tT1_PNSt15iterator_traitsISG_E10value_typeET2_T3_PNSH_ISM_E10value_typeET4_T5_PSR_SS_PNS1_23onesweep_lookback_stateEbbT6_jjT7_P12ihipStream_tbENKUlT_T0_SG_SL_E_clIS7_S7_SB_PlEEDaSZ_S10_SG_SL_EUlSZ_E_NS1_11comp_targetILNS1_3genE4ELNS1_11target_archE910ELNS1_3gpuE8ELNS1_3repE0EEENS1_47radix_sort_onesweep_sort_config_static_selectorELNS0_4arch9wavefront6targetE1EEEvSG_,comdat
.Lfunc_end304:
	.size	_ZN7rocprim17ROCPRIM_400000_NS6detail17trampoline_kernelINS0_14default_configENS1_35radix_sort_onesweep_config_selectorIhlEEZZNS1_29radix_sort_onesweep_iterationIS3_Lb0EPhS7_N6thrust23THRUST_200600_302600_NS10device_ptrIlEESB_jNS0_19identity_decomposerENS1_16block_id_wrapperIjLb0EEEEE10hipError_tT1_PNSt15iterator_traitsISG_E10value_typeET2_T3_PNSH_ISM_E10value_typeET4_T5_PSR_SS_PNS1_23onesweep_lookback_stateEbbT6_jjT7_P12ihipStream_tbENKUlT_T0_SG_SL_E_clIS7_S7_SB_PlEEDaSZ_S10_SG_SL_EUlSZ_E_NS1_11comp_targetILNS1_3genE4ELNS1_11target_archE910ELNS1_3gpuE8ELNS1_3repE0EEENS1_47radix_sort_onesweep_sort_config_static_selectorELNS0_4arch9wavefront6targetE1EEEvSG_, .Lfunc_end304-_ZN7rocprim17ROCPRIM_400000_NS6detail17trampoline_kernelINS0_14default_configENS1_35radix_sort_onesweep_config_selectorIhlEEZZNS1_29radix_sort_onesweep_iterationIS3_Lb0EPhS7_N6thrust23THRUST_200600_302600_NS10device_ptrIlEESB_jNS0_19identity_decomposerENS1_16block_id_wrapperIjLb0EEEEE10hipError_tT1_PNSt15iterator_traitsISG_E10value_typeET2_T3_PNSH_ISM_E10value_typeET4_T5_PSR_SS_PNS1_23onesweep_lookback_stateEbbT6_jjT7_P12ihipStream_tbENKUlT_T0_SG_SL_E_clIS7_S7_SB_PlEEDaSZ_S10_SG_SL_EUlSZ_E_NS1_11comp_targetILNS1_3genE4ELNS1_11target_archE910ELNS1_3gpuE8ELNS1_3repE0EEENS1_47radix_sort_onesweep_sort_config_static_selectorELNS0_4arch9wavefront6targetE1EEEvSG_
                                        ; -- End function
	.set _ZN7rocprim17ROCPRIM_400000_NS6detail17trampoline_kernelINS0_14default_configENS1_35radix_sort_onesweep_config_selectorIhlEEZZNS1_29radix_sort_onesweep_iterationIS3_Lb0EPhS7_N6thrust23THRUST_200600_302600_NS10device_ptrIlEESB_jNS0_19identity_decomposerENS1_16block_id_wrapperIjLb0EEEEE10hipError_tT1_PNSt15iterator_traitsISG_E10value_typeET2_T3_PNSH_ISM_E10value_typeET4_T5_PSR_SS_PNS1_23onesweep_lookback_stateEbbT6_jjT7_P12ihipStream_tbENKUlT_T0_SG_SL_E_clIS7_S7_SB_PlEEDaSZ_S10_SG_SL_EUlSZ_E_NS1_11comp_targetILNS1_3genE4ELNS1_11target_archE910ELNS1_3gpuE8ELNS1_3repE0EEENS1_47radix_sort_onesweep_sort_config_static_selectorELNS0_4arch9wavefront6targetE1EEEvSG_.num_vgpr, 0
	.set _ZN7rocprim17ROCPRIM_400000_NS6detail17trampoline_kernelINS0_14default_configENS1_35radix_sort_onesweep_config_selectorIhlEEZZNS1_29radix_sort_onesweep_iterationIS3_Lb0EPhS7_N6thrust23THRUST_200600_302600_NS10device_ptrIlEESB_jNS0_19identity_decomposerENS1_16block_id_wrapperIjLb0EEEEE10hipError_tT1_PNSt15iterator_traitsISG_E10value_typeET2_T3_PNSH_ISM_E10value_typeET4_T5_PSR_SS_PNS1_23onesweep_lookback_stateEbbT6_jjT7_P12ihipStream_tbENKUlT_T0_SG_SL_E_clIS7_S7_SB_PlEEDaSZ_S10_SG_SL_EUlSZ_E_NS1_11comp_targetILNS1_3genE4ELNS1_11target_archE910ELNS1_3gpuE8ELNS1_3repE0EEENS1_47radix_sort_onesweep_sort_config_static_selectorELNS0_4arch9wavefront6targetE1EEEvSG_.num_agpr, 0
	.set _ZN7rocprim17ROCPRIM_400000_NS6detail17trampoline_kernelINS0_14default_configENS1_35radix_sort_onesweep_config_selectorIhlEEZZNS1_29radix_sort_onesweep_iterationIS3_Lb0EPhS7_N6thrust23THRUST_200600_302600_NS10device_ptrIlEESB_jNS0_19identity_decomposerENS1_16block_id_wrapperIjLb0EEEEE10hipError_tT1_PNSt15iterator_traitsISG_E10value_typeET2_T3_PNSH_ISM_E10value_typeET4_T5_PSR_SS_PNS1_23onesweep_lookback_stateEbbT6_jjT7_P12ihipStream_tbENKUlT_T0_SG_SL_E_clIS7_S7_SB_PlEEDaSZ_S10_SG_SL_EUlSZ_E_NS1_11comp_targetILNS1_3genE4ELNS1_11target_archE910ELNS1_3gpuE8ELNS1_3repE0EEENS1_47radix_sort_onesweep_sort_config_static_selectorELNS0_4arch9wavefront6targetE1EEEvSG_.numbered_sgpr, 0
	.set _ZN7rocprim17ROCPRIM_400000_NS6detail17trampoline_kernelINS0_14default_configENS1_35radix_sort_onesweep_config_selectorIhlEEZZNS1_29radix_sort_onesweep_iterationIS3_Lb0EPhS7_N6thrust23THRUST_200600_302600_NS10device_ptrIlEESB_jNS0_19identity_decomposerENS1_16block_id_wrapperIjLb0EEEEE10hipError_tT1_PNSt15iterator_traitsISG_E10value_typeET2_T3_PNSH_ISM_E10value_typeET4_T5_PSR_SS_PNS1_23onesweep_lookback_stateEbbT6_jjT7_P12ihipStream_tbENKUlT_T0_SG_SL_E_clIS7_S7_SB_PlEEDaSZ_S10_SG_SL_EUlSZ_E_NS1_11comp_targetILNS1_3genE4ELNS1_11target_archE910ELNS1_3gpuE8ELNS1_3repE0EEENS1_47radix_sort_onesweep_sort_config_static_selectorELNS0_4arch9wavefront6targetE1EEEvSG_.num_named_barrier, 0
	.set _ZN7rocprim17ROCPRIM_400000_NS6detail17trampoline_kernelINS0_14default_configENS1_35radix_sort_onesweep_config_selectorIhlEEZZNS1_29radix_sort_onesweep_iterationIS3_Lb0EPhS7_N6thrust23THRUST_200600_302600_NS10device_ptrIlEESB_jNS0_19identity_decomposerENS1_16block_id_wrapperIjLb0EEEEE10hipError_tT1_PNSt15iterator_traitsISG_E10value_typeET2_T3_PNSH_ISM_E10value_typeET4_T5_PSR_SS_PNS1_23onesweep_lookback_stateEbbT6_jjT7_P12ihipStream_tbENKUlT_T0_SG_SL_E_clIS7_S7_SB_PlEEDaSZ_S10_SG_SL_EUlSZ_E_NS1_11comp_targetILNS1_3genE4ELNS1_11target_archE910ELNS1_3gpuE8ELNS1_3repE0EEENS1_47radix_sort_onesweep_sort_config_static_selectorELNS0_4arch9wavefront6targetE1EEEvSG_.private_seg_size, 0
	.set _ZN7rocprim17ROCPRIM_400000_NS6detail17trampoline_kernelINS0_14default_configENS1_35radix_sort_onesweep_config_selectorIhlEEZZNS1_29radix_sort_onesweep_iterationIS3_Lb0EPhS7_N6thrust23THRUST_200600_302600_NS10device_ptrIlEESB_jNS0_19identity_decomposerENS1_16block_id_wrapperIjLb0EEEEE10hipError_tT1_PNSt15iterator_traitsISG_E10value_typeET2_T3_PNSH_ISM_E10value_typeET4_T5_PSR_SS_PNS1_23onesweep_lookback_stateEbbT6_jjT7_P12ihipStream_tbENKUlT_T0_SG_SL_E_clIS7_S7_SB_PlEEDaSZ_S10_SG_SL_EUlSZ_E_NS1_11comp_targetILNS1_3genE4ELNS1_11target_archE910ELNS1_3gpuE8ELNS1_3repE0EEENS1_47radix_sort_onesweep_sort_config_static_selectorELNS0_4arch9wavefront6targetE1EEEvSG_.uses_vcc, 0
	.set _ZN7rocprim17ROCPRIM_400000_NS6detail17trampoline_kernelINS0_14default_configENS1_35radix_sort_onesweep_config_selectorIhlEEZZNS1_29radix_sort_onesweep_iterationIS3_Lb0EPhS7_N6thrust23THRUST_200600_302600_NS10device_ptrIlEESB_jNS0_19identity_decomposerENS1_16block_id_wrapperIjLb0EEEEE10hipError_tT1_PNSt15iterator_traitsISG_E10value_typeET2_T3_PNSH_ISM_E10value_typeET4_T5_PSR_SS_PNS1_23onesweep_lookback_stateEbbT6_jjT7_P12ihipStream_tbENKUlT_T0_SG_SL_E_clIS7_S7_SB_PlEEDaSZ_S10_SG_SL_EUlSZ_E_NS1_11comp_targetILNS1_3genE4ELNS1_11target_archE910ELNS1_3gpuE8ELNS1_3repE0EEENS1_47radix_sort_onesweep_sort_config_static_selectorELNS0_4arch9wavefront6targetE1EEEvSG_.uses_flat_scratch, 0
	.set _ZN7rocprim17ROCPRIM_400000_NS6detail17trampoline_kernelINS0_14default_configENS1_35radix_sort_onesweep_config_selectorIhlEEZZNS1_29radix_sort_onesweep_iterationIS3_Lb0EPhS7_N6thrust23THRUST_200600_302600_NS10device_ptrIlEESB_jNS0_19identity_decomposerENS1_16block_id_wrapperIjLb0EEEEE10hipError_tT1_PNSt15iterator_traitsISG_E10value_typeET2_T3_PNSH_ISM_E10value_typeET4_T5_PSR_SS_PNS1_23onesweep_lookback_stateEbbT6_jjT7_P12ihipStream_tbENKUlT_T0_SG_SL_E_clIS7_S7_SB_PlEEDaSZ_S10_SG_SL_EUlSZ_E_NS1_11comp_targetILNS1_3genE4ELNS1_11target_archE910ELNS1_3gpuE8ELNS1_3repE0EEENS1_47radix_sort_onesweep_sort_config_static_selectorELNS0_4arch9wavefront6targetE1EEEvSG_.has_dyn_sized_stack, 0
	.set _ZN7rocprim17ROCPRIM_400000_NS6detail17trampoline_kernelINS0_14default_configENS1_35radix_sort_onesweep_config_selectorIhlEEZZNS1_29radix_sort_onesweep_iterationIS3_Lb0EPhS7_N6thrust23THRUST_200600_302600_NS10device_ptrIlEESB_jNS0_19identity_decomposerENS1_16block_id_wrapperIjLb0EEEEE10hipError_tT1_PNSt15iterator_traitsISG_E10value_typeET2_T3_PNSH_ISM_E10value_typeET4_T5_PSR_SS_PNS1_23onesweep_lookback_stateEbbT6_jjT7_P12ihipStream_tbENKUlT_T0_SG_SL_E_clIS7_S7_SB_PlEEDaSZ_S10_SG_SL_EUlSZ_E_NS1_11comp_targetILNS1_3genE4ELNS1_11target_archE910ELNS1_3gpuE8ELNS1_3repE0EEENS1_47radix_sort_onesweep_sort_config_static_selectorELNS0_4arch9wavefront6targetE1EEEvSG_.has_recursion, 0
	.set _ZN7rocprim17ROCPRIM_400000_NS6detail17trampoline_kernelINS0_14default_configENS1_35radix_sort_onesweep_config_selectorIhlEEZZNS1_29radix_sort_onesweep_iterationIS3_Lb0EPhS7_N6thrust23THRUST_200600_302600_NS10device_ptrIlEESB_jNS0_19identity_decomposerENS1_16block_id_wrapperIjLb0EEEEE10hipError_tT1_PNSt15iterator_traitsISG_E10value_typeET2_T3_PNSH_ISM_E10value_typeET4_T5_PSR_SS_PNS1_23onesweep_lookback_stateEbbT6_jjT7_P12ihipStream_tbENKUlT_T0_SG_SL_E_clIS7_S7_SB_PlEEDaSZ_S10_SG_SL_EUlSZ_E_NS1_11comp_targetILNS1_3genE4ELNS1_11target_archE910ELNS1_3gpuE8ELNS1_3repE0EEENS1_47radix_sort_onesweep_sort_config_static_selectorELNS0_4arch9wavefront6targetE1EEEvSG_.has_indirect_call, 0
	.section	.AMDGPU.csdata,"",@progbits
; Kernel info:
; codeLenInByte = 0
; TotalNumSgprs: 4
; NumVgprs: 0
; ScratchSize: 0
; MemoryBound: 0
; FloatMode: 240
; IeeeMode: 1
; LDSByteSize: 0 bytes/workgroup (compile time only)
; SGPRBlocks: 0
; VGPRBlocks: 0
; NumSGPRsForWavesPerEU: 4
; NumVGPRsForWavesPerEU: 1
; Occupancy: 10
; WaveLimiterHint : 0
; COMPUTE_PGM_RSRC2:SCRATCH_EN: 0
; COMPUTE_PGM_RSRC2:USER_SGPR: 6
; COMPUTE_PGM_RSRC2:TRAP_HANDLER: 0
; COMPUTE_PGM_RSRC2:TGID_X_EN: 1
; COMPUTE_PGM_RSRC2:TGID_Y_EN: 0
; COMPUTE_PGM_RSRC2:TGID_Z_EN: 0
; COMPUTE_PGM_RSRC2:TIDIG_COMP_CNT: 0
	.section	.text._ZN7rocprim17ROCPRIM_400000_NS6detail17trampoline_kernelINS0_14default_configENS1_35radix_sort_onesweep_config_selectorIhlEEZZNS1_29radix_sort_onesweep_iterationIS3_Lb0EPhS7_N6thrust23THRUST_200600_302600_NS10device_ptrIlEESB_jNS0_19identity_decomposerENS1_16block_id_wrapperIjLb0EEEEE10hipError_tT1_PNSt15iterator_traitsISG_E10value_typeET2_T3_PNSH_ISM_E10value_typeET4_T5_PSR_SS_PNS1_23onesweep_lookback_stateEbbT6_jjT7_P12ihipStream_tbENKUlT_T0_SG_SL_E_clIS7_S7_SB_PlEEDaSZ_S10_SG_SL_EUlSZ_E_NS1_11comp_targetILNS1_3genE3ELNS1_11target_archE908ELNS1_3gpuE7ELNS1_3repE0EEENS1_47radix_sort_onesweep_sort_config_static_selectorELNS0_4arch9wavefront6targetE1EEEvSG_,"axG",@progbits,_ZN7rocprim17ROCPRIM_400000_NS6detail17trampoline_kernelINS0_14default_configENS1_35radix_sort_onesweep_config_selectorIhlEEZZNS1_29radix_sort_onesweep_iterationIS3_Lb0EPhS7_N6thrust23THRUST_200600_302600_NS10device_ptrIlEESB_jNS0_19identity_decomposerENS1_16block_id_wrapperIjLb0EEEEE10hipError_tT1_PNSt15iterator_traitsISG_E10value_typeET2_T3_PNSH_ISM_E10value_typeET4_T5_PSR_SS_PNS1_23onesweep_lookback_stateEbbT6_jjT7_P12ihipStream_tbENKUlT_T0_SG_SL_E_clIS7_S7_SB_PlEEDaSZ_S10_SG_SL_EUlSZ_E_NS1_11comp_targetILNS1_3genE3ELNS1_11target_archE908ELNS1_3gpuE7ELNS1_3repE0EEENS1_47radix_sort_onesweep_sort_config_static_selectorELNS0_4arch9wavefront6targetE1EEEvSG_,comdat
	.protected	_ZN7rocprim17ROCPRIM_400000_NS6detail17trampoline_kernelINS0_14default_configENS1_35radix_sort_onesweep_config_selectorIhlEEZZNS1_29radix_sort_onesweep_iterationIS3_Lb0EPhS7_N6thrust23THRUST_200600_302600_NS10device_ptrIlEESB_jNS0_19identity_decomposerENS1_16block_id_wrapperIjLb0EEEEE10hipError_tT1_PNSt15iterator_traitsISG_E10value_typeET2_T3_PNSH_ISM_E10value_typeET4_T5_PSR_SS_PNS1_23onesweep_lookback_stateEbbT6_jjT7_P12ihipStream_tbENKUlT_T0_SG_SL_E_clIS7_S7_SB_PlEEDaSZ_S10_SG_SL_EUlSZ_E_NS1_11comp_targetILNS1_3genE3ELNS1_11target_archE908ELNS1_3gpuE7ELNS1_3repE0EEENS1_47radix_sort_onesweep_sort_config_static_selectorELNS0_4arch9wavefront6targetE1EEEvSG_ ; -- Begin function _ZN7rocprim17ROCPRIM_400000_NS6detail17trampoline_kernelINS0_14default_configENS1_35radix_sort_onesweep_config_selectorIhlEEZZNS1_29radix_sort_onesweep_iterationIS3_Lb0EPhS7_N6thrust23THRUST_200600_302600_NS10device_ptrIlEESB_jNS0_19identity_decomposerENS1_16block_id_wrapperIjLb0EEEEE10hipError_tT1_PNSt15iterator_traitsISG_E10value_typeET2_T3_PNSH_ISM_E10value_typeET4_T5_PSR_SS_PNS1_23onesweep_lookback_stateEbbT6_jjT7_P12ihipStream_tbENKUlT_T0_SG_SL_E_clIS7_S7_SB_PlEEDaSZ_S10_SG_SL_EUlSZ_E_NS1_11comp_targetILNS1_3genE3ELNS1_11target_archE908ELNS1_3gpuE7ELNS1_3repE0EEENS1_47radix_sort_onesweep_sort_config_static_selectorELNS0_4arch9wavefront6targetE1EEEvSG_
	.globl	_ZN7rocprim17ROCPRIM_400000_NS6detail17trampoline_kernelINS0_14default_configENS1_35radix_sort_onesweep_config_selectorIhlEEZZNS1_29radix_sort_onesweep_iterationIS3_Lb0EPhS7_N6thrust23THRUST_200600_302600_NS10device_ptrIlEESB_jNS0_19identity_decomposerENS1_16block_id_wrapperIjLb0EEEEE10hipError_tT1_PNSt15iterator_traitsISG_E10value_typeET2_T3_PNSH_ISM_E10value_typeET4_T5_PSR_SS_PNS1_23onesweep_lookback_stateEbbT6_jjT7_P12ihipStream_tbENKUlT_T0_SG_SL_E_clIS7_S7_SB_PlEEDaSZ_S10_SG_SL_EUlSZ_E_NS1_11comp_targetILNS1_3genE3ELNS1_11target_archE908ELNS1_3gpuE7ELNS1_3repE0EEENS1_47radix_sort_onesweep_sort_config_static_selectorELNS0_4arch9wavefront6targetE1EEEvSG_
	.p2align	8
	.type	_ZN7rocprim17ROCPRIM_400000_NS6detail17trampoline_kernelINS0_14default_configENS1_35radix_sort_onesweep_config_selectorIhlEEZZNS1_29radix_sort_onesweep_iterationIS3_Lb0EPhS7_N6thrust23THRUST_200600_302600_NS10device_ptrIlEESB_jNS0_19identity_decomposerENS1_16block_id_wrapperIjLb0EEEEE10hipError_tT1_PNSt15iterator_traitsISG_E10value_typeET2_T3_PNSH_ISM_E10value_typeET4_T5_PSR_SS_PNS1_23onesweep_lookback_stateEbbT6_jjT7_P12ihipStream_tbENKUlT_T0_SG_SL_E_clIS7_S7_SB_PlEEDaSZ_S10_SG_SL_EUlSZ_E_NS1_11comp_targetILNS1_3genE3ELNS1_11target_archE908ELNS1_3gpuE7ELNS1_3repE0EEENS1_47radix_sort_onesweep_sort_config_static_selectorELNS0_4arch9wavefront6targetE1EEEvSG_,@function
_ZN7rocprim17ROCPRIM_400000_NS6detail17trampoline_kernelINS0_14default_configENS1_35radix_sort_onesweep_config_selectorIhlEEZZNS1_29radix_sort_onesweep_iterationIS3_Lb0EPhS7_N6thrust23THRUST_200600_302600_NS10device_ptrIlEESB_jNS0_19identity_decomposerENS1_16block_id_wrapperIjLb0EEEEE10hipError_tT1_PNSt15iterator_traitsISG_E10value_typeET2_T3_PNSH_ISM_E10value_typeET4_T5_PSR_SS_PNS1_23onesweep_lookback_stateEbbT6_jjT7_P12ihipStream_tbENKUlT_T0_SG_SL_E_clIS7_S7_SB_PlEEDaSZ_S10_SG_SL_EUlSZ_E_NS1_11comp_targetILNS1_3genE3ELNS1_11target_archE908ELNS1_3gpuE7ELNS1_3repE0EEENS1_47radix_sort_onesweep_sort_config_static_selectorELNS0_4arch9wavefront6targetE1EEEvSG_: ; @_ZN7rocprim17ROCPRIM_400000_NS6detail17trampoline_kernelINS0_14default_configENS1_35radix_sort_onesweep_config_selectorIhlEEZZNS1_29radix_sort_onesweep_iterationIS3_Lb0EPhS7_N6thrust23THRUST_200600_302600_NS10device_ptrIlEESB_jNS0_19identity_decomposerENS1_16block_id_wrapperIjLb0EEEEE10hipError_tT1_PNSt15iterator_traitsISG_E10value_typeET2_T3_PNSH_ISM_E10value_typeET4_T5_PSR_SS_PNS1_23onesweep_lookback_stateEbbT6_jjT7_P12ihipStream_tbENKUlT_T0_SG_SL_E_clIS7_S7_SB_PlEEDaSZ_S10_SG_SL_EUlSZ_E_NS1_11comp_targetILNS1_3genE3ELNS1_11target_archE908ELNS1_3gpuE7ELNS1_3repE0EEENS1_47radix_sort_onesweep_sort_config_static_selectorELNS0_4arch9wavefront6targetE1EEEvSG_
; %bb.0:
	.section	.rodata,"a",@progbits
	.p2align	6, 0x0
	.amdhsa_kernel _ZN7rocprim17ROCPRIM_400000_NS6detail17trampoline_kernelINS0_14default_configENS1_35radix_sort_onesweep_config_selectorIhlEEZZNS1_29radix_sort_onesweep_iterationIS3_Lb0EPhS7_N6thrust23THRUST_200600_302600_NS10device_ptrIlEESB_jNS0_19identity_decomposerENS1_16block_id_wrapperIjLb0EEEEE10hipError_tT1_PNSt15iterator_traitsISG_E10value_typeET2_T3_PNSH_ISM_E10value_typeET4_T5_PSR_SS_PNS1_23onesweep_lookback_stateEbbT6_jjT7_P12ihipStream_tbENKUlT_T0_SG_SL_E_clIS7_S7_SB_PlEEDaSZ_S10_SG_SL_EUlSZ_E_NS1_11comp_targetILNS1_3genE3ELNS1_11target_archE908ELNS1_3gpuE7ELNS1_3repE0EEENS1_47radix_sort_onesweep_sort_config_static_selectorELNS0_4arch9wavefront6targetE1EEEvSG_
		.amdhsa_group_segment_fixed_size 0
		.amdhsa_private_segment_fixed_size 0
		.amdhsa_kernarg_size 88
		.amdhsa_user_sgpr_count 6
		.amdhsa_user_sgpr_private_segment_buffer 1
		.amdhsa_user_sgpr_dispatch_ptr 0
		.amdhsa_user_sgpr_queue_ptr 0
		.amdhsa_user_sgpr_kernarg_segment_ptr 1
		.amdhsa_user_sgpr_dispatch_id 0
		.amdhsa_user_sgpr_flat_scratch_init 0
		.amdhsa_user_sgpr_private_segment_size 0
		.amdhsa_uses_dynamic_stack 0
		.amdhsa_system_sgpr_private_segment_wavefront_offset 0
		.amdhsa_system_sgpr_workgroup_id_x 1
		.amdhsa_system_sgpr_workgroup_id_y 0
		.amdhsa_system_sgpr_workgroup_id_z 0
		.amdhsa_system_sgpr_workgroup_info 0
		.amdhsa_system_vgpr_workitem_id 0
		.amdhsa_next_free_vgpr 1
		.amdhsa_next_free_sgpr 0
		.amdhsa_reserve_vcc 0
		.amdhsa_reserve_flat_scratch 0
		.amdhsa_float_round_mode_32 0
		.amdhsa_float_round_mode_16_64 0
		.amdhsa_float_denorm_mode_32 3
		.amdhsa_float_denorm_mode_16_64 3
		.amdhsa_dx10_clamp 1
		.amdhsa_ieee_mode 1
		.amdhsa_fp16_overflow 0
		.amdhsa_exception_fp_ieee_invalid_op 0
		.amdhsa_exception_fp_denorm_src 0
		.amdhsa_exception_fp_ieee_div_zero 0
		.amdhsa_exception_fp_ieee_overflow 0
		.amdhsa_exception_fp_ieee_underflow 0
		.amdhsa_exception_fp_ieee_inexact 0
		.amdhsa_exception_int_div_zero 0
	.end_amdhsa_kernel
	.section	.text._ZN7rocprim17ROCPRIM_400000_NS6detail17trampoline_kernelINS0_14default_configENS1_35radix_sort_onesweep_config_selectorIhlEEZZNS1_29radix_sort_onesweep_iterationIS3_Lb0EPhS7_N6thrust23THRUST_200600_302600_NS10device_ptrIlEESB_jNS0_19identity_decomposerENS1_16block_id_wrapperIjLb0EEEEE10hipError_tT1_PNSt15iterator_traitsISG_E10value_typeET2_T3_PNSH_ISM_E10value_typeET4_T5_PSR_SS_PNS1_23onesweep_lookback_stateEbbT6_jjT7_P12ihipStream_tbENKUlT_T0_SG_SL_E_clIS7_S7_SB_PlEEDaSZ_S10_SG_SL_EUlSZ_E_NS1_11comp_targetILNS1_3genE3ELNS1_11target_archE908ELNS1_3gpuE7ELNS1_3repE0EEENS1_47radix_sort_onesweep_sort_config_static_selectorELNS0_4arch9wavefront6targetE1EEEvSG_,"axG",@progbits,_ZN7rocprim17ROCPRIM_400000_NS6detail17trampoline_kernelINS0_14default_configENS1_35radix_sort_onesweep_config_selectorIhlEEZZNS1_29radix_sort_onesweep_iterationIS3_Lb0EPhS7_N6thrust23THRUST_200600_302600_NS10device_ptrIlEESB_jNS0_19identity_decomposerENS1_16block_id_wrapperIjLb0EEEEE10hipError_tT1_PNSt15iterator_traitsISG_E10value_typeET2_T3_PNSH_ISM_E10value_typeET4_T5_PSR_SS_PNS1_23onesweep_lookback_stateEbbT6_jjT7_P12ihipStream_tbENKUlT_T0_SG_SL_E_clIS7_S7_SB_PlEEDaSZ_S10_SG_SL_EUlSZ_E_NS1_11comp_targetILNS1_3genE3ELNS1_11target_archE908ELNS1_3gpuE7ELNS1_3repE0EEENS1_47radix_sort_onesweep_sort_config_static_selectorELNS0_4arch9wavefront6targetE1EEEvSG_,comdat
.Lfunc_end305:
	.size	_ZN7rocprim17ROCPRIM_400000_NS6detail17trampoline_kernelINS0_14default_configENS1_35radix_sort_onesweep_config_selectorIhlEEZZNS1_29radix_sort_onesweep_iterationIS3_Lb0EPhS7_N6thrust23THRUST_200600_302600_NS10device_ptrIlEESB_jNS0_19identity_decomposerENS1_16block_id_wrapperIjLb0EEEEE10hipError_tT1_PNSt15iterator_traitsISG_E10value_typeET2_T3_PNSH_ISM_E10value_typeET4_T5_PSR_SS_PNS1_23onesweep_lookback_stateEbbT6_jjT7_P12ihipStream_tbENKUlT_T0_SG_SL_E_clIS7_S7_SB_PlEEDaSZ_S10_SG_SL_EUlSZ_E_NS1_11comp_targetILNS1_3genE3ELNS1_11target_archE908ELNS1_3gpuE7ELNS1_3repE0EEENS1_47radix_sort_onesweep_sort_config_static_selectorELNS0_4arch9wavefront6targetE1EEEvSG_, .Lfunc_end305-_ZN7rocprim17ROCPRIM_400000_NS6detail17trampoline_kernelINS0_14default_configENS1_35radix_sort_onesweep_config_selectorIhlEEZZNS1_29radix_sort_onesweep_iterationIS3_Lb0EPhS7_N6thrust23THRUST_200600_302600_NS10device_ptrIlEESB_jNS0_19identity_decomposerENS1_16block_id_wrapperIjLb0EEEEE10hipError_tT1_PNSt15iterator_traitsISG_E10value_typeET2_T3_PNSH_ISM_E10value_typeET4_T5_PSR_SS_PNS1_23onesweep_lookback_stateEbbT6_jjT7_P12ihipStream_tbENKUlT_T0_SG_SL_E_clIS7_S7_SB_PlEEDaSZ_S10_SG_SL_EUlSZ_E_NS1_11comp_targetILNS1_3genE3ELNS1_11target_archE908ELNS1_3gpuE7ELNS1_3repE0EEENS1_47radix_sort_onesweep_sort_config_static_selectorELNS0_4arch9wavefront6targetE1EEEvSG_
                                        ; -- End function
	.set _ZN7rocprim17ROCPRIM_400000_NS6detail17trampoline_kernelINS0_14default_configENS1_35radix_sort_onesweep_config_selectorIhlEEZZNS1_29radix_sort_onesweep_iterationIS3_Lb0EPhS7_N6thrust23THRUST_200600_302600_NS10device_ptrIlEESB_jNS0_19identity_decomposerENS1_16block_id_wrapperIjLb0EEEEE10hipError_tT1_PNSt15iterator_traitsISG_E10value_typeET2_T3_PNSH_ISM_E10value_typeET4_T5_PSR_SS_PNS1_23onesweep_lookback_stateEbbT6_jjT7_P12ihipStream_tbENKUlT_T0_SG_SL_E_clIS7_S7_SB_PlEEDaSZ_S10_SG_SL_EUlSZ_E_NS1_11comp_targetILNS1_3genE3ELNS1_11target_archE908ELNS1_3gpuE7ELNS1_3repE0EEENS1_47radix_sort_onesweep_sort_config_static_selectorELNS0_4arch9wavefront6targetE1EEEvSG_.num_vgpr, 0
	.set _ZN7rocprim17ROCPRIM_400000_NS6detail17trampoline_kernelINS0_14default_configENS1_35radix_sort_onesweep_config_selectorIhlEEZZNS1_29radix_sort_onesweep_iterationIS3_Lb0EPhS7_N6thrust23THRUST_200600_302600_NS10device_ptrIlEESB_jNS0_19identity_decomposerENS1_16block_id_wrapperIjLb0EEEEE10hipError_tT1_PNSt15iterator_traitsISG_E10value_typeET2_T3_PNSH_ISM_E10value_typeET4_T5_PSR_SS_PNS1_23onesweep_lookback_stateEbbT6_jjT7_P12ihipStream_tbENKUlT_T0_SG_SL_E_clIS7_S7_SB_PlEEDaSZ_S10_SG_SL_EUlSZ_E_NS1_11comp_targetILNS1_3genE3ELNS1_11target_archE908ELNS1_3gpuE7ELNS1_3repE0EEENS1_47radix_sort_onesweep_sort_config_static_selectorELNS0_4arch9wavefront6targetE1EEEvSG_.num_agpr, 0
	.set _ZN7rocprim17ROCPRIM_400000_NS6detail17trampoline_kernelINS0_14default_configENS1_35radix_sort_onesweep_config_selectorIhlEEZZNS1_29radix_sort_onesweep_iterationIS3_Lb0EPhS7_N6thrust23THRUST_200600_302600_NS10device_ptrIlEESB_jNS0_19identity_decomposerENS1_16block_id_wrapperIjLb0EEEEE10hipError_tT1_PNSt15iterator_traitsISG_E10value_typeET2_T3_PNSH_ISM_E10value_typeET4_T5_PSR_SS_PNS1_23onesweep_lookback_stateEbbT6_jjT7_P12ihipStream_tbENKUlT_T0_SG_SL_E_clIS7_S7_SB_PlEEDaSZ_S10_SG_SL_EUlSZ_E_NS1_11comp_targetILNS1_3genE3ELNS1_11target_archE908ELNS1_3gpuE7ELNS1_3repE0EEENS1_47radix_sort_onesweep_sort_config_static_selectorELNS0_4arch9wavefront6targetE1EEEvSG_.numbered_sgpr, 0
	.set _ZN7rocprim17ROCPRIM_400000_NS6detail17trampoline_kernelINS0_14default_configENS1_35radix_sort_onesweep_config_selectorIhlEEZZNS1_29radix_sort_onesweep_iterationIS3_Lb0EPhS7_N6thrust23THRUST_200600_302600_NS10device_ptrIlEESB_jNS0_19identity_decomposerENS1_16block_id_wrapperIjLb0EEEEE10hipError_tT1_PNSt15iterator_traitsISG_E10value_typeET2_T3_PNSH_ISM_E10value_typeET4_T5_PSR_SS_PNS1_23onesweep_lookback_stateEbbT6_jjT7_P12ihipStream_tbENKUlT_T0_SG_SL_E_clIS7_S7_SB_PlEEDaSZ_S10_SG_SL_EUlSZ_E_NS1_11comp_targetILNS1_3genE3ELNS1_11target_archE908ELNS1_3gpuE7ELNS1_3repE0EEENS1_47radix_sort_onesweep_sort_config_static_selectorELNS0_4arch9wavefront6targetE1EEEvSG_.num_named_barrier, 0
	.set _ZN7rocprim17ROCPRIM_400000_NS6detail17trampoline_kernelINS0_14default_configENS1_35radix_sort_onesweep_config_selectorIhlEEZZNS1_29radix_sort_onesweep_iterationIS3_Lb0EPhS7_N6thrust23THRUST_200600_302600_NS10device_ptrIlEESB_jNS0_19identity_decomposerENS1_16block_id_wrapperIjLb0EEEEE10hipError_tT1_PNSt15iterator_traitsISG_E10value_typeET2_T3_PNSH_ISM_E10value_typeET4_T5_PSR_SS_PNS1_23onesweep_lookback_stateEbbT6_jjT7_P12ihipStream_tbENKUlT_T0_SG_SL_E_clIS7_S7_SB_PlEEDaSZ_S10_SG_SL_EUlSZ_E_NS1_11comp_targetILNS1_3genE3ELNS1_11target_archE908ELNS1_3gpuE7ELNS1_3repE0EEENS1_47radix_sort_onesweep_sort_config_static_selectorELNS0_4arch9wavefront6targetE1EEEvSG_.private_seg_size, 0
	.set _ZN7rocprim17ROCPRIM_400000_NS6detail17trampoline_kernelINS0_14default_configENS1_35radix_sort_onesweep_config_selectorIhlEEZZNS1_29radix_sort_onesweep_iterationIS3_Lb0EPhS7_N6thrust23THRUST_200600_302600_NS10device_ptrIlEESB_jNS0_19identity_decomposerENS1_16block_id_wrapperIjLb0EEEEE10hipError_tT1_PNSt15iterator_traitsISG_E10value_typeET2_T3_PNSH_ISM_E10value_typeET4_T5_PSR_SS_PNS1_23onesweep_lookback_stateEbbT6_jjT7_P12ihipStream_tbENKUlT_T0_SG_SL_E_clIS7_S7_SB_PlEEDaSZ_S10_SG_SL_EUlSZ_E_NS1_11comp_targetILNS1_3genE3ELNS1_11target_archE908ELNS1_3gpuE7ELNS1_3repE0EEENS1_47radix_sort_onesweep_sort_config_static_selectorELNS0_4arch9wavefront6targetE1EEEvSG_.uses_vcc, 0
	.set _ZN7rocprim17ROCPRIM_400000_NS6detail17trampoline_kernelINS0_14default_configENS1_35radix_sort_onesweep_config_selectorIhlEEZZNS1_29radix_sort_onesweep_iterationIS3_Lb0EPhS7_N6thrust23THRUST_200600_302600_NS10device_ptrIlEESB_jNS0_19identity_decomposerENS1_16block_id_wrapperIjLb0EEEEE10hipError_tT1_PNSt15iterator_traitsISG_E10value_typeET2_T3_PNSH_ISM_E10value_typeET4_T5_PSR_SS_PNS1_23onesweep_lookback_stateEbbT6_jjT7_P12ihipStream_tbENKUlT_T0_SG_SL_E_clIS7_S7_SB_PlEEDaSZ_S10_SG_SL_EUlSZ_E_NS1_11comp_targetILNS1_3genE3ELNS1_11target_archE908ELNS1_3gpuE7ELNS1_3repE0EEENS1_47radix_sort_onesweep_sort_config_static_selectorELNS0_4arch9wavefront6targetE1EEEvSG_.uses_flat_scratch, 0
	.set _ZN7rocprim17ROCPRIM_400000_NS6detail17trampoline_kernelINS0_14default_configENS1_35radix_sort_onesweep_config_selectorIhlEEZZNS1_29radix_sort_onesweep_iterationIS3_Lb0EPhS7_N6thrust23THRUST_200600_302600_NS10device_ptrIlEESB_jNS0_19identity_decomposerENS1_16block_id_wrapperIjLb0EEEEE10hipError_tT1_PNSt15iterator_traitsISG_E10value_typeET2_T3_PNSH_ISM_E10value_typeET4_T5_PSR_SS_PNS1_23onesweep_lookback_stateEbbT6_jjT7_P12ihipStream_tbENKUlT_T0_SG_SL_E_clIS7_S7_SB_PlEEDaSZ_S10_SG_SL_EUlSZ_E_NS1_11comp_targetILNS1_3genE3ELNS1_11target_archE908ELNS1_3gpuE7ELNS1_3repE0EEENS1_47radix_sort_onesweep_sort_config_static_selectorELNS0_4arch9wavefront6targetE1EEEvSG_.has_dyn_sized_stack, 0
	.set _ZN7rocprim17ROCPRIM_400000_NS6detail17trampoline_kernelINS0_14default_configENS1_35radix_sort_onesweep_config_selectorIhlEEZZNS1_29radix_sort_onesweep_iterationIS3_Lb0EPhS7_N6thrust23THRUST_200600_302600_NS10device_ptrIlEESB_jNS0_19identity_decomposerENS1_16block_id_wrapperIjLb0EEEEE10hipError_tT1_PNSt15iterator_traitsISG_E10value_typeET2_T3_PNSH_ISM_E10value_typeET4_T5_PSR_SS_PNS1_23onesweep_lookback_stateEbbT6_jjT7_P12ihipStream_tbENKUlT_T0_SG_SL_E_clIS7_S7_SB_PlEEDaSZ_S10_SG_SL_EUlSZ_E_NS1_11comp_targetILNS1_3genE3ELNS1_11target_archE908ELNS1_3gpuE7ELNS1_3repE0EEENS1_47radix_sort_onesweep_sort_config_static_selectorELNS0_4arch9wavefront6targetE1EEEvSG_.has_recursion, 0
	.set _ZN7rocprim17ROCPRIM_400000_NS6detail17trampoline_kernelINS0_14default_configENS1_35radix_sort_onesweep_config_selectorIhlEEZZNS1_29radix_sort_onesweep_iterationIS3_Lb0EPhS7_N6thrust23THRUST_200600_302600_NS10device_ptrIlEESB_jNS0_19identity_decomposerENS1_16block_id_wrapperIjLb0EEEEE10hipError_tT1_PNSt15iterator_traitsISG_E10value_typeET2_T3_PNSH_ISM_E10value_typeET4_T5_PSR_SS_PNS1_23onesweep_lookback_stateEbbT6_jjT7_P12ihipStream_tbENKUlT_T0_SG_SL_E_clIS7_S7_SB_PlEEDaSZ_S10_SG_SL_EUlSZ_E_NS1_11comp_targetILNS1_3genE3ELNS1_11target_archE908ELNS1_3gpuE7ELNS1_3repE0EEENS1_47radix_sort_onesweep_sort_config_static_selectorELNS0_4arch9wavefront6targetE1EEEvSG_.has_indirect_call, 0
	.section	.AMDGPU.csdata,"",@progbits
; Kernel info:
; codeLenInByte = 0
; TotalNumSgprs: 4
; NumVgprs: 0
; ScratchSize: 0
; MemoryBound: 0
; FloatMode: 240
; IeeeMode: 1
; LDSByteSize: 0 bytes/workgroup (compile time only)
; SGPRBlocks: 0
; VGPRBlocks: 0
; NumSGPRsForWavesPerEU: 4
; NumVGPRsForWavesPerEU: 1
; Occupancy: 10
; WaveLimiterHint : 0
; COMPUTE_PGM_RSRC2:SCRATCH_EN: 0
; COMPUTE_PGM_RSRC2:USER_SGPR: 6
; COMPUTE_PGM_RSRC2:TRAP_HANDLER: 0
; COMPUTE_PGM_RSRC2:TGID_X_EN: 1
; COMPUTE_PGM_RSRC2:TGID_Y_EN: 0
; COMPUTE_PGM_RSRC2:TGID_Z_EN: 0
; COMPUTE_PGM_RSRC2:TIDIG_COMP_CNT: 0
	.section	.text._ZN7rocprim17ROCPRIM_400000_NS6detail17trampoline_kernelINS0_14default_configENS1_35radix_sort_onesweep_config_selectorIhlEEZZNS1_29radix_sort_onesweep_iterationIS3_Lb0EPhS7_N6thrust23THRUST_200600_302600_NS10device_ptrIlEESB_jNS0_19identity_decomposerENS1_16block_id_wrapperIjLb0EEEEE10hipError_tT1_PNSt15iterator_traitsISG_E10value_typeET2_T3_PNSH_ISM_E10value_typeET4_T5_PSR_SS_PNS1_23onesweep_lookback_stateEbbT6_jjT7_P12ihipStream_tbENKUlT_T0_SG_SL_E_clIS7_S7_SB_PlEEDaSZ_S10_SG_SL_EUlSZ_E_NS1_11comp_targetILNS1_3genE10ELNS1_11target_archE1201ELNS1_3gpuE5ELNS1_3repE0EEENS1_47radix_sort_onesweep_sort_config_static_selectorELNS0_4arch9wavefront6targetE1EEEvSG_,"axG",@progbits,_ZN7rocprim17ROCPRIM_400000_NS6detail17trampoline_kernelINS0_14default_configENS1_35radix_sort_onesweep_config_selectorIhlEEZZNS1_29radix_sort_onesweep_iterationIS3_Lb0EPhS7_N6thrust23THRUST_200600_302600_NS10device_ptrIlEESB_jNS0_19identity_decomposerENS1_16block_id_wrapperIjLb0EEEEE10hipError_tT1_PNSt15iterator_traitsISG_E10value_typeET2_T3_PNSH_ISM_E10value_typeET4_T5_PSR_SS_PNS1_23onesweep_lookback_stateEbbT6_jjT7_P12ihipStream_tbENKUlT_T0_SG_SL_E_clIS7_S7_SB_PlEEDaSZ_S10_SG_SL_EUlSZ_E_NS1_11comp_targetILNS1_3genE10ELNS1_11target_archE1201ELNS1_3gpuE5ELNS1_3repE0EEENS1_47radix_sort_onesweep_sort_config_static_selectorELNS0_4arch9wavefront6targetE1EEEvSG_,comdat
	.protected	_ZN7rocprim17ROCPRIM_400000_NS6detail17trampoline_kernelINS0_14default_configENS1_35radix_sort_onesweep_config_selectorIhlEEZZNS1_29radix_sort_onesweep_iterationIS3_Lb0EPhS7_N6thrust23THRUST_200600_302600_NS10device_ptrIlEESB_jNS0_19identity_decomposerENS1_16block_id_wrapperIjLb0EEEEE10hipError_tT1_PNSt15iterator_traitsISG_E10value_typeET2_T3_PNSH_ISM_E10value_typeET4_T5_PSR_SS_PNS1_23onesweep_lookback_stateEbbT6_jjT7_P12ihipStream_tbENKUlT_T0_SG_SL_E_clIS7_S7_SB_PlEEDaSZ_S10_SG_SL_EUlSZ_E_NS1_11comp_targetILNS1_3genE10ELNS1_11target_archE1201ELNS1_3gpuE5ELNS1_3repE0EEENS1_47radix_sort_onesweep_sort_config_static_selectorELNS0_4arch9wavefront6targetE1EEEvSG_ ; -- Begin function _ZN7rocprim17ROCPRIM_400000_NS6detail17trampoline_kernelINS0_14default_configENS1_35radix_sort_onesweep_config_selectorIhlEEZZNS1_29radix_sort_onesweep_iterationIS3_Lb0EPhS7_N6thrust23THRUST_200600_302600_NS10device_ptrIlEESB_jNS0_19identity_decomposerENS1_16block_id_wrapperIjLb0EEEEE10hipError_tT1_PNSt15iterator_traitsISG_E10value_typeET2_T3_PNSH_ISM_E10value_typeET4_T5_PSR_SS_PNS1_23onesweep_lookback_stateEbbT6_jjT7_P12ihipStream_tbENKUlT_T0_SG_SL_E_clIS7_S7_SB_PlEEDaSZ_S10_SG_SL_EUlSZ_E_NS1_11comp_targetILNS1_3genE10ELNS1_11target_archE1201ELNS1_3gpuE5ELNS1_3repE0EEENS1_47radix_sort_onesweep_sort_config_static_selectorELNS0_4arch9wavefront6targetE1EEEvSG_
	.globl	_ZN7rocprim17ROCPRIM_400000_NS6detail17trampoline_kernelINS0_14default_configENS1_35radix_sort_onesweep_config_selectorIhlEEZZNS1_29radix_sort_onesweep_iterationIS3_Lb0EPhS7_N6thrust23THRUST_200600_302600_NS10device_ptrIlEESB_jNS0_19identity_decomposerENS1_16block_id_wrapperIjLb0EEEEE10hipError_tT1_PNSt15iterator_traitsISG_E10value_typeET2_T3_PNSH_ISM_E10value_typeET4_T5_PSR_SS_PNS1_23onesweep_lookback_stateEbbT6_jjT7_P12ihipStream_tbENKUlT_T0_SG_SL_E_clIS7_S7_SB_PlEEDaSZ_S10_SG_SL_EUlSZ_E_NS1_11comp_targetILNS1_3genE10ELNS1_11target_archE1201ELNS1_3gpuE5ELNS1_3repE0EEENS1_47radix_sort_onesweep_sort_config_static_selectorELNS0_4arch9wavefront6targetE1EEEvSG_
	.p2align	8
	.type	_ZN7rocprim17ROCPRIM_400000_NS6detail17trampoline_kernelINS0_14default_configENS1_35radix_sort_onesweep_config_selectorIhlEEZZNS1_29radix_sort_onesweep_iterationIS3_Lb0EPhS7_N6thrust23THRUST_200600_302600_NS10device_ptrIlEESB_jNS0_19identity_decomposerENS1_16block_id_wrapperIjLb0EEEEE10hipError_tT1_PNSt15iterator_traitsISG_E10value_typeET2_T3_PNSH_ISM_E10value_typeET4_T5_PSR_SS_PNS1_23onesweep_lookback_stateEbbT6_jjT7_P12ihipStream_tbENKUlT_T0_SG_SL_E_clIS7_S7_SB_PlEEDaSZ_S10_SG_SL_EUlSZ_E_NS1_11comp_targetILNS1_3genE10ELNS1_11target_archE1201ELNS1_3gpuE5ELNS1_3repE0EEENS1_47radix_sort_onesweep_sort_config_static_selectorELNS0_4arch9wavefront6targetE1EEEvSG_,@function
_ZN7rocprim17ROCPRIM_400000_NS6detail17trampoline_kernelINS0_14default_configENS1_35radix_sort_onesweep_config_selectorIhlEEZZNS1_29radix_sort_onesweep_iterationIS3_Lb0EPhS7_N6thrust23THRUST_200600_302600_NS10device_ptrIlEESB_jNS0_19identity_decomposerENS1_16block_id_wrapperIjLb0EEEEE10hipError_tT1_PNSt15iterator_traitsISG_E10value_typeET2_T3_PNSH_ISM_E10value_typeET4_T5_PSR_SS_PNS1_23onesweep_lookback_stateEbbT6_jjT7_P12ihipStream_tbENKUlT_T0_SG_SL_E_clIS7_S7_SB_PlEEDaSZ_S10_SG_SL_EUlSZ_E_NS1_11comp_targetILNS1_3genE10ELNS1_11target_archE1201ELNS1_3gpuE5ELNS1_3repE0EEENS1_47radix_sort_onesweep_sort_config_static_selectorELNS0_4arch9wavefront6targetE1EEEvSG_: ; @_ZN7rocprim17ROCPRIM_400000_NS6detail17trampoline_kernelINS0_14default_configENS1_35radix_sort_onesweep_config_selectorIhlEEZZNS1_29radix_sort_onesweep_iterationIS3_Lb0EPhS7_N6thrust23THRUST_200600_302600_NS10device_ptrIlEESB_jNS0_19identity_decomposerENS1_16block_id_wrapperIjLb0EEEEE10hipError_tT1_PNSt15iterator_traitsISG_E10value_typeET2_T3_PNSH_ISM_E10value_typeET4_T5_PSR_SS_PNS1_23onesweep_lookback_stateEbbT6_jjT7_P12ihipStream_tbENKUlT_T0_SG_SL_E_clIS7_S7_SB_PlEEDaSZ_S10_SG_SL_EUlSZ_E_NS1_11comp_targetILNS1_3genE10ELNS1_11target_archE1201ELNS1_3gpuE5ELNS1_3repE0EEENS1_47radix_sort_onesweep_sort_config_static_selectorELNS0_4arch9wavefront6targetE1EEEvSG_
; %bb.0:
	.section	.rodata,"a",@progbits
	.p2align	6, 0x0
	.amdhsa_kernel _ZN7rocprim17ROCPRIM_400000_NS6detail17trampoline_kernelINS0_14default_configENS1_35radix_sort_onesweep_config_selectorIhlEEZZNS1_29radix_sort_onesweep_iterationIS3_Lb0EPhS7_N6thrust23THRUST_200600_302600_NS10device_ptrIlEESB_jNS0_19identity_decomposerENS1_16block_id_wrapperIjLb0EEEEE10hipError_tT1_PNSt15iterator_traitsISG_E10value_typeET2_T3_PNSH_ISM_E10value_typeET4_T5_PSR_SS_PNS1_23onesweep_lookback_stateEbbT6_jjT7_P12ihipStream_tbENKUlT_T0_SG_SL_E_clIS7_S7_SB_PlEEDaSZ_S10_SG_SL_EUlSZ_E_NS1_11comp_targetILNS1_3genE10ELNS1_11target_archE1201ELNS1_3gpuE5ELNS1_3repE0EEENS1_47radix_sort_onesweep_sort_config_static_selectorELNS0_4arch9wavefront6targetE1EEEvSG_
		.amdhsa_group_segment_fixed_size 0
		.amdhsa_private_segment_fixed_size 0
		.amdhsa_kernarg_size 88
		.amdhsa_user_sgpr_count 6
		.amdhsa_user_sgpr_private_segment_buffer 1
		.amdhsa_user_sgpr_dispatch_ptr 0
		.amdhsa_user_sgpr_queue_ptr 0
		.amdhsa_user_sgpr_kernarg_segment_ptr 1
		.amdhsa_user_sgpr_dispatch_id 0
		.amdhsa_user_sgpr_flat_scratch_init 0
		.amdhsa_user_sgpr_private_segment_size 0
		.amdhsa_uses_dynamic_stack 0
		.amdhsa_system_sgpr_private_segment_wavefront_offset 0
		.amdhsa_system_sgpr_workgroup_id_x 1
		.amdhsa_system_sgpr_workgroup_id_y 0
		.amdhsa_system_sgpr_workgroup_id_z 0
		.amdhsa_system_sgpr_workgroup_info 0
		.amdhsa_system_vgpr_workitem_id 0
		.amdhsa_next_free_vgpr 1
		.amdhsa_next_free_sgpr 0
		.amdhsa_reserve_vcc 0
		.amdhsa_reserve_flat_scratch 0
		.amdhsa_float_round_mode_32 0
		.amdhsa_float_round_mode_16_64 0
		.amdhsa_float_denorm_mode_32 3
		.amdhsa_float_denorm_mode_16_64 3
		.amdhsa_dx10_clamp 1
		.amdhsa_ieee_mode 1
		.amdhsa_fp16_overflow 0
		.amdhsa_exception_fp_ieee_invalid_op 0
		.amdhsa_exception_fp_denorm_src 0
		.amdhsa_exception_fp_ieee_div_zero 0
		.amdhsa_exception_fp_ieee_overflow 0
		.amdhsa_exception_fp_ieee_underflow 0
		.amdhsa_exception_fp_ieee_inexact 0
		.amdhsa_exception_int_div_zero 0
	.end_amdhsa_kernel
	.section	.text._ZN7rocprim17ROCPRIM_400000_NS6detail17trampoline_kernelINS0_14default_configENS1_35radix_sort_onesweep_config_selectorIhlEEZZNS1_29radix_sort_onesweep_iterationIS3_Lb0EPhS7_N6thrust23THRUST_200600_302600_NS10device_ptrIlEESB_jNS0_19identity_decomposerENS1_16block_id_wrapperIjLb0EEEEE10hipError_tT1_PNSt15iterator_traitsISG_E10value_typeET2_T3_PNSH_ISM_E10value_typeET4_T5_PSR_SS_PNS1_23onesweep_lookback_stateEbbT6_jjT7_P12ihipStream_tbENKUlT_T0_SG_SL_E_clIS7_S7_SB_PlEEDaSZ_S10_SG_SL_EUlSZ_E_NS1_11comp_targetILNS1_3genE10ELNS1_11target_archE1201ELNS1_3gpuE5ELNS1_3repE0EEENS1_47radix_sort_onesweep_sort_config_static_selectorELNS0_4arch9wavefront6targetE1EEEvSG_,"axG",@progbits,_ZN7rocprim17ROCPRIM_400000_NS6detail17trampoline_kernelINS0_14default_configENS1_35radix_sort_onesweep_config_selectorIhlEEZZNS1_29radix_sort_onesweep_iterationIS3_Lb0EPhS7_N6thrust23THRUST_200600_302600_NS10device_ptrIlEESB_jNS0_19identity_decomposerENS1_16block_id_wrapperIjLb0EEEEE10hipError_tT1_PNSt15iterator_traitsISG_E10value_typeET2_T3_PNSH_ISM_E10value_typeET4_T5_PSR_SS_PNS1_23onesweep_lookback_stateEbbT6_jjT7_P12ihipStream_tbENKUlT_T0_SG_SL_E_clIS7_S7_SB_PlEEDaSZ_S10_SG_SL_EUlSZ_E_NS1_11comp_targetILNS1_3genE10ELNS1_11target_archE1201ELNS1_3gpuE5ELNS1_3repE0EEENS1_47radix_sort_onesweep_sort_config_static_selectorELNS0_4arch9wavefront6targetE1EEEvSG_,comdat
.Lfunc_end306:
	.size	_ZN7rocprim17ROCPRIM_400000_NS6detail17trampoline_kernelINS0_14default_configENS1_35radix_sort_onesweep_config_selectorIhlEEZZNS1_29radix_sort_onesweep_iterationIS3_Lb0EPhS7_N6thrust23THRUST_200600_302600_NS10device_ptrIlEESB_jNS0_19identity_decomposerENS1_16block_id_wrapperIjLb0EEEEE10hipError_tT1_PNSt15iterator_traitsISG_E10value_typeET2_T3_PNSH_ISM_E10value_typeET4_T5_PSR_SS_PNS1_23onesweep_lookback_stateEbbT6_jjT7_P12ihipStream_tbENKUlT_T0_SG_SL_E_clIS7_S7_SB_PlEEDaSZ_S10_SG_SL_EUlSZ_E_NS1_11comp_targetILNS1_3genE10ELNS1_11target_archE1201ELNS1_3gpuE5ELNS1_3repE0EEENS1_47radix_sort_onesweep_sort_config_static_selectorELNS0_4arch9wavefront6targetE1EEEvSG_, .Lfunc_end306-_ZN7rocprim17ROCPRIM_400000_NS6detail17trampoline_kernelINS0_14default_configENS1_35radix_sort_onesweep_config_selectorIhlEEZZNS1_29radix_sort_onesweep_iterationIS3_Lb0EPhS7_N6thrust23THRUST_200600_302600_NS10device_ptrIlEESB_jNS0_19identity_decomposerENS1_16block_id_wrapperIjLb0EEEEE10hipError_tT1_PNSt15iterator_traitsISG_E10value_typeET2_T3_PNSH_ISM_E10value_typeET4_T5_PSR_SS_PNS1_23onesweep_lookback_stateEbbT6_jjT7_P12ihipStream_tbENKUlT_T0_SG_SL_E_clIS7_S7_SB_PlEEDaSZ_S10_SG_SL_EUlSZ_E_NS1_11comp_targetILNS1_3genE10ELNS1_11target_archE1201ELNS1_3gpuE5ELNS1_3repE0EEENS1_47radix_sort_onesweep_sort_config_static_selectorELNS0_4arch9wavefront6targetE1EEEvSG_
                                        ; -- End function
	.set _ZN7rocprim17ROCPRIM_400000_NS6detail17trampoline_kernelINS0_14default_configENS1_35radix_sort_onesweep_config_selectorIhlEEZZNS1_29radix_sort_onesweep_iterationIS3_Lb0EPhS7_N6thrust23THRUST_200600_302600_NS10device_ptrIlEESB_jNS0_19identity_decomposerENS1_16block_id_wrapperIjLb0EEEEE10hipError_tT1_PNSt15iterator_traitsISG_E10value_typeET2_T3_PNSH_ISM_E10value_typeET4_T5_PSR_SS_PNS1_23onesweep_lookback_stateEbbT6_jjT7_P12ihipStream_tbENKUlT_T0_SG_SL_E_clIS7_S7_SB_PlEEDaSZ_S10_SG_SL_EUlSZ_E_NS1_11comp_targetILNS1_3genE10ELNS1_11target_archE1201ELNS1_3gpuE5ELNS1_3repE0EEENS1_47radix_sort_onesweep_sort_config_static_selectorELNS0_4arch9wavefront6targetE1EEEvSG_.num_vgpr, 0
	.set _ZN7rocprim17ROCPRIM_400000_NS6detail17trampoline_kernelINS0_14default_configENS1_35radix_sort_onesweep_config_selectorIhlEEZZNS1_29radix_sort_onesweep_iterationIS3_Lb0EPhS7_N6thrust23THRUST_200600_302600_NS10device_ptrIlEESB_jNS0_19identity_decomposerENS1_16block_id_wrapperIjLb0EEEEE10hipError_tT1_PNSt15iterator_traitsISG_E10value_typeET2_T3_PNSH_ISM_E10value_typeET4_T5_PSR_SS_PNS1_23onesweep_lookback_stateEbbT6_jjT7_P12ihipStream_tbENKUlT_T0_SG_SL_E_clIS7_S7_SB_PlEEDaSZ_S10_SG_SL_EUlSZ_E_NS1_11comp_targetILNS1_3genE10ELNS1_11target_archE1201ELNS1_3gpuE5ELNS1_3repE0EEENS1_47radix_sort_onesweep_sort_config_static_selectorELNS0_4arch9wavefront6targetE1EEEvSG_.num_agpr, 0
	.set _ZN7rocprim17ROCPRIM_400000_NS6detail17trampoline_kernelINS0_14default_configENS1_35radix_sort_onesweep_config_selectorIhlEEZZNS1_29radix_sort_onesweep_iterationIS3_Lb0EPhS7_N6thrust23THRUST_200600_302600_NS10device_ptrIlEESB_jNS0_19identity_decomposerENS1_16block_id_wrapperIjLb0EEEEE10hipError_tT1_PNSt15iterator_traitsISG_E10value_typeET2_T3_PNSH_ISM_E10value_typeET4_T5_PSR_SS_PNS1_23onesweep_lookback_stateEbbT6_jjT7_P12ihipStream_tbENKUlT_T0_SG_SL_E_clIS7_S7_SB_PlEEDaSZ_S10_SG_SL_EUlSZ_E_NS1_11comp_targetILNS1_3genE10ELNS1_11target_archE1201ELNS1_3gpuE5ELNS1_3repE0EEENS1_47radix_sort_onesweep_sort_config_static_selectorELNS0_4arch9wavefront6targetE1EEEvSG_.numbered_sgpr, 0
	.set _ZN7rocprim17ROCPRIM_400000_NS6detail17trampoline_kernelINS0_14default_configENS1_35radix_sort_onesweep_config_selectorIhlEEZZNS1_29radix_sort_onesweep_iterationIS3_Lb0EPhS7_N6thrust23THRUST_200600_302600_NS10device_ptrIlEESB_jNS0_19identity_decomposerENS1_16block_id_wrapperIjLb0EEEEE10hipError_tT1_PNSt15iterator_traitsISG_E10value_typeET2_T3_PNSH_ISM_E10value_typeET4_T5_PSR_SS_PNS1_23onesweep_lookback_stateEbbT6_jjT7_P12ihipStream_tbENKUlT_T0_SG_SL_E_clIS7_S7_SB_PlEEDaSZ_S10_SG_SL_EUlSZ_E_NS1_11comp_targetILNS1_3genE10ELNS1_11target_archE1201ELNS1_3gpuE5ELNS1_3repE0EEENS1_47radix_sort_onesweep_sort_config_static_selectorELNS0_4arch9wavefront6targetE1EEEvSG_.num_named_barrier, 0
	.set _ZN7rocprim17ROCPRIM_400000_NS6detail17trampoline_kernelINS0_14default_configENS1_35radix_sort_onesweep_config_selectorIhlEEZZNS1_29radix_sort_onesweep_iterationIS3_Lb0EPhS7_N6thrust23THRUST_200600_302600_NS10device_ptrIlEESB_jNS0_19identity_decomposerENS1_16block_id_wrapperIjLb0EEEEE10hipError_tT1_PNSt15iterator_traitsISG_E10value_typeET2_T3_PNSH_ISM_E10value_typeET4_T5_PSR_SS_PNS1_23onesweep_lookback_stateEbbT6_jjT7_P12ihipStream_tbENKUlT_T0_SG_SL_E_clIS7_S7_SB_PlEEDaSZ_S10_SG_SL_EUlSZ_E_NS1_11comp_targetILNS1_3genE10ELNS1_11target_archE1201ELNS1_3gpuE5ELNS1_3repE0EEENS1_47radix_sort_onesweep_sort_config_static_selectorELNS0_4arch9wavefront6targetE1EEEvSG_.private_seg_size, 0
	.set _ZN7rocprim17ROCPRIM_400000_NS6detail17trampoline_kernelINS0_14default_configENS1_35radix_sort_onesweep_config_selectorIhlEEZZNS1_29radix_sort_onesweep_iterationIS3_Lb0EPhS7_N6thrust23THRUST_200600_302600_NS10device_ptrIlEESB_jNS0_19identity_decomposerENS1_16block_id_wrapperIjLb0EEEEE10hipError_tT1_PNSt15iterator_traitsISG_E10value_typeET2_T3_PNSH_ISM_E10value_typeET4_T5_PSR_SS_PNS1_23onesweep_lookback_stateEbbT6_jjT7_P12ihipStream_tbENKUlT_T0_SG_SL_E_clIS7_S7_SB_PlEEDaSZ_S10_SG_SL_EUlSZ_E_NS1_11comp_targetILNS1_3genE10ELNS1_11target_archE1201ELNS1_3gpuE5ELNS1_3repE0EEENS1_47radix_sort_onesweep_sort_config_static_selectorELNS0_4arch9wavefront6targetE1EEEvSG_.uses_vcc, 0
	.set _ZN7rocprim17ROCPRIM_400000_NS6detail17trampoline_kernelINS0_14default_configENS1_35radix_sort_onesweep_config_selectorIhlEEZZNS1_29radix_sort_onesweep_iterationIS3_Lb0EPhS7_N6thrust23THRUST_200600_302600_NS10device_ptrIlEESB_jNS0_19identity_decomposerENS1_16block_id_wrapperIjLb0EEEEE10hipError_tT1_PNSt15iterator_traitsISG_E10value_typeET2_T3_PNSH_ISM_E10value_typeET4_T5_PSR_SS_PNS1_23onesweep_lookback_stateEbbT6_jjT7_P12ihipStream_tbENKUlT_T0_SG_SL_E_clIS7_S7_SB_PlEEDaSZ_S10_SG_SL_EUlSZ_E_NS1_11comp_targetILNS1_3genE10ELNS1_11target_archE1201ELNS1_3gpuE5ELNS1_3repE0EEENS1_47radix_sort_onesweep_sort_config_static_selectorELNS0_4arch9wavefront6targetE1EEEvSG_.uses_flat_scratch, 0
	.set _ZN7rocprim17ROCPRIM_400000_NS6detail17trampoline_kernelINS0_14default_configENS1_35radix_sort_onesweep_config_selectorIhlEEZZNS1_29radix_sort_onesweep_iterationIS3_Lb0EPhS7_N6thrust23THRUST_200600_302600_NS10device_ptrIlEESB_jNS0_19identity_decomposerENS1_16block_id_wrapperIjLb0EEEEE10hipError_tT1_PNSt15iterator_traitsISG_E10value_typeET2_T3_PNSH_ISM_E10value_typeET4_T5_PSR_SS_PNS1_23onesweep_lookback_stateEbbT6_jjT7_P12ihipStream_tbENKUlT_T0_SG_SL_E_clIS7_S7_SB_PlEEDaSZ_S10_SG_SL_EUlSZ_E_NS1_11comp_targetILNS1_3genE10ELNS1_11target_archE1201ELNS1_3gpuE5ELNS1_3repE0EEENS1_47radix_sort_onesweep_sort_config_static_selectorELNS0_4arch9wavefront6targetE1EEEvSG_.has_dyn_sized_stack, 0
	.set _ZN7rocprim17ROCPRIM_400000_NS6detail17trampoline_kernelINS0_14default_configENS1_35radix_sort_onesweep_config_selectorIhlEEZZNS1_29radix_sort_onesweep_iterationIS3_Lb0EPhS7_N6thrust23THRUST_200600_302600_NS10device_ptrIlEESB_jNS0_19identity_decomposerENS1_16block_id_wrapperIjLb0EEEEE10hipError_tT1_PNSt15iterator_traitsISG_E10value_typeET2_T3_PNSH_ISM_E10value_typeET4_T5_PSR_SS_PNS1_23onesweep_lookback_stateEbbT6_jjT7_P12ihipStream_tbENKUlT_T0_SG_SL_E_clIS7_S7_SB_PlEEDaSZ_S10_SG_SL_EUlSZ_E_NS1_11comp_targetILNS1_3genE10ELNS1_11target_archE1201ELNS1_3gpuE5ELNS1_3repE0EEENS1_47radix_sort_onesweep_sort_config_static_selectorELNS0_4arch9wavefront6targetE1EEEvSG_.has_recursion, 0
	.set _ZN7rocprim17ROCPRIM_400000_NS6detail17trampoline_kernelINS0_14default_configENS1_35radix_sort_onesweep_config_selectorIhlEEZZNS1_29radix_sort_onesweep_iterationIS3_Lb0EPhS7_N6thrust23THRUST_200600_302600_NS10device_ptrIlEESB_jNS0_19identity_decomposerENS1_16block_id_wrapperIjLb0EEEEE10hipError_tT1_PNSt15iterator_traitsISG_E10value_typeET2_T3_PNSH_ISM_E10value_typeET4_T5_PSR_SS_PNS1_23onesweep_lookback_stateEbbT6_jjT7_P12ihipStream_tbENKUlT_T0_SG_SL_E_clIS7_S7_SB_PlEEDaSZ_S10_SG_SL_EUlSZ_E_NS1_11comp_targetILNS1_3genE10ELNS1_11target_archE1201ELNS1_3gpuE5ELNS1_3repE0EEENS1_47radix_sort_onesweep_sort_config_static_selectorELNS0_4arch9wavefront6targetE1EEEvSG_.has_indirect_call, 0
	.section	.AMDGPU.csdata,"",@progbits
; Kernel info:
; codeLenInByte = 0
; TotalNumSgprs: 4
; NumVgprs: 0
; ScratchSize: 0
; MemoryBound: 0
; FloatMode: 240
; IeeeMode: 1
; LDSByteSize: 0 bytes/workgroup (compile time only)
; SGPRBlocks: 0
; VGPRBlocks: 0
; NumSGPRsForWavesPerEU: 4
; NumVGPRsForWavesPerEU: 1
; Occupancy: 10
; WaveLimiterHint : 0
; COMPUTE_PGM_RSRC2:SCRATCH_EN: 0
; COMPUTE_PGM_RSRC2:USER_SGPR: 6
; COMPUTE_PGM_RSRC2:TRAP_HANDLER: 0
; COMPUTE_PGM_RSRC2:TGID_X_EN: 1
; COMPUTE_PGM_RSRC2:TGID_Y_EN: 0
; COMPUTE_PGM_RSRC2:TGID_Z_EN: 0
; COMPUTE_PGM_RSRC2:TIDIG_COMP_CNT: 0
	.section	.text._ZN7rocprim17ROCPRIM_400000_NS6detail17trampoline_kernelINS0_14default_configENS1_35radix_sort_onesweep_config_selectorIhlEEZZNS1_29radix_sort_onesweep_iterationIS3_Lb0EPhS7_N6thrust23THRUST_200600_302600_NS10device_ptrIlEESB_jNS0_19identity_decomposerENS1_16block_id_wrapperIjLb0EEEEE10hipError_tT1_PNSt15iterator_traitsISG_E10value_typeET2_T3_PNSH_ISM_E10value_typeET4_T5_PSR_SS_PNS1_23onesweep_lookback_stateEbbT6_jjT7_P12ihipStream_tbENKUlT_T0_SG_SL_E_clIS7_S7_SB_PlEEDaSZ_S10_SG_SL_EUlSZ_E_NS1_11comp_targetILNS1_3genE9ELNS1_11target_archE1100ELNS1_3gpuE3ELNS1_3repE0EEENS1_47radix_sort_onesweep_sort_config_static_selectorELNS0_4arch9wavefront6targetE1EEEvSG_,"axG",@progbits,_ZN7rocprim17ROCPRIM_400000_NS6detail17trampoline_kernelINS0_14default_configENS1_35radix_sort_onesweep_config_selectorIhlEEZZNS1_29radix_sort_onesweep_iterationIS3_Lb0EPhS7_N6thrust23THRUST_200600_302600_NS10device_ptrIlEESB_jNS0_19identity_decomposerENS1_16block_id_wrapperIjLb0EEEEE10hipError_tT1_PNSt15iterator_traitsISG_E10value_typeET2_T3_PNSH_ISM_E10value_typeET4_T5_PSR_SS_PNS1_23onesweep_lookback_stateEbbT6_jjT7_P12ihipStream_tbENKUlT_T0_SG_SL_E_clIS7_S7_SB_PlEEDaSZ_S10_SG_SL_EUlSZ_E_NS1_11comp_targetILNS1_3genE9ELNS1_11target_archE1100ELNS1_3gpuE3ELNS1_3repE0EEENS1_47radix_sort_onesweep_sort_config_static_selectorELNS0_4arch9wavefront6targetE1EEEvSG_,comdat
	.protected	_ZN7rocprim17ROCPRIM_400000_NS6detail17trampoline_kernelINS0_14default_configENS1_35radix_sort_onesweep_config_selectorIhlEEZZNS1_29radix_sort_onesweep_iterationIS3_Lb0EPhS7_N6thrust23THRUST_200600_302600_NS10device_ptrIlEESB_jNS0_19identity_decomposerENS1_16block_id_wrapperIjLb0EEEEE10hipError_tT1_PNSt15iterator_traitsISG_E10value_typeET2_T3_PNSH_ISM_E10value_typeET4_T5_PSR_SS_PNS1_23onesweep_lookback_stateEbbT6_jjT7_P12ihipStream_tbENKUlT_T0_SG_SL_E_clIS7_S7_SB_PlEEDaSZ_S10_SG_SL_EUlSZ_E_NS1_11comp_targetILNS1_3genE9ELNS1_11target_archE1100ELNS1_3gpuE3ELNS1_3repE0EEENS1_47radix_sort_onesweep_sort_config_static_selectorELNS0_4arch9wavefront6targetE1EEEvSG_ ; -- Begin function _ZN7rocprim17ROCPRIM_400000_NS6detail17trampoline_kernelINS0_14default_configENS1_35radix_sort_onesweep_config_selectorIhlEEZZNS1_29radix_sort_onesweep_iterationIS3_Lb0EPhS7_N6thrust23THRUST_200600_302600_NS10device_ptrIlEESB_jNS0_19identity_decomposerENS1_16block_id_wrapperIjLb0EEEEE10hipError_tT1_PNSt15iterator_traitsISG_E10value_typeET2_T3_PNSH_ISM_E10value_typeET4_T5_PSR_SS_PNS1_23onesweep_lookback_stateEbbT6_jjT7_P12ihipStream_tbENKUlT_T0_SG_SL_E_clIS7_S7_SB_PlEEDaSZ_S10_SG_SL_EUlSZ_E_NS1_11comp_targetILNS1_3genE9ELNS1_11target_archE1100ELNS1_3gpuE3ELNS1_3repE0EEENS1_47radix_sort_onesweep_sort_config_static_selectorELNS0_4arch9wavefront6targetE1EEEvSG_
	.globl	_ZN7rocprim17ROCPRIM_400000_NS6detail17trampoline_kernelINS0_14default_configENS1_35radix_sort_onesweep_config_selectorIhlEEZZNS1_29radix_sort_onesweep_iterationIS3_Lb0EPhS7_N6thrust23THRUST_200600_302600_NS10device_ptrIlEESB_jNS0_19identity_decomposerENS1_16block_id_wrapperIjLb0EEEEE10hipError_tT1_PNSt15iterator_traitsISG_E10value_typeET2_T3_PNSH_ISM_E10value_typeET4_T5_PSR_SS_PNS1_23onesweep_lookback_stateEbbT6_jjT7_P12ihipStream_tbENKUlT_T0_SG_SL_E_clIS7_S7_SB_PlEEDaSZ_S10_SG_SL_EUlSZ_E_NS1_11comp_targetILNS1_3genE9ELNS1_11target_archE1100ELNS1_3gpuE3ELNS1_3repE0EEENS1_47radix_sort_onesweep_sort_config_static_selectorELNS0_4arch9wavefront6targetE1EEEvSG_
	.p2align	8
	.type	_ZN7rocprim17ROCPRIM_400000_NS6detail17trampoline_kernelINS0_14default_configENS1_35radix_sort_onesweep_config_selectorIhlEEZZNS1_29radix_sort_onesweep_iterationIS3_Lb0EPhS7_N6thrust23THRUST_200600_302600_NS10device_ptrIlEESB_jNS0_19identity_decomposerENS1_16block_id_wrapperIjLb0EEEEE10hipError_tT1_PNSt15iterator_traitsISG_E10value_typeET2_T3_PNSH_ISM_E10value_typeET4_T5_PSR_SS_PNS1_23onesweep_lookback_stateEbbT6_jjT7_P12ihipStream_tbENKUlT_T0_SG_SL_E_clIS7_S7_SB_PlEEDaSZ_S10_SG_SL_EUlSZ_E_NS1_11comp_targetILNS1_3genE9ELNS1_11target_archE1100ELNS1_3gpuE3ELNS1_3repE0EEENS1_47radix_sort_onesweep_sort_config_static_selectorELNS0_4arch9wavefront6targetE1EEEvSG_,@function
_ZN7rocprim17ROCPRIM_400000_NS6detail17trampoline_kernelINS0_14default_configENS1_35radix_sort_onesweep_config_selectorIhlEEZZNS1_29radix_sort_onesweep_iterationIS3_Lb0EPhS7_N6thrust23THRUST_200600_302600_NS10device_ptrIlEESB_jNS0_19identity_decomposerENS1_16block_id_wrapperIjLb0EEEEE10hipError_tT1_PNSt15iterator_traitsISG_E10value_typeET2_T3_PNSH_ISM_E10value_typeET4_T5_PSR_SS_PNS1_23onesweep_lookback_stateEbbT6_jjT7_P12ihipStream_tbENKUlT_T0_SG_SL_E_clIS7_S7_SB_PlEEDaSZ_S10_SG_SL_EUlSZ_E_NS1_11comp_targetILNS1_3genE9ELNS1_11target_archE1100ELNS1_3gpuE3ELNS1_3repE0EEENS1_47radix_sort_onesweep_sort_config_static_selectorELNS0_4arch9wavefront6targetE1EEEvSG_: ; @_ZN7rocprim17ROCPRIM_400000_NS6detail17trampoline_kernelINS0_14default_configENS1_35radix_sort_onesweep_config_selectorIhlEEZZNS1_29radix_sort_onesweep_iterationIS3_Lb0EPhS7_N6thrust23THRUST_200600_302600_NS10device_ptrIlEESB_jNS0_19identity_decomposerENS1_16block_id_wrapperIjLb0EEEEE10hipError_tT1_PNSt15iterator_traitsISG_E10value_typeET2_T3_PNSH_ISM_E10value_typeET4_T5_PSR_SS_PNS1_23onesweep_lookback_stateEbbT6_jjT7_P12ihipStream_tbENKUlT_T0_SG_SL_E_clIS7_S7_SB_PlEEDaSZ_S10_SG_SL_EUlSZ_E_NS1_11comp_targetILNS1_3genE9ELNS1_11target_archE1100ELNS1_3gpuE3ELNS1_3repE0EEENS1_47radix_sort_onesweep_sort_config_static_selectorELNS0_4arch9wavefront6targetE1EEEvSG_
; %bb.0:
	.section	.rodata,"a",@progbits
	.p2align	6, 0x0
	.amdhsa_kernel _ZN7rocprim17ROCPRIM_400000_NS6detail17trampoline_kernelINS0_14default_configENS1_35radix_sort_onesweep_config_selectorIhlEEZZNS1_29radix_sort_onesweep_iterationIS3_Lb0EPhS7_N6thrust23THRUST_200600_302600_NS10device_ptrIlEESB_jNS0_19identity_decomposerENS1_16block_id_wrapperIjLb0EEEEE10hipError_tT1_PNSt15iterator_traitsISG_E10value_typeET2_T3_PNSH_ISM_E10value_typeET4_T5_PSR_SS_PNS1_23onesweep_lookback_stateEbbT6_jjT7_P12ihipStream_tbENKUlT_T0_SG_SL_E_clIS7_S7_SB_PlEEDaSZ_S10_SG_SL_EUlSZ_E_NS1_11comp_targetILNS1_3genE9ELNS1_11target_archE1100ELNS1_3gpuE3ELNS1_3repE0EEENS1_47radix_sort_onesweep_sort_config_static_selectorELNS0_4arch9wavefront6targetE1EEEvSG_
		.amdhsa_group_segment_fixed_size 0
		.amdhsa_private_segment_fixed_size 0
		.amdhsa_kernarg_size 88
		.amdhsa_user_sgpr_count 6
		.amdhsa_user_sgpr_private_segment_buffer 1
		.amdhsa_user_sgpr_dispatch_ptr 0
		.amdhsa_user_sgpr_queue_ptr 0
		.amdhsa_user_sgpr_kernarg_segment_ptr 1
		.amdhsa_user_sgpr_dispatch_id 0
		.amdhsa_user_sgpr_flat_scratch_init 0
		.amdhsa_user_sgpr_private_segment_size 0
		.amdhsa_uses_dynamic_stack 0
		.amdhsa_system_sgpr_private_segment_wavefront_offset 0
		.amdhsa_system_sgpr_workgroup_id_x 1
		.amdhsa_system_sgpr_workgroup_id_y 0
		.amdhsa_system_sgpr_workgroup_id_z 0
		.amdhsa_system_sgpr_workgroup_info 0
		.amdhsa_system_vgpr_workitem_id 0
		.amdhsa_next_free_vgpr 1
		.amdhsa_next_free_sgpr 0
		.amdhsa_reserve_vcc 0
		.amdhsa_reserve_flat_scratch 0
		.amdhsa_float_round_mode_32 0
		.amdhsa_float_round_mode_16_64 0
		.amdhsa_float_denorm_mode_32 3
		.amdhsa_float_denorm_mode_16_64 3
		.amdhsa_dx10_clamp 1
		.amdhsa_ieee_mode 1
		.amdhsa_fp16_overflow 0
		.amdhsa_exception_fp_ieee_invalid_op 0
		.amdhsa_exception_fp_denorm_src 0
		.amdhsa_exception_fp_ieee_div_zero 0
		.amdhsa_exception_fp_ieee_overflow 0
		.amdhsa_exception_fp_ieee_underflow 0
		.amdhsa_exception_fp_ieee_inexact 0
		.amdhsa_exception_int_div_zero 0
	.end_amdhsa_kernel
	.section	.text._ZN7rocprim17ROCPRIM_400000_NS6detail17trampoline_kernelINS0_14default_configENS1_35radix_sort_onesweep_config_selectorIhlEEZZNS1_29radix_sort_onesweep_iterationIS3_Lb0EPhS7_N6thrust23THRUST_200600_302600_NS10device_ptrIlEESB_jNS0_19identity_decomposerENS1_16block_id_wrapperIjLb0EEEEE10hipError_tT1_PNSt15iterator_traitsISG_E10value_typeET2_T3_PNSH_ISM_E10value_typeET4_T5_PSR_SS_PNS1_23onesweep_lookback_stateEbbT6_jjT7_P12ihipStream_tbENKUlT_T0_SG_SL_E_clIS7_S7_SB_PlEEDaSZ_S10_SG_SL_EUlSZ_E_NS1_11comp_targetILNS1_3genE9ELNS1_11target_archE1100ELNS1_3gpuE3ELNS1_3repE0EEENS1_47radix_sort_onesweep_sort_config_static_selectorELNS0_4arch9wavefront6targetE1EEEvSG_,"axG",@progbits,_ZN7rocprim17ROCPRIM_400000_NS6detail17trampoline_kernelINS0_14default_configENS1_35radix_sort_onesweep_config_selectorIhlEEZZNS1_29radix_sort_onesweep_iterationIS3_Lb0EPhS7_N6thrust23THRUST_200600_302600_NS10device_ptrIlEESB_jNS0_19identity_decomposerENS1_16block_id_wrapperIjLb0EEEEE10hipError_tT1_PNSt15iterator_traitsISG_E10value_typeET2_T3_PNSH_ISM_E10value_typeET4_T5_PSR_SS_PNS1_23onesweep_lookback_stateEbbT6_jjT7_P12ihipStream_tbENKUlT_T0_SG_SL_E_clIS7_S7_SB_PlEEDaSZ_S10_SG_SL_EUlSZ_E_NS1_11comp_targetILNS1_3genE9ELNS1_11target_archE1100ELNS1_3gpuE3ELNS1_3repE0EEENS1_47radix_sort_onesweep_sort_config_static_selectorELNS0_4arch9wavefront6targetE1EEEvSG_,comdat
.Lfunc_end307:
	.size	_ZN7rocprim17ROCPRIM_400000_NS6detail17trampoline_kernelINS0_14default_configENS1_35radix_sort_onesweep_config_selectorIhlEEZZNS1_29radix_sort_onesweep_iterationIS3_Lb0EPhS7_N6thrust23THRUST_200600_302600_NS10device_ptrIlEESB_jNS0_19identity_decomposerENS1_16block_id_wrapperIjLb0EEEEE10hipError_tT1_PNSt15iterator_traitsISG_E10value_typeET2_T3_PNSH_ISM_E10value_typeET4_T5_PSR_SS_PNS1_23onesweep_lookback_stateEbbT6_jjT7_P12ihipStream_tbENKUlT_T0_SG_SL_E_clIS7_S7_SB_PlEEDaSZ_S10_SG_SL_EUlSZ_E_NS1_11comp_targetILNS1_3genE9ELNS1_11target_archE1100ELNS1_3gpuE3ELNS1_3repE0EEENS1_47radix_sort_onesweep_sort_config_static_selectorELNS0_4arch9wavefront6targetE1EEEvSG_, .Lfunc_end307-_ZN7rocprim17ROCPRIM_400000_NS6detail17trampoline_kernelINS0_14default_configENS1_35radix_sort_onesweep_config_selectorIhlEEZZNS1_29radix_sort_onesweep_iterationIS3_Lb0EPhS7_N6thrust23THRUST_200600_302600_NS10device_ptrIlEESB_jNS0_19identity_decomposerENS1_16block_id_wrapperIjLb0EEEEE10hipError_tT1_PNSt15iterator_traitsISG_E10value_typeET2_T3_PNSH_ISM_E10value_typeET4_T5_PSR_SS_PNS1_23onesweep_lookback_stateEbbT6_jjT7_P12ihipStream_tbENKUlT_T0_SG_SL_E_clIS7_S7_SB_PlEEDaSZ_S10_SG_SL_EUlSZ_E_NS1_11comp_targetILNS1_3genE9ELNS1_11target_archE1100ELNS1_3gpuE3ELNS1_3repE0EEENS1_47radix_sort_onesweep_sort_config_static_selectorELNS0_4arch9wavefront6targetE1EEEvSG_
                                        ; -- End function
	.set _ZN7rocprim17ROCPRIM_400000_NS6detail17trampoline_kernelINS0_14default_configENS1_35radix_sort_onesweep_config_selectorIhlEEZZNS1_29radix_sort_onesweep_iterationIS3_Lb0EPhS7_N6thrust23THRUST_200600_302600_NS10device_ptrIlEESB_jNS0_19identity_decomposerENS1_16block_id_wrapperIjLb0EEEEE10hipError_tT1_PNSt15iterator_traitsISG_E10value_typeET2_T3_PNSH_ISM_E10value_typeET4_T5_PSR_SS_PNS1_23onesweep_lookback_stateEbbT6_jjT7_P12ihipStream_tbENKUlT_T0_SG_SL_E_clIS7_S7_SB_PlEEDaSZ_S10_SG_SL_EUlSZ_E_NS1_11comp_targetILNS1_3genE9ELNS1_11target_archE1100ELNS1_3gpuE3ELNS1_3repE0EEENS1_47radix_sort_onesweep_sort_config_static_selectorELNS0_4arch9wavefront6targetE1EEEvSG_.num_vgpr, 0
	.set _ZN7rocprim17ROCPRIM_400000_NS6detail17trampoline_kernelINS0_14default_configENS1_35radix_sort_onesweep_config_selectorIhlEEZZNS1_29radix_sort_onesweep_iterationIS3_Lb0EPhS7_N6thrust23THRUST_200600_302600_NS10device_ptrIlEESB_jNS0_19identity_decomposerENS1_16block_id_wrapperIjLb0EEEEE10hipError_tT1_PNSt15iterator_traitsISG_E10value_typeET2_T3_PNSH_ISM_E10value_typeET4_T5_PSR_SS_PNS1_23onesweep_lookback_stateEbbT6_jjT7_P12ihipStream_tbENKUlT_T0_SG_SL_E_clIS7_S7_SB_PlEEDaSZ_S10_SG_SL_EUlSZ_E_NS1_11comp_targetILNS1_3genE9ELNS1_11target_archE1100ELNS1_3gpuE3ELNS1_3repE0EEENS1_47radix_sort_onesweep_sort_config_static_selectorELNS0_4arch9wavefront6targetE1EEEvSG_.num_agpr, 0
	.set _ZN7rocprim17ROCPRIM_400000_NS6detail17trampoline_kernelINS0_14default_configENS1_35radix_sort_onesweep_config_selectorIhlEEZZNS1_29radix_sort_onesweep_iterationIS3_Lb0EPhS7_N6thrust23THRUST_200600_302600_NS10device_ptrIlEESB_jNS0_19identity_decomposerENS1_16block_id_wrapperIjLb0EEEEE10hipError_tT1_PNSt15iterator_traitsISG_E10value_typeET2_T3_PNSH_ISM_E10value_typeET4_T5_PSR_SS_PNS1_23onesweep_lookback_stateEbbT6_jjT7_P12ihipStream_tbENKUlT_T0_SG_SL_E_clIS7_S7_SB_PlEEDaSZ_S10_SG_SL_EUlSZ_E_NS1_11comp_targetILNS1_3genE9ELNS1_11target_archE1100ELNS1_3gpuE3ELNS1_3repE0EEENS1_47radix_sort_onesweep_sort_config_static_selectorELNS0_4arch9wavefront6targetE1EEEvSG_.numbered_sgpr, 0
	.set _ZN7rocprim17ROCPRIM_400000_NS6detail17trampoline_kernelINS0_14default_configENS1_35radix_sort_onesweep_config_selectorIhlEEZZNS1_29radix_sort_onesweep_iterationIS3_Lb0EPhS7_N6thrust23THRUST_200600_302600_NS10device_ptrIlEESB_jNS0_19identity_decomposerENS1_16block_id_wrapperIjLb0EEEEE10hipError_tT1_PNSt15iterator_traitsISG_E10value_typeET2_T3_PNSH_ISM_E10value_typeET4_T5_PSR_SS_PNS1_23onesweep_lookback_stateEbbT6_jjT7_P12ihipStream_tbENKUlT_T0_SG_SL_E_clIS7_S7_SB_PlEEDaSZ_S10_SG_SL_EUlSZ_E_NS1_11comp_targetILNS1_3genE9ELNS1_11target_archE1100ELNS1_3gpuE3ELNS1_3repE0EEENS1_47radix_sort_onesweep_sort_config_static_selectorELNS0_4arch9wavefront6targetE1EEEvSG_.num_named_barrier, 0
	.set _ZN7rocprim17ROCPRIM_400000_NS6detail17trampoline_kernelINS0_14default_configENS1_35radix_sort_onesweep_config_selectorIhlEEZZNS1_29radix_sort_onesweep_iterationIS3_Lb0EPhS7_N6thrust23THRUST_200600_302600_NS10device_ptrIlEESB_jNS0_19identity_decomposerENS1_16block_id_wrapperIjLb0EEEEE10hipError_tT1_PNSt15iterator_traitsISG_E10value_typeET2_T3_PNSH_ISM_E10value_typeET4_T5_PSR_SS_PNS1_23onesweep_lookback_stateEbbT6_jjT7_P12ihipStream_tbENKUlT_T0_SG_SL_E_clIS7_S7_SB_PlEEDaSZ_S10_SG_SL_EUlSZ_E_NS1_11comp_targetILNS1_3genE9ELNS1_11target_archE1100ELNS1_3gpuE3ELNS1_3repE0EEENS1_47radix_sort_onesweep_sort_config_static_selectorELNS0_4arch9wavefront6targetE1EEEvSG_.private_seg_size, 0
	.set _ZN7rocprim17ROCPRIM_400000_NS6detail17trampoline_kernelINS0_14default_configENS1_35radix_sort_onesweep_config_selectorIhlEEZZNS1_29radix_sort_onesweep_iterationIS3_Lb0EPhS7_N6thrust23THRUST_200600_302600_NS10device_ptrIlEESB_jNS0_19identity_decomposerENS1_16block_id_wrapperIjLb0EEEEE10hipError_tT1_PNSt15iterator_traitsISG_E10value_typeET2_T3_PNSH_ISM_E10value_typeET4_T5_PSR_SS_PNS1_23onesweep_lookback_stateEbbT6_jjT7_P12ihipStream_tbENKUlT_T0_SG_SL_E_clIS7_S7_SB_PlEEDaSZ_S10_SG_SL_EUlSZ_E_NS1_11comp_targetILNS1_3genE9ELNS1_11target_archE1100ELNS1_3gpuE3ELNS1_3repE0EEENS1_47radix_sort_onesweep_sort_config_static_selectorELNS0_4arch9wavefront6targetE1EEEvSG_.uses_vcc, 0
	.set _ZN7rocprim17ROCPRIM_400000_NS6detail17trampoline_kernelINS0_14default_configENS1_35radix_sort_onesweep_config_selectorIhlEEZZNS1_29radix_sort_onesweep_iterationIS3_Lb0EPhS7_N6thrust23THRUST_200600_302600_NS10device_ptrIlEESB_jNS0_19identity_decomposerENS1_16block_id_wrapperIjLb0EEEEE10hipError_tT1_PNSt15iterator_traitsISG_E10value_typeET2_T3_PNSH_ISM_E10value_typeET4_T5_PSR_SS_PNS1_23onesweep_lookback_stateEbbT6_jjT7_P12ihipStream_tbENKUlT_T0_SG_SL_E_clIS7_S7_SB_PlEEDaSZ_S10_SG_SL_EUlSZ_E_NS1_11comp_targetILNS1_3genE9ELNS1_11target_archE1100ELNS1_3gpuE3ELNS1_3repE0EEENS1_47radix_sort_onesweep_sort_config_static_selectorELNS0_4arch9wavefront6targetE1EEEvSG_.uses_flat_scratch, 0
	.set _ZN7rocprim17ROCPRIM_400000_NS6detail17trampoline_kernelINS0_14default_configENS1_35radix_sort_onesweep_config_selectorIhlEEZZNS1_29radix_sort_onesweep_iterationIS3_Lb0EPhS7_N6thrust23THRUST_200600_302600_NS10device_ptrIlEESB_jNS0_19identity_decomposerENS1_16block_id_wrapperIjLb0EEEEE10hipError_tT1_PNSt15iterator_traitsISG_E10value_typeET2_T3_PNSH_ISM_E10value_typeET4_T5_PSR_SS_PNS1_23onesweep_lookback_stateEbbT6_jjT7_P12ihipStream_tbENKUlT_T0_SG_SL_E_clIS7_S7_SB_PlEEDaSZ_S10_SG_SL_EUlSZ_E_NS1_11comp_targetILNS1_3genE9ELNS1_11target_archE1100ELNS1_3gpuE3ELNS1_3repE0EEENS1_47radix_sort_onesweep_sort_config_static_selectorELNS0_4arch9wavefront6targetE1EEEvSG_.has_dyn_sized_stack, 0
	.set _ZN7rocprim17ROCPRIM_400000_NS6detail17trampoline_kernelINS0_14default_configENS1_35radix_sort_onesweep_config_selectorIhlEEZZNS1_29radix_sort_onesweep_iterationIS3_Lb0EPhS7_N6thrust23THRUST_200600_302600_NS10device_ptrIlEESB_jNS0_19identity_decomposerENS1_16block_id_wrapperIjLb0EEEEE10hipError_tT1_PNSt15iterator_traitsISG_E10value_typeET2_T3_PNSH_ISM_E10value_typeET4_T5_PSR_SS_PNS1_23onesweep_lookback_stateEbbT6_jjT7_P12ihipStream_tbENKUlT_T0_SG_SL_E_clIS7_S7_SB_PlEEDaSZ_S10_SG_SL_EUlSZ_E_NS1_11comp_targetILNS1_3genE9ELNS1_11target_archE1100ELNS1_3gpuE3ELNS1_3repE0EEENS1_47radix_sort_onesweep_sort_config_static_selectorELNS0_4arch9wavefront6targetE1EEEvSG_.has_recursion, 0
	.set _ZN7rocprim17ROCPRIM_400000_NS6detail17trampoline_kernelINS0_14default_configENS1_35radix_sort_onesweep_config_selectorIhlEEZZNS1_29radix_sort_onesweep_iterationIS3_Lb0EPhS7_N6thrust23THRUST_200600_302600_NS10device_ptrIlEESB_jNS0_19identity_decomposerENS1_16block_id_wrapperIjLb0EEEEE10hipError_tT1_PNSt15iterator_traitsISG_E10value_typeET2_T3_PNSH_ISM_E10value_typeET4_T5_PSR_SS_PNS1_23onesweep_lookback_stateEbbT6_jjT7_P12ihipStream_tbENKUlT_T0_SG_SL_E_clIS7_S7_SB_PlEEDaSZ_S10_SG_SL_EUlSZ_E_NS1_11comp_targetILNS1_3genE9ELNS1_11target_archE1100ELNS1_3gpuE3ELNS1_3repE0EEENS1_47radix_sort_onesweep_sort_config_static_selectorELNS0_4arch9wavefront6targetE1EEEvSG_.has_indirect_call, 0
	.section	.AMDGPU.csdata,"",@progbits
; Kernel info:
; codeLenInByte = 0
; TotalNumSgprs: 4
; NumVgprs: 0
; ScratchSize: 0
; MemoryBound: 0
; FloatMode: 240
; IeeeMode: 1
; LDSByteSize: 0 bytes/workgroup (compile time only)
; SGPRBlocks: 0
; VGPRBlocks: 0
; NumSGPRsForWavesPerEU: 4
; NumVGPRsForWavesPerEU: 1
; Occupancy: 10
; WaveLimiterHint : 0
; COMPUTE_PGM_RSRC2:SCRATCH_EN: 0
; COMPUTE_PGM_RSRC2:USER_SGPR: 6
; COMPUTE_PGM_RSRC2:TRAP_HANDLER: 0
; COMPUTE_PGM_RSRC2:TGID_X_EN: 1
; COMPUTE_PGM_RSRC2:TGID_Y_EN: 0
; COMPUTE_PGM_RSRC2:TGID_Z_EN: 0
; COMPUTE_PGM_RSRC2:TIDIG_COMP_CNT: 0
	.section	.text._ZN7rocprim17ROCPRIM_400000_NS6detail17trampoline_kernelINS0_14default_configENS1_35radix_sort_onesweep_config_selectorIhlEEZZNS1_29radix_sort_onesweep_iterationIS3_Lb0EPhS7_N6thrust23THRUST_200600_302600_NS10device_ptrIlEESB_jNS0_19identity_decomposerENS1_16block_id_wrapperIjLb0EEEEE10hipError_tT1_PNSt15iterator_traitsISG_E10value_typeET2_T3_PNSH_ISM_E10value_typeET4_T5_PSR_SS_PNS1_23onesweep_lookback_stateEbbT6_jjT7_P12ihipStream_tbENKUlT_T0_SG_SL_E_clIS7_S7_SB_PlEEDaSZ_S10_SG_SL_EUlSZ_E_NS1_11comp_targetILNS1_3genE8ELNS1_11target_archE1030ELNS1_3gpuE2ELNS1_3repE0EEENS1_47radix_sort_onesweep_sort_config_static_selectorELNS0_4arch9wavefront6targetE1EEEvSG_,"axG",@progbits,_ZN7rocprim17ROCPRIM_400000_NS6detail17trampoline_kernelINS0_14default_configENS1_35radix_sort_onesweep_config_selectorIhlEEZZNS1_29radix_sort_onesweep_iterationIS3_Lb0EPhS7_N6thrust23THRUST_200600_302600_NS10device_ptrIlEESB_jNS0_19identity_decomposerENS1_16block_id_wrapperIjLb0EEEEE10hipError_tT1_PNSt15iterator_traitsISG_E10value_typeET2_T3_PNSH_ISM_E10value_typeET4_T5_PSR_SS_PNS1_23onesweep_lookback_stateEbbT6_jjT7_P12ihipStream_tbENKUlT_T0_SG_SL_E_clIS7_S7_SB_PlEEDaSZ_S10_SG_SL_EUlSZ_E_NS1_11comp_targetILNS1_3genE8ELNS1_11target_archE1030ELNS1_3gpuE2ELNS1_3repE0EEENS1_47radix_sort_onesweep_sort_config_static_selectorELNS0_4arch9wavefront6targetE1EEEvSG_,comdat
	.protected	_ZN7rocprim17ROCPRIM_400000_NS6detail17trampoline_kernelINS0_14default_configENS1_35radix_sort_onesweep_config_selectorIhlEEZZNS1_29radix_sort_onesweep_iterationIS3_Lb0EPhS7_N6thrust23THRUST_200600_302600_NS10device_ptrIlEESB_jNS0_19identity_decomposerENS1_16block_id_wrapperIjLb0EEEEE10hipError_tT1_PNSt15iterator_traitsISG_E10value_typeET2_T3_PNSH_ISM_E10value_typeET4_T5_PSR_SS_PNS1_23onesweep_lookback_stateEbbT6_jjT7_P12ihipStream_tbENKUlT_T0_SG_SL_E_clIS7_S7_SB_PlEEDaSZ_S10_SG_SL_EUlSZ_E_NS1_11comp_targetILNS1_3genE8ELNS1_11target_archE1030ELNS1_3gpuE2ELNS1_3repE0EEENS1_47radix_sort_onesweep_sort_config_static_selectorELNS0_4arch9wavefront6targetE1EEEvSG_ ; -- Begin function _ZN7rocprim17ROCPRIM_400000_NS6detail17trampoline_kernelINS0_14default_configENS1_35radix_sort_onesweep_config_selectorIhlEEZZNS1_29radix_sort_onesweep_iterationIS3_Lb0EPhS7_N6thrust23THRUST_200600_302600_NS10device_ptrIlEESB_jNS0_19identity_decomposerENS1_16block_id_wrapperIjLb0EEEEE10hipError_tT1_PNSt15iterator_traitsISG_E10value_typeET2_T3_PNSH_ISM_E10value_typeET4_T5_PSR_SS_PNS1_23onesweep_lookback_stateEbbT6_jjT7_P12ihipStream_tbENKUlT_T0_SG_SL_E_clIS7_S7_SB_PlEEDaSZ_S10_SG_SL_EUlSZ_E_NS1_11comp_targetILNS1_3genE8ELNS1_11target_archE1030ELNS1_3gpuE2ELNS1_3repE0EEENS1_47radix_sort_onesweep_sort_config_static_selectorELNS0_4arch9wavefront6targetE1EEEvSG_
	.globl	_ZN7rocprim17ROCPRIM_400000_NS6detail17trampoline_kernelINS0_14default_configENS1_35radix_sort_onesweep_config_selectorIhlEEZZNS1_29radix_sort_onesweep_iterationIS3_Lb0EPhS7_N6thrust23THRUST_200600_302600_NS10device_ptrIlEESB_jNS0_19identity_decomposerENS1_16block_id_wrapperIjLb0EEEEE10hipError_tT1_PNSt15iterator_traitsISG_E10value_typeET2_T3_PNSH_ISM_E10value_typeET4_T5_PSR_SS_PNS1_23onesweep_lookback_stateEbbT6_jjT7_P12ihipStream_tbENKUlT_T0_SG_SL_E_clIS7_S7_SB_PlEEDaSZ_S10_SG_SL_EUlSZ_E_NS1_11comp_targetILNS1_3genE8ELNS1_11target_archE1030ELNS1_3gpuE2ELNS1_3repE0EEENS1_47radix_sort_onesweep_sort_config_static_selectorELNS0_4arch9wavefront6targetE1EEEvSG_
	.p2align	8
	.type	_ZN7rocprim17ROCPRIM_400000_NS6detail17trampoline_kernelINS0_14default_configENS1_35radix_sort_onesweep_config_selectorIhlEEZZNS1_29radix_sort_onesweep_iterationIS3_Lb0EPhS7_N6thrust23THRUST_200600_302600_NS10device_ptrIlEESB_jNS0_19identity_decomposerENS1_16block_id_wrapperIjLb0EEEEE10hipError_tT1_PNSt15iterator_traitsISG_E10value_typeET2_T3_PNSH_ISM_E10value_typeET4_T5_PSR_SS_PNS1_23onesweep_lookback_stateEbbT6_jjT7_P12ihipStream_tbENKUlT_T0_SG_SL_E_clIS7_S7_SB_PlEEDaSZ_S10_SG_SL_EUlSZ_E_NS1_11comp_targetILNS1_3genE8ELNS1_11target_archE1030ELNS1_3gpuE2ELNS1_3repE0EEENS1_47radix_sort_onesweep_sort_config_static_selectorELNS0_4arch9wavefront6targetE1EEEvSG_,@function
_ZN7rocprim17ROCPRIM_400000_NS6detail17trampoline_kernelINS0_14default_configENS1_35radix_sort_onesweep_config_selectorIhlEEZZNS1_29radix_sort_onesweep_iterationIS3_Lb0EPhS7_N6thrust23THRUST_200600_302600_NS10device_ptrIlEESB_jNS0_19identity_decomposerENS1_16block_id_wrapperIjLb0EEEEE10hipError_tT1_PNSt15iterator_traitsISG_E10value_typeET2_T3_PNSH_ISM_E10value_typeET4_T5_PSR_SS_PNS1_23onesweep_lookback_stateEbbT6_jjT7_P12ihipStream_tbENKUlT_T0_SG_SL_E_clIS7_S7_SB_PlEEDaSZ_S10_SG_SL_EUlSZ_E_NS1_11comp_targetILNS1_3genE8ELNS1_11target_archE1030ELNS1_3gpuE2ELNS1_3repE0EEENS1_47radix_sort_onesweep_sort_config_static_selectorELNS0_4arch9wavefront6targetE1EEEvSG_: ; @_ZN7rocprim17ROCPRIM_400000_NS6detail17trampoline_kernelINS0_14default_configENS1_35radix_sort_onesweep_config_selectorIhlEEZZNS1_29radix_sort_onesweep_iterationIS3_Lb0EPhS7_N6thrust23THRUST_200600_302600_NS10device_ptrIlEESB_jNS0_19identity_decomposerENS1_16block_id_wrapperIjLb0EEEEE10hipError_tT1_PNSt15iterator_traitsISG_E10value_typeET2_T3_PNSH_ISM_E10value_typeET4_T5_PSR_SS_PNS1_23onesweep_lookback_stateEbbT6_jjT7_P12ihipStream_tbENKUlT_T0_SG_SL_E_clIS7_S7_SB_PlEEDaSZ_S10_SG_SL_EUlSZ_E_NS1_11comp_targetILNS1_3genE8ELNS1_11target_archE1030ELNS1_3gpuE2ELNS1_3repE0EEENS1_47radix_sort_onesweep_sort_config_static_selectorELNS0_4arch9wavefront6targetE1EEEvSG_
; %bb.0:
	.section	.rodata,"a",@progbits
	.p2align	6, 0x0
	.amdhsa_kernel _ZN7rocprim17ROCPRIM_400000_NS6detail17trampoline_kernelINS0_14default_configENS1_35radix_sort_onesweep_config_selectorIhlEEZZNS1_29radix_sort_onesweep_iterationIS3_Lb0EPhS7_N6thrust23THRUST_200600_302600_NS10device_ptrIlEESB_jNS0_19identity_decomposerENS1_16block_id_wrapperIjLb0EEEEE10hipError_tT1_PNSt15iterator_traitsISG_E10value_typeET2_T3_PNSH_ISM_E10value_typeET4_T5_PSR_SS_PNS1_23onesweep_lookback_stateEbbT6_jjT7_P12ihipStream_tbENKUlT_T0_SG_SL_E_clIS7_S7_SB_PlEEDaSZ_S10_SG_SL_EUlSZ_E_NS1_11comp_targetILNS1_3genE8ELNS1_11target_archE1030ELNS1_3gpuE2ELNS1_3repE0EEENS1_47radix_sort_onesweep_sort_config_static_selectorELNS0_4arch9wavefront6targetE1EEEvSG_
		.amdhsa_group_segment_fixed_size 0
		.amdhsa_private_segment_fixed_size 0
		.amdhsa_kernarg_size 88
		.amdhsa_user_sgpr_count 6
		.amdhsa_user_sgpr_private_segment_buffer 1
		.amdhsa_user_sgpr_dispatch_ptr 0
		.amdhsa_user_sgpr_queue_ptr 0
		.amdhsa_user_sgpr_kernarg_segment_ptr 1
		.amdhsa_user_sgpr_dispatch_id 0
		.amdhsa_user_sgpr_flat_scratch_init 0
		.amdhsa_user_sgpr_private_segment_size 0
		.amdhsa_uses_dynamic_stack 0
		.amdhsa_system_sgpr_private_segment_wavefront_offset 0
		.amdhsa_system_sgpr_workgroup_id_x 1
		.amdhsa_system_sgpr_workgroup_id_y 0
		.amdhsa_system_sgpr_workgroup_id_z 0
		.amdhsa_system_sgpr_workgroup_info 0
		.amdhsa_system_vgpr_workitem_id 0
		.amdhsa_next_free_vgpr 1
		.amdhsa_next_free_sgpr 0
		.amdhsa_reserve_vcc 0
		.amdhsa_reserve_flat_scratch 0
		.amdhsa_float_round_mode_32 0
		.amdhsa_float_round_mode_16_64 0
		.amdhsa_float_denorm_mode_32 3
		.amdhsa_float_denorm_mode_16_64 3
		.amdhsa_dx10_clamp 1
		.amdhsa_ieee_mode 1
		.amdhsa_fp16_overflow 0
		.amdhsa_exception_fp_ieee_invalid_op 0
		.amdhsa_exception_fp_denorm_src 0
		.amdhsa_exception_fp_ieee_div_zero 0
		.amdhsa_exception_fp_ieee_overflow 0
		.amdhsa_exception_fp_ieee_underflow 0
		.amdhsa_exception_fp_ieee_inexact 0
		.amdhsa_exception_int_div_zero 0
	.end_amdhsa_kernel
	.section	.text._ZN7rocprim17ROCPRIM_400000_NS6detail17trampoline_kernelINS0_14default_configENS1_35radix_sort_onesweep_config_selectorIhlEEZZNS1_29radix_sort_onesweep_iterationIS3_Lb0EPhS7_N6thrust23THRUST_200600_302600_NS10device_ptrIlEESB_jNS0_19identity_decomposerENS1_16block_id_wrapperIjLb0EEEEE10hipError_tT1_PNSt15iterator_traitsISG_E10value_typeET2_T3_PNSH_ISM_E10value_typeET4_T5_PSR_SS_PNS1_23onesweep_lookback_stateEbbT6_jjT7_P12ihipStream_tbENKUlT_T0_SG_SL_E_clIS7_S7_SB_PlEEDaSZ_S10_SG_SL_EUlSZ_E_NS1_11comp_targetILNS1_3genE8ELNS1_11target_archE1030ELNS1_3gpuE2ELNS1_3repE0EEENS1_47radix_sort_onesweep_sort_config_static_selectorELNS0_4arch9wavefront6targetE1EEEvSG_,"axG",@progbits,_ZN7rocprim17ROCPRIM_400000_NS6detail17trampoline_kernelINS0_14default_configENS1_35radix_sort_onesweep_config_selectorIhlEEZZNS1_29radix_sort_onesweep_iterationIS3_Lb0EPhS7_N6thrust23THRUST_200600_302600_NS10device_ptrIlEESB_jNS0_19identity_decomposerENS1_16block_id_wrapperIjLb0EEEEE10hipError_tT1_PNSt15iterator_traitsISG_E10value_typeET2_T3_PNSH_ISM_E10value_typeET4_T5_PSR_SS_PNS1_23onesweep_lookback_stateEbbT6_jjT7_P12ihipStream_tbENKUlT_T0_SG_SL_E_clIS7_S7_SB_PlEEDaSZ_S10_SG_SL_EUlSZ_E_NS1_11comp_targetILNS1_3genE8ELNS1_11target_archE1030ELNS1_3gpuE2ELNS1_3repE0EEENS1_47radix_sort_onesweep_sort_config_static_selectorELNS0_4arch9wavefront6targetE1EEEvSG_,comdat
.Lfunc_end308:
	.size	_ZN7rocprim17ROCPRIM_400000_NS6detail17trampoline_kernelINS0_14default_configENS1_35radix_sort_onesweep_config_selectorIhlEEZZNS1_29radix_sort_onesweep_iterationIS3_Lb0EPhS7_N6thrust23THRUST_200600_302600_NS10device_ptrIlEESB_jNS0_19identity_decomposerENS1_16block_id_wrapperIjLb0EEEEE10hipError_tT1_PNSt15iterator_traitsISG_E10value_typeET2_T3_PNSH_ISM_E10value_typeET4_T5_PSR_SS_PNS1_23onesweep_lookback_stateEbbT6_jjT7_P12ihipStream_tbENKUlT_T0_SG_SL_E_clIS7_S7_SB_PlEEDaSZ_S10_SG_SL_EUlSZ_E_NS1_11comp_targetILNS1_3genE8ELNS1_11target_archE1030ELNS1_3gpuE2ELNS1_3repE0EEENS1_47radix_sort_onesweep_sort_config_static_selectorELNS0_4arch9wavefront6targetE1EEEvSG_, .Lfunc_end308-_ZN7rocprim17ROCPRIM_400000_NS6detail17trampoline_kernelINS0_14default_configENS1_35radix_sort_onesweep_config_selectorIhlEEZZNS1_29radix_sort_onesweep_iterationIS3_Lb0EPhS7_N6thrust23THRUST_200600_302600_NS10device_ptrIlEESB_jNS0_19identity_decomposerENS1_16block_id_wrapperIjLb0EEEEE10hipError_tT1_PNSt15iterator_traitsISG_E10value_typeET2_T3_PNSH_ISM_E10value_typeET4_T5_PSR_SS_PNS1_23onesweep_lookback_stateEbbT6_jjT7_P12ihipStream_tbENKUlT_T0_SG_SL_E_clIS7_S7_SB_PlEEDaSZ_S10_SG_SL_EUlSZ_E_NS1_11comp_targetILNS1_3genE8ELNS1_11target_archE1030ELNS1_3gpuE2ELNS1_3repE0EEENS1_47radix_sort_onesweep_sort_config_static_selectorELNS0_4arch9wavefront6targetE1EEEvSG_
                                        ; -- End function
	.set _ZN7rocprim17ROCPRIM_400000_NS6detail17trampoline_kernelINS0_14default_configENS1_35radix_sort_onesweep_config_selectorIhlEEZZNS1_29radix_sort_onesweep_iterationIS3_Lb0EPhS7_N6thrust23THRUST_200600_302600_NS10device_ptrIlEESB_jNS0_19identity_decomposerENS1_16block_id_wrapperIjLb0EEEEE10hipError_tT1_PNSt15iterator_traitsISG_E10value_typeET2_T3_PNSH_ISM_E10value_typeET4_T5_PSR_SS_PNS1_23onesweep_lookback_stateEbbT6_jjT7_P12ihipStream_tbENKUlT_T0_SG_SL_E_clIS7_S7_SB_PlEEDaSZ_S10_SG_SL_EUlSZ_E_NS1_11comp_targetILNS1_3genE8ELNS1_11target_archE1030ELNS1_3gpuE2ELNS1_3repE0EEENS1_47radix_sort_onesweep_sort_config_static_selectorELNS0_4arch9wavefront6targetE1EEEvSG_.num_vgpr, 0
	.set _ZN7rocprim17ROCPRIM_400000_NS6detail17trampoline_kernelINS0_14default_configENS1_35radix_sort_onesweep_config_selectorIhlEEZZNS1_29radix_sort_onesweep_iterationIS3_Lb0EPhS7_N6thrust23THRUST_200600_302600_NS10device_ptrIlEESB_jNS0_19identity_decomposerENS1_16block_id_wrapperIjLb0EEEEE10hipError_tT1_PNSt15iterator_traitsISG_E10value_typeET2_T3_PNSH_ISM_E10value_typeET4_T5_PSR_SS_PNS1_23onesweep_lookback_stateEbbT6_jjT7_P12ihipStream_tbENKUlT_T0_SG_SL_E_clIS7_S7_SB_PlEEDaSZ_S10_SG_SL_EUlSZ_E_NS1_11comp_targetILNS1_3genE8ELNS1_11target_archE1030ELNS1_3gpuE2ELNS1_3repE0EEENS1_47radix_sort_onesweep_sort_config_static_selectorELNS0_4arch9wavefront6targetE1EEEvSG_.num_agpr, 0
	.set _ZN7rocprim17ROCPRIM_400000_NS6detail17trampoline_kernelINS0_14default_configENS1_35radix_sort_onesweep_config_selectorIhlEEZZNS1_29radix_sort_onesweep_iterationIS3_Lb0EPhS7_N6thrust23THRUST_200600_302600_NS10device_ptrIlEESB_jNS0_19identity_decomposerENS1_16block_id_wrapperIjLb0EEEEE10hipError_tT1_PNSt15iterator_traitsISG_E10value_typeET2_T3_PNSH_ISM_E10value_typeET4_T5_PSR_SS_PNS1_23onesweep_lookback_stateEbbT6_jjT7_P12ihipStream_tbENKUlT_T0_SG_SL_E_clIS7_S7_SB_PlEEDaSZ_S10_SG_SL_EUlSZ_E_NS1_11comp_targetILNS1_3genE8ELNS1_11target_archE1030ELNS1_3gpuE2ELNS1_3repE0EEENS1_47radix_sort_onesweep_sort_config_static_selectorELNS0_4arch9wavefront6targetE1EEEvSG_.numbered_sgpr, 0
	.set _ZN7rocprim17ROCPRIM_400000_NS6detail17trampoline_kernelINS0_14default_configENS1_35radix_sort_onesweep_config_selectorIhlEEZZNS1_29radix_sort_onesweep_iterationIS3_Lb0EPhS7_N6thrust23THRUST_200600_302600_NS10device_ptrIlEESB_jNS0_19identity_decomposerENS1_16block_id_wrapperIjLb0EEEEE10hipError_tT1_PNSt15iterator_traitsISG_E10value_typeET2_T3_PNSH_ISM_E10value_typeET4_T5_PSR_SS_PNS1_23onesweep_lookback_stateEbbT6_jjT7_P12ihipStream_tbENKUlT_T0_SG_SL_E_clIS7_S7_SB_PlEEDaSZ_S10_SG_SL_EUlSZ_E_NS1_11comp_targetILNS1_3genE8ELNS1_11target_archE1030ELNS1_3gpuE2ELNS1_3repE0EEENS1_47radix_sort_onesweep_sort_config_static_selectorELNS0_4arch9wavefront6targetE1EEEvSG_.num_named_barrier, 0
	.set _ZN7rocprim17ROCPRIM_400000_NS6detail17trampoline_kernelINS0_14default_configENS1_35radix_sort_onesweep_config_selectorIhlEEZZNS1_29radix_sort_onesweep_iterationIS3_Lb0EPhS7_N6thrust23THRUST_200600_302600_NS10device_ptrIlEESB_jNS0_19identity_decomposerENS1_16block_id_wrapperIjLb0EEEEE10hipError_tT1_PNSt15iterator_traitsISG_E10value_typeET2_T3_PNSH_ISM_E10value_typeET4_T5_PSR_SS_PNS1_23onesweep_lookback_stateEbbT6_jjT7_P12ihipStream_tbENKUlT_T0_SG_SL_E_clIS7_S7_SB_PlEEDaSZ_S10_SG_SL_EUlSZ_E_NS1_11comp_targetILNS1_3genE8ELNS1_11target_archE1030ELNS1_3gpuE2ELNS1_3repE0EEENS1_47radix_sort_onesweep_sort_config_static_selectorELNS0_4arch9wavefront6targetE1EEEvSG_.private_seg_size, 0
	.set _ZN7rocprim17ROCPRIM_400000_NS6detail17trampoline_kernelINS0_14default_configENS1_35radix_sort_onesweep_config_selectorIhlEEZZNS1_29radix_sort_onesweep_iterationIS3_Lb0EPhS7_N6thrust23THRUST_200600_302600_NS10device_ptrIlEESB_jNS0_19identity_decomposerENS1_16block_id_wrapperIjLb0EEEEE10hipError_tT1_PNSt15iterator_traitsISG_E10value_typeET2_T3_PNSH_ISM_E10value_typeET4_T5_PSR_SS_PNS1_23onesweep_lookback_stateEbbT6_jjT7_P12ihipStream_tbENKUlT_T0_SG_SL_E_clIS7_S7_SB_PlEEDaSZ_S10_SG_SL_EUlSZ_E_NS1_11comp_targetILNS1_3genE8ELNS1_11target_archE1030ELNS1_3gpuE2ELNS1_3repE0EEENS1_47radix_sort_onesweep_sort_config_static_selectorELNS0_4arch9wavefront6targetE1EEEvSG_.uses_vcc, 0
	.set _ZN7rocprim17ROCPRIM_400000_NS6detail17trampoline_kernelINS0_14default_configENS1_35radix_sort_onesweep_config_selectorIhlEEZZNS1_29radix_sort_onesweep_iterationIS3_Lb0EPhS7_N6thrust23THRUST_200600_302600_NS10device_ptrIlEESB_jNS0_19identity_decomposerENS1_16block_id_wrapperIjLb0EEEEE10hipError_tT1_PNSt15iterator_traitsISG_E10value_typeET2_T3_PNSH_ISM_E10value_typeET4_T5_PSR_SS_PNS1_23onesweep_lookback_stateEbbT6_jjT7_P12ihipStream_tbENKUlT_T0_SG_SL_E_clIS7_S7_SB_PlEEDaSZ_S10_SG_SL_EUlSZ_E_NS1_11comp_targetILNS1_3genE8ELNS1_11target_archE1030ELNS1_3gpuE2ELNS1_3repE0EEENS1_47radix_sort_onesweep_sort_config_static_selectorELNS0_4arch9wavefront6targetE1EEEvSG_.uses_flat_scratch, 0
	.set _ZN7rocprim17ROCPRIM_400000_NS6detail17trampoline_kernelINS0_14default_configENS1_35radix_sort_onesweep_config_selectorIhlEEZZNS1_29radix_sort_onesweep_iterationIS3_Lb0EPhS7_N6thrust23THRUST_200600_302600_NS10device_ptrIlEESB_jNS0_19identity_decomposerENS1_16block_id_wrapperIjLb0EEEEE10hipError_tT1_PNSt15iterator_traitsISG_E10value_typeET2_T3_PNSH_ISM_E10value_typeET4_T5_PSR_SS_PNS1_23onesweep_lookback_stateEbbT6_jjT7_P12ihipStream_tbENKUlT_T0_SG_SL_E_clIS7_S7_SB_PlEEDaSZ_S10_SG_SL_EUlSZ_E_NS1_11comp_targetILNS1_3genE8ELNS1_11target_archE1030ELNS1_3gpuE2ELNS1_3repE0EEENS1_47radix_sort_onesweep_sort_config_static_selectorELNS0_4arch9wavefront6targetE1EEEvSG_.has_dyn_sized_stack, 0
	.set _ZN7rocprim17ROCPRIM_400000_NS6detail17trampoline_kernelINS0_14default_configENS1_35radix_sort_onesweep_config_selectorIhlEEZZNS1_29radix_sort_onesweep_iterationIS3_Lb0EPhS7_N6thrust23THRUST_200600_302600_NS10device_ptrIlEESB_jNS0_19identity_decomposerENS1_16block_id_wrapperIjLb0EEEEE10hipError_tT1_PNSt15iterator_traitsISG_E10value_typeET2_T3_PNSH_ISM_E10value_typeET4_T5_PSR_SS_PNS1_23onesweep_lookback_stateEbbT6_jjT7_P12ihipStream_tbENKUlT_T0_SG_SL_E_clIS7_S7_SB_PlEEDaSZ_S10_SG_SL_EUlSZ_E_NS1_11comp_targetILNS1_3genE8ELNS1_11target_archE1030ELNS1_3gpuE2ELNS1_3repE0EEENS1_47radix_sort_onesweep_sort_config_static_selectorELNS0_4arch9wavefront6targetE1EEEvSG_.has_recursion, 0
	.set _ZN7rocprim17ROCPRIM_400000_NS6detail17trampoline_kernelINS0_14default_configENS1_35radix_sort_onesweep_config_selectorIhlEEZZNS1_29radix_sort_onesweep_iterationIS3_Lb0EPhS7_N6thrust23THRUST_200600_302600_NS10device_ptrIlEESB_jNS0_19identity_decomposerENS1_16block_id_wrapperIjLb0EEEEE10hipError_tT1_PNSt15iterator_traitsISG_E10value_typeET2_T3_PNSH_ISM_E10value_typeET4_T5_PSR_SS_PNS1_23onesweep_lookback_stateEbbT6_jjT7_P12ihipStream_tbENKUlT_T0_SG_SL_E_clIS7_S7_SB_PlEEDaSZ_S10_SG_SL_EUlSZ_E_NS1_11comp_targetILNS1_3genE8ELNS1_11target_archE1030ELNS1_3gpuE2ELNS1_3repE0EEENS1_47radix_sort_onesweep_sort_config_static_selectorELNS0_4arch9wavefront6targetE1EEEvSG_.has_indirect_call, 0
	.section	.AMDGPU.csdata,"",@progbits
; Kernel info:
; codeLenInByte = 0
; TotalNumSgprs: 4
; NumVgprs: 0
; ScratchSize: 0
; MemoryBound: 0
; FloatMode: 240
; IeeeMode: 1
; LDSByteSize: 0 bytes/workgroup (compile time only)
; SGPRBlocks: 0
; VGPRBlocks: 0
; NumSGPRsForWavesPerEU: 4
; NumVGPRsForWavesPerEU: 1
; Occupancy: 10
; WaveLimiterHint : 0
; COMPUTE_PGM_RSRC2:SCRATCH_EN: 0
; COMPUTE_PGM_RSRC2:USER_SGPR: 6
; COMPUTE_PGM_RSRC2:TRAP_HANDLER: 0
; COMPUTE_PGM_RSRC2:TGID_X_EN: 1
; COMPUTE_PGM_RSRC2:TGID_Y_EN: 0
; COMPUTE_PGM_RSRC2:TGID_Z_EN: 0
; COMPUTE_PGM_RSRC2:TIDIG_COMP_CNT: 0
	.section	.text._ZN7rocprim17ROCPRIM_400000_NS6detail17trampoline_kernelINS0_14default_configENS1_35radix_sort_onesweep_config_selectorIhlEEZZNS1_29radix_sort_onesweep_iterationIS3_Lb0EPhS7_N6thrust23THRUST_200600_302600_NS10device_ptrIlEESB_jNS0_19identity_decomposerENS1_16block_id_wrapperIjLb0EEEEE10hipError_tT1_PNSt15iterator_traitsISG_E10value_typeET2_T3_PNSH_ISM_E10value_typeET4_T5_PSR_SS_PNS1_23onesweep_lookback_stateEbbT6_jjT7_P12ihipStream_tbENKUlT_T0_SG_SL_E_clIS7_S7_PlSB_EEDaSZ_S10_SG_SL_EUlSZ_E_NS1_11comp_targetILNS1_3genE0ELNS1_11target_archE4294967295ELNS1_3gpuE0ELNS1_3repE0EEENS1_47radix_sort_onesweep_sort_config_static_selectorELNS0_4arch9wavefront6targetE1EEEvSG_,"axG",@progbits,_ZN7rocprim17ROCPRIM_400000_NS6detail17trampoline_kernelINS0_14default_configENS1_35radix_sort_onesweep_config_selectorIhlEEZZNS1_29radix_sort_onesweep_iterationIS3_Lb0EPhS7_N6thrust23THRUST_200600_302600_NS10device_ptrIlEESB_jNS0_19identity_decomposerENS1_16block_id_wrapperIjLb0EEEEE10hipError_tT1_PNSt15iterator_traitsISG_E10value_typeET2_T3_PNSH_ISM_E10value_typeET4_T5_PSR_SS_PNS1_23onesweep_lookback_stateEbbT6_jjT7_P12ihipStream_tbENKUlT_T0_SG_SL_E_clIS7_S7_PlSB_EEDaSZ_S10_SG_SL_EUlSZ_E_NS1_11comp_targetILNS1_3genE0ELNS1_11target_archE4294967295ELNS1_3gpuE0ELNS1_3repE0EEENS1_47radix_sort_onesweep_sort_config_static_selectorELNS0_4arch9wavefront6targetE1EEEvSG_,comdat
	.protected	_ZN7rocprim17ROCPRIM_400000_NS6detail17trampoline_kernelINS0_14default_configENS1_35radix_sort_onesweep_config_selectorIhlEEZZNS1_29radix_sort_onesweep_iterationIS3_Lb0EPhS7_N6thrust23THRUST_200600_302600_NS10device_ptrIlEESB_jNS0_19identity_decomposerENS1_16block_id_wrapperIjLb0EEEEE10hipError_tT1_PNSt15iterator_traitsISG_E10value_typeET2_T3_PNSH_ISM_E10value_typeET4_T5_PSR_SS_PNS1_23onesweep_lookback_stateEbbT6_jjT7_P12ihipStream_tbENKUlT_T0_SG_SL_E_clIS7_S7_PlSB_EEDaSZ_S10_SG_SL_EUlSZ_E_NS1_11comp_targetILNS1_3genE0ELNS1_11target_archE4294967295ELNS1_3gpuE0ELNS1_3repE0EEENS1_47radix_sort_onesweep_sort_config_static_selectorELNS0_4arch9wavefront6targetE1EEEvSG_ ; -- Begin function _ZN7rocprim17ROCPRIM_400000_NS6detail17trampoline_kernelINS0_14default_configENS1_35radix_sort_onesweep_config_selectorIhlEEZZNS1_29radix_sort_onesweep_iterationIS3_Lb0EPhS7_N6thrust23THRUST_200600_302600_NS10device_ptrIlEESB_jNS0_19identity_decomposerENS1_16block_id_wrapperIjLb0EEEEE10hipError_tT1_PNSt15iterator_traitsISG_E10value_typeET2_T3_PNSH_ISM_E10value_typeET4_T5_PSR_SS_PNS1_23onesweep_lookback_stateEbbT6_jjT7_P12ihipStream_tbENKUlT_T0_SG_SL_E_clIS7_S7_PlSB_EEDaSZ_S10_SG_SL_EUlSZ_E_NS1_11comp_targetILNS1_3genE0ELNS1_11target_archE4294967295ELNS1_3gpuE0ELNS1_3repE0EEENS1_47radix_sort_onesweep_sort_config_static_selectorELNS0_4arch9wavefront6targetE1EEEvSG_
	.globl	_ZN7rocprim17ROCPRIM_400000_NS6detail17trampoline_kernelINS0_14default_configENS1_35radix_sort_onesweep_config_selectorIhlEEZZNS1_29radix_sort_onesweep_iterationIS3_Lb0EPhS7_N6thrust23THRUST_200600_302600_NS10device_ptrIlEESB_jNS0_19identity_decomposerENS1_16block_id_wrapperIjLb0EEEEE10hipError_tT1_PNSt15iterator_traitsISG_E10value_typeET2_T3_PNSH_ISM_E10value_typeET4_T5_PSR_SS_PNS1_23onesweep_lookback_stateEbbT6_jjT7_P12ihipStream_tbENKUlT_T0_SG_SL_E_clIS7_S7_PlSB_EEDaSZ_S10_SG_SL_EUlSZ_E_NS1_11comp_targetILNS1_3genE0ELNS1_11target_archE4294967295ELNS1_3gpuE0ELNS1_3repE0EEENS1_47radix_sort_onesweep_sort_config_static_selectorELNS0_4arch9wavefront6targetE1EEEvSG_
	.p2align	8
	.type	_ZN7rocprim17ROCPRIM_400000_NS6detail17trampoline_kernelINS0_14default_configENS1_35radix_sort_onesweep_config_selectorIhlEEZZNS1_29radix_sort_onesweep_iterationIS3_Lb0EPhS7_N6thrust23THRUST_200600_302600_NS10device_ptrIlEESB_jNS0_19identity_decomposerENS1_16block_id_wrapperIjLb0EEEEE10hipError_tT1_PNSt15iterator_traitsISG_E10value_typeET2_T3_PNSH_ISM_E10value_typeET4_T5_PSR_SS_PNS1_23onesweep_lookback_stateEbbT6_jjT7_P12ihipStream_tbENKUlT_T0_SG_SL_E_clIS7_S7_PlSB_EEDaSZ_S10_SG_SL_EUlSZ_E_NS1_11comp_targetILNS1_3genE0ELNS1_11target_archE4294967295ELNS1_3gpuE0ELNS1_3repE0EEENS1_47radix_sort_onesweep_sort_config_static_selectorELNS0_4arch9wavefront6targetE1EEEvSG_,@function
_ZN7rocprim17ROCPRIM_400000_NS6detail17trampoline_kernelINS0_14default_configENS1_35radix_sort_onesweep_config_selectorIhlEEZZNS1_29radix_sort_onesweep_iterationIS3_Lb0EPhS7_N6thrust23THRUST_200600_302600_NS10device_ptrIlEESB_jNS0_19identity_decomposerENS1_16block_id_wrapperIjLb0EEEEE10hipError_tT1_PNSt15iterator_traitsISG_E10value_typeET2_T3_PNSH_ISM_E10value_typeET4_T5_PSR_SS_PNS1_23onesweep_lookback_stateEbbT6_jjT7_P12ihipStream_tbENKUlT_T0_SG_SL_E_clIS7_S7_PlSB_EEDaSZ_S10_SG_SL_EUlSZ_E_NS1_11comp_targetILNS1_3genE0ELNS1_11target_archE4294967295ELNS1_3gpuE0ELNS1_3repE0EEENS1_47radix_sort_onesweep_sort_config_static_selectorELNS0_4arch9wavefront6targetE1EEEvSG_: ; @_ZN7rocprim17ROCPRIM_400000_NS6detail17trampoline_kernelINS0_14default_configENS1_35radix_sort_onesweep_config_selectorIhlEEZZNS1_29radix_sort_onesweep_iterationIS3_Lb0EPhS7_N6thrust23THRUST_200600_302600_NS10device_ptrIlEESB_jNS0_19identity_decomposerENS1_16block_id_wrapperIjLb0EEEEE10hipError_tT1_PNSt15iterator_traitsISG_E10value_typeET2_T3_PNSH_ISM_E10value_typeET4_T5_PSR_SS_PNS1_23onesweep_lookback_stateEbbT6_jjT7_P12ihipStream_tbENKUlT_T0_SG_SL_E_clIS7_S7_PlSB_EEDaSZ_S10_SG_SL_EUlSZ_E_NS1_11comp_targetILNS1_3genE0ELNS1_11target_archE4294967295ELNS1_3gpuE0ELNS1_3repE0EEENS1_47radix_sort_onesweep_sort_config_static_selectorELNS0_4arch9wavefront6targetE1EEEvSG_
; %bb.0:
	.section	.rodata,"a",@progbits
	.p2align	6, 0x0
	.amdhsa_kernel _ZN7rocprim17ROCPRIM_400000_NS6detail17trampoline_kernelINS0_14default_configENS1_35radix_sort_onesweep_config_selectorIhlEEZZNS1_29radix_sort_onesweep_iterationIS3_Lb0EPhS7_N6thrust23THRUST_200600_302600_NS10device_ptrIlEESB_jNS0_19identity_decomposerENS1_16block_id_wrapperIjLb0EEEEE10hipError_tT1_PNSt15iterator_traitsISG_E10value_typeET2_T3_PNSH_ISM_E10value_typeET4_T5_PSR_SS_PNS1_23onesweep_lookback_stateEbbT6_jjT7_P12ihipStream_tbENKUlT_T0_SG_SL_E_clIS7_S7_PlSB_EEDaSZ_S10_SG_SL_EUlSZ_E_NS1_11comp_targetILNS1_3genE0ELNS1_11target_archE4294967295ELNS1_3gpuE0ELNS1_3repE0EEENS1_47radix_sort_onesweep_sort_config_static_selectorELNS0_4arch9wavefront6targetE1EEEvSG_
		.amdhsa_group_segment_fixed_size 0
		.amdhsa_private_segment_fixed_size 0
		.amdhsa_kernarg_size 88
		.amdhsa_user_sgpr_count 6
		.amdhsa_user_sgpr_private_segment_buffer 1
		.amdhsa_user_sgpr_dispatch_ptr 0
		.amdhsa_user_sgpr_queue_ptr 0
		.amdhsa_user_sgpr_kernarg_segment_ptr 1
		.amdhsa_user_sgpr_dispatch_id 0
		.amdhsa_user_sgpr_flat_scratch_init 0
		.amdhsa_user_sgpr_private_segment_size 0
		.amdhsa_uses_dynamic_stack 0
		.amdhsa_system_sgpr_private_segment_wavefront_offset 0
		.amdhsa_system_sgpr_workgroup_id_x 1
		.amdhsa_system_sgpr_workgroup_id_y 0
		.amdhsa_system_sgpr_workgroup_id_z 0
		.amdhsa_system_sgpr_workgroup_info 0
		.amdhsa_system_vgpr_workitem_id 0
		.amdhsa_next_free_vgpr 1
		.amdhsa_next_free_sgpr 0
		.amdhsa_reserve_vcc 0
		.amdhsa_reserve_flat_scratch 0
		.amdhsa_float_round_mode_32 0
		.amdhsa_float_round_mode_16_64 0
		.amdhsa_float_denorm_mode_32 3
		.amdhsa_float_denorm_mode_16_64 3
		.amdhsa_dx10_clamp 1
		.amdhsa_ieee_mode 1
		.amdhsa_fp16_overflow 0
		.amdhsa_exception_fp_ieee_invalid_op 0
		.amdhsa_exception_fp_denorm_src 0
		.amdhsa_exception_fp_ieee_div_zero 0
		.amdhsa_exception_fp_ieee_overflow 0
		.amdhsa_exception_fp_ieee_underflow 0
		.amdhsa_exception_fp_ieee_inexact 0
		.amdhsa_exception_int_div_zero 0
	.end_amdhsa_kernel
	.section	.text._ZN7rocprim17ROCPRIM_400000_NS6detail17trampoline_kernelINS0_14default_configENS1_35radix_sort_onesweep_config_selectorIhlEEZZNS1_29radix_sort_onesweep_iterationIS3_Lb0EPhS7_N6thrust23THRUST_200600_302600_NS10device_ptrIlEESB_jNS0_19identity_decomposerENS1_16block_id_wrapperIjLb0EEEEE10hipError_tT1_PNSt15iterator_traitsISG_E10value_typeET2_T3_PNSH_ISM_E10value_typeET4_T5_PSR_SS_PNS1_23onesweep_lookback_stateEbbT6_jjT7_P12ihipStream_tbENKUlT_T0_SG_SL_E_clIS7_S7_PlSB_EEDaSZ_S10_SG_SL_EUlSZ_E_NS1_11comp_targetILNS1_3genE0ELNS1_11target_archE4294967295ELNS1_3gpuE0ELNS1_3repE0EEENS1_47radix_sort_onesweep_sort_config_static_selectorELNS0_4arch9wavefront6targetE1EEEvSG_,"axG",@progbits,_ZN7rocprim17ROCPRIM_400000_NS6detail17trampoline_kernelINS0_14default_configENS1_35radix_sort_onesweep_config_selectorIhlEEZZNS1_29radix_sort_onesweep_iterationIS3_Lb0EPhS7_N6thrust23THRUST_200600_302600_NS10device_ptrIlEESB_jNS0_19identity_decomposerENS1_16block_id_wrapperIjLb0EEEEE10hipError_tT1_PNSt15iterator_traitsISG_E10value_typeET2_T3_PNSH_ISM_E10value_typeET4_T5_PSR_SS_PNS1_23onesweep_lookback_stateEbbT6_jjT7_P12ihipStream_tbENKUlT_T0_SG_SL_E_clIS7_S7_PlSB_EEDaSZ_S10_SG_SL_EUlSZ_E_NS1_11comp_targetILNS1_3genE0ELNS1_11target_archE4294967295ELNS1_3gpuE0ELNS1_3repE0EEENS1_47radix_sort_onesweep_sort_config_static_selectorELNS0_4arch9wavefront6targetE1EEEvSG_,comdat
.Lfunc_end309:
	.size	_ZN7rocprim17ROCPRIM_400000_NS6detail17trampoline_kernelINS0_14default_configENS1_35radix_sort_onesweep_config_selectorIhlEEZZNS1_29radix_sort_onesweep_iterationIS3_Lb0EPhS7_N6thrust23THRUST_200600_302600_NS10device_ptrIlEESB_jNS0_19identity_decomposerENS1_16block_id_wrapperIjLb0EEEEE10hipError_tT1_PNSt15iterator_traitsISG_E10value_typeET2_T3_PNSH_ISM_E10value_typeET4_T5_PSR_SS_PNS1_23onesweep_lookback_stateEbbT6_jjT7_P12ihipStream_tbENKUlT_T0_SG_SL_E_clIS7_S7_PlSB_EEDaSZ_S10_SG_SL_EUlSZ_E_NS1_11comp_targetILNS1_3genE0ELNS1_11target_archE4294967295ELNS1_3gpuE0ELNS1_3repE0EEENS1_47radix_sort_onesweep_sort_config_static_selectorELNS0_4arch9wavefront6targetE1EEEvSG_, .Lfunc_end309-_ZN7rocprim17ROCPRIM_400000_NS6detail17trampoline_kernelINS0_14default_configENS1_35radix_sort_onesweep_config_selectorIhlEEZZNS1_29radix_sort_onesweep_iterationIS3_Lb0EPhS7_N6thrust23THRUST_200600_302600_NS10device_ptrIlEESB_jNS0_19identity_decomposerENS1_16block_id_wrapperIjLb0EEEEE10hipError_tT1_PNSt15iterator_traitsISG_E10value_typeET2_T3_PNSH_ISM_E10value_typeET4_T5_PSR_SS_PNS1_23onesweep_lookback_stateEbbT6_jjT7_P12ihipStream_tbENKUlT_T0_SG_SL_E_clIS7_S7_PlSB_EEDaSZ_S10_SG_SL_EUlSZ_E_NS1_11comp_targetILNS1_3genE0ELNS1_11target_archE4294967295ELNS1_3gpuE0ELNS1_3repE0EEENS1_47radix_sort_onesweep_sort_config_static_selectorELNS0_4arch9wavefront6targetE1EEEvSG_
                                        ; -- End function
	.set _ZN7rocprim17ROCPRIM_400000_NS6detail17trampoline_kernelINS0_14default_configENS1_35radix_sort_onesweep_config_selectorIhlEEZZNS1_29radix_sort_onesweep_iterationIS3_Lb0EPhS7_N6thrust23THRUST_200600_302600_NS10device_ptrIlEESB_jNS0_19identity_decomposerENS1_16block_id_wrapperIjLb0EEEEE10hipError_tT1_PNSt15iterator_traitsISG_E10value_typeET2_T3_PNSH_ISM_E10value_typeET4_T5_PSR_SS_PNS1_23onesweep_lookback_stateEbbT6_jjT7_P12ihipStream_tbENKUlT_T0_SG_SL_E_clIS7_S7_PlSB_EEDaSZ_S10_SG_SL_EUlSZ_E_NS1_11comp_targetILNS1_3genE0ELNS1_11target_archE4294967295ELNS1_3gpuE0ELNS1_3repE0EEENS1_47radix_sort_onesweep_sort_config_static_selectorELNS0_4arch9wavefront6targetE1EEEvSG_.num_vgpr, 0
	.set _ZN7rocprim17ROCPRIM_400000_NS6detail17trampoline_kernelINS0_14default_configENS1_35radix_sort_onesweep_config_selectorIhlEEZZNS1_29radix_sort_onesweep_iterationIS3_Lb0EPhS7_N6thrust23THRUST_200600_302600_NS10device_ptrIlEESB_jNS0_19identity_decomposerENS1_16block_id_wrapperIjLb0EEEEE10hipError_tT1_PNSt15iterator_traitsISG_E10value_typeET2_T3_PNSH_ISM_E10value_typeET4_T5_PSR_SS_PNS1_23onesweep_lookback_stateEbbT6_jjT7_P12ihipStream_tbENKUlT_T0_SG_SL_E_clIS7_S7_PlSB_EEDaSZ_S10_SG_SL_EUlSZ_E_NS1_11comp_targetILNS1_3genE0ELNS1_11target_archE4294967295ELNS1_3gpuE0ELNS1_3repE0EEENS1_47radix_sort_onesweep_sort_config_static_selectorELNS0_4arch9wavefront6targetE1EEEvSG_.num_agpr, 0
	.set _ZN7rocprim17ROCPRIM_400000_NS6detail17trampoline_kernelINS0_14default_configENS1_35radix_sort_onesweep_config_selectorIhlEEZZNS1_29radix_sort_onesweep_iterationIS3_Lb0EPhS7_N6thrust23THRUST_200600_302600_NS10device_ptrIlEESB_jNS0_19identity_decomposerENS1_16block_id_wrapperIjLb0EEEEE10hipError_tT1_PNSt15iterator_traitsISG_E10value_typeET2_T3_PNSH_ISM_E10value_typeET4_T5_PSR_SS_PNS1_23onesweep_lookback_stateEbbT6_jjT7_P12ihipStream_tbENKUlT_T0_SG_SL_E_clIS7_S7_PlSB_EEDaSZ_S10_SG_SL_EUlSZ_E_NS1_11comp_targetILNS1_3genE0ELNS1_11target_archE4294967295ELNS1_3gpuE0ELNS1_3repE0EEENS1_47radix_sort_onesweep_sort_config_static_selectorELNS0_4arch9wavefront6targetE1EEEvSG_.numbered_sgpr, 0
	.set _ZN7rocprim17ROCPRIM_400000_NS6detail17trampoline_kernelINS0_14default_configENS1_35radix_sort_onesweep_config_selectorIhlEEZZNS1_29radix_sort_onesweep_iterationIS3_Lb0EPhS7_N6thrust23THRUST_200600_302600_NS10device_ptrIlEESB_jNS0_19identity_decomposerENS1_16block_id_wrapperIjLb0EEEEE10hipError_tT1_PNSt15iterator_traitsISG_E10value_typeET2_T3_PNSH_ISM_E10value_typeET4_T5_PSR_SS_PNS1_23onesweep_lookback_stateEbbT6_jjT7_P12ihipStream_tbENKUlT_T0_SG_SL_E_clIS7_S7_PlSB_EEDaSZ_S10_SG_SL_EUlSZ_E_NS1_11comp_targetILNS1_3genE0ELNS1_11target_archE4294967295ELNS1_3gpuE0ELNS1_3repE0EEENS1_47radix_sort_onesweep_sort_config_static_selectorELNS0_4arch9wavefront6targetE1EEEvSG_.num_named_barrier, 0
	.set _ZN7rocprim17ROCPRIM_400000_NS6detail17trampoline_kernelINS0_14default_configENS1_35radix_sort_onesweep_config_selectorIhlEEZZNS1_29radix_sort_onesweep_iterationIS3_Lb0EPhS7_N6thrust23THRUST_200600_302600_NS10device_ptrIlEESB_jNS0_19identity_decomposerENS1_16block_id_wrapperIjLb0EEEEE10hipError_tT1_PNSt15iterator_traitsISG_E10value_typeET2_T3_PNSH_ISM_E10value_typeET4_T5_PSR_SS_PNS1_23onesweep_lookback_stateEbbT6_jjT7_P12ihipStream_tbENKUlT_T0_SG_SL_E_clIS7_S7_PlSB_EEDaSZ_S10_SG_SL_EUlSZ_E_NS1_11comp_targetILNS1_3genE0ELNS1_11target_archE4294967295ELNS1_3gpuE0ELNS1_3repE0EEENS1_47radix_sort_onesweep_sort_config_static_selectorELNS0_4arch9wavefront6targetE1EEEvSG_.private_seg_size, 0
	.set _ZN7rocprim17ROCPRIM_400000_NS6detail17trampoline_kernelINS0_14default_configENS1_35radix_sort_onesweep_config_selectorIhlEEZZNS1_29radix_sort_onesweep_iterationIS3_Lb0EPhS7_N6thrust23THRUST_200600_302600_NS10device_ptrIlEESB_jNS0_19identity_decomposerENS1_16block_id_wrapperIjLb0EEEEE10hipError_tT1_PNSt15iterator_traitsISG_E10value_typeET2_T3_PNSH_ISM_E10value_typeET4_T5_PSR_SS_PNS1_23onesweep_lookback_stateEbbT6_jjT7_P12ihipStream_tbENKUlT_T0_SG_SL_E_clIS7_S7_PlSB_EEDaSZ_S10_SG_SL_EUlSZ_E_NS1_11comp_targetILNS1_3genE0ELNS1_11target_archE4294967295ELNS1_3gpuE0ELNS1_3repE0EEENS1_47radix_sort_onesweep_sort_config_static_selectorELNS0_4arch9wavefront6targetE1EEEvSG_.uses_vcc, 0
	.set _ZN7rocprim17ROCPRIM_400000_NS6detail17trampoline_kernelINS0_14default_configENS1_35radix_sort_onesweep_config_selectorIhlEEZZNS1_29radix_sort_onesweep_iterationIS3_Lb0EPhS7_N6thrust23THRUST_200600_302600_NS10device_ptrIlEESB_jNS0_19identity_decomposerENS1_16block_id_wrapperIjLb0EEEEE10hipError_tT1_PNSt15iterator_traitsISG_E10value_typeET2_T3_PNSH_ISM_E10value_typeET4_T5_PSR_SS_PNS1_23onesweep_lookback_stateEbbT6_jjT7_P12ihipStream_tbENKUlT_T0_SG_SL_E_clIS7_S7_PlSB_EEDaSZ_S10_SG_SL_EUlSZ_E_NS1_11comp_targetILNS1_3genE0ELNS1_11target_archE4294967295ELNS1_3gpuE0ELNS1_3repE0EEENS1_47radix_sort_onesweep_sort_config_static_selectorELNS0_4arch9wavefront6targetE1EEEvSG_.uses_flat_scratch, 0
	.set _ZN7rocprim17ROCPRIM_400000_NS6detail17trampoline_kernelINS0_14default_configENS1_35radix_sort_onesweep_config_selectorIhlEEZZNS1_29radix_sort_onesweep_iterationIS3_Lb0EPhS7_N6thrust23THRUST_200600_302600_NS10device_ptrIlEESB_jNS0_19identity_decomposerENS1_16block_id_wrapperIjLb0EEEEE10hipError_tT1_PNSt15iterator_traitsISG_E10value_typeET2_T3_PNSH_ISM_E10value_typeET4_T5_PSR_SS_PNS1_23onesweep_lookback_stateEbbT6_jjT7_P12ihipStream_tbENKUlT_T0_SG_SL_E_clIS7_S7_PlSB_EEDaSZ_S10_SG_SL_EUlSZ_E_NS1_11comp_targetILNS1_3genE0ELNS1_11target_archE4294967295ELNS1_3gpuE0ELNS1_3repE0EEENS1_47radix_sort_onesweep_sort_config_static_selectorELNS0_4arch9wavefront6targetE1EEEvSG_.has_dyn_sized_stack, 0
	.set _ZN7rocprim17ROCPRIM_400000_NS6detail17trampoline_kernelINS0_14default_configENS1_35radix_sort_onesweep_config_selectorIhlEEZZNS1_29radix_sort_onesweep_iterationIS3_Lb0EPhS7_N6thrust23THRUST_200600_302600_NS10device_ptrIlEESB_jNS0_19identity_decomposerENS1_16block_id_wrapperIjLb0EEEEE10hipError_tT1_PNSt15iterator_traitsISG_E10value_typeET2_T3_PNSH_ISM_E10value_typeET4_T5_PSR_SS_PNS1_23onesweep_lookback_stateEbbT6_jjT7_P12ihipStream_tbENKUlT_T0_SG_SL_E_clIS7_S7_PlSB_EEDaSZ_S10_SG_SL_EUlSZ_E_NS1_11comp_targetILNS1_3genE0ELNS1_11target_archE4294967295ELNS1_3gpuE0ELNS1_3repE0EEENS1_47radix_sort_onesweep_sort_config_static_selectorELNS0_4arch9wavefront6targetE1EEEvSG_.has_recursion, 0
	.set _ZN7rocprim17ROCPRIM_400000_NS6detail17trampoline_kernelINS0_14default_configENS1_35radix_sort_onesweep_config_selectorIhlEEZZNS1_29radix_sort_onesweep_iterationIS3_Lb0EPhS7_N6thrust23THRUST_200600_302600_NS10device_ptrIlEESB_jNS0_19identity_decomposerENS1_16block_id_wrapperIjLb0EEEEE10hipError_tT1_PNSt15iterator_traitsISG_E10value_typeET2_T3_PNSH_ISM_E10value_typeET4_T5_PSR_SS_PNS1_23onesweep_lookback_stateEbbT6_jjT7_P12ihipStream_tbENKUlT_T0_SG_SL_E_clIS7_S7_PlSB_EEDaSZ_S10_SG_SL_EUlSZ_E_NS1_11comp_targetILNS1_3genE0ELNS1_11target_archE4294967295ELNS1_3gpuE0ELNS1_3repE0EEENS1_47radix_sort_onesweep_sort_config_static_selectorELNS0_4arch9wavefront6targetE1EEEvSG_.has_indirect_call, 0
	.section	.AMDGPU.csdata,"",@progbits
; Kernel info:
; codeLenInByte = 0
; TotalNumSgprs: 4
; NumVgprs: 0
; ScratchSize: 0
; MemoryBound: 0
; FloatMode: 240
; IeeeMode: 1
; LDSByteSize: 0 bytes/workgroup (compile time only)
; SGPRBlocks: 0
; VGPRBlocks: 0
; NumSGPRsForWavesPerEU: 4
; NumVGPRsForWavesPerEU: 1
; Occupancy: 10
; WaveLimiterHint : 0
; COMPUTE_PGM_RSRC2:SCRATCH_EN: 0
; COMPUTE_PGM_RSRC2:USER_SGPR: 6
; COMPUTE_PGM_RSRC2:TRAP_HANDLER: 0
; COMPUTE_PGM_RSRC2:TGID_X_EN: 1
; COMPUTE_PGM_RSRC2:TGID_Y_EN: 0
; COMPUTE_PGM_RSRC2:TGID_Z_EN: 0
; COMPUTE_PGM_RSRC2:TIDIG_COMP_CNT: 0
	.section	.text._ZN7rocprim17ROCPRIM_400000_NS6detail17trampoline_kernelINS0_14default_configENS1_35radix_sort_onesweep_config_selectorIhlEEZZNS1_29radix_sort_onesweep_iterationIS3_Lb0EPhS7_N6thrust23THRUST_200600_302600_NS10device_ptrIlEESB_jNS0_19identity_decomposerENS1_16block_id_wrapperIjLb0EEEEE10hipError_tT1_PNSt15iterator_traitsISG_E10value_typeET2_T3_PNSH_ISM_E10value_typeET4_T5_PSR_SS_PNS1_23onesweep_lookback_stateEbbT6_jjT7_P12ihipStream_tbENKUlT_T0_SG_SL_E_clIS7_S7_PlSB_EEDaSZ_S10_SG_SL_EUlSZ_E_NS1_11comp_targetILNS1_3genE6ELNS1_11target_archE950ELNS1_3gpuE13ELNS1_3repE0EEENS1_47radix_sort_onesweep_sort_config_static_selectorELNS0_4arch9wavefront6targetE1EEEvSG_,"axG",@progbits,_ZN7rocprim17ROCPRIM_400000_NS6detail17trampoline_kernelINS0_14default_configENS1_35radix_sort_onesweep_config_selectorIhlEEZZNS1_29radix_sort_onesweep_iterationIS3_Lb0EPhS7_N6thrust23THRUST_200600_302600_NS10device_ptrIlEESB_jNS0_19identity_decomposerENS1_16block_id_wrapperIjLb0EEEEE10hipError_tT1_PNSt15iterator_traitsISG_E10value_typeET2_T3_PNSH_ISM_E10value_typeET4_T5_PSR_SS_PNS1_23onesweep_lookback_stateEbbT6_jjT7_P12ihipStream_tbENKUlT_T0_SG_SL_E_clIS7_S7_PlSB_EEDaSZ_S10_SG_SL_EUlSZ_E_NS1_11comp_targetILNS1_3genE6ELNS1_11target_archE950ELNS1_3gpuE13ELNS1_3repE0EEENS1_47radix_sort_onesweep_sort_config_static_selectorELNS0_4arch9wavefront6targetE1EEEvSG_,comdat
	.protected	_ZN7rocprim17ROCPRIM_400000_NS6detail17trampoline_kernelINS0_14default_configENS1_35radix_sort_onesweep_config_selectorIhlEEZZNS1_29radix_sort_onesweep_iterationIS3_Lb0EPhS7_N6thrust23THRUST_200600_302600_NS10device_ptrIlEESB_jNS0_19identity_decomposerENS1_16block_id_wrapperIjLb0EEEEE10hipError_tT1_PNSt15iterator_traitsISG_E10value_typeET2_T3_PNSH_ISM_E10value_typeET4_T5_PSR_SS_PNS1_23onesweep_lookback_stateEbbT6_jjT7_P12ihipStream_tbENKUlT_T0_SG_SL_E_clIS7_S7_PlSB_EEDaSZ_S10_SG_SL_EUlSZ_E_NS1_11comp_targetILNS1_3genE6ELNS1_11target_archE950ELNS1_3gpuE13ELNS1_3repE0EEENS1_47radix_sort_onesweep_sort_config_static_selectorELNS0_4arch9wavefront6targetE1EEEvSG_ ; -- Begin function _ZN7rocprim17ROCPRIM_400000_NS6detail17trampoline_kernelINS0_14default_configENS1_35radix_sort_onesweep_config_selectorIhlEEZZNS1_29radix_sort_onesweep_iterationIS3_Lb0EPhS7_N6thrust23THRUST_200600_302600_NS10device_ptrIlEESB_jNS0_19identity_decomposerENS1_16block_id_wrapperIjLb0EEEEE10hipError_tT1_PNSt15iterator_traitsISG_E10value_typeET2_T3_PNSH_ISM_E10value_typeET4_T5_PSR_SS_PNS1_23onesweep_lookback_stateEbbT6_jjT7_P12ihipStream_tbENKUlT_T0_SG_SL_E_clIS7_S7_PlSB_EEDaSZ_S10_SG_SL_EUlSZ_E_NS1_11comp_targetILNS1_3genE6ELNS1_11target_archE950ELNS1_3gpuE13ELNS1_3repE0EEENS1_47radix_sort_onesweep_sort_config_static_selectorELNS0_4arch9wavefront6targetE1EEEvSG_
	.globl	_ZN7rocprim17ROCPRIM_400000_NS6detail17trampoline_kernelINS0_14default_configENS1_35radix_sort_onesweep_config_selectorIhlEEZZNS1_29radix_sort_onesweep_iterationIS3_Lb0EPhS7_N6thrust23THRUST_200600_302600_NS10device_ptrIlEESB_jNS0_19identity_decomposerENS1_16block_id_wrapperIjLb0EEEEE10hipError_tT1_PNSt15iterator_traitsISG_E10value_typeET2_T3_PNSH_ISM_E10value_typeET4_T5_PSR_SS_PNS1_23onesweep_lookback_stateEbbT6_jjT7_P12ihipStream_tbENKUlT_T0_SG_SL_E_clIS7_S7_PlSB_EEDaSZ_S10_SG_SL_EUlSZ_E_NS1_11comp_targetILNS1_3genE6ELNS1_11target_archE950ELNS1_3gpuE13ELNS1_3repE0EEENS1_47radix_sort_onesweep_sort_config_static_selectorELNS0_4arch9wavefront6targetE1EEEvSG_
	.p2align	8
	.type	_ZN7rocprim17ROCPRIM_400000_NS6detail17trampoline_kernelINS0_14default_configENS1_35radix_sort_onesweep_config_selectorIhlEEZZNS1_29radix_sort_onesweep_iterationIS3_Lb0EPhS7_N6thrust23THRUST_200600_302600_NS10device_ptrIlEESB_jNS0_19identity_decomposerENS1_16block_id_wrapperIjLb0EEEEE10hipError_tT1_PNSt15iterator_traitsISG_E10value_typeET2_T3_PNSH_ISM_E10value_typeET4_T5_PSR_SS_PNS1_23onesweep_lookback_stateEbbT6_jjT7_P12ihipStream_tbENKUlT_T0_SG_SL_E_clIS7_S7_PlSB_EEDaSZ_S10_SG_SL_EUlSZ_E_NS1_11comp_targetILNS1_3genE6ELNS1_11target_archE950ELNS1_3gpuE13ELNS1_3repE0EEENS1_47radix_sort_onesweep_sort_config_static_selectorELNS0_4arch9wavefront6targetE1EEEvSG_,@function
_ZN7rocprim17ROCPRIM_400000_NS6detail17trampoline_kernelINS0_14default_configENS1_35radix_sort_onesweep_config_selectorIhlEEZZNS1_29radix_sort_onesweep_iterationIS3_Lb0EPhS7_N6thrust23THRUST_200600_302600_NS10device_ptrIlEESB_jNS0_19identity_decomposerENS1_16block_id_wrapperIjLb0EEEEE10hipError_tT1_PNSt15iterator_traitsISG_E10value_typeET2_T3_PNSH_ISM_E10value_typeET4_T5_PSR_SS_PNS1_23onesweep_lookback_stateEbbT6_jjT7_P12ihipStream_tbENKUlT_T0_SG_SL_E_clIS7_S7_PlSB_EEDaSZ_S10_SG_SL_EUlSZ_E_NS1_11comp_targetILNS1_3genE6ELNS1_11target_archE950ELNS1_3gpuE13ELNS1_3repE0EEENS1_47radix_sort_onesweep_sort_config_static_selectorELNS0_4arch9wavefront6targetE1EEEvSG_: ; @_ZN7rocprim17ROCPRIM_400000_NS6detail17trampoline_kernelINS0_14default_configENS1_35radix_sort_onesweep_config_selectorIhlEEZZNS1_29radix_sort_onesweep_iterationIS3_Lb0EPhS7_N6thrust23THRUST_200600_302600_NS10device_ptrIlEESB_jNS0_19identity_decomposerENS1_16block_id_wrapperIjLb0EEEEE10hipError_tT1_PNSt15iterator_traitsISG_E10value_typeET2_T3_PNSH_ISM_E10value_typeET4_T5_PSR_SS_PNS1_23onesweep_lookback_stateEbbT6_jjT7_P12ihipStream_tbENKUlT_T0_SG_SL_E_clIS7_S7_PlSB_EEDaSZ_S10_SG_SL_EUlSZ_E_NS1_11comp_targetILNS1_3genE6ELNS1_11target_archE950ELNS1_3gpuE13ELNS1_3repE0EEENS1_47radix_sort_onesweep_sort_config_static_selectorELNS0_4arch9wavefront6targetE1EEEvSG_
; %bb.0:
	.section	.rodata,"a",@progbits
	.p2align	6, 0x0
	.amdhsa_kernel _ZN7rocprim17ROCPRIM_400000_NS6detail17trampoline_kernelINS0_14default_configENS1_35radix_sort_onesweep_config_selectorIhlEEZZNS1_29radix_sort_onesweep_iterationIS3_Lb0EPhS7_N6thrust23THRUST_200600_302600_NS10device_ptrIlEESB_jNS0_19identity_decomposerENS1_16block_id_wrapperIjLb0EEEEE10hipError_tT1_PNSt15iterator_traitsISG_E10value_typeET2_T3_PNSH_ISM_E10value_typeET4_T5_PSR_SS_PNS1_23onesweep_lookback_stateEbbT6_jjT7_P12ihipStream_tbENKUlT_T0_SG_SL_E_clIS7_S7_PlSB_EEDaSZ_S10_SG_SL_EUlSZ_E_NS1_11comp_targetILNS1_3genE6ELNS1_11target_archE950ELNS1_3gpuE13ELNS1_3repE0EEENS1_47radix_sort_onesweep_sort_config_static_selectorELNS0_4arch9wavefront6targetE1EEEvSG_
		.amdhsa_group_segment_fixed_size 0
		.amdhsa_private_segment_fixed_size 0
		.amdhsa_kernarg_size 88
		.amdhsa_user_sgpr_count 6
		.amdhsa_user_sgpr_private_segment_buffer 1
		.amdhsa_user_sgpr_dispatch_ptr 0
		.amdhsa_user_sgpr_queue_ptr 0
		.amdhsa_user_sgpr_kernarg_segment_ptr 1
		.amdhsa_user_sgpr_dispatch_id 0
		.amdhsa_user_sgpr_flat_scratch_init 0
		.amdhsa_user_sgpr_private_segment_size 0
		.amdhsa_uses_dynamic_stack 0
		.amdhsa_system_sgpr_private_segment_wavefront_offset 0
		.amdhsa_system_sgpr_workgroup_id_x 1
		.amdhsa_system_sgpr_workgroup_id_y 0
		.amdhsa_system_sgpr_workgroup_id_z 0
		.amdhsa_system_sgpr_workgroup_info 0
		.amdhsa_system_vgpr_workitem_id 0
		.amdhsa_next_free_vgpr 1
		.amdhsa_next_free_sgpr 0
		.amdhsa_reserve_vcc 0
		.amdhsa_reserve_flat_scratch 0
		.amdhsa_float_round_mode_32 0
		.amdhsa_float_round_mode_16_64 0
		.amdhsa_float_denorm_mode_32 3
		.amdhsa_float_denorm_mode_16_64 3
		.amdhsa_dx10_clamp 1
		.amdhsa_ieee_mode 1
		.amdhsa_fp16_overflow 0
		.amdhsa_exception_fp_ieee_invalid_op 0
		.amdhsa_exception_fp_denorm_src 0
		.amdhsa_exception_fp_ieee_div_zero 0
		.amdhsa_exception_fp_ieee_overflow 0
		.amdhsa_exception_fp_ieee_underflow 0
		.amdhsa_exception_fp_ieee_inexact 0
		.amdhsa_exception_int_div_zero 0
	.end_amdhsa_kernel
	.section	.text._ZN7rocprim17ROCPRIM_400000_NS6detail17trampoline_kernelINS0_14default_configENS1_35radix_sort_onesweep_config_selectorIhlEEZZNS1_29radix_sort_onesweep_iterationIS3_Lb0EPhS7_N6thrust23THRUST_200600_302600_NS10device_ptrIlEESB_jNS0_19identity_decomposerENS1_16block_id_wrapperIjLb0EEEEE10hipError_tT1_PNSt15iterator_traitsISG_E10value_typeET2_T3_PNSH_ISM_E10value_typeET4_T5_PSR_SS_PNS1_23onesweep_lookback_stateEbbT6_jjT7_P12ihipStream_tbENKUlT_T0_SG_SL_E_clIS7_S7_PlSB_EEDaSZ_S10_SG_SL_EUlSZ_E_NS1_11comp_targetILNS1_3genE6ELNS1_11target_archE950ELNS1_3gpuE13ELNS1_3repE0EEENS1_47radix_sort_onesweep_sort_config_static_selectorELNS0_4arch9wavefront6targetE1EEEvSG_,"axG",@progbits,_ZN7rocprim17ROCPRIM_400000_NS6detail17trampoline_kernelINS0_14default_configENS1_35radix_sort_onesweep_config_selectorIhlEEZZNS1_29radix_sort_onesweep_iterationIS3_Lb0EPhS7_N6thrust23THRUST_200600_302600_NS10device_ptrIlEESB_jNS0_19identity_decomposerENS1_16block_id_wrapperIjLb0EEEEE10hipError_tT1_PNSt15iterator_traitsISG_E10value_typeET2_T3_PNSH_ISM_E10value_typeET4_T5_PSR_SS_PNS1_23onesweep_lookback_stateEbbT6_jjT7_P12ihipStream_tbENKUlT_T0_SG_SL_E_clIS7_S7_PlSB_EEDaSZ_S10_SG_SL_EUlSZ_E_NS1_11comp_targetILNS1_3genE6ELNS1_11target_archE950ELNS1_3gpuE13ELNS1_3repE0EEENS1_47radix_sort_onesweep_sort_config_static_selectorELNS0_4arch9wavefront6targetE1EEEvSG_,comdat
.Lfunc_end310:
	.size	_ZN7rocprim17ROCPRIM_400000_NS6detail17trampoline_kernelINS0_14default_configENS1_35radix_sort_onesweep_config_selectorIhlEEZZNS1_29radix_sort_onesweep_iterationIS3_Lb0EPhS7_N6thrust23THRUST_200600_302600_NS10device_ptrIlEESB_jNS0_19identity_decomposerENS1_16block_id_wrapperIjLb0EEEEE10hipError_tT1_PNSt15iterator_traitsISG_E10value_typeET2_T3_PNSH_ISM_E10value_typeET4_T5_PSR_SS_PNS1_23onesweep_lookback_stateEbbT6_jjT7_P12ihipStream_tbENKUlT_T0_SG_SL_E_clIS7_S7_PlSB_EEDaSZ_S10_SG_SL_EUlSZ_E_NS1_11comp_targetILNS1_3genE6ELNS1_11target_archE950ELNS1_3gpuE13ELNS1_3repE0EEENS1_47radix_sort_onesweep_sort_config_static_selectorELNS0_4arch9wavefront6targetE1EEEvSG_, .Lfunc_end310-_ZN7rocprim17ROCPRIM_400000_NS6detail17trampoline_kernelINS0_14default_configENS1_35radix_sort_onesweep_config_selectorIhlEEZZNS1_29radix_sort_onesweep_iterationIS3_Lb0EPhS7_N6thrust23THRUST_200600_302600_NS10device_ptrIlEESB_jNS0_19identity_decomposerENS1_16block_id_wrapperIjLb0EEEEE10hipError_tT1_PNSt15iterator_traitsISG_E10value_typeET2_T3_PNSH_ISM_E10value_typeET4_T5_PSR_SS_PNS1_23onesweep_lookback_stateEbbT6_jjT7_P12ihipStream_tbENKUlT_T0_SG_SL_E_clIS7_S7_PlSB_EEDaSZ_S10_SG_SL_EUlSZ_E_NS1_11comp_targetILNS1_3genE6ELNS1_11target_archE950ELNS1_3gpuE13ELNS1_3repE0EEENS1_47radix_sort_onesweep_sort_config_static_selectorELNS0_4arch9wavefront6targetE1EEEvSG_
                                        ; -- End function
	.set _ZN7rocprim17ROCPRIM_400000_NS6detail17trampoline_kernelINS0_14default_configENS1_35radix_sort_onesweep_config_selectorIhlEEZZNS1_29radix_sort_onesweep_iterationIS3_Lb0EPhS7_N6thrust23THRUST_200600_302600_NS10device_ptrIlEESB_jNS0_19identity_decomposerENS1_16block_id_wrapperIjLb0EEEEE10hipError_tT1_PNSt15iterator_traitsISG_E10value_typeET2_T3_PNSH_ISM_E10value_typeET4_T5_PSR_SS_PNS1_23onesweep_lookback_stateEbbT6_jjT7_P12ihipStream_tbENKUlT_T0_SG_SL_E_clIS7_S7_PlSB_EEDaSZ_S10_SG_SL_EUlSZ_E_NS1_11comp_targetILNS1_3genE6ELNS1_11target_archE950ELNS1_3gpuE13ELNS1_3repE0EEENS1_47radix_sort_onesweep_sort_config_static_selectorELNS0_4arch9wavefront6targetE1EEEvSG_.num_vgpr, 0
	.set _ZN7rocprim17ROCPRIM_400000_NS6detail17trampoline_kernelINS0_14default_configENS1_35radix_sort_onesweep_config_selectorIhlEEZZNS1_29radix_sort_onesweep_iterationIS3_Lb0EPhS7_N6thrust23THRUST_200600_302600_NS10device_ptrIlEESB_jNS0_19identity_decomposerENS1_16block_id_wrapperIjLb0EEEEE10hipError_tT1_PNSt15iterator_traitsISG_E10value_typeET2_T3_PNSH_ISM_E10value_typeET4_T5_PSR_SS_PNS1_23onesweep_lookback_stateEbbT6_jjT7_P12ihipStream_tbENKUlT_T0_SG_SL_E_clIS7_S7_PlSB_EEDaSZ_S10_SG_SL_EUlSZ_E_NS1_11comp_targetILNS1_3genE6ELNS1_11target_archE950ELNS1_3gpuE13ELNS1_3repE0EEENS1_47radix_sort_onesweep_sort_config_static_selectorELNS0_4arch9wavefront6targetE1EEEvSG_.num_agpr, 0
	.set _ZN7rocprim17ROCPRIM_400000_NS6detail17trampoline_kernelINS0_14default_configENS1_35radix_sort_onesweep_config_selectorIhlEEZZNS1_29radix_sort_onesweep_iterationIS3_Lb0EPhS7_N6thrust23THRUST_200600_302600_NS10device_ptrIlEESB_jNS0_19identity_decomposerENS1_16block_id_wrapperIjLb0EEEEE10hipError_tT1_PNSt15iterator_traitsISG_E10value_typeET2_T3_PNSH_ISM_E10value_typeET4_T5_PSR_SS_PNS1_23onesweep_lookback_stateEbbT6_jjT7_P12ihipStream_tbENKUlT_T0_SG_SL_E_clIS7_S7_PlSB_EEDaSZ_S10_SG_SL_EUlSZ_E_NS1_11comp_targetILNS1_3genE6ELNS1_11target_archE950ELNS1_3gpuE13ELNS1_3repE0EEENS1_47radix_sort_onesweep_sort_config_static_selectorELNS0_4arch9wavefront6targetE1EEEvSG_.numbered_sgpr, 0
	.set _ZN7rocprim17ROCPRIM_400000_NS6detail17trampoline_kernelINS0_14default_configENS1_35radix_sort_onesweep_config_selectorIhlEEZZNS1_29radix_sort_onesweep_iterationIS3_Lb0EPhS7_N6thrust23THRUST_200600_302600_NS10device_ptrIlEESB_jNS0_19identity_decomposerENS1_16block_id_wrapperIjLb0EEEEE10hipError_tT1_PNSt15iterator_traitsISG_E10value_typeET2_T3_PNSH_ISM_E10value_typeET4_T5_PSR_SS_PNS1_23onesweep_lookback_stateEbbT6_jjT7_P12ihipStream_tbENKUlT_T0_SG_SL_E_clIS7_S7_PlSB_EEDaSZ_S10_SG_SL_EUlSZ_E_NS1_11comp_targetILNS1_3genE6ELNS1_11target_archE950ELNS1_3gpuE13ELNS1_3repE0EEENS1_47radix_sort_onesweep_sort_config_static_selectorELNS0_4arch9wavefront6targetE1EEEvSG_.num_named_barrier, 0
	.set _ZN7rocprim17ROCPRIM_400000_NS6detail17trampoline_kernelINS0_14default_configENS1_35radix_sort_onesweep_config_selectorIhlEEZZNS1_29radix_sort_onesweep_iterationIS3_Lb0EPhS7_N6thrust23THRUST_200600_302600_NS10device_ptrIlEESB_jNS0_19identity_decomposerENS1_16block_id_wrapperIjLb0EEEEE10hipError_tT1_PNSt15iterator_traitsISG_E10value_typeET2_T3_PNSH_ISM_E10value_typeET4_T5_PSR_SS_PNS1_23onesweep_lookback_stateEbbT6_jjT7_P12ihipStream_tbENKUlT_T0_SG_SL_E_clIS7_S7_PlSB_EEDaSZ_S10_SG_SL_EUlSZ_E_NS1_11comp_targetILNS1_3genE6ELNS1_11target_archE950ELNS1_3gpuE13ELNS1_3repE0EEENS1_47radix_sort_onesweep_sort_config_static_selectorELNS0_4arch9wavefront6targetE1EEEvSG_.private_seg_size, 0
	.set _ZN7rocprim17ROCPRIM_400000_NS6detail17trampoline_kernelINS0_14default_configENS1_35radix_sort_onesweep_config_selectorIhlEEZZNS1_29radix_sort_onesweep_iterationIS3_Lb0EPhS7_N6thrust23THRUST_200600_302600_NS10device_ptrIlEESB_jNS0_19identity_decomposerENS1_16block_id_wrapperIjLb0EEEEE10hipError_tT1_PNSt15iterator_traitsISG_E10value_typeET2_T3_PNSH_ISM_E10value_typeET4_T5_PSR_SS_PNS1_23onesweep_lookback_stateEbbT6_jjT7_P12ihipStream_tbENKUlT_T0_SG_SL_E_clIS7_S7_PlSB_EEDaSZ_S10_SG_SL_EUlSZ_E_NS1_11comp_targetILNS1_3genE6ELNS1_11target_archE950ELNS1_3gpuE13ELNS1_3repE0EEENS1_47radix_sort_onesweep_sort_config_static_selectorELNS0_4arch9wavefront6targetE1EEEvSG_.uses_vcc, 0
	.set _ZN7rocprim17ROCPRIM_400000_NS6detail17trampoline_kernelINS0_14default_configENS1_35radix_sort_onesweep_config_selectorIhlEEZZNS1_29radix_sort_onesweep_iterationIS3_Lb0EPhS7_N6thrust23THRUST_200600_302600_NS10device_ptrIlEESB_jNS0_19identity_decomposerENS1_16block_id_wrapperIjLb0EEEEE10hipError_tT1_PNSt15iterator_traitsISG_E10value_typeET2_T3_PNSH_ISM_E10value_typeET4_T5_PSR_SS_PNS1_23onesweep_lookback_stateEbbT6_jjT7_P12ihipStream_tbENKUlT_T0_SG_SL_E_clIS7_S7_PlSB_EEDaSZ_S10_SG_SL_EUlSZ_E_NS1_11comp_targetILNS1_3genE6ELNS1_11target_archE950ELNS1_3gpuE13ELNS1_3repE0EEENS1_47radix_sort_onesweep_sort_config_static_selectorELNS0_4arch9wavefront6targetE1EEEvSG_.uses_flat_scratch, 0
	.set _ZN7rocprim17ROCPRIM_400000_NS6detail17trampoline_kernelINS0_14default_configENS1_35radix_sort_onesweep_config_selectorIhlEEZZNS1_29radix_sort_onesweep_iterationIS3_Lb0EPhS7_N6thrust23THRUST_200600_302600_NS10device_ptrIlEESB_jNS0_19identity_decomposerENS1_16block_id_wrapperIjLb0EEEEE10hipError_tT1_PNSt15iterator_traitsISG_E10value_typeET2_T3_PNSH_ISM_E10value_typeET4_T5_PSR_SS_PNS1_23onesweep_lookback_stateEbbT6_jjT7_P12ihipStream_tbENKUlT_T0_SG_SL_E_clIS7_S7_PlSB_EEDaSZ_S10_SG_SL_EUlSZ_E_NS1_11comp_targetILNS1_3genE6ELNS1_11target_archE950ELNS1_3gpuE13ELNS1_3repE0EEENS1_47radix_sort_onesweep_sort_config_static_selectorELNS0_4arch9wavefront6targetE1EEEvSG_.has_dyn_sized_stack, 0
	.set _ZN7rocprim17ROCPRIM_400000_NS6detail17trampoline_kernelINS0_14default_configENS1_35radix_sort_onesweep_config_selectorIhlEEZZNS1_29radix_sort_onesweep_iterationIS3_Lb0EPhS7_N6thrust23THRUST_200600_302600_NS10device_ptrIlEESB_jNS0_19identity_decomposerENS1_16block_id_wrapperIjLb0EEEEE10hipError_tT1_PNSt15iterator_traitsISG_E10value_typeET2_T3_PNSH_ISM_E10value_typeET4_T5_PSR_SS_PNS1_23onesweep_lookback_stateEbbT6_jjT7_P12ihipStream_tbENKUlT_T0_SG_SL_E_clIS7_S7_PlSB_EEDaSZ_S10_SG_SL_EUlSZ_E_NS1_11comp_targetILNS1_3genE6ELNS1_11target_archE950ELNS1_3gpuE13ELNS1_3repE0EEENS1_47radix_sort_onesweep_sort_config_static_selectorELNS0_4arch9wavefront6targetE1EEEvSG_.has_recursion, 0
	.set _ZN7rocprim17ROCPRIM_400000_NS6detail17trampoline_kernelINS0_14default_configENS1_35radix_sort_onesweep_config_selectorIhlEEZZNS1_29radix_sort_onesweep_iterationIS3_Lb0EPhS7_N6thrust23THRUST_200600_302600_NS10device_ptrIlEESB_jNS0_19identity_decomposerENS1_16block_id_wrapperIjLb0EEEEE10hipError_tT1_PNSt15iterator_traitsISG_E10value_typeET2_T3_PNSH_ISM_E10value_typeET4_T5_PSR_SS_PNS1_23onesweep_lookback_stateEbbT6_jjT7_P12ihipStream_tbENKUlT_T0_SG_SL_E_clIS7_S7_PlSB_EEDaSZ_S10_SG_SL_EUlSZ_E_NS1_11comp_targetILNS1_3genE6ELNS1_11target_archE950ELNS1_3gpuE13ELNS1_3repE0EEENS1_47radix_sort_onesweep_sort_config_static_selectorELNS0_4arch9wavefront6targetE1EEEvSG_.has_indirect_call, 0
	.section	.AMDGPU.csdata,"",@progbits
; Kernel info:
; codeLenInByte = 0
; TotalNumSgprs: 4
; NumVgprs: 0
; ScratchSize: 0
; MemoryBound: 0
; FloatMode: 240
; IeeeMode: 1
; LDSByteSize: 0 bytes/workgroup (compile time only)
; SGPRBlocks: 0
; VGPRBlocks: 0
; NumSGPRsForWavesPerEU: 4
; NumVGPRsForWavesPerEU: 1
; Occupancy: 10
; WaveLimiterHint : 0
; COMPUTE_PGM_RSRC2:SCRATCH_EN: 0
; COMPUTE_PGM_RSRC2:USER_SGPR: 6
; COMPUTE_PGM_RSRC2:TRAP_HANDLER: 0
; COMPUTE_PGM_RSRC2:TGID_X_EN: 1
; COMPUTE_PGM_RSRC2:TGID_Y_EN: 0
; COMPUTE_PGM_RSRC2:TGID_Z_EN: 0
; COMPUTE_PGM_RSRC2:TIDIG_COMP_CNT: 0
	.section	.text._ZN7rocprim17ROCPRIM_400000_NS6detail17trampoline_kernelINS0_14default_configENS1_35radix_sort_onesweep_config_selectorIhlEEZZNS1_29radix_sort_onesweep_iterationIS3_Lb0EPhS7_N6thrust23THRUST_200600_302600_NS10device_ptrIlEESB_jNS0_19identity_decomposerENS1_16block_id_wrapperIjLb0EEEEE10hipError_tT1_PNSt15iterator_traitsISG_E10value_typeET2_T3_PNSH_ISM_E10value_typeET4_T5_PSR_SS_PNS1_23onesweep_lookback_stateEbbT6_jjT7_P12ihipStream_tbENKUlT_T0_SG_SL_E_clIS7_S7_PlSB_EEDaSZ_S10_SG_SL_EUlSZ_E_NS1_11comp_targetILNS1_3genE5ELNS1_11target_archE942ELNS1_3gpuE9ELNS1_3repE0EEENS1_47radix_sort_onesweep_sort_config_static_selectorELNS0_4arch9wavefront6targetE1EEEvSG_,"axG",@progbits,_ZN7rocprim17ROCPRIM_400000_NS6detail17trampoline_kernelINS0_14default_configENS1_35radix_sort_onesweep_config_selectorIhlEEZZNS1_29radix_sort_onesweep_iterationIS3_Lb0EPhS7_N6thrust23THRUST_200600_302600_NS10device_ptrIlEESB_jNS0_19identity_decomposerENS1_16block_id_wrapperIjLb0EEEEE10hipError_tT1_PNSt15iterator_traitsISG_E10value_typeET2_T3_PNSH_ISM_E10value_typeET4_T5_PSR_SS_PNS1_23onesweep_lookback_stateEbbT6_jjT7_P12ihipStream_tbENKUlT_T0_SG_SL_E_clIS7_S7_PlSB_EEDaSZ_S10_SG_SL_EUlSZ_E_NS1_11comp_targetILNS1_3genE5ELNS1_11target_archE942ELNS1_3gpuE9ELNS1_3repE0EEENS1_47radix_sort_onesweep_sort_config_static_selectorELNS0_4arch9wavefront6targetE1EEEvSG_,comdat
	.protected	_ZN7rocprim17ROCPRIM_400000_NS6detail17trampoline_kernelINS0_14default_configENS1_35radix_sort_onesweep_config_selectorIhlEEZZNS1_29radix_sort_onesweep_iterationIS3_Lb0EPhS7_N6thrust23THRUST_200600_302600_NS10device_ptrIlEESB_jNS0_19identity_decomposerENS1_16block_id_wrapperIjLb0EEEEE10hipError_tT1_PNSt15iterator_traitsISG_E10value_typeET2_T3_PNSH_ISM_E10value_typeET4_T5_PSR_SS_PNS1_23onesweep_lookback_stateEbbT6_jjT7_P12ihipStream_tbENKUlT_T0_SG_SL_E_clIS7_S7_PlSB_EEDaSZ_S10_SG_SL_EUlSZ_E_NS1_11comp_targetILNS1_3genE5ELNS1_11target_archE942ELNS1_3gpuE9ELNS1_3repE0EEENS1_47radix_sort_onesweep_sort_config_static_selectorELNS0_4arch9wavefront6targetE1EEEvSG_ ; -- Begin function _ZN7rocprim17ROCPRIM_400000_NS6detail17trampoline_kernelINS0_14default_configENS1_35radix_sort_onesweep_config_selectorIhlEEZZNS1_29radix_sort_onesweep_iterationIS3_Lb0EPhS7_N6thrust23THRUST_200600_302600_NS10device_ptrIlEESB_jNS0_19identity_decomposerENS1_16block_id_wrapperIjLb0EEEEE10hipError_tT1_PNSt15iterator_traitsISG_E10value_typeET2_T3_PNSH_ISM_E10value_typeET4_T5_PSR_SS_PNS1_23onesweep_lookback_stateEbbT6_jjT7_P12ihipStream_tbENKUlT_T0_SG_SL_E_clIS7_S7_PlSB_EEDaSZ_S10_SG_SL_EUlSZ_E_NS1_11comp_targetILNS1_3genE5ELNS1_11target_archE942ELNS1_3gpuE9ELNS1_3repE0EEENS1_47radix_sort_onesweep_sort_config_static_selectorELNS0_4arch9wavefront6targetE1EEEvSG_
	.globl	_ZN7rocprim17ROCPRIM_400000_NS6detail17trampoline_kernelINS0_14default_configENS1_35radix_sort_onesweep_config_selectorIhlEEZZNS1_29radix_sort_onesweep_iterationIS3_Lb0EPhS7_N6thrust23THRUST_200600_302600_NS10device_ptrIlEESB_jNS0_19identity_decomposerENS1_16block_id_wrapperIjLb0EEEEE10hipError_tT1_PNSt15iterator_traitsISG_E10value_typeET2_T3_PNSH_ISM_E10value_typeET4_T5_PSR_SS_PNS1_23onesweep_lookback_stateEbbT6_jjT7_P12ihipStream_tbENKUlT_T0_SG_SL_E_clIS7_S7_PlSB_EEDaSZ_S10_SG_SL_EUlSZ_E_NS1_11comp_targetILNS1_3genE5ELNS1_11target_archE942ELNS1_3gpuE9ELNS1_3repE0EEENS1_47radix_sort_onesweep_sort_config_static_selectorELNS0_4arch9wavefront6targetE1EEEvSG_
	.p2align	8
	.type	_ZN7rocprim17ROCPRIM_400000_NS6detail17trampoline_kernelINS0_14default_configENS1_35radix_sort_onesweep_config_selectorIhlEEZZNS1_29radix_sort_onesweep_iterationIS3_Lb0EPhS7_N6thrust23THRUST_200600_302600_NS10device_ptrIlEESB_jNS0_19identity_decomposerENS1_16block_id_wrapperIjLb0EEEEE10hipError_tT1_PNSt15iterator_traitsISG_E10value_typeET2_T3_PNSH_ISM_E10value_typeET4_T5_PSR_SS_PNS1_23onesweep_lookback_stateEbbT6_jjT7_P12ihipStream_tbENKUlT_T0_SG_SL_E_clIS7_S7_PlSB_EEDaSZ_S10_SG_SL_EUlSZ_E_NS1_11comp_targetILNS1_3genE5ELNS1_11target_archE942ELNS1_3gpuE9ELNS1_3repE0EEENS1_47radix_sort_onesweep_sort_config_static_selectorELNS0_4arch9wavefront6targetE1EEEvSG_,@function
_ZN7rocprim17ROCPRIM_400000_NS6detail17trampoline_kernelINS0_14default_configENS1_35radix_sort_onesweep_config_selectorIhlEEZZNS1_29radix_sort_onesweep_iterationIS3_Lb0EPhS7_N6thrust23THRUST_200600_302600_NS10device_ptrIlEESB_jNS0_19identity_decomposerENS1_16block_id_wrapperIjLb0EEEEE10hipError_tT1_PNSt15iterator_traitsISG_E10value_typeET2_T3_PNSH_ISM_E10value_typeET4_T5_PSR_SS_PNS1_23onesweep_lookback_stateEbbT6_jjT7_P12ihipStream_tbENKUlT_T0_SG_SL_E_clIS7_S7_PlSB_EEDaSZ_S10_SG_SL_EUlSZ_E_NS1_11comp_targetILNS1_3genE5ELNS1_11target_archE942ELNS1_3gpuE9ELNS1_3repE0EEENS1_47radix_sort_onesweep_sort_config_static_selectorELNS0_4arch9wavefront6targetE1EEEvSG_: ; @_ZN7rocprim17ROCPRIM_400000_NS6detail17trampoline_kernelINS0_14default_configENS1_35radix_sort_onesweep_config_selectorIhlEEZZNS1_29radix_sort_onesweep_iterationIS3_Lb0EPhS7_N6thrust23THRUST_200600_302600_NS10device_ptrIlEESB_jNS0_19identity_decomposerENS1_16block_id_wrapperIjLb0EEEEE10hipError_tT1_PNSt15iterator_traitsISG_E10value_typeET2_T3_PNSH_ISM_E10value_typeET4_T5_PSR_SS_PNS1_23onesweep_lookback_stateEbbT6_jjT7_P12ihipStream_tbENKUlT_T0_SG_SL_E_clIS7_S7_PlSB_EEDaSZ_S10_SG_SL_EUlSZ_E_NS1_11comp_targetILNS1_3genE5ELNS1_11target_archE942ELNS1_3gpuE9ELNS1_3repE0EEENS1_47radix_sort_onesweep_sort_config_static_selectorELNS0_4arch9wavefront6targetE1EEEvSG_
; %bb.0:
	.section	.rodata,"a",@progbits
	.p2align	6, 0x0
	.amdhsa_kernel _ZN7rocprim17ROCPRIM_400000_NS6detail17trampoline_kernelINS0_14default_configENS1_35radix_sort_onesweep_config_selectorIhlEEZZNS1_29radix_sort_onesweep_iterationIS3_Lb0EPhS7_N6thrust23THRUST_200600_302600_NS10device_ptrIlEESB_jNS0_19identity_decomposerENS1_16block_id_wrapperIjLb0EEEEE10hipError_tT1_PNSt15iterator_traitsISG_E10value_typeET2_T3_PNSH_ISM_E10value_typeET4_T5_PSR_SS_PNS1_23onesweep_lookback_stateEbbT6_jjT7_P12ihipStream_tbENKUlT_T0_SG_SL_E_clIS7_S7_PlSB_EEDaSZ_S10_SG_SL_EUlSZ_E_NS1_11comp_targetILNS1_3genE5ELNS1_11target_archE942ELNS1_3gpuE9ELNS1_3repE0EEENS1_47radix_sort_onesweep_sort_config_static_selectorELNS0_4arch9wavefront6targetE1EEEvSG_
		.amdhsa_group_segment_fixed_size 0
		.amdhsa_private_segment_fixed_size 0
		.amdhsa_kernarg_size 88
		.amdhsa_user_sgpr_count 6
		.amdhsa_user_sgpr_private_segment_buffer 1
		.amdhsa_user_sgpr_dispatch_ptr 0
		.amdhsa_user_sgpr_queue_ptr 0
		.amdhsa_user_sgpr_kernarg_segment_ptr 1
		.amdhsa_user_sgpr_dispatch_id 0
		.amdhsa_user_sgpr_flat_scratch_init 0
		.amdhsa_user_sgpr_private_segment_size 0
		.amdhsa_uses_dynamic_stack 0
		.amdhsa_system_sgpr_private_segment_wavefront_offset 0
		.amdhsa_system_sgpr_workgroup_id_x 1
		.amdhsa_system_sgpr_workgroup_id_y 0
		.amdhsa_system_sgpr_workgroup_id_z 0
		.amdhsa_system_sgpr_workgroup_info 0
		.amdhsa_system_vgpr_workitem_id 0
		.amdhsa_next_free_vgpr 1
		.amdhsa_next_free_sgpr 0
		.amdhsa_reserve_vcc 0
		.amdhsa_reserve_flat_scratch 0
		.amdhsa_float_round_mode_32 0
		.amdhsa_float_round_mode_16_64 0
		.amdhsa_float_denorm_mode_32 3
		.amdhsa_float_denorm_mode_16_64 3
		.amdhsa_dx10_clamp 1
		.amdhsa_ieee_mode 1
		.amdhsa_fp16_overflow 0
		.amdhsa_exception_fp_ieee_invalid_op 0
		.amdhsa_exception_fp_denorm_src 0
		.amdhsa_exception_fp_ieee_div_zero 0
		.amdhsa_exception_fp_ieee_overflow 0
		.amdhsa_exception_fp_ieee_underflow 0
		.amdhsa_exception_fp_ieee_inexact 0
		.amdhsa_exception_int_div_zero 0
	.end_amdhsa_kernel
	.section	.text._ZN7rocprim17ROCPRIM_400000_NS6detail17trampoline_kernelINS0_14default_configENS1_35radix_sort_onesweep_config_selectorIhlEEZZNS1_29radix_sort_onesweep_iterationIS3_Lb0EPhS7_N6thrust23THRUST_200600_302600_NS10device_ptrIlEESB_jNS0_19identity_decomposerENS1_16block_id_wrapperIjLb0EEEEE10hipError_tT1_PNSt15iterator_traitsISG_E10value_typeET2_T3_PNSH_ISM_E10value_typeET4_T5_PSR_SS_PNS1_23onesweep_lookback_stateEbbT6_jjT7_P12ihipStream_tbENKUlT_T0_SG_SL_E_clIS7_S7_PlSB_EEDaSZ_S10_SG_SL_EUlSZ_E_NS1_11comp_targetILNS1_3genE5ELNS1_11target_archE942ELNS1_3gpuE9ELNS1_3repE0EEENS1_47radix_sort_onesweep_sort_config_static_selectorELNS0_4arch9wavefront6targetE1EEEvSG_,"axG",@progbits,_ZN7rocprim17ROCPRIM_400000_NS6detail17trampoline_kernelINS0_14default_configENS1_35radix_sort_onesweep_config_selectorIhlEEZZNS1_29radix_sort_onesweep_iterationIS3_Lb0EPhS7_N6thrust23THRUST_200600_302600_NS10device_ptrIlEESB_jNS0_19identity_decomposerENS1_16block_id_wrapperIjLb0EEEEE10hipError_tT1_PNSt15iterator_traitsISG_E10value_typeET2_T3_PNSH_ISM_E10value_typeET4_T5_PSR_SS_PNS1_23onesweep_lookback_stateEbbT6_jjT7_P12ihipStream_tbENKUlT_T0_SG_SL_E_clIS7_S7_PlSB_EEDaSZ_S10_SG_SL_EUlSZ_E_NS1_11comp_targetILNS1_3genE5ELNS1_11target_archE942ELNS1_3gpuE9ELNS1_3repE0EEENS1_47radix_sort_onesweep_sort_config_static_selectorELNS0_4arch9wavefront6targetE1EEEvSG_,comdat
.Lfunc_end311:
	.size	_ZN7rocprim17ROCPRIM_400000_NS6detail17trampoline_kernelINS0_14default_configENS1_35radix_sort_onesweep_config_selectorIhlEEZZNS1_29radix_sort_onesweep_iterationIS3_Lb0EPhS7_N6thrust23THRUST_200600_302600_NS10device_ptrIlEESB_jNS0_19identity_decomposerENS1_16block_id_wrapperIjLb0EEEEE10hipError_tT1_PNSt15iterator_traitsISG_E10value_typeET2_T3_PNSH_ISM_E10value_typeET4_T5_PSR_SS_PNS1_23onesweep_lookback_stateEbbT6_jjT7_P12ihipStream_tbENKUlT_T0_SG_SL_E_clIS7_S7_PlSB_EEDaSZ_S10_SG_SL_EUlSZ_E_NS1_11comp_targetILNS1_3genE5ELNS1_11target_archE942ELNS1_3gpuE9ELNS1_3repE0EEENS1_47radix_sort_onesweep_sort_config_static_selectorELNS0_4arch9wavefront6targetE1EEEvSG_, .Lfunc_end311-_ZN7rocprim17ROCPRIM_400000_NS6detail17trampoline_kernelINS0_14default_configENS1_35radix_sort_onesweep_config_selectorIhlEEZZNS1_29radix_sort_onesweep_iterationIS3_Lb0EPhS7_N6thrust23THRUST_200600_302600_NS10device_ptrIlEESB_jNS0_19identity_decomposerENS1_16block_id_wrapperIjLb0EEEEE10hipError_tT1_PNSt15iterator_traitsISG_E10value_typeET2_T3_PNSH_ISM_E10value_typeET4_T5_PSR_SS_PNS1_23onesweep_lookback_stateEbbT6_jjT7_P12ihipStream_tbENKUlT_T0_SG_SL_E_clIS7_S7_PlSB_EEDaSZ_S10_SG_SL_EUlSZ_E_NS1_11comp_targetILNS1_3genE5ELNS1_11target_archE942ELNS1_3gpuE9ELNS1_3repE0EEENS1_47radix_sort_onesweep_sort_config_static_selectorELNS0_4arch9wavefront6targetE1EEEvSG_
                                        ; -- End function
	.set _ZN7rocprim17ROCPRIM_400000_NS6detail17trampoline_kernelINS0_14default_configENS1_35radix_sort_onesweep_config_selectorIhlEEZZNS1_29radix_sort_onesweep_iterationIS3_Lb0EPhS7_N6thrust23THRUST_200600_302600_NS10device_ptrIlEESB_jNS0_19identity_decomposerENS1_16block_id_wrapperIjLb0EEEEE10hipError_tT1_PNSt15iterator_traitsISG_E10value_typeET2_T3_PNSH_ISM_E10value_typeET4_T5_PSR_SS_PNS1_23onesweep_lookback_stateEbbT6_jjT7_P12ihipStream_tbENKUlT_T0_SG_SL_E_clIS7_S7_PlSB_EEDaSZ_S10_SG_SL_EUlSZ_E_NS1_11comp_targetILNS1_3genE5ELNS1_11target_archE942ELNS1_3gpuE9ELNS1_3repE0EEENS1_47radix_sort_onesweep_sort_config_static_selectorELNS0_4arch9wavefront6targetE1EEEvSG_.num_vgpr, 0
	.set _ZN7rocprim17ROCPRIM_400000_NS6detail17trampoline_kernelINS0_14default_configENS1_35radix_sort_onesweep_config_selectorIhlEEZZNS1_29radix_sort_onesweep_iterationIS3_Lb0EPhS7_N6thrust23THRUST_200600_302600_NS10device_ptrIlEESB_jNS0_19identity_decomposerENS1_16block_id_wrapperIjLb0EEEEE10hipError_tT1_PNSt15iterator_traitsISG_E10value_typeET2_T3_PNSH_ISM_E10value_typeET4_T5_PSR_SS_PNS1_23onesweep_lookback_stateEbbT6_jjT7_P12ihipStream_tbENKUlT_T0_SG_SL_E_clIS7_S7_PlSB_EEDaSZ_S10_SG_SL_EUlSZ_E_NS1_11comp_targetILNS1_3genE5ELNS1_11target_archE942ELNS1_3gpuE9ELNS1_3repE0EEENS1_47radix_sort_onesweep_sort_config_static_selectorELNS0_4arch9wavefront6targetE1EEEvSG_.num_agpr, 0
	.set _ZN7rocprim17ROCPRIM_400000_NS6detail17trampoline_kernelINS0_14default_configENS1_35radix_sort_onesweep_config_selectorIhlEEZZNS1_29radix_sort_onesweep_iterationIS3_Lb0EPhS7_N6thrust23THRUST_200600_302600_NS10device_ptrIlEESB_jNS0_19identity_decomposerENS1_16block_id_wrapperIjLb0EEEEE10hipError_tT1_PNSt15iterator_traitsISG_E10value_typeET2_T3_PNSH_ISM_E10value_typeET4_T5_PSR_SS_PNS1_23onesweep_lookback_stateEbbT6_jjT7_P12ihipStream_tbENKUlT_T0_SG_SL_E_clIS7_S7_PlSB_EEDaSZ_S10_SG_SL_EUlSZ_E_NS1_11comp_targetILNS1_3genE5ELNS1_11target_archE942ELNS1_3gpuE9ELNS1_3repE0EEENS1_47radix_sort_onesweep_sort_config_static_selectorELNS0_4arch9wavefront6targetE1EEEvSG_.numbered_sgpr, 0
	.set _ZN7rocprim17ROCPRIM_400000_NS6detail17trampoline_kernelINS0_14default_configENS1_35radix_sort_onesweep_config_selectorIhlEEZZNS1_29radix_sort_onesweep_iterationIS3_Lb0EPhS7_N6thrust23THRUST_200600_302600_NS10device_ptrIlEESB_jNS0_19identity_decomposerENS1_16block_id_wrapperIjLb0EEEEE10hipError_tT1_PNSt15iterator_traitsISG_E10value_typeET2_T3_PNSH_ISM_E10value_typeET4_T5_PSR_SS_PNS1_23onesweep_lookback_stateEbbT6_jjT7_P12ihipStream_tbENKUlT_T0_SG_SL_E_clIS7_S7_PlSB_EEDaSZ_S10_SG_SL_EUlSZ_E_NS1_11comp_targetILNS1_3genE5ELNS1_11target_archE942ELNS1_3gpuE9ELNS1_3repE0EEENS1_47radix_sort_onesweep_sort_config_static_selectorELNS0_4arch9wavefront6targetE1EEEvSG_.num_named_barrier, 0
	.set _ZN7rocprim17ROCPRIM_400000_NS6detail17trampoline_kernelINS0_14default_configENS1_35radix_sort_onesweep_config_selectorIhlEEZZNS1_29radix_sort_onesweep_iterationIS3_Lb0EPhS7_N6thrust23THRUST_200600_302600_NS10device_ptrIlEESB_jNS0_19identity_decomposerENS1_16block_id_wrapperIjLb0EEEEE10hipError_tT1_PNSt15iterator_traitsISG_E10value_typeET2_T3_PNSH_ISM_E10value_typeET4_T5_PSR_SS_PNS1_23onesweep_lookback_stateEbbT6_jjT7_P12ihipStream_tbENKUlT_T0_SG_SL_E_clIS7_S7_PlSB_EEDaSZ_S10_SG_SL_EUlSZ_E_NS1_11comp_targetILNS1_3genE5ELNS1_11target_archE942ELNS1_3gpuE9ELNS1_3repE0EEENS1_47radix_sort_onesweep_sort_config_static_selectorELNS0_4arch9wavefront6targetE1EEEvSG_.private_seg_size, 0
	.set _ZN7rocprim17ROCPRIM_400000_NS6detail17trampoline_kernelINS0_14default_configENS1_35radix_sort_onesweep_config_selectorIhlEEZZNS1_29radix_sort_onesweep_iterationIS3_Lb0EPhS7_N6thrust23THRUST_200600_302600_NS10device_ptrIlEESB_jNS0_19identity_decomposerENS1_16block_id_wrapperIjLb0EEEEE10hipError_tT1_PNSt15iterator_traitsISG_E10value_typeET2_T3_PNSH_ISM_E10value_typeET4_T5_PSR_SS_PNS1_23onesweep_lookback_stateEbbT6_jjT7_P12ihipStream_tbENKUlT_T0_SG_SL_E_clIS7_S7_PlSB_EEDaSZ_S10_SG_SL_EUlSZ_E_NS1_11comp_targetILNS1_3genE5ELNS1_11target_archE942ELNS1_3gpuE9ELNS1_3repE0EEENS1_47radix_sort_onesweep_sort_config_static_selectorELNS0_4arch9wavefront6targetE1EEEvSG_.uses_vcc, 0
	.set _ZN7rocprim17ROCPRIM_400000_NS6detail17trampoline_kernelINS0_14default_configENS1_35radix_sort_onesweep_config_selectorIhlEEZZNS1_29radix_sort_onesweep_iterationIS3_Lb0EPhS7_N6thrust23THRUST_200600_302600_NS10device_ptrIlEESB_jNS0_19identity_decomposerENS1_16block_id_wrapperIjLb0EEEEE10hipError_tT1_PNSt15iterator_traitsISG_E10value_typeET2_T3_PNSH_ISM_E10value_typeET4_T5_PSR_SS_PNS1_23onesweep_lookback_stateEbbT6_jjT7_P12ihipStream_tbENKUlT_T0_SG_SL_E_clIS7_S7_PlSB_EEDaSZ_S10_SG_SL_EUlSZ_E_NS1_11comp_targetILNS1_3genE5ELNS1_11target_archE942ELNS1_3gpuE9ELNS1_3repE0EEENS1_47radix_sort_onesweep_sort_config_static_selectorELNS0_4arch9wavefront6targetE1EEEvSG_.uses_flat_scratch, 0
	.set _ZN7rocprim17ROCPRIM_400000_NS6detail17trampoline_kernelINS0_14default_configENS1_35radix_sort_onesweep_config_selectorIhlEEZZNS1_29radix_sort_onesweep_iterationIS3_Lb0EPhS7_N6thrust23THRUST_200600_302600_NS10device_ptrIlEESB_jNS0_19identity_decomposerENS1_16block_id_wrapperIjLb0EEEEE10hipError_tT1_PNSt15iterator_traitsISG_E10value_typeET2_T3_PNSH_ISM_E10value_typeET4_T5_PSR_SS_PNS1_23onesweep_lookback_stateEbbT6_jjT7_P12ihipStream_tbENKUlT_T0_SG_SL_E_clIS7_S7_PlSB_EEDaSZ_S10_SG_SL_EUlSZ_E_NS1_11comp_targetILNS1_3genE5ELNS1_11target_archE942ELNS1_3gpuE9ELNS1_3repE0EEENS1_47radix_sort_onesweep_sort_config_static_selectorELNS0_4arch9wavefront6targetE1EEEvSG_.has_dyn_sized_stack, 0
	.set _ZN7rocprim17ROCPRIM_400000_NS6detail17trampoline_kernelINS0_14default_configENS1_35radix_sort_onesweep_config_selectorIhlEEZZNS1_29radix_sort_onesweep_iterationIS3_Lb0EPhS7_N6thrust23THRUST_200600_302600_NS10device_ptrIlEESB_jNS0_19identity_decomposerENS1_16block_id_wrapperIjLb0EEEEE10hipError_tT1_PNSt15iterator_traitsISG_E10value_typeET2_T3_PNSH_ISM_E10value_typeET4_T5_PSR_SS_PNS1_23onesweep_lookback_stateEbbT6_jjT7_P12ihipStream_tbENKUlT_T0_SG_SL_E_clIS7_S7_PlSB_EEDaSZ_S10_SG_SL_EUlSZ_E_NS1_11comp_targetILNS1_3genE5ELNS1_11target_archE942ELNS1_3gpuE9ELNS1_3repE0EEENS1_47radix_sort_onesweep_sort_config_static_selectorELNS0_4arch9wavefront6targetE1EEEvSG_.has_recursion, 0
	.set _ZN7rocprim17ROCPRIM_400000_NS6detail17trampoline_kernelINS0_14default_configENS1_35radix_sort_onesweep_config_selectorIhlEEZZNS1_29radix_sort_onesweep_iterationIS3_Lb0EPhS7_N6thrust23THRUST_200600_302600_NS10device_ptrIlEESB_jNS0_19identity_decomposerENS1_16block_id_wrapperIjLb0EEEEE10hipError_tT1_PNSt15iterator_traitsISG_E10value_typeET2_T3_PNSH_ISM_E10value_typeET4_T5_PSR_SS_PNS1_23onesweep_lookback_stateEbbT6_jjT7_P12ihipStream_tbENKUlT_T0_SG_SL_E_clIS7_S7_PlSB_EEDaSZ_S10_SG_SL_EUlSZ_E_NS1_11comp_targetILNS1_3genE5ELNS1_11target_archE942ELNS1_3gpuE9ELNS1_3repE0EEENS1_47radix_sort_onesweep_sort_config_static_selectorELNS0_4arch9wavefront6targetE1EEEvSG_.has_indirect_call, 0
	.section	.AMDGPU.csdata,"",@progbits
; Kernel info:
; codeLenInByte = 0
; TotalNumSgprs: 4
; NumVgprs: 0
; ScratchSize: 0
; MemoryBound: 0
; FloatMode: 240
; IeeeMode: 1
; LDSByteSize: 0 bytes/workgroup (compile time only)
; SGPRBlocks: 0
; VGPRBlocks: 0
; NumSGPRsForWavesPerEU: 4
; NumVGPRsForWavesPerEU: 1
; Occupancy: 10
; WaveLimiterHint : 0
; COMPUTE_PGM_RSRC2:SCRATCH_EN: 0
; COMPUTE_PGM_RSRC2:USER_SGPR: 6
; COMPUTE_PGM_RSRC2:TRAP_HANDLER: 0
; COMPUTE_PGM_RSRC2:TGID_X_EN: 1
; COMPUTE_PGM_RSRC2:TGID_Y_EN: 0
; COMPUTE_PGM_RSRC2:TGID_Z_EN: 0
; COMPUTE_PGM_RSRC2:TIDIG_COMP_CNT: 0
	.section	.text._ZN7rocprim17ROCPRIM_400000_NS6detail17trampoline_kernelINS0_14default_configENS1_35radix_sort_onesweep_config_selectorIhlEEZZNS1_29radix_sort_onesweep_iterationIS3_Lb0EPhS7_N6thrust23THRUST_200600_302600_NS10device_ptrIlEESB_jNS0_19identity_decomposerENS1_16block_id_wrapperIjLb0EEEEE10hipError_tT1_PNSt15iterator_traitsISG_E10value_typeET2_T3_PNSH_ISM_E10value_typeET4_T5_PSR_SS_PNS1_23onesweep_lookback_stateEbbT6_jjT7_P12ihipStream_tbENKUlT_T0_SG_SL_E_clIS7_S7_PlSB_EEDaSZ_S10_SG_SL_EUlSZ_E_NS1_11comp_targetILNS1_3genE2ELNS1_11target_archE906ELNS1_3gpuE6ELNS1_3repE0EEENS1_47radix_sort_onesweep_sort_config_static_selectorELNS0_4arch9wavefront6targetE1EEEvSG_,"axG",@progbits,_ZN7rocprim17ROCPRIM_400000_NS6detail17trampoline_kernelINS0_14default_configENS1_35radix_sort_onesweep_config_selectorIhlEEZZNS1_29radix_sort_onesweep_iterationIS3_Lb0EPhS7_N6thrust23THRUST_200600_302600_NS10device_ptrIlEESB_jNS0_19identity_decomposerENS1_16block_id_wrapperIjLb0EEEEE10hipError_tT1_PNSt15iterator_traitsISG_E10value_typeET2_T3_PNSH_ISM_E10value_typeET4_T5_PSR_SS_PNS1_23onesweep_lookback_stateEbbT6_jjT7_P12ihipStream_tbENKUlT_T0_SG_SL_E_clIS7_S7_PlSB_EEDaSZ_S10_SG_SL_EUlSZ_E_NS1_11comp_targetILNS1_3genE2ELNS1_11target_archE906ELNS1_3gpuE6ELNS1_3repE0EEENS1_47radix_sort_onesweep_sort_config_static_selectorELNS0_4arch9wavefront6targetE1EEEvSG_,comdat
	.protected	_ZN7rocprim17ROCPRIM_400000_NS6detail17trampoline_kernelINS0_14default_configENS1_35radix_sort_onesweep_config_selectorIhlEEZZNS1_29radix_sort_onesweep_iterationIS3_Lb0EPhS7_N6thrust23THRUST_200600_302600_NS10device_ptrIlEESB_jNS0_19identity_decomposerENS1_16block_id_wrapperIjLb0EEEEE10hipError_tT1_PNSt15iterator_traitsISG_E10value_typeET2_T3_PNSH_ISM_E10value_typeET4_T5_PSR_SS_PNS1_23onesweep_lookback_stateEbbT6_jjT7_P12ihipStream_tbENKUlT_T0_SG_SL_E_clIS7_S7_PlSB_EEDaSZ_S10_SG_SL_EUlSZ_E_NS1_11comp_targetILNS1_3genE2ELNS1_11target_archE906ELNS1_3gpuE6ELNS1_3repE0EEENS1_47radix_sort_onesweep_sort_config_static_selectorELNS0_4arch9wavefront6targetE1EEEvSG_ ; -- Begin function _ZN7rocprim17ROCPRIM_400000_NS6detail17trampoline_kernelINS0_14default_configENS1_35radix_sort_onesweep_config_selectorIhlEEZZNS1_29radix_sort_onesweep_iterationIS3_Lb0EPhS7_N6thrust23THRUST_200600_302600_NS10device_ptrIlEESB_jNS0_19identity_decomposerENS1_16block_id_wrapperIjLb0EEEEE10hipError_tT1_PNSt15iterator_traitsISG_E10value_typeET2_T3_PNSH_ISM_E10value_typeET4_T5_PSR_SS_PNS1_23onesweep_lookback_stateEbbT6_jjT7_P12ihipStream_tbENKUlT_T0_SG_SL_E_clIS7_S7_PlSB_EEDaSZ_S10_SG_SL_EUlSZ_E_NS1_11comp_targetILNS1_3genE2ELNS1_11target_archE906ELNS1_3gpuE6ELNS1_3repE0EEENS1_47radix_sort_onesweep_sort_config_static_selectorELNS0_4arch9wavefront6targetE1EEEvSG_
	.globl	_ZN7rocprim17ROCPRIM_400000_NS6detail17trampoline_kernelINS0_14default_configENS1_35radix_sort_onesweep_config_selectorIhlEEZZNS1_29radix_sort_onesweep_iterationIS3_Lb0EPhS7_N6thrust23THRUST_200600_302600_NS10device_ptrIlEESB_jNS0_19identity_decomposerENS1_16block_id_wrapperIjLb0EEEEE10hipError_tT1_PNSt15iterator_traitsISG_E10value_typeET2_T3_PNSH_ISM_E10value_typeET4_T5_PSR_SS_PNS1_23onesweep_lookback_stateEbbT6_jjT7_P12ihipStream_tbENKUlT_T0_SG_SL_E_clIS7_S7_PlSB_EEDaSZ_S10_SG_SL_EUlSZ_E_NS1_11comp_targetILNS1_3genE2ELNS1_11target_archE906ELNS1_3gpuE6ELNS1_3repE0EEENS1_47radix_sort_onesweep_sort_config_static_selectorELNS0_4arch9wavefront6targetE1EEEvSG_
	.p2align	8
	.type	_ZN7rocprim17ROCPRIM_400000_NS6detail17trampoline_kernelINS0_14default_configENS1_35radix_sort_onesweep_config_selectorIhlEEZZNS1_29radix_sort_onesweep_iterationIS3_Lb0EPhS7_N6thrust23THRUST_200600_302600_NS10device_ptrIlEESB_jNS0_19identity_decomposerENS1_16block_id_wrapperIjLb0EEEEE10hipError_tT1_PNSt15iterator_traitsISG_E10value_typeET2_T3_PNSH_ISM_E10value_typeET4_T5_PSR_SS_PNS1_23onesweep_lookback_stateEbbT6_jjT7_P12ihipStream_tbENKUlT_T0_SG_SL_E_clIS7_S7_PlSB_EEDaSZ_S10_SG_SL_EUlSZ_E_NS1_11comp_targetILNS1_3genE2ELNS1_11target_archE906ELNS1_3gpuE6ELNS1_3repE0EEENS1_47radix_sort_onesweep_sort_config_static_selectorELNS0_4arch9wavefront6targetE1EEEvSG_,@function
_ZN7rocprim17ROCPRIM_400000_NS6detail17trampoline_kernelINS0_14default_configENS1_35radix_sort_onesweep_config_selectorIhlEEZZNS1_29radix_sort_onesweep_iterationIS3_Lb0EPhS7_N6thrust23THRUST_200600_302600_NS10device_ptrIlEESB_jNS0_19identity_decomposerENS1_16block_id_wrapperIjLb0EEEEE10hipError_tT1_PNSt15iterator_traitsISG_E10value_typeET2_T3_PNSH_ISM_E10value_typeET4_T5_PSR_SS_PNS1_23onesweep_lookback_stateEbbT6_jjT7_P12ihipStream_tbENKUlT_T0_SG_SL_E_clIS7_S7_PlSB_EEDaSZ_S10_SG_SL_EUlSZ_E_NS1_11comp_targetILNS1_3genE2ELNS1_11target_archE906ELNS1_3gpuE6ELNS1_3repE0EEENS1_47radix_sort_onesweep_sort_config_static_selectorELNS0_4arch9wavefront6targetE1EEEvSG_: ; @_ZN7rocprim17ROCPRIM_400000_NS6detail17trampoline_kernelINS0_14default_configENS1_35radix_sort_onesweep_config_selectorIhlEEZZNS1_29radix_sort_onesweep_iterationIS3_Lb0EPhS7_N6thrust23THRUST_200600_302600_NS10device_ptrIlEESB_jNS0_19identity_decomposerENS1_16block_id_wrapperIjLb0EEEEE10hipError_tT1_PNSt15iterator_traitsISG_E10value_typeET2_T3_PNSH_ISM_E10value_typeET4_T5_PSR_SS_PNS1_23onesweep_lookback_stateEbbT6_jjT7_P12ihipStream_tbENKUlT_T0_SG_SL_E_clIS7_S7_PlSB_EEDaSZ_S10_SG_SL_EUlSZ_E_NS1_11comp_targetILNS1_3genE2ELNS1_11target_archE906ELNS1_3gpuE6ELNS1_3repE0EEENS1_47radix_sort_onesweep_sort_config_static_selectorELNS0_4arch9wavefront6targetE1EEEvSG_
; %bb.0:
	s_add_u32 s0, s0, s7
	s_load_dwordx4 s[40:43], s[4:5], 0x44
	s_load_dwordx8 s[24:31], s[4:5], 0x0
	s_load_dwordx4 s[36:39], s[4:5], 0x28
	s_load_dwordx2 s[44:45], s[4:5], 0x38
	s_addc_u32 s1, s1, 0
	s_mov_b64 s[8:9], -1
	s_waitcnt lgkmcnt(0)
	s_cmp_ge_u32 s6, s42
	s_mul_i32 s34, s6, 0xc00
	v_mbcnt_lo_u32_b32 v17, -1, 0
	s_cbranch_scc0 .LBB312_78
; %bb.1:
	s_load_dword s7, s[4:5], 0x20
	s_mul_i32 s8, s42, 0xfffff400
	v_mbcnt_hi_u32_b32 v13, -1, v17
	v_and_b32_e32 v10, 63, v13
	v_and_b32_e32 v16, 0x1c0, v0
	s_waitcnt lgkmcnt(0)
	s_add_i32 s7, s7, s8
	s_add_u32 s8, s24, s34
	s_addc_u32 s9, s25, 0
	v_mov_b32_e32 v3, s9
	v_add_co_u32_e32 v4, vcc, s8, v10
	v_mul_u32_u24_e32 v9, 6, v16
	v_addc_co_u32_e32 v5, vcc, 0, v3, vcc
	v_add_co_u32_e32 v3, vcc, v4, v9
	v_addc_co_u32_e32 v4, vcc, 0, v5, vcc
	v_or_b32_e32 v6, v10, v9
	s_mov_b32 s35, 0
	v_cmp_gt_u32_e32 vcc, s7, v6
	v_mov_b32_e32 v5, 0xff
	v_mov_b32_e32 v7, 0xff
	;; [unrolled: 1-line block ×3, first 2 shown]
	s_and_saveexec_b64 s[8:9], vcc
	s_cbranch_execz .LBB312_3
; %bb.2:
	global_load_ubyte v8, v[3:4], off
	s_waitcnt vmcnt(0)
	v_and_b32_e32 v5, 0xff, v8
.LBB312_3:
	s_or_b64 exec, exec, s[8:9]
	v_or_b32_e32 v11, 64, v6
	v_cmp_gt_u32_e64 s[20:21], s7, v11
	v_mov_b32_e32 v18, 0xff
	s_and_saveexec_b64 s[8:9], s[20:21]
	s_cbranch_execz .LBB312_5
; %bb.4:
	global_load_ubyte v7, v[3:4], off offset:64
	s_waitcnt vmcnt(0)
	v_and_b32_e32 v18, 0xff, v7
.LBB312_5:
	s_or_b64 exec, exec, s[8:9]
	v_add_u32_e32 v11, 0x80, v6
	v_cmp_gt_u32_e64 s[8:9], s7, v11
	v_mov_b32_e32 v20, 0xff
	v_mov_b32_e32 v11, 0xff
	;; [unrolled: 1-line block ×3, first 2 shown]
	s_and_saveexec_b64 s[10:11], s[8:9]
	s_cbranch_execz .LBB312_7
; %bb.6:
	global_load_ubyte v12, v[3:4], off offset:128
	s_waitcnt vmcnt(0)
	v_and_b32_e32 v20, 0xff, v12
.LBB312_7:
	s_or_b64 exec, exec, s[10:11]
	v_add_u32_e32 v14, 0xc0, v6
	v_cmp_gt_u32_e64 s[10:11], s7, v14
	v_mov_b32_e32 v23, 0xff
	s_and_saveexec_b64 s[12:13], s[10:11]
	s_cbranch_execz .LBB312_9
; %bb.8:
	global_load_ubyte v11, v[3:4], off offset:192
	s_waitcnt vmcnt(0)
	v_and_b32_e32 v23, 0xff, v11
.LBB312_9:
	s_or_b64 exec, exec, s[12:13]
	v_add_u32_e32 v14, 0x100, v6
	v_cmp_gt_u32_e64 s[12:13], s7, v14
	v_mov_b32_e32 v26, 0xff
	v_mov_b32_e32 v14, 0xff
	v_mov_b32_e32 v15, 0xff
	s_and_saveexec_b64 s[14:15], s[12:13]
	s_cbranch_execz .LBB312_11
; %bb.10:
	global_load_ubyte v15, v[3:4], off offset:256
	s_waitcnt vmcnt(0)
	v_and_b32_e32 v26, 0xff, v15
.LBB312_11:
	s_or_b64 exec, exec, s[14:15]
	v_add_u32_e32 v6, 0x140, v6
	v_cmp_gt_u32_e64 s[14:15], s7, v6
	v_mov_b32_e32 v6, 0xff
	s_and_saveexec_b64 s[16:17], s[14:15]
	s_cbranch_execz .LBB312_13
; %bb.12:
	global_load_ubyte v14, v[3:4], off offset:320
	s_waitcnt vmcnt(0)
	v_and_b32_e32 v6, 0xff, v14
.LBB312_13:
	s_or_b64 exec, exec, s[16:17]
	s_load_dword s16, s[4:5], 0x64
	s_load_dword s33, s[4:5], 0x58
	s_add_u32 s17, s4, 0x58
	s_addc_u32 s18, s5, 0
	v_mov_b32_e32 v3, 0
	s_waitcnt lgkmcnt(0)
	s_lshr_b32 s19, s16, 16
	s_cmp_lt_u32 s6, s33
	s_cselect_b32 s16, 12, 18
	s_add_u32 s16, s17, s16
	s_addc_u32 s17, s18, 0
	global_load_ushort v19, v3, s[16:17]
	s_lshl_b32 s16, -1, s41
	v_lshrrev_b32_e32 v4, s40, v5
	s_not_b32 s50, s16
	v_and_b32_e32 v22, s50, v4
	v_and_b32_e32 v24, 1, v22
	v_add_co_u32_e64 v25, s[16:17], -1, v24
	v_lshlrev_b32_e32 v4, 30, v22
	v_addc_co_u32_e64 v28, s[16:17], 0, -1, s[16:17]
	v_mad_u32_u24 v5, v2, s19, v1
	v_cmp_ne_u32_e64 s[16:17], 0, v24
	v_cmp_gt_i64_e64 s[18:19], 0, v[3:4]
	v_not_b32_e32 v24, v4
	v_lshlrev_b32_e32 v4, 29, v22
	v_xor_b32_e32 v28, s17, v28
	v_xor_b32_e32 v25, s16, v25
	v_ashrrev_i32_e32 v24, 31, v24
	v_cmp_gt_i64_e64 s[16:17], 0, v[3:4]
	v_not_b32_e32 v29, v4
	v_lshlrev_b32_e32 v4, 28, v22
	v_and_b32_e32 v28, exec_hi, v28
	v_and_b32_e32 v25, exec_lo, v25
	v_xor_b32_e32 v30, s19, v24
	v_xor_b32_e32 v24, s18, v24
	v_ashrrev_i32_e32 v29, 31, v29
	v_cmp_gt_i64_e64 s[18:19], 0, v[3:4]
	v_not_b32_e32 v31, v4
	v_lshlrev_b32_e32 v4, 27, v22
	v_and_b32_e32 v28, v28, v30
	v_and_b32_e32 v24, v25, v24
	v_xor_b32_e32 v25, s17, v29
	v_xor_b32_e32 v29, s16, v29
	v_ashrrev_i32_e32 v30, 31, v31
	v_cmp_gt_i64_e64 s[16:17], 0, v[3:4]
	v_not_b32_e32 v31, v4
	v_lshlrev_b32_e32 v4, 26, v22
	v_and_b32_e32 v25, v28, v25
	v_and_b32_e32 v24, v24, v29
	;; [unrolled: 8-line block ×3, first 2 shown]
	v_xor_b32_e32 v28, s17, v30
	v_xor_b32_e32 v29, s16, v30
	v_ashrrev_i32_e32 v30, 31, v31
	v_cmp_gt_i64_e64 s[16:17], 0, v[3:4]
	v_not_b32_e32 v31, v4
	v_mul_u32_u24_e32 v27, 36, v22
	v_lshlrev_b32_e32 v4, 24, v22
	v_and_b32_e32 v22, v25, v28
	v_and_b32_e32 v24, v24, v29
	v_xor_b32_e32 v25, s19, v30
	v_xor_b32_e32 v28, s18, v30
	v_ashrrev_i32_e32 v29, 31, v31
	v_and_b32_e32 v22, v22, v25
	v_and_b32_e32 v24, v24, v28
	v_xor_b32_e32 v25, s17, v29
	v_xor_b32_e32 v28, s16, v29
	v_and_b32_e32 v22, v22, v25
	v_and_b32_e32 v28, v24, v28
	v_cmp_gt_i64_e64 s[18:19], 0, v[3:4]
	v_not_b32_e32 v4, v4
	v_ashrrev_i32_e32 v4, 31, v4
	v_xor_b32_e32 v29, s19, v4
	v_xor_b32_e32 v4, s18, v4
	v_and_b32_e32 v4, v28, v4
	v_mul_u32_u24_e32 v21, 20, v0
	ds_write2_b32 v21, v3, v3 offset0:8 offset1:9
	ds_write2_b32 v21, v3, v3 offset0:10 offset1:11
	ds_write_b32 v21, v3 offset:48
	s_waitcnt vmcnt(0) lgkmcnt(0)
	s_barrier
	; wave barrier
	v_mad_u64_u32 v[24:25], s[16:17], v5, v19, v[0:1]
	v_and_b32_e32 v5, v22, v29
	v_cmp_ne_u64_e64 s[16:17], 0, v[4:5]
	v_lshrrev_b32_e32 v19, 4, v24
	v_and_b32_e32 v31, 0xffffffc, v19
	v_mbcnt_lo_u32_b32 v19, v4, 0
	v_mbcnt_hi_u32_b32 v24, v5, v19
	v_cmp_eq_u32_e64 s[18:19], 0, v24
	s_and_b64 s[18:19], s[16:17], s[18:19]
	v_add_u32_e32 v27, v31, v27
	s_and_saveexec_b64 s[16:17], s[18:19]
; %bb.14:
	v_bcnt_u32_b32 v4, v4, 0
	v_bcnt_u32_b32 v4, v5, v4
	ds_write_b32 v27, v4 offset:32
; %bb.15:
	s_or_b64 exec, exec, s[16:17]
	v_lshrrev_b32_e32 v4, s40, v18
	v_and_b32_e32 v5, s50, v4
	v_mad_u32_u24 v4, v5, 36, v31
	; wave barrier
	ds_read_b32 v18, v4 offset:32
	v_and_b32_e32 v4, 1, v5
	v_add_co_u32_e64 v19, s[16:17], -1, v4
	v_addc_co_u32_e64 v25, s[16:17], 0, -1, s[16:17]
	v_cmp_ne_u32_e64 s[16:17], 0, v4
	v_xor_b32_e32 v4, s17, v25
	v_and_b32_e32 v25, exec_hi, v4
	v_lshlrev_b32_e32 v4, 30, v5
	v_xor_b32_e32 v19, s16, v19
	v_cmp_gt_i64_e64 s[16:17], 0, v[3:4]
	v_not_b32_e32 v4, v4
	v_ashrrev_i32_e32 v4, 31, v4
	v_and_b32_e32 v19, exec_lo, v19
	v_xor_b32_e32 v28, s17, v4
	v_xor_b32_e32 v4, s16, v4
	v_and_b32_e32 v19, v19, v4
	v_lshlrev_b32_e32 v4, 29, v5
	v_cmp_gt_i64_e64 s[16:17], 0, v[3:4]
	v_not_b32_e32 v4, v4
	v_ashrrev_i32_e32 v4, 31, v4
	v_and_b32_e32 v25, v25, v28
	v_xor_b32_e32 v28, s17, v4
	v_xor_b32_e32 v4, s16, v4
	v_and_b32_e32 v19, v19, v4
	v_lshlrev_b32_e32 v4, 28, v5
	v_cmp_gt_i64_e64 s[16:17], 0, v[3:4]
	v_not_b32_e32 v4, v4
	v_ashrrev_i32_e32 v4, 31, v4
	v_and_b32_e32 v25, v25, v28
	;; [unrolled: 8-line block ×5, first 2 shown]
	v_xor_b32_e32 v28, s17, v4
	v_xor_b32_e32 v4, s16, v4
	v_and_b32_e32 v19, v19, v4
	v_lshlrev_b32_e32 v4, 24, v5
	v_cmp_gt_i64_e64 s[16:17], 0, v[3:4]
	v_not_b32_e32 v3, v4
	v_ashrrev_i32_e32 v3, 31, v3
	v_xor_b32_e32 v4, s17, v3
	v_xor_b32_e32 v3, s16, v3
	v_and_b32_e32 v25, v25, v28
	v_and_b32_e32 v3, v19, v3
	v_mul_u32_u24_e32 v22, 36, v5
	v_and_b32_e32 v4, v25, v4
	v_mbcnt_lo_u32_b32 v5, v3, 0
	v_mbcnt_hi_u32_b32 v19, v4, v5
	v_cmp_ne_u64_e64 s[16:17], 0, v[3:4]
	v_cmp_eq_u32_e64 s[18:19], 0, v19
	s_and_b64 s[18:19], s[16:17], s[18:19]
	v_add_u32_e32 v30, v31, v22
	; wave barrier
	s_and_saveexec_b64 s[16:17], s[18:19]
	s_cbranch_execz .LBB312_17
; %bb.16:
	v_bcnt_u32_b32 v3, v3, 0
	v_bcnt_u32_b32 v3, v4, v3
	s_waitcnt lgkmcnt(0)
	v_add_u32_e32 v3, v18, v3
	ds_write_b32 v30, v3 offset:32
.LBB312_17:
	s_or_b64 exec, exec, s[16:17]
	v_lshrrev_b32_e32 v3, s40, v20
	v_and_b32_e32 v5, s50, v3
	v_and_b32_e32 v4, 1, v5
	v_add_co_u32_e64 v22, s[16:17], -1, v4
	v_addc_co_u32_e64 v28, s[16:17], 0, -1, s[16:17]
	v_cmp_ne_u32_e64 s[16:17], 0, v4
	v_mad_u32_u24 v3, v5, 36, v31
	v_xor_b32_e32 v4, s17, v28
	; wave barrier
	ds_read_b32 v20, v3 offset:32
	v_mov_b32_e32 v3, 0
	v_and_b32_e32 v28, exec_hi, v4
	v_lshlrev_b32_e32 v4, 30, v5
	v_xor_b32_e32 v22, s16, v22
	v_cmp_gt_i64_e64 s[16:17], 0, v[3:4]
	v_not_b32_e32 v4, v4
	v_ashrrev_i32_e32 v4, 31, v4
	v_and_b32_e32 v22, exec_lo, v22
	v_xor_b32_e32 v29, s17, v4
	v_xor_b32_e32 v4, s16, v4
	v_and_b32_e32 v22, v22, v4
	v_lshlrev_b32_e32 v4, 29, v5
	v_cmp_gt_i64_e64 s[16:17], 0, v[3:4]
	v_not_b32_e32 v4, v4
	v_ashrrev_i32_e32 v4, 31, v4
	v_and_b32_e32 v28, v28, v29
	v_xor_b32_e32 v29, s17, v4
	v_xor_b32_e32 v4, s16, v4
	v_and_b32_e32 v22, v22, v4
	v_lshlrev_b32_e32 v4, 28, v5
	v_cmp_gt_i64_e64 s[16:17], 0, v[3:4]
	v_not_b32_e32 v4, v4
	v_ashrrev_i32_e32 v4, 31, v4
	v_and_b32_e32 v28, v28, v29
	;; [unrolled: 8-line block ×5, first 2 shown]
	v_xor_b32_e32 v29, s17, v4
	v_xor_b32_e32 v4, s16, v4
	v_and_b32_e32 v22, v22, v4
	v_lshlrev_b32_e32 v4, 24, v5
	v_cmp_gt_i64_e64 s[16:17], 0, v[3:4]
	v_not_b32_e32 v4, v4
	v_ashrrev_i32_e32 v4, 31, v4
	v_mul_u32_u24_e32 v25, 36, v5
	v_xor_b32_e32 v5, s17, v4
	v_xor_b32_e32 v4, s16, v4
	v_and_b32_e32 v28, v28, v29
	v_and_b32_e32 v4, v22, v4
	;; [unrolled: 1-line block ×3, first 2 shown]
	v_mbcnt_lo_u32_b32 v22, v4, 0
	v_mbcnt_hi_u32_b32 v22, v5, v22
	v_cmp_ne_u64_e64 s[16:17], 0, v[4:5]
	v_cmp_eq_u32_e64 s[18:19], 0, v22
	s_and_b64 s[18:19], s[16:17], s[18:19]
	v_add_u32_e32 v33, v31, v25
	; wave barrier
	s_and_saveexec_b64 s[16:17], s[18:19]
	s_cbranch_execz .LBB312_19
; %bb.18:
	v_bcnt_u32_b32 v4, v4, 0
	v_bcnt_u32_b32 v4, v5, v4
	s_waitcnt lgkmcnt(0)
	v_add_u32_e32 v4, v20, v4
	ds_write_b32 v33, v4 offset:32
.LBB312_19:
	s_or_b64 exec, exec, s[16:17]
	v_lshrrev_b32_e32 v4, s40, v23
	v_and_b32_e32 v5, s50, v4
	v_mad_u32_u24 v4, v5, 36, v31
	; wave barrier
	ds_read_b32 v23, v4 offset:32
	v_and_b32_e32 v4, 1, v5
	v_add_co_u32_e64 v25, s[16:17], -1, v4
	v_addc_co_u32_e64 v29, s[16:17], 0, -1, s[16:17]
	v_cmp_ne_u32_e64 s[16:17], 0, v4
	v_xor_b32_e32 v4, s17, v29
	v_and_b32_e32 v29, exec_hi, v4
	v_lshlrev_b32_e32 v4, 30, v5
	v_xor_b32_e32 v25, s16, v25
	v_cmp_gt_i64_e64 s[16:17], 0, v[3:4]
	v_not_b32_e32 v4, v4
	v_ashrrev_i32_e32 v4, 31, v4
	v_and_b32_e32 v25, exec_lo, v25
	v_xor_b32_e32 v32, s17, v4
	v_xor_b32_e32 v4, s16, v4
	v_and_b32_e32 v25, v25, v4
	v_lshlrev_b32_e32 v4, 29, v5
	v_cmp_gt_i64_e64 s[16:17], 0, v[3:4]
	v_not_b32_e32 v4, v4
	v_ashrrev_i32_e32 v4, 31, v4
	v_and_b32_e32 v29, v29, v32
	v_xor_b32_e32 v32, s17, v4
	v_xor_b32_e32 v4, s16, v4
	v_and_b32_e32 v25, v25, v4
	v_lshlrev_b32_e32 v4, 28, v5
	v_cmp_gt_i64_e64 s[16:17], 0, v[3:4]
	v_not_b32_e32 v4, v4
	v_ashrrev_i32_e32 v4, 31, v4
	v_and_b32_e32 v29, v29, v32
	;; [unrolled: 8-line block ×5, first 2 shown]
	v_xor_b32_e32 v32, s17, v4
	v_xor_b32_e32 v4, s16, v4
	v_and_b32_e32 v25, v25, v4
	v_lshlrev_b32_e32 v4, 24, v5
	v_cmp_gt_i64_e64 s[16:17], 0, v[3:4]
	v_not_b32_e32 v3, v4
	v_ashrrev_i32_e32 v3, 31, v3
	v_xor_b32_e32 v4, s17, v3
	v_xor_b32_e32 v3, s16, v3
	v_and_b32_e32 v29, v29, v32
	v_and_b32_e32 v3, v25, v3
	v_mul_u32_u24_e32 v28, 36, v5
	v_and_b32_e32 v4, v29, v4
	v_mbcnt_lo_u32_b32 v5, v3, 0
	v_mbcnt_hi_u32_b32 v25, v4, v5
	v_cmp_ne_u64_e64 s[16:17], 0, v[3:4]
	v_cmp_eq_u32_e64 s[18:19], 0, v25
	s_and_b64 s[18:19], s[16:17], s[18:19]
	v_add_u32_e32 v34, v31, v28
	; wave barrier
	s_and_saveexec_b64 s[16:17], s[18:19]
	s_cbranch_execz .LBB312_21
; %bb.20:
	v_bcnt_u32_b32 v3, v3, 0
	v_bcnt_u32_b32 v3, v4, v3
	s_waitcnt lgkmcnt(0)
	v_add_u32_e32 v3, v23, v3
	ds_write_b32 v34, v3 offset:32
.LBB312_21:
	s_or_b64 exec, exec, s[16:17]
	v_lshrrev_b32_e32 v3, s40, v26
	v_and_b32_e32 v5, s50, v3
	v_and_b32_e32 v4, 1, v5
	v_add_co_u32_e64 v28, s[16:17], -1, v4
	v_addc_co_u32_e64 v32, s[16:17], 0, -1, s[16:17]
	v_cmp_ne_u32_e64 s[16:17], 0, v4
	v_mad_u32_u24 v3, v5, 36, v31
	v_xor_b32_e32 v4, s17, v32
	; wave barrier
	ds_read_b32 v26, v3 offset:32
	v_mov_b32_e32 v3, 0
	v_and_b32_e32 v32, exec_hi, v4
	v_lshlrev_b32_e32 v4, 30, v5
	v_xor_b32_e32 v28, s16, v28
	v_cmp_gt_i64_e64 s[16:17], 0, v[3:4]
	v_not_b32_e32 v4, v4
	v_ashrrev_i32_e32 v4, 31, v4
	v_and_b32_e32 v28, exec_lo, v28
	v_xor_b32_e32 v35, s17, v4
	v_xor_b32_e32 v4, s16, v4
	v_and_b32_e32 v28, v28, v4
	v_lshlrev_b32_e32 v4, 29, v5
	v_cmp_gt_i64_e64 s[16:17], 0, v[3:4]
	v_not_b32_e32 v4, v4
	v_ashrrev_i32_e32 v4, 31, v4
	v_and_b32_e32 v32, v32, v35
	v_xor_b32_e32 v35, s17, v4
	v_xor_b32_e32 v4, s16, v4
	v_and_b32_e32 v28, v28, v4
	v_lshlrev_b32_e32 v4, 28, v5
	v_cmp_gt_i64_e64 s[16:17], 0, v[3:4]
	v_not_b32_e32 v4, v4
	v_ashrrev_i32_e32 v4, 31, v4
	v_and_b32_e32 v32, v32, v35
	;; [unrolled: 8-line block ×5, first 2 shown]
	v_xor_b32_e32 v35, s17, v4
	v_xor_b32_e32 v4, s16, v4
	v_and_b32_e32 v28, v28, v4
	v_lshlrev_b32_e32 v4, 24, v5
	v_cmp_gt_i64_e64 s[16:17], 0, v[3:4]
	v_not_b32_e32 v4, v4
	v_ashrrev_i32_e32 v4, 31, v4
	v_mul_u32_u24_e32 v29, 36, v5
	v_xor_b32_e32 v5, s17, v4
	v_xor_b32_e32 v4, s16, v4
	v_and_b32_e32 v32, v32, v35
	v_and_b32_e32 v4, v28, v4
	;; [unrolled: 1-line block ×3, first 2 shown]
	v_mbcnt_lo_u32_b32 v28, v4, 0
	v_mbcnt_hi_u32_b32 v28, v5, v28
	v_cmp_ne_u64_e64 s[16:17], 0, v[4:5]
	v_cmp_eq_u32_e64 s[18:19], 0, v28
	s_and_b64 s[18:19], s[16:17], s[18:19]
	v_add_u32_e32 v35, v31, v29
	; wave barrier
	s_and_saveexec_b64 s[16:17], s[18:19]
	s_cbranch_execz .LBB312_23
; %bb.22:
	v_bcnt_u32_b32 v4, v4, 0
	v_bcnt_u32_b32 v4, v5, v4
	s_waitcnt lgkmcnt(0)
	v_add_u32_e32 v4, v26, v4
	ds_write_b32 v35, v4 offset:32
.LBB312_23:
	s_or_b64 exec, exec, s[16:17]
	v_lshrrev_b32_e32 v4, s40, v6
	v_and_b32_e32 v5, s50, v4
	v_mad_u32_u24 v4, v5, 36, v31
	; wave barrier
	ds_read_b32 v29, v4 offset:32
	v_and_b32_e32 v4, 1, v5
	v_add_co_u32_e64 v32, s[16:17], -1, v4
	v_addc_co_u32_e64 v36, s[16:17], 0, -1, s[16:17]
	v_cmp_ne_u32_e64 s[16:17], 0, v4
	v_xor_b32_e32 v4, s17, v36
	v_and_b32_e32 v36, exec_hi, v4
	v_lshlrev_b32_e32 v4, 30, v5
	v_xor_b32_e32 v32, s16, v32
	v_cmp_gt_i64_e64 s[16:17], 0, v[3:4]
	v_not_b32_e32 v4, v4
	v_ashrrev_i32_e32 v4, 31, v4
	v_and_b32_e32 v32, exec_lo, v32
	v_xor_b32_e32 v37, s17, v4
	v_xor_b32_e32 v4, s16, v4
	v_and_b32_e32 v32, v32, v4
	v_lshlrev_b32_e32 v4, 29, v5
	v_cmp_gt_i64_e64 s[16:17], 0, v[3:4]
	v_not_b32_e32 v4, v4
	v_ashrrev_i32_e32 v4, 31, v4
	v_and_b32_e32 v36, v36, v37
	v_xor_b32_e32 v37, s17, v4
	v_xor_b32_e32 v4, s16, v4
	v_and_b32_e32 v32, v32, v4
	v_lshlrev_b32_e32 v4, 28, v5
	v_cmp_gt_i64_e64 s[16:17], 0, v[3:4]
	v_not_b32_e32 v4, v4
	v_ashrrev_i32_e32 v4, 31, v4
	v_and_b32_e32 v36, v36, v37
	;; [unrolled: 8-line block ×5, first 2 shown]
	v_xor_b32_e32 v37, s17, v4
	v_xor_b32_e32 v4, s16, v4
	v_and_b32_e32 v32, v32, v4
	v_lshlrev_b32_e32 v4, 24, v5
	v_cmp_gt_i64_e64 s[16:17], 0, v[3:4]
	v_not_b32_e32 v3, v4
	v_ashrrev_i32_e32 v3, 31, v3
	v_xor_b32_e32 v4, s17, v3
	v_xor_b32_e32 v3, s16, v3
	v_and_b32_e32 v36, v36, v37
	v_and_b32_e32 v3, v32, v3
	v_mul_u32_u24_e32 v6, 36, v5
	v_and_b32_e32 v4, v36, v4
	v_mbcnt_lo_u32_b32 v5, v3, 0
	v_mbcnt_hi_u32_b32 v32, v4, v5
	v_cmp_ne_u64_e64 s[16:17], 0, v[3:4]
	v_cmp_eq_u32_e64 s[18:19], 0, v32
	s_and_b64 s[18:19], s[16:17], s[18:19]
	v_add_u32_e32 v36, v31, v6
	; wave barrier
	s_and_saveexec_b64 s[16:17], s[18:19]
	s_cbranch_execz .LBB312_25
; %bb.24:
	v_bcnt_u32_b32 v3, v3, 0
	v_bcnt_u32_b32 v3, v4, v3
	s_waitcnt lgkmcnt(0)
	v_add_u32_e32 v3, v29, v3
	ds_write_b32 v36, v3 offset:32
.LBB312_25:
	s_or_b64 exec, exec, s[16:17]
	; wave barrier
	s_waitcnt lgkmcnt(0)
	s_barrier
	ds_read2_b32 v[5:6], v21 offset0:8 offset1:9
	ds_read2_b32 v[3:4], v21 offset0:10 offset1:11
	ds_read_b32 v31, v21 offset:48
	v_min_u32_e32 v16, 0x1c0, v16
	v_or_b32_e32 v16, 63, v16
	s_waitcnt lgkmcnt(1)
	v_add3_u32 v37, v6, v5, v3
	s_waitcnt lgkmcnt(0)
	v_add3_u32 v31, v37, v4, v31
	v_and_b32_e32 v37, 15, v13
	v_cmp_ne_u32_e64 s[16:17], 0, v37
	v_mov_b32_dpp v38, v31 row_shr:1 row_mask:0xf bank_mask:0xf
	v_cndmask_b32_e64 v38, 0, v38, s[16:17]
	v_add_u32_e32 v31, v38, v31
	v_cmp_lt_u32_e64 s[16:17], 1, v37
	s_nop 0
	v_mov_b32_dpp v38, v31 row_shr:2 row_mask:0xf bank_mask:0xf
	v_cndmask_b32_e64 v38, 0, v38, s[16:17]
	v_add_u32_e32 v31, v31, v38
	v_cmp_lt_u32_e64 s[16:17], 3, v37
	s_nop 0
	;; [unrolled: 5-line block ×3, first 2 shown]
	v_mov_b32_dpp v38, v31 row_shr:8 row_mask:0xf bank_mask:0xf
	v_cndmask_b32_e64 v37, 0, v38, s[16:17]
	v_add_u32_e32 v31, v31, v37
	v_bfe_i32 v38, v13, 4, 1
	v_cmp_lt_u32_e64 s[16:17], 31, v13
	v_mov_b32_dpp v37, v31 row_bcast:15 row_mask:0xf bank_mask:0xf
	v_and_b32_e32 v37, v38, v37
	v_add_u32_e32 v31, v31, v37
	s_nop 1
	v_mov_b32_dpp v37, v31 row_bcast:31 row_mask:0xf bank_mask:0xf
	v_cndmask_b32_e64 v37, 0, v37, s[16:17]
	v_add_u32_e32 v31, v31, v37
	v_lshrrev_b32_e32 v37, 6, v0
	v_cmp_eq_u32_e64 s[16:17], v0, v16
	s_and_saveexec_b64 s[18:19], s[16:17]
; %bb.26:
	v_lshlrev_b32_e32 v16, 2, v37
	ds_write_b32 v16, v31
; %bb.27:
	s_or_b64 exec, exec, s[18:19]
	v_cmp_gt_u32_e64 s[16:17], 8, v0
	s_waitcnt lgkmcnt(0)
	s_barrier
	s_and_saveexec_b64 s[22:23], s[16:17]
	s_cbranch_execz .LBB312_29
; %bb.28:
	v_lshlrev_b32_e32 v16, 2, v0
	ds_read_b32 v38, v16
	v_and_b32_e32 v39, 7, v13
	v_cmp_ne_u32_e64 s[16:17], 0, v39
	v_cmp_lt_u32_e64 s[18:19], 1, v39
	s_waitcnt lgkmcnt(0)
	v_mov_b32_dpp v40, v38 row_shr:1 row_mask:0xf bank_mask:0xf
	v_cndmask_b32_e64 v40, 0, v40, s[16:17]
	v_add_u32_e32 v38, v40, v38
	v_cmp_lt_u32_e64 s[16:17], 3, v39
	s_nop 0
	v_mov_b32_dpp v40, v38 row_shr:2 row_mask:0xf bank_mask:0xf
	v_cndmask_b32_e64 v40, 0, v40, s[18:19]
	v_add_u32_e32 v38, v38, v40
	s_nop 1
	v_mov_b32_dpp v40, v38 row_shr:4 row_mask:0xf bank_mask:0xf
	v_cndmask_b32_e64 v39, 0, v40, s[16:17]
	v_add_u32_e32 v38, v38, v39
	ds_write_b32 v16, v38
.LBB312_29:
	s_or_b64 exec, exec, s[22:23]
	v_cmp_lt_u32_e64 s[16:17], 63, v0
	v_mov_b32_e32 v16, 0
	s_waitcnt lgkmcnt(0)
	s_barrier
	s_and_saveexec_b64 s[18:19], s[16:17]
; %bb.30:
	v_lshl_add_u32 v16, v37, 2, -4
	ds_read_b32 v16, v16
; %bb.31:
	s_or_b64 exec, exec, s[18:19]
	v_subrev_co_u32_e64 v37, s[16:17], 1, v13
	v_and_b32_e32 v38, 64, v13
	v_cmp_lt_i32_e64 s[18:19], v37, v38
	v_cndmask_b32_e64 v13, v37, v13, s[18:19]
	s_waitcnt lgkmcnt(0)
	v_add_u32_e32 v31, v16, v31
	v_lshlrev_b32_e32 v13, 2, v13
	ds_bpermute_b32 v13, v13, v31
	s_movk_i32 s22, 0x100
	v_cmp_gt_u32_e64 s[18:19], s22, v0
	s_waitcnt lgkmcnt(0)
	v_cndmask_b32_e64 v13, v13, v16, s[16:17]
	v_cmp_ne_u32_e64 s[16:17], 0, v0
	v_cndmask_b32_e64 v13, 0, v13, s[16:17]
	v_add_u32_e32 v5, v13, v5
	v_add_u32_e32 v6, v5, v6
	;; [unrolled: 1-line block ×4, first 2 shown]
	ds_write2_b32 v21, v13, v5 offset0:8 offset1:9
	ds_write2_b32 v21, v6, v3 offset0:10 offset1:11
	ds_write_b32 v21, v4 offset:48
	s_waitcnt lgkmcnt(0)
	s_barrier
	ds_read_b32 v3, v27 offset:32
	ds_read_b32 v31, v30 offset:32
	;; [unrolled: 1-line block ×6, first 2 shown]
	s_movk_i32 s16, 0xff
	v_cmp_lt_u32_e64 s[16:17], s16, v0
                                        ; implicit-def: $vgpr21
                                        ; implicit-def: $vgpr27
	s_and_saveexec_b64 s[42:43], s[18:19]
	s_cbranch_execz .LBB312_35
; %bb.32:
	v_mul_u32_u24_e32 v4, 36, v0
	ds_read_b32 v21, v4 offset:32
	v_add_u32_e32 v5, 1, v0
	v_cmp_ne_u32_e64 s[22:23], s22, v5
	v_mov_b32_e32 v4, 0xc00
	s_and_saveexec_b64 s[46:47], s[22:23]
; %bb.33:
	v_mul_u32_u24_e32 v4, 36, v5
	ds_read_b32 v4, v4 offset:32
; %bb.34:
	s_or_b64 exec, exec, s[46:47]
	s_waitcnt lgkmcnt(0)
	v_sub_u32_e32 v27, v4, v21
.LBB312_35:
	s_or_b64 exec, exec, s[42:43]
	s_waitcnt lgkmcnt(5)
	v_add_u32_e32 v24, v3, v24
	s_waitcnt lgkmcnt(3)
	v_add3_u32 v4, v22, v20, v33
	v_add3_u32 v3, v19, v18, v31
	s_waitcnt lgkmcnt(2)
	v_add3_u32 v5, v25, v23, v34
	s_waitcnt lgkmcnt(1)
	;; [unrolled: 2-line block ×3, first 2 shown]
	v_add3_u32 v13, v32, v29, v36
	s_barrier
	ds_write_b8 v24, v8 offset:1024
	ds_write_b8 v3, v7 offset:1024
	;; [unrolled: 1-line block ×6, first 2 shown]
	v_mov_b32_e32 v4, 0
	v_lshlrev_b32_e32 v30, 2, v0
	s_and_saveexec_b64 s[22:23], s[18:19]
	s_cbranch_execz .LBB312_45
; %bb.36:
	v_lshl_add_u32 v3, s6, 8, v0
	v_lshlrev_b64 v[5:6], 2, v[3:4]
	v_mov_b32_e32 v11, s45
	v_add_co_u32_e64 v5, s[18:19], s44, v5
	v_addc_co_u32_e64 v6, s[18:19], v11, v6, s[18:19]
	v_or_b32_e32 v3, 2.0, v27
	s_mov_b64 s[42:43], 0
	s_brev_b32 s51, -4
	s_mov_b32 s52, s6
	v_mov_b32_e32 v12, 0
	global_store_dword v[5:6], v3, off
                                        ; implicit-def: $sgpr18_sgpr19
	s_branch .LBB312_39
.LBB312_37:                             ;   in Loop: Header=BB312_39 Depth=1
	s_or_b64 exec, exec, s[48:49]
.LBB312_38:                             ;   in Loop: Header=BB312_39 Depth=1
	s_or_b64 exec, exec, s[46:47]
	v_and_b32_e32 v7, 0x3fffffff, v3
	v_add_u32_e32 v12, v7, v12
	v_cmp_gt_i32_e64 s[18:19], -2.0, v3
	s_and_b64 s[46:47], exec, s[18:19]
	s_or_b64 s[42:43], s[46:47], s[42:43]
	s_andn2_b64 exec, exec, s[42:43]
	s_cbranch_execz .LBB312_44
.LBB312_39:                             ; =>This Loop Header: Depth=1
                                        ;     Child Loop BB312_42 Depth 2
	s_or_b64 s[18:19], s[18:19], exec
	s_cmp_eq_u32 s52, 0
	s_cbranch_scc1 .LBB312_43
; %bb.40:                               ;   in Loop: Header=BB312_39 Depth=1
	s_add_i32 s52, s52, -1
	v_lshl_or_b32 v3, s52, 8, v0
	v_lshlrev_b64 v[7:8], 2, v[3:4]
	v_add_co_u32_e64 v7, s[18:19], s44, v7
	v_addc_co_u32_e64 v8, s[18:19], v11, v8, s[18:19]
	global_load_dword v3, v[7:8], off glc
	s_waitcnt vmcnt(0)
	v_cmp_gt_u32_e64 s[18:19], 2.0, v3
	s_and_saveexec_b64 s[46:47], s[18:19]
	s_cbranch_execz .LBB312_38
; %bb.41:                               ;   in Loop: Header=BB312_39 Depth=1
	s_mov_b64 s[48:49], 0
.LBB312_42:                             ;   Parent Loop BB312_39 Depth=1
                                        ; =>  This Inner Loop Header: Depth=2
	global_load_dword v3, v[7:8], off glc
	s_waitcnt vmcnt(0)
	v_cmp_lt_u32_e64 s[18:19], s51, v3
	s_or_b64 s[48:49], s[18:19], s[48:49]
	s_andn2_b64 exec, exec, s[48:49]
	s_cbranch_execnz .LBB312_42
	s_branch .LBB312_37
.LBB312_43:                             ;   in Loop: Header=BB312_39 Depth=1
                                        ; implicit-def: $sgpr52
	s_and_b64 s[46:47], exec, s[18:19]
	s_or_b64 s[42:43], s[46:47], s[42:43]
	s_andn2_b64 exec, exec, s[42:43]
	s_cbranch_execnz .LBB312_39
.LBB312_44:
	s_or_b64 exec, exec, s[42:43]
	v_add_u32_e32 v3, v12, v27
	v_or_b32_e32 v3, 0x80000000, v3
	global_store_dword v[5:6], v3, off
	global_load_dword v3, v30, s[36:37]
	v_sub_u32_e32 v4, v12, v21
	s_waitcnt vmcnt(0)
	v_add_u32_e32 v3, v4, v3
	ds_write_b32 v30, v3
.LBB312_45:
	s_or_b64 exec, exec, s[22:23]
	v_cmp_gt_u32_e64 s[18:19], s7, v0
	s_waitcnt lgkmcnt(0)
	s_barrier
	s_and_saveexec_b64 s[22:23], s[18:19]
	s_cbranch_execz .LBB312_47
; %bb.46:
	ds_read_u8 v3, v0 offset:1024
	s_waitcnt lgkmcnt(0)
	v_lshrrev_b32_sdwa v4, s40, v3 dst_sel:DWORD dst_unused:UNUSED_PAD src0_sel:DWORD src1_sel:BYTE_0
	v_and_b32_e32 v4, s50, v4
	v_lshlrev_b32_e32 v5, 2, v4
	ds_read_b32 v5, v5
	buffer_store_dword v4, off, s[0:3], 0
	s_waitcnt lgkmcnt(0)
	v_add_u32_e32 v5, v5, v0
	global_store_byte v5, v3, s[26:27]
.LBB312_47:
	s_or_b64 exec, exec, s[22:23]
	v_or_b32_e32 v3, 0x200, v0
	v_cmp_gt_u32_e64 s[18:19], s7, v3
	s_and_saveexec_b64 s[22:23], s[18:19]
	s_cbranch_execz .LBB312_49
; %bb.48:
	ds_read_u8 v4, v0 offset:1536
	s_waitcnt lgkmcnt(0)
	v_lshrrev_b32_sdwa v5, s40, v4 dst_sel:DWORD dst_unused:UNUSED_PAD src0_sel:DWORD src1_sel:BYTE_0
	v_and_b32_e32 v5, s50, v5
	v_lshlrev_b32_e32 v6, 2, v5
	ds_read_b32 v6, v6
	buffer_store_dword v5, off, s[0:3], 0 offset:4
	s_waitcnt lgkmcnt(0)
	v_add_u32_e32 v3, v6, v3
	global_store_byte v3, v4, s[26:27]
.LBB312_49:
	s_or_b64 exec, exec, s[22:23]
	v_or_b32_e32 v3, 0x400, v0
	v_cmp_gt_u32_e64 s[18:19], s7, v3
	s_and_saveexec_b64 s[22:23], s[18:19]
	s_cbranch_execz .LBB312_51
; %bb.50:
	ds_read_u8 v4, v0 offset:2048
	s_waitcnt lgkmcnt(0)
	v_lshrrev_b32_sdwa v5, s40, v4 dst_sel:DWORD dst_unused:UNUSED_PAD src0_sel:DWORD src1_sel:BYTE_0
	v_and_b32_e32 v5, s50, v5
	v_lshlrev_b32_e32 v6, 2, v5
	ds_read_b32 v6, v6
	buffer_store_dword v5, off, s[0:3], 0 offset:8
	s_waitcnt lgkmcnt(0)
	v_add_u32_e32 v3, v6, v3
	global_store_byte v3, v4, s[26:27]
.LBB312_51:
	;; [unrolled: 17-line block ×5, first 2 shown]
	s_or_b64 exec, exec, s[22:23]
	s_lshl_b64 s[18:19], s[34:35], 3
	s_add_u32 s18, s28, s18
	s_addc_u32 s19, s29, s19
	v_lshlrev_b32_e32 v3, 3, v10
	v_mov_b32_e32 v4, s19
	v_add_co_u32_e64 v3, s[18:19], s18, v3
	v_addc_co_u32_e64 v4, s[18:19], 0, v4, s[18:19]
	v_lshlrev_b32_e32 v5, 3, v9
	v_add_co_u32_e64 v15, s[18:19], v3, v5
	v_addc_co_u32_e64 v16, s[18:19], 0, v4, s[18:19]
                                        ; implicit-def: $vgpr3_vgpr4
	s_and_saveexec_b64 s[18:19], vcc
	s_xor_b64 s[18:19], exec, s[18:19]
	s_cbranch_execz .LBB312_63
; %bb.58:
	global_load_dwordx2 v[3:4], v[15:16], off
	s_or_b64 exec, exec, s[18:19]
                                        ; implicit-def: $vgpr5_vgpr6
	s_and_saveexec_b64 s[18:19], s[20:21]
	s_cbranch_execnz .LBB312_64
.LBB312_59:
	s_or_b64 exec, exec, s[18:19]
                                        ; implicit-def: $vgpr7_vgpr8
	s_and_saveexec_b64 s[18:19], s[8:9]
	s_cbranch_execz .LBB312_65
.LBB312_60:
	global_load_dwordx2 v[7:8], v[15:16], off offset:1024
	s_or_b64 exec, exec, s[18:19]
                                        ; implicit-def: $vgpr9_vgpr10
	s_and_saveexec_b64 s[8:9], s[10:11]
	s_cbranch_execnz .LBB312_66
.LBB312_61:
	s_or_b64 exec, exec, s[8:9]
                                        ; implicit-def: $vgpr11_vgpr12
	s_and_saveexec_b64 s[8:9], s[12:13]
	s_cbranch_execz .LBB312_67
.LBB312_62:
	global_load_dwordx2 v[11:12], v[15:16], off offset:2048
	s_or_b64 exec, exec, s[8:9]
                                        ; implicit-def: $vgpr13_vgpr14
	s_and_saveexec_b64 s[8:9], s[14:15]
	s_cbranch_execnz .LBB312_68
	s_branch .LBB312_69
.LBB312_63:
	s_or_b64 exec, exec, s[18:19]
                                        ; implicit-def: $vgpr5_vgpr6
	s_and_saveexec_b64 s[18:19], s[20:21]
	s_cbranch_execz .LBB312_59
.LBB312_64:
	global_load_dwordx2 v[5:6], v[15:16], off offset:512
	s_or_b64 exec, exec, s[18:19]
                                        ; implicit-def: $vgpr7_vgpr8
	s_and_saveexec_b64 s[18:19], s[8:9]
	s_cbranch_execnz .LBB312_60
.LBB312_65:
	s_or_b64 exec, exec, s[18:19]
                                        ; implicit-def: $vgpr9_vgpr10
	s_and_saveexec_b64 s[8:9], s[10:11]
	s_cbranch_execz .LBB312_61
.LBB312_66:
	global_load_dwordx2 v[9:10], v[15:16], off offset:1536
	s_or_b64 exec, exec, s[8:9]
                                        ; implicit-def: $vgpr11_vgpr12
	s_and_saveexec_b64 s[8:9], s[12:13]
	s_cbranch_execnz .LBB312_62
.LBB312_67:
	s_or_b64 exec, exec, s[8:9]
                                        ; implicit-def: $vgpr13_vgpr14
	s_and_saveexec_b64 s[8:9], s[14:15]
	s_cbranch_execz .LBB312_69
.LBB312_68:
	global_load_dwordx2 v[13:14], v[15:16], off offset:2560
.LBB312_69:
	s_or_b64 exec, exec, s[8:9]
	v_lshlrev_b32_e32 v37, 3, v0
	v_add3_u32 v29, v32, v36, v29
	v_add3_u32 v26, v28, v35, v26
	v_add3_u32 v23, v25, v34, v23
	v_add3_u32 v20, v22, v33, v20
	v_add3_u32 v18, v19, v31, v18
	s_mov_b32 s10, 0
	s_mov_b32 s11, 0
	v_mov_b32_e32 v16, 0
	s_movk_i32 s12, 0x200
	v_mov_b32_e32 v19, v0
	s_waitcnt vmcnt(0)
	s_barrier
	s_branch .LBB312_71
.LBB312_70:                             ;   in Loop: Header=BB312_71 Depth=1
	s_or_b64 exec, exec, s[8:9]
	s_addk_i32 s11, 0xfc00
	s_add_i32 s10, s10, 8
	s_cmpk_eq_i32 s11, 0xf400
	v_add_u32_e32 v19, 0x400, v19
	s_waitcnt vmcnt(0)
	s_barrier
	s_cbranch_scc1 .LBB312_75
.LBB312_71:                             ; =>This Inner Loop Header: Depth=1
	v_add_u32_e32 v15, s11, v24
	v_min_u32_e32 v15, 0x400, v15
	v_lshlrev_b32_e32 v15, 3, v15
	ds_write_b64 v15, v[3:4] offset:1024
	v_add_u32_e32 v15, s11, v18
	v_min_u32_e32 v15, 0x400, v15
	v_lshlrev_b32_e32 v15, 3, v15
	ds_write_b64 v15, v[5:6] offset:1024
	;; [unrolled: 4-line block ×5, first 2 shown]
	v_add_u32_e32 v15, s11, v29
	v_min_u32_e32 v15, 0x400, v15
	v_lshlrev_b32_e32 v15, 3, v15
	v_cmp_gt_u32_e32 vcc, s7, v19
	ds_write_b64 v15, v[13:14] offset:1024
	s_waitcnt lgkmcnt(0)
	s_barrier
	s_and_saveexec_b64 s[8:9], vcc
	s_cbranch_execz .LBB312_73
; %bb.72:                               ;   in Loop: Header=BB312_71 Depth=1
	v_mov_b32_e32 v15, s10
	buffer_load_dword v15, v15, s[0:3], 0 offen
	v_mov_b32_e32 v22, s31
	s_waitcnt vmcnt(0)
	v_lshlrev_b32_e32 v15, 2, v15
	ds_read_b32 v15, v15
	ds_read_b64 v[31:32], v37 offset:1024
	s_waitcnt lgkmcnt(1)
	v_add_u32_e32 v15, v19, v15
	v_lshlrev_b64 v[33:34], 3, v[15:16]
	v_add_co_u32_e32 v33, vcc, s30, v33
	v_addc_co_u32_e32 v34, vcc, v22, v34, vcc
	s_waitcnt lgkmcnt(0)
	global_store_dwordx2 v[33:34], v[31:32], off
.LBB312_73:                             ;   in Loop: Header=BB312_71 Depth=1
	s_or_b64 exec, exec, s[8:9]
	v_add_u32_e32 v15, 0x200, v19
	v_cmp_gt_u32_e32 vcc, s7, v15
	s_and_saveexec_b64 s[8:9], vcc
	s_cbranch_execz .LBB312_70
; %bb.74:                               ;   in Loop: Header=BB312_71 Depth=1
	v_mov_b32_e32 v15, s10
	buffer_load_dword v15, v15, s[0:3], 0 offen offset:4
	v_mov_b32_e32 v22, s31
	s_waitcnt vmcnt(0)
	v_lshlrev_b32_e32 v15, 2, v15
	ds_read_b32 v15, v15
	ds_read_b64 v[31:32], v37 offset:5120
	s_waitcnt lgkmcnt(1)
	v_add3_u32 v15, v19, v15, s12
	v_lshlrev_b64 v[33:34], 3, v[15:16]
	v_add_co_u32_e32 v33, vcc, s30, v33
	v_addc_co_u32_e32 v34, vcc, v22, v34, vcc
	s_waitcnt lgkmcnt(0)
	global_store_dwordx2 v[33:34], v[31:32], off
	s_branch .LBB312_70
.LBB312_75:
	s_add_i32 s33, s33, -1
	s_cmp_eq_u32 s6, s33
	s_cselect_b64 s[8:9], -1, 0
	s_xor_b64 s[10:11], s[16:17], -1
	s_and_b64 s[10:11], s[10:11], s[8:9]
	s_and_saveexec_b64 s[8:9], s[10:11]
	s_cbranch_execz .LBB312_77
; %bb.76:
	ds_read_b32 v3, v30
	s_waitcnt lgkmcnt(0)
	v_add3_u32 v3, v21, v27, v3
	global_store_dword v30, v3, s[38:39]
.LBB312_77:
	s_or_b64 exec, exec, s[8:9]
	s_mov_b64 s[8:9], 0
.LBB312_78:
	s_and_b64 vcc, exec, s[8:9]
	s_cbranch_vccz .LBB312_115
; %bb.79:
	s_add_u32 s7, s24, s34
	v_mbcnt_hi_u32_b32 v9, -1, v17
	s_addc_u32 s8, s25, 0
	v_and_b32_e32 v8, 63, v9
	v_and_b32_e32 v10, 0x1c0, v0
	v_mov_b32_e32 v3, s8
	v_add_co_u32_e32 v4, vcc, s7, v8
	v_mul_u32_u24_e32 v7, 6, v10
	v_addc_co_u32_e32 v3, vcc, 0, v3, vcc
	v_add_co_u32_e32 v4, vcc, v4, v7
	v_addc_co_u32_e32 v5, vcc, 0, v3, vcc
	global_load_ubyte v6, v[4:5], off
	s_load_dword s8, s[4:5], 0x64
	s_load_dword s7, s[4:5], 0x58
	s_add_u32 s4, s4, 0x58
	s_addc_u32 s5, s5, 0
	v_mov_b32_e32 v3, 0
	s_waitcnt lgkmcnt(0)
	s_lshr_b32 s8, s8, 16
	s_cmp_lt_u32 s6, s7
	s_cselect_b32 s9, 12, 18
	s_add_u32 s4, s4, s9
	s_addc_u32 s5, s5, 0
	global_load_ushort v13, v3, s[4:5]
	global_load_ubyte v11, v[4:5], off offset:64
	global_load_ubyte v12, v[4:5], off offset:128
	;; [unrolled: 1-line block ×5, first 2 shown]
	s_lshl_b32 s4, -1, s41
	s_not_b32 s16, s4
	v_mad_u32_u24 v1, v2, s8, v1
	s_mov_b32 s35, 0
	v_mul_u32_u24_e32 v23, 20, v0
	ds_write2_b32 v23, v3, v3 offset0:8 offset1:9
	ds_write2_b32 v23, v3, v3 offset0:10 offset1:11
	ds_write_b32 v23, v3 offset:48
	s_waitcnt vmcnt(0) lgkmcnt(0)
	s_barrier
	; wave barrier
	v_lshrrev_b32_sdwa v4, s40, v6 dst_sel:DWORD dst_unused:UNUSED_PAD src0_sel:DWORD src1_sel:BYTE_0
	v_and_b32_e32 v15, s16, v4
	v_and_b32_e32 v5, 1, v15
	v_add_co_u32_e32 v16, vcc, -1, v5
	v_lshlrev_b32_e32 v4, 30, v15
	v_addc_co_u32_e64 v19, s[4:5], 0, -1, vcc
	v_cmp_ne_u32_e32 vcc, 0, v5
	v_cmp_gt_i64_e64 s[4:5], 0, v[3:4]
	v_not_b32_e32 v5, v4
	v_lshlrev_b32_e32 v4, 29, v15
	v_xor_b32_e32 v19, vcc_hi, v19
	v_ashrrev_i32_e32 v5, 31, v5
	v_xor_b32_e32 v16, vcc_lo, v16
	v_cmp_gt_i64_e32 vcc, 0, v[3:4]
	v_not_b32_e32 v20, v4
	v_lshlrev_b32_e32 v4, 28, v15
	v_and_b32_e32 v19, exec_hi, v19
	v_xor_b32_e32 v21, s5, v5
	v_and_b32_e32 v16, exec_lo, v16
	v_xor_b32_e32 v5, s4, v5
	v_ashrrev_i32_e32 v20, 31, v20
	v_cmp_gt_i64_e64 s[4:5], 0, v[3:4]
	v_not_b32_e32 v22, v4
	v_lshlrev_b32_e32 v4, 27, v15
	v_and_b32_e32 v19, v19, v21
	v_and_b32_e32 v5, v16, v5
	v_xor_b32_e32 v16, vcc_hi, v20
	v_xor_b32_e32 v20, vcc_lo, v20
	v_ashrrev_i32_e32 v21, 31, v22
	v_cmp_gt_i64_e32 vcc, 0, v[3:4]
	v_not_b32_e32 v22, v4
	v_lshlrev_b32_e32 v4, 26, v15
	v_and_b32_e32 v16, v19, v16
	v_and_b32_e32 v5, v5, v20
	v_xor_b32_e32 v19, s5, v21
	v_xor_b32_e32 v20, s4, v21
	v_ashrrev_i32_e32 v21, 31, v22
	v_cmp_gt_i64_e64 s[4:5], 0, v[3:4]
	v_not_b32_e32 v22, v4
	v_lshlrev_b32_e32 v4, 25, v15
	v_and_b32_e32 v16, v16, v19
	v_and_b32_e32 v5, v5, v20
	v_xor_b32_e32 v19, vcc_hi, v21
	v_xor_b32_e32 v20, vcc_lo, v21
	v_ashrrev_i32_e32 v21, 31, v22
	v_cmp_gt_i64_e32 vcc, 0, v[3:4]
	v_not_b32_e32 v22, v4
	v_lshlrev_b32_e32 v4, 24, v15
	v_and_b32_e32 v16, v16, v19
	v_and_b32_e32 v5, v5, v20
	v_xor_b32_e32 v19, s5, v21
	v_xor_b32_e32 v20, s4, v21
	v_ashrrev_i32_e32 v21, 31, v22
	v_cmp_gt_i64_e64 s[4:5], 0, v[3:4]
	v_not_b32_e32 v4, v4
	v_and_b32_e32 v16, v16, v19
	v_and_b32_e32 v5, v5, v20
	v_xor_b32_e32 v19, vcc_hi, v21
	v_xor_b32_e32 v20, vcc_lo, v21
	v_ashrrev_i32_e32 v4, 31, v4
	v_and_b32_e32 v16, v16, v19
	v_and_b32_e32 v19, v5, v20
	v_xor_b32_e32 v5, s5, v4
	v_xor_b32_e32 v4, s4, v4
	v_mad_u64_u32 v[1:2], s[4:5], v1, v13, v[0:1]
	v_and_b32_e32 v4, v19, v4
	v_and_b32_e32 v5, v16, v5
	v_mbcnt_lo_u32_b32 v2, v4, 0
	v_lshrrev_b32_e32 v1, 4, v1
	v_mbcnt_hi_u32_b32 v21, v5, v2
	v_cmp_ne_u64_e32 vcc, 0, v[4:5]
	v_and_b32_e32 v27, 0xffffffc, v1
	v_mul_u32_u24_e32 v1, 36, v15
	v_cmp_eq_u32_e64 s[4:5], 0, v21
	s_and_b64 s[8:9], vcc, s[4:5]
	v_add_u32_e32 v25, v27, v1
	s_and_saveexec_b64 s[4:5], s[8:9]
; %bb.80:
	v_bcnt_u32_b32 v1, v4, 0
	v_bcnt_u32_b32 v1, v5, v1
	ds_write_b32 v25, v1 offset:32
; %bb.81:
	s_or_b64 exec, exec, s[4:5]
	v_lshrrev_b32_sdwa v1, s40, v11 dst_sel:DWORD dst_unused:UNUSED_PAD src0_sel:DWORD src1_sel:BYTE_0
	v_and_b32_e32 v1, s16, v1
	v_mad_u32_u24 v2, v1, 36, v27
	; wave barrier
	ds_read_b32 v13, v2 offset:32
	v_and_b32_e32 v2, 1, v1
	v_add_co_u32_e32 v4, vcc, -1, v2
	v_addc_co_u32_e64 v15, s[4:5], 0, -1, vcc
	v_cmp_ne_u32_e32 vcc, 0, v2
	v_xor_b32_e32 v4, vcc_lo, v4
	v_xor_b32_e32 v2, vcc_hi, v15
	v_and_b32_e32 v15, exec_lo, v4
	v_lshlrev_b32_e32 v4, 30, v1
	v_cmp_gt_i64_e32 vcc, 0, v[3:4]
	v_not_b32_e32 v4, v4
	v_ashrrev_i32_e32 v4, 31, v4
	v_xor_b32_e32 v16, vcc_hi, v4
	v_xor_b32_e32 v4, vcc_lo, v4
	v_and_b32_e32 v15, v15, v4
	v_lshlrev_b32_e32 v4, 29, v1
	v_cmp_gt_i64_e32 vcc, 0, v[3:4]
	v_not_b32_e32 v4, v4
	v_and_b32_e32 v2, exec_hi, v2
	v_ashrrev_i32_e32 v4, 31, v4
	v_and_b32_e32 v2, v2, v16
	v_xor_b32_e32 v16, vcc_hi, v4
	v_xor_b32_e32 v4, vcc_lo, v4
	v_and_b32_e32 v15, v15, v4
	v_lshlrev_b32_e32 v4, 28, v1
	v_cmp_gt_i64_e32 vcc, 0, v[3:4]
	v_not_b32_e32 v4, v4
	v_ashrrev_i32_e32 v4, 31, v4
	v_and_b32_e32 v2, v2, v16
	v_xor_b32_e32 v16, vcc_hi, v4
	v_xor_b32_e32 v4, vcc_lo, v4
	v_and_b32_e32 v15, v15, v4
	v_lshlrev_b32_e32 v4, 27, v1
	v_cmp_gt_i64_e32 vcc, 0, v[3:4]
	v_not_b32_e32 v4, v4
	v_ashrrev_i32_e32 v4, 31, v4
	v_and_b32_e32 v2, v2, v16
	v_xor_b32_e32 v16, vcc_hi, v4
	v_xor_b32_e32 v4, vcc_lo, v4
	v_and_b32_e32 v15, v15, v4
	v_lshlrev_b32_e32 v4, 26, v1
	v_cmp_gt_i64_e32 vcc, 0, v[3:4]
	v_not_b32_e32 v4, v4
	v_ashrrev_i32_e32 v4, 31, v4
	v_and_b32_e32 v2, v2, v16
	v_xor_b32_e32 v16, vcc_hi, v4
	v_xor_b32_e32 v4, vcc_lo, v4
	v_and_b32_e32 v15, v15, v4
	v_lshlrev_b32_e32 v4, 25, v1
	v_cmp_gt_i64_e32 vcc, 0, v[3:4]
	v_not_b32_e32 v4, v4
	v_ashrrev_i32_e32 v4, 31, v4
	v_and_b32_e32 v2, v2, v16
	v_xor_b32_e32 v16, vcc_hi, v4
	v_xor_b32_e32 v4, vcc_lo, v4
	v_and_b32_e32 v15, v15, v4
	v_lshlrev_b32_e32 v4, 24, v1
	v_mul_u32_u24_e32 v5, 36, v1
	v_cmp_gt_i64_e32 vcc, 0, v[3:4]
	v_not_b32_e32 v1, v4
	v_ashrrev_i32_e32 v1, 31, v1
	v_xor_b32_e32 v3, vcc_hi, v1
	v_xor_b32_e32 v1, vcc_lo, v1
	v_and_b32_e32 v2, v2, v16
	v_and_b32_e32 v1, v15, v1
	;; [unrolled: 1-line block ×3, first 2 shown]
	v_mbcnt_lo_u32_b32 v3, v1, 0
	v_mbcnt_hi_u32_b32 v15, v2, v3
	v_cmp_ne_u64_e32 vcc, 0, v[1:2]
	v_cmp_eq_u32_e64 s[4:5], 0, v15
	s_and_b64 s[8:9], vcc, s[4:5]
	v_add_u32_e32 v5, v27, v5
	; wave barrier
	s_and_saveexec_b64 s[4:5], s[8:9]
	s_cbranch_execz .LBB312_83
; %bb.82:
	v_bcnt_u32_b32 v1, v1, 0
	v_bcnt_u32_b32 v1, v2, v1
	s_waitcnt lgkmcnt(0)
	v_add_u32_e32 v1, v13, v1
	ds_write_b32 v5, v1 offset:32
.LBB312_83:
	s_or_b64 exec, exec, s[4:5]
	v_lshrrev_b32_sdwa v1, s40, v12 dst_sel:DWORD dst_unused:UNUSED_PAD src0_sel:DWORD src1_sel:BYTE_0
	v_and_b32_e32 v3, s16, v1
	v_and_b32_e32 v2, 1, v3
	v_add_co_u32_e32 v19, vcc, -1, v2
	v_addc_co_u32_e64 v20, s[4:5], 0, -1, vcc
	v_cmp_ne_u32_e32 vcc, 0, v2
	v_mad_u32_u24 v1, v3, 36, v27
	v_xor_b32_e32 v2, vcc_hi, v20
	; wave barrier
	ds_read_b32 v16, v1 offset:32
	v_mov_b32_e32 v1, 0
	v_and_b32_e32 v20, exec_hi, v2
	v_lshlrev_b32_e32 v2, 30, v3
	v_xor_b32_e32 v19, vcc_lo, v19
	v_cmp_gt_i64_e32 vcc, 0, v[1:2]
	v_not_b32_e32 v2, v2
	v_ashrrev_i32_e32 v2, 31, v2
	v_and_b32_e32 v19, exec_lo, v19
	v_xor_b32_e32 v22, vcc_hi, v2
	v_xor_b32_e32 v2, vcc_lo, v2
	v_and_b32_e32 v19, v19, v2
	v_lshlrev_b32_e32 v2, 29, v3
	v_cmp_gt_i64_e32 vcc, 0, v[1:2]
	v_not_b32_e32 v2, v2
	v_ashrrev_i32_e32 v2, 31, v2
	v_and_b32_e32 v20, v20, v22
	v_xor_b32_e32 v22, vcc_hi, v2
	v_xor_b32_e32 v2, vcc_lo, v2
	v_and_b32_e32 v19, v19, v2
	v_lshlrev_b32_e32 v2, 28, v3
	v_cmp_gt_i64_e32 vcc, 0, v[1:2]
	v_not_b32_e32 v2, v2
	v_ashrrev_i32_e32 v2, 31, v2
	v_and_b32_e32 v20, v20, v22
	;; [unrolled: 8-line block ×5, first 2 shown]
	v_xor_b32_e32 v22, vcc_hi, v2
	v_xor_b32_e32 v2, vcc_lo, v2
	v_and_b32_e32 v19, v19, v2
	v_lshlrev_b32_e32 v2, 24, v3
	v_cmp_gt_i64_e32 vcc, 0, v[1:2]
	v_not_b32_e32 v2, v2
	v_ashrrev_i32_e32 v2, 31, v2
	v_mul_u32_u24_e32 v4, 36, v3
	v_xor_b32_e32 v3, vcc_hi, v2
	v_xor_b32_e32 v2, vcc_lo, v2
	v_and_b32_e32 v20, v20, v22
	v_and_b32_e32 v2, v19, v2
	;; [unrolled: 1-line block ×3, first 2 shown]
	v_mbcnt_lo_u32_b32 v19, v2, 0
	v_mbcnt_hi_u32_b32 v19, v3, v19
	v_cmp_ne_u64_e32 vcc, 0, v[2:3]
	v_cmp_eq_u32_e64 s[4:5], 0, v19
	s_and_b64 s[8:9], vcc, s[4:5]
	v_add_u32_e32 v30, v27, v4
	; wave barrier
	s_and_saveexec_b64 s[4:5], s[8:9]
	s_cbranch_execz .LBB312_85
; %bb.84:
	v_bcnt_u32_b32 v2, v2, 0
	v_bcnt_u32_b32 v2, v3, v2
	s_waitcnt lgkmcnt(0)
	v_add_u32_e32 v2, v16, v2
	ds_write_b32 v30, v2 offset:32
.LBB312_85:
	s_or_b64 exec, exec, s[4:5]
	v_lshrrev_b32_sdwa v2, s40, v14 dst_sel:DWORD dst_unused:UNUSED_PAD src0_sel:DWORD src1_sel:BYTE_0
	v_and_b32_e32 v3, s16, v2
	v_mad_u32_u24 v2, v3, 36, v27
	; wave barrier
	ds_read_b32 v20, v2 offset:32
	v_and_b32_e32 v2, 1, v3
	v_add_co_u32_e32 v22, vcc, -1, v2
	v_addc_co_u32_e64 v24, s[4:5], 0, -1, vcc
	v_cmp_ne_u32_e32 vcc, 0, v2
	v_xor_b32_e32 v2, vcc_hi, v24
	v_and_b32_e32 v24, exec_hi, v2
	v_lshlrev_b32_e32 v2, 30, v3
	v_xor_b32_e32 v22, vcc_lo, v22
	v_cmp_gt_i64_e32 vcc, 0, v[1:2]
	v_not_b32_e32 v2, v2
	v_ashrrev_i32_e32 v2, 31, v2
	v_and_b32_e32 v22, exec_lo, v22
	v_xor_b32_e32 v26, vcc_hi, v2
	v_xor_b32_e32 v2, vcc_lo, v2
	v_and_b32_e32 v22, v22, v2
	v_lshlrev_b32_e32 v2, 29, v3
	v_cmp_gt_i64_e32 vcc, 0, v[1:2]
	v_not_b32_e32 v2, v2
	v_ashrrev_i32_e32 v2, 31, v2
	v_and_b32_e32 v24, v24, v26
	v_xor_b32_e32 v26, vcc_hi, v2
	v_xor_b32_e32 v2, vcc_lo, v2
	v_and_b32_e32 v22, v22, v2
	v_lshlrev_b32_e32 v2, 28, v3
	v_cmp_gt_i64_e32 vcc, 0, v[1:2]
	v_not_b32_e32 v2, v2
	v_ashrrev_i32_e32 v2, 31, v2
	v_and_b32_e32 v24, v24, v26
	;; [unrolled: 8-line block ×5, first 2 shown]
	v_xor_b32_e32 v26, vcc_hi, v2
	v_xor_b32_e32 v2, vcc_lo, v2
	v_and_b32_e32 v22, v22, v2
	v_lshlrev_b32_e32 v2, 24, v3
	v_cmp_gt_i64_e32 vcc, 0, v[1:2]
	v_not_b32_e32 v1, v2
	v_ashrrev_i32_e32 v1, 31, v1
	v_xor_b32_e32 v2, vcc_hi, v1
	v_xor_b32_e32 v1, vcc_lo, v1
	v_and_b32_e32 v24, v24, v26
	v_and_b32_e32 v1, v22, v1
	v_mul_u32_u24_e32 v4, 36, v3
	v_and_b32_e32 v2, v24, v2
	v_mbcnt_lo_u32_b32 v3, v1, 0
	v_mbcnt_hi_u32_b32 v22, v2, v3
	v_cmp_ne_u64_e32 vcc, 0, v[1:2]
	v_cmp_eq_u32_e64 s[4:5], 0, v22
	s_and_b64 s[8:9], vcc, s[4:5]
	v_add_u32_e32 v32, v27, v4
	; wave barrier
	s_and_saveexec_b64 s[4:5], s[8:9]
	s_cbranch_execz .LBB312_87
; %bb.86:
	v_bcnt_u32_b32 v1, v1, 0
	v_bcnt_u32_b32 v1, v2, v1
	s_waitcnt lgkmcnt(0)
	v_add_u32_e32 v1, v20, v1
	ds_write_b32 v32, v1 offset:32
.LBB312_87:
	s_or_b64 exec, exec, s[4:5]
	v_lshrrev_b32_sdwa v1, s40, v17 dst_sel:DWORD dst_unused:UNUSED_PAD src0_sel:DWORD src1_sel:BYTE_0
	v_and_b32_e32 v3, s16, v1
	v_and_b32_e32 v2, 1, v3
	v_add_co_u32_e32 v26, vcc, -1, v2
	v_addc_co_u32_e64 v28, s[4:5], 0, -1, vcc
	v_cmp_ne_u32_e32 vcc, 0, v2
	v_mad_u32_u24 v1, v3, 36, v27
	v_xor_b32_e32 v2, vcc_hi, v28
	; wave barrier
	ds_read_b32 v24, v1 offset:32
	v_mov_b32_e32 v1, 0
	v_and_b32_e32 v28, exec_hi, v2
	v_lshlrev_b32_e32 v2, 30, v3
	v_xor_b32_e32 v26, vcc_lo, v26
	v_cmp_gt_i64_e32 vcc, 0, v[1:2]
	v_not_b32_e32 v2, v2
	v_ashrrev_i32_e32 v2, 31, v2
	v_and_b32_e32 v26, exec_lo, v26
	v_xor_b32_e32 v29, vcc_hi, v2
	v_xor_b32_e32 v2, vcc_lo, v2
	v_and_b32_e32 v26, v26, v2
	v_lshlrev_b32_e32 v2, 29, v3
	v_cmp_gt_i64_e32 vcc, 0, v[1:2]
	v_not_b32_e32 v2, v2
	v_ashrrev_i32_e32 v2, 31, v2
	v_and_b32_e32 v28, v28, v29
	v_xor_b32_e32 v29, vcc_hi, v2
	v_xor_b32_e32 v2, vcc_lo, v2
	v_and_b32_e32 v26, v26, v2
	v_lshlrev_b32_e32 v2, 28, v3
	v_cmp_gt_i64_e32 vcc, 0, v[1:2]
	v_not_b32_e32 v2, v2
	v_ashrrev_i32_e32 v2, 31, v2
	v_and_b32_e32 v28, v28, v29
	;; [unrolled: 8-line block ×5, first 2 shown]
	v_xor_b32_e32 v29, vcc_hi, v2
	v_xor_b32_e32 v2, vcc_lo, v2
	v_and_b32_e32 v26, v26, v2
	v_lshlrev_b32_e32 v2, 24, v3
	v_cmp_gt_i64_e32 vcc, 0, v[1:2]
	v_not_b32_e32 v2, v2
	v_ashrrev_i32_e32 v2, 31, v2
	v_mul_u32_u24_e32 v4, 36, v3
	v_xor_b32_e32 v3, vcc_hi, v2
	v_xor_b32_e32 v2, vcc_lo, v2
	v_and_b32_e32 v28, v28, v29
	v_and_b32_e32 v2, v26, v2
	;; [unrolled: 1-line block ×3, first 2 shown]
	v_mbcnt_lo_u32_b32 v26, v2, 0
	v_mbcnt_hi_u32_b32 v26, v3, v26
	v_cmp_ne_u64_e32 vcc, 0, v[2:3]
	v_cmp_eq_u32_e64 s[4:5], 0, v26
	s_and_b64 s[8:9], vcc, s[4:5]
	v_add_u32_e32 v33, v27, v4
	; wave barrier
	s_and_saveexec_b64 s[4:5], s[8:9]
	s_cbranch_execz .LBB312_89
; %bb.88:
	v_bcnt_u32_b32 v2, v2, 0
	v_bcnt_u32_b32 v2, v3, v2
	s_waitcnt lgkmcnt(0)
	v_add_u32_e32 v2, v24, v2
	ds_write_b32 v33, v2 offset:32
.LBB312_89:
	s_or_b64 exec, exec, s[4:5]
	v_lshrrev_b32_sdwa v2, s40, v18 dst_sel:DWORD dst_unused:UNUSED_PAD src0_sel:DWORD src1_sel:BYTE_0
	v_and_b32_e32 v3, s16, v2
	v_mad_u32_u24 v2, v3, 36, v27
	; wave barrier
	ds_read_b32 v28, v2 offset:32
	v_and_b32_e32 v2, 1, v3
	v_add_co_u32_e32 v29, vcc, -1, v2
	v_addc_co_u32_e64 v31, s[4:5], 0, -1, vcc
	v_cmp_ne_u32_e32 vcc, 0, v2
	v_xor_b32_e32 v2, vcc_hi, v31
	v_and_b32_e32 v31, exec_hi, v2
	v_lshlrev_b32_e32 v2, 30, v3
	v_xor_b32_e32 v29, vcc_lo, v29
	v_cmp_gt_i64_e32 vcc, 0, v[1:2]
	v_not_b32_e32 v2, v2
	v_ashrrev_i32_e32 v2, 31, v2
	v_and_b32_e32 v29, exec_lo, v29
	v_xor_b32_e32 v34, vcc_hi, v2
	v_xor_b32_e32 v2, vcc_lo, v2
	v_and_b32_e32 v29, v29, v2
	v_lshlrev_b32_e32 v2, 29, v3
	v_cmp_gt_i64_e32 vcc, 0, v[1:2]
	v_not_b32_e32 v2, v2
	v_ashrrev_i32_e32 v2, 31, v2
	v_and_b32_e32 v31, v31, v34
	v_xor_b32_e32 v34, vcc_hi, v2
	v_xor_b32_e32 v2, vcc_lo, v2
	v_and_b32_e32 v29, v29, v2
	v_lshlrev_b32_e32 v2, 28, v3
	v_cmp_gt_i64_e32 vcc, 0, v[1:2]
	v_not_b32_e32 v2, v2
	v_ashrrev_i32_e32 v2, 31, v2
	v_and_b32_e32 v31, v31, v34
	;; [unrolled: 8-line block ×5, first 2 shown]
	v_xor_b32_e32 v34, vcc_hi, v2
	v_xor_b32_e32 v2, vcc_lo, v2
	v_and_b32_e32 v29, v29, v2
	v_lshlrev_b32_e32 v2, 24, v3
	v_cmp_gt_i64_e32 vcc, 0, v[1:2]
	v_not_b32_e32 v1, v2
	v_ashrrev_i32_e32 v1, 31, v1
	v_xor_b32_e32 v2, vcc_hi, v1
	v_xor_b32_e32 v1, vcc_lo, v1
	v_and_b32_e32 v31, v31, v34
	v_and_b32_e32 v1, v29, v1
	v_mul_u32_u24_e32 v4, 36, v3
	v_and_b32_e32 v2, v31, v2
	v_mbcnt_lo_u32_b32 v3, v1, 0
	v_mbcnt_hi_u32_b32 v29, v2, v3
	v_cmp_ne_u64_e32 vcc, 0, v[1:2]
	v_cmp_eq_u32_e64 s[4:5], 0, v29
	s_and_b64 s[8:9], vcc, s[4:5]
	v_add_u32_e32 v34, v27, v4
	; wave barrier
	s_and_saveexec_b64 s[4:5], s[8:9]
	s_cbranch_execz .LBB312_91
; %bb.90:
	v_bcnt_u32_b32 v1, v1, 0
	v_bcnt_u32_b32 v1, v2, v1
	s_waitcnt lgkmcnt(0)
	v_add_u32_e32 v1, v28, v1
	ds_write_b32 v34, v1 offset:32
.LBB312_91:
	s_or_b64 exec, exec, s[4:5]
	; wave barrier
	s_waitcnt lgkmcnt(0)
	s_barrier
	ds_read2_b32 v[3:4], v23 offset0:8 offset1:9
	ds_read2_b32 v[1:2], v23 offset0:10 offset1:11
	ds_read_b32 v27, v23 offset:48
	v_min_u32_e32 v10, 0x1c0, v10
	v_or_b32_e32 v10, 63, v10
	s_waitcnt lgkmcnt(1)
	v_add3_u32 v31, v4, v3, v1
	s_waitcnt lgkmcnt(0)
	v_add3_u32 v27, v31, v2, v27
	v_and_b32_e32 v31, 15, v9
	v_cmp_ne_u32_e32 vcc, 0, v31
	v_mov_b32_dpp v35, v27 row_shr:1 row_mask:0xf bank_mask:0xf
	v_cndmask_b32_e32 v35, 0, v35, vcc
	v_add_u32_e32 v27, v35, v27
	v_cmp_lt_u32_e32 vcc, 1, v31
	s_nop 0
	v_mov_b32_dpp v35, v27 row_shr:2 row_mask:0xf bank_mask:0xf
	v_cndmask_b32_e32 v35, 0, v35, vcc
	v_add_u32_e32 v27, v27, v35
	v_cmp_lt_u32_e32 vcc, 3, v31
	s_nop 0
	;; [unrolled: 5-line block ×3, first 2 shown]
	v_mov_b32_dpp v35, v27 row_shr:8 row_mask:0xf bank_mask:0xf
	v_cndmask_b32_e32 v31, 0, v35, vcc
	v_add_u32_e32 v27, v27, v31
	v_bfe_i32 v35, v9, 4, 1
	v_cmp_lt_u32_e32 vcc, 31, v9
	v_mov_b32_dpp v31, v27 row_bcast:15 row_mask:0xf bank_mask:0xf
	v_and_b32_e32 v31, v35, v31
	v_add_u32_e32 v27, v27, v31
	v_lshrrev_b32_e32 v35, 6, v0
	s_nop 0
	v_mov_b32_dpp v31, v27 row_bcast:31 row_mask:0xf bank_mask:0xf
	v_cndmask_b32_e32 v31, 0, v31, vcc
	v_add_u32_e32 v31, v27, v31
	v_cmp_eq_u32_e32 vcc, v0, v10
	s_and_saveexec_b64 s[4:5], vcc
; %bb.92:
	v_lshlrev_b32_e32 v10, 2, v35
	ds_write_b32 v10, v31
; %bb.93:
	s_or_b64 exec, exec, s[4:5]
	v_cmp_gt_u32_e32 vcc, 8, v0
	v_lshlrev_b32_e32 v27, 2, v0
	s_waitcnt lgkmcnt(0)
	s_barrier
	s_and_saveexec_b64 s[4:5], vcc
	s_cbranch_execz .LBB312_95
; %bb.94:
	ds_read_b32 v10, v27
	v_and_b32_e32 v36, 7, v9
	v_cmp_ne_u32_e32 vcc, 0, v36
	s_waitcnt lgkmcnt(0)
	v_mov_b32_dpp v37, v10 row_shr:1 row_mask:0xf bank_mask:0xf
	v_cndmask_b32_e32 v37, 0, v37, vcc
	v_add_u32_e32 v10, v37, v10
	v_cmp_lt_u32_e32 vcc, 1, v36
	s_nop 0
	v_mov_b32_dpp v37, v10 row_shr:2 row_mask:0xf bank_mask:0xf
	v_cndmask_b32_e32 v37, 0, v37, vcc
	v_add_u32_e32 v10, v10, v37
	v_cmp_lt_u32_e32 vcc, 3, v36
	s_nop 0
	v_mov_b32_dpp v37, v10 row_shr:4 row_mask:0xf bank_mask:0xf
	v_cndmask_b32_e32 v36, 0, v37, vcc
	v_add_u32_e32 v10, v10, v36
	ds_write_b32 v27, v10
.LBB312_95:
	s_or_b64 exec, exec, s[4:5]
	v_cmp_lt_u32_e32 vcc, 63, v0
	v_mov_b32_e32 v10, 0
	s_waitcnt lgkmcnt(0)
	s_barrier
	s_and_saveexec_b64 s[4:5], vcc
; %bb.96:
	v_lshl_add_u32 v10, v35, 2, -4
	ds_read_b32 v10, v10
; %bb.97:
	s_or_b64 exec, exec, s[4:5]
	v_subrev_co_u32_e32 v35, vcc, 1, v9
	v_and_b32_e32 v36, 64, v9
	v_cmp_lt_i32_e64 s[4:5], v35, v36
	v_cndmask_b32_e64 v9, v35, v9, s[4:5]
	s_waitcnt lgkmcnt(0)
	v_add_u32_e32 v31, v10, v31
	v_lshlrev_b32_e32 v9, 2, v9
	ds_bpermute_b32 v9, v9, v31
	s_movk_i32 s4, 0xff
	s_movk_i32 s8, 0x100
	s_waitcnt lgkmcnt(0)
	v_cndmask_b32_e32 v9, v9, v10, vcc
	v_cmp_ne_u32_e32 vcc, 0, v0
	v_cndmask_b32_e32 v9, 0, v9, vcc
	v_add_u32_e32 v3, v9, v3
	v_add_u32_e32 v4, v3, v4
	;; [unrolled: 1-line block ×4, first 2 shown]
	ds_write2_b32 v23, v9, v3 offset0:8 offset1:9
	ds_write2_b32 v23, v4, v1 offset0:10 offset1:11
	ds_write_b32 v23, v2 offset:48
	s_waitcnt lgkmcnt(0)
	s_barrier
	ds_read_b32 v1, v25 offset:32
	ds_read_b32 v31, v5 offset:32
	ds_read_b32 v30, v30 offset:32
	ds_read_b32 v32, v32 offset:32
	ds_read_b32 v33, v33 offset:32
	ds_read_b32 v34, v34 offset:32
	v_cmp_lt_u32_e32 vcc, s4, v0
	v_cmp_gt_u32_e64 s[4:5], s8, v0
                                        ; implicit-def: $vgpr23
                                        ; implicit-def: $vgpr25
	s_and_saveexec_b64 s[10:11], s[4:5]
	s_cbranch_execz .LBB312_101
; %bb.98:
	v_mul_u32_u24_e32 v2, 36, v0
	ds_read_b32 v23, v2 offset:32
	v_add_u32_e32 v3, 1, v0
	v_cmp_ne_u32_e64 s[8:9], s8, v3
	v_mov_b32_e32 v2, 0xc00
	s_and_saveexec_b64 s[12:13], s[8:9]
; %bb.99:
	v_mul_u32_u24_e32 v2, 36, v3
	ds_read_b32 v2, v2 offset:32
; %bb.100:
	s_or_b64 exec, exec, s[12:13]
	s_waitcnt lgkmcnt(0)
	v_sub_u32_e32 v25, v2, v23
.LBB312_101:
	s_or_b64 exec, exec, s[10:11]
	s_waitcnt lgkmcnt(5)
	v_add_u32_e32 v21, v1, v21
	s_waitcnt lgkmcnt(3)
	v_add3_u32 v2, v19, v16, v30
	v_add3_u32 v1, v15, v13, v31
	s_waitcnt lgkmcnt(2)
	v_add3_u32 v3, v22, v20, v32
	s_waitcnt lgkmcnt(1)
	;; [unrolled: 2-line block ×3, first 2 shown]
	v_add3_u32 v5, v29, v28, v34
	s_barrier
	ds_write_b8 v21, v6 offset:1024
	ds_write_b8 v1, v11 offset:1024
	;; [unrolled: 1-line block ×6, first 2 shown]
	v_mov_b32_e32 v2, 0
	s_and_saveexec_b64 s[8:9], s[4:5]
	s_cbranch_execz .LBB312_111
; %bb.102:
	v_lshl_add_u32 v1, s6, 8, v0
	v_lshlrev_b64 v[3:4], 2, v[1:2]
	v_mov_b32_e32 v9, s45
	v_add_co_u32_e64 v3, s[4:5], s44, v3
	v_addc_co_u32_e64 v4, s[4:5], v9, v4, s[4:5]
	v_or_b32_e32 v1, 2.0, v25
	s_mov_b64 s[10:11], 0
	s_brev_b32 s17, -4
	s_mov_b32 s18, s6
	v_mov_b32_e32 v10, 0
	global_store_dword v[3:4], v1, off
                                        ; implicit-def: $sgpr4_sgpr5
	s_branch .LBB312_105
.LBB312_103:                            ;   in Loop: Header=BB312_105 Depth=1
	s_or_b64 exec, exec, s[14:15]
.LBB312_104:                            ;   in Loop: Header=BB312_105 Depth=1
	s_or_b64 exec, exec, s[12:13]
	v_and_b32_e32 v5, 0x3fffffff, v1
	v_add_u32_e32 v10, v5, v10
	v_cmp_gt_i32_e64 s[4:5], -2.0, v1
	s_and_b64 s[12:13], exec, s[4:5]
	s_or_b64 s[10:11], s[12:13], s[10:11]
	s_andn2_b64 exec, exec, s[10:11]
	s_cbranch_execz .LBB312_110
.LBB312_105:                            ; =>This Loop Header: Depth=1
                                        ;     Child Loop BB312_108 Depth 2
	s_or_b64 s[4:5], s[4:5], exec
	s_cmp_eq_u32 s18, 0
	s_cbranch_scc1 .LBB312_109
; %bb.106:                              ;   in Loop: Header=BB312_105 Depth=1
	s_add_i32 s18, s18, -1
	v_lshl_or_b32 v1, s18, 8, v0
	v_lshlrev_b64 v[5:6], 2, v[1:2]
	v_add_co_u32_e64 v5, s[4:5], s44, v5
	v_addc_co_u32_e64 v6, s[4:5], v9, v6, s[4:5]
	global_load_dword v1, v[5:6], off glc
	s_waitcnt vmcnt(0)
	v_cmp_gt_u32_e64 s[4:5], 2.0, v1
	s_and_saveexec_b64 s[12:13], s[4:5]
	s_cbranch_execz .LBB312_104
; %bb.107:                              ;   in Loop: Header=BB312_105 Depth=1
	s_mov_b64 s[14:15], 0
.LBB312_108:                            ;   Parent Loop BB312_105 Depth=1
                                        ; =>  This Inner Loop Header: Depth=2
	global_load_dword v1, v[5:6], off glc
	s_waitcnt vmcnt(0)
	v_cmp_lt_u32_e64 s[4:5], s17, v1
	s_or_b64 s[14:15], s[4:5], s[14:15]
	s_andn2_b64 exec, exec, s[14:15]
	s_cbranch_execnz .LBB312_108
	s_branch .LBB312_103
.LBB312_109:                            ;   in Loop: Header=BB312_105 Depth=1
                                        ; implicit-def: $sgpr18
	s_and_b64 s[12:13], exec, s[4:5]
	s_or_b64 s[10:11], s[12:13], s[10:11]
	s_andn2_b64 exec, exec, s[10:11]
	s_cbranch_execnz .LBB312_105
.LBB312_110:
	s_or_b64 exec, exec, s[10:11]
	v_add_u32_e32 v1, v10, v25
	v_or_b32_e32 v1, 0x80000000, v1
	global_store_dword v[3:4], v1, off
	global_load_dword v1, v27, s[36:37]
	v_sub_u32_e32 v2, v10, v23
	s_waitcnt vmcnt(0)
	v_add_u32_e32 v1, v2, v1
	ds_write_b32 v27, v1
.LBB312_111:
	s_or_b64 exec, exec, s[8:9]
	s_waitcnt lgkmcnt(0)
	s_barrier
	ds_read_u8 v1, v0 offset:1024
	ds_read_u8 v2, v0 offset:1536
	;; [unrolled: 1-line block ×6, first 2 shown]
	s_waitcnt lgkmcnt(5)
	v_lshrrev_b32_sdwa v9, s40, v1 dst_sel:DWORD dst_unused:UNUSED_PAD src0_sel:DWORD src1_sel:BYTE_0
	s_waitcnt lgkmcnt(4)
	v_lshrrev_b32_sdwa v10, s40, v2 dst_sel:DWORD dst_unused:UNUSED_PAD src0_sel:DWORD src1_sel:BYTE_0
	;; [unrolled: 2-line block ×6, first 2 shown]
	v_and_b32_e32 v14, s16, v9
	v_and_b32_e32 v35, s16, v10
	;; [unrolled: 1-line block ×6, first 2 shown]
	v_lshlrev_b32_e32 v9, 2, v14
	v_lshlrev_b32_e32 v10, 2, v35
	;; [unrolled: 1-line block ×6, first 2 shown]
	ds_read_b32 v9, v9
	ds_read_b32 v10, v10
	;; [unrolled: 1-line block ×6, first 2 shown]
	s_waitcnt lgkmcnt(5)
	v_add_u32_e32 v9, v9, v0
	s_movk_i32 s8, 0x200
	global_store_byte v9, v1, s[26:27]
	s_waitcnt lgkmcnt(4)
	v_add3_u32 v1, v0, v10, s8
	s_movk_i32 s4, 0x400
	global_store_byte v1, v2, s[26:27]
	s_waitcnt lgkmcnt(3)
	v_add3_u32 v1, v11, v0, s4
	;; [unrolled: 4-line block ×5, first 2 shown]
	s_lshl_b64 s[4:5], s[34:35], 3
	s_add_u32 s4, s28, s4
	global_store_byte v1, v6, s[26:27]
	s_addc_u32 s5, s29, s5
	v_lshlrev_b32_e32 v1, 3, v8
	v_mov_b32_e32 v2, s5
	v_add_co_u32_e64 v1, s[4:5], s4, v1
	v_addc_co_u32_e64 v2, s[4:5], 0, v2, s[4:5]
	v_lshlrev_b32_e32 v3, 3, v7
	v_add_co_u32_e64 v17, s[4:5], v1, v3
	v_addc_co_u32_e64 v18, s[4:5], 0, v2, s[4:5]
	global_load_dwordx2 v[1:2], v[17:18], off
	global_load_dwordx2 v[3:4], v[17:18], off offset:512
	global_load_dwordx2 v[5:6], v[17:18], off offset:1024
	;; [unrolled: 1-line block ×5, first 2 shown]
	v_add3_u32 v18, v26, v33, v24
	v_mul_u32_u24_e32 v24, 7, v0
	buffer_store_dword v14, off, s[0:3], 0
	buffer_store_dword v35, off, s[0:3], 0 offset:4
	buffer_store_dword v36, off, s[0:3], 0 offset:8
	;; [unrolled: 1-line block ×5, first 2 shown]
	v_add3_u32 v17, v29, v34, v28
	v_mov_b32_e32 v14, 0
	v_add3_u32 v20, v22, v32, v20
	v_add3_u32 v16, v19, v30, v16
	;; [unrolled: 1-line block ×3, first 2 shown]
	s_mov_b32 s9, 0
	s_mov_b32 s10, 0
	v_add_u32_e32 v19, v0, v24
	v_mov_b32_e32 v22, s31
	s_waitcnt vmcnt(0)
	s_barrier
.LBB312_112:                            ; =>This Inner Loop Header: Depth=1
	v_add_u32_e32 v13, s10, v21
	v_add_u32_e32 v24, s10, v15
	v_add_u32_e32 v26, s10, v16
	v_add_u32_e32 v28, s10, v20
	v_add_u32_e32 v29, s10, v18
	v_add_u32_e32 v30, s10, v17
	v_min_u32_e32 v13, 0x400, v13
	v_min_u32_e32 v24, 0x400, v24
	v_mov_b32_e32 v31, s9
	v_min_u32_e32 v26, 0x400, v26
	v_min_u32_e32 v28, 0x400, v28
	v_min_u32_e32 v29, 0x400, v29
	v_min_u32_e32 v30, 0x400, v30
	v_lshlrev_b32_e32 v13, 3, v13
	v_lshlrev_b32_e32 v24, 3, v24
	;; [unrolled: 1-line block ×6, first 2 shown]
	ds_write_b64 v13, v[1:2] offset:1024
	ds_write_b64 v24, v[3:4] offset:1024
	;; [unrolled: 1-line block ×6, first 2 shown]
	s_waitcnt lgkmcnt(0)
	s_barrier
	buffer_load_dword v13, v31, s[0:3], 0 offen
	buffer_load_dword v24, v31, s[0:3], 0 offen offset:4
	ds_read2st64_b64 v[28:31], v19 offset0:2 offset1:10
	s_addk_i32 s10, 0xfc00
	s_add_i32 s9, s9, 8
	s_cmpk_lg_i32 s10, 0xf400
	s_waitcnt vmcnt(1)
	v_lshlrev_b32_e32 v13, 2, v13
	s_waitcnt vmcnt(0)
	v_lshlrev_b32_e32 v24, 2, v24
	ds_read_b32 v13, v13
	ds_read_b32 v24, v24
	s_waitcnt lgkmcnt(1)
	v_add_u32_e32 v13, v0, v13
	v_lshlrev_b64 v[32:33], 3, v[13:14]
	s_waitcnt lgkmcnt(0)
	v_add3_u32 v13, v0, v24, s8
	v_lshlrev_b64 v[34:35], 3, v[13:14]
	v_add_co_u32_e64 v32, s[4:5], s30, v32
	v_addc_co_u32_e64 v33, s[4:5], v22, v33, s[4:5]
	global_store_dwordx2 v[32:33], v[28:29], off
	v_add_co_u32_e64 v28, s[4:5], s30, v34
	v_add_u32_e32 v0, 0x400, v0
	v_addc_co_u32_e64 v29, s[4:5], v22, v35, s[4:5]
	global_store_dwordx2 v[28:29], v[30:31], off
	s_waitcnt vmcnt(0)
	s_barrier
	s_cbranch_scc1 .LBB312_112
; %bb.113:
	s_add_i32 s7, s7, -1
	s_cmp_eq_u32 s6, s7
	s_cselect_b64 s[4:5], -1, 0
	s_xor_b64 s[6:7], vcc, -1
	s_and_b64 s[4:5], s[6:7], s[4:5]
	s_and_saveexec_b64 s[6:7], s[4:5]
	s_cbranch_execz .LBB312_115
; %bb.114:
	ds_read_b32 v0, v27
	s_waitcnt lgkmcnt(0)
	v_add3_u32 v0, v23, v25, v0
	global_store_dword v27, v0, s[38:39]
.LBB312_115:
	s_endpgm
	.section	.rodata,"a",@progbits
	.p2align	6, 0x0
	.amdhsa_kernel _ZN7rocprim17ROCPRIM_400000_NS6detail17trampoline_kernelINS0_14default_configENS1_35radix_sort_onesweep_config_selectorIhlEEZZNS1_29radix_sort_onesweep_iterationIS3_Lb0EPhS7_N6thrust23THRUST_200600_302600_NS10device_ptrIlEESB_jNS0_19identity_decomposerENS1_16block_id_wrapperIjLb0EEEEE10hipError_tT1_PNSt15iterator_traitsISG_E10value_typeET2_T3_PNSH_ISM_E10value_typeET4_T5_PSR_SS_PNS1_23onesweep_lookback_stateEbbT6_jjT7_P12ihipStream_tbENKUlT_T0_SG_SL_E_clIS7_S7_PlSB_EEDaSZ_S10_SG_SL_EUlSZ_E_NS1_11comp_targetILNS1_3genE2ELNS1_11target_archE906ELNS1_3gpuE6ELNS1_3repE0EEENS1_47radix_sort_onesweep_sort_config_static_selectorELNS0_4arch9wavefront6targetE1EEEvSG_
		.amdhsa_group_segment_fixed_size 10280
		.amdhsa_private_segment_fixed_size 32
		.amdhsa_kernarg_size 344
		.amdhsa_user_sgpr_count 6
		.amdhsa_user_sgpr_private_segment_buffer 1
		.amdhsa_user_sgpr_dispatch_ptr 0
		.amdhsa_user_sgpr_queue_ptr 0
		.amdhsa_user_sgpr_kernarg_segment_ptr 1
		.amdhsa_user_sgpr_dispatch_id 0
		.amdhsa_user_sgpr_flat_scratch_init 0
		.amdhsa_user_sgpr_private_segment_size 0
		.amdhsa_uses_dynamic_stack 0
		.amdhsa_system_sgpr_private_segment_wavefront_offset 1
		.amdhsa_system_sgpr_workgroup_id_x 1
		.amdhsa_system_sgpr_workgroup_id_y 0
		.amdhsa_system_sgpr_workgroup_id_z 0
		.amdhsa_system_sgpr_workgroup_info 0
		.amdhsa_system_vgpr_workitem_id 2
		.amdhsa_next_free_vgpr 41
		.amdhsa_next_free_sgpr 53
		.amdhsa_reserve_vcc 1
		.amdhsa_reserve_flat_scratch 0
		.amdhsa_float_round_mode_32 0
		.amdhsa_float_round_mode_16_64 0
		.amdhsa_float_denorm_mode_32 3
		.amdhsa_float_denorm_mode_16_64 3
		.amdhsa_dx10_clamp 1
		.amdhsa_ieee_mode 1
		.amdhsa_fp16_overflow 0
		.amdhsa_exception_fp_ieee_invalid_op 0
		.amdhsa_exception_fp_denorm_src 0
		.amdhsa_exception_fp_ieee_div_zero 0
		.amdhsa_exception_fp_ieee_overflow 0
		.amdhsa_exception_fp_ieee_underflow 0
		.amdhsa_exception_fp_ieee_inexact 0
		.amdhsa_exception_int_div_zero 0
	.end_amdhsa_kernel
	.section	.text._ZN7rocprim17ROCPRIM_400000_NS6detail17trampoline_kernelINS0_14default_configENS1_35radix_sort_onesweep_config_selectorIhlEEZZNS1_29radix_sort_onesweep_iterationIS3_Lb0EPhS7_N6thrust23THRUST_200600_302600_NS10device_ptrIlEESB_jNS0_19identity_decomposerENS1_16block_id_wrapperIjLb0EEEEE10hipError_tT1_PNSt15iterator_traitsISG_E10value_typeET2_T3_PNSH_ISM_E10value_typeET4_T5_PSR_SS_PNS1_23onesweep_lookback_stateEbbT6_jjT7_P12ihipStream_tbENKUlT_T0_SG_SL_E_clIS7_S7_PlSB_EEDaSZ_S10_SG_SL_EUlSZ_E_NS1_11comp_targetILNS1_3genE2ELNS1_11target_archE906ELNS1_3gpuE6ELNS1_3repE0EEENS1_47radix_sort_onesweep_sort_config_static_selectorELNS0_4arch9wavefront6targetE1EEEvSG_,"axG",@progbits,_ZN7rocprim17ROCPRIM_400000_NS6detail17trampoline_kernelINS0_14default_configENS1_35radix_sort_onesweep_config_selectorIhlEEZZNS1_29radix_sort_onesweep_iterationIS3_Lb0EPhS7_N6thrust23THRUST_200600_302600_NS10device_ptrIlEESB_jNS0_19identity_decomposerENS1_16block_id_wrapperIjLb0EEEEE10hipError_tT1_PNSt15iterator_traitsISG_E10value_typeET2_T3_PNSH_ISM_E10value_typeET4_T5_PSR_SS_PNS1_23onesweep_lookback_stateEbbT6_jjT7_P12ihipStream_tbENKUlT_T0_SG_SL_E_clIS7_S7_PlSB_EEDaSZ_S10_SG_SL_EUlSZ_E_NS1_11comp_targetILNS1_3genE2ELNS1_11target_archE906ELNS1_3gpuE6ELNS1_3repE0EEENS1_47radix_sort_onesweep_sort_config_static_selectorELNS0_4arch9wavefront6targetE1EEEvSG_,comdat
.Lfunc_end312:
	.size	_ZN7rocprim17ROCPRIM_400000_NS6detail17trampoline_kernelINS0_14default_configENS1_35radix_sort_onesweep_config_selectorIhlEEZZNS1_29radix_sort_onesweep_iterationIS3_Lb0EPhS7_N6thrust23THRUST_200600_302600_NS10device_ptrIlEESB_jNS0_19identity_decomposerENS1_16block_id_wrapperIjLb0EEEEE10hipError_tT1_PNSt15iterator_traitsISG_E10value_typeET2_T3_PNSH_ISM_E10value_typeET4_T5_PSR_SS_PNS1_23onesweep_lookback_stateEbbT6_jjT7_P12ihipStream_tbENKUlT_T0_SG_SL_E_clIS7_S7_PlSB_EEDaSZ_S10_SG_SL_EUlSZ_E_NS1_11comp_targetILNS1_3genE2ELNS1_11target_archE906ELNS1_3gpuE6ELNS1_3repE0EEENS1_47radix_sort_onesweep_sort_config_static_selectorELNS0_4arch9wavefront6targetE1EEEvSG_, .Lfunc_end312-_ZN7rocprim17ROCPRIM_400000_NS6detail17trampoline_kernelINS0_14default_configENS1_35radix_sort_onesweep_config_selectorIhlEEZZNS1_29radix_sort_onesweep_iterationIS3_Lb0EPhS7_N6thrust23THRUST_200600_302600_NS10device_ptrIlEESB_jNS0_19identity_decomposerENS1_16block_id_wrapperIjLb0EEEEE10hipError_tT1_PNSt15iterator_traitsISG_E10value_typeET2_T3_PNSH_ISM_E10value_typeET4_T5_PSR_SS_PNS1_23onesweep_lookback_stateEbbT6_jjT7_P12ihipStream_tbENKUlT_T0_SG_SL_E_clIS7_S7_PlSB_EEDaSZ_S10_SG_SL_EUlSZ_E_NS1_11comp_targetILNS1_3genE2ELNS1_11target_archE906ELNS1_3gpuE6ELNS1_3repE0EEENS1_47radix_sort_onesweep_sort_config_static_selectorELNS0_4arch9wavefront6targetE1EEEvSG_
                                        ; -- End function
	.set _ZN7rocprim17ROCPRIM_400000_NS6detail17trampoline_kernelINS0_14default_configENS1_35radix_sort_onesweep_config_selectorIhlEEZZNS1_29radix_sort_onesweep_iterationIS3_Lb0EPhS7_N6thrust23THRUST_200600_302600_NS10device_ptrIlEESB_jNS0_19identity_decomposerENS1_16block_id_wrapperIjLb0EEEEE10hipError_tT1_PNSt15iterator_traitsISG_E10value_typeET2_T3_PNSH_ISM_E10value_typeET4_T5_PSR_SS_PNS1_23onesweep_lookback_stateEbbT6_jjT7_P12ihipStream_tbENKUlT_T0_SG_SL_E_clIS7_S7_PlSB_EEDaSZ_S10_SG_SL_EUlSZ_E_NS1_11comp_targetILNS1_3genE2ELNS1_11target_archE906ELNS1_3gpuE6ELNS1_3repE0EEENS1_47radix_sort_onesweep_sort_config_static_selectorELNS0_4arch9wavefront6targetE1EEEvSG_.num_vgpr, 41
	.set _ZN7rocprim17ROCPRIM_400000_NS6detail17trampoline_kernelINS0_14default_configENS1_35radix_sort_onesweep_config_selectorIhlEEZZNS1_29radix_sort_onesweep_iterationIS3_Lb0EPhS7_N6thrust23THRUST_200600_302600_NS10device_ptrIlEESB_jNS0_19identity_decomposerENS1_16block_id_wrapperIjLb0EEEEE10hipError_tT1_PNSt15iterator_traitsISG_E10value_typeET2_T3_PNSH_ISM_E10value_typeET4_T5_PSR_SS_PNS1_23onesweep_lookback_stateEbbT6_jjT7_P12ihipStream_tbENKUlT_T0_SG_SL_E_clIS7_S7_PlSB_EEDaSZ_S10_SG_SL_EUlSZ_E_NS1_11comp_targetILNS1_3genE2ELNS1_11target_archE906ELNS1_3gpuE6ELNS1_3repE0EEENS1_47radix_sort_onesweep_sort_config_static_selectorELNS0_4arch9wavefront6targetE1EEEvSG_.num_agpr, 0
	.set _ZN7rocprim17ROCPRIM_400000_NS6detail17trampoline_kernelINS0_14default_configENS1_35radix_sort_onesweep_config_selectorIhlEEZZNS1_29radix_sort_onesweep_iterationIS3_Lb0EPhS7_N6thrust23THRUST_200600_302600_NS10device_ptrIlEESB_jNS0_19identity_decomposerENS1_16block_id_wrapperIjLb0EEEEE10hipError_tT1_PNSt15iterator_traitsISG_E10value_typeET2_T3_PNSH_ISM_E10value_typeET4_T5_PSR_SS_PNS1_23onesweep_lookback_stateEbbT6_jjT7_P12ihipStream_tbENKUlT_T0_SG_SL_E_clIS7_S7_PlSB_EEDaSZ_S10_SG_SL_EUlSZ_E_NS1_11comp_targetILNS1_3genE2ELNS1_11target_archE906ELNS1_3gpuE6ELNS1_3repE0EEENS1_47radix_sort_onesweep_sort_config_static_selectorELNS0_4arch9wavefront6targetE1EEEvSG_.numbered_sgpr, 53
	.set _ZN7rocprim17ROCPRIM_400000_NS6detail17trampoline_kernelINS0_14default_configENS1_35radix_sort_onesweep_config_selectorIhlEEZZNS1_29radix_sort_onesweep_iterationIS3_Lb0EPhS7_N6thrust23THRUST_200600_302600_NS10device_ptrIlEESB_jNS0_19identity_decomposerENS1_16block_id_wrapperIjLb0EEEEE10hipError_tT1_PNSt15iterator_traitsISG_E10value_typeET2_T3_PNSH_ISM_E10value_typeET4_T5_PSR_SS_PNS1_23onesweep_lookback_stateEbbT6_jjT7_P12ihipStream_tbENKUlT_T0_SG_SL_E_clIS7_S7_PlSB_EEDaSZ_S10_SG_SL_EUlSZ_E_NS1_11comp_targetILNS1_3genE2ELNS1_11target_archE906ELNS1_3gpuE6ELNS1_3repE0EEENS1_47radix_sort_onesweep_sort_config_static_selectorELNS0_4arch9wavefront6targetE1EEEvSG_.num_named_barrier, 0
	.set _ZN7rocprim17ROCPRIM_400000_NS6detail17trampoline_kernelINS0_14default_configENS1_35radix_sort_onesweep_config_selectorIhlEEZZNS1_29radix_sort_onesweep_iterationIS3_Lb0EPhS7_N6thrust23THRUST_200600_302600_NS10device_ptrIlEESB_jNS0_19identity_decomposerENS1_16block_id_wrapperIjLb0EEEEE10hipError_tT1_PNSt15iterator_traitsISG_E10value_typeET2_T3_PNSH_ISM_E10value_typeET4_T5_PSR_SS_PNS1_23onesweep_lookback_stateEbbT6_jjT7_P12ihipStream_tbENKUlT_T0_SG_SL_E_clIS7_S7_PlSB_EEDaSZ_S10_SG_SL_EUlSZ_E_NS1_11comp_targetILNS1_3genE2ELNS1_11target_archE906ELNS1_3gpuE6ELNS1_3repE0EEENS1_47radix_sort_onesweep_sort_config_static_selectorELNS0_4arch9wavefront6targetE1EEEvSG_.private_seg_size, 32
	.set _ZN7rocprim17ROCPRIM_400000_NS6detail17trampoline_kernelINS0_14default_configENS1_35radix_sort_onesweep_config_selectorIhlEEZZNS1_29radix_sort_onesweep_iterationIS3_Lb0EPhS7_N6thrust23THRUST_200600_302600_NS10device_ptrIlEESB_jNS0_19identity_decomposerENS1_16block_id_wrapperIjLb0EEEEE10hipError_tT1_PNSt15iterator_traitsISG_E10value_typeET2_T3_PNSH_ISM_E10value_typeET4_T5_PSR_SS_PNS1_23onesweep_lookback_stateEbbT6_jjT7_P12ihipStream_tbENKUlT_T0_SG_SL_E_clIS7_S7_PlSB_EEDaSZ_S10_SG_SL_EUlSZ_E_NS1_11comp_targetILNS1_3genE2ELNS1_11target_archE906ELNS1_3gpuE6ELNS1_3repE0EEENS1_47radix_sort_onesweep_sort_config_static_selectorELNS0_4arch9wavefront6targetE1EEEvSG_.uses_vcc, 1
	.set _ZN7rocprim17ROCPRIM_400000_NS6detail17trampoline_kernelINS0_14default_configENS1_35radix_sort_onesweep_config_selectorIhlEEZZNS1_29radix_sort_onesweep_iterationIS3_Lb0EPhS7_N6thrust23THRUST_200600_302600_NS10device_ptrIlEESB_jNS0_19identity_decomposerENS1_16block_id_wrapperIjLb0EEEEE10hipError_tT1_PNSt15iterator_traitsISG_E10value_typeET2_T3_PNSH_ISM_E10value_typeET4_T5_PSR_SS_PNS1_23onesweep_lookback_stateEbbT6_jjT7_P12ihipStream_tbENKUlT_T0_SG_SL_E_clIS7_S7_PlSB_EEDaSZ_S10_SG_SL_EUlSZ_E_NS1_11comp_targetILNS1_3genE2ELNS1_11target_archE906ELNS1_3gpuE6ELNS1_3repE0EEENS1_47radix_sort_onesweep_sort_config_static_selectorELNS0_4arch9wavefront6targetE1EEEvSG_.uses_flat_scratch, 0
	.set _ZN7rocprim17ROCPRIM_400000_NS6detail17trampoline_kernelINS0_14default_configENS1_35radix_sort_onesweep_config_selectorIhlEEZZNS1_29radix_sort_onesweep_iterationIS3_Lb0EPhS7_N6thrust23THRUST_200600_302600_NS10device_ptrIlEESB_jNS0_19identity_decomposerENS1_16block_id_wrapperIjLb0EEEEE10hipError_tT1_PNSt15iterator_traitsISG_E10value_typeET2_T3_PNSH_ISM_E10value_typeET4_T5_PSR_SS_PNS1_23onesweep_lookback_stateEbbT6_jjT7_P12ihipStream_tbENKUlT_T0_SG_SL_E_clIS7_S7_PlSB_EEDaSZ_S10_SG_SL_EUlSZ_E_NS1_11comp_targetILNS1_3genE2ELNS1_11target_archE906ELNS1_3gpuE6ELNS1_3repE0EEENS1_47radix_sort_onesweep_sort_config_static_selectorELNS0_4arch9wavefront6targetE1EEEvSG_.has_dyn_sized_stack, 0
	.set _ZN7rocprim17ROCPRIM_400000_NS6detail17trampoline_kernelINS0_14default_configENS1_35radix_sort_onesweep_config_selectorIhlEEZZNS1_29radix_sort_onesweep_iterationIS3_Lb0EPhS7_N6thrust23THRUST_200600_302600_NS10device_ptrIlEESB_jNS0_19identity_decomposerENS1_16block_id_wrapperIjLb0EEEEE10hipError_tT1_PNSt15iterator_traitsISG_E10value_typeET2_T3_PNSH_ISM_E10value_typeET4_T5_PSR_SS_PNS1_23onesweep_lookback_stateEbbT6_jjT7_P12ihipStream_tbENKUlT_T0_SG_SL_E_clIS7_S7_PlSB_EEDaSZ_S10_SG_SL_EUlSZ_E_NS1_11comp_targetILNS1_3genE2ELNS1_11target_archE906ELNS1_3gpuE6ELNS1_3repE0EEENS1_47radix_sort_onesweep_sort_config_static_selectorELNS0_4arch9wavefront6targetE1EEEvSG_.has_recursion, 0
	.set _ZN7rocprim17ROCPRIM_400000_NS6detail17trampoline_kernelINS0_14default_configENS1_35radix_sort_onesweep_config_selectorIhlEEZZNS1_29radix_sort_onesweep_iterationIS3_Lb0EPhS7_N6thrust23THRUST_200600_302600_NS10device_ptrIlEESB_jNS0_19identity_decomposerENS1_16block_id_wrapperIjLb0EEEEE10hipError_tT1_PNSt15iterator_traitsISG_E10value_typeET2_T3_PNSH_ISM_E10value_typeET4_T5_PSR_SS_PNS1_23onesweep_lookback_stateEbbT6_jjT7_P12ihipStream_tbENKUlT_T0_SG_SL_E_clIS7_S7_PlSB_EEDaSZ_S10_SG_SL_EUlSZ_E_NS1_11comp_targetILNS1_3genE2ELNS1_11target_archE906ELNS1_3gpuE6ELNS1_3repE0EEENS1_47radix_sort_onesweep_sort_config_static_selectorELNS0_4arch9wavefront6targetE1EEEvSG_.has_indirect_call, 0
	.section	.AMDGPU.csdata,"",@progbits
; Kernel info:
; codeLenInByte = 10084
; TotalNumSgprs: 57
; NumVgprs: 41
; ScratchSize: 32
; MemoryBound: 0
; FloatMode: 240
; IeeeMode: 1
; LDSByteSize: 10280 bytes/workgroup (compile time only)
; SGPRBlocks: 7
; VGPRBlocks: 10
; NumSGPRsForWavesPerEU: 57
; NumVGPRsForWavesPerEU: 41
; Occupancy: 5
; WaveLimiterHint : 1
; COMPUTE_PGM_RSRC2:SCRATCH_EN: 1
; COMPUTE_PGM_RSRC2:USER_SGPR: 6
; COMPUTE_PGM_RSRC2:TRAP_HANDLER: 0
; COMPUTE_PGM_RSRC2:TGID_X_EN: 1
; COMPUTE_PGM_RSRC2:TGID_Y_EN: 0
; COMPUTE_PGM_RSRC2:TGID_Z_EN: 0
; COMPUTE_PGM_RSRC2:TIDIG_COMP_CNT: 2
	.section	.text._ZN7rocprim17ROCPRIM_400000_NS6detail17trampoline_kernelINS0_14default_configENS1_35radix_sort_onesweep_config_selectorIhlEEZZNS1_29radix_sort_onesweep_iterationIS3_Lb0EPhS7_N6thrust23THRUST_200600_302600_NS10device_ptrIlEESB_jNS0_19identity_decomposerENS1_16block_id_wrapperIjLb0EEEEE10hipError_tT1_PNSt15iterator_traitsISG_E10value_typeET2_T3_PNSH_ISM_E10value_typeET4_T5_PSR_SS_PNS1_23onesweep_lookback_stateEbbT6_jjT7_P12ihipStream_tbENKUlT_T0_SG_SL_E_clIS7_S7_PlSB_EEDaSZ_S10_SG_SL_EUlSZ_E_NS1_11comp_targetILNS1_3genE4ELNS1_11target_archE910ELNS1_3gpuE8ELNS1_3repE0EEENS1_47radix_sort_onesweep_sort_config_static_selectorELNS0_4arch9wavefront6targetE1EEEvSG_,"axG",@progbits,_ZN7rocprim17ROCPRIM_400000_NS6detail17trampoline_kernelINS0_14default_configENS1_35radix_sort_onesweep_config_selectorIhlEEZZNS1_29radix_sort_onesweep_iterationIS3_Lb0EPhS7_N6thrust23THRUST_200600_302600_NS10device_ptrIlEESB_jNS0_19identity_decomposerENS1_16block_id_wrapperIjLb0EEEEE10hipError_tT1_PNSt15iterator_traitsISG_E10value_typeET2_T3_PNSH_ISM_E10value_typeET4_T5_PSR_SS_PNS1_23onesweep_lookback_stateEbbT6_jjT7_P12ihipStream_tbENKUlT_T0_SG_SL_E_clIS7_S7_PlSB_EEDaSZ_S10_SG_SL_EUlSZ_E_NS1_11comp_targetILNS1_3genE4ELNS1_11target_archE910ELNS1_3gpuE8ELNS1_3repE0EEENS1_47radix_sort_onesweep_sort_config_static_selectorELNS0_4arch9wavefront6targetE1EEEvSG_,comdat
	.protected	_ZN7rocprim17ROCPRIM_400000_NS6detail17trampoline_kernelINS0_14default_configENS1_35radix_sort_onesweep_config_selectorIhlEEZZNS1_29radix_sort_onesweep_iterationIS3_Lb0EPhS7_N6thrust23THRUST_200600_302600_NS10device_ptrIlEESB_jNS0_19identity_decomposerENS1_16block_id_wrapperIjLb0EEEEE10hipError_tT1_PNSt15iterator_traitsISG_E10value_typeET2_T3_PNSH_ISM_E10value_typeET4_T5_PSR_SS_PNS1_23onesweep_lookback_stateEbbT6_jjT7_P12ihipStream_tbENKUlT_T0_SG_SL_E_clIS7_S7_PlSB_EEDaSZ_S10_SG_SL_EUlSZ_E_NS1_11comp_targetILNS1_3genE4ELNS1_11target_archE910ELNS1_3gpuE8ELNS1_3repE0EEENS1_47radix_sort_onesweep_sort_config_static_selectorELNS0_4arch9wavefront6targetE1EEEvSG_ ; -- Begin function _ZN7rocprim17ROCPRIM_400000_NS6detail17trampoline_kernelINS0_14default_configENS1_35radix_sort_onesweep_config_selectorIhlEEZZNS1_29radix_sort_onesweep_iterationIS3_Lb0EPhS7_N6thrust23THRUST_200600_302600_NS10device_ptrIlEESB_jNS0_19identity_decomposerENS1_16block_id_wrapperIjLb0EEEEE10hipError_tT1_PNSt15iterator_traitsISG_E10value_typeET2_T3_PNSH_ISM_E10value_typeET4_T5_PSR_SS_PNS1_23onesweep_lookback_stateEbbT6_jjT7_P12ihipStream_tbENKUlT_T0_SG_SL_E_clIS7_S7_PlSB_EEDaSZ_S10_SG_SL_EUlSZ_E_NS1_11comp_targetILNS1_3genE4ELNS1_11target_archE910ELNS1_3gpuE8ELNS1_3repE0EEENS1_47radix_sort_onesweep_sort_config_static_selectorELNS0_4arch9wavefront6targetE1EEEvSG_
	.globl	_ZN7rocprim17ROCPRIM_400000_NS6detail17trampoline_kernelINS0_14default_configENS1_35radix_sort_onesweep_config_selectorIhlEEZZNS1_29radix_sort_onesweep_iterationIS3_Lb0EPhS7_N6thrust23THRUST_200600_302600_NS10device_ptrIlEESB_jNS0_19identity_decomposerENS1_16block_id_wrapperIjLb0EEEEE10hipError_tT1_PNSt15iterator_traitsISG_E10value_typeET2_T3_PNSH_ISM_E10value_typeET4_T5_PSR_SS_PNS1_23onesweep_lookback_stateEbbT6_jjT7_P12ihipStream_tbENKUlT_T0_SG_SL_E_clIS7_S7_PlSB_EEDaSZ_S10_SG_SL_EUlSZ_E_NS1_11comp_targetILNS1_3genE4ELNS1_11target_archE910ELNS1_3gpuE8ELNS1_3repE0EEENS1_47radix_sort_onesweep_sort_config_static_selectorELNS0_4arch9wavefront6targetE1EEEvSG_
	.p2align	8
	.type	_ZN7rocprim17ROCPRIM_400000_NS6detail17trampoline_kernelINS0_14default_configENS1_35radix_sort_onesweep_config_selectorIhlEEZZNS1_29radix_sort_onesweep_iterationIS3_Lb0EPhS7_N6thrust23THRUST_200600_302600_NS10device_ptrIlEESB_jNS0_19identity_decomposerENS1_16block_id_wrapperIjLb0EEEEE10hipError_tT1_PNSt15iterator_traitsISG_E10value_typeET2_T3_PNSH_ISM_E10value_typeET4_T5_PSR_SS_PNS1_23onesweep_lookback_stateEbbT6_jjT7_P12ihipStream_tbENKUlT_T0_SG_SL_E_clIS7_S7_PlSB_EEDaSZ_S10_SG_SL_EUlSZ_E_NS1_11comp_targetILNS1_3genE4ELNS1_11target_archE910ELNS1_3gpuE8ELNS1_3repE0EEENS1_47radix_sort_onesweep_sort_config_static_selectorELNS0_4arch9wavefront6targetE1EEEvSG_,@function
_ZN7rocprim17ROCPRIM_400000_NS6detail17trampoline_kernelINS0_14default_configENS1_35radix_sort_onesweep_config_selectorIhlEEZZNS1_29radix_sort_onesweep_iterationIS3_Lb0EPhS7_N6thrust23THRUST_200600_302600_NS10device_ptrIlEESB_jNS0_19identity_decomposerENS1_16block_id_wrapperIjLb0EEEEE10hipError_tT1_PNSt15iterator_traitsISG_E10value_typeET2_T3_PNSH_ISM_E10value_typeET4_T5_PSR_SS_PNS1_23onesweep_lookback_stateEbbT6_jjT7_P12ihipStream_tbENKUlT_T0_SG_SL_E_clIS7_S7_PlSB_EEDaSZ_S10_SG_SL_EUlSZ_E_NS1_11comp_targetILNS1_3genE4ELNS1_11target_archE910ELNS1_3gpuE8ELNS1_3repE0EEENS1_47radix_sort_onesweep_sort_config_static_selectorELNS0_4arch9wavefront6targetE1EEEvSG_: ; @_ZN7rocprim17ROCPRIM_400000_NS6detail17trampoline_kernelINS0_14default_configENS1_35radix_sort_onesweep_config_selectorIhlEEZZNS1_29radix_sort_onesweep_iterationIS3_Lb0EPhS7_N6thrust23THRUST_200600_302600_NS10device_ptrIlEESB_jNS0_19identity_decomposerENS1_16block_id_wrapperIjLb0EEEEE10hipError_tT1_PNSt15iterator_traitsISG_E10value_typeET2_T3_PNSH_ISM_E10value_typeET4_T5_PSR_SS_PNS1_23onesweep_lookback_stateEbbT6_jjT7_P12ihipStream_tbENKUlT_T0_SG_SL_E_clIS7_S7_PlSB_EEDaSZ_S10_SG_SL_EUlSZ_E_NS1_11comp_targetILNS1_3genE4ELNS1_11target_archE910ELNS1_3gpuE8ELNS1_3repE0EEENS1_47radix_sort_onesweep_sort_config_static_selectorELNS0_4arch9wavefront6targetE1EEEvSG_
; %bb.0:
	.section	.rodata,"a",@progbits
	.p2align	6, 0x0
	.amdhsa_kernel _ZN7rocprim17ROCPRIM_400000_NS6detail17trampoline_kernelINS0_14default_configENS1_35radix_sort_onesweep_config_selectorIhlEEZZNS1_29radix_sort_onesweep_iterationIS3_Lb0EPhS7_N6thrust23THRUST_200600_302600_NS10device_ptrIlEESB_jNS0_19identity_decomposerENS1_16block_id_wrapperIjLb0EEEEE10hipError_tT1_PNSt15iterator_traitsISG_E10value_typeET2_T3_PNSH_ISM_E10value_typeET4_T5_PSR_SS_PNS1_23onesweep_lookback_stateEbbT6_jjT7_P12ihipStream_tbENKUlT_T0_SG_SL_E_clIS7_S7_PlSB_EEDaSZ_S10_SG_SL_EUlSZ_E_NS1_11comp_targetILNS1_3genE4ELNS1_11target_archE910ELNS1_3gpuE8ELNS1_3repE0EEENS1_47radix_sort_onesweep_sort_config_static_selectorELNS0_4arch9wavefront6targetE1EEEvSG_
		.amdhsa_group_segment_fixed_size 0
		.amdhsa_private_segment_fixed_size 0
		.amdhsa_kernarg_size 88
		.amdhsa_user_sgpr_count 6
		.amdhsa_user_sgpr_private_segment_buffer 1
		.amdhsa_user_sgpr_dispatch_ptr 0
		.amdhsa_user_sgpr_queue_ptr 0
		.amdhsa_user_sgpr_kernarg_segment_ptr 1
		.amdhsa_user_sgpr_dispatch_id 0
		.amdhsa_user_sgpr_flat_scratch_init 0
		.amdhsa_user_sgpr_private_segment_size 0
		.amdhsa_uses_dynamic_stack 0
		.amdhsa_system_sgpr_private_segment_wavefront_offset 0
		.amdhsa_system_sgpr_workgroup_id_x 1
		.amdhsa_system_sgpr_workgroup_id_y 0
		.amdhsa_system_sgpr_workgroup_id_z 0
		.amdhsa_system_sgpr_workgroup_info 0
		.amdhsa_system_vgpr_workitem_id 0
		.amdhsa_next_free_vgpr 1
		.amdhsa_next_free_sgpr 0
		.amdhsa_reserve_vcc 0
		.amdhsa_reserve_flat_scratch 0
		.amdhsa_float_round_mode_32 0
		.amdhsa_float_round_mode_16_64 0
		.amdhsa_float_denorm_mode_32 3
		.amdhsa_float_denorm_mode_16_64 3
		.amdhsa_dx10_clamp 1
		.amdhsa_ieee_mode 1
		.amdhsa_fp16_overflow 0
		.amdhsa_exception_fp_ieee_invalid_op 0
		.amdhsa_exception_fp_denorm_src 0
		.amdhsa_exception_fp_ieee_div_zero 0
		.amdhsa_exception_fp_ieee_overflow 0
		.amdhsa_exception_fp_ieee_underflow 0
		.amdhsa_exception_fp_ieee_inexact 0
		.amdhsa_exception_int_div_zero 0
	.end_amdhsa_kernel
	.section	.text._ZN7rocprim17ROCPRIM_400000_NS6detail17trampoline_kernelINS0_14default_configENS1_35radix_sort_onesweep_config_selectorIhlEEZZNS1_29radix_sort_onesweep_iterationIS3_Lb0EPhS7_N6thrust23THRUST_200600_302600_NS10device_ptrIlEESB_jNS0_19identity_decomposerENS1_16block_id_wrapperIjLb0EEEEE10hipError_tT1_PNSt15iterator_traitsISG_E10value_typeET2_T3_PNSH_ISM_E10value_typeET4_T5_PSR_SS_PNS1_23onesweep_lookback_stateEbbT6_jjT7_P12ihipStream_tbENKUlT_T0_SG_SL_E_clIS7_S7_PlSB_EEDaSZ_S10_SG_SL_EUlSZ_E_NS1_11comp_targetILNS1_3genE4ELNS1_11target_archE910ELNS1_3gpuE8ELNS1_3repE0EEENS1_47radix_sort_onesweep_sort_config_static_selectorELNS0_4arch9wavefront6targetE1EEEvSG_,"axG",@progbits,_ZN7rocprim17ROCPRIM_400000_NS6detail17trampoline_kernelINS0_14default_configENS1_35radix_sort_onesweep_config_selectorIhlEEZZNS1_29radix_sort_onesweep_iterationIS3_Lb0EPhS7_N6thrust23THRUST_200600_302600_NS10device_ptrIlEESB_jNS0_19identity_decomposerENS1_16block_id_wrapperIjLb0EEEEE10hipError_tT1_PNSt15iterator_traitsISG_E10value_typeET2_T3_PNSH_ISM_E10value_typeET4_T5_PSR_SS_PNS1_23onesweep_lookback_stateEbbT6_jjT7_P12ihipStream_tbENKUlT_T0_SG_SL_E_clIS7_S7_PlSB_EEDaSZ_S10_SG_SL_EUlSZ_E_NS1_11comp_targetILNS1_3genE4ELNS1_11target_archE910ELNS1_3gpuE8ELNS1_3repE0EEENS1_47radix_sort_onesweep_sort_config_static_selectorELNS0_4arch9wavefront6targetE1EEEvSG_,comdat
.Lfunc_end313:
	.size	_ZN7rocprim17ROCPRIM_400000_NS6detail17trampoline_kernelINS0_14default_configENS1_35radix_sort_onesweep_config_selectorIhlEEZZNS1_29radix_sort_onesweep_iterationIS3_Lb0EPhS7_N6thrust23THRUST_200600_302600_NS10device_ptrIlEESB_jNS0_19identity_decomposerENS1_16block_id_wrapperIjLb0EEEEE10hipError_tT1_PNSt15iterator_traitsISG_E10value_typeET2_T3_PNSH_ISM_E10value_typeET4_T5_PSR_SS_PNS1_23onesweep_lookback_stateEbbT6_jjT7_P12ihipStream_tbENKUlT_T0_SG_SL_E_clIS7_S7_PlSB_EEDaSZ_S10_SG_SL_EUlSZ_E_NS1_11comp_targetILNS1_3genE4ELNS1_11target_archE910ELNS1_3gpuE8ELNS1_3repE0EEENS1_47radix_sort_onesweep_sort_config_static_selectorELNS0_4arch9wavefront6targetE1EEEvSG_, .Lfunc_end313-_ZN7rocprim17ROCPRIM_400000_NS6detail17trampoline_kernelINS0_14default_configENS1_35radix_sort_onesweep_config_selectorIhlEEZZNS1_29radix_sort_onesweep_iterationIS3_Lb0EPhS7_N6thrust23THRUST_200600_302600_NS10device_ptrIlEESB_jNS0_19identity_decomposerENS1_16block_id_wrapperIjLb0EEEEE10hipError_tT1_PNSt15iterator_traitsISG_E10value_typeET2_T3_PNSH_ISM_E10value_typeET4_T5_PSR_SS_PNS1_23onesweep_lookback_stateEbbT6_jjT7_P12ihipStream_tbENKUlT_T0_SG_SL_E_clIS7_S7_PlSB_EEDaSZ_S10_SG_SL_EUlSZ_E_NS1_11comp_targetILNS1_3genE4ELNS1_11target_archE910ELNS1_3gpuE8ELNS1_3repE0EEENS1_47radix_sort_onesweep_sort_config_static_selectorELNS0_4arch9wavefront6targetE1EEEvSG_
                                        ; -- End function
	.set _ZN7rocprim17ROCPRIM_400000_NS6detail17trampoline_kernelINS0_14default_configENS1_35radix_sort_onesweep_config_selectorIhlEEZZNS1_29radix_sort_onesweep_iterationIS3_Lb0EPhS7_N6thrust23THRUST_200600_302600_NS10device_ptrIlEESB_jNS0_19identity_decomposerENS1_16block_id_wrapperIjLb0EEEEE10hipError_tT1_PNSt15iterator_traitsISG_E10value_typeET2_T3_PNSH_ISM_E10value_typeET4_T5_PSR_SS_PNS1_23onesweep_lookback_stateEbbT6_jjT7_P12ihipStream_tbENKUlT_T0_SG_SL_E_clIS7_S7_PlSB_EEDaSZ_S10_SG_SL_EUlSZ_E_NS1_11comp_targetILNS1_3genE4ELNS1_11target_archE910ELNS1_3gpuE8ELNS1_3repE0EEENS1_47radix_sort_onesweep_sort_config_static_selectorELNS0_4arch9wavefront6targetE1EEEvSG_.num_vgpr, 0
	.set _ZN7rocprim17ROCPRIM_400000_NS6detail17trampoline_kernelINS0_14default_configENS1_35radix_sort_onesweep_config_selectorIhlEEZZNS1_29radix_sort_onesweep_iterationIS3_Lb0EPhS7_N6thrust23THRUST_200600_302600_NS10device_ptrIlEESB_jNS0_19identity_decomposerENS1_16block_id_wrapperIjLb0EEEEE10hipError_tT1_PNSt15iterator_traitsISG_E10value_typeET2_T3_PNSH_ISM_E10value_typeET4_T5_PSR_SS_PNS1_23onesweep_lookback_stateEbbT6_jjT7_P12ihipStream_tbENKUlT_T0_SG_SL_E_clIS7_S7_PlSB_EEDaSZ_S10_SG_SL_EUlSZ_E_NS1_11comp_targetILNS1_3genE4ELNS1_11target_archE910ELNS1_3gpuE8ELNS1_3repE0EEENS1_47radix_sort_onesweep_sort_config_static_selectorELNS0_4arch9wavefront6targetE1EEEvSG_.num_agpr, 0
	.set _ZN7rocprim17ROCPRIM_400000_NS6detail17trampoline_kernelINS0_14default_configENS1_35radix_sort_onesweep_config_selectorIhlEEZZNS1_29radix_sort_onesweep_iterationIS3_Lb0EPhS7_N6thrust23THRUST_200600_302600_NS10device_ptrIlEESB_jNS0_19identity_decomposerENS1_16block_id_wrapperIjLb0EEEEE10hipError_tT1_PNSt15iterator_traitsISG_E10value_typeET2_T3_PNSH_ISM_E10value_typeET4_T5_PSR_SS_PNS1_23onesweep_lookback_stateEbbT6_jjT7_P12ihipStream_tbENKUlT_T0_SG_SL_E_clIS7_S7_PlSB_EEDaSZ_S10_SG_SL_EUlSZ_E_NS1_11comp_targetILNS1_3genE4ELNS1_11target_archE910ELNS1_3gpuE8ELNS1_3repE0EEENS1_47radix_sort_onesweep_sort_config_static_selectorELNS0_4arch9wavefront6targetE1EEEvSG_.numbered_sgpr, 0
	.set _ZN7rocprim17ROCPRIM_400000_NS6detail17trampoline_kernelINS0_14default_configENS1_35radix_sort_onesweep_config_selectorIhlEEZZNS1_29radix_sort_onesweep_iterationIS3_Lb0EPhS7_N6thrust23THRUST_200600_302600_NS10device_ptrIlEESB_jNS0_19identity_decomposerENS1_16block_id_wrapperIjLb0EEEEE10hipError_tT1_PNSt15iterator_traitsISG_E10value_typeET2_T3_PNSH_ISM_E10value_typeET4_T5_PSR_SS_PNS1_23onesweep_lookback_stateEbbT6_jjT7_P12ihipStream_tbENKUlT_T0_SG_SL_E_clIS7_S7_PlSB_EEDaSZ_S10_SG_SL_EUlSZ_E_NS1_11comp_targetILNS1_3genE4ELNS1_11target_archE910ELNS1_3gpuE8ELNS1_3repE0EEENS1_47radix_sort_onesweep_sort_config_static_selectorELNS0_4arch9wavefront6targetE1EEEvSG_.num_named_barrier, 0
	.set _ZN7rocprim17ROCPRIM_400000_NS6detail17trampoline_kernelINS0_14default_configENS1_35radix_sort_onesweep_config_selectorIhlEEZZNS1_29radix_sort_onesweep_iterationIS3_Lb0EPhS7_N6thrust23THRUST_200600_302600_NS10device_ptrIlEESB_jNS0_19identity_decomposerENS1_16block_id_wrapperIjLb0EEEEE10hipError_tT1_PNSt15iterator_traitsISG_E10value_typeET2_T3_PNSH_ISM_E10value_typeET4_T5_PSR_SS_PNS1_23onesweep_lookback_stateEbbT6_jjT7_P12ihipStream_tbENKUlT_T0_SG_SL_E_clIS7_S7_PlSB_EEDaSZ_S10_SG_SL_EUlSZ_E_NS1_11comp_targetILNS1_3genE4ELNS1_11target_archE910ELNS1_3gpuE8ELNS1_3repE0EEENS1_47radix_sort_onesweep_sort_config_static_selectorELNS0_4arch9wavefront6targetE1EEEvSG_.private_seg_size, 0
	.set _ZN7rocprim17ROCPRIM_400000_NS6detail17trampoline_kernelINS0_14default_configENS1_35radix_sort_onesweep_config_selectorIhlEEZZNS1_29radix_sort_onesweep_iterationIS3_Lb0EPhS7_N6thrust23THRUST_200600_302600_NS10device_ptrIlEESB_jNS0_19identity_decomposerENS1_16block_id_wrapperIjLb0EEEEE10hipError_tT1_PNSt15iterator_traitsISG_E10value_typeET2_T3_PNSH_ISM_E10value_typeET4_T5_PSR_SS_PNS1_23onesweep_lookback_stateEbbT6_jjT7_P12ihipStream_tbENKUlT_T0_SG_SL_E_clIS7_S7_PlSB_EEDaSZ_S10_SG_SL_EUlSZ_E_NS1_11comp_targetILNS1_3genE4ELNS1_11target_archE910ELNS1_3gpuE8ELNS1_3repE0EEENS1_47radix_sort_onesweep_sort_config_static_selectorELNS0_4arch9wavefront6targetE1EEEvSG_.uses_vcc, 0
	.set _ZN7rocprim17ROCPRIM_400000_NS6detail17trampoline_kernelINS0_14default_configENS1_35radix_sort_onesweep_config_selectorIhlEEZZNS1_29radix_sort_onesweep_iterationIS3_Lb0EPhS7_N6thrust23THRUST_200600_302600_NS10device_ptrIlEESB_jNS0_19identity_decomposerENS1_16block_id_wrapperIjLb0EEEEE10hipError_tT1_PNSt15iterator_traitsISG_E10value_typeET2_T3_PNSH_ISM_E10value_typeET4_T5_PSR_SS_PNS1_23onesweep_lookback_stateEbbT6_jjT7_P12ihipStream_tbENKUlT_T0_SG_SL_E_clIS7_S7_PlSB_EEDaSZ_S10_SG_SL_EUlSZ_E_NS1_11comp_targetILNS1_3genE4ELNS1_11target_archE910ELNS1_3gpuE8ELNS1_3repE0EEENS1_47radix_sort_onesweep_sort_config_static_selectorELNS0_4arch9wavefront6targetE1EEEvSG_.uses_flat_scratch, 0
	.set _ZN7rocprim17ROCPRIM_400000_NS6detail17trampoline_kernelINS0_14default_configENS1_35radix_sort_onesweep_config_selectorIhlEEZZNS1_29radix_sort_onesweep_iterationIS3_Lb0EPhS7_N6thrust23THRUST_200600_302600_NS10device_ptrIlEESB_jNS0_19identity_decomposerENS1_16block_id_wrapperIjLb0EEEEE10hipError_tT1_PNSt15iterator_traitsISG_E10value_typeET2_T3_PNSH_ISM_E10value_typeET4_T5_PSR_SS_PNS1_23onesweep_lookback_stateEbbT6_jjT7_P12ihipStream_tbENKUlT_T0_SG_SL_E_clIS7_S7_PlSB_EEDaSZ_S10_SG_SL_EUlSZ_E_NS1_11comp_targetILNS1_3genE4ELNS1_11target_archE910ELNS1_3gpuE8ELNS1_3repE0EEENS1_47radix_sort_onesweep_sort_config_static_selectorELNS0_4arch9wavefront6targetE1EEEvSG_.has_dyn_sized_stack, 0
	.set _ZN7rocprim17ROCPRIM_400000_NS6detail17trampoline_kernelINS0_14default_configENS1_35radix_sort_onesweep_config_selectorIhlEEZZNS1_29radix_sort_onesweep_iterationIS3_Lb0EPhS7_N6thrust23THRUST_200600_302600_NS10device_ptrIlEESB_jNS0_19identity_decomposerENS1_16block_id_wrapperIjLb0EEEEE10hipError_tT1_PNSt15iterator_traitsISG_E10value_typeET2_T3_PNSH_ISM_E10value_typeET4_T5_PSR_SS_PNS1_23onesweep_lookback_stateEbbT6_jjT7_P12ihipStream_tbENKUlT_T0_SG_SL_E_clIS7_S7_PlSB_EEDaSZ_S10_SG_SL_EUlSZ_E_NS1_11comp_targetILNS1_3genE4ELNS1_11target_archE910ELNS1_3gpuE8ELNS1_3repE0EEENS1_47radix_sort_onesweep_sort_config_static_selectorELNS0_4arch9wavefront6targetE1EEEvSG_.has_recursion, 0
	.set _ZN7rocprim17ROCPRIM_400000_NS6detail17trampoline_kernelINS0_14default_configENS1_35radix_sort_onesweep_config_selectorIhlEEZZNS1_29radix_sort_onesweep_iterationIS3_Lb0EPhS7_N6thrust23THRUST_200600_302600_NS10device_ptrIlEESB_jNS0_19identity_decomposerENS1_16block_id_wrapperIjLb0EEEEE10hipError_tT1_PNSt15iterator_traitsISG_E10value_typeET2_T3_PNSH_ISM_E10value_typeET4_T5_PSR_SS_PNS1_23onesweep_lookback_stateEbbT6_jjT7_P12ihipStream_tbENKUlT_T0_SG_SL_E_clIS7_S7_PlSB_EEDaSZ_S10_SG_SL_EUlSZ_E_NS1_11comp_targetILNS1_3genE4ELNS1_11target_archE910ELNS1_3gpuE8ELNS1_3repE0EEENS1_47radix_sort_onesweep_sort_config_static_selectorELNS0_4arch9wavefront6targetE1EEEvSG_.has_indirect_call, 0
	.section	.AMDGPU.csdata,"",@progbits
; Kernel info:
; codeLenInByte = 0
; TotalNumSgprs: 4
; NumVgprs: 0
; ScratchSize: 0
; MemoryBound: 0
; FloatMode: 240
; IeeeMode: 1
; LDSByteSize: 0 bytes/workgroup (compile time only)
; SGPRBlocks: 0
; VGPRBlocks: 0
; NumSGPRsForWavesPerEU: 4
; NumVGPRsForWavesPerEU: 1
; Occupancy: 10
; WaveLimiterHint : 0
; COMPUTE_PGM_RSRC2:SCRATCH_EN: 0
; COMPUTE_PGM_RSRC2:USER_SGPR: 6
; COMPUTE_PGM_RSRC2:TRAP_HANDLER: 0
; COMPUTE_PGM_RSRC2:TGID_X_EN: 1
; COMPUTE_PGM_RSRC2:TGID_Y_EN: 0
; COMPUTE_PGM_RSRC2:TGID_Z_EN: 0
; COMPUTE_PGM_RSRC2:TIDIG_COMP_CNT: 0
	.section	.text._ZN7rocprim17ROCPRIM_400000_NS6detail17trampoline_kernelINS0_14default_configENS1_35radix_sort_onesweep_config_selectorIhlEEZZNS1_29radix_sort_onesweep_iterationIS3_Lb0EPhS7_N6thrust23THRUST_200600_302600_NS10device_ptrIlEESB_jNS0_19identity_decomposerENS1_16block_id_wrapperIjLb0EEEEE10hipError_tT1_PNSt15iterator_traitsISG_E10value_typeET2_T3_PNSH_ISM_E10value_typeET4_T5_PSR_SS_PNS1_23onesweep_lookback_stateEbbT6_jjT7_P12ihipStream_tbENKUlT_T0_SG_SL_E_clIS7_S7_PlSB_EEDaSZ_S10_SG_SL_EUlSZ_E_NS1_11comp_targetILNS1_3genE3ELNS1_11target_archE908ELNS1_3gpuE7ELNS1_3repE0EEENS1_47radix_sort_onesweep_sort_config_static_selectorELNS0_4arch9wavefront6targetE1EEEvSG_,"axG",@progbits,_ZN7rocprim17ROCPRIM_400000_NS6detail17trampoline_kernelINS0_14default_configENS1_35radix_sort_onesweep_config_selectorIhlEEZZNS1_29radix_sort_onesweep_iterationIS3_Lb0EPhS7_N6thrust23THRUST_200600_302600_NS10device_ptrIlEESB_jNS0_19identity_decomposerENS1_16block_id_wrapperIjLb0EEEEE10hipError_tT1_PNSt15iterator_traitsISG_E10value_typeET2_T3_PNSH_ISM_E10value_typeET4_T5_PSR_SS_PNS1_23onesweep_lookback_stateEbbT6_jjT7_P12ihipStream_tbENKUlT_T0_SG_SL_E_clIS7_S7_PlSB_EEDaSZ_S10_SG_SL_EUlSZ_E_NS1_11comp_targetILNS1_3genE3ELNS1_11target_archE908ELNS1_3gpuE7ELNS1_3repE0EEENS1_47radix_sort_onesweep_sort_config_static_selectorELNS0_4arch9wavefront6targetE1EEEvSG_,comdat
	.protected	_ZN7rocprim17ROCPRIM_400000_NS6detail17trampoline_kernelINS0_14default_configENS1_35radix_sort_onesweep_config_selectorIhlEEZZNS1_29radix_sort_onesweep_iterationIS3_Lb0EPhS7_N6thrust23THRUST_200600_302600_NS10device_ptrIlEESB_jNS0_19identity_decomposerENS1_16block_id_wrapperIjLb0EEEEE10hipError_tT1_PNSt15iterator_traitsISG_E10value_typeET2_T3_PNSH_ISM_E10value_typeET4_T5_PSR_SS_PNS1_23onesweep_lookback_stateEbbT6_jjT7_P12ihipStream_tbENKUlT_T0_SG_SL_E_clIS7_S7_PlSB_EEDaSZ_S10_SG_SL_EUlSZ_E_NS1_11comp_targetILNS1_3genE3ELNS1_11target_archE908ELNS1_3gpuE7ELNS1_3repE0EEENS1_47radix_sort_onesweep_sort_config_static_selectorELNS0_4arch9wavefront6targetE1EEEvSG_ ; -- Begin function _ZN7rocprim17ROCPRIM_400000_NS6detail17trampoline_kernelINS0_14default_configENS1_35radix_sort_onesweep_config_selectorIhlEEZZNS1_29radix_sort_onesweep_iterationIS3_Lb0EPhS7_N6thrust23THRUST_200600_302600_NS10device_ptrIlEESB_jNS0_19identity_decomposerENS1_16block_id_wrapperIjLb0EEEEE10hipError_tT1_PNSt15iterator_traitsISG_E10value_typeET2_T3_PNSH_ISM_E10value_typeET4_T5_PSR_SS_PNS1_23onesweep_lookback_stateEbbT6_jjT7_P12ihipStream_tbENKUlT_T0_SG_SL_E_clIS7_S7_PlSB_EEDaSZ_S10_SG_SL_EUlSZ_E_NS1_11comp_targetILNS1_3genE3ELNS1_11target_archE908ELNS1_3gpuE7ELNS1_3repE0EEENS1_47radix_sort_onesweep_sort_config_static_selectorELNS0_4arch9wavefront6targetE1EEEvSG_
	.globl	_ZN7rocprim17ROCPRIM_400000_NS6detail17trampoline_kernelINS0_14default_configENS1_35radix_sort_onesweep_config_selectorIhlEEZZNS1_29radix_sort_onesweep_iterationIS3_Lb0EPhS7_N6thrust23THRUST_200600_302600_NS10device_ptrIlEESB_jNS0_19identity_decomposerENS1_16block_id_wrapperIjLb0EEEEE10hipError_tT1_PNSt15iterator_traitsISG_E10value_typeET2_T3_PNSH_ISM_E10value_typeET4_T5_PSR_SS_PNS1_23onesweep_lookback_stateEbbT6_jjT7_P12ihipStream_tbENKUlT_T0_SG_SL_E_clIS7_S7_PlSB_EEDaSZ_S10_SG_SL_EUlSZ_E_NS1_11comp_targetILNS1_3genE3ELNS1_11target_archE908ELNS1_3gpuE7ELNS1_3repE0EEENS1_47radix_sort_onesweep_sort_config_static_selectorELNS0_4arch9wavefront6targetE1EEEvSG_
	.p2align	8
	.type	_ZN7rocprim17ROCPRIM_400000_NS6detail17trampoline_kernelINS0_14default_configENS1_35radix_sort_onesweep_config_selectorIhlEEZZNS1_29radix_sort_onesweep_iterationIS3_Lb0EPhS7_N6thrust23THRUST_200600_302600_NS10device_ptrIlEESB_jNS0_19identity_decomposerENS1_16block_id_wrapperIjLb0EEEEE10hipError_tT1_PNSt15iterator_traitsISG_E10value_typeET2_T3_PNSH_ISM_E10value_typeET4_T5_PSR_SS_PNS1_23onesweep_lookback_stateEbbT6_jjT7_P12ihipStream_tbENKUlT_T0_SG_SL_E_clIS7_S7_PlSB_EEDaSZ_S10_SG_SL_EUlSZ_E_NS1_11comp_targetILNS1_3genE3ELNS1_11target_archE908ELNS1_3gpuE7ELNS1_3repE0EEENS1_47radix_sort_onesweep_sort_config_static_selectorELNS0_4arch9wavefront6targetE1EEEvSG_,@function
_ZN7rocprim17ROCPRIM_400000_NS6detail17trampoline_kernelINS0_14default_configENS1_35radix_sort_onesweep_config_selectorIhlEEZZNS1_29radix_sort_onesweep_iterationIS3_Lb0EPhS7_N6thrust23THRUST_200600_302600_NS10device_ptrIlEESB_jNS0_19identity_decomposerENS1_16block_id_wrapperIjLb0EEEEE10hipError_tT1_PNSt15iterator_traitsISG_E10value_typeET2_T3_PNSH_ISM_E10value_typeET4_T5_PSR_SS_PNS1_23onesweep_lookback_stateEbbT6_jjT7_P12ihipStream_tbENKUlT_T0_SG_SL_E_clIS7_S7_PlSB_EEDaSZ_S10_SG_SL_EUlSZ_E_NS1_11comp_targetILNS1_3genE3ELNS1_11target_archE908ELNS1_3gpuE7ELNS1_3repE0EEENS1_47radix_sort_onesweep_sort_config_static_selectorELNS0_4arch9wavefront6targetE1EEEvSG_: ; @_ZN7rocprim17ROCPRIM_400000_NS6detail17trampoline_kernelINS0_14default_configENS1_35radix_sort_onesweep_config_selectorIhlEEZZNS1_29radix_sort_onesweep_iterationIS3_Lb0EPhS7_N6thrust23THRUST_200600_302600_NS10device_ptrIlEESB_jNS0_19identity_decomposerENS1_16block_id_wrapperIjLb0EEEEE10hipError_tT1_PNSt15iterator_traitsISG_E10value_typeET2_T3_PNSH_ISM_E10value_typeET4_T5_PSR_SS_PNS1_23onesweep_lookback_stateEbbT6_jjT7_P12ihipStream_tbENKUlT_T0_SG_SL_E_clIS7_S7_PlSB_EEDaSZ_S10_SG_SL_EUlSZ_E_NS1_11comp_targetILNS1_3genE3ELNS1_11target_archE908ELNS1_3gpuE7ELNS1_3repE0EEENS1_47radix_sort_onesweep_sort_config_static_selectorELNS0_4arch9wavefront6targetE1EEEvSG_
; %bb.0:
	.section	.rodata,"a",@progbits
	.p2align	6, 0x0
	.amdhsa_kernel _ZN7rocprim17ROCPRIM_400000_NS6detail17trampoline_kernelINS0_14default_configENS1_35radix_sort_onesweep_config_selectorIhlEEZZNS1_29radix_sort_onesweep_iterationIS3_Lb0EPhS7_N6thrust23THRUST_200600_302600_NS10device_ptrIlEESB_jNS0_19identity_decomposerENS1_16block_id_wrapperIjLb0EEEEE10hipError_tT1_PNSt15iterator_traitsISG_E10value_typeET2_T3_PNSH_ISM_E10value_typeET4_T5_PSR_SS_PNS1_23onesweep_lookback_stateEbbT6_jjT7_P12ihipStream_tbENKUlT_T0_SG_SL_E_clIS7_S7_PlSB_EEDaSZ_S10_SG_SL_EUlSZ_E_NS1_11comp_targetILNS1_3genE3ELNS1_11target_archE908ELNS1_3gpuE7ELNS1_3repE0EEENS1_47radix_sort_onesweep_sort_config_static_selectorELNS0_4arch9wavefront6targetE1EEEvSG_
		.amdhsa_group_segment_fixed_size 0
		.amdhsa_private_segment_fixed_size 0
		.amdhsa_kernarg_size 88
		.amdhsa_user_sgpr_count 6
		.amdhsa_user_sgpr_private_segment_buffer 1
		.amdhsa_user_sgpr_dispatch_ptr 0
		.amdhsa_user_sgpr_queue_ptr 0
		.amdhsa_user_sgpr_kernarg_segment_ptr 1
		.amdhsa_user_sgpr_dispatch_id 0
		.amdhsa_user_sgpr_flat_scratch_init 0
		.amdhsa_user_sgpr_private_segment_size 0
		.amdhsa_uses_dynamic_stack 0
		.amdhsa_system_sgpr_private_segment_wavefront_offset 0
		.amdhsa_system_sgpr_workgroup_id_x 1
		.amdhsa_system_sgpr_workgroup_id_y 0
		.amdhsa_system_sgpr_workgroup_id_z 0
		.amdhsa_system_sgpr_workgroup_info 0
		.amdhsa_system_vgpr_workitem_id 0
		.amdhsa_next_free_vgpr 1
		.amdhsa_next_free_sgpr 0
		.amdhsa_reserve_vcc 0
		.amdhsa_reserve_flat_scratch 0
		.amdhsa_float_round_mode_32 0
		.amdhsa_float_round_mode_16_64 0
		.amdhsa_float_denorm_mode_32 3
		.amdhsa_float_denorm_mode_16_64 3
		.amdhsa_dx10_clamp 1
		.amdhsa_ieee_mode 1
		.amdhsa_fp16_overflow 0
		.amdhsa_exception_fp_ieee_invalid_op 0
		.amdhsa_exception_fp_denorm_src 0
		.amdhsa_exception_fp_ieee_div_zero 0
		.amdhsa_exception_fp_ieee_overflow 0
		.amdhsa_exception_fp_ieee_underflow 0
		.amdhsa_exception_fp_ieee_inexact 0
		.amdhsa_exception_int_div_zero 0
	.end_amdhsa_kernel
	.section	.text._ZN7rocprim17ROCPRIM_400000_NS6detail17trampoline_kernelINS0_14default_configENS1_35radix_sort_onesweep_config_selectorIhlEEZZNS1_29radix_sort_onesweep_iterationIS3_Lb0EPhS7_N6thrust23THRUST_200600_302600_NS10device_ptrIlEESB_jNS0_19identity_decomposerENS1_16block_id_wrapperIjLb0EEEEE10hipError_tT1_PNSt15iterator_traitsISG_E10value_typeET2_T3_PNSH_ISM_E10value_typeET4_T5_PSR_SS_PNS1_23onesweep_lookback_stateEbbT6_jjT7_P12ihipStream_tbENKUlT_T0_SG_SL_E_clIS7_S7_PlSB_EEDaSZ_S10_SG_SL_EUlSZ_E_NS1_11comp_targetILNS1_3genE3ELNS1_11target_archE908ELNS1_3gpuE7ELNS1_3repE0EEENS1_47radix_sort_onesweep_sort_config_static_selectorELNS0_4arch9wavefront6targetE1EEEvSG_,"axG",@progbits,_ZN7rocprim17ROCPRIM_400000_NS6detail17trampoline_kernelINS0_14default_configENS1_35radix_sort_onesweep_config_selectorIhlEEZZNS1_29radix_sort_onesweep_iterationIS3_Lb0EPhS7_N6thrust23THRUST_200600_302600_NS10device_ptrIlEESB_jNS0_19identity_decomposerENS1_16block_id_wrapperIjLb0EEEEE10hipError_tT1_PNSt15iterator_traitsISG_E10value_typeET2_T3_PNSH_ISM_E10value_typeET4_T5_PSR_SS_PNS1_23onesweep_lookback_stateEbbT6_jjT7_P12ihipStream_tbENKUlT_T0_SG_SL_E_clIS7_S7_PlSB_EEDaSZ_S10_SG_SL_EUlSZ_E_NS1_11comp_targetILNS1_3genE3ELNS1_11target_archE908ELNS1_3gpuE7ELNS1_3repE0EEENS1_47radix_sort_onesweep_sort_config_static_selectorELNS0_4arch9wavefront6targetE1EEEvSG_,comdat
.Lfunc_end314:
	.size	_ZN7rocprim17ROCPRIM_400000_NS6detail17trampoline_kernelINS0_14default_configENS1_35radix_sort_onesweep_config_selectorIhlEEZZNS1_29radix_sort_onesweep_iterationIS3_Lb0EPhS7_N6thrust23THRUST_200600_302600_NS10device_ptrIlEESB_jNS0_19identity_decomposerENS1_16block_id_wrapperIjLb0EEEEE10hipError_tT1_PNSt15iterator_traitsISG_E10value_typeET2_T3_PNSH_ISM_E10value_typeET4_T5_PSR_SS_PNS1_23onesweep_lookback_stateEbbT6_jjT7_P12ihipStream_tbENKUlT_T0_SG_SL_E_clIS7_S7_PlSB_EEDaSZ_S10_SG_SL_EUlSZ_E_NS1_11comp_targetILNS1_3genE3ELNS1_11target_archE908ELNS1_3gpuE7ELNS1_3repE0EEENS1_47radix_sort_onesweep_sort_config_static_selectorELNS0_4arch9wavefront6targetE1EEEvSG_, .Lfunc_end314-_ZN7rocprim17ROCPRIM_400000_NS6detail17trampoline_kernelINS0_14default_configENS1_35radix_sort_onesweep_config_selectorIhlEEZZNS1_29radix_sort_onesweep_iterationIS3_Lb0EPhS7_N6thrust23THRUST_200600_302600_NS10device_ptrIlEESB_jNS0_19identity_decomposerENS1_16block_id_wrapperIjLb0EEEEE10hipError_tT1_PNSt15iterator_traitsISG_E10value_typeET2_T3_PNSH_ISM_E10value_typeET4_T5_PSR_SS_PNS1_23onesweep_lookback_stateEbbT6_jjT7_P12ihipStream_tbENKUlT_T0_SG_SL_E_clIS7_S7_PlSB_EEDaSZ_S10_SG_SL_EUlSZ_E_NS1_11comp_targetILNS1_3genE3ELNS1_11target_archE908ELNS1_3gpuE7ELNS1_3repE0EEENS1_47radix_sort_onesweep_sort_config_static_selectorELNS0_4arch9wavefront6targetE1EEEvSG_
                                        ; -- End function
	.set _ZN7rocprim17ROCPRIM_400000_NS6detail17trampoline_kernelINS0_14default_configENS1_35radix_sort_onesweep_config_selectorIhlEEZZNS1_29radix_sort_onesweep_iterationIS3_Lb0EPhS7_N6thrust23THRUST_200600_302600_NS10device_ptrIlEESB_jNS0_19identity_decomposerENS1_16block_id_wrapperIjLb0EEEEE10hipError_tT1_PNSt15iterator_traitsISG_E10value_typeET2_T3_PNSH_ISM_E10value_typeET4_T5_PSR_SS_PNS1_23onesweep_lookback_stateEbbT6_jjT7_P12ihipStream_tbENKUlT_T0_SG_SL_E_clIS7_S7_PlSB_EEDaSZ_S10_SG_SL_EUlSZ_E_NS1_11comp_targetILNS1_3genE3ELNS1_11target_archE908ELNS1_3gpuE7ELNS1_3repE0EEENS1_47radix_sort_onesweep_sort_config_static_selectorELNS0_4arch9wavefront6targetE1EEEvSG_.num_vgpr, 0
	.set _ZN7rocprim17ROCPRIM_400000_NS6detail17trampoline_kernelINS0_14default_configENS1_35radix_sort_onesweep_config_selectorIhlEEZZNS1_29radix_sort_onesweep_iterationIS3_Lb0EPhS7_N6thrust23THRUST_200600_302600_NS10device_ptrIlEESB_jNS0_19identity_decomposerENS1_16block_id_wrapperIjLb0EEEEE10hipError_tT1_PNSt15iterator_traitsISG_E10value_typeET2_T3_PNSH_ISM_E10value_typeET4_T5_PSR_SS_PNS1_23onesweep_lookback_stateEbbT6_jjT7_P12ihipStream_tbENKUlT_T0_SG_SL_E_clIS7_S7_PlSB_EEDaSZ_S10_SG_SL_EUlSZ_E_NS1_11comp_targetILNS1_3genE3ELNS1_11target_archE908ELNS1_3gpuE7ELNS1_3repE0EEENS1_47radix_sort_onesweep_sort_config_static_selectorELNS0_4arch9wavefront6targetE1EEEvSG_.num_agpr, 0
	.set _ZN7rocprim17ROCPRIM_400000_NS6detail17trampoline_kernelINS0_14default_configENS1_35radix_sort_onesweep_config_selectorIhlEEZZNS1_29radix_sort_onesweep_iterationIS3_Lb0EPhS7_N6thrust23THRUST_200600_302600_NS10device_ptrIlEESB_jNS0_19identity_decomposerENS1_16block_id_wrapperIjLb0EEEEE10hipError_tT1_PNSt15iterator_traitsISG_E10value_typeET2_T3_PNSH_ISM_E10value_typeET4_T5_PSR_SS_PNS1_23onesweep_lookback_stateEbbT6_jjT7_P12ihipStream_tbENKUlT_T0_SG_SL_E_clIS7_S7_PlSB_EEDaSZ_S10_SG_SL_EUlSZ_E_NS1_11comp_targetILNS1_3genE3ELNS1_11target_archE908ELNS1_3gpuE7ELNS1_3repE0EEENS1_47radix_sort_onesweep_sort_config_static_selectorELNS0_4arch9wavefront6targetE1EEEvSG_.numbered_sgpr, 0
	.set _ZN7rocprim17ROCPRIM_400000_NS6detail17trampoline_kernelINS0_14default_configENS1_35radix_sort_onesweep_config_selectorIhlEEZZNS1_29radix_sort_onesweep_iterationIS3_Lb0EPhS7_N6thrust23THRUST_200600_302600_NS10device_ptrIlEESB_jNS0_19identity_decomposerENS1_16block_id_wrapperIjLb0EEEEE10hipError_tT1_PNSt15iterator_traitsISG_E10value_typeET2_T3_PNSH_ISM_E10value_typeET4_T5_PSR_SS_PNS1_23onesweep_lookback_stateEbbT6_jjT7_P12ihipStream_tbENKUlT_T0_SG_SL_E_clIS7_S7_PlSB_EEDaSZ_S10_SG_SL_EUlSZ_E_NS1_11comp_targetILNS1_3genE3ELNS1_11target_archE908ELNS1_3gpuE7ELNS1_3repE0EEENS1_47radix_sort_onesweep_sort_config_static_selectorELNS0_4arch9wavefront6targetE1EEEvSG_.num_named_barrier, 0
	.set _ZN7rocprim17ROCPRIM_400000_NS6detail17trampoline_kernelINS0_14default_configENS1_35radix_sort_onesweep_config_selectorIhlEEZZNS1_29radix_sort_onesweep_iterationIS3_Lb0EPhS7_N6thrust23THRUST_200600_302600_NS10device_ptrIlEESB_jNS0_19identity_decomposerENS1_16block_id_wrapperIjLb0EEEEE10hipError_tT1_PNSt15iterator_traitsISG_E10value_typeET2_T3_PNSH_ISM_E10value_typeET4_T5_PSR_SS_PNS1_23onesweep_lookback_stateEbbT6_jjT7_P12ihipStream_tbENKUlT_T0_SG_SL_E_clIS7_S7_PlSB_EEDaSZ_S10_SG_SL_EUlSZ_E_NS1_11comp_targetILNS1_3genE3ELNS1_11target_archE908ELNS1_3gpuE7ELNS1_3repE0EEENS1_47radix_sort_onesweep_sort_config_static_selectorELNS0_4arch9wavefront6targetE1EEEvSG_.private_seg_size, 0
	.set _ZN7rocprim17ROCPRIM_400000_NS6detail17trampoline_kernelINS0_14default_configENS1_35radix_sort_onesweep_config_selectorIhlEEZZNS1_29radix_sort_onesweep_iterationIS3_Lb0EPhS7_N6thrust23THRUST_200600_302600_NS10device_ptrIlEESB_jNS0_19identity_decomposerENS1_16block_id_wrapperIjLb0EEEEE10hipError_tT1_PNSt15iterator_traitsISG_E10value_typeET2_T3_PNSH_ISM_E10value_typeET4_T5_PSR_SS_PNS1_23onesweep_lookback_stateEbbT6_jjT7_P12ihipStream_tbENKUlT_T0_SG_SL_E_clIS7_S7_PlSB_EEDaSZ_S10_SG_SL_EUlSZ_E_NS1_11comp_targetILNS1_3genE3ELNS1_11target_archE908ELNS1_3gpuE7ELNS1_3repE0EEENS1_47radix_sort_onesweep_sort_config_static_selectorELNS0_4arch9wavefront6targetE1EEEvSG_.uses_vcc, 0
	.set _ZN7rocprim17ROCPRIM_400000_NS6detail17trampoline_kernelINS0_14default_configENS1_35radix_sort_onesweep_config_selectorIhlEEZZNS1_29radix_sort_onesweep_iterationIS3_Lb0EPhS7_N6thrust23THRUST_200600_302600_NS10device_ptrIlEESB_jNS0_19identity_decomposerENS1_16block_id_wrapperIjLb0EEEEE10hipError_tT1_PNSt15iterator_traitsISG_E10value_typeET2_T3_PNSH_ISM_E10value_typeET4_T5_PSR_SS_PNS1_23onesweep_lookback_stateEbbT6_jjT7_P12ihipStream_tbENKUlT_T0_SG_SL_E_clIS7_S7_PlSB_EEDaSZ_S10_SG_SL_EUlSZ_E_NS1_11comp_targetILNS1_3genE3ELNS1_11target_archE908ELNS1_3gpuE7ELNS1_3repE0EEENS1_47radix_sort_onesweep_sort_config_static_selectorELNS0_4arch9wavefront6targetE1EEEvSG_.uses_flat_scratch, 0
	.set _ZN7rocprim17ROCPRIM_400000_NS6detail17trampoline_kernelINS0_14default_configENS1_35radix_sort_onesweep_config_selectorIhlEEZZNS1_29radix_sort_onesweep_iterationIS3_Lb0EPhS7_N6thrust23THRUST_200600_302600_NS10device_ptrIlEESB_jNS0_19identity_decomposerENS1_16block_id_wrapperIjLb0EEEEE10hipError_tT1_PNSt15iterator_traitsISG_E10value_typeET2_T3_PNSH_ISM_E10value_typeET4_T5_PSR_SS_PNS1_23onesweep_lookback_stateEbbT6_jjT7_P12ihipStream_tbENKUlT_T0_SG_SL_E_clIS7_S7_PlSB_EEDaSZ_S10_SG_SL_EUlSZ_E_NS1_11comp_targetILNS1_3genE3ELNS1_11target_archE908ELNS1_3gpuE7ELNS1_3repE0EEENS1_47radix_sort_onesweep_sort_config_static_selectorELNS0_4arch9wavefront6targetE1EEEvSG_.has_dyn_sized_stack, 0
	.set _ZN7rocprim17ROCPRIM_400000_NS6detail17trampoline_kernelINS0_14default_configENS1_35radix_sort_onesweep_config_selectorIhlEEZZNS1_29radix_sort_onesweep_iterationIS3_Lb0EPhS7_N6thrust23THRUST_200600_302600_NS10device_ptrIlEESB_jNS0_19identity_decomposerENS1_16block_id_wrapperIjLb0EEEEE10hipError_tT1_PNSt15iterator_traitsISG_E10value_typeET2_T3_PNSH_ISM_E10value_typeET4_T5_PSR_SS_PNS1_23onesweep_lookback_stateEbbT6_jjT7_P12ihipStream_tbENKUlT_T0_SG_SL_E_clIS7_S7_PlSB_EEDaSZ_S10_SG_SL_EUlSZ_E_NS1_11comp_targetILNS1_3genE3ELNS1_11target_archE908ELNS1_3gpuE7ELNS1_3repE0EEENS1_47radix_sort_onesweep_sort_config_static_selectorELNS0_4arch9wavefront6targetE1EEEvSG_.has_recursion, 0
	.set _ZN7rocprim17ROCPRIM_400000_NS6detail17trampoline_kernelINS0_14default_configENS1_35radix_sort_onesweep_config_selectorIhlEEZZNS1_29radix_sort_onesweep_iterationIS3_Lb0EPhS7_N6thrust23THRUST_200600_302600_NS10device_ptrIlEESB_jNS0_19identity_decomposerENS1_16block_id_wrapperIjLb0EEEEE10hipError_tT1_PNSt15iterator_traitsISG_E10value_typeET2_T3_PNSH_ISM_E10value_typeET4_T5_PSR_SS_PNS1_23onesweep_lookback_stateEbbT6_jjT7_P12ihipStream_tbENKUlT_T0_SG_SL_E_clIS7_S7_PlSB_EEDaSZ_S10_SG_SL_EUlSZ_E_NS1_11comp_targetILNS1_3genE3ELNS1_11target_archE908ELNS1_3gpuE7ELNS1_3repE0EEENS1_47radix_sort_onesweep_sort_config_static_selectorELNS0_4arch9wavefront6targetE1EEEvSG_.has_indirect_call, 0
	.section	.AMDGPU.csdata,"",@progbits
; Kernel info:
; codeLenInByte = 0
; TotalNumSgprs: 4
; NumVgprs: 0
; ScratchSize: 0
; MemoryBound: 0
; FloatMode: 240
; IeeeMode: 1
; LDSByteSize: 0 bytes/workgroup (compile time only)
; SGPRBlocks: 0
; VGPRBlocks: 0
; NumSGPRsForWavesPerEU: 4
; NumVGPRsForWavesPerEU: 1
; Occupancy: 10
; WaveLimiterHint : 0
; COMPUTE_PGM_RSRC2:SCRATCH_EN: 0
; COMPUTE_PGM_RSRC2:USER_SGPR: 6
; COMPUTE_PGM_RSRC2:TRAP_HANDLER: 0
; COMPUTE_PGM_RSRC2:TGID_X_EN: 1
; COMPUTE_PGM_RSRC2:TGID_Y_EN: 0
; COMPUTE_PGM_RSRC2:TGID_Z_EN: 0
; COMPUTE_PGM_RSRC2:TIDIG_COMP_CNT: 0
	.section	.text._ZN7rocprim17ROCPRIM_400000_NS6detail17trampoline_kernelINS0_14default_configENS1_35radix_sort_onesweep_config_selectorIhlEEZZNS1_29radix_sort_onesweep_iterationIS3_Lb0EPhS7_N6thrust23THRUST_200600_302600_NS10device_ptrIlEESB_jNS0_19identity_decomposerENS1_16block_id_wrapperIjLb0EEEEE10hipError_tT1_PNSt15iterator_traitsISG_E10value_typeET2_T3_PNSH_ISM_E10value_typeET4_T5_PSR_SS_PNS1_23onesweep_lookback_stateEbbT6_jjT7_P12ihipStream_tbENKUlT_T0_SG_SL_E_clIS7_S7_PlSB_EEDaSZ_S10_SG_SL_EUlSZ_E_NS1_11comp_targetILNS1_3genE10ELNS1_11target_archE1201ELNS1_3gpuE5ELNS1_3repE0EEENS1_47radix_sort_onesweep_sort_config_static_selectorELNS0_4arch9wavefront6targetE1EEEvSG_,"axG",@progbits,_ZN7rocprim17ROCPRIM_400000_NS6detail17trampoline_kernelINS0_14default_configENS1_35radix_sort_onesweep_config_selectorIhlEEZZNS1_29radix_sort_onesweep_iterationIS3_Lb0EPhS7_N6thrust23THRUST_200600_302600_NS10device_ptrIlEESB_jNS0_19identity_decomposerENS1_16block_id_wrapperIjLb0EEEEE10hipError_tT1_PNSt15iterator_traitsISG_E10value_typeET2_T3_PNSH_ISM_E10value_typeET4_T5_PSR_SS_PNS1_23onesweep_lookback_stateEbbT6_jjT7_P12ihipStream_tbENKUlT_T0_SG_SL_E_clIS7_S7_PlSB_EEDaSZ_S10_SG_SL_EUlSZ_E_NS1_11comp_targetILNS1_3genE10ELNS1_11target_archE1201ELNS1_3gpuE5ELNS1_3repE0EEENS1_47radix_sort_onesweep_sort_config_static_selectorELNS0_4arch9wavefront6targetE1EEEvSG_,comdat
	.protected	_ZN7rocprim17ROCPRIM_400000_NS6detail17trampoline_kernelINS0_14default_configENS1_35radix_sort_onesweep_config_selectorIhlEEZZNS1_29radix_sort_onesweep_iterationIS3_Lb0EPhS7_N6thrust23THRUST_200600_302600_NS10device_ptrIlEESB_jNS0_19identity_decomposerENS1_16block_id_wrapperIjLb0EEEEE10hipError_tT1_PNSt15iterator_traitsISG_E10value_typeET2_T3_PNSH_ISM_E10value_typeET4_T5_PSR_SS_PNS1_23onesweep_lookback_stateEbbT6_jjT7_P12ihipStream_tbENKUlT_T0_SG_SL_E_clIS7_S7_PlSB_EEDaSZ_S10_SG_SL_EUlSZ_E_NS1_11comp_targetILNS1_3genE10ELNS1_11target_archE1201ELNS1_3gpuE5ELNS1_3repE0EEENS1_47radix_sort_onesweep_sort_config_static_selectorELNS0_4arch9wavefront6targetE1EEEvSG_ ; -- Begin function _ZN7rocprim17ROCPRIM_400000_NS6detail17trampoline_kernelINS0_14default_configENS1_35radix_sort_onesweep_config_selectorIhlEEZZNS1_29radix_sort_onesweep_iterationIS3_Lb0EPhS7_N6thrust23THRUST_200600_302600_NS10device_ptrIlEESB_jNS0_19identity_decomposerENS1_16block_id_wrapperIjLb0EEEEE10hipError_tT1_PNSt15iterator_traitsISG_E10value_typeET2_T3_PNSH_ISM_E10value_typeET4_T5_PSR_SS_PNS1_23onesweep_lookback_stateEbbT6_jjT7_P12ihipStream_tbENKUlT_T0_SG_SL_E_clIS7_S7_PlSB_EEDaSZ_S10_SG_SL_EUlSZ_E_NS1_11comp_targetILNS1_3genE10ELNS1_11target_archE1201ELNS1_3gpuE5ELNS1_3repE0EEENS1_47radix_sort_onesweep_sort_config_static_selectorELNS0_4arch9wavefront6targetE1EEEvSG_
	.globl	_ZN7rocprim17ROCPRIM_400000_NS6detail17trampoline_kernelINS0_14default_configENS1_35radix_sort_onesweep_config_selectorIhlEEZZNS1_29radix_sort_onesweep_iterationIS3_Lb0EPhS7_N6thrust23THRUST_200600_302600_NS10device_ptrIlEESB_jNS0_19identity_decomposerENS1_16block_id_wrapperIjLb0EEEEE10hipError_tT1_PNSt15iterator_traitsISG_E10value_typeET2_T3_PNSH_ISM_E10value_typeET4_T5_PSR_SS_PNS1_23onesweep_lookback_stateEbbT6_jjT7_P12ihipStream_tbENKUlT_T0_SG_SL_E_clIS7_S7_PlSB_EEDaSZ_S10_SG_SL_EUlSZ_E_NS1_11comp_targetILNS1_3genE10ELNS1_11target_archE1201ELNS1_3gpuE5ELNS1_3repE0EEENS1_47radix_sort_onesweep_sort_config_static_selectorELNS0_4arch9wavefront6targetE1EEEvSG_
	.p2align	8
	.type	_ZN7rocprim17ROCPRIM_400000_NS6detail17trampoline_kernelINS0_14default_configENS1_35radix_sort_onesweep_config_selectorIhlEEZZNS1_29radix_sort_onesweep_iterationIS3_Lb0EPhS7_N6thrust23THRUST_200600_302600_NS10device_ptrIlEESB_jNS0_19identity_decomposerENS1_16block_id_wrapperIjLb0EEEEE10hipError_tT1_PNSt15iterator_traitsISG_E10value_typeET2_T3_PNSH_ISM_E10value_typeET4_T5_PSR_SS_PNS1_23onesweep_lookback_stateEbbT6_jjT7_P12ihipStream_tbENKUlT_T0_SG_SL_E_clIS7_S7_PlSB_EEDaSZ_S10_SG_SL_EUlSZ_E_NS1_11comp_targetILNS1_3genE10ELNS1_11target_archE1201ELNS1_3gpuE5ELNS1_3repE0EEENS1_47radix_sort_onesweep_sort_config_static_selectorELNS0_4arch9wavefront6targetE1EEEvSG_,@function
_ZN7rocprim17ROCPRIM_400000_NS6detail17trampoline_kernelINS0_14default_configENS1_35radix_sort_onesweep_config_selectorIhlEEZZNS1_29radix_sort_onesweep_iterationIS3_Lb0EPhS7_N6thrust23THRUST_200600_302600_NS10device_ptrIlEESB_jNS0_19identity_decomposerENS1_16block_id_wrapperIjLb0EEEEE10hipError_tT1_PNSt15iterator_traitsISG_E10value_typeET2_T3_PNSH_ISM_E10value_typeET4_T5_PSR_SS_PNS1_23onesweep_lookback_stateEbbT6_jjT7_P12ihipStream_tbENKUlT_T0_SG_SL_E_clIS7_S7_PlSB_EEDaSZ_S10_SG_SL_EUlSZ_E_NS1_11comp_targetILNS1_3genE10ELNS1_11target_archE1201ELNS1_3gpuE5ELNS1_3repE0EEENS1_47radix_sort_onesweep_sort_config_static_selectorELNS0_4arch9wavefront6targetE1EEEvSG_: ; @_ZN7rocprim17ROCPRIM_400000_NS6detail17trampoline_kernelINS0_14default_configENS1_35radix_sort_onesweep_config_selectorIhlEEZZNS1_29radix_sort_onesweep_iterationIS3_Lb0EPhS7_N6thrust23THRUST_200600_302600_NS10device_ptrIlEESB_jNS0_19identity_decomposerENS1_16block_id_wrapperIjLb0EEEEE10hipError_tT1_PNSt15iterator_traitsISG_E10value_typeET2_T3_PNSH_ISM_E10value_typeET4_T5_PSR_SS_PNS1_23onesweep_lookback_stateEbbT6_jjT7_P12ihipStream_tbENKUlT_T0_SG_SL_E_clIS7_S7_PlSB_EEDaSZ_S10_SG_SL_EUlSZ_E_NS1_11comp_targetILNS1_3genE10ELNS1_11target_archE1201ELNS1_3gpuE5ELNS1_3repE0EEENS1_47radix_sort_onesweep_sort_config_static_selectorELNS0_4arch9wavefront6targetE1EEEvSG_
; %bb.0:
	.section	.rodata,"a",@progbits
	.p2align	6, 0x0
	.amdhsa_kernel _ZN7rocprim17ROCPRIM_400000_NS6detail17trampoline_kernelINS0_14default_configENS1_35radix_sort_onesweep_config_selectorIhlEEZZNS1_29radix_sort_onesweep_iterationIS3_Lb0EPhS7_N6thrust23THRUST_200600_302600_NS10device_ptrIlEESB_jNS0_19identity_decomposerENS1_16block_id_wrapperIjLb0EEEEE10hipError_tT1_PNSt15iterator_traitsISG_E10value_typeET2_T3_PNSH_ISM_E10value_typeET4_T5_PSR_SS_PNS1_23onesweep_lookback_stateEbbT6_jjT7_P12ihipStream_tbENKUlT_T0_SG_SL_E_clIS7_S7_PlSB_EEDaSZ_S10_SG_SL_EUlSZ_E_NS1_11comp_targetILNS1_3genE10ELNS1_11target_archE1201ELNS1_3gpuE5ELNS1_3repE0EEENS1_47radix_sort_onesweep_sort_config_static_selectorELNS0_4arch9wavefront6targetE1EEEvSG_
		.amdhsa_group_segment_fixed_size 0
		.amdhsa_private_segment_fixed_size 0
		.amdhsa_kernarg_size 88
		.amdhsa_user_sgpr_count 6
		.amdhsa_user_sgpr_private_segment_buffer 1
		.amdhsa_user_sgpr_dispatch_ptr 0
		.amdhsa_user_sgpr_queue_ptr 0
		.amdhsa_user_sgpr_kernarg_segment_ptr 1
		.amdhsa_user_sgpr_dispatch_id 0
		.amdhsa_user_sgpr_flat_scratch_init 0
		.amdhsa_user_sgpr_private_segment_size 0
		.amdhsa_uses_dynamic_stack 0
		.amdhsa_system_sgpr_private_segment_wavefront_offset 0
		.amdhsa_system_sgpr_workgroup_id_x 1
		.amdhsa_system_sgpr_workgroup_id_y 0
		.amdhsa_system_sgpr_workgroup_id_z 0
		.amdhsa_system_sgpr_workgroup_info 0
		.amdhsa_system_vgpr_workitem_id 0
		.amdhsa_next_free_vgpr 1
		.amdhsa_next_free_sgpr 0
		.amdhsa_reserve_vcc 0
		.amdhsa_reserve_flat_scratch 0
		.amdhsa_float_round_mode_32 0
		.amdhsa_float_round_mode_16_64 0
		.amdhsa_float_denorm_mode_32 3
		.amdhsa_float_denorm_mode_16_64 3
		.amdhsa_dx10_clamp 1
		.amdhsa_ieee_mode 1
		.amdhsa_fp16_overflow 0
		.amdhsa_exception_fp_ieee_invalid_op 0
		.amdhsa_exception_fp_denorm_src 0
		.amdhsa_exception_fp_ieee_div_zero 0
		.amdhsa_exception_fp_ieee_overflow 0
		.amdhsa_exception_fp_ieee_underflow 0
		.amdhsa_exception_fp_ieee_inexact 0
		.amdhsa_exception_int_div_zero 0
	.end_amdhsa_kernel
	.section	.text._ZN7rocprim17ROCPRIM_400000_NS6detail17trampoline_kernelINS0_14default_configENS1_35radix_sort_onesweep_config_selectorIhlEEZZNS1_29radix_sort_onesweep_iterationIS3_Lb0EPhS7_N6thrust23THRUST_200600_302600_NS10device_ptrIlEESB_jNS0_19identity_decomposerENS1_16block_id_wrapperIjLb0EEEEE10hipError_tT1_PNSt15iterator_traitsISG_E10value_typeET2_T3_PNSH_ISM_E10value_typeET4_T5_PSR_SS_PNS1_23onesweep_lookback_stateEbbT6_jjT7_P12ihipStream_tbENKUlT_T0_SG_SL_E_clIS7_S7_PlSB_EEDaSZ_S10_SG_SL_EUlSZ_E_NS1_11comp_targetILNS1_3genE10ELNS1_11target_archE1201ELNS1_3gpuE5ELNS1_3repE0EEENS1_47radix_sort_onesweep_sort_config_static_selectorELNS0_4arch9wavefront6targetE1EEEvSG_,"axG",@progbits,_ZN7rocprim17ROCPRIM_400000_NS6detail17trampoline_kernelINS0_14default_configENS1_35radix_sort_onesweep_config_selectorIhlEEZZNS1_29radix_sort_onesweep_iterationIS3_Lb0EPhS7_N6thrust23THRUST_200600_302600_NS10device_ptrIlEESB_jNS0_19identity_decomposerENS1_16block_id_wrapperIjLb0EEEEE10hipError_tT1_PNSt15iterator_traitsISG_E10value_typeET2_T3_PNSH_ISM_E10value_typeET4_T5_PSR_SS_PNS1_23onesweep_lookback_stateEbbT6_jjT7_P12ihipStream_tbENKUlT_T0_SG_SL_E_clIS7_S7_PlSB_EEDaSZ_S10_SG_SL_EUlSZ_E_NS1_11comp_targetILNS1_3genE10ELNS1_11target_archE1201ELNS1_3gpuE5ELNS1_3repE0EEENS1_47radix_sort_onesweep_sort_config_static_selectorELNS0_4arch9wavefront6targetE1EEEvSG_,comdat
.Lfunc_end315:
	.size	_ZN7rocprim17ROCPRIM_400000_NS6detail17trampoline_kernelINS0_14default_configENS1_35radix_sort_onesweep_config_selectorIhlEEZZNS1_29radix_sort_onesweep_iterationIS3_Lb0EPhS7_N6thrust23THRUST_200600_302600_NS10device_ptrIlEESB_jNS0_19identity_decomposerENS1_16block_id_wrapperIjLb0EEEEE10hipError_tT1_PNSt15iterator_traitsISG_E10value_typeET2_T3_PNSH_ISM_E10value_typeET4_T5_PSR_SS_PNS1_23onesweep_lookback_stateEbbT6_jjT7_P12ihipStream_tbENKUlT_T0_SG_SL_E_clIS7_S7_PlSB_EEDaSZ_S10_SG_SL_EUlSZ_E_NS1_11comp_targetILNS1_3genE10ELNS1_11target_archE1201ELNS1_3gpuE5ELNS1_3repE0EEENS1_47radix_sort_onesweep_sort_config_static_selectorELNS0_4arch9wavefront6targetE1EEEvSG_, .Lfunc_end315-_ZN7rocprim17ROCPRIM_400000_NS6detail17trampoline_kernelINS0_14default_configENS1_35radix_sort_onesweep_config_selectorIhlEEZZNS1_29radix_sort_onesweep_iterationIS3_Lb0EPhS7_N6thrust23THRUST_200600_302600_NS10device_ptrIlEESB_jNS0_19identity_decomposerENS1_16block_id_wrapperIjLb0EEEEE10hipError_tT1_PNSt15iterator_traitsISG_E10value_typeET2_T3_PNSH_ISM_E10value_typeET4_T5_PSR_SS_PNS1_23onesweep_lookback_stateEbbT6_jjT7_P12ihipStream_tbENKUlT_T0_SG_SL_E_clIS7_S7_PlSB_EEDaSZ_S10_SG_SL_EUlSZ_E_NS1_11comp_targetILNS1_3genE10ELNS1_11target_archE1201ELNS1_3gpuE5ELNS1_3repE0EEENS1_47radix_sort_onesweep_sort_config_static_selectorELNS0_4arch9wavefront6targetE1EEEvSG_
                                        ; -- End function
	.set _ZN7rocprim17ROCPRIM_400000_NS6detail17trampoline_kernelINS0_14default_configENS1_35radix_sort_onesweep_config_selectorIhlEEZZNS1_29radix_sort_onesweep_iterationIS3_Lb0EPhS7_N6thrust23THRUST_200600_302600_NS10device_ptrIlEESB_jNS0_19identity_decomposerENS1_16block_id_wrapperIjLb0EEEEE10hipError_tT1_PNSt15iterator_traitsISG_E10value_typeET2_T3_PNSH_ISM_E10value_typeET4_T5_PSR_SS_PNS1_23onesweep_lookback_stateEbbT6_jjT7_P12ihipStream_tbENKUlT_T0_SG_SL_E_clIS7_S7_PlSB_EEDaSZ_S10_SG_SL_EUlSZ_E_NS1_11comp_targetILNS1_3genE10ELNS1_11target_archE1201ELNS1_3gpuE5ELNS1_3repE0EEENS1_47radix_sort_onesweep_sort_config_static_selectorELNS0_4arch9wavefront6targetE1EEEvSG_.num_vgpr, 0
	.set _ZN7rocprim17ROCPRIM_400000_NS6detail17trampoline_kernelINS0_14default_configENS1_35radix_sort_onesweep_config_selectorIhlEEZZNS1_29radix_sort_onesweep_iterationIS3_Lb0EPhS7_N6thrust23THRUST_200600_302600_NS10device_ptrIlEESB_jNS0_19identity_decomposerENS1_16block_id_wrapperIjLb0EEEEE10hipError_tT1_PNSt15iterator_traitsISG_E10value_typeET2_T3_PNSH_ISM_E10value_typeET4_T5_PSR_SS_PNS1_23onesweep_lookback_stateEbbT6_jjT7_P12ihipStream_tbENKUlT_T0_SG_SL_E_clIS7_S7_PlSB_EEDaSZ_S10_SG_SL_EUlSZ_E_NS1_11comp_targetILNS1_3genE10ELNS1_11target_archE1201ELNS1_3gpuE5ELNS1_3repE0EEENS1_47radix_sort_onesweep_sort_config_static_selectorELNS0_4arch9wavefront6targetE1EEEvSG_.num_agpr, 0
	.set _ZN7rocprim17ROCPRIM_400000_NS6detail17trampoline_kernelINS0_14default_configENS1_35radix_sort_onesweep_config_selectorIhlEEZZNS1_29radix_sort_onesweep_iterationIS3_Lb0EPhS7_N6thrust23THRUST_200600_302600_NS10device_ptrIlEESB_jNS0_19identity_decomposerENS1_16block_id_wrapperIjLb0EEEEE10hipError_tT1_PNSt15iterator_traitsISG_E10value_typeET2_T3_PNSH_ISM_E10value_typeET4_T5_PSR_SS_PNS1_23onesweep_lookback_stateEbbT6_jjT7_P12ihipStream_tbENKUlT_T0_SG_SL_E_clIS7_S7_PlSB_EEDaSZ_S10_SG_SL_EUlSZ_E_NS1_11comp_targetILNS1_3genE10ELNS1_11target_archE1201ELNS1_3gpuE5ELNS1_3repE0EEENS1_47radix_sort_onesweep_sort_config_static_selectorELNS0_4arch9wavefront6targetE1EEEvSG_.numbered_sgpr, 0
	.set _ZN7rocprim17ROCPRIM_400000_NS6detail17trampoline_kernelINS0_14default_configENS1_35radix_sort_onesweep_config_selectorIhlEEZZNS1_29radix_sort_onesweep_iterationIS3_Lb0EPhS7_N6thrust23THRUST_200600_302600_NS10device_ptrIlEESB_jNS0_19identity_decomposerENS1_16block_id_wrapperIjLb0EEEEE10hipError_tT1_PNSt15iterator_traitsISG_E10value_typeET2_T3_PNSH_ISM_E10value_typeET4_T5_PSR_SS_PNS1_23onesweep_lookback_stateEbbT6_jjT7_P12ihipStream_tbENKUlT_T0_SG_SL_E_clIS7_S7_PlSB_EEDaSZ_S10_SG_SL_EUlSZ_E_NS1_11comp_targetILNS1_3genE10ELNS1_11target_archE1201ELNS1_3gpuE5ELNS1_3repE0EEENS1_47radix_sort_onesweep_sort_config_static_selectorELNS0_4arch9wavefront6targetE1EEEvSG_.num_named_barrier, 0
	.set _ZN7rocprim17ROCPRIM_400000_NS6detail17trampoline_kernelINS0_14default_configENS1_35radix_sort_onesweep_config_selectorIhlEEZZNS1_29radix_sort_onesweep_iterationIS3_Lb0EPhS7_N6thrust23THRUST_200600_302600_NS10device_ptrIlEESB_jNS0_19identity_decomposerENS1_16block_id_wrapperIjLb0EEEEE10hipError_tT1_PNSt15iterator_traitsISG_E10value_typeET2_T3_PNSH_ISM_E10value_typeET4_T5_PSR_SS_PNS1_23onesweep_lookback_stateEbbT6_jjT7_P12ihipStream_tbENKUlT_T0_SG_SL_E_clIS7_S7_PlSB_EEDaSZ_S10_SG_SL_EUlSZ_E_NS1_11comp_targetILNS1_3genE10ELNS1_11target_archE1201ELNS1_3gpuE5ELNS1_3repE0EEENS1_47radix_sort_onesweep_sort_config_static_selectorELNS0_4arch9wavefront6targetE1EEEvSG_.private_seg_size, 0
	.set _ZN7rocprim17ROCPRIM_400000_NS6detail17trampoline_kernelINS0_14default_configENS1_35radix_sort_onesweep_config_selectorIhlEEZZNS1_29radix_sort_onesweep_iterationIS3_Lb0EPhS7_N6thrust23THRUST_200600_302600_NS10device_ptrIlEESB_jNS0_19identity_decomposerENS1_16block_id_wrapperIjLb0EEEEE10hipError_tT1_PNSt15iterator_traitsISG_E10value_typeET2_T3_PNSH_ISM_E10value_typeET4_T5_PSR_SS_PNS1_23onesweep_lookback_stateEbbT6_jjT7_P12ihipStream_tbENKUlT_T0_SG_SL_E_clIS7_S7_PlSB_EEDaSZ_S10_SG_SL_EUlSZ_E_NS1_11comp_targetILNS1_3genE10ELNS1_11target_archE1201ELNS1_3gpuE5ELNS1_3repE0EEENS1_47radix_sort_onesweep_sort_config_static_selectorELNS0_4arch9wavefront6targetE1EEEvSG_.uses_vcc, 0
	.set _ZN7rocprim17ROCPRIM_400000_NS6detail17trampoline_kernelINS0_14default_configENS1_35radix_sort_onesweep_config_selectorIhlEEZZNS1_29radix_sort_onesweep_iterationIS3_Lb0EPhS7_N6thrust23THRUST_200600_302600_NS10device_ptrIlEESB_jNS0_19identity_decomposerENS1_16block_id_wrapperIjLb0EEEEE10hipError_tT1_PNSt15iterator_traitsISG_E10value_typeET2_T3_PNSH_ISM_E10value_typeET4_T5_PSR_SS_PNS1_23onesweep_lookback_stateEbbT6_jjT7_P12ihipStream_tbENKUlT_T0_SG_SL_E_clIS7_S7_PlSB_EEDaSZ_S10_SG_SL_EUlSZ_E_NS1_11comp_targetILNS1_3genE10ELNS1_11target_archE1201ELNS1_3gpuE5ELNS1_3repE0EEENS1_47radix_sort_onesweep_sort_config_static_selectorELNS0_4arch9wavefront6targetE1EEEvSG_.uses_flat_scratch, 0
	.set _ZN7rocprim17ROCPRIM_400000_NS6detail17trampoline_kernelINS0_14default_configENS1_35radix_sort_onesweep_config_selectorIhlEEZZNS1_29radix_sort_onesweep_iterationIS3_Lb0EPhS7_N6thrust23THRUST_200600_302600_NS10device_ptrIlEESB_jNS0_19identity_decomposerENS1_16block_id_wrapperIjLb0EEEEE10hipError_tT1_PNSt15iterator_traitsISG_E10value_typeET2_T3_PNSH_ISM_E10value_typeET4_T5_PSR_SS_PNS1_23onesweep_lookback_stateEbbT6_jjT7_P12ihipStream_tbENKUlT_T0_SG_SL_E_clIS7_S7_PlSB_EEDaSZ_S10_SG_SL_EUlSZ_E_NS1_11comp_targetILNS1_3genE10ELNS1_11target_archE1201ELNS1_3gpuE5ELNS1_3repE0EEENS1_47radix_sort_onesweep_sort_config_static_selectorELNS0_4arch9wavefront6targetE1EEEvSG_.has_dyn_sized_stack, 0
	.set _ZN7rocprim17ROCPRIM_400000_NS6detail17trampoline_kernelINS0_14default_configENS1_35radix_sort_onesweep_config_selectorIhlEEZZNS1_29radix_sort_onesweep_iterationIS3_Lb0EPhS7_N6thrust23THRUST_200600_302600_NS10device_ptrIlEESB_jNS0_19identity_decomposerENS1_16block_id_wrapperIjLb0EEEEE10hipError_tT1_PNSt15iterator_traitsISG_E10value_typeET2_T3_PNSH_ISM_E10value_typeET4_T5_PSR_SS_PNS1_23onesweep_lookback_stateEbbT6_jjT7_P12ihipStream_tbENKUlT_T0_SG_SL_E_clIS7_S7_PlSB_EEDaSZ_S10_SG_SL_EUlSZ_E_NS1_11comp_targetILNS1_3genE10ELNS1_11target_archE1201ELNS1_3gpuE5ELNS1_3repE0EEENS1_47radix_sort_onesweep_sort_config_static_selectorELNS0_4arch9wavefront6targetE1EEEvSG_.has_recursion, 0
	.set _ZN7rocprim17ROCPRIM_400000_NS6detail17trampoline_kernelINS0_14default_configENS1_35radix_sort_onesweep_config_selectorIhlEEZZNS1_29radix_sort_onesweep_iterationIS3_Lb0EPhS7_N6thrust23THRUST_200600_302600_NS10device_ptrIlEESB_jNS0_19identity_decomposerENS1_16block_id_wrapperIjLb0EEEEE10hipError_tT1_PNSt15iterator_traitsISG_E10value_typeET2_T3_PNSH_ISM_E10value_typeET4_T5_PSR_SS_PNS1_23onesweep_lookback_stateEbbT6_jjT7_P12ihipStream_tbENKUlT_T0_SG_SL_E_clIS7_S7_PlSB_EEDaSZ_S10_SG_SL_EUlSZ_E_NS1_11comp_targetILNS1_3genE10ELNS1_11target_archE1201ELNS1_3gpuE5ELNS1_3repE0EEENS1_47radix_sort_onesweep_sort_config_static_selectorELNS0_4arch9wavefront6targetE1EEEvSG_.has_indirect_call, 0
	.section	.AMDGPU.csdata,"",@progbits
; Kernel info:
; codeLenInByte = 0
; TotalNumSgprs: 4
; NumVgprs: 0
; ScratchSize: 0
; MemoryBound: 0
; FloatMode: 240
; IeeeMode: 1
; LDSByteSize: 0 bytes/workgroup (compile time only)
; SGPRBlocks: 0
; VGPRBlocks: 0
; NumSGPRsForWavesPerEU: 4
; NumVGPRsForWavesPerEU: 1
; Occupancy: 10
; WaveLimiterHint : 0
; COMPUTE_PGM_RSRC2:SCRATCH_EN: 0
; COMPUTE_PGM_RSRC2:USER_SGPR: 6
; COMPUTE_PGM_RSRC2:TRAP_HANDLER: 0
; COMPUTE_PGM_RSRC2:TGID_X_EN: 1
; COMPUTE_PGM_RSRC2:TGID_Y_EN: 0
; COMPUTE_PGM_RSRC2:TGID_Z_EN: 0
; COMPUTE_PGM_RSRC2:TIDIG_COMP_CNT: 0
	.section	.text._ZN7rocprim17ROCPRIM_400000_NS6detail17trampoline_kernelINS0_14default_configENS1_35radix_sort_onesweep_config_selectorIhlEEZZNS1_29radix_sort_onesweep_iterationIS3_Lb0EPhS7_N6thrust23THRUST_200600_302600_NS10device_ptrIlEESB_jNS0_19identity_decomposerENS1_16block_id_wrapperIjLb0EEEEE10hipError_tT1_PNSt15iterator_traitsISG_E10value_typeET2_T3_PNSH_ISM_E10value_typeET4_T5_PSR_SS_PNS1_23onesweep_lookback_stateEbbT6_jjT7_P12ihipStream_tbENKUlT_T0_SG_SL_E_clIS7_S7_PlSB_EEDaSZ_S10_SG_SL_EUlSZ_E_NS1_11comp_targetILNS1_3genE9ELNS1_11target_archE1100ELNS1_3gpuE3ELNS1_3repE0EEENS1_47radix_sort_onesweep_sort_config_static_selectorELNS0_4arch9wavefront6targetE1EEEvSG_,"axG",@progbits,_ZN7rocprim17ROCPRIM_400000_NS6detail17trampoline_kernelINS0_14default_configENS1_35radix_sort_onesweep_config_selectorIhlEEZZNS1_29radix_sort_onesweep_iterationIS3_Lb0EPhS7_N6thrust23THRUST_200600_302600_NS10device_ptrIlEESB_jNS0_19identity_decomposerENS1_16block_id_wrapperIjLb0EEEEE10hipError_tT1_PNSt15iterator_traitsISG_E10value_typeET2_T3_PNSH_ISM_E10value_typeET4_T5_PSR_SS_PNS1_23onesweep_lookback_stateEbbT6_jjT7_P12ihipStream_tbENKUlT_T0_SG_SL_E_clIS7_S7_PlSB_EEDaSZ_S10_SG_SL_EUlSZ_E_NS1_11comp_targetILNS1_3genE9ELNS1_11target_archE1100ELNS1_3gpuE3ELNS1_3repE0EEENS1_47radix_sort_onesweep_sort_config_static_selectorELNS0_4arch9wavefront6targetE1EEEvSG_,comdat
	.protected	_ZN7rocprim17ROCPRIM_400000_NS6detail17trampoline_kernelINS0_14default_configENS1_35radix_sort_onesweep_config_selectorIhlEEZZNS1_29radix_sort_onesweep_iterationIS3_Lb0EPhS7_N6thrust23THRUST_200600_302600_NS10device_ptrIlEESB_jNS0_19identity_decomposerENS1_16block_id_wrapperIjLb0EEEEE10hipError_tT1_PNSt15iterator_traitsISG_E10value_typeET2_T3_PNSH_ISM_E10value_typeET4_T5_PSR_SS_PNS1_23onesweep_lookback_stateEbbT6_jjT7_P12ihipStream_tbENKUlT_T0_SG_SL_E_clIS7_S7_PlSB_EEDaSZ_S10_SG_SL_EUlSZ_E_NS1_11comp_targetILNS1_3genE9ELNS1_11target_archE1100ELNS1_3gpuE3ELNS1_3repE0EEENS1_47radix_sort_onesweep_sort_config_static_selectorELNS0_4arch9wavefront6targetE1EEEvSG_ ; -- Begin function _ZN7rocprim17ROCPRIM_400000_NS6detail17trampoline_kernelINS0_14default_configENS1_35radix_sort_onesweep_config_selectorIhlEEZZNS1_29radix_sort_onesweep_iterationIS3_Lb0EPhS7_N6thrust23THRUST_200600_302600_NS10device_ptrIlEESB_jNS0_19identity_decomposerENS1_16block_id_wrapperIjLb0EEEEE10hipError_tT1_PNSt15iterator_traitsISG_E10value_typeET2_T3_PNSH_ISM_E10value_typeET4_T5_PSR_SS_PNS1_23onesweep_lookback_stateEbbT6_jjT7_P12ihipStream_tbENKUlT_T0_SG_SL_E_clIS7_S7_PlSB_EEDaSZ_S10_SG_SL_EUlSZ_E_NS1_11comp_targetILNS1_3genE9ELNS1_11target_archE1100ELNS1_3gpuE3ELNS1_3repE0EEENS1_47radix_sort_onesweep_sort_config_static_selectorELNS0_4arch9wavefront6targetE1EEEvSG_
	.globl	_ZN7rocprim17ROCPRIM_400000_NS6detail17trampoline_kernelINS0_14default_configENS1_35radix_sort_onesweep_config_selectorIhlEEZZNS1_29radix_sort_onesweep_iterationIS3_Lb0EPhS7_N6thrust23THRUST_200600_302600_NS10device_ptrIlEESB_jNS0_19identity_decomposerENS1_16block_id_wrapperIjLb0EEEEE10hipError_tT1_PNSt15iterator_traitsISG_E10value_typeET2_T3_PNSH_ISM_E10value_typeET4_T5_PSR_SS_PNS1_23onesweep_lookback_stateEbbT6_jjT7_P12ihipStream_tbENKUlT_T0_SG_SL_E_clIS7_S7_PlSB_EEDaSZ_S10_SG_SL_EUlSZ_E_NS1_11comp_targetILNS1_3genE9ELNS1_11target_archE1100ELNS1_3gpuE3ELNS1_3repE0EEENS1_47radix_sort_onesweep_sort_config_static_selectorELNS0_4arch9wavefront6targetE1EEEvSG_
	.p2align	8
	.type	_ZN7rocprim17ROCPRIM_400000_NS6detail17trampoline_kernelINS0_14default_configENS1_35radix_sort_onesweep_config_selectorIhlEEZZNS1_29radix_sort_onesweep_iterationIS3_Lb0EPhS7_N6thrust23THRUST_200600_302600_NS10device_ptrIlEESB_jNS0_19identity_decomposerENS1_16block_id_wrapperIjLb0EEEEE10hipError_tT1_PNSt15iterator_traitsISG_E10value_typeET2_T3_PNSH_ISM_E10value_typeET4_T5_PSR_SS_PNS1_23onesweep_lookback_stateEbbT6_jjT7_P12ihipStream_tbENKUlT_T0_SG_SL_E_clIS7_S7_PlSB_EEDaSZ_S10_SG_SL_EUlSZ_E_NS1_11comp_targetILNS1_3genE9ELNS1_11target_archE1100ELNS1_3gpuE3ELNS1_3repE0EEENS1_47radix_sort_onesweep_sort_config_static_selectorELNS0_4arch9wavefront6targetE1EEEvSG_,@function
_ZN7rocprim17ROCPRIM_400000_NS6detail17trampoline_kernelINS0_14default_configENS1_35radix_sort_onesweep_config_selectorIhlEEZZNS1_29radix_sort_onesweep_iterationIS3_Lb0EPhS7_N6thrust23THRUST_200600_302600_NS10device_ptrIlEESB_jNS0_19identity_decomposerENS1_16block_id_wrapperIjLb0EEEEE10hipError_tT1_PNSt15iterator_traitsISG_E10value_typeET2_T3_PNSH_ISM_E10value_typeET4_T5_PSR_SS_PNS1_23onesweep_lookback_stateEbbT6_jjT7_P12ihipStream_tbENKUlT_T0_SG_SL_E_clIS7_S7_PlSB_EEDaSZ_S10_SG_SL_EUlSZ_E_NS1_11comp_targetILNS1_3genE9ELNS1_11target_archE1100ELNS1_3gpuE3ELNS1_3repE0EEENS1_47radix_sort_onesweep_sort_config_static_selectorELNS0_4arch9wavefront6targetE1EEEvSG_: ; @_ZN7rocprim17ROCPRIM_400000_NS6detail17trampoline_kernelINS0_14default_configENS1_35radix_sort_onesweep_config_selectorIhlEEZZNS1_29radix_sort_onesweep_iterationIS3_Lb0EPhS7_N6thrust23THRUST_200600_302600_NS10device_ptrIlEESB_jNS0_19identity_decomposerENS1_16block_id_wrapperIjLb0EEEEE10hipError_tT1_PNSt15iterator_traitsISG_E10value_typeET2_T3_PNSH_ISM_E10value_typeET4_T5_PSR_SS_PNS1_23onesweep_lookback_stateEbbT6_jjT7_P12ihipStream_tbENKUlT_T0_SG_SL_E_clIS7_S7_PlSB_EEDaSZ_S10_SG_SL_EUlSZ_E_NS1_11comp_targetILNS1_3genE9ELNS1_11target_archE1100ELNS1_3gpuE3ELNS1_3repE0EEENS1_47radix_sort_onesweep_sort_config_static_selectorELNS0_4arch9wavefront6targetE1EEEvSG_
; %bb.0:
	.section	.rodata,"a",@progbits
	.p2align	6, 0x0
	.amdhsa_kernel _ZN7rocprim17ROCPRIM_400000_NS6detail17trampoline_kernelINS0_14default_configENS1_35radix_sort_onesweep_config_selectorIhlEEZZNS1_29radix_sort_onesweep_iterationIS3_Lb0EPhS7_N6thrust23THRUST_200600_302600_NS10device_ptrIlEESB_jNS0_19identity_decomposerENS1_16block_id_wrapperIjLb0EEEEE10hipError_tT1_PNSt15iterator_traitsISG_E10value_typeET2_T3_PNSH_ISM_E10value_typeET4_T5_PSR_SS_PNS1_23onesweep_lookback_stateEbbT6_jjT7_P12ihipStream_tbENKUlT_T0_SG_SL_E_clIS7_S7_PlSB_EEDaSZ_S10_SG_SL_EUlSZ_E_NS1_11comp_targetILNS1_3genE9ELNS1_11target_archE1100ELNS1_3gpuE3ELNS1_3repE0EEENS1_47radix_sort_onesweep_sort_config_static_selectorELNS0_4arch9wavefront6targetE1EEEvSG_
		.amdhsa_group_segment_fixed_size 0
		.amdhsa_private_segment_fixed_size 0
		.amdhsa_kernarg_size 88
		.amdhsa_user_sgpr_count 6
		.amdhsa_user_sgpr_private_segment_buffer 1
		.amdhsa_user_sgpr_dispatch_ptr 0
		.amdhsa_user_sgpr_queue_ptr 0
		.amdhsa_user_sgpr_kernarg_segment_ptr 1
		.amdhsa_user_sgpr_dispatch_id 0
		.amdhsa_user_sgpr_flat_scratch_init 0
		.amdhsa_user_sgpr_private_segment_size 0
		.amdhsa_uses_dynamic_stack 0
		.amdhsa_system_sgpr_private_segment_wavefront_offset 0
		.amdhsa_system_sgpr_workgroup_id_x 1
		.amdhsa_system_sgpr_workgroup_id_y 0
		.amdhsa_system_sgpr_workgroup_id_z 0
		.amdhsa_system_sgpr_workgroup_info 0
		.amdhsa_system_vgpr_workitem_id 0
		.amdhsa_next_free_vgpr 1
		.amdhsa_next_free_sgpr 0
		.amdhsa_reserve_vcc 0
		.amdhsa_reserve_flat_scratch 0
		.amdhsa_float_round_mode_32 0
		.amdhsa_float_round_mode_16_64 0
		.amdhsa_float_denorm_mode_32 3
		.amdhsa_float_denorm_mode_16_64 3
		.amdhsa_dx10_clamp 1
		.amdhsa_ieee_mode 1
		.amdhsa_fp16_overflow 0
		.amdhsa_exception_fp_ieee_invalid_op 0
		.amdhsa_exception_fp_denorm_src 0
		.amdhsa_exception_fp_ieee_div_zero 0
		.amdhsa_exception_fp_ieee_overflow 0
		.amdhsa_exception_fp_ieee_underflow 0
		.amdhsa_exception_fp_ieee_inexact 0
		.amdhsa_exception_int_div_zero 0
	.end_amdhsa_kernel
	.section	.text._ZN7rocprim17ROCPRIM_400000_NS6detail17trampoline_kernelINS0_14default_configENS1_35radix_sort_onesweep_config_selectorIhlEEZZNS1_29radix_sort_onesweep_iterationIS3_Lb0EPhS7_N6thrust23THRUST_200600_302600_NS10device_ptrIlEESB_jNS0_19identity_decomposerENS1_16block_id_wrapperIjLb0EEEEE10hipError_tT1_PNSt15iterator_traitsISG_E10value_typeET2_T3_PNSH_ISM_E10value_typeET4_T5_PSR_SS_PNS1_23onesweep_lookback_stateEbbT6_jjT7_P12ihipStream_tbENKUlT_T0_SG_SL_E_clIS7_S7_PlSB_EEDaSZ_S10_SG_SL_EUlSZ_E_NS1_11comp_targetILNS1_3genE9ELNS1_11target_archE1100ELNS1_3gpuE3ELNS1_3repE0EEENS1_47radix_sort_onesweep_sort_config_static_selectorELNS0_4arch9wavefront6targetE1EEEvSG_,"axG",@progbits,_ZN7rocprim17ROCPRIM_400000_NS6detail17trampoline_kernelINS0_14default_configENS1_35radix_sort_onesweep_config_selectorIhlEEZZNS1_29radix_sort_onesweep_iterationIS3_Lb0EPhS7_N6thrust23THRUST_200600_302600_NS10device_ptrIlEESB_jNS0_19identity_decomposerENS1_16block_id_wrapperIjLb0EEEEE10hipError_tT1_PNSt15iterator_traitsISG_E10value_typeET2_T3_PNSH_ISM_E10value_typeET4_T5_PSR_SS_PNS1_23onesweep_lookback_stateEbbT6_jjT7_P12ihipStream_tbENKUlT_T0_SG_SL_E_clIS7_S7_PlSB_EEDaSZ_S10_SG_SL_EUlSZ_E_NS1_11comp_targetILNS1_3genE9ELNS1_11target_archE1100ELNS1_3gpuE3ELNS1_3repE0EEENS1_47radix_sort_onesweep_sort_config_static_selectorELNS0_4arch9wavefront6targetE1EEEvSG_,comdat
.Lfunc_end316:
	.size	_ZN7rocprim17ROCPRIM_400000_NS6detail17trampoline_kernelINS0_14default_configENS1_35radix_sort_onesweep_config_selectorIhlEEZZNS1_29radix_sort_onesweep_iterationIS3_Lb0EPhS7_N6thrust23THRUST_200600_302600_NS10device_ptrIlEESB_jNS0_19identity_decomposerENS1_16block_id_wrapperIjLb0EEEEE10hipError_tT1_PNSt15iterator_traitsISG_E10value_typeET2_T3_PNSH_ISM_E10value_typeET4_T5_PSR_SS_PNS1_23onesweep_lookback_stateEbbT6_jjT7_P12ihipStream_tbENKUlT_T0_SG_SL_E_clIS7_S7_PlSB_EEDaSZ_S10_SG_SL_EUlSZ_E_NS1_11comp_targetILNS1_3genE9ELNS1_11target_archE1100ELNS1_3gpuE3ELNS1_3repE0EEENS1_47radix_sort_onesweep_sort_config_static_selectorELNS0_4arch9wavefront6targetE1EEEvSG_, .Lfunc_end316-_ZN7rocprim17ROCPRIM_400000_NS6detail17trampoline_kernelINS0_14default_configENS1_35radix_sort_onesweep_config_selectorIhlEEZZNS1_29radix_sort_onesweep_iterationIS3_Lb0EPhS7_N6thrust23THRUST_200600_302600_NS10device_ptrIlEESB_jNS0_19identity_decomposerENS1_16block_id_wrapperIjLb0EEEEE10hipError_tT1_PNSt15iterator_traitsISG_E10value_typeET2_T3_PNSH_ISM_E10value_typeET4_T5_PSR_SS_PNS1_23onesweep_lookback_stateEbbT6_jjT7_P12ihipStream_tbENKUlT_T0_SG_SL_E_clIS7_S7_PlSB_EEDaSZ_S10_SG_SL_EUlSZ_E_NS1_11comp_targetILNS1_3genE9ELNS1_11target_archE1100ELNS1_3gpuE3ELNS1_3repE0EEENS1_47radix_sort_onesweep_sort_config_static_selectorELNS0_4arch9wavefront6targetE1EEEvSG_
                                        ; -- End function
	.set _ZN7rocprim17ROCPRIM_400000_NS6detail17trampoline_kernelINS0_14default_configENS1_35radix_sort_onesweep_config_selectorIhlEEZZNS1_29radix_sort_onesweep_iterationIS3_Lb0EPhS7_N6thrust23THRUST_200600_302600_NS10device_ptrIlEESB_jNS0_19identity_decomposerENS1_16block_id_wrapperIjLb0EEEEE10hipError_tT1_PNSt15iterator_traitsISG_E10value_typeET2_T3_PNSH_ISM_E10value_typeET4_T5_PSR_SS_PNS1_23onesweep_lookback_stateEbbT6_jjT7_P12ihipStream_tbENKUlT_T0_SG_SL_E_clIS7_S7_PlSB_EEDaSZ_S10_SG_SL_EUlSZ_E_NS1_11comp_targetILNS1_3genE9ELNS1_11target_archE1100ELNS1_3gpuE3ELNS1_3repE0EEENS1_47radix_sort_onesweep_sort_config_static_selectorELNS0_4arch9wavefront6targetE1EEEvSG_.num_vgpr, 0
	.set _ZN7rocprim17ROCPRIM_400000_NS6detail17trampoline_kernelINS0_14default_configENS1_35radix_sort_onesweep_config_selectorIhlEEZZNS1_29radix_sort_onesweep_iterationIS3_Lb0EPhS7_N6thrust23THRUST_200600_302600_NS10device_ptrIlEESB_jNS0_19identity_decomposerENS1_16block_id_wrapperIjLb0EEEEE10hipError_tT1_PNSt15iterator_traitsISG_E10value_typeET2_T3_PNSH_ISM_E10value_typeET4_T5_PSR_SS_PNS1_23onesweep_lookback_stateEbbT6_jjT7_P12ihipStream_tbENKUlT_T0_SG_SL_E_clIS7_S7_PlSB_EEDaSZ_S10_SG_SL_EUlSZ_E_NS1_11comp_targetILNS1_3genE9ELNS1_11target_archE1100ELNS1_3gpuE3ELNS1_3repE0EEENS1_47radix_sort_onesweep_sort_config_static_selectorELNS0_4arch9wavefront6targetE1EEEvSG_.num_agpr, 0
	.set _ZN7rocprim17ROCPRIM_400000_NS6detail17trampoline_kernelINS0_14default_configENS1_35radix_sort_onesweep_config_selectorIhlEEZZNS1_29radix_sort_onesweep_iterationIS3_Lb0EPhS7_N6thrust23THRUST_200600_302600_NS10device_ptrIlEESB_jNS0_19identity_decomposerENS1_16block_id_wrapperIjLb0EEEEE10hipError_tT1_PNSt15iterator_traitsISG_E10value_typeET2_T3_PNSH_ISM_E10value_typeET4_T5_PSR_SS_PNS1_23onesweep_lookback_stateEbbT6_jjT7_P12ihipStream_tbENKUlT_T0_SG_SL_E_clIS7_S7_PlSB_EEDaSZ_S10_SG_SL_EUlSZ_E_NS1_11comp_targetILNS1_3genE9ELNS1_11target_archE1100ELNS1_3gpuE3ELNS1_3repE0EEENS1_47radix_sort_onesweep_sort_config_static_selectorELNS0_4arch9wavefront6targetE1EEEvSG_.numbered_sgpr, 0
	.set _ZN7rocprim17ROCPRIM_400000_NS6detail17trampoline_kernelINS0_14default_configENS1_35radix_sort_onesweep_config_selectorIhlEEZZNS1_29radix_sort_onesweep_iterationIS3_Lb0EPhS7_N6thrust23THRUST_200600_302600_NS10device_ptrIlEESB_jNS0_19identity_decomposerENS1_16block_id_wrapperIjLb0EEEEE10hipError_tT1_PNSt15iterator_traitsISG_E10value_typeET2_T3_PNSH_ISM_E10value_typeET4_T5_PSR_SS_PNS1_23onesweep_lookback_stateEbbT6_jjT7_P12ihipStream_tbENKUlT_T0_SG_SL_E_clIS7_S7_PlSB_EEDaSZ_S10_SG_SL_EUlSZ_E_NS1_11comp_targetILNS1_3genE9ELNS1_11target_archE1100ELNS1_3gpuE3ELNS1_3repE0EEENS1_47radix_sort_onesweep_sort_config_static_selectorELNS0_4arch9wavefront6targetE1EEEvSG_.num_named_barrier, 0
	.set _ZN7rocprim17ROCPRIM_400000_NS6detail17trampoline_kernelINS0_14default_configENS1_35radix_sort_onesweep_config_selectorIhlEEZZNS1_29radix_sort_onesweep_iterationIS3_Lb0EPhS7_N6thrust23THRUST_200600_302600_NS10device_ptrIlEESB_jNS0_19identity_decomposerENS1_16block_id_wrapperIjLb0EEEEE10hipError_tT1_PNSt15iterator_traitsISG_E10value_typeET2_T3_PNSH_ISM_E10value_typeET4_T5_PSR_SS_PNS1_23onesweep_lookback_stateEbbT6_jjT7_P12ihipStream_tbENKUlT_T0_SG_SL_E_clIS7_S7_PlSB_EEDaSZ_S10_SG_SL_EUlSZ_E_NS1_11comp_targetILNS1_3genE9ELNS1_11target_archE1100ELNS1_3gpuE3ELNS1_3repE0EEENS1_47radix_sort_onesweep_sort_config_static_selectorELNS0_4arch9wavefront6targetE1EEEvSG_.private_seg_size, 0
	.set _ZN7rocprim17ROCPRIM_400000_NS6detail17trampoline_kernelINS0_14default_configENS1_35radix_sort_onesweep_config_selectorIhlEEZZNS1_29radix_sort_onesweep_iterationIS3_Lb0EPhS7_N6thrust23THRUST_200600_302600_NS10device_ptrIlEESB_jNS0_19identity_decomposerENS1_16block_id_wrapperIjLb0EEEEE10hipError_tT1_PNSt15iterator_traitsISG_E10value_typeET2_T3_PNSH_ISM_E10value_typeET4_T5_PSR_SS_PNS1_23onesweep_lookback_stateEbbT6_jjT7_P12ihipStream_tbENKUlT_T0_SG_SL_E_clIS7_S7_PlSB_EEDaSZ_S10_SG_SL_EUlSZ_E_NS1_11comp_targetILNS1_3genE9ELNS1_11target_archE1100ELNS1_3gpuE3ELNS1_3repE0EEENS1_47radix_sort_onesweep_sort_config_static_selectorELNS0_4arch9wavefront6targetE1EEEvSG_.uses_vcc, 0
	.set _ZN7rocprim17ROCPRIM_400000_NS6detail17trampoline_kernelINS0_14default_configENS1_35radix_sort_onesweep_config_selectorIhlEEZZNS1_29radix_sort_onesweep_iterationIS3_Lb0EPhS7_N6thrust23THRUST_200600_302600_NS10device_ptrIlEESB_jNS0_19identity_decomposerENS1_16block_id_wrapperIjLb0EEEEE10hipError_tT1_PNSt15iterator_traitsISG_E10value_typeET2_T3_PNSH_ISM_E10value_typeET4_T5_PSR_SS_PNS1_23onesweep_lookback_stateEbbT6_jjT7_P12ihipStream_tbENKUlT_T0_SG_SL_E_clIS7_S7_PlSB_EEDaSZ_S10_SG_SL_EUlSZ_E_NS1_11comp_targetILNS1_3genE9ELNS1_11target_archE1100ELNS1_3gpuE3ELNS1_3repE0EEENS1_47radix_sort_onesweep_sort_config_static_selectorELNS0_4arch9wavefront6targetE1EEEvSG_.uses_flat_scratch, 0
	.set _ZN7rocprim17ROCPRIM_400000_NS6detail17trampoline_kernelINS0_14default_configENS1_35radix_sort_onesweep_config_selectorIhlEEZZNS1_29radix_sort_onesweep_iterationIS3_Lb0EPhS7_N6thrust23THRUST_200600_302600_NS10device_ptrIlEESB_jNS0_19identity_decomposerENS1_16block_id_wrapperIjLb0EEEEE10hipError_tT1_PNSt15iterator_traitsISG_E10value_typeET2_T3_PNSH_ISM_E10value_typeET4_T5_PSR_SS_PNS1_23onesweep_lookback_stateEbbT6_jjT7_P12ihipStream_tbENKUlT_T0_SG_SL_E_clIS7_S7_PlSB_EEDaSZ_S10_SG_SL_EUlSZ_E_NS1_11comp_targetILNS1_3genE9ELNS1_11target_archE1100ELNS1_3gpuE3ELNS1_3repE0EEENS1_47radix_sort_onesweep_sort_config_static_selectorELNS0_4arch9wavefront6targetE1EEEvSG_.has_dyn_sized_stack, 0
	.set _ZN7rocprim17ROCPRIM_400000_NS6detail17trampoline_kernelINS0_14default_configENS1_35radix_sort_onesweep_config_selectorIhlEEZZNS1_29radix_sort_onesweep_iterationIS3_Lb0EPhS7_N6thrust23THRUST_200600_302600_NS10device_ptrIlEESB_jNS0_19identity_decomposerENS1_16block_id_wrapperIjLb0EEEEE10hipError_tT1_PNSt15iterator_traitsISG_E10value_typeET2_T3_PNSH_ISM_E10value_typeET4_T5_PSR_SS_PNS1_23onesweep_lookback_stateEbbT6_jjT7_P12ihipStream_tbENKUlT_T0_SG_SL_E_clIS7_S7_PlSB_EEDaSZ_S10_SG_SL_EUlSZ_E_NS1_11comp_targetILNS1_3genE9ELNS1_11target_archE1100ELNS1_3gpuE3ELNS1_3repE0EEENS1_47radix_sort_onesweep_sort_config_static_selectorELNS0_4arch9wavefront6targetE1EEEvSG_.has_recursion, 0
	.set _ZN7rocprim17ROCPRIM_400000_NS6detail17trampoline_kernelINS0_14default_configENS1_35radix_sort_onesweep_config_selectorIhlEEZZNS1_29radix_sort_onesweep_iterationIS3_Lb0EPhS7_N6thrust23THRUST_200600_302600_NS10device_ptrIlEESB_jNS0_19identity_decomposerENS1_16block_id_wrapperIjLb0EEEEE10hipError_tT1_PNSt15iterator_traitsISG_E10value_typeET2_T3_PNSH_ISM_E10value_typeET4_T5_PSR_SS_PNS1_23onesweep_lookback_stateEbbT6_jjT7_P12ihipStream_tbENKUlT_T0_SG_SL_E_clIS7_S7_PlSB_EEDaSZ_S10_SG_SL_EUlSZ_E_NS1_11comp_targetILNS1_3genE9ELNS1_11target_archE1100ELNS1_3gpuE3ELNS1_3repE0EEENS1_47radix_sort_onesweep_sort_config_static_selectorELNS0_4arch9wavefront6targetE1EEEvSG_.has_indirect_call, 0
	.section	.AMDGPU.csdata,"",@progbits
; Kernel info:
; codeLenInByte = 0
; TotalNumSgprs: 4
; NumVgprs: 0
; ScratchSize: 0
; MemoryBound: 0
; FloatMode: 240
; IeeeMode: 1
; LDSByteSize: 0 bytes/workgroup (compile time only)
; SGPRBlocks: 0
; VGPRBlocks: 0
; NumSGPRsForWavesPerEU: 4
; NumVGPRsForWavesPerEU: 1
; Occupancy: 10
; WaveLimiterHint : 0
; COMPUTE_PGM_RSRC2:SCRATCH_EN: 0
; COMPUTE_PGM_RSRC2:USER_SGPR: 6
; COMPUTE_PGM_RSRC2:TRAP_HANDLER: 0
; COMPUTE_PGM_RSRC2:TGID_X_EN: 1
; COMPUTE_PGM_RSRC2:TGID_Y_EN: 0
; COMPUTE_PGM_RSRC2:TGID_Z_EN: 0
; COMPUTE_PGM_RSRC2:TIDIG_COMP_CNT: 0
	.section	.text._ZN7rocprim17ROCPRIM_400000_NS6detail17trampoline_kernelINS0_14default_configENS1_35radix_sort_onesweep_config_selectorIhlEEZZNS1_29radix_sort_onesweep_iterationIS3_Lb0EPhS7_N6thrust23THRUST_200600_302600_NS10device_ptrIlEESB_jNS0_19identity_decomposerENS1_16block_id_wrapperIjLb0EEEEE10hipError_tT1_PNSt15iterator_traitsISG_E10value_typeET2_T3_PNSH_ISM_E10value_typeET4_T5_PSR_SS_PNS1_23onesweep_lookback_stateEbbT6_jjT7_P12ihipStream_tbENKUlT_T0_SG_SL_E_clIS7_S7_PlSB_EEDaSZ_S10_SG_SL_EUlSZ_E_NS1_11comp_targetILNS1_3genE8ELNS1_11target_archE1030ELNS1_3gpuE2ELNS1_3repE0EEENS1_47radix_sort_onesweep_sort_config_static_selectorELNS0_4arch9wavefront6targetE1EEEvSG_,"axG",@progbits,_ZN7rocprim17ROCPRIM_400000_NS6detail17trampoline_kernelINS0_14default_configENS1_35radix_sort_onesweep_config_selectorIhlEEZZNS1_29radix_sort_onesweep_iterationIS3_Lb0EPhS7_N6thrust23THRUST_200600_302600_NS10device_ptrIlEESB_jNS0_19identity_decomposerENS1_16block_id_wrapperIjLb0EEEEE10hipError_tT1_PNSt15iterator_traitsISG_E10value_typeET2_T3_PNSH_ISM_E10value_typeET4_T5_PSR_SS_PNS1_23onesweep_lookback_stateEbbT6_jjT7_P12ihipStream_tbENKUlT_T0_SG_SL_E_clIS7_S7_PlSB_EEDaSZ_S10_SG_SL_EUlSZ_E_NS1_11comp_targetILNS1_3genE8ELNS1_11target_archE1030ELNS1_3gpuE2ELNS1_3repE0EEENS1_47radix_sort_onesweep_sort_config_static_selectorELNS0_4arch9wavefront6targetE1EEEvSG_,comdat
	.protected	_ZN7rocprim17ROCPRIM_400000_NS6detail17trampoline_kernelINS0_14default_configENS1_35radix_sort_onesweep_config_selectorIhlEEZZNS1_29radix_sort_onesweep_iterationIS3_Lb0EPhS7_N6thrust23THRUST_200600_302600_NS10device_ptrIlEESB_jNS0_19identity_decomposerENS1_16block_id_wrapperIjLb0EEEEE10hipError_tT1_PNSt15iterator_traitsISG_E10value_typeET2_T3_PNSH_ISM_E10value_typeET4_T5_PSR_SS_PNS1_23onesweep_lookback_stateEbbT6_jjT7_P12ihipStream_tbENKUlT_T0_SG_SL_E_clIS7_S7_PlSB_EEDaSZ_S10_SG_SL_EUlSZ_E_NS1_11comp_targetILNS1_3genE8ELNS1_11target_archE1030ELNS1_3gpuE2ELNS1_3repE0EEENS1_47radix_sort_onesweep_sort_config_static_selectorELNS0_4arch9wavefront6targetE1EEEvSG_ ; -- Begin function _ZN7rocprim17ROCPRIM_400000_NS6detail17trampoline_kernelINS0_14default_configENS1_35radix_sort_onesweep_config_selectorIhlEEZZNS1_29radix_sort_onesweep_iterationIS3_Lb0EPhS7_N6thrust23THRUST_200600_302600_NS10device_ptrIlEESB_jNS0_19identity_decomposerENS1_16block_id_wrapperIjLb0EEEEE10hipError_tT1_PNSt15iterator_traitsISG_E10value_typeET2_T3_PNSH_ISM_E10value_typeET4_T5_PSR_SS_PNS1_23onesweep_lookback_stateEbbT6_jjT7_P12ihipStream_tbENKUlT_T0_SG_SL_E_clIS7_S7_PlSB_EEDaSZ_S10_SG_SL_EUlSZ_E_NS1_11comp_targetILNS1_3genE8ELNS1_11target_archE1030ELNS1_3gpuE2ELNS1_3repE0EEENS1_47radix_sort_onesweep_sort_config_static_selectorELNS0_4arch9wavefront6targetE1EEEvSG_
	.globl	_ZN7rocprim17ROCPRIM_400000_NS6detail17trampoline_kernelINS0_14default_configENS1_35radix_sort_onesweep_config_selectorIhlEEZZNS1_29radix_sort_onesweep_iterationIS3_Lb0EPhS7_N6thrust23THRUST_200600_302600_NS10device_ptrIlEESB_jNS0_19identity_decomposerENS1_16block_id_wrapperIjLb0EEEEE10hipError_tT1_PNSt15iterator_traitsISG_E10value_typeET2_T3_PNSH_ISM_E10value_typeET4_T5_PSR_SS_PNS1_23onesweep_lookback_stateEbbT6_jjT7_P12ihipStream_tbENKUlT_T0_SG_SL_E_clIS7_S7_PlSB_EEDaSZ_S10_SG_SL_EUlSZ_E_NS1_11comp_targetILNS1_3genE8ELNS1_11target_archE1030ELNS1_3gpuE2ELNS1_3repE0EEENS1_47radix_sort_onesweep_sort_config_static_selectorELNS0_4arch9wavefront6targetE1EEEvSG_
	.p2align	8
	.type	_ZN7rocprim17ROCPRIM_400000_NS6detail17trampoline_kernelINS0_14default_configENS1_35radix_sort_onesweep_config_selectorIhlEEZZNS1_29radix_sort_onesweep_iterationIS3_Lb0EPhS7_N6thrust23THRUST_200600_302600_NS10device_ptrIlEESB_jNS0_19identity_decomposerENS1_16block_id_wrapperIjLb0EEEEE10hipError_tT1_PNSt15iterator_traitsISG_E10value_typeET2_T3_PNSH_ISM_E10value_typeET4_T5_PSR_SS_PNS1_23onesweep_lookback_stateEbbT6_jjT7_P12ihipStream_tbENKUlT_T0_SG_SL_E_clIS7_S7_PlSB_EEDaSZ_S10_SG_SL_EUlSZ_E_NS1_11comp_targetILNS1_3genE8ELNS1_11target_archE1030ELNS1_3gpuE2ELNS1_3repE0EEENS1_47radix_sort_onesweep_sort_config_static_selectorELNS0_4arch9wavefront6targetE1EEEvSG_,@function
_ZN7rocprim17ROCPRIM_400000_NS6detail17trampoline_kernelINS0_14default_configENS1_35radix_sort_onesweep_config_selectorIhlEEZZNS1_29radix_sort_onesweep_iterationIS3_Lb0EPhS7_N6thrust23THRUST_200600_302600_NS10device_ptrIlEESB_jNS0_19identity_decomposerENS1_16block_id_wrapperIjLb0EEEEE10hipError_tT1_PNSt15iterator_traitsISG_E10value_typeET2_T3_PNSH_ISM_E10value_typeET4_T5_PSR_SS_PNS1_23onesweep_lookback_stateEbbT6_jjT7_P12ihipStream_tbENKUlT_T0_SG_SL_E_clIS7_S7_PlSB_EEDaSZ_S10_SG_SL_EUlSZ_E_NS1_11comp_targetILNS1_3genE8ELNS1_11target_archE1030ELNS1_3gpuE2ELNS1_3repE0EEENS1_47radix_sort_onesweep_sort_config_static_selectorELNS0_4arch9wavefront6targetE1EEEvSG_: ; @_ZN7rocprim17ROCPRIM_400000_NS6detail17trampoline_kernelINS0_14default_configENS1_35radix_sort_onesweep_config_selectorIhlEEZZNS1_29radix_sort_onesweep_iterationIS3_Lb0EPhS7_N6thrust23THRUST_200600_302600_NS10device_ptrIlEESB_jNS0_19identity_decomposerENS1_16block_id_wrapperIjLb0EEEEE10hipError_tT1_PNSt15iterator_traitsISG_E10value_typeET2_T3_PNSH_ISM_E10value_typeET4_T5_PSR_SS_PNS1_23onesweep_lookback_stateEbbT6_jjT7_P12ihipStream_tbENKUlT_T0_SG_SL_E_clIS7_S7_PlSB_EEDaSZ_S10_SG_SL_EUlSZ_E_NS1_11comp_targetILNS1_3genE8ELNS1_11target_archE1030ELNS1_3gpuE2ELNS1_3repE0EEENS1_47radix_sort_onesweep_sort_config_static_selectorELNS0_4arch9wavefront6targetE1EEEvSG_
; %bb.0:
	.section	.rodata,"a",@progbits
	.p2align	6, 0x0
	.amdhsa_kernel _ZN7rocprim17ROCPRIM_400000_NS6detail17trampoline_kernelINS0_14default_configENS1_35radix_sort_onesweep_config_selectorIhlEEZZNS1_29radix_sort_onesweep_iterationIS3_Lb0EPhS7_N6thrust23THRUST_200600_302600_NS10device_ptrIlEESB_jNS0_19identity_decomposerENS1_16block_id_wrapperIjLb0EEEEE10hipError_tT1_PNSt15iterator_traitsISG_E10value_typeET2_T3_PNSH_ISM_E10value_typeET4_T5_PSR_SS_PNS1_23onesweep_lookback_stateEbbT6_jjT7_P12ihipStream_tbENKUlT_T0_SG_SL_E_clIS7_S7_PlSB_EEDaSZ_S10_SG_SL_EUlSZ_E_NS1_11comp_targetILNS1_3genE8ELNS1_11target_archE1030ELNS1_3gpuE2ELNS1_3repE0EEENS1_47radix_sort_onesweep_sort_config_static_selectorELNS0_4arch9wavefront6targetE1EEEvSG_
		.amdhsa_group_segment_fixed_size 0
		.amdhsa_private_segment_fixed_size 0
		.amdhsa_kernarg_size 88
		.amdhsa_user_sgpr_count 6
		.amdhsa_user_sgpr_private_segment_buffer 1
		.amdhsa_user_sgpr_dispatch_ptr 0
		.amdhsa_user_sgpr_queue_ptr 0
		.amdhsa_user_sgpr_kernarg_segment_ptr 1
		.amdhsa_user_sgpr_dispatch_id 0
		.amdhsa_user_sgpr_flat_scratch_init 0
		.amdhsa_user_sgpr_private_segment_size 0
		.amdhsa_uses_dynamic_stack 0
		.amdhsa_system_sgpr_private_segment_wavefront_offset 0
		.amdhsa_system_sgpr_workgroup_id_x 1
		.amdhsa_system_sgpr_workgroup_id_y 0
		.amdhsa_system_sgpr_workgroup_id_z 0
		.amdhsa_system_sgpr_workgroup_info 0
		.amdhsa_system_vgpr_workitem_id 0
		.amdhsa_next_free_vgpr 1
		.amdhsa_next_free_sgpr 0
		.amdhsa_reserve_vcc 0
		.amdhsa_reserve_flat_scratch 0
		.amdhsa_float_round_mode_32 0
		.amdhsa_float_round_mode_16_64 0
		.amdhsa_float_denorm_mode_32 3
		.amdhsa_float_denorm_mode_16_64 3
		.amdhsa_dx10_clamp 1
		.amdhsa_ieee_mode 1
		.amdhsa_fp16_overflow 0
		.amdhsa_exception_fp_ieee_invalid_op 0
		.amdhsa_exception_fp_denorm_src 0
		.amdhsa_exception_fp_ieee_div_zero 0
		.amdhsa_exception_fp_ieee_overflow 0
		.amdhsa_exception_fp_ieee_underflow 0
		.amdhsa_exception_fp_ieee_inexact 0
		.amdhsa_exception_int_div_zero 0
	.end_amdhsa_kernel
	.section	.text._ZN7rocprim17ROCPRIM_400000_NS6detail17trampoline_kernelINS0_14default_configENS1_35radix_sort_onesweep_config_selectorIhlEEZZNS1_29radix_sort_onesweep_iterationIS3_Lb0EPhS7_N6thrust23THRUST_200600_302600_NS10device_ptrIlEESB_jNS0_19identity_decomposerENS1_16block_id_wrapperIjLb0EEEEE10hipError_tT1_PNSt15iterator_traitsISG_E10value_typeET2_T3_PNSH_ISM_E10value_typeET4_T5_PSR_SS_PNS1_23onesweep_lookback_stateEbbT6_jjT7_P12ihipStream_tbENKUlT_T0_SG_SL_E_clIS7_S7_PlSB_EEDaSZ_S10_SG_SL_EUlSZ_E_NS1_11comp_targetILNS1_3genE8ELNS1_11target_archE1030ELNS1_3gpuE2ELNS1_3repE0EEENS1_47radix_sort_onesweep_sort_config_static_selectorELNS0_4arch9wavefront6targetE1EEEvSG_,"axG",@progbits,_ZN7rocprim17ROCPRIM_400000_NS6detail17trampoline_kernelINS0_14default_configENS1_35radix_sort_onesweep_config_selectorIhlEEZZNS1_29radix_sort_onesweep_iterationIS3_Lb0EPhS7_N6thrust23THRUST_200600_302600_NS10device_ptrIlEESB_jNS0_19identity_decomposerENS1_16block_id_wrapperIjLb0EEEEE10hipError_tT1_PNSt15iterator_traitsISG_E10value_typeET2_T3_PNSH_ISM_E10value_typeET4_T5_PSR_SS_PNS1_23onesweep_lookback_stateEbbT6_jjT7_P12ihipStream_tbENKUlT_T0_SG_SL_E_clIS7_S7_PlSB_EEDaSZ_S10_SG_SL_EUlSZ_E_NS1_11comp_targetILNS1_3genE8ELNS1_11target_archE1030ELNS1_3gpuE2ELNS1_3repE0EEENS1_47radix_sort_onesweep_sort_config_static_selectorELNS0_4arch9wavefront6targetE1EEEvSG_,comdat
.Lfunc_end317:
	.size	_ZN7rocprim17ROCPRIM_400000_NS6detail17trampoline_kernelINS0_14default_configENS1_35radix_sort_onesweep_config_selectorIhlEEZZNS1_29radix_sort_onesweep_iterationIS3_Lb0EPhS7_N6thrust23THRUST_200600_302600_NS10device_ptrIlEESB_jNS0_19identity_decomposerENS1_16block_id_wrapperIjLb0EEEEE10hipError_tT1_PNSt15iterator_traitsISG_E10value_typeET2_T3_PNSH_ISM_E10value_typeET4_T5_PSR_SS_PNS1_23onesweep_lookback_stateEbbT6_jjT7_P12ihipStream_tbENKUlT_T0_SG_SL_E_clIS7_S7_PlSB_EEDaSZ_S10_SG_SL_EUlSZ_E_NS1_11comp_targetILNS1_3genE8ELNS1_11target_archE1030ELNS1_3gpuE2ELNS1_3repE0EEENS1_47radix_sort_onesweep_sort_config_static_selectorELNS0_4arch9wavefront6targetE1EEEvSG_, .Lfunc_end317-_ZN7rocprim17ROCPRIM_400000_NS6detail17trampoline_kernelINS0_14default_configENS1_35radix_sort_onesweep_config_selectorIhlEEZZNS1_29radix_sort_onesweep_iterationIS3_Lb0EPhS7_N6thrust23THRUST_200600_302600_NS10device_ptrIlEESB_jNS0_19identity_decomposerENS1_16block_id_wrapperIjLb0EEEEE10hipError_tT1_PNSt15iterator_traitsISG_E10value_typeET2_T3_PNSH_ISM_E10value_typeET4_T5_PSR_SS_PNS1_23onesweep_lookback_stateEbbT6_jjT7_P12ihipStream_tbENKUlT_T0_SG_SL_E_clIS7_S7_PlSB_EEDaSZ_S10_SG_SL_EUlSZ_E_NS1_11comp_targetILNS1_3genE8ELNS1_11target_archE1030ELNS1_3gpuE2ELNS1_3repE0EEENS1_47radix_sort_onesweep_sort_config_static_selectorELNS0_4arch9wavefront6targetE1EEEvSG_
                                        ; -- End function
	.set _ZN7rocprim17ROCPRIM_400000_NS6detail17trampoline_kernelINS0_14default_configENS1_35radix_sort_onesweep_config_selectorIhlEEZZNS1_29radix_sort_onesweep_iterationIS3_Lb0EPhS7_N6thrust23THRUST_200600_302600_NS10device_ptrIlEESB_jNS0_19identity_decomposerENS1_16block_id_wrapperIjLb0EEEEE10hipError_tT1_PNSt15iterator_traitsISG_E10value_typeET2_T3_PNSH_ISM_E10value_typeET4_T5_PSR_SS_PNS1_23onesweep_lookback_stateEbbT6_jjT7_P12ihipStream_tbENKUlT_T0_SG_SL_E_clIS7_S7_PlSB_EEDaSZ_S10_SG_SL_EUlSZ_E_NS1_11comp_targetILNS1_3genE8ELNS1_11target_archE1030ELNS1_3gpuE2ELNS1_3repE0EEENS1_47radix_sort_onesweep_sort_config_static_selectorELNS0_4arch9wavefront6targetE1EEEvSG_.num_vgpr, 0
	.set _ZN7rocprim17ROCPRIM_400000_NS6detail17trampoline_kernelINS0_14default_configENS1_35radix_sort_onesweep_config_selectorIhlEEZZNS1_29radix_sort_onesweep_iterationIS3_Lb0EPhS7_N6thrust23THRUST_200600_302600_NS10device_ptrIlEESB_jNS0_19identity_decomposerENS1_16block_id_wrapperIjLb0EEEEE10hipError_tT1_PNSt15iterator_traitsISG_E10value_typeET2_T3_PNSH_ISM_E10value_typeET4_T5_PSR_SS_PNS1_23onesweep_lookback_stateEbbT6_jjT7_P12ihipStream_tbENKUlT_T0_SG_SL_E_clIS7_S7_PlSB_EEDaSZ_S10_SG_SL_EUlSZ_E_NS1_11comp_targetILNS1_3genE8ELNS1_11target_archE1030ELNS1_3gpuE2ELNS1_3repE0EEENS1_47radix_sort_onesweep_sort_config_static_selectorELNS0_4arch9wavefront6targetE1EEEvSG_.num_agpr, 0
	.set _ZN7rocprim17ROCPRIM_400000_NS6detail17trampoline_kernelINS0_14default_configENS1_35radix_sort_onesweep_config_selectorIhlEEZZNS1_29radix_sort_onesweep_iterationIS3_Lb0EPhS7_N6thrust23THRUST_200600_302600_NS10device_ptrIlEESB_jNS0_19identity_decomposerENS1_16block_id_wrapperIjLb0EEEEE10hipError_tT1_PNSt15iterator_traitsISG_E10value_typeET2_T3_PNSH_ISM_E10value_typeET4_T5_PSR_SS_PNS1_23onesweep_lookback_stateEbbT6_jjT7_P12ihipStream_tbENKUlT_T0_SG_SL_E_clIS7_S7_PlSB_EEDaSZ_S10_SG_SL_EUlSZ_E_NS1_11comp_targetILNS1_3genE8ELNS1_11target_archE1030ELNS1_3gpuE2ELNS1_3repE0EEENS1_47radix_sort_onesweep_sort_config_static_selectorELNS0_4arch9wavefront6targetE1EEEvSG_.numbered_sgpr, 0
	.set _ZN7rocprim17ROCPRIM_400000_NS6detail17trampoline_kernelINS0_14default_configENS1_35radix_sort_onesweep_config_selectorIhlEEZZNS1_29radix_sort_onesweep_iterationIS3_Lb0EPhS7_N6thrust23THRUST_200600_302600_NS10device_ptrIlEESB_jNS0_19identity_decomposerENS1_16block_id_wrapperIjLb0EEEEE10hipError_tT1_PNSt15iterator_traitsISG_E10value_typeET2_T3_PNSH_ISM_E10value_typeET4_T5_PSR_SS_PNS1_23onesweep_lookback_stateEbbT6_jjT7_P12ihipStream_tbENKUlT_T0_SG_SL_E_clIS7_S7_PlSB_EEDaSZ_S10_SG_SL_EUlSZ_E_NS1_11comp_targetILNS1_3genE8ELNS1_11target_archE1030ELNS1_3gpuE2ELNS1_3repE0EEENS1_47radix_sort_onesweep_sort_config_static_selectorELNS0_4arch9wavefront6targetE1EEEvSG_.num_named_barrier, 0
	.set _ZN7rocprim17ROCPRIM_400000_NS6detail17trampoline_kernelINS0_14default_configENS1_35radix_sort_onesweep_config_selectorIhlEEZZNS1_29radix_sort_onesweep_iterationIS3_Lb0EPhS7_N6thrust23THRUST_200600_302600_NS10device_ptrIlEESB_jNS0_19identity_decomposerENS1_16block_id_wrapperIjLb0EEEEE10hipError_tT1_PNSt15iterator_traitsISG_E10value_typeET2_T3_PNSH_ISM_E10value_typeET4_T5_PSR_SS_PNS1_23onesweep_lookback_stateEbbT6_jjT7_P12ihipStream_tbENKUlT_T0_SG_SL_E_clIS7_S7_PlSB_EEDaSZ_S10_SG_SL_EUlSZ_E_NS1_11comp_targetILNS1_3genE8ELNS1_11target_archE1030ELNS1_3gpuE2ELNS1_3repE0EEENS1_47radix_sort_onesweep_sort_config_static_selectorELNS0_4arch9wavefront6targetE1EEEvSG_.private_seg_size, 0
	.set _ZN7rocprim17ROCPRIM_400000_NS6detail17trampoline_kernelINS0_14default_configENS1_35radix_sort_onesweep_config_selectorIhlEEZZNS1_29radix_sort_onesweep_iterationIS3_Lb0EPhS7_N6thrust23THRUST_200600_302600_NS10device_ptrIlEESB_jNS0_19identity_decomposerENS1_16block_id_wrapperIjLb0EEEEE10hipError_tT1_PNSt15iterator_traitsISG_E10value_typeET2_T3_PNSH_ISM_E10value_typeET4_T5_PSR_SS_PNS1_23onesweep_lookback_stateEbbT6_jjT7_P12ihipStream_tbENKUlT_T0_SG_SL_E_clIS7_S7_PlSB_EEDaSZ_S10_SG_SL_EUlSZ_E_NS1_11comp_targetILNS1_3genE8ELNS1_11target_archE1030ELNS1_3gpuE2ELNS1_3repE0EEENS1_47radix_sort_onesweep_sort_config_static_selectorELNS0_4arch9wavefront6targetE1EEEvSG_.uses_vcc, 0
	.set _ZN7rocprim17ROCPRIM_400000_NS6detail17trampoline_kernelINS0_14default_configENS1_35radix_sort_onesweep_config_selectorIhlEEZZNS1_29radix_sort_onesweep_iterationIS3_Lb0EPhS7_N6thrust23THRUST_200600_302600_NS10device_ptrIlEESB_jNS0_19identity_decomposerENS1_16block_id_wrapperIjLb0EEEEE10hipError_tT1_PNSt15iterator_traitsISG_E10value_typeET2_T3_PNSH_ISM_E10value_typeET4_T5_PSR_SS_PNS1_23onesweep_lookback_stateEbbT6_jjT7_P12ihipStream_tbENKUlT_T0_SG_SL_E_clIS7_S7_PlSB_EEDaSZ_S10_SG_SL_EUlSZ_E_NS1_11comp_targetILNS1_3genE8ELNS1_11target_archE1030ELNS1_3gpuE2ELNS1_3repE0EEENS1_47radix_sort_onesweep_sort_config_static_selectorELNS0_4arch9wavefront6targetE1EEEvSG_.uses_flat_scratch, 0
	.set _ZN7rocprim17ROCPRIM_400000_NS6detail17trampoline_kernelINS0_14default_configENS1_35radix_sort_onesweep_config_selectorIhlEEZZNS1_29radix_sort_onesweep_iterationIS3_Lb0EPhS7_N6thrust23THRUST_200600_302600_NS10device_ptrIlEESB_jNS0_19identity_decomposerENS1_16block_id_wrapperIjLb0EEEEE10hipError_tT1_PNSt15iterator_traitsISG_E10value_typeET2_T3_PNSH_ISM_E10value_typeET4_T5_PSR_SS_PNS1_23onesweep_lookback_stateEbbT6_jjT7_P12ihipStream_tbENKUlT_T0_SG_SL_E_clIS7_S7_PlSB_EEDaSZ_S10_SG_SL_EUlSZ_E_NS1_11comp_targetILNS1_3genE8ELNS1_11target_archE1030ELNS1_3gpuE2ELNS1_3repE0EEENS1_47radix_sort_onesweep_sort_config_static_selectorELNS0_4arch9wavefront6targetE1EEEvSG_.has_dyn_sized_stack, 0
	.set _ZN7rocprim17ROCPRIM_400000_NS6detail17trampoline_kernelINS0_14default_configENS1_35radix_sort_onesweep_config_selectorIhlEEZZNS1_29radix_sort_onesweep_iterationIS3_Lb0EPhS7_N6thrust23THRUST_200600_302600_NS10device_ptrIlEESB_jNS0_19identity_decomposerENS1_16block_id_wrapperIjLb0EEEEE10hipError_tT1_PNSt15iterator_traitsISG_E10value_typeET2_T3_PNSH_ISM_E10value_typeET4_T5_PSR_SS_PNS1_23onesweep_lookback_stateEbbT6_jjT7_P12ihipStream_tbENKUlT_T0_SG_SL_E_clIS7_S7_PlSB_EEDaSZ_S10_SG_SL_EUlSZ_E_NS1_11comp_targetILNS1_3genE8ELNS1_11target_archE1030ELNS1_3gpuE2ELNS1_3repE0EEENS1_47radix_sort_onesweep_sort_config_static_selectorELNS0_4arch9wavefront6targetE1EEEvSG_.has_recursion, 0
	.set _ZN7rocprim17ROCPRIM_400000_NS6detail17trampoline_kernelINS0_14default_configENS1_35radix_sort_onesweep_config_selectorIhlEEZZNS1_29radix_sort_onesweep_iterationIS3_Lb0EPhS7_N6thrust23THRUST_200600_302600_NS10device_ptrIlEESB_jNS0_19identity_decomposerENS1_16block_id_wrapperIjLb0EEEEE10hipError_tT1_PNSt15iterator_traitsISG_E10value_typeET2_T3_PNSH_ISM_E10value_typeET4_T5_PSR_SS_PNS1_23onesweep_lookback_stateEbbT6_jjT7_P12ihipStream_tbENKUlT_T0_SG_SL_E_clIS7_S7_PlSB_EEDaSZ_S10_SG_SL_EUlSZ_E_NS1_11comp_targetILNS1_3genE8ELNS1_11target_archE1030ELNS1_3gpuE2ELNS1_3repE0EEENS1_47radix_sort_onesweep_sort_config_static_selectorELNS0_4arch9wavefront6targetE1EEEvSG_.has_indirect_call, 0
	.section	.AMDGPU.csdata,"",@progbits
; Kernel info:
; codeLenInByte = 0
; TotalNumSgprs: 4
; NumVgprs: 0
; ScratchSize: 0
; MemoryBound: 0
; FloatMode: 240
; IeeeMode: 1
; LDSByteSize: 0 bytes/workgroup (compile time only)
; SGPRBlocks: 0
; VGPRBlocks: 0
; NumSGPRsForWavesPerEU: 4
; NumVGPRsForWavesPerEU: 1
; Occupancy: 10
; WaveLimiterHint : 0
; COMPUTE_PGM_RSRC2:SCRATCH_EN: 0
; COMPUTE_PGM_RSRC2:USER_SGPR: 6
; COMPUTE_PGM_RSRC2:TRAP_HANDLER: 0
; COMPUTE_PGM_RSRC2:TGID_X_EN: 1
; COMPUTE_PGM_RSRC2:TGID_Y_EN: 0
; COMPUTE_PGM_RSRC2:TGID_Z_EN: 0
; COMPUTE_PGM_RSRC2:TIDIG_COMP_CNT: 0
	.section	.text._ZN7rocprim17ROCPRIM_400000_NS6detail17trampoline_kernelINS0_14default_configENS1_22reduce_config_selectorIiEEZNS1_11reduce_implILb1ES3_PiS7_iN6thrust23THRUST_200600_302600_NS4plusIiEEEE10hipError_tPvRmT1_T2_T3_mT4_P12ihipStream_tbEUlT_E0_NS1_11comp_targetILNS1_3genE0ELNS1_11target_archE4294967295ELNS1_3gpuE0ELNS1_3repE0EEENS1_30default_config_static_selectorELNS0_4arch9wavefront6targetE1EEEvSF_,"axG",@progbits,_ZN7rocprim17ROCPRIM_400000_NS6detail17trampoline_kernelINS0_14default_configENS1_22reduce_config_selectorIiEEZNS1_11reduce_implILb1ES3_PiS7_iN6thrust23THRUST_200600_302600_NS4plusIiEEEE10hipError_tPvRmT1_T2_T3_mT4_P12ihipStream_tbEUlT_E0_NS1_11comp_targetILNS1_3genE0ELNS1_11target_archE4294967295ELNS1_3gpuE0ELNS1_3repE0EEENS1_30default_config_static_selectorELNS0_4arch9wavefront6targetE1EEEvSF_,comdat
	.protected	_ZN7rocprim17ROCPRIM_400000_NS6detail17trampoline_kernelINS0_14default_configENS1_22reduce_config_selectorIiEEZNS1_11reduce_implILb1ES3_PiS7_iN6thrust23THRUST_200600_302600_NS4plusIiEEEE10hipError_tPvRmT1_T2_T3_mT4_P12ihipStream_tbEUlT_E0_NS1_11comp_targetILNS1_3genE0ELNS1_11target_archE4294967295ELNS1_3gpuE0ELNS1_3repE0EEENS1_30default_config_static_selectorELNS0_4arch9wavefront6targetE1EEEvSF_ ; -- Begin function _ZN7rocprim17ROCPRIM_400000_NS6detail17trampoline_kernelINS0_14default_configENS1_22reduce_config_selectorIiEEZNS1_11reduce_implILb1ES3_PiS7_iN6thrust23THRUST_200600_302600_NS4plusIiEEEE10hipError_tPvRmT1_T2_T3_mT4_P12ihipStream_tbEUlT_E0_NS1_11comp_targetILNS1_3genE0ELNS1_11target_archE4294967295ELNS1_3gpuE0ELNS1_3repE0EEENS1_30default_config_static_selectorELNS0_4arch9wavefront6targetE1EEEvSF_
	.globl	_ZN7rocprim17ROCPRIM_400000_NS6detail17trampoline_kernelINS0_14default_configENS1_22reduce_config_selectorIiEEZNS1_11reduce_implILb1ES3_PiS7_iN6thrust23THRUST_200600_302600_NS4plusIiEEEE10hipError_tPvRmT1_T2_T3_mT4_P12ihipStream_tbEUlT_E0_NS1_11comp_targetILNS1_3genE0ELNS1_11target_archE4294967295ELNS1_3gpuE0ELNS1_3repE0EEENS1_30default_config_static_selectorELNS0_4arch9wavefront6targetE1EEEvSF_
	.p2align	8
	.type	_ZN7rocprim17ROCPRIM_400000_NS6detail17trampoline_kernelINS0_14default_configENS1_22reduce_config_selectorIiEEZNS1_11reduce_implILb1ES3_PiS7_iN6thrust23THRUST_200600_302600_NS4plusIiEEEE10hipError_tPvRmT1_T2_T3_mT4_P12ihipStream_tbEUlT_E0_NS1_11comp_targetILNS1_3genE0ELNS1_11target_archE4294967295ELNS1_3gpuE0ELNS1_3repE0EEENS1_30default_config_static_selectorELNS0_4arch9wavefront6targetE1EEEvSF_,@function
_ZN7rocprim17ROCPRIM_400000_NS6detail17trampoline_kernelINS0_14default_configENS1_22reduce_config_selectorIiEEZNS1_11reduce_implILb1ES3_PiS7_iN6thrust23THRUST_200600_302600_NS4plusIiEEEE10hipError_tPvRmT1_T2_T3_mT4_P12ihipStream_tbEUlT_E0_NS1_11comp_targetILNS1_3genE0ELNS1_11target_archE4294967295ELNS1_3gpuE0ELNS1_3repE0EEENS1_30default_config_static_selectorELNS0_4arch9wavefront6targetE1EEEvSF_: ; @_ZN7rocprim17ROCPRIM_400000_NS6detail17trampoline_kernelINS0_14default_configENS1_22reduce_config_selectorIiEEZNS1_11reduce_implILb1ES3_PiS7_iN6thrust23THRUST_200600_302600_NS4plusIiEEEE10hipError_tPvRmT1_T2_T3_mT4_P12ihipStream_tbEUlT_E0_NS1_11comp_targetILNS1_3genE0ELNS1_11target_archE4294967295ELNS1_3gpuE0ELNS1_3repE0EEENS1_30default_config_static_selectorELNS0_4arch9wavefront6targetE1EEEvSF_
; %bb.0:
	.section	.rodata,"a",@progbits
	.p2align	6, 0x0
	.amdhsa_kernel _ZN7rocprim17ROCPRIM_400000_NS6detail17trampoline_kernelINS0_14default_configENS1_22reduce_config_selectorIiEEZNS1_11reduce_implILb1ES3_PiS7_iN6thrust23THRUST_200600_302600_NS4plusIiEEEE10hipError_tPvRmT1_T2_T3_mT4_P12ihipStream_tbEUlT_E0_NS1_11comp_targetILNS1_3genE0ELNS1_11target_archE4294967295ELNS1_3gpuE0ELNS1_3repE0EEENS1_30default_config_static_selectorELNS0_4arch9wavefront6targetE1EEEvSF_
		.amdhsa_group_segment_fixed_size 0
		.amdhsa_private_segment_fixed_size 0
		.amdhsa_kernarg_size 56
		.amdhsa_user_sgpr_count 6
		.amdhsa_user_sgpr_private_segment_buffer 1
		.amdhsa_user_sgpr_dispatch_ptr 0
		.amdhsa_user_sgpr_queue_ptr 0
		.amdhsa_user_sgpr_kernarg_segment_ptr 1
		.amdhsa_user_sgpr_dispatch_id 0
		.amdhsa_user_sgpr_flat_scratch_init 0
		.amdhsa_user_sgpr_private_segment_size 0
		.amdhsa_uses_dynamic_stack 0
		.amdhsa_system_sgpr_private_segment_wavefront_offset 0
		.amdhsa_system_sgpr_workgroup_id_x 1
		.amdhsa_system_sgpr_workgroup_id_y 0
		.amdhsa_system_sgpr_workgroup_id_z 0
		.amdhsa_system_sgpr_workgroup_info 0
		.amdhsa_system_vgpr_workitem_id 0
		.amdhsa_next_free_vgpr 1
		.amdhsa_next_free_sgpr 0
		.amdhsa_reserve_vcc 0
		.amdhsa_reserve_flat_scratch 0
		.amdhsa_float_round_mode_32 0
		.amdhsa_float_round_mode_16_64 0
		.amdhsa_float_denorm_mode_32 3
		.amdhsa_float_denorm_mode_16_64 3
		.amdhsa_dx10_clamp 1
		.amdhsa_ieee_mode 1
		.amdhsa_fp16_overflow 0
		.amdhsa_exception_fp_ieee_invalid_op 0
		.amdhsa_exception_fp_denorm_src 0
		.amdhsa_exception_fp_ieee_div_zero 0
		.amdhsa_exception_fp_ieee_overflow 0
		.amdhsa_exception_fp_ieee_underflow 0
		.amdhsa_exception_fp_ieee_inexact 0
		.amdhsa_exception_int_div_zero 0
	.end_amdhsa_kernel
	.section	.text._ZN7rocprim17ROCPRIM_400000_NS6detail17trampoline_kernelINS0_14default_configENS1_22reduce_config_selectorIiEEZNS1_11reduce_implILb1ES3_PiS7_iN6thrust23THRUST_200600_302600_NS4plusIiEEEE10hipError_tPvRmT1_T2_T3_mT4_P12ihipStream_tbEUlT_E0_NS1_11comp_targetILNS1_3genE0ELNS1_11target_archE4294967295ELNS1_3gpuE0ELNS1_3repE0EEENS1_30default_config_static_selectorELNS0_4arch9wavefront6targetE1EEEvSF_,"axG",@progbits,_ZN7rocprim17ROCPRIM_400000_NS6detail17trampoline_kernelINS0_14default_configENS1_22reduce_config_selectorIiEEZNS1_11reduce_implILb1ES3_PiS7_iN6thrust23THRUST_200600_302600_NS4plusIiEEEE10hipError_tPvRmT1_T2_T3_mT4_P12ihipStream_tbEUlT_E0_NS1_11comp_targetILNS1_3genE0ELNS1_11target_archE4294967295ELNS1_3gpuE0ELNS1_3repE0EEENS1_30default_config_static_selectorELNS0_4arch9wavefront6targetE1EEEvSF_,comdat
.Lfunc_end318:
	.size	_ZN7rocprim17ROCPRIM_400000_NS6detail17trampoline_kernelINS0_14default_configENS1_22reduce_config_selectorIiEEZNS1_11reduce_implILb1ES3_PiS7_iN6thrust23THRUST_200600_302600_NS4plusIiEEEE10hipError_tPvRmT1_T2_T3_mT4_P12ihipStream_tbEUlT_E0_NS1_11comp_targetILNS1_3genE0ELNS1_11target_archE4294967295ELNS1_3gpuE0ELNS1_3repE0EEENS1_30default_config_static_selectorELNS0_4arch9wavefront6targetE1EEEvSF_, .Lfunc_end318-_ZN7rocprim17ROCPRIM_400000_NS6detail17trampoline_kernelINS0_14default_configENS1_22reduce_config_selectorIiEEZNS1_11reduce_implILb1ES3_PiS7_iN6thrust23THRUST_200600_302600_NS4plusIiEEEE10hipError_tPvRmT1_T2_T3_mT4_P12ihipStream_tbEUlT_E0_NS1_11comp_targetILNS1_3genE0ELNS1_11target_archE4294967295ELNS1_3gpuE0ELNS1_3repE0EEENS1_30default_config_static_selectorELNS0_4arch9wavefront6targetE1EEEvSF_
                                        ; -- End function
	.set _ZN7rocprim17ROCPRIM_400000_NS6detail17trampoline_kernelINS0_14default_configENS1_22reduce_config_selectorIiEEZNS1_11reduce_implILb1ES3_PiS7_iN6thrust23THRUST_200600_302600_NS4plusIiEEEE10hipError_tPvRmT1_T2_T3_mT4_P12ihipStream_tbEUlT_E0_NS1_11comp_targetILNS1_3genE0ELNS1_11target_archE4294967295ELNS1_3gpuE0ELNS1_3repE0EEENS1_30default_config_static_selectorELNS0_4arch9wavefront6targetE1EEEvSF_.num_vgpr, 0
	.set _ZN7rocprim17ROCPRIM_400000_NS6detail17trampoline_kernelINS0_14default_configENS1_22reduce_config_selectorIiEEZNS1_11reduce_implILb1ES3_PiS7_iN6thrust23THRUST_200600_302600_NS4plusIiEEEE10hipError_tPvRmT1_T2_T3_mT4_P12ihipStream_tbEUlT_E0_NS1_11comp_targetILNS1_3genE0ELNS1_11target_archE4294967295ELNS1_3gpuE0ELNS1_3repE0EEENS1_30default_config_static_selectorELNS0_4arch9wavefront6targetE1EEEvSF_.num_agpr, 0
	.set _ZN7rocprim17ROCPRIM_400000_NS6detail17trampoline_kernelINS0_14default_configENS1_22reduce_config_selectorIiEEZNS1_11reduce_implILb1ES3_PiS7_iN6thrust23THRUST_200600_302600_NS4plusIiEEEE10hipError_tPvRmT1_T2_T3_mT4_P12ihipStream_tbEUlT_E0_NS1_11comp_targetILNS1_3genE0ELNS1_11target_archE4294967295ELNS1_3gpuE0ELNS1_3repE0EEENS1_30default_config_static_selectorELNS0_4arch9wavefront6targetE1EEEvSF_.numbered_sgpr, 0
	.set _ZN7rocprim17ROCPRIM_400000_NS6detail17trampoline_kernelINS0_14default_configENS1_22reduce_config_selectorIiEEZNS1_11reduce_implILb1ES3_PiS7_iN6thrust23THRUST_200600_302600_NS4plusIiEEEE10hipError_tPvRmT1_T2_T3_mT4_P12ihipStream_tbEUlT_E0_NS1_11comp_targetILNS1_3genE0ELNS1_11target_archE4294967295ELNS1_3gpuE0ELNS1_3repE0EEENS1_30default_config_static_selectorELNS0_4arch9wavefront6targetE1EEEvSF_.num_named_barrier, 0
	.set _ZN7rocprim17ROCPRIM_400000_NS6detail17trampoline_kernelINS0_14default_configENS1_22reduce_config_selectorIiEEZNS1_11reduce_implILb1ES3_PiS7_iN6thrust23THRUST_200600_302600_NS4plusIiEEEE10hipError_tPvRmT1_T2_T3_mT4_P12ihipStream_tbEUlT_E0_NS1_11comp_targetILNS1_3genE0ELNS1_11target_archE4294967295ELNS1_3gpuE0ELNS1_3repE0EEENS1_30default_config_static_selectorELNS0_4arch9wavefront6targetE1EEEvSF_.private_seg_size, 0
	.set _ZN7rocprim17ROCPRIM_400000_NS6detail17trampoline_kernelINS0_14default_configENS1_22reduce_config_selectorIiEEZNS1_11reduce_implILb1ES3_PiS7_iN6thrust23THRUST_200600_302600_NS4plusIiEEEE10hipError_tPvRmT1_T2_T3_mT4_P12ihipStream_tbEUlT_E0_NS1_11comp_targetILNS1_3genE0ELNS1_11target_archE4294967295ELNS1_3gpuE0ELNS1_3repE0EEENS1_30default_config_static_selectorELNS0_4arch9wavefront6targetE1EEEvSF_.uses_vcc, 0
	.set _ZN7rocprim17ROCPRIM_400000_NS6detail17trampoline_kernelINS0_14default_configENS1_22reduce_config_selectorIiEEZNS1_11reduce_implILb1ES3_PiS7_iN6thrust23THRUST_200600_302600_NS4plusIiEEEE10hipError_tPvRmT1_T2_T3_mT4_P12ihipStream_tbEUlT_E0_NS1_11comp_targetILNS1_3genE0ELNS1_11target_archE4294967295ELNS1_3gpuE0ELNS1_3repE0EEENS1_30default_config_static_selectorELNS0_4arch9wavefront6targetE1EEEvSF_.uses_flat_scratch, 0
	.set _ZN7rocprim17ROCPRIM_400000_NS6detail17trampoline_kernelINS0_14default_configENS1_22reduce_config_selectorIiEEZNS1_11reduce_implILb1ES3_PiS7_iN6thrust23THRUST_200600_302600_NS4plusIiEEEE10hipError_tPvRmT1_T2_T3_mT4_P12ihipStream_tbEUlT_E0_NS1_11comp_targetILNS1_3genE0ELNS1_11target_archE4294967295ELNS1_3gpuE0ELNS1_3repE0EEENS1_30default_config_static_selectorELNS0_4arch9wavefront6targetE1EEEvSF_.has_dyn_sized_stack, 0
	.set _ZN7rocprim17ROCPRIM_400000_NS6detail17trampoline_kernelINS0_14default_configENS1_22reduce_config_selectorIiEEZNS1_11reduce_implILb1ES3_PiS7_iN6thrust23THRUST_200600_302600_NS4plusIiEEEE10hipError_tPvRmT1_T2_T3_mT4_P12ihipStream_tbEUlT_E0_NS1_11comp_targetILNS1_3genE0ELNS1_11target_archE4294967295ELNS1_3gpuE0ELNS1_3repE0EEENS1_30default_config_static_selectorELNS0_4arch9wavefront6targetE1EEEvSF_.has_recursion, 0
	.set _ZN7rocprim17ROCPRIM_400000_NS6detail17trampoline_kernelINS0_14default_configENS1_22reduce_config_selectorIiEEZNS1_11reduce_implILb1ES3_PiS7_iN6thrust23THRUST_200600_302600_NS4plusIiEEEE10hipError_tPvRmT1_T2_T3_mT4_P12ihipStream_tbEUlT_E0_NS1_11comp_targetILNS1_3genE0ELNS1_11target_archE4294967295ELNS1_3gpuE0ELNS1_3repE0EEENS1_30default_config_static_selectorELNS0_4arch9wavefront6targetE1EEEvSF_.has_indirect_call, 0
	.section	.AMDGPU.csdata,"",@progbits
; Kernel info:
; codeLenInByte = 0
; TotalNumSgprs: 4
; NumVgprs: 0
; ScratchSize: 0
; MemoryBound: 0
; FloatMode: 240
; IeeeMode: 1
; LDSByteSize: 0 bytes/workgroup (compile time only)
; SGPRBlocks: 0
; VGPRBlocks: 0
; NumSGPRsForWavesPerEU: 4
; NumVGPRsForWavesPerEU: 1
; Occupancy: 10
; WaveLimiterHint : 0
; COMPUTE_PGM_RSRC2:SCRATCH_EN: 0
; COMPUTE_PGM_RSRC2:USER_SGPR: 6
; COMPUTE_PGM_RSRC2:TRAP_HANDLER: 0
; COMPUTE_PGM_RSRC2:TGID_X_EN: 1
; COMPUTE_PGM_RSRC2:TGID_Y_EN: 0
; COMPUTE_PGM_RSRC2:TGID_Z_EN: 0
; COMPUTE_PGM_RSRC2:TIDIG_COMP_CNT: 0
	.section	.text._ZN7rocprim17ROCPRIM_400000_NS6detail17trampoline_kernelINS0_14default_configENS1_22reduce_config_selectorIiEEZNS1_11reduce_implILb1ES3_PiS7_iN6thrust23THRUST_200600_302600_NS4plusIiEEEE10hipError_tPvRmT1_T2_T3_mT4_P12ihipStream_tbEUlT_E0_NS1_11comp_targetILNS1_3genE5ELNS1_11target_archE942ELNS1_3gpuE9ELNS1_3repE0EEENS1_30default_config_static_selectorELNS0_4arch9wavefront6targetE1EEEvSF_,"axG",@progbits,_ZN7rocprim17ROCPRIM_400000_NS6detail17trampoline_kernelINS0_14default_configENS1_22reduce_config_selectorIiEEZNS1_11reduce_implILb1ES3_PiS7_iN6thrust23THRUST_200600_302600_NS4plusIiEEEE10hipError_tPvRmT1_T2_T3_mT4_P12ihipStream_tbEUlT_E0_NS1_11comp_targetILNS1_3genE5ELNS1_11target_archE942ELNS1_3gpuE9ELNS1_3repE0EEENS1_30default_config_static_selectorELNS0_4arch9wavefront6targetE1EEEvSF_,comdat
	.protected	_ZN7rocprim17ROCPRIM_400000_NS6detail17trampoline_kernelINS0_14default_configENS1_22reduce_config_selectorIiEEZNS1_11reduce_implILb1ES3_PiS7_iN6thrust23THRUST_200600_302600_NS4plusIiEEEE10hipError_tPvRmT1_T2_T3_mT4_P12ihipStream_tbEUlT_E0_NS1_11comp_targetILNS1_3genE5ELNS1_11target_archE942ELNS1_3gpuE9ELNS1_3repE0EEENS1_30default_config_static_selectorELNS0_4arch9wavefront6targetE1EEEvSF_ ; -- Begin function _ZN7rocprim17ROCPRIM_400000_NS6detail17trampoline_kernelINS0_14default_configENS1_22reduce_config_selectorIiEEZNS1_11reduce_implILb1ES3_PiS7_iN6thrust23THRUST_200600_302600_NS4plusIiEEEE10hipError_tPvRmT1_T2_T3_mT4_P12ihipStream_tbEUlT_E0_NS1_11comp_targetILNS1_3genE5ELNS1_11target_archE942ELNS1_3gpuE9ELNS1_3repE0EEENS1_30default_config_static_selectorELNS0_4arch9wavefront6targetE1EEEvSF_
	.globl	_ZN7rocprim17ROCPRIM_400000_NS6detail17trampoline_kernelINS0_14default_configENS1_22reduce_config_selectorIiEEZNS1_11reduce_implILb1ES3_PiS7_iN6thrust23THRUST_200600_302600_NS4plusIiEEEE10hipError_tPvRmT1_T2_T3_mT4_P12ihipStream_tbEUlT_E0_NS1_11comp_targetILNS1_3genE5ELNS1_11target_archE942ELNS1_3gpuE9ELNS1_3repE0EEENS1_30default_config_static_selectorELNS0_4arch9wavefront6targetE1EEEvSF_
	.p2align	8
	.type	_ZN7rocprim17ROCPRIM_400000_NS6detail17trampoline_kernelINS0_14default_configENS1_22reduce_config_selectorIiEEZNS1_11reduce_implILb1ES3_PiS7_iN6thrust23THRUST_200600_302600_NS4plusIiEEEE10hipError_tPvRmT1_T2_T3_mT4_P12ihipStream_tbEUlT_E0_NS1_11comp_targetILNS1_3genE5ELNS1_11target_archE942ELNS1_3gpuE9ELNS1_3repE0EEENS1_30default_config_static_selectorELNS0_4arch9wavefront6targetE1EEEvSF_,@function
_ZN7rocprim17ROCPRIM_400000_NS6detail17trampoline_kernelINS0_14default_configENS1_22reduce_config_selectorIiEEZNS1_11reduce_implILb1ES3_PiS7_iN6thrust23THRUST_200600_302600_NS4plusIiEEEE10hipError_tPvRmT1_T2_T3_mT4_P12ihipStream_tbEUlT_E0_NS1_11comp_targetILNS1_3genE5ELNS1_11target_archE942ELNS1_3gpuE9ELNS1_3repE0EEENS1_30default_config_static_selectorELNS0_4arch9wavefront6targetE1EEEvSF_: ; @_ZN7rocprim17ROCPRIM_400000_NS6detail17trampoline_kernelINS0_14default_configENS1_22reduce_config_selectorIiEEZNS1_11reduce_implILb1ES3_PiS7_iN6thrust23THRUST_200600_302600_NS4plusIiEEEE10hipError_tPvRmT1_T2_T3_mT4_P12ihipStream_tbEUlT_E0_NS1_11comp_targetILNS1_3genE5ELNS1_11target_archE942ELNS1_3gpuE9ELNS1_3repE0EEENS1_30default_config_static_selectorELNS0_4arch9wavefront6targetE1EEEvSF_
; %bb.0:
	.section	.rodata,"a",@progbits
	.p2align	6, 0x0
	.amdhsa_kernel _ZN7rocprim17ROCPRIM_400000_NS6detail17trampoline_kernelINS0_14default_configENS1_22reduce_config_selectorIiEEZNS1_11reduce_implILb1ES3_PiS7_iN6thrust23THRUST_200600_302600_NS4plusIiEEEE10hipError_tPvRmT1_T2_T3_mT4_P12ihipStream_tbEUlT_E0_NS1_11comp_targetILNS1_3genE5ELNS1_11target_archE942ELNS1_3gpuE9ELNS1_3repE0EEENS1_30default_config_static_selectorELNS0_4arch9wavefront6targetE1EEEvSF_
		.amdhsa_group_segment_fixed_size 0
		.amdhsa_private_segment_fixed_size 0
		.amdhsa_kernarg_size 56
		.amdhsa_user_sgpr_count 6
		.amdhsa_user_sgpr_private_segment_buffer 1
		.amdhsa_user_sgpr_dispatch_ptr 0
		.amdhsa_user_sgpr_queue_ptr 0
		.amdhsa_user_sgpr_kernarg_segment_ptr 1
		.amdhsa_user_sgpr_dispatch_id 0
		.amdhsa_user_sgpr_flat_scratch_init 0
		.amdhsa_user_sgpr_private_segment_size 0
		.amdhsa_uses_dynamic_stack 0
		.amdhsa_system_sgpr_private_segment_wavefront_offset 0
		.amdhsa_system_sgpr_workgroup_id_x 1
		.amdhsa_system_sgpr_workgroup_id_y 0
		.amdhsa_system_sgpr_workgroup_id_z 0
		.amdhsa_system_sgpr_workgroup_info 0
		.amdhsa_system_vgpr_workitem_id 0
		.amdhsa_next_free_vgpr 1
		.amdhsa_next_free_sgpr 0
		.amdhsa_reserve_vcc 0
		.amdhsa_reserve_flat_scratch 0
		.amdhsa_float_round_mode_32 0
		.amdhsa_float_round_mode_16_64 0
		.amdhsa_float_denorm_mode_32 3
		.amdhsa_float_denorm_mode_16_64 3
		.amdhsa_dx10_clamp 1
		.amdhsa_ieee_mode 1
		.amdhsa_fp16_overflow 0
		.amdhsa_exception_fp_ieee_invalid_op 0
		.amdhsa_exception_fp_denorm_src 0
		.amdhsa_exception_fp_ieee_div_zero 0
		.amdhsa_exception_fp_ieee_overflow 0
		.amdhsa_exception_fp_ieee_underflow 0
		.amdhsa_exception_fp_ieee_inexact 0
		.amdhsa_exception_int_div_zero 0
	.end_amdhsa_kernel
	.section	.text._ZN7rocprim17ROCPRIM_400000_NS6detail17trampoline_kernelINS0_14default_configENS1_22reduce_config_selectorIiEEZNS1_11reduce_implILb1ES3_PiS7_iN6thrust23THRUST_200600_302600_NS4plusIiEEEE10hipError_tPvRmT1_T2_T3_mT4_P12ihipStream_tbEUlT_E0_NS1_11comp_targetILNS1_3genE5ELNS1_11target_archE942ELNS1_3gpuE9ELNS1_3repE0EEENS1_30default_config_static_selectorELNS0_4arch9wavefront6targetE1EEEvSF_,"axG",@progbits,_ZN7rocprim17ROCPRIM_400000_NS6detail17trampoline_kernelINS0_14default_configENS1_22reduce_config_selectorIiEEZNS1_11reduce_implILb1ES3_PiS7_iN6thrust23THRUST_200600_302600_NS4plusIiEEEE10hipError_tPvRmT1_T2_T3_mT4_P12ihipStream_tbEUlT_E0_NS1_11comp_targetILNS1_3genE5ELNS1_11target_archE942ELNS1_3gpuE9ELNS1_3repE0EEENS1_30default_config_static_selectorELNS0_4arch9wavefront6targetE1EEEvSF_,comdat
.Lfunc_end319:
	.size	_ZN7rocprim17ROCPRIM_400000_NS6detail17trampoline_kernelINS0_14default_configENS1_22reduce_config_selectorIiEEZNS1_11reduce_implILb1ES3_PiS7_iN6thrust23THRUST_200600_302600_NS4plusIiEEEE10hipError_tPvRmT1_T2_T3_mT4_P12ihipStream_tbEUlT_E0_NS1_11comp_targetILNS1_3genE5ELNS1_11target_archE942ELNS1_3gpuE9ELNS1_3repE0EEENS1_30default_config_static_selectorELNS0_4arch9wavefront6targetE1EEEvSF_, .Lfunc_end319-_ZN7rocprim17ROCPRIM_400000_NS6detail17trampoline_kernelINS0_14default_configENS1_22reduce_config_selectorIiEEZNS1_11reduce_implILb1ES3_PiS7_iN6thrust23THRUST_200600_302600_NS4plusIiEEEE10hipError_tPvRmT1_T2_T3_mT4_P12ihipStream_tbEUlT_E0_NS1_11comp_targetILNS1_3genE5ELNS1_11target_archE942ELNS1_3gpuE9ELNS1_3repE0EEENS1_30default_config_static_selectorELNS0_4arch9wavefront6targetE1EEEvSF_
                                        ; -- End function
	.set _ZN7rocprim17ROCPRIM_400000_NS6detail17trampoline_kernelINS0_14default_configENS1_22reduce_config_selectorIiEEZNS1_11reduce_implILb1ES3_PiS7_iN6thrust23THRUST_200600_302600_NS4plusIiEEEE10hipError_tPvRmT1_T2_T3_mT4_P12ihipStream_tbEUlT_E0_NS1_11comp_targetILNS1_3genE5ELNS1_11target_archE942ELNS1_3gpuE9ELNS1_3repE0EEENS1_30default_config_static_selectorELNS0_4arch9wavefront6targetE1EEEvSF_.num_vgpr, 0
	.set _ZN7rocprim17ROCPRIM_400000_NS6detail17trampoline_kernelINS0_14default_configENS1_22reduce_config_selectorIiEEZNS1_11reduce_implILb1ES3_PiS7_iN6thrust23THRUST_200600_302600_NS4plusIiEEEE10hipError_tPvRmT1_T2_T3_mT4_P12ihipStream_tbEUlT_E0_NS1_11comp_targetILNS1_3genE5ELNS1_11target_archE942ELNS1_3gpuE9ELNS1_3repE0EEENS1_30default_config_static_selectorELNS0_4arch9wavefront6targetE1EEEvSF_.num_agpr, 0
	.set _ZN7rocprim17ROCPRIM_400000_NS6detail17trampoline_kernelINS0_14default_configENS1_22reduce_config_selectorIiEEZNS1_11reduce_implILb1ES3_PiS7_iN6thrust23THRUST_200600_302600_NS4plusIiEEEE10hipError_tPvRmT1_T2_T3_mT4_P12ihipStream_tbEUlT_E0_NS1_11comp_targetILNS1_3genE5ELNS1_11target_archE942ELNS1_3gpuE9ELNS1_3repE0EEENS1_30default_config_static_selectorELNS0_4arch9wavefront6targetE1EEEvSF_.numbered_sgpr, 0
	.set _ZN7rocprim17ROCPRIM_400000_NS6detail17trampoline_kernelINS0_14default_configENS1_22reduce_config_selectorIiEEZNS1_11reduce_implILb1ES3_PiS7_iN6thrust23THRUST_200600_302600_NS4plusIiEEEE10hipError_tPvRmT1_T2_T3_mT4_P12ihipStream_tbEUlT_E0_NS1_11comp_targetILNS1_3genE5ELNS1_11target_archE942ELNS1_3gpuE9ELNS1_3repE0EEENS1_30default_config_static_selectorELNS0_4arch9wavefront6targetE1EEEvSF_.num_named_barrier, 0
	.set _ZN7rocprim17ROCPRIM_400000_NS6detail17trampoline_kernelINS0_14default_configENS1_22reduce_config_selectorIiEEZNS1_11reduce_implILb1ES3_PiS7_iN6thrust23THRUST_200600_302600_NS4plusIiEEEE10hipError_tPvRmT1_T2_T3_mT4_P12ihipStream_tbEUlT_E0_NS1_11comp_targetILNS1_3genE5ELNS1_11target_archE942ELNS1_3gpuE9ELNS1_3repE0EEENS1_30default_config_static_selectorELNS0_4arch9wavefront6targetE1EEEvSF_.private_seg_size, 0
	.set _ZN7rocprim17ROCPRIM_400000_NS6detail17trampoline_kernelINS0_14default_configENS1_22reduce_config_selectorIiEEZNS1_11reduce_implILb1ES3_PiS7_iN6thrust23THRUST_200600_302600_NS4plusIiEEEE10hipError_tPvRmT1_T2_T3_mT4_P12ihipStream_tbEUlT_E0_NS1_11comp_targetILNS1_3genE5ELNS1_11target_archE942ELNS1_3gpuE9ELNS1_3repE0EEENS1_30default_config_static_selectorELNS0_4arch9wavefront6targetE1EEEvSF_.uses_vcc, 0
	.set _ZN7rocprim17ROCPRIM_400000_NS6detail17trampoline_kernelINS0_14default_configENS1_22reduce_config_selectorIiEEZNS1_11reduce_implILb1ES3_PiS7_iN6thrust23THRUST_200600_302600_NS4plusIiEEEE10hipError_tPvRmT1_T2_T3_mT4_P12ihipStream_tbEUlT_E0_NS1_11comp_targetILNS1_3genE5ELNS1_11target_archE942ELNS1_3gpuE9ELNS1_3repE0EEENS1_30default_config_static_selectorELNS0_4arch9wavefront6targetE1EEEvSF_.uses_flat_scratch, 0
	.set _ZN7rocprim17ROCPRIM_400000_NS6detail17trampoline_kernelINS0_14default_configENS1_22reduce_config_selectorIiEEZNS1_11reduce_implILb1ES3_PiS7_iN6thrust23THRUST_200600_302600_NS4plusIiEEEE10hipError_tPvRmT1_T2_T3_mT4_P12ihipStream_tbEUlT_E0_NS1_11comp_targetILNS1_3genE5ELNS1_11target_archE942ELNS1_3gpuE9ELNS1_3repE0EEENS1_30default_config_static_selectorELNS0_4arch9wavefront6targetE1EEEvSF_.has_dyn_sized_stack, 0
	.set _ZN7rocprim17ROCPRIM_400000_NS6detail17trampoline_kernelINS0_14default_configENS1_22reduce_config_selectorIiEEZNS1_11reduce_implILb1ES3_PiS7_iN6thrust23THRUST_200600_302600_NS4plusIiEEEE10hipError_tPvRmT1_T2_T3_mT4_P12ihipStream_tbEUlT_E0_NS1_11comp_targetILNS1_3genE5ELNS1_11target_archE942ELNS1_3gpuE9ELNS1_3repE0EEENS1_30default_config_static_selectorELNS0_4arch9wavefront6targetE1EEEvSF_.has_recursion, 0
	.set _ZN7rocprim17ROCPRIM_400000_NS6detail17trampoline_kernelINS0_14default_configENS1_22reduce_config_selectorIiEEZNS1_11reduce_implILb1ES3_PiS7_iN6thrust23THRUST_200600_302600_NS4plusIiEEEE10hipError_tPvRmT1_T2_T3_mT4_P12ihipStream_tbEUlT_E0_NS1_11comp_targetILNS1_3genE5ELNS1_11target_archE942ELNS1_3gpuE9ELNS1_3repE0EEENS1_30default_config_static_selectorELNS0_4arch9wavefront6targetE1EEEvSF_.has_indirect_call, 0
	.section	.AMDGPU.csdata,"",@progbits
; Kernel info:
; codeLenInByte = 0
; TotalNumSgprs: 4
; NumVgprs: 0
; ScratchSize: 0
; MemoryBound: 0
; FloatMode: 240
; IeeeMode: 1
; LDSByteSize: 0 bytes/workgroup (compile time only)
; SGPRBlocks: 0
; VGPRBlocks: 0
; NumSGPRsForWavesPerEU: 4
; NumVGPRsForWavesPerEU: 1
; Occupancy: 10
; WaveLimiterHint : 0
; COMPUTE_PGM_RSRC2:SCRATCH_EN: 0
; COMPUTE_PGM_RSRC2:USER_SGPR: 6
; COMPUTE_PGM_RSRC2:TRAP_HANDLER: 0
; COMPUTE_PGM_RSRC2:TGID_X_EN: 1
; COMPUTE_PGM_RSRC2:TGID_Y_EN: 0
; COMPUTE_PGM_RSRC2:TGID_Z_EN: 0
; COMPUTE_PGM_RSRC2:TIDIG_COMP_CNT: 0
	.section	.text._ZN7rocprim17ROCPRIM_400000_NS6detail17trampoline_kernelINS0_14default_configENS1_22reduce_config_selectorIiEEZNS1_11reduce_implILb1ES3_PiS7_iN6thrust23THRUST_200600_302600_NS4plusIiEEEE10hipError_tPvRmT1_T2_T3_mT4_P12ihipStream_tbEUlT_E0_NS1_11comp_targetILNS1_3genE4ELNS1_11target_archE910ELNS1_3gpuE8ELNS1_3repE0EEENS1_30default_config_static_selectorELNS0_4arch9wavefront6targetE1EEEvSF_,"axG",@progbits,_ZN7rocprim17ROCPRIM_400000_NS6detail17trampoline_kernelINS0_14default_configENS1_22reduce_config_selectorIiEEZNS1_11reduce_implILb1ES3_PiS7_iN6thrust23THRUST_200600_302600_NS4plusIiEEEE10hipError_tPvRmT1_T2_T3_mT4_P12ihipStream_tbEUlT_E0_NS1_11comp_targetILNS1_3genE4ELNS1_11target_archE910ELNS1_3gpuE8ELNS1_3repE0EEENS1_30default_config_static_selectorELNS0_4arch9wavefront6targetE1EEEvSF_,comdat
	.protected	_ZN7rocprim17ROCPRIM_400000_NS6detail17trampoline_kernelINS0_14default_configENS1_22reduce_config_selectorIiEEZNS1_11reduce_implILb1ES3_PiS7_iN6thrust23THRUST_200600_302600_NS4plusIiEEEE10hipError_tPvRmT1_T2_T3_mT4_P12ihipStream_tbEUlT_E0_NS1_11comp_targetILNS1_3genE4ELNS1_11target_archE910ELNS1_3gpuE8ELNS1_3repE0EEENS1_30default_config_static_selectorELNS0_4arch9wavefront6targetE1EEEvSF_ ; -- Begin function _ZN7rocprim17ROCPRIM_400000_NS6detail17trampoline_kernelINS0_14default_configENS1_22reduce_config_selectorIiEEZNS1_11reduce_implILb1ES3_PiS7_iN6thrust23THRUST_200600_302600_NS4plusIiEEEE10hipError_tPvRmT1_T2_T3_mT4_P12ihipStream_tbEUlT_E0_NS1_11comp_targetILNS1_3genE4ELNS1_11target_archE910ELNS1_3gpuE8ELNS1_3repE0EEENS1_30default_config_static_selectorELNS0_4arch9wavefront6targetE1EEEvSF_
	.globl	_ZN7rocprim17ROCPRIM_400000_NS6detail17trampoline_kernelINS0_14default_configENS1_22reduce_config_selectorIiEEZNS1_11reduce_implILb1ES3_PiS7_iN6thrust23THRUST_200600_302600_NS4plusIiEEEE10hipError_tPvRmT1_T2_T3_mT4_P12ihipStream_tbEUlT_E0_NS1_11comp_targetILNS1_3genE4ELNS1_11target_archE910ELNS1_3gpuE8ELNS1_3repE0EEENS1_30default_config_static_selectorELNS0_4arch9wavefront6targetE1EEEvSF_
	.p2align	8
	.type	_ZN7rocprim17ROCPRIM_400000_NS6detail17trampoline_kernelINS0_14default_configENS1_22reduce_config_selectorIiEEZNS1_11reduce_implILb1ES3_PiS7_iN6thrust23THRUST_200600_302600_NS4plusIiEEEE10hipError_tPvRmT1_T2_T3_mT4_P12ihipStream_tbEUlT_E0_NS1_11comp_targetILNS1_3genE4ELNS1_11target_archE910ELNS1_3gpuE8ELNS1_3repE0EEENS1_30default_config_static_selectorELNS0_4arch9wavefront6targetE1EEEvSF_,@function
_ZN7rocprim17ROCPRIM_400000_NS6detail17trampoline_kernelINS0_14default_configENS1_22reduce_config_selectorIiEEZNS1_11reduce_implILb1ES3_PiS7_iN6thrust23THRUST_200600_302600_NS4plusIiEEEE10hipError_tPvRmT1_T2_T3_mT4_P12ihipStream_tbEUlT_E0_NS1_11comp_targetILNS1_3genE4ELNS1_11target_archE910ELNS1_3gpuE8ELNS1_3repE0EEENS1_30default_config_static_selectorELNS0_4arch9wavefront6targetE1EEEvSF_: ; @_ZN7rocprim17ROCPRIM_400000_NS6detail17trampoline_kernelINS0_14default_configENS1_22reduce_config_selectorIiEEZNS1_11reduce_implILb1ES3_PiS7_iN6thrust23THRUST_200600_302600_NS4plusIiEEEE10hipError_tPvRmT1_T2_T3_mT4_P12ihipStream_tbEUlT_E0_NS1_11comp_targetILNS1_3genE4ELNS1_11target_archE910ELNS1_3gpuE8ELNS1_3repE0EEENS1_30default_config_static_selectorELNS0_4arch9wavefront6targetE1EEEvSF_
; %bb.0:
	.section	.rodata,"a",@progbits
	.p2align	6, 0x0
	.amdhsa_kernel _ZN7rocprim17ROCPRIM_400000_NS6detail17trampoline_kernelINS0_14default_configENS1_22reduce_config_selectorIiEEZNS1_11reduce_implILb1ES3_PiS7_iN6thrust23THRUST_200600_302600_NS4plusIiEEEE10hipError_tPvRmT1_T2_T3_mT4_P12ihipStream_tbEUlT_E0_NS1_11comp_targetILNS1_3genE4ELNS1_11target_archE910ELNS1_3gpuE8ELNS1_3repE0EEENS1_30default_config_static_selectorELNS0_4arch9wavefront6targetE1EEEvSF_
		.amdhsa_group_segment_fixed_size 0
		.amdhsa_private_segment_fixed_size 0
		.amdhsa_kernarg_size 56
		.amdhsa_user_sgpr_count 6
		.amdhsa_user_sgpr_private_segment_buffer 1
		.amdhsa_user_sgpr_dispatch_ptr 0
		.amdhsa_user_sgpr_queue_ptr 0
		.amdhsa_user_sgpr_kernarg_segment_ptr 1
		.amdhsa_user_sgpr_dispatch_id 0
		.amdhsa_user_sgpr_flat_scratch_init 0
		.amdhsa_user_sgpr_private_segment_size 0
		.amdhsa_uses_dynamic_stack 0
		.amdhsa_system_sgpr_private_segment_wavefront_offset 0
		.amdhsa_system_sgpr_workgroup_id_x 1
		.amdhsa_system_sgpr_workgroup_id_y 0
		.amdhsa_system_sgpr_workgroup_id_z 0
		.amdhsa_system_sgpr_workgroup_info 0
		.amdhsa_system_vgpr_workitem_id 0
		.amdhsa_next_free_vgpr 1
		.amdhsa_next_free_sgpr 0
		.amdhsa_reserve_vcc 0
		.amdhsa_reserve_flat_scratch 0
		.amdhsa_float_round_mode_32 0
		.amdhsa_float_round_mode_16_64 0
		.amdhsa_float_denorm_mode_32 3
		.amdhsa_float_denorm_mode_16_64 3
		.amdhsa_dx10_clamp 1
		.amdhsa_ieee_mode 1
		.amdhsa_fp16_overflow 0
		.amdhsa_exception_fp_ieee_invalid_op 0
		.amdhsa_exception_fp_denorm_src 0
		.amdhsa_exception_fp_ieee_div_zero 0
		.amdhsa_exception_fp_ieee_overflow 0
		.amdhsa_exception_fp_ieee_underflow 0
		.amdhsa_exception_fp_ieee_inexact 0
		.amdhsa_exception_int_div_zero 0
	.end_amdhsa_kernel
	.section	.text._ZN7rocprim17ROCPRIM_400000_NS6detail17trampoline_kernelINS0_14default_configENS1_22reduce_config_selectorIiEEZNS1_11reduce_implILb1ES3_PiS7_iN6thrust23THRUST_200600_302600_NS4plusIiEEEE10hipError_tPvRmT1_T2_T3_mT4_P12ihipStream_tbEUlT_E0_NS1_11comp_targetILNS1_3genE4ELNS1_11target_archE910ELNS1_3gpuE8ELNS1_3repE0EEENS1_30default_config_static_selectorELNS0_4arch9wavefront6targetE1EEEvSF_,"axG",@progbits,_ZN7rocprim17ROCPRIM_400000_NS6detail17trampoline_kernelINS0_14default_configENS1_22reduce_config_selectorIiEEZNS1_11reduce_implILb1ES3_PiS7_iN6thrust23THRUST_200600_302600_NS4plusIiEEEE10hipError_tPvRmT1_T2_T3_mT4_P12ihipStream_tbEUlT_E0_NS1_11comp_targetILNS1_3genE4ELNS1_11target_archE910ELNS1_3gpuE8ELNS1_3repE0EEENS1_30default_config_static_selectorELNS0_4arch9wavefront6targetE1EEEvSF_,comdat
.Lfunc_end320:
	.size	_ZN7rocprim17ROCPRIM_400000_NS6detail17trampoline_kernelINS0_14default_configENS1_22reduce_config_selectorIiEEZNS1_11reduce_implILb1ES3_PiS7_iN6thrust23THRUST_200600_302600_NS4plusIiEEEE10hipError_tPvRmT1_T2_T3_mT4_P12ihipStream_tbEUlT_E0_NS1_11comp_targetILNS1_3genE4ELNS1_11target_archE910ELNS1_3gpuE8ELNS1_3repE0EEENS1_30default_config_static_selectorELNS0_4arch9wavefront6targetE1EEEvSF_, .Lfunc_end320-_ZN7rocprim17ROCPRIM_400000_NS6detail17trampoline_kernelINS0_14default_configENS1_22reduce_config_selectorIiEEZNS1_11reduce_implILb1ES3_PiS7_iN6thrust23THRUST_200600_302600_NS4plusIiEEEE10hipError_tPvRmT1_T2_T3_mT4_P12ihipStream_tbEUlT_E0_NS1_11comp_targetILNS1_3genE4ELNS1_11target_archE910ELNS1_3gpuE8ELNS1_3repE0EEENS1_30default_config_static_selectorELNS0_4arch9wavefront6targetE1EEEvSF_
                                        ; -- End function
	.set _ZN7rocprim17ROCPRIM_400000_NS6detail17trampoline_kernelINS0_14default_configENS1_22reduce_config_selectorIiEEZNS1_11reduce_implILb1ES3_PiS7_iN6thrust23THRUST_200600_302600_NS4plusIiEEEE10hipError_tPvRmT1_T2_T3_mT4_P12ihipStream_tbEUlT_E0_NS1_11comp_targetILNS1_3genE4ELNS1_11target_archE910ELNS1_3gpuE8ELNS1_3repE0EEENS1_30default_config_static_selectorELNS0_4arch9wavefront6targetE1EEEvSF_.num_vgpr, 0
	.set _ZN7rocprim17ROCPRIM_400000_NS6detail17trampoline_kernelINS0_14default_configENS1_22reduce_config_selectorIiEEZNS1_11reduce_implILb1ES3_PiS7_iN6thrust23THRUST_200600_302600_NS4plusIiEEEE10hipError_tPvRmT1_T2_T3_mT4_P12ihipStream_tbEUlT_E0_NS1_11comp_targetILNS1_3genE4ELNS1_11target_archE910ELNS1_3gpuE8ELNS1_3repE0EEENS1_30default_config_static_selectorELNS0_4arch9wavefront6targetE1EEEvSF_.num_agpr, 0
	.set _ZN7rocprim17ROCPRIM_400000_NS6detail17trampoline_kernelINS0_14default_configENS1_22reduce_config_selectorIiEEZNS1_11reduce_implILb1ES3_PiS7_iN6thrust23THRUST_200600_302600_NS4plusIiEEEE10hipError_tPvRmT1_T2_T3_mT4_P12ihipStream_tbEUlT_E0_NS1_11comp_targetILNS1_3genE4ELNS1_11target_archE910ELNS1_3gpuE8ELNS1_3repE0EEENS1_30default_config_static_selectorELNS0_4arch9wavefront6targetE1EEEvSF_.numbered_sgpr, 0
	.set _ZN7rocprim17ROCPRIM_400000_NS6detail17trampoline_kernelINS0_14default_configENS1_22reduce_config_selectorIiEEZNS1_11reduce_implILb1ES3_PiS7_iN6thrust23THRUST_200600_302600_NS4plusIiEEEE10hipError_tPvRmT1_T2_T3_mT4_P12ihipStream_tbEUlT_E0_NS1_11comp_targetILNS1_3genE4ELNS1_11target_archE910ELNS1_3gpuE8ELNS1_3repE0EEENS1_30default_config_static_selectorELNS0_4arch9wavefront6targetE1EEEvSF_.num_named_barrier, 0
	.set _ZN7rocprim17ROCPRIM_400000_NS6detail17trampoline_kernelINS0_14default_configENS1_22reduce_config_selectorIiEEZNS1_11reduce_implILb1ES3_PiS7_iN6thrust23THRUST_200600_302600_NS4plusIiEEEE10hipError_tPvRmT1_T2_T3_mT4_P12ihipStream_tbEUlT_E0_NS1_11comp_targetILNS1_3genE4ELNS1_11target_archE910ELNS1_3gpuE8ELNS1_3repE0EEENS1_30default_config_static_selectorELNS0_4arch9wavefront6targetE1EEEvSF_.private_seg_size, 0
	.set _ZN7rocprim17ROCPRIM_400000_NS6detail17trampoline_kernelINS0_14default_configENS1_22reduce_config_selectorIiEEZNS1_11reduce_implILb1ES3_PiS7_iN6thrust23THRUST_200600_302600_NS4plusIiEEEE10hipError_tPvRmT1_T2_T3_mT4_P12ihipStream_tbEUlT_E0_NS1_11comp_targetILNS1_3genE4ELNS1_11target_archE910ELNS1_3gpuE8ELNS1_3repE0EEENS1_30default_config_static_selectorELNS0_4arch9wavefront6targetE1EEEvSF_.uses_vcc, 0
	.set _ZN7rocprim17ROCPRIM_400000_NS6detail17trampoline_kernelINS0_14default_configENS1_22reduce_config_selectorIiEEZNS1_11reduce_implILb1ES3_PiS7_iN6thrust23THRUST_200600_302600_NS4plusIiEEEE10hipError_tPvRmT1_T2_T3_mT4_P12ihipStream_tbEUlT_E0_NS1_11comp_targetILNS1_3genE4ELNS1_11target_archE910ELNS1_3gpuE8ELNS1_3repE0EEENS1_30default_config_static_selectorELNS0_4arch9wavefront6targetE1EEEvSF_.uses_flat_scratch, 0
	.set _ZN7rocprim17ROCPRIM_400000_NS6detail17trampoline_kernelINS0_14default_configENS1_22reduce_config_selectorIiEEZNS1_11reduce_implILb1ES3_PiS7_iN6thrust23THRUST_200600_302600_NS4plusIiEEEE10hipError_tPvRmT1_T2_T3_mT4_P12ihipStream_tbEUlT_E0_NS1_11comp_targetILNS1_3genE4ELNS1_11target_archE910ELNS1_3gpuE8ELNS1_3repE0EEENS1_30default_config_static_selectorELNS0_4arch9wavefront6targetE1EEEvSF_.has_dyn_sized_stack, 0
	.set _ZN7rocprim17ROCPRIM_400000_NS6detail17trampoline_kernelINS0_14default_configENS1_22reduce_config_selectorIiEEZNS1_11reduce_implILb1ES3_PiS7_iN6thrust23THRUST_200600_302600_NS4plusIiEEEE10hipError_tPvRmT1_T2_T3_mT4_P12ihipStream_tbEUlT_E0_NS1_11comp_targetILNS1_3genE4ELNS1_11target_archE910ELNS1_3gpuE8ELNS1_3repE0EEENS1_30default_config_static_selectorELNS0_4arch9wavefront6targetE1EEEvSF_.has_recursion, 0
	.set _ZN7rocprim17ROCPRIM_400000_NS6detail17trampoline_kernelINS0_14default_configENS1_22reduce_config_selectorIiEEZNS1_11reduce_implILb1ES3_PiS7_iN6thrust23THRUST_200600_302600_NS4plusIiEEEE10hipError_tPvRmT1_T2_T3_mT4_P12ihipStream_tbEUlT_E0_NS1_11comp_targetILNS1_3genE4ELNS1_11target_archE910ELNS1_3gpuE8ELNS1_3repE0EEENS1_30default_config_static_selectorELNS0_4arch9wavefront6targetE1EEEvSF_.has_indirect_call, 0
	.section	.AMDGPU.csdata,"",@progbits
; Kernel info:
; codeLenInByte = 0
; TotalNumSgprs: 4
; NumVgprs: 0
; ScratchSize: 0
; MemoryBound: 0
; FloatMode: 240
; IeeeMode: 1
; LDSByteSize: 0 bytes/workgroup (compile time only)
; SGPRBlocks: 0
; VGPRBlocks: 0
; NumSGPRsForWavesPerEU: 4
; NumVGPRsForWavesPerEU: 1
; Occupancy: 10
; WaveLimiterHint : 0
; COMPUTE_PGM_RSRC2:SCRATCH_EN: 0
; COMPUTE_PGM_RSRC2:USER_SGPR: 6
; COMPUTE_PGM_RSRC2:TRAP_HANDLER: 0
; COMPUTE_PGM_RSRC2:TGID_X_EN: 1
; COMPUTE_PGM_RSRC2:TGID_Y_EN: 0
; COMPUTE_PGM_RSRC2:TGID_Z_EN: 0
; COMPUTE_PGM_RSRC2:TIDIG_COMP_CNT: 0
	.section	.text._ZN7rocprim17ROCPRIM_400000_NS6detail17trampoline_kernelINS0_14default_configENS1_22reduce_config_selectorIiEEZNS1_11reduce_implILb1ES3_PiS7_iN6thrust23THRUST_200600_302600_NS4plusIiEEEE10hipError_tPvRmT1_T2_T3_mT4_P12ihipStream_tbEUlT_E0_NS1_11comp_targetILNS1_3genE3ELNS1_11target_archE908ELNS1_3gpuE7ELNS1_3repE0EEENS1_30default_config_static_selectorELNS0_4arch9wavefront6targetE1EEEvSF_,"axG",@progbits,_ZN7rocprim17ROCPRIM_400000_NS6detail17trampoline_kernelINS0_14default_configENS1_22reduce_config_selectorIiEEZNS1_11reduce_implILb1ES3_PiS7_iN6thrust23THRUST_200600_302600_NS4plusIiEEEE10hipError_tPvRmT1_T2_T3_mT4_P12ihipStream_tbEUlT_E0_NS1_11comp_targetILNS1_3genE3ELNS1_11target_archE908ELNS1_3gpuE7ELNS1_3repE0EEENS1_30default_config_static_selectorELNS0_4arch9wavefront6targetE1EEEvSF_,comdat
	.protected	_ZN7rocprim17ROCPRIM_400000_NS6detail17trampoline_kernelINS0_14default_configENS1_22reduce_config_selectorIiEEZNS1_11reduce_implILb1ES3_PiS7_iN6thrust23THRUST_200600_302600_NS4plusIiEEEE10hipError_tPvRmT1_T2_T3_mT4_P12ihipStream_tbEUlT_E0_NS1_11comp_targetILNS1_3genE3ELNS1_11target_archE908ELNS1_3gpuE7ELNS1_3repE0EEENS1_30default_config_static_selectorELNS0_4arch9wavefront6targetE1EEEvSF_ ; -- Begin function _ZN7rocprim17ROCPRIM_400000_NS6detail17trampoline_kernelINS0_14default_configENS1_22reduce_config_selectorIiEEZNS1_11reduce_implILb1ES3_PiS7_iN6thrust23THRUST_200600_302600_NS4plusIiEEEE10hipError_tPvRmT1_T2_T3_mT4_P12ihipStream_tbEUlT_E0_NS1_11comp_targetILNS1_3genE3ELNS1_11target_archE908ELNS1_3gpuE7ELNS1_3repE0EEENS1_30default_config_static_selectorELNS0_4arch9wavefront6targetE1EEEvSF_
	.globl	_ZN7rocprim17ROCPRIM_400000_NS6detail17trampoline_kernelINS0_14default_configENS1_22reduce_config_selectorIiEEZNS1_11reduce_implILb1ES3_PiS7_iN6thrust23THRUST_200600_302600_NS4plusIiEEEE10hipError_tPvRmT1_T2_T3_mT4_P12ihipStream_tbEUlT_E0_NS1_11comp_targetILNS1_3genE3ELNS1_11target_archE908ELNS1_3gpuE7ELNS1_3repE0EEENS1_30default_config_static_selectorELNS0_4arch9wavefront6targetE1EEEvSF_
	.p2align	8
	.type	_ZN7rocprim17ROCPRIM_400000_NS6detail17trampoline_kernelINS0_14default_configENS1_22reduce_config_selectorIiEEZNS1_11reduce_implILb1ES3_PiS7_iN6thrust23THRUST_200600_302600_NS4plusIiEEEE10hipError_tPvRmT1_T2_T3_mT4_P12ihipStream_tbEUlT_E0_NS1_11comp_targetILNS1_3genE3ELNS1_11target_archE908ELNS1_3gpuE7ELNS1_3repE0EEENS1_30default_config_static_selectorELNS0_4arch9wavefront6targetE1EEEvSF_,@function
_ZN7rocprim17ROCPRIM_400000_NS6detail17trampoline_kernelINS0_14default_configENS1_22reduce_config_selectorIiEEZNS1_11reduce_implILb1ES3_PiS7_iN6thrust23THRUST_200600_302600_NS4plusIiEEEE10hipError_tPvRmT1_T2_T3_mT4_P12ihipStream_tbEUlT_E0_NS1_11comp_targetILNS1_3genE3ELNS1_11target_archE908ELNS1_3gpuE7ELNS1_3repE0EEENS1_30default_config_static_selectorELNS0_4arch9wavefront6targetE1EEEvSF_: ; @_ZN7rocprim17ROCPRIM_400000_NS6detail17trampoline_kernelINS0_14default_configENS1_22reduce_config_selectorIiEEZNS1_11reduce_implILb1ES3_PiS7_iN6thrust23THRUST_200600_302600_NS4plusIiEEEE10hipError_tPvRmT1_T2_T3_mT4_P12ihipStream_tbEUlT_E0_NS1_11comp_targetILNS1_3genE3ELNS1_11target_archE908ELNS1_3gpuE7ELNS1_3repE0EEENS1_30default_config_static_selectorELNS0_4arch9wavefront6targetE1EEEvSF_
; %bb.0:
	.section	.rodata,"a",@progbits
	.p2align	6, 0x0
	.amdhsa_kernel _ZN7rocprim17ROCPRIM_400000_NS6detail17trampoline_kernelINS0_14default_configENS1_22reduce_config_selectorIiEEZNS1_11reduce_implILb1ES3_PiS7_iN6thrust23THRUST_200600_302600_NS4plusIiEEEE10hipError_tPvRmT1_T2_T3_mT4_P12ihipStream_tbEUlT_E0_NS1_11comp_targetILNS1_3genE3ELNS1_11target_archE908ELNS1_3gpuE7ELNS1_3repE0EEENS1_30default_config_static_selectorELNS0_4arch9wavefront6targetE1EEEvSF_
		.amdhsa_group_segment_fixed_size 0
		.amdhsa_private_segment_fixed_size 0
		.amdhsa_kernarg_size 56
		.amdhsa_user_sgpr_count 6
		.amdhsa_user_sgpr_private_segment_buffer 1
		.amdhsa_user_sgpr_dispatch_ptr 0
		.amdhsa_user_sgpr_queue_ptr 0
		.amdhsa_user_sgpr_kernarg_segment_ptr 1
		.amdhsa_user_sgpr_dispatch_id 0
		.amdhsa_user_sgpr_flat_scratch_init 0
		.amdhsa_user_sgpr_private_segment_size 0
		.amdhsa_uses_dynamic_stack 0
		.amdhsa_system_sgpr_private_segment_wavefront_offset 0
		.amdhsa_system_sgpr_workgroup_id_x 1
		.amdhsa_system_sgpr_workgroup_id_y 0
		.amdhsa_system_sgpr_workgroup_id_z 0
		.amdhsa_system_sgpr_workgroup_info 0
		.amdhsa_system_vgpr_workitem_id 0
		.amdhsa_next_free_vgpr 1
		.amdhsa_next_free_sgpr 0
		.amdhsa_reserve_vcc 0
		.amdhsa_reserve_flat_scratch 0
		.amdhsa_float_round_mode_32 0
		.amdhsa_float_round_mode_16_64 0
		.amdhsa_float_denorm_mode_32 3
		.amdhsa_float_denorm_mode_16_64 3
		.amdhsa_dx10_clamp 1
		.amdhsa_ieee_mode 1
		.amdhsa_fp16_overflow 0
		.amdhsa_exception_fp_ieee_invalid_op 0
		.amdhsa_exception_fp_denorm_src 0
		.amdhsa_exception_fp_ieee_div_zero 0
		.amdhsa_exception_fp_ieee_overflow 0
		.amdhsa_exception_fp_ieee_underflow 0
		.amdhsa_exception_fp_ieee_inexact 0
		.amdhsa_exception_int_div_zero 0
	.end_amdhsa_kernel
	.section	.text._ZN7rocprim17ROCPRIM_400000_NS6detail17trampoline_kernelINS0_14default_configENS1_22reduce_config_selectorIiEEZNS1_11reduce_implILb1ES3_PiS7_iN6thrust23THRUST_200600_302600_NS4plusIiEEEE10hipError_tPvRmT1_T2_T3_mT4_P12ihipStream_tbEUlT_E0_NS1_11comp_targetILNS1_3genE3ELNS1_11target_archE908ELNS1_3gpuE7ELNS1_3repE0EEENS1_30default_config_static_selectorELNS0_4arch9wavefront6targetE1EEEvSF_,"axG",@progbits,_ZN7rocprim17ROCPRIM_400000_NS6detail17trampoline_kernelINS0_14default_configENS1_22reduce_config_selectorIiEEZNS1_11reduce_implILb1ES3_PiS7_iN6thrust23THRUST_200600_302600_NS4plusIiEEEE10hipError_tPvRmT1_T2_T3_mT4_P12ihipStream_tbEUlT_E0_NS1_11comp_targetILNS1_3genE3ELNS1_11target_archE908ELNS1_3gpuE7ELNS1_3repE0EEENS1_30default_config_static_selectorELNS0_4arch9wavefront6targetE1EEEvSF_,comdat
.Lfunc_end321:
	.size	_ZN7rocprim17ROCPRIM_400000_NS6detail17trampoline_kernelINS0_14default_configENS1_22reduce_config_selectorIiEEZNS1_11reduce_implILb1ES3_PiS7_iN6thrust23THRUST_200600_302600_NS4plusIiEEEE10hipError_tPvRmT1_T2_T3_mT4_P12ihipStream_tbEUlT_E0_NS1_11comp_targetILNS1_3genE3ELNS1_11target_archE908ELNS1_3gpuE7ELNS1_3repE0EEENS1_30default_config_static_selectorELNS0_4arch9wavefront6targetE1EEEvSF_, .Lfunc_end321-_ZN7rocprim17ROCPRIM_400000_NS6detail17trampoline_kernelINS0_14default_configENS1_22reduce_config_selectorIiEEZNS1_11reduce_implILb1ES3_PiS7_iN6thrust23THRUST_200600_302600_NS4plusIiEEEE10hipError_tPvRmT1_T2_T3_mT4_P12ihipStream_tbEUlT_E0_NS1_11comp_targetILNS1_3genE3ELNS1_11target_archE908ELNS1_3gpuE7ELNS1_3repE0EEENS1_30default_config_static_selectorELNS0_4arch9wavefront6targetE1EEEvSF_
                                        ; -- End function
	.set _ZN7rocprim17ROCPRIM_400000_NS6detail17trampoline_kernelINS0_14default_configENS1_22reduce_config_selectorIiEEZNS1_11reduce_implILb1ES3_PiS7_iN6thrust23THRUST_200600_302600_NS4plusIiEEEE10hipError_tPvRmT1_T2_T3_mT4_P12ihipStream_tbEUlT_E0_NS1_11comp_targetILNS1_3genE3ELNS1_11target_archE908ELNS1_3gpuE7ELNS1_3repE0EEENS1_30default_config_static_selectorELNS0_4arch9wavefront6targetE1EEEvSF_.num_vgpr, 0
	.set _ZN7rocprim17ROCPRIM_400000_NS6detail17trampoline_kernelINS0_14default_configENS1_22reduce_config_selectorIiEEZNS1_11reduce_implILb1ES3_PiS7_iN6thrust23THRUST_200600_302600_NS4plusIiEEEE10hipError_tPvRmT1_T2_T3_mT4_P12ihipStream_tbEUlT_E0_NS1_11comp_targetILNS1_3genE3ELNS1_11target_archE908ELNS1_3gpuE7ELNS1_3repE0EEENS1_30default_config_static_selectorELNS0_4arch9wavefront6targetE1EEEvSF_.num_agpr, 0
	.set _ZN7rocprim17ROCPRIM_400000_NS6detail17trampoline_kernelINS0_14default_configENS1_22reduce_config_selectorIiEEZNS1_11reduce_implILb1ES3_PiS7_iN6thrust23THRUST_200600_302600_NS4plusIiEEEE10hipError_tPvRmT1_T2_T3_mT4_P12ihipStream_tbEUlT_E0_NS1_11comp_targetILNS1_3genE3ELNS1_11target_archE908ELNS1_3gpuE7ELNS1_3repE0EEENS1_30default_config_static_selectorELNS0_4arch9wavefront6targetE1EEEvSF_.numbered_sgpr, 0
	.set _ZN7rocprim17ROCPRIM_400000_NS6detail17trampoline_kernelINS0_14default_configENS1_22reduce_config_selectorIiEEZNS1_11reduce_implILb1ES3_PiS7_iN6thrust23THRUST_200600_302600_NS4plusIiEEEE10hipError_tPvRmT1_T2_T3_mT4_P12ihipStream_tbEUlT_E0_NS1_11comp_targetILNS1_3genE3ELNS1_11target_archE908ELNS1_3gpuE7ELNS1_3repE0EEENS1_30default_config_static_selectorELNS0_4arch9wavefront6targetE1EEEvSF_.num_named_barrier, 0
	.set _ZN7rocprim17ROCPRIM_400000_NS6detail17trampoline_kernelINS0_14default_configENS1_22reduce_config_selectorIiEEZNS1_11reduce_implILb1ES3_PiS7_iN6thrust23THRUST_200600_302600_NS4plusIiEEEE10hipError_tPvRmT1_T2_T3_mT4_P12ihipStream_tbEUlT_E0_NS1_11comp_targetILNS1_3genE3ELNS1_11target_archE908ELNS1_3gpuE7ELNS1_3repE0EEENS1_30default_config_static_selectorELNS0_4arch9wavefront6targetE1EEEvSF_.private_seg_size, 0
	.set _ZN7rocprim17ROCPRIM_400000_NS6detail17trampoline_kernelINS0_14default_configENS1_22reduce_config_selectorIiEEZNS1_11reduce_implILb1ES3_PiS7_iN6thrust23THRUST_200600_302600_NS4plusIiEEEE10hipError_tPvRmT1_T2_T3_mT4_P12ihipStream_tbEUlT_E0_NS1_11comp_targetILNS1_3genE3ELNS1_11target_archE908ELNS1_3gpuE7ELNS1_3repE0EEENS1_30default_config_static_selectorELNS0_4arch9wavefront6targetE1EEEvSF_.uses_vcc, 0
	.set _ZN7rocprim17ROCPRIM_400000_NS6detail17trampoline_kernelINS0_14default_configENS1_22reduce_config_selectorIiEEZNS1_11reduce_implILb1ES3_PiS7_iN6thrust23THRUST_200600_302600_NS4plusIiEEEE10hipError_tPvRmT1_T2_T3_mT4_P12ihipStream_tbEUlT_E0_NS1_11comp_targetILNS1_3genE3ELNS1_11target_archE908ELNS1_3gpuE7ELNS1_3repE0EEENS1_30default_config_static_selectorELNS0_4arch9wavefront6targetE1EEEvSF_.uses_flat_scratch, 0
	.set _ZN7rocprim17ROCPRIM_400000_NS6detail17trampoline_kernelINS0_14default_configENS1_22reduce_config_selectorIiEEZNS1_11reduce_implILb1ES3_PiS7_iN6thrust23THRUST_200600_302600_NS4plusIiEEEE10hipError_tPvRmT1_T2_T3_mT4_P12ihipStream_tbEUlT_E0_NS1_11comp_targetILNS1_3genE3ELNS1_11target_archE908ELNS1_3gpuE7ELNS1_3repE0EEENS1_30default_config_static_selectorELNS0_4arch9wavefront6targetE1EEEvSF_.has_dyn_sized_stack, 0
	.set _ZN7rocprim17ROCPRIM_400000_NS6detail17trampoline_kernelINS0_14default_configENS1_22reduce_config_selectorIiEEZNS1_11reduce_implILb1ES3_PiS7_iN6thrust23THRUST_200600_302600_NS4plusIiEEEE10hipError_tPvRmT1_T2_T3_mT4_P12ihipStream_tbEUlT_E0_NS1_11comp_targetILNS1_3genE3ELNS1_11target_archE908ELNS1_3gpuE7ELNS1_3repE0EEENS1_30default_config_static_selectorELNS0_4arch9wavefront6targetE1EEEvSF_.has_recursion, 0
	.set _ZN7rocprim17ROCPRIM_400000_NS6detail17trampoline_kernelINS0_14default_configENS1_22reduce_config_selectorIiEEZNS1_11reduce_implILb1ES3_PiS7_iN6thrust23THRUST_200600_302600_NS4plusIiEEEE10hipError_tPvRmT1_T2_T3_mT4_P12ihipStream_tbEUlT_E0_NS1_11comp_targetILNS1_3genE3ELNS1_11target_archE908ELNS1_3gpuE7ELNS1_3repE0EEENS1_30default_config_static_selectorELNS0_4arch9wavefront6targetE1EEEvSF_.has_indirect_call, 0
	.section	.AMDGPU.csdata,"",@progbits
; Kernel info:
; codeLenInByte = 0
; TotalNumSgprs: 4
; NumVgprs: 0
; ScratchSize: 0
; MemoryBound: 0
; FloatMode: 240
; IeeeMode: 1
; LDSByteSize: 0 bytes/workgroup (compile time only)
; SGPRBlocks: 0
; VGPRBlocks: 0
; NumSGPRsForWavesPerEU: 4
; NumVGPRsForWavesPerEU: 1
; Occupancy: 10
; WaveLimiterHint : 0
; COMPUTE_PGM_RSRC2:SCRATCH_EN: 0
; COMPUTE_PGM_RSRC2:USER_SGPR: 6
; COMPUTE_PGM_RSRC2:TRAP_HANDLER: 0
; COMPUTE_PGM_RSRC2:TGID_X_EN: 1
; COMPUTE_PGM_RSRC2:TGID_Y_EN: 0
; COMPUTE_PGM_RSRC2:TGID_Z_EN: 0
; COMPUTE_PGM_RSRC2:TIDIG_COMP_CNT: 0
	.section	.text._ZN7rocprim17ROCPRIM_400000_NS6detail17trampoline_kernelINS0_14default_configENS1_22reduce_config_selectorIiEEZNS1_11reduce_implILb1ES3_PiS7_iN6thrust23THRUST_200600_302600_NS4plusIiEEEE10hipError_tPvRmT1_T2_T3_mT4_P12ihipStream_tbEUlT_E0_NS1_11comp_targetILNS1_3genE2ELNS1_11target_archE906ELNS1_3gpuE6ELNS1_3repE0EEENS1_30default_config_static_selectorELNS0_4arch9wavefront6targetE1EEEvSF_,"axG",@progbits,_ZN7rocprim17ROCPRIM_400000_NS6detail17trampoline_kernelINS0_14default_configENS1_22reduce_config_selectorIiEEZNS1_11reduce_implILb1ES3_PiS7_iN6thrust23THRUST_200600_302600_NS4plusIiEEEE10hipError_tPvRmT1_T2_T3_mT4_P12ihipStream_tbEUlT_E0_NS1_11comp_targetILNS1_3genE2ELNS1_11target_archE906ELNS1_3gpuE6ELNS1_3repE0EEENS1_30default_config_static_selectorELNS0_4arch9wavefront6targetE1EEEvSF_,comdat
	.protected	_ZN7rocprim17ROCPRIM_400000_NS6detail17trampoline_kernelINS0_14default_configENS1_22reduce_config_selectorIiEEZNS1_11reduce_implILb1ES3_PiS7_iN6thrust23THRUST_200600_302600_NS4plusIiEEEE10hipError_tPvRmT1_T2_T3_mT4_P12ihipStream_tbEUlT_E0_NS1_11comp_targetILNS1_3genE2ELNS1_11target_archE906ELNS1_3gpuE6ELNS1_3repE0EEENS1_30default_config_static_selectorELNS0_4arch9wavefront6targetE1EEEvSF_ ; -- Begin function _ZN7rocprim17ROCPRIM_400000_NS6detail17trampoline_kernelINS0_14default_configENS1_22reduce_config_selectorIiEEZNS1_11reduce_implILb1ES3_PiS7_iN6thrust23THRUST_200600_302600_NS4plusIiEEEE10hipError_tPvRmT1_T2_T3_mT4_P12ihipStream_tbEUlT_E0_NS1_11comp_targetILNS1_3genE2ELNS1_11target_archE906ELNS1_3gpuE6ELNS1_3repE0EEENS1_30default_config_static_selectorELNS0_4arch9wavefront6targetE1EEEvSF_
	.globl	_ZN7rocprim17ROCPRIM_400000_NS6detail17trampoline_kernelINS0_14default_configENS1_22reduce_config_selectorIiEEZNS1_11reduce_implILb1ES3_PiS7_iN6thrust23THRUST_200600_302600_NS4plusIiEEEE10hipError_tPvRmT1_T2_T3_mT4_P12ihipStream_tbEUlT_E0_NS1_11comp_targetILNS1_3genE2ELNS1_11target_archE906ELNS1_3gpuE6ELNS1_3repE0EEENS1_30default_config_static_selectorELNS0_4arch9wavefront6targetE1EEEvSF_
	.p2align	8
	.type	_ZN7rocprim17ROCPRIM_400000_NS6detail17trampoline_kernelINS0_14default_configENS1_22reduce_config_selectorIiEEZNS1_11reduce_implILb1ES3_PiS7_iN6thrust23THRUST_200600_302600_NS4plusIiEEEE10hipError_tPvRmT1_T2_T3_mT4_P12ihipStream_tbEUlT_E0_NS1_11comp_targetILNS1_3genE2ELNS1_11target_archE906ELNS1_3gpuE6ELNS1_3repE0EEENS1_30default_config_static_selectorELNS0_4arch9wavefront6targetE1EEEvSF_,@function
_ZN7rocprim17ROCPRIM_400000_NS6detail17trampoline_kernelINS0_14default_configENS1_22reduce_config_selectorIiEEZNS1_11reduce_implILb1ES3_PiS7_iN6thrust23THRUST_200600_302600_NS4plusIiEEEE10hipError_tPvRmT1_T2_T3_mT4_P12ihipStream_tbEUlT_E0_NS1_11comp_targetILNS1_3genE2ELNS1_11target_archE906ELNS1_3gpuE6ELNS1_3repE0EEENS1_30default_config_static_selectorELNS0_4arch9wavefront6targetE1EEEvSF_: ; @_ZN7rocprim17ROCPRIM_400000_NS6detail17trampoline_kernelINS0_14default_configENS1_22reduce_config_selectorIiEEZNS1_11reduce_implILb1ES3_PiS7_iN6thrust23THRUST_200600_302600_NS4plusIiEEEE10hipError_tPvRmT1_T2_T3_mT4_P12ihipStream_tbEUlT_E0_NS1_11comp_targetILNS1_3genE2ELNS1_11target_archE906ELNS1_3gpuE6ELNS1_3repE0EEENS1_30default_config_static_selectorELNS0_4arch9wavefront6targetE1EEEvSF_
; %bb.0:
	s_load_dwordx8 s[8:15], s[4:5], 0x0
	s_load_dwordx4 s[16:19], s[4:5], 0x20
	v_lshlrev_b32_e32 v6, 2, v0
	v_mbcnt_lo_u32_b32 v5, -1, 0
	s_waitcnt lgkmcnt(0)
	s_lshl_b64 s[0:1], s[10:11], 2
	s_add_u32 s10, s8, s0
	s_addc_u32 s11, s9, s1
	s_lshl_b32 s0, s6, 10
	s_mov_b32 s1, 0
	s_lshr_b64 s[2:3], s[12:13], 10
	s_lshl_b64 s[8:9], s[0:1], 2
	s_add_u32 s8, s10, s8
	s_mov_b32 s7, s1
	s_addc_u32 s9, s11, s9
	s_cmp_lg_u64 s[2:3], s[6:7]
	s_cbranch_scc0 .LBB322_6
; %bb.1:
	global_load_dword v1, v6, s[8:9]
	global_load_dword v4, v6, s[8:9] offset:1024
	global_load_dword v7, v6, s[8:9] offset:2048
	;; [unrolled: 1-line block ×3, first 2 shown]
	v_mbcnt_hi_u32_b32 v2, -1, v5
	v_lshlrev_b32_e32 v3, 2, v2
	v_cmp_eq_u32_e32 vcc, 0, v2
	s_waitcnt vmcnt(2)
	v_add_u32_e32 v1, v4, v1
	v_or_b32_e32 v4, 0xfc, v3
	s_waitcnt vmcnt(0)
	v_add3_u32 v1, v1, v7, v8
	s_nop 1
	v_add_u32_dpp v1, v1, v1 quad_perm:[1,0,3,2] row_mask:0xf bank_mask:0xf bound_ctrl:1
	s_nop 1
	v_add_u32_dpp v1, v1, v1 quad_perm:[2,3,0,1] row_mask:0xf bank_mask:0xf bound_ctrl:1
	s_nop 1
	v_add_u32_dpp v1, v1, v1 row_ror:4 row_mask:0xf bank_mask:0xf bound_ctrl:1
	s_nop 1
	v_add_u32_dpp v1, v1, v1 row_ror:8 row_mask:0xf bank_mask:0xf bound_ctrl:1
	s_nop 1
	v_add_u32_dpp v1, v1, v1 row_bcast:15 row_mask:0xf bank_mask:0xf bound_ctrl:1
	s_nop 1
	v_add_u32_dpp v1, v1, v1 row_bcast:31 row_mask:0xf bank_mask:0xf bound_ctrl:1
	ds_bpermute_b32 v1, v4, v1
	s_and_saveexec_b64 s[2:3], vcc
	s_cbranch_execz .LBB322_3
; %bb.2:
	v_lshrrev_b32_e32 v4, 4, v0
	v_and_b32_e32 v4, 12, v4
	s_waitcnt lgkmcnt(0)
	ds_write_b32 v4, v1
.LBB322_3:
	s_or_b64 exec, exec, s[2:3]
	v_cmp_gt_u32_e32 vcc, 64, v0
	s_waitcnt lgkmcnt(0)
	s_barrier
	s_and_saveexec_b64 s[2:3], vcc
	s_cbranch_execz .LBB322_5
; %bb.4:
	v_and_b32_e32 v1, 3, v2
	v_lshlrev_b32_e32 v4, 2, v1
	ds_read_b32 v4, v4
	v_cmp_ne_u32_e32 vcc, 3, v1
	v_addc_co_u32_e32 v1, vcc, 0, v2, vcc
	v_lshlrev_b32_e32 v1, 2, v1
	s_waitcnt lgkmcnt(0)
	ds_bpermute_b32 v1, v1, v4
	v_or_b32_e32 v2, 8, v3
	s_waitcnt lgkmcnt(0)
	v_add_u32_e32 v1, v1, v4
	ds_bpermute_b32 v2, v2, v1
	s_waitcnt lgkmcnt(0)
	v_add_u32_e32 v1, v2, v1
.LBB322_5:
	s_or_b64 exec, exec, s[2:3]
	s_load_dword s10, s[4:5], 0x30
	s_branch .LBB322_20
.LBB322_6:
                                        ; implicit-def: $vgpr1
	s_load_dword s10, s[4:5], 0x30
	s_cbranch_execz .LBB322_20
; %bb.7:
	s_sub_i32 s11, s12, s0
	v_mov_b32_e32 v1, 0
	v_cmp_gt_u32_e32 vcc, s11, v0
	v_mov_b32_e32 v2, v1
	v_mov_b32_e32 v3, v1
	v_mov_b32_e32 v4, v1
	s_and_saveexec_b64 s[0:1], vcc
	s_cbranch_execz .LBB322_9
; %bb.8:
	global_load_dword v7, v6, s[8:9]
	v_mov_b32_e32 v8, v1
	v_mov_b32_e32 v9, v1
	;; [unrolled: 1-line block ×3, first 2 shown]
	s_waitcnt vmcnt(0)
	v_mov_b32_e32 v1, v7
	v_mov_b32_e32 v2, v8
	;; [unrolled: 1-line block ×4, first 2 shown]
.LBB322_9:
	s_or_b64 exec, exec, s[0:1]
	v_or_b32_e32 v7, 0x100, v0
	v_cmp_gt_u32_e32 vcc, s11, v7
	s_and_saveexec_b64 s[0:1], vcc
	s_cbranch_execz .LBB322_11
; %bb.10:
	global_load_dword v2, v6, s[8:9] offset:1024
.LBB322_11:
	s_or_b64 exec, exec, s[0:1]
	v_or_b32_e32 v7, 0x200, v0
	v_cmp_gt_u32_e64 s[0:1], s11, v7
	s_and_saveexec_b64 s[2:3], s[0:1]
	s_cbranch_execz .LBB322_13
; %bb.12:
	global_load_dword v3, v6, s[8:9] offset:2048
.LBB322_13:
	s_or_b64 exec, exec, s[2:3]
	v_or_b32_e32 v7, 0x300, v0
	v_cmp_gt_u32_e64 s[2:3], s11, v7
	s_and_saveexec_b64 s[4:5], s[2:3]
	s_cbranch_execz .LBB322_15
; %bb.14:
	global_load_dword v4, v6, s[8:9] offset:3072
.LBB322_15:
	s_or_b64 exec, exec, s[4:5]
	s_waitcnt vmcnt(0)
	v_cndmask_b32_e32 v2, 0, v2, vcc
	v_add_u32_e32 v1, v2, v1
	v_cndmask_b32_e64 v2, 0, v3, s[0:1]
	v_cndmask_b32_e64 v3, 0, v4, s[2:3]
	v_add3_u32 v1, v1, v2, v3
	v_mbcnt_hi_u32_b32 v2, -1, v5
	v_and_b32_e32 v4, 63, v2
	v_cmp_ne_u32_e32 vcc, 63, v4
	v_addc_co_u32_e32 v3, vcc, 0, v2, vcc
	v_lshlrev_b32_e32 v3, 2, v3
	ds_bpermute_b32 v3, v3, v1
	s_min_u32 s2, s11, 0x100
	v_and_b32_e32 v5, 0xc0, v0
	v_sub_u32_e64 v5, s2, v5 clamp
	v_add_u32_e32 v6, 1, v4
	v_cmp_lt_u32_e32 vcc, v6, v5
	s_waitcnt lgkmcnt(0)
	v_cndmask_b32_e32 v3, 0, v3, vcc
	v_cmp_gt_u32_e32 vcc, 62, v4
	v_add_u32_e32 v1, v3, v1
	v_cndmask_b32_e64 v3, 0, 2, vcc
	v_add_lshl_u32 v3, v3, v2, 2
	ds_bpermute_b32 v3, v3, v1
	v_add_u32_e32 v6, 2, v4
	v_cmp_lt_u32_e32 vcc, v6, v5
	v_add_u32_e32 v6, 4, v4
	s_waitcnt lgkmcnt(0)
	v_cndmask_b32_e32 v3, 0, v3, vcc
	v_cmp_gt_u32_e32 vcc, 60, v4
	v_add_u32_e32 v1, v1, v3
	v_cndmask_b32_e64 v3, 0, 4, vcc
	v_add_lshl_u32 v3, v3, v2, 2
	ds_bpermute_b32 v3, v3, v1
	v_cmp_lt_u32_e32 vcc, v6, v5
	v_add_u32_e32 v6, 8, v4
	s_waitcnt lgkmcnt(0)
	v_cndmask_b32_e32 v3, 0, v3, vcc
	v_cmp_gt_u32_e32 vcc, 56, v4
	v_add_u32_e32 v1, v1, v3
	v_cndmask_b32_e64 v3, 0, 8, vcc
	v_add_lshl_u32 v3, v3, v2, 2
	ds_bpermute_b32 v3, v3, v1
	;; [unrolled: 9-line block ×3, first 2 shown]
	v_cmp_lt_u32_e32 vcc, v6, v5
	v_add_u32_e32 v4, 32, v4
	s_waitcnt lgkmcnt(0)
	v_cndmask_b32_e32 v3, 0, v3, vcc
	v_add_u32_e32 v1, v1, v3
	v_lshlrev_b32_e32 v3, 2, v2
	v_or_b32_e32 v6, 0x80, v3
	ds_bpermute_b32 v6, v6, v1
	v_cmp_lt_u32_e32 vcc, v4, v5
	s_waitcnt lgkmcnt(0)
	v_cndmask_b32_e32 v4, 0, v6, vcc
	v_add_u32_e32 v1, v1, v4
	v_cmp_eq_u32_e32 vcc, 0, v2
	s_and_saveexec_b64 s[0:1], vcc
; %bb.16:
	v_lshrrev_b32_e32 v4, 4, v0
	v_and_b32_e32 v4, 12, v4
	ds_write_b32 v4, v1 offset:16
; %bb.17:
	s_or_b64 exec, exec, s[0:1]
	v_cmp_gt_u32_e32 vcc, 4, v0
	s_waitcnt lgkmcnt(0)
	s_barrier
	s_and_saveexec_b64 s[0:1], vcc
	s_cbranch_execz .LBB322_19
; %bb.18:
	ds_read_b32 v1, v3 offset:16
	v_and_b32_e32 v4, 3, v2
	v_cmp_ne_u32_e32 vcc, 3, v4
	v_addc_co_u32_e32 v2, vcc, 0, v2, vcc
	v_lshlrev_b32_e32 v2, 2, v2
	s_waitcnt lgkmcnt(0)
	ds_bpermute_b32 v2, v2, v1
	s_add_i32 s2, s2, 63
	s_lshr_b32 s2, s2, 6
	v_add_u32_e32 v5, 1, v4
	v_cmp_gt_u32_e32 vcc, s2, v5
	s_waitcnt lgkmcnt(0)
	v_cndmask_b32_e32 v2, 0, v2, vcc
	v_add_u32_e32 v1, v2, v1
	v_or_b32_e32 v2, 8, v3
	ds_bpermute_b32 v2, v2, v1
	v_add_u32_e32 v3, 2, v4
	v_cmp_gt_u32_e32 vcc, s2, v3
	s_waitcnt lgkmcnt(0)
	v_cndmask_b32_e32 v2, 0, v2, vcc
	v_add_u32_e32 v1, v1, v2
.LBB322_19:
	s_or_b64 exec, exec, s[0:1]
.LBB322_20:
	v_cmp_eq_u32_e32 vcc, 0, v0
	s_and_saveexec_b64 s[0:1], vcc
	s_cbranch_execnz .LBB322_22
; %bb.21:
	s_endpgm
.LBB322_22:
	s_mul_i32 s0, s18, s17
	s_mul_hi_u32 s1, s18, s16
	s_add_i32 s0, s1, s0
	s_mul_i32 s1, s19, s16
	s_add_i32 s1, s0, s1
	s_mul_i32 s0, s18, s16
	s_lshl_b64 s[0:1], s[0:1], 2
	s_add_u32 s2, s14, s0
	s_addc_u32 s3, s15, s1
	s_cmp_eq_u64 s[12:13], 0
	s_cselect_b64 vcc, -1, 0
	s_lshl_b64 s[0:1], s[6:7], 2
	s_waitcnt lgkmcnt(0)
	v_mov_b32_e32 v0, s10
	s_add_u32 s0, s2, s0
	v_cndmask_b32_e32 v0, v1, v0, vcc
	s_addc_u32 s1, s3, s1
	v_mov_b32_e32 v1, 0
	global_store_dword v1, v0, s[0:1]
	s_endpgm
	.section	.rodata,"a",@progbits
	.p2align	6, 0x0
	.amdhsa_kernel _ZN7rocprim17ROCPRIM_400000_NS6detail17trampoline_kernelINS0_14default_configENS1_22reduce_config_selectorIiEEZNS1_11reduce_implILb1ES3_PiS7_iN6thrust23THRUST_200600_302600_NS4plusIiEEEE10hipError_tPvRmT1_T2_T3_mT4_P12ihipStream_tbEUlT_E0_NS1_11comp_targetILNS1_3genE2ELNS1_11target_archE906ELNS1_3gpuE6ELNS1_3repE0EEENS1_30default_config_static_selectorELNS0_4arch9wavefront6targetE1EEEvSF_
		.amdhsa_group_segment_fixed_size 32
		.amdhsa_private_segment_fixed_size 0
		.amdhsa_kernarg_size 56
		.amdhsa_user_sgpr_count 6
		.amdhsa_user_sgpr_private_segment_buffer 1
		.amdhsa_user_sgpr_dispatch_ptr 0
		.amdhsa_user_sgpr_queue_ptr 0
		.amdhsa_user_sgpr_kernarg_segment_ptr 1
		.amdhsa_user_sgpr_dispatch_id 0
		.amdhsa_user_sgpr_flat_scratch_init 0
		.amdhsa_user_sgpr_private_segment_size 0
		.amdhsa_uses_dynamic_stack 0
		.amdhsa_system_sgpr_private_segment_wavefront_offset 0
		.amdhsa_system_sgpr_workgroup_id_x 1
		.amdhsa_system_sgpr_workgroup_id_y 0
		.amdhsa_system_sgpr_workgroup_id_z 0
		.amdhsa_system_sgpr_workgroup_info 0
		.amdhsa_system_vgpr_workitem_id 0
		.amdhsa_next_free_vgpr 11
		.amdhsa_next_free_sgpr 20
		.amdhsa_reserve_vcc 1
		.amdhsa_reserve_flat_scratch 0
		.amdhsa_float_round_mode_32 0
		.amdhsa_float_round_mode_16_64 0
		.amdhsa_float_denorm_mode_32 3
		.amdhsa_float_denorm_mode_16_64 3
		.amdhsa_dx10_clamp 1
		.amdhsa_ieee_mode 1
		.amdhsa_fp16_overflow 0
		.amdhsa_exception_fp_ieee_invalid_op 0
		.amdhsa_exception_fp_denorm_src 0
		.amdhsa_exception_fp_ieee_div_zero 0
		.amdhsa_exception_fp_ieee_overflow 0
		.amdhsa_exception_fp_ieee_underflow 0
		.amdhsa_exception_fp_ieee_inexact 0
		.amdhsa_exception_int_div_zero 0
	.end_amdhsa_kernel
	.section	.text._ZN7rocprim17ROCPRIM_400000_NS6detail17trampoline_kernelINS0_14default_configENS1_22reduce_config_selectorIiEEZNS1_11reduce_implILb1ES3_PiS7_iN6thrust23THRUST_200600_302600_NS4plusIiEEEE10hipError_tPvRmT1_T2_T3_mT4_P12ihipStream_tbEUlT_E0_NS1_11comp_targetILNS1_3genE2ELNS1_11target_archE906ELNS1_3gpuE6ELNS1_3repE0EEENS1_30default_config_static_selectorELNS0_4arch9wavefront6targetE1EEEvSF_,"axG",@progbits,_ZN7rocprim17ROCPRIM_400000_NS6detail17trampoline_kernelINS0_14default_configENS1_22reduce_config_selectorIiEEZNS1_11reduce_implILb1ES3_PiS7_iN6thrust23THRUST_200600_302600_NS4plusIiEEEE10hipError_tPvRmT1_T2_T3_mT4_P12ihipStream_tbEUlT_E0_NS1_11comp_targetILNS1_3genE2ELNS1_11target_archE906ELNS1_3gpuE6ELNS1_3repE0EEENS1_30default_config_static_selectorELNS0_4arch9wavefront6targetE1EEEvSF_,comdat
.Lfunc_end322:
	.size	_ZN7rocprim17ROCPRIM_400000_NS6detail17trampoline_kernelINS0_14default_configENS1_22reduce_config_selectorIiEEZNS1_11reduce_implILb1ES3_PiS7_iN6thrust23THRUST_200600_302600_NS4plusIiEEEE10hipError_tPvRmT1_T2_T3_mT4_P12ihipStream_tbEUlT_E0_NS1_11comp_targetILNS1_3genE2ELNS1_11target_archE906ELNS1_3gpuE6ELNS1_3repE0EEENS1_30default_config_static_selectorELNS0_4arch9wavefront6targetE1EEEvSF_, .Lfunc_end322-_ZN7rocprim17ROCPRIM_400000_NS6detail17trampoline_kernelINS0_14default_configENS1_22reduce_config_selectorIiEEZNS1_11reduce_implILb1ES3_PiS7_iN6thrust23THRUST_200600_302600_NS4plusIiEEEE10hipError_tPvRmT1_T2_T3_mT4_P12ihipStream_tbEUlT_E0_NS1_11comp_targetILNS1_3genE2ELNS1_11target_archE906ELNS1_3gpuE6ELNS1_3repE0EEENS1_30default_config_static_selectorELNS0_4arch9wavefront6targetE1EEEvSF_
                                        ; -- End function
	.set _ZN7rocprim17ROCPRIM_400000_NS6detail17trampoline_kernelINS0_14default_configENS1_22reduce_config_selectorIiEEZNS1_11reduce_implILb1ES3_PiS7_iN6thrust23THRUST_200600_302600_NS4plusIiEEEE10hipError_tPvRmT1_T2_T3_mT4_P12ihipStream_tbEUlT_E0_NS1_11comp_targetILNS1_3genE2ELNS1_11target_archE906ELNS1_3gpuE6ELNS1_3repE0EEENS1_30default_config_static_selectorELNS0_4arch9wavefront6targetE1EEEvSF_.num_vgpr, 11
	.set _ZN7rocprim17ROCPRIM_400000_NS6detail17trampoline_kernelINS0_14default_configENS1_22reduce_config_selectorIiEEZNS1_11reduce_implILb1ES3_PiS7_iN6thrust23THRUST_200600_302600_NS4plusIiEEEE10hipError_tPvRmT1_T2_T3_mT4_P12ihipStream_tbEUlT_E0_NS1_11comp_targetILNS1_3genE2ELNS1_11target_archE906ELNS1_3gpuE6ELNS1_3repE0EEENS1_30default_config_static_selectorELNS0_4arch9wavefront6targetE1EEEvSF_.num_agpr, 0
	.set _ZN7rocprim17ROCPRIM_400000_NS6detail17trampoline_kernelINS0_14default_configENS1_22reduce_config_selectorIiEEZNS1_11reduce_implILb1ES3_PiS7_iN6thrust23THRUST_200600_302600_NS4plusIiEEEE10hipError_tPvRmT1_T2_T3_mT4_P12ihipStream_tbEUlT_E0_NS1_11comp_targetILNS1_3genE2ELNS1_11target_archE906ELNS1_3gpuE6ELNS1_3repE0EEENS1_30default_config_static_selectorELNS0_4arch9wavefront6targetE1EEEvSF_.numbered_sgpr, 20
	.set _ZN7rocprim17ROCPRIM_400000_NS6detail17trampoline_kernelINS0_14default_configENS1_22reduce_config_selectorIiEEZNS1_11reduce_implILb1ES3_PiS7_iN6thrust23THRUST_200600_302600_NS4plusIiEEEE10hipError_tPvRmT1_T2_T3_mT4_P12ihipStream_tbEUlT_E0_NS1_11comp_targetILNS1_3genE2ELNS1_11target_archE906ELNS1_3gpuE6ELNS1_3repE0EEENS1_30default_config_static_selectorELNS0_4arch9wavefront6targetE1EEEvSF_.num_named_barrier, 0
	.set _ZN7rocprim17ROCPRIM_400000_NS6detail17trampoline_kernelINS0_14default_configENS1_22reduce_config_selectorIiEEZNS1_11reduce_implILb1ES3_PiS7_iN6thrust23THRUST_200600_302600_NS4plusIiEEEE10hipError_tPvRmT1_T2_T3_mT4_P12ihipStream_tbEUlT_E0_NS1_11comp_targetILNS1_3genE2ELNS1_11target_archE906ELNS1_3gpuE6ELNS1_3repE0EEENS1_30default_config_static_selectorELNS0_4arch9wavefront6targetE1EEEvSF_.private_seg_size, 0
	.set _ZN7rocprim17ROCPRIM_400000_NS6detail17trampoline_kernelINS0_14default_configENS1_22reduce_config_selectorIiEEZNS1_11reduce_implILb1ES3_PiS7_iN6thrust23THRUST_200600_302600_NS4plusIiEEEE10hipError_tPvRmT1_T2_T3_mT4_P12ihipStream_tbEUlT_E0_NS1_11comp_targetILNS1_3genE2ELNS1_11target_archE906ELNS1_3gpuE6ELNS1_3repE0EEENS1_30default_config_static_selectorELNS0_4arch9wavefront6targetE1EEEvSF_.uses_vcc, 1
	.set _ZN7rocprim17ROCPRIM_400000_NS6detail17trampoline_kernelINS0_14default_configENS1_22reduce_config_selectorIiEEZNS1_11reduce_implILb1ES3_PiS7_iN6thrust23THRUST_200600_302600_NS4plusIiEEEE10hipError_tPvRmT1_T2_T3_mT4_P12ihipStream_tbEUlT_E0_NS1_11comp_targetILNS1_3genE2ELNS1_11target_archE906ELNS1_3gpuE6ELNS1_3repE0EEENS1_30default_config_static_selectorELNS0_4arch9wavefront6targetE1EEEvSF_.uses_flat_scratch, 0
	.set _ZN7rocprim17ROCPRIM_400000_NS6detail17trampoline_kernelINS0_14default_configENS1_22reduce_config_selectorIiEEZNS1_11reduce_implILb1ES3_PiS7_iN6thrust23THRUST_200600_302600_NS4plusIiEEEE10hipError_tPvRmT1_T2_T3_mT4_P12ihipStream_tbEUlT_E0_NS1_11comp_targetILNS1_3genE2ELNS1_11target_archE906ELNS1_3gpuE6ELNS1_3repE0EEENS1_30default_config_static_selectorELNS0_4arch9wavefront6targetE1EEEvSF_.has_dyn_sized_stack, 0
	.set _ZN7rocprim17ROCPRIM_400000_NS6detail17trampoline_kernelINS0_14default_configENS1_22reduce_config_selectorIiEEZNS1_11reduce_implILb1ES3_PiS7_iN6thrust23THRUST_200600_302600_NS4plusIiEEEE10hipError_tPvRmT1_T2_T3_mT4_P12ihipStream_tbEUlT_E0_NS1_11comp_targetILNS1_3genE2ELNS1_11target_archE906ELNS1_3gpuE6ELNS1_3repE0EEENS1_30default_config_static_selectorELNS0_4arch9wavefront6targetE1EEEvSF_.has_recursion, 0
	.set _ZN7rocprim17ROCPRIM_400000_NS6detail17trampoline_kernelINS0_14default_configENS1_22reduce_config_selectorIiEEZNS1_11reduce_implILb1ES3_PiS7_iN6thrust23THRUST_200600_302600_NS4plusIiEEEE10hipError_tPvRmT1_T2_T3_mT4_P12ihipStream_tbEUlT_E0_NS1_11comp_targetILNS1_3genE2ELNS1_11target_archE906ELNS1_3gpuE6ELNS1_3repE0EEENS1_30default_config_static_selectorELNS0_4arch9wavefront6targetE1EEEvSF_.has_indirect_call, 0
	.section	.AMDGPU.csdata,"",@progbits
; Kernel info:
; codeLenInByte = 1156
; TotalNumSgprs: 24
; NumVgprs: 11
; ScratchSize: 0
; MemoryBound: 0
; FloatMode: 240
; IeeeMode: 1
; LDSByteSize: 32 bytes/workgroup (compile time only)
; SGPRBlocks: 2
; VGPRBlocks: 2
; NumSGPRsForWavesPerEU: 24
; NumVGPRsForWavesPerEU: 11
; Occupancy: 10
; WaveLimiterHint : 1
; COMPUTE_PGM_RSRC2:SCRATCH_EN: 0
; COMPUTE_PGM_RSRC2:USER_SGPR: 6
; COMPUTE_PGM_RSRC2:TRAP_HANDLER: 0
; COMPUTE_PGM_RSRC2:TGID_X_EN: 1
; COMPUTE_PGM_RSRC2:TGID_Y_EN: 0
; COMPUTE_PGM_RSRC2:TGID_Z_EN: 0
; COMPUTE_PGM_RSRC2:TIDIG_COMP_CNT: 0
	.section	.text._ZN7rocprim17ROCPRIM_400000_NS6detail17trampoline_kernelINS0_14default_configENS1_22reduce_config_selectorIiEEZNS1_11reduce_implILb1ES3_PiS7_iN6thrust23THRUST_200600_302600_NS4plusIiEEEE10hipError_tPvRmT1_T2_T3_mT4_P12ihipStream_tbEUlT_E0_NS1_11comp_targetILNS1_3genE10ELNS1_11target_archE1201ELNS1_3gpuE5ELNS1_3repE0EEENS1_30default_config_static_selectorELNS0_4arch9wavefront6targetE1EEEvSF_,"axG",@progbits,_ZN7rocprim17ROCPRIM_400000_NS6detail17trampoline_kernelINS0_14default_configENS1_22reduce_config_selectorIiEEZNS1_11reduce_implILb1ES3_PiS7_iN6thrust23THRUST_200600_302600_NS4plusIiEEEE10hipError_tPvRmT1_T2_T3_mT4_P12ihipStream_tbEUlT_E0_NS1_11comp_targetILNS1_3genE10ELNS1_11target_archE1201ELNS1_3gpuE5ELNS1_3repE0EEENS1_30default_config_static_selectorELNS0_4arch9wavefront6targetE1EEEvSF_,comdat
	.protected	_ZN7rocprim17ROCPRIM_400000_NS6detail17trampoline_kernelINS0_14default_configENS1_22reduce_config_selectorIiEEZNS1_11reduce_implILb1ES3_PiS7_iN6thrust23THRUST_200600_302600_NS4plusIiEEEE10hipError_tPvRmT1_T2_T3_mT4_P12ihipStream_tbEUlT_E0_NS1_11comp_targetILNS1_3genE10ELNS1_11target_archE1201ELNS1_3gpuE5ELNS1_3repE0EEENS1_30default_config_static_selectorELNS0_4arch9wavefront6targetE1EEEvSF_ ; -- Begin function _ZN7rocprim17ROCPRIM_400000_NS6detail17trampoline_kernelINS0_14default_configENS1_22reduce_config_selectorIiEEZNS1_11reduce_implILb1ES3_PiS7_iN6thrust23THRUST_200600_302600_NS4plusIiEEEE10hipError_tPvRmT1_T2_T3_mT4_P12ihipStream_tbEUlT_E0_NS1_11comp_targetILNS1_3genE10ELNS1_11target_archE1201ELNS1_3gpuE5ELNS1_3repE0EEENS1_30default_config_static_selectorELNS0_4arch9wavefront6targetE1EEEvSF_
	.globl	_ZN7rocprim17ROCPRIM_400000_NS6detail17trampoline_kernelINS0_14default_configENS1_22reduce_config_selectorIiEEZNS1_11reduce_implILb1ES3_PiS7_iN6thrust23THRUST_200600_302600_NS4plusIiEEEE10hipError_tPvRmT1_T2_T3_mT4_P12ihipStream_tbEUlT_E0_NS1_11comp_targetILNS1_3genE10ELNS1_11target_archE1201ELNS1_3gpuE5ELNS1_3repE0EEENS1_30default_config_static_selectorELNS0_4arch9wavefront6targetE1EEEvSF_
	.p2align	8
	.type	_ZN7rocprim17ROCPRIM_400000_NS6detail17trampoline_kernelINS0_14default_configENS1_22reduce_config_selectorIiEEZNS1_11reduce_implILb1ES3_PiS7_iN6thrust23THRUST_200600_302600_NS4plusIiEEEE10hipError_tPvRmT1_T2_T3_mT4_P12ihipStream_tbEUlT_E0_NS1_11comp_targetILNS1_3genE10ELNS1_11target_archE1201ELNS1_3gpuE5ELNS1_3repE0EEENS1_30default_config_static_selectorELNS0_4arch9wavefront6targetE1EEEvSF_,@function
_ZN7rocprim17ROCPRIM_400000_NS6detail17trampoline_kernelINS0_14default_configENS1_22reduce_config_selectorIiEEZNS1_11reduce_implILb1ES3_PiS7_iN6thrust23THRUST_200600_302600_NS4plusIiEEEE10hipError_tPvRmT1_T2_T3_mT4_P12ihipStream_tbEUlT_E0_NS1_11comp_targetILNS1_3genE10ELNS1_11target_archE1201ELNS1_3gpuE5ELNS1_3repE0EEENS1_30default_config_static_selectorELNS0_4arch9wavefront6targetE1EEEvSF_: ; @_ZN7rocprim17ROCPRIM_400000_NS6detail17trampoline_kernelINS0_14default_configENS1_22reduce_config_selectorIiEEZNS1_11reduce_implILb1ES3_PiS7_iN6thrust23THRUST_200600_302600_NS4plusIiEEEE10hipError_tPvRmT1_T2_T3_mT4_P12ihipStream_tbEUlT_E0_NS1_11comp_targetILNS1_3genE10ELNS1_11target_archE1201ELNS1_3gpuE5ELNS1_3repE0EEENS1_30default_config_static_selectorELNS0_4arch9wavefront6targetE1EEEvSF_
; %bb.0:
	.section	.rodata,"a",@progbits
	.p2align	6, 0x0
	.amdhsa_kernel _ZN7rocprim17ROCPRIM_400000_NS6detail17trampoline_kernelINS0_14default_configENS1_22reduce_config_selectorIiEEZNS1_11reduce_implILb1ES3_PiS7_iN6thrust23THRUST_200600_302600_NS4plusIiEEEE10hipError_tPvRmT1_T2_T3_mT4_P12ihipStream_tbEUlT_E0_NS1_11comp_targetILNS1_3genE10ELNS1_11target_archE1201ELNS1_3gpuE5ELNS1_3repE0EEENS1_30default_config_static_selectorELNS0_4arch9wavefront6targetE1EEEvSF_
		.amdhsa_group_segment_fixed_size 0
		.amdhsa_private_segment_fixed_size 0
		.amdhsa_kernarg_size 56
		.amdhsa_user_sgpr_count 6
		.amdhsa_user_sgpr_private_segment_buffer 1
		.amdhsa_user_sgpr_dispatch_ptr 0
		.amdhsa_user_sgpr_queue_ptr 0
		.amdhsa_user_sgpr_kernarg_segment_ptr 1
		.amdhsa_user_sgpr_dispatch_id 0
		.amdhsa_user_sgpr_flat_scratch_init 0
		.amdhsa_user_sgpr_private_segment_size 0
		.amdhsa_uses_dynamic_stack 0
		.amdhsa_system_sgpr_private_segment_wavefront_offset 0
		.amdhsa_system_sgpr_workgroup_id_x 1
		.amdhsa_system_sgpr_workgroup_id_y 0
		.amdhsa_system_sgpr_workgroup_id_z 0
		.amdhsa_system_sgpr_workgroup_info 0
		.amdhsa_system_vgpr_workitem_id 0
		.amdhsa_next_free_vgpr 1
		.amdhsa_next_free_sgpr 0
		.amdhsa_reserve_vcc 0
		.amdhsa_reserve_flat_scratch 0
		.amdhsa_float_round_mode_32 0
		.amdhsa_float_round_mode_16_64 0
		.amdhsa_float_denorm_mode_32 3
		.amdhsa_float_denorm_mode_16_64 3
		.amdhsa_dx10_clamp 1
		.amdhsa_ieee_mode 1
		.amdhsa_fp16_overflow 0
		.amdhsa_exception_fp_ieee_invalid_op 0
		.amdhsa_exception_fp_denorm_src 0
		.amdhsa_exception_fp_ieee_div_zero 0
		.amdhsa_exception_fp_ieee_overflow 0
		.amdhsa_exception_fp_ieee_underflow 0
		.amdhsa_exception_fp_ieee_inexact 0
		.amdhsa_exception_int_div_zero 0
	.end_amdhsa_kernel
	.section	.text._ZN7rocprim17ROCPRIM_400000_NS6detail17trampoline_kernelINS0_14default_configENS1_22reduce_config_selectorIiEEZNS1_11reduce_implILb1ES3_PiS7_iN6thrust23THRUST_200600_302600_NS4plusIiEEEE10hipError_tPvRmT1_T2_T3_mT4_P12ihipStream_tbEUlT_E0_NS1_11comp_targetILNS1_3genE10ELNS1_11target_archE1201ELNS1_3gpuE5ELNS1_3repE0EEENS1_30default_config_static_selectorELNS0_4arch9wavefront6targetE1EEEvSF_,"axG",@progbits,_ZN7rocprim17ROCPRIM_400000_NS6detail17trampoline_kernelINS0_14default_configENS1_22reduce_config_selectorIiEEZNS1_11reduce_implILb1ES3_PiS7_iN6thrust23THRUST_200600_302600_NS4plusIiEEEE10hipError_tPvRmT1_T2_T3_mT4_P12ihipStream_tbEUlT_E0_NS1_11comp_targetILNS1_3genE10ELNS1_11target_archE1201ELNS1_3gpuE5ELNS1_3repE0EEENS1_30default_config_static_selectorELNS0_4arch9wavefront6targetE1EEEvSF_,comdat
.Lfunc_end323:
	.size	_ZN7rocprim17ROCPRIM_400000_NS6detail17trampoline_kernelINS0_14default_configENS1_22reduce_config_selectorIiEEZNS1_11reduce_implILb1ES3_PiS7_iN6thrust23THRUST_200600_302600_NS4plusIiEEEE10hipError_tPvRmT1_T2_T3_mT4_P12ihipStream_tbEUlT_E0_NS1_11comp_targetILNS1_3genE10ELNS1_11target_archE1201ELNS1_3gpuE5ELNS1_3repE0EEENS1_30default_config_static_selectorELNS0_4arch9wavefront6targetE1EEEvSF_, .Lfunc_end323-_ZN7rocprim17ROCPRIM_400000_NS6detail17trampoline_kernelINS0_14default_configENS1_22reduce_config_selectorIiEEZNS1_11reduce_implILb1ES3_PiS7_iN6thrust23THRUST_200600_302600_NS4plusIiEEEE10hipError_tPvRmT1_T2_T3_mT4_P12ihipStream_tbEUlT_E0_NS1_11comp_targetILNS1_3genE10ELNS1_11target_archE1201ELNS1_3gpuE5ELNS1_3repE0EEENS1_30default_config_static_selectorELNS0_4arch9wavefront6targetE1EEEvSF_
                                        ; -- End function
	.set _ZN7rocprim17ROCPRIM_400000_NS6detail17trampoline_kernelINS0_14default_configENS1_22reduce_config_selectorIiEEZNS1_11reduce_implILb1ES3_PiS7_iN6thrust23THRUST_200600_302600_NS4plusIiEEEE10hipError_tPvRmT1_T2_T3_mT4_P12ihipStream_tbEUlT_E0_NS1_11comp_targetILNS1_3genE10ELNS1_11target_archE1201ELNS1_3gpuE5ELNS1_3repE0EEENS1_30default_config_static_selectorELNS0_4arch9wavefront6targetE1EEEvSF_.num_vgpr, 0
	.set _ZN7rocprim17ROCPRIM_400000_NS6detail17trampoline_kernelINS0_14default_configENS1_22reduce_config_selectorIiEEZNS1_11reduce_implILb1ES3_PiS7_iN6thrust23THRUST_200600_302600_NS4plusIiEEEE10hipError_tPvRmT1_T2_T3_mT4_P12ihipStream_tbEUlT_E0_NS1_11comp_targetILNS1_3genE10ELNS1_11target_archE1201ELNS1_3gpuE5ELNS1_3repE0EEENS1_30default_config_static_selectorELNS0_4arch9wavefront6targetE1EEEvSF_.num_agpr, 0
	.set _ZN7rocprim17ROCPRIM_400000_NS6detail17trampoline_kernelINS0_14default_configENS1_22reduce_config_selectorIiEEZNS1_11reduce_implILb1ES3_PiS7_iN6thrust23THRUST_200600_302600_NS4plusIiEEEE10hipError_tPvRmT1_T2_T3_mT4_P12ihipStream_tbEUlT_E0_NS1_11comp_targetILNS1_3genE10ELNS1_11target_archE1201ELNS1_3gpuE5ELNS1_3repE0EEENS1_30default_config_static_selectorELNS0_4arch9wavefront6targetE1EEEvSF_.numbered_sgpr, 0
	.set _ZN7rocprim17ROCPRIM_400000_NS6detail17trampoline_kernelINS0_14default_configENS1_22reduce_config_selectorIiEEZNS1_11reduce_implILb1ES3_PiS7_iN6thrust23THRUST_200600_302600_NS4plusIiEEEE10hipError_tPvRmT1_T2_T3_mT4_P12ihipStream_tbEUlT_E0_NS1_11comp_targetILNS1_3genE10ELNS1_11target_archE1201ELNS1_3gpuE5ELNS1_3repE0EEENS1_30default_config_static_selectorELNS0_4arch9wavefront6targetE1EEEvSF_.num_named_barrier, 0
	.set _ZN7rocprim17ROCPRIM_400000_NS6detail17trampoline_kernelINS0_14default_configENS1_22reduce_config_selectorIiEEZNS1_11reduce_implILb1ES3_PiS7_iN6thrust23THRUST_200600_302600_NS4plusIiEEEE10hipError_tPvRmT1_T2_T3_mT4_P12ihipStream_tbEUlT_E0_NS1_11comp_targetILNS1_3genE10ELNS1_11target_archE1201ELNS1_3gpuE5ELNS1_3repE0EEENS1_30default_config_static_selectorELNS0_4arch9wavefront6targetE1EEEvSF_.private_seg_size, 0
	.set _ZN7rocprim17ROCPRIM_400000_NS6detail17trampoline_kernelINS0_14default_configENS1_22reduce_config_selectorIiEEZNS1_11reduce_implILb1ES3_PiS7_iN6thrust23THRUST_200600_302600_NS4plusIiEEEE10hipError_tPvRmT1_T2_T3_mT4_P12ihipStream_tbEUlT_E0_NS1_11comp_targetILNS1_3genE10ELNS1_11target_archE1201ELNS1_3gpuE5ELNS1_3repE0EEENS1_30default_config_static_selectorELNS0_4arch9wavefront6targetE1EEEvSF_.uses_vcc, 0
	.set _ZN7rocprim17ROCPRIM_400000_NS6detail17trampoline_kernelINS0_14default_configENS1_22reduce_config_selectorIiEEZNS1_11reduce_implILb1ES3_PiS7_iN6thrust23THRUST_200600_302600_NS4plusIiEEEE10hipError_tPvRmT1_T2_T3_mT4_P12ihipStream_tbEUlT_E0_NS1_11comp_targetILNS1_3genE10ELNS1_11target_archE1201ELNS1_3gpuE5ELNS1_3repE0EEENS1_30default_config_static_selectorELNS0_4arch9wavefront6targetE1EEEvSF_.uses_flat_scratch, 0
	.set _ZN7rocprim17ROCPRIM_400000_NS6detail17trampoline_kernelINS0_14default_configENS1_22reduce_config_selectorIiEEZNS1_11reduce_implILb1ES3_PiS7_iN6thrust23THRUST_200600_302600_NS4plusIiEEEE10hipError_tPvRmT1_T2_T3_mT4_P12ihipStream_tbEUlT_E0_NS1_11comp_targetILNS1_3genE10ELNS1_11target_archE1201ELNS1_3gpuE5ELNS1_3repE0EEENS1_30default_config_static_selectorELNS0_4arch9wavefront6targetE1EEEvSF_.has_dyn_sized_stack, 0
	.set _ZN7rocprim17ROCPRIM_400000_NS6detail17trampoline_kernelINS0_14default_configENS1_22reduce_config_selectorIiEEZNS1_11reduce_implILb1ES3_PiS7_iN6thrust23THRUST_200600_302600_NS4plusIiEEEE10hipError_tPvRmT1_T2_T3_mT4_P12ihipStream_tbEUlT_E0_NS1_11comp_targetILNS1_3genE10ELNS1_11target_archE1201ELNS1_3gpuE5ELNS1_3repE0EEENS1_30default_config_static_selectorELNS0_4arch9wavefront6targetE1EEEvSF_.has_recursion, 0
	.set _ZN7rocprim17ROCPRIM_400000_NS6detail17trampoline_kernelINS0_14default_configENS1_22reduce_config_selectorIiEEZNS1_11reduce_implILb1ES3_PiS7_iN6thrust23THRUST_200600_302600_NS4plusIiEEEE10hipError_tPvRmT1_T2_T3_mT4_P12ihipStream_tbEUlT_E0_NS1_11comp_targetILNS1_3genE10ELNS1_11target_archE1201ELNS1_3gpuE5ELNS1_3repE0EEENS1_30default_config_static_selectorELNS0_4arch9wavefront6targetE1EEEvSF_.has_indirect_call, 0
	.section	.AMDGPU.csdata,"",@progbits
; Kernel info:
; codeLenInByte = 0
; TotalNumSgprs: 4
; NumVgprs: 0
; ScratchSize: 0
; MemoryBound: 0
; FloatMode: 240
; IeeeMode: 1
; LDSByteSize: 0 bytes/workgroup (compile time only)
; SGPRBlocks: 0
; VGPRBlocks: 0
; NumSGPRsForWavesPerEU: 4
; NumVGPRsForWavesPerEU: 1
; Occupancy: 10
; WaveLimiterHint : 0
; COMPUTE_PGM_RSRC2:SCRATCH_EN: 0
; COMPUTE_PGM_RSRC2:USER_SGPR: 6
; COMPUTE_PGM_RSRC2:TRAP_HANDLER: 0
; COMPUTE_PGM_RSRC2:TGID_X_EN: 1
; COMPUTE_PGM_RSRC2:TGID_Y_EN: 0
; COMPUTE_PGM_RSRC2:TGID_Z_EN: 0
; COMPUTE_PGM_RSRC2:TIDIG_COMP_CNT: 0
	.section	.text._ZN7rocprim17ROCPRIM_400000_NS6detail17trampoline_kernelINS0_14default_configENS1_22reduce_config_selectorIiEEZNS1_11reduce_implILb1ES3_PiS7_iN6thrust23THRUST_200600_302600_NS4plusIiEEEE10hipError_tPvRmT1_T2_T3_mT4_P12ihipStream_tbEUlT_E0_NS1_11comp_targetILNS1_3genE10ELNS1_11target_archE1200ELNS1_3gpuE4ELNS1_3repE0EEENS1_30default_config_static_selectorELNS0_4arch9wavefront6targetE1EEEvSF_,"axG",@progbits,_ZN7rocprim17ROCPRIM_400000_NS6detail17trampoline_kernelINS0_14default_configENS1_22reduce_config_selectorIiEEZNS1_11reduce_implILb1ES3_PiS7_iN6thrust23THRUST_200600_302600_NS4plusIiEEEE10hipError_tPvRmT1_T2_T3_mT4_P12ihipStream_tbEUlT_E0_NS1_11comp_targetILNS1_3genE10ELNS1_11target_archE1200ELNS1_3gpuE4ELNS1_3repE0EEENS1_30default_config_static_selectorELNS0_4arch9wavefront6targetE1EEEvSF_,comdat
	.protected	_ZN7rocprim17ROCPRIM_400000_NS6detail17trampoline_kernelINS0_14default_configENS1_22reduce_config_selectorIiEEZNS1_11reduce_implILb1ES3_PiS7_iN6thrust23THRUST_200600_302600_NS4plusIiEEEE10hipError_tPvRmT1_T2_T3_mT4_P12ihipStream_tbEUlT_E0_NS1_11comp_targetILNS1_3genE10ELNS1_11target_archE1200ELNS1_3gpuE4ELNS1_3repE0EEENS1_30default_config_static_selectorELNS0_4arch9wavefront6targetE1EEEvSF_ ; -- Begin function _ZN7rocprim17ROCPRIM_400000_NS6detail17trampoline_kernelINS0_14default_configENS1_22reduce_config_selectorIiEEZNS1_11reduce_implILb1ES3_PiS7_iN6thrust23THRUST_200600_302600_NS4plusIiEEEE10hipError_tPvRmT1_T2_T3_mT4_P12ihipStream_tbEUlT_E0_NS1_11comp_targetILNS1_3genE10ELNS1_11target_archE1200ELNS1_3gpuE4ELNS1_3repE0EEENS1_30default_config_static_selectorELNS0_4arch9wavefront6targetE1EEEvSF_
	.globl	_ZN7rocprim17ROCPRIM_400000_NS6detail17trampoline_kernelINS0_14default_configENS1_22reduce_config_selectorIiEEZNS1_11reduce_implILb1ES3_PiS7_iN6thrust23THRUST_200600_302600_NS4plusIiEEEE10hipError_tPvRmT1_T2_T3_mT4_P12ihipStream_tbEUlT_E0_NS1_11comp_targetILNS1_3genE10ELNS1_11target_archE1200ELNS1_3gpuE4ELNS1_3repE0EEENS1_30default_config_static_selectorELNS0_4arch9wavefront6targetE1EEEvSF_
	.p2align	8
	.type	_ZN7rocprim17ROCPRIM_400000_NS6detail17trampoline_kernelINS0_14default_configENS1_22reduce_config_selectorIiEEZNS1_11reduce_implILb1ES3_PiS7_iN6thrust23THRUST_200600_302600_NS4plusIiEEEE10hipError_tPvRmT1_T2_T3_mT4_P12ihipStream_tbEUlT_E0_NS1_11comp_targetILNS1_3genE10ELNS1_11target_archE1200ELNS1_3gpuE4ELNS1_3repE0EEENS1_30default_config_static_selectorELNS0_4arch9wavefront6targetE1EEEvSF_,@function
_ZN7rocprim17ROCPRIM_400000_NS6detail17trampoline_kernelINS0_14default_configENS1_22reduce_config_selectorIiEEZNS1_11reduce_implILb1ES3_PiS7_iN6thrust23THRUST_200600_302600_NS4plusIiEEEE10hipError_tPvRmT1_T2_T3_mT4_P12ihipStream_tbEUlT_E0_NS1_11comp_targetILNS1_3genE10ELNS1_11target_archE1200ELNS1_3gpuE4ELNS1_3repE0EEENS1_30default_config_static_selectorELNS0_4arch9wavefront6targetE1EEEvSF_: ; @_ZN7rocprim17ROCPRIM_400000_NS6detail17trampoline_kernelINS0_14default_configENS1_22reduce_config_selectorIiEEZNS1_11reduce_implILb1ES3_PiS7_iN6thrust23THRUST_200600_302600_NS4plusIiEEEE10hipError_tPvRmT1_T2_T3_mT4_P12ihipStream_tbEUlT_E0_NS1_11comp_targetILNS1_3genE10ELNS1_11target_archE1200ELNS1_3gpuE4ELNS1_3repE0EEENS1_30default_config_static_selectorELNS0_4arch9wavefront6targetE1EEEvSF_
; %bb.0:
	.section	.rodata,"a",@progbits
	.p2align	6, 0x0
	.amdhsa_kernel _ZN7rocprim17ROCPRIM_400000_NS6detail17trampoline_kernelINS0_14default_configENS1_22reduce_config_selectorIiEEZNS1_11reduce_implILb1ES3_PiS7_iN6thrust23THRUST_200600_302600_NS4plusIiEEEE10hipError_tPvRmT1_T2_T3_mT4_P12ihipStream_tbEUlT_E0_NS1_11comp_targetILNS1_3genE10ELNS1_11target_archE1200ELNS1_3gpuE4ELNS1_3repE0EEENS1_30default_config_static_selectorELNS0_4arch9wavefront6targetE1EEEvSF_
		.amdhsa_group_segment_fixed_size 0
		.amdhsa_private_segment_fixed_size 0
		.amdhsa_kernarg_size 56
		.amdhsa_user_sgpr_count 6
		.amdhsa_user_sgpr_private_segment_buffer 1
		.amdhsa_user_sgpr_dispatch_ptr 0
		.amdhsa_user_sgpr_queue_ptr 0
		.amdhsa_user_sgpr_kernarg_segment_ptr 1
		.amdhsa_user_sgpr_dispatch_id 0
		.amdhsa_user_sgpr_flat_scratch_init 0
		.amdhsa_user_sgpr_private_segment_size 0
		.amdhsa_uses_dynamic_stack 0
		.amdhsa_system_sgpr_private_segment_wavefront_offset 0
		.amdhsa_system_sgpr_workgroup_id_x 1
		.amdhsa_system_sgpr_workgroup_id_y 0
		.amdhsa_system_sgpr_workgroup_id_z 0
		.amdhsa_system_sgpr_workgroup_info 0
		.amdhsa_system_vgpr_workitem_id 0
		.amdhsa_next_free_vgpr 1
		.amdhsa_next_free_sgpr 0
		.amdhsa_reserve_vcc 0
		.amdhsa_reserve_flat_scratch 0
		.amdhsa_float_round_mode_32 0
		.amdhsa_float_round_mode_16_64 0
		.amdhsa_float_denorm_mode_32 3
		.amdhsa_float_denorm_mode_16_64 3
		.amdhsa_dx10_clamp 1
		.amdhsa_ieee_mode 1
		.amdhsa_fp16_overflow 0
		.amdhsa_exception_fp_ieee_invalid_op 0
		.amdhsa_exception_fp_denorm_src 0
		.amdhsa_exception_fp_ieee_div_zero 0
		.amdhsa_exception_fp_ieee_overflow 0
		.amdhsa_exception_fp_ieee_underflow 0
		.amdhsa_exception_fp_ieee_inexact 0
		.amdhsa_exception_int_div_zero 0
	.end_amdhsa_kernel
	.section	.text._ZN7rocprim17ROCPRIM_400000_NS6detail17trampoline_kernelINS0_14default_configENS1_22reduce_config_selectorIiEEZNS1_11reduce_implILb1ES3_PiS7_iN6thrust23THRUST_200600_302600_NS4plusIiEEEE10hipError_tPvRmT1_T2_T3_mT4_P12ihipStream_tbEUlT_E0_NS1_11comp_targetILNS1_3genE10ELNS1_11target_archE1200ELNS1_3gpuE4ELNS1_3repE0EEENS1_30default_config_static_selectorELNS0_4arch9wavefront6targetE1EEEvSF_,"axG",@progbits,_ZN7rocprim17ROCPRIM_400000_NS6detail17trampoline_kernelINS0_14default_configENS1_22reduce_config_selectorIiEEZNS1_11reduce_implILb1ES3_PiS7_iN6thrust23THRUST_200600_302600_NS4plusIiEEEE10hipError_tPvRmT1_T2_T3_mT4_P12ihipStream_tbEUlT_E0_NS1_11comp_targetILNS1_3genE10ELNS1_11target_archE1200ELNS1_3gpuE4ELNS1_3repE0EEENS1_30default_config_static_selectorELNS0_4arch9wavefront6targetE1EEEvSF_,comdat
.Lfunc_end324:
	.size	_ZN7rocprim17ROCPRIM_400000_NS6detail17trampoline_kernelINS0_14default_configENS1_22reduce_config_selectorIiEEZNS1_11reduce_implILb1ES3_PiS7_iN6thrust23THRUST_200600_302600_NS4plusIiEEEE10hipError_tPvRmT1_T2_T3_mT4_P12ihipStream_tbEUlT_E0_NS1_11comp_targetILNS1_3genE10ELNS1_11target_archE1200ELNS1_3gpuE4ELNS1_3repE0EEENS1_30default_config_static_selectorELNS0_4arch9wavefront6targetE1EEEvSF_, .Lfunc_end324-_ZN7rocprim17ROCPRIM_400000_NS6detail17trampoline_kernelINS0_14default_configENS1_22reduce_config_selectorIiEEZNS1_11reduce_implILb1ES3_PiS7_iN6thrust23THRUST_200600_302600_NS4plusIiEEEE10hipError_tPvRmT1_T2_T3_mT4_P12ihipStream_tbEUlT_E0_NS1_11comp_targetILNS1_3genE10ELNS1_11target_archE1200ELNS1_3gpuE4ELNS1_3repE0EEENS1_30default_config_static_selectorELNS0_4arch9wavefront6targetE1EEEvSF_
                                        ; -- End function
	.set _ZN7rocprim17ROCPRIM_400000_NS6detail17trampoline_kernelINS0_14default_configENS1_22reduce_config_selectorIiEEZNS1_11reduce_implILb1ES3_PiS7_iN6thrust23THRUST_200600_302600_NS4plusIiEEEE10hipError_tPvRmT1_T2_T3_mT4_P12ihipStream_tbEUlT_E0_NS1_11comp_targetILNS1_3genE10ELNS1_11target_archE1200ELNS1_3gpuE4ELNS1_3repE0EEENS1_30default_config_static_selectorELNS0_4arch9wavefront6targetE1EEEvSF_.num_vgpr, 0
	.set _ZN7rocprim17ROCPRIM_400000_NS6detail17trampoline_kernelINS0_14default_configENS1_22reduce_config_selectorIiEEZNS1_11reduce_implILb1ES3_PiS7_iN6thrust23THRUST_200600_302600_NS4plusIiEEEE10hipError_tPvRmT1_T2_T3_mT4_P12ihipStream_tbEUlT_E0_NS1_11comp_targetILNS1_3genE10ELNS1_11target_archE1200ELNS1_3gpuE4ELNS1_3repE0EEENS1_30default_config_static_selectorELNS0_4arch9wavefront6targetE1EEEvSF_.num_agpr, 0
	.set _ZN7rocprim17ROCPRIM_400000_NS6detail17trampoline_kernelINS0_14default_configENS1_22reduce_config_selectorIiEEZNS1_11reduce_implILb1ES3_PiS7_iN6thrust23THRUST_200600_302600_NS4plusIiEEEE10hipError_tPvRmT1_T2_T3_mT4_P12ihipStream_tbEUlT_E0_NS1_11comp_targetILNS1_3genE10ELNS1_11target_archE1200ELNS1_3gpuE4ELNS1_3repE0EEENS1_30default_config_static_selectorELNS0_4arch9wavefront6targetE1EEEvSF_.numbered_sgpr, 0
	.set _ZN7rocprim17ROCPRIM_400000_NS6detail17trampoline_kernelINS0_14default_configENS1_22reduce_config_selectorIiEEZNS1_11reduce_implILb1ES3_PiS7_iN6thrust23THRUST_200600_302600_NS4plusIiEEEE10hipError_tPvRmT1_T2_T3_mT4_P12ihipStream_tbEUlT_E0_NS1_11comp_targetILNS1_3genE10ELNS1_11target_archE1200ELNS1_3gpuE4ELNS1_3repE0EEENS1_30default_config_static_selectorELNS0_4arch9wavefront6targetE1EEEvSF_.num_named_barrier, 0
	.set _ZN7rocprim17ROCPRIM_400000_NS6detail17trampoline_kernelINS0_14default_configENS1_22reduce_config_selectorIiEEZNS1_11reduce_implILb1ES3_PiS7_iN6thrust23THRUST_200600_302600_NS4plusIiEEEE10hipError_tPvRmT1_T2_T3_mT4_P12ihipStream_tbEUlT_E0_NS1_11comp_targetILNS1_3genE10ELNS1_11target_archE1200ELNS1_3gpuE4ELNS1_3repE0EEENS1_30default_config_static_selectorELNS0_4arch9wavefront6targetE1EEEvSF_.private_seg_size, 0
	.set _ZN7rocprim17ROCPRIM_400000_NS6detail17trampoline_kernelINS0_14default_configENS1_22reduce_config_selectorIiEEZNS1_11reduce_implILb1ES3_PiS7_iN6thrust23THRUST_200600_302600_NS4plusIiEEEE10hipError_tPvRmT1_T2_T3_mT4_P12ihipStream_tbEUlT_E0_NS1_11comp_targetILNS1_3genE10ELNS1_11target_archE1200ELNS1_3gpuE4ELNS1_3repE0EEENS1_30default_config_static_selectorELNS0_4arch9wavefront6targetE1EEEvSF_.uses_vcc, 0
	.set _ZN7rocprim17ROCPRIM_400000_NS6detail17trampoline_kernelINS0_14default_configENS1_22reduce_config_selectorIiEEZNS1_11reduce_implILb1ES3_PiS7_iN6thrust23THRUST_200600_302600_NS4plusIiEEEE10hipError_tPvRmT1_T2_T3_mT4_P12ihipStream_tbEUlT_E0_NS1_11comp_targetILNS1_3genE10ELNS1_11target_archE1200ELNS1_3gpuE4ELNS1_3repE0EEENS1_30default_config_static_selectorELNS0_4arch9wavefront6targetE1EEEvSF_.uses_flat_scratch, 0
	.set _ZN7rocprim17ROCPRIM_400000_NS6detail17trampoline_kernelINS0_14default_configENS1_22reduce_config_selectorIiEEZNS1_11reduce_implILb1ES3_PiS7_iN6thrust23THRUST_200600_302600_NS4plusIiEEEE10hipError_tPvRmT1_T2_T3_mT4_P12ihipStream_tbEUlT_E0_NS1_11comp_targetILNS1_3genE10ELNS1_11target_archE1200ELNS1_3gpuE4ELNS1_3repE0EEENS1_30default_config_static_selectorELNS0_4arch9wavefront6targetE1EEEvSF_.has_dyn_sized_stack, 0
	.set _ZN7rocprim17ROCPRIM_400000_NS6detail17trampoline_kernelINS0_14default_configENS1_22reduce_config_selectorIiEEZNS1_11reduce_implILb1ES3_PiS7_iN6thrust23THRUST_200600_302600_NS4plusIiEEEE10hipError_tPvRmT1_T2_T3_mT4_P12ihipStream_tbEUlT_E0_NS1_11comp_targetILNS1_3genE10ELNS1_11target_archE1200ELNS1_3gpuE4ELNS1_3repE0EEENS1_30default_config_static_selectorELNS0_4arch9wavefront6targetE1EEEvSF_.has_recursion, 0
	.set _ZN7rocprim17ROCPRIM_400000_NS6detail17trampoline_kernelINS0_14default_configENS1_22reduce_config_selectorIiEEZNS1_11reduce_implILb1ES3_PiS7_iN6thrust23THRUST_200600_302600_NS4plusIiEEEE10hipError_tPvRmT1_T2_T3_mT4_P12ihipStream_tbEUlT_E0_NS1_11comp_targetILNS1_3genE10ELNS1_11target_archE1200ELNS1_3gpuE4ELNS1_3repE0EEENS1_30default_config_static_selectorELNS0_4arch9wavefront6targetE1EEEvSF_.has_indirect_call, 0
	.section	.AMDGPU.csdata,"",@progbits
; Kernel info:
; codeLenInByte = 0
; TotalNumSgprs: 4
; NumVgprs: 0
; ScratchSize: 0
; MemoryBound: 0
; FloatMode: 240
; IeeeMode: 1
; LDSByteSize: 0 bytes/workgroup (compile time only)
; SGPRBlocks: 0
; VGPRBlocks: 0
; NumSGPRsForWavesPerEU: 4
; NumVGPRsForWavesPerEU: 1
; Occupancy: 10
; WaveLimiterHint : 0
; COMPUTE_PGM_RSRC2:SCRATCH_EN: 0
; COMPUTE_PGM_RSRC2:USER_SGPR: 6
; COMPUTE_PGM_RSRC2:TRAP_HANDLER: 0
; COMPUTE_PGM_RSRC2:TGID_X_EN: 1
; COMPUTE_PGM_RSRC2:TGID_Y_EN: 0
; COMPUTE_PGM_RSRC2:TGID_Z_EN: 0
; COMPUTE_PGM_RSRC2:TIDIG_COMP_CNT: 0
	.section	.text._ZN7rocprim17ROCPRIM_400000_NS6detail17trampoline_kernelINS0_14default_configENS1_22reduce_config_selectorIiEEZNS1_11reduce_implILb1ES3_PiS7_iN6thrust23THRUST_200600_302600_NS4plusIiEEEE10hipError_tPvRmT1_T2_T3_mT4_P12ihipStream_tbEUlT_E0_NS1_11comp_targetILNS1_3genE9ELNS1_11target_archE1100ELNS1_3gpuE3ELNS1_3repE0EEENS1_30default_config_static_selectorELNS0_4arch9wavefront6targetE1EEEvSF_,"axG",@progbits,_ZN7rocprim17ROCPRIM_400000_NS6detail17trampoline_kernelINS0_14default_configENS1_22reduce_config_selectorIiEEZNS1_11reduce_implILb1ES3_PiS7_iN6thrust23THRUST_200600_302600_NS4plusIiEEEE10hipError_tPvRmT1_T2_T3_mT4_P12ihipStream_tbEUlT_E0_NS1_11comp_targetILNS1_3genE9ELNS1_11target_archE1100ELNS1_3gpuE3ELNS1_3repE0EEENS1_30default_config_static_selectorELNS0_4arch9wavefront6targetE1EEEvSF_,comdat
	.protected	_ZN7rocprim17ROCPRIM_400000_NS6detail17trampoline_kernelINS0_14default_configENS1_22reduce_config_selectorIiEEZNS1_11reduce_implILb1ES3_PiS7_iN6thrust23THRUST_200600_302600_NS4plusIiEEEE10hipError_tPvRmT1_T2_T3_mT4_P12ihipStream_tbEUlT_E0_NS1_11comp_targetILNS1_3genE9ELNS1_11target_archE1100ELNS1_3gpuE3ELNS1_3repE0EEENS1_30default_config_static_selectorELNS0_4arch9wavefront6targetE1EEEvSF_ ; -- Begin function _ZN7rocprim17ROCPRIM_400000_NS6detail17trampoline_kernelINS0_14default_configENS1_22reduce_config_selectorIiEEZNS1_11reduce_implILb1ES3_PiS7_iN6thrust23THRUST_200600_302600_NS4plusIiEEEE10hipError_tPvRmT1_T2_T3_mT4_P12ihipStream_tbEUlT_E0_NS1_11comp_targetILNS1_3genE9ELNS1_11target_archE1100ELNS1_3gpuE3ELNS1_3repE0EEENS1_30default_config_static_selectorELNS0_4arch9wavefront6targetE1EEEvSF_
	.globl	_ZN7rocprim17ROCPRIM_400000_NS6detail17trampoline_kernelINS0_14default_configENS1_22reduce_config_selectorIiEEZNS1_11reduce_implILb1ES3_PiS7_iN6thrust23THRUST_200600_302600_NS4plusIiEEEE10hipError_tPvRmT1_T2_T3_mT4_P12ihipStream_tbEUlT_E0_NS1_11comp_targetILNS1_3genE9ELNS1_11target_archE1100ELNS1_3gpuE3ELNS1_3repE0EEENS1_30default_config_static_selectorELNS0_4arch9wavefront6targetE1EEEvSF_
	.p2align	8
	.type	_ZN7rocprim17ROCPRIM_400000_NS6detail17trampoline_kernelINS0_14default_configENS1_22reduce_config_selectorIiEEZNS1_11reduce_implILb1ES3_PiS7_iN6thrust23THRUST_200600_302600_NS4plusIiEEEE10hipError_tPvRmT1_T2_T3_mT4_P12ihipStream_tbEUlT_E0_NS1_11comp_targetILNS1_3genE9ELNS1_11target_archE1100ELNS1_3gpuE3ELNS1_3repE0EEENS1_30default_config_static_selectorELNS0_4arch9wavefront6targetE1EEEvSF_,@function
_ZN7rocprim17ROCPRIM_400000_NS6detail17trampoline_kernelINS0_14default_configENS1_22reduce_config_selectorIiEEZNS1_11reduce_implILb1ES3_PiS7_iN6thrust23THRUST_200600_302600_NS4plusIiEEEE10hipError_tPvRmT1_T2_T3_mT4_P12ihipStream_tbEUlT_E0_NS1_11comp_targetILNS1_3genE9ELNS1_11target_archE1100ELNS1_3gpuE3ELNS1_3repE0EEENS1_30default_config_static_selectorELNS0_4arch9wavefront6targetE1EEEvSF_: ; @_ZN7rocprim17ROCPRIM_400000_NS6detail17trampoline_kernelINS0_14default_configENS1_22reduce_config_selectorIiEEZNS1_11reduce_implILb1ES3_PiS7_iN6thrust23THRUST_200600_302600_NS4plusIiEEEE10hipError_tPvRmT1_T2_T3_mT4_P12ihipStream_tbEUlT_E0_NS1_11comp_targetILNS1_3genE9ELNS1_11target_archE1100ELNS1_3gpuE3ELNS1_3repE0EEENS1_30default_config_static_selectorELNS0_4arch9wavefront6targetE1EEEvSF_
; %bb.0:
	.section	.rodata,"a",@progbits
	.p2align	6, 0x0
	.amdhsa_kernel _ZN7rocprim17ROCPRIM_400000_NS6detail17trampoline_kernelINS0_14default_configENS1_22reduce_config_selectorIiEEZNS1_11reduce_implILb1ES3_PiS7_iN6thrust23THRUST_200600_302600_NS4plusIiEEEE10hipError_tPvRmT1_T2_T3_mT4_P12ihipStream_tbEUlT_E0_NS1_11comp_targetILNS1_3genE9ELNS1_11target_archE1100ELNS1_3gpuE3ELNS1_3repE0EEENS1_30default_config_static_selectorELNS0_4arch9wavefront6targetE1EEEvSF_
		.amdhsa_group_segment_fixed_size 0
		.amdhsa_private_segment_fixed_size 0
		.amdhsa_kernarg_size 56
		.amdhsa_user_sgpr_count 6
		.amdhsa_user_sgpr_private_segment_buffer 1
		.amdhsa_user_sgpr_dispatch_ptr 0
		.amdhsa_user_sgpr_queue_ptr 0
		.amdhsa_user_sgpr_kernarg_segment_ptr 1
		.amdhsa_user_sgpr_dispatch_id 0
		.amdhsa_user_sgpr_flat_scratch_init 0
		.amdhsa_user_sgpr_private_segment_size 0
		.amdhsa_uses_dynamic_stack 0
		.amdhsa_system_sgpr_private_segment_wavefront_offset 0
		.amdhsa_system_sgpr_workgroup_id_x 1
		.amdhsa_system_sgpr_workgroup_id_y 0
		.amdhsa_system_sgpr_workgroup_id_z 0
		.amdhsa_system_sgpr_workgroup_info 0
		.amdhsa_system_vgpr_workitem_id 0
		.amdhsa_next_free_vgpr 1
		.amdhsa_next_free_sgpr 0
		.amdhsa_reserve_vcc 0
		.amdhsa_reserve_flat_scratch 0
		.amdhsa_float_round_mode_32 0
		.amdhsa_float_round_mode_16_64 0
		.amdhsa_float_denorm_mode_32 3
		.amdhsa_float_denorm_mode_16_64 3
		.amdhsa_dx10_clamp 1
		.amdhsa_ieee_mode 1
		.amdhsa_fp16_overflow 0
		.amdhsa_exception_fp_ieee_invalid_op 0
		.amdhsa_exception_fp_denorm_src 0
		.amdhsa_exception_fp_ieee_div_zero 0
		.amdhsa_exception_fp_ieee_overflow 0
		.amdhsa_exception_fp_ieee_underflow 0
		.amdhsa_exception_fp_ieee_inexact 0
		.amdhsa_exception_int_div_zero 0
	.end_amdhsa_kernel
	.section	.text._ZN7rocprim17ROCPRIM_400000_NS6detail17trampoline_kernelINS0_14default_configENS1_22reduce_config_selectorIiEEZNS1_11reduce_implILb1ES3_PiS7_iN6thrust23THRUST_200600_302600_NS4plusIiEEEE10hipError_tPvRmT1_T2_T3_mT4_P12ihipStream_tbEUlT_E0_NS1_11comp_targetILNS1_3genE9ELNS1_11target_archE1100ELNS1_3gpuE3ELNS1_3repE0EEENS1_30default_config_static_selectorELNS0_4arch9wavefront6targetE1EEEvSF_,"axG",@progbits,_ZN7rocprim17ROCPRIM_400000_NS6detail17trampoline_kernelINS0_14default_configENS1_22reduce_config_selectorIiEEZNS1_11reduce_implILb1ES3_PiS7_iN6thrust23THRUST_200600_302600_NS4plusIiEEEE10hipError_tPvRmT1_T2_T3_mT4_P12ihipStream_tbEUlT_E0_NS1_11comp_targetILNS1_3genE9ELNS1_11target_archE1100ELNS1_3gpuE3ELNS1_3repE0EEENS1_30default_config_static_selectorELNS0_4arch9wavefront6targetE1EEEvSF_,comdat
.Lfunc_end325:
	.size	_ZN7rocprim17ROCPRIM_400000_NS6detail17trampoline_kernelINS0_14default_configENS1_22reduce_config_selectorIiEEZNS1_11reduce_implILb1ES3_PiS7_iN6thrust23THRUST_200600_302600_NS4plusIiEEEE10hipError_tPvRmT1_T2_T3_mT4_P12ihipStream_tbEUlT_E0_NS1_11comp_targetILNS1_3genE9ELNS1_11target_archE1100ELNS1_3gpuE3ELNS1_3repE0EEENS1_30default_config_static_selectorELNS0_4arch9wavefront6targetE1EEEvSF_, .Lfunc_end325-_ZN7rocprim17ROCPRIM_400000_NS6detail17trampoline_kernelINS0_14default_configENS1_22reduce_config_selectorIiEEZNS1_11reduce_implILb1ES3_PiS7_iN6thrust23THRUST_200600_302600_NS4plusIiEEEE10hipError_tPvRmT1_T2_T3_mT4_P12ihipStream_tbEUlT_E0_NS1_11comp_targetILNS1_3genE9ELNS1_11target_archE1100ELNS1_3gpuE3ELNS1_3repE0EEENS1_30default_config_static_selectorELNS0_4arch9wavefront6targetE1EEEvSF_
                                        ; -- End function
	.set _ZN7rocprim17ROCPRIM_400000_NS6detail17trampoline_kernelINS0_14default_configENS1_22reduce_config_selectorIiEEZNS1_11reduce_implILb1ES3_PiS7_iN6thrust23THRUST_200600_302600_NS4plusIiEEEE10hipError_tPvRmT1_T2_T3_mT4_P12ihipStream_tbEUlT_E0_NS1_11comp_targetILNS1_3genE9ELNS1_11target_archE1100ELNS1_3gpuE3ELNS1_3repE0EEENS1_30default_config_static_selectorELNS0_4arch9wavefront6targetE1EEEvSF_.num_vgpr, 0
	.set _ZN7rocprim17ROCPRIM_400000_NS6detail17trampoline_kernelINS0_14default_configENS1_22reduce_config_selectorIiEEZNS1_11reduce_implILb1ES3_PiS7_iN6thrust23THRUST_200600_302600_NS4plusIiEEEE10hipError_tPvRmT1_T2_T3_mT4_P12ihipStream_tbEUlT_E0_NS1_11comp_targetILNS1_3genE9ELNS1_11target_archE1100ELNS1_3gpuE3ELNS1_3repE0EEENS1_30default_config_static_selectorELNS0_4arch9wavefront6targetE1EEEvSF_.num_agpr, 0
	.set _ZN7rocprim17ROCPRIM_400000_NS6detail17trampoline_kernelINS0_14default_configENS1_22reduce_config_selectorIiEEZNS1_11reduce_implILb1ES3_PiS7_iN6thrust23THRUST_200600_302600_NS4plusIiEEEE10hipError_tPvRmT1_T2_T3_mT4_P12ihipStream_tbEUlT_E0_NS1_11comp_targetILNS1_3genE9ELNS1_11target_archE1100ELNS1_3gpuE3ELNS1_3repE0EEENS1_30default_config_static_selectorELNS0_4arch9wavefront6targetE1EEEvSF_.numbered_sgpr, 0
	.set _ZN7rocprim17ROCPRIM_400000_NS6detail17trampoline_kernelINS0_14default_configENS1_22reduce_config_selectorIiEEZNS1_11reduce_implILb1ES3_PiS7_iN6thrust23THRUST_200600_302600_NS4plusIiEEEE10hipError_tPvRmT1_T2_T3_mT4_P12ihipStream_tbEUlT_E0_NS1_11comp_targetILNS1_3genE9ELNS1_11target_archE1100ELNS1_3gpuE3ELNS1_3repE0EEENS1_30default_config_static_selectorELNS0_4arch9wavefront6targetE1EEEvSF_.num_named_barrier, 0
	.set _ZN7rocprim17ROCPRIM_400000_NS6detail17trampoline_kernelINS0_14default_configENS1_22reduce_config_selectorIiEEZNS1_11reduce_implILb1ES3_PiS7_iN6thrust23THRUST_200600_302600_NS4plusIiEEEE10hipError_tPvRmT1_T2_T3_mT4_P12ihipStream_tbEUlT_E0_NS1_11comp_targetILNS1_3genE9ELNS1_11target_archE1100ELNS1_3gpuE3ELNS1_3repE0EEENS1_30default_config_static_selectorELNS0_4arch9wavefront6targetE1EEEvSF_.private_seg_size, 0
	.set _ZN7rocprim17ROCPRIM_400000_NS6detail17trampoline_kernelINS0_14default_configENS1_22reduce_config_selectorIiEEZNS1_11reduce_implILb1ES3_PiS7_iN6thrust23THRUST_200600_302600_NS4plusIiEEEE10hipError_tPvRmT1_T2_T3_mT4_P12ihipStream_tbEUlT_E0_NS1_11comp_targetILNS1_3genE9ELNS1_11target_archE1100ELNS1_3gpuE3ELNS1_3repE0EEENS1_30default_config_static_selectorELNS0_4arch9wavefront6targetE1EEEvSF_.uses_vcc, 0
	.set _ZN7rocprim17ROCPRIM_400000_NS6detail17trampoline_kernelINS0_14default_configENS1_22reduce_config_selectorIiEEZNS1_11reduce_implILb1ES3_PiS7_iN6thrust23THRUST_200600_302600_NS4plusIiEEEE10hipError_tPvRmT1_T2_T3_mT4_P12ihipStream_tbEUlT_E0_NS1_11comp_targetILNS1_3genE9ELNS1_11target_archE1100ELNS1_3gpuE3ELNS1_3repE0EEENS1_30default_config_static_selectorELNS0_4arch9wavefront6targetE1EEEvSF_.uses_flat_scratch, 0
	.set _ZN7rocprim17ROCPRIM_400000_NS6detail17trampoline_kernelINS0_14default_configENS1_22reduce_config_selectorIiEEZNS1_11reduce_implILb1ES3_PiS7_iN6thrust23THRUST_200600_302600_NS4plusIiEEEE10hipError_tPvRmT1_T2_T3_mT4_P12ihipStream_tbEUlT_E0_NS1_11comp_targetILNS1_3genE9ELNS1_11target_archE1100ELNS1_3gpuE3ELNS1_3repE0EEENS1_30default_config_static_selectorELNS0_4arch9wavefront6targetE1EEEvSF_.has_dyn_sized_stack, 0
	.set _ZN7rocprim17ROCPRIM_400000_NS6detail17trampoline_kernelINS0_14default_configENS1_22reduce_config_selectorIiEEZNS1_11reduce_implILb1ES3_PiS7_iN6thrust23THRUST_200600_302600_NS4plusIiEEEE10hipError_tPvRmT1_T2_T3_mT4_P12ihipStream_tbEUlT_E0_NS1_11comp_targetILNS1_3genE9ELNS1_11target_archE1100ELNS1_3gpuE3ELNS1_3repE0EEENS1_30default_config_static_selectorELNS0_4arch9wavefront6targetE1EEEvSF_.has_recursion, 0
	.set _ZN7rocprim17ROCPRIM_400000_NS6detail17trampoline_kernelINS0_14default_configENS1_22reduce_config_selectorIiEEZNS1_11reduce_implILb1ES3_PiS7_iN6thrust23THRUST_200600_302600_NS4plusIiEEEE10hipError_tPvRmT1_T2_T3_mT4_P12ihipStream_tbEUlT_E0_NS1_11comp_targetILNS1_3genE9ELNS1_11target_archE1100ELNS1_3gpuE3ELNS1_3repE0EEENS1_30default_config_static_selectorELNS0_4arch9wavefront6targetE1EEEvSF_.has_indirect_call, 0
	.section	.AMDGPU.csdata,"",@progbits
; Kernel info:
; codeLenInByte = 0
; TotalNumSgprs: 4
; NumVgprs: 0
; ScratchSize: 0
; MemoryBound: 0
; FloatMode: 240
; IeeeMode: 1
; LDSByteSize: 0 bytes/workgroup (compile time only)
; SGPRBlocks: 0
; VGPRBlocks: 0
; NumSGPRsForWavesPerEU: 4
; NumVGPRsForWavesPerEU: 1
; Occupancy: 10
; WaveLimiterHint : 0
; COMPUTE_PGM_RSRC2:SCRATCH_EN: 0
; COMPUTE_PGM_RSRC2:USER_SGPR: 6
; COMPUTE_PGM_RSRC2:TRAP_HANDLER: 0
; COMPUTE_PGM_RSRC2:TGID_X_EN: 1
; COMPUTE_PGM_RSRC2:TGID_Y_EN: 0
; COMPUTE_PGM_RSRC2:TGID_Z_EN: 0
; COMPUTE_PGM_RSRC2:TIDIG_COMP_CNT: 0
	.section	.text._ZN7rocprim17ROCPRIM_400000_NS6detail17trampoline_kernelINS0_14default_configENS1_22reduce_config_selectorIiEEZNS1_11reduce_implILb1ES3_PiS7_iN6thrust23THRUST_200600_302600_NS4plusIiEEEE10hipError_tPvRmT1_T2_T3_mT4_P12ihipStream_tbEUlT_E0_NS1_11comp_targetILNS1_3genE8ELNS1_11target_archE1030ELNS1_3gpuE2ELNS1_3repE0EEENS1_30default_config_static_selectorELNS0_4arch9wavefront6targetE1EEEvSF_,"axG",@progbits,_ZN7rocprim17ROCPRIM_400000_NS6detail17trampoline_kernelINS0_14default_configENS1_22reduce_config_selectorIiEEZNS1_11reduce_implILb1ES3_PiS7_iN6thrust23THRUST_200600_302600_NS4plusIiEEEE10hipError_tPvRmT1_T2_T3_mT4_P12ihipStream_tbEUlT_E0_NS1_11comp_targetILNS1_3genE8ELNS1_11target_archE1030ELNS1_3gpuE2ELNS1_3repE0EEENS1_30default_config_static_selectorELNS0_4arch9wavefront6targetE1EEEvSF_,comdat
	.protected	_ZN7rocprim17ROCPRIM_400000_NS6detail17trampoline_kernelINS0_14default_configENS1_22reduce_config_selectorIiEEZNS1_11reduce_implILb1ES3_PiS7_iN6thrust23THRUST_200600_302600_NS4plusIiEEEE10hipError_tPvRmT1_T2_T3_mT4_P12ihipStream_tbEUlT_E0_NS1_11comp_targetILNS1_3genE8ELNS1_11target_archE1030ELNS1_3gpuE2ELNS1_3repE0EEENS1_30default_config_static_selectorELNS0_4arch9wavefront6targetE1EEEvSF_ ; -- Begin function _ZN7rocprim17ROCPRIM_400000_NS6detail17trampoline_kernelINS0_14default_configENS1_22reduce_config_selectorIiEEZNS1_11reduce_implILb1ES3_PiS7_iN6thrust23THRUST_200600_302600_NS4plusIiEEEE10hipError_tPvRmT1_T2_T3_mT4_P12ihipStream_tbEUlT_E0_NS1_11comp_targetILNS1_3genE8ELNS1_11target_archE1030ELNS1_3gpuE2ELNS1_3repE0EEENS1_30default_config_static_selectorELNS0_4arch9wavefront6targetE1EEEvSF_
	.globl	_ZN7rocprim17ROCPRIM_400000_NS6detail17trampoline_kernelINS0_14default_configENS1_22reduce_config_selectorIiEEZNS1_11reduce_implILb1ES3_PiS7_iN6thrust23THRUST_200600_302600_NS4plusIiEEEE10hipError_tPvRmT1_T2_T3_mT4_P12ihipStream_tbEUlT_E0_NS1_11comp_targetILNS1_3genE8ELNS1_11target_archE1030ELNS1_3gpuE2ELNS1_3repE0EEENS1_30default_config_static_selectorELNS0_4arch9wavefront6targetE1EEEvSF_
	.p2align	8
	.type	_ZN7rocprim17ROCPRIM_400000_NS6detail17trampoline_kernelINS0_14default_configENS1_22reduce_config_selectorIiEEZNS1_11reduce_implILb1ES3_PiS7_iN6thrust23THRUST_200600_302600_NS4plusIiEEEE10hipError_tPvRmT1_T2_T3_mT4_P12ihipStream_tbEUlT_E0_NS1_11comp_targetILNS1_3genE8ELNS1_11target_archE1030ELNS1_3gpuE2ELNS1_3repE0EEENS1_30default_config_static_selectorELNS0_4arch9wavefront6targetE1EEEvSF_,@function
_ZN7rocprim17ROCPRIM_400000_NS6detail17trampoline_kernelINS0_14default_configENS1_22reduce_config_selectorIiEEZNS1_11reduce_implILb1ES3_PiS7_iN6thrust23THRUST_200600_302600_NS4plusIiEEEE10hipError_tPvRmT1_T2_T3_mT4_P12ihipStream_tbEUlT_E0_NS1_11comp_targetILNS1_3genE8ELNS1_11target_archE1030ELNS1_3gpuE2ELNS1_3repE0EEENS1_30default_config_static_selectorELNS0_4arch9wavefront6targetE1EEEvSF_: ; @_ZN7rocprim17ROCPRIM_400000_NS6detail17trampoline_kernelINS0_14default_configENS1_22reduce_config_selectorIiEEZNS1_11reduce_implILb1ES3_PiS7_iN6thrust23THRUST_200600_302600_NS4plusIiEEEE10hipError_tPvRmT1_T2_T3_mT4_P12ihipStream_tbEUlT_E0_NS1_11comp_targetILNS1_3genE8ELNS1_11target_archE1030ELNS1_3gpuE2ELNS1_3repE0EEENS1_30default_config_static_selectorELNS0_4arch9wavefront6targetE1EEEvSF_
; %bb.0:
	.section	.rodata,"a",@progbits
	.p2align	6, 0x0
	.amdhsa_kernel _ZN7rocprim17ROCPRIM_400000_NS6detail17trampoline_kernelINS0_14default_configENS1_22reduce_config_selectorIiEEZNS1_11reduce_implILb1ES3_PiS7_iN6thrust23THRUST_200600_302600_NS4plusIiEEEE10hipError_tPvRmT1_T2_T3_mT4_P12ihipStream_tbEUlT_E0_NS1_11comp_targetILNS1_3genE8ELNS1_11target_archE1030ELNS1_3gpuE2ELNS1_3repE0EEENS1_30default_config_static_selectorELNS0_4arch9wavefront6targetE1EEEvSF_
		.amdhsa_group_segment_fixed_size 0
		.amdhsa_private_segment_fixed_size 0
		.amdhsa_kernarg_size 56
		.amdhsa_user_sgpr_count 6
		.amdhsa_user_sgpr_private_segment_buffer 1
		.amdhsa_user_sgpr_dispatch_ptr 0
		.amdhsa_user_sgpr_queue_ptr 0
		.amdhsa_user_sgpr_kernarg_segment_ptr 1
		.amdhsa_user_sgpr_dispatch_id 0
		.amdhsa_user_sgpr_flat_scratch_init 0
		.amdhsa_user_sgpr_private_segment_size 0
		.amdhsa_uses_dynamic_stack 0
		.amdhsa_system_sgpr_private_segment_wavefront_offset 0
		.amdhsa_system_sgpr_workgroup_id_x 1
		.amdhsa_system_sgpr_workgroup_id_y 0
		.amdhsa_system_sgpr_workgroup_id_z 0
		.amdhsa_system_sgpr_workgroup_info 0
		.amdhsa_system_vgpr_workitem_id 0
		.amdhsa_next_free_vgpr 1
		.amdhsa_next_free_sgpr 0
		.amdhsa_reserve_vcc 0
		.amdhsa_reserve_flat_scratch 0
		.amdhsa_float_round_mode_32 0
		.amdhsa_float_round_mode_16_64 0
		.amdhsa_float_denorm_mode_32 3
		.amdhsa_float_denorm_mode_16_64 3
		.amdhsa_dx10_clamp 1
		.amdhsa_ieee_mode 1
		.amdhsa_fp16_overflow 0
		.amdhsa_exception_fp_ieee_invalid_op 0
		.amdhsa_exception_fp_denorm_src 0
		.amdhsa_exception_fp_ieee_div_zero 0
		.amdhsa_exception_fp_ieee_overflow 0
		.amdhsa_exception_fp_ieee_underflow 0
		.amdhsa_exception_fp_ieee_inexact 0
		.amdhsa_exception_int_div_zero 0
	.end_amdhsa_kernel
	.section	.text._ZN7rocprim17ROCPRIM_400000_NS6detail17trampoline_kernelINS0_14default_configENS1_22reduce_config_selectorIiEEZNS1_11reduce_implILb1ES3_PiS7_iN6thrust23THRUST_200600_302600_NS4plusIiEEEE10hipError_tPvRmT1_T2_T3_mT4_P12ihipStream_tbEUlT_E0_NS1_11comp_targetILNS1_3genE8ELNS1_11target_archE1030ELNS1_3gpuE2ELNS1_3repE0EEENS1_30default_config_static_selectorELNS0_4arch9wavefront6targetE1EEEvSF_,"axG",@progbits,_ZN7rocprim17ROCPRIM_400000_NS6detail17trampoline_kernelINS0_14default_configENS1_22reduce_config_selectorIiEEZNS1_11reduce_implILb1ES3_PiS7_iN6thrust23THRUST_200600_302600_NS4plusIiEEEE10hipError_tPvRmT1_T2_T3_mT4_P12ihipStream_tbEUlT_E0_NS1_11comp_targetILNS1_3genE8ELNS1_11target_archE1030ELNS1_3gpuE2ELNS1_3repE0EEENS1_30default_config_static_selectorELNS0_4arch9wavefront6targetE1EEEvSF_,comdat
.Lfunc_end326:
	.size	_ZN7rocprim17ROCPRIM_400000_NS6detail17trampoline_kernelINS0_14default_configENS1_22reduce_config_selectorIiEEZNS1_11reduce_implILb1ES3_PiS7_iN6thrust23THRUST_200600_302600_NS4plusIiEEEE10hipError_tPvRmT1_T2_T3_mT4_P12ihipStream_tbEUlT_E0_NS1_11comp_targetILNS1_3genE8ELNS1_11target_archE1030ELNS1_3gpuE2ELNS1_3repE0EEENS1_30default_config_static_selectorELNS0_4arch9wavefront6targetE1EEEvSF_, .Lfunc_end326-_ZN7rocprim17ROCPRIM_400000_NS6detail17trampoline_kernelINS0_14default_configENS1_22reduce_config_selectorIiEEZNS1_11reduce_implILb1ES3_PiS7_iN6thrust23THRUST_200600_302600_NS4plusIiEEEE10hipError_tPvRmT1_T2_T3_mT4_P12ihipStream_tbEUlT_E0_NS1_11comp_targetILNS1_3genE8ELNS1_11target_archE1030ELNS1_3gpuE2ELNS1_3repE0EEENS1_30default_config_static_selectorELNS0_4arch9wavefront6targetE1EEEvSF_
                                        ; -- End function
	.set _ZN7rocprim17ROCPRIM_400000_NS6detail17trampoline_kernelINS0_14default_configENS1_22reduce_config_selectorIiEEZNS1_11reduce_implILb1ES3_PiS7_iN6thrust23THRUST_200600_302600_NS4plusIiEEEE10hipError_tPvRmT1_T2_T3_mT4_P12ihipStream_tbEUlT_E0_NS1_11comp_targetILNS1_3genE8ELNS1_11target_archE1030ELNS1_3gpuE2ELNS1_3repE0EEENS1_30default_config_static_selectorELNS0_4arch9wavefront6targetE1EEEvSF_.num_vgpr, 0
	.set _ZN7rocprim17ROCPRIM_400000_NS6detail17trampoline_kernelINS0_14default_configENS1_22reduce_config_selectorIiEEZNS1_11reduce_implILb1ES3_PiS7_iN6thrust23THRUST_200600_302600_NS4plusIiEEEE10hipError_tPvRmT1_T2_T3_mT4_P12ihipStream_tbEUlT_E0_NS1_11comp_targetILNS1_3genE8ELNS1_11target_archE1030ELNS1_3gpuE2ELNS1_3repE0EEENS1_30default_config_static_selectorELNS0_4arch9wavefront6targetE1EEEvSF_.num_agpr, 0
	.set _ZN7rocprim17ROCPRIM_400000_NS6detail17trampoline_kernelINS0_14default_configENS1_22reduce_config_selectorIiEEZNS1_11reduce_implILb1ES3_PiS7_iN6thrust23THRUST_200600_302600_NS4plusIiEEEE10hipError_tPvRmT1_T2_T3_mT4_P12ihipStream_tbEUlT_E0_NS1_11comp_targetILNS1_3genE8ELNS1_11target_archE1030ELNS1_3gpuE2ELNS1_3repE0EEENS1_30default_config_static_selectorELNS0_4arch9wavefront6targetE1EEEvSF_.numbered_sgpr, 0
	.set _ZN7rocprim17ROCPRIM_400000_NS6detail17trampoline_kernelINS0_14default_configENS1_22reduce_config_selectorIiEEZNS1_11reduce_implILb1ES3_PiS7_iN6thrust23THRUST_200600_302600_NS4plusIiEEEE10hipError_tPvRmT1_T2_T3_mT4_P12ihipStream_tbEUlT_E0_NS1_11comp_targetILNS1_3genE8ELNS1_11target_archE1030ELNS1_3gpuE2ELNS1_3repE0EEENS1_30default_config_static_selectorELNS0_4arch9wavefront6targetE1EEEvSF_.num_named_barrier, 0
	.set _ZN7rocprim17ROCPRIM_400000_NS6detail17trampoline_kernelINS0_14default_configENS1_22reduce_config_selectorIiEEZNS1_11reduce_implILb1ES3_PiS7_iN6thrust23THRUST_200600_302600_NS4plusIiEEEE10hipError_tPvRmT1_T2_T3_mT4_P12ihipStream_tbEUlT_E0_NS1_11comp_targetILNS1_3genE8ELNS1_11target_archE1030ELNS1_3gpuE2ELNS1_3repE0EEENS1_30default_config_static_selectorELNS0_4arch9wavefront6targetE1EEEvSF_.private_seg_size, 0
	.set _ZN7rocprim17ROCPRIM_400000_NS6detail17trampoline_kernelINS0_14default_configENS1_22reduce_config_selectorIiEEZNS1_11reduce_implILb1ES3_PiS7_iN6thrust23THRUST_200600_302600_NS4plusIiEEEE10hipError_tPvRmT1_T2_T3_mT4_P12ihipStream_tbEUlT_E0_NS1_11comp_targetILNS1_3genE8ELNS1_11target_archE1030ELNS1_3gpuE2ELNS1_3repE0EEENS1_30default_config_static_selectorELNS0_4arch9wavefront6targetE1EEEvSF_.uses_vcc, 0
	.set _ZN7rocprim17ROCPRIM_400000_NS6detail17trampoline_kernelINS0_14default_configENS1_22reduce_config_selectorIiEEZNS1_11reduce_implILb1ES3_PiS7_iN6thrust23THRUST_200600_302600_NS4plusIiEEEE10hipError_tPvRmT1_T2_T3_mT4_P12ihipStream_tbEUlT_E0_NS1_11comp_targetILNS1_3genE8ELNS1_11target_archE1030ELNS1_3gpuE2ELNS1_3repE0EEENS1_30default_config_static_selectorELNS0_4arch9wavefront6targetE1EEEvSF_.uses_flat_scratch, 0
	.set _ZN7rocprim17ROCPRIM_400000_NS6detail17trampoline_kernelINS0_14default_configENS1_22reduce_config_selectorIiEEZNS1_11reduce_implILb1ES3_PiS7_iN6thrust23THRUST_200600_302600_NS4plusIiEEEE10hipError_tPvRmT1_T2_T3_mT4_P12ihipStream_tbEUlT_E0_NS1_11comp_targetILNS1_3genE8ELNS1_11target_archE1030ELNS1_3gpuE2ELNS1_3repE0EEENS1_30default_config_static_selectorELNS0_4arch9wavefront6targetE1EEEvSF_.has_dyn_sized_stack, 0
	.set _ZN7rocprim17ROCPRIM_400000_NS6detail17trampoline_kernelINS0_14default_configENS1_22reduce_config_selectorIiEEZNS1_11reduce_implILb1ES3_PiS7_iN6thrust23THRUST_200600_302600_NS4plusIiEEEE10hipError_tPvRmT1_T2_T3_mT4_P12ihipStream_tbEUlT_E0_NS1_11comp_targetILNS1_3genE8ELNS1_11target_archE1030ELNS1_3gpuE2ELNS1_3repE0EEENS1_30default_config_static_selectorELNS0_4arch9wavefront6targetE1EEEvSF_.has_recursion, 0
	.set _ZN7rocprim17ROCPRIM_400000_NS6detail17trampoline_kernelINS0_14default_configENS1_22reduce_config_selectorIiEEZNS1_11reduce_implILb1ES3_PiS7_iN6thrust23THRUST_200600_302600_NS4plusIiEEEE10hipError_tPvRmT1_T2_T3_mT4_P12ihipStream_tbEUlT_E0_NS1_11comp_targetILNS1_3genE8ELNS1_11target_archE1030ELNS1_3gpuE2ELNS1_3repE0EEENS1_30default_config_static_selectorELNS0_4arch9wavefront6targetE1EEEvSF_.has_indirect_call, 0
	.section	.AMDGPU.csdata,"",@progbits
; Kernel info:
; codeLenInByte = 0
; TotalNumSgprs: 4
; NumVgprs: 0
; ScratchSize: 0
; MemoryBound: 0
; FloatMode: 240
; IeeeMode: 1
; LDSByteSize: 0 bytes/workgroup (compile time only)
; SGPRBlocks: 0
; VGPRBlocks: 0
; NumSGPRsForWavesPerEU: 4
; NumVGPRsForWavesPerEU: 1
; Occupancy: 10
; WaveLimiterHint : 0
; COMPUTE_PGM_RSRC2:SCRATCH_EN: 0
; COMPUTE_PGM_RSRC2:USER_SGPR: 6
; COMPUTE_PGM_RSRC2:TRAP_HANDLER: 0
; COMPUTE_PGM_RSRC2:TGID_X_EN: 1
; COMPUTE_PGM_RSRC2:TGID_Y_EN: 0
; COMPUTE_PGM_RSRC2:TGID_Z_EN: 0
; COMPUTE_PGM_RSRC2:TIDIG_COMP_CNT: 0
	.section	.text._ZN7rocprim17ROCPRIM_400000_NS6detail17trampoline_kernelINS0_14default_configENS1_22reduce_config_selectorIiEEZNS1_11reduce_implILb1ES3_PiS7_iN6thrust23THRUST_200600_302600_NS4plusIiEEEE10hipError_tPvRmT1_T2_T3_mT4_P12ihipStream_tbEUlT_E1_NS1_11comp_targetILNS1_3genE0ELNS1_11target_archE4294967295ELNS1_3gpuE0ELNS1_3repE0EEENS1_30default_config_static_selectorELNS0_4arch9wavefront6targetE1EEEvSF_,"axG",@progbits,_ZN7rocprim17ROCPRIM_400000_NS6detail17trampoline_kernelINS0_14default_configENS1_22reduce_config_selectorIiEEZNS1_11reduce_implILb1ES3_PiS7_iN6thrust23THRUST_200600_302600_NS4plusIiEEEE10hipError_tPvRmT1_T2_T3_mT4_P12ihipStream_tbEUlT_E1_NS1_11comp_targetILNS1_3genE0ELNS1_11target_archE4294967295ELNS1_3gpuE0ELNS1_3repE0EEENS1_30default_config_static_selectorELNS0_4arch9wavefront6targetE1EEEvSF_,comdat
	.protected	_ZN7rocprim17ROCPRIM_400000_NS6detail17trampoline_kernelINS0_14default_configENS1_22reduce_config_selectorIiEEZNS1_11reduce_implILb1ES3_PiS7_iN6thrust23THRUST_200600_302600_NS4plusIiEEEE10hipError_tPvRmT1_T2_T3_mT4_P12ihipStream_tbEUlT_E1_NS1_11comp_targetILNS1_3genE0ELNS1_11target_archE4294967295ELNS1_3gpuE0ELNS1_3repE0EEENS1_30default_config_static_selectorELNS0_4arch9wavefront6targetE1EEEvSF_ ; -- Begin function _ZN7rocprim17ROCPRIM_400000_NS6detail17trampoline_kernelINS0_14default_configENS1_22reduce_config_selectorIiEEZNS1_11reduce_implILb1ES3_PiS7_iN6thrust23THRUST_200600_302600_NS4plusIiEEEE10hipError_tPvRmT1_T2_T3_mT4_P12ihipStream_tbEUlT_E1_NS1_11comp_targetILNS1_3genE0ELNS1_11target_archE4294967295ELNS1_3gpuE0ELNS1_3repE0EEENS1_30default_config_static_selectorELNS0_4arch9wavefront6targetE1EEEvSF_
	.globl	_ZN7rocprim17ROCPRIM_400000_NS6detail17trampoline_kernelINS0_14default_configENS1_22reduce_config_selectorIiEEZNS1_11reduce_implILb1ES3_PiS7_iN6thrust23THRUST_200600_302600_NS4plusIiEEEE10hipError_tPvRmT1_T2_T3_mT4_P12ihipStream_tbEUlT_E1_NS1_11comp_targetILNS1_3genE0ELNS1_11target_archE4294967295ELNS1_3gpuE0ELNS1_3repE0EEENS1_30default_config_static_selectorELNS0_4arch9wavefront6targetE1EEEvSF_
	.p2align	8
	.type	_ZN7rocprim17ROCPRIM_400000_NS6detail17trampoline_kernelINS0_14default_configENS1_22reduce_config_selectorIiEEZNS1_11reduce_implILb1ES3_PiS7_iN6thrust23THRUST_200600_302600_NS4plusIiEEEE10hipError_tPvRmT1_T2_T3_mT4_P12ihipStream_tbEUlT_E1_NS1_11comp_targetILNS1_3genE0ELNS1_11target_archE4294967295ELNS1_3gpuE0ELNS1_3repE0EEENS1_30default_config_static_selectorELNS0_4arch9wavefront6targetE1EEEvSF_,@function
_ZN7rocprim17ROCPRIM_400000_NS6detail17trampoline_kernelINS0_14default_configENS1_22reduce_config_selectorIiEEZNS1_11reduce_implILb1ES3_PiS7_iN6thrust23THRUST_200600_302600_NS4plusIiEEEE10hipError_tPvRmT1_T2_T3_mT4_P12ihipStream_tbEUlT_E1_NS1_11comp_targetILNS1_3genE0ELNS1_11target_archE4294967295ELNS1_3gpuE0ELNS1_3repE0EEENS1_30default_config_static_selectorELNS0_4arch9wavefront6targetE1EEEvSF_: ; @_ZN7rocprim17ROCPRIM_400000_NS6detail17trampoline_kernelINS0_14default_configENS1_22reduce_config_selectorIiEEZNS1_11reduce_implILb1ES3_PiS7_iN6thrust23THRUST_200600_302600_NS4plusIiEEEE10hipError_tPvRmT1_T2_T3_mT4_P12ihipStream_tbEUlT_E1_NS1_11comp_targetILNS1_3genE0ELNS1_11target_archE4294967295ELNS1_3gpuE0ELNS1_3repE0EEENS1_30default_config_static_selectorELNS0_4arch9wavefront6targetE1EEEvSF_
; %bb.0:
	.section	.rodata,"a",@progbits
	.p2align	6, 0x0
	.amdhsa_kernel _ZN7rocprim17ROCPRIM_400000_NS6detail17trampoline_kernelINS0_14default_configENS1_22reduce_config_selectorIiEEZNS1_11reduce_implILb1ES3_PiS7_iN6thrust23THRUST_200600_302600_NS4plusIiEEEE10hipError_tPvRmT1_T2_T3_mT4_P12ihipStream_tbEUlT_E1_NS1_11comp_targetILNS1_3genE0ELNS1_11target_archE4294967295ELNS1_3gpuE0ELNS1_3repE0EEENS1_30default_config_static_selectorELNS0_4arch9wavefront6targetE1EEEvSF_
		.amdhsa_group_segment_fixed_size 0
		.amdhsa_private_segment_fixed_size 0
		.amdhsa_kernarg_size 40
		.amdhsa_user_sgpr_count 6
		.amdhsa_user_sgpr_private_segment_buffer 1
		.amdhsa_user_sgpr_dispatch_ptr 0
		.amdhsa_user_sgpr_queue_ptr 0
		.amdhsa_user_sgpr_kernarg_segment_ptr 1
		.amdhsa_user_sgpr_dispatch_id 0
		.amdhsa_user_sgpr_flat_scratch_init 0
		.amdhsa_user_sgpr_private_segment_size 0
		.amdhsa_uses_dynamic_stack 0
		.amdhsa_system_sgpr_private_segment_wavefront_offset 0
		.amdhsa_system_sgpr_workgroup_id_x 1
		.amdhsa_system_sgpr_workgroup_id_y 0
		.amdhsa_system_sgpr_workgroup_id_z 0
		.amdhsa_system_sgpr_workgroup_info 0
		.amdhsa_system_vgpr_workitem_id 0
		.amdhsa_next_free_vgpr 1
		.amdhsa_next_free_sgpr 0
		.amdhsa_reserve_vcc 0
		.amdhsa_reserve_flat_scratch 0
		.amdhsa_float_round_mode_32 0
		.amdhsa_float_round_mode_16_64 0
		.amdhsa_float_denorm_mode_32 3
		.amdhsa_float_denorm_mode_16_64 3
		.amdhsa_dx10_clamp 1
		.amdhsa_ieee_mode 1
		.amdhsa_fp16_overflow 0
		.amdhsa_exception_fp_ieee_invalid_op 0
		.amdhsa_exception_fp_denorm_src 0
		.amdhsa_exception_fp_ieee_div_zero 0
		.amdhsa_exception_fp_ieee_overflow 0
		.amdhsa_exception_fp_ieee_underflow 0
		.amdhsa_exception_fp_ieee_inexact 0
		.amdhsa_exception_int_div_zero 0
	.end_amdhsa_kernel
	.section	.text._ZN7rocprim17ROCPRIM_400000_NS6detail17trampoline_kernelINS0_14default_configENS1_22reduce_config_selectorIiEEZNS1_11reduce_implILb1ES3_PiS7_iN6thrust23THRUST_200600_302600_NS4plusIiEEEE10hipError_tPvRmT1_T2_T3_mT4_P12ihipStream_tbEUlT_E1_NS1_11comp_targetILNS1_3genE0ELNS1_11target_archE4294967295ELNS1_3gpuE0ELNS1_3repE0EEENS1_30default_config_static_selectorELNS0_4arch9wavefront6targetE1EEEvSF_,"axG",@progbits,_ZN7rocprim17ROCPRIM_400000_NS6detail17trampoline_kernelINS0_14default_configENS1_22reduce_config_selectorIiEEZNS1_11reduce_implILb1ES3_PiS7_iN6thrust23THRUST_200600_302600_NS4plusIiEEEE10hipError_tPvRmT1_T2_T3_mT4_P12ihipStream_tbEUlT_E1_NS1_11comp_targetILNS1_3genE0ELNS1_11target_archE4294967295ELNS1_3gpuE0ELNS1_3repE0EEENS1_30default_config_static_selectorELNS0_4arch9wavefront6targetE1EEEvSF_,comdat
.Lfunc_end327:
	.size	_ZN7rocprim17ROCPRIM_400000_NS6detail17trampoline_kernelINS0_14default_configENS1_22reduce_config_selectorIiEEZNS1_11reduce_implILb1ES3_PiS7_iN6thrust23THRUST_200600_302600_NS4plusIiEEEE10hipError_tPvRmT1_T2_T3_mT4_P12ihipStream_tbEUlT_E1_NS1_11comp_targetILNS1_3genE0ELNS1_11target_archE4294967295ELNS1_3gpuE0ELNS1_3repE0EEENS1_30default_config_static_selectorELNS0_4arch9wavefront6targetE1EEEvSF_, .Lfunc_end327-_ZN7rocprim17ROCPRIM_400000_NS6detail17trampoline_kernelINS0_14default_configENS1_22reduce_config_selectorIiEEZNS1_11reduce_implILb1ES3_PiS7_iN6thrust23THRUST_200600_302600_NS4plusIiEEEE10hipError_tPvRmT1_T2_T3_mT4_P12ihipStream_tbEUlT_E1_NS1_11comp_targetILNS1_3genE0ELNS1_11target_archE4294967295ELNS1_3gpuE0ELNS1_3repE0EEENS1_30default_config_static_selectorELNS0_4arch9wavefront6targetE1EEEvSF_
                                        ; -- End function
	.set _ZN7rocprim17ROCPRIM_400000_NS6detail17trampoline_kernelINS0_14default_configENS1_22reduce_config_selectorIiEEZNS1_11reduce_implILb1ES3_PiS7_iN6thrust23THRUST_200600_302600_NS4plusIiEEEE10hipError_tPvRmT1_T2_T3_mT4_P12ihipStream_tbEUlT_E1_NS1_11comp_targetILNS1_3genE0ELNS1_11target_archE4294967295ELNS1_3gpuE0ELNS1_3repE0EEENS1_30default_config_static_selectorELNS0_4arch9wavefront6targetE1EEEvSF_.num_vgpr, 0
	.set _ZN7rocprim17ROCPRIM_400000_NS6detail17trampoline_kernelINS0_14default_configENS1_22reduce_config_selectorIiEEZNS1_11reduce_implILb1ES3_PiS7_iN6thrust23THRUST_200600_302600_NS4plusIiEEEE10hipError_tPvRmT1_T2_T3_mT4_P12ihipStream_tbEUlT_E1_NS1_11comp_targetILNS1_3genE0ELNS1_11target_archE4294967295ELNS1_3gpuE0ELNS1_3repE0EEENS1_30default_config_static_selectorELNS0_4arch9wavefront6targetE1EEEvSF_.num_agpr, 0
	.set _ZN7rocprim17ROCPRIM_400000_NS6detail17trampoline_kernelINS0_14default_configENS1_22reduce_config_selectorIiEEZNS1_11reduce_implILb1ES3_PiS7_iN6thrust23THRUST_200600_302600_NS4plusIiEEEE10hipError_tPvRmT1_T2_T3_mT4_P12ihipStream_tbEUlT_E1_NS1_11comp_targetILNS1_3genE0ELNS1_11target_archE4294967295ELNS1_3gpuE0ELNS1_3repE0EEENS1_30default_config_static_selectorELNS0_4arch9wavefront6targetE1EEEvSF_.numbered_sgpr, 0
	.set _ZN7rocprim17ROCPRIM_400000_NS6detail17trampoline_kernelINS0_14default_configENS1_22reduce_config_selectorIiEEZNS1_11reduce_implILb1ES3_PiS7_iN6thrust23THRUST_200600_302600_NS4plusIiEEEE10hipError_tPvRmT1_T2_T3_mT4_P12ihipStream_tbEUlT_E1_NS1_11comp_targetILNS1_3genE0ELNS1_11target_archE4294967295ELNS1_3gpuE0ELNS1_3repE0EEENS1_30default_config_static_selectorELNS0_4arch9wavefront6targetE1EEEvSF_.num_named_barrier, 0
	.set _ZN7rocprim17ROCPRIM_400000_NS6detail17trampoline_kernelINS0_14default_configENS1_22reduce_config_selectorIiEEZNS1_11reduce_implILb1ES3_PiS7_iN6thrust23THRUST_200600_302600_NS4plusIiEEEE10hipError_tPvRmT1_T2_T3_mT4_P12ihipStream_tbEUlT_E1_NS1_11comp_targetILNS1_3genE0ELNS1_11target_archE4294967295ELNS1_3gpuE0ELNS1_3repE0EEENS1_30default_config_static_selectorELNS0_4arch9wavefront6targetE1EEEvSF_.private_seg_size, 0
	.set _ZN7rocprim17ROCPRIM_400000_NS6detail17trampoline_kernelINS0_14default_configENS1_22reduce_config_selectorIiEEZNS1_11reduce_implILb1ES3_PiS7_iN6thrust23THRUST_200600_302600_NS4plusIiEEEE10hipError_tPvRmT1_T2_T3_mT4_P12ihipStream_tbEUlT_E1_NS1_11comp_targetILNS1_3genE0ELNS1_11target_archE4294967295ELNS1_3gpuE0ELNS1_3repE0EEENS1_30default_config_static_selectorELNS0_4arch9wavefront6targetE1EEEvSF_.uses_vcc, 0
	.set _ZN7rocprim17ROCPRIM_400000_NS6detail17trampoline_kernelINS0_14default_configENS1_22reduce_config_selectorIiEEZNS1_11reduce_implILb1ES3_PiS7_iN6thrust23THRUST_200600_302600_NS4plusIiEEEE10hipError_tPvRmT1_T2_T3_mT4_P12ihipStream_tbEUlT_E1_NS1_11comp_targetILNS1_3genE0ELNS1_11target_archE4294967295ELNS1_3gpuE0ELNS1_3repE0EEENS1_30default_config_static_selectorELNS0_4arch9wavefront6targetE1EEEvSF_.uses_flat_scratch, 0
	.set _ZN7rocprim17ROCPRIM_400000_NS6detail17trampoline_kernelINS0_14default_configENS1_22reduce_config_selectorIiEEZNS1_11reduce_implILb1ES3_PiS7_iN6thrust23THRUST_200600_302600_NS4plusIiEEEE10hipError_tPvRmT1_T2_T3_mT4_P12ihipStream_tbEUlT_E1_NS1_11comp_targetILNS1_3genE0ELNS1_11target_archE4294967295ELNS1_3gpuE0ELNS1_3repE0EEENS1_30default_config_static_selectorELNS0_4arch9wavefront6targetE1EEEvSF_.has_dyn_sized_stack, 0
	.set _ZN7rocprim17ROCPRIM_400000_NS6detail17trampoline_kernelINS0_14default_configENS1_22reduce_config_selectorIiEEZNS1_11reduce_implILb1ES3_PiS7_iN6thrust23THRUST_200600_302600_NS4plusIiEEEE10hipError_tPvRmT1_T2_T3_mT4_P12ihipStream_tbEUlT_E1_NS1_11comp_targetILNS1_3genE0ELNS1_11target_archE4294967295ELNS1_3gpuE0ELNS1_3repE0EEENS1_30default_config_static_selectorELNS0_4arch9wavefront6targetE1EEEvSF_.has_recursion, 0
	.set _ZN7rocprim17ROCPRIM_400000_NS6detail17trampoline_kernelINS0_14default_configENS1_22reduce_config_selectorIiEEZNS1_11reduce_implILb1ES3_PiS7_iN6thrust23THRUST_200600_302600_NS4plusIiEEEE10hipError_tPvRmT1_T2_T3_mT4_P12ihipStream_tbEUlT_E1_NS1_11comp_targetILNS1_3genE0ELNS1_11target_archE4294967295ELNS1_3gpuE0ELNS1_3repE0EEENS1_30default_config_static_selectorELNS0_4arch9wavefront6targetE1EEEvSF_.has_indirect_call, 0
	.section	.AMDGPU.csdata,"",@progbits
; Kernel info:
; codeLenInByte = 0
; TotalNumSgprs: 4
; NumVgprs: 0
; ScratchSize: 0
; MemoryBound: 0
; FloatMode: 240
; IeeeMode: 1
; LDSByteSize: 0 bytes/workgroup (compile time only)
; SGPRBlocks: 0
; VGPRBlocks: 0
; NumSGPRsForWavesPerEU: 4
; NumVGPRsForWavesPerEU: 1
; Occupancy: 10
; WaveLimiterHint : 0
; COMPUTE_PGM_RSRC2:SCRATCH_EN: 0
; COMPUTE_PGM_RSRC2:USER_SGPR: 6
; COMPUTE_PGM_RSRC2:TRAP_HANDLER: 0
; COMPUTE_PGM_RSRC2:TGID_X_EN: 1
; COMPUTE_PGM_RSRC2:TGID_Y_EN: 0
; COMPUTE_PGM_RSRC2:TGID_Z_EN: 0
; COMPUTE_PGM_RSRC2:TIDIG_COMP_CNT: 0
	.section	.text._ZN7rocprim17ROCPRIM_400000_NS6detail17trampoline_kernelINS0_14default_configENS1_22reduce_config_selectorIiEEZNS1_11reduce_implILb1ES3_PiS7_iN6thrust23THRUST_200600_302600_NS4plusIiEEEE10hipError_tPvRmT1_T2_T3_mT4_P12ihipStream_tbEUlT_E1_NS1_11comp_targetILNS1_3genE5ELNS1_11target_archE942ELNS1_3gpuE9ELNS1_3repE0EEENS1_30default_config_static_selectorELNS0_4arch9wavefront6targetE1EEEvSF_,"axG",@progbits,_ZN7rocprim17ROCPRIM_400000_NS6detail17trampoline_kernelINS0_14default_configENS1_22reduce_config_selectorIiEEZNS1_11reduce_implILb1ES3_PiS7_iN6thrust23THRUST_200600_302600_NS4plusIiEEEE10hipError_tPvRmT1_T2_T3_mT4_P12ihipStream_tbEUlT_E1_NS1_11comp_targetILNS1_3genE5ELNS1_11target_archE942ELNS1_3gpuE9ELNS1_3repE0EEENS1_30default_config_static_selectorELNS0_4arch9wavefront6targetE1EEEvSF_,comdat
	.protected	_ZN7rocprim17ROCPRIM_400000_NS6detail17trampoline_kernelINS0_14default_configENS1_22reduce_config_selectorIiEEZNS1_11reduce_implILb1ES3_PiS7_iN6thrust23THRUST_200600_302600_NS4plusIiEEEE10hipError_tPvRmT1_T2_T3_mT4_P12ihipStream_tbEUlT_E1_NS1_11comp_targetILNS1_3genE5ELNS1_11target_archE942ELNS1_3gpuE9ELNS1_3repE0EEENS1_30default_config_static_selectorELNS0_4arch9wavefront6targetE1EEEvSF_ ; -- Begin function _ZN7rocprim17ROCPRIM_400000_NS6detail17trampoline_kernelINS0_14default_configENS1_22reduce_config_selectorIiEEZNS1_11reduce_implILb1ES3_PiS7_iN6thrust23THRUST_200600_302600_NS4plusIiEEEE10hipError_tPvRmT1_T2_T3_mT4_P12ihipStream_tbEUlT_E1_NS1_11comp_targetILNS1_3genE5ELNS1_11target_archE942ELNS1_3gpuE9ELNS1_3repE0EEENS1_30default_config_static_selectorELNS0_4arch9wavefront6targetE1EEEvSF_
	.globl	_ZN7rocprim17ROCPRIM_400000_NS6detail17trampoline_kernelINS0_14default_configENS1_22reduce_config_selectorIiEEZNS1_11reduce_implILb1ES3_PiS7_iN6thrust23THRUST_200600_302600_NS4plusIiEEEE10hipError_tPvRmT1_T2_T3_mT4_P12ihipStream_tbEUlT_E1_NS1_11comp_targetILNS1_3genE5ELNS1_11target_archE942ELNS1_3gpuE9ELNS1_3repE0EEENS1_30default_config_static_selectorELNS0_4arch9wavefront6targetE1EEEvSF_
	.p2align	8
	.type	_ZN7rocprim17ROCPRIM_400000_NS6detail17trampoline_kernelINS0_14default_configENS1_22reduce_config_selectorIiEEZNS1_11reduce_implILb1ES3_PiS7_iN6thrust23THRUST_200600_302600_NS4plusIiEEEE10hipError_tPvRmT1_T2_T3_mT4_P12ihipStream_tbEUlT_E1_NS1_11comp_targetILNS1_3genE5ELNS1_11target_archE942ELNS1_3gpuE9ELNS1_3repE0EEENS1_30default_config_static_selectorELNS0_4arch9wavefront6targetE1EEEvSF_,@function
_ZN7rocprim17ROCPRIM_400000_NS6detail17trampoline_kernelINS0_14default_configENS1_22reduce_config_selectorIiEEZNS1_11reduce_implILb1ES3_PiS7_iN6thrust23THRUST_200600_302600_NS4plusIiEEEE10hipError_tPvRmT1_T2_T3_mT4_P12ihipStream_tbEUlT_E1_NS1_11comp_targetILNS1_3genE5ELNS1_11target_archE942ELNS1_3gpuE9ELNS1_3repE0EEENS1_30default_config_static_selectorELNS0_4arch9wavefront6targetE1EEEvSF_: ; @_ZN7rocprim17ROCPRIM_400000_NS6detail17trampoline_kernelINS0_14default_configENS1_22reduce_config_selectorIiEEZNS1_11reduce_implILb1ES3_PiS7_iN6thrust23THRUST_200600_302600_NS4plusIiEEEE10hipError_tPvRmT1_T2_T3_mT4_P12ihipStream_tbEUlT_E1_NS1_11comp_targetILNS1_3genE5ELNS1_11target_archE942ELNS1_3gpuE9ELNS1_3repE0EEENS1_30default_config_static_selectorELNS0_4arch9wavefront6targetE1EEEvSF_
; %bb.0:
	.section	.rodata,"a",@progbits
	.p2align	6, 0x0
	.amdhsa_kernel _ZN7rocprim17ROCPRIM_400000_NS6detail17trampoline_kernelINS0_14default_configENS1_22reduce_config_selectorIiEEZNS1_11reduce_implILb1ES3_PiS7_iN6thrust23THRUST_200600_302600_NS4plusIiEEEE10hipError_tPvRmT1_T2_T3_mT4_P12ihipStream_tbEUlT_E1_NS1_11comp_targetILNS1_3genE5ELNS1_11target_archE942ELNS1_3gpuE9ELNS1_3repE0EEENS1_30default_config_static_selectorELNS0_4arch9wavefront6targetE1EEEvSF_
		.amdhsa_group_segment_fixed_size 0
		.amdhsa_private_segment_fixed_size 0
		.amdhsa_kernarg_size 40
		.amdhsa_user_sgpr_count 6
		.amdhsa_user_sgpr_private_segment_buffer 1
		.amdhsa_user_sgpr_dispatch_ptr 0
		.amdhsa_user_sgpr_queue_ptr 0
		.amdhsa_user_sgpr_kernarg_segment_ptr 1
		.amdhsa_user_sgpr_dispatch_id 0
		.amdhsa_user_sgpr_flat_scratch_init 0
		.amdhsa_user_sgpr_private_segment_size 0
		.amdhsa_uses_dynamic_stack 0
		.amdhsa_system_sgpr_private_segment_wavefront_offset 0
		.amdhsa_system_sgpr_workgroup_id_x 1
		.amdhsa_system_sgpr_workgroup_id_y 0
		.amdhsa_system_sgpr_workgroup_id_z 0
		.amdhsa_system_sgpr_workgroup_info 0
		.amdhsa_system_vgpr_workitem_id 0
		.amdhsa_next_free_vgpr 1
		.amdhsa_next_free_sgpr 0
		.amdhsa_reserve_vcc 0
		.amdhsa_reserve_flat_scratch 0
		.amdhsa_float_round_mode_32 0
		.amdhsa_float_round_mode_16_64 0
		.amdhsa_float_denorm_mode_32 3
		.amdhsa_float_denorm_mode_16_64 3
		.amdhsa_dx10_clamp 1
		.amdhsa_ieee_mode 1
		.amdhsa_fp16_overflow 0
		.amdhsa_exception_fp_ieee_invalid_op 0
		.amdhsa_exception_fp_denorm_src 0
		.amdhsa_exception_fp_ieee_div_zero 0
		.amdhsa_exception_fp_ieee_overflow 0
		.amdhsa_exception_fp_ieee_underflow 0
		.amdhsa_exception_fp_ieee_inexact 0
		.amdhsa_exception_int_div_zero 0
	.end_amdhsa_kernel
	.section	.text._ZN7rocprim17ROCPRIM_400000_NS6detail17trampoline_kernelINS0_14default_configENS1_22reduce_config_selectorIiEEZNS1_11reduce_implILb1ES3_PiS7_iN6thrust23THRUST_200600_302600_NS4plusIiEEEE10hipError_tPvRmT1_T2_T3_mT4_P12ihipStream_tbEUlT_E1_NS1_11comp_targetILNS1_3genE5ELNS1_11target_archE942ELNS1_3gpuE9ELNS1_3repE0EEENS1_30default_config_static_selectorELNS0_4arch9wavefront6targetE1EEEvSF_,"axG",@progbits,_ZN7rocprim17ROCPRIM_400000_NS6detail17trampoline_kernelINS0_14default_configENS1_22reduce_config_selectorIiEEZNS1_11reduce_implILb1ES3_PiS7_iN6thrust23THRUST_200600_302600_NS4plusIiEEEE10hipError_tPvRmT1_T2_T3_mT4_P12ihipStream_tbEUlT_E1_NS1_11comp_targetILNS1_3genE5ELNS1_11target_archE942ELNS1_3gpuE9ELNS1_3repE0EEENS1_30default_config_static_selectorELNS0_4arch9wavefront6targetE1EEEvSF_,comdat
.Lfunc_end328:
	.size	_ZN7rocprim17ROCPRIM_400000_NS6detail17trampoline_kernelINS0_14default_configENS1_22reduce_config_selectorIiEEZNS1_11reduce_implILb1ES3_PiS7_iN6thrust23THRUST_200600_302600_NS4plusIiEEEE10hipError_tPvRmT1_T2_T3_mT4_P12ihipStream_tbEUlT_E1_NS1_11comp_targetILNS1_3genE5ELNS1_11target_archE942ELNS1_3gpuE9ELNS1_3repE0EEENS1_30default_config_static_selectorELNS0_4arch9wavefront6targetE1EEEvSF_, .Lfunc_end328-_ZN7rocprim17ROCPRIM_400000_NS6detail17trampoline_kernelINS0_14default_configENS1_22reduce_config_selectorIiEEZNS1_11reduce_implILb1ES3_PiS7_iN6thrust23THRUST_200600_302600_NS4plusIiEEEE10hipError_tPvRmT1_T2_T3_mT4_P12ihipStream_tbEUlT_E1_NS1_11comp_targetILNS1_3genE5ELNS1_11target_archE942ELNS1_3gpuE9ELNS1_3repE0EEENS1_30default_config_static_selectorELNS0_4arch9wavefront6targetE1EEEvSF_
                                        ; -- End function
	.set _ZN7rocprim17ROCPRIM_400000_NS6detail17trampoline_kernelINS0_14default_configENS1_22reduce_config_selectorIiEEZNS1_11reduce_implILb1ES3_PiS7_iN6thrust23THRUST_200600_302600_NS4plusIiEEEE10hipError_tPvRmT1_T2_T3_mT4_P12ihipStream_tbEUlT_E1_NS1_11comp_targetILNS1_3genE5ELNS1_11target_archE942ELNS1_3gpuE9ELNS1_3repE0EEENS1_30default_config_static_selectorELNS0_4arch9wavefront6targetE1EEEvSF_.num_vgpr, 0
	.set _ZN7rocprim17ROCPRIM_400000_NS6detail17trampoline_kernelINS0_14default_configENS1_22reduce_config_selectorIiEEZNS1_11reduce_implILb1ES3_PiS7_iN6thrust23THRUST_200600_302600_NS4plusIiEEEE10hipError_tPvRmT1_T2_T3_mT4_P12ihipStream_tbEUlT_E1_NS1_11comp_targetILNS1_3genE5ELNS1_11target_archE942ELNS1_3gpuE9ELNS1_3repE0EEENS1_30default_config_static_selectorELNS0_4arch9wavefront6targetE1EEEvSF_.num_agpr, 0
	.set _ZN7rocprim17ROCPRIM_400000_NS6detail17trampoline_kernelINS0_14default_configENS1_22reduce_config_selectorIiEEZNS1_11reduce_implILb1ES3_PiS7_iN6thrust23THRUST_200600_302600_NS4plusIiEEEE10hipError_tPvRmT1_T2_T3_mT4_P12ihipStream_tbEUlT_E1_NS1_11comp_targetILNS1_3genE5ELNS1_11target_archE942ELNS1_3gpuE9ELNS1_3repE0EEENS1_30default_config_static_selectorELNS0_4arch9wavefront6targetE1EEEvSF_.numbered_sgpr, 0
	.set _ZN7rocprim17ROCPRIM_400000_NS6detail17trampoline_kernelINS0_14default_configENS1_22reduce_config_selectorIiEEZNS1_11reduce_implILb1ES3_PiS7_iN6thrust23THRUST_200600_302600_NS4plusIiEEEE10hipError_tPvRmT1_T2_T3_mT4_P12ihipStream_tbEUlT_E1_NS1_11comp_targetILNS1_3genE5ELNS1_11target_archE942ELNS1_3gpuE9ELNS1_3repE0EEENS1_30default_config_static_selectorELNS0_4arch9wavefront6targetE1EEEvSF_.num_named_barrier, 0
	.set _ZN7rocprim17ROCPRIM_400000_NS6detail17trampoline_kernelINS0_14default_configENS1_22reduce_config_selectorIiEEZNS1_11reduce_implILb1ES3_PiS7_iN6thrust23THRUST_200600_302600_NS4plusIiEEEE10hipError_tPvRmT1_T2_T3_mT4_P12ihipStream_tbEUlT_E1_NS1_11comp_targetILNS1_3genE5ELNS1_11target_archE942ELNS1_3gpuE9ELNS1_3repE0EEENS1_30default_config_static_selectorELNS0_4arch9wavefront6targetE1EEEvSF_.private_seg_size, 0
	.set _ZN7rocprim17ROCPRIM_400000_NS6detail17trampoline_kernelINS0_14default_configENS1_22reduce_config_selectorIiEEZNS1_11reduce_implILb1ES3_PiS7_iN6thrust23THRUST_200600_302600_NS4plusIiEEEE10hipError_tPvRmT1_T2_T3_mT4_P12ihipStream_tbEUlT_E1_NS1_11comp_targetILNS1_3genE5ELNS1_11target_archE942ELNS1_3gpuE9ELNS1_3repE0EEENS1_30default_config_static_selectorELNS0_4arch9wavefront6targetE1EEEvSF_.uses_vcc, 0
	.set _ZN7rocprim17ROCPRIM_400000_NS6detail17trampoline_kernelINS0_14default_configENS1_22reduce_config_selectorIiEEZNS1_11reduce_implILb1ES3_PiS7_iN6thrust23THRUST_200600_302600_NS4plusIiEEEE10hipError_tPvRmT1_T2_T3_mT4_P12ihipStream_tbEUlT_E1_NS1_11comp_targetILNS1_3genE5ELNS1_11target_archE942ELNS1_3gpuE9ELNS1_3repE0EEENS1_30default_config_static_selectorELNS0_4arch9wavefront6targetE1EEEvSF_.uses_flat_scratch, 0
	.set _ZN7rocprim17ROCPRIM_400000_NS6detail17trampoline_kernelINS0_14default_configENS1_22reduce_config_selectorIiEEZNS1_11reduce_implILb1ES3_PiS7_iN6thrust23THRUST_200600_302600_NS4plusIiEEEE10hipError_tPvRmT1_T2_T3_mT4_P12ihipStream_tbEUlT_E1_NS1_11comp_targetILNS1_3genE5ELNS1_11target_archE942ELNS1_3gpuE9ELNS1_3repE0EEENS1_30default_config_static_selectorELNS0_4arch9wavefront6targetE1EEEvSF_.has_dyn_sized_stack, 0
	.set _ZN7rocprim17ROCPRIM_400000_NS6detail17trampoline_kernelINS0_14default_configENS1_22reduce_config_selectorIiEEZNS1_11reduce_implILb1ES3_PiS7_iN6thrust23THRUST_200600_302600_NS4plusIiEEEE10hipError_tPvRmT1_T2_T3_mT4_P12ihipStream_tbEUlT_E1_NS1_11comp_targetILNS1_3genE5ELNS1_11target_archE942ELNS1_3gpuE9ELNS1_3repE0EEENS1_30default_config_static_selectorELNS0_4arch9wavefront6targetE1EEEvSF_.has_recursion, 0
	.set _ZN7rocprim17ROCPRIM_400000_NS6detail17trampoline_kernelINS0_14default_configENS1_22reduce_config_selectorIiEEZNS1_11reduce_implILb1ES3_PiS7_iN6thrust23THRUST_200600_302600_NS4plusIiEEEE10hipError_tPvRmT1_T2_T3_mT4_P12ihipStream_tbEUlT_E1_NS1_11comp_targetILNS1_3genE5ELNS1_11target_archE942ELNS1_3gpuE9ELNS1_3repE0EEENS1_30default_config_static_selectorELNS0_4arch9wavefront6targetE1EEEvSF_.has_indirect_call, 0
	.section	.AMDGPU.csdata,"",@progbits
; Kernel info:
; codeLenInByte = 0
; TotalNumSgprs: 4
; NumVgprs: 0
; ScratchSize: 0
; MemoryBound: 0
; FloatMode: 240
; IeeeMode: 1
; LDSByteSize: 0 bytes/workgroup (compile time only)
; SGPRBlocks: 0
; VGPRBlocks: 0
; NumSGPRsForWavesPerEU: 4
; NumVGPRsForWavesPerEU: 1
; Occupancy: 10
; WaveLimiterHint : 0
; COMPUTE_PGM_RSRC2:SCRATCH_EN: 0
; COMPUTE_PGM_RSRC2:USER_SGPR: 6
; COMPUTE_PGM_RSRC2:TRAP_HANDLER: 0
; COMPUTE_PGM_RSRC2:TGID_X_EN: 1
; COMPUTE_PGM_RSRC2:TGID_Y_EN: 0
; COMPUTE_PGM_RSRC2:TGID_Z_EN: 0
; COMPUTE_PGM_RSRC2:TIDIG_COMP_CNT: 0
	.section	.text._ZN7rocprim17ROCPRIM_400000_NS6detail17trampoline_kernelINS0_14default_configENS1_22reduce_config_selectorIiEEZNS1_11reduce_implILb1ES3_PiS7_iN6thrust23THRUST_200600_302600_NS4plusIiEEEE10hipError_tPvRmT1_T2_T3_mT4_P12ihipStream_tbEUlT_E1_NS1_11comp_targetILNS1_3genE4ELNS1_11target_archE910ELNS1_3gpuE8ELNS1_3repE0EEENS1_30default_config_static_selectorELNS0_4arch9wavefront6targetE1EEEvSF_,"axG",@progbits,_ZN7rocprim17ROCPRIM_400000_NS6detail17trampoline_kernelINS0_14default_configENS1_22reduce_config_selectorIiEEZNS1_11reduce_implILb1ES3_PiS7_iN6thrust23THRUST_200600_302600_NS4plusIiEEEE10hipError_tPvRmT1_T2_T3_mT4_P12ihipStream_tbEUlT_E1_NS1_11comp_targetILNS1_3genE4ELNS1_11target_archE910ELNS1_3gpuE8ELNS1_3repE0EEENS1_30default_config_static_selectorELNS0_4arch9wavefront6targetE1EEEvSF_,comdat
	.protected	_ZN7rocprim17ROCPRIM_400000_NS6detail17trampoline_kernelINS0_14default_configENS1_22reduce_config_selectorIiEEZNS1_11reduce_implILb1ES3_PiS7_iN6thrust23THRUST_200600_302600_NS4plusIiEEEE10hipError_tPvRmT1_T2_T3_mT4_P12ihipStream_tbEUlT_E1_NS1_11comp_targetILNS1_3genE4ELNS1_11target_archE910ELNS1_3gpuE8ELNS1_3repE0EEENS1_30default_config_static_selectorELNS0_4arch9wavefront6targetE1EEEvSF_ ; -- Begin function _ZN7rocprim17ROCPRIM_400000_NS6detail17trampoline_kernelINS0_14default_configENS1_22reduce_config_selectorIiEEZNS1_11reduce_implILb1ES3_PiS7_iN6thrust23THRUST_200600_302600_NS4plusIiEEEE10hipError_tPvRmT1_T2_T3_mT4_P12ihipStream_tbEUlT_E1_NS1_11comp_targetILNS1_3genE4ELNS1_11target_archE910ELNS1_3gpuE8ELNS1_3repE0EEENS1_30default_config_static_selectorELNS0_4arch9wavefront6targetE1EEEvSF_
	.globl	_ZN7rocprim17ROCPRIM_400000_NS6detail17trampoline_kernelINS0_14default_configENS1_22reduce_config_selectorIiEEZNS1_11reduce_implILb1ES3_PiS7_iN6thrust23THRUST_200600_302600_NS4plusIiEEEE10hipError_tPvRmT1_T2_T3_mT4_P12ihipStream_tbEUlT_E1_NS1_11comp_targetILNS1_3genE4ELNS1_11target_archE910ELNS1_3gpuE8ELNS1_3repE0EEENS1_30default_config_static_selectorELNS0_4arch9wavefront6targetE1EEEvSF_
	.p2align	8
	.type	_ZN7rocprim17ROCPRIM_400000_NS6detail17trampoline_kernelINS0_14default_configENS1_22reduce_config_selectorIiEEZNS1_11reduce_implILb1ES3_PiS7_iN6thrust23THRUST_200600_302600_NS4plusIiEEEE10hipError_tPvRmT1_T2_T3_mT4_P12ihipStream_tbEUlT_E1_NS1_11comp_targetILNS1_3genE4ELNS1_11target_archE910ELNS1_3gpuE8ELNS1_3repE0EEENS1_30default_config_static_selectorELNS0_4arch9wavefront6targetE1EEEvSF_,@function
_ZN7rocprim17ROCPRIM_400000_NS6detail17trampoline_kernelINS0_14default_configENS1_22reduce_config_selectorIiEEZNS1_11reduce_implILb1ES3_PiS7_iN6thrust23THRUST_200600_302600_NS4plusIiEEEE10hipError_tPvRmT1_T2_T3_mT4_P12ihipStream_tbEUlT_E1_NS1_11comp_targetILNS1_3genE4ELNS1_11target_archE910ELNS1_3gpuE8ELNS1_3repE0EEENS1_30default_config_static_selectorELNS0_4arch9wavefront6targetE1EEEvSF_: ; @_ZN7rocprim17ROCPRIM_400000_NS6detail17trampoline_kernelINS0_14default_configENS1_22reduce_config_selectorIiEEZNS1_11reduce_implILb1ES3_PiS7_iN6thrust23THRUST_200600_302600_NS4plusIiEEEE10hipError_tPvRmT1_T2_T3_mT4_P12ihipStream_tbEUlT_E1_NS1_11comp_targetILNS1_3genE4ELNS1_11target_archE910ELNS1_3gpuE8ELNS1_3repE0EEENS1_30default_config_static_selectorELNS0_4arch9wavefront6targetE1EEEvSF_
; %bb.0:
	.section	.rodata,"a",@progbits
	.p2align	6, 0x0
	.amdhsa_kernel _ZN7rocprim17ROCPRIM_400000_NS6detail17trampoline_kernelINS0_14default_configENS1_22reduce_config_selectorIiEEZNS1_11reduce_implILb1ES3_PiS7_iN6thrust23THRUST_200600_302600_NS4plusIiEEEE10hipError_tPvRmT1_T2_T3_mT4_P12ihipStream_tbEUlT_E1_NS1_11comp_targetILNS1_3genE4ELNS1_11target_archE910ELNS1_3gpuE8ELNS1_3repE0EEENS1_30default_config_static_selectorELNS0_4arch9wavefront6targetE1EEEvSF_
		.amdhsa_group_segment_fixed_size 0
		.amdhsa_private_segment_fixed_size 0
		.amdhsa_kernarg_size 40
		.amdhsa_user_sgpr_count 6
		.amdhsa_user_sgpr_private_segment_buffer 1
		.amdhsa_user_sgpr_dispatch_ptr 0
		.amdhsa_user_sgpr_queue_ptr 0
		.amdhsa_user_sgpr_kernarg_segment_ptr 1
		.amdhsa_user_sgpr_dispatch_id 0
		.amdhsa_user_sgpr_flat_scratch_init 0
		.amdhsa_user_sgpr_private_segment_size 0
		.amdhsa_uses_dynamic_stack 0
		.amdhsa_system_sgpr_private_segment_wavefront_offset 0
		.amdhsa_system_sgpr_workgroup_id_x 1
		.amdhsa_system_sgpr_workgroup_id_y 0
		.amdhsa_system_sgpr_workgroup_id_z 0
		.amdhsa_system_sgpr_workgroup_info 0
		.amdhsa_system_vgpr_workitem_id 0
		.amdhsa_next_free_vgpr 1
		.amdhsa_next_free_sgpr 0
		.amdhsa_reserve_vcc 0
		.amdhsa_reserve_flat_scratch 0
		.amdhsa_float_round_mode_32 0
		.amdhsa_float_round_mode_16_64 0
		.amdhsa_float_denorm_mode_32 3
		.amdhsa_float_denorm_mode_16_64 3
		.amdhsa_dx10_clamp 1
		.amdhsa_ieee_mode 1
		.amdhsa_fp16_overflow 0
		.amdhsa_exception_fp_ieee_invalid_op 0
		.amdhsa_exception_fp_denorm_src 0
		.amdhsa_exception_fp_ieee_div_zero 0
		.amdhsa_exception_fp_ieee_overflow 0
		.amdhsa_exception_fp_ieee_underflow 0
		.amdhsa_exception_fp_ieee_inexact 0
		.amdhsa_exception_int_div_zero 0
	.end_amdhsa_kernel
	.section	.text._ZN7rocprim17ROCPRIM_400000_NS6detail17trampoline_kernelINS0_14default_configENS1_22reduce_config_selectorIiEEZNS1_11reduce_implILb1ES3_PiS7_iN6thrust23THRUST_200600_302600_NS4plusIiEEEE10hipError_tPvRmT1_T2_T3_mT4_P12ihipStream_tbEUlT_E1_NS1_11comp_targetILNS1_3genE4ELNS1_11target_archE910ELNS1_3gpuE8ELNS1_3repE0EEENS1_30default_config_static_selectorELNS0_4arch9wavefront6targetE1EEEvSF_,"axG",@progbits,_ZN7rocprim17ROCPRIM_400000_NS6detail17trampoline_kernelINS0_14default_configENS1_22reduce_config_selectorIiEEZNS1_11reduce_implILb1ES3_PiS7_iN6thrust23THRUST_200600_302600_NS4plusIiEEEE10hipError_tPvRmT1_T2_T3_mT4_P12ihipStream_tbEUlT_E1_NS1_11comp_targetILNS1_3genE4ELNS1_11target_archE910ELNS1_3gpuE8ELNS1_3repE0EEENS1_30default_config_static_selectorELNS0_4arch9wavefront6targetE1EEEvSF_,comdat
.Lfunc_end329:
	.size	_ZN7rocprim17ROCPRIM_400000_NS6detail17trampoline_kernelINS0_14default_configENS1_22reduce_config_selectorIiEEZNS1_11reduce_implILb1ES3_PiS7_iN6thrust23THRUST_200600_302600_NS4plusIiEEEE10hipError_tPvRmT1_T2_T3_mT4_P12ihipStream_tbEUlT_E1_NS1_11comp_targetILNS1_3genE4ELNS1_11target_archE910ELNS1_3gpuE8ELNS1_3repE0EEENS1_30default_config_static_selectorELNS0_4arch9wavefront6targetE1EEEvSF_, .Lfunc_end329-_ZN7rocprim17ROCPRIM_400000_NS6detail17trampoline_kernelINS0_14default_configENS1_22reduce_config_selectorIiEEZNS1_11reduce_implILb1ES3_PiS7_iN6thrust23THRUST_200600_302600_NS4plusIiEEEE10hipError_tPvRmT1_T2_T3_mT4_P12ihipStream_tbEUlT_E1_NS1_11comp_targetILNS1_3genE4ELNS1_11target_archE910ELNS1_3gpuE8ELNS1_3repE0EEENS1_30default_config_static_selectorELNS0_4arch9wavefront6targetE1EEEvSF_
                                        ; -- End function
	.set _ZN7rocprim17ROCPRIM_400000_NS6detail17trampoline_kernelINS0_14default_configENS1_22reduce_config_selectorIiEEZNS1_11reduce_implILb1ES3_PiS7_iN6thrust23THRUST_200600_302600_NS4plusIiEEEE10hipError_tPvRmT1_T2_T3_mT4_P12ihipStream_tbEUlT_E1_NS1_11comp_targetILNS1_3genE4ELNS1_11target_archE910ELNS1_3gpuE8ELNS1_3repE0EEENS1_30default_config_static_selectorELNS0_4arch9wavefront6targetE1EEEvSF_.num_vgpr, 0
	.set _ZN7rocprim17ROCPRIM_400000_NS6detail17trampoline_kernelINS0_14default_configENS1_22reduce_config_selectorIiEEZNS1_11reduce_implILb1ES3_PiS7_iN6thrust23THRUST_200600_302600_NS4plusIiEEEE10hipError_tPvRmT1_T2_T3_mT4_P12ihipStream_tbEUlT_E1_NS1_11comp_targetILNS1_3genE4ELNS1_11target_archE910ELNS1_3gpuE8ELNS1_3repE0EEENS1_30default_config_static_selectorELNS0_4arch9wavefront6targetE1EEEvSF_.num_agpr, 0
	.set _ZN7rocprim17ROCPRIM_400000_NS6detail17trampoline_kernelINS0_14default_configENS1_22reduce_config_selectorIiEEZNS1_11reduce_implILb1ES3_PiS7_iN6thrust23THRUST_200600_302600_NS4plusIiEEEE10hipError_tPvRmT1_T2_T3_mT4_P12ihipStream_tbEUlT_E1_NS1_11comp_targetILNS1_3genE4ELNS1_11target_archE910ELNS1_3gpuE8ELNS1_3repE0EEENS1_30default_config_static_selectorELNS0_4arch9wavefront6targetE1EEEvSF_.numbered_sgpr, 0
	.set _ZN7rocprim17ROCPRIM_400000_NS6detail17trampoline_kernelINS0_14default_configENS1_22reduce_config_selectorIiEEZNS1_11reduce_implILb1ES3_PiS7_iN6thrust23THRUST_200600_302600_NS4plusIiEEEE10hipError_tPvRmT1_T2_T3_mT4_P12ihipStream_tbEUlT_E1_NS1_11comp_targetILNS1_3genE4ELNS1_11target_archE910ELNS1_3gpuE8ELNS1_3repE0EEENS1_30default_config_static_selectorELNS0_4arch9wavefront6targetE1EEEvSF_.num_named_barrier, 0
	.set _ZN7rocprim17ROCPRIM_400000_NS6detail17trampoline_kernelINS0_14default_configENS1_22reduce_config_selectorIiEEZNS1_11reduce_implILb1ES3_PiS7_iN6thrust23THRUST_200600_302600_NS4plusIiEEEE10hipError_tPvRmT1_T2_T3_mT4_P12ihipStream_tbEUlT_E1_NS1_11comp_targetILNS1_3genE4ELNS1_11target_archE910ELNS1_3gpuE8ELNS1_3repE0EEENS1_30default_config_static_selectorELNS0_4arch9wavefront6targetE1EEEvSF_.private_seg_size, 0
	.set _ZN7rocprim17ROCPRIM_400000_NS6detail17trampoline_kernelINS0_14default_configENS1_22reduce_config_selectorIiEEZNS1_11reduce_implILb1ES3_PiS7_iN6thrust23THRUST_200600_302600_NS4plusIiEEEE10hipError_tPvRmT1_T2_T3_mT4_P12ihipStream_tbEUlT_E1_NS1_11comp_targetILNS1_3genE4ELNS1_11target_archE910ELNS1_3gpuE8ELNS1_3repE0EEENS1_30default_config_static_selectorELNS0_4arch9wavefront6targetE1EEEvSF_.uses_vcc, 0
	.set _ZN7rocprim17ROCPRIM_400000_NS6detail17trampoline_kernelINS0_14default_configENS1_22reduce_config_selectorIiEEZNS1_11reduce_implILb1ES3_PiS7_iN6thrust23THRUST_200600_302600_NS4plusIiEEEE10hipError_tPvRmT1_T2_T3_mT4_P12ihipStream_tbEUlT_E1_NS1_11comp_targetILNS1_3genE4ELNS1_11target_archE910ELNS1_3gpuE8ELNS1_3repE0EEENS1_30default_config_static_selectorELNS0_4arch9wavefront6targetE1EEEvSF_.uses_flat_scratch, 0
	.set _ZN7rocprim17ROCPRIM_400000_NS6detail17trampoline_kernelINS0_14default_configENS1_22reduce_config_selectorIiEEZNS1_11reduce_implILb1ES3_PiS7_iN6thrust23THRUST_200600_302600_NS4plusIiEEEE10hipError_tPvRmT1_T2_T3_mT4_P12ihipStream_tbEUlT_E1_NS1_11comp_targetILNS1_3genE4ELNS1_11target_archE910ELNS1_3gpuE8ELNS1_3repE0EEENS1_30default_config_static_selectorELNS0_4arch9wavefront6targetE1EEEvSF_.has_dyn_sized_stack, 0
	.set _ZN7rocprim17ROCPRIM_400000_NS6detail17trampoline_kernelINS0_14default_configENS1_22reduce_config_selectorIiEEZNS1_11reduce_implILb1ES3_PiS7_iN6thrust23THRUST_200600_302600_NS4plusIiEEEE10hipError_tPvRmT1_T2_T3_mT4_P12ihipStream_tbEUlT_E1_NS1_11comp_targetILNS1_3genE4ELNS1_11target_archE910ELNS1_3gpuE8ELNS1_3repE0EEENS1_30default_config_static_selectorELNS0_4arch9wavefront6targetE1EEEvSF_.has_recursion, 0
	.set _ZN7rocprim17ROCPRIM_400000_NS6detail17trampoline_kernelINS0_14default_configENS1_22reduce_config_selectorIiEEZNS1_11reduce_implILb1ES3_PiS7_iN6thrust23THRUST_200600_302600_NS4plusIiEEEE10hipError_tPvRmT1_T2_T3_mT4_P12ihipStream_tbEUlT_E1_NS1_11comp_targetILNS1_3genE4ELNS1_11target_archE910ELNS1_3gpuE8ELNS1_3repE0EEENS1_30default_config_static_selectorELNS0_4arch9wavefront6targetE1EEEvSF_.has_indirect_call, 0
	.section	.AMDGPU.csdata,"",@progbits
; Kernel info:
; codeLenInByte = 0
; TotalNumSgprs: 4
; NumVgprs: 0
; ScratchSize: 0
; MemoryBound: 0
; FloatMode: 240
; IeeeMode: 1
; LDSByteSize: 0 bytes/workgroup (compile time only)
; SGPRBlocks: 0
; VGPRBlocks: 0
; NumSGPRsForWavesPerEU: 4
; NumVGPRsForWavesPerEU: 1
; Occupancy: 10
; WaveLimiterHint : 0
; COMPUTE_PGM_RSRC2:SCRATCH_EN: 0
; COMPUTE_PGM_RSRC2:USER_SGPR: 6
; COMPUTE_PGM_RSRC2:TRAP_HANDLER: 0
; COMPUTE_PGM_RSRC2:TGID_X_EN: 1
; COMPUTE_PGM_RSRC2:TGID_Y_EN: 0
; COMPUTE_PGM_RSRC2:TGID_Z_EN: 0
; COMPUTE_PGM_RSRC2:TIDIG_COMP_CNT: 0
	.section	.text._ZN7rocprim17ROCPRIM_400000_NS6detail17trampoline_kernelINS0_14default_configENS1_22reduce_config_selectorIiEEZNS1_11reduce_implILb1ES3_PiS7_iN6thrust23THRUST_200600_302600_NS4plusIiEEEE10hipError_tPvRmT1_T2_T3_mT4_P12ihipStream_tbEUlT_E1_NS1_11comp_targetILNS1_3genE3ELNS1_11target_archE908ELNS1_3gpuE7ELNS1_3repE0EEENS1_30default_config_static_selectorELNS0_4arch9wavefront6targetE1EEEvSF_,"axG",@progbits,_ZN7rocprim17ROCPRIM_400000_NS6detail17trampoline_kernelINS0_14default_configENS1_22reduce_config_selectorIiEEZNS1_11reduce_implILb1ES3_PiS7_iN6thrust23THRUST_200600_302600_NS4plusIiEEEE10hipError_tPvRmT1_T2_T3_mT4_P12ihipStream_tbEUlT_E1_NS1_11comp_targetILNS1_3genE3ELNS1_11target_archE908ELNS1_3gpuE7ELNS1_3repE0EEENS1_30default_config_static_selectorELNS0_4arch9wavefront6targetE1EEEvSF_,comdat
	.protected	_ZN7rocprim17ROCPRIM_400000_NS6detail17trampoline_kernelINS0_14default_configENS1_22reduce_config_selectorIiEEZNS1_11reduce_implILb1ES3_PiS7_iN6thrust23THRUST_200600_302600_NS4plusIiEEEE10hipError_tPvRmT1_T2_T3_mT4_P12ihipStream_tbEUlT_E1_NS1_11comp_targetILNS1_3genE3ELNS1_11target_archE908ELNS1_3gpuE7ELNS1_3repE0EEENS1_30default_config_static_selectorELNS0_4arch9wavefront6targetE1EEEvSF_ ; -- Begin function _ZN7rocprim17ROCPRIM_400000_NS6detail17trampoline_kernelINS0_14default_configENS1_22reduce_config_selectorIiEEZNS1_11reduce_implILb1ES3_PiS7_iN6thrust23THRUST_200600_302600_NS4plusIiEEEE10hipError_tPvRmT1_T2_T3_mT4_P12ihipStream_tbEUlT_E1_NS1_11comp_targetILNS1_3genE3ELNS1_11target_archE908ELNS1_3gpuE7ELNS1_3repE0EEENS1_30default_config_static_selectorELNS0_4arch9wavefront6targetE1EEEvSF_
	.globl	_ZN7rocprim17ROCPRIM_400000_NS6detail17trampoline_kernelINS0_14default_configENS1_22reduce_config_selectorIiEEZNS1_11reduce_implILb1ES3_PiS7_iN6thrust23THRUST_200600_302600_NS4plusIiEEEE10hipError_tPvRmT1_T2_T3_mT4_P12ihipStream_tbEUlT_E1_NS1_11comp_targetILNS1_3genE3ELNS1_11target_archE908ELNS1_3gpuE7ELNS1_3repE0EEENS1_30default_config_static_selectorELNS0_4arch9wavefront6targetE1EEEvSF_
	.p2align	8
	.type	_ZN7rocprim17ROCPRIM_400000_NS6detail17trampoline_kernelINS0_14default_configENS1_22reduce_config_selectorIiEEZNS1_11reduce_implILb1ES3_PiS7_iN6thrust23THRUST_200600_302600_NS4plusIiEEEE10hipError_tPvRmT1_T2_T3_mT4_P12ihipStream_tbEUlT_E1_NS1_11comp_targetILNS1_3genE3ELNS1_11target_archE908ELNS1_3gpuE7ELNS1_3repE0EEENS1_30default_config_static_selectorELNS0_4arch9wavefront6targetE1EEEvSF_,@function
_ZN7rocprim17ROCPRIM_400000_NS6detail17trampoline_kernelINS0_14default_configENS1_22reduce_config_selectorIiEEZNS1_11reduce_implILb1ES3_PiS7_iN6thrust23THRUST_200600_302600_NS4plusIiEEEE10hipError_tPvRmT1_T2_T3_mT4_P12ihipStream_tbEUlT_E1_NS1_11comp_targetILNS1_3genE3ELNS1_11target_archE908ELNS1_3gpuE7ELNS1_3repE0EEENS1_30default_config_static_selectorELNS0_4arch9wavefront6targetE1EEEvSF_: ; @_ZN7rocprim17ROCPRIM_400000_NS6detail17trampoline_kernelINS0_14default_configENS1_22reduce_config_selectorIiEEZNS1_11reduce_implILb1ES3_PiS7_iN6thrust23THRUST_200600_302600_NS4plusIiEEEE10hipError_tPvRmT1_T2_T3_mT4_P12ihipStream_tbEUlT_E1_NS1_11comp_targetILNS1_3genE3ELNS1_11target_archE908ELNS1_3gpuE7ELNS1_3repE0EEENS1_30default_config_static_selectorELNS0_4arch9wavefront6targetE1EEEvSF_
; %bb.0:
	.section	.rodata,"a",@progbits
	.p2align	6, 0x0
	.amdhsa_kernel _ZN7rocprim17ROCPRIM_400000_NS6detail17trampoline_kernelINS0_14default_configENS1_22reduce_config_selectorIiEEZNS1_11reduce_implILb1ES3_PiS7_iN6thrust23THRUST_200600_302600_NS4plusIiEEEE10hipError_tPvRmT1_T2_T3_mT4_P12ihipStream_tbEUlT_E1_NS1_11comp_targetILNS1_3genE3ELNS1_11target_archE908ELNS1_3gpuE7ELNS1_3repE0EEENS1_30default_config_static_selectorELNS0_4arch9wavefront6targetE1EEEvSF_
		.amdhsa_group_segment_fixed_size 0
		.amdhsa_private_segment_fixed_size 0
		.amdhsa_kernarg_size 40
		.amdhsa_user_sgpr_count 6
		.amdhsa_user_sgpr_private_segment_buffer 1
		.amdhsa_user_sgpr_dispatch_ptr 0
		.amdhsa_user_sgpr_queue_ptr 0
		.amdhsa_user_sgpr_kernarg_segment_ptr 1
		.amdhsa_user_sgpr_dispatch_id 0
		.amdhsa_user_sgpr_flat_scratch_init 0
		.amdhsa_user_sgpr_private_segment_size 0
		.amdhsa_uses_dynamic_stack 0
		.amdhsa_system_sgpr_private_segment_wavefront_offset 0
		.amdhsa_system_sgpr_workgroup_id_x 1
		.amdhsa_system_sgpr_workgroup_id_y 0
		.amdhsa_system_sgpr_workgroup_id_z 0
		.amdhsa_system_sgpr_workgroup_info 0
		.amdhsa_system_vgpr_workitem_id 0
		.amdhsa_next_free_vgpr 1
		.amdhsa_next_free_sgpr 0
		.amdhsa_reserve_vcc 0
		.amdhsa_reserve_flat_scratch 0
		.amdhsa_float_round_mode_32 0
		.amdhsa_float_round_mode_16_64 0
		.amdhsa_float_denorm_mode_32 3
		.amdhsa_float_denorm_mode_16_64 3
		.amdhsa_dx10_clamp 1
		.amdhsa_ieee_mode 1
		.amdhsa_fp16_overflow 0
		.amdhsa_exception_fp_ieee_invalid_op 0
		.amdhsa_exception_fp_denorm_src 0
		.amdhsa_exception_fp_ieee_div_zero 0
		.amdhsa_exception_fp_ieee_overflow 0
		.amdhsa_exception_fp_ieee_underflow 0
		.amdhsa_exception_fp_ieee_inexact 0
		.amdhsa_exception_int_div_zero 0
	.end_amdhsa_kernel
	.section	.text._ZN7rocprim17ROCPRIM_400000_NS6detail17trampoline_kernelINS0_14default_configENS1_22reduce_config_selectorIiEEZNS1_11reduce_implILb1ES3_PiS7_iN6thrust23THRUST_200600_302600_NS4plusIiEEEE10hipError_tPvRmT1_T2_T3_mT4_P12ihipStream_tbEUlT_E1_NS1_11comp_targetILNS1_3genE3ELNS1_11target_archE908ELNS1_3gpuE7ELNS1_3repE0EEENS1_30default_config_static_selectorELNS0_4arch9wavefront6targetE1EEEvSF_,"axG",@progbits,_ZN7rocprim17ROCPRIM_400000_NS6detail17trampoline_kernelINS0_14default_configENS1_22reduce_config_selectorIiEEZNS1_11reduce_implILb1ES3_PiS7_iN6thrust23THRUST_200600_302600_NS4plusIiEEEE10hipError_tPvRmT1_T2_T3_mT4_P12ihipStream_tbEUlT_E1_NS1_11comp_targetILNS1_3genE3ELNS1_11target_archE908ELNS1_3gpuE7ELNS1_3repE0EEENS1_30default_config_static_selectorELNS0_4arch9wavefront6targetE1EEEvSF_,comdat
.Lfunc_end330:
	.size	_ZN7rocprim17ROCPRIM_400000_NS6detail17trampoline_kernelINS0_14default_configENS1_22reduce_config_selectorIiEEZNS1_11reduce_implILb1ES3_PiS7_iN6thrust23THRUST_200600_302600_NS4plusIiEEEE10hipError_tPvRmT1_T2_T3_mT4_P12ihipStream_tbEUlT_E1_NS1_11comp_targetILNS1_3genE3ELNS1_11target_archE908ELNS1_3gpuE7ELNS1_3repE0EEENS1_30default_config_static_selectorELNS0_4arch9wavefront6targetE1EEEvSF_, .Lfunc_end330-_ZN7rocprim17ROCPRIM_400000_NS6detail17trampoline_kernelINS0_14default_configENS1_22reduce_config_selectorIiEEZNS1_11reduce_implILb1ES3_PiS7_iN6thrust23THRUST_200600_302600_NS4plusIiEEEE10hipError_tPvRmT1_T2_T3_mT4_P12ihipStream_tbEUlT_E1_NS1_11comp_targetILNS1_3genE3ELNS1_11target_archE908ELNS1_3gpuE7ELNS1_3repE0EEENS1_30default_config_static_selectorELNS0_4arch9wavefront6targetE1EEEvSF_
                                        ; -- End function
	.set _ZN7rocprim17ROCPRIM_400000_NS6detail17trampoline_kernelINS0_14default_configENS1_22reduce_config_selectorIiEEZNS1_11reduce_implILb1ES3_PiS7_iN6thrust23THRUST_200600_302600_NS4plusIiEEEE10hipError_tPvRmT1_T2_T3_mT4_P12ihipStream_tbEUlT_E1_NS1_11comp_targetILNS1_3genE3ELNS1_11target_archE908ELNS1_3gpuE7ELNS1_3repE0EEENS1_30default_config_static_selectorELNS0_4arch9wavefront6targetE1EEEvSF_.num_vgpr, 0
	.set _ZN7rocprim17ROCPRIM_400000_NS6detail17trampoline_kernelINS0_14default_configENS1_22reduce_config_selectorIiEEZNS1_11reduce_implILb1ES3_PiS7_iN6thrust23THRUST_200600_302600_NS4plusIiEEEE10hipError_tPvRmT1_T2_T3_mT4_P12ihipStream_tbEUlT_E1_NS1_11comp_targetILNS1_3genE3ELNS1_11target_archE908ELNS1_3gpuE7ELNS1_3repE0EEENS1_30default_config_static_selectorELNS0_4arch9wavefront6targetE1EEEvSF_.num_agpr, 0
	.set _ZN7rocprim17ROCPRIM_400000_NS6detail17trampoline_kernelINS0_14default_configENS1_22reduce_config_selectorIiEEZNS1_11reduce_implILb1ES3_PiS7_iN6thrust23THRUST_200600_302600_NS4plusIiEEEE10hipError_tPvRmT1_T2_T3_mT4_P12ihipStream_tbEUlT_E1_NS1_11comp_targetILNS1_3genE3ELNS1_11target_archE908ELNS1_3gpuE7ELNS1_3repE0EEENS1_30default_config_static_selectorELNS0_4arch9wavefront6targetE1EEEvSF_.numbered_sgpr, 0
	.set _ZN7rocprim17ROCPRIM_400000_NS6detail17trampoline_kernelINS0_14default_configENS1_22reduce_config_selectorIiEEZNS1_11reduce_implILb1ES3_PiS7_iN6thrust23THRUST_200600_302600_NS4plusIiEEEE10hipError_tPvRmT1_T2_T3_mT4_P12ihipStream_tbEUlT_E1_NS1_11comp_targetILNS1_3genE3ELNS1_11target_archE908ELNS1_3gpuE7ELNS1_3repE0EEENS1_30default_config_static_selectorELNS0_4arch9wavefront6targetE1EEEvSF_.num_named_barrier, 0
	.set _ZN7rocprim17ROCPRIM_400000_NS6detail17trampoline_kernelINS0_14default_configENS1_22reduce_config_selectorIiEEZNS1_11reduce_implILb1ES3_PiS7_iN6thrust23THRUST_200600_302600_NS4plusIiEEEE10hipError_tPvRmT1_T2_T3_mT4_P12ihipStream_tbEUlT_E1_NS1_11comp_targetILNS1_3genE3ELNS1_11target_archE908ELNS1_3gpuE7ELNS1_3repE0EEENS1_30default_config_static_selectorELNS0_4arch9wavefront6targetE1EEEvSF_.private_seg_size, 0
	.set _ZN7rocprim17ROCPRIM_400000_NS6detail17trampoline_kernelINS0_14default_configENS1_22reduce_config_selectorIiEEZNS1_11reduce_implILb1ES3_PiS7_iN6thrust23THRUST_200600_302600_NS4plusIiEEEE10hipError_tPvRmT1_T2_T3_mT4_P12ihipStream_tbEUlT_E1_NS1_11comp_targetILNS1_3genE3ELNS1_11target_archE908ELNS1_3gpuE7ELNS1_3repE0EEENS1_30default_config_static_selectorELNS0_4arch9wavefront6targetE1EEEvSF_.uses_vcc, 0
	.set _ZN7rocprim17ROCPRIM_400000_NS6detail17trampoline_kernelINS0_14default_configENS1_22reduce_config_selectorIiEEZNS1_11reduce_implILb1ES3_PiS7_iN6thrust23THRUST_200600_302600_NS4plusIiEEEE10hipError_tPvRmT1_T2_T3_mT4_P12ihipStream_tbEUlT_E1_NS1_11comp_targetILNS1_3genE3ELNS1_11target_archE908ELNS1_3gpuE7ELNS1_3repE0EEENS1_30default_config_static_selectorELNS0_4arch9wavefront6targetE1EEEvSF_.uses_flat_scratch, 0
	.set _ZN7rocprim17ROCPRIM_400000_NS6detail17trampoline_kernelINS0_14default_configENS1_22reduce_config_selectorIiEEZNS1_11reduce_implILb1ES3_PiS7_iN6thrust23THRUST_200600_302600_NS4plusIiEEEE10hipError_tPvRmT1_T2_T3_mT4_P12ihipStream_tbEUlT_E1_NS1_11comp_targetILNS1_3genE3ELNS1_11target_archE908ELNS1_3gpuE7ELNS1_3repE0EEENS1_30default_config_static_selectorELNS0_4arch9wavefront6targetE1EEEvSF_.has_dyn_sized_stack, 0
	.set _ZN7rocprim17ROCPRIM_400000_NS6detail17trampoline_kernelINS0_14default_configENS1_22reduce_config_selectorIiEEZNS1_11reduce_implILb1ES3_PiS7_iN6thrust23THRUST_200600_302600_NS4plusIiEEEE10hipError_tPvRmT1_T2_T3_mT4_P12ihipStream_tbEUlT_E1_NS1_11comp_targetILNS1_3genE3ELNS1_11target_archE908ELNS1_3gpuE7ELNS1_3repE0EEENS1_30default_config_static_selectorELNS0_4arch9wavefront6targetE1EEEvSF_.has_recursion, 0
	.set _ZN7rocprim17ROCPRIM_400000_NS6detail17trampoline_kernelINS0_14default_configENS1_22reduce_config_selectorIiEEZNS1_11reduce_implILb1ES3_PiS7_iN6thrust23THRUST_200600_302600_NS4plusIiEEEE10hipError_tPvRmT1_T2_T3_mT4_P12ihipStream_tbEUlT_E1_NS1_11comp_targetILNS1_3genE3ELNS1_11target_archE908ELNS1_3gpuE7ELNS1_3repE0EEENS1_30default_config_static_selectorELNS0_4arch9wavefront6targetE1EEEvSF_.has_indirect_call, 0
	.section	.AMDGPU.csdata,"",@progbits
; Kernel info:
; codeLenInByte = 0
; TotalNumSgprs: 4
; NumVgprs: 0
; ScratchSize: 0
; MemoryBound: 0
; FloatMode: 240
; IeeeMode: 1
; LDSByteSize: 0 bytes/workgroup (compile time only)
; SGPRBlocks: 0
; VGPRBlocks: 0
; NumSGPRsForWavesPerEU: 4
; NumVGPRsForWavesPerEU: 1
; Occupancy: 10
; WaveLimiterHint : 0
; COMPUTE_PGM_RSRC2:SCRATCH_EN: 0
; COMPUTE_PGM_RSRC2:USER_SGPR: 6
; COMPUTE_PGM_RSRC2:TRAP_HANDLER: 0
; COMPUTE_PGM_RSRC2:TGID_X_EN: 1
; COMPUTE_PGM_RSRC2:TGID_Y_EN: 0
; COMPUTE_PGM_RSRC2:TGID_Z_EN: 0
; COMPUTE_PGM_RSRC2:TIDIG_COMP_CNT: 0
	.section	.text._ZN7rocprim17ROCPRIM_400000_NS6detail17trampoline_kernelINS0_14default_configENS1_22reduce_config_selectorIiEEZNS1_11reduce_implILb1ES3_PiS7_iN6thrust23THRUST_200600_302600_NS4plusIiEEEE10hipError_tPvRmT1_T2_T3_mT4_P12ihipStream_tbEUlT_E1_NS1_11comp_targetILNS1_3genE2ELNS1_11target_archE906ELNS1_3gpuE6ELNS1_3repE0EEENS1_30default_config_static_selectorELNS0_4arch9wavefront6targetE1EEEvSF_,"axG",@progbits,_ZN7rocprim17ROCPRIM_400000_NS6detail17trampoline_kernelINS0_14default_configENS1_22reduce_config_selectorIiEEZNS1_11reduce_implILb1ES3_PiS7_iN6thrust23THRUST_200600_302600_NS4plusIiEEEE10hipError_tPvRmT1_T2_T3_mT4_P12ihipStream_tbEUlT_E1_NS1_11comp_targetILNS1_3genE2ELNS1_11target_archE906ELNS1_3gpuE6ELNS1_3repE0EEENS1_30default_config_static_selectorELNS0_4arch9wavefront6targetE1EEEvSF_,comdat
	.protected	_ZN7rocprim17ROCPRIM_400000_NS6detail17trampoline_kernelINS0_14default_configENS1_22reduce_config_selectorIiEEZNS1_11reduce_implILb1ES3_PiS7_iN6thrust23THRUST_200600_302600_NS4plusIiEEEE10hipError_tPvRmT1_T2_T3_mT4_P12ihipStream_tbEUlT_E1_NS1_11comp_targetILNS1_3genE2ELNS1_11target_archE906ELNS1_3gpuE6ELNS1_3repE0EEENS1_30default_config_static_selectorELNS0_4arch9wavefront6targetE1EEEvSF_ ; -- Begin function _ZN7rocprim17ROCPRIM_400000_NS6detail17trampoline_kernelINS0_14default_configENS1_22reduce_config_selectorIiEEZNS1_11reduce_implILb1ES3_PiS7_iN6thrust23THRUST_200600_302600_NS4plusIiEEEE10hipError_tPvRmT1_T2_T3_mT4_P12ihipStream_tbEUlT_E1_NS1_11comp_targetILNS1_3genE2ELNS1_11target_archE906ELNS1_3gpuE6ELNS1_3repE0EEENS1_30default_config_static_selectorELNS0_4arch9wavefront6targetE1EEEvSF_
	.globl	_ZN7rocprim17ROCPRIM_400000_NS6detail17trampoline_kernelINS0_14default_configENS1_22reduce_config_selectorIiEEZNS1_11reduce_implILb1ES3_PiS7_iN6thrust23THRUST_200600_302600_NS4plusIiEEEE10hipError_tPvRmT1_T2_T3_mT4_P12ihipStream_tbEUlT_E1_NS1_11comp_targetILNS1_3genE2ELNS1_11target_archE906ELNS1_3gpuE6ELNS1_3repE0EEENS1_30default_config_static_selectorELNS0_4arch9wavefront6targetE1EEEvSF_
	.p2align	8
	.type	_ZN7rocprim17ROCPRIM_400000_NS6detail17trampoline_kernelINS0_14default_configENS1_22reduce_config_selectorIiEEZNS1_11reduce_implILb1ES3_PiS7_iN6thrust23THRUST_200600_302600_NS4plusIiEEEE10hipError_tPvRmT1_T2_T3_mT4_P12ihipStream_tbEUlT_E1_NS1_11comp_targetILNS1_3genE2ELNS1_11target_archE906ELNS1_3gpuE6ELNS1_3repE0EEENS1_30default_config_static_selectorELNS0_4arch9wavefront6targetE1EEEvSF_,@function
_ZN7rocprim17ROCPRIM_400000_NS6detail17trampoline_kernelINS0_14default_configENS1_22reduce_config_selectorIiEEZNS1_11reduce_implILb1ES3_PiS7_iN6thrust23THRUST_200600_302600_NS4plusIiEEEE10hipError_tPvRmT1_T2_T3_mT4_P12ihipStream_tbEUlT_E1_NS1_11comp_targetILNS1_3genE2ELNS1_11target_archE906ELNS1_3gpuE6ELNS1_3repE0EEENS1_30default_config_static_selectorELNS0_4arch9wavefront6targetE1EEEvSF_: ; @_ZN7rocprim17ROCPRIM_400000_NS6detail17trampoline_kernelINS0_14default_configENS1_22reduce_config_selectorIiEEZNS1_11reduce_implILb1ES3_PiS7_iN6thrust23THRUST_200600_302600_NS4plusIiEEEE10hipError_tPvRmT1_T2_T3_mT4_P12ihipStream_tbEUlT_E1_NS1_11comp_targetILNS1_3genE2ELNS1_11target_archE906ELNS1_3gpuE6ELNS1_3repE0EEENS1_30default_config_static_selectorELNS0_4arch9wavefront6targetE1EEEvSF_
; %bb.0:
	s_load_dword s33, s[4:5], 0x4
	s_load_dwordx4 s[36:39], s[4:5], 0x8
	s_waitcnt lgkmcnt(0)
	s_cmp_lt_i32 s33, 8
	s_cbranch_scc1 .LBB331_11
; %bb.1:
	s_cmp_gt_i32 s33, 15
	s_cbranch_scc0 .LBB331_12
; %bb.2:
	s_cmp_gt_i32 s33, 31
	s_cbranch_scc0 .LBB331_13
; %bb.3:
	s_cmp_eq_u32 s33, 32
	s_mov_b64 s[0:1], 0
	s_cbranch_scc0 .LBB331_14
; %bb.4:
	s_mov_b32 s7, 0
	s_lshl_b32 s8, s6, 13
	s_mov_b32 s9, s7
	s_lshr_b64 s[10:11], s[38:39], 13
	s_lshl_b64 s[2:3], s[8:9], 2
	s_add_u32 s2, s36, s2
	s_addc_u32 s3, s37, s3
	s_cmp_lg_u64 s[10:11], s[6:7]
	s_cbranch_scc0 .LBB331_23
; %bb.5:
	v_lshlrev_b32_e32 v7, 2, v0
	v_mov_b32_e32 v1, s3
	v_add_co_u32_e32 v8, vcc, s2, v7
	v_addc_co_u32_e32 v9, vcc, 0, v1, vcc
	v_add_co_u32_e32 v1, vcc, 0x1000, v8
	v_addc_co_u32_e32 v2, vcc, 0, v9, vcc
	;; [unrolled: 2-line block ×4, first 2 shown]
	global_load_dword v10, v[3:4], off
	global_load_dword v11, v[3:4], off offset:1024
	global_load_dword v12, v[3:4], off offset:2048
	;; [unrolled: 1-line block ×3, first 2 shown]
	global_load_dword v14, v[5:6], off
	global_load_dword v15, v[5:6], off offset:1024
	global_load_dword v16, v[5:6], off offset:2048
	;; [unrolled: 1-line block ×3, first 2 shown]
	v_add_co_u32_e32 v3, vcc, 0x4000, v8
	v_addc_co_u32_e32 v4, vcc, 0, v9, vcc
	v_add_co_u32_e32 v5, vcc, 0x5000, v8
	v_addc_co_u32_e32 v6, vcc, 0, v9, vcc
	global_load_dword v18, v[3:4], off
	global_load_dword v19, v[3:4], off offset:1024
	global_load_dword v20, v[3:4], off offset:2048
	;; [unrolled: 1-line block ×3, first 2 shown]
	global_load_dword v22, v[5:6], off
	global_load_dword v23, v[5:6], off offset:1024
	global_load_dword v24, v[5:6], off offset:2048
	;; [unrolled: 1-line block ×3, first 2 shown]
	v_add_co_u32_e32 v3, vcc, 0x6000, v8
	v_addc_co_u32_e32 v4, vcc, 0, v9, vcc
	v_add_co_u32_e32 v5, vcc, 0x7000, v8
	v_addc_co_u32_e32 v6, vcc, 0, v9, vcc
	global_load_dword v8, v[3:4], off
	global_load_dword v9, v[3:4], off offset:1024
	global_load_dword v26, v[3:4], off offset:2048
	;; [unrolled: 1-line block ×3, first 2 shown]
	global_load_dword v28, v[5:6], off
	global_load_dword v29, v[5:6], off offset:1024
	global_load_dword v30, v[5:6], off offset:2048
	;; [unrolled: 1-line block ×3, first 2 shown]
	global_load_dword v32, v7, s[2:3]
	global_load_dword v33, v[1:2], off
	global_load_dword v34, v[1:2], off offset:1024
	global_load_dword v35, v[1:2], off offset:2048
	;; [unrolled: 1-line block ×3, first 2 shown]
	global_load_dword v37, v7, s[2:3] offset:1024
	global_load_dword v38, v7, s[2:3] offset:2048
                                        ; kill: killed $vgpr5 killed $vgpr6
                                        ; kill: killed $vgpr1 killed $vgpr2
                                        ; kill: killed $vgpr3 killed $vgpr4
	s_nop 0
	global_load_dword v1, v7, s[2:3] offset:3072
	s_waitcnt vmcnt(2)
	v_add_u32_e32 v2, v37, v32
	s_waitcnt vmcnt(0)
	v_add3_u32 v1, v2, v38, v1
	v_add3_u32 v1, v1, v33, v34
	;; [unrolled: 1-line block ×15, first 2 shown]
	v_mbcnt_lo_u32_b32 v2, -1, 0
	v_mbcnt_hi_u32_b32 v2, -1, v2
	v_add_u32_dpp v1, v1, v1 quad_perm:[1,0,3,2] row_mask:0xf bank_mask:0xf bound_ctrl:1
	v_lshlrev_b32_e32 v3, 2, v2
	v_or_b32_e32 v4, 0xfc, v3
	v_add_u32_dpp v1, v1, v1 quad_perm:[2,3,0,1] row_mask:0xf bank_mask:0xf bound_ctrl:1
	v_cmp_eq_u32_e32 vcc, 0, v2
	s_nop 0
	v_add_u32_dpp v1, v1, v1 row_ror:4 row_mask:0xf bank_mask:0xf bound_ctrl:1
	s_nop 1
	v_add_u32_dpp v1, v1, v1 row_ror:8 row_mask:0xf bank_mask:0xf bound_ctrl:1
	s_nop 1
	v_add_u32_dpp v1, v1, v1 row_bcast:15 row_mask:0xf bank_mask:0xf bound_ctrl:1
	s_nop 1
	v_add_u32_dpp v1, v1, v1 row_bcast:31 row_mask:0xf bank_mask:0xf bound_ctrl:1
	ds_bpermute_b32 v1, v4, v1
	s_and_saveexec_b64 s[10:11], vcc
	s_cbranch_execz .LBB331_7
; %bb.6:
	v_lshrrev_b32_e32 v4, 4, v0
	v_and_b32_e32 v4, 12, v4
	s_waitcnt lgkmcnt(0)
	ds_write_b32 v4, v1 offset:48
.LBB331_7:
	s_or_b64 exec, exec, s[10:11]
	v_cmp_gt_u32_e32 vcc, 64, v0
	s_waitcnt lgkmcnt(0)
	s_barrier
	s_and_saveexec_b64 s[10:11], vcc
	s_cbranch_execz .LBB331_9
; %bb.8:
	v_and_b32_e32 v1, 3, v2
	v_lshlrev_b32_e32 v4, 2, v1
	ds_read_b32 v4, v4 offset:48
	v_cmp_ne_u32_e32 vcc, 3, v1
	v_addc_co_u32_e32 v1, vcc, 0, v2, vcc
	v_lshlrev_b32_e32 v1, 2, v1
	s_waitcnt lgkmcnt(0)
	ds_bpermute_b32 v1, v1, v4
	v_or_b32_e32 v2, 8, v3
	s_waitcnt lgkmcnt(0)
	v_add_u32_e32 v1, v1, v4
	ds_bpermute_b32 v2, v2, v1
	s_waitcnt lgkmcnt(0)
	v_add_u32_e32 v1, v2, v1
.LBB331_9:
	s_or_b64 exec, exec, s[10:11]
.LBB331_10:
	v_cmp_eq_u32_e64 s[2:3], 0, v0
	s_and_b64 vcc, exec, s[0:1]
	s_cbranch_vccnz .LBB331_15
	s_branch .LBB331_93
.LBB331_11:
	s_mov_b64 s[2:3], 0
                                        ; implicit-def: $vgpr1
	s_cbranch_execnz .LBB331_166
	s_branch .LBB331_224
.LBB331_12:
	s_mov_b64 s[2:3], 0
                                        ; implicit-def: $vgpr1
	s_cbranch_execnz .LBB331_134
	s_branch .LBB331_142
.LBB331_13:
	s_mov_b64 s[0:1], -1
.LBB331_14:
	s_mov_b64 s[2:3], 0
                                        ; implicit-def: $vgpr1
	s_and_b64 vcc, exec, s[0:1]
	s_cbranch_vccz .LBB331_93
.LBB331_15:
	s_cmp_eq_u32 s33, 16
	s_cbranch_scc0 .LBB331_22
; %bb.16:
	s_mov_b32 s7, 0
	s_lshl_b32 s0, s6, 12
	s_mov_b32 s1, s7
	s_lshr_b64 s[2:3], s[38:39], 12
	s_lshl_b64 s[8:9], s[0:1], 2
	s_add_u32 s34, s36, s8
	s_addc_u32 s35, s37, s9
	s_cmp_lg_u64 s[2:3], s[6:7]
	s_cbranch_scc0 .LBB331_94
; %bb.17:
	v_lshlrev_b32_e32 v3, 2, v0
	v_mov_b32_e32 v1, s35
	v_add_co_u32_e32 v4, vcc, s34, v3
	v_addc_co_u32_e32 v5, vcc, 0, v1, vcc
	v_add_co_u32_e32 v1, vcc, 0x1000, v4
	v_addc_co_u32_e32 v2, vcc, 0, v5, vcc
	global_load_dword v6, v3, s[34:35]
	global_load_dword v7, v3, s[34:35] offset:1024
	global_load_dword v8, v3, s[34:35] offset:2048
	;; [unrolled: 1-line block ×3, first 2 shown]
	global_load_dword v10, v[1:2], off
	global_load_dword v11, v[1:2], off offset:1024
	global_load_dword v12, v[1:2], off offset:2048
	;; [unrolled: 1-line block ×3, first 2 shown]
	v_add_co_u32_e32 v1, vcc, 0x2000, v4
	v_addc_co_u32_e32 v2, vcc, 0, v5, vcc
	v_add_co_u32_e32 v3, vcc, 0x3000, v4
	v_addc_co_u32_e32 v4, vcc, 0, v5, vcc
	global_load_dword v5, v[1:2], off
	global_load_dword v14, v[1:2], off offset:1024
	global_load_dword v15, v[1:2], off offset:2048
	global_load_dword v16, v[1:2], off offset:3072
	global_load_dword v17, v[3:4], off
	global_load_dword v18, v[3:4], off offset:1024
	global_load_dword v19, v[3:4], off offset:2048
	;; [unrolled: 1-line block ×3, first 2 shown]
	v_mbcnt_lo_u32_b32 v1, -1, 0
	v_mbcnt_hi_u32_b32 v2, -1, v1
	v_lshlrev_b32_e32 v3, 2, v2
	v_or_b32_e32 v4, 0xfc, v3
	v_cmp_eq_u32_e32 vcc, 0, v2
	s_waitcnt vmcnt(14)
	v_add_u32_e32 v1, v7, v6
	s_waitcnt vmcnt(12)
	v_add3_u32 v1, v1, v8, v9
	s_waitcnt vmcnt(10)
	v_add3_u32 v1, v1, v10, v11
	;; [unrolled: 2-line block ×7, first 2 shown]
	s_nop 1
	v_add_u32_dpp v1, v1, v1 quad_perm:[1,0,3,2] row_mask:0xf bank_mask:0xf bound_ctrl:1
	s_nop 1
	v_add_u32_dpp v1, v1, v1 quad_perm:[2,3,0,1] row_mask:0xf bank_mask:0xf bound_ctrl:1
	s_nop 1
	v_add_u32_dpp v1, v1, v1 row_ror:4 row_mask:0xf bank_mask:0xf bound_ctrl:1
	s_nop 1
	v_add_u32_dpp v1, v1, v1 row_ror:8 row_mask:0xf bank_mask:0xf bound_ctrl:1
	s_nop 1
	v_add_u32_dpp v1, v1, v1 row_bcast:15 row_mask:0xf bank_mask:0xf bound_ctrl:1
	s_nop 1
	v_add_u32_dpp v1, v1, v1 row_bcast:31 row_mask:0xf bank_mask:0xf bound_ctrl:1
	ds_bpermute_b32 v1, v4, v1
	s_and_saveexec_b64 s[2:3], vcc
	s_cbranch_execz .LBB331_19
; %bb.18:
	v_lshrrev_b32_e32 v4, 4, v0
	v_and_b32_e32 v4, 12, v4
	s_waitcnt lgkmcnt(0)
	ds_write_b32 v4, v1
.LBB331_19:
	s_or_b64 exec, exec, s[2:3]
	v_cmp_gt_u32_e32 vcc, 64, v0
	s_waitcnt lgkmcnt(0)
	s_barrier
	s_and_saveexec_b64 s[2:3], vcc
	s_cbranch_execz .LBB331_21
; %bb.20:
	v_and_b32_e32 v1, 3, v2
	v_lshlrev_b32_e32 v4, 2, v1
	ds_read_b32 v4, v4
	v_cmp_ne_u32_e32 vcc, 3, v1
	v_addc_co_u32_e32 v1, vcc, 0, v2, vcc
	v_lshlrev_b32_e32 v1, 2, v1
	s_waitcnt lgkmcnt(0)
	ds_bpermute_b32 v1, v1, v4
	v_or_b32_e32 v2, 8, v3
	s_waitcnt lgkmcnt(0)
	v_add_u32_e32 v1, v1, v4
	ds_bpermute_b32 v2, v2, v1
	s_waitcnt lgkmcnt(0)
	v_add_u32_e32 v1, v2, v1
.LBB331_21:
	s_or_b64 exec, exec, s[2:3]
	s_mov_b64 s[2:3], 0
	s_branch .LBB331_95
.LBB331_22:
                                        ; implicit-def: $vgpr1
	s_branch .LBB331_142
.LBB331_23:
                                        ; implicit-def: $vgpr1
	s_cbranch_execz .LBB331_10
; %bb.24:
	s_sub_i32 s10, s38, s8
	v_cmp_gt_u32_e32 vcc, s10, v0
                                        ; implicit-def: $vgpr1
	s_and_saveexec_b64 s[8:9], vcc
	s_cbranch_execz .LBB331_26
; %bb.25:
	v_lshlrev_b32_e32 v1, 2, v0
	global_load_dword v1, v1, s[2:3]
.LBB331_26:
	s_or_b64 exec, exec, s[8:9]
	v_or_b32_e32 v2, 0x100, v0
	v_cmp_gt_u32_e32 vcc, s10, v2
	v_mov_b32_e32 v2, 0
	v_mov_b32_e32 v3, 0
	s_and_saveexec_b64 s[8:9], vcc
	s_cbranch_execz .LBB331_28
; %bb.27:
	v_lshlrev_b32_e32 v3, 2, v0
	global_load_dword v3, v3, s[2:3] offset:1024
.LBB331_28:
	s_or_b64 exec, exec, s[8:9]
	v_or_b32_e32 v4, 0x200, v0
	v_cmp_gt_u32_e32 vcc, s10, v4
	s_and_saveexec_b64 s[8:9], vcc
	s_cbranch_execz .LBB331_30
; %bb.29:
	v_lshlrev_b32_e32 v2, 2, v0
	global_load_dword v2, v2, s[2:3] offset:2048
.LBB331_30:
	s_or_b64 exec, exec, s[8:9]
	v_or_b32_e32 v4, 0x300, v0
	v_cmp_gt_u32_e32 vcc, s10, v4
	v_mov_b32_e32 v4, 0
	v_mov_b32_e32 v5, 0
	s_and_saveexec_b64 s[8:9], vcc
	s_cbranch_execz .LBB331_32
; %bb.31:
	v_lshlrev_b32_e32 v5, 2, v0
	global_load_dword v5, v5, s[2:3] offset:3072
.LBB331_32:
	s_or_b64 exec, exec, s[8:9]
	v_or_b32_e32 v6, 0x400, v0
	v_cmp_gt_u32_e32 vcc, s10, v6
	s_and_saveexec_b64 s[8:9], vcc
	s_cbranch_execz .LBB331_34
; %bb.33:
	v_lshlrev_b32_e32 v4, 2, v6
	global_load_dword v4, v4, s[2:3]
.LBB331_34:
	s_or_b64 exec, exec, s[8:9]
	v_or_b32_e32 v8, 0x500, v0
	v_cmp_gt_u32_e32 vcc, s10, v8
	v_mov_b32_e32 v6, 0
	v_mov_b32_e32 v7, 0
	s_and_saveexec_b64 s[8:9], vcc
	s_cbranch_execz .LBB331_36
; %bb.35:
	v_lshlrev_b32_e32 v7, 2, v8
	global_load_dword v7, v7, s[2:3]
.LBB331_36:
	s_or_b64 exec, exec, s[8:9]
	v_or_b32_e32 v8, 0x600, v0
	v_cmp_gt_u32_e32 vcc, s10, v8
	s_and_saveexec_b64 s[8:9], vcc
	s_cbranch_execz .LBB331_38
; %bb.37:
	v_lshlrev_b32_e32 v6, 2, v8
	global_load_dword v6, v6, s[2:3]
.LBB331_38:
	s_or_b64 exec, exec, s[8:9]
	v_or_b32_e32 v10, 0x700, v0
	v_cmp_gt_u32_e32 vcc, s10, v10
	v_mov_b32_e32 v8, 0
	v_mov_b32_e32 v9, 0
	s_and_saveexec_b64 s[8:9], vcc
	s_cbranch_execz .LBB331_40
; %bb.39:
	v_lshlrev_b32_e32 v9, 2, v10
	global_load_dword v9, v9, s[2:3]
.LBB331_40:
	s_or_b64 exec, exec, s[8:9]
	v_or_b32_e32 v10, 0x800, v0
	v_cmp_gt_u32_e32 vcc, s10, v10
	s_and_saveexec_b64 s[8:9], vcc
	s_cbranch_execz .LBB331_42
; %bb.41:
	v_lshlrev_b32_e32 v8, 2, v10
	global_load_dword v8, v8, s[2:3]
.LBB331_42:
	s_or_b64 exec, exec, s[8:9]
	v_or_b32_e32 v12, 0x900, v0
	v_cmp_gt_u32_e32 vcc, s10, v12
	v_mov_b32_e32 v10, 0
	v_mov_b32_e32 v11, 0
	s_and_saveexec_b64 s[8:9], vcc
	s_cbranch_execz .LBB331_44
; %bb.43:
	v_lshlrev_b32_e32 v11, 2, v12
	global_load_dword v11, v11, s[2:3]
.LBB331_44:
	s_or_b64 exec, exec, s[8:9]
	v_or_b32_e32 v12, 0xa00, v0
	v_cmp_gt_u32_e32 vcc, s10, v12
	s_and_saveexec_b64 s[8:9], vcc
	s_cbranch_execz .LBB331_46
; %bb.45:
	v_lshlrev_b32_e32 v10, 2, v12
	global_load_dword v10, v10, s[2:3]
.LBB331_46:
	s_or_b64 exec, exec, s[8:9]
	v_or_b32_e32 v14, 0xb00, v0
	v_cmp_gt_u32_e32 vcc, s10, v14
	v_mov_b32_e32 v12, 0
	v_mov_b32_e32 v13, 0
	s_and_saveexec_b64 s[8:9], vcc
	s_cbranch_execz .LBB331_48
; %bb.47:
	v_lshlrev_b32_e32 v13, 2, v14
	global_load_dword v13, v13, s[2:3]
.LBB331_48:
	s_or_b64 exec, exec, s[8:9]
	v_or_b32_e32 v14, 0xc00, v0
	v_cmp_gt_u32_e32 vcc, s10, v14
	s_and_saveexec_b64 s[8:9], vcc
	s_cbranch_execz .LBB331_50
; %bb.49:
	v_lshlrev_b32_e32 v12, 2, v14
	global_load_dword v12, v12, s[2:3]
.LBB331_50:
	s_or_b64 exec, exec, s[8:9]
	v_or_b32_e32 v16, 0xd00, v0
	v_cmp_gt_u32_e32 vcc, s10, v16
	v_mov_b32_e32 v14, 0
	v_mov_b32_e32 v15, 0
	s_and_saveexec_b64 s[8:9], vcc
	s_cbranch_execz .LBB331_52
; %bb.51:
	v_lshlrev_b32_e32 v15, 2, v16
	global_load_dword v15, v15, s[2:3]
.LBB331_52:
	s_or_b64 exec, exec, s[8:9]
	v_or_b32_e32 v16, 0xe00, v0
	v_cmp_gt_u32_e32 vcc, s10, v16
	s_and_saveexec_b64 s[8:9], vcc
	s_cbranch_execz .LBB331_54
; %bb.53:
	v_lshlrev_b32_e32 v14, 2, v16
	global_load_dword v14, v14, s[2:3]
.LBB331_54:
	s_or_b64 exec, exec, s[8:9]
	v_or_b32_e32 v18, 0xf00, v0
	v_cmp_gt_u32_e32 vcc, s10, v18
	v_mov_b32_e32 v16, 0
	v_mov_b32_e32 v17, 0
	s_and_saveexec_b64 s[8:9], vcc
	s_cbranch_execz .LBB331_56
; %bb.55:
	v_lshlrev_b32_e32 v17, 2, v18
	global_load_dword v17, v17, s[2:3]
.LBB331_56:
	s_or_b64 exec, exec, s[8:9]
	v_or_b32_e32 v18, 0x1000, v0
	v_cmp_gt_u32_e32 vcc, s10, v18
	s_and_saveexec_b64 s[8:9], vcc
	s_cbranch_execz .LBB331_58
; %bb.57:
	v_lshlrev_b32_e32 v16, 2, v18
	global_load_dword v16, v16, s[2:3]
.LBB331_58:
	s_or_b64 exec, exec, s[8:9]
	v_or_b32_e32 v20, 0x1100, v0
	v_cmp_gt_u32_e32 vcc, s10, v20
	v_mov_b32_e32 v18, 0
	v_mov_b32_e32 v19, 0
	s_and_saveexec_b64 s[8:9], vcc
	s_cbranch_execz .LBB331_60
; %bb.59:
	v_lshlrev_b32_e32 v19, 2, v20
	global_load_dword v19, v19, s[2:3]
.LBB331_60:
	s_or_b64 exec, exec, s[8:9]
	v_or_b32_e32 v20, 0x1200, v0
	v_cmp_gt_u32_e32 vcc, s10, v20
	s_and_saveexec_b64 s[8:9], vcc
	s_cbranch_execz .LBB331_62
; %bb.61:
	v_lshlrev_b32_e32 v18, 2, v20
	global_load_dword v18, v18, s[2:3]
.LBB331_62:
	s_or_b64 exec, exec, s[8:9]
	v_or_b32_e32 v22, 0x1300, v0
	v_cmp_gt_u32_e32 vcc, s10, v22
	v_mov_b32_e32 v20, 0
	v_mov_b32_e32 v21, 0
	s_and_saveexec_b64 s[8:9], vcc
	s_cbranch_execz .LBB331_64
; %bb.63:
	v_lshlrev_b32_e32 v21, 2, v22
	global_load_dword v21, v21, s[2:3]
.LBB331_64:
	s_or_b64 exec, exec, s[8:9]
	v_or_b32_e32 v22, 0x1400, v0
	v_cmp_gt_u32_e32 vcc, s10, v22
	s_and_saveexec_b64 s[8:9], vcc
	s_cbranch_execz .LBB331_66
; %bb.65:
	v_lshlrev_b32_e32 v20, 2, v22
	global_load_dword v20, v20, s[2:3]
.LBB331_66:
	s_or_b64 exec, exec, s[8:9]
	v_or_b32_e32 v24, 0x1500, v0
	v_cmp_gt_u32_e32 vcc, s10, v24
	v_mov_b32_e32 v22, 0
	v_mov_b32_e32 v23, 0
	s_and_saveexec_b64 s[8:9], vcc
	s_cbranch_execz .LBB331_68
; %bb.67:
	v_lshlrev_b32_e32 v23, 2, v24
	global_load_dword v23, v23, s[2:3]
.LBB331_68:
	s_or_b64 exec, exec, s[8:9]
	v_or_b32_e32 v24, 0x1600, v0
	v_cmp_gt_u32_e32 vcc, s10, v24
	s_and_saveexec_b64 s[8:9], vcc
	s_cbranch_execz .LBB331_70
; %bb.69:
	v_lshlrev_b32_e32 v22, 2, v24
	global_load_dword v22, v22, s[2:3]
.LBB331_70:
	s_or_b64 exec, exec, s[8:9]
	v_or_b32_e32 v26, 0x1700, v0
	v_cmp_gt_u32_e32 vcc, s10, v26
	v_mov_b32_e32 v24, 0
	v_mov_b32_e32 v25, 0
	s_and_saveexec_b64 s[8:9], vcc
	s_cbranch_execz .LBB331_72
; %bb.71:
	v_lshlrev_b32_e32 v25, 2, v26
	global_load_dword v25, v25, s[2:3]
.LBB331_72:
	s_or_b64 exec, exec, s[8:9]
	v_or_b32_e32 v26, 0x1800, v0
	v_cmp_gt_u32_e32 vcc, s10, v26
	s_and_saveexec_b64 s[8:9], vcc
	s_cbranch_execz .LBB331_74
; %bb.73:
	v_lshlrev_b32_e32 v24, 2, v26
	global_load_dword v24, v24, s[2:3]
.LBB331_74:
	s_or_b64 exec, exec, s[8:9]
	v_or_b32_e32 v28, 0x1900, v0
	v_cmp_gt_u32_e32 vcc, s10, v28
	v_mov_b32_e32 v26, 0
	v_mov_b32_e32 v27, 0
	s_and_saveexec_b64 s[8:9], vcc
	s_cbranch_execz .LBB331_76
; %bb.75:
	v_lshlrev_b32_e32 v27, 2, v28
	global_load_dword v27, v27, s[2:3]
.LBB331_76:
	s_or_b64 exec, exec, s[8:9]
	v_or_b32_e32 v28, 0x1a00, v0
	v_cmp_gt_u32_e32 vcc, s10, v28
	s_and_saveexec_b64 s[8:9], vcc
	s_cbranch_execz .LBB331_78
; %bb.77:
	v_lshlrev_b32_e32 v26, 2, v28
	global_load_dword v26, v26, s[2:3]
.LBB331_78:
	s_or_b64 exec, exec, s[8:9]
	v_or_b32_e32 v30, 0x1b00, v0
	v_cmp_gt_u32_e32 vcc, s10, v30
	v_mov_b32_e32 v28, 0
	v_mov_b32_e32 v29, 0
	s_and_saveexec_b64 s[8:9], vcc
	s_cbranch_execz .LBB331_80
; %bb.79:
	v_lshlrev_b32_e32 v29, 2, v30
	global_load_dword v29, v29, s[2:3]
.LBB331_80:
	s_or_b64 exec, exec, s[8:9]
	v_or_b32_e32 v30, 0x1c00, v0
	v_cmp_gt_u32_e32 vcc, s10, v30
	s_and_saveexec_b64 s[8:9], vcc
	s_cbranch_execz .LBB331_82
; %bb.81:
	v_lshlrev_b32_e32 v28, 2, v30
	global_load_dword v28, v28, s[2:3]
.LBB331_82:
	s_or_b64 exec, exec, s[8:9]
	v_or_b32_e32 v32, 0x1d00, v0
	v_cmp_gt_u32_e32 vcc, s10, v32
	v_mov_b32_e32 v30, 0
	v_mov_b32_e32 v31, 0
	s_and_saveexec_b64 s[8:9], vcc
	s_cbranch_execz .LBB331_84
; %bb.83:
	v_lshlrev_b32_e32 v31, 2, v32
	global_load_dword v31, v31, s[2:3]
.LBB331_84:
	s_or_b64 exec, exec, s[8:9]
	v_or_b32_e32 v32, 0x1e00, v0
	v_cmp_gt_u32_e32 vcc, s10, v32
	s_and_saveexec_b64 s[8:9], vcc
	s_cbranch_execz .LBB331_86
; %bb.85:
	v_lshlrev_b32_e32 v30, 2, v32
	global_load_dword v30, v30, s[2:3]
.LBB331_86:
	s_or_b64 exec, exec, s[8:9]
	v_or_b32_e32 v33, 0x1f00, v0
	v_cmp_gt_u32_e32 vcc, s10, v33
	v_mov_b32_e32 v32, 0
	s_and_saveexec_b64 s[8:9], vcc
	s_cbranch_execz .LBB331_88
; %bb.87:
	v_lshlrev_b32_e32 v32, 2, v33
	global_load_dword v32, v32, s[2:3]
.LBB331_88:
	s_or_b64 exec, exec, s[8:9]
	s_waitcnt vmcnt(0)
	v_add_u32_e32 v1, v3, v1
	v_add3_u32 v1, v1, v2, v5
	v_add3_u32 v1, v1, v4, v7
	;; [unrolled: 1-line block ×10, first 2 shown]
	v_mbcnt_lo_u32_b32 v2, -1, 0
	v_add3_u32 v1, v1, v22, v25
	v_mbcnt_hi_u32_b32 v2, -1, v2
	v_add3_u32 v1, v1, v24, v27
	v_and_b32_e32 v4, 63, v2
	v_add3_u32 v1, v1, v26, v29
	v_cmp_ne_u32_e32 vcc, 63, v4
	v_add3_u32 v1, v1, v28, v31
	v_addc_co_u32_e32 v3, vcc, 0, v2, vcc
	v_add3_u32 v1, v1, v30, v32
	v_lshlrev_b32_e32 v3, 2, v3
	ds_bpermute_b32 v3, v3, v1
	s_min_u32 s8, s10, 0x100
	v_and_b32_e32 v5, 0xc0, v0
	v_sub_u32_e64 v5, s8, v5 clamp
	v_add_u32_e32 v6, 1, v4
	v_cmp_lt_u32_e32 vcc, v6, v5
	s_waitcnt lgkmcnt(0)
	v_cndmask_b32_e32 v3, 0, v3, vcc
	v_cmp_gt_u32_e32 vcc, 62, v4
	v_add_u32_e32 v1, v3, v1
	v_cndmask_b32_e64 v3, 0, 2, vcc
	v_add_lshl_u32 v3, v3, v2, 2
	ds_bpermute_b32 v3, v3, v1
	v_add_u32_e32 v6, 2, v4
	v_cmp_lt_u32_e32 vcc, v6, v5
	v_add_u32_e32 v6, 4, v4
	s_waitcnt lgkmcnt(0)
	v_cndmask_b32_e32 v3, 0, v3, vcc
	v_cmp_gt_u32_e32 vcc, 60, v4
	v_add_u32_e32 v1, v1, v3
	v_cndmask_b32_e64 v3, 0, 4, vcc
	v_add_lshl_u32 v3, v3, v2, 2
	ds_bpermute_b32 v3, v3, v1
	v_cmp_lt_u32_e32 vcc, v6, v5
	v_add_u32_e32 v6, 8, v4
	s_waitcnt lgkmcnt(0)
	v_cndmask_b32_e32 v3, 0, v3, vcc
	v_cmp_gt_u32_e32 vcc, 56, v4
	v_add_u32_e32 v1, v1, v3
	v_cndmask_b32_e64 v3, 0, 8, vcc
	v_add_lshl_u32 v3, v3, v2, 2
	ds_bpermute_b32 v3, v3, v1
	;; [unrolled: 9-line block ×3, first 2 shown]
	v_cmp_lt_u32_e32 vcc, v6, v5
	v_add_u32_e32 v4, 32, v4
	s_waitcnt lgkmcnt(0)
	v_cndmask_b32_e32 v3, 0, v3, vcc
	v_add_u32_e32 v1, v1, v3
	v_lshlrev_b32_e32 v3, 2, v2
	v_or_b32_e32 v6, 0x80, v3
	ds_bpermute_b32 v6, v6, v1
	v_cmp_lt_u32_e32 vcc, v4, v5
	s_waitcnt lgkmcnt(0)
	v_cndmask_b32_e32 v4, 0, v6, vcc
	v_add_u32_e32 v1, v1, v4
	v_cmp_eq_u32_e32 vcc, 0, v2
	s_and_saveexec_b64 s[2:3], vcc
; %bb.89:
	v_lshrrev_b32_e32 v4, 4, v0
	v_and_b32_e32 v4, 12, v4
	ds_write_b32 v4, v1 offset:96
; %bb.90:
	s_or_b64 exec, exec, s[2:3]
	v_cmp_gt_u32_e32 vcc, 4, v0
	s_waitcnt lgkmcnt(0)
	s_barrier
	s_and_saveexec_b64 s[2:3], vcc
	s_cbranch_execz .LBB331_92
; %bb.91:
	ds_read_b32 v1, v3 offset:96
	v_and_b32_e32 v4, 3, v2
	v_cmp_ne_u32_e32 vcc, 3, v4
	v_addc_co_u32_e32 v2, vcc, 0, v2, vcc
	v_lshlrev_b32_e32 v2, 2, v2
	s_waitcnt lgkmcnt(0)
	ds_bpermute_b32 v2, v2, v1
	s_add_i32 s8, s8, 63
	s_lshr_b32 s8, s8, 6
	v_add_u32_e32 v5, 1, v4
	v_cmp_gt_u32_e32 vcc, s8, v5
	s_waitcnt lgkmcnt(0)
	v_cndmask_b32_e32 v2, 0, v2, vcc
	v_add_u32_e32 v1, v2, v1
	v_or_b32_e32 v2, 8, v3
	ds_bpermute_b32 v2, v2, v1
	v_add_u32_e32 v3, 2, v4
	v_cmp_gt_u32_e32 vcc, s8, v3
	s_waitcnt lgkmcnt(0)
	v_cndmask_b32_e32 v2, 0, v2, vcc
	v_add_u32_e32 v1, v1, v2
.LBB331_92:
	s_or_b64 exec, exec, s[2:3]
	v_cmp_eq_u32_e64 s[2:3], 0, v0
	s_and_b64 vcc, exec, s[0:1]
	s_cbranch_vccnz .LBB331_15
.LBB331_93:
	s_branch .LBB331_142
.LBB331_94:
	s_mov_b64 s[2:3], -1
                                        ; implicit-def: $vgpr1
.LBB331_95:
	s_and_b64 vcc, exec, s[2:3]
	s_cbranch_vccz .LBB331_133
; %bb.96:
	s_sub_i32 s42, s38, s0
	v_mov_b32_e32 v1, 0
	v_cmp_gt_u32_e32 vcc, s42, v0
	v_mov_b32_e32 v2, v1
	v_mov_b32_e32 v3, v1
	;; [unrolled: 1-line block ×15, first 2 shown]
	s_and_saveexec_b64 s[0:1], vcc
	s_cbranch_execz .LBB331_98
; %bb.97:
	v_mov_b32_e32 v2, v1
	v_mov_b32_e32 v3, v1
	;; [unrolled: 1-line block ×15, first 2 shown]
	v_lshlrev_b32_e32 v1, 2, v0
	global_load_dword v1, v1, s[34:35]
.LBB331_98:
	s_or_b64 exec, exec, s[0:1]
	v_or_b32_e32 v17, 0x100, v0
	v_cmp_gt_u32_e32 vcc, s42, v17
	s_and_saveexec_b64 s[0:1], vcc
	s_cbranch_execz .LBB331_100
; %bb.99:
	v_lshlrev_b32_e32 v2, 2, v0
	global_load_dword v2, v2, s[34:35] offset:1024
.LBB331_100:
	s_or_b64 exec, exec, s[0:1]
	v_or_b32_e32 v17, 0x200, v0
	v_cmp_gt_u32_e64 s[0:1], s42, v17
	s_and_saveexec_b64 s[2:3], s[0:1]
	s_cbranch_execz .LBB331_102
; %bb.101:
	v_lshlrev_b32_e32 v3, 2, v0
	global_load_dword v3, v3, s[34:35] offset:2048
.LBB331_102:
	s_or_b64 exec, exec, s[2:3]
	v_or_b32_e32 v17, 0x300, v0
	v_cmp_gt_u32_e64 s[2:3], s42, v17
	s_and_saveexec_b64 s[8:9], s[2:3]
	;; [unrolled: 9-line block ×3, first 2 shown]
	s_cbranch_execz .LBB331_106
; %bb.105:
	v_lshlrev_b32_e32 v5, 2, v17
	global_load_dword v5, v5, s[34:35]
.LBB331_106:
	s_or_b64 exec, exec, s[10:11]
	v_or_b32_e32 v17, 0x500, v0
	v_cmp_gt_u32_e64 s[10:11], s42, v17
	s_and_saveexec_b64 s[12:13], s[10:11]
	s_cbranch_execz .LBB331_108
; %bb.107:
	v_lshlrev_b32_e32 v6, 2, v17
	global_load_dword v6, v6, s[34:35]
.LBB331_108:
	s_or_b64 exec, exec, s[12:13]
	v_or_b32_e32 v17, 0x600, v0
	v_cmp_gt_u32_e64 s[12:13], s42, v17
	s_and_saveexec_b64 s[14:15], s[12:13]
	;; [unrolled: 9-line block ×11, first 2 shown]
	s_cbranch_execz .LBB331_128
; %bb.127:
	v_lshlrev_b32_e32 v16, 2, v17
	global_load_dword v16, v16, s[34:35]
.LBB331_128:
	s_or_b64 exec, exec, s[40:41]
	s_waitcnt vmcnt(0)
	v_cndmask_b32_e32 v2, 0, v2, vcc
	v_add_u32_e32 v1, v2, v1
	v_cndmask_b32_e64 v2, 0, v3, s[0:1]
	v_cndmask_b32_e64 v3, 0, v4, s[2:3]
	v_add3_u32 v1, v1, v2, v3
	v_cndmask_b32_e64 v2, 0, v5, s[8:9]
	v_cndmask_b32_e64 v3, 0, v6, s[10:11]
	v_add3_u32 v1, v1, v2, v3
	;; [unrolled: 3-line block ×7, first 2 shown]
	v_mbcnt_lo_u32_b32 v2, -1, 0
	v_mbcnt_hi_u32_b32 v2, -1, v2
	v_and_b32_e32 v4, 63, v2
	v_cmp_ne_u32_e32 vcc, 63, v4
	v_addc_co_u32_e32 v3, vcc, 0, v2, vcc
	v_lshlrev_b32_e32 v3, 2, v3
	ds_bpermute_b32 v3, v3, v1
	s_min_u32 s2, s42, 0x100
	v_and_b32_e32 v5, 0xc0, v0
	v_sub_u32_e64 v5, s2, v5 clamp
	v_add_u32_e32 v6, 1, v4
	v_cmp_lt_u32_e32 vcc, v6, v5
	s_waitcnt lgkmcnt(0)
	v_cndmask_b32_e32 v3, 0, v3, vcc
	v_cmp_gt_u32_e32 vcc, 62, v4
	v_add_u32_e32 v1, v1, v3
	v_cndmask_b32_e64 v3, 0, 2, vcc
	v_add_lshl_u32 v3, v3, v2, 2
	ds_bpermute_b32 v3, v3, v1
	v_add_u32_e32 v6, 2, v4
	v_cmp_lt_u32_e32 vcc, v6, v5
	v_add_u32_e32 v6, 4, v4
	s_waitcnt lgkmcnt(0)
	v_cndmask_b32_e32 v3, 0, v3, vcc
	v_cmp_gt_u32_e32 vcc, 60, v4
	v_add_u32_e32 v1, v1, v3
	v_cndmask_b32_e64 v3, 0, 4, vcc
	v_add_lshl_u32 v3, v3, v2, 2
	ds_bpermute_b32 v3, v3, v1
	v_cmp_lt_u32_e32 vcc, v6, v5
	v_add_u32_e32 v6, 8, v4
	s_waitcnt lgkmcnt(0)
	v_cndmask_b32_e32 v3, 0, v3, vcc
	v_cmp_gt_u32_e32 vcc, 56, v4
	v_add_u32_e32 v1, v1, v3
	v_cndmask_b32_e64 v3, 0, 8, vcc
	v_add_lshl_u32 v3, v3, v2, 2
	ds_bpermute_b32 v3, v3, v1
	;; [unrolled: 9-line block ×3, first 2 shown]
	v_cmp_lt_u32_e32 vcc, v6, v5
	v_add_u32_e32 v4, 32, v4
	s_waitcnt lgkmcnt(0)
	v_cndmask_b32_e32 v3, 0, v3, vcc
	v_add_u32_e32 v1, v1, v3
	v_lshlrev_b32_e32 v3, 2, v2
	v_or_b32_e32 v6, 0x80, v3
	ds_bpermute_b32 v6, v6, v1
	v_cmp_lt_u32_e32 vcc, v4, v5
	s_waitcnt lgkmcnt(0)
	v_cndmask_b32_e32 v4, 0, v6, vcc
	v_add_u32_e32 v1, v1, v4
	v_cmp_eq_u32_e32 vcc, 0, v2
	s_and_saveexec_b64 s[0:1], vcc
; %bb.129:
	v_lshrrev_b32_e32 v4, 4, v0
	v_and_b32_e32 v4, 12, v4
	ds_write_b32 v4, v1 offset:96
; %bb.130:
	s_or_b64 exec, exec, s[0:1]
	v_cmp_gt_u32_e32 vcc, 4, v0
	s_waitcnt lgkmcnt(0)
	s_barrier
	s_and_saveexec_b64 s[0:1], vcc
	s_cbranch_execz .LBB331_132
; %bb.131:
	ds_read_b32 v1, v3 offset:96
	v_and_b32_e32 v4, 3, v2
	v_cmp_ne_u32_e32 vcc, 3, v4
	v_addc_co_u32_e32 v2, vcc, 0, v2, vcc
	v_lshlrev_b32_e32 v2, 2, v2
	s_waitcnt lgkmcnt(0)
	ds_bpermute_b32 v2, v2, v1
	s_add_i32 s2, s2, 63
	s_lshr_b32 s2, s2, 6
	v_add_u32_e32 v5, 1, v4
	v_cmp_gt_u32_e32 vcc, s2, v5
	s_waitcnt lgkmcnt(0)
	v_cndmask_b32_e32 v2, 0, v2, vcc
	v_add_u32_e32 v1, v2, v1
	v_or_b32_e32 v2, 8, v3
	ds_bpermute_b32 v2, v2, v1
	v_add_u32_e32 v3, 2, v4
	v_cmp_gt_u32_e32 vcc, s2, v3
	s_waitcnt lgkmcnt(0)
	v_cndmask_b32_e32 v2, 0, v2, vcc
	v_add_u32_e32 v1, v1, v2
.LBB331_132:
	s_or_b64 exec, exec, s[0:1]
.LBB331_133:
	v_cmp_eq_u32_e64 s[2:3], 0, v0
	s_branch .LBB331_142
.LBB331_134:
	s_cmp_eq_u32 s33, 8
	s_cbranch_scc0 .LBB331_141
; %bb.135:
	s_mov_b32 s7, 0
	s_lshl_b32 s0, s6, 11
	s_mov_b32 s1, s7
	s_lshr_b64 s[2:3], s[38:39], 11
	s_lshl_b64 s[8:9], s[0:1], 2
	s_add_u32 s16, s36, s8
	s_addc_u32 s17, s37, s9
	s_cmp_lg_u64 s[2:3], s[6:7]
	s_cbranch_scc0 .LBB331_143
; %bb.136:
	v_lshlrev_b32_e32 v3, 2, v0
	v_mov_b32_e32 v1, s17
	v_add_co_u32_e32 v2, vcc, s16, v3
	v_addc_co_u32_e32 v4, vcc, 0, v1, vcc
	v_add_co_u32_e32 v1, vcc, 0x1000, v2
	v_addc_co_u32_e32 v2, vcc, 0, v4, vcc
	global_load_dword v4, v3, s[16:17]
	global_load_dword v5, v3, s[16:17] offset:1024
	global_load_dword v6, v3, s[16:17] offset:2048
	;; [unrolled: 1-line block ×3, first 2 shown]
	global_load_dword v8, v[1:2], off
	global_load_dword v9, v[1:2], off offset:1024
	global_load_dword v10, v[1:2], off offset:2048
	;; [unrolled: 1-line block ×3, first 2 shown]
	v_mbcnt_lo_u32_b32 v1, -1, 0
	v_mbcnt_hi_u32_b32 v2, -1, v1
	v_lshlrev_b32_e32 v3, 2, v2
	v_cmp_eq_u32_e32 vcc, 0, v2
	s_waitcnt vmcnt(6)
	v_add_u32_e32 v1, v5, v4
	v_or_b32_e32 v4, 0xfc, v3
	s_waitcnt vmcnt(4)
	v_add3_u32 v1, v1, v6, v7
	s_waitcnt vmcnt(2)
	v_add3_u32 v1, v1, v8, v9
	s_waitcnt vmcnt(0)
	v_add3_u32 v1, v1, v10, v11
	s_nop 1
	v_add_u32_dpp v1, v1, v1 quad_perm:[1,0,3,2] row_mask:0xf bank_mask:0xf bound_ctrl:1
	s_nop 1
	v_add_u32_dpp v1, v1, v1 quad_perm:[2,3,0,1] row_mask:0xf bank_mask:0xf bound_ctrl:1
	s_nop 1
	v_add_u32_dpp v1, v1, v1 row_ror:4 row_mask:0xf bank_mask:0xf bound_ctrl:1
	s_nop 1
	v_add_u32_dpp v1, v1, v1 row_ror:8 row_mask:0xf bank_mask:0xf bound_ctrl:1
	s_nop 1
	v_add_u32_dpp v1, v1, v1 row_bcast:15 row_mask:0xf bank_mask:0xf bound_ctrl:1
	s_nop 1
	v_add_u32_dpp v1, v1, v1 row_bcast:31 row_mask:0xf bank_mask:0xf bound_ctrl:1
	ds_bpermute_b32 v1, v4, v1
	s_and_saveexec_b64 s[2:3], vcc
	s_cbranch_execz .LBB331_138
; %bb.137:
	v_lshrrev_b32_e32 v4, 4, v0
	v_and_b32_e32 v4, 12, v4
	s_waitcnt lgkmcnt(0)
	ds_write_b32 v4, v1 offset:80
.LBB331_138:
	s_or_b64 exec, exec, s[2:3]
	v_cmp_gt_u32_e32 vcc, 64, v0
	s_waitcnt lgkmcnt(0)
	s_barrier
	s_and_saveexec_b64 s[2:3], vcc
	s_cbranch_execz .LBB331_140
; %bb.139:
	v_and_b32_e32 v1, 3, v2
	v_lshlrev_b32_e32 v4, 2, v1
	ds_read_b32 v4, v4 offset:80
	v_cmp_ne_u32_e32 vcc, 3, v1
	v_addc_co_u32_e32 v1, vcc, 0, v2, vcc
	v_lshlrev_b32_e32 v1, 2, v1
	s_waitcnt lgkmcnt(0)
	ds_bpermute_b32 v1, v1, v4
	v_or_b32_e32 v2, 8, v3
	s_waitcnt lgkmcnt(0)
	v_add_u32_e32 v1, v1, v4
	ds_bpermute_b32 v2, v2, v1
	s_waitcnt lgkmcnt(0)
	v_add_u32_e32 v1, v2, v1
.LBB331_140:
	s_or_b64 exec, exec, s[2:3]
	s_branch .LBB331_165
.LBB331_141:
                                        ; implicit-def: $vgpr1
.LBB331_142:
	s_branch .LBB331_224
.LBB331_143:
                                        ; implicit-def: $vgpr1
	s_cbranch_execz .LBB331_165
; %bb.144:
	s_sub_i32 s20, s38, s0
	v_mov_b32_e32 v1, 0
	v_cmp_gt_u32_e32 vcc, s20, v0
	v_mov_b32_e32 v2, v1
	v_mov_b32_e32 v3, v1
	;; [unrolled: 1-line block ×7, first 2 shown]
	s_and_saveexec_b64 s[0:1], vcc
	s_cbranch_execz .LBB331_146
; %bb.145:
	v_lshlrev_b32_e32 v2, 2, v0
	global_load_dword v2, v2, s[16:17]
	v_mov_b32_e32 v3, v1
	v_mov_b32_e32 v4, v1
	;; [unrolled: 1-line block ×7, first 2 shown]
	s_waitcnt vmcnt(0)
	v_mov_b32_e32 v1, v2
	v_mov_b32_e32 v2, v3
	;; [unrolled: 1-line block ×8, first 2 shown]
.LBB331_146:
	s_or_b64 exec, exec, s[0:1]
	v_or_b32_e32 v9, 0x100, v0
	v_cmp_gt_u32_e32 vcc, s20, v9
	s_and_saveexec_b64 s[0:1], vcc
	s_cbranch_execz .LBB331_148
; %bb.147:
	v_lshlrev_b32_e32 v2, 2, v0
	global_load_dword v2, v2, s[16:17] offset:1024
.LBB331_148:
	s_or_b64 exec, exec, s[0:1]
	v_or_b32_e32 v9, 0x200, v0
	v_cmp_gt_u32_e64 s[0:1], s20, v9
	s_and_saveexec_b64 s[2:3], s[0:1]
	s_cbranch_execz .LBB331_150
; %bb.149:
	v_lshlrev_b32_e32 v3, 2, v0
	global_load_dword v3, v3, s[16:17] offset:2048
.LBB331_150:
	s_or_b64 exec, exec, s[2:3]
	v_or_b32_e32 v9, 0x300, v0
	v_cmp_gt_u32_e64 s[2:3], s20, v9
	s_and_saveexec_b64 s[8:9], s[2:3]
	;; [unrolled: 9-line block ×3, first 2 shown]
	s_cbranch_execz .LBB331_154
; %bb.153:
	v_lshlrev_b32_e32 v5, 2, v9
	global_load_dword v5, v5, s[16:17]
.LBB331_154:
	s_or_b64 exec, exec, s[10:11]
	v_or_b32_e32 v9, 0x500, v0
	v_cmp_gt_u32_e64 s[10:11], s20, v9
	s_and_saveexec_b64 s[12:13], s[10:11]
	s_cbranch_execz .LBB331_156
; %bb.155:
	v_lshlrev_b32_e32 v6, 2, v9
	global_load_dword v6, v6, s[16:17]
.LBB331_156:
	s_or_b64 exec, exec, s[12:13]
	v_or_b32_e32 v9, 0x600, v0
	v_cmp_gt_u32_e64 s[12:13], s20, v9
	s_and_saveexec_b64 s[14:15], s[12:13]
	;; [unrolled: 9-line block ×3, first 2 shown]
	s_cbranch_execz .LBB331_160
; %bb.159:
	v_lshlrev_b32_e32 v8, 2, v9
	global_load_dword v8, v8, s[16:17]
.LBB331_160:
	s_or_b64 exec, exec, s[18:19]
	s_waitcnt vmcnt(0)
	v_cndmask_b32_e32 v2, 0, v2, vcc
	v_add_u32_e32 v1, v2, v1
	v_cndmask_b32_e64 v2, 0, v3, s[0:1]
	v_cndmask_b32_e64 v3, 0, v4, s[2:3]
	v_add3_u32 v1, v1, v2, v3
	v_cndmask_b32_e64 v2, 0, v5, s[8:9]
	v_cndmask_b32_e64 v3, 0, v6, s[10:11]
	v_add3_u32 v1, v1, v2, v3
	v_cndmask_b32_e64 v2, 0, v7, s[12:13]
	v_cndmask_b32_e64 v3, 0, v8, s[14:15]
	v_add3_u32 v1, v1, v2, v3
	v_mbcnt_lo_u32_b32 v2, -1, 0
	v_mbcnt_hi_u32_b32 v2, -1, v2
	v_and_b32_e32 v4, 63, v2
	v_cmp_ne_u32_e32 vcc, 63, v4
	v_addc_co_u32_e32 v3, vcc, 0, v2, vcc
	v_lshlrev_b32_e32 v3, 2, v3
	ds_bpermute_b32 v3, v3, v1
	s_min_u32 s2, s20, 0x100
	v_and_b32_e32 v5, 0xc0, v0
	v_sub_u32_e64 v5, s2, v5 clamp
	v_add_u32_e32 v6, 1, v4
	v_cmp_lt_u32_e32 vcc, v6, v5
	s_waitcnt lgkmcnt(0)
	v_cndmask_b32_e32 v3, 0, v3, vcc
	v_cmp_gt_u32_e32 vcc, 62, v4
	v_add_u32_e32 v1, v1, v3
	v_cndmask_b32_e64 v3, 0, 2, vcc
	v_add_lshl_u32 v3, v3, v2, 2
	ds_bpermute_b32 v3, v3, v1
	v_add_u32_e32 v6, 2, v4
	v_cmp_lt_u32_e32 vcc, v6, v5
	v_add_u32_e32 v6, 4, v4
	s_waitcnt lgkmcnt(0)
	v_cndmask_b32_e32 v3, 0, v3, vcc
	v_cmp_gt_u32_e32 vcc, 60, v4
	v_add_u32_e32 v1, v1, v3
	v_cndmask_b32_e64 v3, 0, 4, vcc
	v_add_lshl_u32 v3, v3, v2, 2
	ds_bpermute_b32 v3, v3, v1
	v_cmp_lt_u32_e32 vcc, v6, v5
	v_add_u32_e32 v6, 8, v4
	s_waitcnt lgkmcnt(0)
	v_cndmask_b32_e32 v3, 0, v3, vcc
	v_cmp_gt_u32_e32 vcc, 56, v4
	v_add_u32_e32 v1, v1, v3
	v_cndmask_b32_e64 v3, 0, 8, vcc
	v_add_lshl_u32 v3, v3, v2, 2
	ds_bpermute_b32 v3, v3, v1
	;; [unrolled: 9-line block ×3, first 2 shown]
	v_cmp_lt_u32_e32 vcc, v6, v5
	v_add_u32_e32 v4, 32, v4
	s_waitcnt lgkmcnt(0)
	v_cndmask_b32_e32 v3, 0, v3, vcc
	v_add_u32_e32 v1, v1, v3
	v_lshlrev_b32_e32 v3, 2, v2
	v_or_b32_e32 v6, 0x80, v3
	ds_bpermute_b32 v6, v6, v1
	v_cmp_lt_u32_e32 vcc, v4, v5
	s_waitcnt lgkmcnt(0)
	v_cndmask_b32_e32 v4, 0, v6, vcc
	v_add_u32_e32 v1, v1, v4
	v_cmp_eq_u32_e32 vcc, 0, v2
	s_and_saveexec_b64 s[0:1], vcc
; %bb.161:
	v_lshrrev_b32_e32 v4, 4, v0
	v_and_b32_e32 v4, 12, v4
	ds_write_b32 v4, v1 offset:96
; %bb.162:
	s_or_b64 exec, exec, s[0:1]
	v_cmp_gt_u32_e32 vcc, 4, v0
	s_waitcnt lgkmcnt(0)
	s_barrier
	s_and_saveexec_b64 s[0:1], vcc
	s_cbranch_execz .LBB331_164
; %bb.163:
	ds_read_b32 v1, v3 offset:96
	v_and_b32_e32 v4, 3, v2
	v_cmp_ne_u32_e32 vcc, 3, v4
	v_addc_co_u32_e32 v2, vcc, 0, v2, vcc
	v_lshlrev_b32_e32 v2, 2, v2
	s_waitcnt lgkmcnt(0)
	ds_bpermute_b32 v2, v2, v1
	s_add_i32 s2, s2, 63
	s_lshr_b32 s2, s2, 6
	v_add_u32_e32 v5, 1, v4
	v_cmp_gt_u32_e32 vcc, s2, v5
	s_waitcnt lgkmcnt(0)
	v_cndmask_b32_e32 v2, 0, v2, vcc
	v_add_u32_e32 v1, v2, v1
	v_or_b32_e32 v2, 8, v3
	ds_bpermute_b32 v2, v2, v1
	v_add_u32_e32 v3, 2, v4
	v_cmp_gt_u32_e32 vcc, s2, v3
	s_waitcnt lgkmcnt(0)
	v_cndmask_b32_e32 v2, 0, v2, vcc
	v_add_u32_e32 v1, v1, v2
.LBB331_164:
	s_or_b64 exec, exec, s[0:1]
.LBB331_165:
	v_cmp_eq_u32_e64 s[2:3], 0, v0
	s_branch .LBB331_224
.LBB331_166:
	s_cmp_gt_i32 s33, 1
	s_cbranch_scc0 .LBB331_175
; %bb.167:
	s_cmp_gt_i32 s33, 3
	s_cbranch_scc0 .LBB331_176
; %bb.168:
	s_cmp_eq_u32 s33, 4
	s_cbranch_scc0 .LBB331_177
; %bb.169:
	s_mov_b32 s7, 0
	s_lshl_b32 s0, s6, 10
	s_mov_b32 s1, s7
	s_lshr_b64 s[2:3], s[38:39], 10
	s_lshl_b64 s[8:9], s[0:1], 2
	s_add_u32 s8, s36, s8
	s_addc_u32 s9, s37, s9
	s_cmp_lg_u64 s[2:3], s[6:7]
	s_cbranch_scc0 .LBB331_179
; %bb.170:
	v_lshlrev_b32_e32 v1, 2, v0
	global_load_dword v4, v1, s[8:9]
	global_load_dword v5, v1, s[8:9] offset:1024
	global_load_dword v6, v1, s[8:9] offset:2048
	;; [unrolled: 1-line block ×3, first 2 shown]
	v_mbcnt_lo_u32_b32 v1, -1, 0
	v_mbcnt_hi_u32_b32 v2, -1, v1
	v_lshlrev_b32_e32 v3, 2, v2
	v_cmp_eq_u32_e32 vcc, 0, v2
	s_waitcnt vmcnt(2)
	v_add_u32_e32 v1, v5, v4
	v_or_b32_e32 v4, 0xfc, v3
	s_waitcnt vmcnt(0)
	v_add3_u32 v1, v1, v6, v7
	s_nop 1
	v_add_u32_dpp v1, v1, v1 quad_perm:[1,0,3,2] row_mask:0xf bank_mask:0xf bound_ctrl:1
	s_nop 1
	v_add_u32_dpp v1, v1, v1 quad_perm:[2,3,0,1] row_mask:0xf bank_mask:0xf bound_ctrl:1
	s_nop 1
	v_add_u32_dpp v1, v1, v1 row_ror:4 row_mask:0xf bank_mask:0xf bound_ctrl:1
	s_nop 1
	v_add_u32_dpp v1, v1, v1 row_ror:8 row_mask:0xf bank_mask:0xf bound_ctrl:1
	s_nop 1
	v_add_u32_dpp v1, v1, v1 row_bcast:15 row_mask:0xf bank_mask:0xf bound_ctrl:1
	s_nop 1
	v_add_u32_dpp v1, v1, v1 row_bcast:31 row_mask:0xf bank_mask:0xf bound_ctrl:1
	ds_bpermute_b32 v1, v4, v1
	s_and_saveexec_b64 s[2:3], vcc
	s_cbranch_execz .LBB331_172
; %bb.171:
	v_lshrrev_b32_e32 v4, 4, v0
	v_and_b32_e32 v4, 12, v4
	s_waitcnt lgkmcnt(0)
	ds_write_b32 v4, v1 offset:64
.LBB331_172:
	s_or_b64 exec, exec, s[2:3]
	v_cmp_gt_u32_e32 vcc, 64, v0
	s_waitcnt lgkmcnt(0)
	s_barrier
	s_and_saveexec_b64 s[2:3], vcc
	s_cbranch_execz .LBB331_174
; %bb.173:
	v_and_b32_e32 v1, 3, v2
	v_lshlrev_b32_e32 v4, 2, v1
	ds_read_b32 v4, v4 offset:64
	v_cmp_ne_u32_e32 vcc, 3, v1
	v_addc_co_u32_e32 v1, vcc, 0, v2, vcc
	v_lshlrev_b32_e32 v1, 2, v1
	s_waitcnt lgkmcnt(0)
	ds_bpermute_b32 v1, v1, v4
	v_or_b32_e32 v2, 8, v3
	s_waitcnt lgkmcnt(0)
	v_add_u32_e32 v1, v1, v4
	ds_bpermute_b32 v2, v2, v1
	s_waitcnt lgkmcnt(0)
	v_add_u32_e32 v1, v2, v1
.LBB331_174:
	s_or_b64 exec, exec, s[2:3]
	s_mov_b64 s[2:3], 0
	s_branch .LBB331_180
.LBB331_175:
                                        ; implicit-def: $vgpr1
	s_cbranch_execnz .LBB331_215
	s_branch .LBB331_224
.LBB331_176:
                                        ; implicit-def: $vgpr1
	s_cbranch_execz .LBB331_178
	s_branch .LBB331_195
.LBB331_177:
                                        ; implicit-def: $vgpr1
.LBB331_178:
	s_branch .LBB331_224
.LBB331_179:
	s_mov_b64 s[2:3], -1
                                        ; implicit-def: $vgpr1
.LBB331_180:
	s_and_b64 vcc, exec, s[2:3]
	s_cbranch_vccz .LBB331_194
; %bb.181:
	s_sub_i32 s12, s38, s0
	v_mov_b32_e32 v1, 0
	v_cmp_gt_u32_e32 vcc, s12, v0
	v_mov_b32_e32 v2, v1
	v_mov_b32_e32 v3, v1
	v_mov_b32_e32 v4, v1
	s_and_saveexec_b64 s[0:1], vcc
	s_cbranch_execz .LBB331_183
; %bb.182:
	v_lshlrev_b32_e32 v2, 2, v0
	global_load_dword v2, v2, s[8:9]
	v_mov_b32_e32 v3, v1
	v_mov_b32_e32 v4, v1
	;; [unrolled: 1-line block ×3, first 2 shown]
	s_waitcnt vmcnt(0)
	v_mov_b32_e32 v1, v2
	v_mov_b32_e32 v2, v3
	;; [unrolled: 1-line block ×4, first 2 shown]
.LBB331_183:
	s_or_b64 exec, exec, s[0:1]
	v_or_b32_e32 v5, 0x100, v0
	v_cmp_gt_u32_e32 vcc, s12, v5
	s_and_saveexec_b64 s[0:1], vcc
	s_cbranch_execz .LBB331_185
; %bb.184:
	v_lshlrev_b32_e32 v2, 2, v0
	global_load_dword v2, v2, s[8:9] offset:1024
.LBB331_185:
	s_or_b64 exec, exec, s[0:1]
	v_or_b32_e32 v5, 0x200, v0
	v_cmp_gt_u32_e64 s[0:1], s12, v5
	s_and_saveexec_b64 s[2:3], s[0:1]
	s_cbranch_execz .LBB331_187
; %bb.186:
	v_lshlrev_b32_e32 v3, 2, v0
	global_load_dword v3, v3, s[8:9] offset:2048
.LBB331_187:
	s_or_b64 exec, exec, s[2:3]
	v_or_b32_e32 v5, 0x300, v0
	v_cmp_gt_u32_e64 s[2:3], s12, v5
	s_and_saveexec_b64 s[10:11], s[2:3]
	s_cbranch_execz .LBB331_189
; %bb.188:
	v_lshlrev_b32_e32 v4, 2, v0
	global_load_dword v4, v4, s[8:9] offset:3072
.LBB331_189:
	s_or_b64 exec, exec, s[10:11]
	s_waitcnt vmcnt(0)
	v_cndmask_b32_e32 v2, 0, v2, vcc
	v_add_u32_e32 v1, v2, v1
	v_cndmask_b32_e64 v2, 0, v3, s[0:1]
	v_cndmask_b32_e64 v3, 0, v4, s[2:3]
	v_add3_u32 v1, v1, v2, v3
	v_mbcnt_lo_u32_b32 v2, -1, 0
	v_mbcnt_hi_u32_b32 v2, -1, v2
	v_and_b32_e32 v4, 63, v2
	v_cmp_ne_u32_e32 vcc, 63, v4
	v_addc_co_u32_e32 v3, vcc, 0, v2, vcc
	v_lshlrev_b32_e32 v3, 2, v3
	ds_bpermute_b32 v3, v3, v1
	s_min_u32 s2, s12, 0x100
	v_and_b32_e32 v5, 0xc0, v0
	v_sub_u32_e64 v5, s2, v5 clamp
	v_add_u32_e32 v6, 1, v4
	v_cmp_lt_u32_e32 vcc, v6, v5
	s_waitcnt lgkmcnt(0)
	v_cndmask_b32_e32 v3, 0, v3, vcc
	v_cmp_gt_u32_e32 vcc, 62, v4
	v_add_u32_e32 v1, v3, v1
	v_cndmask_b32_e64 v3, 0, 2, vcc
	v_add_lshl_u32 v3, v3, v2, 2
	ds_bpermute_b32 v3, v3, v1
	v_add_u32_e32 v6, 2, v4
	v_cmp_lt_u32_e32 vcc, v6, v5
	v_add_u32_e32 v6, 4, v4
	s_waitcnt lgkmcnt(0)
	v_cndmask_b32_e32 v3, 0, v3, vcc
	v_cmp_gt_u32_e32 vcc, 60, v4
	v_add_u32_e32 v1, v1, v3
	v_cndmask_b32_e64 v3, 0, 4, vcc
	v_add_lshl_u32 v3, v3, v2, 2
	ds_bpermute_b32 v3, v3, v1
	v_cmp_lt_u32_e32 vcc, v6, v5
	v_add_u32_e32 v6, 8, v4
	s_waitcnt lgkmcnt(0)
	v_cndmask_b32_e32 v3, 0, v3, vcc
	v_cmp_gt_u32_e32 vcc, 56, v4
	v_add_u32_e32 v1, v1, v3
	v_cndmask_b32_e64 v3, 0, 8, vcc
	v_add_lshl_u32 v3, v3, v2, 2
	ds_bpermute_b32 v3, v3, v1
	;; [unrolled: 9-line block ×3, first 2 shown]
	v_cmp_lt_u32_e32 vcc, v6, v5
	v_add_u32_e32 v4, 32, v4
	s_waitcnt lgkmcnt(0)
	v_cndmask_b32_e32 v3, 0, v3, vcc
	v_add_u32_e32 v1, v1, v3
	v_lshlrev_b32_e32 v3, 2, v2
	v_or_b32_e32 v6, 0x80, v3
	ds_bpermute_b32 v6, v6, v1
	v_cmp_lt_u32_e32 vcc, v4, v5
	s_waitcnt lgkmcnt(0)
	v_cndmask_b32_e32 v4, 0, v6, vcc
	v_add_u32_e32 v1, v1, v4
	v_cmp_eq_u32_e32 vcc, 0, v2
	s_and_saveexec_b64 s[0:1], vcc
; %bb.190:
	v_lshrrev_b32_e32 v4, 4, v0
	v_and_b32_e32 v4, 12, v4
	ds_write_b32 v4, v1 offset:96
; %bb.191:
	s_or_b64 exec, exec, s[0:1]
	v_cmp_gt_u32_e32 vcc, 4, v0
	s_waitcnt lgkmcnt(0)
	s_barrier
	s_and_saveexec_b64 s[0:1], vcc
	s_cbranch_execz .LBB331_193
; %bb.192:
	ds_read_b32 v1, v3 offset:96
	v_and_b32_e32 v4, 3, v2
	v_cmp_ne_u32_e32 vcc, 3, v4
	v_addc_co_u32_e32 v2, vcc, 0, v2, vcc
	v_lshlrev_b32_e32 v2, 2, v2
	s_waitcnt lgkmcnt(0)
	ds_bpermute_b32 v2, v2, v1
	s_add_i32 s2, s2, 63
	s_lshr_b32 s2, s2, 6
	v_add_u32_e32 v5, 1, v4
	v_cmp_gt_u32_e32 vcc, s2, v5
	s_waitcnt lgkmcnt(0)
	v_cndmask_b32_e32 v2, 0, v2, vcc
	v_add_u32_e32 v1, v2, v1
	v_or_b32_e32 v2, 8, v3
	ds_bpermute_b32 v2, v2, v1
	v_add_u32_e32 v3, 2, v4
	v_cmp_gt_u32_e32 vcc, s2, v3
	s_waitcnt lgkmcnt(0)
	v_cndmask_b32_e32 v2, 0, v2, vcc
	v_add_u32_e32 v1, v1, v2
.LBB331_193:
	s_or_b64 exec, exec, s[0:1]
.LBB331_194:
	v_cmp_eq_u32_e64 s[2:3], 0, v0
	s_branch .LBB331_178
.LBB331_195:
	s_cmp_eq_u32 s33, 2
	s_cbranch_scc0 .LBB331_202
; %bb.196:
	s_mov_b32 s7, 0
	s_lshl_b32 s2, s6, 9
	s_mov_b32 s3, s7
	s_lshr_b64 s[8:9], s[38:39], 9
	s_lshl_b64 s[0:1], s[2:3], 2
	s_add_u32 s0, s36, s0
	s_addc_u32 s1, s37, s1
	s_cmp_lg_u64 s[8:9], s[6:7]
	s_cbranch_scc0 .LBB331_203
; %bb.197:
	v_lshlrev_b32_e32 v1, 2, v0
	global_load_dword v4, v1, s[0:1]
	global_load_dword v5, v1, s[0:1] offset:1024
	v_mbcnt_lo_u32_b32 v1, -1, 0
	v_mbcnt_hi_u32_b32 v2, -1, v1
	v_lshlrev_b32_e32 v3, 2, v2
	v_cmp_eq_u32_e32 vcc, 0, v2
	s_waitcnt vmcnt(0)
	v_add_u32_e32 v1, v5, v4
	s_nop 1
	v_add_u32_dpp v1, v1, v1 quad_perm:[1,0,3,2] row_mask:0xf bank_mask:0xf bound_ctrl:1
	v_or_b32_e32 v4, 0xfc, v3
	s_nop 0
	v_add_u32_dpp v1, v1, v1 quad_perm:[2,3,0,1] row_mask:0xf bank_mask:0xf bound_ctrl:1
	s_nop 1
	v_add_u32_dpp v1, v1, v1 row_ror:4 row_mask:0xf bank_mask:0xf bound_ctrl:1
	s_nop 1
	v_add_u32_dpp v1, v1, v1 row_ror:8 row_mask:0xf bank_mask:0xf bound_ctrl:1
	s_nop 1
	v_add_u32_dpp v1, v1, v1 row_bcast:15 row_mask:0xf bank_mask:0xf bound_ctrl:1
	s_nop 1
	v_add_u32_dpp v1, v1, v1 row_bcast:31 row_mask:0xf bank_mask:0xf bound_ctrl:1
	ds_bpermute_b32 v1, v4, v1
	s_and_saveexec_b64 s[8:9], vcc
	s_cbranch_execz .LBB331_199
; %bb.198:
	v_lshrrev_b32_e32 v4, 4, v0
	v_and_b32_e32 v4, 12, v4
	s_waitcnt lgkmcnt(0)
	ds_write_b32 v4, v1 offset:32
.LBB331_199:
	s_or_b64 exec, exec, s[8:9]
	v_cmp_gt_u32_e32 vcc, 64, v0
	s_waitcnt lgkmcnt(0)
	s_barrier
	s_and_saveexec_b64 s[8:9], vcc
	s_cbranch_execz .LBB331_201
; %bb.200:
	v_and_b32_e32 v1, 3, v2
	v_lshlrev_b32_e32 v4, 2, v1
	ds_read_b32 v4, v4 offset:32
	v_cmp_ne_u32_e32 vcc, 3, v1
	v_addc_co_u32_e32 v1, vcc, 0, v2, vcc
	v_lshlrev_b32_e32 v1, 2, v1
	s_waitcnt lgkmcnt(0)
	ds_bpermute_b32 v1, v1, v4
	v_or_b32_e32 v2, 8, v3
	s_waitcnt lgkmcnt(0)
	v_add_u32_e32 v1, v1, v4
	ds_bpermute_b32 v2, v2, v1
	s_waitcnt lgkmcnt(0)
	v_add_u32_e32 v1, v2, v1
.LBB331_201:
	s_or_b64 exec, exec, s[8:9]
	s_mov_b64 s[8:9], 0
	s_branch .LBB331_204
.LBB331_202:
                                        ; implicit-def: $vgpr1
	s_branch .LBB331_224
.LBB331_203:
	s_mov_b64 s[8:9], -1
                                        ; implicit-def: $vgpr1
.LBB331_204:
	s_and_b64 vcc, exec, s[8:9]
	s_cbranch_vccz .LBB331_214
; %bb.205:
	s_sub_i32 s8, s38, s2
	v_mov_b32_e32 v1, 0
	v_cmp_gt_u32_e32 vcc, s8, v0
	v_mov_b32_e32 v2, v1
	s_and_saveexec_b64 s[2:3], vcc
	s_cbranch_execz .LBB331_207
; %bb.206:
	v_lshlrev_b32_e32 v2, 2, v0
	global_load_dword v2, v2, s[0:1]
	v_mov_b32_e32 v3, v1
	s_waitcnt vmcnt(0)
	v_mov_b32_e32 v1, v2
	v_mov_b32_e32 v2, v3
.LBB331_207:
	s_or_b64 exec, exec, s[2:3]
	v_or_b32_e32 v3, 0x100, v0
	v_cmp_gt_u32_e32 vcc, s8, v3
	s_and_saveexec_b64 s[2:3], vcc
	s_cbranch_execz .LBB331_209
; %bb.208:
	v_lshlrev_b32_e32 v2, 2, v0
	global_load_dword v2, v2, s[0:1] offset:1024
.LBB331_209:
	s_or_b64 exec, exec, s[2:3]
	s_waitcnt vmcnt(0)
	v_cndmask_b32_e32 v2, 0, v2, vcc
	v_add_u32_e32 v1, v2, v1
	v_mbcnt_lo_u32_b32 v2, -1, 0
	v_mbcnt_hi_u32_b32 v2, -1, v2
	v_and_b32_e32 v4, 63, v2
	v_cmp_ne_u32_e32 vcc, 63, v4
	v_addc_co_u32_e32 v3, vcc, 0, v2, vcc
	v_lshlrev_b32_e32 v3, 2, v3
	ds_bpermute_b32 v3, v3, v1
	s_min_u32 s2, s8, 0x100
	v_and_b32_e32 v5, 0xc0, v0
	v_sub_u32_e64 v5, s2, v5 clamp
	v_add_u32_e32 v6, 1, v4
	v_cmp_lt_u32_e32 vcc, v6, v5
	s_waitcnt lgkmcnt(0)
	v_cndmask_b32_e32 v3, 0, v3, vcc
	v_cmp_gt_u32_e32 vcc, 62, v4
	v_add_u32_e32 v1, v3, v1
	v_cndmask_b32_e64 v3, 0, 2, vcc
	v_add_lshl_u32 v3, v3, v2, 2
	ds_bpermute_b32 v3, v3, v1
	v_add_u32_e32 v6, 2, v4
	v_cmp_lt_u32_e32 vcc, v6, v5
	v_add_u32_e32 v6, 4, v4
	s_waitcnt lgkmcnt(0)
	v_cndmask_b32_e32 v3, 0, v3, vcc
	v_cmp_gt_u32_e32 vcc, 60, v4
	v_add_u32_e32 v1, v1, v3
	v_cndmask_b32_e64 v3, 0, 4, vcc
	v_add_lshl_u32 v3, v3, v2, 2
	ds_bpermute_b32 v3, v3, v1
	v_cmp_lt_u32_e32 vcc, v6, v5
	v_add_u32_e32 v6, 8, v4
	s_waitcnt lgkmcnt(0)
	v_cndmask_b32_e32 v3, 0, v3, vcc
	v_cmp_gt_u32_e32 vcc, 56, v4
	v_add_u32_e32 v1, v1, v3
	v_cndmask_b32_e64 v3, 0, 8, vcc
	v_add_lshl_u32 v3, v3, v2, 2
	ds_bpermute_b32 v3, v3, v1
	;; [unrolled: 9-line block ×3, first 2 shown]
	v_cmp_lt_u32_e32 vcc, v6, v5
	v_add_u32_e32 v4, 32, v4
	s_waitcnt lgkmcnt(0)
	v_cndmask_b32_e32 v3, 0, v3, vcc
	v_add_u32_e32 v1, v1, v3
	v_lshlrev_b32_e32 v3, 2, v2
	v_or_b32_e32 v6, 0x80, v3
	ds_bpermute_b32 v6, v6, v1
	v_cmp_lt_u32_e32 vcc, v4, v5
	s_waitcnt lgkmcnt(0)
	v_cndmask_b32_e32 v4, 0, v6, vcc
	v_add_u32_e32 v1, v1, v4
	v_cmp_eq_u32_e32 vcc, 0, v2
	s_and_saveexec_b64 s[0:1], vcc
; %bb.210:
	v_lshrrev_b32_e32 v4, 4, v0
	v_and_b32_e32 v4, 12, v4
	ds_write_b32 v4, v1 offset:96
; %bb.211:
	s_or_b64 exec, exec, s[0:1]
	v_cmp_gt_u32_e32 vcc, 4, v0
	s_waitcnt lgkmcnt(0)
	s_barrier
	s_and_saveexec_b64 s[0:1], vcc
	s_cbranch_execz .LBB331_213
; %bb.212:
	ds_read_b32 v1, v3 offset:96
	v_and_b32_e32 v4, 3, v2
	v_cmp_ne_u32_e32 vcc, 3, v4
	v_addc_co_u32_e32 v2, vcc, 0, v2, vcc
	v_lshlrev_b32_e32 v2, 2, v2
	s_waitcnt lgkmcnt(0)
	ds_bpermute_b32 v2, v2, v1
	s_add_i32 s2, s2, 63
	s_lshr_b32 s2, s2, 6
	v_add_u32_e32 v5, 1, v4
	v_cmp_gt_u32_e32 vcc, s2, v5
	s_waitcnt lgkmcnt(0)
	v_cndmask_b32_e32 v2, 0, v2, vcc
	v_add_u32_e32 v1, v2, v1
	v_or_b32_e32 v2, 8, v3
	ds_bpermute_b32 v2, v2, v1
	v_add_u32_e32 v3, 2, v4
	v_cmp_gt_u32_e32 vcc, s2, v3
	s_waitcnt lgkmcnt(0)
	v_cndmask_b32_e32 v2, 0, v2, vcc
	v_add_u32_e32 v1, v1, v2
.LBB331_213:
	s_or_b64 exec, exec, s[0:1]
.LBB331_214:
	v_cmp_eq_u32_e64 s[2:3], 0, v0
	s_branch .LBB331_224
.LBB331_215:
	s_cmp_eq_u32 s33, 1
	s_cbranch_scc0 .LBB331_223
; %bb.216:
	s_mov_b32 s1, 0
	s_lshl_b32 s0, s6, 8
	s_mov_b32 s7, s1
	s_lshr_b64 s[2:3], s[38:39], 8
	s_cmp_lg_u64 s[2:3], s[6:7]
	v_mbcnt_lo_u32_b32 v2, -1, 0
	s_cbranch_scc0 .LBB331_227
; %bb.217:
	s_lshl_b64 s[2:3], s[0:1], 2
	s_add_u32 s2, s36, s2
	s_addc_u32 s3, s37, s3
	v_lshlrev_b32_e32 v1, 2, v0
	global_load_dword v1, v1, s[2:3]
	v_mbcnt_hi_u32_b32 v3, -1, v2
	v_lshlrev_b32_e32 v4, 2, v3
	v_or_b32_e32 v5, 0xfc, v4
	v_cmp_eq_u32_e32 vcc, 0, v3
	s_waitcnt vmcnt(0)
	v_add_u32_dpp v1, v1, v1 quad_perm:[1,0,3,2] row_mask:0xf bank_mask:0xf bound_ctrl:1
	s_nop 1
	v_add_u32_dpp v1, v1, v1 quad_perm:[2,3,0,1] row_mask:0xf bank_mask:0xf bound_ctrl:1
	s_nop 1
	v_add_u32_dpp v1, v1, v1 row_ror:4 row_mask:0xf bank_mask:0xf bound_ctrl:1
	s_nop 1
	v_add_u32_dpp v1, v1, v1 row_ror:8 row_mask:0xf bank_mask:0xf bound_ctrl:1
	s_nop 1
	v_add_u32_dpp v1, v1, v1 row_bcast:15 row_mask:0xf bank_mask:0xf bound_ctrl:1
	s_nop 1
	v_add_u32_dpp v1, v1, v1 row_bcast:31 row_mask:0xf bank_mask:0xf bound_ctrl:1
	ds_bpermute_b32 v1, v5, v1
	s_and_saveexec_b64 s[2:3], vcc
	s_cbranch_execz .LBB331_219
; %bb.218:
	v_lshrrev_b32_e32 v5, 4, v0
	v_and_b32_e32 v5, 12, v5
	s_waitcnt lgkmcnt(0)
	ds_write_b32 v5, v1 offset:16
.LBB331_219:
	s_or_b64 exec, exec, s[2:3]
	v_cmp_gt_u32_e32 vcc, 64, v0
	s_waitcnt lgkmcnt(0)
	s_barrier
	s_and_saveexec_b64 s[2:3], vcc
	s_cbranch_execz .LBB331_221
; %bb.220:
	v_and_b32_e32 v1, 3, v3
	v_lshlrev_b32_e32 v5, 2, v1
	ds_read_b32 v5, v5 offset:16
	v_cmp_ne_u32_e32 vcc, 3, v1
	v_addc_co_u32_e32 v1, vcc, 0, v3, vcc
	v_lshlrev_b32_e32 v1, 2, v1
	s_waitcnt lgkmcnt(0)
	ds_bpermute_b32 v1, v1, v5
	v_or_b32_e32 v3, 8, v4
	s_waitcnt lgkmcnt(0)
	v_add_u32_e32 v1, v1, v5
	ds_bpermute_b32 v3, v3, v1
	s_waitcnt lgkmcnt(0)
	v_add_u32_e32 v1, v3, v1
.LBB331_221:
	s_or_b64 exec, exec, s[2:3]
.LBB331_222:
	v_cmp_eq_u32_e64 s[2:3], 0, v0
	s_and_saveexec_b64 s[0:1], s[2:3]
	s_cbranch_execnz .LBB331_225
	s_branch .LBB331_226
.LBB331_223:
                                        ; implicit-def: $vgpr1
                                        ; implicit-def: $sgpr6_sgpr7
.LBB331_224:
	s_and_saveexec_b64 s[0:1], s[2:3]
	s_cbranch_execz .LBB331_226
.LBB331_225:
	s_load_dwordx2 s[0:1], s[4:5], 0x18
	s_load_dword s8, s[4:5], 0x20
	s_lshl_b64 s[2:3], s[6:7], 2
	v_mov_b32_e32 v0, 0
	s_waitcnt lgkmcnt(0)
	s_add_u32 s0, s0, s2
	s_addc_u32 s1, s1, s3
	s_cmp_lg_u64 s[38:39], 0
	s_cselect_b64 vcc, -1, 0
	v_cndmask_b32_e32 v1, 0, v1, vcc
	v_add_u32_e32 v1, s8, v1
	global_store_dword v0, v1, s[0:1]
.LBB331_226:
	s_endpgm
.LBB331_227:
                                        ; implicit-def: $vgpr1
	s_cbranch_execz .LBB331_222
; %bb.228:
	s_sub_i32 s8, s38, s0
	v_cmp_gt_u32_e32 vcc, s8, v0
                                        ; implicit-def: $vgpr1
	s_and_saveexec_b64 s[2:3], vcc
	s_cbranch_execz .LBB331_230
; %bb.229:
	s_lshl_b64 s[0:1], s[0:1], 2
	s_add_u32 s0, s36, s0
	s_addc_u32 s1, s37, s1
	v_lshlrev_b32_e32 v1, 2, v0
	global_load_dword v1, v1, s[0:1]
.LBB331_230:
	s_or_b64 exec, exec, s[2:3]
	v_mbcnt_hi_u32_b32 v2, -1, v2
	v_and_b32_e32 v4, 63, v2
	v_cmp_ne_u32_e32 vcc, 63, v4
	v_addc_co_u32_e32 v3, vcc, 0, v2, vcc
	v_lshlrev_b32_e32 v3, 2, v3
	s_waitcnt vmcnt(0)
	ds_bpermute_b32 v3, v3, v1
	s_min_u32 s2, s8, 0x100
	v_and_b32_e32 v5, 0xc0, v0
	v_sub_u32_e64 v5, s2, v5 clamp
	v_add_u32_e32 v6, 1, v4
	v_cmp_lt_u32_e32 vcc, v6, v5
	s_waitcnt lgkmcnt(0)
	v_cndmask_b32_e32 v3, 0, v3, vcc
	v_cmp_gt_u32_e32 vcc, 62, v4
	v_add_u32_e32 v1, v3, v1
	v_cndmask_b32_e64 v3, 0, 2, vcc
	v_add_lshl_u32 v3, v3, v2, 2
	ds_bpermute_b32 v3, v3, v1
	v_add_u32_e32 v6, 2, v4
	v_cmp_lt_u32_e32 vcc, v6, v5
	v_add_u32_e32 v6, 4, v4
	s_waitcnt lgkmcnt(0)
	v_cndmask_b32_e32 v3, 0, v3, vcc
	v_cmp_gt_u32_e32 vcc, 60, v4
	v_add_u32_e32 v1, v1, v3
	v_cndmask_b32_e64 v3, 0, 4, vcc
	v_add_lshl_u32 v3, v3, v2, 2
	ds_bpermute_b32 v3, v3, v1
	v_cmp_lt_u32_e32 vcc, v6, v5
	v_add_u32_e32 v6, 8, v4
	s_waitcnt lgkmcnt(0)
	v_cndmask_b32_e32 v3, 0, v3, vcc
	v_cmp_gt_u32_e32 vcc, 56, v4
	v_add_u32_e32 v1, v1, v3
	v_cndmask_b32_e64 v3, 0, 8, vcc
	v_add_lshl_u32 v3, v3, v2, 2
	ds_bpermute_b32 v3, v3, v1
	;; [unrolled: 9-line block ×3, first 2 shown]
	v_cmp_lt_u32_e32 vcc, v6, v5
	v_add_u32_e32 v4, 32, v4
	s_waitcnt lgkmcnt(0)
	v_cndmask_b32_e32 v3, 0, v3, vcc
	v_add_u32_e32 v1, v1, v3
	v_lshlrev_b32_e32 v3, 2, v2
	v_or_b32_e32 v6, 0x80, v3
	ds_bpermute_b32 v6, v6, v1
	v_cmp_lt_u32_e32 vcc, v4, v5
	s_waitcnt lgkmcnt(0)
	v_cndmask_b32_e32 v4, 0, v6, vcc
	v_add_u32_e32 v1, v1, v4
	v_cmp_eq_u32_e32 vcc, 0, v2
	s_and_saveexec_b64 s[0:1], vcc
; %bb.231:
	v_lshrrev_b32_e32 v4, 4, v0
	v_and_b32_e32 v4, 12, v4
	ds_write_b32 v4, v1 offset:96
; %bb.232:
	s_or_b64 exec, exec, s[0:1]
	v_cmp_gt_u32_e32 vcc, 4, v0
	s_waitcnt lgkmcnt(0)
	s_barrier
	s_and_saveexec_b64 s[0:1], vcc
	s_cbranch_execz .LBB331_234
; %bb.233:
	ds_read_b32 v1, v3 offset:96
	v_and_b32_e32 v4, 3, v2
	v_cmp_ne_u32_e32 vcc, 3, v4
	v_addc_co_u32_e32 v2, vcc, 0, v2, vcc
	v_lshlrev_b32_e32 v2, 2, v2
	s_waitcnt lgkmcnt(0)
	ds_bpermute_b32 v2, v2, v1
	s_add_i32 s2, s2, 63
	s_lshr_b32 s2, s2, 6
	v_add_u32_e32 v5, 1, v4
	v_cmp_gt_u32_e32 vcc, s2, v5
	s_waitcnt lgkmcnt(0)
	v_cndmask_b32_e32 v2, 0, v2, vcc
	v_add_u32_e32 v1, v2, v1
	v_or_b32_e32 v2, 8, v3
	ds_bpermute_b32 v2, v2, v1
	v_add_u32_e32 v3, 2, v4
	v_cmp_gt_u32_e32 vcc, s2, v3
	s_waitcnt lgkmcnt(0)
	v_cndmask_b32_e32 v2, 0, v2, vcc
	v_add_u32_e32 v1, v1, v2
.LBB331_234:
	s_or_b64 exec, exec, s[0:1]
	v_cmp_eq_u32_e64 s[2:3], 0, v0
	s_and_saveexec_b64 s[0:1], s[2:3]
	s_cbranch_execnz .LBB331_225
	s_branch .LBB331_226
	.section	.rodata,"a",@progbits
	.p2align	6, 0x0
	.amdhsa_kernel _ZN7rocprim17ROCPRIM_400000_NS6detail17trampoline_kernelINS0_14default_configENS1_22reduce_config_selectorIiEEZNS1_11reduce_implILb1ES3_PiS7_iN6thrust23THRUST_200600_302600_NS4plusIiEEEE10hipError_tPvRmT1_T2_T3_mT4_P12ihipStream_tbEUlT_E1_NS1_11comp_targetILNS1_3genE2ELNS1_11target_archE906ELNS1_3gpuE6ELNS1_3repE0EEENS1_30default_config_static_selectorELNS0_4arch9wavefront6targetE1EEEvSF_
		.amdhsa_group_segment_fixed_size 112
		.amdhsa_private_segment_fixed_size 0
		.amdhsa_kernarg_size 40
		.amdhsa_user_sgpr_count 6
		.amdhsa_user_sgpr_private_segment_buffer 1
		.amdhsa_user_sgpr_dispatch_ptr 0
		.amdhsa_user_sgpr_queue_ptr 0
		.amdhsa_user_sgpr_kernarg_segment_ptr 1
		.amdhsa_user_sgpr_dispatch_id 0
		.amdhsa_user_sgpr_flat_scratch_init 0
		.amdhsa_user_sgpr_private_segment_size 0
		.amdhsa_uses_dynamic_stack 0
		.amdhsa_system_sgpr_private_segment_wavefront_offset 0
		.amdhsa_system_sgpr_workgroup_id_x 1
		.amdhsa_system_sgpr_workgroup_id_y 0
		.amdhsa_system_sgpr_workgroup_id_z 0
		.amdhsa_system_sgpr_workgroup_info 0
		.amdhsa_system_vgpr_workitem_id 0
		.amdhsa_next_free_vgpr 39
		.amdhsa_next_free_sgpr 43
		.amdhsa_reserve_vcc 1
		.amdhsa_reserve_flat_scratch 0
		.amdhsa_float_round_mode_32 0
		.amdhsa_float_round_mode_16_64 0
		.amdhsa_float_denorm_mode_32 3
		.amdhsa_float_denorm_mode_16_64 3
		.amdhsa_dx10_clamp 1
		.amdhsa_ieee_mode 1
		.amdhsa_fp16_overflow 0
		.amdhsa_exception_fp_ieee_invalid_op 0
		.amdhsa_exception_fp_denorm_src 0
		.amdhsa_exception_fp_ieee_div_zero 0
		.amdhsa_exception_fp_ieee_overflow 0
		.amdhsa_exception_fp_ieee_underflow 0
		.amdhsa_exception_fp_ieee_inexact 0
		.amdhsa_exception_int_div_zero 0
	.end_amdhsa_kernel
	.section	.text._ZN7rocprim17ROCPRIM_400000_NS6detail17trampoline_kernelINS0_14default_configENS1_22reduce_config_selectorIiEEZNS1_11reduce_implILb1ES3_PiS7_iN6thrust23THRUST_200600_302600_NS4plusIiEEEE10hipError_tPvRmT1_T2_T3_mT4_P12ihipStream_tbEUlT_E1_NS1_11comp_targetILNS1_3genE2ELNS1_11target_archE906ELNS1_3gpuE6ELNS1_3repE0EEENS1_30default_config_static_selectorELNS0_4arch9wavefront6targetE1EEEvSF_,"axG",@progbits,_ZN7rocprim17ROCPRIM_400000_NS6detail17trampoline_kernelINS0_14default_configENS1_22reduce_config_selectorIiEEZNS1_11reduce_implILb1ES3_PiS7_iN6thrust23THRUST_200600_302600_NS4plusIiEEEE10hipError_tPvRmT1_T2_T3_mT4_P12ihipStream_tbEUlT_E1_NS1_11comp_targetILNS1_3genE2ELNS1_11target_archE906ELNS1_3gpuE6ELNS1_3repE0EEENS1_30default_config_static_selectorELNS0_4arch9wavefront6targetE1EEEvSF_,comdat
.Lfunc_end331:
	.size	_ZN7rocprim17ROCPRIM_400000_NS6detail17trampoline_kernelINS0_14default_configENS1_22reduce_config_selectorIiEEZNS1_11reduce_implILb1ES3_PiS7_iN6thrust23THRUST_200600_302600_NS4plusIiEEEE10hipError_tPvRmT1_T2_T3_mT4_P12ihipStream_tbEUlT_E1_NS1_11comp_targetILNS1_3genE2ELNS1_11target_archE906ELNS1_3gpuE6ELNS1_3repE0EEENS1_30default_config_static_selectorELNS0_4arch9wavefront6targetE1EEEvSF_, .Lfunc_end331-_ZN7rocprim17ROCPRIM_400000_NS6detail17trampoline_kernelINS0_14default_configENS1_22reduce_config_selectorIiEEZNS1_11reduce_implILb1ES3_PiS7_iN6thrust23THRUST_200600_302600_NS4plusIiEEEE10hipError_tPvRmT1_T2_T3_mT4_P12ihipStream_tbEUlT_E1_NS1_11comp_targetILNS1_3genE2ELNS1_11target_archE906ELNS1_3gpuE6ELNS1_3repE0EEENS1_30default_config_static_selectorELNS0_4arch9wavefront6targetE1EEEvSF_
                                        ; -- End function
	.set _ZN7rocprim17ROCPRIM_400000_NS6detail17trampoline_kernelINS0_14default_configENS1_22reduce_config_selectorIiEEZNS1_11reduce_implILb1ES3_PiS7_iN6thrust23THRUST_200600_302600_NS4plusIiEEEE10hipError_tPvRmT1_T2_T3_mT4_P12ihipStream_tbEUlT_E1_NS1_11comp_targetILNS1_3genE2ELNS1_11target_archE906ELNS1_3gpuE6ELNS1_3repE0EEENS1_30default_config_static_selectorELNS0_4arch9wavefront6targetE1EEEvSF_.num_vgpr, 39
	.set _ZN7rocprim17ROCPRIM_400000_NS6detail17trampoline_kernelINS0_14default_configENS1_22reduce_config_selectorIiEEZNS1_11reduce_implILb1ES3_PiS7_iN6thrust23THRUST_200600_302600_NS4plusIiEEEE10hipError_tPvRmT1_T2_T3_mT4_P12ihipStream_tbEUlT_E1_NS1_11comp_targetILNS1_3genE2ELNS1_11target_archE906ELNS1_3gpuE6ELNS1_3repE0EEENS1_30default_config_static_selectorELNS0_4arch9wavefront6targetE1EEEvSF_.num_agpr, 0
	.set _ZN7rocprim17ROCPRIM_400000_NS6detail17trampoline_kernelINS0_14default_configENS1_22reduce_config_selectorIiEEZNS1_11reduce_implILb1ES3_PiS7_iN6thrust23THRUST_200600_302600_NS4plusIiEEEE10hipError_tPvRmT1_T2_T3_mT4_P12ihipStream_tbEUlT_E1_NS1_11comp_targetILNS1_3genE2ELNS1_11target_archE906ELNS1_3gpuE6ELNS1_3repE0EEENS1_30default_config_static_selectorELNS0_4arch9wavefront6targetE1EEEvSF_.numbered_sgpr, 43
	.set _ZN7rocprim17ROCPRIM_400000_NS6detail17trampoline_kernelINS0_14default_configENS1_22reduce_config_selectorIiEEZNS1_11reduce_implILb1ES3_PiS7_iN6thrust23THRUST_200600_302600_NS4plusIiEEEE10hipError_tPvRmT1_T2_T3_mT4_P12ihipStream_tbEUlT_E1_NS1_11comp_targetILNS1_3genE2ELNS1_11target_archE906ELNS1_3gpuE6ELNS1_3repE0EEENS1_30default_config_static_selectorELNS0_4arch9wavefront6targetE1EEEvSF_.num_named_barrier, 0
	.set _ZN7rocprim17ROCPRIM_400000_NS6detail17trampoline_kernelINS0_14default_configENS1_22reduce_config_selectorIiEEZNS1_11reduce_implILb1ES3_PiS7_iN6thrust23THRUST_200600_302600_NS4plusIiEEEE10hipError_tPvRmT1_T2_T3_mT4_P12ihipStream_tbEUlT_E1_NS1_11comp_targetILNS1_3genE2ELNS1_11target_archE906ELNS1_3gpuE6ELNS1_3repE0EEENS1_30default_config_static_selectorELNS0_4arch9wavefront6targetE1EEEvSF_.private_seg_size, 0
	.set _ZN7rocprim17ROCPRIM_400000_NS6detail17trampoline_kernelINS0_14default_configENS1_22reduce_config_selectorIiEEZNS1_11reduce_implILb1ES3_PiS7_iN6thrust23THRUST_200600_302600_NS4plusIiEEEE10hipError_tPvRmT1_T2_T3_mT4_P12ihipStream_tbEUlT_E1_NS1_11comp_targetILNS1_3genE2ELNS1_11target_archE906ELNS1_3gpuE6ELNS1_3repE0EEENS1_30default_config_static_selectorELNS0_4arch9wavefront6targetE1EEEvSF_.uses_vcc, 1
	.set _ZN7rocprim17ROCPRIM_400000_NS6detail17trampoline_kernelINS0_14default_configENS1_22reduce_config_selectorIiEEZNS1_11reduce_implILb1ES3_PiS7_iN6thrust23THRUST_200600_302600_NS4plusIiEEEE10hipError_tPvRmT1_T2_T3_mT4_P12ihipStream_tbEUlT_E1_NS1_11comp_targetILNS1_3genE2ELNS1_11target_archE906ELNS1_3gpuE6ELNS1_3repE0EEENS1_30default_config_static_selectorELNS0_4arch9wavefront6targetE1EEEvSF_.uses_flat_scratch, 0
	.set _ZN7rocprim17ROCPRIM_400000_NS6detail17trampoline_kernelINS0_14default_configENS1_22reduce_config_selectorIiEEZNS1_11reduce_implILb1ES3_PiS7_iN6thrust23THRUST_200600_302600_NS4plusIiEEEE10hipError_tPvRmT1_T2_T3_mT4_P12ihipStream_tbEUlT_E1_NS1_11comp_targetILNS1_3genE2ELNS1_11target_archE906ELNS1_3gpuE6ELNS1_3repE0EEENS1_30default_config_static_selectorELNS0_4arch9wavefront6targetE1EEEvSF_.has_dyn_sized_stack, 0
	.set _ZN7rocprim17ROCPRIM_400000_NS6detail17trampoline_kernelINS0_14default_configENS1_22reduce_config_selectorIiEEZNS1_11reduce_implILb1ES3_PiS7_iN6thrust23THRUST_200600_302600_NS4plusIiEEEE10hipError_tPvRmT1_T2_T3_mT4_P12ihipStream_tbEUlT_E1_NS1_11comp_targetILNS1_3genE2ELNS1_11target_archE906ELNS1_3gpuE6ELNS1_3repE0EEENS1_30default_config_static_selectorELNS0_4arch9wavefront6targetE1EEEvSF_.has_recursion, 0
	.set _ZN7rocprim17ROCPRIM_400000_NS6detail17trampoline_kernelINS0_14default_configENS1_22reduce_config_selectorIiEEZNS1_11reduce_implILb1ES3_PiS7_iN6thrust23THRUST_200600_302600_NS4plusIiEEEE10hipError_tPvRmT1_T2_T3_mT4_P12ihipStream_tbEUlT_E1_NS1_11comp_targetILNS1_3genE2ELNS1_11target_archE906ELNS1_3gpuE6ELNS1_3repE0EEENS1_30default_config_static_selectorELNS0_4arch9wavefront6targetE1EEEvSF_.has_indirect_call, 0
	.section	.AMDGPU.csdata,"",@progbits
; Kernel info:
; codeLenInByte = 9060
; TotalNumSgprs: 47
; NumVgprs: 39
; ScratchSize: 0
; MemoryBound: 0
; FloatMode: 240
; IeeeMode: 1
; LDSByteSize: 112 bytes/workgroup (compile time only)
; SGPRBlocks: 5
; VGPRBlocks: 9
; NumSGPRsForWavesPerEU: 47
; NumVGPRsForWavesPerEU: 39
; Occupancy: 6
; WaveLimiterHint : 1
; COMPUTE_PGM_RSRC2:SCRATCH_EN: 0
; COMPUTE_PGM_RSRC2:USER_SGPR: 6
; COMPUTE_PGM_RSRC2:TRAP_HANDLER: 0
; COMPUTE_PGM_RSRC2:TGID_X_EN: 1
; COMPUTE_PGM_RSRC2:TGID_Y_EN: 0
; COMPUTE_PGM_RSRC2:TGID_Z_EN: 0
; COMPUTE_PGM_RSRC2:TIDIG_COMP_CNT: 0
	.section	.text._ZN7rocprim17ROCPRIM_400000_NS6detail17trampoline_kernelINS0_14default_configENS1_22reduce_config_selectorIiEEZNS1_11reduce_implILb1ES3_PiS7_iN6thrust23THRUST_200600_302600_NS4plusIiEEEE10hipError_tPvRmT1_T2_T3_mT4_P12ihipStream_tbEUlT_E1_NS1_11comp_targetILNS1_3genE10ELNS1_11target_archE1201ELNS1_3gpuE5ELNS1_3repE0EEENS1_30default_config_static_selectorELNS0_4arch9wavefront6targetE1EEEvSF_,"axG",@progbits,_ZN7rocprim17ROCPRIM_400000_NS6detail17trampoline_kernelINS0_14default_configENS1_22reduce_config_selectorIiEEZNS1_11reduce_implILb1ES3_PiS7_iN6thrust23THRUST_200600_302600_NS4plusIiEEEE10hipError_tPvRmT1_T2_T3_mT4_P12ihipStream_tbEUlT_E1_NS1_11comp_targetILNS1_3genE10ELNS1_11target_archE1201ELNS1_3gpuE5ELNS1_3repE0EEENS1_30default_config_static_selectorELNS0_4arch9wavefront6targetE1EEEvSF_,comdat
	.protected	_ZN7rocprim17ROCPRIM_400000_NS6detail17trampoline_kernelINS0_14default_configENS1_22reduce_config_selectorIiEEZNS1_11reduce_implILb1ES3_PiS7_iN6thrust23THRUST_200600_302600_NS4plusIiEEEE10hipError_tPvRmT1_T2_T3_mT4_P12ihipStream_tbEUlT_E1_NS1_11comp_targetILNS1_3genE10ELNS1_11target_archE1201ELNS1_3gpuE5ELNS1_3repE0EEENS1_30default_config_static_selectorELNS0_4arch9wavefront6targetE1EEEvSF_ ; -- Begin function _ZN7rocprim17ROCPRIM_400000_NS6detail17trampoline_kernelINS0_14default_configENS1_22reduce_config_selectorIiEEZNS1_11reduce_implILb1ES3_PiS7_iN6thrust23THRUST_200600_302600_NS4plusIiEEEE10hipError_tPvRmT1_T2_T3_mT4_P12ihipStream_tbEUlT_E1_NS1_11comp_targetILNS1_3genE10ELNS1_11target_archE1201ELNS1_3gpuE5ELNS1_3repE0EEENS1_30default_config_static_selectorELNS0_4arch9wavefront6targetE1EEEvSF_
	.globl	_ZN7rocprim17ROCPRIM_400000_NS6detail17trampoline_kernelINS0_14default_configENS1_22reduce_config_selectorIiEEZNS1_11reduce_implILb1ES3_PiS7_iN6thrust23THRUST_200600_302600_NS4plusIiEEEE10hipError_tPvRmT1_T2_T3_mT4_P12ihipStream_tbEUlT_E1_NS1_11comp_targetILNS1_3genE10ELNS1_11target_archE1201ELNS1_3gpuE5ELNS1_3repE0EEENS1_30default_config_static_selectorELNS0_4arch9wavefront6targetE1EEEvSF_
	.p2align	8
	.type	_ZN7rocprim17ROCPRIM_400000_NS6detail17trampoline_kernelINS0_14default_configENS1_22reduce_config_selectorIiEEZNS1_11reduce_implILb1ES3_PiS7_iN6thrust23THRUST_200600_302600_NS4plusIiEEEE10hipError_tPvRmT1_T2_T3_mT4_P12ihipStream_tbEUlT_E1_NS1_11comp_targetILNS1_3genE10ELNS1_11target_archE1201ELNS1_3gpuE5ELNS1_3repE0EEENS1_30default_config_static_selectorELNS0_4arch9wavefront6targetE1EEEvSF_,@function
_ZN7rocprim17ROCPRIM_400000_NS6detail17trampoline_kernelINS0_14default_configENS1_22reduce_config_selectorIiEEZNS1_11reduce_implILb1ES3_PiS7_iN6thrust23THRUST_200600_302600_NS4plusIiEEEE10hipError_tPvRmT1_T2_T3_mT4_P12ihipStream_tbEUlT_E1_NS1_11comp_targetILNS1_3genE10ELNS1_11target_archE1201ELNS1_3gpuE5ELNS1_3repE0EEENS1_30default_config_static_selectorELNS0_4arch9wavefront6targetE1EEEvSF_: ; @_ZN7rocprim17ROCPRIM_400000_NS6detail17trampoline_kernelINS0_14default_configENS1_22reduce_config_selectorIiEEZNS1_11reduce_implILb1ES3_PiS7_iN6thrust23THRUST_200600_302600_NS4plusIiEEEE10hipError_tPvRmT1_T2_T3_mT4_P12ihipStream_tbEUlT_E1_NS1_11comp_targetILNS1_3genE10ELNS1_11target_archE1201ELNS1_3gpuE5ELNS1_3repE0EEENS1_30default_config_static_selectorELNS0_4arch9wavefront6targetE1EEEvSF_
; %bb.0:
	.section	.rodata,"a",@progbits
	.p2align	6, 0x0
	.amdhsa_kernel _ZN7rocprim17ROCPRIM_400000_NS6detail17trampoline_kernelINS0_14default_configENS1_22reduce_config_selectorIiEEZNS1_11reduce_implILb1ES3_PiS7_iN6thrust23THRUST_200600_302600_NS4plusIiEEEE10hipError_tPvRmT1_T2_T3_mT4_P12ihipStream_tbEUlT_E1_NS1_11comp_targetILNS1_3genE10ELNS1_11target_archE1201ELNS1_3gpuE5ELNS1_3repE0EEENS1_30default_config_static_selectorELNS0_4arch9wavefront6targetE1EEEvSF_
		.amdhsa_group_segment_fixed_size 0
		.amdhsa_private_segment_fixed_size 0
		.amdhsa_kernarg_size 40
		.amdhsa_user_sgpr_count 6
		.amdhsa_user_sgpr_private_segment_buffer 1
		.amdhsa_user_sgpr_dispatch_ptr 0
		.amdhsa_user_sgpr_queue_ptr 0
		.amdhsa_user_sgpr_kernarg_segment_ptr 1
		.amdhsa_user_sgpr_dispatch_id 0
		.amdhsa_user_sgpr_flat_scratch_init 0
		.amdhsa_user_sgpr_private_segment_size 0
		.amdhsa_uses_dynamic_stack 0
		.amdhsa_system_sgpr_private_segment_wavefront_offset 0
		.amdhsa_system_sgpr_workgroup_id_x 1
		.amdhsa_system_sgpr_workgroup_id_y 0
		.amdhsa_system_sgpr_workgroup_id_z 0
		.amdhsa_system_sgpr_workgroup_info 0
		.amdhsa_system_vgpr_workitem_id 0
		.amdhsa_next_free_vgpr 1
		.amdhsa_next_free_sgpr 0
		.amdhsa_reserve_vcc 0
		.amdhsa_reserve_flat_scratch 0
		.amdhsa_float_round_mode_32 0
		.amdhsa_float_round_mode_16_64 0
		.amdhsa_float_denorm_mode_32 3
		.amdhsa_float_denorm_mode_16_64 3
		.amdhsa_dx10_clamp 1
		.amdhsa_ieee_mode 1
		.amdhsa_fp16_overflow 0
		.amdhsa_exception_fp_ieee_invalid_op 0
		.amdhsa_exception_fp_denorm_src 0
		.amdhsa_exception_fp_ieee_div_zero 0
		.amdhsa_exception_fp_ieee_overflow 0
		.amdhsa_exception_fp_ieee_underflow 0
		.amdhsa_exception_fp_ieee_inexact 0
		.amdhsa_exception_int_div_zero 0
	.end_amdhsa_kernel
	.section	.text._ZN7rocprim17ROCPRIM_400000_NS6detail17trampoline_kernelINS0_14default_configENS1_22reduce_config_selectorIiEEZNS1_11reduce_implILb1ES3_PiS7_iN6thrust23THRUST_200600_302600_NS4plusIiEEEE10hipError_tPvRmT1_T2_T3_mT4_P12ihipStream_tbEUlT_E1_NS1_11comp_targetILNS1_3genE10ELNS1_11target_archE1201ELNS1_3gpuE5ELNS1_3repE0EEENS1_30default_config_static_selectorELNS0_4arch9wavefront6targetE1EEEvSF_,"axG",@progbits,_ZN7rocprim17ROCPRIM_400000_NS6detail17trampoline_kernelINS0_14default_configENS1_22reduce_config_selectorIiEEZNS1_11reduce_implILb1ES3_PiS7_iN6thrust23THRUST_200600_302600_NS4plusIiEEEE10hipError_tPvRmT1_T2_T3_mT4_P12ihipStream_tbEUlT_E1_NS1_11comp_targetILNS1_3genE10ELNS1_11target_archE1201ELNS1_3gpuE5ELNS1_3repE0EEENS1_30default_config_static_selectorELNS0_4arch9wavefront6targetE1EEEvSF_,comdat
.Lfunc_end332:
	.size	_ZN7rocprim17ROCPRIM_400000_NS6detail17trampoline_kernelINS0_14default_configENS1_22reduce_config_selectorIiEEZNS1_11reduce_implILb1ES3_PiS7_iN6thrust23THRUST_200600_302600_NS4plusIiEEEE10hipError_tPvRmT1_T2_T3_mT4_P12ihipStream_tbEUlT_E1_NS1_11comp_targetILNS1_3genE10ELNS1_11target_archE1201ELNS1_3gpuE5ELNS1_3repE0EEENS1_30default_config_static_selectorELNS0_4arch9wavefront6targetE1EEEvSF_, .Lfunc_end332-_ZN7rocprim17ROCPRIM_400000_NS6detail17trampoline_kernelINS0_14default_configENS1_22reduce_config_selectorIiEEZNS1_11reduce_implILb1ES3_PiS7_iN6thrust23THRUST_200600_302600_NS4plusIiEEEE10hipError_tPvRmT1_T2_T3_mT4_P12ihipStream_tbEUlT_E1_NS1_11comp_targetILNS1_3genE10ELNS1_11target_archE1201ELNS1_3gpuE5ELNS1_3repE0EEENS1_30default_config_static_selectorELNS0_4arch9wavefront6targetE1EEEvSF_
                                        ; -- End function
	.set _ZN7rocprim17ROCPRIM_400000_NS6detail17trampoline_kernelINS0_14default_configENS1_22reduce_config_selectorIiEEZNS1_11reduce_implILb1ES3_PiS7_iN6thrust23THRUST_200600_302600_NS4plusIiEEEE10hipError_tPvRmT1_T2_T3_mT4_P12ihipStream_tbEUlT_E1_NS1_11comp_targetILNS1_3genE10ELNS1_11target_archE1201ELNS1_3gpuE5ELNS1_3repE0EEENS1_30default_config_static_selectorELNS0_4arch9wavefront6targetE1EEEvSF_.num_vgpr, 0
	.set _ZN7rocprim17ROCPRIM_400000_NS6detail17trampoline_kernelINS0_14default_configENS1_22reduce_config_selectorIiEEZNS1_11reduce_implILb1ES3_PiS7_iN6thrust23THRUST_200600_302600_NS4plusIiEEEE10hipError_tPvRmT1_T2_T3_mT4_P12ihipStream_tbEUlT_E1_NS1_11comp_targetILNS1_3genE10ELNS1_11target_archE1201ELNS1_3gpuE5ELNS1_3repE0EEENS1_30default_config_static_selectorELNS0_4arch9wavefront6targetE1EEEvSF_.num_agpr, 0
	.set _ZN7rocprim17ROCPRIM_400000_NS6detail17trampoline_kernelINS0_14default_configENS1_22reduce_config_selectorIiEEZNS1_11reduce_implILb1ES3_PiS7_iN6thrust23THRUST_200600_302600_NS4plusIiEEEE10hipError_tPvRmT1_T2_T3_mT4_P12ihipStream_tbEUlT_E1_NS1_11comp_targetILNS1_3genE10ELNS1_11target_archE1201ELNS1_3gpuE5ELNS1_3repE0EEENS1_30default_config_static_selectorELNS0_4arch9wavefront6targetE1EEEvSF_.numbered_sgpr, 0
	.set _ZN7rocprim17ROCPRIM_400000_NS6detail17trampoline_kernelINS0_14default_configENS1_22reduce_config_selectorIiEEZNS1_11reduce_implILb1ES3_PiS7_iN6thrust23THRUST_200600_302600_NS4plusIiEEEE10hipError_tPvRmT1_T2_T3_mT4_P12ihipStream_tbEUlT_E1_NS1_11comp_targetILNS1_3genE10ELNS1_11target_archE1201ELNS1_3gpuE5ELNS1_3repE0EEENS1_30default_config_static_selectorELNS0_4arch9wavefront6targetE1EEEvSF_.num_named_barrier, 0
	.set _ZN7rocprim17ROCPRIM_400000_NS6detail17trampoline_kernelINS0_14default_configENS1_22reduce_config_selectorIiEEZNS1_11reduce_implILb1ES3_PiS7_iN6thrust23THRUST_200600_302600_NS4plusIiEEEE10hipError_tPvRmT1_T2_T3_mT4_P12ihipStream_tbEUlT_E1_NS1_11comp_targetILNS1_3genE10ELNS1_11target_archE1201ELNS1_3gpuE5ELNS1_3repE0EEENS1_30default_config_static_selectorELNS0_4arch9wavefront6targetE1EEEvSF_.private_seg_size, 0
	.set _ZN7rocprim17ROCPRIM_400000_NS6detail17trampoline_kernelINS0_14default_configENS1_22reduce_config_selectorIiEEZNS1_11reduce_implILb1ES3_PiS7_iN6thrust23THRUST_200600_302600_NS4plusIiEEEE10hipError_tPvRmT1_T2_T3_mT4_P12ihipStream_tbEUlT_E1_NS1_11comp_targetILNS1_3genE10ELNS1_11target_archE1201ELNS1_3gpuE5ELNS1_3repE0EEENS1_30default_config_static_selectorELNS0_4arch9wavefront6targetE1EEEvSF_.uses_vcc, 0
	.set _ZN7rocprim17ROCPRIM_400000_NS6detail17trampoline_kernelINS0_14default_configENS1_22reduce_config_selectorIiEEZNS1_11reduce_implILb1ES3_PiS7_iN6thrust23THRUST_200600_302600_NS4plusIiEEEE10hipError_tPvRmT1_T2_T3_mT4_P12ihipStream_tbEUlT_E1_NS1_11comp_targetILNS1_3genE10ELNS1_11target_archE1201ELNS1_3gpuE5ELNS1_3repE0EEENS1_30default_config_static_selectorELNS0_4arch9wavefront6targetE1EEEvSF_.uses_flat_scratch, 0
	.set _ZN7rocprim17ROCPRIM_400000_NS6detail17trampoline_kernelINS0_14default_configENS1_22reduce_config_selectorIiEEZNS1_11reduce_implILb1ES3_PiS7_iN6thrust23THRUST_200600_302600_NS4plusIiEEEE10hipError_tPvRmT1_T2_T3_mT4_P12ihipStream_tbEUlT_E1_NS1_11comp_targetILNS1_3genE10ELNS1_11target_archE1201ELNS1_3gpuE5ELNS1_3repE0EEENS1_30default_config_static_selectorELNS0_4arch9wavefront6targetE1EEEvSF_.has_dyn_sized_stack, 0
	.set _ZN7rocprim17ROCPRIM_400000_NS6detail17trampoline_kernelINS0_14default_configENS1_22reduce_config_selectorIiEEZNS1_11reduce_implILb1ES3_PiS7_iN6thrust23THRUST_200600_302600_NS4plusIiEEEE10hipError_tPvRmT1_T2_T3_mT4_P12ihipStream_tbEUlT_E1_NS1_11comp_targetILNS1_3genE10ELNS1_11target_archE1201ELNS1_3gpuE5ELNS1_3repE0EEENS1_30default_config_static_selectorELNS0_4arch9wavefront6targetE1EEEvSF_.has_recursion, 0
	.set _ZN7rocprim17ROCPRIM_400000_NS6detail17trampoline_kernelINS0_14default_configENS1_22reduce_config_selectorIiEEZNS1_11reduce_implILb1ES3_PiS7_iN6thrust23THRUST_200600_302600_NS4plusIiEEEE10hipError_tPvRmT1_T2_T3_mT4_P12ihipStream_tbEUlT_E1_NS1_11comp_targetILNS1_3genE10ELNS1_11target_archE1201ELNS1_3gpuE5ELNS1_3repE0EEENS1_30default_config_static_selectorELNS0_4arch9wavefront6targetE1EEEvSF_.has_indirect_call, 0
	.section	.AMDGPU.csdata,"",@progbits
; Kernel info:
; codeLenInByte = 0
; TotalNumSgprs: 4
; NumVgprs: 0
; ScratchSize: 0
; MemoryBound: 0
; FloatMode: 240
; IeeeMode: 1
; LDSByteSize: 0 bytes/workgroup (compile time only)
; SGPRBlocks: 0
; VGPRBlocks: 0
; NumSGPRsForWavesPerEU: 4
; NumVGPRsForWavesPerEU: 1
; Occupancy: 10
; WaveLimiterHint : 0
; COMPUTE_PGM_RSRC2:SCRATCH_EN: 0
; COMPUTE_PGM_RSRC2:USER_SGPR: 6
; COMPUTE_PGM_RSRC2:TRAP_HANDLER: 0
; COMPUTE_PGM_RSRC2:TGID_X_EN: 1
; COMPUTE_PGM_RSRC2:TGID_Y_EN: 0
; COMPUTE_PGM_RSRC2:TGID_Z_EN: 0
; COMPUTE_PGM_RSRC2:TIDIG_COMP_CNT: 0
	.section	.text._ZN7rocprim17ROCPRIM_400000_NS6detail17trampoline_kernelINS0_14default_configENS1_22reduce_config_selectorIiEEZNS1_11reduce_implILb1ES3_PiS7_iN6thrust23THRUST_200600_302600_NS4plusIiEEEE10hipError_tPvRmT1_T2_T3_mT4_P12ihipStream_tbEUlT_E1_NS1_11comp_targetILNS1_3genE10ELNS1_11target_archE1200ELNS1_3gpuE4ELNS1_3repE0EEENS1_30default_config_static_selectorELNS0_4arch9wavefront6targetE1EEEvSF_,"axG",@progbits,_ZN7rocprim17ROCPRIM_400000_NS6detail17trampoline_kernelINS0_14default_configENS1_22reduce_config_selectorIiEEZNS1_11reduce_implILb1ES3_PiS7_iN6thrust23THRUST_200600_302600_NS4plusIiEEEE10hipError_tPvRmT1_T2_T3_mT4_P12ihipStream_tbEUlT_E1_NS1_11comp_targetILNS1_3genE10ELNS1_11target_archE1200ELNS1_3gpuE4ELNS1_3repE0EEENS1_30default_config_static_selectorELNS0_4arch9wavefront6targetE1EEEvSF_,comdat
	.protected	_ZN7rocprim17ROCPRIM_400000_NS6detail17trampoline_kernelINS0_14default_configENS1_22reduce_config_selectorIiEEZNS1_11reduce_implILb1ES3_PiS7_iN6thrust23THRUST_200600_302600_NS4plusIiEEEE10hipError_tPvRmT1_T2_T3_mT4_P12ihipStream_tbEUlT_E1_NS1_11comp_targetILNS1_3genE10ELNS1_11target_archE1200ELNS1_3gpuE4ELNS1_3repE0EEENS1_30default_config_static_selectorELNS0_4arch9wavefront6targetE1EEEvSF_ ; -- Begin function _ZN7rocprim17ROCPRIM_400000_NS6detail17trampoline_kernelINS0_14default_configENS1_22reduce_config_selectorIiEEZNS1_11reduce_implILb1ES3_PiS7_iN6thrust23THRUST_200600_302600_NS4plusIiEEEE10hipError_tPvRmT1_T2_T3_mT4_P12ihipStream_tbEUlT_E1_NS1_11comp_targetILNS1_3genE10ELNS1_11target_archE1200ELNS1_3gpuE4ELNS1_3repE0EEENS1_30default_config_static_selectorELNS0_4arch9wavefront6targetE1EEEvSF_
	.globl	_ZN7rocprim17ROCPRIM_400000_NS6detail17trampoline_kernelINS0_14default_configENS1_22reduce_config_selectorIiEEZNS1_11reduce_implILb1ES3_PiS7_iN6thrust23THRUST_200600_302600_NS4plusIiEEEE10hipError_tPvRmT1_T2_T3_mT4_P12ihipStream_tbEUlT_E1_NS1_11comp_targetILNS1_3genE10ELNS1_11target_archE1200ELNS1_3gpuE4ELNS1_3repE0EEENS1_30default_config_static_selectorELNS0_4arch9wavefront6targetE1EEEvSF_
	.p2align	8
	.type	_ZN7rocprim17ROCPRIM_400000_NS6detail17trampoline_kernelINS0_14default_configENS1_22reduce_config_selectorIiEEZNS1_11reduce_implILb1ES3_PiS7_iN6thrust23THRUST_200600_302600_NS4plusIiEEEE10hipError_tPvRmT1_T2_T3_mT4_P12ihipStream_tbEUlT_E1_NS1_11comp_targetILNS1_3genE10ELNS1_11target_archE1200ELNS1_3gpuE4ELNS1_3repE0EEENS1_30default_config_static_selectorELNS0_4arch9wavefront6targetE1EEEvSF_,@function
_ZN7rocprim17ROCPRIM_400000_NS6detail17trampoline_kernelINS0_14default_configENS1_22reduce_config_selectorIiEEZNS1_11reduce_implILb1ES3_PiS7_iN6thrust23THRUST_200600_302600_NS4plusIiEEEE10hipError_tPvRmT1_T2_T3_mT4_P12ihipStream_tbEUlT_E1_NS1_11comp_targetILNS1_3genE10ELNS1_11target_archE1200ELNS1_3gpuE4ELNS1_3repE0EEENS1_30default_config_static_selectorELNS0_4arch9wavefront6targetE1EEEvSF_: ; @_ZN7rocprim17ROCPRIM_400000_NS6detail17trampoline_kernelINS0_14default_configENS1_22reduce_config_selectorIiEEZNS1_11reduce_implILb1ES3_PiS7_iN6thrust23THRUST_200600_302600_NS4plusIiEEEE10hipError_tPvRmT1_T2_T3_mT4_P12ihipStream_tbEUlT_E1_NS1_11comp_targetILNS1_3genE10ELNS1_11target_archE1200ELNS1_3gpuE4ELNS1_3repE0EEENS1_30default_config_static_selectorELNS0_4arch9wavefront6targetE1EEEvSF_
; %bb.0:
	.section	.rodata,"a",@progbits
	.p2align	6, 0x0
	.amdhsa_kernel _ZN7rocprim17ROCPRIM_400000_NS6detail17trampoline_kernelINS0_14default_configENS1_22reduce_config_selectorIiEEZNS1_11reduce_implILb1ES3_PiS7_iN6thrust23THRUST_200600_302600_NS4plusIiEEEE10hipError_tPvRmT1_T2_T3_mT4_P12ihipStream_tbEUlT_E1_NS1_11comp_targetILNS1_3genE10ELNS1_11target_archE1200ELNS1_3gpuE4ELNS1_3repE0EEENS1_30default_config_static_selectorELNS0_4arch9wavefront6targetE1EEEvSF_
		.amdhsa_group_segment_fixed_size 0
		.amdhsa_private_segment_fixed_size 0
		.amdhsa_kernarg_size 40
		.amdhsa_user_sgpr_count 6
		.amdhsa_user_sgpr_private_segment_buffer 1
		.amdhsa_user_sgpr_dispatch_ptr 0
		.amdhsa_user_sgpr_queue_ptr 0
		.amdhsa_user_sgpr_kernarg_segment_ptr 1
		.amdhsa_user_sgpr_dispatch_id 0
		.amdhsa_user_sgpr_flat_scratch_init 0
		.amdhsa_user_sgpr_private_segment_size 0
		.amdhsa_uses_dynamic_stack 0
		.amdhsa_system_sgpr_private_segment_wavefront_offset 0
		.amdhsa_system_sgpr_workgroup_id_x 1
		.amdhsa_system_sgpr_workgroup_id_y 0
		.amdhsa_system_sgpr_workgroup_id_z 0
		.amdhsa_system_sgpr_workgroup_info 0
		.amdhsa_system_vgpr_workitem_id 0
		.amdhsa_next_free_vgpr 1
		.amdhsa_next_free_sgpr 0
		.amdhsa_reserve_vcc 0
		.amdhsa_reserve_flat_scratch 0
		.amdhsa_float_round_mode_32 0
		.amdhsa_float_round_mode_16_64 0
		.amdhsa_float_denorm_mode_32 3
		.amdhsa_float_denorm_mode_16_64 3
		.amdhsa_dx10_clamp 1
		.amdhsa_ieee_mode 1
		.amdhsa_fp16_overflow 0
		.amdhsa_exception_fp_ieee_invalid_op 0
		.amdhsa_exception_fp_denorm_src 0
		.amdhsa_exception_fp_ieee_div_zero 0
		.amdhsa_exception_fp_ieee_overflow 0
		.amdhsa_exception_fp_ieee_underflow 0
		.amdhsa_exception_fp_ieee_inexact 0
		.amdhsa_exception_int_div_zero 0
	.end_amdhsa_kernel
	.section	.text._ZN7rocprim17ROCPRIM_400000_NS6detail17trampoline_kernelINS0_14default_configENS1_22reduce_config_selectorIiEEZNS1_11reduce_implILb1ES3_PiS7_iN6thrust23THRUST_200600_302600_NS4plusIiEEEE10hipError_tPvRmT1_T2_T3_mT4_P12ihipStream_tbEUlT_E1_NS1_11comp_targetILNS1_3genE10ELNS1_11target_archE1200ELNS1_3gpuE4ELNS1_3repE0EEENS1_30default_config_static_selectorELNS0_4arch9wavefront6targetE1EEEvSF_,"axG",@progbits,_ZN7rocprim17ROCPRIM_400000_NS6detail17trampoline_kernelINS0_14default_configENS1_22reduce_config_selectorIiEEZNS1_11reduce_implILb1ES3_PiS7_iN6thrust23THRUST_200600_302600_NS4plusIiEEEE10hipError_tPvRmT1_T2_T3_mT4_P12ihipStream_tbEUlT_E1_NS1_11comp_targetILNS1_3genE10ELNS1_11target_archE1200ELNS1_3gpuE4ELNS1_3repE0EEENS1_30default_config_static_selectorELNS0_4arch9wavefront6targetE1EEEvSF_,comdat
.Lfunc_end333:
	.size	_ZN7rocprim17ROCPRIM_400000_NS6detail17trampoline_kernelINS0_14default_configENS1_22reduce_config_selectorIiEEZNS1_11reduce_implILb1ES3_PiS7_iN6thrust23THRUST_200600_302600_NS4plusIiEEEE10hipError_tPvRmT1_T2_T3_mT4_P12ihipStream_tbEUlT_E1_NS1_11comp_targetILNS1_3genE10ELNS1_11target_archE1200ELNS1_3gpuE4ELNS1_3repE0EEENS1_30default_config_static_selectorELNS0_4arch9wavefront6targetE1EEEvSF_, .Lfunc_end333-_ZN7rocprim17ROCPRIM_400000_NS6detail17trampoline_kernelINS0_14default_configENS1_22reduce_config_selectorIiEEZNS1_11reduce_implILb1ES3_PiS7_iN6thrust23THRUST_200600_302600_NS4plusIiEEEE10hipError_tPvRmT1_T2_T3_mT4_P12ihipStream_tbEUlT_E1_NS1_11comp_targetILNS1_3genE10ELNS1_11target_archE1200ELNS1_3gpuE4ELNS1_3repE0EEENS1_30default_config_static_selectorELNS0_4arch9wavefront6targetE1EEEvSF_
                                        ; -- End function
	.set _ZN7rocprim17ROCPRIM_400000_NS6detail17trampoline_kernelINS0_14default_configENS1_22reduce_config_selectorIiEEZNS1_11reduce_implILb1ES3_PiS7_iN6thrust23THRUST_200600_302600_NS4plusIiEEEE10hipError_tPvRmT1_T2_T3_mT4_P12ihipStream_tbEUlT_E1_NS1_11comp_targetILNS1_3genE10ELNS1_11target_archE1200ELNS1_3gpuE4ELNS1_3repE0EEENS1_30default_config_static_selectorELNS0_4arch9wavefront6targetE1EEEvSF_.num_vgpr, 0
	.set _ZN7rocprim17ROCPRIM_400000_NS6detail17trampoline_kernelINS0_14default_configENS1_22reduce_config_selectorIiEEZNS1_11reduce_implILb1ES3_PiS7_iN6thrust23THRUST_200600_302600_NS4plusIiEEEE10hipError_tPvRmT1_T2_T3_mT4_P12ihipStream_tbEUlT_E1_NS1_11comp_targetILNS1_3genE10ELNS1_11target_archE1200ELNS1_3gpuE4ELNS1_3repE0EEENS1_30default_config_static_selectorELNS0_4arch9wavefront6targetE1EEEvSF_.num_agpr, 0
	.set _ZN7rocprim17ROCPRIM_400000_NS6detail17trampoline_kernelINS0_14default_configENS1_22reduce_config_selectorIiEEZNS1_11reduce_implILb1ES3_PiS7_iN6thrust23THRUST_200600_302600_NS4plusIiEEEE10hipError_tPvRmT1_T2_T3_mT4_P12ihipStream_tbEUlT_E1_NS1_11comp_targetILNS1_3genE10ELNS1_11target_archE1200ELNS1_3gpuE4ELNS1_3repE0EEENS1_30default_config_static_selectorELNS0_4arch9wavefront6targetE1EEEvSF_.numbered_sgpr, 0
	.set _ZN7rocprim17ROCPRIM_400000_NS6detail17trampoline_kernelINS0_14default_configENS1_22reduce_config_selectorIiEEZNS1_11reduce_implILb1ES3_PiS7_iN6thrust23THRUST_200600_302600_NS4plusIiEEEE10hipError_tPvRmT1_T2_T3_mT4_P12ihipStream_tbEUlT_E1_NS1_11comp_targetILNS1_3genE10ELNS1_11target_archE1200ELNS1_3gpuE4ELNS1_3repE0EEENS1_30default_config_static_selectorELNS0_4arch9wavefront6targetE1EEEvSF_.num_named_barrier, 0
	.set _ZN7rocprim17ROCPRIM_400000_NS6detail17trampoline_kernelINS0_14default_configENS1_22reduce_config_selectorIiEEZNS1_11reduce_implILb1ES3_PiS7_iN6thrust23THRUST_200600_302600_NS4plusIiEEEE10hipError_tPvRmT1_T2_T3_mT4_P12ihipStream_tbEUlT_E1_NS1_11comp_targetILNS1_3genE10ELNS1_11target_archE1200ELNS1_3gpuE4ELNS1_3repE0EEENS1_30default_config_static_selectorELNS0_4arch9wavefront6targetE1EEEvSF_.private_seg_size, 0
	.set _ZN7rocprim17ROCPRIM_400000_NS6detail17trampoline_kernelINS0_14default_configENS1_22reduce_config_selectorIiEEZNS1_11reduce_implILb1ES3_PiS7_iN6thrust23THRUST_200600_302600_NS4plusIiEEEE10hipError_tPvRmT1_T2_T3_mT4_P12ihipStream_tbEUlT_E1_NS1_11comp_targetILNS1_3genE10ELNS1_11target_archE1200ELNS1_3gpuE4ELNS1_3repE0EEENS1_30default_config_static_selectorELNS0_4arch9wavefront6targetE1EEEvSF_.uses_vcc, 0
	.set _ZN7rocprim17ROCPRIM_400000_NS6detail17trampoline_kernelINS0_14default_configENS1_22reduce_config_selectorIiEEZNS1_11reduce_implILb1ES3_PiS7_iN6thrust23THRUST_200600_302600_NS4plusIiEEEE10hipError_tPvRmT1_T2_T3_mT4_P12ihipStream_tbEUlT_E1_NS1_11comp_targetILNS1_3genE10ELNS1_11target_archE1200ELNS1_3gpuE4ELNS1_3repE0EEENS1_30default_config_static_selectorELNS0_4arch9wavefront6targetE1EEEvSF_.uses_flat_scratch, 0
	.set _ZN7rocprim17ROCPRIM_400000_NS6detail17trampoline_kernelINS0_14default_configENS1_22reduce_config_selectorIiEEZNS1_11reduce_implILb1ES3_PiS7_iN6thrust23THRUST_200600_302600_NS4plusIiEEEE10hipError_tPvRmT1_T2_T3_mT4_P12ihipStream_tbEUlT_E1_NS1_11comp_targetILNS1_3genE10ELNS1_11target_archE1200ELNS1_3gpuE4ELNS1_3repE0EEENS1_30default_config_static_selectorELNS0_4arch9wavefront6targetE1EEEvSF_.has_dyn_sized_stack, 0
	.set _ZN7rocprim17ROCPRIM_400000_NS6detail17trampoline_kernelINS0_14default_configENS1_22reduce_config_selectorIiEEZNS1_11reduce_implILb1ES3_PiS7_iN6thrust23THRUST_200600_302600_NS4plusIiEEEE10hipError_tPvRmT1_T2_T3_mT4_P12ihipStream_tbEUlT_E1_NS1_11comp_targetILNS1_3genE10ELNS1_11target_archE1200ELNS1_3gpuE4ELNS1_3repE0EEENS1_30default_config_static_selectorELNS0_4arch9wavefront6targetE1EEEvSF_.has_recursion, 0
	.set _ZN7rocprim17ROCPRIM_400000_NS6detail17trampoline_kernelINS0_14default_configENS1_22reduce_config_selectorIiEEZNS1_11reduce_implILb1ES3_PiS7_iN6thrust23THRUST_200600_302600_NS4plusIiEEEE10hipError_tPvRmT1_T2_T3_mT4_P12ihipStream_tbEUlT_E1_NS1_11comp_targetILNS1_3genE10ELNS1_11target_archE1200ELNS1_3gpuE4ELNS1_3repE0EEENS1_30default_config_static_selectorELNS0_4arch9wavefront6targetE1EEEvSF_.has_indirect_call, 0
	.section	.AMDGPU.csdata,"",@progbits
; Kernel info:
; codeLenInByte = 0
; TotalNumSgprs: 4
; NumVgprs: 0
; ScratchSize: 0
; MemoryBound: 0
; FloatMode: 240
; IeeeMode: 1
; LDSByteSize: 0 bytes/workgroup (compile time only)
; SGPRBlocks: 0
; VGPRBlocks: 0
; NumSGPRsForWavesPerEU: 4
; NumVGPRsForWavesPerEU: 1
; Occupancy: 10
; WaveLimiterHint : 0
; COMPUTE_PGM_RSRC2:SCRATCH_EN: 0
; COMPUTE_PGM_RSRC2:USER_SGPR: 6
; COMPUTE_PGM_RSRC2:TRAP_HANDLER: 0
; COMPUTE_PGM_RSRC2:TGID_X_EN: 1
; COMPUTE_PGM_RSRC2:TGID_Y_EN: 0
; COMPUTE_PGM_RSRC2:TGID_Z_EN: 0
; COMPUTE_PGM_RSRC2:TIDIG_COMP_CNT: 0
	.section	.text._ZN7rocprim17ROCPRIM_400000_NS6detail17trampoline_kernelINS0_14default_configENS1_22reduce_config_selectorIiEEZNS1_11reduce_implILb1ES3_PiS7_iN6thrust23THRUST_200600_302600_NS4plusIiEEEE10hipError_tPvRmT1_T2_T3_mT4_P12ihipStream_tbEUlT_E1_NS1_11comp_targetILNS1_3genE9ELNS1_11target_archE1100ELNS1_3gpuE3ELNS1_3repE0EEENS1_30default_config_static_selectorELNS0_4arch9wavefront6targetE1EEEvSF_,"axG",@progbits,_ZN7rocprim17ROCPRIM_400000_NS6detail17trampoline_kernelINS0_14default_configENS1_22reduce_config_selectorIiEEZNS1_11reduce_implILb1ES3_PiS7_iN6thrust23THRUST_200600_302600_NS4plusIiEEEE10hipError_tPvRmT1_T2_T3_mT4_P12ihipStream_tbEUlT_E1_NS1_11comp_targetILNS1_3genE9ELNS1_11target_archE1100ELNS1_3gpuE3ELNS1_3repE0EEENS1_30default_config_static_selectorELNS0_4arch9wavefront6targetE1EEEvSF_,comdat
	.protected	_ZN7rocprim17ROCPRIM_400000_NS6detail17trampoline_kernelINS0_14default_configENS1_22reduce_config_selectorIiEEZNS1_11reduce_implILb1ES3_PiS7_iN6thrust23THRUST_200600_302600_NS4plusIiEEEE10hipError_tPvRmT1_T2_T3_mT4_P12ihipStream_tbEUlT_E1_NS1_11comp_targetILNS1_3genE9ELNS1_11target_archE1100ELNS1_3gpuE3ELNS1_3repE0EEENS1_30default_config_static_selectorELNS0_4arch9wavefront6targetE1EEEvSF_ ; -- Begin function _ZN7rocprim17ROCPRIM_400000_NS6detail17trampoline_kernelINS0_14default_configENS1_22reduce_config_selectorIiEEZNS1_11reduce_implILb1ES3_PiS7_iN6thrust23THRUST_200600_302600_NS4plusIiEEEE10hipError_tPvRmT1_T2_T3_mT4_P12ihipStream_tbEUlT_E1_NS1_11comp_targetILNS1_3genE9ELNS1_11target_archE1100ELNS1_3gpuE3ELNS1_3repE0EEENS1_30default_config_static_selectorELNS0_4arch9wavefront6targetE1EEEvSF_
	.globl	_ZN7rocprim17ROCPRIM_400000_NS6detail17trampoline_kernelINS0_14default_configENS1_22reduce_config_selectorIiEEZNS1_11reduce_implILb1ES3_PiS7_iN6thrust23THRUST_200600_302600_NS4plusIiEEEE10hipError_tPvRmT1_T2_T3_mT4_P12ihipStream_tbEUlT_E1_NS1_11comp_targetILNS1_3genE9ELNS1_11target_archE1100ELNS1_3gpuE3ELNS1_3repE0EEENS1_30default_config_static_selectorELNS0_4arch9wavefront6targetE1EEEvSF_
	.p2align	8
	.type	_ZN7rocprim17ROCPRIM_400000_NS6detail17trampoline_kernelINS0_14default_configENS1_22reduce_config_selectorIiEEZNS1_11reduce_implILb1ES3_PiS7_iN6thrust23THRUST_200600_302600_NS4plusIiEEEE10hipError_tPvRmT1_T2_T3_mT4_P12ihipStream_tbEUlT_E1_NS1_11comp_targetILNS1_3genE9ELNS1_11target_archE1100ELNS1_3gpuE3ELNS1_3repE0EEENS1_30default_config_static_selectorELNS0_4arch9wavefront6targetE1EEEvSF_,@function
_ZN7rocprim17ROCPRIM_400000_NS6detail17trampoline_kernelINS0_14default_configENS1_22reduce_config_selectorIiEEZNS1_11reduce_implILb1ES3_PiS7_iN6thrust23THRUST_200600_302600_NS4plusIiEEEE10hipError_tPvRmT1_T2_T3_mT4_P12ihipStream_tbEUlT_E1_NS1_11comp_targetILNS1_3genE9ELNS1_11target_archE1100ELNS1_3gpuE3ELNS1_3repE0EEENS1_30default_config_static_selectorELNS0_4arch9wavefront6targetE1EEEvSF_: ; @_ZN7rocprim17ROCPRIM_400000_NS6detail17trampoline_kernelINS0_14default_configENS1_22reduce_config_selectorIiEEZNS1_11reduce_implILb1ES3_PiS7_iN6thrust23THRUST_200600_302600_NS4plusIiEEEE10hipError_tPvRmT1_T2_T3_mT4_P12ihipStream_tbEUlT_E1_NS1_11comp_targetILNS1_3genE9ELNS1_11target_archE1100ELNS1_3gpuE3ELNS1_3repE0EEENS1_30default_config_static_selectorELNS0_4arch9wavefront6targetE1EEEvSF_
; %bb.0:
	.section	.rodata,"a",@progbits
	.p2align	6, 0x0
	.amdhsa_kernel _ZN7rocprim17ROCPRIM_400000_NS6detail17trampoline_kernelINS0_14default_configENS1_22reduce_config_selectorIiEEZNS1_11reduce_implILb1ES3_PiS7_iN6thrust23THRUST_200600_302600_NS4plusIiEEEE10hipError_tPvRmT1_T2_T3_mT4_P12ihipStream_tbEUlT_E1_NS1_11comp_targetILNS1_3genE9ELNS1_11target_archE1100ELNS1_3gpuE3ELNS1_3repE0EEENS1_30default_config_static_selectorELNS0_4arch9wavefront6targetE1EEEvSF_
		.amdhsa_group_segment_fixed_size 0
		.amdhsa_private_segment_fixed_size 0
		.amdhsa_kernarg_size 40
		.amdhsa_user_sgpr_count 6
		.amdhsa_user_sgpr_private_segment_buffer 1
		.amdhsa_user_sgpr_dispatch_ptr 0
		.amdhsa_user_sgpr_queue_ptr 0
		.amdhsa_user_sgpr_kernarg_segment_ptr 1
		.amdhsa_user_sgpr_dispatch_id 0
		.amdhsa_user_sgpr_flat_scratch_init 0
		.amdhsa_user_sgpr_private_segment_size 0
		.amdhsa_uses_dynamic_stack 0
		.amdhsa_system_sgpr_private_segment_wavefront_offset 0
		.amdhsa_system_sgpr_workgroup_id_x 1
		.amdhsa_system_sgpr_workgroup_id_y 0
		.amdhsa_system_sgpr_workgroup_id_z 0
		.amdhsa_system_sgpr_workgroup_info 0
		.amdhsa_system_vgpr_workitem_id 0
		.amdhsa_next_free_vgpr 1
		.amdhsa_next_free_sgpr 0
		.amdhsa_reserve_vcc 0
		.amdhsa_reserve_flat_scratch 0
		.amdhsa_float_round_mode_32 0
		.amdhsa_float_round_mode_16_64 0
		.amdhsa_float_denorm_mode_32 3
		.amdhsa_float_denorm_mode_16_64 3
		.amdhsa_dx10_clamp 1
		.amdhsa_ieee_mode 1
		.amdhsa_fp16_overflow 0
		.amdhsa_exception_fp_ieee_invalid_op 0
		.amdhsa_exception_fp_denorm_src 0
		.amdhsa_exception_fp_ieee_div_zero 0
		.amdhsa_exception_fp_ieee_overflow 0
		.amdhsa_exception_fp_ieee_underflow 0
		.amdhsa_exception_fp_ieee_inexact 0
		.amdhsa_exception_int_div_zero 0
	.end_amdhsa_kernel
	.section	.text._ZN7rocprim17ROCPRIM_400000_NS6detail17trampoline_kernelINS0_14default_configENS1_22reduce_config_selectorIiEEZNS1_11reduce_implILb1ES3_PiS7_iN6thrust23THRUST_200600_302600_NS4plusIiEEEE10hipError_tPvRmT1_T2_T3_mT4_P12ihipStream_tbEUlT_E1_NS1_11comp_targetILNS1_3genE9ELNS1_11target_archE1100ELNS1_3gpuE3ELNS1_3repE0EEENS1_30default_config_static_selectorELNS0_4arch9wavefront6targetE1EEEvSF_,"axG",@progbits,_ZN7rocprim17ROCPRIM_400000_NS6detail17trampoline_kernelINS0_14default_configENS1_22reduce_config_selectorIiEEZNS1_11reduce_implILb1ES3_PiS7_iN6thrust23THRUST_200600_302600_NS4plusIiEEEE10hipError_tPvRmT1_T2_T3_mT4_P12ihipStream_tbEUlT_E1_NS1_11comp_targetILNS1_3genE9ELNS1_11target_archE1100ELNS1_3gpuE3ELNS1_3repE0EEENS1_30default_config_static_selectorELNS0_4arch9wavefront6targetE1EEEvSF_,comdat
.Lfunc_end334:
	.size	_ZN7rocprim17ROCPRIM_400000_NS6detail17trampoline_kernelINS0_14default_configENS1_22reduce_config_selectorIiEEZNS1_11reduce_implILb1ES3_PiS7_iN6thrust23THRUST_200600_302600_NS4plusIiEEEE10hipError_tPvRmT1_T2_T3_mT4_P12ihipStream_tbEUlT_E1_NS1_11comp_targetILNS1_3genE9ELNS1_11target_archE1100ELNS1_3gpuE3ELNS1_3repE0EEENS1_30default_config_static_selectorELNS0_4arch9wavefront6targetE1EEEvSF_, .Lfunc_end334-_ZN7rocprim17ROCPRIM_400000_NS6detail17trampoline_kernelINS0_14default_configENS1_22reduce_config_selectorIiEEZNS1_11reduce_implILb1ES3_PiS7_iN6thrust23THRUST_200600_302600_NS4plusIiEEEE10hipError_tPvRmT1_T2_T3_mT4_P12ihipStream_tbEUlT_E1_NS1_11comp_targetILNS1_3genE9ELNS1_11target_archE1100ELNS1_3gpuE3ELNS1_3repE0EEENS1_30default_config_static_selectorELNS0_4arch9wavefront6targetE1EEEvSF_
                                        ; -- End function
	.set _ZN7rocprim17ROCPRIM_400000_NS6detail17trampoline_kernelINS0_14default_configENS1_22reduce_config_selectorIiEEZNS1_11reduce_implILb1ES3_PiS7_iN6thrust23THRUST_200600_302600_NS4plusIiEEEE10hipError_tPvRmT1_T2_T3_mT4_P12ihipStream_tbEUlT_E1_NS1_11comp_targetILNS1_3genE9ELNS1_11target_archE1100ELNS1_3gpuE3ELNS1_3repE0EEENS1_30default_config_static_selectorELNS0_4arch9wavefront6targetE1EEEvSF_.num_vgpr, 0
	.set _ZN7rocprim17ROCPRIM_400000_NS6detail17trampoline_kernelINS0_14default_configENS1_22reduce_config_selectorIiEEZNS1_11reduce_implILb1ES3_PiS7_iN6thrust23THRUST_200600_302600_NS4plusIiEEEE10hipError_tPvRmT1_T2_T3_mT4_P12ihipStream_tbEUlT_E1_NS1_11comp_targetILNS1_3genE9ELNS1_11target_archE1100ELNS1_3gpuE3ELNS1_3repE0EEENS1_30default_config_static_selectorELNS0_4arch9wavefront6targetE1EEEvSF_.num_agpr, 0
	.set _ZN7rocprim17ROCPRIM_400000_NS6detail17trampoline_kernelINS0_14default_configENS1_22reduce_config_selectorIiEEZNS1_11reduce_implILb1ES3_PiS7_iN6thrust23THRUST_200600_302600_NS4plusIiEEEE10hipError_tPvRmT1_T2_T3_mT4_P12ihipStream_tbEUlT_E1_NS1_11comp_targetILNS1_3genE9ELNS1_11target_archE1100ELNS1_3gpuE3ELNS1_3repE0EEENS1_30default_config_static_selectorELNS0_4arch9wavefront6targetE1EEEvSF_.numbered_sgpr, 0
	.set _ZN7rocprim17ROCPRIM_400000_NS6detail17trampoline_kernelINS0_14default_configENS1_22reduce_config_selectorIiEEZNS1_11reduce_implILb1ES3_PiS7_iN6thrust23THRUST_200600_302600_NS4plusIiEEEE10hipError_tPvRmT1_T2_T3_mT4_P12ihipStream_tbEUlT_E1_NS1_11comp_targetILNS1_3genE9ELNS1_11target_archE1100ELNS1_3gpuE3ELNS1_3repE0EEENS1_30default_config_static_selectorELNS0_4arch9wavefront6targetE1EEEvSF_.num_named_barrier, 0
	.set _ZN7rocprim17ROCPRIM_400000_NS6detail17trampoline_kernelINS0_14default_configENS1_22reduce_config_selectorIiEEZNS1_11reduce_implILb1ES3_PiS7_iN6thrust23THRUST_200600_302600_NS4plusIiEEEE10hipError_tPvRmT1_T2_T3_mT4_P12ihipStream_tbEUlT_E1_NS1_11comp_targetILNS1_3genE9ELNS1_11target_archE1100ELNS1_3gpuE3ELNS1_3repE0EEENS1_30default_config_static_selectorELNS0_4arch9wavefront6targetE1EEEvSF_.private_seg_size, 0
	.set _ZN7rocprim17ROCPRIM_400000_NS6detail17trampoline_kernelINS0_14default_configENS1_22reduce_config_selectorIiEEZNS1_11reduce_implILb1ES3_PiS7_iN6thrust23THRUST_200600_302600_NS4plusIiEEEE10hipError_tPvRmT1_T2_T3_mT4_P12ihipStream_tbEUlT_E1_NS1_11comp_targetILNS1_3genE9ELNS1_11target_archE1100ELNS1_3gpuE3ELNS1_3repE0EEENS1_30default_config_static_selectorELNS0_4arch9wavefront6targetE1EEEvSF_.uses_vcc, 0
	.set _ZN7rocprim17ROCPRIM_400000_NS6detail17trampoline_kernelINS0_14default_configENS1_22reduce_config_selectorIiEEZNS1_11reduce_implILb1ES3_PiS7_iN6thrust23THRUST_200600_302600_NS4plusIiEEEE10hipError_tPvRmT1_T2_T3_mT4_P12ihipStream_tbEUlT_E1_NS1_11comp_targetILNS1_3genE9ELNS1_11target_archE1100ELNS1_3gpuE3ELNS1_3repE0EEENS1_30default_config_static_selectorELNS0_4arch9wavefront6targetE1EEEvSF_.uses_flat_scratch, 0
	.set _ZN7rocprim17ROCPRIM_400000_NS6detail17trampoline_kernelINS0_14default_configENS1_22reduce_config_selectorIiEEZNS1_11reduce_implILb1ES3_PiS7_iN6thrust23THRUST_200600_302600_NS4plusIiEEEE10hipError_tPvRmT1_T2_T3_mT4_P12ihipStream_tbEUlT_E1_NS1_11comp_targetILNS1_3genE9ELNS1_11target_archE1100ELNS1_3gpuE3ELNS1_3repE0EEENS1_30default_config_static_selectorELNS0_4arch9wavefront6targetE1EEEvSF_.has_dyn_sized_stack, 0
	.set _ZN7rocprim17ROCPRIM_400000_NS6detail17trampoline_kernelINS0_14default_configENS1_22reduce_config_selectorIiEEZNS1_11reduce_implILb1ES3_PiS7_iN6thrust23THRUST_200600_302600_NS4plusIiEEEE10hipError_tPvRmT1_T2_T3_mT4_P12ihipStream_tbEUlT_E1_NS1_11comp_targetILNS1_3genE9ELNS1_11target_archE1100ELNS1_3gpuE3ELNS1_3repE0EEENS1_30default_config_static_selectorELNS0_4arch9wavefront6targetE1EEEvSF_.has_recursion, 0
	.set _ZN7rocprim17ROCPRIM_400000_NS6detail17trampoline_kernelINS0_14default_configENS1_22reduce_config_selectorIiEEZNS1_11reduce_implILb1ES3_PiS7_iN6thrust23THRUST_200600_302600_NS4plusIiEEEE10hipError_tPvRmT1_T2_T3_mT4_P12ihipStream_tbEUlT_E1_NS1_11comp_targetILNS1_3genE9ELNS1_11target_archE1100ELNS1_3gpuE3ELNS1_3repE0EEENS1_30default_config_static_selectorELNS0_4arch9wavefront6targetE1EEEvSF_.has_indirect_call, 0
	.section	.AMDGPU.csdata,"",@progbits
; Kernel info:
; codeLenInByte = 0
; TotalNumSgprs: 4
; NumVgprs: 0
; ScratchSize: 0
; MemoryBound: 0
; FloatMode: 240
; IeeeMode: 1
; LDSByteSize: 0 bytes/workgroup (compile time only)
; SGPRBlocks: 0
; VGPRBlocks: 0
; NumSGPRsForWavesPerEU: 4
; NumVGPRsForWavesPerEU: 1
; Occupancy: 10
; WaveLimiterHint : 0
; COMPUTE_PGM_RSRC2:SCRATCH_EN: 0
; COMPUTE_PGM_RSRC2:USER_SGPR: 6
; COMPUTE_PGM_RSRC2:TRAP_HANDLER: 0
; COMPUTE_PGM_RSRC2:TGID_X_EN: 1
; COMPUTE_PGM_RSRC2:TGID_Y_EN: 0
; COMPUTE_PGM_RSRC2:TGID_Z_EN: 0
; COMPUTE_PGM_RSRC2:TIDIG_COMP_CNT: 0
	.section	.text._ZN7rocprim17ROCPRIM_400000_NS6detail17trampoline_kernelINS0_14default_configENS1_22reduce_config_selectorIiEEZNS1_11reduce_implILb1ES3_PiS7_iN6thrust23THRUST_200600_302600_NS4plusIiEEEE10hipError_tPvRmT1_T2_T3_mT4_P12ihipStream_tbEUlT_E1_NS1_11comp_targetILNS1_3genE8ELNS1_11target_archE1030ELNS1_3gpuE2ELNS1_3repE0EEENS1_30default_config_static_selectorELNS0_4arch9wavefront6targetE1EEEvSF_,"axG",@progbits,_ZN7rocprim17ROCPRIM_400000_NS6detail17trampoline_kernelINS0_14default_configENS1_22reduce_config_selectorIiEEZNS1_11reduce_implILb1ES3_PiS7_iN6thrust23THRUST_200600_302600_NS4plusIiEEEE10hipError_tPvRmT1_T2_T3_mT4_P12ihipStream_tbEUlT_E1_NS1_11comp_targetILNS1_3genE8ELNS1_11target_archE1030ELNS1_3gpuE2ELNS1_3repE0EEENS1_30default_config_static_selectorELNS0_4arch9wavefront6targetE1EEEvSF_,comdat
	.protected	_ZN7rocprim17ROCPRIM_400000_NS6detail17trampoline_kernelINS0_14default_configENS1_22reduce_config_selectorIiEEZNS1_11reduce_implILb1ES3_PiS7_iN6thrust23THRUST_200600_302600_NS4plusIiEEEE10hipError_tPvRmT1_T2_T3_mT4_P12ihipStream_tbEUlT_E1_NS1_11comp_targetILNS1_3genE8ELNS1_11target_archE1030ELNS1_3gpuE2ELNS1_3repE0EEENS1_30default_config_static_selectorELNS0_4arch9wavefront6targetE1EEEvSF_ ; -- Begin function _ZN7rocprim17ROCPRIM_400000_NS6detail17trampoline_kernelINS0_14default_configENS1_22reduce_config_selectorIiEEZNS1_11reduce_implILb1ES3_PiS7_iN6thrust23THRUST_200600_302600_NS4plusIiEEEE10hipError_tPvRmT1_T2_T3_mT4_P12ihipStream_tbEUlT_E1_NS1_11comp_targetILNS1_3genE8ELNS1_11target_archE1030ELNS1_3gpuE2ELNS1_3repE0EEENS1_30default_config_static_selectorELNS0_4arch9wavefront6targetE1EEEvSF_
	.globl	_ZN7rocprim17ROCPRIM_400000_NS6detail17trampoline_kernelINS0_14default_configENS1_22reduce_config_selectorIiEEZNS1_11reduce_implILb1ES3_PiS7_iN6thrust23THRUST_200600_302600_NS4plusIiEEEE10hipError_tPvRmT1_T2_T3_mT4_P12ihipStream_tbEUlT_E1_NS1_11comp_targetILNS1_3genE8ELNS1_11target_archE1030ELNS1_3gpuE2ELNS1_3repE0EEENS1_30default_config_static_selectorELNS0_4arch9wavefront6targetE1EEEvSF_
	.p2align	8
	.type	_ZN7rocprim17ROCPRIM_400000_NS6detail17trampoline_kernelINS0_14default_configENS1_22reduce_config_selectorIiEEZNS1_11reduce_implILb1ES3_PiS7_iN6thrust23THRUST_200600_302600_NS4plusIiEEEE10hipError_tPvRmT1_T2_T3_mT4_P12ihipStream_tbEUlT_E1_NS1_11comp_targetILNS1_3genE8ELNS1_11target_archE1030ELNS1_3gpuE2ELNS1_3repE0EEENS1_30default_config_static_selectorELNS0_4arch9wavefront6targetE1EEEvSF_,@function
_ZN7rocprim17ROCPRIM_400000_NS6detail17trampoline_kernelINS0_14default_configENS1_22reduce_config_selectorIiEEZNS1_11reduce_implILb1ES3_PiS7_iN6thrust23THRUST_200600_302600_NS4plusIiEEEE10hipError_tPvRmT1_T2_T3_mT4_P12ihipStream_tbEUlT_E1_NS1_11comp_targetILNS1_3genE8ELNS1_11target_archE1030ELNS1_3gpuE2ELNS1_3repE0EEENS1_30default_config_static_selectorELNS0_4arch9wavefront6targetE1EEEvSF_: ; @_ZN7rocprim17ROCPRIM_400000_NS6detail17trampoline_kernelINS0_14default_configENS1_22reduce_config_selectorIiEEZNS1_11reduce_implILb1ES3_PiS7_iN6thrust23THRUST_200600_302600_NS4plusIiEEEE10hipError_tPvRmT1_T2_T3_mT4_P12ihipStream_tbEUlT_E1_NS1_11comp_targetILNS1_3genE8ELNS1_11target_archE1030ELNS1_3gpuE2ELNS1_3repE0EEENS1_30default_config_static_selectorELNS0_4arch9wavefront6targetE1EEEvSF_
; %bb.0:
	.section	.rodata,"a",@progbits
	.p2align	6, 0x0
	.amdhsa_kernel _ZN7rocprim17ROCPRIM_400000_NS6detail17trampoline_kernelINS0_14default_configENS1_22reduce_config_selectorIiEEZNS1_11reduce_implILb1ES3_PiS7_iN6thrust23THRUST_200600_302600_NS4plusIiEEEE10hipError_tPvRmT1_T2_T3_mT4_P12ihipStream_tbEUlT_E1_NS1_11comp_targetILNS1_3genE8ELNS1_11target_archE1030ELNS1_3gpuE2ELNS1_3repE0EEENS1_30default_config_static_selectorELNS0_4arch9wavefront6targetE1EEEvSF_
		.amdhsa_group_segment_fixed_size 0
		.amdhsa_private_segment_fixed_size 0
		.amdhsa_kernarg_size 40
		.amdhsa_user_sgpr_count 6
		.amdhsa_user_sgpr_private_segment_buffer 1
		.amdhsa_user_sgpr_dispatch_ptr 0
		.amdhsa_user_sgpr_queue_ptr 0
		.amdhsa_user_sgpr_kernarg_segment_ptr 1
		.amdhsa_user_sgpr_dispatch_id 0
		.amdhsa_user_sgpr_flat_scratch_init 0
		.amdhsa_user_sgpr_private_segment_size 0
		.amdhsa_uses_dynamic_stack 0
		.amdhsa_system_sgpr_private_segment_wavefront_offset 0
		.amdhsa_system_sgpr_workgroup_id_x 1
		.amdhsa_system_sgpr_workgroup_id_y 0
		.amdhsa_system_sgpr_workgroup_id_z 0
		.amdhsa_system_sgpr_workgroup_info 0
		.amdhsa_system_vgpr_workitem_id 0
		.amdhsa_next_free_vgpr 1
		.amdhsa_next_free_sgpr 0
		.amdhsa_reserve_vcc 0
		.amdhsa_reserve_flat_scratch 0
		.amdhsa_float_round_mode_32 0
		.amdhsa_float_round_mode_16_64 0
		.amdhsa_float_denorm_mode_32 3
		.amdhsa_float_denorm_mode_16_64 3
		.amdhsa_dx10_clamp 1
		.amdhsa_ieee_mode 1
		.amdhsa_fp16_overflow 0
		.amdhsa_exception_fp_ieee_invalid_op 0
		.amdhsa_exception_fp_denorm_src 0
		.amdhsa_exception_fp_ieee_div_zero 0
		.amdhsa_exception_fp_ieee_overflow 0
		.amdhsa_exception_fp_ieee_underflow 0
		.amdhsa_exception_fp_ieee_inexact 0
		.amdhsa_exception_int_div_zero 0
	.end_amdhsa_kernel
	.section	.text._ZN7rocprim17ROCPRIM_400000_NS6detail17trampoline_kernelINS0_14default_configENS1_22reduce_config_selectorIiEEZNS1_11reduce_implILb1ES3_PiS7_iN6thrust23THRUST_200600_302600_NS4plusIiEEEE10hipError_tPvRmT1_T2_T3_mT4_P12ihipStream_tbEUlT_E1_NS1_11comp_targetILNS1_3genE8ELNS1_11target_archE1030ELNS1_3gpuE2ELNS1_3repE0EEENS1_30default_config_static_selectorELNS0_4arch9wavefront6targetE1EEEvSF_,"axG",@progbits,_ZN7rocprim17ROCPRIM_400000_NS6detail17trampoline_kernelINS0_14default_configENS1_22reduce_config_selectorIiEEZNS1_11reduce_implILb1ES3_PiS7_iN6thrust23THRUST_200600_302600_NS4plusIiEEEE10hipError_tPvRmT1_T2_T3_mT4_P12ihipStream_tbEUlT_E1_NS1_11comp_targetILNS1_3genE8ELNS1_11target_archE1030ELNS1_3gpuE2ELNS1_3repE0EEENS1_30default_config_static_selectorELNS0_4arch9wavefront6targetE1EEEvSF_,comdat
.Lfunc_end335:
	.size	_ZN7rocprim17ROCPRIM_400000_NS6detail17trampoline_kernelINS0_14default_configENS1_22reduce_config_selectorIiEEZNS1_11reduce_implILb1ES3_PiS7_iN6thrust23THRUST_200600_302600_NS4plusIiEEEE10hipError_tPvRmT1_T2_T3_mT4_P12ihipStream_tbEUlT_E1_NS1_11comp_targetILNS1_3genE8ELNS1_11target_archE1030ELNS1_3gpuE2ELNS1_3repE0EEENS1_30default_config_static_selectorELNS0_4arch9wavefront6targetE1EEEvSF_, .Lfunc_end335-_ZN7rocprim17ROCPRIM_400000_NS6detail17trampoline_kernelINS0_14default_configENS1_22reduce_config_selectorIiEEZNS1_11reduce_implILb1ES3_PiS7_iN6thrust23THRUST_200600_302600_NS4plusIiEEEE10hipError_tPvRmT1_T2_T3_mT4_P12ihipStream_tbEUlT_E1_NS1_11comp_targetILNS1_3genE8ELNS1_11target_archE1030ELNS1_3gpuE2ELNS1_3repE0EEENS1_30default_config_static_selectorELNS0_4arch9wavefront6targetE1EEEvSF_
                                        ; -- End function
	.set _ZN7rocprim17ROCPRIM_400000_NS6detail17trampoline_kernelINS0_14default_configENS1_22reduce_config_selectorIiEEZNS1_11reduce_implILb1ES3_PiS7_iN6thrust23THRUST_200600_302600_NS4plusIiEEEE10hipError_tPvRmT1_T2_T3_mT4_P12ihipStream_tbEUlT_E1_NS1_11comp_targetILNS1_3genE8ELNS1_11target_archE1030ELNS1_3gpuE2ELNS1_3repE0EEENS1_30default_config_static_selectorELNS0_4arch9wavefront6targetE1EEEvSF_.num_vgpr, 0
	.set _ZN7rocprim17ROCPRIM_400000_NS6detail17trampoline_kernelINS0_14default_configENS1_22reduce_config_selectorIiEEZNS1_11reduce_implILb1ES3_PiS7_iN6thrust23THRUST_200600_302600_NS4plusIiEEEE10hipError_tPvRmT1_T2_T3_mT4_P12ihipStream_tbEUlT_E1_NS1_11comp_targetILNS1_3genE8ELNS1_11target_archE1030ELNS1_3gpuE2ELNS1_3repE0EEENS1_30default_config_static_selectorELNS0_4arch9wavefront6targetE1EEEvSF_.num_agpr, 0
	.set _ZN7rocprim17ROCPRIM_400000_NS6detail17trampoline_kernelINS0_14default_configENS1_22reduce_config_selectorIiEEZNS1_11reduce_implILb1ES3_PiS7_iN6thrust23THRUST_200600_302600_NS4plusIiEEEE10hipError_tPvRmT1_T2_T3_mT4_P12ihipStream_tbEUlT_E1_NS1_11comp_targetILNS1_3genE8ELNS1_11target_archE1030ELNS1_3gpuE2ELNS1_3repE0EEENS1_30default_config_static_selectorELNS0_4arch9wavefront6targetE1EEEvSF_.numbered_sgpr, 0
	.set _ZN7rocprim17ROCPRIM_400000_NS6detail17trampoline_kernelINS0_14default_configENS1_22reduce_config_selectorIiEEZNS1_11reduce_implILb1ES3_PiS7_iN6thrust23THRUST_200600_302600_NS4plusIiEEEE10hipError_tPvRmT1_T2_T3_mT4_P12ihipStream_tbEUlT_E1_NS1_11comp_targetILNS1_3genE8ELNS1_11target_archE1030ELNS1_3gpuE2ELNS1_3repE0EEENS1_30default_config_static_selectorELNS0_4arch9wavefront6targetE1EEEvSF_.num_named_barrier, 0
	.set _ZN7rocprim17ROCPRIM_400000_NS6detail17trampoline_kernelINS0_14default_configENS1_22reduce_config_selectorIiEEZNS1_11reduce_implILb1ES3_PiS7_iN6thrust23THRUST_200600_302600_NS4plusIiEEEE10hipError_tPvRmT1_T2_T3_mT4_P12ihipStream_tbEUlT_E1_NS1_11comp_targetILNS1_3genE8ELNS1_11target_archE1030ELNS1_3gpuE2ELNS1_3repE0EEENS1_30default_config_static_selectorELNS0_4arch9wavefront6targetE1EEEvSF_.private_seg_size, 0
	.set _ZN7rocprim17ROCPRIM_400000_NS6detail17trampoline_kernelINS0_14default_configENS1_22reduce_config_selectorIiEEZNS1_11reduce_implILb1ES3_PiS7_iN6thrust23THRUST_200600_302600_NS4plusIiEEEE10hipError_tPvRmT1_T2_T3_mT4_P12ihipStream_tbEUlT_E1_NS1_11comp_targetILNS1_3genE8ELNS1_11target_archE1030ELNS1_3gpuE2ELNS1_3repE0EEENS1_30default_config_static_selectorELNS0_4arch9wavefront6targetE1EEEvSF_.uses_vcc, 0
	.set _ZN7rocprim17ROCPRIM_400000_NS6detail17trampoline_kernelINS0_14default_configENS1_22reduce_config_selectorIiEEZNS1_11reduce_implILb1ES3_PiS7_iN6thrust23THRUST_200600_302600_NS4plusIiEEEE10hipError_tPvRmT1_T2_T3_mT4_P12ihipStream_tbEUlT_E1_NS1_11comp_targetILNS1_3genE8ELNS1_11target_archE1030ELNS1_3gpuE2ELNS1_3repE0EEENS1_30default_config_static_selectorELNS0_4arch9wavefront6targetE1EEEvSF_.uses_flat_scratch, 0
	.set _ZN7rocprim17ROCPRIM_400000_NS6detail17trampoline_kernelINS0_14default_configENS1_22reduce_config_selectorIiEEZNS1_11reduce_implILb1ES3_PiS7_iN6thrust23THRUST_200600_302600_NS4plusIiEEEE10hipError_tPvRmT1_T2_T3_mT4_P12ihipStream_tbEUlT_E1_NS1_11comp_targetILNS1_3genE8ELNS1_11target_archE1030ELNS1_3gpuE2ELNS1_3repE0EEENS1_30default_config_static_selectorELNS0_4arch9wavefront6targetE1EEEvSF_.has_dyn_sized_stack, 0
	.set _ZN7rocprim17ROCPRIM_400000_NS6detail17trampoline_kernelINS0_14default_configENS1_22reduce_config_selectorIiEEZNS1_11reduce_implILb1ES3_PiS7_iN6thrust23THRUST_200600_302600_NS4plusIiEEEE10hipError_tPvRmT1_T2_T3_mT4_P12ihipStream_tbEUlT_E1_NS1_11comp_targetILNS1_3genE8ELNS1_11target_archE1030ELNS1_3gpuE2ELNS1_3repE0EEENS1_30default_config_static_selectorELNS0_4arch9wavefront6targetE1EEEvSF_.has_recursion, 0
	.set _ZN7rocprim17ROCPRIM_400000_NS6detail17trampoline_kernelINS0_14default_configENS1_22reduce_config_selectorIiEEZNS1_11reduce_implILb1ES3_PiS7_iN6thrust23THRUST_200600_302600_NS4plusIiEEEE10hipError_tPvRmT1_T2_T3_mT4_P12ihipStream_tbEUlT_E1_NS1_11comp_targetILNS1_3genE8ELNS1_11target_archE1030ELNS1_3gpuE2ELNS1_3repE0EEENS1_30default_config_static_selectorELNS0_4arch9wavefront6targetE1EEEvSF_.has_indirect_call, 0
	.section	.AMDGPU.csdata,"",@progbits
; Kernel info:
; codeLenInByte = 0
; TotalNumSgprs: 4
; NumVgprs: 0
; ScratchSize: 0
; MemoryBound: 0
; FloatMode: 240
; IeeeMode: 1
; LDSByteSize: 0 bytes/workgroup (compile time only)
; SGPRBlocks: 0
; VGPRBlocks: 0
; NumSGPRsForWavesPerEU: 4
; NumVGPRsForWavesPerEU: 1
; Occupancy: 10
; WaveLimiterHint : 0
; COMPUTE_PGM_RSRC2:SCRATCH_EN: 0
; COMPUTE_PGM_RSRC2:USER_SGPR: 6
; COMPUTE_PGM_RSRC2:TRAP_HANDLER: 0
; COMPUTE_PGM_RSRC2:TGID_X_EN: 1
; COMPUTE_PGM_RSRC2:TGID_Y_EN: 0
; COMPUTE_PGM_RSRC2:TGID_Z_EN: 0
; COMPUTE_PGM_RSRC2:TIDIG_COMP_CNT: 0
	.section	.text._ZN7rocprim17ROCPRIM_400000_NS6detail17trampoline_kernelINS0_14default_configENS1_22reduce_config_selectorIiEEZNS1_11reduce_implILb1ES3_N6thrust23THRUST_200600_302600_NS11hip_rocprim35transform_pair_of_input_iterators_tIiPhSB_NS8_12not_equal_toIhEEEEPiiNS8_4plusIiEEEE10hipError_tPvRmT1_T2_T3_mT4_P12ihipStream_tbEUlT_E0_NS1_11comp_targetILNS1_3genE0ELNS1_11target_archE4294967295ELNS1_3gpuE0ELNS1_3repE0EEENS1_30default_config_static_selectorELNS0_4arch9wavefront6targetE1EEEvSL_,"axG",@progbits,_ZN7rocprim17ROCPRIM_400000_NS6detail17trampoline_kernelINS0_14default_configENS1_22reduce_config_selectorIiEEZNS1_11reduce_implILb1ES3_N6thrust23THRUST_200600_302600_NS11hip_rocprim35transform_pair_of_input_iterators_tIiPhSB_NS8_12not_equal_toIhEEEEPiiNS8_4plusIiEEEE10hipError_tPvRmT1_T2_T3_mT4_P12ihipStream_tbEUlT_E0_NS1_11comp_targetILNS1_3genE0ELNS1_11target_archE4294967295ELNS1_3gpuE0ELNS1_3repE0EEENS1_30default_config_static_selectorELNS0_4arch9wavefront6targetE1EEEvSL_,comdat
	.protected	_ZN7rocprim17ROCPRIM_400000_NS6detail17trampoline_kernelINS0_14default_configENS1_22reduce_config_selectorIiEEZNS1_11reduce_implILb1ES3_N6thrust23THRUST_200600_302600_NS11hip_rocprim35transform_pair_of_input_iterators_tIiPhSB_NS8_12not_equal_toIhEEEEPiiNS8_4plusIiEEEE10hipError_tPvRmT1_T2_T3_mT4_P12ihipStream_tbEUlT_E0_NS1_11comp_targetILNS1_3genE0ELNS1_11target_archE4294967295ELNS1_3gpuE0ELNS1_3repE0EEENS1_30default_config_static_selectorELNS0_4arch9wavefront6targetE1EEEvSL_ ; -- Begin function _ZN7rocprim17ROCPRIM_400000_NS6detail17trampoline_kernelINS0_14default_configENS1_22reduce_config_selectorIiEEZNS1_11reduce_implILb1ES3_N6thrust23THRUST_200600_302600_NS11hip_rocprim35transform_pair_of_input_iterators_tIiPhSB_NS8_12not_equal_toIhEEEEPiiNS8_4plusIiEEEE10hipError_tPvRmT1_T2_T3_mT4_P12ihipStream_tbEUlT_E0_NS1_11comp_targetILNS1_3genE0ELNS1_11target_archE4294967295ELNS1_3gpuE0ELNS1_3repE0EEENS1_30default_config_static_selectorELNS0_4arch9wavefront6targetE1EEEvSL_
	.globl	_ZN7rocprim17ROCPRIM_400000_NS6detail17trampoline_kernelINS0_14default_configENS1_22reduce_config_selectorIiEEZNS1_11reduce_implILb1ES3_N6thrust23THRUST_200600_302600_NS11hip_rocprim35transform_pair_of_input_iterators_tIiPhSB_NS8_12not_equal_toIhEEEEPiiNS8_4plusIiEEEE10hipError_tPvRmT1_T2_T3_mT4_P12ihipStream_tbEUlT_E0_NS1_11comp_targetILNS1_3genE0ELNS1_11target_archE4294967295ELNS1_3gpuE0ELNS1_3repE0EEENS1_30default_config_static_selectorELNS0_4arch9wavefront6targetE1EEEvSL_
	.p2align	8
	.type	_ZN7rocprim17ROCPRIM_400000_NS6detail17trampoline_kernelINS0_14default_configENS1_22reduce_config_selectorIiEEZNS1_11reduce_implILb1ES3_N6thrust23THRUST_200600_302600_NS11hip_rocprim35transform_pair_of_input_iterators_tIiPhSB_NS8_12not_equal_toIhEEEEPiiNS8_4plusIiEEEE10hipError_tPvRmT1_T2_T3_mT4_P12ihipStream_tbEUlT_E0_NS1_11comp_targetILNS1_3genE0ELNS1_11target_archE4294967295ELNS1_3gpuE0ELNS1_3repE0EEENS1_30default_config_static_selectorELNS0_4arch9wavefront6targetE1EEEvSL_,@function
_ZN7rocprim17ROCPRIM_400000_NS6detail17trampoline_kernelINS0_14default_configENS1_22reduce_config_selectorIiEEZNS1_11reduce_implILb1ES3_N6thrust23THRUST_200600_302600_NS11hip_rocprim35transform_pair_of_input_iterators_tIiPhSB_NS8_12not_equal_toIhEEEEPiiNS8_4plusIiEEEE10hipError_tPvRmT1_T2_T3_mT4_P12ihipStream_tbEUlT_E0_NS1_11comp_targetILNS1_3genE0ELNS1_11target_archE4294967295ELNS1_3gpuE0ELNS1_3repE0EEENS1_30default_config_static_selectorELNS0_4arch9wavefront6targetE1EEEvSL_: ; @_ZN7rocprim17ROCPRIM_400000_NS6detail17trampoline_kernelINS0_14default_configENS1_22reduce_config_selectorIiEEZNS1_11reduce_implILb1ES3_N6thrust23THRUST_200600_302600_NS11hip_rocprim35transform_pair_of_input_iterators_tIiPhSB_NS8_12not_equal_toIhEEEEPiiNS8_4plusIiEEEE10hipError_tPvRmT1_T2_T3_mT4_P12ihipStream_tbEUlT_E0_NS1_11comp_targetILNS1_3genE0ELNS1_11target_archE4294967295ELNS1_3gpuE0ELNS1_3repE0EEENS1_30default_config_static_selectorELNS0_4arch9wavefront6targetE1EEEvSL_
; %bb.0:
	.section	.rodata,"a",@progbits
	.p2align	6, 0x0
	.amdhsa_kernel _ZN7rocprim17ROCPRIM_400000_NS6detail17trampoline_kernelINS0_14default_configENS1_22reduce_config_selectorIiEEZNS1_11reduce_implILb1ES3_N6thrust23THRUST_200600_302600_NS11hip_rocprim35transform_pair_of_input_iterators_tIiPhSB_NS8_12not_equal_toIhEEEEPiiNS8_4plusIiEEEE10hipError_tPvRmT1_T2_T3_mT4_P12ihipStream_tbEUlT_E0_NS1_11comp_targetILNS1_3genE0ELNS1_11target_archE4294967295ELNS1_3gpuE0ELNS1_3repE0EEENS1_30default_config_static_selectorELNS0_4arch9wavefront6targetE1EEEvSL_
		.amdhsa_group_segment_fixed_size 0
		.amdhsa_private_segment_fixed_size 0
		.amdhsa_kernarg_size 72
		.amdhsa_user_sgpr_count 6
		.amdhsa_user_sgpr_private_segment_buffer 1
		.amdhsa_user_sgpr_dispatch_ptr 0
		.amdhsa_user_sgpr_queue_ptr 0
		.amdhsa_user_sgpr_kernarg_segment_ptr 1
		.amdhsa_user_sgpr_dispatch_id 0
		.amdhsa_user_sgpr_flat_scratch_init 0
		.amdhsa_user_sgpr_private_segment_size 0
		.amdhsa_uses_dynamic_stack 0
		.amdhsa_system_sgpr_private_segment_wavefront_offset 0
		.amdhsa_system_sgpr_workgroup_id_x 1
		.amdhsa_system_sgpr_workgroup_id_y 0
		.amdhsa_system_sgpr_workgroup_id_z 0
		.amdhsa_system_sgpr_workgroup_info 0
		.amdhsa_system_vgpr_workitem_id 0
		.amdhsa_next_free_vgpr 1
		.amdhsa_next_free_sgpr 0
		.amdhsa_reserve_vcc 0
		.amdhsa_reserve_flat_scratch 0
		.amdhsa_float_round_mode_32 0
		.amdhsa_float_round_mode_16_64 0
		.amdhsa_float_denorm_mode_32 3
		.amdhsa_float_denorm_mode_16_64 3
		.amdhsa_dx10_clamp 1
		.amdhsa_ieee_mode 1
		.amdhsa_fp16_overflow 0
		.amdhsa_exception_fp_ieee_invalid_op 0
		.amdhsa_exception_fp_denorm_src 0
		.amdhsa_exception_fp_ieee_div_zero 0
		.amdhsa_exception_fp_ieee_overflow 0
		.amdhsa_exception_fp_ieee_underflow 0
		.amdhsa_exception_fp_ieee_inexact 0
		.amdhsa_exception_int_div_zero 0
	.end_amdhsa_kernel
	.section	.text._ZN7rocprim17ROCPRIM_400000_NS6detail17trampoline_kernelINS0_14default_configENS1_22reduce_config_selectorIiEEZNS1_11reduce_implILb1ES3_N6thrust23THRUST_200600_302600_NS11hip_rocprim35transform_pair_of_input_iterators_tIiPhSB_NS8_12not_equal_toIhEEEEPiiNS8_4plusIiEEEE10hipError_tPvRmT1_T2_T3_mT4_P12ihipStream_tbEUlT_E0_NS1_11comp_targetILNS1_3genE0ELNS1_11target_archE4294967295ELNS1_3gpuE0ELNS1_3repE0EEENS1_30default_config_static_selectorELNS0_4arch9wavefront6targetE1EEEvSL_,"axG",@progbits,_ZN7rocprim17ROCPRIM_400000_NS6detail17trampoline_kernelINS0_14default_configENS1_22reduce_config_selectorIiEEZNS1_11reduce_implILb1ES3_N6thrust23THRUST_200600_302600_NS11hip_rocprim35transform_pair_of_input_iterators_tIiPhSB_NS8_12not_equal_toIhEEEEPiiNS8_4plusIiEEEE10hipError_tPvRmT1_T2_T3_mT4_P12ihipStream_tbEUlT_E0_NS1_11comp_targetILNS1_3genE0ELNS1_11target_archE4294967295ELNS1_3gpuE0ELNS1_3repE0EEENS1_30default_config_static_selectorELNS0_4arch9wavefront6targetE1EEEvSL_,comdat
.Lfunc_end336:
	.size	_ZN7rocprim17ROCPRIM_400000_NS6detail17trampoline_kernelINS0_14default_configENS1_22reduce_config_selectorIiEEZNS1_11reduce_implILb1ES3_N6thrust23THRUST_200600_302600_NS11hip_rocprim35transform_pair_of_input_iterators_tIiPhSB_NS8_12not_equal_toIhEEEEPiiNS8_4plusIiEEEE10hipError_tPvRmT1_T2_T3_mT4_P12ihipStream_tbEUlT_E0_NS1_11comp_targetILNS1_3genE0ELNS1_11target_archE4294967295ELNS1_3gpuE0ELNS1_3repE0EEENS1_30default_config_static_selectorELNS0_4arch9wavefront6targetE1EEEvSL_, .Lfunc_end336-_ZN7rocprim17ROCPRIM_400000_NS6detail17trampoline_kernelINS0_14default_configENS1_22reduce_config_selectorIiEEZNS1_11reduce_implILb1ES3_N6thrust23THRUST_200600_302600_NS11hip_rocprim35transform_pair_of_input_iterators_tIiPhSB_NS8_12not_equal_toIhEEEEPiiNS8_4plusIiEEEE10hipError_tPvRmT1_T2_T3_mT4_P12ihipStream_tbEUlT_E0_NS1_11comp_targetILNS1_3genE0ELNS1_11target_archE4294967295ELNS1_3gpuE0ELNS1_3repE0EEENS1_30default_config_static_selectorELNS0_4arch9wavefront6targetE1EEEvSL_
                                        ; -- End function
	.set _ZN7rocprim17ROCPRIM_400000_NS6detail17trampoline_kernelINS0_14default_configENS1_22reduce_config_selectorIiEEZNS1_11reduce_implILb1ES3_N6thrust23THRUST_200600_302600_NS11hip_rocprim35transform_pair_of_input_iterators_tIiPhSB_NS8_12not_equal_toIhEEEEPiiNS8_4plusIiEEEE10hipError_tPvRmT1_T2_T3_mT4_P12ihipStream_tbEUlT_E0_NS1_11comp_targetILNS1_3genE0ELNS1_11target_archE4294967295ELNS1_3gpuE0ELNS1_3repE0EEENS1_30default_config_static_selectorELNS0_4arch9wavefront6targetE1EEEvSL_.num_vgpr, 0
	.set _ZN7rocprim17ROCPRIM_400000_NS6detail17trampoline_kernelINS0_14default_configENS1_22reduce_config_selectorIiEEZNS1_11reduce_implILb1ES3_N6thrust23THRUST_200600_302600_NS11hip_rocprim35transform_pair_of_input_iterators_tIiPhSB_NS8_12not_equal_toIhEEEEPiiNS8_4plusIiEEEE10hipError_tPvRmT1_T2_T3_mT4_P12ihipStream_tbEUlT_E0_NS1_11comp_targetILNS1_3genE0ELNS1_11target_archE4294967295ELNS1_3gpuE0ELNS1_3repE0EEENS1_30default_config_static_selectorELNS0_4arch9wavefront6targetE1EEEvSL_.num_agpr, 0
	.set _ZN7rocprim17ROCPRIM_400000_NS6detail17trampoline_kernelINS0_14default_configENS1_22reduce_config_selectorIiEEZNS1_11reduce_implILb1ES3_N6thrust23THRUST_200600_302600_NS11hip_rocprim35transform_pair_of_input_iterators_tIiPhSB_NS8_12not_equal_toIhEEEEPiiNS8_4plusIiEEEE10hipError_tPvRmT1_T2_T3_mT4_P12ihipStream_tbEUlT_E0_NS1_11comp_targetILNS1_3genE0ELNS1_11target_archE4294967295ELNS1_3gpuE0ELNS1_3repE0EEENS1_30default_config_static_selectorELNS0_4arch9wavefront6targetE1EEEvSL_.numbered_sgpr, 0
	.set _ZN7rocprim17ROCPRIM_400000_NS6detail17trampoline_kernelINS0_14default_configENS1_22reduce_config_selectorIiEEZNS1_11reduce_implILb1ES3_N6thrust23THRUST_200600_302600_NS11hip_rocprim35transform_pair_of_input_iterators_tIiPhSB_NS8_12not_equal_toIhEEEEPiiNS8_4plusIiEEEE10hipError_tPvRmT1_T2_T3_mT4_P12ihipStream_tbEUlT_E0_NS1_11comp_targetILNS1_3genE0ELNS1_11target_archE4294967295ELNS1_3gpuE0ELNS1_3repE0EEENS1_30default_config_static_selectorELNS0_4arch9wavefront6targetE1EEEvSL_.num_named_barrier, 0
	.set _ZN7rocprim17ROCPRIM_400000_NS6detail17trampoline_kernelINS0_14default_configENS1_22reduce_config_selectorIiEEZNS1_11reduce_implILb1ES3_N6thrust23THRUST_200600_302600_NS11hip_rocprim35transform_pair_of_input_iterators_tIiPhSB_NS8_12not_equal_toIhEEEEPiiNS8_4plusIiEEEE10hipError_tPvRmT1_T2_T3_mT4_P12ihipStream_tbEUlT_E0_NS1_11comp_targetILNS1_3genE0ELNS1_11target_archE4294967295ELNS1_3gpuE0ELNS1_3repE0EEENS1_30default_config_static_selectorELNS0_4arch9wavefront6targetE1EEEvSL_.private_seg_size, 0
	.set _ZN7rocprim17ROCPRIM_400000_NS6detail17trampoline_kernelINS0_14default_configENS1_22reduce_config_selectorIiEEZNS1_11reduce_implILb1ES3_N6thrust23THRUST_200600_302600_NS11hip_rocprim35transform_pair_of_input_iterators_tIiPhSB_NS8_12not_equal_toIhEEEEPiiNS8_4plusIiEEEE10hipError_tPvRmT1_T2_T3_mT4_P12ihipStream_tbEUlT_E0_NS1_11comp_targetILNS1_3genE0ELNS1_11target_archE4294967295ELNS1_3gpuE0ELNS1_3repE0EEENS1_30default_config_static_selectorELNS0_4arch9wavefront6targetE1EEEvSL_.uses_vcc, 0
	.set _ZN7rocprim17ROCPRIM_400000_NS6detail17trampoline_kernelINS0_14default_configENS1_22reduce_config_selectorIiEEZNS1_11reduce_implILb1ES3_N6thrust23THRUST_200600_302600_NS11hip_rocprim35transform_pair_of_input_iterators_tIiPhSB_NS8_12not_equal_toIhEEEEPiiNS8_4plusIiEEEE10hipError_tPvRmT1_T2_T3_mT4_P12ihipStream_tbEUlT_E0_NS1_11comp_targetILNS1_3genE0ELNS1_11target_archE4294967295ELNS1_3gpuE0ELNS1_3repE0EEENS1_30default_config_static_selectorELNS0_4arch9wavefront6targetE1EEEvSL_.uses_flat_scratch, 0
	.set _ZN7rocprim17ROCPRIM_400000_NS6detail17trampoline_kernelINS0_14default_configENS1_22reduce_config_selectorIiEEZNS1_11reduce_implILb1ES3_N6thrust23THRUST_200600_302600_NS11hip_rocprim35transform_pair_of_input_iterators_tIiPhSB_NS8_12not_equal_toIhEEEEPiiNS8_4plusIiEEEE10hipError_tPvRmT1_T2_T3_mT4_P12ihipStream_tbEUlT_E0_NS1_11comp_targetILNS1_3genE0ELNS1_11target_archE4294967295ELNS1_3gpuE0ELNS1_3repE0EEENS1_30default_config_static_selectorELNS0_4arch9wavefront6targetE1EEEvSL_.has_dyn_sized_stack, 0
	.set _ZN7rocprim17ROCPRIM_400000_NS6detail17trampoline_kernelINS0_14default_configENS1_22reduce_config_selectorIiEEZNS1_11reduce_implILb1ES3_N6thrust23THRUST_200600_302600_NS11hip_rocprim35transform_pair_of_input_iterators_tIiPhSB_NS8_12not_equal_toIhEEEEPiiNS8_4plusIiEEEE10hipError_tPvRmT1_T2_T3_mT4_P12ihipStream_tbEUlT_E0_NS1_11comp_targetILNS1_3genE0ELNS1_11target_archE4294967295ELNS1_3gpuE0ELNS1_3repE0EEENS1_30default_config_static_selectorELNS0_4arch9wavefront6targetE1EEEvSL_.has_recursion, 0
	.set _ZN7rocprim17ROCPRIM_400000_NS6detail17trampoline_kernelINS0_14default_configENS1_22reduce_config_selectorIiEEZNS1_11reduce_implILb1ES3_N6thrust23THRUST_200600_302600_NS11hip_rocprim35transform_pair_of_input_iterators_tIiPhSB_NS8_12not_equal_toIhEEEEPiiNS8_4plusIiEEEE10hipError_tPvRmT1_T2_T3_mT4_P12ihipStream_tbEUlT_E0_NS1_11comp_targetILNS1_3genE0ELNS1_11target_archE4294967295ELNS1_3gpuE0ELNS1_3repE0EEENS1_30default_config_static_selectorELNS0_4arch9wavefront6targetE1EEEvSL_.has_indirect_call, 0
	.section	.AMDGPU.csdata,"",@progbits
; Kernel info:
; codeLenInByte = 0
; TotalNumSgprs: 4
; NumVgprs: 0
; ScratchSize: 0
; MemoryBound: 0
; FloatMode: 240
; IeeeMode: 1
; LDSByteSize: 0 bytes/workgroup (compile time only)
; SGPRBlocks: 0
; VGPRBlocks: 0
; NumSGPRsForWavesPerEU: 4
; NumVGPRsForWavesPerEU: 1
; Occupancy: 10
; WaveLimiterHint : 0
; COMPUTE_PGM_RSRC2:SCRATCH_EN: 0
; COMPUTE_PGM_RSRC2:USER_SGPR: 6
; COMPUTE_PGM_RSRC2:TRAP_HANDLER: 0
; COMPUTE_PGM_RSRC2:TGID_X_EN: 1
; COMPUTE_PGM_RSRC2:TGID_Y_EN: 0
; COMPUTE_PGM_RSRC2:TGID_Z_EN: 0
; COMPUTE_PGM_RSRC2:TIDIG_COMP_CNT: 0
	.section	.text._ZN7rocprim17ROCPRIM_400000_NS6detail17trampoline_kernelINS0_14default_configENS1_22reduce_config_selectorIiEEZNS1_11reduce_implILb1ES3_N6thrust23THRUST_200600_302600_NS11hip_rocprim35transform_pair_of_input_iterators_tIiPhSB_NS8_12not_equal_toIhEEEEPiiNS8_4plusIiEEEE10hipError_tPvRmT1_T2_T3_mT4_P12ihipStream_tbEUlT_E0_NS1_11comp_targetILNS1_3genE5ELNS1_11target_archE942ELNS1_3gpuE9ELNS1_3repE0EEENS1_30default_config_static_selectorELNS0_4arch9wavefront6targetE1EEEvSL_,"axG",@progbits,_ZN7rocprim17ROCPRIM_400000_NS6detail17trampoline_kernelINS0_14default_configENS1_22reduce_config_selectorIiEEZNS1_11reduce_implILb1ES3_N6thrust23THRUST_200600_302600_NS11hip_rocprim35transform_pair_of_input_iterators_tIiPhSB_NS8_12not_equal_toIhEEEEPiiNS8_4plusIiEEEE10hipError_tPvRmT1_T2_T3_mT4_P12ihipStream_tbEUlT_E0_NS1_11comp_targetILNS1_3genE5ELNS1_11target_archE942ELNS1_3gpuE9ELNS1_3repE0EEENS1_30default_config_static_selectorELNS0_4arch9wavefront6targetE1EEEvSL_,comdat
	.protected	_ZN7rocprim17ROCPRIM_400000_NS6detail17trampoline_kernelINS0_14default_configENS1_22reduce_config_selectorIiEEZNS1_11reduce_implILb1ES3_N6thrust23THRUST_200600_302600_NS11hip_rocprim35transform_pair_of_input_iterators_tIiPhSB_NS8_12not_equal_toIhEEEEPiiNS8_4plusIiEEEE10hipError_tPvRmT1_T2_T3_mT4_P12ihipStream_tbEUlT_E0_NS1_11comp_targetILNS1_3genE5ELNS1_11target_archE942ELNS1_3gpuE9ELNS1_3repE0EEENS1_30default_config_static_selectorELNS0_4arch9wavefront6targetE1EEEvSL_ ; -- Begin function _ZN7rocprim17ROCPRIM_400000_NS6detail17trampoline_kernelINS0_14default_configENS1_22reduce_config_selectorIiEEZNS1_11reduce_implILb1ES3_N6thrust23THRUST_200600_302600_NS11hip_rocprim35transform_pair_of_input_iterators_tIiPhSB_NS8_12not_equal_toIhEEEEPiiNS8_4plusIiEEEE10hipError_tPvRmT1_T2_T3_mT4_P12ihipStream_tbEUlT_E0_NS1_11comp_targetILNS1_3genE5ELNS1_11target_archE942ELNS1_3gpuE9ELNS1_3repE0EEENS1_30default_config_static_selectorELNS0_4arch9wavefront6targetE1EEEvSL_
	.globl	_ZN7rocprim17ROCPRIM_400000_NS6detail17trampoline_kernelINS0_14default_configENS1_22reduce_config_selectorIiEEZNS1_11reduce_implILb1ES3_N6thrust23THRUST_200600_302600_NS11hip_rocprim35transform_pair_of_input_iterators_tIiPhSB_NS8_12not_equal_toIhEEEEPiiNS8_4plusIiEEEE10hipError_tPvRmT1_T2_T3_mT4_P12ihipStream_tbEUlT_E0_NS1_11comp_targetILNS1_3genE5ELNS1_11target_archE942ELNS1_3gpuE9ELNS1_3repE0EEENS1_30default_config_static_selectorELNS0_4arch9wavefront6targetE1EEEvSL_
	.p2align	8
	.type	_ZN7rocprim17ROCPRIM_400000_NS6detail17trampoline_kernelINS0_14default_configENS1_22reduce_config_selectorIiEEZNS1_11reduce_implILb1ES3_N6thrust23THRUST_200600_302600_NS11hip_rocprim35transform_pair_of_input_iterators_tIiPhSB_NS8_12not_equal_toIhEEEEPiiNS8_4plusIiEEEE10hipError_tPvRmT1_T2_T3_mT4_P12ihipStream_tbEUlT_E0_NS1_11comp_targetILNS1_3genE5ELNS1_11target_archE942ELNS1_3gpuE9ELNS1_3repE0EEENS1_30default_config_static_selectorELNS0_4arch9wavefront6targetE1EEEvSL_,@function
_ZN7rocprim17ROCPRIM_400000_NS6detail17trampoline_kernelINS0_14default_configENS1_22reduce_config_selectorIiEEZNS1_11reduce_implILb1ES3_N6thrust23THRUST_200600_302600_NS11hip_rocprim35transform_pair_of_input_iterators_tIiPhSB_NS8_12not_equal_toIhEEEEPiiNS8_4plusIiEEEE10hipError_tPvRmT1_T2_T3_mT4_P12ihipStream_tbEUlT_E0_NS1_11comp_targetILNS1_3genE5ELNS1_11target_archE942ELNS1_3gpuE9ELNS1_3repE0EEENS1_30default_config_static_selectorELNS0_4arch9wavefront6targetE1EEEvSL_: ; @_ZN7rocprim17ROCPRIM_400000_NS6detail17trampoline_kernelINS0_14default_configENS1_22reduce_config_selectorIiEEZNS1_11reduce_implILb1ES3_N6thrust23THRUST_200600_302600_NS11hip_rocprim35transform_pair_of_input_iterators_tIiPhSB_NS8_12not_equal_toIhEEEEPiiNS8_4plusIiEEEE10hipError_tPvRmT1_T2_T3_mT4_P12ihipStream_tbEUlT_E0_NS1_11comp_targetILNS1_3genE5ELNS1_11target_archE942ELNS1_3gpuE9ELNS1_3repE0EEENS1_30default_config_static_selectorELNS0_4arch9wavefront6targetE1EEEvSL_
; %bb.0:
	.section	.rodata,"a",@progbits
	.p2align	6, 0x0
	.amdhsa_kernel _ZN7rocprim17ROCPRIM_400000_NS6detail17trampoline_kernelINS0_14default_configENS1_22reduce_config_selectorIiEEZNS1_11reduce_implILb1ES3_N6thrust23THRUST_200600_302600_NS11hip_rocprim35transform_pair_of_input_iterators_tIiPhSB_NS8_12not_equal_toIhEEEEPiiNS8_4plusIiEEEE10hipError_tPvRmT1_T2_T3_mT4_P12ihipStream_tbEUlT_E0_NS1_11comp_targetILNS1_3genE5ELNS1_11target_archE942ELNS1_3gpuE9ELNS1_3repE0EEENS1_30default_config_static_selectorELNS0_4arch9wavefront6targetE1EEEvSL_
		.amdhsa_group_segment_fixed_size 0
		.amdhsa_private_segment_fixed_size 0
		.amdhsa_kernarg_size 72
		.amdhsa_user_sgpr_count 6
		.amdhsa_user_sgpr_private_segment_buffer 1
		.amdhsa_user_sgpr_dispatch_ptr 0
		.amdhsa_user_sgpr_queue_ptr 0
		.amdhsa_user_sgpr_kernarg_segment_ptr 1
		.amdhsa_user_sgpr_dispatch_id 0
		.amdhsa_user_sgpr_flat_scratch_init 0
		.amdhsa_user_sgpr_private_segment_size 0
		.amdhsa_uses_dynamic_stack 0
		.amdhsa_system_sgpr_private_segment_wavefront_offset 0
		.amdhsa_system_sgpr_workgroup_id_x 1
		.amdhsa_system_sgpr_workgroup_id_y 0
		.amdhsa_system_sgpr_workgroup_id_z 0
		.amdhsa_system_sgpr_workgroup_info 0
		.amdhsa_system_vgpr_workitem_id 0
		.amdhsa_next_free_vgpr 1
		.amdhsa_next_free_sgpr 0
		.amdhsa_reserve_vcc 0
		.amdhsa_reserve_flat_scratch 0
		.amdhsa_float_round_mode_32 0
		.amdhsa_float_round_mode_16_64 0
		.amdhsa_float_denorm_mode_32 3
		.amdhsa_float_denorm_mode_16_64 3
		.amdhsa_dx10_clamp 1
		.amdhsa_ieee_mode 1
		.amdhsa_fp16_overflow 0
		.amdhsa_exception_fp_ieee_invalid_op 0
		.amdhsa_exception_fp_denorm_src 0
		.amdhsa_exception_fp_ieee_div_zero 0
		.amdhsa_exception_fp_ieee_overflow 0
		.amdhsa_exception_fp_ieee_underflow 0
		.amdhsa_exception_fp_ieee_inexact 0
		.amdhsa_exception_int_div_zero 0
	.end_amdhsa_kernel
	.section	.text._ZN7rocprim17ROCPRIM_400000_NS6detail17trampoline_kernelINS0_14default_configENS1_22reduce_config_selectorIiEEZNS1_11reduce_implILb1ES3_N6thrust23THRUST_200600_302600_NS11hip_rocprim35transform_pair_of_input_iterators_tIiPhSB_NS8_12not_equal_toIhEEEEPiiNS8_4plusIiEEEE10hipError_tPvRmT1_T2_T3_mT4_P12ihipStream_tbEUlT_E0_NS1_11comp_targetILNS1_3genE5ELNS1_11target_archE942ELNS1_3gpuE9ELNS1_3repE0EEENS1_30default_config_static_selectorELNS0_4arch9wavefront6targetE1EEEvSL_,"axG",@progbits,_ZN7rocprim17ROCPRIM_400000_NS6detail17trampoline_kernelINS0_14default_configENS1_22reduce_config_selectorIiEEZNS1_11reduce_implILb1ES3_N6thrust23THRUST_200600_302600_NS11hip_rocprim35transform_pair_of_input_iterators_tIiPhSB_NS8_12not_equal_toIhEEEEPiiNS8_4plusIiEEEE10hipError_tPvRmT1_T2_T3_mT4_P12ihipStream_tbEUlT_E0_NS1_11comp_targetILNS1_3genE5ELNS1_11target_archE942ELNS1_3gpuE9ELNS1_3repE0EEENS1_30default_config_static_selectorELNS0_4arch9wavefront6targetE1EEEvSL_,comdat
.Lfunc_end337:
	.size	_ZN7rocprim17ROCPRIM_400000_NS6detail17trampoline_kernelINS0_14default_configENS1_22reduce_config_selectorIiEEZNS1_11reduce_implILb1ES3_N6thrust23THRUST_200600_302600_NS11hip_rocprim35transform_pair_of_input_iterators_tIiPhSB_NS8_12not_equal_toIhEEEEPiiNS8_4plusIiEEEE10hipError_tPvRmT1_T2_T3_mT4_P12ihipStream_tbEUlT_E0_NS1_11comp_targetILNS1_3genE5ELNS1_11target_archE942ELNS1_3gpuE9ELNS1_3repE0EEENS1_30default_config_static_selectorELNS0_4arch9wavefront6targetE1EEEvSL_, .Lfunc_end337-_ZN7rocprim17ROCPRIM_400000_NS6detail17trampoline_kernelINS0_14default_configENS1_22reduce_config_selectorIiEEZNS1_11reduce_implILb1ES3_N6thrust23THRUST_200600_302600_NS11hip_rocprim35transform_pair_of_input_iterators_tIiPhSB_NS8_12not_equal_toIhEEEEPiiNS8_4plusIiEEEE10hipError_tPvRmT1_T2_T3_mT4_P12ihipStream_tbEUlT_E0_NS1_11comp_targetILNS1_3genE5ELNS1_11target_archE942ELNS1_3gpuE9ELNS1_3repE0EEENS1_30default_config_static_selectorELNS0_4arch9wavefront6targetE1EEEvSL_
                                        ; -- End function
	.set _ZN7rocprim17ROCPRIM_400000_NS6detail17trampoline_kernelINS0_14default_configENS1_22reduce_config_selectorIiEEZNS1_11reduce_implILb1ES3_N6thrust23THRUST_200600_302600_NS11hip_rocprim35transform_pair_of_input_iterators_tIiPhSB_NS8_12not_equal_toIhEEEEPiiNS8_4plusIiEEEE10hipError_tPvRmT1_T2_T3_mT4_P12ihipStream_tbEUlT_E0_NS1_11comp_targetILNS1_3genE5ELNS1_11target_archE942ELNS1_3gpuE9ELNS1_3repE0EEENS1_30default_config_static_selectorELNS0_4arch9wavefront6targetE1EEEvSL_.num_vgpr, 0
	.set _ZN7rocprim17ROCPRIM_400000_NS6detail17trampoline_kernelINS0_14default_configENS1_22reduce_config_selectorIiEEZNS1_11reduce_implILb1ES3_N6thrust23THRUST_200600_302600_NS11hip_rocprim35transform_pair_of_input_iterators_tIiPhSB_NS8_12not_equal_toIhEEEEPiiNS8_4plusIiEEEE10hipError_tPvRmT1_T2_T3_mT4_P12ihipStream_tbEUlT_E0_NS1_11comp_targetILNS1_3genE5ELNS1_11target_archE942ELNS1_3gpuE9ELNS1_3repE0EEENS1_30default_config_static_selectorELNS0_4arch9wavefront6targetE1EEEvSL_.num_agpr, 0
	.set _ZN7rocprim17ROCPRIM_400000_NS6detail17trampoline_kernelINS0_14default_configENS1_22reduce_config_selectorIiEEZNS1_11reduce_implILb1ES3_N6thrust23THRUST_200600_302600_NS11hip_rocprim35transform_pair_of_input_iterators_tIiPhSB_NS8_12not_equal_toIhEEEEPiiNS8_4plusIiEEEE10hipError_tPvRmT1_T2_T3_mT4_P12ihipStream_tbEUlT_E0_NS1_11comp_targetILNS1_3genE5ELNS1_11target_archE942ELNS1_3gpuE9ELNS1_3repE0EEENS1_30default_config_static_selectorELNS0_4arch9wavefront6targetE1EEEvSL_.numbered_sgpr, 0
	.set _ZN7rocprim17ROCPRIM_400000_NS6detail17trampoline_kernelINS0_14default_configENS1_22reduce_config_selectorIiEEZNS1_11reduce_implILb1ES3_N6thrust23THRUST_200600_302600_NS11hip_rocprim35transform_pair_of_input_iterators_tIiPhSB_NS8_12not_equal_toIhEEEEPiiNS8_4plusIiEEEE10hipError_tPvRmT1_T2_T3_mT4_P12ihipStream_tbEUlT_E0_NS1_11comp_targetILNS1_3genE5ELNS1_11target_archE942ELNS1_3gpuE9ELNS1_3repE0EEENS1_30default_config_static_selectorELNS0_4arch9wavefront6targetE1EEEvSL_.num_named_barrier, 0
	.set _ZN7rocprim17ROCPRIM_400000_NS6detail17trampoline_kernelINS0_14default_configENS1_22reduce_config_selectorIiEEZNS1_11reduce_implILb1ES3_N6thrust23THRUST_200600_302600_NS11hip_rocprim35transform_pair_of_input_iterators_tIiPhSB_NS8_12not_equal_toIhEEEEPiiNS8_4plusIiEEEE10hipError_tPvRmT1_T2_T3_mT4_P12ihipStream_tbEUlT_E0_NS1_11comp_targetILNS1_3genE5ELNS1_11target_archE942ELNS1_3gpuE9ELNS1_3repE0EEENS1_30default_config_static_selectorELNS0_4arch9wavefront6targetE1EEEvSL_.private_seg_size, 0
	.set _ZN7rocprim17ROCPRIM_400000_NS6detail17trampoline_kernelINS0_14default_configENS1_22reduce_config_selectorIiEEZNS1_11reduce_implILb1ES3_N6thrust23THRUST_200600_302600_NS11hip_rocprim35transform_pair_of_input_iterators_tIiPhSB_NS8_12not_equal_toIhEEEEPiiNS8_4plusIiEEEE10hipError_tPvRmT1_T2_T3_mT4_P12ihipStream_tbEUlT_E0_NS1_11comp_targetILNS1_3genE5ELNS1_11target_archE942ELNS1_3gpuE9ELNS1_3repE0EEENS1_30default_config_static_selectorELNS0_4arch9wavefront6targetE1EEEvSL_.uses_vcc, 0
	.set _ZN7rocprim17ROCPRIM_400000_NS6detail17trampoline_kernelINS0_14default_configENS1_22reduce_config_selectorIiEEZNS1_11reduce_implILb1ES3_N6thrust23THRUST_200600_302600_NS11hip_rocprim35transform_pair_of_input_iterators_tIiPhSB_NS8_12not_equal_toIhEEEEPiiNS8_4plusIiEEEE10hipError_tPvRmT1_T2_T3_mT4_P12ihipStream_tbEUlT_E0_NS1_11comp_targetILNS1_3genE5ELNS1_11target_archE942ELNS1_3gpuE9ELNS1_3repE0EEENS1_30default_config_static_selectorELNS0_4arch9wavefront6targetE1EEEvSL_.uses_flat_scratch, 0
	.set _ZN7rocprim17ROCPRIM_400000_NS6detail17trampoline_kernelINS0_14default_configENS1_22reduce_config_selectorIiEEZNS1_11reduce_implILb1ES3_N6thrust23THRUST_200600_302600_NS11hip_rocprim35transform_pair_of_input_iterators_tIiPhSB_NS8_12not_equal_toIhEEEEPiiNS8_4plusIiEEEE10hipError_tPvRmT1_T2_T3_mT4_P12ihipStream_tbEUlT_E0_NS1_11comp_targetILNS1_3genE5ELNS1_11target_archE942ELNS1_3gpuE9ELNS1_3repE0EEENS1_30default_config_static_selectorELNS0_4arch9wavefront6targetE1EEEvSL_.has_dyn_sized_stack, 0
	.set _ZN7rocprim17ROCPRIM_400000_NS6detail17trampoline_kernelINS0_14default_configENS1_22reduce_config_selectorIiEEZNS1_11reduce_implILb1ES3_N6thrust23THRUST_200600_302600_NS11hip_rocprim35transform_pair_of_input_iterators_tIiPhSB_NS8_12not_equal_toIhEEEEPiiNS8_4plusIiEEEE10hipError_tPvRmT1_T2_T3_mT4_P12ihipStream_tbEUlT_E0_NS1_11comp_targetILNS1_3genE5ELNS1_11target_archE942ELNS1_3gpuE9ELNS1_3repE0EEENS1_30default_config_static_selectorELNS0_4arch9wavefront6targetE1EEEvSL_.has_recursion, 0
	.set _ZN7rocprim17ROCPRIM_400000_NS6detail17trampoline_kernelINS0_14default_configENS1_22reduce_config_selectorIiEEZNS1_11reduce_implILb1ES3_N6thrust23THRUST_200600_302600_NS11hip_rocprim35transform_pair_of_input_iterators_tIiPhSB_NS8_12not_equal_toIhEEEEPiiNS8_4plusIiEEEE10hipError_tPvRmT1_T2_T3_mT4_P12ihipStream_tbEUlT_E0_NS1_11comp_targetILNS1_3genE5ELNS1_11target_archE942ELNS1_3gpuE9ELNS1_3repE0EEENS1_30default_config_static_selectorELNS0_4arch9wavefront6targetE1EEEvSL_.has_indirect_call, 0
	.section	.AMDGPU.csdata,"",@progbits
; Kernel info:
; codeLenInByte = 0
; TotalNumSgprs: 4
; NumVgprs: 0
; ScratchSize: 0
; MemoryBound: 0
; FloatMode: 240
; IeeeMode: 1
; LDSByteSize: 0 bytes/workgroup (compile time only)
; SGPRBlocks: 0
; VGPRBlocks: 0
; NumSGPRsForWavesPerEU: 4
; NumVGPRsForWavesPerEU: 1
; Occupancy: 10
; WaveLimiterHint : 0
; COMPUTE_PGM_RSRC2:SCRATCH_EN: 0
; COMPUTE_PGM_RSRC2:USER_SGPR: 6
; COMPUTE_PGM_RSRC2:TRAP_HANDLER: 0
; COMPUTE_PGM_RSRC2:TGID_X_EN: 1
; COMPUTE_PGM_RSRC2:TGID_Y_EN: 0
; COMPUTE_PGM_RSRC2:TGID_Z_EN: 0
; COMPUTE_PGM_RSRC2:TIDIG_COMP_CNT: 0
	.section	.text._ZN7rocprim17ROCPRIM_400000_NS6detail17trampoline_kernelINS0_14default_configENS1_22reduce_config_selectorIiEEZNS1_11reduce_implILb1ES3_N6thrust23THRUST_200600_302600_NS11hip_rocprim35transform_pair_of_input_iterators_tIiPhSB_NS8_12not_equal_toIhEEEEPiiNS8_4plusIiEEEE10hipError_tPvRmT1_T2_T3_mT4_P12ihipStream_tbEUlT_E0_NS1_11comp_targetILNS1_3genE4ELNS1_11target_archE910ELNS1_3gpuE8ELNS1_3repE0EEENS1_30default_config_static_selectorELNS0_4arch9wavefront6targetE1EEEvSL_,"axG",@progbits,_ZN7rocprim17ROCPRIM_400000_NS6detail17trampoline_kernelINS0_14default_configENS1_22reduce_config_selectorIiEEZNS1_11reduce_implILb1ES3_N6thrust23THRUST_200600_302600_NS11hip_rocprim35transform_pair_of_input_iterators_tIiPhSB_NS8_12not_equal_toIhEEEEPiiNS8_4plusIiEEEE10hipError_tPvRmT1_T2_T3_mT4_P12ihipStream_tbEUlT_E0_NS1_11comp_targetILNS1_3genE4ELNS1_11target_archE910ELNS1_3gpuE8ELNS1_3repE0EEENS1_30default_config_static_selectorELNS0_4arch9wavefront6targetE1EEEvSL_,comdat
	.protected	_ZN7rocprim17ROCPRIM_400000_NS6detail17trampoline_kernelINS0_14default_configENS1_22reduce_config_selectorIiEEZNS1_11reduce_implILb1ES3_N6thrust23THRUST_200600_302600_NS11hip_rocprim35transform_pair_of_input_iterators_tIiPhSB_NS8_12not_equal_toIhEEEEPiiNS8_4plusIiEEEE10hipError_tPvRmT1_T2_T3_mT4_P12ihipStream_tbEUlT_E0_NS1_11comp_targetILNS1_3genE4ELNS1_11target_archE910ELNS1_3gpuE8ELNS1_3repE0EEENS1_30default_config_static_selectorELNS0_4arch9wavefront6targetE1EEEvSL_ ; -- Begin function _ZN7rocprim17ROCPRIM_400000_NS6detail17trampoline_kernelINS0_14default_configENS1_22reduce_config_selectorIiEEZNS1_11reduce_implILb1ES3_N6thrust23THRUST_200600_302600_NS11hip_rocprim35transform_pair_of_input_iterators_tIiPhSB_NS8_12not_equal_toIhEEEEPiiNS8_4plusIiEEEE10hipError_tPvRmT1_T2_T3_mT4_P12ihipStream_tbEUlT_E0_NS1_11comp_targetILNS1_3genE4ELNS1_11target_archE910ELNS1_3gpuE8ELNS1_3repE0EEENS1_30default_config_static_selectorELNS0_4arch9wavefront6targetE1EEEvSL_
	.globl	_ZN7rocprim17ROCPRIM_400000_NS6detail17trampoline_kernelINS0_14default_configENS1_22reduce_config_selectorIiEEZNS1_11reduce_implILb1ES3_N6thrust23THRUST_200600_302600_NS11hip_rocprim35transform_pair_of_input_iterators_tIiPhSB_NS8_12not_equal_toIhEEEEPiiNS8_4plusIiEEEE10hipError_tPvRmT1_T2_T3_mT4_P12ihipStream_tbEUlT_E0_NS1_11comp_targetILNS1_3genE4ELNS1_11target_archE910ELNS1_3gpuE8ELNS1_3repE0EEENS1_30default_config_static_selectorELNS0_4arch9wavefront6targetE1EEEvSL_
	.p2align	8
	.type	_ZN7rocprim17ROCPRIM_400000_NS6detail17trampoline_kernelINS0_14default_configENS1_22reduce_config_selectorIiEEZNS1_11reduce_implILb1ES3_N6thrust23THRUST_200600_302600_NS11hip_rocprim35transform_pair_of_input_iterators_tIiPhSB_NS8_12not_equal_toIhEEEEPiiNS8_4plusIiEEEE10hipError_tPvRmT1_T2_T3_mT4_P12ihipStream_tbEUlT_E0_NS1_11comp_targetILNS1_3genE4ELNS1_11target_archE910ELNS1_3gpuE8ELNS1_3repE0EEENS1_30default_config_static_selectorELNS0_4arch9wavefront6targetE1EEEvSL_,@function
_ZN7rocprim17ROCPRIM_400000_NS6detail17trampoline_kernelINS0_14default_configENS1_22reduce_config_selectorIiEEZNS1_11reduce_implILb1ES3_N6thrust23THRUST_200600_302600_NS11hip_rocprim35transform_pair_of_input_iterators_tIiPhSB_NS8_12not_equal_toIhEEEEPiiNS8_4plusIiEEEE10hipError_tPvRmT1_T2_T3_mT4_P12ihipStream_tbEUlT_E0_NS1_11comp_targetILNS1_3genE4ELNS1_11target_archE910ELNS1_3gpuE8ELNS1_3repE0EEENS1_30default_config_static_selectorELNS0_4arch9wavefront6targetE1EEEvSL_: ; @_ZN7rocprim17ROCPRIM_400000_NS6detail17trampoline_kernelINS0_14default_configENS1_22reduce_config_selectorIiEEZNS1_11reduce_implILb1ES3_N6thrust23THRUST_200600_302600_NS11hip_rocprim35transform_pair_of_input_iterators_tIiPhSB_NS8_12not_equal_toIhEEEEPiiNS8_4plusIiEEEE10hipError_tPvRmT1_T2_T3_mT4_P12ihipStream_tbEUlT_E0_NS1_11comp_targetILNS1_3genE4ELNS1_11target_archE910ELNS1_3gpuE8ELNS1_3repE0EEENS1_30default_config_static_selectorELNS0_4arch9wavefront6targetE1EEEvSL_
; %bb.0:
	.section	.rodata,"a",@progbits
	.p2align	6, 0x0
	.amdhsa_kernel _ZN7rocprim17ROCPRIM_400000_NS6detail17trampoline_kernelINS0_14default_configENS1_22reduce_config_selectorIiEEZNS1_11reduce_implILb1ES3_N6thrust23THRUST_200600_302600_NS11hip_rocprim35transform_pair_of_input_iterators_tIiPhSB_NS8_12not_equal_toIhEEEEPiiNS8_4plusIiEEEE10hipError_tPvRmT1_T2_T3_mT4_P12ihipStream_tbEUlT_E0_NS1_11comp_targetILNS1_3genE4ELNS1_11target_archE910ELNS1_3gpuE8ELNS1_3repE0EEENS1_30default_config_static_selectorELNS0_4arch9wavefront6targetE1EEEvSL_
		.amdhsa_group_segment_fixed_size 0
		.amdhsa_private_segment_fixed_size 0
		.amdhsa_kernarg_size 72
		.amdhsa_user_sgpr_count 6
		.amdhsa_user_sgpr_private_segment_buffer 1
		.amdhsa_user_sgpr_dispatch_ptr 0
		.amdhsa_user_sgpr_queue_ptr 0
		.amdhsa_user_sgpr_kernarg_segment_ptr 1
		.amdhsa_user_sgpr_dispatch_id 0
		.amdhsa_user_sgpr_flat_scratch_init 0
		.amdhsa_user_sgpr_private_segment_size 0
		.amdhsa_uses_dynamic_stack 0
		.amdhsa_system_sgpr_private_segment_wavefront_offset 0
		.amdhsa_system_sgpr_workgroup_id_x 1
		.amdhsa_system_sgpr_workgroup_id_y 0
		.amdhsa_system_sgpr_workgroup_id_z 0
		.amdhsa_system_sgpr_workgroup_info 0
		.amdhsa_system_vgpr_workitem_id 0
		.amdhsa_next_free_vgpr 1
		.amdhsa_next_free_sgpr 0
		.amdhsa_reserve_vcc 0
		.amdhsa_reserve_flat_scratch 0
		.amdhsa_float_round_mode_32 0
		.amdhsa_float_round_mode_16_64 0
		.amdhsa_float_denorm_mode_32 3
		.amdhsa_float_denorm_mode_16_64 3
		.amdhsa_dx10_clamp 1
		.amdhsa_ieee_mode 1
		.amdhsa_fp16_overflow 0
		.amdhsa_exception_fp_ieee_invalid_op 0
		.amdhsa_exception_fp_denorm_src 0
		.amdhsa_exception_fp_ieee_div_zero 0
		.amdhsa_exception_fp_ieee_overflow 0
		.amdhsa_exception_fp_ieee_underflow 0
		.amdhsa_exception_fp_ieee_inexact 0
		.amdhsa_exception_int_div_zero 0
	.end_amdhsa_kernel
	.section	.text._ZN7rocprim17ROCPRIM_400000_NS6detail17trampoline_kernelINS0_14default_configENS1_22reduce_config_selectorIiEEZNS1_11reduce_implILb1ES3_N6thrust23THRUST_200600_302600_NS11hip_rocprim35transform_pair_of_input_iterators_tIiPhSB_NS8_12not_equal_toIhEEEEPiiNS8_4plusIiEEEE10hipError_tPvRmT1_T2_T3_mT4_P12ihipStream_tbEUlT_E0_NS1_11comp_targetILNS1_3genE4ELNS1_11target_archE910ELNS1_3gpuE8ELNS1_3repE0EEENS1_30default_config_static_selectorELNS0_4arch9wavefront6targetE1EEEvSL_,"axG",@progbits,_ZN7rocprim17ROCPRIM_400000_NS6detail17trampoline_kernelINS0_14default_configENS1_22reduce_config_selectorIiEEZNS1_11reduce_implILb1ES3_N6thrust23THRUST_200600_302600_NS11hip_rocprim35transform_pair_of_input_iterators_tIiPhSB_NS8_12not_equal_toIhEEEEPiiNS8_4plusIiEEEE10hipError_tPvRmT1_T2_T3_mT4_P12ihipStream_tbEUlT_E0_NS1_11comp_targetILNS1_3genE4ELNS1_11target_archE910ELNS1_3gpuE8ELNS1_3repE0EEENS1_30default_config_static_selectorELNS0_4arch9wavefront6targetE1EEEvSL_,comdat
.Lfunc_end338:
	.size	_ZN7rocprim17ROCPRIM_400000_NS6detail17trampoline_kernelINS0_14default_configENS1_22reduce_config_selectorIiEEZNS1_11reduce_implILb1ES3_N6thrust23THRUST_200600_302600_NS11hip_rocprim35transform_pair_of_input_iterators_tIiPhSB_NS8_12not_equal_toIhEEEEPiiNS8_4plusIiEEEE10hipError_tPvRmT1_T2_T3_mT4_P12ihipStream_tbEUlT_E0_NS1_11comp_targetILNS1_3genE4ELNS1_11target_archE910ELNS1_3gpuE8ELNS1_3repE0EEENS1_30default_config_static_selectorELNS0_4arch9wavefront6targetE1EEEvSL_, .Lfunc_end338-_ZN7rocprim17ROCPRIM_400000_NS6detail17trampoline_kernelINS0_14default_configENS1_22reduce_config_selectorIiEEZNS1_11reduce_implILb1ES3_N6thrust23THRUST_200600_302600_NS11hip_rocprim35transform_pair_of_input_iterators_tIiPhSB_NS8_12not_equal_toIhEEEEPiiNS8_4plusIiEEEE10hipError_tPvRmT1_T2_T3_mT4_P12ihipStream_tbEUlT_E0_NS1_11comp_targetILNS1_3genE4ELNS1_11target_archE910ELNS1_3gpuE8ELNS1_3repE0EEENS1_30default_config_static_selectorELNS0_4arch9wavefront6targetE1EEEvSL_
                                        ; -- End function
	.set _ZN7rocprim17ROCPRIM_400000_NS6detail17trampoline_kernelINS0_14default_configENS1_22reduce_config_selectorIiEEZNS1_11reduce_implILb1ES3_N6thrust23THRUST_200600_302600_NS11hip_rocprim35transform_pair_of_input_iterators_tIiPhSB_NS8_12not_equal_toIhEEEEPiiNS8_4plusIiEEEE10hipError_tPvRmT1_T2_T3_mT4_P12ihipStream_tbEUlT_E0_NS1_11comp_targetILNS1_3genE4ELNS1_11target_archE910ELNS1_3gpuE8ELNS1_3repE0EEENS1_30default_config_static_selectorELNS0_4arch9wavefront6targetE1EEEvSL_.num_vgpr, 0
	.set _ZN7rocprim17ROCPRIM_400000_NS6detail17trampoline_kernelINS0_14default_configENS1_22reduce_config_selectorIiEEZNS1_11reduce_implILb1ES3_N6thrust23THRUST_200600_302600_NS11hip_rocprim35transform_pair_of_input_iterators_tIiPhSB_NS8_12not_equal_toIhEEEEPiiNS8_4plusIiEEEE10hipError_tPvRmT1_T2_T3_mT4_P12ihipStream_tbEUlT_E0_NS1_11comp_targetILNS1_3genE4ELNS1_11target_archE910ELNS1_3gpuE8ELNS1_3repE0EEENS1_30default_config_static_selectorELNS0_4arch9wavefront6targetE1EEEvSL_.num_agpr, 0
	.set _ZN7rocprim17ROCPRIM_400000_NS6detail17trampoline_kernelINS0_14default_configENS1_22reduce_config_selectorIiEEZNS1_11reduce_implILb1ES3_N6thrust23THRUST_200600_302600_NS11hip_rocprim35transform_pair_of_input_iterators_tIiPhSB_NS8_12not_equal_toIhEEEEPiiNS8_4plusIiEEEE10hipError_tPvRmT1_T2_T3_mT4_P12ihipStream_tbEUlT_E0_NS1_11comp_targetILNS1_3genE4ELNS1_11target_archE910ELNS1_3gpuE8ELNS1_3repE0EEENS1_30default_config_static_selectorELNS0_4arch9wavefront6targetE1EEEvSL_.numbered_sgpr, 0
	.set _ZN7rocprim17ROCPRIM_400000_NS6detail17trampoline_kernelINS0_14default_configENS1_22reduce_config_selectorIiEEZNS1_11reduce_implILb1ES3_N6thrust23THRUST_200600_302600_NS11hip_rocprim35transform_pair_of_input_iterators_tIiPhSB_NS8_12not_equal_toIhEEEEPiiNS8_4plusIiEEEE10hipError_tPvRmT1_T2_T3_mT4_P12ihipStream_tbEUlT_E0_NS1_11comp_targetILNS1_3genE4ELNS1_11target_archE910ELNS1_3gpuE8ELNS1_3repE0EEENS1_30default_config_static_selectorELNS0_4arch9wavefront6targetE1EEEvSL_.num_named_barrier, 0
	.set _ZN7rocprim17ROCPRIM_400000_NS6detail17trampoline_kernelINS0_14default_configENS1_22reduce_config_selectorIiEEZNS1_11reduce_implILb1ES3_N6thrust23THRUST_200600_302600_NS11hip_rocprim35transform_pair_of_input_iterators_tIiPhSB_NS8_12not_equal_toIhEEEEPiiNS8_4plusIiEEEE10hipError_tPvRmT1_T2_T3_mT4_P12ihipStream_tbEUlT_E0_NS1_11comp_targetILNS1_3genE4ELNS1_11target_archE910ELNS1_3gpuE8ELNS1_3repE0EEENS1_30default_config_static_selectorELNS0_4arch9wavefront6targetE1EEEvSL_.private_seg_size, 0
	.set _ZN7rocprim17ROCPRIM_400000_NS6detail17trampoline_kernelINS0_14default_configENS1_22reduce_config_selectorIiEEZNS1_11reduce_implILb1ES3_N6thrust23THRUST_200600_302600_NS11hip_rocprim35transform_pair_of_input_iterators_tIiPhSB_NS8_12not_equal_toIhEEEEPiiNS8_4plusIiEEEE10hipError_tPvRmT1_T2_T3_mT4_P12ihipStream_tbEUlT_E0_NS1_11comp_targetILNS1_3genE4ELNS1_11target_archE910ELNS1_3gpuE8ELNS1_3repE0EEENS1_30default_config_static_selectorELNS0_4arch9wavefront6targetE1EEEvSL_.uses_vcc, 0
	.set _ZN7rocprim17ROCPRIM_400000_NS6detail17trampoline_kernelINS0_14default_configENS1_22reduce_config_selectorIiEEZNS1_11reduce_implILb1ES3_N6thrust23THRUST_200600_302600_NS11hip_rocprim35transform_pair_of_input_iterators_tIiPhSB_NS8_12not_equal_toIhEEEEPiiNS8_4plusIiEEEE10hipError_tPvRmT1_T2_T3_mT4_P12ihipStream_tbEUlT_E0_NS1_11comp_targetILNS1_3genE4ELNS1_11target_archE910ELNS1_3gpuE8ELNS1_3repE0EEENS1_30default_config_static_selectorELNS0_4arch9wavefront6targetE1EEEvSL_.uses_flat_scratch, 0
	.set _ZN7rocprim17ROCPRIM_400000_NS6detail17trampoline_kernelINS0_14default_configENS1_22reduce_config_selectorIiEEZNS1_11reduce_implILb1ES3_N6thrust23THRUST_200600_302600_NS11hip_rocprim35transform_pair_of_input_iterators_tIiPhSB_NS8_12not_equal_toIhEEEEPiiNS8_4plusIiEEEE10hipError_tPvRmT1_T2_T3_mT4_P12ihipStream_tbEUlT_E0_NS1_11comp_targetILNS1_3genE4ELNS1_11target_archE910ELNS1_3gpuE8ELNS1_3repE0EEENS1_30default_config_static_selectorELNS0_4arch9wavefront6targetE1EEEvSL_.has_dyn_sized_stack, 0
	.set _ZN7rocprim17ROCPRIM_400000_NS6detail17trampoline_kernelINS0_14default_configENS1_22reduce_config_selectorIiEEZNS1_11reduce_implILb1ES3_N6thrust23THRUST_200600_302600_NS11hip_rocprim35transform_pair_of_input_iterators_tIiPhSB_NS8_12not_equal_toIhEEEEPiiNS8_4plusIiEEEE10hipError_tPvRmT1_T2_T3_mT4_P12ihipStream_tbEUlT_E0_NS1_11comp_targetILNS1_3genE4ELNS1_11target_archE910ELNS1_3gpuE8ELNS1_3repE0EEENS1_30default_config_static_selectorELNS0_4arch9wavefront6targetE1EEEvSL_.has_recursion, 0
	.set _ZN7rocprim17ROCPRIM_400000_NS6detail17trampoline_kernelINS0_14default_configENS1_22reduce_config_selectorIiEEZNS1_11reduce_implILb1ES3_N6thrust23THRUST_200600_302600_NS11hip_rocprim35transform_pair_of_input_iterators_tIiPhSB_NS8_12not_equal_toIhEEEEPiiNS8_4plusIiEEEE10hipError_tPvRmT1_T2_T3_mT4_P12ihipStream_tbEUlT_E0_NS1_11comp_targetILNS1_3genE4ELNS1_11target_archE910ELNS1_3gpuE8ELNS1_3repE0EEENS1_30default_config_static_selectorELNS0_4arch9wavefront6targetE1EEEvSL_.has_indirect_call, 0
	.section	.AMDGPU.csdata,"",@progbits
; Kernel info:
; codeLenInByte = 0
; TotalNumSgprs: 4
; NumVgprs: 0
; ScratchSize: 0
; MemoryBound: 0
; FloatMode: 240
; IeeeMode: 1
; LDSByteSize: 0 bytes/workgroup (compile time only)
; SGPRBlocks: 0
; VGPRBlocks: 0
; NumSGPRsForWavesPerEU: 4
; NumVGPRsForWavesPerEU: 1
; Occupancy: 10
; WaveLimiterHint : 0
; COMPUTE_PGM_RSRC2:SCRATCH_EN: 0
; COMPUTE_PGM_RSRC2:USER_SGPR: 6
; COMPUTE_PGM_RSRC2:TRAP_HANDLER: 0
; COMPUTE_PGM_RSRC2:TGID_X_EN: 1
; COMPUTE_PGM_RSRC2:TGID_Y_EN: 0
; COMPUTE_PGM_RSRC2:TGID_Z_EN: 0
; COMPUTE_PGM_RSRC2:TIDIG_COMP_CNT: 0
	.section	.text._ZN7rocprim17ROCPRIM_400000_NS6detail17trampoline_kernelINS0_14default_configENS1_22reduce_config_selectorIiEEZNS1_11reduce_implILb1ES3_N6thrust23THRUST_200600_302600_NS11hip_rocprim35transform_pair_of_input_iterators_tIiPhSB_NS8_12not_equal_toIhEEEEPiiNS8_4plusIiEEEE10hipError_tPvRmT1_T2_T3_mT4_P12ihipStream_tbEUlT_E0_NS1_11comp_targetILNS1_3genE3ELNS1_11target_archE908ELNS1_3gpuE7ELNS1_3repE0EEENS1_30default_config_static_selectorELNS0_4arch9wavefront6targetE1EEEvSL_,"axG",@progbits,_ZN7rocprim17ROCPRIM_400000_NS6detail17trampoline_kernelINS0_14default_configENS1_22reduce_config_selectorIiEEZNS1_11reduce_implILb1ES3_N6thrust23THRUST_200600_302600_NS11hip_rocprim35transform_pair_of_input_iterators_tIiPhSB_NS8_12not_equal_toIhEEEEPiiNS8_4plusIiEEEE10hipError_tPvRmT1_T2_T3_mT4_P12ihipStream_tbEUlT_E0_NS1_11comp_targetILNS1_3genE3ELNS1_11target_archE908ELNS1_3gpuE7ELNS1_3repE0EEENS1_30default_config_static_selectorELNS0_4arch9wavefront6targetE1EEEvSL_,comdat
	.protected	_ZN7rocprim17ROCPRIM_400000_NS6detail17trampoline_kernelINS0_14default_configENS1_22reduce_config_selectorIiEEZNS1_11reduce_implILb1ES3_N6thrust23THRUST_200600_302600_NS11hip_rocprim35transform_pair_of_input_iterators_tIiPhSB_NS8_12not_equal_toIhEEEEPiiNS8_4plusIiEEEE10hipError_tPvRmT1_T2_T3_mT4_P12ihipStream_tbEUlT_E0_NS1_11comp_targetILNS1_3genE3ELNS1_11target_archE908ELNS1_3gpuE7ELNS1_3repE0EEENS1_30default_config_static_selectorELNS0_4arch9wavefront6targetE1EEEvSL_ ; -- Begin function _ZN7rocprim17ROCPRIM_400000_NS6detail17trampoline_kernelINS0_14default_configENS1_22reduce_config_selectorIiEEZNS1_11reduce_implILb1ES3_N6thrust23THRUST_200600_302600_NS11hip_rocprim35transform_pair_of_input_iterators_tIiPhSB_NS8_12not_equal_toIhEEEEPiiNS8_4plusIiEEEE10hipError_tPvRmT1_T2_T3_mT4_P12ihipStream_tbEUlT_E0_NS1_11comp_targetILNS1_3genE3ELNS1_11target_archE908ELNS1_3gpuE7ELNS1_3repE0EEENS1_30default_config_static_selectorELNS0_4arch9wavefront6targetE1EEEvSL_
	.globl	_ZN7rocprim17ROCPRIM_400000_NS6detail17trampoline_kernelINS0_14default_configENS1_22reduce_config_selectorIiEEZNS1_11reduce_implILb1ES3_N6thrust23THRUST_200600_302600_NS11hip_rocprim35transform_pair_of_input_iterators_tIiPhSB_NS8_12not_equal_toIhEEEEPiiNS8_4plusIiEEEE10hipError_tPvRmT1_T2_T3_mT4_P12ihipStream_tbEUlT_E0_NS1_11comp_targetILNS1_3genE3ELNS1_11target_archE908ELNS1_3gpuE7ELNS1_3repE0EEENS1_30default_config_static_selectorELNS0_4arch9wavefront6targetE1EEEvSL_
	.p2align	8
	.type	_ZN7rocprim17ROCPRIM_400000_NS6detail17trampoline_kernelINS0_14default_configENS1_22reduce_config_selectorIiEEZNS1_11reduce_implILb1ES3_N6thrust23THRUST_200600_302600_NS11hip_rocprim35transform_pair_of_input_iterators_tIiPhSB_NS8_12not_equal_toIhEEEEPiiNS8_4plusIiEEEE10hipError_tPvRmT1_T2_T3_mT4_P12ihipStream_tbEUlT_E0_NS1_11comp_targetILNS1_3genE3ELNS1_11target_archE908ELNS1_3gpuE7ELNS1_3repE0EEENS1_30default_config_static_selectorELNS0_4arch9wavefront6targetE1EEEvSL_,@function
_ZN7rocprim17ROCPRIM_400000_NS6detail17trampoline_kernelINS0_14default_configENS1_22reduce_config_selectorIiEEZNS1_11reduce_implILb1ES3_N6thrust23THRUST_200600_302600_NS11hip_rocprim35transform_pair_of_input_iterators_tIiPhSB_NS8_12not_equal_toIhEEEEPiiNS8_4plusIiEEEE10hipError_tPvRmT1_T2_T3_mT4_P12ihipStream_tbEUlT_E0_NS1_11comp_targetILNS1_3genE3ELNS1_11target_archE908ELNS1_3gpuE7ELNS1_3repE0EEENS1_30default_config_static_selectorELNS0_4arch9wavefront6targetE1EEEvSL_: ; @_ZN7rocprim17ROCPRIM_400000_NS6detail17trampoline_kernelINS0_14default_configENS1_22reduce_config_selectorIiEEZNS1_11reduce_implILb1ES3_N6thrust23THRUST_200600_302600_NS11hip_rocprim35transform_pair_of_input_iterators_tIiPhSB_NS8_12not_equal_toIhEEEEPiiNS8_4plusIiEEEE10hipError_tPvRmT1_T2_T3_mT4_P12ihipStream_tbEUlT_E0_NS1_11comp_targetILNS1_3genE3ELNS1_11target_archE908ELNS1_3gpuE7ELNS1_3repE0EEENS1_30default_config_static_selectorELNS0_4arch9wavefront6targetE1EEEvSL_
; %bb.0:
	.section	.rodata,"a",@progbits
	.p2align	6, 0x0
	.amdhsa_kernel _ZN7rocprim17ROCPRIM_400000_NS6detail17trampoline_kernelINS0_14default_configENS1_22reduce_config_selectorIiEEZNS1_11reduce_implILb1ES3_N6thrust23THRUST_200600_302600_NS11hip_rocprim35transform_pair_of_input_iterators_tIiPhSB_NS8_12not_equal_toIhEEEEPiiNS8_4plusIiEEEE10hipError_tPvRmT1_T2_T3_mT4_P12ihipStream_tbEUlT_E0_NS1_11comp_targetILNS1_3genE3ELNS1_11target_archE908ELNS1_3gpuE7ELNS1_3repE0EEENS1_30default_config_static_selectorELNS0_4arch9wavefront6targetE1EEEvSL_
		.amdhsa_group_segment_fixed_size 0
		.amdhsa_private_segment_fixed_size 0
		.amdhsa_kernarg_size 72
		.amdhsa_user_sgpr_count 6
		.amdhsa_user_sgpr_private_segment_buffer 1
		.amdhsa_user_sgpr_dispatch_ptr 0
		.amdhsa_user_sgpr_queue_ptr 0
		.amdhsa_user_sgpr_kernarg_segment_ptr 1
		.amdhsa_user_sgpr_dispatch_id 0
		.amdhsa_user_sgpr_flat_scratch_init 0
		.amdhsa_user_sgpr_private_segment_size 0
		.amdhsa_uses_dynamic_stack 0
		.amdhsa_system_sgpr_private_segment_wavefront_offset 0
		.amdhsa_system_sgpr_workgroup_id_x 1
		.amdhsa_system_sgpr_workgroup_id_y 0
		.amdhsa_system_sgpr_workgroup_id_z 0
		.amdhsa_system_sgpr_workgroup_info 0
		.amdhsa_system_vgpr_workitem_id 0
		.amdhsa_next_free_vgpr 1
		.amdhsa_next_free_sgpr 0
		.amdhsa_reserve_vcc 0
		.amdhsa_reserve_flat_scratch 0
		.amdhsa_float_round_mode_32 0
		.amdhsa_float_round_mode_16_64 0
		.amdhsa_float_denorm_mode_32 3
		.amdhsa_float_denorm_mode_16_64 3
		.amdhsa_dx10_clamp 1
		.amdhsa_ieee_mode 1
		.amdhsa_fp16_overflow 0
		.amdhsa_exception_fp_ieee_invalid_op 0
		.amdhsa_exception_fp_denorm_src 0
		.amdhsa_exception_fp_ieee_div_zero 0
		.amdhsa_exception_fp_ieee_overflow 0
		.amdhsa_exception_fp_ieee_underflow 0
		.amdhsa_exception_fp_ieee_inexact 0
		.amdhsa_exception_int_div_zero 0
	.end_amdhsa_kernel
	.section	.text._ZN7rocprim17ROCPRIM_400000_NS6detail17trampoline_kernelINS0_14default_configENS1_22reduce_config_selectorIiEEZNS1_11reduce_implILb1ES3_N6thrust23THRUST_200600_302600_NS11hip_rocprim35transform_pair_of_input_iterators_tIiPhSB_NS8_12not_equal_toIhEEEEPiiNS8_4plusIiEEEE10hipError_tPvRmT1_T2_T3_mT4_P12ihipStream_tbEUlT_E0_NS1_11comp_targetILNS1_3genE3ELNS1_11target_archE908ELNS1_3gpuE7ELNS1_3repE0EEENS1_30default_config_static_selectorELNS0_4arch9wavefront6targetE1EEEvSL_,"axG",@progbits,_ZN7rocprim17ROCPRIM_400000_NS6detail17trampoline_kernelINS0_14default_configENS1_22reduce_config_selectorIiEEZNS1_11reduce_implILb1ES3_N6thrust23THRUST_200600_302600_NS11hip_rocprim35transform_pair_of_input_iterators_tIiPhSB_NS8_12not_equal_toIhEEEEPiiNS8_4plusIiEEEE10hipError_tPvRmT1_T2_T3_mT4_P12ihipStream_tbEUlT_E0_NS1_11comp_targetILNS1_3genE3ELNS1_11target_archE908ELNS1_3gpuE7ELNS1_3repE0EEENS1_30default_config_static_selectorELNS0_4arch9wavefront6targetE1EEEvSL_,comdat
.Lfunc_end339:
	.size	_ZN7rocprim17ROCPRIM_400000_NS6detail17trampoline_kernelINS0_14default_configENS1_22reduce_config_selectorIiEEZNS1_11reduce_implILb1ES3_N6thrust23THRUST_200600_302600_NS11hip_rocprim35transform_pair_of_input_iterators_tIiPhSB_NS8_12not_equal_toIhEEEEPiiNS8_4plusIiEEEE10hipError_tPvRmT1_T2_T3_mT4_P12ihipStream_tbEUlT_E0_NS1_11comp_targetILNS1_3genE3ELNS1_11target_archE908ELNS1_3gpuE7ELNS1_3repE0EEENS1_30default_config_static_selectorELNS0_4arch9wavefront6targetE1EEEvSL_, .Lfunc_end339-_ZN7rocprim17ROCPRIM_400000_NS6detail17trampoline_kernelINS0_14default_configENS1_22reduce_config_selectorIiEEZNS1_11reduce_implILb1ES3_N6thrust23THRUST_200600_302600_NS11hip_rocprim35transform_pair_of_input_iterators_tIiPhSB_NS8_12not_equal_toIhEEEEPiiNS8_4plusIiEEEE10hipError_tPvRmT1_T2_T3_mT4_P12ihipStream_tbEUlT_E0_NS1_11comp_targetILNS1_3genE3ELNS1_11target_archE908ELNS1_3gpuE7ELNS1_3repE0EEENS1_30default_config_static_selectorELNS0_4arch9wavefront6targetE1EEEvSL_
                                        ; -- End function
	.set _ZN7rocprim17ROCPRIM_400000_NS6detail17trampoline_kernelINS0_14default_configENS1_22reduce_config_selectorIiEEZNS1_11reduce_implILb1ES3_N6thrust23THRUST_200600_302600_NS11hip_rocprim35transform_pair_of_input_iterators_tIiPhSB_NS8_12not_equal_toIhEEEEPiiNS8_4plusIiEEEE10hipError_tPvRmT1_T2_T3_mT4_P12ihipStream_tbEUlT_E0_NS1_11comp_targetILNS1_3genE3ELNS1_11target_archE908ELNS1_3gpuE7ELNS1_3repE0EEENS1_30default_config_static_selectorELNS0_4arch9wavefront6targetE1EEEvSL_.num_vgpr, 0
	.set _ZN7rocprim17ROCPRIM_400000_NS6detail17trampoline_kernelINS0_14default_configENS1_22reduce_config_selectorIiEEZNS1_11reduce_implILb1ES3_N6thrust23THRUST_200600_302600_NS11hip_rocprim35transform_pair_of_input_iterators_tIiPhSB_NS8_12not_equal_toIhEEEEPiiNS8_4plusIiEEEE10hipError_tPvRmT1_T2_T3_mT4_P12ihipStream_tbEUlT_E0_NS1_11comp_targetILNS1_3genE3ELNS1_11target_archE908ELNS1_3gpuE7ELNS1_3repE0EEENS1_30default_config_static_selectorELNS0_4arch9wavefront6targetE1EEEvSL_.num_agpr, 0
	.set _ZN7rocprim17ROCPRIM_400000_NS6detail17trampoline_kernelINS0_14default_configENS1_22reduce_config_selectorIiEEZNS1_11reduce_implILb1ES3_N6thrust23THRUST_200600_302600_NS11hip_rocprim35transform_pair_of_input_iterators_tIiPhSB_NS8_12not_equal_toIhEEEEPiiNS8_4plusIiEEEE10hipError_tPvRmT1_T2_T3_mT4_P12ihipStream_tbEUlT_E0_NS1_11comp_targetILNS1_3genE3ELNS1_11target_archE908ELNS1_3gpuE7ELNS1_3repE0EEENS1_30default_config_static_selectorELNS0_4arch9wavefront6targetE1EEEvSL_.numbered_sgpr, 0
	.set _ZN7rocprim17ROCPRIM_400000_NS6detail17trampoline_kernelINS0_14default_configENS1_22reduce_config_selectorIiEEZNS1_11reduce_implILb1ES3_N6thrust23THRUST_200600_302600_NS11hip_rocprim35transform_pair_of_input_iterators_tIiPhSB_NS8_12not_equal_toIhEEEEPiiNS8_4plusIiEEEE10hipError_tPvRmT1_T2_T3_mT4_P12ihipStream_tbEUlT_E0_NS1_11comp_targetILNS1_3genE3ELNS1_11target_archE908ELNS1_3gpuE7ELNS1_3repE0EEENS1_30default_config_static_selectorELNS0_4arch9wavefront6targetE1EEEvSL_.num_named_barrier, 0
	.set _ZN7rocprim17ROCPRIM_400000_NS6detail17trampoline_kernelINS0_14default_configENS1_22reduce_config_selectorIiEEZNS1_11reduce_implILb1ES3_N6thrust23THRUST_200600_302600_NS11hip_rocprim35transform_pair_of_input_iterators_tIiPhSB_NS8_12not_equal_toIhEEEEPiiNS8_4plusIiEEEE10hipError_tPvRmT1_T2_T3_mT4_P12ihipStream_tbEUlT_E0_NS1_11comp_targetILNS1_3genE3ELNS1_11target_archE908ELNS1_3gpuE7ELNS1_3repE0EEENS1_30default_config_static_selectorELNS0_4arch9wavefront6targetE1EEEvSL_.private_seg_size, 0
	.set _ZN7rocprim17ROCPRIM_400000_NS6detail17trampoline_kernelINS0_14default_configENS1_22reduce_config_selectorIiEEZNS1_11reduce_implILb1ES3_N6thrust23THRUST_200600_302600_NS11hip_rocprim35transform_pair_of_input_iterators_tIiPhSB_NS8_12not_equal_toIhEEEEPiiNS8_4plusIiEEEE10hipError_tPvRmT1_T2_T3_mT4_P12ihipStream_tbEUlT_E0_NS1_11comp_targetILNS1_3genE3ELNS1_11target_archE908ELNS1_3gpuE7ELNS1_3repE0EEENS1_30default_config_static_selectorELNS0_4arch9wavefront6targetE1EEEvSL_.uses_vcc, 0
	.set _ZN7rocprim17ROCPRIM_400000_NS6detail17trampoline_kernelINS0_14default_configENS1_22reduce_config_selectorIiEEZNS1_11reduce_implILb1ES3_N6thrust23THRUST_200600_302600_NS11hip_rocprim35transform_pair_of_input_iterators_tIiPhSB_NS8_12not_equal_toIhEEEEPiiNS8_4plusIiEEEE10hipError_tPvRmT1_T2_T3_mT4_P12ihipStream_tbEUlT_E0_NS1_11comp_targetILNS1_3genE3ELNS1_11target_archE908ELNS1_3gpuE7ELNS1_3repE0EEENS1_30default_config_static_selectorELNS0_4arch9wavefront6targetE1EEEvSL_.uses_flat_scratch, 0
	.set _ZN7rocprim17ROCPRIM_400000_NS6detail17trampoline_kernelINS0_14default_configENS1_22reduce_config_selectorIiEEZNS1_11reduce_implILb1ES3_N6thrust23THRUST_200600_302600_NS11hip_rocprim35transform_pair_of_input_iterators_tIiPhSB_NS8_12not_equal_toIhEEEEPiiNS8_4plusIiEEEE10hipError_tPvRmT1_T2_T3_mT4_P12ihipStream_tbEUlT_E0_NS1_11comp_targetILNS1_3genE3ELNS1_11target_archE908ELNS1_3gpuE7ELNS1_3repE0EEENS1_30default_config_static_selectorELNS0_4arch9wavefront6targetE1EEEvSL_.has_dyn_sized_stack, 0
	.set _ZN7rocprim17ROCPRIM_400000_NS6detail17trampoline_kernelINS0_14default_configENS1_22reduce_config_selectorIiEEZNS1_11reduce_implILb1ES3_N6thrust23THRUST_200600_302600_NS11hip_rocprim35transform_pair_of_input_iterators_tIiPhSB_NS8_12not_equal_toIhEEEEPiiNS8_4plusIiEEEE10hipError_tPvRmT1_T2_T3_mT4_P12ihipStream_tbEUlT_E0_NS1_11comp_targetILNS1_3genE3ELNS1_11target_archE908ELNS1_3gpuE7ELNS1_3repE0EEENS1_30default_config_static_selectorELNS0_4arch9wavefront6targetE1EEEvSL_.has_recursion, 0
	.set _ZN7rocprim17ROCPRIM_400000_NS6detail17trampoline_kernelINS0_14default_configENS1_22reduce_config_selectorIiEEZNS1_11reduce_implILb1ES3_N6thrust23THRUST_200600_302600_NS11hip_rocprim35transform_pair_of_input_iterators_tIiPhSB_NS8_12not_equal_toIhEEEEPiiNS8_4plusIiEEEE10hipError_tPvRmT1_T2_T3_mT4_P12ihipStream_tbEUlT_E0_NS1_11comp_targetILNS1_3genE3ELNS1_11target_archE908ELNS1_3gpuE7ELNS1_3repE0EEENS1_30default_config_static_selectorELNS0_4arch9wavefront6targetE1EEEvSL_.has_indirect_call, 0
	.section	.AMDGPU.csdata,"",@progbits
; Kernel info:
; codeLenInByte = 0
; TotalNumSgprs: 4
; NumVgprs: 0
; ScratchSize: 0
; MemoryBound: 0
; FloatMode: 240
; IeeeMode: 1
; LDSByteSize: 0 bytes/workgroup (compile time only)
; SGPRBlocks: 0
; VGPRBlocks: 0
; NumSGPRsForWavesPerEU: 4
; NumVGPRsForWavesPerEU: 1
; Occupancy: 10
; WaveLimiterHint : 0
; COMPUTE_PGM_RSRC2:SCRATCH_EN: 0
; COMPUTE_PGM_RSRC2:USER_SGPR: 6
; COMPUTE_PGM_RSRC2:TRAP_HANDLER: 0
; COMPUTE_PGM_RSRC2:TGID_X_EN: 1
; COMPUTE_PGM_RSRC2:TGID_Y_EN: 0
; COMPUTE_PGM_RSRC2:TGID_Z_EN: 0
; COMPUTE_PGM_RSRC2:TIDIG_COMP_CNT: 0
	.section	.text._ZN7rocprim17ROCPRIM_400000_NS6detail17trampoline_kernelINS0_14default_configENS1_22reduce_config_selectorIiEEZNS1_11reduce_implILb1ES3_N6thrust23THRUST_200600_302600_NS11hip_rocprim35transform_pair_of_input_iterators_tIiPhSB_NS8_12not_equal_toIhEEEEPiiNS8_4plusIiEEEE10hipError_tPvRmT1_T2_T3_mT4_P12ihipStream_tbEUlT_E0_NS1_11comp_targetILNS1_3genE2ELNS1_11target_archE906ELNS1_3gpuE6ELNS1_3repE0EEENS1_30default_config_static_selectorELNS0_4arch9wavefront6targetE1EEEvSL_,"axG",@progbits,_ZN7rocprim17ROCPRIM_400000_NS6detail17trampoline_kernelINS0_14default_configENS1_22reduce_config_selectorIiEEZNS1_11reduce_implILb1ES3_N6thrust23THRUST_200600_302600_NS11hip_rocprim35transform_pair_of_input_iterators_tIiPhSB_NS8_12not_equal_toIhEEEEPiiNS8_4plusIiEEEE10hipError_tPvRmT1_T2_T3_mT4_P12ihipStream_tbEUlT_E0_NS1_11comp_targetILNS1_3genE2ELNS1_11target_archE906ELNS1_3gpuE6ELNS1_3repE0EEENS1_30default_config_static_selectorELNS0_4arch9wavefront6targetE1EEEvSL_,comdat
	.protected	_ZN7rocprim17ROCPRIM_400000_NS6detail17trampoline_kernelINS0_14default_configENS1_22reduce_config_selectorIiEEZNS1_11reduce_implILb1ES3_N6thrust23THRUST_200600_302600_NS11hip_rocprim35transform_pair_of_input_iterators_tIiPhSB_NS8_12not_equal_toIhEEEEPiiNS8_4plusIiEEEE10hipError_tPvRmT1_T2_T3_mT4_P12ihipStream_tbEUlT_E0_NS1_11comp_targetILNS1_3genE2ELNS1_11target_archE906ELNS1_3gpuE6ELNS1_3repE0EEENS1_30default_config_static_selectorELNS0_4arch9wavefront6targetE1EEEvSL_ ; -- Begin function _ZN7rocprim17ROCPRIM_400000_NS6detail17trampoline_kernelINS0_14default_configENS1_22reduce_config_selectorIiEEZNS1_11reduce_implILb1ES3_N6thrust23THRUST_200600_302600_NS11hip_rocprim35transform_pair_of_input_iterators_tIiPhSB_NS8_12not_equal_toIhEEEEPiiNS8_4plusIiEEEE10hipError_tPvRmT1_T2_T3_mT4_P12ihipStream_tbEUlT_E0_NS1_11comp_targetILNS1_3genE2ELNS1_11target_archE906ELNS1_3gpuE6ELNS1_3repE0EEENS1_30default_config_static_selectorELNS0_4arch9wavefront6targetE1EEEvSL_
	.globl	_ZN7rocprim17ROCPRIM_400000_NS6detail17trampoline_kernelINS0_14default_configENS1_22reduce_config_selectorIiEEZNS1_11reduce_implILb1ES3_N6thrust23THRUST_200600_302600_NS11hip_rocprim35transform_pair_of_input_iterators_tIiPhSB_NS8_12not_equal_toIhEEEEPiiNS8_4plusIiEEEE10hipError_tPvRmT1_T2_T3_mT4_P12ihipStream_tbEUlT_E0_NS1_11comp_targetILNS1_3genE2ELNS1_11target_archE906ELNS1_3gpuE6ELNS1_3repE0EEENS1_30default_config_static_selectorELNS0_4arch9wavefront6targetE1EEEvSL_
	.p2align	8
	.type	_ZN7rocprim17ROCPRIM_400000_NS6detail17trampoline_kernelINS0_14default_configENS1_22reduce_config_selectorIiEEZNS1_11reduce_implILb1ES3_N6thrust23THRUST_200600_302600_NS11hip_rocprim35transform_pair_of_input_iterators_tIiPhSB_NS8_12not_equal_toIhEEEEPiiNS8_4plusIiEEEE10hipError_tPvRmT1_T2_T3_mT4_P12ihipStream_tbEUlT_E0_NS1_11comp_targetILNS1_3genE2ELNS1_11target_archE906ELNS1_3gpuE6ELNS1_3repE0EEENS1_30default_config_static_selectorELNS0_4arch9wavefront6targetE1EEEvSL_,@function
_ZN7rocprim17ROCPRIM_400000_NS6detail17trampoline_kernelINS0_14default_configENS1_22reduce_config_selectorIiEEZNS1_11reduce_implILb1ES3_N6thrust23THRUST_200600_302600_NS11hip_rocprim35transform_pair_of_input_iterators_tIiPhSB_NS8_12not_equal_toIhEEEEPiiNS8_4plusIiEEEE10hipError_tPvRmT1_T2_T3_mT4_P12ihipStream_tbEUlT_E0_NS1_11comp_targetILNS1_3genE2ELNS1_11target_archE906ELNS1_3gpuE6ELNS1_3repE0EEENS1_30default_config_static_selectorELNS0_4arch9wavefront6targetE1EEEvSL_: ; @_ZN7rocprim17ROCPRIM_400000_NS6detail17trampoline_kernelINS0_14default_configENS1_22reduce_config_selectorIiEEZNS1_11reduce_implILb1ES3_N6thrust23THRUST_200600_302600_NS11hip_rocprim35transform_pair_of_input_iterators_tIiPhSB_NS8_12not_equal_toIhEEEEPiiNS8_4plusIiEEEE10hipError_tPvRmT1_T2_T3_mT4_P12ihipStream_tbEUlT_E0_NS1_11comp_targetILNS1_3genE2ELNS1_11target_archE906ELNS1_3gpuE6ELNS1_3repE0EEENS1_30default_config_static_selectorELNS0_4arch9wavefront6targetE1EEEvSL_
; %bb.0:
	s_load_dwordx4 s[0:3], s[4:5], 0x0
	s_load_dwordx8 s[8:15], s[4:5], 0x18
	s_load_dwordx2 s[16:17], s[4:5], 0x38
	s_mov_b32 s7, 0
	v_mbcnt_lo_u32_b32 v5, -1, 0
	s_waitcnt lgkmcnt(0)
	s_add_u32 s18, s0, s8
	s_addc_u32 s19, s1, s9
	s_add_u32 s20, s2, s8
	s_addc_u32 s3, s3, s9
	s_lshl_b32 s2, s6, 10
	s_lshr_b64 s[0:1], s[10:11], 10
	s_add_u32 s8, s18, s2
	s_addc_u32 s9, s19, 0
	s_add_u32 s18, s20, s2
	s_addc_u32 s19, s3, 0
	s_cmp_lg_u64 s[0:1], s[6:7]
	s_cbranch_scc0 .LBB340_6
; %bb.1:
	global_load_ubyte v1, v0, s[8:9]
	global_load_ubyte v4, v0, s[18:19]
	global_load_ubyte v6, v0, s[8:9] offset:512
	global_load_ubyte v7, v0, s[18:19] offset:512
	;; [unrolled: 1-line block ×6, first 2 shown]
	v_mbcnt_hi_u32_b32 v2, -1, v5
	v_lshlrev_b32_e32 v3, 2, v2
	s_waitcnt vmcnt(6)
	v_cmp_ne_u16_e32 vcc, v1, v4
	v_cndmask_b32_e64 v1, 0, 1, vcc
	s_waitcnt vmcnt(4)
	v_cmp_ne_u16_e32 vcc, v6, v7
	v_cndmask_b32_e64 v4, 0, 1, vcc
	s_waitcnt vmcnt(2)
	v_cmp_ne_u16_e32 vcc, v8, v9
	v_addc_co_u32_e32 v1, vcc, 0, v1, vcc
	s_waitcnt vmcnt(0)
	v_cmp_ne_u16_e32 vcc, v11, v10
	v_addc_co_u32_e32 v1, vcc, v1, v4, vcc
	v_or_b32_e32 v4, 0xfc, v3
	s_nop 0
	v_add_u32_dpp v1, v1, v1 quad_perm:[1,0,3,2] row_mask:0xf bank_mask:0xf bound_ctrl:1
	v_cmp_eq_u32_e32 vcc, 0, v2
	s_nop 0
	v_add_u32_dpp v1, v1, v1 quad_perm:[2,3,0,1] row_mask:0xf bank_mask:0xf bound_ctrl:1
	s_nop 1
	v_add_u32_dpp v1, v1, v1 row_ror:4 row_mask:0xf bank_mask:0xf bound_ctrl:1
	s_nop 1
	v_add_u32_dpp v1, v1, v1 row_ror:8 row_mask:0xf bank_mask:0xf bound_ctrl:1
	s_nop 1
	v_add_u32_dpp v1, v1, v1 row_bcast:15 row_mask:0xf bank_mask:0xf bound_ctrl:1
	s_nop 1
	v_add_u32_dpp v1, v1, v1 row_bcast:31 row_mask:0xf bank_mask:0xf bound_ctrl:1
	ds_bpermute_b32 v1, v4, v1
	s_and_saveexec_b64 s[0:1], vcc
	s_cbranch_execz .LBB340_3
; %bb.2:
	v_lshrrev_b32_e32 v4, 4, v0
	v_and_b32_e32 v4, 12, v4
	s_waitcnt lgkmcnt(0)
	ds_write_b32 v4, v1
.LBB340_3:
	s_or_b64 exec, exec, s[0:1]
	v_cmp_gt_u32_e32 vcc, 64, v0
	s_waitcnt lgkmcnt(0)
	s_barrier
	s_and_saveexec_b64 s[0:1], vcc
	s_cbranch_execz .LBB340_5
; %bb.4:
	v_and_b32_e32 v1, 3, v2
	v_lshlrev_b32_e32 v4, 2, v1
	ds_read_b32 v4, v4
	v_cmp_ne_u32_e32 vcc, 3, v1
	v_addc_co_u32_e32 v1, vcc, 0, v2, vcc
	v_lshlrev_b32_e32 v1, 2, v1
	s_waitcnt lgkmcnt(0)
	ds_bpermute_b32 v1, v1, v4
	v_or_b32_e32 v2, 8, v3
	s_waitcnt lgkmcnt(0)
	v_add_u32_e32 v1, v1, v4
	ds_bpermute_b32 v2, v2, v1
	s_waitcnt lgkmcnt(0)
	v_add_u32_e32 v1, v2, v1
.LBB340_5:
	s_or_b64 exec, exec, s[0:1]
	s_load_dword s22, s[4:5], 0x40
	s_branch .LBB340_20
.LBB340_6:
                                        ; implicit-def: $vgpr1
	s_load_dword s22, s[4:5], 0x40
	s_cbranch_execz .LBB340_20
; %bb.7:
	s_sub_i32 s23, s10, s2
	v_mov_b32_e32 v1, 0
	v_cmp_gt_u32_e32 vcc, s23, v0
	v_mov_b32_e32 v2, v1
	v_mov_b32_e32 v3, v1
	;; [unrolled: 1-line block ×3, first 2 shown]
	s_and_saveexec_b64 s[0:1], vcc
	s_cbranch_execz .LBB340_9
; %bb.8:
	global_load_ubyte v2, v0, s[8:9]
	global_load_ubyte v3, v0, s[18:19]
	v_mov_b32_e32 v7, v1
	v_mov_b32_e32 v8, v1
	;; [unrolled: 1-line block ×3, first 2 shown]
	s_waitcnt vmcnt(0)
	v_cmp_ne_u16_e32 vcc, v2, v3
	v_cndmask_b32_e64 v2, 0, 1, vcc
	v_and_b32_e32 v6, 0xffff, v2
	v_mov_b32_e32 v1, v6
	v_mov_b32_e32 v2, v7
	;; [unrolled: 1-line block ×4, first 2 shown]
.LBB340_9:
	s_or_b64 exec, exec, s[0:1]
	v_or_b32_e32 v6, 0x100, v0
	v_cmp_gt_u32_e32 vcc, s23, v6
	s_and_saveexec_b64 s[2:3], vcc
	s_cbranch_execz .LBB340_11
; %bb.10:
	global_load_ubyte v2, v0, s[8:9] offset:256
	global_load_ubyte v6, v0, s[18:19] offset:256
	s_waitcnt vmcnt(0)
	v_cmp_ne_u16_e64 s[0:1], v2, v6
	v_cndmask_b32_e64 v2, 0, 1, s[0:1]
.LBB340_11:
	s_or_b64 exec, exec, s[2:3]
	v_or_b32_e32 v6, 0x200, v0
	v_cmp_gt_u32_e64 s[0:1], s23, v6
	s_and_saveexec_b64 s[4:5], s[0:1]
	s_cbranch_execz .LBB340_13
; %bb.12:
	global_load_ubyte v3, v0, s[8:9] offset:512
	global_load_ubyte v6, v0, s[18:19] offset:512
	s_waitcnt vmcnt(0)
	v_cmp_ne_u16_e64 s[2:3], v3, v6
	v_cndmask_b32_e64 v3, 0, 1, s[2:3]
.LBB340_13:
	s_or_b64 exec, exec, s[4:5]
	v_or_b32_e32 v6, 0x300, v0
	v_cmp_gt_u32_e64 s[2:3], s23, v6
	s_and_saveexec_b64 s[20:21], s[2:3]
	s_cbranch_execz .LBB340_15
; %bb.14:
	global_load_ubyte v4, v0, s[8:9] offset:768
	global_load_ubyte v6, v0, s[18:19] offset:768
	s_waitcnt vmcnt(0)
	v_cmp_ne_u16_e64 s[4:5], v4, v6
	v_cndmask_b32_e64 v4, 0, 1, s[4:5]
.LBB340_15:
	s_or_b64 exec, exec, s[20:21]
	v_cndmask_b32_e32 v2, 0, v2, vcc
	v_add_u32_e32 v1, v2, v1
	v_cndmask_b32_e64 v2, 0, v3, s[0:1]
	v_cndmask_b32_e64 v3, 0, v4, s[2:3]
	v_add3_u32 v1, v1, v2, v3
	v_mbcnt_hi_u32_b32 v2, -1, v5
	v_and_b32_e32 v4, 63, v2
	v_cmp_ne_u32_e32 vcc, 63, v4
	v_addc_co_u32_e32 v3, vcc, 0, v2, vcc
	v_lshlrev_b32_e32 v3, 2, v3
	ds_bpermute_b32 v3, v3, v1
	s_min_u32 s2, s23, 0x100
	v_and_b32_e32 v5, 0xc0, v0
	v_sub_u32_e64 v5, s2, v5 clamp
	v_add_u32_e32 v6, 1, v4
	v_cmp_lt_u32_e32 vcc, v6, v5
	s_waitcnt lgkmcnt(0)
	v_cndmask_b32_e32 v3, 0, v3, vcc
	v_cmp_gt_u32_e32 vcc, 62, v4
	v_add_u32_e32 v1, v3, v1
	v_cndmask_b32_e64 v3, 0, 2, vcc
	v_add_lshl_u32 v3, v3, v2, 2
	ds_bpermute_b32 v3, v3, v1
	v_add_u32_e32 v6, 2, v4
	v_cmp_lt_u32_e32 vcc, v6, v5
	v_add_u32_e32 v6, 4, v4
	s_waitcnt lgkmcnt(0)
	v_cndmask_b32_e32 v3, 0, v3, vcc
	v_cmp_gt_u32_e32 vcc, 60, v4
	v_add_u32_e32 v1, v1, v3
	v_cndmask_b32_e64 v3, 0, 4, vcc
	v_add_lshl_u32 v3, v3, v2, 2
	ds_bpermute_b32 v3, v3, v1
	v_cmp_lt_u32_e32 vcc, v6, v5
	v_add_u32_e32 v6, 8, v4
	s_waitcnt lgkmcnt(0)
	v_cndmask_b32_e32 v3, 0, v3, vcc
	v_cmp_gt_u32_e32 vcc, 56, v4
	v_add_u32_e32 v1, v1, v3
	v_cndmask_b32_e64 v3, 0, 8, vcc
	v_add_lshl_u32 v3, v3, v2, 2
	ds_bpermute_b32 v3, v3, v1
	;; [unrolled: 9-line block ×3, first 2 shown]
	v_cmp_lt_u32_e32 vcc, v6, v5
	v_add_u32_e32 v4, 32, v4
	s_waitcnt lgkmcnt(0)
	v_cndmask_b32_e32 v3, 0, v3, vcc
	v_add_u32_e32 v1, v1, v3
	v_lshlrev_b32_e32 v3, 2, v2
	v_or_b32_e32 v6, 0x80, v3
	ds_bpermute_b32 v6, v6, v1
	v_cmp_lt_u32_e32 vcc, v4, v5
	s_waitcnt lgkmcnt(0)
	v_cndmask_b32_e32 v4, 0, v6, vcc
	v_add_u32_e32 v1, v1, v4
	v_cmp_eq_u32_e32 vcc, 0, v2
	s_and_saveexec_b64 s[0:1], vcc
; %bb.16:
	v_lshrrev_b32_e32 v4, 4, v0
	v_and_b32_e32 v4, 12, v4
	ds_write_b32 v4, v1 offset:16
; %bb.17:
	s_or_b64 exec, exec, s[0:1]
	v_cmp_gt_u32_e32 vcc, 4, v0
	s_waitcnt lgkmcnt(0)
	s_barrier
	s_and_saveexec_b64 s[0:1], vcc
	s_cbranch_execz .LBB340_19
; %bb.18:
	ds_read_b32 v1, v3 offset:16
	v_and_b32_e32 v4, 3, v2
	v_cmp_ne_u32_e32 vcc, 3, v4
	v_addc_co_u32_e32 v2, vcc, 0, v2, vcc
	v_lshlrev_b32_e32 v2, 2, v2
	s_waitcnt lgkmcnt(0)
	ds_bpermute_b32 v2, v2, v1
	s_add_i32 s2, s2, 63
	s_lshr_b32 s2, s2, 6
	v_add_u32_e32 v5, 1, v4
	v_cmp_gt_u32_e32 vcc, s2, v5
	s_waitcnt lgkmcnt(0)
	v_cndmask_b32_e32 v2, 0, v2, vcc
	v_add_u32_e32 v1, v2, v1
	v_or_b32_e32 v2, 8, v3
	ds_bpermute_b32 v2, v2, v1
	v_add_u32_e32 v3, 2, v4
	v_cmp_gt_u32_e32 vcc, s2, v3
	s_waitcnt lgkmcnt(0)
	v_cndmask_b32_e32 v2, 0, v2, vcc
	v_add_u32_e32 v1, v1, v2
.LBB340_19:
	s_or_b64 exec, exec, s[0:1]
.LBB340_20:
	v_cmp_eq_u32_e32 vcc, 0, v0
	s_and_saveexec_b64 s[0:1], vcc
	s_cbranch_execnz .LBB340_22
; %bb.21:
	s_endpgm
.LBB340_22:
	s_mul_i32 s0, s16, s15
	s_mul_hi_u32 s1, s16, s14
	s_add_i32 s0, s1, s0
	s_mul_i32 s1, s17, s14
	s_add_i32 s1, s0, s1
	s_mul_i32 s0, s16, s14
	s_lshl_b64 s[0:1], s[0:1], 2
	s_add_u32 s2, s12, s0
	s_addc_u32 s3, s13, s1
	s_cmp_eq_u64 s[10:11], 0
	s_cselect_b64 vcc, -1, 0
	s_lshl_b64 s[0:1], s[6:7], 2
	s_waitcnt lgkmcnt(0)
	v_mov_b32_e32 v0, s22
	s_add_u32 s0, s2, s0
	v_cndmask_b32_e32 v0, v1, v0, vcc
	s_addc_u32 s1, s3, s1
	v_mov_b32_e32 v1, 0
	global_store_dword v1, v0, s[0:1]
	s_endpgm
	.section	.rodata,"a",@progbits
	.p2align	6, 0x0
	.amdhsa_kernel _ZN7rocprim17ROCPRIM_400000_NS6detail17trampoline_kernelINS0_14default_configENS1_22reduce_config_selectorIiEEZNS1_11reduce_implILb1ES3_N6thrust23THRUST_200600_302600_NS11hip_rocprim35transform_pair_of_input_iterators_tIiPhSB_NS8_12not_equal_toIhEEEEPiiNS8_4plusIiEEEE10hipError_tPvRmT1_T2_T3_mT4_P12ihipStream_tbEUlT_E0_NS1_11comp_targetILNS1_3genE2ELNS1_11target_archE906ELNS1_3gpuE6ELNS1_3repE0EEENS1_30default_config_static_selectorELNS0_4arch9wavefront6targetE1EEEvSL_
		.amdhsa_group_segment_fixed_size 32
		.amdhsa_private_segment_fixed_size 0
		.amdhsa_kernarg_size 72
		.amdhsa_user_sgpr_count 6
		.amdhsa_user_sgpr_private_segment_buffer 1
		.amdhsa_user_sgpr_dispatch_ptr 0
		.amdhsa_user_sgpr_queue_ptr 0
		.amdhsa_user_sgpr_kernarg_segment_ptr 1
		.amdhsa_user_sgpr_dispatch_id 0
		.amdhsa_user_sgpr_flat_scratch_init 0
		.amdhsa_user_sgpr_private_segment_size 0
		.amdhsa_uses_dynamic_stack 0
		.amdhsa_system_sgpr_private_segment_wavefront_offset 0
		.amdhsa_system_sgpr_workgroup_id_x 1
		.amdhsa_system_sgpr_workgroup_id_y 0
		.amdhsa_system_sgpr_workgroup_id_z 0
		.amdhsa_system_sgpr_workgroup_info 0
		.amdhsa_system_vgpr_workitem_id 0
		.amdhsa_next_free_vgpr 12
		.amdhsa_next_free_sgpr 24
		.amdhsa_reserve_vcc 1
		.amdhsa_reserve_flat_scratch 0
		.amdhsa_float_round_mode_32 0
		.amdhsa_float_round_mode_16_64 0
		.amdhsa_float_denorm_mode_32 3
		.amdhsa_float_denorm_mode_16_64 3
		.amdhsa_dx10_clamp 1
		.amdhsa_ieee_mode 1
		.amdhsa_fp16_overflow 0
		.amdhsa_exception_fp_ieee_invalid_op 0
		.amdhsa_exception_fp_denorm_src 0
		.amdhsa_exception_fp_ieee_div_zero 0
		.amdhsa_exception_fp_ieee_overflow 0
		.amdhsa_exception_fp_ieee_underflow 0
		.amdhsa_exception_fp_ieee_inexact 0
		.amdhsa_exception_int_div_zero 0
	.end_amdhsa_kernel
	.section	.text._ZN7rocprim17ROCPRIM_400000_NS6detail17trampoline_kernelINS0_14default_configENS1_22reduce_config_selectorIiEEZNS1_11reduce_implILb1ES3_N6thrust23THRUST_200600_302600_NS11hip_rocprim35transform_pair_of_input_iterators_tIiPhSB_NS8_12not_equal_toIhEEEEPiiNS8_4plusIiEEEE10hipError_tPvRmT1_T2_T3_mT4_P12ihipStream_tbEUlT_E0_NS1_11comp_targetILNS1_3genE2ELNS1_11target_archE906ELNS1_3gpuE6ELNS1_3repE0EEENS1_30default_config_static_selectorELNS0_4arch9wavefront6targetE1EEEvSL_,"axG",@progbits,_ZN7rocprim17ROCPRIM_400000_NS6detail17trampoline_kernelINS0_14default_configENS1_22reduce_config_selectorIiEEZNS1_11reduce_implILb1ES3_N6thrust23THRUST_200600_302600_NS11hip_rocprim35transform_pair_of_input_iterators_tIiPhSB_NS8_12not_equal_toIhEEEEPiiNS8_4plusIiEEEE10hipError_tPvRmT1_T2_T3_mT4_P12ihipStream_tbEUlT_E0_NS1_11comp_targetILNS1_3genE2ELNS1_11target_archE906ELNS1_3gpuE6ELNS1_3repE0EEENS1_30default_config_static_selectorELNS0_4arch9wavefront6targetE1EEEvSL_,comdat
.Lfunc_end340:
	.size	_ZN7rocprim17ROCPRIM_400000_NS6detail17trampoline_kernelINS0_14default_configENS1_22reduce_config_selectorIiEEZNS1_11reduce_implILb1ES3_N6thrust23THRUST_200600_302600_NS11hip_rocprim35transform_pair_of_input_iterators_tIiPhSB_NS8_12not_equal_toIhEEEEPiiNS8_4plusIiEEEE10hipError_tPvRmT1_T2_T3_mT4_P12ihipStream_tbEUlT_E0_NS1_11comp_targetILNS1_3genE2ELNS1_11target_archE906ELNS1_3gpuE6ELNS1_3repE0EEENS1_30default_config_static_selectorELNS0_4arch9wavefront6targetE1EEEvSL_, .Lfunc_end340-_ZN7rocprim17ROCPRIM_400000_NS6detail17trampoline_kernelINS0_14default_configENS1_22reduce_config_selectorIiEEZNS1_11reduce_implILb1ES3_N6thrust23THRUST_200600_302600_NS11hip_rocprim35transform_pair_of_input_iterators_tIiPhSB_NS8_12not_equal_toIhEEEEPiiNS8_4plusIiEEEE10hipError_tPvRmT1_T2_T3_mT4_P12ihipStream_tbEUlT_E0_NS1_11comp_targetILNS1_3genE2ELNS1_11target_archE906ELNS1_3gpuE6ELNS1_3repE0EEENS1_30default_config_static_selectorELNS0_4arch9wavefront6targetE1EEEvSL_
                                        ; -- End function
	.set _ZN7rocprim17ROCPRIM_400000_NS6detail17trampoline_kernelINS0_14default_configENS1_22reduce_config_selectorIiEEZNS1_11reduce_implILb1ES3_N6thrust23THRUST_200600_302600_NS11hip_rocprim35transform_pair_of_input_iterators_tIiPhSB_NS8_12not_equal_toIhEEEEPiiNS8_4plusIiEEEE10hipError_tPvRmT1_T2_T3_mT4_P12ihipStream_tbEUlT_E0_NS1_11comp_targetILNS1_3genE2ELNS1_11target_archE906ELNS1_3gpuE6ELNS1_3repE0EEENS1_30default_config_static_selectorELNS0_4arch9wavefront6targetE1EEEvSL_.num_vgpr, 12
	.set _ZN7rocprim17ROCPRIM_400000_NS6detail17trampoline_kernelINS0_14default_configENS1_22reduce_config_selectorIiEEZNS1_11reduce_implILb1ES3_N6thrust23THRUST_200600_302600_NS11hip_rocprim35transform_pair_of_input_iterators_tIiPhSB_NS8_12not_equal_toIhEEEEPiiNS8_4plusIiEEEE10hipError_tPvRmT1_T2_T3_mT4_P12ihipStream_tbEUlT_E0_NS1_11comp_targetILNS1_3genE2ELNS1_11target_archE906ELNS1_3gpuE6ELNS1_3repE0EEENS1_30default_config_static_selectorELNS0_4arch9wavefront6targetE1EEEvSL_.num_agpr, 0
	.set _ZN7rocprim17ROCPRIM_400000_NS6detail17trampoline_kernelINS0_14default_configENS1_22reduce_config_selectorIiEEZNS1_11reduce_implILb1ES3_N6thrust23THRUST_200600_302600_NS11hip_rocprim35transform_pair_of_input_iterators_tIiPhSB_NS8_12not_equal_toIhEEEEPiiNS8_4plusIiEEEE10hipError_tPvRmT1_T2_T3_mT4_P12ihipStream_tbEUlT_E0_NS1_11comp_targetILNS1_3genE2ELNS1_11target_archE906ELNS1_3gpuE6ELNS1_3repE0EEENS1_30default_config_static_selectorELNS0_4arch9wavefront6targetE1EEEvSL_.numbered_sgpr, 24
	.set _ZN7rocprim17ROCPRIM_400000_NS6detail17trampoline_kernelINS0_14default_configENS1_22reduce_config_selectorIiEEZNS1_11reduce_implILb1ES3_N6thrust23THRUST_200600_302600_NS11hip_rocprim35transform_pair_of_input_iterators_tIiPhSB_NS8_12not_equal_toIhEEEEPiiNS8_4plusIiEEEE10hipError_tPvRmT1_T2_T3_mT4_P12ihipStream_tbEUlT_E0_NS1_11comp_targetILNS1_3genE2ELNS1_11target_archE906ELNS1_3gpuE6ELNS1_3repE0EEENS1_30default_config_static_selectorELNS0_4arch9wavefront6targetE1EEEvSL_.num_named_barrier, 0
	.set _ZN7rocprim17ROCPRIM_400000_NS6detail17trampoline_kernelINS0_14default_configENS1_22reduce_config_selectorIiEEZNS1_11reduce_implILb1ES3_N6thrust23THRUST_200600_302600_NS11hip_rocprim35transform_pair_of_input_iterators_tIiPhSB_NS8_12not_equal_toIhEEEEPiiNS8_4plusIiEEEE10hipError_tPvRmT1_T2_T3_mT4_P12ihipStream_tbEUlT_E0_NS1_11comp_targetILNS1_3genE2ELNS1_11target_archE906ELNS1_3gpuE6ELNS1_3repE0EEENS1_30default_config_static_selectorELNS0_4arch9wavefront6targetE1EEEvSL_.private_seg_size, 0
	.set _ZN7rocprim17ROCPRIM_400000_NS6detail17trampoline_kernelINS0_14default_configENS1_22reduce_config_selectorIiEEZNS1_11reduce_implILb1ES3_N6thrust23THRUST_200600_302600_NS11hip_rocprim35transform_pair_of_input_iterators_tIiPhSB_NS8_12not_equal_toIhEEEEPiiNS8_4plusIiEEEE10hipError_tPvRmT1_T2_T3_mT4_P12ihipStream_tbEUlT_E0_NS1_11comp_targetILNS1_3genE2ELNS1_11target_archE906ELNS1_3gpuE6ELNS1_3repE0EEENS1_30default_config_static_selectorELNS0_4arch9wavefront6targetE1EEEvSL_.uses_vcc, 1
	.set _ZN7rocprim17ROCPRIM_400000_NS6detail17trampoline_kernelINS0_14default_configENS1_22reduce_config_selectorIiEEZNS1_11reduce_implILb1ES3_N6thrust23THRUST_200600_302600_NS11hip_rocprim35transform_pair_of_input_iterators_tIiPhSB_NS8_12not_equal_toIhEEEEPiiNS8_4plusIiEEEE10hipError_tPvRmT1_T2_T3_mT4_P12ihipStream_tbEUlT_E0_NS1_11comp_targetILNS1_3genE2ELNS1_11target_archE906ELNS1_3gpuE6ELNS1_3repE0EEENS1_30default_config_static_selectorELNS0_4arch9wavefront6targetE1EEEvSL_.uses_flat_scratch, 0
	.set _ZN7rocprim17ROCPRIM_400000_NS6detail17trampoline_kernelINS0_14default_configENS1_22reduce_config_selectorIiEEZNS1_11reduce_implILb1ES3_N6thrust23THRUST_200600_302600_NS11hip_rocprim35transform_pair_of_input_iterators_tIiPhSB_NS8_12not_equal_toIhEEEEPiiNS8_4plusIiEEEE10hipError_tPvRmT1_T2_T3_mT4_P12ihipStream_tbEUlT_E0_NS1_11comp_targetILNS1_3genE2ELNS1_11target_archE906ELNS1_3gpuE6ELNS1_3repE0EEENS1_30default_config_static_selectorELNS0_4arch9wavefront6targetE1EEEvSL_.has_dyn_sized_stack, 0
	.set _ZN7rocprim17ROCPRIM_400000_NS6detail17trampoline_kernelINS0_14default_configENS1_22reduce_config_selectorIiEEZNS1_11reduce_implILb1ES3_N6thrust23THRUST_200600_302600_NS11hip_rocprim35transform_pair_of_input_iterators_tIiPhSB_NS8_12not_equal_toIhEEEEPiiNS8_4plusIiEEEE10hipError_tPvRmT1_T2_T3_mT4_P12ihipStream_tbEUlT_E0_NS1_11comp_targetILNS1_3genE2ELNS1_11target_archE906ELNS1_3gpuE6ELNS1_3repE0EEENS1_30default_config_static_selectorELNS0_4arch9wavefront6targetE1EEEvSL_.has_recursion, 0
	.set _ZN7rocprim17ROCPRIM_400000_NS6detail17trampoline_kernelINS0_14default_configENS1_22reduce_config_selectorIiEEZNS1_11reduce_implILb1ES3_N6thrust23THRUST_200600_302600_NS11hip_rocprim35transform_pair_of_input_iterators_tIiPhSB_NS8_12not_equal_toIhEEEEPiiNS8_4plusIiEEEE10hipError_tPvRmT1_T2_T3_mT4_P12ihipStream_tbEUlT_E0_NS1_11comp_targetILNS1_3genE2ELNS1_11target_archE906ELNS1_3gpuE6ELNS1_3repE0EEENS1_30default_config_static_selectorELNS0_4arch9wavefront6targetE1EEEvSL_.has_indirect_call, 0
	.section	.AMDGPU.csdata,"",@progbits
; Kernel info:
; codeLenInByte = 1340
; TotalNumSgprs: 28
; NumVgprs: 12
; ScratchSize: 0
; MemoryBound: 0
; FloatMode: 240
; IeeeMode: 1
; LDSByteSize: 32 bytes/workgroup (compile time only)
; SGPRBlocks: 3
; VGPRBlocks: 2
; NumSGPRsForWavesPerEU: 28
; NumVGPRsForWavesPerEU: 12
; Occupancy: 10
; WaveLimiterHint : 0
; COMPUTE_PGM_RSRC2:SCRATCH_EN: 0
; COMPUTE_PGM_RSRC2:USER_SGPR: 6
; COMPUTE_PGM_RSRC2:TRAP_HANDLER: 0
; COMPUTE_PGM_RSRC2:TGID_X_EN: 1
; COMPUTE_PGM_RSRC2:TGID_Y_EN: 0
; COMPUTE_PGM_RSRC2:TGID_Z_EN: 0
; COMPUTE_PGM_RSRC2:TIDIG_COMP_CNT: 0
	.section	.text._ZN7rocprim17ROCPRIM_400000_NS6detail17trampoline_kernelINS0_14default_configENS1_22reduce_config_selectorIiEEZNS1_11reduce_implILb1ES3_N6thrust23THRUST_200600_302600_NS11hip_rocprim35transform_pair_of_input_iterators_tIiPhSB_NS8_12not_equal_toIhEEEEPiiNS8_4plusIiEEEE10hipError_tPvRmT1_T2_T3_mT4_P12ihipStream_tbEUlT_E0_NS1_11comp_targetILNS1_3genE10ELNS1_11target_archE1201ELNS1_3gpuE5ELNS1_3repE0EEENS1_30default_config_static_selectorELNS0_4arch9wavefront6targetE1EEEvSL_,"axG",@progbits,_ZN7rocprim17ROCPRIM_400000_NS6detail17trampoline_kernelINS0_14default_configENS1_22reduce_config_selectorIiEEZNS1_11reduce_implILb1ES3_N6thrust23THRUST_200600_302600_NS11hip_rocprim35transform_pair_of_input_iterators_tIiPhSB_NS8_12not_equal_toIhEEEEPiiNS8_4plusIiEEEE10hipError_tPvRmT1_T2_T3_mT4_P12ihipStream_tbEUlT_E0_NS1_11comp_targetILNS1_3genE10ELNS1_11target_archE1201ELNS1_3gpuE5ELNS1_3repE0EEENS1_30default_config_static_selectorELNS0_4arch9wavefront6targetE1EEEvSL_,comdat
	.protected	_ZN7rocprim17ROCPRIM_400000_NS6detail17trampoline_kernelINS0_14default_configENS1_22reduce_config_selectorIiEEZNS1_11reduce_implILb1ES3_N6thrust23THRUST_200600_302600_NS11hip_rocprim35transform_pair_of_input_iterators_tIiPhSB_NS8_12not_equal_toIhEEEEPiiNS8_4plusIiEEEE10hipError_tPvRmT1_T2_T3_mT4_P12ihipStream_tbEUlT_E0_NS1_11comp_targetILNS1_3genE10ELNS1_11target_archE1201ELNS1_3gpuE5ELNS1_3repE0EEENS1_30default_config_static_selectorELNS0_4arch9wavefront6targetE1EEEvSL_ ; -- Begin function _ZN7rocprim17ROCPRIM_400000_NS6detail17trampoline_kernelINS0_14default_configENS1_22reduce_config_selectorIiEEZNS1_11reduce_implILb1ES3_N6thrust23THRUST_200600_302600_NS11hip_rocprim35transform_pair_of_input_iterators_tIiPhSB_NS8_12not_equal_toIhEEEEPiiNS8_4plusIiEEEE10hipError_tPvRmT1_T2_T3_mT4_P12ihipStream_tbEUlT_E0_NS1_11comp_targetILNS1_3genE10ELNS1_11target_archE1201ELNS1_3gpuE5ELNS1_3repE0EEENS1_30default_config_static_selectorELNS0_4arch9wavefront6targetE1EEEvSL_
	.globl	_ZN7rocprim17ROCPRIM_400000_NS6detail17trampoline_kernelINS0_14default_configENS1_22reduce_config_selectorIiEEZNS1_11reduce_implILb1ES3_N6thrust23THRUST_200600_302600_NS11hip_rocprim35transform_pair_of_input_iterators_tIiPhSB_NS8_12not_equal_toIhEEEEPiiNS8_4plusIiEEEE10hipError_tPvRmT1_T2_T3_mT4_P12ihipStream_tbEUlT_E0_NS1_11comp_targetILNS1_3genE10ELNS1_11target_archE1201ELNS1_3gpuE5ELNS1_3repE0EEENS1_30default_config_static_selectorELNS0_4arch9wavefront6targetE1EEEvSL_
	.p2align	8
	.type	_ZN7rocprim17ROCPRIM_400000_NS6detail17trampoline_kernelINS0_14default_configENS1_22reduce_config_selectorIiEEZNS1_11reduce_implILb1ES3_N6thrust23THRUST_200600_302600_NS11hip_rocprim35transform_pair_of_input_iterators_tIiPhSB_NS8_12not_equal_toIhEEEEPiiNS8_4plusIiEEEE10hipError_tPvRmT1_T2_T3_mT4_P12ihipStream_tbEUlT_E0_NS1_11comp_targetILNS1_3genE10ELNS1_11target_archE1201ELNS1_3gpuE5ELNS1_3repE0EEENS1_30default_config_static_selectorELNS0_4arch9wavefront6targetE1EEEvSL_,@function
_ZN7rocprim17ROCPRIM_400000_NS6detail17trampoline_kernelINS0_14default_configENS1_22reduce_config_selectorIiEEZNS1_11reduce_implILb1ES3_N6thrust23THRUST_200600_302600_NS11hip_rocprim35transform_pair_of_input_iterators_tIiPhSB_NS8_12not_equal_toIhEEEEPiiNS8_4plusIiEEEE10hipError_tPvRmT1_T2_T3_mT4_P12ihipStream_tbEUlT_E0_NS1_11comp_targetILNS1_3genE10ELNS1_11target_archE1201ELNS1_3gpuE5ELNS1_3repE0EEENS1_30default_config_static_selectorELNS0_4arch9wavefront6targetE1EEEvSL_: ; @_ZN7rocprim17ROCPRIM_400000_NS6detail17trampoline_kernelINS0_14default_configENS1_22reduce_config_selectorIiEEZNS1_11reduce_implILb1ES3_N6thrust23THRUST_200600_302600_NS11hip_rocprim35transform_pair_of_input_iterators_tIiPhSB_NS8_12not_equal_toIhEEEEPiiNS8_4plusIiEEEE10hipError_tPvRmT1_T2_T3_mT4_P12ihipStream_tbEUlT_E0_NS1_11comp_targetILNS1_3genE10ELNS1_11target_archE1201ELNS1_3gpuE5ELNS1_3repE0EEENS1_30default_config_static_selectorELNS0_4arch9wavefront6targetE1EEEvSL_
; %bb.0:
	.section	.rodata,"a",@progbits
	.p2align	6, 0x0
	.amdhsa_kernel _ZN7rocprim17ROCPRIM_400000_NS6detail17trampoline_kernelINS0_14default_configENS1_22reduce_config_selectorIiEEZNS1_11reduce_implILb1ES3_N6thrust23THRUST_200600_302600_NS11hip_rocprim35transform_pair_of_input_iterators_tIiPhSB_NS8_12not_equal_toIhEEEEPiiNS8_4plusIiEEEE10hipError_tPvRmT1_T2_T3_mT4_P12ihipStream_tbEUlT_E0_NS1_11comp_targetILNS1_3genE10ELNS1_11target_archE1201ELNS1_3gpuE5ELNS1_3repE0EEENS1_30default_config_static_selectorELNS0_4arch9wavefront6targetE1EEEvSL_
		.amdhsa_group_segment_fixed_size 0
		.amdhsa_private_segment_fixed_size 0
		.amdhsa_kernarg_size 72
		.amdhsa_user_sgpr_count 6
		.amdhsa_user_sgpr_private_segment_buffer 1
		.amdhsa_user_sgpr_dispatch_ptr 0
		.amdhsa_user_sgpr_queue_ptr 0
		.amdhsa_user_sgpr_kernarg_segment_ptr 1
		.amdhsa_user_sgpr_dispatch_id 0
		.amdhsa_user_sgpr_flat_scratch_init 0
		.amdhsa_user_sgpr_private_segment_size 0
		.amdhsa_uses_dynamic_stack 0
		.amdhsa_system_sgpr_private_segment_wavefront_offset 0
		.amdhsa_system_sgpr_workgroup_id_x 1
		.amdhsa_system_sgpr_workgroup_id_y 0
		.amdhsa_system_sgpr_workgroup_id_z 0
		.amdhsa_system_sgpr_workgroup_info 0
		.amdhsa_system_vgpr_workitem_id 0
		.amdhsa_next_free_vgpr 1
		.amdhsa_next_free_sgpr 0
		.amdhsa_reserve_vcc 0
		.amdhsa_reserve_flat_scratch 0
		.amdhsa_float_round_mode_32 0
		.amdhsa_float_round_mode_16_64 0
		.amdhsa_float_denorm_mode_32 3
		.amdhsa_float_denorm_mode_16_64 3
		.amdhsa_dx10_clamp 1
		.amdhsa_ieee_mode 1
		.amdhsa_fp16_overflow 0
		.amdhsa_exception_fp_ieee_invalid_op 0
		.amdhsa_exception_fp_denorm_src 0
		.amdhsa_exception_fp_ieee_div_zero 0
		.amdhsa_exception_fp_ieee_overflow 0
		.amdhsa_exception_fp_ieee_underflow 0
		.amdhsa_exception_fp_ieee_inexact 0
		.amdhsa_exception_int_div_zero 0
	.end_amdhsa_kernel
	.section	.text._ZN7rocprim17ROCPRIM_400000_NS6detail17trampoline_kernelINS0_14default_configENS1_22reduce_config_selectorIiEEZNS1_11reduce_implILb1ES3_N6thrust23THRUST_200600_302600_NS11hip_rocprim35transform_pair_of_input_iterators_tIiPhSB_NS8_12not_equal_toIhEEEEPiiNS8_4plusIiEEEE10hipError_tPvRmT1_T2_T3_mT4_P12ihipStream_tbEUlT_E0_NS1_11comp_targetILNS1_3genE10ELNS1_11target_archE1201ELNS1_3gpuE5ELNS1_3repE0EEENS1_30default_config_static_selectorELNS0_4arch9wavefront6targetE1EEEvSL_,"axG",@progbits,_ZN7rocprim17ROCPRIM_400000_NS6detail17trampoline_kernelINS0_14default_configENS1_22reduce_config_selectorIiEEZNS1_11reduce_implILb1ES3_N6thrust23THRUST_200600_302600_NS11hip_rocprim35transform_pair_of_input_iterators_tIiPhSB_NS8_12not_equal_toIhEEEEPiiNS8_4plusIiEEEE10hipError_tPvRmT1_T2_T3_mT4_P12ihipStream_tbEUlT_E0_NS1_11comp_targetILNS1_3genE10ELNS1_11target_archE1201ELNS1_3gpuE5ELNS1_3repE0EEENS1_30default_config_static_selectorELNS0_4arch9wavefront6targetE1EEEvSL_,comdat
.Lfunc_end341:
	.size	_ZN7rocprim17ROCPRIM_400000_NS6detail17trampoline_kernelINS0_14default_configENS1_22reduce_config_selectorIiEEZNS1_11reduce_implILb1ES3_N6thrust23THRUST_200600_302600_NS11hip_rocprim35transform_pair_of_input_iterators_tIiPhSB_NS8_12not_equal_toIhEEEEPiiNS8_4plusIiEEEE10hipError_tPvRmT1_T2_T3_mT4_P12ihipStream_tbEUlT_E0_NS1_11comp_targetILNS1_3genE10ELNS1_11target_archE1201ELNS1_3gpuE5ELNS1_3repE0EEENS1_30default_config_static_selectorELNS0_4arch9wavefront6targetE1EEEvSL_, .Lfunc_end341-_ZN7rocprim17ROCPRIM_400000_NS6detail17trampoline_kernelINS0_14default_configENS1_22reduce_config_selectorIiEEZNS1_11reduce_implILb1ES3_N6thrust23THRUST_200600_302600_NS11hip_rocprim35transform_pair_of_input_iterators_tIiPhSB_NS8_12not_equal_toIhEEEEPiiNS8_4plusIiEEEE10hipError_tPvRmT1_T2_T3_mT4_P12ihipStream_tbEUlT_E0_NS1_11comp_targetILNS1_3genE10ELNS1_11target_archE1201ELNS1_3gpuE5ELNS1_3repE0EEENS1_30default_config_static_selectorELNS0_4arch9wavefront6targetE1EEEvSL_
                                        ; -- End function
	.set _ZN7rocprim17ROCPRIM_400000_NS6detail17trampoline_kernelINS0_14default_configENS1_22reduce_config_selectorIiEEZNS1_11reduce_implILb1ES3_N6thrust23THRUST_200600_302600_NS11hip_rocprim35transform_pair_of_input_iterators_tIiPhSB_NS8_12not_equal_toIhEEEEPiiNS8_4plusIiEEEE10hipError_tPvRmT1_T2_T3_mT4_P12ihipStream_tbEUlT_E0_NS1_11comp_targetILNS1_3genE10ELNS1_11target_archE1201ELNS1_3gpuE5ELNS1_3repE0EEENS1_30default_config_static_selectorELNS0_4arch9wavefront6targetE1EEEvSL_.num_vgpr, 0
	.set _ZN7rocprim17ROCPRIM_400000_NS6detail17trampoline_kernelINS0_14default_configENS1_22reduce_config_selectorIiEEZNS1_11reduce_implILb1ES3_N6thrust23THRUST_200600_302600_NS11hip_rocprim35transform_pair_of_input_iterators_tIiPhSB_NS8_12not_equal_toIhEEEEPiiNS8_4plusIiEEEE10hipError_tPvRmT1_T2_T3_mT4_P12ihipStream_tbEUlT_E0_NS1_11comp_targetILNS1_3genE10ELNS1_11target_archE1201ELNS1_3gpuE5ELNS1_3repE0EEENS1_30default_config_static_selectorELNS0_4arch9wavefront6targetE1EEEvSL_.num_agpr, 0
	.set _ZN7rocprim17ROCPRIM_400000_NS6detail17trampoline_kernelINS0_14default_configENS1_22reduce_config_selectorIiEEZNS1_11reduce_implILb1ES3_N6thrust23THRUST_200600_302600_NS11hip_rocprim35transform_pair_of_input_iterators_tIiPhSB_NS8_12not_equal_toIhEEEEPiiNS8_4plusIiEEEE10hipError_tPvRmT1_T2_T3_mT4_P12ihipStream_tbEUlT_E0_NS1_11comp_targetILNS1_3genE10ELNS1_11target_archE1201ELNS1_3gpuE5ELNS1_3repE0EEENS1_30default_config_static_selectorELNS0_4arch9wavefront6targetE1EEEvSL_.numbered_sgpr, 0
	.set _ZN7rocprim17ROCPRIM_400000_NS6detail17trampoline_kernelINS0_14default_configENS1_22reduce_config_selectorIiEEZNS1_11reduce_implILb1ES3_N6thrust23THRUST_200600_302600_NS11hip_rocprim35transform_pair_of_input_iterators_tIiPhSB_NS8_12not_equal_toIhEEEEPiiNS8_4plusIiEEEE10hipError_tPvRmT1_T2_T3_mT4_P12ihipStream_tbEUlT_E0_NS1_11comp_targetILNS1_3genE10ELNS1_11target_archE1201ELNS1_3gpuE5ELNS1_3repE0EEENS1_30default_config_static_selectorELNS0_4arch9wavefront6targetE1EEEvSL_.num_named_barrier, 0
	.set _ZN7rocprim17ROCPRIM_400000_NS6detail17trampoline_kernelINS0_14default_configENS1_22reduce_config_selectorIiEEZNS1_11reduce_implILb1ES3_N6thrust23THRUST_200600_302600_NS11hip_rocprim35transform_pair_of_input_iterators_tIiPhSB_NS8_12not_equal_toIhEEEEPiiNS8_4plusIiEEEE10hipError_tPvRmT1_T2_T3_mT4_P12ihipStream_tbEUlT_E0_NS1_11comp_targetILNS1_3genE10ELNS1_11target_archE1201ELNS1_3gpuE5ELNS1_3repE0EEENS1_30default_config_static_selectorELNS0_4arch9wavefront6targetE1EEEvSL_.private_seg_size, 0
	.set _ZN7rocprim17ROCPRIM_400000_NS6detail17trampoline_kernelINS0_14default_configENS1_22reduce_config_selectorIiEEZNS1_11reduce_implILb1ES3_N6thrust23THRUST_200600_302600_NS11hip_rocprim35transform_pair_of_input_iterators_tIiPhSB_NS8_12not_equal_toIhEEEEPiiNS8_4plusIiEEEE10hipError_tPvRmT1_T2_T3_mT4_P12ihipStream_tbEUlT_E0_NS1_11comp_targetILNS1_3genE10ELNS1_11target_archE1201ELNS1_3gpuE5ELNS1_3repE0EEENS1_30default_config_static_selectorELNS0_4arch9wavefront6targetE1EEEvSL_.uses_vcc, 0
	.set _ZN7rocprim17ROCPRIM_400000_NS6detail17trampoline_kernelINS0_14default_configENS1_22reduce_config_selectorIiEEZNS1_11reduce_implILb1ES3_N6thrust23THRUST_200600_302600_NS11hip_rocprim35transform_pair_of_input_iterators_tIiPhSB_NS8_12not_equal_toIhEEEEPiiNS8_4plusIiEEEE10hipError_tPvRmT1_T2_T3_mT4_P12ihipStream_tbEUlT_E0_NS1_11comp_targetILNS1_3genE10ELNS1_11target_archE1201ELNS1_3gpuE5ELNS1_3repE0EEENS1_30default_config_static_selectorELNS0_4arch9wavefront6targetE1EEEvSL_.uses_flat_scratch, 0
	.set _ZN7rocprim17ROCPRIM_400000_NS6detail17trampoline_kernelINS0_14default_configENS1_22reduce_config_selectorIiEEZNS1_11reduce_implILb1ES3_N6thrust23THRUST_200600_302600_NS11hip_rocprim35transform_pair_of_input_iterators_tIiPhSB_NS8_12not_equal_toIhEEEEPiiNS8_4plusIiEEEE10hipError_tPvRmT1_T2_T3_mT4_P12ihipStream_tbEUlT_E0_NS1_11comp_targetILNS1_3genE10ELNS1_11target_archE1201ELNS1_3gpuE5ELNS1_3repE0EEENS1_30default_config_static_selectorELNS0_4arch9wavefront6targetE1EEEvSL_.has_dyn_sized_stack, 0
	.set _ZN7rocprim17ROCPRIM_400000_NS6detail17trampoline_kernelINS0_14default_configENS1_22reduce_config_selectorIiEEZNS1_11reduce_implILb1ES3_N6thrust23THRUST_200600_302600_NS11hip_rocprim35transform_pair_of_input_iterators_tIiPhSB_NS8_12not_equal_toIhEEEEPiiNS8_4plusIiEEEE10hipError_tPvRmT1_T2_T3_mT4_P12ihipStream_tbEUlT_E0_NS1_11comp_targetILNS1_3genE10ELNS1_11target_archE1201ELNS1_3gpuE5ELNS1_3repE0EEENS1_30default_config_static_selectorELNS0_4arch9wavefront6targetE1EEEvSL_.has_recursion, 0
	.set _ZN7rocprim17ROCPRIM_400000_NS6detail17trampoline_kernelINS0_14default_configENS1_22reduce_config_selectorIiEEZNS1_11reduce_implILb1ES3_N6thrust23THRUST_200600_302600_NS11hip_rocprim35transform_pair_of_input_iterators_tIiPhSB_NS8_12not_equal_toIhEEEEPiiNS8_4plusIiEEEE10hipError_tPvRmT1_T2_T3_mT4_P12ihipStream_tbEUlT_E0_NS1_11comp_targetILNS1_3genE10ELNS1_11target_archE1201ELNS1_3gpuE5ELNS1_3repE0EEENS1_30default_config_static_selectorELNS0_4arch9wavefront6targetE1EEEvSL_.has_indirect_call, 0
	.section	.AMDGPU.csdata,"",@progbits
; Kernel info:
; codeLenInByte = 0
; TotalNumSgprs: 4
; NumVgprs: 0
; ScratchSize: 0
; MemoryBound: 0
; FloatMode: 240
; IeeeMode: 1
; LDSByteSize: 0 bytes/workgroup (compile time only)
; SGPRBlocks: 0
; VGPRBlocks: 0
; NumSGPRsForWavesPerEU: 4
; NumVGPRsForWavesPerEU: 1
; Occupancy: 10
; WaveLimiterHint : 0
; COMPUTE_PGM_RSRC2:SCRATCH_EN: 0
; COMPUTE_PGM_RSRC2:USER_SGPR: 6
; COMPUTE_PGM_RSRC2:TRAP_HANDLER: 0
; COMPUTE_PGM_RSRC2:TGID_X_EN: 1
; COMPUTE_PGM_RSRC2:TGID_Y_EN: 0
; COMPUTE_PGM_RSRC2:TGID_Z_EN: 0
; COMPUTE_PGM_RSRC2:TIDIG_COMP_CNT: 0
	.section	.text._ZN7rocprim17ROCPRIM_400000_NS6detail17trampoline_kernelINS0_14default_configENS1_22reduce_config_selectorIiEEZNS1_11reduce_implILb1ES3_N6thrust23THRUST_200600_302600_NS11hip_rocprim35transform_pair_of_input_iterators_tIiPhSB_NS8_12not_equal_toIhEEEEPiiNS8_4plusIiEEEE10hipError_tPvRmT1_T2_T3_mT4_P12ihipStream_tbEUlT_E0_NS1_11comp_targetILNS1_3genE10ELNS1_11target_archE1200ELNS1_3gpuE4ELNS1_3repE0EEENS1_30default_config_static_selectorELNS0_4arch9wavefront6targetE1EEEvSL_,"axG",@progbits,_ZN7rocprim17ROCPRIM_400000_NS6detail17trampoline_kernelINS0_14default_configENS1_22reduce_config_selectorIiEEZNS1_11reduce_implILb1ES3_N6thrust23THRUST_200600_302600_NS11hip_rocprim35transform_pair_of_input_iterators_tIiPhSB_NS8_12not_equal_toIhEEEEPiiNS8_4plusIiEEEE10hipError_tPvRmT1_T2_T3_mT4_P12ihipStream_tbEUlT_E0_NS1_11comp_targetILNS1_3genE10ELNS1_11target_archE1200ELNS1_3gpuE4ELNS1_3repE0EEENS1_30default_config_static_selectorELNS0_4arch9wavefront6targetE1EEEvSL_,comdat
	.protected	_ZN7rocprim17ROCPRIM_400000_NS6detail17trampoline_kernelINS0_14default_configENS1_22reduce_config_selectorIiEEZNS1_11reduce_implILb1ES3_N6thrust23THRUST_200600_302600_NS11hip_rocprim35transform_pair_of_input_iterators_tIiPhSB_NS8_12not_equal_toIhEEEEPiiNS8_4plusIiEEEE10hipError_tPvRmT1_T2_T3_mT4_P12ihipStream_tbEUlT_E0_NS1_11comp_targetILNS1_3genE10ELNS1_11target_archE1200ELNS1_3gpuE4ELNS1_3repE0EEENS1_30default_config_static_selectorELNS0_4arch9wavefront6targetE1EEEvSL_ ; -- Begin function _ZN7rocprim17ROCPRIM_400000_NS6detail17trampoline_kernelINS0_14default_configENS1_22reduce_config_selectorIiEEZNS1_11reduce_implILb1ES3_N6thrust23THRUST_200600_302600_NS11hip_rocprim35transform_pair_of_input_iterators_tIiPhSB_NS8_12not_equal_toIhEEEEPiiNS8_4plusIiEEEE10hipError_tPvRmT1_T2_T3_mT4_P12ihipStream_tbEUlT_E0_NS1_11comp_targetILNS1_3genE10ELNS1_11target_archE1200ELNS1_3gpuE4ELNS1_3repE0EEENS1_30default_config_static_selectorELNS0_4arch9wavefront6targetE1EEEvSL_
	.globl	_ZN7rocprim17ROCPRIM_400000_NS6detail17trampoline_kernelINS0_14default_configENS1_22reduce_config_selectorIiEEZNS1_11reduce_implILb1ES3_N6thrust23THRUST_200600_302600_NS11hip_rocprim35transform_pair_of_input_iterators_tIiPhSB_NS8_12not_equal_toIhEEEEPiiNS8_4plusIiEEEE10hipError_tPvRmT1_T2_T3_mT4_P12ihipStream_tbEUlT_E0_NS1_11comp_targetILNS1_3genE10ELNS1_11target_archE1200ELNS1_3gpuE4ELNS1_3repE0EEENS1_30default_config_static_selectorELNS0_4arch9wavefront6targetE1EEEvSL_
	.p2align	8
	.type	_ZN7rocprim17ROCPRIM_400000_NS6detail17trampoline_kernelINS0_14default_configENS1_22reduce_config_selectorIiEEZNS1_11reduce_implILb1ES3_N6thrust23THRUST_200600_302600_NS11hip_rocprim35transform_pair_of_input_iterators_tIiPhSB_NS8_12not_equal_toIhEEEEPiiNS8_4plusIiEEEE10hipError_tPvRmT1_T2_T3_mT4_P12ihipStream_tbEUlT_E0_NS1_11comp_targetILNS1_3genE10ELNS1_11target_archE1200ELNS1_3gpuE4ELNS1_3repE0EEENS1_30default_config_static_selectorELNS0_4arch9wavefront6targetE1EEEvSL_,@function
_ZN7rocprim17ROCPRIM_400000_NS6detail17trampoline_kernelINS0_14default_configENS1_22reduce_config_selectorIiEEZNS1_11reduce_implILb1ES3_N6thrust23THRUST_200600_302600_NS11hip_rocprim35transform_pair_of_input_iterators_tIiPhSB_NS8_12not_equal_toIhEEEEPiiNS8_4plusIiEEEE10hipError_tPvRmT1_T2_T3_mT4_P12ihipStream_tbEUlT_E0_NS1_11comp_targetILNS1_3genE10ELNS1_11target_archE1200ELNS1_3gpuE4ELNS1_3repE0EEENS1_30default_config_static_selectorELNS0_4arch9wavefront6targetE1EEEvSL_: ; @_ZN7rocprim17ROCPRIM_400000_NS6detail17trampoline_kernelINS0_14default_configENS1_22reduce_config_selectorIiEEZNS1_11reduce_implILb1ES3_N6thrust23THRUST_200600_302600_NS11hip_rocprim35transform_pair_of_input_iterators_tIiPhSB_NS8_12not_equal_toIhEEEEPiiNS8_4plusIiEEEE10hipError_tPvRmT1_T2_T3_mT4_P12ihipStream_tbEUlT_E0_NS1_11comp_targetILNS1_3genE10ELNS1_11target_archE1200ELNS1_3gpuE4ELNS1_3repE0EEENS1_30default_config_static_selectorELNS0_4arch9wavefront6targetE1EEEvSL_
; %bb.0:
	.section	.rodata,"a",@progbits
	.p2align	6, 0x0
	.amdhsa_kernel _ZN7rocprim17ROCPRIM_400000_NS6detail17trampoline_kernelINS0_14default_configENS1_22reduce_config_selectorIiEEZNS1_11reduce_implILb1ES3_N6thrust23THRUST_200600_302600_NS11hip_rocprim35transform_pair_of_input_iterators_tIiPhSB_NS8_12not_equal_toIhEEEEPiiNS8_4plusIiEEEE10hipError_tPvRmT1_T2_T3_mT4_P12ihipStream_tbEUlT_E0_NS1_11comp_targetILNS1_3genE10ELNS1_11target_archE1200ELNS1_3gpuE4ELNS1_3repE0EEENS1_30default_config_static_selectorELNS0_4arch9wavefront6targetE1EEEvSL_
		.amdhsa_group_segment_fixed_size 0
		.amdhsa_private_segment_fixed_size 0
		.amdhsa_kernarg_size 72
		.amdhsa_user_sgpr_count 6
		.amdhsa_user_sgpr_private_segment_buffer 1
		.amdhsa_user_sgpr_dispatch_ptr 0
		.amdhsa_user_sgpr_queue_ptr 0
		.amdhsa_user_sgpr_kernarg_segment_ptr 1
		.amdhsa_user_sgpr_dispatch_id 0
		.amdhsa_user_sgpr_flat_scratch_init 0
		.amdhsa_user_sgpr_private_segment_size 0
		.amdhsa_uses_dynamic_stack 0
		.amdhsa_system_sgpr_private_segment_wavefront_offset 0
		.amdhsa_system_sgpr_workgroup_id_x 1
		.amdhsa_system_sgpr_workgroup_id_y 0
		.amdhsa_system_sgpr_workgroup_id_z 0
		.amdhsa_system_sgpr_workgroup_info 0
		.amdhsa_system_vgpr_workitem_id 0
		.amdhsa_next_free_vgpr 1
		.amdhsa_next_free_sgpr 0
		.amdhsa_reserve_vcc 0
		.amdhsa_reserve_flat_scratch 0
		.amdhsa_float_round_mode_32 0
		.amdhsa_float_round_mode_16_64 0
		.amdhsa_float_denorm_mode_32 3
		.amdhsa_float_denorm_mode_16_64 3
		.amdhsa_dx10_clamp 1
		.amdhsa_ieee_mode 1
		.amdhsa_fp16_overflow 0
		.amdhsa_exception_fp_ieee_invalid_op 0
		.amdhsa_exception_fp_denorm_src 0
		.amdhsa_exception_fp_ieee_div_zero 0
		.amdhsa_exception_fp_ieee_overflow 0
		.amdhsa_exception_fp_ieee_underflow 0
		.amdhsa_exception_fp_ieee_inexact 0
		.amdhsa_exception_int_div_zero 0
	.end_amdhsa_kernel
	.section	.text._ZN7rocprim17ROCPRIM_400000_NS6detail17trampoline_kernelINS0_14default_configENS1_22reduce_config_selectorIiEEZNS1_11reduce_implILb1ES3_N6thrust23THRUST_200600_302600_NS11hip_rocprim35transform_pair_of_input_iterators_tIiPhSB_NS8_12not_equal_toIhEEEEPiiNS8_4plusIiEEEE10hipError_tPvRmT1_T2_T3_mT4_P12ihipStream_tbEUlT_E0_NS1_11comp_targetILNS1_3genE10ELNS1_11target_archE1200ELNS1_3gpuE4ELNS1_3repE0EEENS1_30default_config_static_selectorELNS0_4arch9wavefront6targetE1EEEvSL_,"axG",@progbits,_ZN7rocprim17ROCPRIM_400000_NS6detail17trampoline_kernelINS0_14default_configENS1_22reduce_config_selectorIiEEZNS1_11reduce_implILb1ES3_N6thrust23THRUST_200600_302600_NS11hip_rocprim35transform_pair_of_input_iterators_tIiPhSB_NS8_12not_equal_toIhEEEEPiiNS8_4plusIiEEEE10hipError_tPvRmT1_T2_T3_mT4_P12ihipStream_tbEUlT_E0_NS1_11comp_targetILNS1_3genE10ELNS1_11target_archE1200ELNS1_3gpuE4ELNS1_3repE0EEENS1_30default_config_static_selectorELNS0_4arch9wavefront6targetE1EEEvSL_,comdat
.Lfunc_end342:
	.size	_ZN7rocprim17ROCPRIM_400000_NS6detail17trampoline_kernelINS0_14default_configENS1_22reduce_config_selectorIiEEZNS1_11reduce_implILb1ES3_N6thrust23THRUST_200600_302600_NS11hip_rocprim35transform_pair_of_input_iterators_tIiPhSB_NS8_12not_equal_toIhEEEEPiiNS8_4plusIiEEEE10hipError_tPvRmT1_T2_T3_mT4_P12ihipStream_tbEUlT_E0_NS1_11comp_targetILNS1_3genE10ELNS1_11target_archE1200ELNS1_3gpuE4ELNS1_3repE0EEENS1_30default_config_static_selectorELNS0_4arch9wavefront6targetE1EEEvSL_, .Lfunc_end342-_ZN7rocprim17ROCPRIM_400000_NS6detail17trampoline_kernelINS0_14default_configENS1_22reduce_config_selectorIiEEZNS1_11reduce_implILb1ES3_N6thrust23THRUST_200600_302600_NS11hip_rocprim35transform_pair_of_input_iterators_tIiPhSB_NS8_12not_equal_toIhEEEEPiiNS8_4plusIiEEEE10hipError_tPvRmT1_T2_T3_mT4_P12ihipStream_tbEUlT_E0_NS1_11comp_targetILNS1_3genE10ELNS1_11target_archE1200ELNS1_3gpuE4ELNS1_3repE0EEENS1_30default_config_static_selectorELNS0_4arch9wavefront6targetE1EEEvSL_
                                        ; -- End function
	.set _ZN7rocprim17ROCPRIM_400000_NS6detail17trampoline_kernelINS0_14default_configENS1_22reduce_config_selectorIiEEZNS1_11reduce_implILb1ES3_N6thrust23THRUST_200600_302600_NS11hip_rocprim35transform_pair_of_input_iterators_tIiPhSB_NS8_12not_equal_toIhEEEEPiiNS8_4plusIiEEEE10hipError_tPvRmT1_T2_T3_mT4_P12ihipStream_tbEUlT_E0_NS1_11comp_targetILNS1_3genE10ELNS1_11target_archE1200ELNS1_3gpuE4ELNS1_3repE0EEENS1_30default_config_static_selectorELNS0_4arch9wavefront6targetE1EEEvSL_.num_vgpr, 0
	.set _ZN7rocprim17ROCPRIM_400000_NS6detail17trampoline_kernelINS0_14default_configENS1_22reduce_config_selectorIiEEZNS1_11reduce_implILb1ES3_N6thrust23THRUST_200600_302600_NS11hip_rocprim35transform_pair_of_input_iterators_tIiPhSB_NS8_12not_equal_toIhEEEEPiiNS8_4plusIiEEEE10hipError_tPvRmT1_T2_T3_mT4_P12ihipStream_tbEUlT_E0_NS1_11comp_targetILNS1_3genE10ELNS1_11target_archE1200ELNS1_3gpuE4ELNS1_3repE0EEENS1_30default_config_static_selectorELNS0_4arch9wavefront6targetE1EEEvSL_.num_agpr, 0
	.set _ZN7rocprim17ROCPRIM_400000_NS6detail17trampoline_kernelINS0_14default_configENS1_22reduce_config_selectorIiEEZNS1_11reduce_implILb1ES3_N6thrust23THRUST_200600_302600_NS11hip_rocprim35transform_pair_of_input_iterators_tIiPhSB_NS8_12not_equal_toIhEEEEPiiNS8_4plusIiEEEE10hipError_tPvRmT1_T2_T3_mT4_P12ihipStream_tbEUlT_E0_NS1_11comp_targetILNS1_3genE10ELNS1_11target_archE1200ELNS1_3gpuE4ELNS1_3repE0EEENS1_30default_config_static_selectorELNS0_4arch9wavefront6targetE1EEEvSL_.numbered_sgpr, 0
	.set _ZN7rocprim17ROCPRIM_400000_NS6detail17trampoline_kernelINS0_14default_configENS1_22reduce_config_selectorIiEEZNS1_11reduce_implILb1ES3_N6thrust23THRUST_200600_302600_NS11hip_rocprim35transform_pair_of_input_iterators_tIiPhSB_NS8_12not_equal_toIhEEEEPiiNS8_4plusIiEEEE10hipError_tPvRmT1_T2_T3_mT4_P12ihipStream_tbEUlT_E0_NS1_11comp_targetILNS1_3genE10ELNS1_11target_archE1200ELNS1_3gpuE4ELNS1_3repE0EEENS1_30default_config_static_selectorELNS0_4arch9wavefront6targetE1EEEvSL_.num_named_barrier, 0
	.set _ZN7rocprim17ROCPRIM_400000_NS6detail17trampoline_kernelINS0_14default_configENS1_22reduce_config_selectorIiEEZNS1_11reduce_implILb1ES3_N6thrust23THRUST_200600_302600_NS11hip_rocprim35transform_pair_of_input_iterators_tIiPhSB_NS8_12not_equal_toIhEEEEPiiNS8_4plusIiEEEE10hipError_tPvRmT1_T2_T3_mT4_P12ihipStream_tbEUlT_E0_NS1_11comp_targetILNS1_3genE10ELNS1_11target_archE1200ELNS1_3gpuE4ELNS1_3repE0EEENS1_30default_config_static_selectorELNS0_4arch9wavefront6targetE1EEEvSL_.private_seg_size, 0
	.set _ZN7rocprim17ROCPRIM_400000_NS6detail17trampoline_kernelINS0_14default_configENS1_22reduce_config_selectorIiEEZNS1_11reduce_implILb1ES3_N6thrust23THRUST_200600_302600_NS11hip_rocprim35transform_pair_of_input_iterators_tIiPhSB_NS8_12not_equal_toIhEEEEPiiNS8_4plusIiEEEE10hipError_tPvRmT1_T2_T3_mT4_P12ihipStream_tbEUlT_E0_NS1_11comp_targetILNS1_3genE10ELNS1_11target_archE1200ELNS1_3gpuE4ELNS1_3repE0EEENS1_30default_config_static_selectorELNS0_4arch9wavefront6targetE1EEEvSL_.uses_vcc, 0
	.set _ZN7rocprim17ROCPRIM_400000_NS6detail17trampoline_kernelINS0_14default_configENS1_22reduce_config_selectorIiEEZNS1_11reduce_implILb1ES3_N6thrust23THRUST_200600_302600_NS11hip_rocprim35transform_pair_of_input_iterators_tIiPhSB_NS8_12not_equal_toIhEEEEPiiNS8_4plusIiEEEE10hipError_tPvRmT1_T2_T3_mT4_P12ihipStream_tbEUlT_E0_NS1_11comp_targetILNS1_3genE10ELNS1_11target_archE1200ELNS1_3gpuE4ELNS1_3repE0EEENS1_30default_config_static_selectorELNS0_4arch9wavefront6targetE1EEEvSL_.uses_flat_scratch, 0
	.set _ZN7rocprim17ROCPRIM_400000_NS6detail17trampoline_kernelINS0_14default_configENS1_22reduce_config_selectorIiEEZNS1_11reduce_implILb1ES3_N6thrust23THRUST_200600_302600_NS11hip_rocprim35transform_pair_of_input_iterators_tIiPhSB_NS8_12not_equal_toIhEEEEPiiNS8_4plusIiEEEE10hipError_tPvRmT1_T2_T3_mT4_P12ihipStream_tbEUlT_E0_NS1_11comp_targetILNS1_3genE10ELNS1_11target_archE1200ELNS1_3gpuE4ELNS1_3repE0EEENS1_30default_config_static_selectorELNS0_4arch9wavefront6targetE1EEEvSL_.has_dyn_sized_stack, 0
	.set _ZN7rocprim17ROCPRIM_400000_NS6detail17trampoline_kernelINS0_14default_configENS1_22reduce_config_selectorIiEEZNS1_11reduce_implILb1ES3_N6thrust23THRUST_200600_302600_NS11hip_rocprim35transform_pair_of_input_iterators_tIiPhSB_NS8_12not_equal_toIhEEEEPiiNS8_4plusIiEEEE10hipError_tPvRmT1_T2_T3_mT4_P12ihipStream_tbEUlT_E0_NS1_11comp_targetILNS1_3genE10ELNS1_11target_archE1200ELNS1_3gpuE4ELNS1_3repE0EEENS1_30default_config_static_selectorELNS0_4arch9wavefront6targetE1EEEvSL_.has_recursion, 0
	.set _ZN7rocprim17ROCPRIM_400000_NS6detail17trampoline_kernelINS0_14default_configENS1_22reduce_config_selectorIiEEZNS1_11reduce_implILb1ES3_N6thrust23THRUST_200600_302600_NS11hip_rocprim35transform_pair_of_input_iterators_tIiPhSB_NS8_12not_equal_toIhEEEEPiiNS8_4plusIiEEEE10hipError_tPvRmT1_T2_T3_mT4_P12ihipStream_tbEUlT_E0_NS1_11comp_targetILNS1_3genE10ELNS1_11target_archE1200ELNS1_3gpuE4ELNS1_3repE0EEENS1_30default_config_static_selectorELNS0_4arch9wavefront6targetE1EEEvSL_.has_indirect_call, 0
	.section	.AMDGPU.csdata,"",@progbits
; Kernel info:
; codeLenInByte = 0
; TotalNumSgprs: 4
; NumVgprs: 0
; ScratchSize: 0
; MemoryBound: 0
; FloatMode: 240
; IeeeMode: 1
; LDSByteSize: 0 bytes/workgroup (compile time only)
; SGPRBlocks: 0
; VGPRBlocks: 0
; NumSGPRsForWavesPerEU: 4
; NumVGPRsForWavesPerEU: 1
; Occupancy: 10
; WaveLimiterHint : 0
; COMPUTE_PGM_RSRC2:SCRATCH_EN: 0
; COMPUTE_PGM_RSRC2:USER_SGPR: 6
; COMPUTE_PGM_RSRC2:TRAP_HANDLER: 0
; COMPUTE_PGM_RSRC2:TGID_X_EN: 1
; COMPUTE_PGM_RSRC2:TGID_Y_EN: 0
; COMPUTE_PGM_RSRC2:TGID_Z_EN: 0
; COMPUTE_PGM_RSRC2:TIDIG_COMP_CNT: 0
	.section	.text._ZN7rocprim17ROCPRIM_400000_NS6detail17trampoline_kernelINS0_14default_configENS1_22reduce_config_selectorIiEEZNS1_11reduce_implILb1ES3_N6thrust23THRUST_200600_302600_NS11hip_rocprim35transform_pair_of_input_iterators_tIiPhSB_NS8_12not_equal_toIhEEEEPiiNS8_4plusIiEEEE10hipError_tPvRmT1_T2_T3_mT4_P12ihipStream_tbEUlT_E0_NS1_11comp_targetILNS1_3genE9ELNS1_11target_archE1100ELNS1_3gpuE3ELNS1_3repE0EEENS1_30default_config_static_selectorELNS0_4arch9wavefront6targetE1EEEvSL_,"axG",@progbits,_ZN7rocprim17ROCPRIM_400000_NS6detail17trampoline_kernelINS0_14default_configENS1_22reduce_config_selectorIiEEZNS1_11reduce_implILb1ES3_N6thrust23THRUST_200600_302600_NS11hip_rocprim35transform_pair_of_input_iterators_tIiPhSB_NS8_12not_equal_toIhEEEEPiiNS8_4plusIiEEEE10hipError_tPvRmT1_T2_T3_mT4_P12ihipStream_tbEUlT_E0_NS1_11comp_targetILNS1_3genE9ELNS1_11target_archE1100ELNS1_3gpuE3ELNS1_3repE0EEENS1_30default_config_static_selectorELNS0_4arch9wavefront6targetE1EEEvSL_,comdat
	.protected	_ZN7rocprim17ROCPRIM_400000_NS6detail17trampoline_kernelINS0_14default_configENS1_22reduce_config_selectorIiEEZNS1_11reduce_implILb1ES3_N6thrust23THRUST_200600_302600_NS11hip_rocprim35transform_pair_of_input_iterators_tIiPhSB_NS8_12not_equal_toIhEEEEPiiNS8_4plusIiEEEE10hipError_tPvRmT1_T2_T3_mT4_P12ihipStream_tbEUlT_E0_NS1_11comp_targetILNS1_3genE9ELNS1_11target_archE1100ELNS1_3gpuE3ELNS1_3repE0EEENS1_30default_config_static_selectorELNS0_4arch9wavefront6targetE1EEEvSL_ ; -- Begin function _ZN7rocprim17ROCPRIM_400000_NS6detail17trampoline_kernelINS0_14default_configENS1_22reduce_config_selectorIiEEZNS1_11reduce_implILb1ES3_N6thrust23THRUST_200600_302600_NS11hip_rocprim35transform_pair_of_input_iterators_tIiPhSB_NS8_12not_equal_toIhEEEEPiiNS8_4plusIiEEEE10hipError_tPvRmT1_T2_T3_mT4_P12ihipStream_tbEUlT_E0_NS1_11comp_targetILNS1_3genE9ELNS1_11target_archE1100ELNS1_3gpuE3ELNS1_3repE0EEENS1_30default_config_static_selectorELNS0_4arch9wavefront6targetE1EEEvSL_
	.globl	_ZN7rocprim17ROCPRIM_400000_NS6detail17trampoline_kernelINS0_14default_configENS1_22reduce_config_selectorIiEEZNS1_11reduce_implILb1ES3_N6thrust23THRUST_200600_302600_NS11hip_rocprim35transform_pair_of_input_iterators_tIiPhSB_NS8_12not_equal_toIhEEEEPiiNS8_4plusIiEEEE10hipError_tPvRmT1_T2_T3_mT4_P12ihipStream_tbEUlT_E0_NS1_11comp_targetILNS1_3genE9ELNS1_11target_archE1100ELNS1_3gpuE3ELNS1_3repE0EEENS1_30default_config_static_selectorELNS0_4arch9wavefront6targetE1EEEvSL_
	.p2align	8
	.type	_ZN7rocprim17ROCPRIM_400000_NS6detail17trampoline_kernelINS0_14default_configENS1_22reduce_config_selectorIiEEZNS1_11reduce_implILb1ES3_N6thrust23THRUST_200600_302600_NS11hip_rocprim35transform_pair_of_input_iterators_tIiPhSB_NS8_12not_equal_toIhEEEEPiiNS8_4plusIiEEEE10hipError_tPvRmT1_T2_T3_mT4_P12ihipStream_tbEUlT_E0_NS1_11comp_targetILNS1_3genE9ELNS1_11target_archE1100ELNS1_3gpuE3ELNS1_3repE0EEENS1_30default_config_static_selectorELNS0_4arch9wavefront6targetE1EEEvSL_,@function
_ZN7rocprim17ROCPRIM_400000_NS6detail17trampoline_kernelINS0_14default_configENS1_22reduce_config_selectorIiEEZNS1_11reduce_implILb1ES3_N6thrust23THRUST_200600_302600_NS11hip_rocprim35transform_pair_of_input_iterators_tIiPhSB_NS8_12not_equal_toIhEEEEPiiNS8_4plusIiEEEE10hipError_tPvRmT1_T2_T3_mT4_P12ihipStream_tbEUlT_E0_NS1_11comp_targetILNS1_3genE9ELNS1_11target_archE1100ELNS1_3gpuE3ELNS1_3repE0EEENS1_30default_config_static_selectorELNS0_4arch9wavefront6targetE1EEEvSL_: ; @_ZN7rocprim17ROCPRIM_400000_NS6detail17trampoline_kernelINS0_14default_configENS1_22reduce_config_selectorIiEEZNS1_11reduce_implILb1ES3_N6thrust23THRUST_200600_302600_NS11hip_rocprim35transform_pair_of_input_iterators_tIiPhSB_NS8_12not_equal_toIhEEEEPiiNS8_4plusIiEEEE10hipError_tPvRmT1_T2_T3_mT4_P12ihipStream_tbEUlT_E0_NS1_11comp_targetILNS1_3genE9ELNS1_11target_archE1100ELNS1_3gpuE3ELNS1_3repE0EEENS1_30default_config_static_selectorELNS0_4arch9wavefront6targetE1EEEvSL_
; %bb.0:
	.section	.rodata,"a",@progbits
	.p2align	6, 0x0
	.amdhsa_kernel _ZN7rocprim17ROCPRIM_400000_NS6detail17trampoline_kernelINS0_14default_configENS1_22reduce_config_selectorIiEEZNS1_11reduce_implILb1ES3_N6thrust23THRUST_200600_302600_NS11hip_rocprim35transform_pair_of_input_iterators_tIiPhSB_NS8_12not_equal_toIhEEEEPiiNS8_4plusIiEEEE10hipError_tPvRmT1_T2_T3_mT4_P12ihipStream_tbEUlT_E0_NS1_11comp_targetILNS1_3genE9ELNS1_11target_archE1100ELNS1_3gpuE3ELNS1_3repE0EEENS1_30default_config_static_selectorELNS0_4arch9wavefront6targetE1EEEvSL_
		.amdhsa_group_segment_fixed_size 0
		.amdhsa_private_segment_fixed_size 0
		.amdhsa_kernarg_size 72
		.amdhsa_user_sgpr_count 6
		.amdhsa_user_sgpr_private_segment_buffer 1
		.amdhsa_user_sgpr_dispatch_ptr 0
		.amdhsa_user_sgpr_queue_ptr 0
		.amdhsa_user_sgpr_kernarg_segment_ptr 1
		.amdhsa_user_sgpr_dispatch_id 0
		.amdhsa_user_sgpr_flat_scratch_init 0
		.amdhsa_user_sgpr_private_segment_size 0
		.amdhsa_uses_dynamic_stack 0
		.amdhsa_system_sgpr_private_segment_wavefront_offset 0
		.amdhsa_system_sgpr_workgroup_id_x 1
		.amdhsa_system_sgpr_workgroup_id_y 0
		.amdhsa_system_sgpr_workgroup_id_z 0
		.amdhsa_system_sgpr_workgroup_info 0
		.amdhsa_system_vgpr_workitem_id 0
		.amdhsa_next_free_vgpr 1
		.amdhsa_next_free_sgpr 0
		.amdhsa_reserve_vcc 0
		.amdhsa_reserve_flat_scratch 0
		.amdhsa_float_round_mode_32 0
		.amdhsa_float_round_mode_16_64 0
		.amdhsa_float_denorm_mode_32 3
		.amdhsa_float_denorm_mode_16_64 3
		.amdhsa_dx10_clamp 1
		.amdhsa_ieee_mode 1
		.amdhsa_fp16_overflow 0
		.amdhsa_exception_fp_ieee_invalid_op 0
		.amdhsa_exception_fp_denorm_src 0
		.amdhsa_exception_fp_ieee_div_zero 0
		.amdhsa_exception_fp_ieee_overflow 0
		.amdhsa_exception_fp_ieee_underflow 0
		.amdhsa_exception_fp_ieee_inexact 0
		.amdhsa_exception_int_div_zero 0
	.end_amdhsa_kernel
	.section	.text._ZN7rocprim17ROCPRIM_400000_NS6detail17trampoline_kernelINS0_14default_configENS1_22reduce_config_selectorIiEEZNS1_11reduce_implILb1ES3_N6thrust23THRUST_200600_302600_NS11hip_rocprim35transform_pair_of_input_iterators_tIiPhSB_NS8_12not_equal_toIhEEEEPiiNS8_4plusIiEEEE10hipError_tPvRmT1_T2_T3_mT4_P12ihipStream_tbEUlT_E0_NS1_11comp_targetILNS1_3genE9ELNS1_11target_archE1100ELNS1_3gpuE3ELNS1_3repE0EEENS1_30default_config_static_selectorELNS0_4arch9wavefront6targetE1EEEvSL_,"axG",@progbits,_ZN7rocprim17ROCPRIM_400000_NS6detail17trampoline_kernelINS0_14default_configENS1_22reduce_config_selectorIiEEZNS1_11reduce_implILb1ES3_N6thrust23THRUST_200600_302600_NS11hip_rocprim35transform_pair_of_input_iterators_tIiPhSB_NS8_12not_equal_toIhEEEEPiiNS8_4plusIiEEEE10hipError_tPvRmT1_T2_T3_mT4_P12ihipStream_tbEUlT_E0_NS1_11comp_targetILNS1_3genE9ELNS1_11target_archE1100ELNS1_3gpuE3ELNS1_3repE0EEENS1_30default_config_static_selectorELNS0_4arch9wavefront6targetE1EEEvSL_,comdat
.Lfunc_end343:
	.size	_ZN7rocprim17ROCPRIM_400000_NS6detail17trampoline_kernelINS0_14default_configENS1_22reduce_config_selectorIiEEZNS1_11reduce_implILb1ES3_N6thrust23THRUST_200600_302600_NS11hip_rocprim35transform_pair_of_input_iterators_tIiPhSB_NS8_12not_equal_toIhEEEEPiiNS8_4plusIiEEEE10hipError_tPvRmT1_T2_T3_mT4_P12ihipStream_tbEUlT_E0_NS1_11comp_targetILNS1_3genE9ELNS1_11target_archE1100ELNS1_3gpuE3ELNS1_3repE0EEENS1_30default_config_static_selectorELNS0_4arch9wavefront6targetE1EEEvSL_, .Lfunc_end343-_ZN7rocprim17ROCPRIM_400000_NS6detail17trampoline_kernelINS0_14default_configENS1_22reduce_config_selectorIiEEZNS1_11reduce_implILb1ES3_N6thrust23THRUST_200600_302600_NS11hip_rocprim35transform_pair_of_input_iterators_tIiPhSB_NS8_12not_equal_toIhEEEEPiiNS8_4plusIiEEEE10hipError_tPvRmT1_T2_T3_mT4_P12ihipStream_tbEUlT_E0_NS1_11comp_targetILNS1_3genE9ELNS1_11target_archE1100ELNS1_3gpuE3ELNS1_3repE0EEENS1_30default_config_static_selectorELNS0_4arch9wavefront6targetE1EEEvSL_
                                        ; -- End function
	.set _ZN7rocprim17ROCPRIM_400000_NS6detail17trampoline_kernelINS0_14default_configENS1_22reduce_config_selectorIiEEZNS1_11reduce_implILb1ES3_N6thrust23THRUST_200600_302600_NS11hip_rocprim35transform_pair_of_input_iterators_tIiPhSB_NS8_12not_equal_toIhEEEEPiiNS8_4plusIiEEEE10hipError_tPvRmT1_T2_T3_mT4_P12ihipStream_tbEUlT_E0_NS1_11comp_targetILNS1_3genE9ELNS1_11target_archE1100ELNS1_3gpuE3ELNS1_3repE0EEENS1_30default_config_static_selectorELNS0_4arch9wavefront6targetE1EEEvSL_.num_vgpr, 0
	.set _ZN7rocprim17ROCPRIM_400000_NS6detail17trampoline_kernelINS0_14default_configENS1_22reduce_config_selectorIiEEZNS1_11reduce_implILb1ES3_N6thrust23THRUST_200600_302600_NS11hip_rocprim35transform_pair_of_input_iterators_tIiPhSB_NS8_12not_equal_toIhEEEEPiiNS8_4plusIiEEEE10hipError_tPvRmT1_T2_T3_mT4_P12ihipStream_tbEUlT_E0_NS1_11comp_targetILNS1_3genE9ELNS1_11target_archE1100ELNS1_3gpuE3ELNS1_3repE0EEENS1_30default_config_static_selectorELNS0_4arch9wavefront6targetE1EEEvSL_.num_agpr, 0
	.set _ZN7rocprim17ROCPRIM_400000_NS6detail17trampoline_kernelINS0_14default_configENS1_22reduce_config_selectorIiEEZNS1_11reduce_implILb1ES3_N6thrust23THRUST_200600_302600_NS11hip_rocprim35transform_pair_of_input_iterators_tIiPhSB_NS8_12not_equal_toIhEEEEPiiNS8_4plusIiEEEE10hipError_tPvRmT1_T2_T3_mT4_P12ihipStream_tbEUlT_E0_NS1_11comp_targetILNS1_3genE9ELNS1_11target_archE1100ELNS1_3gpuE3ELNS1_3repE0EEENS1_30default_config_static_selectorELNS0_4arch9wavefront6targetE1EEEvSL_.numbered_sgpr, 0
	.set _ZN7rocprim17ROCPRIM_400000_NS6detail17trampoline_kernelINS0_14default_configENS1_22reduce_config_selectorIiEEZNS1_11reduce_implILb1ES3_N6thrust23THRUST_200600_302600_NS11hip_rocprim35transform_pair_of_input_iterators_tIiPhSB_NS8_12not_equal_toIhEEEEPiiNS8_4plusIiEEEE10hipError_tPvRmT1_T2_T3_mT4_P12ihipStream_tbEUlT_E0_NS1_11comp_targetILNS1_3genE9ELNS1_11target_archE1100ELNS1_3gpuE3ELNS1_3repE0EEENS1_30default_config_static_selectorELNS0_4arch9wavefront6targetE1EEEvSL_.num_named_barrier, 0
	.set _ZN7rocprim17ROCPRIM_400000_NS6detail17trampoline_kernelINS0_14default_configENS1_22reduce_config_selectorIiEEZNS1_11reduce_implILb1ES3_N6thrust23THRUST_200600_302600_NS11hip_rocprim35transform_pair_of_input_iterators_tIiPhSB_NS8_12not_equal_toIhEEEEPiiNS8_4plusIiEEEE10hipError_tPvRmT1_T2_T3_mT4_P12ihipStream_tbEUlT_E0_NS1_11comp_targetILNS1_3genE9ELNS1_11target_archE1100ELNS1_3gpuE3ELNS1_3repE0EEENS1_30default_config_static_selectorELNS0_4arch9wavefront6targetE1EEEvSL_.private_seg_size, 0
	.set _ZN7rocprim17ROCPRIM_400000_NS6detail17trampoline_kernelINS0_14default_configENS1_22reduce_config_selectorIiEEZNS1_11reduce_implILb1ES3_N6thrust23THRUST_200600_302600_NS11hip_rocprim35transform_pair_of_input_iterators_tIiPhSB_NS8_12not_equal_toIhEEEEPiiNS8_4plusIiEEEE10hipError_tPvRmT1_T2_T3_mT4_P12ihipStream_tbEUlT_E0_NS1_11comp_targetILNS1_3genE9ELNS1_11target_archE1100ELNS1_3gpuE3ELNS1_3repE0EEENS1_30default_config_static_selectorELNS0_4arch9wavefront6targetE1EEEvSL_.uses_vcc, 0
	.set _ZN7rocprim17ROCPRIM_400000_NS6detail17trampoline_kernelINS0_14default_configENS1_22reduce_config_selectorIiEEZNS1_11reduce_implILb1ES3_N6thrust23THRUST_200600_302600_NS11hip_rocprim35transform_pair_of_input_iterators_tIiPhSB_NS8_12not_equal_toIhEEEEPiiNS8_4plusIiEEEE10hipError_tPvRmT1_T2_T3_mT4_P12ihipStream_tbEUlT_E0_NS1_11comp_targetILNS1_3genE9ELNS1_11target_archE1100ELNS1_3gpuE3ELNS1_3repE0EEENS1_30default_config_static_selectorELNS0_4arch9wavefront6targetE1EEEvSL_.uses_flat_scratch, 0
	.set _ZN7rocprim17ROCPRIM_400000_NS6detail17trampoline_kernelINS0_14default_configENS1_22reduce_config_selectorIiEEZNS1_11reduce_implILb1ES3_N6thrust23THRUST_200600_302600_NS11hip_rocprim35transform_pair_of_input_iterators_tIiPhSB_NS8_12not_equal_toIhEEEEPiiNS8_4plusIiEEEE10hipError_tPvRmT1_T2_T3_mT4_P12ihipStream_tbEUlT_E0_NS1_11comp_targetILNS1_3genE9ELNS1_11target_archE1100ELNS1_3gpuE3ELNS1_3repE0EEENS1_30default_config_static_selectorELNS0_4arch9wavefront6targetE1EEEvSL_.has_dyn_sized_stack, 0
	.set _ZN7rocprim17ROCPRIM_400000_NS6detail17trampoline_kernelINS0_14default_configENS1_22reduce_config_selectorIiEEZNS1_11reduce_implILb1ES3_N6thrust23THRUST_200600_302600_NS11hip_rocprim35transform_pair_of_input_iterators_tIiPhSB_NS8_12not_equal_toIhEEEEPiiNS8_4plusIiEEEE10hipError_tPvRmT1_T2_T3_mT4_P12ihipStream_tbEUlT_E0_NS1_11comp_targetILNS1_3genE9ELNS1_11target_archE1100ELNS1_3gpuE3ELNS1_3repE0EEENS1_30default_config_static_selectorELNS0_4arch9wavefront6targetE1EEEvSL_.has_recursion, 0
	.set _ZN7rocprim17ROCPRIM_400000_NS6detail17trampoline_kernelINS0_14default_configENS1_22reduce_config_selectorIiEEZNS1_11reduce_implILb1ES3_N6thrust23THRUST_200600_302600_NS11hip_rocprim35transform_pair_of_input_iterators_tIiPhSB_NS8_12not_equal_toIhEEEEPiiNS8_4plusIiEEEE10hipError_tPvRmT1_T2_T3_mT4_P12ihipStream_tbEUlT_E0_NS1_11comp_targetILNS1_3genE9ELNS1_11target_archE1100ELNS1_3gpuE3ELNS1_3repE0EEENS1_30default_config_static_selectorELNS0_4arch9wavefront6targetE1EEEvSL_.has_indirect_call, 0
	.section	.AMDGPU.csdata,"",@progbits
; Kernel info:
; codeLenInByte = 0
; TotalNumSgprs: 4
; NumVgprs: 0
; ScratchSize: 0
; MemoryBound: 0
; FloatMode: 240
; IeeeMode: 1
; LDSByteSize: 0 bytes/workgroup (compile time only)
; SGPRBlocks: 0
; VGPRBlocks: 0
; NumSGPRsForWavesPerEU: 4
; NumVGPRsForWavesPerEU: 1
; Occupancy: 10
; WaveLimiterHint : 0
; COMPUTE_PGM_RSRC2:SCRATCH_EN: 0
; COMPUTE_PGM_RSRC2:USER_SGPR: 6
; COMPUTE_PGM_RSRC2:TRAP_HANDLER: 0
; COMPUTE_PGM_RSRC2:TGID_X_EN: 1
; COMPUTE_PGM_RSRC2:TGID_Y_EN: 0
; COMPUTE_PGM_RSRC2:TGID_Z_EN: 0
; COMPUTE_PGM_RSRC2:TIDIG_COMP_CNT: 0
	.section	.text._ZN7rocprim17ROCPRIM_400000_NS6detail17trampoline_kernelINS0_14default_configENS1_22reduce_config_selectorIiEEZNS1_11reduce_implILb1ES3_N6thrust23THRUST_200600_302600_NS11hip_rocprim35transform_pair_of_input_iterators_tIiPhSB_NS8_12not_equal_toIhEEEEPiiNS8_4plusIiEEEE10hipError_tPvRmT1_T2_T3_mT4_P12ihipStream_tbEUlT_E0_NS1_11comp_targetILNS1_3genE8ELNS1_11target_archE1030ELNS1_3gpuE2ELNS1_3repE0EEENS1_30default_config_static_selectorELNS0_4arch9wavefront6targetE1EEEvSL_,"axG",@progbits,_ZN7rocprim17ROCPRIM_400000_NS6detail17trampoline_kernelINS0_14default_configENS1_22reduce_config_selectorIiEEZNS1_11reduce_implILb1ES3_N6thrust23THRUST_200600_302600_NS11hip_rocprim35transform_pair_of_input_iterators_tIiPhSB_NS8_12not_equal_toIhEEEEPiiNS8_4plusIiEEEE10hipError_tPvRmT1_T2_T3_mT4_P12ihipStream_tbEUlT_E0_NS1_11comp_targetILNS1_3genE8ELNS1_11target_archE1030ELNS1_3gpuE2ELNS1_3repE0EEENS1_30default_config_static_selectorELNS0_4arch9wavefront6targetE1EEEvSL_,comdat
	.protected	_ZN7rocprim17ROCPRIM_400000_NS6detail17trampoline_kernelINS0_14default_configENS1_22reduce_config_selectorIiEEZNS1_11reduce_implILb1ES3_N6thrust23THRUST_200600_302600_NS11hip_rocprim35transform_pair_of_input_iterators_tIiPhSB_NS8_12not_equal_toIhEEEEPiiNS8_4plusIiEEEE10hipError_tPvRmT1_T2_T3_mT4_P12ihipStream_tbEUlT_E0_NS1_11comp_targetILNS1_3genE8ELNS1_11target_archE1030ELNS1_3gpuE2ELNS1_3repE0EEENS1_30default_config_static_selectorELNS0_4arch9wavefront6targetE1EEEvSL_ ; -- Begin function _ZN7rocprim17ROCPRIM_400000_NS6detail17trampoline_kernelINS0_14default_configENS1_22reduce_config_selectorIiEEZNS1_11reduce_implILb1ES3_N6thrust23THRUST_200600_302600_NS11hip_rocprim35transform_pair_of_input_iterators_tIiPhSB_NS8_12not_equal_toIhEEEEPiiNS8_4plusIiEEEE10hipError_tPvRmT1_T2_T3_mT4_P12ihipStream_tbEUlT_E0_NS1_11comp_targetILNS1_3genE8ELNS1_11target_archE1030ELNS1_3gpuE2ELNS1_3repE0EEENS1_30default_config_static_selectorELNS0_4arch9wavefront6targetE1EEEvSL_
	.globl	_ZN7rocprim17ROCPRIM_400000_NS6detail17trampoline_kernelINS0_14default_configENS1_22reduce_config_selectorIiEEZNS1_11reduce_implILb1ES3_N6thrust23THRUST_200600_302600_NS11hip_rocprim35transform_pair_of_input_iterators_tIiPhSB_NS8_12not_equal_toIhEEEEPiiNS8_4plusIiEEEE10hipError_tPvRmT1_T2_T3_mT4_P12ihipStream_tbEUlT_E0_NS1_11comp_targetILNS1_3genE8ELNS1_11target_archE1030ELNS1_3gpuE2ELNS1_3repE0EEENS1_30default_config_static_selectorELNS0_4arch9wavefront6targetE1EEEvSL_
	.p2align	8
	.type	_ZN7rocprim17ROCPRIM_400000_NS6detail17trampoline_kernelINS0_14default_configENS1_22reduce_config_selectorIiEEZNS1_11reduce_implILb1ES3_N6thrust23THRUST_200600_302600_NS11hip_rocprim35transform_pair_of_input_iterators_tIiPhSB_NS8_12not_equal_toIhEEEEPiiNS8_4plusIiEEEE10hipError_tPvRmT1_T2_T3_mT4_P12ihipStream_tbEUlT_E0_NS1_11comp_targetILNS1_3genE8ELNS1_11target_archE1030ELNS1_3gpuE2ELNS1_3repE0EEENS1_30default_config_static_selectorELNS0_4arch9wavefront6targetE1EEEvSL_,@function
_ZN7rocprim17ROCPRIM_400000_NS6detail17trampoline_kernelINS0_14default_configENS1_22reduce_config_selectorIiEEZNS1_11reduce_implILb1ES3_N6thrust23THRUST_200600_302600_NS11hip_rocprim35transform_pair_of_input_iterators_tIiPhSB_NS8_12not_equal_toIhEEEEPiiNS8_4plusIiEEEE10hipError_tPvRmT1_T2_T3_mT4_P12ihipStream_tbEUlT_E0_NS1_11comp_targetILNS1_3genE8ELNS1_11target_archE1030ELNS1_3gpuE2ELNS1_3repE0EEENS1_30default_config_static_selectorELNS0_4arch9wavefront6targetE1EEEvSL_: ; @_ZN7rocprim17ROCPRIM_400000_NS6detail17trampoline_kernelINS0_14default_configENS1_22reduce_config_selectorIiEEZNS1_11reduce_implILb1ES3_N6thrust23THRUST_200600_302600_NS11hip_rocprim35transform_pair_of_input_iterators_tIiPhSB_NS8_12not_equal_toIhEEEEPiiNS8_4plusIiEEEE10hipError_tPvRmT1_T2_T3_mT4_P12ihipStream_tbEUlT_E0_NS1_11comp_targetILNS1_3genE8ELNS1_11target_archE1030ELNS1_3gpuE2ELNS1_3repE0EEENS1_30default_config_static_selectorELNS0_4arch9wavefront6targetE1EEEvSL_
; %bb.0:
	.section	.rodata,"a",@progbits
	.p2align	6, 0x0
	.amdhsa_kernel _ZN7rocprim17ROCPRIM_400000_NS6detail17trampoline_kernelINS0_14default_configENS1_22reduce_config_selectorIiEEZNS1_11reduce_implILb1ES3_N6thrust23THRUST_200600_302600_NS11hip_rocprim35transform_pair_of_input_iterators_tIiPhSB_NS8_12not_equal_toIhEEEEPiiNS8_4plusIiEEEE10hipError_tPvRmT1_T2_T3_mT4_P12ihipStream_tbEUlT_E0_NS1_11comp_targetILNS1_3genE8ELNS1_11target_archE1030ELNS1_3gpuE2ELNS1_3repE0EEENS1_30default_config_static_selectorELNS0_4arch9wavefront6targetE1EEEvSL_
		.amdhsa_group_segment_fixed_size 0
		.amdhsa_private_segment_fixed_size 0
		.amdhsa_kernarg_size 72
		.amdhsa_user_sgpr_count 6
		.amdhsa_user_sgpr_private_segment_buffer 1
		.amdhsa_user_sgpr_dispatch_ptr 0
		.amdhsa_user_sgpr_queue_ptr 0
		.amdhsa_user_sgpr_kernarg_segment_ptr 1
		.amdhsa_user_sgpr_dispatch_id 0
		.amdhsa_user_sgpr_flat_scratch_init 0
		.amdhsa_user_sgpr_private_segment_size 0
		.amdhsa_uses_dynamic_stack 0
		.amdhsa_system_sgpr_private_segment_wavefront_offset 0
		.amdhsa_system_sgpr_workgroup_id_x 1
		.amdhsa_system_sgpr_workgroup_id_y 0
		.amdhsa_system_sgpr_workgroup_id_z 0
		.amdhsa_system_sgpr_workgroup_info 0
		.amdhsa_system_vgpr_workitem_id 0
		.amdhsa_next_free_vgpr 1
		.amdhsa_next_free_sgpr 0
		.amdhsa_reserve_vcc 0
		.amdhsa_reserve_flat_scratch 0
		.amdhsa_float_round_mode_32 0
		.amdhsa_float_round_mode_16_64 0
		.amdhsa_float_denorm_mode_32 3
		.amdhsa_float_denorm_mode_16_64 3
		.amdhsa_dx10_clamp 1
		.amdhsa_ieee_mode 1
		.amdhsa_fp16_overflow 0
		.amdhsa_exception_fp_ieee_invalid_op 0
		.amdhsa_exception_fp_denorm_src 0
		.amdhsa_exception_fp_ieee_div_zero 0
		.amdhsa_exception_fp_ieee_overflow 0
		.amdhsa_exception_fp_ieee_underflow 0
		.amdhsa_exception_fp_ieee_inexact 0
		.amdhsa_exception_int_div_zero 0
	.end_amdhsa_kernel
	.section	.text._ZN7rocprim17ROCPRIM_400000_NS6detail17trampoline_kernelINS0_14default_configENS1_22reduce_config_selectorIiEEZNS1_11reduce_implILb1ES3_N6thrust23THRUST_200600_302600_NS11hip_rocprim35transform_pair_of_input_iterators_tIiPhSB_NS8_12not_equal_toIhEEEEPiiNS8_4plusIiEEEE10hipError_tPvRmT1_T2_T3_mT4_P12ihipStream_tbEUlT_E0_NS1_11comp_targetILNS1_3genE8ELNS1_11target_archE1030ELNS1_3gpuE2ELNS1_3repE0EEENS1_30default_config_static_selectorELNS0_4arch9wavefront6targetE1EEEvSL_,"axG",@progbits,_ZN7rocprim17ROCPRIM_400000_NS6detail17trampoline_kernelINS0_14default_configENS1_22reduce_config_selectorIiEEZNS1_11reduce_implILb1ES3_N6thrust23THRUST_200600_302600_NS11hip_rocprim35transform_pair_of_input_iterators_tIiPhSB_NS8_12not_equal_toIhEEEEPiiNS8_4plusIiEEEE10hipError_tPvRmT1_T2_T3_mT4_P12ihipStream_tbEUlT_E0_NS1_11comp_targetILNS1_3genE8ELNS1_11target_archE1030ELNS1_3gpuE2ELNS1_3repE0EEENS1_30default_config_static_selectorELNS0_4arch9wavefront6targetE1EEEvSL_,comdat
.Lfunc_end344:
	.size	_ZN7rocprim17ROCPRIM_400000_NS6detail17trampoline_kernelINS0_14default_configENS1_22reduce_config_selectorIiEEZNS1_11reduce_implILb1ES3_N6thrust23THRUST_200600_302600_NS11hip_rocprim35transform_pair_of_input_iterators_tIiPhSB_NS8_12not_equal_toIhEEEEPiiNS8_4plusIiEEEE10hipError_tPvRmT1_T2_T3_mT4_P12ihipStream_tbEUlT_E0_NS1_11comp_targetILNS1_3genE8ELNS1_11target_archE1030ELNS1_3gpuE2ELNS1_3repE0EEENS1_30default_config_static_selectorELNS0_4arch9wavefront6targetE1EEEvSL_, .Lfunc_end344-_ZN7rocprim17ROCPRIM_400000_NS6detail17trampoline_kernelINS0_14default_configENS1_22reduce_config_selectorIiEEZNS1_11reduce_implILb1ES3_N6thrust23THRUST_200600_302600_NS11hip_rocprim35transform_pair_of_input_iterators_tIiPhSB_NS8_12not_equal_toIhEEEEPiiNS8_4plusIiEEEE10hipError_tPvRmT1_T2_T3_mT4_P12ihipStream_tbEUlT_E0_NS1_11comp_targetILNS1_3genE8ELNS1_11target_archE1030ELNS1_3gpuE2ELNS1_3repE0EEENS1_30default_config_static_selectorELNS0_4arch9wavefront6targetE1EEEvSL_
                                        ; -- End function
	.set _ZN7rocprim17ROCPRIM_400000_NS6detail17trampoline_kernelINS0_14default_configENS1_22reduce_config_selectorIiEEZNS1_11reduce_implILb1ES3_N6thrust23THRUST_200600_302600_NS11hip_rocprim35transform_pair_of_input_iterators_tIiPhSB_NS8_12not_equal_toIhEEEEPiiNS8_4plusIiEEEE10hipError_tPvRmT1_T2_T3_mT4_P12ihipStream_tbEUlT_E0_NS1_11comp_targetILNS1_3genE8ELNS1_11target_archE1030ELNS1_3gpuE2ELNS1_3repE0EEENS1_30default_config_static_selectorELNS0_4arch9wavefront6targetE1EEEvSL_.num_vgpr, 0
	.set _ZN7rocprim17ROCPRIM_400000_NS6detail17trampoline_kernelINS0_14default_configENS1_22reduce_config_selectorIiEEZNS1_11reduce_implILb1ES3_N6thrust23THRUST_200600_302600_NS11hip_rocprim35transform_pair_of_input_iterators_tIiPhSB_NS8_12not_equal_toIhEEEEPiiNS8_4plusIiEEEE10hipError_tPvRmT1_T2_T3_mT4_P12ihipStream_tbEUlT_E0_NS1_11comp_targetILNS1_3genE8ELNS1_11target_archE1030ELNS1_3gpuE2ELNS1_3repE0EEENS1_30default_config_static_selectorELNS0_4arch9wavefront6targetE1EEEvSL_.num_agpr, 0
	.set _ZN7rocprim17ROCPRIM_400000_NS6detail17trampoline_kernelINS0_14default_configENS1_22reduce_config_selectorIiEEZNS1_11reduce_implILb1ES3_N6thrust23THRUST_200600_302600_NS11hip_rocprim35transform_pair_of_input_iterators_tIiPhSB_NS8_12not_equal_toIhEEEEPiiNS8_4plusIiEEEE10hipError_tPvRmT1_T2_T3_mT4_P12ihipStream_tbEUlT_E0_NS1_11comp_targetILNS1_3genE8ELNS1_11target_archE1030ELNS1_3gpuE2ELNS1_3repE0EEENS1_30default_config_static_selectorELNS0_4arch9wavefront6targetE1EEEvSL_.numbered_sgpr, 0
	.set _ZN7rocprim17ROCPRIM_400000_NS6detail17trampoline_kernelINS0_14default_configENS1_22reduce_config_selectorIiEEZNS1_11reduce_implILb1ES3_N6thrust23THRUST_200600_302600_NS11hip_rocprim35transform_pair_of_input_iterators_tIiPhSB_NS8_12not_equal_toIhEEEEPiiNS8_4plusIiEEEE10hipError_tPvRmT1_T2_T3_mT4_P12ihipStream_tbEUlT_E0_NS1_11comp_targetILNS1_3genE8ELNS1_11target_archE1030ELNS1_3gpuE2ELNS1_3repE0EEENS1_30default_config_static_selectorELNS0_4arch9wavefront6targetE1EEEvSL_.num_named_barrier, 0
	.set _ZN7rocprim17ROCPRIM_400000_NS6detail17trampoline_kernelINS0_14default_configENS1_22reduce_config_selectorIiEEZNS1_11reduce_implILb1ES3_N6thrust23THRUST_200600_302600_NS11hip_rocprim35transform_pair_of_input_iterators_tIiPhSB_NS8_12not_equal_toIhEEEEPiiNS8_4plusIiEEEE10hipError_tPvRmT1_T2_T3_mT4_P12ihipStream_tbEUlT_E0_NS1_11comp_targetILNS1_3genE8ELNS1_11target_archE1030ELNS1_3gpuE2ELNS1_3repE0EEENS1_30default_config_static_selectorELNS0_4arch9wavefront6targetE1EEEvSL_.private_seg_size, 0
	.set _ZN7rocprim17ROCPRIM_400000_NS6detail17trampoline_kernelINS0_14default_configENS1_22reduce_config_selectorIiEEZNS1_11reduce_implILb1ES3_N6thrust23THRUST_200600_302600_NS11hip_rocprim35transform_pair_of_input_iterators_tIiPhSB_NS8_12not_equal_toIhEEEEPiiNS8_4plusIiEEEE10hipError_tPvRmT1_T2_T3_mT4_P12ihipStream_tbEUlT_E0_NS1_11comp_targetILNS1_3genE8ELNS1_11target_archE1030ELNS1_3gpuE2ELNS1_3repE0EEENS1_30default_config_static_selectorELNS0_4arch9wavefront6targetE1EEEvSL_.uses_vcc, 0
	.set _ZN7rocprim17ROCPRIM_400000_NS6detail17trampoline_kernelINS0_14default_configENS1_22reduce_config_selectorIiEEZNS1_11reduce_implILb1ES3_N6thrust23THRUST_200600_302600_NS11hip_rocprim35transform_pair_of_input_iterators_tIiPhSB_NS8_12not_equal_toIhEEEEPiiNS8_4plusIiEEEE10hipError_tPvRmT1_T2_T3_mT4_P12ihipStream_tbEUlT_E0_NS1_11comp_targetILNS1_3genE8ELNS1_11target_archE1030ELNS1_3gpuE2ELNS1_3repE0EEENS1_30default_config_static_selectorELNS0_4arch9wavefront6targetE1EEEvSL_.uses_flat_scratch, 0
	.set _ZN7rocprim17ROCPRIM_400000_NS6detail17trampoline_kernelINS0_14default_configENS1_22reduce_config_selectorIiEEZNS1_11reduce_implILb1ES3_N6thrust23THRUST_200600_302600_NS11hip_rocprim35transform_pair_of_input_iterators_tIiPhSB_NS8_12not_equal_toIhEEEEPiiNS8_4plusIiEEEE10hipError_tPvRmT1_T2_T3_mT4_P12ihipStream_tbEUlT_E0_NS1_11comp_targetILNS1_3genE8ELNS1_11target_archE1030ELNS1_3gpuE2ELNS1_3repE0EEENS1_30default_config_static_selectorELNS0_4arch9wavefront6targetE1EEEvSL_.has_dyn_sized_stack, 0
	.set _ZN7rocprim17ROCPRIM_400000_NS6detail17trampoline_kernelINS0_14default_configENS1_22reduce_config_selectorIiEEZNS1_11reduce_implILb1ES3_N6thrust23THRUST_200600_302600_NS11hip_rocprim35transform_pair_of_input_iterators_tIiPhSB_NS8_12not_equal_toIhEEEEPiiNS8_4plusIiEEEE10hipError_tPvRmT1_T2_T3_mT4_P12ihipStream_tbEUlT_E0_NS1_11comp_targetILNS1_3genE8ELNS1_11target_archE1030ELNS1_3gpuE2ELNS1_3repE0EEENS1_30default_config_static_selectorELNS0_4arch9wavefront6targetE1EEEvSL_.has_recursion, 0
	.set _ZN7rocprim17ROCPRIM_400000_NS6detail17trampoline_kernelINS0_14default_configENS1_22reduce_config_selectorIiEEZNS1_11reduce_implILb1ES3_N6thrust23THRUST_200600_302600_NS11hip_rocprim35transform_pair_of_input_iterators_tIiPhSB_NS8_12not_equal_toIhEEEEPiiNS8_4plusIiEEEE10hipError_tPvRmT1_T2_T3_mT4_P12ihipStream_tbEUlT_E0_NS1_11comp_targetILNS1_3genE8ELNS1_11target_archE1030ELNS1_3gpuE2ELNS1_3repE0EEENS1_30default_config_static_selectorELNS0_4arch9wavefront6targetE1EEEvSL_.has_indirect_call, 0
	.section	.AMDGPU.csdata,"",@progbits
; Kernel info:
; codeLenInByte = 0
; TotalNumSgprs: 4
; NumVgprs: 0
; ScratchSize: 0
; MemoryBound: 0
; FloatMode: 240
; IeeeMode: 1
; LDSByteSize: 0 bytes/workgroup (compile time only)
; SGPRBlocks: 0
; VGPRBlocks: 0
; NumSGPRsForWavesPerEU: 4
; NumVGPRsForWavesPerEU: 1
; Occupancy: 10
; WaveLimiterHint : 0
; COMPUTE_PGM_RSRC2:SCRATCH_EN: 0
; COMPUTE_PGM_RSRC2:USER_SGPR: 6
; COMPUTE_PGM_RSRC2:TRAP_HANDLER: 0
; COMPUTE_PGM_RSRC2:TGID_X_EN: 1
; COMPUTE_PGM_RSRC2:TGID_Y_EN: 0
; COMPUTE_PGM_RSRC2:TGID_Z_EN: 0
; COMPUTE_PGM_RSRC2:TIDIG_COMP_CNT: 0
	.section	.text._ZN7rocprim17ROCPRIM_400000_NS6detail17trampoline_kernelINS0_14default_configENS1_22reduce_config_selectorIiEEZNS1_11reduce_implILb1ES3_N6thrust23THRUST_200600_302600_NS11hip_rocprim35transform_pair_of_input_iterators_tIiPhSB_NS8_12not_equal_toIhEEEEPiiNS8_4plusIiEEEE10hipError_tPvRmT1_T2_T3_mT4_P12ihipStream_tbEUlT_E1_NS1_11comp_targetILNS1_3genE0ELNS1_11target_archE4294967295ELNS1_3gpuE0ELNS1_3repE0EEENS1_30default_config_static_selectorELNS0_4arch9wavefront6targetE1EEEvSL_,"axG",@progbits,_ZN7rocprim17ROCPRIM_400000_NS6detail17trampoline_kernelINS0_14default_configENS1_22reduce_config_selectorIiEEZNS1_11reduce_implILb1ES3_N6thrust23THRUST_200600_302600_NS11hip_rocprim35transform_pair_of_input_iterators_tIiPhSB_NS8_12not_equal_toIhEEEEPiiNS8_4plusIiEEEE10hipError_tPvRmT1_T2_T3_mT4_P12ihipStream_tbEUlT_E1_NS1_11comp_targetILNS1_3genE0ELNS1_11target_archE4294967295ELNS1_3gpuE0ELNS1_3repE0EEENS1_30default_config_static_selectorELNS0_4arch9wavefront6targetE1EEEvSL_,comdat
	.protected	_ZN7rocprim17ROCPRIM_400000_NS6detail17trampoline_kernelINS0_14default_configENS1_22reduce_config_selectorIiEEZNS1_11reduce_implILb1ES3_N6thrust23THRUST_200600_302600_NS11hip_rocprim35transform_pair_of_input_iterators_tIiPhSB_NS8_12not_equal_toIhEEEEPiiNS8_4plusIiEEEE10hipError_tPvRmT1_T2_T3_mT4_P12ihipStream_tbEUlT_E1_NS1_11comp_targetILNS1_3genE0ELNS1_11target_archE4294967295ELNS1_3gpuE0ELNS1_3repE0EEENS1_30default_config_static_selectorELNS0_4arch9wavefront6targetE1EEEvSL_ ; -- Begin function _ZN7rocprim17ROCPRIM_400000_NS6detail17trampoline_kernelINS0_14default_configENS1_22reduce_config_selectorIiEEZNS1_11reduce_implILb1ES3_N6thrust23THRUST_200600_302600_NS11hip_rocprim35transform_pair_of_input_iterators_tIiPhSB_NS8_12not_equal_toIhEEEEPiiNS8_4plusIiEEEE10hipError_tPvRmT1_T2_T3_mT4_P12ihipStream_tbEUlT_E1_NS1_11comp_targetILNS1_3genE0ELNS1_11target_archE4294967295ELNS1_3gpuE0ELNS1_3repE0EEENS1_30default_config_static_selectorELNS0_4arch9wavefront6targetE1EEEvSL_
	.globl	_ZN7rocprim17ROCPRIM_400000_NS6detail17trampoline_kernelINS0_14default_configENS1_22reduce_config_selectorIiEEZNS1_11reduce_implILb1ES3_N6thrust23THRUST_200600_302600_NS11hip_rocprim35transform_pair_of_input_iterators_tIiPhSB_NS8_12not_equal_toIhEEEEPiiNS8_4plusIiEEEE10hipError_tPvRmT1_T2_T3_mT4_P12ihipStream_tbEUlT_E1_NS1_11comp_targetILNS1_3genE0ELNS1_11target_archE4294967295ELNS1_3gpuE0ELNS1_3repE0EEENS1_30default_config_static_selectorELNS0_4arch9wavefront6targetE1EEEvSL_
	.p2align	8
	.type	_ZN7rocprim17ROCPRIM_400000_NS6detail17trampoline_kernelINS0_14default_configENS1_22reduce_config_selectorIiEEZNS1_11reduce_implILb1ES3_N6thrust23THRUST_200600_302600_NS11hip_rocprim35transform_pair_of_input_iterators_tIiPhSB_NS8_12not_equal_toIhEEEEPiiNS8_4plusIiEEEE10hipError_tPvRmT1_T2_T3_mT4_P12ihipStream_tbEUlT_E1_NS1_11comp_targetILNS1_3genE0ELNS1_11target_archE4294967295ELNS1_3gpuE0ELNS1_3repE0EEENS1_30default_config_static_selectorELNS0_4arch9wavefront6targetE1EEEvSL_,@function
_ZN7rocprim17ROCPRIM_400000_NS6detail17trampoline_kernelINS0_14default_configENS1_22reduce_config_selectorIiEEZNS1_11reduce_implILb1ES3_N6thrust23THRUST_200600_302600_NS11hip_rocprim35transform_pair_of_input_iterators_tIiPhSB_NS8_12not_equal_toIhEEEEPiiNS8_4plusIiEEEE10hipError_tPvRmT1_T2_T3_mT4_P12ihipStream_tbEUlT_E1_NS1_11comp_targetILNS1_3genE0ELNS1_11target_archE4294967295ELNS1_3gpuE0ELNS1_3repE0EEENS1_30default_config_static_selectorELNS0_4arch9wavefront6targetE1EEEvSL_: ; @_ZN7rocprim17ROCPRIM_400000_NS6detail17trampoline_kernelINS0_14default_configENS1_22reduce_config_selectorIiEEZNS1_11reduce_implILb1ES3_N6thrust23THRUST_200600_302600_NS11hip_rocprim35transform_pair_of_input_iterators_tIiPhSB_NS8_12not_equal_toIhEEEEPiiNS8_4plusIiEEEE10hipError_tPvRmT1_T2_T3_mT4_P12ihipStream_tbEUlT_E1_NS1_11comp_targetILNS1_3genE0ELNS1_11target_archE4294967295ELNS1_3gpuE0ELNS1_3repE0EEENS1_30default_config_static_selectorELNS0_4arch9wavefront6targetE1EEEvSL_
; %bb.0:
	.section	.rodata,"a",@progbits
	.p2align	6, 0x0
	.amdhsa_kernel _ZN7rocprim17ROCPRIM_400000_NS6detail17trampoline_kernelINS0_14default_configENS1_22reduce_config_selectorIiEEZNS1_11reduce_implILb1ES3_N6thrust23THRUST_200600_302600_NS11hip_rocprim35transform_pair_of_input_iterators_tIiPhSB_NS8_12not_equal_toIhEEEEPiiNS8_4plusIiEEEE10hipError_tPvRmT1_T2_T3_mT4_P12ihipStream_tbEUlT_E1_NS1_11comp_targetILNS1_3genE0ELNS1_11target_archE4294967295ELNS1_3gpuE0ELNS1_3repE0EEENS1_30default_config_static_selectorELNS0_4arch9wavefront6targetE1EEEvSL_
		.amdhsa_group_segment_fixed_size 0
		.amdhsa_private_segment_fixed_size 0
		.amdhsa_kernarg_size 56
		.amdhsa_user_sgpr_count 6
		.amdhsa_user_sgpr_private_segment_buffer 1
		.amdhsa_user_sgpr_dispatch_ptr 0
		.amdhsa_user_sgpr_queue_ptr 0
		.amdhsa_user_sgpr_kernarg_segment_ptr 1
		.amdhsa_user_sgpr_dispatch_id 0
		.amdhsa_user_sgpr_flat_scratch_init 0
		.amdhsa_user_sgpr_private_segment_size 0
		.amdhsa_uses_dynamic_stack 0
		.amdhsa_system_sgpr_private_segment_wavefront_offset 0
		.amdhsa_system_sgpr_workgroup_id_x 1
		.amdhsa_system_sgpr_workgroup_id_y 0
		.amdhsa_system_sgpr_workgroup_id_z 0
		.amdhsa_system_sgpr_workgroup_info 0
		.amdhsa_system_vgpr_workitem_id 0
		.amdhsa_next_free_vgpr 1
		.amdhsa_next_free_sgpr 0
		.amdhsa_reserve_vcc 0
		.amdhsa_reserve_flat_scratch 0
		.amdhsa_float_round_mode_32 0
		.amdhsa_float_round_mode_16_64 0
		.amdhsa_float_denorm_mode_32 3
		.amdhsa_float_denorm_mode_16_64 3
		.amdhsa_dx10_clamp 1
		.amdhsa_ieee_mode 1
		.amdhsa_fp16_overflow 0
		.amdhsa_exception_fp_ieee_invalid_op 0
		.amdhsa_exception_fp_denorm_src 0
		.amdhsa_exception_fp_ieee_div_zero 0
		.amdhsa_exception_fp_ieee_overflow 0
		.amdhsa_exception_fp_ieee_underflow 0
		.amdhsa_exception_fp_ieee_inexact 0
		.amdhsa_exception_int_div_zero 0
	.end_amdhsa_kernel
	.section	.text._ZN7rocprim17ROCPRIM_400000_NS6detail17trampoline_kernelINS0_14default_configENS1_22reduce_config_selectorIiEEZNS1_11reduce_implILb1ES3_N6thrust23THRUST_200600_302600_NS11hip_rocprim35transform_pair_of_input_iterators_tIiPhSB_NS8_12not_equal_toIhEEEEPiiNS8_4plusIiEEEE10hipError_tPvRmT1_T2_T3_mT4_P12ihipStream_tbEUlT_E1_NS1_11comp_targetILNS1_3genE0ELNS1_11target_archE4294967295ELNS1_3gpuE0ELNS1_3repE0EEENS1_30default_config_static_selectorELNS0_4arch9wavefront6targetE1EEEvSL_,"axG",@progbits,_ZN7rocprim17ROCPRIM_400000_NS6detail17trampoline_kernelINS0_14default_configENS1_22reduce_config_selectorIiEEZNS1_11reduce_implILb1ES3_N6thrust23THRUST_200600_302600_NS11hip_rocprim35transform_pair_of_input_iterators_tIiPhSB_NS8_12not_equal_toIhEEEEPiiNS8_4plusIiEEEE10hipError_tPvRmT1_T2_T3_mT4_P12ihipStream_tbEUlT_E1_NS1_11comp_targetILNS1_3genE0ELNS1_11target_archE4294967295ELNS1_3gpuE0ELNS1_3repE0EEENS1_30default_config_static_selectorELNS0_4arch9wavefront6targetE1EEEvSL_,comdat
.Lfunc_end345:
	.size	_ZN7rocprim17ROCPRIM_400000_NS6detail17trampoline_kernelINS0_14default_configENS1_22reduce_config_selectorIiEEZNS1_11reduce_implILb1ES3_N6thrust23THRUST_200600_302600_NS11hip_rocprim35transform_pair_of_input_iterators_tIiPhSB_NS8_12not_equal_toIhEEEEPiiNS8_4plusIiEEEE10hipError_tPvRmT1_T2_T3_mT4_P12ihipStream_tbEUlT_E1_NS1_11comp_targetILNS1_3genE0ELNS1_11target_archE4294967295ELNS1_3gpuE0ELNS1_3repE0EEENS1_30default_config_static_selectorELNS0_4arch9wavefront6targetE1EEEvSL_, .Lfunc_end345-_ZN7rocprim17ROCPRIM_400000_NS6detail17trampoline_kernelINS0_14default_configENS1_22reduce_config_selectorIiEEZNS1_11reduce_implILb1ES3_N6thrust23THRUST_200600_302600_NS11hip_rocprim35transform_pair_of_input_iterators_tIiPhSB_NS8_12not_equal_toIhEEEEPiiNS8_4plusIiEEEE10hipError_tPvRmT1_T2_T3_mT4_P12ihipStream_tbEUlT_E1_NS1_11comp_targetILNS1_3genE0ELNS1_11target_archE4294967295ELNS1_3gpuE0ELNS1_3repE0EEENS1_30default_config_static_selectorELNS0_4arch9wavefront6targetE1EEEvSL_
                                        ; -- End function
	.set _ZN7rocprim17ROCPRIM_400000_NS6detail17trampoline_kernelINS0_14default_configENS1_22reduce_config_selectorIiEEZNS1_11reduce_implILb1ES3_N6thrust23THRUST_200600_302600_NS11hip_rocprim35transform_pair_of_input_iterators_tIiPhSB_NS8_12not_equal_toIhEEEEPiiNS8_4plusIiEEEE10hipError_tPvRmT1_T2_T3_mT4_P12ihipStream_tbEUlT_E1_NS1_11comp_targetILNS1_3genE0ELNS1_11target_archE4294967295ELNS1_3gpuE0ELNS1_3repE0EEENS1_30default_config_static_selectorELNS0_4arch9wavefront6targetE1EEEvSL_.num_vgpr, 0
	.set _ZN7rocprim17ROCPRIM_400000_NS6detail17trampoline_kernelINS0_14default_configENS1_22reduce_config_selectorIiEEZNS1_11reduce_implILb1ES3_N6thrust23THRUST_200600_302600_NS11hip_rocprim35transform_pair_of_input_iterators_tIiPhSB_NS8_12not_equal_toIhEEEEPiiNS8_4plusIiEEEE10hipError_tPvRmT1_T2_T3_mT4_P12ihipStream_tbEUlT_E1_NS1_11comp_targetILNS1_3genE0ELNS1_11target_archE4294967295ELNS1_3gpuE0ELNS1_3repE0EEENS1_30default_config_static_selectorELNS0_4arch9wavefront6targetE1EEEvSL_.num_agpr, 0
	.set _ZN7rocprim17ROCPRIM_400000_NS6detail17trampoline_kernelINS0_14default_configENS1_22reduce_config_selectorIiEEZNS1_11reduce_implILb1ES3_N6thrust23THRUST_200600_302600_NS11hip_rocprim35transform_pair_of_input_iterators_tIiPhSB_NS8_12not_equal_toIhEEEEPiiNS8_4plusIiEEEE10hipError_tPvRmT1_T2_T3_mT4_P12ihipStream_tbEUlT_E1_NS1_11comp_targetILNS1_3genE0ELNS1_11target_archE4294967295ELNS1_3gpuE0ELNS1_3repE0EEENS1_30default_config_static_selectorELNS0_4arch9wavefront6targetE1EEEvSL_.numbered_sgpr, 0
	.set _ZN7rocprim17ROCPRIM_400000_NS6detail17trampoline_kernelINS0_14default_configENS1_22reduce_config_selectorIiEEZNS1_11reduce_implILb1ES3_N6thrust23THRUST_200600_302600_NS11hip_rocprim35transform_pair_of_input_iterators_tIiPhSB_NS8_12not_equal_toIhEEEEPiiNS8_4plusIiEEEE10hipError_tPvRmT1_T2_T3_mT4_P12ihipStream_tbEUlT_E1_NS1_11comp_targetILNS1_3genE0ELNS1_11target_archE4294967295ELNS1_3gpuE0ELNS1_3repE0EEENS1_30default_config_static_selectorELNS0_4arch9wavefront6targetE1EEEvSL_.num_named_barrier, 0
	.set _ZN7rocprim17ROCPRIM_400000_NS6detail17trampoline_kernelINS0_14default_configENS1_22reduce_config_selectorIiEEZNS1_11reduce_implILb1ES3_N6thrust23THRUST_200600_302600_NS11hip_rocprim35transform_pair_of_input_iterators_tIiPhSB_NS8_12not_equal_toIhEEEEPiiNS8_4plusIiEEEE10hipError_tPvRmT1_T2_T3_mT4_P12ihipStream_tbEUlT_E1_NS1_11comp_targetILNS1_3genE0ELNS1_11target_archE4294967295ELNS1_3gpuE0ELNS1_3repE0EEENS1_30default_config_static_selectorELNS0_4arch9wavefront6targetE1EEEvSL_.private_seg_size, 0
	.set _ZN7rocprim17ROCPRIM_400000_NS6detail17trampoline_kernelINS0_14default_configENS1_22reduce_config_selectorIiEEZNS1_11reduce_implILb1ES3_N6thrust23THRUST_200600_302600_NS11hip_rocprim35transform_pair_of_input_iterators_tIiPhSB_NS8_12not_equal_toIhEEEEPiiNS8_4plusIiEEEE10hipError_tPvRmT1_T2_T3_mT4_P12ihipStream_tbEUlT_E1_NS1_11comp_targetILNS1_3genE0ELNS1_11target_archE4294967295ELNS1_3gpuE0ELNS1_3repE0EEENS1_30default_config_static_selectorELNS0_4arch9wavefront6targetE1EEEvSL_.uses_vcc, 0
	.set _ZN7rocprim17ROCPRIM_400000_NS6detail17trampoline_kernelINS0_14default_configENS1_22reduce_config_selectorIiEEZNS1_11reduce_implILb1ES3_N6thrust23THRUST_200600_302600_NS11hip_rocprim35transform_pair_of_input_iterators_tIiPhSB_NS8_12not_equal_toIhEEEEPiiNS8_4plusIiEEEE10hipError_tPvRmT1_T2_T3_mT4_P12ihipStream_tbEUlT_E1_NS1_11comp_targetILNS1_3genE0ELNS1_11target_archE4294967295ELNS1_3gpuE0ELNS1_3repE0EEENS1_30default_config_static_selectorELNS0_4arch9wavefront6targetE1EEEvSL_.uses_flat_scratch, 0
	.set _ZN7rocprim17ROCPRIM_400000_NS6detail17trampoline_kernelINS0_14default_configENS1_22reduce_config_selectorIiEEZNS1_11reduce_implILb1ES3_N6thrust23THRUST_200600_302600_NS11hip_rocprim35transform_pair_of_input_iterators_tIiPhSB_NS8_12not_equal_toIhEEEEPiiNS8_4plusIiEEEE10hipError_tPvRmT1_T2_T3_mT4_P12ihipStream_tbEUlT_E1_NS1_11comp_targetILNS1_3genE0ELNS1_11target_archE4294967295ELNS1_3gpuE0ELNS1_3repE0EEENS1_30default_config_static_selectorELNS0_4arch9wavefront6targetE1EEEvSL_.has_dyn_sized_stack, 0
	.set _ZN7rocprim17ROCPRIM_400000_NS6detail17trampoline_kernelINS0_14default_configENS1_22reduce_config_selectorIiEEZNS1_11reduce_implILb1ES3_N6thrust23THRUST_200600_302600_NS11hip_rocprim35transform_pair_of_input_iterators_tIiPhSB_NS8_12not_equal_toIhEEEEPiiNS8_4plusIiEEEE10hipError_tPvRmT1_T2_T3_mT4_P12ihipStream_tbEUlT_E1_NS1_11comp_targetILNS1_3genE0ELNS1_11target_archE4294967295ELNS1_3gpuE0ELNS1_3repE0EEENS1_30default_config_static_selectorELNS0_4arch9wavefront6targetE1EEEvSL_.has_recursion, 0
	.set _ZN7rocprim17ROCPRIM_400000_NS6detail17trampoline_kernelINS0_14default_configENS1_22reduce_config_selectorIiEEZNS1_11reduce_implILb1ES3_N6thrust23THRUST_200600_302600_NS11hip_rocprim35transform_pair_of_input_iterators_tIiPhSB_NS8_12not_equal_toIhEEEEPiiNS8_4plusIiEEEE10hipError_tPvRmT1_T2_T3_mT4_P12ihipStream_tbEUlT_E1_NS1_11comp_targetILNS1_3genE0ELNS1_11target_archE4294967295ELNS1_3gpuE0ELNS1_3repE0EEENS1_30default_config_static_selectorELNS0_4arch9wavefront6targetE1EEEvSL_.has_indirect_call, 0
	.section	.AMDGPU.csdata,"",@progbits
; Kernel info:
; codeLenInByte = 0
; TotalNumSgprs: 4
; NumVgprs: 0
; ScratchSize: 0
; MemoryBound: 0
; FloatMode: 240
; IeeeMode: 1
; LDSByteSize: 0 bytes/workgroup (compile time only)
; SGPRBlocks: 0
; VGPRBlocks: 0
; NumSGPRsForWavesPerEU: 4
; NumVGPRsForWavesPerEU: 1
; Occupancy: 10
; WaveLimiterHint : 0
; COMPUTE_PGM_RSRC2:SCRATCH_EN: 0
; COMPUTE_PGM_RSRC2:USER_SGPR: 6
; COMPUTE_PGM_RSRC2:TRAP_HANDLER: 0
; COMPUTE_PGM_RSRC2:TGID_X_EN: 1
; COMPUTE_PGM_RSRC2:TGID_Y_EN: 0
; COMPUTE_PGM_RSRC2:TGID_Z_EN: 0
; COMPUTE_PGM_RSRC2:TIDIG_COMP_CNT: 0
	.section	.text._ZN7rocprim17ROCPRIM_400000_NS6detail17trampoline_kernelINS0_14default_configENS1_22reduce_config_selectorIiEEZNS1_11reduce_implILb1ES3_N6thrust23THRUST_200600_302600_NS11hip_rocprim35transform_pair_of_input_iterators_tIiPhSB_NS8_12not_equal_toIhEEEEPiiNS8_4plusIiEEEE10hipError_tPvRmT1_T2_T3_mT4_P12ihipStream_tbEUlT_E1_NS1_11comp_targetILNS1_3genE5ELNS1_11target_archE942ELNS1_3gpuE9ELNS1_3repE0EEENS1_30default_config_static_selectorELNS0_4arch9wavefront6targetE1EEEvSL_,"axG",@progbits,_ZN7rocprim17ROCPRIM_400000_NS6detail17trampoline_kernelINS0_14default_configENS1_22reduce_config_selectorIiEEZNS1_11reduce_implILb1ES3_N6thrust23THRUST_200600_302600_NS11hip_rocprim35transform_pair_of_input_iterators_tIiPhSB_NS8_12not_equal_toIhEEEEPiiNS8_4plusIiEEEE10hipError_tPvRmT1_T2_T3_mT4_P12ihipStream_tbEUlT_E1_NS1_11comp_targetILNS1_3genE5ELNS1_11target_archE942ELNS1_3gpuE9ELNS1_3repE0EEENS1_30default_config_static_selectorELNS0_4arch9wavefront6targetE1EEEvSL_,comdat
	.protected	_ZN7rocprim17ROCPRIM_400000_NS6detail17trampoline_kernelINS0_14default_configENS1_22reduce_config_selectorIiEEZNS1_11reduce_implILb1ES3_N6thrust23THRUST_200600_302600_NS11hip_rocprim35transform_pair_of_input_iterators_tIiPhSB_NS8_12not_equal_toIhEEEEPiiNS8_4plusIiEEEE10hipError_tPvRmT1_T2_T3_mT4_P12ihipStream_tbEUlT_E1_NS1_11comp_targetILNS1_3genE5ELNS1_11target_archE942ELNS1_3gpuE9ELNS1_3repE0EEENS1_30default_config_static_selectorELNS0_4arch9wavefront6targetE1EEEvSL_ ; -- Begin function _ZN7rocprim17ROCPRIM_400000_NS6detail17trampoline_kernelINS0_14default_configENS1_22reduce_config_selectorIiEEZNS1_11reduce_implILb1ES3_N6thrust23THRUST_200600_302600_NS11hip_rocprim35transform_pair_of_input_iterators_tIiPhSB_NS8_12not_equal_toIhEEEEPiiNS8_4plusIiEEEE10hipError_tPvRmT1_T2_T3_mT4_P12ihipStream_tbEUlT_E1_NS1_11comp_targetILNS1_3genE5ELNS1_11target_archE942ELNS1_3gpuE9ELNS1_3repE0EEENS1_30default_config_static_selectorELNS0_4arch9wavefront6targetE1EEEvSL_
	.globl	_ZN7rocprim17ROCPRIM_400000_NS6detail17trampoline_kernelINS0_14default_configENS1_22reduce_config_selectorIiEEZNS1_11reduce_implILb1ES3_N6thrust23THRUST_200600_302600_NS11hip_rocprim35transform_pair_of_input_iterators_tIiPhSB_NS8_12not_equal_toIhEEEEPiiNS8_4plusIiEEEE10hipError_tPvRmT1_T2_T3_mT4_P12ihipStream_tbEUlT_E1_NS1_11comp_targetILNS1_3genE5ELNS1_11target_archE942ELNS1_3gpuE9ELNS1_3repE0EEENS1_30default_config_static_selectorELNS0_4arch9wavefront6targetE1EEEvSL_
	.p2align	8
	.type	_ZN7rocprim17ROCPRIM_400000_NS6detail17trampoline_kernelINS0_14default_configENS1_22reduce_config_selectorIiEEZNS1_11reduce_implILb1ES3_N6thrust23THRUST_200600_302600_NS11hip_rocprim35transform_pair_of_input_iterators_tIiPhSB_NS8_12not_equal_toIhEEEEPiiNS8_4plusIiEEEE10hipError_tPvRmT1_T2_T3_mT4_P12ihipStream_tbEUlT_E1_NS1_11comp_targetILNS1_3genE5ELNS1_11target_archE942ELNS1_3gpuE9ELNS1_3repE0EEENS1_30default_config_static_selectorELNS0_4arch9wavefront6targetE1EEEvSL_,@function
_ZN7rocprim17ROCPRIM_400000_NS6detail17trampoline_kernelINS0_14default_configENS1_22reduce_config_selectorIiEEZNS1_11reduce_implILb1ES3_N6thrust23THRUST_200600_302600_NS11hip_rocprim35transform_pair_of_input_iterators_tIiPhSB_NS8_12not_equal_toIhEEEEPiiNS8_4plusIiEEEE10hipError_tPvRmT1_T2_T3_mT4_P12ihipStream_tbEUlT_E1_NS1_11comp_targetILNS1_3genE5ELNS1_11target_archE942ELNS1_3gpuE9ELNS1_3repE0EEENS1_30default_config_static_selectorELNS0_4arch9wavefront6targetE1EEEvSL_: ; @_ZN7rocprim17ROCPRIM_400000_NS6detail17trampoline_kernelINS0_14default_configENS1_22reduce_config_selectorIiEEZNS1_11reduce_implILb1ES3_N6thrust23THRUST_200600_302600_NS11hip_rocprim35transform_pair_of_input_iterators_tIiPhSB_NS8_12not_equal_toIhEEEEPiiNS8_4plusIiEEEE10hipError_tPvRmT1_T2_T3_mT4_P12ihipStream_tbEUlT_E1_NS1_11comp_targetILNS1_3genE5ELNS1_11target_archE942ELNS1_3gpuE9ELNS1_3repE0EEENS1_30default_config_static_selectorELNS0_4arch9wavefront6targetE1EEEvSL_
; %bb.0:
	.section	.rodata,"a",@progbits
	.p2align	6, 0x0
	.amdhsa_kernel _ZN7rocprim17ROCPRIM_400000_NS6detail17trampoline_kernelINS0_14default_configENS1_22reduce_config_selectorIiEEZNS1_11reduce_implILb1ES3_N6thrust23THRUST_200600_302600_NS11hip_rocprim35transform_pair_of_input_iterators_tIiPhSB_NS8_12not_equal_toIhEEEEPiiNS8_4plusIiEEEE10hipError_tPvRmT1_T2_T3_mT4_P12ihipStream_tbEUlT_E1_NS1_11comp_targetILNS1_3genE5ELNS1_11target_archE942ELNS1_3gpuE9ELNS1_3repE0EEENS1_30default_config_static_selectorELNS0_4arch9wavefront6targetE1EEEvSL_
		.amdhsa_group_segment_fixed_size 0
		.amdhsa_private_segment_fixed_size 0
		.amdhsa_kernarg_size 56
		.amdhsa_user_sgpr_count 6
		.amdhsa_user_sgpr_private_segment_buffer 1
		.amdhsa_user_sgpr_dispatch_ptr 0
		.amdhsa_user_sgpr_queue_ptr 0
		.amdhsa_user_sgpr_kernarg_segment_ptr 1
		.amdhsa_user_sgpr_dispatch_id 0
		.amdhsa_user_sgpr_flat_scratch_init 0
		.amdhsa_user_sgpr_private_segment_size 0
		.amdhsa_uses_dynamic_stack 0
		.amdhsa_system_sgpr_private_segment_wavefront_offset 0
		.amdhsa_system_sgpr_workgroup_id_x 1
		.amdhsa_system_sgpr_workgroup_id_y 0
		.amdhsa_system_sgpr_workgroup_id_z 0
		.amdhsa_system_sgpr_workgroup_info 0
		.amdhsa_system_vgpr_workitem_id 0
		.amdhsa_next_free_vgpr 1
		.amdhsa_next_free_sgpr 0
		.amdhsa_reserve_vcc 0
		.amdhsa_reserve_flat_scratch 0
		.amdhsa_float_round_mode_32 0
		.amdhsa_float_round_mode_16_64 0
		.amdhsa_float_denorm_mode_32 3
		.amdhsa_float_denorm_mode_16_64 3
		.amdhsa_dx10_clamp 1
		.amdhsa_ieee_mode 1
		.amdhsa_fp16_overflow 0
		.amdhsa_exception_fp_ieee_invalid_op 0
		.amdhsa_exception_fp_denorm_src 0
		.amdhsa_exception_fp_ieee_div_zero 0
		.amdhsa_exception_fp_ieee_overflow 0
		.amdhsa_exception_fp_ieee_underflow 0
		.amdhsa_exception_fp_ieee_inexact 0
		.amdhsa_exception_int_div_zero 0
	.end_amdhsa_kernel
	.section	.text._ZN7rocprim17ROCPRIM_400000_NS6detail17trampoline_kernelINS0_14default_configENS1_22reduce_config_selectorIiEEZNS1_11reduce_implILb1ES3_N6thrust23THRUST_200600_302600_NS11hip_rocprim35transform_pair_of_input_iterators_tIiPhSB_NS8_12not_equal_toIhEEEEPiiNS8_4plusIiEEEE10hipError_tPvRmT1_T2_T3_mT4_P12ihipStream_tbEUlT_E1_NS1_11comp_targetILNS1_3genE5ELNS1_11target_archE942ELNS1_3gpuE9ELNS1_3repE0EEENS1_30default_config_static_selectorELNS0_4arch9wavefront6targetE1EEEvSL_,"axG",@progbits,_ZN7rocprim17ROCPRIM_400000_NS6detail17trampoline_kernelINS0_14default_configENS1_22reduce_config_selectorIiEEZNS1_11reduce_implILb1ES3_N6thrust23THRUST_200600_302600_NS11hip_rocprim35transform_pair_of_input_iterators_tIiPhSB_NS8_12not_equal_toIhEEEEPiiNS8_4plusIiEEEE10hipError_tPvRmT1_T2_T3_mT4_P12ihipStream_tbEUlT_E1_NS1_11comp_targetILNS1_3genE5ELNS1_11target_archE942ELNS1_3gpuE9ELNS1_3repE0EEENS1_30default_config_static_selectorELNS0_4arch9wavefront6targetE1EEEvSL_,comdat
.Lfunc_end346:
	.size	_ZN7rocprim17ROCPRIM_400000_NS6detail17trampoline_kernelINS0_14default_configENS1_22reduce_config_selectorIiEEZNS1_11reduce_implILb1ES3_N6thrust23THRUST_200600_302600_NS11hip_rocprim35transform_pair_of_input_iterators_tIiPhSB_NS8_12not_equal_toIhEEEEPiiNS8_4plusIiEEEE10hipError_tPvRmT1_T2_T3_mT4_P12ihipStream_tbEUlT_E1_NS1_11comp_targetILNS1_3genE5ELNS1_11target_archE942ELNS1_3gpuE9ELNS1_3repE0EEENS1_30default_config_static_selectorELNS0_4arch9wavefront6targetE1EEEvSL_, .Lfunc_end346-_ZN7rocprim17ROCPRIM_400000_NS6detail17trampoline_kernelINS0_14default_configENS1_22reduce_config_selectorIiEEZNS1_11reduce_implILb1ES3_N6thrust23THRUST_200600_302600_NS11hip_rocprim35transform_pair_of_input_iterators_tIiPhSB_NS8_12not_equal_toIhEEEEPiiNS8_4plusIiEEEE10hipError_tPvRmT1_T2_T3_mT4_P12ihipStream_tbEUlT_E1_NS1_11comp_targetILNS1_3genE5ELNS1_11target_archE942ELNS1_3gpuE9ELNS1_3repE0EEENS1_30default_config_static_selectorELNS0_4arch9wavefront6targetE1EEEvSL_
                                        ; -- End function
	.set _ZN7rocprim17ROCPRIM_400000_NS6detail17trampoline_kernelINS0_14default_configENS1_22reduce_config_selectorIiEEZNS1_11reduce_implILb1ES3_N6thrust23THRUST_200600_302600_NS11hip_rocprim35transform_pair_of_input_iterators_tIiPhSB_NS8_12not_equal_toIhEEEEPiiNS8_4plusIiEEEE10hipError_tPvRmT1_T2_T3_mT4_P12ihipStream_tbEUlT_E1_NS1_11comp_targetILNS1_3genE5ELNS1_11target_archE942ELNS1_3gpuE9ELNS1_3repE0EEENS1_30default_config_static_selectorELNS0_4arch9wavefront6targetE1EEEvSL_.num_vgpr, 0
	.set _ZN7rocprim17ROCPRIM_400000_NS6detail17trampoline_kernelINS0_14default_configENS1_22reduce_config_selectorIiEEZNS1_11reduce_implILb1ES3_N6thrust23THRUST_200600_302600_NS11hip_rocprim35transform_pair_of_input_iterators_tIiPhSB_NS8_12not_equal_toIhEEEEPiiNS8_4plusIiEEEE10hipError_tPvRmT1_T2_T3_mT4_P12ihipStream_tbEUlT_E1_NS1_11comp_targetILNS1_3genE5ELNS1_11target_archE942ELNS1_3gpuE9ELNS1_3repE0EEENS1_30default_config_static_selectorELNS0_4arch9wavefront6targetE1EEEvSL_.num_agpr, 0
	.set _ZN7rocprim17ROCPRIM_400000_NS6detail17trampoline_kernelINS0_14default_configENS1_22reduce_config_selectorIiEEZNS1_11reduce_implILb1ES3_N6thrust23THRUST_200600_302600_NS11hip_rocprim35transform_pair_of_input_iterators_tIiPhSB_NS8_12not_equal_toIhEEEEPiiNS8_4plusIiEEEE10hipError_tPvRmT1_T2_T3_mT4_P12ihipStream_tbEUlT_E1_NS1_11comp_targetILNS1_3genE5ELNS1_11target_archE942ELNS1_3gpuE9ELNS1_3repE0EEENS1_30default_config_static_selectorELNS0_4arch9wavefront6targetE1EEEvSL_.numbered_sgpr, 0
	.set _ZN7rocprim17ROCPRIM_400000_NS6detail17trampoline_kernelINS0_14default_configENS1_22reduce_config_selectorIiEEZNS1_11reduce_implILb1ES3_N6thrust23THRUST_200600_302600_NS11hip_rocprim35transform_pair_of_input_iterators_tIiPhSB_NS8_12not_equal_toIhEEEEPiiNS8_4plusIiEEEE10hipError_tPvRmT1_T2_T3_mT4_P12ihipStream_tbEUlT_E1_NS1_11comp_targetILNS1_3genE5ELNS1_11target_archE942ELNS1_3gpuE9ELNS1_3repE0EEENS1_30default_config_static_selectorELNS0_4arch9wavefront6targetE1EEEvSL_.num_named_barrier, 0
	.set _ZN7rocprim17ROCPRIM_400000_NS6detail17trampoline_kernelINS0_14default_configENS1_22reduce_config_selectorIiEEZNS1_11reduce_implILb1ES3_N6thrust23THRUST_200600_302600_NS11hip_rocprim35transform_pair_of_input_iterators_tIiPhSB_NS8_12not_equal_toIhEEEEPiiNS8_4plusIiEEEE10hipError_tPvRmT1_T2_T3_mT4_P12ihipStream_tbEUlT_E1_NS1_11comp_targetILNS1_3genE5ELNS1_11target_archE942ELNS1_3gpuE9ELNS1_3repE0EEENS1_30default_config_static_selectorELNS0_4arch9wavefront6targetE1EEEvSL_.private_seg_size, 0
	.set _ZN7rocprim17ROCPRIM_400000_NS6detail17trampoline_kernelINS0_14default_configENS1_22reduce_config_selectorIiEEZNS1_11reduce_implILb1ES3_N6thrust23THRUST_200600_302600_NS11hip_rocprim35transform_pair_of_input_iterators_tIiPhSB_NS8_12not_equal_toIhEEEEPiiNS8_4plusIiEEEE10hipError_tPvRmT1_T2_T3_mT4_P12ihipStream_tbEUlT_E1_NS1_11comp_targetILNS1_3genE5ELNS1_11target_archE942ELNS1_3gpuE9ELNS1_3repE0EEENS1_30default_config_static_selectorELNS0_4arch9wavefront6targetE1EEEvSL_.uses_vcc, 0
	.set _ZN7rocprim17ROCPRIM_400000_NS6detail17trampoline_kernelINS0_14default_configENS1_22reduce_config_selectorIiEEZNS1_11reduce_implILb1ES3_N6thrust23THRUST_200600_302600_NS11hip_rocprim35transform_pair_of_input_iterators_tIiPhSB_NS8_12not_equal_toIhEEEEPiiNS8_4plusIiEEEE10hipError_tPvRmT1_T2_T3_mT4_P12ihipStream_tbEUlT_E1_NS1_11comp_targetILNS1_3genE5ELNS1_11target_archE942ELNS1_3gpuE9ELNS1_3repE0EEENS1_30default_config_static_selectorELNS0_4arch9wavefront6targetE1EEEvSL_.uses_flat_scratch, 0
	.set _ZN7rocprim17ROCPRIM_400000_NS6detail17trampoline_kernelINS0_14default_configENS1_22reduce_config_selectorIiEEZNS1_11reduce_implILb1ES3_N6thrust23THRUST_200600_302600_NS11hip_rocprim35transform_pair_of_input_iterators_tIiPhSB_NS8_12not_equal_toIhEEEEPiiNS8_4plusIiEEEE10hipError_tPvRmT1_T2_T3_mT4_P12ihipStream_tbEUlT_E1_NS1_11comp_targetILNS1_3genE5ELNS1_11target_archE942ELNS1_3gpuE9ELNS1_3repE0EEENS1_30default_config_static_selectorELNS0_4arch9wavefront6targetE1EEEvSL_.has_dyn_sized_stack, 0
	.set _ZN7rocprim17ROCPRIM_400000_NS6detail17trampoline_kernelINS0_14default_configENS1_22reduce_config_selectorIiEEZNS1_11reduce_implILb1ES3_N6thrust23THRUST_200600_302600_NS11hip_rocprim35transform_pair_of_input_iterators_tIiPhSB_NS8_12not_equal_toIhEEEEPiiNS8_4plusIiEEEE10hipError_tPvRmT1_T2_T3_mT4_P12ihipStream_tbEUlT_E1_NS1_11comp_targetILNS1_3genE5ELNS1_11target_archE942ELNS1_3gpuE9ELNS1_3repE0EEENS1_30default_config_static_selectorELNS0_4arch9wavefront6targetE1EEEvSL_.has_recursion, 0
	.set _ZN7rocprim17ROCPRIM_400000_NS6detail17trampoline_kernelINS0_14default_configENS1_22reduce_config_selectorIiEEZNS1_11reduce_implILb1ES3_N6thrust23THRUST_200600_302600_NS11hip_rocprim35transform_pair_of_input_iterators_tIiPhSB_NS8_12not_equal_toIhEEEEPiiNS8_4plusIiEEEE10hipError_tPvRmT1_T2_T3_mT4_P12ihipStream_tbEUlT_E1_NS1_11comp_targetILNS1_3genE5ELNS1_11target_archE942ELNS1_3gpuE9ELNS1_3repE0EEENS1_30default_config_static_selectorELNS0_4arch9wavefront6targetE1EEEvSL_.has_indirect_call, 0
	.section	.AMDGPU.csdata,"",@progbits
; Kernel info:
; codeLenInByte = 0
; TotalNumSgprs: 4
; NumVgprs: 0
; ScratchSize: 0
; MemoryBound: 0
; FloatMode: 240
; IeeeMode: 1
; LDSByteSize: 0 bytes/workgroup (compile time only)
; SGPRBlocks: 0
; VGPRBlocks: 0
; NumSGPRsForWavesPerEU: 4
; NumVGPRsForWavesPerEU: 1
; Occupancy: 10
; WaveLimiterHint : 0
; COMPUTE_PGM_RSRC2:SCRATCH_EN: 0
; COMPUTE_PGM_RSRC2:USER_SGPR: 6
; COMPUTE_PGM_RSRC2:TRAP_HANDLER: 0
; COMPUTE_PGM_RSRC2:TGID_X_EN: 1
; COMPUTE_PGM_RSRC2:TGID_Y_EN: 0
; COMPUTE_PGM_RSRC2:TGID_Z_EN: 0
; COMPUTE_PGM_RSRC2:TIDIG_COMP_CNT: 0
	.section	.text._ZN7rocprim17ROCPRIM_400000_NS6detail17trampoline_kernelINS0_14default_configENS1_22reduce_config_selectorIiEEZNS1_11reduce_implILb1ES3_N6thrust23THRUST_200600_302600_NS11hip_rocprim35transform_pair_of_input_iterators_tIiPhSB_NS8_12not_equal_toIhEEEEPiiNS8_4plusIiEEEE10hipError_tPvRmT1_T2_T3_mT4_P12ihipStream_tbEUlT_E1_NS1_11comp_targetILNS1_3genE4ELNS1_11target_archE910ELNS1_3gpuE8ELNS1_3repE0EEENS1_30default_config_static_selectorELNS0_4arch9wavefront6targetE1EEEvSL_,"axG",@progbits,_ZN7rocprim17ROCPRIM_400000_NS6detail17trampoline_kernelINS0_14default_configENS1_22reduce_config_selectorIiEEZNS1_11reduce_implILb1ES3_N6thrust23THRUST_200600_302600_NS11hip_rocprim35transform_pair_of_input_iterators_tIiPhSB_NS8_12not_equal_toIhEEEEPiiNS8_4plusIiEEEE10hipError_tPvRmT1_T2_T3_mT4_P12ihipStream_tbEUlT_E1_NS1_11comp_targetILNS1_3genE4ELNS1_11target_archE910ELNS1_3gpuE8ELNS1_3repE0EEENS1_30default_config_static_selectorELNS0_4arch9wavefront6targetE1EEEvSL_,comdat
	.protected	_ZN7rocprim17ROCPRIM_400000_NS6detail17trampoline_kernelINS0_14default_configENS1_22reduce_config_selectorIiEEZNS1_11reduce_implILb1ES3_N6thrust23THRUST_200600_302600_NS11hip_rocprim35transform_pair_of_input_iterators_tIiPhSB_NS8_12not_equal_toIhEEEEPiiNS8_4plusIiEEEE10hipError_tPvRmT1_T2_T3_mT4_P12ihipStream_tbEUlT_E1_NS1_11comp_targetILNS1_3genE4ELNS1_11target_archE910ELNS1_3gpuE8ELNS1_3repE0EEENS1_30default_config_static_selectorELNS0_4arch9wavefront6targetE1EEEvSL_ ; -- Begin function _ZN7rocprim17ROCPRIM_400000_NS6detail17trampoline_kernelINS0_14default_configENS1_22reduce_config_selectorIiEEZNS1_11reduce_implILb1ES3_N6thrust23THRUST_200600_302600_NS11hip_rocprim35transform_pair_of_input_iterators_tIiPhSB_NS8_12not_equal_toIhEEEEPiiNS8_4plusIiEEEE10hipError_tPvRmT1_T2_T3_mT4_P12ihipStream_tbEUlT_E1_NS1_11comp_targetILNS1_3genE4ELNS1_11target_archE910ELNS1_3gpuE8ELNS1_3repE0EEENS1_30default_config_static_selectorELNS0_4arch9wavefront6targetE1EEEvSL_
	.globl	_ZN7rocprim17ROCPRIM_400000_NS6detail17trampoline_kernelINS0_14default_configENS1_22reduce_config_selectorIiEEZNS1_11reduce_implILb1ES3_N6thrust23THRUST_200600_302600_NS11hip_rocprim35transform_pair_of_input_iterators_tIiPhSB_NS8_12not_equal_toIhEEEEPiiNS8_4plusIiEEEE10hipError_tPvRmT1_T2_T3_mT4_P12ihipStream_tbEUlT_E1_NS1_11comp_targetILNS1_3genE4ELNS1_11target_archE910ELNS1_3gpuE8ELNS1_3repE0EEENS1_30default_config_static_selectorELNS0_4arch9wavefront6targetE1EEEvSL_
	.p2align	8
	.type	_ZN7rocprim17ROCPRIM_400000_NS6detail17trampoline_kernelINS0_14default_configENS1_22reduce_config_selectorIiEEZNS1_11reduce_implILb1ES3_N6thrust23THRUST_200600_302600_NS11hip_rocprim35transform_pair_of_input_iterators_tIiPhSB_NS8_12not_equal_toIhEEEEPiiNS8_4plusIiEEEE10hipError_tPvRmT1_T2_T3_mT4_P12ihipStream_tbEUlT_E1_NS1_11comp_targetILNS1_3genE4ELNS1_11target_archE910ELNS1_3gpuE8ELNS1_3repE0EEENS1_30default_config_static_selectorELNS0_4arch9wavefront6targetE1EEEvSL_,@function
_ZN7rocprim17ROCPRIM_400000_NS6detail17trampoline_kernelINS0_14default_configENS1_22reduce_config_selectorIiEEZNS1_11reduce_implILb1ES3_N6thrust23THRUST_200600_302600_NS11hip_rocprim35transform_pair_of_input_iterators_tIiPhSB_NS8_12not_equal_toIhEEEEPiiNS8_4plusIiEEEE10hipError_tPvRmT1_T2_T3_mT4_P12ihipStream_tbEUlT_E1_NS1_11comp_targetILNS1_3genE4ELNS1_11target_archE910ELNS1_3gpuE8ELNS1_3repE0EEENS1_30default_config_static_selectorELNS0_4arch9wavefront6targetE1EEEvSL_: ; @_ZN7rocprim17ROCPRIM_400000_NS6detail17trampoline_kernelINS0_14default_configENS1_22reduce_config_selectorIiEEZNS1_11reduce_implILb1ES3_N6thrust23THRUST_200600_302600_NS11hip_rocprim35transform_pair_of_input_iterators_tIiPhSB_NS8_12not_equal_toIhEEEEPiiNS8_4plusIiEEEE10hipError_tPvRmT1_T2_T3_mT4_P12ihipStream_tbEUlT_E1_NS1_11comp_targetILNS1_3genE4ELNS1_11target_archE910ELNS1_3gpuE8ELNS1_3repE0EEENS1_30default_config_static_selectorELNS0_4arch9wavefront6targetE1EEEvSL_
; %bb.0:
	.section	.rodata,"a",@progbits
	.p2align	6, 0x0
	.amdhsa_kernel _ZN7rocprim17ROCPRIM_400000_NS6detail17trampoline_kernelINS0_14default_configENS1_22reduce_config_selectorIiEEZNS1_11reduce_implILb1ES3_N6thrust23THRUST_200600_302600_NS11hip_rocprim35transform_pair_of_input_iterators_tIiPhSB_NS8_12not_equal_toIhEEEEPiiNS8_4plusIiEEEE10hipError_tPvRmT1_T2_T3_mT4_P12ihipStream_tbEUlT_E1_NS1_11comp_targetILNS1_3genE4ELNS1_11target_archE910ELNS1_3gpuE8ELNS1_3repE0EEENS1_30default_config_static_selectorELNS0_4arch9wavefront6targetE1EEEvSL_
		.amdhsa_group_segment_fixed_size 0
		.amdhsa_private_segment_fixed_size 0
		.amdhsa_kernarg_size 56
		.amdhsa_user_sgpr_count 6
		.amdhsa_user_sgpr_private_segment_buffer 1
		.amdhsa_user_sgpr_dispatch_ptr 0
		.amdhsa_user_sgpr_queue_ptr 0
		.amdhsa_user_sgpr_kernarg_segment_ptr 1
		.amdhsa_user_sgpr_dispatch_id 0
		.amdhsa_user_sgpr_flat_scratch_init 0
		.amdhsa_user_sgpr_private_segment_size 0
		.amdhsa_uses_dynamic_stack 0
		.amdhsa_system_sgpr_private_segment_wavefront_offset 0
		.amdhsa_system_sgpr_workgroup_id_x 1
		.amdhsa_system_sgpr_workgroup_id_y 0
		.amdhsa_system_sgpr_workgroup_id_z 0
		.amdhsa_system_sgpr_workgroup_info 0
		.amdhsa_system_vgpr_workitem_id 0
		.amdhsa_next_free_vgpr 1
		.amdhsa_next_free_sgpr 0
		.amdhsa_reserve_vcc 0
		.amdhsa_reserve_flat_scratch 0
		.amdhsa_float_round_mode_32 0
		.amdhsa_float_round_mode_16_64 0
		.amdhsa_float_denorm_mode_32 3
		.amdhsa_float_denorm_mode_16_64 3
		.amdhsa_dx10_clamp 1
		.amdhsa_ieee_mode 1
		.amdhsa_fp16_overflow 0
		.amdhsa_exception_fp_ieee_invalid_op 0
		.amdhsa_exception_fp_denorm_src 0
		.amdhsa_exception_fp_ieee_div_zero 0
		.amdhsa_exception_fp_ieee_overflow 0
		.amdhsa_exception_fp_ieee_underflow 0
		.amdhsa_exception_fp_ieee_inexact 0
		.amdhsa_exception_int_div_zero 0
	.end_amdhsa_kernel
	.section	.text._ZN7rocprim17ROCPRIM_400000_NS6detail17trampoline_kernelINS0_14default_configENS1_22reduce_config_selectorIiEEZNS1_11reduce_implILb1ES3_N6thrust23THRUST_200600_302600_NS11hip_rocprim35transform_pair_of_input_iterators_tIiPhSB_NS8_12not_equal_toIhEEEEPiiNS8_4plusIiEEEE10hipError_tPvRmT1_T2_T3_mT4_P12ihipStream_tbEUlT_E1_NS1_11comp_targetILNS1_3genE4ELNS1_11target_archE910ELNS1_3gpuE8ELNS1_3repE0EEENS1_30default_config_static_selectorELNS0_4arch9wavefront6targetE1EEEvSL_,"axG",@progbits,_ZN7rocprim17ROCPRIM_400000_NS6detail17trampoline_kernelINS0_14default_configENS1_22reduce_config_selectorIiEEZNS1_11reduce_implILb1ES3_N6thrust23THRUST_200600_302600_NS11hip_rocprim35transform_pair_of_input_iterators_tIiPhSB_NS8_12not_equal_toIhEEEEPiiNS8_4plusIiEEEE10hipError_tPvRmT1_T2_T3_mT4_P12ihipStream_tbEUlT_E1_NS1_11comp_targetILNS1_3genE4ELNS1_11target_archE910ELNS1_3gpuE8ELNS1_3repE0EEENS1_30default_config_static_selectorELNS0_4arch9wavefront6targetE1EEEvSL_,comdat
.Lfunc_end347:
	.size	_ZN7rocprim17ROCPRIM_400000_NS6detail17trampoline_kernelINS0_14default_configENS1_22reduce_config_selectorIiEEZNS1_11reduce_implILb1ES3_N6thrust23THRUST_200600_302600_NS11hip_rocprim35transform_pair_of_input_iterators_tIiPhSB_NS8_12not_equal_toIhEEEEPiiNS8_4plusIiEEEE10hipError_tPvRmT1_T2_T3_mT4_P12ihipStream_tbEUlT_E1_NS1_11comp_targetILNS1_3genE4ELNS1_11target_archE910ELNS1_3gpuE8ELNS1_3repE0EEENS1_30default_config_static_selectorELNS0_4arch9wavefront6targetE1EEEvSL_, .Lfunc_end347-_ZN7rocprim17ROCPRIM_400000_NS6detail17trampoline_kernelINS0_14default_configENS1_22reduce_config_selectorIiEEZNS1_11reduce_implILb1ES3_N6thrust23THRUST_200600_302600_NS11hip_rocprim35transform_pair_of_input_iterators_tIiPhSB_NS8_12not_equal_toIhEEEEPiiNS8_4plusIiEEEE10hipError_tPvRmT1_T2_T3_mT4_P12ihipStream_tbEUlT_E1_NS1_11comp_targetILNS1_3genE4ELNS1_11target_archE910ELNS1_3gpuE8ELNS1_3repE0EEENS1_30default_config_static_selectorELNS0_4arch9wavefront6targetE1EEEvSL_
                                        ; -- End function
	.set _ZN7rocprim17ROCPRIM_400000_NS6detail17trampoline_kernelINS0_14default_configENS1_22reduce_config_selectorIiEEZNS1_11reduce_implILb1ES3_N6thrust23THRUST_200600_302600_NS11hip_rocprim35transform_pair_of_input_iterators_tIiPhSB_NS8_12not_equal_toIhEEEEPiiNS8_4plusIiEEEE10hipError_tPvRmT1_T2_T3_mT4_P12ihipStream_tbEUlT_E1_NS1_11comp_targetILNS1_3genE4ELNS1_11target_archE910ELNS1_3gpuE8ELNS1_3repE0EEENS1_30default_config_static_selectorELNS0_4arch9wavefront6targetE1EEEvSL_.num_vgpr, 0
	.set _ZN7rocprim17ROCPRIM_400000_NS6detail17trampoline_kernelINS0_14default_configENS1_22reduce_config_selectorIiEEZNS1_11reduce_implILb1ES3_N6thrust23THRUST_200600_302600_NS11hip_rocprim35transform_pair_of_input_iterators_tIiPhSB_NS8_12not_equal_toIhEEEEPiiNS8_4plusIiEEEE10hipError_tPvRmT1_T2_T3_mT4_P12ihipStream_tbEUlT_E1_NS1_11comp_targetILNS1_3genE4ELNS1_11target_archE910ELNS1_3gpuE8ELNS1_3repE0EEENS1_30default_config_static_selectorELNS0_4arch9wavefront6targetE1EEEvSL_.num_agpr, 0
	.set _ZN7rocprim17ROCPRIM_400000_NS6detail17trampoline_kernelINS0_14default_configENS1_22reduce_config_selectorIiEEZNS1_11reduce_implILb1ES3_N6thrust23THRUST_200600_302600_NS11hip_rocprim35transform_pair_of_input_iterators_tIiPhSB_NS8_12not_equal_toIhEEEEPiiNS8_4plusIiEEEE10hipError_tPvRmT1_T2_T3_mT4_P12ihipStream_tbEUlT_E1_NS1_11comp_targetILNS1_3genE4ELNS1_11target_archE910ELNS1_3gpuE8ELNS1_3repE0EEENS1_30default_config_static_selectorELNS0_4arch9wavefront6targetE1EEEvSL_.numbered_sgpr, 0
	.set _ZN7rocprim17ROCPRIM_400000_NS6detail17trampoline_kernelINS0_14default_configENS1_22reduce_config_selectorIiEEZNS1_11reduce_implILb1ES3_N6thrust23THRUST_200600_302600_NS11hip_rocprim35transform_pair_of_input_iterators_tIiPhSB_NS8_12not_equal_toIhEEEEPiiNS8_4plusIiEEEE10hipError_tPvRmT1_T2_T3_mT4_P12ihipStream_tbEUlT_E1_NS1_11comp_targetILNS1_3genE4ELNS1_11target_archE910ELNS1_3gpuE8ELNS1_3repE0EEENS1_30default_config_static_selectorELNS0_4arch9wavefront6targetE1EEEvSL_.num_named_barrier, 0
	.set _ZN7rocprim17ROCPRIM_400000_NS6detail17trampoline_kernelINS0_14default_configENS1_22reduce_config_selectorIiEEZNS1_11reduce_implILb1ES3_N6thrust23THRUST_200600_302600_NS11hip_rocprim35transform_pair_of_input_iterators_tIiPhSB_NS8_12not_equal_toIhEEEEPiiNS8_4plusIiEEEE10hipError_tPvRmT1_T2_T3_mT4_P12ihipStream_tbEUlT_E1_NS1_11comp_targetILNS1_3genE4ELNS1_11target_archE910ELNS1_3gpuE8ELNS1_3repE0EEENS1_30default_config_static_selectorELNS0_4arch9wavefront6targetE1EEEvSL_.private_seg_size, 0
	.set _ZN7rocprim17ROCPRIM_400000_NS6detail17trampoline_kernelINS0_14default_configENS1_22reduce_config_selectorIiEEZNS1_11reduce_implILb1ES3_N6thrust23THRUST_200600_302600_NS11hip_rocprim35transform_pair_of_input_iterators_tIiPhSB_NS8_12not_equal_toIhEEEEPiiNS8_4plusIiEEEE10hipError_tPvRmT1_T2_T3_mT4_P12ihipStream_tbEUlT_E1_NS1_11comp_targetILNS1_3genE4ELNS1_11target_archE910ELNS1_3gpuE8ELNS1_3repE0EEENS1_30default_config_static_selectorELNS0_4arch9wavefront6targetE1EEEvSL_.uses_vcc, 0
	.set _ZN7rocprim17ROCPRIM_400000_NS6detail17trampoline_kernelINS0_14default_configENS1_22reduce_config_selectorIiEEZNS1_11reduce_implILb1ES3_N6thrust23THRUST_200600_302600_NS11hip_rocprim35transform_pair_of_input_iterators_tIiPhSB_NS8_12not_equal_toIhEEEEPiiNS8_4plusIiEEEE10hipError_tPvRmT1_T2_T3_mT4_P12ihipStream_tbEUlT_E1_NS1_11comp_targetILNS1_3genE4ELNS1_11target_archE910ELNS1_3gpuE8ELNS1_3repE0EEENS1_30default_config_static_selectorELNS0_4arch9wavefront6targetE1EEEvSL_.uses_flat_scratch, 0
	.set _ZN7rocprim17ROCPRIM_400000_NS6detail17trampoline_kernelINS0_14default_configENS1_22reduce_config_selectorIiEEZNS1_11reduce_implILb1ES3_N6thrust23THRUST_200600_302600_NS11hip_rocprim35transform_pair_of_input_iterators_tIiPhSB_NS8_12not_equal_toIhEEEEPiiNS8_4plusIiEEEE10hipError_tPvRmT1_T2_T3_mT4_P12ihipStream_tbEUlT_E1_NS1_11comp_targetILNS1_3genE4ELNS1_11target_archE910ELNS1_3gpuE8ELNS1_3repE0EEENS1_30default_config_static_selectorELNS0_4arch9wavefront6targetE1EEEvSL_.has_dyn_sized_stack, 0
	.set _ZN7rocprim17ROCPRIM_400000_NS6detail17trampoline_kernelINS0_14default_configENS1_22reduce_config_selectorIiEEZNS1_11reduce_implILb1ES3_N6thrust23THRUST_200600_302600_NS11hip_rocprim35transform_pair_of_input_iterators_tIiPhSB_NS8_12not_equal_toIhEEEEPiiNS8_4plusIiEEEE10hipError_tPvRmT1_T2_T3_mT4_P12ihipStream_tbEUlT_E1_NS1_11comp_targetILNS1_3genE4ELNS1_11target_archE910ELNS1_3gpuE8ELNS1_3repE0EEENS1_30default_config_static_selectorELNS0_4arch9wavefront6targetE1EEEvSL_.has_recursion, 0
	.set _ZN7rocprim17ROCPRIM_400000_NS6detail17trampoline_kernelINS0_14default_configENS1_22reduce_config_selectorIiEEZNS1_11reduce_implILb1ES3_N6thrust23THRUST_200600_302600_NS11hip_rocprim35transform_pair_of_input_iterators_tIiPhSB_NS8_12not_equal_toIhEEEEPiiNS8_4plusIiEEEE10hipError_tPvRmT1_T2_T3_mT4_P12ihipStream_tbEUlT_E1_NS1_11comp_targetILNS1_3genE4ELNS1_11target_archE910ELNS1_3gpuE8ELNS1_3repE0EEENS1_30default_config_static_selectorELNS0_4arch9wavefront6targetE1EEEvSL_.has_indirect_call, 0
	.section	.AMDGPU.csdata,"",@progbits
; Kernel info:
; codeLenInByte = 0
; TotalNumSgprs: 4
; NumVgprs: 0
; ScratchSize: 0
; MemoryBound: 0
; FloatMode: 240
; IeeeMode: 1
; LDSByteSize: 0 bytes/workgroup (compile time only)
; SGPRBlocks: 0
; VGPRBlocks: 0
; NumSGPRsForWavesPerEU: 4
; NumVGPRsForWavesPerEU: 1
; Occupancy: 10
; WaveLimiterHint : 0
; COMPUTE_PGM_RSRC2:SCRATCH_EN: 0
; COMPUTE_PGM_RSRC2:USER_SGPR: 6
; COMPUTE_PGM_RSRC2:TRAP_HANDLER: 0
; COMPUTE_PGM_RSRC2:TGID_X_EN: 1
; COMPUTE_PGM_RSRC2:TGID_Y_EN: 0
; COMPUTE_PGM_RSRC2:TGID_Z_EN: 0
; COMPUTE_PGM_RSRC2:TIDIG_COMP_CNT: 0
	.section	.text._ZN7rocprim17ROCPRIM_400000_NS6detail17trampoline_kernelINS0_14default_configENS1_22reduce_config_selectorIiEEZNS1_11reduce_implILb1ES3_N6thrust23THRUST_200600_302600_NS11hip_rocprim35transform_pair_of_input_iterators_tIiPhSB_NS8_12not_equal_toIhEEEEPiiNS8_4plusIiEEEE10hipError_tPvRmT1_T2_T3_mT4_P12ihipStream_tbEUlT_E1_NS1_11comp_targetILNS1_3genE3ELNS1_11target_archE908ELNS1_3gpuE7ELNS1_3repE0EEENS1_30default_config_static_selectorELNS0_4arch9wavefront6targetE1EEEvSL_,"axG",@progbits,_ZN7rocprim17ROCPRIM_400000_NS6detail17trampoline_kernelINS0_14default_configENS1_22reduce_config_selectorIiEEZNS1_11reduce_implILb1ES3_N6thrust23THRUST_200600_302600_NS11hip_rocprim35transform_pair_of_input_iterators_tIiPhSB_NS8_12not_equal_toIhEEEEPiiNS8_4plusIiEEEE10hipError_tPvRmT1_T2_T3_mT4_P12ihipStream_tbEUlT_E1_NS1_11comp_targetILNS1_3genE3ELNS1_11target_archE908ELNS1_3gpuE7ELNS1_3repE0EEENS1_30default_config_static_selectorELNS0_4arch9wavefront6targetE1EEEvSL_,comdat
	.protected	_ZN7rocprim17ROCPRIM_400000_NS6detail17trampoline_kernelINS0_14default_configENS1_22reduce_config_selectorIiEEZNS1_11reduce_implILb1ES3_N6thrust23THRUST_200600_302600_NS11hip_rocprim35transform_pair_of_input_iterators_tIiPhSB_NS8_12not_equal_toIhEEEEPiiNS8_4plusIiEEEE10hipError_tPvRmT1_T2_T3_mT4_P12ihipStream_tbEUlT_E1_NS1_11comp_targetILNS1_3genE3ELNS1_11target_archE908ELNS1_3gpuE7ELNS1_3repE0EEENS1_30default_config_static_selectorELNS0_4arch9wavefront6targetE1EEEvSL_ ; -- Begin function _ZN7rocprim17ROCPRIM_400000_NS6detail17trampoline_kernelINS0_14default_configENS1_22reduce_config_selectorIiEEZNS1_11reduce_implILb1ES3_N6thrust23THRUST_200600_302600_NS11hip_rocprim35transform_pair_of_input_iterators_tIiPhSB_NS8_12not_equal_toIhEEEEPiiNS8_4plusIiEEEE10hipError_tPvRmT1_T2_T3_mT4_P12ihipStream_tbEUlT_E1_NS1_11comp_targetILNS1_3genE3ELNS1_11target_archE908ELNS1_3gpuE7ELNS1_3repE0EEENS1_30default_config_static_selectorELNS0_4arch9wavefront6targetE1EEEvSL_
	.globl	_ZN7rocprim17ROCPRIM_400000_NS6detail17trampoline_kernelINS0_14default_configENS1_22reduce_config_selectorIiEEZNS1_11reduce_implILb1ES3_N6thrust23THRUST_200600_302600_NS11hip_rocprim35transform_pair_of_input_iterators_tIiPhSB_NS8_12not_equal_toIhEEEEPiiNS8_4plusIiEEEE10hipError_tPvRmT1_T2_T3_mT4_P12ihipStream_tbEUlT_E1_NS1_11comp_targetILNS1_3genE3ELNS1_11target_archE908ELNS1_3gpuE7ELNS1_3repE0EEENS1_30default_config_static_selectorELNS0_4arch9wavefront6targetE1EEEvSL_
	.p2align	8
	.type	_ZN7rocprim17ROCPRIM_400000_NS6detail17trampoline_kernelINS0_14default_configENS1_22reduce_config_selectorIiEEZNS1_11reduce_implILb1ES3_N6thrust23THRUST_200600_302600_NS11hip_rocprim35transform_pair_of_input_iterators_tIiPhSB_NS8_12not_equal_toIhEEEEPiiNS8_4plusIiEEEE10hipError_tPvRmT1_T2_T3_mT4_P12ihipStream_tbEUlT_E1_NS1_11comp_targetILNS1_3genE3ELNS1_11target_archE908ELNS1_3gpuE7ELNS1_3repE0EEENS1_30default_config_static_selectorELNS0_4arch9wavefront6targetE1EEEvSL_,@function
_ZN7rocprim17ROCPRIM_400000_NS6detail17trampoline_kernelINS0_14default_configENS1_22reduce_config_selectorIiEEZNS1_11reduce_implILb1ES3_N6thrust23THRUST_200600_302600_NS11hip_rocprim35transform_pair_of_input_iterators_tIiPhSB_NS8_12not_equal_toIhEEEEPiiNS8_4plusIiEEEE10hipError_tPvRmT1_T2_T3_mT4_P12ihipStream_tbEUlT_E1_NS1_11comp_targetILNS1_3genE3ELNS1_11target_archE908ELNS1_3gpuE7ELNS1_3repE0EEENS1_30default_config_static_selectorELNS0_4arch9wavefront6targetE1EEEvSL_: ; @_ZN7rocprim17ROCPRIM_400000_NS6detail17trampoline_kernelINS0_14default_configENS1_22reduce_config_selectorIiEEZNS1_11reduce_implILb1ES3_N6thrust23THRUST_200600_302600_NS11hip_rocprim35transform_pair_of_input_iterators_tIiPhSB_NS8_12not_equal_toIhEEEEPiiNS8_4plusIiEEEE10hipError_tPvRmT1_T2_T3_mT4_P12ihipStream_tbEUlT_E1_NS1_11comp_targetILNS1_3genE3ELNS1_11target_archE908ELNS1_3gpuE7ELNS1_3repE0EEENS1_30default_config_static_selectorELNS0_4arch9wavefront6targetE1EEEvSL_
; %bb.0:
	.section	.rodata,"a",@progbits
	.p2align	6, 0x0
	.amdhsa_kernel _ZN7rocprim17ROCPRIM_400000_NS6detail17trampoline_kernelINS0_14default_configENS1_22reduce_config_selectorIiEEZNS1_11reduce_implILb1ES3_N6thrust23THRUST_200600_302600_NS11hip_rocprim35transform_pair_of_input_iterators_tIiPhSB_NS8_12not_equal_toIhEEEEPiiNS8_4plusIiEEEE10hipError_tPvRmT1_T2_T3_mT4_P12ihipStream_tbEUlT_E1_NS1_11comp_targetILNS1_3genE3ELNS1_11target_archE908ELNS1_3gpuE7ELNS1_3repE0EEENS1_30default_config_static_selectorELNS0_4arch9wavefront6targetE1EEEvSL_
		.amdhsa_group_segment_fixed_size 0
		.amdhsa_private_segment_fixed_size 0
		.amdhsa_kernarg_size 56
		.amdhsa_user_sgpr_count 6
		.amdhsa_user_sgpr_private_segment_buffer 1
		.amdhsa_user_sgpr_dispatch_ptr 0
		.amdhsa_user_sgpr_queue_ptr 0
		.amdhsa_user_sgpr_kernarg_segment_ptr 1
		.amdhsa_user_sgpr_dispatch_id 0
		.amdhsa_user_sgpr_flat_scratch_init 0
		.amdhsa_user_sgpr_private_segment_size 0
		.amdhsa_uses_dynamic_stack 0
		.amdhsa_system_sgpr_private_segment_wavefront_offset 0
		.amdhsa_system_sgpr_workgroup_id_x 1
		.amdhsa_system_sgpr_workgroup_id_y 0
		.amdhsa_system_sgpr_workgroup_id_z 0
		.amdhsa_system_sgpr_workgroup_info 0
		.amdhsa_system_vgpr_workitem_id 0
		.amdhsa_next_free_vgpr 1
		.amdhsa_next_free_sgpr 0
		.amdhsa_reserve_vcc 0
		.amdhsa_reserve_flat_scratch 0
		.amdhsa_float_round_mode_32 0
		.amdhsa_float_round_mode_16_64 0
		.amdhsa_float_denorm_mode_32 3
		.amdhsa_float_denorm_mode_16_64 3
		.amdhsa_dx10_clamp 1
		.amdhsa_ieee_mode 1
		.amdhsa_fp16_overflow 0
		.amdhsa_exception_fp_ieee_invalid_op 0
		.amdhsa_exception_fp_denorm_src 0
		.amdhsa_exception_fp_ieee_div_zero 0
		.amdhsa_exception_fp_ieee_overflow 0
		.amdhsa_exception_fp_ieee_underflow 0
		.amdhsa_exception_fp_ieee_inexact 0
		.amdhsa_exception_int_div_zero 0
	.end_amdhsa_kernel
	.section	.text._ZN7rocprim17ROCPRIM_400000_NS6detail17trampoline_kernelINS0_14default_configENS1_22reduce_config_selectorIiEEZNS1_11reduce_implILb1ES3_N6thrust23THRUST_200600_302600_NS11hip_rocprim35transform_pair_of_input_iterators_tIiPhSB_NS8_12not_equal_toIhEEEEPiiNS8_4plusIiEEEE10hipError_tPvRmT1_T2_T3_mT4_P12ihipStream_tbEUlT_E1_NS1_11comp_targetILNS1_3genE3ELNS1_11target_archE908ELNS1_3gpuE7ELNS1_3repE0EEENS1_30default_config_static_selectorELNS0_4arch9wavefront6targetE1EEEvSL_,"axG",@progbits,_ZN7rocprim17ROCPRIM_400000_NS6detail17trampoline_kernelINS0_14default_configENS1_22reduce_config_selectorIiEEZNS1_11reduce_implILb1ES3_N6thrust23THRUST_200600_302600_NS11hip_rocprim35transform_pair_of_input_iterators_tIiPhSB_NS8_12not_equal_toIhEEEEPiiNS8_4plusIiEEEE10hipError_tPvRmT1_T2_T3_mT4_P12ihipStream_tbEUlT_E1_NS1_11comp_targetILNS1_3genE3ELNS1_11target_archE908ELNS1_3gpuE7ELNS1_3repE0EEENS1_30default_config_static_selectorELNS0_4arch9wavefront6targetE1EEEvSL_,comdat
.Lfunc_end348:
	.size	_ZN7rocprim17ROCPRIM_400000_NS6detail17trampoline_kernelINS0_14default_configENS1_22reduce_config_selectorIiEEZNS1_11reduce_implILb1ES3_N6thrust23THRUST_200600_302600_NS11hip_rocprim35transform_pair_of_input_iterators_tIiPhSB_NS8_12not_equal_toIhEEEEPiiNS8_4plusIiEEEE10hipError_tPvRmT1_T2_T3_mT4_P12ihipStream_tbEUlT_E1_NS1_11comp_targetILNS1_3genE3ELNS1_11target_archE908ELNS1_3gpuE7ELNS1_3repE0EEENS1_30default_config_static_selectorELNS0_4arch9wavefront6targetE1EEEvSL_, .Lfunc_end348-_ZN7rocprim17ROCPRIM_400000_NS6detail17trampoline_kernelINS0_14default_configENS1_22reduce_config_selectorIiEEZNS1_11reduce_implILb1ES3_N6thrust23THRUST_200600_302600_NS11hip_rocprim35transform_pair_of_input_iterators_tIiPhSB_NS8_12not_equal_toIhEEEEPiiNS8_4plusIiEEEE10hipError_tPvRmT1_T2_T3_mT4_P12ihipStream_tbEUlT_E1_NS1_11comp_targetILNS1_3genE3ELNS1_11target_archE908ELNS1_3gpuE7ELNS1_3repE0EEENS1_30default_config_static_selectorELNS0_4arch9wavefront6targetE1EEEvSL_
                                        ; -- End function
	.set _ZN7rocprim17ROCPRIM_400000_NS6detail17trampoline_kernelINS0_14default_configENS1_22reduce_config_selectorIiEEZNS1_11reduce_implILb1ES3_N6thrust23THRUST_200600_302600_NS11hip_rocprim35transform_pair_of_input_iterators_tIiPhSB_NS8_12not_equal_toIhEEEEPiiNS8_4plusIiEEEE10hipError_tPvRmT1_T2_T3_mT4_P12ihipStream_tbEUlT_E1_NS1_11comp_targetILNS1_3genE3ELNS1_11target_archE908ELNS1_3gpuE7ELNS1_3repE0EEENS1_30default_config_static_selectorELNS0_4arch9wavefront6targetE1EEEvSL_.num_vgpr, 0
	.set _ZN7rocprim17ROCPRIM_400000_NS6detail17trampoline_kernelINS0_14default_configENS1_22reduce_config_selectorIiEEZNS1_11reduce_implILb1ES3_N6thrust23THRUST_200600_302600_NS11hip_rocprim35transform_pair_of_input_iterators_tIiPhSB_NS8_12not_equal_toIhEEEEPiiNS8_4plusIiEEEE10hipError_tPvRmT1_T2_T3_mT4_P12ihipStream_tbEUlT_E1_NS1_11comp_targetILNS1_3genE3ELNS1_11target_archE908ELNS1_3gpuE7ELNS1_3repE0EEENS1_30default_config_static_selectorELNS0_4arch9wavefront6targetE1EEEvSL_.num_agpr, 0
	.set _ZN7rocprim17ROCPRIM_400000_NS6detail17trampoline_kernelINS0_14default_configENS1_22reduce_config_selectorIiEEZNS1_11reduce_implILb1ES3_N6thrust23THRUST_200600_302600_NS11hip_rocprim35transform_pair_of_input_iterators_tIiPhSB_NS8_12not_equal_toIhEEEEPiiNS8_4plusIiEEEE10hipError_tPvRmT1_T2_T3_mT4_P12ihipStream_tbEUlT_E1_NS1_11comp_targetILNS1_3genE3ELNS1_11target_archE908ELNS1_3gpuE7ELNS1_3repE0EEENS1_30default_config_static_selectorELNS0_4arch9wavefront6targetE1EEEvSL_.numbered_sgpr, 0
	.set _ZN7rocprim17ROCPRIM_400000_NS6detail17trampoline_kernelINS0_14default_configENS1_22reduce_config_selectorIiEEZNS1_11reduce_implILb1ES3_N6thrust23THRUST_200600_302600_NS11hip_rocprim35transform_pair_of_input_iterators_tIiPhSB_NS8_12not_equal_toIhEEEEPiiNS8_4plusIiEEEE10hipError_tPvRmT1_T2_T3_mT4_P12ihipStream_tbEUlT_E1_NS1_11comp_targetILNS1_3genE3ELNS1_11target_archE908ELNS1_3gpuE7ELNS1_3repE0EEENS1_30default_config_static_selectorELNS0_4arch9wavefront6targetE1EEEvSL_.num_named_barrier, 0
	.set _ZN7rocprim17ROCPRIM_400000_NS6detail17trampoline_kernelINS0_14default_configENS1_22reduce_config_selectorIiEEZNS1_11reduce_implILb1ES3_N6thrust23THRUST_200600_302600_NS11hip_rocprim35transform_pair_of_input_iterators_tIiPhSB_NS8_12not_equal_toIhEEEEPiiNS8_4plusIiEEEE10hipError_tPvRmT1_T2_T3_mT4_P12ihipStream_tbEUlT_E1_NS1_11comp_targetILNS1_3genE3ELNS1_11target_archE908ELNS1_3gpuE7ELNS1_3repE0EEENS1_30default_config_static_selectorELNS0_4arch9wavefront6targetE1EEEvSL_.private_seg_size, 0
	.set _ZN7rocprim17ROCPRIM_400000_NS6detail17trampoline_kernelINS0_14default_configENS1_22reduce_config_selectorIiEEZNS1_11reduce_implILb1ES3_N6thrust23THRUST_200600_302600_NS11hip_rocprim35transform_pair_of_input_iterators_tIiPhSB_NS8_12not_equal_toIhEEEEPiiNS8_4plusIiEEEE10hipError_tPvRmT1_T2_T3_mT4_P12ihipStream_tbEUlT_E1_NS1_11comp_targetILNS1_3genE3ELNS1_11target_archE908ELNS1_3gpuE7ELNS1_3repE0EEENS1_30default_config_static_selectorELNS0_4arch9wavefront6targetE1EEEvSL_.uses_vcc, 0
	.set _ZN7rocprim17ROCPRIM_400000_NS6detail17trampoline_kernelINS0_14default_configENS1_22reduce_config_selectorIiEEZNS1_11reduce_implILb1ES3_N6thrust23THRUST_200600_302600_NS11hip_rocprim35transform_pair_of_input_iterators_tIiPhSB_NS8_12not_equal_toIhEEEEPiiNS8_4plusIiEEEE10hipError_tPvRmT1_T2_T3_mT4_P12ihipStream_tbEUlT_E1_NS1_11comp_targetILNS1_3genE3ELNS1_11target_archE908ELNS1_3gpuE7ELNS1_3repE0EEENS1_30default_config_static_selectorELNS0_4arch9wavefront6targetE1EEEvSL_.uses_flat_scratch, 0
	.set _ZN7rocprim17ROCPRIM_400000_NS6detail17trampoline_kernelINS0_14default_configENS1_22reduce_config_selectorIiEEZNS1_11reduce_implILb1ES3_N6thrust23THRUST_200600_302600_NS11hip_rocprim35transform_pair_of_input_iterators_tIiPhSB_NS8_12not_equal_toIhEEEEPiiNS8_4plusIiEEEE10hipError_tPvRmT1_T2_T3_mT4_P12ihipStream_tbEUlT_E1_NS1_11comp_targetILNS1_3genE3ELNS1_11target_archE908ELNS1_3gpuE7ELNS1_3repE0EEENS1_30default_config_static_selectorELNS0_4arch9wavefront6targetE1EEEvSL_.has_dyn_sized_stack, 0
	.set _ZN7rocprim17ROCPRIM_400000_NS6detail17trampoline_kernelINS0_14default_configENS1_22reduce_config_selectorIiEEZNS1_11reduce_implILb1ES3_N6thrust23THRUST_200600_302600_NS11hip_rocprim35transform_pair_of_input_iterators_tIiPhSB_NS8_12not_equal_toIhEEEEPiiNS8_4plusIiEEEE10hipError_tPvRmT1_T2_T3_mT4_P12ihipStream_tbEUlT_E1_NS1_11comp_targetILNS1_3genE3ELNS1_11target_archE908ELNS1_3gpuE7ELNS1_3repE0EEENS1_30default_config_static_selectorELNS0_4arch9wavefront6targetE1EEEvSL_.has_recursion, 0
	.set _ZN7rocprim17ROCPRIM_400000_NS6detail17trampoline_kernelINS0_14default_configENS1_22reduce_config_selectorIiEEZNS1_11reduce_implILb1ES3_N6thrust23THRUST_200600_302600_NS11hip_rocprim35transform_pair_of_input_iterators_tIiPhSB_NS8_12not_equal_toIhEEEEPiiNS8_4plusIiEEEE10hipError_tPvRmT1_T2_T3_mT4_P12ihipStream_tbEUlT_E1_NS1_11comp_targetILNS1_3genE3ELNS1_11target_archE908ELNS1_3gpuE7ELNS1_3repE0EEENS1_30default_config_static_selectorELNS0_4arch9wavefront6targetE1EEEvSL_.has_indirect_call, 0
	.section	.AMDGPU.csdata,"",@progbits
; Kernel info:
; codeLenInByte = 0
; TotalNumSgprs: 4
; NumVgprs: 0
; ScratchSize: 0
; MemoryBound: 0
; FloatMode: 240
; IeeeMode: 1
; LDSByteSize: 0 bytes/workgroup (compile time only)
; SGPRBlocks: 0
; VGPRBlocks: 0
; NumSGPRsForWavesPerEU: 4
; NumVGPRsForWavesPerEU: 1
; Occupancy: 10
; WaveLimiterHint : 0
; COMPUTE_PGM_RSRC2:SCRATCH_EN: 0
; COMPUTE_PGM_RSRC2:USER_SGPR: 6
; COMPUTE_PGM_RSRC2:TRAP_HANDLER: 0
; COMPUTE_PGM_RSRC2:TGID_X_EN: 1
; COMPUTE_PGM_RSRC2:TGID_Y_EN: 0
; COMPUTE_PGM_RSRC2:TGID_Z_EN: 0
; COMPUTE_PGM_RSRC2:TIDIG_COMP_CNT: 0
	.section	.text._ZN7rocprim17ROCPRIM_400000_NS6detail17trampoline_kernelINS0_14default_configENS1_22reduce_config_selectorIiEEZNS1_11reduce_implILb1ES3_N6thrust23THRUST_200600_302600_NS11hip_rocprim35transform_pair_of_input_iterators_tIiPhSB_NS8_12not_equal_toIhEEEEPiiNS8_4plusIiEEEE10hipError_tPvRmT1_T2_T3_mT4_P12ihipStream_tbEUlT_E1_NS1_11comp_targetILNS1_3genE2ELNS1_11target_archE906ELNS1_3gpuE6ELNS1_3repE0EEENS1_30default_config_static_selectorELNS0_4arch9wavefront6targetE1EEEvSL_,"axG",@progbits,_ZN7rocprim17ROCPRIM_400000_NS6detail17trampoline_kernelINS0_14default_configENS1_22reduce_config_selectorIiEEZNS1_11reduce_implILb1ES3_N6thrust23THRUST_200600_302600_NS11hip_rocprim35transform_pair_of_input_iterators_tIiPhSB_NS8_12not_equal_toIhEEEEPiiNS8_4plusIiEEEE10hipError_tPvRmT1_T2_T3_mT4_P12ihipStream_tbEUlT_E1_NS1_11comp_targetILNS1_3genE2ELNS1_11target_archE906ELNS1_3gpuE6ELNS1_3repE0EEENS1_30default_config_static_selectorELNS0_4arch9wavefront6targetE1EEEvSL_,comdat
	.protected	_ZN7rocprim17ROCPRIM_400000_NS6detail17trampoline_kernelINS0_14default_configENS1_22reduce_config_selectorIiEEZNS1_11reduce_implILb1ES3_N6thrust23THRUST_200600_302600_NS11hip_rocprim35transform_pair_of_input_iterators_tIiPhSB_NS8_12not_equal_toIhEEEEPiiNS8_4plusIiEEEE10hipError_tPvRmT1_T2_T3_mT4_P12ihipStream_tbEUlT_E1_NS1_11comp_targetILNS1_3genE2ELNS1_11target_archE906ELNS1_3gpuE6ELNS1_3repE0EEENS1_30default_config_static_selectorELNS0_4arch9wavefront6targetE1EEEvSL_ ; -- Begin function _ZN7rocprim17ROCPRIM_400000_NS6detail17trampoline_kernelINS0_14default_configENS1_22reduce_config_selectorIiEEZNS1_11reduce_implILb1ES3_N6thrust23THRUST_200600_302600_NS11hip_rocprim35transform_pair_of_input_iterators_tIiPhSB_NS8_12not_equal_toIhEEEEPiiNS8_4plusIiEEEE10hipError_tPvRmT1_T2_T3_mT4_P12ihipStream_tbEUlT_E1_NS1_11comp_targetILNS1_3genE2ELNS1_11target_archE906ELNS1_3gpuE6ELNS1_3repE0EEENS1_30default_config_static_selectorELNS0_4arch9wavefront6targetE1EEEvSL_
	.globl	_ZN7rocprim17ROCPRIM_400000_NS6detail17trampoline_kernelINS0_14default_configENS1_22reduce_config_selectorIiEEZNS1_11reduce_implILb1ES3_N6thrust23THRUST_200600_302600_NS11hip_rocprim35transform_pair_of_input_iterators_tIiPhSB_NS8_12not_equal_toIhEEEEPiiNS8_4plusIiEEEE10hipError_tPvRmT1_T2_T3_mT4_P12ihipStream_tbEUlT_E1_NS1_11comp_targetILNS1_3genE2ELNS1_11target_archE906ELNS1_3gpuE6ELNS1_3repE0EEENS1_30default_config_static_selectorELNS0_4arch9wavefront6targetE1EEEvSL_
	.p2align	8
	.type	_ZN7rocprim17ROCPRIM_400000_NS6detail17trampoline_kernelINS0_14default_configENS1_22reduce_config_selectorIiEEZNS1_11reduce_implILb1ES3_N6thrust23THRUST_200600_302600_NS11hip_rocprim35transform_pair_of_input_iterators_tIiPhSB_NS8_12not_equal_toIhEEEEPiiNS8_4plusIiEEEE10hipError_tPvRmT1_T2_T3_mT4_P12ihipStream_tbEUlT_E1_NS1_11comp_targetILNS1_3genE2ELNS1_11target_archE906ELNS1_3gpuE6ELNS1_3repE0EEENS1_30default_config_static_selectorELNS0_4arch9wavefront6targetE1EEEvSL_,@function
_ZN7rocprim17ROCPRIM_400000_NS6detail17trampoline_kernelINS0_14default_configENS1_22reduce_config_selectorIiEEZNS1_11reduce_implILb1ES3_N6thrust23THRUST_200600_302600_NS11hip_rocprim35transform_pair_of_input_iterators_tIiPhSB_NS8_12not_equal_toIhEEEEPiiNS8_4plusIiEEEE10hipError_tPvRmT1_T2_T3_mT4_P12ihipStream_tbEUlT_E1_NS1_11comp_targetILNS1_3genE2ELNS1_11target_archE906ELNS1_3gpuE6ELNS1_3repE0EEENS1_30default_config_static_selectorELNS0_4arch9wavefront6targetE1EEEvSL_: ; @_ZN7rocprim17ROCPRIM_400000_NS6detail17trampoline_kernelINS0_14default_configENS1_22reduce_config_selectorIiEEZNS1_11reduce_implILb1ES3_N6thrust23THRUST_200600_302600_NS11hip_rocprim35transform_pair_of_input_iterators_tIiPhSB_NS8_12not_equal_toIhEEEEPiiNS8_4plusIiEEEE10hipError_tPvRmT1_T2_T3_mT4_P12ihipStream_tbEUlT_E1_NS1_11comp_targetILNS1_3genE2ELNS1_11target_archE906ELNS1_3gpuE6ELNS1_3repE0EEENS1_30default_config_static_selectorELNS0_4arch9wavefront6targetE1EEEvSL_
; %bb.0:
	s_load_dword s33, s[4:5], 0x4
	s_load_dwordx4 s[40:43], s[4:5], 0x8
	s_load_dwordx4 s[36:39], s[4:5], 0x20
	s_waitcnt lgkmcnt(0)
	s_cmp_lt_i32 s33, 8
	s_cbranch_scc1 .LBB349_11
; %bb.1:
	s_cmp_gt_i32 s33, 15
	s_cbranch_scc0 .LBB349_12
; %bb.2:
	s_cmp_gt_i32 s33, 31
	s_cbranch_scc0 .LBB349_13
; %bb.3:
	s_cmp_eq_u32 s33, 32
	s_mov_b64 s[44:45], 0
	s_cbranch_scc0 .LBB349_14
; %bb.4:
	s_lshl_b32 s50, s6, 13
	s_lshr_b64 s[0:1], s[36:37], 13
	s_add_u32 s46, s40, s50
	s_addc_u32 s47, s41, 0
	s_add_u32 s48, s42, s50
	s_mov_b32 s7, 0
	s_addc_u32 s49, s43, 0
	s_cmp_lg_u64 s[0:1], s[6:7]
	s_cbranch_scc0 .LBB349_23
; %bb.5:
	global_load_ubyte v5, v0, s[46:47]
	global_load_ubyte v6, v0, s[48:49]
	v_add_co_u32_e32 v1, vcc, s46, v0
	v_mov_b32_e32 v2, s47
	v_addc_co_u32_e32 v2, vcc, 0, v2, vcc
	v_add_co_u32_e32 v3, vcc, s48, v0
	v_mov_b32_e32 v4, s49
	v_addc_co_u32_e32 v4, vcc, 0, v4, vcc
	s_movk_i32 s20, 0x1000
	v_add_co_u32_e64 v1, s[18:19], s20, v1
	v_addc_co_u32_e64 v2, s[18:19], 0, v2, s[18:19]
	v_add_co_u32_e64 v3, s[18:19], s20, v3
	v_addc_co_u32_e64 v4, s[18:19], 0, v4, s[18:19]
	s_waitcnt vmcnt(0)
	v_cmp_ne_u16_e32 vcc, v5, v6
	global_load_ubyte v6, v0, s[46:47] offset:256
	global_load_ubyte v7, v0, s[48:49] offset:256
	v_cndmask_b32_e64 v5, 0, 1, vcc
	s_waitcnt vmcnt(0)
	v_cmp_ne_u16_e64 s[10:11], v6, v7
	global_load_ubyte v6, v0, s[46:47] offset:512
	global_load_ubyte v7, v0, s[48:49] offset:512
	s_waitcnt vmcnt(0)
	v_cmp_ne_u16_e32 vcc, v6, v7
	global_load_ubyte v7, v0, s[46:47] offset:768
	global_load_ubyte v8, v0, s[48:49] offset:768
	v_cndmask_b32_e64 v6, 0, 1, vcc
	s_waitcnt vmcnt(0)
	v_cmp_ne_u16_e32 vcc, v7, v8
	global_load_ubyte v7, v0, s[46:47] offset:1024
	global_load_ubyte v8, v0, s[48:49] offset:1024
	s_waitcnt vmcnt(0)
	v_cmp_ne_u16_e64 s[0:1], v7, v8
	global_load_ubyte v8, v0, s[46:47] offset:1280
	global_load_ubyte v9, v0, s[48:49] offset:1280
	v_cndmask_b32_e64 v7, 0, 1, s[0:1]
	s_waitcnt vmcnt(0)
	v_cmp_ne_u16_e64 s[12:13], v8, v9
	global_load_ubyte v8, v0, s[46:47] offset:1536
	global_load_ubyte v9, v0, s[48:49] offset:1536
	s_waitcnt vmcnt(0)
	v_cmp_ne_u16_e64 s[0:1], v8, v9
	global_load_ubyte v9, v0, s[46:47] offset:1792
	global_load_ubyte v10, v0, s[48:49] offset:1792
	v_cndmask_b32_e64 v8, 0, 1, s[0:1]
	s_waitcnt vmcnt(0)
	v_cmp_ne_u16_e64 s[14:15], v9, v10
	;; [unrolled: 9-line block ×6, first 2 shown]
	global_load_ubyte v13, v[1:2], off
	global_load_ubyte v14, v[3:4], off
	s_waitcnt vmcnt(0)
	v_cmp_ne_u16_e64 s[18:19], v13, v14
	global_load_ubyte v14, v[1:2], off offset:256
	global_load_ubyte v15, v[3:4], off offset:256
	v_cndmask_b32_e64 v13, 0, 1, s[18:19]
	s_waitcnt vmcnt(0)
	v_cmp_ne_u16_e64 s[18:19], v14, v15
	global_load_ubyte v14, v[1:2], off offset:512
	global_load_ubyte v15, v[3:4], off offset:512
	s_waitcnt vmcnt(0)
	v_cmp_ne_u16_e64 s[20:21], v14, v15
	global_load_ubyte v15, v[1:2], off offset:768
	global_load_ubyte v16, v[3:4], off offset:768
	v_cndmask_b32_e64 v14, 0, 1, s[20:21]
	s_waitcnt vmcnt(0)
	v_cmp_ne_u16_e64 s[20:21], v15, v16
	global_load_ubyte v15, v[1:2], off offset:1024
	global_load_ubyte v16, v[3:4], off offset:1024
	;; [unrolled: 9-line block ×7, first 2 shown]
	s_nop 0
	global_load_ubyte v1, v[1:2], off offset:3840
	s_nop 0
	global_load_ubyte v2, v[3:4], off offset:3840
	s_waitcnt vmcnt(2)
	v_cmp_ne_u16_e64 s[34:35], v20, v21
	v_cndmask_b32_e64 v20, 0, 1, s[34:35]
	s_waitcnt vmcnt(0)
	v_cmp_ne_u16_e64 s[34:35], v1, v2
	v_addc_co_u32_e64 v1, s[10:11], 0, v5, s[10:11]
	v_addc_co_u32_e32 v1, vcc, v1, v6, vcc
	v_addc_co_u32_e64 v1, vcc, v1, v7, s[12:13]
	v_addc_co_u32_e64 v1, vcc, v1, v8, s[14:15]
	;; [unrolled: 1-line block ×14, first 2 shown]
	v_mbcnt_lo_u32_b32 v2, -1, 0
	s_nop 0
	v_add_u32_dpp v1, v1, v1 quad_perm:[1,0,3,2] row_mask:0xf bank_mask:0xf bound_ctrl:1
	v_mbcnt_hi_u32_b32 v2, -1, v2
	v_lshlrev_b32_e32 v3, 2, v2
	v_add_u32_dpp v1, v1, v1 quad_perm:[2,3,0,1] row_mask:0xf bank_mask:0xf bound_ctrl:1
	v_or_b32_e32 v4, 0xfc, v3
	v_cmp_eq_u32_e32 vcc, 0, v2
	v_add_u32_dpp v1, v1, v1 row_ror:4 row_mask:0xf bank_mask:0xf bound_ctrl:1
	s_nop 1
	v_add_u32_dpp v1, v1, v1 row_ror:8 row_mask:0xf bank_mask:0xf bound_ctrl:1
	s_nop 1
	v_add_u32_dpp v1, v1, v1 row_bcast:15 row_mask:0xf bank_mask:0xf bound_ctrl:1
	s_nop 1
	v_add_u32_dpp v1, v1, v1 row_bcast:31 row_mask:0xf bank_mask:0xf bound_ctrl:1
	ds_bpermute_b32 v1, v4, v1
	s_and_saveexec_b64 s[0:1], vcc
	s_cbranch_execz .LBB349_7
; %bb.6:
	v_lshrrev_b32_e32 v4, 4, v0
	v_and_b32_e32 v4, 12, v4
	s_waitcnt lgkmcnt(0)
	ds_write_b32 v4, v1 offset:48
.LBB349_7:
	s_or_b64 exec, exec, s[0:1]
	v_cmp_gt_u32_e32 vcc, 64, v0
	s_waitcnt lgkmcnt(0)
	s_barrier
	s_and_saveexec_b64 s[0:1], vcc
	s_cbranch_execz .LBB349_9
; %bb.8:
	v_and_b32_e32 v1, 3, v2
	v_lshlrev_b32_e32 v4, 2, v1
	ds_read_b32 v4, v4 offset:48
	v_cmp_ne_u32_e32 vcc, 3, v1
	v_addc_co_u32_e32 v1, vcc, 0, v2, vcc
	v_lshlrev_b32_e32 v1, 2, v1
	s_waitcnt lgkmcnt(0)
	ds_bpermute_b32 v1, v1, v4
	v_or_b32_e32 v2, 8, v3
	s_waitcnt lgkmcnt(0)
	v_add_u32_e32 v1, v1, v4
	ds_bpermute_b32 v2, v2, v1
	s_waitcnt lgkmcnt(0)
	v_add_u32_e32 v1, v2, v1
.LBB349_9:
	s_or_b64 exec, exec, s[0:1]
.LBB349_10:
	v_cmp_eq_u32_e64 s[0:1], 0, v0
	s_and_b64 vcc, exec, s[44:45]
	s_cbranch_vccnz .LBB349_15
	s_branch .LBB349_93
.LBB349_11:
	s_mov_b64 s[0:1], 0
                                        ; implicit-def: $vgpr1
	s_cbranch_execnz .LBB349_166
	s_branch .LBB349_224
.LBB349_12:
	s_mov_b64 s[0:1], 0
                                        ; implicit-def: $vgpr1
	s_cbranch_execnz .LBB349_134
	s_branch .LBB349_142
.LBB349_13:
	s_mov_b64 s[44:45], -1
.LBB349_14:
	s_mov_b64 s[0:1], 0
                                        ; implicit-def: $vgpr1
	s_and_b64 vcc, exec, s[44:45]
	s_cbranch_vccz .LBB349_93
.LBB349_15:
	s_cmp_eq_u32 s33, 16
	s_cbranch_scc0 .LBB349_22
; %bb.16:
	s_lshl_b32 s2, s6, 12
	s_lshr_b64 s[0:1], s[36:37], 12
	s_add_u32 s34, s40, s2
	s_addc_u32 s35, s41, 0
	s_add_u32 s44, s42, s2
	s_mov_b32 s7, 0
	s_addc_u32 s45, s43, 0
	s_cmp_lg_u64 s[0:1], s[6:7]
	s_cbranch_scc0 .LBB349_94
; %bb.17:
	global_load_ubyte v1, v0, s[44:45]
	global_load_ubyte v2, v0, s[34:35]
	global_load_ubyte v3, v0, s[34:35] offset:1024
	global_load_ubyte v4, v0, s[34:35] offset:512
	;; [unrolled: 1-line block ×26, first 2 shown]
	s_waitcnt vmcnt(26)
	v_cmp_ne_u16_e32 vcc, v2, v1
	global_load_ubyte v1, v0, s[34:35] offset:3840
	global_load_ubyte v29, v0, s[34:35] offset:3328
	global_load_ubyte v30, v0, s[34:35] offset:2816
	global_load_ubyte v31, v0, s[34:35] offset:2304
	v_mbcnt_lo_u32_b32 v2, -1, 0
	v_mbcnt_hi_u32_b32 v2, -1, v2
	s_waitcnt vmcnt(26)
	v_cmp_ne_u16_e64 s[0:1], v3, v6
	v_cndmask_b32_e64 v6, 0, 1, vcc
	s_waitcnt vmcnt(25)
	v_cmp_ne_u16_e32 vcc, v4, v7
	v_cndmask_b32_e64 v4, 0, 1, vcc
	s_waitcnt vmcnt(24)
	v_cmp_ne_u16_e32 vcc, v5, v8
	v_cndmask_b32_e64 v5, 0, 1, vcc
	v_cndmask_b32_e64 v7, 0, 1, s[0:1]
	s_waitcnt vmcnt(19)
	v_cmp_ne_u16_e32 vcc, v9, v13
	v_cndmask_b32_e64 v8, 0, 1, vcc
	s_waitcnt vmcnt(18)
	v_cmp_ne_u16_e32 vcc, v10, v14
	v_cndmask_b32_e64 v9, 0, 1, vcc
	;; [unrolled: 3-line block ×4, first 2 shown]
	v_lshlrev_b32_e32 v3, 2, v2
	s_waitcnt vmcnt(8)
	v_cmp_ne_u16_e32 vcc, v24, v20
	v_addc_co_u32_e32 v6, vcc, 0, v6, vcc
	v_cmp_ne_u16_e32 vcc, v23, v19
	v_addc_co_u32_e32 v4, vcc, v6, v4, vcc
	;; [unrolled: 2-line block ×4, first 2 shown]
	s_waitcnt vmcnt(0)
	v_cmp_ne_u16_e32 vcc, v31, v28
	v_addc_co_u32_e32 v4, vcc, v4, v8, vcc
	v_cmp_ne_u16_e32 vcc, v30, v27
	v_addc_co_u32_e32 v4, vcc, v4, v9, vcc
	;; [unrolled: 2-line block ×4, first 2 shown]
	v_or_b32_e32 v4, 0xfc, v3
	s_nop 0
	v_add_u32_dpp v1, v1, v1 quad_perm:[1,0,3,2] row_mask:0xf bank_mask:0xf bound_ctrl:1
	v_cmp_eq_u32_e32 vcc, 0, v2
	s_nop 0
	v_add_u32_dpp v1, v1, v1 quad_perm:[2,3,0,1] row_mask:0xf bank_mask:0xf bound_ctrl:1
	s_nop 1
	v_add_u32_dpp v1, v1, v1 row_ror:4 row_mask:0xf bank_mask:0xf bound_ctrl:1
	s_nop 1
	v_add_u32_dpp v1, v1, v1 row_ror:8 row_mask:0xf bank_mask:0xf bound_ctrl:1
	s_nop 1
	v_add_u32_dpp v1, v1, v1 row_bcast:15 row_mask:0xf bank_mask:0xf bound_ctrl:1
	s_nop 1
	v_add_u32_dpp v1, v1, v1 row_bcast:31 row_mask:0xf bank_mask:0xf bound_ctrl:1
	ds_bpermute_b32 v1, v4, v1
	s_and_saveexec_b64 s[0:1], vcc
	s_cbranch_execz .LBB349_19
; %bb.18:
	v_lshrrev_b32_e32 v4, 4, v0
	v_and_b32_e32 v4, 12, v4
	s_waitcnt lgkmcnt(0)
	ds_write_b32 v4, v1
.LBB349_19:
	s_or_b64 exec, exec, s[0:1]
	v_cmp_gt_u32_e32 vcc, 64, v0
	s_waitcnt lgkmcnt(0)
	s_barrier
	s_and_saveexec_b64 s[0:1], vcc
	s_cbranch_execz .LBB349_21
; %bb.20:
	v_and_b32_e32 v1, 3, v2
	v_lshlrev_b32_e32 v4, 2, v1
	ds_read_b32 v4, v4
	v_cmp_ne_u32_e32 vcc, 3, v1
	v_addc_co_u32_e32 v1, vcc, 0, v2, vcc
	v_lshlrev_b32_e32 v1, 2, v1
	s_waitcnt lgkmcnt(0)
	ds_bpermute_b32 v1, v1, v4
	v_or_b32_e32 v2, 8, v3
	s_waitcnt lgkmcnt(0)
	v_add_u32_e32 v1, v1, v4
	ds_bpermute_b32 v2, v2, v1
	s_waitcnt lgkmcnt(0)
	v_add_u32_e32 v1, v2, v1
.LBB349_21:
	s_or_b64 exec, exec, s[0:1]
	s_mov_b64 s[0:1], 0
	s_branch .LBB349_95
.LBB349_22:
                                        ; implicit-def: $vgpr1
	s_branch .LBB349_142
.LBB349_23:
                                        ; implicit-def: $vgpr1
	s_cbranch_execz .LBB349_10
; %bb.24:
	s_sub_i32 s2, s36, s50
	v_cmp_gt_u32_e32 vcc, s2, v0
                                        ; implicit-def: $vgpr1
	s_and_saveexec_b64 s[0:1], vcc
	s_cbranch_execz .LBB349_26
; %bb.25:
	global_load_ubyte v1, v0, s[46:47]
	global_load_ubyte v2, v0, s[48:49]
	s_waitcnt vmcnt(0)
	v_cmp_ne_u16_e32 vcc, v1, v2
	v_cndmask_b32_e64 v1, 0, 1, vcc
.LBB349_26:
	s_or_b64 exec, exec, s[0:1]
	v_or_b32_e32 v2, 0x100, v0
	v_cmp_gt_u32_e32 vcc, s2, v2
	v_mov_b32_e32 v2, 0
	v_mov_b32_e32 v3, 0
	s_and_saveexec_b64 s[0:1], vcc
	s_cbranch_execz .LBB349_28
; %bb.27:
	global_load_ubyte v3, v0, s[46:47] offset:256
	global_load_ubyte v4, v0, s[48:49] offset:256
	s_waitcnt vmcnt(0)
	v_cmp_ne_u16_e32 vcc, v3, v4
	v_cndmask_b32_e64 v3, 0, 1, vcc
.LBB349_28:
	s_or_b64 exec, exec, s[0:1]
	v_or_b32_e32 v4, 0x200, v0
	v_cmp_gt_u32_e32 vcc, s2, v4
	s_and_saveexec_b64 s[0:1], vcc
	s_cbranch_execz .LBB349_30
; %bb.29:
	global_load_ubyte v2, v0, s[46:47] offset:512
	global_load_ubyte v4, v0, s[48:49] offset:512
	s_waitcnt vmcnt(0)
	v_cmp_ne_u16_e32 vcc, v2, v4
	v_cndmask_b32_e64 v2, 0, 1, vcc
.LBB349_30:
	s_or_b64 exec, exec, s[0:1]
	v_or_b32_e32 v4, 0x300, v0
	v_cmp_gt_u32_e32 vcc, s2, v4
	v_mov_b32_e32 v4, 0
	v_mov_b32_e32 v5, 0
	s_and_saveexec_b64 s[0:1], vcc
	s_cbranch_execz .LBB349_32
; %bb.31:
	global_load_ubyte v5, v0, s[46:47] offset:768
	global_load_ubyte v6, v0, s[48:49] offset:768
	s_waitcnt vmcnt(0)
	v_cmp_ne_u16_e32 vcc, v5, v6
	v_cndmask_b32_e64 v5, 0, 1, vcc
.LBB349_32:
	s_or_b64 exec, exec, s[0:1]
	v_or_b32_e32 v6, 0x400, v0
	v_cmp_gt_u32_e32 vcc, s2, v6
	s_and_saveexec_b64 s[0:1], vcc
	s_cbranch_execz .LBB349_34
; %bb.33:
	global_load_ubyte v4, v0, s[46:47] offset:1024
	global_load_ubyte v6, v0, s[48:49] offset:1024
	s_waitcnt vmcnt(0)
	v_cmp_ne_u16_e32 vcc, v4, v6
	v_cndmask_b32_e64 v4, 0, 1, vcc
.LBB349_34:
	;; [unrolled: 26-line block ×7, first 2 shown]
	s_or_b64 exec, exec, s[0:1]
	v_or_b32_e32 v16, 0xf00, v0
	v_cmp_gt_u32_e32 vcc, s2, v16
	v_mov_b32_e32 v16, 0
	v_mov_b32_e32 v17, 0
	s_and_saveexec_b64 s[0:1], vcc
	s_cbranch_execz .LBB349_56
; %bb.55:
	global_load_ubyte v17, v0, s[46:47] offset:3840
	global_load_ubyte v18, v0, s[48:49] offset:3840
	s_waitcnt vmcnt(0)
	v_cmp_ne_u16_e32 vcc, v17, v18
	v_cndmask_b32_e64 v17, 0, 1, vcc
.LBB349_56:
	s_or_b64 exec, exec, s[0:1]
	v_or_b32_e32 v18, 0x1000, v0
	v_cmp_gt_u32_e32 vcc, s2, v18
	s_and_saveexec_b64 s[0:1], vcc
	s_cbranch_execz .LBB349_58
; %bb.57:
	global_load_ubyte v16, v18, s[46:47]
	global_load_ubyte v19, v18, s[48:49]
	s_waitcnt vmcnt(0)
	v_cmp_ne_u16_e32 vcc, v16, v19
	v_cndmask_b32_e64 v16, 0, 1, vcc
.LBB349_58:
	s_or_b64 exec, exec, s[0:1]
	v_or_b32_e32 v20, 0x1100, v0
	v_cmp_gt_u32_e32 vcc, s2, v20
	v_mov_b32_e32 v18, 0
	v_mov_b32_e32 v19, 0
	s_and_saveexec_b64 s[0:1], vcc
	s_cbranch_execz .LBB349_60
; %bb.59:
	global_load_ubyte v19, v20, s[46:47]
	global_load_ubyte v21, v20, s[48:49]
	s_waitcnt vmcnt(0)
	v_cmp_ne_u16_e32 vcc, v19, v21
	v_cndmask_b32_e64 v19, 0, 1, vcc
.LBB349_60:
	s_or_b64 exec, exec, s[0:1]
	v_or_b32_e32 v20, 0x1200, v0
	v_cmp_gt_u32_e32 vcc, s2, v20
	s_and_saveexec_b64 s[0:1], vcc
	s_cbranch_execz .LBB349_62
; %bb.61:
	global_load_ubyte v18, v20, s[46:47]
	global_load_ubyte v21, v20, s[48:49]
	s_waitcnt vmcnt(0)
	v_cmp_ne_u16_e32 vcc, v18, v21
	v_cndmask_b32_e64 v18, 0, 1, vcc
.LBB349_62:
	s_or_b64 exec, exec, s[0:1]
	v_or_b32_e32 v22, 0x1300, v0
	v_cmp_gt_u32_e32 vcc, s2, v22
	v_mov_b32_e32 v20, 0
	v_mov_b32_e32 v21, 0
	s_and_saveexec_b64 s[0:1], vcc
	s_cbranch_execz .LBB349_64
; %bb.63:
	global_load_ubyte v21, v22, s[46:47]
	global_load_ubyte v23, v22, s[48:49]
	s_waitcnt vmcnt(0)
	v_cmp_ne_u16_e32 vcc, v21, v23
	v_cndmask_b32_e64 v21, 0, 1, vcc
.LBB349_64:
	s_or_b64 exec, exec, s[0:1]
	v_or_b32_e32 v22, 0x1400, v0
	v_cmp_gt_u32_e32 vcc, s2, v22
	s_and_saveexec_b64 s[0:1], vcc
	s_cbranch_execz .LBB349_66
; %bb.65:
	global_load_ubyte v20, v22, s[46:47]
	global_load_ubyte v23, v22, s[48:49]
	s_waitcnt vmcnt(0)
	v_cmp_ne_u16_e32 vcc, v20, v23
	v_cndmask_b32_e64 v20, 0, 1, vcc
.LBB349_66:
	s_or_b64 exec, exec, s[0:1]
	v_or_b32_e32 v24, 0x1500, v0
	v_cmp_gt_u32_e32 vcc, s2, v24
	v_mov_b32_e32 v22, 0
	v_mov_b32_e32 v23, 0
	s_and_saveexec_b64 s[0:1], vcc
	s_cbranch_execz .LBB349_68
; %bb.67:
	global_load_ubyte v23, v24, s[46:47]
	global_load_ubyte v25, v24, s[48:49]
	s_waitcnt vmcnt(0)
	v_cmp_ne_u16_e32 vcc, v23, v25
	v_cndmask_b32_e64 v23, 0, 1, vcc
.LBB349_68:
	s_or_b64 exec, exec, s[0:1]
	v_or_b32_e32 v24, 0x1600, v0
	v_cmp_gt_u32_e32 vcc, s2, v24
	s_and_saveexec_b64 s[0:1], vcc
	s_cbranch_execz .LBB349_70
; %bb.69:
	global_load_ubyte v22, v24, s[46:47]
	global_load_ubyte v25, v24, s[48:49]
	s_waitcnt vmcnt(0)
	v_cmp_ne_u16_e32 vcc, v22, v25
	v_cndmask_b32_e64 v22, 0, 1, vcc
.LBB349_70:
	s_or_b64 exec, exec, s[0:1]
	v_or_b32_e32 v26, 0x1700, v0
	v_cmp_gt_u32_e32 vcc, s2, v26
	v_mov_b32_e32 v24, 0
	v_mov_b32_e32 v25, 0
	s_and_saveexec_b64 s[0:1], vcc
	s_cbranch_execz .LBB349_72
; %bb.71:
	global_load_ubyte v25, v26, s[46:47]
	global_load_ubyte v27, v26, s[48:49]
	s_waitcnt vmcnt(0)
	v_cmp_ne_u16_e32 vcc, v25, v27
	v_cndmask_b32_e64 v25, 0, 1, vcc
.LBB349_72:
	s_or_b64 exec, exec, s[0:1]
	v_or_b32_e32 v26, 0x1800, v0
	v_cmp_gt_u32_e32 vcc, s2, v26
	s_and_saveexec_b64 s[0:1], vcc
	s_cbranch_execz .LBB349_74
; %bb.73:
	global_load_ubyte v24, v26, s[46:47]
	global_load_ubyte v27, v26, s[48:49]
	s_waitcnt vmcnt(0)
	v_cmp_ne_u16_e32 vcc, v24, v27
	v_cndmask_b32_e64 v24, 0, 1, vcc
.LBB349_74:
	s_or_b64 exec, exec, s[0:1]
	v_or_b32_e32 v28, 0x1900, v0
	v_cmp_gt_u32_e32 vcc, s2, v28
	v_mov_b32_e32 v26, 0
	v_mov_b32_e32 v27, 0
	s_and_saveexec_b64 s[0:1], vcc
	s_cbranch_execz .LBB349_76
; %bb.75:
	global_load_ubyte v27, v28, s[46:47]
	global_load_ubyte v29, v28, s[48:49]
	s_waitcnt vmcnt(0)
	v_cmp_ne_u16_e32 vcc, v27, v29
	v_cndmask_b32_e64 v27, 0, 1, vcc
.LBB349_76:
	s_or_b64 exec, exec, s[0:1]
	v_or_b32_e32 v28, 0x1a00, v0
	v_cmp_gt_u32_e32 vcc, s2, v28
	s_and_saveexec_b64 s[0:1], vcc
	s_cbranch_execz .LBB349_78
; %bb.77:
	global_load_ubyte v26, v28, s[46:47]
	global_load_ubyte v29, v28, s[48:49]
	s_waitcnt vmcnt(0)
	v_cmp_ne_u16_e32 vcc, v26, v29
	v_cndmask_b32_e64 v26, 0, 1, vcc
.LBB349_78:
	s_or_b64 exec, exec, s[0:1]
	v_or_b32_e32 v30, 0x1b00, v0
	v_cmp_gt_u32_e32 vcc, s2, v30
	v_mov_b32_e32 v28, 0
	v_mov_b32_e32 v29, 0
	s_and_saveexec_b64 s[0:1], vcc
	s_cbranch_execz .LBB349_80
; %bb.79:
	global_load_ubyte v29, v30, s[46:47]
	global_load_ubyte v31, v30, s[48:49]
	s_waitcnt vmcnt(0)
	v_cmp_ne_u16_e32 vcc, v29, v31
	v_cndmask_b32_e64 v29, 0, 1, vcc
.LBB349_80:
	s_or_b64 exec, exec, s[0:1]
	v_or_b32_e32 v30, 0x1c00, v0
	v_cmp_gt_u32_e32 vcc, s2, v30
	s_and_saveexec_b64 s[0:1], vcc
	s_cbranch_execz .LBB349_82
; %bb.81:
	global_load_ubyte v28, v30, s[46:47]
	global_load_ubyte v31, v30, s[48:49]
	s_waitcnt vmcnt(0)
	v_cmp_ne_u16_e32 vcc, v28, v31
	v_cndmask_b32_e64 v28, 0, 1, vcc
.LBB349_82:
	s_or_b64 exec, exec, s[0:1]
	v_or_b32_e32 v32, 0x1d00, v0
	v_cmp_gt_u32_e32 vcc, s2, v32
	v_mov_b32_e32 v30, 0
	v_mov_b32_e32 v31, 0
	s_and_saveexec_b64 s[0:1], vcc
	s_cbranch_execz .LBB349_84
; %bb.83:
	global_load_ubyte v31, v32, s[46:47]
	global_load_ubyte v33, v32, s[48:49]
	s_waitcnt vmcnt(0)
	v_cmp_ne_u16_e32 vcc, v31, v33
	v_cndmask_b32_e64 v31, 0, 1, vcc
.LBB349_84:
	s_or_b64 exec, exec, s[0:1]
	v_or_b32_e32 v32, 0x1e00, v0
	v_cmp_gt_u32_e32 vcc, s2, v32
	s_and_saveexec_b64 s[0:1], vcc
	s_cbranch_execz .LBB349_86
; %bb.85:
	global_load_ubyte v30, v32, s[46:47]
	global_load_ubyte v33, v32, s[48:49]
	s_waitcnt vmcnt(0)
	v_cmp_ne_u16_e32 vcc, v30, v33
	v_cndmask_b32_e64 v30, 0, 1, vcc
.LBB349_86:
	s_or_b64 exec, exec, s[0:1]
	v_or_b32_e32 v33, 0x1f00, v0
	v_cmp_gt_u32_e32 vcc, s2, v33
	v_mov_b32_e32 v32, 0
	s_and_saveexec_b64 s[0:1], vcc
	s_cbranch_execz .LBB349_88
; %bb.87:
	global_load_ubyte v32, v33, s[46:47]
	global_load_ubyte v34, v33, s[48:49]
	s_waitcnt vmcnt(0)
	v_cmp_ne_u16_e32 vcc, v32, v34
	v_cndmask_b32_e64 v32, 0, 1, vcc
.LBB349_88:
	s_or_b64 exec, exec, s[0:1]
	v_add_u32_e32 v1, v3, v1
	v_add3_u32 v1, v1, v2, v5
	v_add3_u32 v1, v1, v4, v7
	;; [unrolled: 1-line block ×10, first 2 shown]
	v_mbcnt_lo_u32_b32 v2, -1, 0
	v_add3_u32 v1, v1, v22, v25
	v_mbcnt_hi_u32_b32 v2, -1, v2
	v_add3_u32 v1, v1, v24, v27
	v_and_b32_e32 v4, 63, v2
	v_add3_u32 v1, v1, v26, v29
	v_cmp_ne_u32_e32 vcc, 63, v4
	v_add3_u32 v1, v1, v28, v31
	v_addc_co_u32_e32 v3, vcc, 0, v2, vcc
	v_add3_u32 v1, v1, v30, v32
	v_lshlrev_b32_e32 v3, 2, v3
	ds_bpermute_b32 v3, v3, v1
	s_min_u32 s2, s2, 0x100
	v_and_b32_e32 v5, 0xc0, v0
	v_sub_u32_e64 v5, s2, v5 clamp
	v_add_u32_e32 v6, 1, v4
	v_cmp_lt_u32_e32 vcc, v6, v5
	s_waitcnt lgkmcnt(0)
	v_cndmask_b32_e32 v3, 0, v3, vcc
	v_cmp_gt_u32_e32 vcc, 62, v4
	v_add_u32_e32 v1, v3, v1
	v_cndmask_b32_e64 v3, 0, 2, vcc
	v_add_lshl_u32 v3, v3, v2, 2
	ds_bpermute_b32 v3, v3, v1
	v_add_u32_e32 v6, 2, v4
	v_cmp_lt_u32_e32 vcc, v6, v5
	v_add_u32_e32 v6, 4, v4
	s_waitcnt lgkmcnt(0)
	v_cndmask_b32_e32 v3, 0, v3, vcc
	v_cmp_gt_u32_e32 vcc, 60, v4
	v_add_u32_e32 v1, v1, v3
	v_cndmask_b32_e64 v3, 0, 4, vcc
	v_add_lshl_u32 v3, v3, v2, 2
	ds_bpermute_b32 v3, v3, v1
	v_cmp_lt_u32_e32 vcc, v6, v5
	v_add_u32_e32 v6, 8, v4
	s_waitcnt lgkmcnt(0)
	v_cndmask_b32_e32 v3, 0, v3, vcc
	v_cmp_gt_u32_e32 vcc, 56, v4
	v_add_u32_e32 v1, v1, v3
	v_cndmask_b32_e64 v3, 0, 8, vcc
	v_add_lshl_u32 v3, v3, v2, 2
	ds_bpermute_b32 v3, v3, v1
	;; [unrolled: 9-line block ×3, first 2 shown]
	v_cmp_lt_u32_e32 vcc, v6, v5
	v_add_u32_e32 v4, 32, v4
	s_waitcnt lgkmcnt(0)
	v_cndmask_b32_e32 v3, 0, v3, vcc
	v_add_u32_e32 v1, v1, v3
	v_lshlrev_b32_e32 v3, 2, v2
	v_or_b32_e32 v6, 0x80, v3
	ds_bpermute_b32 v6, v6, v1
	v_cmp_lt_u32_e32 vcc, v4, v5
	s_waitcnt lgkmcnt(0)
	v_cndmask_b32_e32 v4, 0, v6, vcc
	v_add_u32_e32 v1, v1, v4
	v_cmp_eq_u32_e32 vcc, 0, v2
	s_and_saveexec_b64 s[0:1], vcc
; %bb.89:
	v_lshrrev_b32_e32 v4, 4, v0
	v_and_b32_e32 v4, 12, v4
	ds_write_b32 v4, v1 offset:96
; %bb.90:
	s_or_b64 exec, exec, s[0:1]
	v_cmp_gt_u32_e32 vcc, 4, v0
	s_waitcnt lgkmcnt(0)
	s_barrier
	s_and_saveexec_b64 s[0:1], vcc
	s_cbranch_execz .LBB349_92
; %bb.91:
	ds_read_b32 v1, v3 offset:96
	v_and_b32_e32 v4, 3, v2
	v_cmp_ne_u32_e32 vcc, 3, v4
	v_addc_co_u32_e32 v2, vcc, 0, v2, vcc
	v_lshlrev_b32_e32 v2, 2, v2
	s_waitcnt lgkmcnt(0)
	ds_bpermute_b32 v2, v2, v1
	s_add_i32 s2, s2, 63
	s_lshr_b32 s2, s2, 6
	v_add_u32_e32 v5, 1, v4
	v_cmp_gt_u32_e32 vcc, s2, v5
	s_waitcnt lgkmcnt(0)
	v_cndmask_b32_e32 v2, 0, v2, vcc
	v_add_u32_e32 v1, v2, v1
	v_or_b32_e32 v2, 8, v3
	ds_bpermute_b32 v2, v2, v1
	v_add_u32_e32 v3, 2, v4
	v_cmp_gt_u32_e32 vcc, s2, v3
	s_waitcnt lgkmcnt(0)
	v_cndmask_b32_e32 v2, 0, v2, vcc
	v_add_u32_e32 v1, v1, v2
.LBB349_92:
	s_or_b64 exec, exec, s[0:1]
	v_cmp_eq_u32_e64 s[0:1], 0, v0
	s_and_b64 vcc, exec, s[44:45]
	s_cbranch_vccnz .LBB349_15
.LBB349_93:
	s_branch .LBB349_142
.LBB349_94:
	s_mov_b64 s[0:1], -1
                                        ; implicit-def: $vgpr1
.LBB349_95:
	s_and_b64 vcc, exec, s[0:1]
	s_cbranch_vccz .LBB349_133
; %bb.96:
	s_sub_i32 s48, s36, s2
	v_mov_b32_e32 v1, 0
	v_cmp_gt_u32_e32 vcc, s48, v0
	v_mov_b32_e32 v2, v1
	v_mov_b32_e32 v3, v1
	;; [unrolled: 1-line block ×15, first 2 shown]
	s_and_saveexec_b64 s[0:1], vcc
	s_cbranch_execz .LBB349_98
; %bb.97:
	v_mov_b32_e32 v2, v1
	v_mov_b32_e32 v3, v1
	;; [unrolled: 1-line block ×15, first 2 shown]
	global_load_ubyte v1, v0, s[34:35]
	global_load_ubyte v17, v0, s[44:45]
	s_waitcnt vmcnt(0)
	v_cmp_ne_u16_e32 vcc, v1, v17
	v_cndmask_b32_e64 v1, 0, 1, vcc
	v_and_b32_e32 v1, 0xffff, v1
.LBB349_98:
	s_or_b64 exec, exec, s[0:1]
	v_or_b32_e32 v17, 0x100, v0
	v_cmp_gt_u32_e32 vcc, s48, v17
	s_and_saveexec_b64 s[2:3], vcc
	s_cbranch_execz .LBB349_100
; %bb.99:
	global_load_ubyte v2, v0, s[34:35] offset:256
	global_load_ubyte v17, v0, s[44:45] offset:256
	s_waitcnt vmcnt(0)
	v_cmp_ne_u16_e64 s[0:1], v2, v17
	v_cndmask_b32_e64 v2, 0, 1, s[0:1]
.LBB349_100:
	s_or_b64 exec, exec, s[2:3]
	v_or_b32_e32 v17, 0x200, v0
	v_cmp_gt_u32_e64 s[0:1], s48, v17
	s_and_saveexec_b64 s[8:9], s[0:1]
	s_cbranch_execz .LBB349_102
; %bb.101:
	global_load_ubyte v3, v0, s[34:35] offset:512
	global_load_ubyte v17, v0, s[44:45] offset:512
	s_waitcnt vmcnt(0)
	v_cmp_ne_u16_e64 s[2:3], v3, v17
	v_cndmask_b32_e64 v3, 0, 1, s[2:3]
.LBB349_102:
	s_or_b64 exec, exec, s[8:9]
	v_or_b32_e32 v17, 0x300, v0
	v_cmp_gt_u32_e64 s[2:3], s48, v17
	s_and_saveexec_b64 s[10:11], s[2:3]
	;; [unrolled: 12-line block ×14, first 2 shown]
	s_cbranch_execz .LBB349_128
; %bb.127:
	global_load_ubyte v16, v0, s[34:35] offset:3840
	global_load_ubyte v17, v0, s[44:45] offset:3840
	s_waitcnt vmcnt(0)
	v_cmp_ne_u16_e64 s[34:35], v16, v17
	v_cndmask_b32_e64 v16, 0, 1, s[34:35]
.LBB349_128:
	s_or_b64 exec, exec, s[46:47]
	v_cndmask_b32_e32 v2, 0, v2, vcc
	v_add_u32_e32 v1, v2, v1
	v_cndmask_b32_e64 v2, 0, v3, s[0:1]
	v_cndmask_b32_e64 v3, 0, v4, s[2:3]
	v_add3_u32 v1, v1, v2, v3
	v_cndmask_b32_e64 v2, 0, v5, s[8:9]
	v_cndmask_b32_e64 v3, 0, v6, s[10:11]
	v_add3_u32 v1, v1, v2, v3
	;; [unrolled: 3-line block ×7, first 2 shown]
	v_mbcnt_lo_u32_b32 v2, -1, 0
	v_mbcnt_hi_u32_b32 v2, -1, v2
	v_and_b32_e32 v4, 63, v2
	v_cmp_ne_u32_e32 vcc, 63, v4
	v_addc_co_u32_e32 v3, vcc, 0, v2, vcc
	v_lshlrev_b32_e32 v3, 2, v3
	ds_bpermute_b32 v3, v3, v1
	s_min_u32 s2, s48, 0x100
	v_and_b32_e32 v5, 0xc0, v0
	v_sub_u32_e64 v5, s2, v5 clamp
	v_add_u32_e32 v6, 1, v4
	v_cmp_lt_u32_e32 vcc, v6, v5
	s_waitcnt lgkmcnt(0)
	v_cndmask_b32_e32 v3, 0, v3, vcc
	v_cmp_gt_u32_e32 vcc, 62, v4
	v_add_u32_e32 v1, v1, v3
	v_cndmask_b32_e64 v3, 0, 2, vcc
	v_add_lshl_u32 v3, v3, v2, 2
	ds_bpermute_b32 v3, v3, v1
	v_add_u32_e32 v6, 2, v4
	v_cmp_lt_u32_e32 vcc, v6, v5
	v_add_u32_e32 v6, 4, v4
	s_waitcnt lgkmcnt(0)
	v_cndmask_b32_e32 v3, 0, v3, vcc
	v_cmp_gt_u32_e32 vcc, 60, v4
	v_add_u32_e32 v1, v1, v3
	v_cndmask_b32_e64 v3, 0, 4, vcc
	v_add_lshl_u32 v3, v3, v2, 2
	ds_bpermute_b32 v3, v3, v1
	v_cmp_lt_u32_e32 vcc, v6, v5
	v_add_u32_e32 v6, 8, v4
	s_waitcnt lgkmcnt(0)
	v_cndmask_b32_e32 v3, 0, v3, vcc
	v_cmp_gt_u32_e32 vcc, 56, v4
	v_add_u32_e32 v1, v1, v3
	v_cndmask_b32_e64 v3, 0, 8, vcc
	v_add_lshl_u32 v3, v3, v2, 2
	ds_bpermute_b32 v3, v3, v1
	;; [unrolled: 9-line block ×3, first 2 shown]
	v_cmp_lt_u32_e32 vcc, v6, v5
	v_add_u32_e32 v4, 32, v4
	s_waitcnt lgkmcnt(0)
	v_cndmask_b32_e32 v3, 0, v3, vcc
	v_add_u32_e32 v1, v1, v3
	v_lshlrev_b32_e32 v3, 2, v2
	v_or_b32_e32 v6, 0x80, v3
	ds_bpermute_b32 v6, v6, v1
	v_cmp_lt_u32_e32 vcc, v4, v5
	s_waitcnt lgkmcnt(0)
	v_cndmask_b32_e32 v4, 0, v6, vcc
	v_add_u32_e32 v1, v1, v4
	v_cmp_eq_u32_e32 vcc, 0, v2
	s_and_saveexec_b64 s[0:1], vcc
; %bb.129:
	v_lshrrev_b32_e32 v4, 4, v0
	v_and_b32_e32 v4, 12, v4
	ds_write_b32 v4, v1 offset:96
; %bb.130:
	s_or_b64 exec, exec, s[0:1]
	v_cmp_gt_u32_e32 vcc, 4, v0
	s_waitcnt lgkmcnt(0)
	s_barrier
	s_and_saveexec_b64 s[0:1], vcc
	s_cbranch_execz .LBB349_132
; %bb.131:
	ds_read_b32 v1, v3 offset:96
	v_and_b32_e32 v4, 3, v2
	v_cmp_ne_u32_e32 vcc, 3, v4
	v_addc_co_u32_e32 v2, vcc, 0, v2, vcc
	v_lshlrev_b32_e32 v2, 2, v2
	s_waitcnt lgkmcnt(0)
	ds_bpermute_b32 v2, v2, v1
	s_add_i32 s2, s2, 63
	s_lshr_b32 s2, s2, 6
	v_add_u32_e32 v5, 1, v4
	v_cmp_gt_u32_e32 vcc, s2, v5
	s_waitcnt lgkmcnt(0)
	v_cndmask_b32_e32 v2, 0, v2, vcc
	v_add_u32_e32 v1, v2, v1
	v_or_b32_e32 v2, 8, v3
	ds_bpermute_b32 v2, v2, v1
	v_add_u32_e32 v3, 2, v4
	v_cmp_gt_u32_e32 vcc, s2, v3
	s_waitcnt lgkmcnt(0)
	v_cndmask_b32_e32 v2, 0, v2, vcc
	v_add_u32_e32 v1, v1, v2
.LBB349_132:
	s_or_b64 exec, exec, s[0:1]
.LBB349_133:
	v_cmp_eq_u32_e64 s[0:1], 0, v0
	s_branch .LBB349_142
.LBB349_134:
	s_cmp_eq_u32 s33, 8
	s_cbranch_scc0 .LBB349_141
; %bb.135:
	s_lshl_b32 s2, s6, 11
	s_lshr_b64 s[0:1], s[36:37], 11
	s_add_u32 s16, s40, s2
	s_addc_u32 s17, s41, 0
	s_add_u32 s18, s42, s2
	s_mov_b32 s7, 0
	s_addc_u32 s19, s43, 0
	s_cmp_lg_u64 s[0:1], s[6:7]
	s_cbranch_scc0 .LBB349_143
; %bb.136:
	global_load_ubyte v1, v0, s[18:19]
	global_load_ubyte v4, v0, s[16:17]
	global_load_ubyte v5, v0, s[16:17] offset:512
	global_load_ubyte v6, v0, s[18:19] offset:512
	;; [unrolled: 1-line block ×14, first 2 shown]
	v_mbcnt_lo_u32_b32 v2, -1, 0
	v_mbcnt_hi_u32_b32 v2, -1, v2
	v_lshlrev_b32_e32 v3, 2, v2
	s_waitcnt vmcnt(14)
	v_cmp_ne_u16_e32 vcc, v4, v1
	v_cndmask_b32_e64 v1, 0, 1, vcc
	s_waitcnt vmcnt(12)
	v_cmp_ne_u16_e32 vcc, v5, v6
	v_cndmask_b32_e64 v4, 0, 1, vcc
	s_waitcnt vmcnt(10)
	v_cmp_ne_u16_e32 vcc, v8, v7
	v_cndmask_b32_e64 v5, 0, 1, vcc
	s_waitcnt vmcnt(8)
	v_cmp_ne_u16_e32 vcc, v9, v10
	v_cndmask_b32_e64 v6, 0, 1, vcc
	s_waitcnt vmcnt(6)
	v_cmp_ne_u16_e32 vcc, v12, v11
	v_addc_co_u32_e32 v1, vcc, 0, v1, vcc
	s_waitcnt vmcnt(4)
	v_cmp_ne_u16_e32 vcc, v13, v14
	v_addc_co_u32_e32 v1, vcc, v1, v4, vcc
	;; [unrolled: 3-line block ×4, first 2 shown]
	v_or_b32_e32 v4, 0xfc, v3
	s_nop 0
	v_add_u32_dpp v1, v1, v1 quad_perm:[1,0,3,2] row_mask:0xf bank_mask:0xf bound_ctrl:1
	v_cmp_eq_u32_e32 vcc, 0, v2
	s_nop 0
	v_add_u32_dpp v1, v1, v1 quad_perm:[2,3,0,1] row_mask:0xf bank_mask:0xf bound_ctrl:1
	s_nop 1
	v_add_u32_dpp v1, v1, v1 row_ror:4 row_mask:0xf bank_mask:0xf bound_ctrl:1
	s_nop 1
	v_add_u32_dpp v1, v1, v1 row_ror:8 row_mask:0xf bank_mask:0xf bound_ctrl:1
	s_nop 1
	v_add_u32_dpp v1, v1, v1 row_bcast:15 row_mask:0xf bank_mask:0xf bound_ctrl:1
	s_nop 1
	v_add_u32_dpp v1, v1, v1 row_bcast:31 row_mask:0xf bank_mask:0xf bound_ctrl:1
	ds_bpermute_b32 v1, v4, v1
	s_and_saveexec_b64 s[0:1], vcc
	s_cbranch_execz .LBB349_138
; %bb.137:
	v_lshrrev_b32_e32 v4, 4, v0
	v_and_b32_e32 v4, 12, v4
	s_waitcnt lgkmcnt(0)
	ds_write_b32 v4, v1 offset:80
.LBB349_138:
	s_or_b64 exec, exec, s[0:1]
	v_cmp_gt_u32_e32 vcc, 64, v0
	s_waitcnt lgkmcnt(0)
	s_barrier
	s_and_saveexec_b64 s[0:1], vcc
	s_cbranch_execz .LBB349_140
; %bb.139:
	v_and_b32_e32 v1, 3, v2
	v_lshlrev_b32_e32 v4, 2, v1
	ds_read_b32 v4, v4 offset:80
	v_cmp_ne_u32_e32 vcc, 3, v1
	v_addc_co_u32_e32 v1, vcc, 0, v2, vcc
	v_lshlrev_b32_e32 v1, 2, v1
	s_waitcnt lgkmcnt(0)
	ds_bpermute_b32 v1, v1, v4
	v_or_b32_e32 v2, 8, v3
	s_waitcnt lgkmcnt(0)
	v_add_u32_e32 v1, v1, v4
	ds_bpermute_b32 v2, v2, v1
	s_waitcnt lgkmcnt(0)
	v_add_u32_e32 v1, v2, v1
.LBB349_140:
	s_or_b64 exec, exec, s[0:1]
	s_branch .LBB349_165
.LBB349_141:
                                        ; implicit-def: $vgpr1
.LBB349_142:
	s_branch .LBB349_224
.LBB349_143:
                                        ; implicit-def: $vgpr1
	s_cbranch_execz .LBB349_165
; %bb.144:
	s_sub_i32 s22, s36, s2
	v_mov_b32_e32 v1, 0
	v_cmp_gt_u32_e32 vcc, s22, v0
	v_mov_b32_e32 v2, v1
	v_mov_b32_e32 v3, v1
	;; [unrolled: 1-line block ×7, first 2 shown]
	s_and_saveexec_b64 s[0:1], vcc
	s_cbranch_execz .LBB349_146
; %bb.145:
	global_load_ubyte v2, v0, s[16:17]
	global_load_ubyte v9, v0, s[18:19]
	v_mov_b32_e32 v3, v1
	v_mov_b32_e32 v4, v1
	;; [unrolled: 1-line block ×6, first 2 shown]
	s_waitcnt vmcnt(0)
	v_cmp_ne_u16_e32 vcc, v2, v9
	v_cndmask_b32_e64 v2, 0, 1, vcc
	v_and_b32_e32 v2, 0xffff, v2
	v_mov_b32_e32 v9, v1
	v_mov_b32_e32 v1, v2
	;; [unrolled: 1-line block ×9, first 2 shown]
.LBB349_146:
	s_or_b64 exec, exec, s[0:1]
	v_or_b32_e32 v9, 0x100, v0
	v_cmp_gt_u32_e32 vcc, s22, v9
	s_and_saveexec_b64 s[2:3], vcc
	s_cbranch_execz .LBB349_148
; %bb.147:
	global_load_ubyte v2, v0, s[16:17] offset:256
	global_load_ubyte v9, v0, s[18:19] offset:256
	s_waitcnt vmcnt(0)
	v_cmp_ne_u16_e64 s[0:1], v2, v9
	v_cndmask_b32_e64 v2, 0, 1, s[0:1]
.LBB349_148:
	s_or_b64 exec, exec, s[2:3]
	v_or_b32_e32 v9, 0x200, v0
	v_cmp_gt_u32_e64 s[0:1], s22, v9
	s_and_saveexec_b64 s[8:9], s[0:1]
	s_cbranch_execz .LBB349_150
; %bb.149:
	global_load_ubyte v3, v0, s[16:17] offset:512
	global_load_ubyte v9, v0, s[18:19] offset:512
	s_waitcnt vmcnt(0)
	v_cmp_ne_u16_e64 s[2:3], v3, v9
	v_cndmask_b32_e64 v3, 0, 1, s[2:3]
.LBB349_150:
	s_or_b64 exec, exec, s[8:9]
	v_or_b32_e32 v9, 0x300, v0
	v_cmp_gt_u32_e64 s[2:3], s22, v9
	s_and_saveexec_b64 s[10:11], s[2:3]
	;; [unrolled: 12-line block ×6, first 2 shown]
	s_cbranch_execz .LBB349_160
; %bb.159:
	global_load_ubyte v8, v0, s[16:17] offset:1792
	global_load_ubyte v9, v0, s[18:19] offset:1792
	s_waitcnt vmcnt(0)
	v_cmp_ne_u16_e64 s[16:17], v8, v9
	v_cndmask_b32_e64 v8, 0, 1, s[16:17]
.LBB349_160:
	s_or_b64 exec, exec, s[20:21]
	v_cndmask_b32_e32 v2, 0, v2, vcc
	v_add_u32_e32 v1, v2, v1
	v_cndmask_b32_e64 v2, 0, v3, s[0:1]
	v_cndmask_b32_e64 v3, 0, v4, s[2:3]
	v_add3_u32 v1, v1, v2, v3
	v_cndmask_b32_e64 v2, 0, v5, s[8:9]
	v_cndmask_b32_e64 v3, 0, v6, s[10:11]
	v_add3_u32 v1, v1, v2, v3
	;; [unrolled: 3-line block ×3, first 2 shown]
	v_mbcnt_lo_u32_b32 v2, -1, 0
	v_mbcnt_hi_u32_b32 v2, -1, v2
	v_and_b32_e32 v4, 63, v2
	v_cmp_ne_u32_e32 vcc, 63, v4
	v_addc_co_u32_e32 v3, vcc, 0, v2, vcc
	v_lshlrev_b32_e32 v3, 2, v3
	ds_bpermute_b32 v3, v3, v1
	s_min_u32 s2, s22, 0x100
	v_and_b32_e32 v5, 0xc0, v0
	v_sub_u32_e64 v5, s2, v5 clamp
	v_add_u32_e32 v6, 1, v4
	v_cmp_lt_u32_e32 vcc, v6, v5
	s_waitcnt lgkmcnt(0)
	v_cndmask_b32_e32 v3, 0, v3, vcc
	v_cmp_gt_u32_e32 vcc, 62, v4
	v_add_u32_e32 v1, v1, v3
	v_cndmask_b32_e64 v3, 0, 2, vcc
	v_add_lshl_u32 v3, v3, v2, 2
	ds_bpermute_b32 v3, v3, v1
	v_add_u32_e32 v6, 2, v4
	v_cmp_lt_u32_e32 vcc, v6, v5
	v_add_u32_e32 v6, 4, v4
	s_waitcnt lgkmcnt(0)
	v_cndmask_b32_e32 v3, 0, v3, vcc
	v_cmp_gt_u32_e32 vcc, 60, v4
	v_add_u32_e32 v1, v1, v3
	v_cndmask_b32_e64 v3, 0, 4, vcc
	v_add_lshl_u32 v3, v3, v2, 2
	ds_bpermute_b32 v3, v3, v1
	v_cmp_lt_u32_e32 vcc, v6, v5
	v_add_u32_e32 v6, 8, v4
	s_waitcnt lgkmcnt(0)
	v_cndmask_b32_e32 v3, 0, v3, vcc
	v_cmp_gt_u32_e32 vcc, 56, v4
	v_add_u32_e32 v1, v1, v3
	v_cndmask_b32_e64 v3, 0, 8, vcc
	v_add_lshl_u32 v3, v3, v2, 2
	ds_bpermute_b32 v3, v3, v1
	;; [unrolled: 9-line block ×3, first 2 shown]
	v_cmp_lt_u32_e32 vcc, v6, v5
	v_add_u32_e32 v4, 32, v4
	s_waitcnt lgkmcnt(0)
	v_cndmask_b32_e32 v3, 0, v3, vcc
	v_add_u32_e32 v1, v1, v3
	v_lshlrev_b32_e32 v3, 2, v2
	v_or_b32_e32 v6, 0x80, v3
	ds_bpermute_b32 v6, v6, v1
	v_cmp_lt_u32_e32 vcc, v4, v5
	s_waitcnt lgkmcnt(0)
	v_cndmask_b32_e32 v4, 0, v6, vcc
	v_add_u32_e32 v1, v1, v4
	v_cmp_eq_u32_e32 vcc, 0, v2
	s_and_saveexec_b64 s[0:1], vcc
; %bb.161:
	v_lshrrev_b32_e32 v4, 4, v0
	v_and_b32_e32 v4, 12, v4
	ds_write_b32 v4, v1 offset:96
; %bb.162:
	s_or_b64 exec, exec, s[0:1]
	v_cmp_gt_u32_e32 vcc, 4, v0
	s_waitcnt lgkmcnt(0)
	s_barrier
	s_and_saveexec_b64 s[0:1], vcc
	s_cbranch_execz .LBB349_164
; %bb.163:
	ds_read_b32 v1, v3 offset:96
	v_and_b32_e32 v4, 3, v2
	v_cmp_ne_u32_e32 vcc, 3, v4
	v_addc_co_u32_e32 v2, vcc, 0, v2, vcc
	v_lshlrev_b32_e32 v2, 2, v2
	s_waitcnt lgkmcnt(0)
	ds_bpermute_b32 v2, v2, v1
	s_add_i32 s2, s2, 63
	s_lshr_b32 s2, s2, 6
	v_add_u32_e32 v5, 1, v4
	v_cmp_gt_u32_e32 vcc, s2, v5
	s_waitcnt lgkmcnt(0)
	v_cndmask_b32_e32 v2, 0, v2, vcc
	v_add_u32_e32 v1, v2, v1
	v_or_b32_e32 v2, 8, v3
	ds_bpermute_b32 v2, v2, v1
	v_add_u32_e32 v3, 2, v4
	v_cmp_gt_u32_e32 vcc, s2, v3
	s_waitcnt lgkmcnt(0)
	v_cndmask_b32_e32 v2, 0, v2, vcc
	v_add_u32_e32 v1, v1, v2
.LBB349_164:
	s_or_b64 exec, exec, s[0:1]
.LBB349_165:
	v_cmp_eq_u32_e64 s[0:1], 0, v0
	s_branch .LBB349_224
.LBB349_166:
	s_cmp_gt_i32 s33, 1
	s_cbranch_scc0 .LBB349_175
; %bb.167:
	s_cmp_gt_i32 s33, 3
	s_cbranch_scc0 .LBB349_176
; %bb.168:
	s_cmp_eq_u32 s33, 4
	s_cbranch_scc0 .LBB349_177
; %bb.169:
	s_lshl_b32 s2, s6, 10
	s_lshr_b64 s[0:1], s[36:37], 10
	s_add_u32 s8, s40, s2
	s_addc_u32 s9, s41, 0
	s_add_u32 s10, s42, s2
	s_mov_b32 s7, 0
	s_addc_u32 s11, s43, 0
	s_cmp_lg_u64 s[0:1], s[6:7]
	s_cbranch_scc0 .LBB349_179
; %bb.170:
	global_load_ubyte v1, v0, s[8:9]
	global_load_ubyte v4, v0, s[10:11]
	global_load_ubyte v5, v0, s[8:9] offset:512
	global_load_ubyte v6, v0, s[10:11] offset:512
	;; [unrolled: 1-line block ×6, first 2 shown]
	v_mbcnt_lo_u32_b32 v2, -1, 0
	v_mbcnt_hi_u32_b32 v2, -1, v2
	v_lshlrev_b32_e32 v3, 2, v2
	s_waitcnt vmcnt(6)
	v_cmp_ne_u16_e32 vcc, v1, v4
	v_cndmask_b32_e64 v1, 0, 1, vcc
	s_waitcnt vmcnt(4)
	v_cmp_ne_u16_e32 vcc, v5, v6
	v_cndmask_b32_e64 v4, 0, 1, vcc
	s_waitcnt vmcnt(2)
	v_cmp_ne_u16_e32 vcc, v7, v8
	v_addc_co_u32_e32 v1, vcc, 0, v1, vcc
	s_waitcnt vmcnt(0)
	v_cmp_ne_u16_e32 vcc, v10, v9
	v_addc_co_u32_e32 v1, vcc, v1, v4, vcc
	v_or_b32_e32 v4, 0xfc, v3
	s_nop 0
	v_add_u32_dpp v1, v1, v1 quad_perm:[1,0,3,2] row_mask:0xf bank_mask:0xf bound_ctrl:1
	v_cmp_eq_u32_e32 vcc, 0, v2
	s_nop 0
	v_add_u32_dpp v1, v1, v1 quad_perm:[2,3,0,1] row_mask:0xf bank_mask:0xf bound_ctrl:1
	s_nop 1
	v_add_u32_dpp v1, v1, v1 row_ror:4 row_mask:0xf bank_mask:0xf bound_ctrl:1
	s_nop 1
	v_add_u32_dpp v1, v1, v1 row_ror:8 row_mask:0xf bank_mask:0xf bound_ctrl:1
	s_nop 1
	v_add_u32_dpp v1, v1, v1 row_bcast:15 row_mask:0xf bank_mask:0xf bound_ctrl:1
	s_nop 1
	v_add_u32_dpp v1, v1, v1 row_bcast:31 row_mask:0xf bank_mask:0xf bound_ctrl:1
	ds_bpermute_b32 v1, v4, v1
	s_and_saveexec_b64 s[0:1], vcc
	s_cbranch_execz .LBB349_172
; %bb.171:
	v_lshrrev_b32_e32 v4, 4, v0
	v_and_b32_e32 v4, 12, v4
	s_waitcnt lgkmcnt(0)
	ds_write_b32 v4, v1 offset:64
.LBB349_172:
	s_or_b64 exec, exec, s[0:1]
	v_cmp_gt_u32_e32 vcc, 64, v0
	s_waitcnt lgkmcnt(0)
	s_barrier
	s_and_saveexec_b64 s[0:1], vcc
	s_cbranch_execz .LBB349_174
; %bb.173:
	v_and_b32_e32 v1, 3, v2
	v_lshlrev_b32_e32 v4, 2, v1
	ds_read_b32 v4, v4 offset:64
	v_cmp_ne_u32_e32 vcc, 3, v1
	v_addc_co_u32_e32 v1, vcc, 0, v2, vcc
	v_lshlrev_b32_e32 v1, 2, v1
	s_waitcnt lgkmcnt(0)
	ds_bpermute_b32 v1, v1, v4
	v_or_b32_e32 v2, 8, v3
	s_waitcnt lgkmcnt(0)
	v_add_u32_e32 v1, v1, v4
	ds_bpermute_b32 v2, v2, v1
	s_waitcnt lgkmcnt(0)
	v_add_u32_e32 v1, v2, v1
.LBB349_174:
	s_or_b64 exec, exec, s[0:1]
	s_mov_b64 s[0:1], 0
	s_branch .LBB349_180
.LBB349_175:
                                        ; implicit-def: $vgpr1
	s_cbranch_execnz .LBB349_215
	s_branch .LBB349_224
.LBB349_176:
                                        ; implicit-def: $vgpr1
	s_cbranch_execz .LBB349_178
	s_branch .LBB349_195
.LBB349_177:
                                        ; implicit-def: $vgpr1
.LBB349_178:
	s_branch .LBB349_224
.LBB349_179:
	s_mov_b64 s[0:1], -1
                                        ; implicit-def: $vgpr1
.LBB349_180:
	s_and_b64 vcc, exec, s[0:1]
	s_cbranch_vccz .LBB349_194
; %bb.181:
	s_sub_i32 s14, s36, s2
	v_mov_b32_e32 v1, 0
	v_cmp_gt_u32_e32 vcc, s14, v0
	v_mov_b32_e32 v2, v1
	v_mov_b32_e32 v3, v1
	;; [unrolled: 1-line block ×3, first 2 shown]
	s_and_saveexec_b64 s[0:1], vcc
	s_cbranch_execz .LBB349_183
; %bb.182:
	global_load_ubyte v2, v0, s[8:9]
	global_load_ubyte v5, v0, s[10:11]
	v_mov_b32_e32 v3, v1
	v_mov_b32_e32 v4, v1
	s_waitcnt vmcnt(0)
	v_cmp_ne_u16_e32 vcc, v2, v5
	v_cndmask_b32_e64 v2, 0, 1, vcc
	v_and_b32_e32 v2, 0xffff, v2
	v_mov_b32_e32 v5, v1
	v_mov_b32_e32 v1, v2
	;; [unrolled: 1-line block ×5, first 2 shown]
.LBB349_183:
	s_or_b64 exec, exec, s[0:1]
	v_or_b32_e32 v5, 0x100, v0
	v_cmp_gt_u32_e32 vcc, s14, v5
	s_and_saveexec_b64 s[2:3], vcc
	s_cbranch_execz .LBB349_185
; %bb.184:
	global_load_ubyte v2, v0, s[8:9] offset:256
	global_load_ubyte v5, v0, s[10:11] offset:256
	s_waitcnt vmcnt(0)
	v_cmp_ne_u16_e64 s[0:1], v2, v5
	v_cndmask_b32_e64 v2, 0, 1, s[0:1]
.LBB349_185:
	s_or_b64 exec, exec, s[2:3]
	v_or_b32_e32 v5, 0x200, v0
	v_cmp_gt_u32_e64 s[0:1], s14, v5
	s_and_saveexec_b64 s[12:13], s[0:1]
	s_cbranch_execz .LBB349_187
; %bb.186:
	global_load_ubyte v3, v0, s[8:9] offset:512
	global_load_ubyte v5, v0, s[10:11] offset:512
	s_waitcnt vmcnt(0)
	v_cmp_ne_u16_e64 s[2:3], v3, v5
	v_cndmask_b32_e64 v3, 0, 1, s[2:3]
.LBB349_187:
	s_or_b64 exec, exec, s[12:13]
	v_or_b32_e32 v5, 0x300, v0
	v_cmp_gt_u32_e64 s[2:3], s14, v5
	s_and_saveexec_b64 s[12:13], s[2:3]
	s_cbranch_execz .LBB349_189
; %bb.188:
	global_load_ubyte v4, v0, s[8:9] offset:768
	global_load_ubyte v5, v0, s[10:11] offset:768
	s_waitcnt vmcnt(0)
	v_cmp_ne_u16_e64 s[8:9], v4, v5
	v_cndmask_b32_e64 v4, 0, 1, s[8:9]
.LBB349_189:
	s_or_b64 exec, exec, s[12:13]
	v_cndmask_b32_e32 v2, 0, v2, vcc
	v_add_u32_e32 v1, v2, v1
	v_cndmask_b32_e64 v2, 0, v3, s[0:1]
	v_cndmask_b32_e64 v3, 0, v4, s[2:3]
	v_add3_u32 v1, v1, v2, v3
	v_mbcnt_lo_u32_b32 v2, -1, 0
	v_mbcnt_hi_u32_b32 v2, -1, v2
	v_and_b32_e32 v4, 63, v2
	v_cmp_ne_u32_e32 vcc, 63, v4
	v_addc_co_u32_e32 v3, vcc, 0, v2, vcc
	v_lshlrev_b32_e32 v3, 2, v3
	ds_bpermute_b32 v3, v3, v1
	s_min_u32 s2, s14, 0x100
	v_and_b32_e32 v5, 0xc0, v0
	v_sub_u32_e64 v5, s2, v5 clamp
	v_add_u32_e32 v6, 1, v4
	v_cmp_lt_u32_e32 vcc, v6, v5
	s_waitcnt lgkmcnt(0)
	v_cndmask_b32_e32 v3, 0, v3, vcc
	v_cmp_gt_u32_e32 vcc, 62, v4
	v_add_u32_e32 v1, v3, v1
	v_cndmask_b32_e64 v3, 0, 2, vcc
	v_add_lshl_u32 v3, v3, v2, 2
	ds_bpermute_b32 v3, v3, v1
	v_add_u32_e32 v6, 2, v4
	v_cmp_lt_u32_e32 vcc, v6, v5
	v_add_u32_e32 v6, 4, v4
	s_waitcnt lgkmcnt(0)
	v_cndmask_b32_e32 v3, 0, v3, vcc
	v_cmp_gt_u32_e32 vcc, 60, v4
	v_add_u32_e32 v1, v1, v3
	v_cndmask_b32_e64 v3, 0, 4, vcc
	v_add_lshl_u32 v3, v3, v2, 2
	ds_bpermute_b32 v3, v3, v1
	v_cmp_lt_u32_e32 vcc, v6, v5
	v_add_u32_e32 v6, 8, v4
	s_waitcnt lgkmcnt(0)
	v_cndmask_b32_e32 v3, 0, v3, vcc
	v_cmp_gt_u32_e32 vcc, 56, v4
	v_add_u32_e32 v1, v1, v3
	v_cndmask_b32_e64 v3, 0, 8, vcc
	v_add_lshl_u32 v3, v3, v2, 2
	ds_bpermute_b32 v3, v3, v1
	;; [unrolled: 9-line block ×3, first 2 shown]
	v_cmp_lt_u32_e32 vcc, v6, v5
	v_add_u32_e32 v4, 32, v4
	s_waitcnt lgkmcnt(0)
	v_cndmask_b32_e32 v3, 0, v3, vcc
	v_add_u32_e32 v1, v1, v3
	v_lshlrev_b32_e32 v3, 2, v2
	v_or_b32_e32 v6, 0x80, v3
	ds_bpermute_b32 v6, v6, v1
	v_cmp_lt_u32_e32 vcc, v4, v5
	s_waitcnt lgkmcnt(0)
	v_cndmask_b32_e32 v4, 0, v6, vcc
	v_add_u32_e32 v1, v1, v4
	v_cmp_eq_u32_e32 vcc, 0, v2
	s_and_saveexec_b64 s[0:1], vcc
; %bb.190:
	v_lshrrev_b32_e32 v4, 4, v0
	v_and_b32_e32 v4, 12, v4
	ds_write_b32 v4, v1 offset:96
; %bb.191:
	s_or_b64 exec, exec, s[0:1]
	v_cmp_gt_u32_e32 vcc, 4, v0
	s_waitcnt lgkmcnt(0)
	s_barrier
	s_and_saveexec_b64 s[0:1], vcc
	s_cbranch_execz .LBB349_193
; %bb.192:
	ds_read_b32 v1, v3 offset:96
	v_and_b32_e32 v4, 3, v2
	v_cmp_ne_u32_e32 vcc, 3, v4
	v_addc_co_u32_e32 v2, vcc, 0, v2, vcc
	v_lshlrev_b32_e32 v2, 2, v2
	s_waitcnt lgkmcnt(0)
	ds_bpermute_b32 v2, v2, v1
	s_add_i32 s2, s2, 63
	s_lshr_b32 s2, s2, 6
	v_add_u32_e32 v5, 1, v4
	v_cmp_gt_u32_e32 vcc, s2, v5
	s_waitcnt lgkmcnt(0)
	v_cndmask_b32_e32 v2, 0, v2, vcc
	v_add_u32_e32 v1, v2, v1
	v_or_b32_e32 v2, 8, v3
	ds_bpermute_b32 v2, v2, v1
	v_add_u32_e32 v3, 2, v4
	v_cmp_gt_u32_e32 vcc, s2, v3
	s_waitcnt lgkmcnt(0)
	v_cndmask_b32_e32 v2, 0, v2, vcc
	v_add_u32_e32 v1, v1, v2
.LBB349_193:
	s_or_b64 exec, exec, s[0:1]
.LBB349_194:
	v_cmp_eq_u32_e64 s[0:1], 0, v0
	s_branch .LBB349_178
.LBB349_195:
	s_cmp_eq_u32 s33, 2
	s_cbranch_scc0 .LBB349_202
; %bb.196:
	s_lshl_b32 s10, s6, 9
	s_lshr_b64 s[0:1], s[36:37], 9
	s_add_u32 s2, s40, s10
	s_addc_u32 s3, s41, 0
	s_add_u32 s8, s42, s10
	s_mov_b32 s7, 0
	s_addc_u32 s9, s43, 0
	s_cmp_lg_u64 s[0:1], s[6:7]
	s_cbranch_scc0 .LBB349_203
; %bb.197:
	global_load_ubyte v1, v0, s[2:3]
	global_load_ubyte v4, v0, s[8:9]
	global_load_ubyte v5, v0, s[8:9] offset:256
	global_load_ubyte v6, v0, s[2:3] offset:256
	v_mbcnt_lo_u32_b32 v2, -1, 0
	v_mbcnt_hi_u32_b32 v2, -1, v2
	v_lshlrev_b32_e32 v3, 2, v2
	s_waitcnt vmcnt(2)
	v_cmp_ne_u16_e32 vcc, v1, v4
	v_cndmask_b32_e64 v1, 0, 1, vcc
	s_waitcnt vmcnt(0)
	v_cmp_ne_u16_e32 vcc, v6, v5
	v_addc_co_u32_e64 v4, s[0:1], 0, v1, vcc
	s_nop 1
	v_mov_b32_dpp v4, v4 quad_perm:[1,0,3,2] row_mask:0xf bank_mask:0xf bound_ctrl:1
	v_addc_co_u32_e32 v1, vcc, v4, v1, vcc
	v_or_b32_e32 v4, 0xfc, v3
	s_nop 0
	v_add_u32_dpp v1, v1, v1 quad_perm:[2,3,0,1] row_mask:0xf bank_mask:0xf bound_ctrl:1
	v_cmp_eq_u32_e32 vcc, 0, v2
	s_nop 0
	v_add_u32_dpp v1, v1, v1 row_ror:4 row_mask:0xf bank_mask:0xf bound_ctrl:1
	s_nop 1
	v_add_u32_dpp v1, v1, v1 row_ror:8 row_mask:0xf bank_mask:0xf bound_ctrl:1
	s_nop 1
	v_add_u32_dpp v1, v1, v1 row_bcast:15 row_mask:0xf bank_mask:0xf bound_ctrl:1
	s_nop 1
	v_add_u32_dpp v1, v1, v1 row_bcast:31 row_mask:0xf bank_mask:0xf bound_ctrl:1
	ds_bpermute_b32 v1, v4, v1
	s_and_saveexec_b64 s[0:1], vcc
	s_cbranch_execz .LBB349_199
; %bb.198:
	v_lshrrev_b32_e32 v4, 4, v0
	v_and_b32_e32 v4, 12, v4
	s_waitcnt lgkmcnt(0)
	ds_write_b32 v4, v1 offset:32
.LBB349_199:
	s_or_b64 exec, exec, s[0:1]
	v_cmp_gt_u32_e32 vcc, 64, v0
	s_waitcnt lgkmcnt(0)
	s_barrier
	s_and_saveexec_b64 s[0:1], vcc
	s_cbranch_execz .LBB349_201
; %bb.200:
	v_and_b32_e32 v1, 3, v2
	v_lshlrev_b32_e32 v4, 2, v1
	ds_read_b32 v4, v4 offset:32
	v_cmp_ne_u32_e32 vcc, 3, v1
	v_addc_co_u32_e32 v1, vcc, 0, v2, vcc
	v_lshlrev_b32_e32 v1, 2, v1
	s_waitcnt lgkmcnt(0)
	ds_bpermute_b32 v1, v1, v4
	v_or_b32_e32 v2, 8, v3
	s_waitcnt lgkmcnt(0)
	v_add_u32_e32 v1, v1, v4
	ds_bpermute_b32 v2, v2, v1
	s_waitcnt lgkmcnt(0)
	v_add_u32_e32 v1, v2, v1
.LBB349_201:
	s_or_b64 exec, exec, s[0:1]
	s_mov_b64 s[0:1], 0
	s_branch .LBB349_204
.LBB349_202:
                                        ; implicit-def: $vgpr1
	s_branch .LBB349_224
.LBB349_203:
	s_mov_b64 s[0:1], -1
                                        ; implicit-def: $vgpr1
.LBB349_204:
	s_and_b64 vcc, exec, s[0:1]
	s_cbranch_vccz .LBB349_214
; %bb.205:
	s_sub_i32 s12, s36, s10
	v_mov_b32_e32 v1, 0
	v_cmp_gt_u32_e32 vcc, s12, v0
	v_mov_b32_e32 v2, v1
	s_and_saveexec_b64 s[0:1], vcc
	s_cbranch_execz .LBB349_207
; %bb.206:
	global_load_ubyte v2, v0, s[2:3]
	global_load_ubyte v3, v0, s[8:9]
	s_waitcnt vmcnt(0)
	v_cmp_ne_u16_e32 vcc, v2, v3
	v_cndmask_b32_e64 v2, 0, 1, vcc
	v_and_b32_e32 v2, 0xffff, v2
	v_mov_b32_e32 v3, v1
	v_mov_b32_e32 v1, v2
	;; [unrolled: 1-line block ×3, first 2 shown]
.LBB349_207:
	s_or_b64 exec, exec, s[0:1]
	v_or_b32_e32 v3, 0x100, v0
	v_cmp_gt_u32_e32 vcc, s12, v3
	s_and_saveexec_b64 s[10:11], vcc
	s_cbranch_execz .LBB349_209
; %bb.208:
	global_load_ubyte v2, v0, s[2:3] offset:256
	global_load_ubyte v3, v0, s[8:9] offset:256
	s_waitcnt vmcnt(0)
	v_cmp_ne_u16_e64 s[0:1], v2, v3
	v_cndmask_b32_e64 v2, 0, 1, s[0:1]
.LBB349_209:
	s_or_b64 exec, exec, s[10:11]
	v_cndmask_b32_e32 v2, 0, v2, vcc
	v_add_u32_e32 v1, v2, v1
	v_mbcnt_lo_u32_b32 v2, -1, 0
	v_mbcnt_hi_u32_b32 v2, -1, v2
	v_and_b32_e32 v4, 63, v2
	v_cmp_ne_u32_e32 vcc, 63, v4
	v_addc_co_u32_e32 v3, vcc, 0, v2, vcc
	v_lshlrev_b32_e32 v3, 2, v3
	ds_bpermute_b32 v3, v3, v1
	s_min_u32 s2, s12, 0x100
	v_and_b32_e32 v5, 0xc0, v0
	v_sub_u32_e64 v5, s2, v5 clamp
	v_add_u32_e32 v6, 1, v4
	v_cmp_lt_u32_e32 vcc, v6, v5
	s_waitcnt lgkmcnt(0)
	v_cndmask_b32_e32 v3, 0, v3, vcc
	v_cmp_gt_u32_e32 vcc, 62, v4
	v_add_u32_e32 v1, v3, v1
	v_cndmask_b32_e64 v3, 0, 2, vcc
	v_add_lshl_u32 v3, v3, v2, 2
	ds_bpermute_b32 v3, v3, v1
	v_add_u32_e32 v6, 2, v4
	v_cmp_lt_u32_e32 vcc, v6, v5
	v_add_u32_e32 v6, 4, v4
	s_waitcnt lgkmcnt(0)
	v_cndmask_b32_e32 v3, 0, v3, vcc
	v_cmp_gt_u32_e32 vcc, 60, v4
	v_add_u32_e32 v1, v1, v3
	v_cndmask_b32_e64 v3, 0, 4, vcc
	v_add_lshl_u32 v3, v3, v2, 2
	ds_bpermute_b32 v3, v3, v1
	v_cmp_lt_u32_e32 vcc, v6, v5
	v_add_u32_e32 v6, 8, v4
	s_waitcnt lgkmcnt(0)
	v_cndmask_b32_e32 v3, 0, v3, vcc
	v_cmp_gt_u32_e32 vcc, 56, v4
	v_add_u32_e32 v1, v1, v3
	v_cndmask_b32_e64 v3, 0, 8, vcc
	v_add_lshl_u32 v3, v3, v2, 2
	ds_bpermute_b32 v3, v3, v1
	;; [unrolled: 9-line block ×3, first 2 shown]
	v_cmp_lt_u32_e32 vcc, v6, v5
	v_add_u32_e32 v4, 32, v4
	s_waitcnt lgkmcnt(0)
	v_cndmask_b32_e32 v3, 0, v3, vcc
	v_add_u32_e32 v1, v1, v3
	v_lshlrev_b32_e32 v3, 2, v2
	v_or_b32_e32 v6, 0x80, v3
	ds_bpermute_b32 v6, v6, v1
	v_cmp_lt_u32_e32 vcc, v4, v5
	s_waitcnt lgkmcnt(0)
	v_cndmask_b32_e32 v4, 0, v6, vcc
	v_add_u32_e32 v1, v1, v4
	v_cmp_eq_u32_e32 vcc, 0, v2
	s_and_saveexec_b64 s[0:1], vcc
; %bb.210:
	v_lshrrev_b32_e32 v4, 4, v0
	v_and_b32_e32 v4, 12, v4
	ds_write_b32 v4, v1 offset:96
; %bb.211:
	s_or_b64 exec, exec, s[0:1]
	v_cmp_gt_u32_e32 vcc, 4, v0
	s_waitcnt lgkmcnt(0)
	s_barrier
	s_and_saveexec_b64 s[0:1], vcc
	s_cbranch_execz .LBB349_213
; %bb.212:
	ds_read_b32 v1, v3 offset:96
	v_and_b32_e32 v4, 3, v2
	v_cmp_ne_u32_e32 vcc, 3, v4
	v_addc_co_u32_e32 v2, vcc, 0, v2, vcc
	v_lshlrev_b32_e32 v2, 2, v2
	s_waitcnt lgkmcnt(0)
	ds_bpermute_b32 v2, v2, v1
	s_add_i32 s2, s2, 63
	s_lshr_b32 s2, s2, 6
	v_add_u32_e32 v5, 1, v4
	v_cmp_gt_u32_e32 vcc, s2, v5
	s_waitcnt lgkmcnt(0)
	v_cndmask_b32_e32 v2, 0, v2, vcc
	v_add_u32_e32 v1, v2, v1
	v_or_b32_e32 v2, 8, v3
	ds_bpermute_b32 v2, v2, v1
	v_add_u32_e32 v3, 2, v4
	v_cmp_gt_u32_e32 vcc, s2, v3
	s_waitcnt lgkmcnt(0)
	v_cndmask_b32_e32 v2, 0, v2, vcc
	v_add_u32_e32 v1, v1, v2
.LBB349_213:
	s_or_b64 exec, exec, s[0:1]
.LBB349_214:
	v_cmp_eq_u32_e64 s[0:1], 0, v0
	s_branch .LBB349_224
.LBB349_215:
	s_cmp_eq_u32 s33, 1
	s_cbranch_scc0 .LBB349_223
; %bb.216:
	s_lshl_b32 s2, s6, 8
	s_mov_b32 s7, 0
	s_lshr_b64 s[0:1], s[36:37], 8
	s_cmp_lg_u64 s[0:1], s[6:7]
	v_mbcnt_lo_u32_b32 v2, -1, 0
	s_cbranch_scc0 .LBB349_227
; %bb.217:
	s_add_u32 s0, s40, s2
	s_addc_u32 s1, s41, 0
	s_add_u32 s8, s42, s2
	s_addc_u32 s9, s43, 0
	global_load_ubyte v1, v0, s[0:1]
	global_load_ubyte v5, v0, s[8:9]
	v_mbcnt_hi_u32_b32 v3, -1, v2
	v_lshlrev_b32_e32 v4, 2, v3
	s_waitcnt vmcnt(0)
	v_cmp_ne_u16_e32 vcc, v1, v5
	v_cndmask_b32_e64 v1, 0, 1, vcc
	s_nop 1
	v_mov_b32_dpp v1, v1 quad_perm:[1,0,3,2] row_mask:0xf bank_mask:0xf bound_ctrl:1
	v_addc_co_u32_e64 v5, s[0:1], 0, v1, vcc
	s_nop 1
	v_mov_b32_dpp v5, v5 quad_perm:[2,3,0,1] row_mask:0xf bank_mask:0xf bound_ctrl:1
	v_addc_co_u32_e32 v1, vcc, v5, v1, vcc
	v_or_b32_e32 v5, 0xfc, v4
	s_nop 0
	v_add_u32_dpp v1, v1, v1 row_ror:4 row_mask:0xf bank_mask:0xf bound_ctrl:1
	v_cmp_eq_u32_e32 vcc, 0, v3
	s_nop 0
	v_add_u32_dpp v1, v1, v1 row_ror:8 row_mask:0xf bank_mask:0xf bound_ctrl:1
	s_nop 1
	v_add_u32_dpp v1, v1, v1 row_bcast:15 row_mask:0xf bank_mask:0xf bound_ctrl:1
	s_nop 1
	v_add_u32_dpp v1, v1, v1 row_bcast:31 row_mask:0xf bank_mask:0xf bound_ctrl:1
	ds_bpermute_b32 v1, v5, v1
	s_and_saveexec_b64 s[0:1], vcc
	s_cbranch_execz .LBB349_219
; %bb.218:
	v_lshrrev_b32_e32 v5, 4, v0
	v_and_b32_e32 v5, 12, v5
	s_waitcnt lgkmcnt(0)
	ds_write_b32 v5, v1 offset:16
.LBB349_219:
	s_or_b64 exec, exec, s[0:1]
	v_cmp_gt_u32_e32 vcc, 64, v0
	s_waitcnt lgkmcnt(0)
	s_barrier
	s_and_saveexec_b64 s[0:1], vcc
	s_cbranch_execz .LBB349_221
; %bb.220:
	v_and_b32_e32 v1, 3, v3
	v_lshlrev_b32_e32 v5, 2, v1
	ds_read_b32 v5, v5 offset:16
	v_cmp_ne_u32_e32 vcc, 3, v1
	v_addc_co_u32_e32 v1, vcc, 0, v3, vcc
	v_lshlrev_b32_e32 v1, 2, v1
	s_waitcnt lgkmcnt(0)
	ds_bpermute_b32 v1, v1, v5
	v_or_b32_e32 v3, 8, v4
	s_waitcnt lgkmcnt(0)
	v_add_u32_e32 v1, v1, v5
	ds_bpermute_b32 v3, v3, v1
	s_waitcnt lgkmcnt(0)
	v_add_u32_e32 v1, v3, v1
.LBB349_221:
	s_or_b64 exec, exec, s[0:1]
.LBB349_222:
	v_cmp_eq_u32_e64 s[0:1], 0, v0
	s_and_saveexec_b64 s[2:3], s[0:1]
	s_cbranch_execnz .LBB349_225
	s_branch .LBB349_226
.LBB349_223:
                                        ; implicit-def: $vgpr1
                                        ; implicit-def: $sgpr6_sgpr7
.LBB349_224:
	s_and_saveexec_b64 s[2:3], s[0:1]
	s_cbranch_execz .LBB349_226
.LBB349_225:
	s_lshl_b64 s[0:1], s[6:7], 2
	s_load_dword s2, s[4:5], 0x30
	s_add_u32 s0, s38, s0
	s_addc_u32 s1, s39, s1
	s_cmp_lg_u64 s[36:37], 0
	s_cselect_b64 vcc, -1, 0
	v_cndmask_b32_e32 v1, 0, v1, vcc
	v_mov_b32_e32 v0, 0
	s_waitcnt lgkmcnt(0)
	v_add_u32_e32 v1, s2, v1
	global_store_dword v0, v1, s[0:1]
.LBB349_226:
	s_endpgm
.LBB349_227:
                                        ; implicit-def: $vgpr1
	s_cbranch_execz .LBB349_222
; %bb.228:
	s_sub_i32 s3, s36, s2
	v_cmp_gt_u32_e32 vcc, s3, v0
                                        ; implicit-def: $vgpr1
	s_and_saveexec_b64 s[0:1], vcc
	s_cbranch_execz .LBB349_230
; %bb.229:
	s_add_u32 s8, s42, s2
	s_addc_u32 s9, s43, 0
	s_add_u32 s10, s40, s2
	s_addc_u32 s11, s41, 0
	global_load_ubyte v1, v0, s[10:11]
	global_load_ubyte v3, v0, s[8:9]
	s_waitcnt vmcnt(0)
	v_cmp_ne_u16_e32 vcc, v1, v3
	v_cndmask_b32_e64 v1, 0, 1, vcc
.LBB349_230:
	s_or_b64 exec, exec, s[0:1]
	v_mbcnt_hi_u32_b32 v2, -1, v2
	v_and_b32_e32 v4, 63, v2
	v_cmp_ne_u32_e32 vcc, 63, v4
	v_addc_co_u32_e32 v3, vcc, 0, v2, vcc
	v_lshlrev_b32_e32 v3, 2, v3
	ds_bpermute_b32 v3, v3, v1
	s_min_u32 s2, s3, 0x100
	v_and_b32_e32 v5, 0xc0, v0
	v_sub_u32_e64 v5, s2, v5 clamp
	v_add_u32_e32 v6, 1, v4
	v_cmp_lt_u32_e32 vcc, v6, v5
	s_waitcnt lgkmcnt(0)
	v_cndmask_b32_e32 v3, 0, v3, vcc
	v_cmp_gt_u32_e32 vcc, 62, v4
	v_add_u32_e32 v1, v3, v1
	v_cndmask_b32_e64 v3, 0, 2, vcc
	v_add_lshl_u32 v3, v3, v2, 2
	ds_bpermute_b32 v3, v3, v1
	v_add_u32_e32 v6, 2, v4
	v_cmp_lt_u32_e32 vcc, v6, v5
	v_add_u32_e32 v6, 4, v4
	s_waitcnt lgkmcnt(0)
	v_cndmask_b32_e32 v3, 0, v3, vcc
	v_cmp_gt_u32_e32 vcc, 60, v4
	v_add_u32_e32 v1, v1, v3
	v_cndmask_b32_e64 v3, 0, 4, vcc
	v_add_lshl_u32 v3, v3, v2, 2
	ds_bpermute_b32 v3, v3, v1
	v_cmp_lt_u32_e32 vcc, v6, v5
	v_add_u32_e32 v6, 8, v4
	s_waitcnt lgkmcnt(0)
	v_cndmask_b32_e32 v3, 0, v3, vcc
	v_cmp_gt_u32_e32 vcc, 56, v4
	v_add_u32_e32 v1, v1, v3
	v_cndmask_b32_e64 v3, 0, 8, vcc
	v_add_lshl_u32 v3, v3, v2, 2
	ds_bpermute_b32 v3, v3, v1
	;; [unrolled: 9-line block ×3, first 2 shown]
	v_cmp_lt_u32_e32 vcc, v6, v5
	v_add_u32_e32 v4, 32, v4
	s_waitcnt lgkmcnt(0)
	v_cndmask_b32_e32 v3, 0, v3, vcc
	v_add_u32_e32 v1, v1, v3
	v_lshlrev_b32_e32 v3, 2, v2
	v_or_b32_e32 v6, 0x80, v3
	ds_bpermute_b32 v6, v6, v1
	v_cmp_lt_u32_e32 vcc, v4, v5
	s_waitcnt lgkmcnt(0)
	v_cndmask_b32_e32 v4, 0, v6, vcc
	v_add_u32_e32 v1, v1, v4
	v_cmp_eq_u32_e32 vcc, 0, v2
	s_and_saveexec_b64 s[0:1], vcc
; %bb.231:
	v_lshrrev_b32_e32 v4, 4, v0
	v_and_b32_e32 v4, 12, v4
	ds_write_b32 v4, v1 offset:96
; %bb.232:
	s_or_b64 exec, exec, s[0:1]
	v_cmp_gt_u32_e32 vcc, 4, v0
	s_waitcnt lgkmcnt(0)
	s_barrier
	s_and_saveexec_b64 s[0:1], vcc
	s_cbranch_execz .LBB349_234
; %bb.233:
	ds_read_b32 v1, v3 offset:96
	v_and_b32_e32 v4, 3, v2
	v_cmp_ne_u32_e32 vcc, 3, v4
	v_addc_co_u32_e32 v2, vcc, 0, v2, vcc
	v_lshlrev_b32_e32 v2, 2, v2
	s_waitcnt lgkmcnt(0)
	ds_bpermute_b32 v2, v2, v1
	s_add_i32 s2, s2, 63
	s_lshr_b32 s2, s2, 6
	v_add_u32_e32 v5, 1, v4
	v_cmp_gt_u32_e32 vcc, s2, v5
	s_waitcnt lgkmcnt(0)
	v_cndmask_b32_e32 v2, 0, v2, vcc
	v_add_u32_e32 v1, v2, v1
	v_or_b32_e32 v2, 8, v3
	ds_bpermute_b32 v2, v2, v1
	v_add_u32_e32 v3, 2, v4
	v_cmp_gt_u32_e32 vcc, s2, v3
	s_waitcnt lgkmcnt(0)
	v_cndmask_b32_e32 v2, 0, v2, vcc
	v_add_u32_e32 v1, v1, v2
.LBB349_234:
	s_or_b64 exec, exec, s[0:1]
	v_cmp_eq_u32_e64 s[0:1], 0, v0
	s_and_saveexec_b64 s[2:3], s[0:1]
	s_cbranch_execnz .LBB349_225
	s_branch .LBB349_226
	.section	.rodata,"a",@progbits
	.p2align	6, 0x0
	.amdhsa_kernel _ZN7rocprim17ROCPRIM_400000_NS6detail17trampoline_kernelINS0_14default_configENS1_22reduce_config_selectorIiEEZNS1_11reduce_implILb1ES3_N6thrust23THRUST_200600_302600_NS11hip_rocprim35transform_pair_of_input_iterators_tIiPhSB_NS8_12not_equal_toIhEEEEPiiNS8_4plusIiEEEE10hipError_tPvRmT1_T2_T3_mT4_P12ihipStream_tbEUlT_E1_NS1_11comp_targetILNS1_3genE2ELNS1_11target_archE906ELNS1_3gpuE6ELNS1_3repE0EEENS1_30default_config_static_selectorELNS0_4arch9wavefront6targetE1EEEvSL_
		.amdhsa_group_segment_fixed_size 112
		.amdhsa_private_segment_fixed_size 0
		.amdhsa_kernarg_size 56
		.amdhsa_user_sgpr_count 6
		.amdhsa_user_sgpr_private_segment_buffer 1
		.amdhsa_user_sgpr_dispatch_ptr 0
		.amdhsa_user_sgpr_queue_ptr 0
		.amdhsa_user_sgpr_kernarg_segment_ptr 1
		.amdhsa_user_sgpr_dispatch_id 0
		.amdhsa_user_sgpr_flat_scratch_init 0
		.amdhsa_user_sgpr_private_segment_size 0
		.amdhsa_uses_dynamic_stack 0
		.amdhsa_system_sgpr_private_segment_wavefront_offset 0
		.amdhsa_system_sgpr_workgroup_id_x 1
		.amdhsa_system_sgpr_workgroup_id_y 0
		.amdhsa_system_sgpr_workgroup_id_z 0
		.amdhsa_system_sgpr_workgroup_info 0
		.amdhsa_system_vgpr_workitem_id 0
		.amdhsa_next_free_vgpr 35
		.amdhsa_next_free_sgpr 51
		.amdhsa_reserve_vcc 1
		.amdhsa_reserve_flat_scratch 0
		.amdhsa_float_round_mode_32 0
		.amdhsa_float_round_mode_16_64 0
		.amdhsa_float_denorm_mode_32 3
		.amdhsa_float_denorm_mode_16_64 3
		.amdhsa_dx10_clamp 1
		.amdhsa_ieee_mode 1
		.amdhsa_fp16_overflow 0
		.amdhsa_exception_fp_ieee_invalid_op 0
		.amdhsa_exception_fp_denorm_src 0
		.amdhsa_exception_fp_ieee_div_zero 0
		.amdhsa_exception_fp_ieee_overflow 0
		.amdhsa_exception_fp_ieee_underflow 0
		.amdhsa_exception_fp_ieee_inexact 0
		.amdhsa_exception_int_div_zero 0
	.end_amdhsa_kernel
	.section	.text._ZN7rocprim17ROCPRIM_400000_NS6detail17trampoline_kernelINS0_14default_configENS1_22reduce_config_selectorIiEEZNS1_11reduce_implILb1ES3_N6thrust23THRUST_200600_302600_NS11hip_rocprim35transform_pair_of_input_iterators_tIiPhSB_NS8_12not_equal_toIhEEEEPiiNS8_4plusIiEEEE10hipError_tPvRmT1_T2_T3_mT4_P12ihipStream_tbEUlT_E1_NS1_11comp_targetILNS1_3genE2ELNS1_11target_archE906ELNS1_3gpuE6ELNS1_3repE0EEENS1_30default_config_static_selectorELNS0_4arch9wavefront6targetE1EEEvSL_,"axG",@progbits,_ZN7rocprim17ROCPRIM_400000_NS6detail17trampoline_kernelINS0_14default_configENS1_22reduce_config_selectorIiEEZNS1_11reduce_implILb1ES3_N6thrust23THRUST_200600_302600_NS11hip_rocprim35transform_pair_of_input_iterators_tIiPhSB_NS8_12not_equal_toIhEEEEPiiNS8_4plusIiEEEE10hipError_tPvRmT1_T2_T3_mT4_P12ihipStream_tbEUlT_E1_NS1_11comp_targetILNS1_3genE2ELNS1_11target_archE906ELNS1_3gpuE6ELNS1_3repE0EEENS1_30default_config_static_selectorELNS0_4arch9wavefront6targetE1EEEvSL_,comdat
.Lfunc_end349:
	.size	_ZN7rocprim17ROCPRIM_400000_NS6detail17trampoline_kernelINS0_14default_configENS1_22reduce_config_selectorIiEEZNS1_11reduce_implILb1ES3_N6thrust23THRUST_200600_302600_NS11hip_rocprim35transform_pair_of_input_iterators_tIiPhSB_NS8_12not_equal_toIhEEEEPiiNS8_4plusIiEEEE10hipError_tPvRmT1_T2_T3_mT4_P12ihipStream_tbEUlT_E1_NS1_11comp_targetILNS1_3genE2ELNS1_11target_archE906ELNS1_3gpuE6ELNS1_3repE0EEENS1_30default_config_static_selectorELNS0_4arch9wavefront6targetE1EEEvSL_, .Lfunc_end349-_ZN7rocprim17ROCPRIM_400000_NS6detail17trampoline_kernelINS0_14default_configENS1_22reduce_config_selectorIiEEZNS1_11reduce_implILb1ES3_N6thrust23THRUST_200600_302600_NS11hip_rocprim35transform_pair_of_input_iterators_tIiPhSB_NS8_12not_equal_toIhEEEEPiiNS8_4plusIiEEEE10hipError_tPvRmT1_T2_T3_mT4_P12ihipStream_tbEUlT_E1_NS1_11comp_targetILNS1_3genE2ELNS1_11target_archE906ELNS1_3gpuE6ELNS1_3repE0EEENS1_30default_config_static_selectorELNS0_4arch9wavefront6targetE1EEEvSL_
                                        ; -- End function
	.set _ZN7rocprim17ROCPRIM_400000_NS6detail17trampoline_kernelINS0_14default_configENS1_22reduce_config_selectorIiEEZNS1_11reduce_implILb1ES3_N6thrust23THRUST_200600_302600_NS11hip_rocprim35transform_pair_of_input_iterators_tIiPhSB_NS8_12not_equal_toIhEEEEPiiNS8_4plusIiEEEE10hipError_tPvRmT1_T2_T3_mT4_P12ihipStream_tbEUlT_E1_NS1_11comp_targetILNS1_3genE2ELNS1_11target_archE906ELNS1_3gpuE6ELNS1_3repE0EEENS1_30default_config_static_selectorELNS0_4arch9wavefront6targetE1EEEvSL_.num_vgpr, 35
	.set _ZN7rocprim17ROCPRIM_400000_NS6detail17trampoline_kernelINS0_14default_configENS1_22reduce_config_selectorIiEEZNS1_11reduce_implILb1ES3_N6thrust23THRUST_200600_302600_NS11hip_rocprim35transform_pair_of_input_iterators_tIiPhSB_NS8_12not_equal_toIhEEEEPiiNS8_4plusIiEEEE10hipError_tPvRmT1_T2_T3_mT4_P12ihipStream_tbEUlT_E1_NS1_11comp_targetILNS1_3genE2ELNS1_11target_archE906ELNS1_3gpuE6ELNS1_3repE0EEENS1_30default_config_static_selectorELNS0_4arch9wavefront6targetE1EEEvSL_.num_agpr, 0
	.set _ZN7rocprim17ROCPRIM_400000_NS6detail17trampoline_kernelINS0_14default_configENS1_22reduce_config_selectorIiEEZNS1_11reduce_implILb1ES3_N6thrust23THRUST_200600_302600_NS11hip_rocprim35transform_pair_of_input_iterators_tIiPhSB_NS8_12not_equal_toIhEEEEPiiNS8_4plusIiEEEE10hipError_tPvRmT1_T2_T3_mT4_P12ihipStream_tbEUlT_E1_NS1_11comp_targetILNS1_3genE2ELNS1_11target_archE906ELNS1_3gpuE6ELNS1_3repE0EEENS1_30default_config_static_selectorELNS0_4arch9wavefront6targetE1EEEvSL_.numbered_sgpr, 51
	.set _ZN7rocprim17ROCPRIM_400000_NS6detail17trampoline_kernelINS0_14default_configENS1_22reduce_config_selectorIiEEZNS1_11reduce_implILb1ES3_N6thrust23THRUST_200600_302600_NS11hip_rocprim35transform_pair_of_input_iterators_tIiPhSB_NS8_12not_equal_toIhEEEEPiiNS8_4plusIiEEEE10hipError_tPvRmT1_T2_T3_mT4_P12ihipStream_tbEUlT_E1_NS1_11comp_targetILNS1_3genE2ELNS1_11target_archE906ELNS1_3gpuE6ELNS1_3repE0EEENS1_30default_config_static_selectorELNS0_4arch9wavefront6targetE1EEEvSL_.num_named_barrier, 0
	.set _ZN7rocprim17ROCPRIM_400000_NS6detail17trampoline_kernelINS0_14default_configENS1_22reduce_config_selectorIiEEZNS1_11reduce_implILb1ES3_N6thrust23THRUST_200600_302600_NS11hip_rocprim35transform_pair_of_input_iterators_tIiPhSB_NS8_12not_equal_toIhEEEEPiiNS8_4plusIiEEEE10hipError_tPvRmT1_T2_T3_mT4_P12ihipStream_tbEUlT_E1_NS1_11comp_targetILNS1_3genE2ELNS1_11target_archE906ELNS1_3gpuE6ELNS1_3repE0EEENS1_30default_config_static_selectorELNS0_4arch9wavefront6targetE1EEEvSL_.private_seg_size, 0
	.set _ZN7rocprim17ROCPRIM_400000_NS6detail17trampoline_kernelINS0_14default_configENS1_22reduce_config_selectorIiEEZNS1_11reduce_implILb1ES3_N6thrust23THRUST_200600_302600_NS11hip_rocprim35transform_pair_of_input_iterators_tIiPhSB_NS8_12not_equal_toIhEEEEPiiNS8_4plusIiEEEE10hipError_tPvRmT1_T2_T3_mT4_P12ihipStream_tbEUlT_E1_NS1_11comp_targetILNS1_3genE2ELNS1_11target_archE906ELNS1_3gpuE6ELNS1_3repE0EEENS1_30default_config_static_selectorELNS0_4arch9wavefront6targetE1EEEvSL_.uses_vcc, 1
	.set _ZN7rocprim17ROCPRIM_400000_NS6detail17trampoline_kernelINS0_14default_configENS1_22reduce_config_selectorIiEEZNS1_11reduce_implILb1ES3_N6thrust23THRUST_200600_302600_NS11hip_rocprim35transform_pair_of_input_iterators_tIiPhSB_NS8_12not_equal_toIhEEEEPiiNS8_4plusIiEEEE10hipError_tPvRmT1_T2_T3_mT4_P12ihipStream_tbEUlT_E1_NS1_11comp_targetILNS1_3genE2ELNS1_11target_archE906ELNS1_3gpuE6ELNS1_3repE0EEENS1_30default_config_static_selectorELNS0_4arch9wavefront6targetE1EEEvSL_.uses_flat_scratch, 0
	.set _ZN7rocprim17ROCPRIM_400000_NS6detail17trampoline_kernelINS0_14default_configENS1_22reduce_config_selectorIiEEZNS1_11reduce_implILb1ES3_N6thrust23THRUST_200600_302600_NS11hip_rocprim35transform_pair_of_input_iterators_tIiPhSB_NS8_12not_equal_toIhEEEEPiiNS8_4plusIiEEEE10hipError_tPvRmT1_T2_T3_mT4_P12ihipStream_tbEUlT_E1_NS1_11comp_targetILNS1_3genE2ELNS1_11target_archE906ELNS1_3gpuE6ELNS1_3repE0EEENS1_30default_config_static_selectorELNS0_4arch9wavefront6targetE1EEEvSL_.has_dyn_sized_stack, 0
	.set _ZN7rocprim17ROCPRIM_400000_NS6detail17trampoline_kernelINS0_14default_configENS1_22reduce_config_selectorIiEEZNS1_11reduce_implILb1ES3_N6thrust23THRUST_200600_302600_NS11hip_rocprim35transform_pair_of_input_iterators_tIiPhSB_NS8_12not_equal_toIhEEEEPiiNS8_4plusIiEEEE10hipError_tPvRmT1_T2_T3_mT4_P12ihipStream_tbEUlT_E1_NS1_11comp_targetILNS1_3genE2ELNS1_11target_archE906ELNS1_3gpuE6ELNS1_3repE0EEENS1_30default_config_static_selectorELNS0_4arch9wavefront6targetE1EEEvSL_.has_recursion, 0
	.set _ZN7rocprim17ROCPRIM_400000_NS6detail17trampoline_kernelINS0_14default_configENS1_22reduce_config_selectorIiEEZNS1_11reduce_implILb1ES3_N6thrust23THRUST_200600_302600_NS11hip_rocprim35transform_pair_of_input_iterators_tIiPhSB_NS8_12not_equal_toIhEEEEPiiNS8_4plusIiEEEE10hipError_tPvRmT1_T2_T3_mT4_P12ihipStream_tbEUlT_E1_NS1_11comp_targetILNS1_3genE2ELNS1_11target_archE906ELNS1_3gpuE6ELNS1_3repE0EEENS1_30default_config_static_selectorELNS0_4arch9wavefront6targetE1EEEvSL_.has_indirect_call, 0
	.section	.AMDGPU.csdata,"",@progbits
; Kernel info:
; codeLenInByte = 11564
; TotalNumSgprs: 55
; NumVgprs: 35
; ScratchSize: 0
; MemoryBound: 0
; FloatMode: 240
; IeeeMode: 1
; LDSByteSize: 112 bytes/workgroup (compile time only)
; SGPRBlocks: 6
; VGPRBlocks: 8
; NumSGPRsForWavesPerEU: 55
; NumVGPRsForWavesPerEU: 35
; Occupancy: 7
; WaveLimiterHint : 0
; COMPUTE_PGM_RSRC2:SCRATCH_EN: 0
; COMPUTE_PGM_RSRC2:USER_SGPR: 6
; COMPUTE_PGM_RSRC2:TRAP_HANDLER: 0
; COMPUTE_PGM_RSRC2:TGID_X_EN: 1
; COMPUTE_PGM_RSRC2:TGID_Y_EN: 0
; COMPUTE_PGM_RSRC2:TGID_Z_EN: 0
; COMPUTE_PGM_RSRC2:TIDIG_COMP_CNT: 0
	.section	.text._ZN7rocprim17ROCPRIM_400000_NS6detail17trampoline_kernelINS0_14default_configENS1_22reduce_config_selectorIiEEZNS1_11reduce_implILb1ES3_N6thrust23THRUST_200600_302600_NS11hip_rocprim35transform_pair_of_input_iterators_tIiPhSB_NS8_12not_equal_toIhEEEEPiiNS8_4plusIiEEEE10hipError_tPvRmT1_T2_T3_mT4_P12ihipStream_tbEUlT_E1_NS1_11comp_targetILNS1_3genE10ELNS1_11target_archE1201ELNS1_3gpuE5ELNS1_3repE0EEENS1_30default_config_static_selectorELNS0_4arch9wavefront6targetE1EEEvSL_,"axG",@progbits,_ZN7rocprim17ROCPRIM_400000_NS6detail17trampoline_kernelINS0_14default_configENS1_22reduce_config_selectorIiEEZNS1_11reduce_implILb1ES3_N6thrust23THRUST_200600_302600_NS11hip_rocprim35transform_pair_of_input_iterators_tIiPhSB_NS8_12not_equal_toIhEEEEPiiNS8_4plusIiEEEE10hipError_tPvRmT1_T2_T3_mT4_P12ihipStream_tbEUlT_E1_NS1_11comp_targetILNS1_3genE10ELNS1_11target_archE1201ELNS1_3gpuE5ELNS1_3repE0EEENS1_30default_config_static_selectorELNS0_4arch9wavefront6targetE1EEEvSL_,comdat
	.protected	_ZN7rocprim17ROCPRIM_400000_NS6detail17trampoline_kernelINS0_14default_configENS1_22reduce_config_selectorIiEEZNS1_11reduce_implILb1ES3_N6thrust23THRUST_200600_302600_NS11hip_rocprim35transform_pair_of_input_iterators_tIiPhSB_NS8_12not_equal_toIhEEEEPiiNS8_4plusIiEEEE10hipError_tPvRmT1_T2_T3_mT4_P12ihipStream_tbEUlT_E1_NS1_11comp_targetILNS1_3genE10ELNS1_11target_archE1201ELNS1_3gpuE5ELNS1_3repE0EEENS1_30default_config_static_selectorELNS0_4arch9wavefront6targetE1EEEvSL_ ; -- Begin function _ZN7rocprim17ROCPRIM_400000_NS6detail17trampoline_kernelINS0_14default_configENS1_22reduce_config_selectorIiEEZNS1_11reduce_implILb1ES3_N6thrust23THRUST_200600_302600_NS11hip_rocprim35transform_pair_of_input_iterators_tIiPhSB_NS8_12not_equal_toIhEEEEPiiNS8_4plusIiEEEE10hipError_tPvRmT1_T2_T3_mT4_P12ihipStream_tbEUlT_E1_NS1_11comp_targetILNS1_3genE10ELNS1_11target_archE1201ELNS1_3gpuE5ELNS1_3repE0EEENS1_30default_config_static_selectorELNS0_4arch9wavefront6targetE1EEEvSL_
	.globl	_ZN7rocprim17ROCPRIM_400000_NS6detail17trampoline_kernelINS0_14default_configENS1_22reduce_config_selectorIiEEZNS1_11reduce_implILb1ES3_N6thrust23THRUST_200600_302600_NS11hip_rocprim35transform_pair_of_input_iterators_tIiPhSB_NS8_12not_equal_toIhEEEEPiiNS8_4plusIiEEEE10hipError_tPvRmT1_T2_T3_mT4_P12ihipStream_tbEUlT_E1_NS1_11comp_targetILNS1_3genE10ELNS1_11target_archE1201ELNS1_3gpuE5ELNS1_3repE0EEENS1_30default_config_static_selectorELNS0_4arch9wavefront6targetE1EEEvSL_
	.p2align	8
	.type	_ZN7rocprim17ROCPRIM_400000_NS6detail17trampoline_kernelINS0_14default_configENS1_22reduce_config_selectorIiEEZNS1_11reduce_implILb1ES3_N6thrust23THRUST_200600_302600_NS11hip_rocprim35transform_pair_of_input_iterators_tIiPhSB_NS8_12not_equal_toIhEEEEPiiNS8_4plusIiEEEE10hipError_tPvRmT1_T2_T3_mT4_P12ihipStream_tbEUlT_E1_NS1_11comp_targetILNS1_3genE10ELNS1_11target_archE1201ELNS1_3gpuE5ELNS1_3repE0EEENS1_30default_config_static_selectorELNS0_4arch9wavefront6targetE1EEEvSL_,@function
_ZN7rocprim17ROCPRIM_400000_NS6detail17trampoline_kernelINS0_14default_configENS1_22reduce_config_selectorIiEEZNS1_11reduce_implILb1ES3_N6thrust23THRUST_200600_302600_NS11hip_rocprim35transform_pair_of_input_iterators_tIiPhSB_NS8_12not_equal_toIhEEEEPiiNS8_4plusIiEEEE10hipError_tPvRmT1_T2_T3_mT4_P12ihipStream_tbEUlT_E1_NS1_11comp_targetILNS1_3genE10ELNS1_11target_archE1201ELNS1_3gpuE5ELNS1_3repE0EEENS1_30default_config_static_selectorELNS0_4arch9wavefront6targetE1EEEvSL_: ; @_ZN7rocprim17ROCPRIM_400000_NS6detail17trampoline_kernelINS0_14default_configENS1_22reduce_config_selectorIiEEZNS1_11reduce_implILb1ES3_N6thrust23THRUST_200600_302600_NS11hip_rocprim35transform_pair_of_input_iterators_tIiPhSB_NS8_12not_equal_toIhEEEEPiiNS8_4plusIiEEEE10hipError_tPvRmT1_T2_T3_mT4_P12ihipStream_tbEUlT_E1_NS1_11comp_targetILNS1_3genE10ELNS1_11target_archE1201ELNS1_3gpuE5ELNS1_3repE0EEENS1_30default_config_static_selectorELNS0_4arch9wavefront6targetE1EEEvSL_
; %bb.0:
	.section	.rodata,"a",@progbits
	.p2align	6, 0x0
	.amdhsa_kernel _ZN7rocprim17ROCPRIM_400000_NS6detail17trampoline_kernelINS0_14default_configENS1_22reduce_config_selectorIiEEZNS1_11reduce_implILb1ES3_N6thrust23THRUST_200600_302600_NS11hip_rocprim35transform_pair_of_input_iterators_tIiPhSB_NS8_12not_equal_toIhEEEEPiiNS8_4plusIiEEEE10hipError_tPvRmT1_T2_T3_mT4_P12ihipStream_tbEUlT_E1_NS1_11comp_targetILNS1_3genE10ELNS1_11target_archE1201ELNS1_3gpuE5ELNS1_3repE0EEENS1_30default_config_static_selectorELNS0_4arch9wavefront6targetE1EEEvSL_
		.amdhsa_group_segment_fixed_size 0
		.amdhsa_private_segment_fixed_size 0
		.amdhsa_kernarg_size 56
		.amdhsa_user_sgpr_count 6
		.amdhsa_user_sgpr_private_segment_buffer 1
		.amdhsa_user_sgpr_dispatch_ptr 0
		.amdhsa_user_sgpr_queue_ptr 0
		.amdhsa_user_sgpr_kernarg_segment_ptr 1
		.amdhsa_user_sgpr_dispatch_id 0
		.amdhsa_user_sgpr_flat_scratch_init 0
		.amdhsa_user_sgpr_private_segment_size 0
		.amdhsa_uses_dynamic_stack 0
		.amdhsa_system_sgpr_private_segment_wavefront_offset 0
		.amdhsa_system_sgpr_workgroup_id_x 1
		.amdhsa_system_sgpr_workgroup_id_y 0
		.amdhsa_system_sgpr_workgroup_id_z 0
		.amdhsa_system_sgpr_workgroup_info 0
		.amdhsa_system_vgpr_workitem_id 0
		.amdhsa_next_free_vgpr 1
		.amdhsa_next_free_sgpr 0
		.amdhsa_reserve_vcc 0
		.amdhsa_reserve_flat_scratch 0
		.amdhsa_float_round_mode_32 0
		.amdhsa_float_round_mode_16_64 0
		.amdhsa_float_denorm_mode_32 3
		.amdhsa_float_denorm_mode_16_64 3
		.amdhsa_dx10_clamp 1
		.amdhsa_ieee_mode 1
		.amdhsa_fp16_overflow 0
		.amdhsa_exception_fp_ieee_invalid_op 0
		.amdhsa_exception_fp_denorm_src 0
		.amdhsa_exception_fp_ieee_div_zero 0
		.amdhsa_exception_fp_ieee_overflow 0
		.amdhsa_exception_fp_ieee_underflow 0
		.amdhsa_exception_fp_ieee_inexact 0
		.amdhsa_exception_int_div_zero 0
	.end_amdhsa_kernel
	.section	.text._ZN7rocprim17ROCPRIM_400000_NS6detail17trampoline_kernelINS0_14default_configENS1_22reduce_config_selectorIiEEZNS1_11reduce_implILb1ES3_N6thrust23THRUST_200600_302600_NS11hip_rocprim35transform_pair_of_input_iterators_tIiPhSB_NS8_12not_equal_toIhEEEEPiiNS8_4plusIiEEEE10hipError_tPvRmT1_T2_T3_mT4_P12ihipStream_tbEUlT_E1_NS1_11comp_targetILNS1_3genE10ELNS1_11target_archE1201ELNS1_3gpuE5ELNS1_3repE0EEENS1_30default_config_static_selectorELNS0_4arch9wavefront6targetE1EEEvSL_,"axG",@progbits,_ZN7rocprim17ROCPRIM_400000_NS6detail17trampoline_kernelINS0_14default_configENS1_22reduce_config_selectorIiEEZNS1_11reduce_implILb1ES3_N6thrust23THRUST_200600_302600_NS11hip_rocprim35transform_pair_of_input_iterators_tIiPhSB_NS8_12not_equal_toIhEEEEPiiNS8_4plusIiEEEE10hipError_tPvRmT1_T2_T3_mT4_P12ihipStream_tbEUlT_E1_NS1_11comp_targetILNS1_3genE10ELNS1_11target_archE1201ELNS1_3gpuE5ELNS1_3repE0EEENS1_30default_config_static_selectorELNS0_4arch9wavefront6targetE1EEEvSL_,comdat
.Lfunc_end350:
	.size	_ZN7rocprim17ROCPRIM_400000_NS6detail17trampoline_kernelINS0_14default_configENS1_22reduce_config_selectorIiEEZNS1_11reduce_implILb1ES3_N6thrust23THRUST_200600_302600_NS11hip_rocprim35transform_pair_of_input_iterators_tIiPhSB_NS8_12not_equal_toIhEEEEPiiNS8_4plusIiEEEE10hipError_tPvRmT1_T2_T3_mT4_P12ihipStream_tbEUlT_E1_NS1_11comp_targetILNS1_3genE10ELNS1_11target_archE1201ELNS1_3gpuE5ELNS1_3repE0EEENS1_30default_config_static_selectorELNS0_4arch9wavefront6targetE1EEEvSL_, .Lfunc_end350-_ZN7rocprim17ROCPRIM_400000_NS6detail17trampoline_kernelINS0_14default_configENS1_22reduce_config_selectorIiEEZNS1_11reduce_implILb1ES3_N6thrust23THRUST_200600_302600_NS11hip_rocprim35transform_pair_of_input_iterators_tIiPhSB_NS8_12not_equal_toIhEEEEPiiNS8_4plusIiEEEE10hipError_tPvRmT1_T2_T3_mT4_P12ihipStream_tbEUlT_E1_NS1_11comp_targetILNS1_3genE10ELNS1_11target_archE1201ELNS1_3gpuE5ELNS1_3repE0EEENS1_30default_config_static_selectorELNS0_4arch9wavefront6targetE1EEEvSL_
                                        ; -- End function
	.set _ZN7rocprim17ROCPRIM_400000_NS6detail17trampoline_kernelINS0_14default_configENS1_22reduce_config_selectorIiEEZNS1_11reduce_implILb1ES3_N6thrust23THRUST_200600_302600_NS11hip_rocprim35transform_pair_of_input_iterators_tIiPhSB_NS8_12not_equal_toIhEEEEPiiNS8_4plusIiEEEE10hipError_tPvRmT1_T2_T3_mT4_P12ihipStream_tbEUlT_E1_NS1_11comp_targetILNS1_3genE10ELNS1_11target_archE1201ELNS1_3gpuE5ELNS1_3repE0EEENS1_30default_config_static_selectorELNS0_4arch9wavefront6targetE1EEEvSL_.num_vgpr, 0
	.set _ZN7rocprim17ROCPRIM_400000_NS6detail17trampoline_kernelINS0_14default_configENS1_22reduce_config_selectorIiEEZNS1_11reduce_implILb1ES3_N6thrust23THRUST_200600_302600_NS11hip_rocprim35transform_pair_of_input_iterators_tIiPhSB_NS8_12not_equal_toIhEEEEPiiNS8_4plusIiEEEE10hipError_tPvRmT1_T2_T3_mT4_P12ihipStream_tbEUlT_E1_NS1_11comp_targetILNS1_3genE10ELNS1_11target_archE1201ELNS1_3gpuE5ELNS1_3repE0EEENS1_30default_config_static_selectorELNS0_4arch9wavefront6targetE1EEEvSL_.num_agpr, 0
	.set _ZN7rocprim17ROCPRIM_400000_NS6detail17trampoline_kernelINS0_14default_configENS1_22reduce_config_selectorIiEEZNS1_11reduce_implILb1ES3_N6thrust23THRUST_200600_302600_NS11hip_rocprim35transform_pair_of_input_iterators_tIiPhSB_NS8_12not_equal_toIhEEEEPiiNS8_4plusIiEEEE10hipError_tPvRmT1_T2_T3_mT4_P12ihipStream_tbEUlT_E1_NS1_11comp_targetILNS1_3genE10ELNS1_11target_archE1201ELNS1_3gpuE5ELNS1_3repE0EEENS1_30default_config_static_selectorELNS0_4arch9wavefront6targetE1EEEvSL_.numbered_sgpr, 0
	.set _ZN7rocprim17ROCPRIM_400000_NS6detail17trampoline_kernelINS0_14default_configENS1_22reduce_config_selectorIiEEZNS1_11reduce_implILb1ES3_N6thrust23THRUST_200600_302600_NS11hip_rocprim35transform_pair_of_input_iterators_tIiPhSB_NS8_12not_equal_toIhEEEEPiiNS8_4plusIiEEEE10hipError_tPvRmT1_T2_T3_mT4_P12ihipStream_tbEUlT_E1_NS1_11comp_targetILNS1_3genE10ELNS1_11target_archE1201ELNS1_3gpuE5ELNS1_3repE0EEENS1_30default_config_static_selectorELNS0_4arch9wavefront6targetE1EEEvSL_.num_named_barrier, 0
	.set _ZN7rocprim17ROCPRIM_400000_NS6detail17trampoline_kernelINS0_14default_configENS1_22reduce_config_selectorIiEEZNS1_11reduce_implILb1ES3_N6thrust23THRUST_200600_302600_NS11hip_rocprim35transform_pair_of_input_iterators_tIiPhSB_NS8_12not_equal_toIhEEEEPiiNS8_4plusIiEEEE10hipError_tPvRmT1_T2_T3_mT4_P12ihipStream_tbEUlT_E1_NS1_11comp_targetILNS1_3genE10ELNS1_11target_archE1201ELNS1_3gpuE5ELNS1_3repE0EEENS1_30default_config_static_selectorELNS0_4arch9wavefront6targetE1EEEvSL_.private_seg_size, 0
	.set _ZN7rocprim17ROCPRIM_400000_NS6detail17trampoline_kernelINS0_14default_configENS1_22reduce_config_selectorIiEEZNS1_11reduce_implILb1ES3_N6thrust23THRUST_200600_302600_NS11hip_rocprim35transform_pair_of_input_iterators_tIiPhSB_NS8_12not_equal_toIhEEEEPiiNS8_4plusIiEEEE10hipError_tPvRmT1_T2_T3_mT4_P12ihipStream_tbEUlT_E1_NS1_11comp_targetILNS1_3genE10ELNS1_11target_archE1201ELNS1_3gpuE5ELNS1_3repE0EEENS1_30default_config_static_selectorELNS0_4arch9wavefront6targetE1EEEvSL_.uses_vcc, 0
	.set _ZN7rocprim17ROCPRIM_400000_NS6detail17trampoline_kernelINS0_14default_configENS1_22reduce_config_selectorIiEEZNS1_11reduce_implILb1ES3_N6thrust23THRUST_200600_302600_NS11hip_rocprim35transform_pair_of_input_iterators_tIiPhSB_NS8_12not_equal_toIhEEEEPiiNS8_4plusIiEEEE10hipError_tPvRmT1_T2_T3_mT4_P12ihipStream_tbEUlT_E1_NS1_11comp_targetILNS1_3genE10ELNS1_11target_archE1201ELNS1_3gpuE5ELNS1_3repE0EEENS1_30default_config_static_selectorELNS0_4arch9wavefront6targetE1EEEvSL_.uses_flat_scratch, 0
	.set _ZN7rocprim17ROCPRIM_400000_NS6detail17trampoline_kernelINS0_14default_configENS1_22reduce_config_selectorIiEEZNS1_11reduce_implILb1ES3_N6thrust23THRUST_200600_302600_NS11hip_rocprim35transform_pair_of_input_iterators_tIiPhSB_NS8_12not_equal_toIhEEEEPiiNS8_4plusIiEEEE10hipError_tPvRmT1_T2_T3_mT4_P12ihipStream_tbEUlT_E1_NS1_11comp_targetILNS1_3genE10ELNS1_11target_archE1201ELNS1_3gpuE5ELNS1_3repE0EEENS1_30default_config_static_selectorELNS0_4arch9wavefront6targetE1EEEvSL_.has_dyn_sized_stack, 0
	.set _ZN7rocprim17ROCPRIM_400000_NS6detail17trampoline_kernelINS0_14default_configENS1_22reduce_config_selectorIiEEZNS1_11reduce_implILb1ES3_N6thrust23THRUST_200600_302600_NS11hip_rocprim35transform_pair_of_input_iterators_tIiPhSB_NS8_12not_equal_toIhEEEEPiiNS8_4plusIiEEEE10hipError_tPvRmT1_T2_T3_mT4_P12ihipStream_tbEUlT_E1_NS1_11comp_targetILNS1_3genE10ELNS1_11target_archE1201ELNS1_3gpuE5ELNS1_3repE0EEENS1_30default_config_static_selectorELNS0_4arch9wavefront6targetE1EEEvSL_.has_recursion, 0
	.set _ZN7rocprim17ROCPRIM_400000_NS6detail17trampoline_kernelINS0_14default_configENS1_22reduce_config_selectorIiEEZNS1_11reduce_implILb1ES3_N6thrust23THRUST_200600_302600_NS11hip_rocprim35transform_pair_of_input_iterators_tIiPhSB_NS8_12not_equal_toIhEEEEPiiNS8_4plusIiEEEE10hipError_tPvRmT1_T2_T3_mT4_P12ihipStream_tbEUlT_E1_NS1_11comp_targetILNS1_3genE10ELNS1_11target_archE1201ELNS1_3gpuE5ELNS1_3repE0EEENS1_30default_config_static_selectorELNS0_4arch9wavefront6targetE1EEEvSL_.has_indirect_call, 0
	.section	.AMDGPU.csdata,"",@progbits
; Kernel info:
; codeLenInByte = 0
; TotalNumSgprs: 4
; NumVgprs: 0
; ScratchSize: 0
; MemoryBound: 0
; FloatMode: 240
; IeeeMode: 1
; LDSByteSize: 0 bytes/workgroup (compile time only)
; SGPRBlocks: 0
; VGPRBlocks: 0
; NumSGPRsForWavesPerEU: 4
; NumVGPRsForWavesPerEU: 1
; Occupancy: 10
; WaveLimiterHint : 0
; COMPUTE_PGM_RSRC2:SCRATCH_EN: 0
; COMPUTE_PGM_RSRC2:USER_SGPR: 6
; COMPUTE_PGM_RSRC2:TRAP_HANDLER: 0
; COMPUTE_PGM_RSRC2:TGID_X_EN: 1
; COMPUTE_PGM_RSRC2:TGID_Y_EN: 0
; COMPUTE_PGM_RSRC2:TGID_Z_EN: 0
; COMPUTE_PGM_RSRC2:TIDIG_COMP_CNT: 0
	.section	.text._ZN7rocprim17ROCPRIM_400000_NS6detail17trampoline_kernelINS0_14default_configENS1_22reduce_config_selectorIiEEZNS1_11reduce_implILb1ES3_N6thrust23THRUST_200600_302600_NS11hip_rocprim35transform_pair_of_input_iterators_tIiPhSB_NS8_12not_equal_toIhEEEEPiiNS8_4plusIiEEEE10hipError_tPvRmT1_T2_T3_mT4_P12ihipStream_tbEUlT_E1_NS1_11comp_targetILNS1_3genE10ELNS1_11target_archE1200ELNS1_3gpuE4ELNS1_3repE0EEENS1_30default_config_static_selectorELNS0_4arch9wavefront6targetE1EEEvSL_,"axG",@progbits,_ZN7rocprim17ROCPRIM_400000_NS6detail17trampoline_kernelINS0_14default_configENS1_22reduce_config_selectorIiEEZNS1_11reduce_implILb1ES3_N6thrust23THRUST_200600_302600_NS11hip_rocprim35transform_pair_of_input_iterators_tIiPhSB_NS8_12not_equal_toIhEEEEPiiNS8_4plusIiEEEE10hipError_tPvRmT1_T2_T3_mT4_P12ihipStream_tbEUlT_E1_NS1_11comp_targetILNS1_3genE10ELNS1_11target_archE1200ELNS1_3gpuE4ELNS1_3repE0EEENS1_30default_config_static_selectorELNS0_4arch9wavefront6targetE1EEEvSL_,comdat
	.protected	_ZN7rocprim17ROCPRIM_400000_NS6detail17trampoline_kernelINS0_14default_configENS1_22reduce_config_selectorIiEEZNS1_11reduce_implILb1ES3_N6thrust23THRUST_200600_302600_NS11hip_rocprim35transform_pair_of_input_iterators_tIiPhSB_NS8_12not_equal_toIhEEEEPiiNS8_4plusIiEEEE10hipError_tPvRmT1_T2_T3_mT4_P12ihipStream_tbEUlT_E1_NS1_11comp_targetILNS1_3genE10ELNS1_11target_archE1200ELNS1_3gpuE4ELNS1_3repE0EEENS1_30default_config_static_selectorELNS0_4arch9wavefront6targetE1EEEvSL_ ; -- Begin function _ZN7rocprim17ROCPRIM_400000_NS6detail17trampoline_kernelINS0_14default_configENS1_22reduce_config_selectorIiEEZNS1_11reduce_implILb1ES3_N6thrust23THRUST_200600_302600_NS11hip_rocprim35transform_pair_of_input_iterators_tIiPhSB_NS8_12not_equal_toIhEEEEPiiNS8_4plusIiEEEE10hipError_tPvRmT1_T2_T3_mT4_P12ihipStream_tbEUlT_E1_NS1_11comp_targetILNS1_3genE10ELNS1_11target_archE1200ELNS1_3gpuE4ELNS1_3repE0EEENS1_30default_config_static_selectorELNS0_4arch9wavefront6targetE1EEEvSL_
	.globl	_ZN7rocprim17ROCPRIM_400000_NS6detail17trampoline_kernelINS0_14default_configENS1_22reduce_config_selectorIiEEZNS1_11reduce_implILb1ES3_N6thrust23THRUST_200600_302600_NS11hip_rocprim35transform_pair_of_input_iterators_tIiPhSB_NS8_12not_equal_toIhEEEEPiiNS8_4plusIiEEEE10hipError_tPvRmT1_T2_T3_mT4_P12ihipStream_tbEUlT_E1_NS1_11comp_targetILNS1_3genE10ELNS1_11target_archE1200ELNS1_3gpuE4ELNS1_3repE0EEENS1_30default_config_static_selectorELNS0_4arch9wavefront6targetE1EEEvSL_
	.p2align	8
	.type	_ZN7rocprim17ROCPRIM_400000_NS6detail17trampoline_kernelINS0_14default_configENS1_22reduce_config_selectorIiEEZNS1_11reduce_implILb1ES3_N6thrust23THRUST_200600_302600_NS11hip_rocprim35transform_pair_of_input_iterators_tIiPhSB_NS8_12not_equal_toIhEEEEPiiNS8_4plusIiEEEE10hipError_tPvRmT1_T2_T3_mT4_P12ihipStream_tbEUlT_E1_NS1_11comp_targetILNS1_3genE10ELNS1_11target_archE1200ELNS1_3gpuE4ELNS1_3repE0EEENS1_30default_config_static_selectorELNS0_4arch9wavefront6targetE1EEEvSL_,@function
_ZN7rocprim17ROCPRIM_400000_NS6detail17trampoline_kernelINS0_14default_configENS1_22reduce_config_selectorIiEEZNS1_11reduce_implILb1ES3_N6thrust23THRUST_200600_302600_NS11hip_rocprim35transform_pair_of_input_iterators_tIiPhSB_NS8_12not_equal_toIhEEEEPiiNS8_4plusIiEEEE10hipError_tPvRmT1_T2_T3_mT4_P12ihipStream_tbEUlT_E1_NS1_11comp_targetILNS1_3genE10ELNS1_11target_archE1200ELNS1_3gpuE4ELNS1_3repE0EEENS1_30default_config_static_selectorELNS0_4arch9wavefront6targetE1EEEvSL_: ; @_ZN7rocprim17ROCPRIM_400000_NS6detail17trampoline_kernelINS0_14default_configENS1_22reduce_config_selectorIiEEZNS1_11reduce_implILb1ES3_N6thrust23THRUST_200600_302600_NS11hip_rocprim35transform_pair_of_input_iterators_tIiPhSB_NS8_12not_equal_toIhEEEEPiiNS8_4plusIiEEEE10hipError_tPvRmT1_T2_T3_mT4_P12ihipStream_tbEUlT_E1_NS1_11comp_targetILNS1_3genE10ELNS1_11target_archE1200ELNS1_3gpuE4ELNS1_3repE0EEENS1_30default_config_static_selectorELNS0_4arch9wavefront6targetE1EEEvSL_
; %bb.0:
	.section	.rodata,"a",@progbits
	.p2align	6, 0x0
	.amdhsa_kernel _ZN7rocprim17ROCPRIM_400000_NS6detail17trampoline_kernelINS0_14default_configENS1_22reduce_config_selectorIiEEZNS1_11reduce_implILb1ES3_N6thrust23THRUST_200600_302600_NS11hip_rocprim35transform_pair_of_input_iterators_tIiPhSB_NS8_12not_equal_toIhEEEEPiiNS8_4plusIiEEEE10hipError_tPvRmT1_T2_T3_mT4_P12ihipStream_tbEUlT_E1_NS1_11comp_targetILNS1_3genE10ELNS1_11target_archE1200ELNS1_3gpuE4ELNS1_3repE0EEENS1_30default_config_static_selectorELNS0_4arch9wavefront6targetE1EEEvSL_
		.amdhsa_group_segment_fixed_size 0
		.amdhsa_private_segment_fixed_size 0
		.amdhsa_kernarg_size 56
		.amdhsa_user_sgpr_count 6
		.amdhsa_user_sgpr_private_segment_buffer 1
		.amdhsa_user_sgpr_dispatch_ptr 0
		.amdhsa_user_sgpr_queue_ptr 0
		.amdhsa_user_sgpr_kernarg_segment_ptr 1
		.amdhsa_user_sgpr_dispatch_id 0
		.amdhsa_user_sgpr_flat_scratch_init 0
		.amdhsa_user_sgpr_private_segment_size 0
		.amdhsa_uses_dynamic_stack 0
		.amdhsa_system_sgpr_private_segment_wavefront_offset 0
		.amdhsa_system_sgpr_workgroup_id_x 1
		.amdhsa_system_sgpr_workgroup_id_y 0
		.amdhsa_system_sgpr_workgroup_id_z 0
		.amdhsa_system_sgpr_workgroup_info 0
		.amdhsa_system_vgpr_workitem_id 0
		.amdhsa_next_free_vgpr 1
		.amdhsa_next_free_sgpr 0
		.amdhsa_reserve_vcc 0
		.amdhsa_reserve_flat_scratch 0
		.amdhsa_float_round_mode_32 0
		.amdhsa_float_round_mode_16_64 0
		.amdhsa_float_denorm_mode_32 3
		.amdhsa_float_denorm_mode_16_64 3
		.amdhsa_dx10_clamp 1
		.amdhsa_ieee_mode 1
		.amdhsa_fp16_overflow 0
		.amdhsa_exception_fp_ieee_invalid_op 0
		.amdhsa_exception_fp_denorm_src 0
		.amdhsa_exception_fp_ieee_div_zero 0
		.amdhsa_exception_fp_ieee_overflow 0
		.amdhsa_exception_fp_ieee_underflow 0
		.amdhsa_exception_fp_ieee_inexact 0
		.amdhsa_exception_int_div_zero 0
	.end_amdhsa_kernel
	.section	.text._ZN7rocprim17ROCPRIM_400000_NS6detail17trampoline_kernelINS0_14default_configENS1_22reduce_config_selectorIiEEZNS1_11reduce_implILb1ES3_N6thrust23THRUST_200600_302600_NS11hip_rocprim35transform_pair_of_input_iterators_tIiPhSB_NS8_12not_equal_toIhEEEEPiiNS8_4plusIiEEEE10hipError_tPvRmT1_T2_T3_mT4_P12ihipStream_tbEUlT_E1_NS1_11comp_targetILNS1_3genE10ELNS1_11target_archE1200ELNS1_3gpuE4ELNS1_3repE0EEENS1_30default_config_static_selectorELNS0_4arch9wavefront6targetE1EEEvSL_,"axG",@progbits,_ZN7rocprim17ROCPRIM_400000_NS6detail17trampoline_kernelINS0_14default_configENS1_22reduce_config_selectorIiEEZNS1_11reduce_implILb1ES3_N6thrust23THRUST_200600_302600_NS11hip_rocprim35transform_pair_of_input_iterators_tIiPhSB_NS8_12not_equal_toIhEEEEPiiNS8_4plusIiEEEE10hipError_tPvRmT1_T2_T3_mT4_P12ihipStream_tbEUlT_E1_NS1_11comp_targetILNS1_3genE10ELNS1_11target_archE1200ELNS1_3gpuE4ELNS1_3repE0EEENS1_30default_config_static_selectorELNS0_4arch9wavefront6targetE1EEEvSL_,comdat
.Lfunc_end351:
	.size	_ZN7rocprim17ROCPRIM_400000_NS6detail17trampoline_kernelINS0_14default_configENS1_22reduce_config_selectorIiEEZNS1_11reduce_implILb1ES3_N6thrust23THRUST_200600_302600_NS11hip_rocprim35transform_pair_of_input_iterators_tIiPhSB_NS8_12not_equal_toIhEEEEPiiNS8_4plusIiEEEE10hipError_tPvRmT1_T2_T3_mT4_P12ihipStream_tbEUlT_E1_NS1_11comp_targetILNS1_3genE10ELNS1_11target_archE1200ELNS1_3gpuE4ELNS1_3repE0EEENS1_30default_config_static_selectorELNS0_4arch9wavefront6targetE1EEEvSL_, .Lfunc_end351-_ZN7rocprim17ROCPRIM_400000_NS6detail17trampoline_kernelINS0_14default_configENS1_22reduce_config_selectorIiEEZNS1_11reduce_implILb1ES3_N6thrust23THRUST_200600_302600_NS11hip_rocprim35transform_pair_of_input_iterators_tIiPhSB_NS8_12not_equal_toIhEEEEPiiNS8_4plusIiEEEE10hipError_tPvRmT1_T2_T3_mT4_P12ihipStream_tbEUlT_E1_NS1_11comp_targetILNS1_3genE10ELNS1_11target_archE1200ELNS1_3gpuE4ELNS1_3repE0EEENS1_30default_config_static_selectorELNS0_4arch9wavefront6targetE1EEEvSL_
                                        ; -- End function
	.set _ZN7rocprim17ROCPRIM_400000_NS6detail17trampoline_kernelINS0_14default_configENS1_22reduce_config_selectorIiEEZNS1_11reduce_implILb1ES3_N6thrust23THRUST_200600_302600_NS11hip_rocprim35transform_pair_of_input_iterators_tIiPhSB_NS8_12not_equal_toIhEEEEPiiNS8_4plusIiEEEE10hipError_tPvRmT1_T2_T3_mT4_P12ihipStream_tbEUlT_E1_NS1_11comp_targetILNS1_3genE10ELNS1_11target_archE1200ELNS1_3gpuE4ELNS1_3repE0EEENS1_30default_config_static_selectorELNS0_4arch9wavefront6targetE1EEEvSL_.num_vgpr, 0
	.set _ZN7rocprim17ROCPRIM_400000_NS6detail17trampoline_kernelINS0_14default_configENS1_22reduce_config_selectorIiEEZNS1_11reduce_implILb1ES3_N6thrust23THRUST_200600_302600_NS11hip_rocprim35transform_pair_of_input_iterators_tIiPhSB_NS8_12not_equal_toIhEEEEPiiNS8_4plusIiEEEE10hipError_tPvRmT1_T2_T3_mT4_P12ihipStream_tbEUlT_E1_NS1_11comp_targetILNS1_3genE10ELNS1_11target_archE1200ELNS1_3gpuE4ELNS1_3repE0EEENS1_30default_config_static_selectorELNS0_4arch9wavefront6targetE1EEEvSL_.num_agpr, 0
	.set _ZN7rocprim17ROCPRIM_400000_NS6detail17trampoline_kernelINS0_14default_configENS1_22reduce_config_selectorIiEEZNS1_11reduce_implILb1ES3_N6thrust23THRUST_200600_302600_NS11hip_rocprim35transform_pair_of_input_iterators_tIiPhSB_NS8_12not_equal_toIhEEEEPiiNS8_4plusIiEEEE10hipError_tPvRmT1_T2_T3_mT4_P12ihipStream_tbEUlT_E1_NS1_11comp_targetILNS1_3genE10ELNS1_11target_archE1200ELNS1_3gpuE4ELNS1_3repE0EEENS1_30default_config_static_selectorELNS0_4arch9wavefront6targetE1EEEvSL_.numbered_sgpr, 0
	.set _ZN7rocprim17ROCPRIM_400000_NS6detail17trampoline_kernelINS0_14default_configENS1_22reduce_config_selectorIiEEZNS1_11reduce_implILb1ES3_N6thrust23THRUST_200600_302600_NS11hip_rocprim35transform_pair_of_input_iterators_tIiPhSB_NS8_12not_equal_toIhEEEEPiiNS8_4plusIiEEEE10hipError_tPvRmT1_T2_T3_mT4_P12ihipStream_tbEUlT_E1_NS1_11comp_targetILNS1_3genE10ELNS1_11target_archE1200ELNS1_3gpuE4ELNS1_3repE0EEENS1_30default_config_static_selectorELNS0_4arch9wavefront6targetE1EEEvSL_.num_named_barrier, 0
	.set _ZN7rocprim17ROCPRIM_400000_NS6detail17trampoline_kernelINS0_14default_configENS1_22reduce_config_selectorIiEEZNS1_11reduce_implILb1ES3_N6thrust23THRUST_200600_302600_NS11hip_rocprim35transform_pair_of_input_iterators_tIiPhSB_NS8_12not_equal_toIhEEEEPiiNS8_4plusIiEEEE10hipError_tPvRmT1_T2_T3_mT4_P12ihipStream_tbEUlT_E1_NS1_11comp_targetILNS1_3genE10ELNS1_11target_archE1200ELNS1_3gpuE4ELNS1_3repE0EEENS1_30default_config_static_selectorELNS0_4arch9wavefront6targetE1EEEvSL_.private_seg_size, 0
	.set _ZN7rocprim17ROCPRIM_400000_NS6detail17trampoline_kernelINS0_14default_configENS1_22reduce_config_selectorIiEEZNS1_11reduce_implILb1ES3_N6thrust23THRUST_200600_302600_NS11hip_rocprim35transform_pair_of_input_iterators_tIiPhSB_NS8_12not_equal_toIhEEEEPiiNS8_4plusIiEEEE10hipError_tPvRmT1_T2_T3_mT4_P12ihipStream_tbEUlT_E1_NS1_11comp_targetILNS1_3genE10ELNS1_11target_archE1200ELNS1_3gpuE4ELNS1_3repE0EEENS1_30default_config_static_selectorELNS0_4arch9wavefront6targetE1EEEvSL_.uses_vcc, 0
	.set _ZN7rocprim17ROCPRIM_400000_NS6detail17trampoline_kernelINS0_14default_configENS1_22reduce_config_selectorIiEEZNS1_11reduce_implILb1ES3_N6thrust23THRUST_200600_302600_NS11hip_rocprim35transform_pair_of_input_iterators_tIiPhSB_NS8_12not_equal_toIhEEEEPiiNS8_4plusIiEEEE10hipError_tPvRmT1_T2_T3_mT4_P12ihipStream_tbEUlT_E1_NS1_11comp_targetILNS1_3genE10ELNS1_11target_archE1200ELNS1_3gpuE4ELNS1_3repE0EEENS1_30default_config_static_selectorELNS0_4arch9wavefront6targetE1EEEvSL_.uses_flat_scratch, 0
	.set _ZN7rocprim17ROCPRIM_400000_NS6detail17trampoline_kernelINS0_14default_configENS1_22reduce_config_selectorIiEEZNS1_11reduce_implILb1ES3_N6thrust23THRUST_200600_302600_NS11hip_rocprim35transform_pair_of_input_iterators_tIiPhSB_NS8_12not_equal_toIhEEEEPiiNS8_4plusIiEEEE10hipError_tPvRmT1_T2_T3_mT4_P12ihipStream_tbEUlT_E1_NS1_11comp_targetILNS1_3genE10ELNS1_11target_archE1200ELNS1_3gpuE4ELNS1_3repE0EEENS1_30default_config_static_selectorELNS0_4arch9wavefront6targetE1EEEvSL_.has_dyn_sized_stack, 0
	.set _ZN7rocprim17ROCPRIM_400000_NS6detail17trampoline_kernelINS0_14default_configENS1_22reduce_config_selectorIiEEZNS1_11reduce_implILb1ES3_N6thrust23THRUST_200600_302600_NS11hip_rocprim35transform_pair_of_input_iterators_tIiPhSB_NS8_12not_equal_toIhEEEEPiiNS8_4plusIiEEEE10hipError_tPvRmT1_T2_T3_mT4_P12ihipStream_tbEUlT_E1_NS1_11comp_targetILNS1_3genE10ELNS1_11target_archE1200ELNS1_3gpuE4ELNS1_3repE0EEENS1_30default_config_static_selectorELNS0_4arch9wavefront6targetE1EEEvSL_.has_recursion, 0
	.set _ZN7rocprim17ROCPRIM_400000_NS6detail17trampoline_kernelINS0_14default_configENS1_22reduce_config_selectorIiEEZNS1_11reduce_implILb1ES3_N6thrust23THRUST_200600_302600_NS11hip_rocprim35transform_pair_of_input_iterators_tIiPhSB_NS8_12not_equal_toIhEEEEPiiNS8_4plusIiEEEE10hipError_tPvRmT1_T2_T3_mT4_P12ihipStream_tbEUlT_E1_NS1_11comp_targetILNS1_3genE10ELNS1_11target_archE1200ELNS1_3gpuE4ELNS1_3repE0EEENS1_30default_config_static_selectorELNS0_4arch9wavefront6targetE1EEEvSL_.has_indirect_call, 0
	.section	.AMDGPU.csdata,"",@progbits
; Kernel info:
; codeLenInByte = 0
; TotalNumSgprs: 4
; NumVgprs: 0
; ScratchSize: 0
; MemoryBound: 0
; FloatMode: 240
; IeeeMode: 1
; LDSByteSize: 0 bytes/workgroup (compile time only)
; SGPRBlocks: 0
; VGPRBlocks: 0
; NumSGPRsForWavesPerEU: 4
; NumVGPRsForWavesPerEU: 1
; Occupancy: 10
; WaveLimiterHint : 0
; COMPUTE_PGM_RSRC2:SCRATCH_EN: 0
; COMPUTE_PGM_RSRC2:USER_SGPR: 6
; COMPUTE_PGM_RSRC2:TRAP_HANDLER: 0
; COMPUTE_PGM_RSRC2:TGID_X_EN: 1
; COMPUTE_PGM_RSRC2:TGID_Y_EN: 0
; COMPUTE_PGM_RSRC2:TGID_Z_EN: 0
; COMPUTE_PGM_RSRC2:TIDIG_COMP_CNT: 0
	.section	.text._ZN7rocprim17ROCPRIM_400000_NS6detail17trampoline_kernelINS0_14default_configENS1_22reduce_config_selectorIiEEZNS1_11reduce_implILb1ES3_N6thrust23THRUST_200600_302600_NS11hip_rocprim35transform_pair_of_input_iterators_tIiPhSB_NS8_12not_equal_toIhEEEEPiiNS8_4plusIiEEEE10hipError_tPvRmT1_T2_T3_mT4_P12ihipStream_tbEUlT_E1_NS1_11comp_targetILNS1_3genE9ELNS1_11target_archE1100ELNS1_3gpuE3ELNS1_3repE0EEENS1_30default_config_static_selectorELNS0_4arch9wavefront6targetE1EEEvSL_,"axG",@progbits,_ZN7rocprim17ROCPRIM_400000_NS6detail17trampoline_kernelINS0_14default_configENS1_22reduce_config_selectorIiEEZNS1_11reduce_implILb1ES3_N6thrust23THRUST_200600_302600_NS11hip_rocprim35transform_pair_of_input_iterators_tIiPhSB_NS8_12not_equal_toIhEEEEPiiNS8_4plusIiEEEE10hipError_tPvRmT1_T2_T3_mT4_P12ihipStream_tbEUlT_E1_NS1_11comp_targetILNS1_3genE9ELNS1_11target_archE1100ELNS1_3gpuE3ELNS1_3repE0EEENS1_30default_config_static_selectorELNS0_4arch9wavefront6targetE1EEEvSL_,comdat
	.protected	_ZN7rocprim17ROCPRIM_400000_NS6detail17trampoline_kernelINS0_14default_configENS1_22reduce_config_selectorIiEEZNS1_11reduce_implILb1ES3_N6thrust23THRUST_200600_302600_NS11hip_rocprim35transform_pair_of_input_iterators_tIiPhSB_NS8_12not_equal_toIhEEEEPiiNS8_4plusIiEEEE10hipError_tPvRmT1_T2_T3_mT4_P12ihipStream_tbEUlT_E1_NS1_11comp_targetILNS1_3genE9ELNS1_11target_archE1100ELNS1_3gpuE3ELNS1_3repE0EEENS1_30default_config_static_selectorELNS0_4arch9wavefront6targetE1EEEvSL_ ; -- Begin function _ZN7rocprim17ROCPRIM_400000_NS6detail17trampoline_kernelINS0_14default_configENS1_22reduce_config_selectorIiEEZNS1_11reduce_implILb1ES3_N6thrust23THRUST_200600_302600_NS11hip_rocprim35transform_pair_of_input_iterators_tIiPhSB_NS8_12not_equal_toIhEEEEPiiNS8_4plusIiEEEE10hipError_tPvRmT1_T2_T3_mT4_P12ihipStream_tbEUlT_E1_NS1_11comp_targetILNS1_3genE9ELNS1_11target_archE1100ELNS1_3gpuE3ELNS1_3repE0EEENS1_30default_config_static_selectorELNS0_4arch9wavefront6targetE1EEEvSL_
	.globl	_ZN7rocprim17ROCPRIM_400000_NS6detail17trampoline_kernelINS0_14default_configENS1_22reduce_config_selectorIiEEZNS1_11reduce_implILb1ES3_N6thrust23THRUST_200600_302600_NS11hip_rocprim35transform_pair_of_input_iterators_tIiPhSB_NS8_12not_equal_toIhEEEEPiiNS8_4plusIiEEEE10hipError_tPvRmT1_T2_T3_mT4_P12ihipStream_tbEUlT_E1_NS1_11comp_targetILNS1_3genE9ELNS1_11target_archE1100ELNS1_3gpuE3ELNS1_3repE0EEENS1_30default_config_static_selectorELNS0_4arch9wavefront6targetE1EEEvSL_
	.p2align	8
	.type	_ZN7rocprim17ROCPRIM_400000_NS6detail17trampoline_kernelINS0_14default_configENS1_22reduce_config_selectorIiEEZNS1_11reduce_implILb1ES3_N6thrust23THRUST_200600_302600_NS11hip_rocprim35transform_pair_of_input_iterators_tIiPhSB_NS8_12not_equal_toIhEEEEPiiNS8_4plusIiEEEE10hipError_tPvRmT1_T2_T3_mT4_P12ihipStream_tbEUlT_E1_NS1_11comp_targetILNS1_3genE9ELNS1_11target_archE1100ELNS1_3gpuE3ELNS1_3repE0EEENS1_30default_config_static_selectorELNS0_4arch9wavefront6targetE1EEEvSL_,@function
_ZN7rocprim17ROCPRIM_400000_NS6detail17trampoline_kernelINS0_14default_configENS1_22reduce_config_selectorIiEEZNS1_11reduce_implILb1ES3_N6thrust23THRUST_200600_302600_NS11hip_rocprim35transform_pair_of_input_iterators_tIiPhSB_NS8_12not_equal_toIhEEEEPiiNS8_4plusIiEEEE10hipError_tPvRmT1_T2_T3_mT4_P12ihipStream_tbEUlT_E1_NS1_11comp_targetILNS1_3genE9ELNS1_11target_archE1100ELNS1_3gpuE3ELNS1_3repE0EEENS1_30default_config_static_selectorELNS0_4arch9wavefront6targetE1EEEvSL_: ; @_ZN7rocprim17ROCPRIM_400000_NS6detail17trampoline_kernelINS0_14default_configENS1_22reduce_config_selectorIiEEZNS1_11reduce_implILb1ES3_N6thrust23THRUST_200600_302600_NS11hip_rocprim35transform_pair_of_input_iterators_tIiPhSB_NS8_12not_equal_toIhEEEEPiiNS8_4plusIiEEEE10hipError_tPvRmT1_T2_T3_mT4_P12ihipStream_tbEUlT_E1_NS1_11comp_targetILNS1_3genE9ELNS1_11target_archE1100ELNS1_3gpuE3ELNS1_3repE0EEENS1_30default_config_static_selectorELNS0_4arch9wavefront6targetE1EEEvSL_
; %bb.0:
	.section	.rodata,"a",@progbits
	.p2align	6, 0x0
	.amdhsa_kernel _ZN7rocprim17ROCPRIM_400000_NS6detail17trampoline_kernelINS0_14default_configENS1_22reduce_config_selectorIiEEZNS1_11reduce_implILb1ES3_N6thrust23THRUST_200600_302600_NS11hip_rocprim35transform_pair_of_input_iterators_tIiPhSB_NS8_12not_equal_toIhEEEEPiiNS8_4plusIiEEEE10hipError_tPvRmT1_T2_T3_mT4_P12ihipStream_tbEUlT_E1_NS1_11comp_targetILNS1_3genE9ELNS1_11target_archE1100ELNS1_3gpuE3ELNS1_3repE0EEENS1_30default_config_static_selectorELNS0_4arch9wavefront6targetE1EEEvSL_
		.amdhsa_group_segment_fixed_size 0
		.amdhsa_private_segment_fixed_size 0
		.amdhsa_kernarg_size 56
		.amdhsa_user_sgpr_count 6
		.amdhsa_user_sgpr_private_segment_buffer 1
		.amdhsa_user_sgpr_dispatch_ptr 0
		.amdhsa_user_sgpr_queue_ptr 0
		.amdhsa_user_sgpr_kernarg_segment_ptr 1
		.amdhsa_user_sgpr_dispatch_id 0
		.amdhsa_user_sgpr_flat_scratch_init 0
		.amdhsa_user_sgpr_private_segment_size 0
		.amdhsa_uses_dynamic_stack 0
		.amdhsa_system_sgpr_private_segment_wavefront_offset 0
		.amdhsa_system_sgpr_workgroup_id_x 1
		.amdhsa_system_sgpr_workgroup_id_y 0
		.amdhsa_system_sgpr_workgroup_id_z 0
		.amdhsa_system_sgpr_workgroup_info 0
		.amdhsa_system_vgpr_workitem_id 0
		.amdhsa_next_free_vgpr 1
		.amdhsa_next_free_sgpr 0
		.amdhsa_reserve_vcc 0
		.amdhsa_reserve_flat_scratch 0
		.amdhsa_float_round_mode_32 0
		.amdhsa_float_round_mode_16_64 0
		.amdhsa_float_denorm_mode_32 3
		.amdhsa_float_denorm_mode_16_64 3
		.amdhsa_dx10_clamp 1
		.amdhsa_ieee_mode 1
		.amdhsa_fp16_overflow 0
		.amdhsa_exception_fp_ieee_invalid_op 0
		.amdhsa_exception_fp_denorm_src 0
		.amdhsa_exception_fp_ieee_div_zero 0
		.amdhsa_exception_fp_ieee_overflow 0
		.amdhsa_exception_fp_ieee_underflow 0
		.amdhsa_exception_fp_ieee_inexact 0
		.amdhsa_exception_int_div_zero 0
	.end_amdhsa_kernel
	.section	.text._ZN7rocprim17ROCPRIM_400000_NS6detail17trampoline_kernelINS0_14default_configENS1_22reduce_config_selectorIiEEZNS1_11reduce_implILb1ES3_N6thrust23THRUST_200600_302600_NS11hip_rocprim35transform_pair_of_input_iterators_tIiPhSB_NS8_12not_equal_toIhEEEEPiiNS8_4plusIiEEEE10hipError_tPvRmT1_T2_T3_mT4_P12ihipStream_tbEUlT_E1_NS1_11comp_targetILNS1_3genE9ELNS1_11target_archE1100ELNS1_3gpuE3ELNS1_3repE0EEENS1_30default_config_static_selectorELNS0_4arch9wavefront6targetE1EEEvSL_,"axG",@progbits,_ZN7rocprim17ROCPRIM_400000_NS6detail17trampoline_kernelINS0_14default_configENS1_22reduce_config_selectorIiEEZNS1_11reduce_implILb1ES3_N6thrust23THRUST_200600_302600_NS11hip_rocprim35transform_pair_of_input_iterators_tIiPhSB_NS8_12not_equal_toIhEEEEPiiNS8_4plusIiEEEE10hipError_tPvRmT1_T2_T3_mT4_P12ihipStream_tbEUlT_E1_NS1_11comp_targetILNS1_3genE9ELNS1_11target_archE1100ELNS1_3gpuE3ELNS1_3repE0EEENS1_30default_config_static_selectorELNS0_4arch9wavefront6targetE1EEEvSL_,comdat
.Lfunc_end352:
	.size	_ZN7rocprim17ROCPRIM_400000_NS6detail17trampoline_kernelINS0_14default_configENS1_22reduce_config_selectorIiEEZNS1_11reduce_implILb1ES3_N6thrust23THRUST_200600_302600_NS11hip_rocprim35transform_pair_of_input_iterators_tIiPhSB_NS8_12not_equal_toIhEEEEPiiNS8_4plusIiEEEE10hipError_tPvRmT1_T2_T3_mT4_P12ihipStream_tbEUlT_E1_NS1_11comp_targetILNS1_3genE9ELNS1_11target_archE1100ELNS1_3gpuE3ELNS1_3repE0EEENS1_30default_config_static_selectorELNS0_4arch9wavefront6targetE1EEEvSL_, .Lfunc_end352-_ZN7rocprim17ROCPRIM_400000_NS6detail17trampoline_kernelINS0_14default_configENS1_22reduce_config_selectorIiEEZNS1_11reduce_implILb1ES3_N6thrust23THRUST_200600_302600_NS11hip_rocprim35transform_pair_of_input_iterators_tIiPhSB_NS8_12not_equal_toIhEEEEPiiNS8_4plusIiEEEE10hipError_tPvRmT1_T2_T3_mT4_P12ihipStream_tbEUlT_E1_NS1_11comp_targetILNS1_3genE9ELNS1_11target_archE1100ELNS1_3gpuE3ELNS1_3repE0EEENS1_30default_config_static_selectorELNS0_4arch9wavefront6targetE1EEEvSL_
                                        ; -- End function
	.set _ZN7rocprim17ROCPRIM_400000_NS6detail17trampoline_kernelINS0_14default_configENS1_22reduce_config_selectorIiEEZNS1_11reduce_implILb1ES3_N6thrust23THRUST_200600_302600_NS11hip_rocprim35transform_pair_of_input_iterators_tIiPhSB_NS8_12not_equal_toIhEEEEPiiNS8_4plusIiEEEE10hipError_tPvRmT1_T2_T3_mT4_P12ihipStream_tbEUlT_E1_NS1_11comp_targetILNS1_3genE9ELNS1_11target_archE1100ELNS1_3gpuE3ELNS1_3repE0EEENS1_30default_config_static_selectorELNS0_4arch9wavefront6targetE1EEEvSL_.num_vgpr, 0
	.set _ZN7rocprim17ROCPRIM_400000_NS6detail17trampoline_kernelINS0_14default_configENS1_22reduce_config_selectorIiEEZNS1_11reduce_implILb1ES3_N6thrust23THRUST_200600_302600_NS11hip_rocprim35transform_pair_of_input_iterators_tIiPhSB_NS8_12not_equal_toIhEEEEPiiNS8_4plusIiEEEE10hipError_tPvRmT1_T2_T3_mT4_P12ihipStream_tbEUlT_E1_NS1_11comp_targetILNS1_3genE9ELNS1_11target_archE1100ELNS1_3gpuE3ELNS1_3repE0EEENS1_30default_config_static_selectorELNS0_4arch9wavefront6targetE1EEEvSL_.num_agpr, 0
	.set _ZN7rocprim17ROCPRIM_400000_NS6detail17trampoline_kernelINS0_14default_configENS1_22reduce_config_selectorIiEEZNS1_11reduce_implILb1ES3_N6thrust23THRUST_200600_302600_NS11hip_rocprim35transform_pair_of_input_iterators_tIiPhSB_NS8_12not_equal_toIhEEEEPiiNS8_4plusIiEEEE10hipError_tPvRmT1_T2_T3_mT4_P12ihipStream_tbEUlT_E1_NS1_11comp_targetILNS1_3genE9ELNS1_11target_archE1100ELNS1_3gpuE3ELNS1_3repE0EEENS1_30default_config_static_selectorELNS0_4arch9wavefront6targetE1EEEvSL_.numbered_sgpr, 0
	.set _ZN7rocprim17ROCPRIM_400000_NS6detail17trampoline_kernelINS0_14default_configENS1_22reduce_config_selectorIiEEZNS1_11reduce_implILb1ES3_N6thrust23THRUST_200600_302600_NS11hip_rocprim35transform_pair_of_input_iterators_tIiPhSB_NS8_12not_equal_toIhEEEEPiiNS8_4plusIiEEEE10hipError_tPvRmT1_T2_T3_mT4_P12ihipStream_tbEUlT_E1_NS1_11comp_targetILNS1_3genE9ELNS1_11target_archE1100ELNS1_3gpuE3ELNS1_3repE0EEENS1_30default_config_static_selectorELNS0_4arch9wavefront6targetE1EEEvSL_.num_named_barrier, 0
	.set _ZN7rocprim17ROCPRIM_400000_NS6detail17trampoline_kernelINS0_14default_configENS1_22reduce_config_selectorIiEEZNS1_11reduce_implILb1ES3_N6thrust23THRUST_200600_302600_NS11hip_rocprim35transform_pair_of_input_iterators_tIiPhSB_NS8_12not_equal_toIhEEEEPiiNS8_4plusIiEEEE10hipError_tPvRmT1_T2_T3_mT4_P12ihipStream_tbEUlT_E1_NS1_11comp_targetILNS1_3genE9ELNS1_11target_archE1100ELNS1_3gpuE3ELNS1_3repE0EEENS1_30default_config_static_selectorELNS0_4arch9wavefront6targetE1EEEvSL_.private_seg_size, 0
	.set _ZN7rocprim17ROCPRIM_400000_NS6detail17trampoline_kernelINS0_14default_configENS1_22reduce_config_selectorIiEEZNS1_11reduce_implILb1ES3_N6thrust23THRUST_200600_302600_NS11hip_rocprim35transform_pair_of_input_iterators_tIiPhSB_NS8_12not_equal_toIhEEEEPiiNS8_4plusIiEEEE10hipError_tPvRmT1_T2_T3_mT4_P12ihipStream_tbEUlT_E1_NS1_11comp_targetILNS1_3genE9ELNS1_11target_archE1100ELNS1_3gpuE3ELNS1_3repE0EEENS1_30default_config_static_selectorELNS0_4arch9wavefront6targetE1EEEvSL_.uses_vcc, 0
	.set _ZN7rocprim17ROCPRIM_400000_NS6detail17trampoline_kernelINS0_14default_configENS1_22reduce_config_selectorIiEEZNS1_11reduce_implILb1ES3_N6thrust23THRUST_200600_302600_NS11hip_rocprim35transform_pair_of_input_iterators_tIiPhSB_NS8_12not_equal_toIhEEEEPiiNS8_4plusIiEEEE10hipError_tPvRmT1_T2_T3_mT4_P12ihipStream_tbEUlT_E1_NS1_11comp_targetILNS1_3genE9ELNS1_11target_archE1100ELNS1_3gpuE3ELNS1_3repE0EEENS1_30default_config_static_selectorELNS0_4arch9wavefront6targetE1EEEvSL_.uses_flat_scratch, 0
	.set _ZN7rocprim17ROCPRIM_400000_NS6detail17trampoline_kernelINS0_14default_configENS1_22reduce_config_selectorIiEEZNS1_11reduce_implILb1ES3_N6thrust23THRUST_200600_302600_NS11hip_rocprim35transform_pair_of_input_iterators_tIiPhSB_NS8_12not_equal_toIhEEEEPiiNS8_4plusIiEEEE10hipError_tPvRmT1_T2_T3_mT4_P12ihipStream_tbEUlT_E1_NS1_11comp_targetILNS1_3genE9ELNS1_11target_archE1100ELNS1_3gpuE3ELNS1_3repE0EEENS1_30default_config_static_selectorELNS0_4arch9wavefront6targetE1EEEvSL_.has_dyn_sized_stack, 0
	.set _ZN7rocprim17ROCPRIM_400000_NS6detail17trampoline_kernelINS0_14default_configENS1_22reduce_config_selectorIiEEZNS1_11reduce_implILb1ES3_N6thrust23THRUST_200600_302600_NS11hip_rocprim35transform_pair_of_input_iterators_tIiPhSB_NS8_12not_equal_toIhEEEEPiiNS8_4plusIiEEEE10hipError_tPvRmT1_T2_T3_mT4_P12ihipStream_tbEUlT_E1_NS1_11comp_targetILNS1_3genE9ELNS1_11target_archE1100ELNS1_3gpuE3ELNS1_3repE0EEENS1_30default_config_static_selectorELNS0_4arch9wavefront6targetE1EEEvSL_.has_recursion, 0
	.set _ZN7rocprim17ROCPRIM_400000_NS6detail17trampoline_kernelINS0_14default_configENS1_22reduce_config_selectorIiEEZNS1_11reduce_implILb1ES3_N6thrust23THRUST_200600_302600_NS11hip_rocprim35transform_pair_of_input_iterators_tIiPhSB_NS8_12not_equal_toIhEEEEPiiNS8_4plusIiEEEE10hipError_tPvRmT1_T2_T3_mT4_P12ihipStream_tbEUlT_E1_NS1_11comp_targetILNS1_3genE9ELNS1_11target_archE1100ELNS1_3gpuE3ELNS1_3repE0EEENS1_30default_config_static_selectorELNS0_4arch9wavefront6targetE1EEEvSL_.has_indirect_call, 0
	.section	.AMDGPU.csdata,"",@progbits
; Kernel info:
; codeLenInByte = 0
; TotalNumSgprs: 4
; NumVgprs: 0
; ScratchSize: 0
; MemoryBound: 0
; FloatMode: 240
; IeeeMode: 1
; LDSByteSize: 0 bytes/workgroup (compile time only)
; SGPRBlocks: 0
; VGPRBlocks: 0
; NumSGPRsForWavesPerEU: 4
; NumVGPRsForWavesPerEU: 1
; Occupancy: 10
; WaveLimiterHint : 0
; COMPUTE_PGM_RSRC2:SCRATCH_EN: 0
; COMPUTE_PGM_RSRC2:USER_SGPR: 6
; COMPUTE_PGM_RSRC2:TRAP_HANDLER: 0
; COMPUTE_PGM_RSRC2:TGID_X_EN: 1
; COMPUTE_PGM_RSRC2:TGID_Y_EN: 0
; COMPUTE_PGM_RSRC2:TGID_Z_EN: 0
; COMPUTE_PGM_RSRC2:TIDIG_COMP_CNT: 0
	.section	.text._ZN7rocprim17ROCPRIM_400000_NS6detail17trampoline_kernelINS0_14default_configENS1_22reduce_config_selectorIiEEZNS1_11reduce_implILb1ES3_N6thrust23THRUST_200600_302600_NS11hip_rocprim35transform_pair_of_input_iterators_tIiPhSB_NS8_12not_equal_toIhEEEEPiiNS8_4plusIiEEEE10hipError_tPvRmT1_T2_T3_mT4_P12ihipStream_tbEUlT_E1_NS1_11comp_targetILNS1_3genE8ELNS1_11target_archE1030ELNS1_3gpuE2ELNS1_3repE0EEENS1_30default_config_static_selectorELNS0_4arch9wavefront6targetE1EEEvSL_,"axG",@progbits,_ZN7rocprim17ROCPRIM_400000_NS6detail17trampoline_kernelINS0_14default_configENS1_22reduce_config_selectorIiEEZNS1_11reduce_implILb1ES3_N6thrust23THRUST_200600_302600_NS11hip_rocprim35transform_pair_of_input_iterators_tIiPhSB_NS8_12not_equal_toIhEEEEPiiNS8_4plusIiEEEE10hipError_tPvRmT1_T2_T3_mT4_P12ihipStream_tbEUlT_E1_NS1_11comp_targetILNS1_3genE8ELNS1_11target_archE1030ELNS1_3gpuE2ELNS1_3repE0EEENS1_30default_config_static_selectorELNS0_4arch9wavefront6targetE1EEEvSL_,comdat
	.protected	_ZN7rocprim17ROCPRIM_400000_NS6detail17trampoline_kernelINS0_14default_configENS1_22reduce_config_selectorIiEEZNS1_11reduce_implILb1ES3_N6thrust23THRUST_200600_302600_NS11hip_rocprim35transform_pair_of_input_iterators_tIiPhSB_NS8_12not_equal_toIhEEEEPiiNS8_4plusIiEEEE10hipError_tPvRmT1_T2_T3_mT4_P12ihipStream_tbEUlT_E1_NS1_11comp_targetILNS1_3genE8ELNS1_11target_archE1030ELNS1_3gpuE2ELNS1_3repE0EEENS1_30default_config_static_selectorELNS0_4arch9wavefront6targetE1EEEvSL_ ; -- Begin function _ZN7rocprim17ROCPRIM_400000_NS6detail17trampoline_kernelINS0_14default_configENS1_22reduce_config_selectorIiEEZNS1_11reduce_implILb1ES3_N6thrust23THRUST_200600_302600_NS11hip_rocprim35transform_pair_of_input_iterators_tIiPhSB_NS8_12not_equal_toIhEEEEPiiNS8_4plusIiEEEE10hipError_tPvRmT1_T2_T3_mT4_P12ihipStream_tbEUlT_E1_NS1_11comp_targetILNS1_3genE8ELNS1_11target_archE1030ELNS1_3gpuE2ELNS1_3repE0EEENS1_30default_config_static_selectorELNS0_4arch9wavefront6targetE1EEEvSL_
	.globl	_ZN7rocprim17ROCPRIM_400000_NS6detail17trampoline_kernelINS0_14default_configENS1_22reduce_config_selectorIiEEZNS1_11reduce_implILb1ES3_N6thrust23THRUST_200600_302600_NS11hip_rocprim35transform_pair_of_input_iterators_tIiPhSB_NS8_12not_equal_toIhEEEEPiiNS8_4plusIiEEEE10hipError_tPvRmT1_T2_T3_mT4_P12ihipStream_tbEUlT_E1_NS1_11comp_targetILNS1_3genE8ELNS1_11target_archE1030ELNS1_3gpuE2ELNS1_3repE0EEENS1_30default_config_static_selectorELNS0_4arch9wavefront6targetE1EEEvSL_
	.p2align	8
	.type	_ZN7rocprim17ROCPRIM_400000_NS6detail17trampoline_kernelINS0_14default_configENS1_22reduce_config_selectorIiEEZNS1_11reduce_implILb1ES3_N6thrust23THRUST_200600_302600_NS11hip_rocprim35transform_pair_of_input_iterators_tIiPhSB_NS8_12not_equal_toIhEEEEPiiNS8_4plusIiEEEE10hipError_tPvRmT1_T2_T3_mT4_P12ihipStream_tbEUlT_E1_NS1_11comp_targetILNS1_3genE8ELNS1_11target_archE1030ELNS1_3gpuE2ELNS1_3repE0EEENS1_30default_config_static_selectorELNS0_4arch9wavefront6targetE1EEEvSL_,@function
_ZN7rocprim17ROCPRIM_400000_NS6detail17trampoline_kernelINS0_14default_configENS1_22reduce_config_selectorIiEEZNS1_11reduce_implILb1ES3_N6thrust23THRUST_200600_302600_NS11hip_rocprim35transform_pair_of_input_iterators_tIiPhSB_NS8_12not_equal_toIhEEEEPiiNS8_4plusIiEEEE10hipError_tPvRmT1_T2_T3_mT4_P12ihipStream_tbEUlT_E1_NS1_11comp_targetILNS1_3genE8ELNS1_11target_archE1030ELNS1_3gpuE2ELNS1_3repE0EEENS1_30default_config_static_selectorELNS0_4arch9wavefront6targetE1EEEvSL_: ; @_ZN7rocprim17ROCPRIM_400000_NS6detail17trampoline_kernelINS0_14default_configENS1_22reduce_config_selectorIiEEZNS1_11reduce_implILb1ES3_N6thrust23THRUST_200600_302600_NS11hip_rocprim35transform_pair_of_input_iterators_tIiPhSB_NS8_12not_equal_toIhEEEEPiiNS8_4plusIiEEEE10hipError_tPvRmT1_T2_T3_mT4_P12ihipStream_tbEUlT_E1_NS1_11comp_targetILNS1_3genE8ELNS1_11target_archE1030ELNS1_3gpuE2ELNS1_3repE0EEENS1_30default_config_static_selectorELNS0_4arch9wavefront6targetE1EEEvSL_
; %bb.0:
	.section	.rodata,"a",@progbits
	.p2align	6, 0x0
	.amdhsa_kernel _ZN7rocprim17ROCPRIM_400000_NS6detail17trampoline_kernelINS0_14default_configENS1_22reduce_config_selectorIiEEZNS1_11reduce_implILb1ES3_N6thrust23THRUST_200600_302600_NS11hip_rocprim35transform_pair_of_input_iterators_tIiPhSB_NS8_12not_equal_toIhEEEEPiiNS8_4plusIiEEEE10hipError_tPvRmT1_T2_T3_mT4_P12ihipStream_tbEUlT_E1_NS1_11comp_targetILNS1_3genE8ELNS1_11target_archE1030ELNS1_3gpuE2ELNS1_3repE0EEENS1_30default_config_static_selectorELNS0_4arch9wavefront6targetE1EEEvSL_
		.amdhsa_group_segment_fixed_size 0
		.amdhsa_private_segment_fixed_size 0
		.amdhsa_kernarg_size 56
		.amdhsa_user_sgpr_count 6
		.amdhsa_user_sgpr_private_segment_buffer 1
		.amdhsa_user_sgpr_dispatch_ptr 0
		.amdhsa_user_sgpr_queue_ptr 0
		.amdhsa_user_sgpr_kernarg_segment_ptr 1
		.amdhsa_user_sgpr_dispatch_id 0
		.amdhsa_user_sgpr_flat_scratch_init 0
		.amdhsa_user_sgpr_private_segment_size 0
		.amdhsa_uses_dynamic_stack 0
		.amdhsa_system_sgpr_private_segment_wavefront_offset 0
		.amdhsa_system_sgpr_workgroup_id_x 1
		.amdhsa_system_sgpr_workgroup_id_y 0
		.amdhsa_system_sgpr_workgroup_id_z 0
		.amdhsa_system_sgpr_workgroup_info 0
		.amdhsa_system_vgpr_workitem_id 0
		.amdhsa_next_free_vgpr 1
		.amdhsa_next_free_sgpr 0
		.amdhsa_reserve_vcc 0
		.amdhsa_reserve_flat_scratch 0
		.amdhsa_float_round_mode_32 0
		.amdhsa_float_round_mode_16_64 0
		.amdhsa_float_denorm_mode_32 3
		.amdhsa_float_denorm_mode_16_64 3
		.amdhsa_dx10_clamp 1
		.amdhsa_ieee_mode 1
		.amdhsa_fp16_overflow 0
		.amdhsa_exception_fp_ieee_invalid_op 0
		.amdhsa_exception_fp_denorm_src 0
		.amdhsa_exception_fp_ieee_div_zero 0
		.amdhsa_exception_fp_ieee_overflow 0
		.amdhsa_exception_fp_ieee_underflow 0
		.amdhsa_exception_fp_ieee_inexact 0
		.amdhsa_exception_int_div_zero 0
	.end_amdhsa_kernel
	.section	.text._ZN7rocprim17ROCPRIM_400000_NS6detail17trampoline_kernelINS0_14default_configENS1_22reduce_config_selectorIiEEZNS1_11reduce_implILb1ES3_N6thrust23THRUST_200600_302600_NS11hip_rocprim35transform_pair_of_input_iterators_tIiPhSB_NS8_12not_equal_toIhEEEEPiiNS8_4plusIiEEEE10hipError_tPvRmT1_T2_T3_mT4_P12ihipStream_tbEUlT_E1_NS1_11comp_targetILNS1_3genE8ELNS1_11target_archE1030ELNS1_3gpuE2ELNS1_3repE0EEENS1_30default_config_static_selectorELNS0_4arch9wavefront6targetE1EEEvSL_,"axG",@progbits,_ZN7rocprim17ROCPRIM_400000_NS6detail17trampoline_kernelINS0_14default_configENS1_22reduce_config_selectorIiEEZNS1_11reduce_implILb1ES3_N6thrust23THRUST_200600_302600_NS11hip_rocprim35transform_pair_of_input_iterators_tIiPhSB_NS8_12not_equal_toIhEEEEPiiNS8_4plusIiEEEE10hipError_tPvRmT1_T2_T3_mT4_P12ihipStream_tbEUlT_E1_NS1_11comp_targetILNS1_3genE8ELNS1_11target_archE1030ELNS1_3gpuE2ELNS1_3repE0EEENS1_30default_config_static_selectorELNS0_4arch9wavefront6targetE1EEEvSL_,comdat
.Lfunc_end353:
	.size	_ZN7rocprim17ROCPRIM_400000_NS6detail17trampoline_kernelINS0_14default_configENS1_22reduce_config_selectorIiEEZNS1_11reduce_implILb1ES3_N6thrust23THRUST_200600_302600_NS11hip_rocprim35transform_pair_of_input_iterators_tIiPhSB_NS8_12not_equal_toIhEEEEPiiNS8_4plusIiEEEE10hipError_tPvRmT1_T2_T3_mT4_P12ihipStream_tbEUlT_E1_NS1_11comp_targetILNS1_3genE8ELNS1_11target_archE1030ELNS1_3gpuE2ELNS1_3repE0EEENS1_30default_config_static_selectorELNS0_4arch9wavefront6targetE1EEEvSL_, .Lfunc_end353-_ZN7rocprim17ROCPRIM_400000_NS6detail17trampoline_kernelINS0_14default_configENS1_22reduce_config_selectorIiEEZNS1_11reduce_implILb1ES3_N6thrust23THRUST_200600_302600_NS11hip_rocprim35transform_pair_of_input_iterators_tIiPhSB_NS8_12not_equal_toIhEEEEPiiNS8_4plusIiEEEE10hipError_tPvRmT1_T2_T3_mT4_P12ihipStream_tbEUlT_E1_NS1_11comp_targetILNS1_3genE8ELNS1_11target_archE1030ELNS1_3gpuE2ELNS1_3repE0EEENS1_30default_config_static_selectorELNS0_4arch9wavefront6targetE1EEEvSL_
                                        ; -- End function
	.set _ZN7rocprim17ROCPRIM_400000_NS6detail17trampoline_kernelINS0_14default_configENS1_22reduce_config_selectorIiEEZNS1_11reduce_implILb1ES3_N6thrust23THRUST_200600_302600_NS11hip_rocprim35transform_pair_of_input_iterators_tIiPhSB_NS8_12not_equal_toIhEEEEPiiNS8_4plusIiEEEE10hipError_tPvRmT1_T2_T3_mT4_P12ihipStream_tbEUlT_E1_NS1_11comp_targetILNS1_3genE8ELNS1_11target_archE1030ELNS1_3gpuE2ELNS1_3repE0EEENS1_30default_config_static_selectorELNS0_4arch9wavefront6targetE1EEEvSL_.num_vgpr, 0
	.set _ZN7rocprim17ROCPRIM_400000_NS6detail17trampoline_kernelINS0_14default_configENS1_22reduce_config_selectorIiEEZNS1_11reduce_implILb1ES3_N6thrust23THRUST_200600_302600_NS11hip_rocprim35transform_pair_of_input_iterators_tIiPhSB_NS8_12not_equal_toIhEEEEPiiNS8_4plusIiEEEE10hipError_tPvRmT1_T2_T3_mT4_P12ihipStream_tbEUlT_E1_NS1_11comp_targetILNS1_3genE8ELNS1_11target_archE1030ELNS1_3gpuE2ELNS1_3repE0EEENS1_30default_config_static_selectorELNS0_4arch9wavefront6targetE1EEEvSL_.num_agpr, 0
	.set _ZN7rocprim17ROCPRIM_400000_NS6detail17trampoline_kernelINS0_14default_configENS1_22reduce_config_selectorIiEEZNS1_11reduce_implILb1ES3_N6thrust23THRUST_200600_302600_NS11hip_rocprim35transform_pair_of_input_iterators_tIiPhSB_NS8_12not_equal_toIhEEEEPiiNS8_4plusIiEEEE10hipError_tPvRmT1_T2_T3_mT4_P12ihipStream_tbEUlT_E1_NS1_11comp_targetILNS1_3genE8ELNS1_11target_archE1030ELNS1_3gpuE2ELNS1_3repE0EEENS1_30default_config_static_selectorELNS0_4arch9wavefront6targetE1EEEvSL_.numbered_sgpr, 0
	.set _ZN7rocprim17ROCPRIM_400000_NS6detail17trampoline_kernelINS0_14default_configENS1_22reduce_config_selectorIiEEZNS1_11reduce_implILb1ES3_N6thrust23THRUST_200600_302600_NS11hip_rocprim35transform_pair_of_input_iterators_tIiPhSB_NS8_12not_equal_toIhEEEEPiiNS8_4plusIiEEEE10hipError_tPvRmT1_T2_T3_mT4_P12ihipStream_tbEUlT_E1_NS1_11comp_targetILNS1_3genE8ELNS1_11target_archE1030ELNS1_3gpuE2ELNS1_3repE0EEENS1_30default_config_static_selectorELNS0_4arch9wavefront6targetE1EEEvSL_.num_named_barrier, 0
	.set _ZN7rocprim17ROCPRIM_400000_NS6detail17trampoline_kernelINS0_14default_configENS1_22reduce_config_selectorIiEEZNS1_11reduce_implILb1ES3_N6thrust23THRUST_200600_302600_NS11hip_rocprim35transform_pair_of_input_iterators_tIiPhSB_NS8_12not_equal_toIhEEEEPiiNS8_4plusIiEEEE10hipError_tPvRmT1_T2_T3_mT4_P12ihipStream_tbEUlT_E1_NS1_11comp_targetILNS1_3genE8ELNS1_11target_archE1030ELNS1_3gpuE2ELNS1_3repE0EEENS1_30default_config_static_selectorELNS0_4arch9wavefront6targetE1EEEvSL_.private_seg_size, 0
	.set _ZN7rocprim17ROCPRIM_400000_NS6detail17trampoline_kernelINS0_14default_configENS1_22reduce_config_selectorIiEEZNS1_11reduce_implILb1ES3_N6thrust23THRUST_200600_302600_NS11hip_rocprim35transform_pair_of_input_iterators_tIiPhSB_NS8_12not_equal_toIhEEEEPiiNS8_4plusIiEEEE10hipError_tPvRmT1_T2_T3_mT4_P12ihipStream_tbEUlT_E1_NS1_11comp_targetILNS1_3genE8ELNS1_11target_archE1030ELNS1_3gpuE2ELNS1_3repE0EEENS1_30default_config_static_selectorELNS0_4arch9wavefront6targetE1EEEvSL_.uses_vcc, 0
	.set _ZN7rocprim17ROCPRIM_400000_NS6detail17trampoline_kernelINS0_14default_configENS1_22reduce_config_selectorIiEEZNS1_11reduce_implILb1ES3_N6thrust23THRUST_200600_302600_NS11hip_rocprim35transform_pair_of_input_iterators_tIiPhSB_NS8_12not_equal_toIhEEEEPiiNS8_4plusIiEEEE10hipError_tPvRmT1_T2_T3_mT4_P12ihipStream_tbEUlT_E1_NS1_11comp_targetILNS1_3genE8ELNS1_11target_archE1030ELNS1_3gpuE2ELNS1_3repE0EEENS1_30default_config_static_selectorELNS0_4arch9wavefront6targetE1EEEvSL_.uses_flat_scratch, 0
	.set _ZN7rocprim17ROCPRIM_400000_NS6detail17trampoline_kernelINS0_14default_configENS1_22reduce_config_selectorIiEEZNS1_11reduce_implILb1ES3_N6thrust23THRUST_200600_302600_NS11hip_rocprim35transform_pair_of_input_iterators_tIiPhSB_NS8_12not_equal_toIhEEEEPiiNS8_4plusIiEEEE10hipError_tPvRmT1_T2_T3_mT4_P12ihipStream_tbEUlT_E1_NS1_11comp_targetILNS1_3genE8ELNS1_11target_archE1030ELNS1_3gpuE2ELNS1_3repE0EEENS1_30default_config_static_selectorELNS0_4arch9wavefront6targetE1EEEvSL_.has_dyn_sized_stack, 0
	.set _ZN7rocprim17ROCPRIM_400000_NS6detail17trampoline_kernelINS0_14default_configENS1_22reduce_config_selectorIiEEZNS1_11reduce_implILb1ES3_N6thrust23THRUST_200600_302600_NS11hip_rocprim35transform_pair_of_input_iterators_tIiPhSB_NS8_12not_equal_toIhEEEEPiiNS8_4plusIiEEEE10hipError_tPvRmT1_T2_T3_mT4_P12ihipStream_tbEUlT_E1_NS1_11comp_targetILNS1_3genE8ELNS1_11target_archE1030ELNS1_3gpuE2ELNS1_3repE0EEENS1_30default_config_static_selectorELNS0_4arch9wavefront6targetE1EEEvSL_.has_recursion, 0
	.set _ZN7rocprim17ROCPRIM_400000_NS6detail17trampoline_kernelINS0_14default_configENS1_22reduce_config_selectorIiEEZNS1_11reduce_implILb1ES3_N6thrust23THRUST_200600_302600_NS11hip_rocprim35transform_pair_of_input_iterators_tIiPhSB_NS8_12not_equal_toIhEEEEPiiNS8_4plusIiEEEE10hipError_tPvRmT1_T2_T3_mT4_P12ihipStream_tbEUlT_E1_NS1_11comp_targetILNS1_3genE8ELNS1_11target_archE1030ELNS1_3gpuE2ELNS1_3repE0EEENS1_30default_config_static_selectorELNS0_4arch9wavefront6targetE1EEEvSL_.has_indirect_call, 0
	.section	.AMDGPU.csdata,"",@progbits
; Kernel info:
; codeLenInByte = 0
; TotalNumSgprs: 4
; NumVgprs: 0
; ScratchSize: 0
; MemoryBound: 0
; FloatMode: 240
; IeeeMode: 1
; LDSByteSize: 0 bytes/workgroup (compile time only)
; SGPRBlocks: 0
; VGPRBlocks: 0
; NumSGPRsForWavesPerEU: 4
; NumVGPRsForWavesPerEU: 1
; Occupancy: 10
; WaveLimiterHint : 0
; COMPUTE_PGM_RSRC2:SCRATCH_EN: 0
; COMPUTE_PGM_RSRC2:USER_SGPR: 6
; COMPUTE_PGM_RSRC2:TRAP_HANDLER: 0
; COMPUTE_PGM_RSRC2:TGID_X_EN: 1
; COMPUTE_PGM_RSRC2:TGID_Y_EN: 0
; COMPUTE_PGM_RSRC2:TGID_Z_EN: 0
; COMPUTE_PGM_RSRC2:TIDIG_COMP_CNT: 0
	.section	.text._ZN7rocprim17ROCPRIM_400000_NS6detail17trampoline_kernelINS0_14default_configENS1_25transform_config_selectorImLb0EEEZNS1_14transform_implILb0ES3_S5_NS0_17constant_iteratorImlEEPmNS0_8identityImEEEE10hipError_tT2_T3_mT4_P12ihipStream_tbEUlT_E_NS1_11comp_targetILNS1_3genE0ELNS1_11target_archE4294967295ELNS1_3gpuE0ELNS1_3repE0EEENS1_30default_config_static_selectorELNS0_4arch9wavefront6targetE1EEEvT1_,"axG",@progbits,_ZN7rocprim17ROCPRIM_400000_NS6detail17trampoline_kernelINS0_14default_configENS1_25transform_config_selectorImLb0EEEZNS1_14transform_implILb0ES3_S5_NS0_17constant_iteratorImlEEPmNS0_8identityImEEEE10hipError_tT2_T3_mT4_P12ihipStream_tbEUlT_E_NS1_11comp_targetILNS1_3genE0ELNS1_11target_archE4294967295ELNS1_3gpuE0ELNS1_3repE0EEENS1_30default_config_static_selectorELNS0_4arch9wavefront6targetE1EEEvT1_,comdat
	.protected	_ZN7rocprim17ROCPRIM_400000_NS6detail17trampoline_kernelINS0_14default_configENS1_25transform_config_selectorImLb0EEEZNS1_14transform_implILb0ES3_S5_NS0_17constant_iteratorImlEEPmNS0_8identityImEEEE10hipError_tT2_T3_mT4_P12ihipStream_tbEUlT_E_NS1_11comp_targetILNS1_3genE0ELNS1_11target_archE4294967295ELNS1_3gpuE0ELNS1_3repE0EEENS1_30default_config_static_selectorELNS0_4arch9wavefront6targetE1EEEvT1_ ; -- Begin function _ZN7rocprim17ROCPRIM_400000_NS6detail17trampoline_kernelINS0_14default_configENS1_25transform_config_selectorImLb0EEEZNS1_14transform_implILb0ES3_S5_NS0_17constant_iteratorImlEEPmNS0_8identityImEEEE10hipError_tT2_T3_mT4_P12ihipStream_tbEUlT_E_NS1_11comp_targetILNS1_3genE0ELNS1_11target_archE4294967295ELNS1_3gpuE0ELNS1_3repE0EEENS1_30default_config_static_selectorELNS0_4arch9wavefront6targetE1EEEvT1_
	.globl	_ZN7rocprim17ROCPRIM_400000_NS6detail17trampoline_kernelINS0_14default_configENS1_25transform_config_selectorImLb0EEEZNS1_14transform_implILb0ES3_S5_NS0_17constant_iteratorImlEEPmNS0_8identityImEEEE10hipError_tT2_T3_mT4_P12ihipStream_tbEUlT_E_NS1_11comp_targetILNS1_3genE0ELNS1_11target_archE4294967295ELNS1_3gpuE0ELNS1_3repE0EEENS1_30default_config_static_selectorELNS0_4arch9wavefront6targetE1EEEvT1_
	.p2align	8
	.type	_ZN7rocprim17ROCPRIM_400000_NS6detail17trampoline_kernelINS0_14default_configENS1_25transform_config_selectorImLb0EEEZNS1_14transform_implILb0ES3_S5_NS0_17constant_iteratorImlEEPmNS0_8identityImEEEE10hipError_tT2_T3_mT4_P12ihipStream_tbEUlT_E_NS1_11comp_targetILNS1_3genE0ELNS1_11target_archE4294967295ELNS1_3gpuE0ELNS1_3repE0EEENS1_30default_config_static_selectorELNS0_4arch9wavefront6targetE1EEEvT1_,@function
_ZN7rocprim17ROCPRIM_400000_NS6detail17trampoline_kernelINS0_14default_configENS1_25transform_config_selectorImLb0EEEZNS1_14transform_implILb0ES3_S5_NS0_17constant_iteratorImlEEPmNS0_8identityImEEEE10hipError_tT2_T3_mT4_P12ihipStream_tbEUlT_E_NS1_11comp_targetILNS1_3genE0ELNS1_11target_archE4294967295ELNS1_3gpuE0ELNS1_3repE0EEENS1_30default_config_static_selectorELNS0_4arch9wavefront6targetE1EEEvT1_: ; @_ZN7rocprim17ROCPRIM_400000_NS6detail17trampoline_kernelINS0_14default_configENS1_25transform_config_selectorImLb0EEEZNS1_14transform_implILb0ES3_S5_NS0_17constant_iteratorImlEEPmNS0_8identityImEEEE10hipError_tT2_T3_mT4_P12ihipStream_tbEUlT_E_NS1_11comp_targetILNS1_3genE0ELNS1_11target_archE4294967295ELNS1_3gpuE0ELNS1_3repE0EEENS1_30default_config_static_selectorELNS0_4arch9wavefront6targetE1EEEvT1_
; %bb.0:
	.section	.rodata,"a",@progbits
	.p2align	6, 0x0
	.amdhsa_kernel _ZN7rocprim17ROCPRIM_400000_NS6detail17trampoline_kernelINS0_14default_configENS1_25transform_config_selectorImLb0EEEZNS1_14transform_implILb0ES3_S5_NS0_17constant_iteratorImlEEPmNS0_8identityImEEEE10hipError_tT2_T3_mT4_P12ihipStream_tbEUlT_E_NS1_11comp_targetILNS1_3genE0ELNS1_11target_archE4294967295ELNS1_3gpuE0ELNS1_3repE0EEENS1_30default_config_static_selectorELNS0_4arch9wavefront6targetE1EEEvT1_
		.amdhsa_group_segment_fixed_size 0
		.amdhsa_private_segment_fixed_size 0
		.amdhsa_kernarg_size 48
		.amdhsa_user_sgpr_count 6
		.amdhsa_user_sgpr_private_segment_buffer 1
		.amdhsa_user_sgpr_dispatch_ptr 0
		.amdhsa_user_sgpr_queue_ptr 0
		.amdhsa_user_sgpr_kernarg_segment_ptr 1
		.amdhsa_user_sgpr_dispatch_id 0
		.amdhsa_user_sgpr_flat_scratch_init 0
		.amdhsa_user_sgpr_private_segment_size 0
		.amdhsa_uses_dynamic_stack 0
		.amdhsa_system_sgpr_private_segment_wavefront_offset 0
		.amdhsa_system_sgpr_workgroup_id_x 1
		.amdhsa_system_sgpr_workgroup_id_y 0
		.amdhsa_system_sgpr_workgroup_id_z 0
		.amdhsa_system_sgpr_workgroup_info 0
		.amdhsa_system_vgpr_workitem_id 0
		.amdhsa_next_free_vgpr 1
		.amdhsa_next_free_sgpr 0
		.amdhsa_reserve_vcc 0
		.amdhsa_reserve_flat_scratch 0
		.amdhsa_float_round_mode_32 0
		.amdhsa_float_round_mode_16_64 0
		.amdhsa_float_denorm_mode_32 3
		.amdhsa_float_denorm_mode_16_64 3
		.amdhsa_dx10_clamp 1
		.amdhsa_ieee_mode 1
		.amdhsa_fp16_overflow 0
		.amdhsa_exception_fp_ieee_invalid_op 0
		.amdhsa_exception_fp_denorm_src 0
		.amdhsa_exception_fp_ieee_div_zero 0
		.amdhsa_exception_fp_ieee_overflow 0
		.amdhsa_exception_fp_ieee_underflow 0
		.amdhsa_exception_fp_ieee_inexact 0
		.amdhsa_exception_int_div_zero 0
	.end_amdhsa_kernel
	.section	.text._ZN7rocprim17ROCPRIM_400000_NS6detail17trampoline_kernelINS0_14default_configENS1_25transform_config_selectorImLb0EEEZNS1_14transform_implILb0ES3_S5_NS0_17constant_iteratorImlEEPmNS0_8identityImEEEE10hipError_tT2_T3_mT4_P12ihipStream_tbEUlT_E_NS1_11comp_targetILNS1_3genE0ELNS1_11target_archE4294967295ELNS1_3gpuE0ELNS1_3repE0EEENS1_30default_config_static_selectorELNS0_4arch9wavefront6targetE1EEEvT1_,"axG",@progbits,_ZN7rocprim17ROCPRIM_400000_NS6detail17trampoline_kernelINS0_14default_configENS1_25transform_config_selectorImLb0EEEZNS1_14transform_implILb0ES3_S5_NS0_17constant_iteratorImlEEPmNS0_8identityImEEEE10hipError_tT2_T3_mT4_P12ihipStream_tbEUlT_E_NS1_11comp_targetILNS1_3genE0ELNS1_11target_archE4294967295ELNS1_3gpuE0ELNS1_3repE0EEENS1_30default_config_static_selectorELNS0_4arch9wavefront6targetE1EEEvT1_,comdat
.Lfunc_end354:
	.size	_ZN7rocprim17ROCPRIM_400000_NS6detail17trampoline_kernelINS0_14default_configENS1_25transform_config_selectorImLb0EEEZNS1_14transform_implILb0ES3_S5_NS0_17constant_iteratorImlEEPmNS0_8identityImEEEE10hipError_tT2_T3_mT4_P12ihipStream_tbEUlT_E_NS1_11comp_targetILNS1_3genE0ELNS1_11target_archE4294967295ELNS1_3gpuE0ELNS1_3repE0EEENS1_30default_config_static_selectorELNS0_4arch9wavefront6targetE1EEEvT1_, .Lfunc_end354-_ZN7rocprim17ROCPRIM_400000_NS6detail17trampoline_kernelINS0_14default_configENS1_25transform_config_selectorImLb0EEEZNS1_14transform_implILb0ES3_S5_NS0_17constant_iteratorImlEEPmNS0_8identityImEEEE10hipError_tT2_T3_mT4_P12ihipStream_tbEUlT_E_NS1_11comp_targetILNS1_3genE0ELNS1_11target_archE4294967295ELNS1_3gpuE0ELNS1_3repE0EEENS1_30default_config_static_selectorELNS0_4arch9wavefront6targetE1EEEvT1_
                                        ; -- End function
	.set _ZN7rocprim17ROCPRIM_400000_NS6detail17trampoline_kernelINS0_14default_configENS1_25transform_config_selectorImLb0EEEZNS1_14transform_implILb0ES3_S5_NS0_17constant_iteratorImlEEPmNS0_8identityImEEEE10hipError_tT2_T3_mT4_P12ihipStream_tbEUlT_E_NS1_11comp_targetILNS1_3genE0ELNS1_11target_archE4294967295ELNS1_3gpuE0ELNS1_3repE0EEENS1_30default_config_static_selectorELNS0_4arch9wavefront6targetE1EEEvT1_.num_vgpr, 0
	.set _ZN7rocprim17ROCPRIM_400000_NS6detail17trampoline_kernelINS0_14default_configENS1_25transform_config_selectorImLb0EEEZNS1_14transform_implILb0ES3_S5_NS0_17constant_iteratorImlEEPmNS0_8identityImEEEE10hipError_tT2_T3_mT4_P12ihipStream_tbEUlT_E_NS1_11comp_targetILNS1_3genE0ELNS1_11target_archE4294967295ELNS1_3gpuE0ELNS1_3repE0EEENS1_30default_config_static_selectorELNS0_4arch9wavefront6targetE1EEEvT1_.num_agpr, 0
	.set _ZN7rocprim17ROCPRIM_400000_NS6detail17trampoline_kernelINS0_14default_configENS1_25transform_config_selectorImLb0EEEZNS1_14transform_implILb0ES3_S5_NS0_17constant_iteratorImlEEPmNS0_8identityImEEEE10hipError_tT2_T3_mT4_P12ihipStream_tbEUlT_E_NS1_11comp_targetILNS1_3genE0ELNS1_11target_archE4294967295ELNS1_3gpuE0ELNS1_3repE0EEENS1_30default_config_static_selectorELNS0_4arch9wavefront6targetE1EEEvT1_.numbered_sgpr, 0
	.set _ZN7rocprim17ROCPRIM_400000_NS6detail17trampoline_kernelINS0_14default_configENS1_25transform_config_selectorImLb0EEEZNS1_14transform_implILb0ES3_S5_NS0_17constant_iteratorImlEEPmNS0_8identityImEEEE10hipError_tT2_T3_mT4_P12ihipStream_tbEUlT_E_NS1_11comp_targetILNS1_3genE0ELNS1_11target_archE4294967295ELNS1_3gpuE0ELNS1_3repE0EEENS1_30default_config_static_selectorELNS0_4arch9wavefront6targetE1EEEvT1_.num_named_barrier, 0
	.set _ZN7rocprim17ROCPRIM_400000_NS6detail17trampoline_kernelINS0_14default_configENS1_25transform_config_selectorImLb0EEEZNS1_14transform_implILb0ES3_S5_NS0_17constant_iteratorImlEEPmNS0_8identityImEEEE10hipError_tT2_T3_mT4_P12ihipStream_tbEUlT_E_NS1_11comp_targetILNS1_3genE0ELNS1_11target_archE4294967295ELNS1_3gpuE0ELNS1_3repE0EEENS1_30default_config_static_selectorELNS0_4arch9wavefront6targetE1EEEvT1_.private_seg_size, 0
	.set _ZN7rocprim17ROCPRIM_400000_NS6detail17trampoline_kernelINS0_14default_configENS1_25transform_config_selectorImLb0EEEZNS1_14transform_implILb0ES3_S5_NS0_17constant_iteratorImlEEPmNS0_8identityImEEEE10hipError_tT2_T3_mT4_P12ihipStream_tbEUlT_E_NS1_11comp_targetILNS1_3genE0ELNS1_11target_archE4294967295ELNS1_3gpuE0ELNS1_3repE0EEENS1_30default_config_static_selectorELNS0_4arch9wavefront6targetE1EEEvT1_.uses_vcc, 0
	.set _ZN7rocprim17ROCPRIM_400000_NS6detail17trampoline_kernelINS0_14default_configENS1_25transform_config_selectorImLb0EEEZNS1_14transform_implILb0ES3_S5_NS0_17constant_iteratorImlEEPmNS0_8identityImEEEE10hipError_tT2_T3_mT4_P12ihipStream_tbEUlT_E_NS1_11comp_targetILNS1_3genE0ELNS1_11target_archE4294967295ELNS1_3gpuE0ELNS1_3repE0EEENS1_30default_config_static_selectorELNS0_4arch9wavefront6targetE1EEEvT1_.uses_flat_scratch, 0
	.set _ZN7rocprim17ROCPRIM_400000_NS6detail17trampoline_kernelINS0_14default_configENS1_25transform_config_selectorImLb0EEEZNS1_14transform_implILb0ES3_S5_NS0_17constant_iteratorImlEEPmNS0_8identityImEEEE10hipError_tT2_T3_mT4_P12ihipStream_tbEUlT_E_NS1_11comp_targetILNS1_3genE0ELNS1_11target_archE4294967295ELNS1_3gpuE0ELNS1_3repE0EEENS1_30default_config_static_selectorELNS0_4arch9wavefront6targetE1EEEvT1_.has_dyn_sized_stack, 0
	.set _ZN7rocprim17ROCPRIM_400000_NS6detail17trampoline_kernelINS0_14default_configENS1_25transform_config_selectorImLb0EEEZNS1_14transform_implILb0ES3_S5_NS0_17constant_iteratorImlEEPmNS0_8identityImEEEE10hipError_tT2_T3_mT4_P12ihipStream_tbEUlT_E_NS1_11comp_targetILNS1_3genE0ELNS1_11target_archE4294967295ELNS1_3gpuE0ELNS1_3repE0EEENS1_30default_config_static_selectorELNS0_4arch9wavefront6targetE1EEEvT1_.has_recursion, 0
	.set _ZN7rocprim17ROCPRIM_400000_NS6detail17trampoline_kernelINS0_14default_configENS1_25transform_config_selectorImLb0EEEZNS1_14transform_implILb0ES3_S5_NS0_17constant_iteratorImlEEPmNS0_8identityImEEEE10hipError_tT2_T3_mT4_P12ihipStream_tbEUlT_E_NS1_11comp_targetILNS1_3genE0ELNS1_11target_archE4294967295ELNS1_3gpuE0ELNS1_3repE0EEENS1_30default_config_static_selectorELNS0_4arch9wavefront6targetE1EEEvT1_.has_indirect_call, 0
	.section	.AMDGPU.csdata,"",@progbits
; Kernel info:
; codeLenInByte = 0
; TotalNumSgprs: 4
; NumVgprs: 0
; ScratchSize: 0
; MemoryBound: 0
; FloatMode: 240
; IeeeMode: 1
; LDSByteSize: 0 bytes/workgroup (compile time only)
; SGPRBlocks: 0
; VGPRBlocks: 0
; NumSGPRsForWavesPerEU: 4
; NumVGPRsForWavesPerEU: 1
; Occupancy: 10
; WaveLimiterHint : 0
; COMPUTE_PGM_RSRC2:SCRATCH_EN: 0
; COMPUTE_PGM_RSRC2:USER_SGPR: 6
; COMPUTE_PGM_RSRC2:TRAP_HANDLER: 0
; COMPUTE_PGM_RSRC2:TGID_X_EN: 1
; COMPUTE_PGM_RSRC2:TGID_Y_EN: 0
; COMPUTE_PGM_RSRC2:TGID_Z_EN: 0
; COMPUTE_PGM_RSRC2:TIDIG_COMP_CNT: 0
	.section	.text._ZN7rocprim17ROCPRIM_400000_NS6detail17trampoline_kernelINS0_14default_configENS1_25transform_config_selectorImLb0EEEZNS1_14transform_implILb0ES3_S5_NS0_17constant_iteratorImlEEPmNS0_8identityImEEEE10hipError_tT2_T3_mT4_P12ihipStream_tbEUlT_E_NS1_11comp_targetILNS1_3genE5ELNS1_11target_archE942ELNS1_3gpuE9ELNS1_3repE0EEENS1_30default_config_static_selectorELNS0_4arch9wavefront6targetE1EEEvT1_,"axG",@progbits,_ZN7rocprim17ROCPRIM_400000_NS6detail17trampoline_kernelINS0_14default_configENS1_25transform_config_selectorImLb0EEEZNS1_14transform_implILb0ES3_S5_NS0_17constant_iteratorImlEEPmNS0_8identityImEEEE10hipError_tT2_T3_mT4_P12ihipStream_tbEUlT_E_NS1_11comp_targetILNS1_3genE5ELNS1_11target_archE942ELNS1_3gpuE9ELNS1_3repE0EEENS1_30default_config_static_selectorELNS0_4arch9wavefront6targetE1EEEvT1_,comdat
	.protected	_ZN7rocprim17ROCPRIM_400000_NS6detail17trampoline_kernelINS0_14default_configENS1_25transform_config_selectorImLb0EEEZNS1_14transform_implILb0ES3_S5_NS0_17constant_iteratorImlEEPmNS0_8identityImEEEE10hipError_tT2_T3_mT4_P12ihipStream_tbEUlT_E_NS1_11comp_targetILNS1_3genE5ELNS1_11target_archE942ELNS1_3gpuE9ELNS1_3repE0EEENS1_30default_config_static_selectorELNS0_4arch9wavefront6targetE1EEEvT1_ ; -- Begin function _ZN7rocprim17ROCPRIM_400000_NS6detail17trampoline_kernelINS0_14default_configENS1_25transform_config_selectorImLb0EEEZNS1_14transform_implILb0ES3_S5_NS0_17constant_iteratorImlEEPmNS0_8identityImEEEE10hipError_tT2_T3_mT4_P12ihipStream_tbEUlT_E_NS1_11comp_targetILNS1_3genE5ELNS1_11target_archE942ELNS1_3gpuE9ELNS1_3repE0EEENS1_30default_config_static_selectorELNS0_4arch9wavefront6targetE1EEEvT1_
	.globl	_ZN7rocprim17ROCPRIM_400000_NS6detail17trampoline_kernelINS0_14default_configENS1_25transform_config_selectorImLb0EEEZNS1_14transform_implILb0ES3_S5_NS0_17constant_iteratorImlEEPmNS0_8identityImEEEE10hipError_tT2_T3_mT4_P12ihipStream_tbEUlT_E_NS1_11comp_targetILNS1_3genE5ELNS1_11target_archE942ELNS1_3gpuE9ELNS1_3repE0EEENS1_30default_config_static_selectorELNS0_4arch9wavefront6targetE1EEEvT1_
	.p2align	8
	.type	_ZN7rocprim17ROCPRIM_400000_NS6detail17trampoline_kernelINS0_14default_configENS1_25transform_config_selectorImLb0EEEZNS1_14transform_implILb0ES3_S5_NS0_17constant_iteratorImlEEPmNS0_8identityImEEEE10hipError_tT2_T3_mT4_P12ihipStream_tbEUlT_E_NS1_11comp_targetILNS1_3genE5ELNS1_11target_archE942ELNS1_3gpuE9ELNS1_3repE0EEENS1_30default_config_static_selectorELNS0_4arch9wavefront6targetE1EEEvT1_,@function
_ZN7rocprim17ROCPRIM_400000_NS6detail17trampoline_kernelINS0_14default_configENS1_25transform_config_selectorImLb0EEEZNS1_14transform_implILb0ES3_S5_NS0_17constant_iteratorImlEEPmNS0_8identityImEEEE10hipError_tT2_T3_mT4_P12ihipStream_tbEUlT_E_NS1_11comp_targetILNS1_3genE5ELNS1_11target_archE942ELNS1_3gpuE9ELNS1_3repE0EEENS1_30default_config_static_selectorELNS0_4arch9wavefront6targetE1EEEvT1_: ; @_ZN7rocprim17ROCPRIM_400000_NS6detail17trampoline_kernelINS0_14default_configENS1_25transform_config_selectorImLb0EEEZNS1_14transform_implILb0ES3_S5_NS0_17constant_iteratorImlEEPmNS0_8identityImEEEE10hipError_tT2_T3_mT4_P12ihipStream_tbEUlT_E_NS1_11comp_targetILNS1_3genE5ELNS1_11target_archE942ELNS1_3gpuE9ELNS1_3repE0EEENS1_30default_config_static_selectorELNS0_4arch9wavefront6targetE1EEEvT1_
; %bb.0:
	.section	.rodata,"a",@progbits
	.p2align	6, 0x0
	.amdhsa_kernel _ZN7rocprim17ROCPRIM_400000_NS6detail17trampoline_kernelINS0_14default_configENS1_25transform_config_selectorImLb0EEEZNS1_14transform_implILb0ES3_S5_NS0_17constant_iteratorImlEEPmNS0_8identityImEEEE10hipError_tT2_T3_mT4_P12ihipStream_tbEUlT_E_NS1_11comp_targetILNS1_3genE5ELNS1_11target_archE942ELNS1_3gpuE9ELNS1_3repE0EEENS1_30default_config_static_selectorELNS0_4arch9wavefront6targetE1EEEvT1_
		.amdhsa_group_segment_fixed_size 0
		.amdhsa_private_segment_fixed_size 0
		.amdhsa_kernarg_size 48
		.amdhsa_user_sgpr_count 6
		.amdhsa_user_sgpr_private_segment_buffer 1
		.amdhsa_user_sgpr_dispatch_ptr 0
		.amdhsa_user_sgpr_queue_ptr 0
		.amdhsa_user_sgpr_kernarg_segment_ptr 1
		.amdhsa_user_sgpr_dispatch_id 0
		.amdhsa_user_sgpr_flat_scratch_init 0
		.amdhsa_user_sgpr_private_segment_size 0
		.amdhsa_uses_dynamic_stack 0
		.amdhsa_system_sgpr_private_segment_wavefront_offset 0
		.amdhsa_system_sgpr_workgroup_id_x 1
		.amdhsa_system_sgpr_workgroup_id_y 0
		.amdhsa_system_sgpr_workgroup_id_z 0
		.amdhsa_system_sgpr_workgroup_info 0
		.amdhsa_system_vgpr_workitem_id 0
		.amdhsa_next_free_vgpr 1
		.amdhsa_next_free_sgpr 0
		.amdhsa_reserve_vcc 0
		.amdhsa_reserve_flat_scratch 0
		.amdhsa_float_round_mode_32 0
		.amdhsa_float_round_mode_16_64 0
		.amdhsa_float_denorm_mode_32 3
		.amdhsa_float_denorm_mode_16_64 3
		.amdhsa_dx10_clamp 1
		.amdhsa_ieee_mode 1
		.amdhsa_fp16_overflow 0
		.amdhsa_exception_fp_ieee_invalid_op 0
		.amdhsa_exception_fp_denorm_src 0
		.amdhsa_exception_fp_ieee_div_zero 0
		.amdhsa_exception_fp_ieee_overflow 0
		.amdhsa_exception_fp_ieee_underflow 0
		.amdhsa_exception_fp_ieee_inexact 0
		.amdhsa_exception_int_div_zero 0
	.end_amdhsa_kernel
	.section	.text._ZN7rocprim17ROCPRIM_400000_NS6detail17trampoline_kernelINS0_14default_configENS1_25transform_config_selectorImLb0EEEZNS1_14transform_implILb0ES3_S5_NS0_17constant_iteratorImlEEPmNS0_8identityImEEEE10hipError_tT2_T3_mT4_P12ihipStream_tbEUlT_E_NS1_11comp_targetILNS1_3genE5ELNS1_11target_archE942ELNS1_3gpuE9ELNS1_3repE0EEENS1_30default_config_static_selectorELNS0_4arch9wavefront6targetE1EEEvT1_,"axG",@progbits,_ZN7rocprim17ROCPRIM_400000_NS6detail17trampoline_kernelINS0_14default_configENS1_25transform_config_selectorImLb0EEEZNS1_14transform_implILb0ES3_S5_NS0_17constant_iteratorImlEEPmNS0_8identityImEEEE10hipError_tT2_T3_mT4_P12ihipStream_tbEUlT_E_NS1_11comp_targetILNS1_3genE5ELNS1_11target_archE942ELNS1_3gpuE9ELNS1_3repE0EEENS1_30default_config_static_selectorELNS0_4arch9wavefront6targetE1EEEvT1_,comdat
.Lfunc_end355:
	.size	_ZN7rocprim17ROCPRIM_400000_NS6detail17trampoline_kernelINS0_14default_configENS1_25transform_config_selectorImLb0EEEZNS1_14transform_implILb0ES3_S5_NS0_17constant_iteratorImlEEPmNS0_8identityImEEEE10hipError_tT2_T3_mT4_P12ihipStream_tbEUlT_E_NS1_11comp_targetILNS1_3genE5ELNS1_11target_archE942ELNS1_3gpuE9ELNS1_3repE0EEENS1_30default_config_static_selectorELNS0_4arch9wavefront6targetE1EEEvT1_, .Lfunc_end355-_ZN7rocprim17ROCPRIM_400000_NS6detail17trampoline_kernelINS0_14default_configENS1_25transform_config_selectorImLb0EEEZNS1_14transform_implILb0ES3_S5_NS0_17constant_iteratorImlEEPmNS0_8identityImEEEE10hipError_tT2_T3_mT4_P12ihipStream_tbEUlT_E_NS1_11comp_targetILNS1_3genE5ELNS1_11target_archE942ELNS1_3gpuE9ELNS1_3repE0EEENS1_30default_config_static_selectorELNS0_4arch9wavefront6targetE1EEEvT1_
                                        ; -- End function
	.set _ZN7rocprim17ROCPRIM_400000_NS6detail17trampoline_kernelINS0_14default_configENS1_25transform_config_selectorImLb0EEEZNS1_14transform_implILb0ES3_S5_NS0_17constant_iteratorImlEEPmNS0_8identityImEEEE10hipError_tT2_T3_mT4_P12ihipStream_tbEUlT_E_NS1_11comp_targetILNS1_3genE5ELNS1_11target_archE942ELNS1_3gpuE9ELNS1_3repE0EEENS1_30default_config_static_selectorELNS0_4arch9wavefront6targetE1EEEvT1_.num_vgpr, 0
	.set _ZN7rocprim17ROCPRIM_400000_NS6detail17trampoline_kernelINS0_14default_configENS1_25transform_config_selectorImLb0EEEZNS1_14transform_implILb0ES3_S5_NS0_17constant_iteratorImlEEPmNS0_8identityImEEEE10hipError_tT2_T3_mT4_P12ihipStream_tbEUlT_E_NS1_11comp_targetILNS1_3genE5ELNS1_11target_archE942ELNS1_3gpuE9ELNS1_3repE0EEENS1_30default_config_static_selectorELNS0_4arch9wavefront6targetE1EEEvT1_.num_agpr, 0
	.set _ZN7rocprim17ROCPRIM_400000_NS6detail17trampoline_kernelINS0_14default_configENS1_25transform_config_selectorImLb0EEEZNS1_14transform_implILb0ES3_S5_NS0_17constant_iteratorImlEEPmNS0_8identityImEEEE10hipError_tT2_T3_mT4_P12ihipStream_tbEUlT_E_NS1_11comp_targetILNS1_3genE5ELNS1_11target_archE942ELNS1_3gpuE9ELNS1_3repE0EEENS1_30default_config_static_selectorELNS0_4arch9wavefront6targetE1EEEvT1_.numbered_sgpr, 0
	.set _ZN7rocprim17ROCPRIM_400000_NS6detail17trampoline_kernelINS0_14default_configENS1_25transform_config_selectorImLb0EEEZNS1_14transform_implILb0ES3_S5_NS0_17constant_iteratorImlEEPmNS0_8identityImEEEE10hipError_tT2_T3_mT4_P12ihipStream_tbEUlT_E_NS1_11comp_targetILNS1_3genE5ELNS1_11target_archE942ELNS1_3gpuE9ELNS1_3repE0EEENS1_30default_config_static_selectorELNS0_4arch9wavefront6targetE1EEEvT1_.num_named_barrier, 0
	.set _ZN7rocprim17ROCPRIM_400000_NS6detail17trampoline_kernelINS0_14default_configENS1_25transform_config_selectorImLb0EEEZNS1_14transform_implILb0ES3_S5_NS0_17constant_iteratorImlEEPmNS0_8identityImEEEE10hipError_tT2_T3_mT4_P12ihipStream_tbEUlT_E_NS1_11comp_targetILNS1_3genE5ELNS1_11target_archE942ELNS1_3gpuE9ELNS1_3repE0EEENS1_30default_config_static_selectorELNS0_4arch9wavefront6targetE1EEEvT1_.private_seg_size, 0
	.set _ZN7rocprim17ROCPRIM_400000_NS6detail17trampoline_kernelINS0_14default_configENS1_25transform_config_selectorImLb0EEEZNS1_14transform_implILb0ES3_S5_NS0_17constant_iteratorImlEEPmNS0_8identityImEEEE10hipError_tT2_T3_mT4_P12ihipStream_tbEUlT_E_NS1_11comp_targetILNS1_3genE5ELNS1_11target_archE942ELNS1_3gpuE9ELNS1_3repE0EEENS1_30default_config_static_selectorELNS0_4arch9wavefront6targetE1EEEvT1_.uses_vcc, 0
	.set _ZN7rocprim17ROCPRIM_400000_NS6detail17trampoline_kernelINS0_14default_configENS1_25transform_config_selectorImLb0EEEZNS1_14transform_implILb0ES3_S5_NS0_17constant_iteratorImlEEPmNS0_8identityImEEEE10hipError_tT2_T3_mT4_P12ihipStream_tbEUlT_E_NS1_11comp_targetILNS1_3genE5ELNS1_11target_archE942ELNS1_3gpuE9ELNS1_3repE0EEENS1_30default_config_static_selectorELNS0_4arch9wavefront6targetE1EEEvT1_.uses_flat_scratch, 0
	.set _ZN7rocprim17ROCPRIM_400000_NS6detail17trampoline_kernelINS0_14default_configENS1_25transform_config_selectorImLb0EEEZNS1_14transform_implILb0ES3_S5_NS0_17constant_iteratorImlEEPmNS0_8identityImEEEE10hipError_tT2_T3_mT4_P12ihipStream_tbEUlT_E_NS1_11comp_targetILNS1_3genE5ELNS1_11target_archE942ELNS1_3gpuE9ELNS1_3repE0EEENS1_30default_config_static_selectorELNS0_4arch9wavefront6targetE1EEEvT1_.has_dyn_sized_stack, 0
	.set _ZN7rocprim17ROCPRIM_400000_NS6detail17trampoline_kernelINS0_14default_configENS1_25transform_config_selectorImLb0EEEZNS1_14transform_implILb0ES3_S5_NS0_17constant_iteratorImlEEPmNS0_8identityImEEEE10hipError_tT2_T3_mT4_P12ihipStream_tbEUlT_E_NS1_11comp_targetILNS1_3genE5ELNS1_11target_archE942ELNS1_3gpuE9ELNS1_3repE0EEENS1_30default_config_static_selectorELNS0_4arch9wavefront6targetE1EEEvT1_.has_recursion, 0
	.set _ZN7rocprim17ROCPRIM_400000_NS6detail17trampoline_kernelINS0_14default_configENS1_25transform_config_selectorImLb0EEEZNS1_14transform_implILb0ES3_S5_NS0_17constant_iteratorImlEEPmNS0_8identityImEEEE10hipError_tT2_T3_mT4_P12ihipStream_tbEUlT_E_NS1_11comp_targetILNS1_3genE5ELNS1_11target_archE942ELNS1_3gpuE9ELNS1_3repE0EEENS1_30default_config_static_selectorELNS0_4arch9wavefront6targetE1EEEvT1_.has_indirect_call, 0
	.section	.AMDGPU.csdata,"",@progbits
; Kernel info:
; codeLenInByte = 0
; TotalNumSgprs: 4
; NumVgprs: 0
; ScratchSize: 0
; MemoryBound: 0
; FloatMode: 240
; IeeeMode: 1
; LDSByteSize: 0 bytes/workgroup (compile time only)
; SGPRBlocks: 0
; VGPRBlocks: 0
; NumSGPRsForWavesPerEU: 4
; NumVGPRsForWavesPerEU: 1
; Occupancy: 10
; WaveLimiterHint : 0
; COMPUTE_PGM_RSRC2:SCRATCH_EN: 0
; COMPUTE_PGM_RSRC2:USER_SGPR: 6
; COMPUTE_PGM_RSRC2:TRAP_HANDLER: 0
; COMPUTE_PGM_RSRC2:TGID_X_EN: 1
; COMPUTE_PGM_RSRC2:TGID_Y_EN: 0
; COMPUTE_PGM_RSRC2:TGID_Z_EN: 0
; COMPUTE_PGM_RSRC2:TIDIG_COMP_CNT: 0
	.section	.text._ZN7rocprim17ROCPRIM_400000_NS6detail17trampoline_kernelINS0_14default_configENS1_25transform_config_selectorImLb0EEEZNS1_14transform_implILb0ES3_S5_NS0_17constant_iteratorImlEEPmNS0_8identityImEEEE10hipError_tT2_T3_mT4_P12ihipStream_tbEUlT_E_NS1_11comp_targetILNS1_3genE4ELNS1_11target_archE910ELNS1_3gpuE8ELNS1_3repE0EEENS1_30default_config_static_selectorELNS0_4arch9wavefront6targetE1EEEvT1_,"axG",@progbits,_ZN7rocprim17ROCPRIM_400000_NS6detail17trampoline_kernelINS0_14default_configENS1_25transform_config_selectorImLb0EEEZNS1_14transform_implILb0ES3_S5_NS0_17constant_iteratorImlEEPmNS0_8identityImEEEE10hipError_tT2_T3_mT4_P12ihipStream_tbEUlT_E_NS1_11comp_targetILNS1_3genE4ELNS1_11target_archE910ELNS1_3gpuE8ELNS1_3repE0EEENS1_30default_config_static_selectorELNS0_4arch9wavefront6targetE1EEEvT1_,comdat
	.protected	_ZN7rocprim17ROCPRIM_400000_NS6detail17trampoline_kernelINS0_14default_configENS1_25transform_config_selectorImLb0EEEZNS1_14transform_implILb0ES3_S5_NS0_17constant_iteratorImlEEPmNS0_8identityImEEEE10hipError_tT2_T3_mT4_P12ihipStream_tbEUlT_E_NS1_11comp_targetILNS1_3genE4ELNS1_11target_archE910ELNS1_3gpuE8ELNS1_3repE0EEENS1_30default_config_static_selectorELNS0_4arch9wavefront6targetE1EEEvT1_ ; -- Begin function _ZN7rocprim17ROCPRIM_400000_NS6detail17trampoline_kernelINS0_14default_configENS1_25transform_config_selectorImLb0EEEZNS1_14transform_implILb0ES3_S5_NS0_17constant_iteratorImlEEPmNS0_8identityImEEEE10hipError_tT2_T3_mT4_P12ihipStream_tbEUlT_E_NS1_11comp_targetILNS1_3genE4ELNS1_11target_archE910ELNS1_3gpuE8ELNS1_3repE0EEENS1_30default_config_static_selectorELNS0_4arch9wavefront6targetE1EEEvT1_
	.globl	_ZN7rocprim17ROCPRIM_400000_NS6detail17trampoline_kernelINS0_14default_configENS1_25transform_config_selectorImLb0EEEZNS1_14transform_implILb0ES3_S5_NS0_17constant_iteratorImlEEPmNS0_8identityImEEEE10hipError_tT2_T3_mT4_P12ihipStream_tbEUlT_E_NS1_11comp_targetILNS1_3genE4ELNS1_11target_archE910ELNS1_3gpuE8ELNS1_3repE0EEENS1_30default_config_static_selectorELNS0_4arch9wavefront6targetE1EEEvT1_
	.p2align	8
	.type	_ZN7rocprim17ROCPRIM_400000_NS6detail17trampoline_kernelINS0_14default_configENS1_25transform_config_selectorImLb0EEEZNS1_14transform_implILb0ES3_S5_NS0_17constant_iteratorImlEEPmNS0_8identityImEEEE10hipError_tT2_T3_mT4_P12ihipStream_tbEUlT_E_NS1_11comp_targetILNS1_3genE4ELNS1_11target_archE910ELNS1_3gpuE8ELNS1_3repE0EEENS1_30default_config_static_selectorELNS0_4arch9wavefront6targetE1EEEvT1_,@function
_ZN7rocprim17ROCPRIM_400000_NS6detail17trampoline_kernelINS0_14default_configENS1_25transform_config_selectorImLb0EEEZNS1_14transform_implILb0ES3_S5_NS0_17constant_iteratorImlEEPmNS0_8identityImEEEE10hipError_tT2_T3_mT4_P12ihipStream_tbEUlT_E_NS1_11comp_targetILNS1_3genE4ELNS1_11target_archE910ELNS1_3gpuE8ELNS1_3repE0EEENS1_30default_config_static_selectorELNS0_4arch9wavefront6targetE1EEEvT1_: ; @_ZN7rocprim17ROCPRIM_400000_NS6detail17trampoline_kernelINS0_14default_configENS1_25transform_config_selectorImLb0EEEZNS1_14transform_implILb0ES3_S5_NS0_17constant_iteratorImlEEPmNS0_8identityImEEEE10hipError_tT2_T3_mT4_P12ihipStream_tbEUlT_E_NS1_11comp_targetILNS1_3genE4ELNS1_11target_archE910ELNS1_3gpuE8ELNS1_3repE0EEENS1_30default_config_static_selectorELNS0_4arch9wavefront6targetE1EEEvT1_
; %bb.0:
	.section	.rodata,"a",@progbits
	.p2align	6, 0x0
	.amdhsa_kernel _ZN7rocprim17ROCPRIM_400000_NS6detail17trampoline_kernelINS0_14default_configENS1_25transform_config_selectorImLb0EEEZNS1_14transform_implILb0ES3_S5_NS0_17constant_iteratorImlEEPmNS0_8identityImEEEE10hipError_tT2_T3_mT4_P12ihipStream_tbEUlT_E_NS1_11comp_targetILNS1_3genE4ELNS1_11target_archE910ELNS1_3gpuE8ELNS1_3repE0EEENS1_30default_config_static_selectorELNS0_4arch9wavefront6targetE1EEEvT1_
		.amdhsa_group_segment_fixed_size 0
		.amdhsa_private_segment_fixed_size 0
		.amdhsa_kernarg_size 48
		.amdhsa_user_sgpr_count 6
		.amdhsa_user_sgpr_private_segment_buffer 1
		.amdhsa_user_sgpr_dispatch_ptr 0
		.amdhsa_user_sgpr_queue_ptr 0
		.amdhsa_user_sgpr_kernarg_segment_ptr 1
		.amdhsa_user_sgpr_dispatch_id 0
		.amdhsa_user_sgpr_flat_scratch_init 0
		.amdhsa_user_sgpr_private_segment_size 0
		.amdhsa_uses_dynamic_stack 0
		.amdhsa_system_sgpr_private_segment_wavefront_offset 0
		.amdhsa_system_sgpr_workgroup_id_x 1
		.amdhsa_system_sgpr_workgroup_id_y 0
		.amdhsa_system_sgpr_workgroup_id_z 0
		.amdhsa_system_sgpr_workgroup_info 0
		.amdhsa_system_vgpr_workitem_id 0
		.amdhsa_next_free_vgpr 1
		.amdhsa_next_free_sgpr 0
		.amdhsa_reserve_vcc 0
		.amdhsa_reserve_flat_scratch 0
		.amdhsa_float_round_mode_32 0
		.amdhsa_float_round_mode_16_64 0
		.amdhsa_float_denorm_mode_32 3
		.amdhsa_float_denorm_mode_16_64 3
		.amdhsa_dx10_clamp 1
		.amdhsa_ieee_mode 1
		.amdhsa_fp16_overflow 0
		.amdhsa_exception_fp_ieee_invalid_op 0
		.amdhsa_exception_fp_denorm_src 0
		.amdhsa_exception_fp_ieee_div_zero 0
		.amdhsa_exception_fp_ieee_overflow 0
		.amdhsa_exception_fp_ieee_underflow 0
		.amdhsa_exception_fp_ieee_inexact 0
		.amdhsa_exception_int_div_zero 0
	.end_amdhsa_kernel
	.section	.text._ZN7rocprim17ROCPRIM_400000_NS6detail17trampoline_kernelINS0_14default_configENS1_25transform_config_selectorImLb0EEEZNS1_14transform_implILb0ES3_S5_NS0_17constant_iteratorImlEEPmNS0_8identityImEEEE10hipError_tT2_T3_mT4_P12ihipStream_tbEUlT_E_NS1_11comp_targetILNS1_3genE4ELNS1_11target_archE910ELNS1_3gpuE8ELNS1_3repE0EEENS1_30default_config_static_selectorELNS0_4arch9wavefront6targetE1EEEvT1_,"axG",@progbits,_ZN7rocprim17ROCPRIM_400000_NS6detail17trampoline_kernelINS0_14default_configENS1_25transform_config_selectorImLb0EEEZNS1_14transform_implILb0ES3_S5_NS0_17constant_iteratorImlEEPmNS0_8identityImEEEE10hipError_tT2_T3_mT4_P12ihipStream_tbEUlT_E_NS1_11comp_targetILNS1_3genE4ELNS1_11target_archE910ELNS1_3gpuE8ELNS1_3repE0EEENS1_30default_config_static_selectorELNS0_4arch9wavefront6targetE1EEEvT1_,comdat
.Lfunc_end356:
	.size	_ZN7rocprim17ROCPRIM_400000_NS6detail17trampoline_kernelINS0_14default_configENS1_25transform_config_selectorImLb0EEEZNS1_14transform_implILb0ES3_S5_NS0_17constant_iteratorImlEEPmNS0_8identityImEEEE10hipError_tT2_T3_mT4_P12ihipStream_tbEUlT_E_NS1_11comp_targetILNS1_3genE4ELNS1_11target_archE910ELNS1_3gpuE8ELNS1_3repE0EEENS1_30default_config_static_selectorELNS0_4arch9wavefront6targetE1EEEvT1_, .Lfunc_end356-_ZN7rocprim17ROCPRIM_400000_NS6detail17trampoline_kernelINS0_14default_configENS1_25transform_config_selectorImLb0EEEZNS1_14transform_implILb0ES3_S5_NS0_17constant_iteratorImlEEPmNS0_8identityImEEEE10hipError_tT2_T3_mT4_P12ihipStream_tbEUlT_E_NS1_11comp_targetILNS1_3genE4ELNS1_11target_archE910ELNS1_3gpuE8ELNS1_3repE0EEENS1_30default_config_static_selectorELNS0_4arch9wavefront6targetE1EEEvT1_
                                        ; -- End function
	.set _ZN7rocprim17ROCPRIM_400000_NS6detail17trampoline_kernelINS0_14default_configENS1_25transform_config_selectorImLb0EEEZNS1_14transform_implILb0ES3_S5_NS0_17constant_iteratorImlEEPmNS0_8identityImEEEE10hipError_tT2_T3_mT4_P12ihipStream_tbEUlT_E_NS1_11comp_targetILNS1_3genE4ELNS1_11target_archE910ELNS1_3gpuE8ELNS1_3repE0EEENS1_30default_config_static_selectorELNS0_4arch9wavefront6targetE1EEEvT1_.num_vgpr, 0
	.set _ZN7rocprim17ROCPRIM_400000_NS6detail17trampoline_kernelINS0_14default_configENS1_25transform_config_selectorImLb0EEEZNS1_14transform_implILb0ES3_S5_NS0_17constant_iteratorImlEEPmNS0_8identityImEEEE10hipError_tT2_T3_mT4_P12ihipStream_tbEUlT_E_NS1_11comp_targetILNS1_3genE4ELNS1_11target_archE910ELNS1_3gpuE8ELNS1_3repE0EEENS1_30default_config_static_selectorELNS0_4arch9wavefront6targetE1EEEvT1_.num_agpr, 0
	.set _ZN7rocprim17ROCPRIM_400000_NS6detail17trampoline_kernelINS0_14default_configENS1_25transform_config_selectorImLb0EEEZNS1_14transform_implILb0ES3_S5_NS0_17constant_iteratorImlEEPmNS0_8identityImEEEE10hipError_tT2_T3_mT4_P12ihipStream_tbEUlT_E_NS1_11comp_targetILNS1_3genE4ELNS1_11target_archE910ELNS1_3gpuE8ELNS1_3repE0EEENS1_30default_config_static_selectorELNS0_4arch9wavefront6targetE1EEEvT1_.numbered_sgpr, 0
	.set _ZN7rocprim17ROCPRIM_400000_NS6detail17trampoline_kernelINS0_14default_configENS1_25transform_config_selectorImLb0EEEZNS1_14transform_implILb0ES3_S5_NS0_17constant_iteratorImlEEPmNS0_8identityImEEEE10hipError_tT2_T3_mT4_P12ihipStream_tbEUlT_E_NS1_11comp_targetILNS1_3genE4ELNS1_11target_archE910ELNS1_3gpuE8ELNS1_3repE0EEENS1_30default_config_static_selectorELNS0_4arch9wavefront6targetE1EEEvT1_.num_named_barrier, 0
	.set _ZN7rocprim17ROCPRIM_400000_NS6detail17trampoline_kernelINS0_14default_configENS1_25transform_config_selectorImLb0EEEZNS1_14transform_implILb0ES3_S5_NS0_17constant_iteratorImlEEPmNS0_8identityImEEEE10hipError_tT2_T3_mT4_P12ihipStream_tbEUlT_E_NS1_11comp_targetILNS1_3genE4ELNS1_11target_archE910ELNS1_3gpuE8ELNS1_3repE0EEENS1_30default_config_static_selectorELNS0_4arch9wavefront6targetE1EEEvT1_.private_seg_size, 0
	.set _ZN7rocprim17ROCPRIM_400000_NS6detail17trampoline_kernelINS0_14default_configENS1_25transform_config_selectorImLb0EEEZNS1_14transform_implILb0ES3_S5_NS0_17constant_iteratorImlEEPmNS0_8identityImEEEE10hipError_tT2_T3_mT4_P12ihipStream_tbEUlT_E_NS1_11comp_targetILNS1_3genE4ELNS1_11target_archE910ELNS1_3gpuE8ELNS1_3repE0EEENS1_30default_config_static_selectorELNS0_4arch9wavefront6targetE1EEEvT1_.uses_vcc, 0
	.set _ZN7rocprim17ROCPRIM_400000_NS6detail17trampoline_kernelINS0_14default_configENS1_25transform_config_selectorImLb0EEEZNS1_14transform_implILb0ES3_S5_NS0_17constant_iteratorImlEEPmNS0_8identityImEEEE10hipError_tT2_T3_mT4_P12ihipStream_tbEUlT_E_NS1_11comp_targetILNS1_3genE4ELNS1_11target_archE910ELNS1_3gpuE8ELNS1_3repE0EEENS1_30default_config_static_selectorELNS0_4arch9wavefront6targetE1EEEvT1_.uses_flat_scratch, 0
	.set _ZN7rocprim17ROCPRIM_400000_NS6detail17trampoline_kernelINS0_14default_configENS1_25transform_config_selectorImLb0EEEZNS1_14transform_implILb0ES3_S5_NS0_17constant_iteratorImlEEPmNS0_8identityImEEEE10hipError_tT2_T3_mT4_P12ihipStream_tbEUlT_E_NS1_11comp_targetILNS1_3genE4ELNS1_11target_archE910ELNS1_3gpuE8ELNS1_3repE0EEENS1_30default_config_static_selectorELNS0_4arch9wavefront6targetE1EEEvT1_.has_dyn_sized_stack, 0
	.set _ZN7rocprim17ROCPRIM_400000_NS6detail17trampoline_kernelINS0_14default_configENS1_25transform_config_selectorImLb0EEEZNS1_14transform_implILb0ES3_S5_NS0_17constant_iteratorImlEEPmNS0_8identityImEEEE10hipError_tT2_T3_mT4_P12ihipStream_tbEUlT_E_NS1_11comp_targetILNS1_3genE4ELNS1_11target_archE910ELNS1_3gpuE8ELNS1_3repE0EEENS1_30default_config_static_selectorELNS0_4arch9wavefront6targetE1EEEvT1_.has_recursion, 0
	.set _ZN7rocprim17ROCPRIM_400000_NS6detail17trampoline_kernelINS0_14default_configENS1_25transform_config_selectorImLb0EEEZNS1_14transform_implILb0ES3_S5_NS0_17constant_iteratorImlEEPmNS0_8identityImEEEE10hipError_tT2_T3_mT4_P12ihipStream_tbEUlT_E_NS1_11comp_targetILNS1_3genE4ELNS1_11target_archE910ELNS1_3gpuE8ELNS1_3repE0EEENS1_30default_config_static_selectorELNS0_4arch9wavefront6targetE1EEEvT1_.has_indirect_call, 0
	.section	.AMDGPU.csdata,"",@progbits
; Kernel info:
; codeLenInByte = 0
; TotalNumSgprs: 4
; NumVgprs: 0
; ScratchSize: 0
; MemoryBound: 0
; FloatMode: 240
; IeeeMode: 1
; LDSByteSize: 0 bytes/workgroup (compile time only)
; SGPRBlocks: 0
; VGPRBlocks: 0
; NumSGPRsForWavesPerEU: 4
; NumVGPRsForWavesPerEU: 1
; Occupancy: 10
; WaveLimiterHint : 0
; COMPUTE_PGM_RSRC2:SCRATCH_EN: 0
; COMPUTE_PGM_RSRC2:USER_SGPR: 6
; COMPUTE_PGM_RSRC2:TRAP_HANDLER: 0
; COMPUTE_PGM_RSRC2:TGID_X_EN: 1
; COMPUTE_PGM_RSRC2:TGID_Y_EN: 0
; COMPUTE_PGM_RSRC2:TGID_Z_EN: 0
; COMPUTE_PGM_RSRC2:TIDIG_COMP_CNT: 0
	.section	.text._ZN7rocprim17ROCPRIM_400000_NS6detail17trampoline_kernelINS0_14default_configENS1_25transform_config_selectorImLb0EEEZNS1_14transform_implILb0ES3_S5_NS0_17constant_iteratorImlEEPmNS0_8identityImEEEE10hipError_tT2_T3_mT4_P12ihipStream_tbEUlT_E_NS1_11comp_targetILNS1_3genE3ELNS1_11target_archE908ELNS1_3gpuE7ELNS1_3repE0EEENS1_30default_config_static_selectorELNS0_4arch9wavefront6targetE1EEEvT1_,"axG",@progbits,_ZN7rocprim17ROCPRIM_400000_NS6detail17trampoline_kernelINS0_14default_configENS1_25transform_config_selectorImLb0EEEZNS1_14transform_implILb0ES3_S5_NS0_17constant_iteratorImlEEPmNS0_8identityImEEEE10hipError_tT2_T3_mT4_P12ihipStream_tbEUlT_E_NS1_11comp_targetILNS1_3genE3ELNS1_11target_archE908ELNS1_3gpuE7ELNS1_3repE0EEENS1_30default_config_static_selectorELNS0_4arch9wavefront6targetE1EEEvT1_,comdat
	.protected	_ZN7rocprim17ROCPRIM_400000_NS6detail17trampoline_kernelINS0_14default_configENS1_25transform_config_selectorImLb0EEEZNS1_14transform_implILb0ES3_S5_NS0_17constant_iteratorImlEEPmNS0_8identityImEEEE10hipError_tT2_T3_mT4_P12ihipStream_tbEUlT_E_NS1_11comp_targetILNS1_3genE3ELNS1_11target_archE908ELNS1_3gpuE7ELNS1_3repE0EEENS1_30default_config_static_selectorELNS0_4arch9wavefront6targetE1EEEvT1_ ; -- Begin function _ZN7rocprim17ROCPRIM_400000_NS6detail17trampoline_kernelINS0_14default_configENS1_25transform_config_selectorImLb0EEEZNS1_14transform_implILb0ES3_S5_NS0_17constant_iteratorImlEEPmNS0_8identityImEEEE10hipError_tT2_T3_mT4_P12ihipStream_tbEUlT_E_NS1_11comp_targetILNS1_3genE3ELNS1_11target_archE908ELNS1_3gpuE7ELNS1_3repE0EEENS1_30default_config_static_selectorELNS0_4arch9wavefront6targetE1EEEvT1_
	.globl	_ZN7rocprim17ROCPRIM_400000_NS6detail17trampoline_kernelINS0_14default_configENS1_25transform_config_selectorImLb0EEEZNS1_14transform_implILb0ES3_S5_NS0_17constant_iteratorImlEEPmNS0_8identityImEEEE10hipError_tT2_T3_mT4_P12ihipStream_tbEUlT_E_NS1_11comp_targetILNS1_3genE3ELNS1_11target_archE908ELNS1_3gpuE7ELNS1_3repE0EEENS1_30default_config_static_selectorELNS0_4arch9wavefront6targetE1EEEvT1_
	.p2align	8
	.type	_ZN7rocprim17ROCPRIM_400000_NS6detail17trampoline_kernelINS0_14default_configENS1_25transform_config_selectorImLb0EEEZNS1_14transform_implILb0ES3_S5_NS0_17constant_iteratorImlEEPmNS0_8identityImEEEE10hipError_tT2_T3_mT4_P12ihipStream_tbEUlT_E_NS1_11comp_targetILNS1_3genE3ELNS1_11target_archE908ELNS1_3gpuE7ELNS1_3repE0EEENS1_30default_config_static_selectorELNS0_4arch9wavefront6targetE1EEEvT1_,@function
_ZN7rocprim17ROCPRIM_400000_NS6detail17trampoline_kernelINS0_14default_configENS1_25transform_config_selectorImLb0EEEZNS1_14transform_implILb0ES3_S5_NS0_17constant_iteratorImlEEPmNS0_8identityImEEEE10hipError_tT2_T3_mT4_P12ihipStream_tbEUlT_E_NS1_11comp_targetILNS1_3genE3ELNS1_11target_archE908ELNS1_3gpuE7ELNS1_3repE0EEENS1_30default_config_static_selectorELNS0_4arch9wavefront6targetE1EEEvT1_: ; @_ZN7rocprim17ROCPRIM_400000_NS6detail17trampoline_kernelINS0_14default_configENS1_25transform_config_selectorImLb0EEEZNS1_14transform_implILb0ES3_S5_NS0_17constant_iteratorImlEEPmNS0_8identityImEEEE10hipError_tT2_T3_mT4_P12ihipStream_tbEUlT_E_NS1_11comp_targetILNS1_3genE3ELNS1_11target_archE908ELNS1_3gpuE7ELNS1_3repE0EEENS1_30default_config_static_selectorELNS0_4arch9wavefront6targetE1EEEvT1_
; %bb.0:
	.section	.rodata,"a",@progbits
	.p2align	6, 0x0
	.amdhsa_kernel _ZN7rocprim17ROCPRIM_400000_NS6detail17trampoline_kernelINS0_14default_configENS1_25transform_config_selectorImLb0EEEZNS1_14transform_implILb0ES3_S5_NS0_17constant_iteratorImlEEPmNS0_8identityImEEEE10hipError_tT2_T3_mT4_P12ihipStream_tbEUlT_E_NS1_11comp_targetILNS1_3genE3ELNS1_11target_archE908ELNS1_3gpuE7ELNS1_3repE0EEENS1_30default_config_static_selectorELNS0_4arch9wavefront6targetE1EEEvT1_
		.amdhsa_group_segment_fixed_size 0
		.amdhsa_private_segment_fixed_size 0
		.amdhsa_kernarg_size 48
		.amdhsa_user_sgpr_count 6
		.amdhsa_user_sgpr_private_segment_buffer 1
		.amdhsa_user_sgpr_dispatch_ptr 0
		.amdhsa_user_sgpr_queue_ptr 0
		.amdhsa_user_sgpr_kernarg_segment_ptr 1
		.amdhsa_user_sgpr_dispatch_id 0
		.amdhsa_user_sgpr_flat_scratch_init 0
		.amdhsa_user_sgpr_private_segment_size 0
		.amdhsa_uses_dynamic_stack 0
		.amdhsa_system_sgpr_private_segment_wavefront_offset 0
		.amdhsa_system_sgpr_workgroup_id_x 1
		.amdhsa_system_sgpr_workgroup_id_y 0
		.amdhsa_system_sgpr_workgroup_id_z 0
		.amdhsa_system_sgpr_workgroup_info 0
		.amdhsa_system_vgpr_workitem_id 0
		.amdhsa_next_free_vgpr 1
		.amdhsa_next_free_sgpr 0
		.amdhsa_reserve_vcc 0
		.amdhsa_reserve_flat_scratch 0
		.amdhsa_float_round_mode_32 0
		.amdhsa_float_round_mode_16_64 0
		.amdhsa_float_denorm_mode_32 3
		.amdhsa_float_denorm_mode_16_64 3
		.amdhsa_dx10_clamp 1
		.amdhsa_ieee_mode 1
		.amdhsa_fp16_overflow 0
		.amdhsa_exception_fp_ieee_invalid_op 0
		.amdhsa_exception_fp_denorm_src 0
		.amdhsa_exception_fp_ieee_div_zero 0
		.amdhsa_exception_fp_ieee_overflow 0
		.amdhsa_exception_fp_ieee_underflow 0
		.amdhsa_exception_fp_ieee_inexact 0
		.amdhsa_exception_int_div_zero 0
	.end_amdhsa_kernel
	.section	.text._ZN7rocprim17ROCPRIM_400000_NS6detail17trampoline_kernelINS0_14default_configENS1_25transform_config_selectorImLb0EEEZNS1_14transform_implILb0ES3_S5_NS0_17constant_iteratorImlEEPmNS0_8identityImEEEE10hipError_tT2_T3_mT4_P12ihipStream_tbEUlT_E_NS1_11comp_targetILNS1_3genE3ELNS1_11target_archE908ELNS1_3gpuE7ELNS1_3repE0EEENS1_30default_config_static_selectorELNS0_4arch9wavefront6targetE1EEEvT1_,"axG",@progbits,_ZN7rocprim17ROCPRIM_400000_NS6detail17trampoline_kernelINS0_14default_configENS1_25transform_config_selectorImLb0EEEZNS1_14transform_implILb0ES3_S5_NS0_17constant_iteratorImlEEPmNS0_8identityImEEEE10hipError_tT2_T3_mT4_P12ihipStream_tbEUlT_E_NS1_11comp_targetILNS1_3genE3ELNS1_11target_archE908ELNS1_3gpuE7ELNS1_3repE0EEENS1_30default_config_static_selectorELNS0_4arch9wavefront6targetE1EEEvT1_,comdat
.Lfunc_end357:
	.size	_ZN7rocprim17ROCPRIM_400000_NS6detail17trampoline_kernelINS0_14default_configENS1_25transform_config_selectorImLb0EEEZNS1_14transform_implILb0ES3_S5_NS0_17constant_iteratorImlEEPmNS0_8identityImEEEE10hipError_tT2_T3_mT4_P12ihipStream_tbEUlT_E_NS1_11comp_targetILNS1_3genE3ELNS1_11target_archE908ELNS1_3gpuE7ELNS1_3repE0EEENS1_30default_config_static_selectorELNS0_4arch9wavefront6targetE1EEEvT1_, .Lfunc_end357-_ZN7rocprim17ROCPRIM_400000_NS6detail17trampoline_kernelINS0_14default_configENS1_25transform_config_selectorImLb0EEEZNS1_14transform_implILb0ES3_S5_NS0_17constant_iteratorImlEEPmNS0_8identityImEEEE10hipError_tT2_T3_mT4_P12ihipStream_tbEUlT_E_NS1_11comp_targetILNS1_3genE3ELNS1_11target_archE908ELNS1_3gpuE7ELNS1_3repE0EEENS1_30default_config_static_selectorELNS0_4arch9wavefront6targetE1EEEvT1_
                                        ; -- End function
	.set _ZN7rocprim17ROCPRIM_400000_NS6detail17trampoline_kernelINS0_14default_configENS1_25transform_config_selectorImLb0EEEZNS1_14transform_implILb0ES3_S5_NS0_17constant_iteratorImlEEPmNS0_8identityImEEEE10hipError_tT2_T3_mT4_P12ihipStream_tbEUlT_E_NS1_11comp_targetILNS1_3genE3ELNS1_11target_archE908ELNS1_3gpuE7ELNS1_3repE0EEENS1_30default_config_static_selectorELNS0_4arch9wavefront6targetE1EEEvT1_.num_vgpr, 0
	.set _ZN7rocprim17ROCPRIM_400000_NS6detail17trampoline_kernelINS0_14default_configENS1_25transform_config_selectorImLb0EEEZNS1_14transform_implILb0ES3_S5_NS0_17constant_iteratorImlEEPmNS0_8identityImEEEE10hipError_tT2_T3_mT4_P12ihipStream_tbEUlT_E_NS1_11comp_targetILNS1_3genE3ELNS1_11target_archE908ELNS1_3gpuE7ELNS1_3repE0EEENS1_30default_config_static_selectorELNS0_4arch9wavefront6targetE1EEEvT1_.num_agpr, 0
	.set _ZN7rocprim17ROCPRIM_400000_NS6detail17trampoline_kernelINS0_14default_configENS1_25transform_config_selectorImLb0EEEZNS1_14transform_implILb0ES3_S5_NS0_17constant_iteratorImlEEPmNS0_8identityImEEEE10hipError_tT2_T3_mT4_P12ihipStream_tbEUlT_E_NS1_11comp_targetILNS1_3genE3ELNS1_11target_archE908ELNS1_3gpuE7ELNS1_3repE0EEENS1_30default_config_static_selectorELNS0_4arch9wavefront6targetE1EEEvT1_.numbered_sgpr, 0
	.set _ZN7rocprim17ROCPRIM_400000_NS6detail17trampoline_kernelINS0_14default_configENS1_25transform_config_selectorImLb0EEEZNS1_14transform_implILb0ES3_S5_NS0_17constant_iteratorImlEEPmNS0_8identityImEEEE10hipError_tT2_T3_mT4_P12ihipStream_tbEUlT_E_NS1_11comp_targetILNS1_3genE3ELNS1_11target_archE908ELNS1_3gpuE7ELNS1_3repE0EEENS1_30default_config_static_selectorELNS0_4arch9wavefront6targetE1EEEvT1_.num_named_barrier, 0
	.set _ZN7rocprim17ROCPRIM_400000_NS6detail17trampoline_kernelINS0_14default_configENS1_25transform_config_selectorImLb0EEEZNS1_14transform_implILb0ES3_S5_NS0_17constant_iteratorImlEEPmNS0_8identityImEEEE10hipError_tT2_T3_mT4_P12ihipStream_tbEUlT_E_NS1_11comp_targetILNS1_3genE3ELNS1_11target_archE908ELNS1_3gpuE7ELNS1_3repE0EEENS1_30default_config_static_selectorELNS0_4arch9wavefront6targetE1EEEvT1_.private_seg_size, 0
	.set _ZN7rocprim17ROCPRIM_400000_NS6detail17trampoline_kernelINS0_14default_configENS1_25transform_config_selectorImLb0EEEZNS1_14transform_implILb0ES3_S5_NS0_17constant_iteratorImlEEPmNS0_8identityImEEEE10hipError_tT2_T3_mT4_P12ihipStream_tbEUlT_E_NS1_11comp_targetILNS1_3genE3ELNS1_11target_archE908ELNS1_3gpuE7ELNS1_3repE0EEENS1_30default_config_static_selectorELNS0_4arch9wavefront6targetE1EEEvT1_.uses_vcc, 0
	.set _ZN7rocprim17ROCPRIM_400000_NS6detail17trampoline_kernelINS0_14default_configENS1_25transform_config_selectorImLb0EEEZNS1_14transform_implILb0ES3_S5_NS0_17constant_iteratorImlEEPmNS0_8identityImEEEE10hipError_tT2_T3_mT4_P12ihipStream_tbEUlT_E_NS1_11comp_targetILNS1_3genE3ELNS1_11target_archE908ELNS1_3gpuE7ELNS1_3repE0EEENS1_30default_config_static_selectorELNS0_4arch9wavefront6targetE1EEEvT1_.uses_flat_scratch, 0
	.set _ZN7rocprim17ROCPRIM_400000_NS6detail17trampoline_kernelINS0_14default_configENS1_25transform_config_selectorImLb0EEEZNS1_14transform_implILb0ES3_S5_NS0_17constant_iteratorImlEEPmNS0_8identityImEEEE10hipError_tT2_T3_mT4_P12ihipStream_tbEUlT_E_NS1_11comp_targetILNS1_3genE3ELNS1_11target_archE908ELNS1_3gpuE7ELNS1_3repE0EEENS1_30default_config_static_selectorELNS0_4arch9wavefront6targetE1EEEvT1_.has_dyn_sized_stack, 0
	.set _ZN7rocprim17ROCPRIM_400000_NS6detail17trampoline_kernelINS0_14default_configENS1_25transform_config_selectorImLb0EEEZNS1_14transform_implILb0ES3_S5_NS0_17constant_iteratorImlEEPmNS0_8identityImEEEE10hipError_tT2_T3_mT4_P12ihipStream_tbEUlT_E_NS1_11comp_targetILNS1_3genE3ELNS1_11target_archE908ELNS1_3gpuE7ELNS1_3repE0EEENS1_30default_config_static_selectorELNS0_4arch9wavefront6targetE1EEEvT1_.has_recursion, 0
	.set _ZN7rocprim17ROCPRIM_400000_NS6detail17trampoline_kernelINS0_14default_configENS1_25transform_config_selectorImLb0EEEZNS1_14transform_implILb0ES3_S5_NS0_17constant_iteratorImlEEPmNS0_8identityImEEEE10hipError_tT2_T3_mT4_P12ihipStream_tbEUlT_E_NS1_11comp_targetILNS1_3genE3ELNS1_11target_archE908ELNS1_3gpuE7ELNS1_3repE0EEENS1_30default_config_static_selectorELNS0_4arch9wavefront6targetE1EEEvT1_.has_indirect_call, 0
	.section	.AMDGPU.csdata,"",@progbits
; Kernel info:
; codeLenInByte = 0
; TotalNumSgprs: 4
; NumVgprs: 0
; ScratchSize: 0
; MemoryBound: 0
; FloatMode: 240
; IeeeMode: 1
; LDSByteSize: 0 bytes/workgroup (compile time only)
; SGPRBlocks: 0
; VGPRBlocks: 0
; NumSGPRsForWavesPerEU: 4
; NumVGPRsForWavesPerEU: 1
; Occupancy: 10
; WaveLimiterHint : 0
; COMPUTE_PGM_RSRC2:SCRATCH_EN: 0
; COMPUTE_PGM_RSRC2:USER_SGPR: 6
; COMPUTE_PGM_RSRC2:TRAP_HANDLER: 0
; COMPUTE_PGM_RSRC2:TGID_X_EN: 1
; COMPUTE_PGM_RSRC2:TGID_Y_EN: 0
; COMPUTE_PGM_RSRC2:TGID_Z_EN: 0
; COMPUTE_PGM_RSRC2:TIDIG_COMP_CNT: 0
	.section	.text._ZN7rocprim17ROCPRIM_400000_NS6detail17trampoline_kernelINS0_14default_configENS1_25transform_config_selectorImLb0EEEZNS1_14transform_implILb0ES3_S5_NS0_17constant_iteratorImlEEPmNS0_8identityImEEEE10hipError_tT2_T3_mT4_P12ihipStream_tbEUlT_E_NS1_11comp_targetILNS1_3genE2ELNS1_11target_archE906ELNS1_3gpuE6ELNS1_3repE0EEENS1_30default_config_static_selectorELNS0_4arch9wavefront6targetE1EEEvT1_,"axG",@progbits,_ZN7rocprim17ROCPRIM_400000_NS6detail17trampoline_kernelINS0_14default_configENS1_25transform_config_selectorImLb0EEEZNS1_14transform_implILb0ES3_S5_NS0_17constant_iteratorImlEEPmNS0_8identityImEEEE10hipError_tT2_T3_mT4_P12ihipStream_tbEUlT_E_NS1_11comp_targetILNS1_3genE2ELNS1_11target_archE906ELNS1_3gpuE6ELNS1_3repE0EEENS1_30default_config_static_selectorELNS0_4arch9wavefront6targetE1EEEvT1_,comdat
	.protected	_ZN7rocprim17ROCPRIM_400000_NS6detail17trampoline_kernelINS0_14default_configENS1_25transform_config_selectorImLb0EEEZNS1_14transform_implILb0ES3_S5_NS0_17constant_iteratorImlEEPmNS0_8identityImEEEE10hipError_tT2_T3_mT4_P12ihipStream_tbEUlT_E_NS1_11comp_targetILNS1_3genE2ELNS1_11target_archE906ELNS1_3gpuE6ELNS1_3repE0EEENS1_30default_config_static_selectorELNS0_4arch9wavefront6targetE1EEEvT1_ ; -- Begin function _ZN7rocprim17ROCPRIM_400000_NS6detail17trampoline_kernelINS0_14default_configENS1_25transform_config_selectorImLb0EEEZNS1_14transform_implILb0ES3_S5_NS0_17constant_iteratorImlEEPmNS0_8identityImEEEE10hipError_tT2_T3_mT4_P12ihipStream_tbEUlT_E_NS1_11comp_targetILNS1_3genE2ELNS1_11target_archE906ELNS1_3gpuE6ELNS1_3repE0EEENS1_30default_config_static_selectorELNS0_4arch9wavefront6targetE1EEEvT1_
	.globl	_ZN7rocprim17ROCPRIM_400000_NS6detail17trampoline_kernelINS0_14default_configENS1_25transform_config_selectorImLb0EEEZNS1_14transform_implILb0ES3_S5_NS0_17constant_iteratorImlEEPmNS0_8identityImEEEE10hipError_tT2_T3_mT4_P12ihipStream_tbEUlT_E_NS1_11comp_targetILNS1_3genE2ELNS1_11target_archE906ELNS1_3gpuE6ELNS1_3repE0EEENS1_30default_config_static_selectorELNS0_4arch9wavefront6targetE1EEEvT1_
	.p2align	8
	.type	_ZN7rocprim17ROCPRIM_400000_NS6detail17trampoline_kernelINS0_14default_configENS1_25transform_config_selectorImLb0EEEZNS1_14transform_implILb0ES3_S5_NS0_17constant_iteratorImlEEPmNS0_8identityImEEEE10hipError_tT2_T3_mT4_P12ihipStream_tbEUlT_E_NS1_11comp_targetILNS1_3genE2ELNS1_11target_archE906ELNS1_3gpuE6ELNS1_3repE0EEENS1_30default_config_static_selectorELNS0_4arch9wavefront6targetE1EEEvT1_,@function
_ZN7rocprim17ROCPRIM_400000_NS6detail17trampoline_kernelINS0_14default_configENS1_25transform_config_selectorImLb0EEEZNS1_14transform_implILb0ES3_S5_NS0_17constant_iteratorImlEEPmNS0_8identityImEEEE10hipError_tT2_T3_mT4_P12ihipStream_tbEUlT_E_NS1_11comp_targetILNS1_3genE2ELNS1_11target_archE906ELNS1_3gpuE6ELNS1_3repE0EEENS1_30default_config_static_selectorELNS0_4arch9wavefront6targetE1EEEvT1_: ; @_ZN7rocprim17ROCPRIM_400000_NS6detail17trampoline_kernelINS0_14default_configENS1_25transform_config_selectorImLb0EEEZNS1_14transform_implILb0ES3_S5_NS0_17constant_iteratorImlEEPmNS0_8identityImEEEE10hipError_tT2_T3_mT4_P12ihipStream_tbEUlT_E_NS1_11comp_targetILNS1_3genE2ELNS1_11target_archE906ELNS1_3gpuE6ELNS1_3repE0EEENS1_30default_config_static_selectorELNS0_4arch9wavefront6targetE1EEEvT1_
; %bb.0:
	s_load_dword s1, s[4:5], 0x30
	s_load_dword s7, s[4:5], 0x18
	s_lshl_b32 s0, s6, 9
	s_waitcnt lgkmcnt(0)
	s_add_i32 s1, s1, -1
	s_cmp_lg_u32 s6, s1
	s_cselect_b64 s[2:3], -1, 0
	s_sub_i32 s1, s7, s0
	v_cmp_gt_u32_e32 vcc, s1, v0
	s_or_b64 s[2:3], vcc, s[2:3]
	s_and_saveexec_b64 s[6:7], s[2:3]
	s_cbranch_execz .LBB358_2
; %bb.1:
	s_load_dwordx2 s[2:3], s[4:5], 0x10
	s_load_dwordx2 s[6:7], s[4:5], 0x20
	;; [unrolled: 1-line block ×3, first 2 shown]
	s_mov_b32 s1, 0
	v_lshlrev_b32_e32 v2, 3, v0
	s_waitcnt lgkmcnt(0)
	s_lshl_b64 s[2:3], s[2:3], 3
	s_add_u32 s2, s6, s2
	s_addc_u32 s3, s7, s3
	s_lshl_b64 s[0:1], s[0:1], 3
	s_add_u32 s0, s2, s0
	v_mov_b32_e32 v0, s8
	s_addc_u32 s1, s3, s1
	v_mov_b32_e32 v1, s9
	global_store_dwordx2 v2, v[0:1], s[0:1]
.LBB358_2:
	s_endpgm
	.section	.rodata,"a",@progbits
	.p2align	6, 0x0
	.amdhsa_kernel _ZN7rocprim17ROCPRIM_400000_NS6detail17trampoline_kernelINS0_14default_configENS1_25transform_config_selectorImLb0EEEZNS1_14transform_implILb0ES3_S5_NS0_17constant_iteratorImlEEPmNS0_8identityImEEEE10hipError_tT2_T3_mT4_P12ihipStream_tbEUlT_E_NS1_11comp_targetILNS1_3genE2ELNS1_11target_archE906ELNS1_3gpuE6ELNS1_3repE0EEENS1_30default_config_static_selectorELNS0_4arch9wavefront6targetE1EEEvT1_
		.amdhsa_group_segment_fixed_size 0
		.amdhsa_private_segment_fixed_size 0
		.amdhsa_kernarg_size 304
		.amdhsa_user_sgpr_count 6
		.amdhsa_user_sgpr_private_segment_buffer 1
		.amdhsa_user_sgpr_dispatch_ptr 0
		.amdhsa_user_sgpr_queue_ptr 0
		.amdhsa_user_sgpr_kernarg_segment_ptr 1
		.amdhsa_user_sgpr_dispatch_id 0
		.amdhsa_user_sgpr_flat_scratch_init 0
		.amdhsa_user_sgpr_private_segment_size 0
		.amdhsa_uses_dynamic_stack 0
		.amdhsa_system_sgpr_private_segment_wavefront_offset 0
		.amdhsa_system_sgpr_workgroup_id_x 1
		.amdhsa_system_sgpr_workgroup_id_y 0
		.amdhsa_system_sgpr_workgroup_id_z 0
		.amdhsa_system_sgpr_workgroup_info 0
		.amdhsa_system_vgpr_workitem_id 0
		.amdhsa_next_free_vgpr 3
		.amdhsa_next_free_sgpr 10
		.amdhsa_reserve_vcc 1
		.amdhsa_reserve_flat_scratch 0
		.amdhsa_float_round_mode_32 0
		.amdhsa_float_round_mode_16_64 0
		.amdhsa_float_denorm_mode_32 3
		.amdhsa_float_denorm_mode_16_64 3
		.amdhsa_dx10_clamp 1
		.amdhsa_ieee_mode 1
		.amdhsa_fp16_overflow 0
		.amdhsa_exception_fp_ieee_invalid_op 0
		.amdhsa_exception_fp_denorm_src 0
		.amdhsa_exception_fp_ieee_div_zero 0
		.amdhsa_exception_fp_ieee_overflow 0
		.amdhsa_exception_fp_ieee_underflow 0
		.amdhsa_exception_fp_ieee_inexact 0
		.amdhsa_exception_int_div_zero 0
	.end_amdhsa_kernel
	.section	.text._ZN7rocprim17ROCPRIM_400000_NS6detail17trampoline_kernelINS0_14default_configENS1_25transform_config_selectorImLb0EEEZNS1_14transform_implILb0ES3_S5_NS0_17constant_iteratorImlEEPmNS0_8identityImEEEE10hipError_tT2_T3_mT4_P12ihipStream_tbEUlT_E_NS1_11comp_targetILNS1_3genE2ELNS1_11target_archE906ELNS1_3gpuE6ELNS1_3repE0EEENS1_30default_config_static_selectorELNS0_4arch9wavefront6targetE1EEEvT1_,"axG",@progbits,_ZN7rocprim17ROCPRIM_400000_NS6detail17trampoline_kernelINS0_14default_configENS1_25transform_config_selectorImLb0EEEZNS1_14transform_implILb0ES3_S5_NS0_17constant_iteratorImlEEPmNS0_8identityImEEEE10hipError_tT2_T3_mT4_P12ihipStream_tbEUlT_E_NS1_11comp_targetILNS1_3genE2ELNS1_11target_archE906ELNS1_3gpuE6ELNS1_3repE0EEENS1_30default_config_static_selectorELNS0_4arch9wavefront6targetE1EEEvT1_,comdat
.Lfunc_end358:
	.size	_ZN7rocprim17ROCPRIM_400000_NS6detail17trampoline_kernelINS0_14default_configENS1_25transform_config_selectorImLb0EEEZNS1_14transform_implILb0ES3_S5_NS0_17constant_iteratorImlEEPmNS0_8identityImEEEE10hipError_tT2_T3_mT4_P12ihipStream_tbEUlT_E_NS1_11comp_targetILNS1_3genE2ELNS1_11target_archE906ELNS1_3gpuE6ELNS1_3repE0EEENS1_30default_config_static_selectorELNS0_4arch9wavefront6targetE1EEEvT1_, .Lfunc_end358-_ZN7rocprim17ROCPRIM_400000_NS6detail17trampoline_kernelINS0_14default_configENS1_25transform_config_selectorImLb0EEEZNS1_14transform_implILb0ES3_S5_NS0_17constant_iteratorImlEEPmNS0_8identityImEEEE10hipError_tT2_T3_mT4_P12ihipStream_tbEUlT_E_NS1_11comp_targetILNS1_3genE2ELNS1_11target_archE906ELNS1_3gpuE6ELNS1_3repE0EEENS1_30default_config_static_selectorELNS0_4arch9wavefront6targetE1EEEvT1_
                                        ; -- End function
	.set _ZN7rocprim17ROCPRIM_400000_NS6detail17trampoline_kernelINS0_14default_configENS1_25transform_config_selectorImLb0EEEZNS1_14transform_implILb0ES3_S5_NS0_17constant_iteratorImlEEPmNS0_8identityImEEEE10hipError_tT2_T3_mT4_P12ihipStream_tbEUlT_E_NS1_11comp_targetILNS1_3genE2ELNS1_11target_archE906ELNS1_3gpuE6ELNS1_3repE0EEENS1_30default_config_static_selectorELNS0_4arch9wavefront6targetE1EEEvT1_.num_vgpr, 3
	.set _ZN7rocprim17ROCPRIM_400000_NS6detail17trampoline_kernelINS0_14default_configENS1_25transform_config_selectorImLb0EEEZNS1_14transform_implILb0ES3_S5_NS0_17constant_iteratorImlEEPmNS0_8identityImEEEE10hipError_tT2_T3_mT4_P12ihipStream_tbEUlT_E_NS1_11comp_targetILNS1_3genE2ELNS1_11target_archE906ELNS1_3gpuE6ELNS1_3repE0EEENS1_30default_config_static_selectorELNS0_4arch9wavefront6targetE1EEEvT1_.num_agpr, 0
	.set _ZN7rocprim17ROCPRIM_400000_NS6detail17trampoline_kernelINS0_14default_configENS1_25transform_config_selectorImLb0EEEZNS1_14transform_implILb0ES3_S5_NS0_17constant_iteratorImlEEPmNS0_8identityImEEEE10hipError_tT2_T3_mT4_P12ihipStream_tbEUlT_E_NS1_11comp_targetILNS1_3genE2ELNS1_11target_archE906ELNS1_3gpuE6ELNS1_3repE0EEENS1_30default_config_static_selectorELNS0_4arch9wavefront6targetE1EEEvT1_.numbered_sgpr, 10
	.set _ZN7rocprim17ROCPRIM_400000_NS6detail17trampoline_kernelINS0_14default_configENS1_25transform_config_selectorImLb0EEEZNS1_14transform_implILb0ES3_S5_NS0_17constant_iteratorImlEEPmNS0_8identityImEEEE10hipError_tT2_T3_mT4_P12ihipStream_tbEUlT_E_NS1_11comp_targetILNS1_3genE2ELNS1_11target_archE906ELNS1_3gpuE6ELNS1_3repE0EEENS1_30default_config_static_selectorELNS0_4arch9wavefront6targetE1EEEvT1_.num_named_barrier, 0
	.set _ZN7rocprim17ROCPRIM_400000_NS6detail17trampoline_kernelINS0_14default_configENS1_25transform_config_selectorImLb0EEEZNS1_14transform_implILb0ES3_S5_NS0_17constant_iteratorImlEEPmNS0_8identityImEEEE10hipError_tT2_T3_mT4_P12ihipStream_tbEUlT_E_NS1_11comp_targetILNS1_3genE2ELNS1_11target_archE906ELNS1_3gpuE6ELNS1_3repE0EEENS1_30default_config_static_selectorELNS0_4arch9wavefront6targetE1EEEvT1_.private_seg_size, 0
	.set _ZN7rocprim17ROCPRIM_400000_NS6detail17trampoline_kernelINS0_14default_configENS1_25transform_config_selectorImLb0EEEZNS1_14transform_implILb0ES3_S5_NS0_17constant_iteratorImlEEPmNS0_8identityImEEEE10hipError_tT2_T3_mT4_P12ihipStream_tbEUlT_E_NS1_11comp_targetILNS1_3genE2ELNS1_11target_archE906ELNS1_3gpuE6ELNS1_3repE0EEENS1_30default_config_static_selectorELNS0_4arch9wavefront6targetE1EEEvT1_.uses_vcc, 1
	.set _ZN7rocprim17ROCPRIM_400000_NS6detail17trampoline_kernelINS0_14default_configENS1_25transform_config_selectorImLb0EEEZNS1_14transform_implILb0ES3_S5_NS0_17constant_iteratorImlEEPmNS0_8identityImEEEE10hipError_tT2_T3_mT4_P12ihipStream_tbEUlT_E_NS1_11comp_targetILNS1_3genE2ELNS1_11target_archE906ELNS1_3gpuE6ELNS1_3repE0EEENS1_30default_config_static_selectorELNS0_4arch9wavefront6targetE1EEEvT1_.uses_flat_scratch, 0
	.set _ZN7rocprim17ROCPRIM_400000_NS6detail17trampoline_kernelINS0_14default_configENS1_25transform_config_selectorImLb0EEEZNS1_14transform_implILb0ES3_S5_NS0_17constant_iteratorImlEEPmNS0_8identityImEEEE10hipError_tT2_T3_mT4_P12ihipStream_tbEUlT_E_NS1_11comp_targetILNS1_3genE2ELNS1_11target_archE906ELNS1_3gpuE6ELNS1_3repE0EEENS1_30default_config_static_selectorELNS0_4arch9wavefront6targetE1EEEvT1_.has_dyn_sized_stack, 0
	.set _ZN7rocprim17ROCPRIM_400000_NS6detail17trampoline_kernelINS0_14default_configENS1_25transform_config_selectorImLb0EEEZNS1_14transform_implILb0ES3_S5_NS0_17constant_iteratorImlEEPmNS0_8identityImEEEE10hipError_tT2_T3_mT4_P12ihipStream_tbEUlT_E_NS1_11comp_targetILNS1_3genE2ELNS1_11target_archE906ELNS1_3gpuE6ELNS1_3repE0EEENS1_30default_config_static_selectorELNS0_4arch9wavefront6targetE1EEEvT1_.has_recursion, 0
	.set _ZN7rocprim17ROCPRIM_400000_NS6detail17trampoline_kernelINS0_14default_configENS1_25transform_config_selectorImLb0EEEZNS1_14transform_implILb0ES3_S5_NS0_17constant_iteratorImlEEPmNS0_8identityImEEEE10hipError_tT2_T3_mT4_P12ihipStream_tbEUlT_E_NS1_11comp_targetILNS1_3genE2ELNS1_11target_archE906ELNS1_3gpuE6ELNS1_3repE0EEENS1_30default_config_static_selectorELNS0_4arch9wavefront6targetE1EEEvT1_.has_indirect_call, 0
	.section	.AMDGPU.csdata,"",@progbits
; Kernel info:
; codeLenInByte = 136
; TotalNumSgprs: 14
; NumVgprs: 3
; ScratchSize: 0
; MemoryBound: 0
; FloatMode: 240
; IeeeMode: 1
; LDSByteSize: 0 bytes/workgroup (compile time only)
; SGPRBlocks: 1
; VGPRBlocks: 0
; NumSGPRsForWavesPerEU: 14
; NumVGPRsForWavesPerEU: 3
; Occupancy: 10
; WaveLimiterHint : 0
; COMPUTE_PGM_RSRC2:SCRATCH_EN: 0
; COMPUTE_PGM_RSRC2:USER_SGPR: 6
; COMPUTE_PGM_RSRC2:TRAP_HANDLER: 0
; COMPUTE_PGM_RSRC2:TGID_X_EN: 1
; COMPUTE_PGM_RSRC2:TGID_Y_EN: 0
; COMPUTE_PGM_RSRC2:TGID_Z_EN: 0
; COMPUTE_PGM_RSRC2:TIDIG_COMP_CNT: 0
	.section	.text._ZN7rocprim17ROCPRIM_400000_NS6detail17trampoline_kernelINS0_14default_configENS1_25transform_config_selectorImLb0EEEZNS1_14transform_implILb0ES3_S5_NS0_17constant_iteratorImlEEPmNS0_8identityImEEEE10hipError_tT2_T3_mT4_P12ihipStream_tbEUlT_E_NS1_11comp_targetILNS1_3genE10ELNS1_11target_archE1201ELNS1_3gpuE5ELNS1_3repE0EEENS1_30default_config_static_selectorELNS0_4arch9wavefront6targetE1EEEvT1_,"axG",@progbits,_ZN7rocprim17ROCPRIM_400000_NS6detail17trampoline_kernelINS0_14default_configENS1_25transform_config_selectorImLb0EEEZNS1_14transform_implILb0ES3_S5_NS0_17constant_iteratorImlEEPmNS0_8identityImEEEE10hipError_tT2_T3_mT4_P12ihipStream_tbEUlT_E_NS1_11comp_targetILNS1_3genE10ELNS1_11target_archE1201ELNS1_3gpuE5ELNS1_3repE0EEENS1_30default_config_static_selectorELNS0_4arch9wavefront6targetE1EEEvT1_,comdat
	.protected	_ZN7rocprim17ROCPRIM_400000_NS6detail17trampoline_kernelINS0_14default_configENS1_25transform_config_selectorImLb0EEEZNS1_14transform_implILb0ES3_S5_NS0_17constant_iteratorImlEEPmNS0_8identityImEEEE10hipError_tT2_T3_mT4_P12ihipStream_tbEUlT_E_NS1_11comp_targetILNS1_3genE10ELNS1_11target_archE1201ELNS1_3gpuE5ELNS1_3repE0EEENS1_30default_config_static_selectorELNS0_4arch9wavefront6targetE1EEEvT1_ ; -- Begin function _ZN7rocprim17ROCPRIM_400000_NS6detail17trampoline_kernelINS0_14default_configENS1_25transform_config_selectorImLb0EEEZNS1_14transform_implILb0ES3_S5_NS0_17constant_iteratorImlEEPmNS0_8identityImEEEE10hipError_tT2_T3_mT4_P12ihipStream_tbEUlT_E_NS1_11comp_targetILNS1_3genE10ELNS1_11target_archE1201ELNS1_3gpuE5ELNS1_3repE0EEENS1_30default_config_static_selectorELNS0_4arch9wavefront6targetE1EEEvT1_
	.globl	_ZN7rocprim17ROCPRIM_400000_NS6detail17trampoline_kernelINS0_14default_configENS1_25transform_config_selectorImLb0EEEZNS1_14transform_implILb0ES3_S5_NS0_17constant_iteratorImlEEPmNS0_8identityImEEEE10hipError_tT2_T3_mT4_P12ihipStream_tbEUlT_E_NS1_11comp_targetILNS1_3genE10ELNS1_11target_archE1201ELNS1_3gpuE5ELNS1_3repE0EEENS1_30default_config_static_selectorELNS0_4arch9wavefront6targetE1EEEvT1_
	.p2align	8
	.type	_ZN7rocprim17ROCPRIM_400000_NS6detail17trampoline_kernelINS0_14default_configENS1_25transform_config_selectorImLb0EEEZNS1_14transform_implILb0ES3_S5_NS0_17constant_iteratorImlEEPmNS0_8identityImEEEE10hipError_tT2_T3_mT4_P12ihipStream_tbEUlT_E_NS1_11comp_targetILNS1_3genE10ELNS1_11target_archE1201ELNS1_3gpuE5ELNS1_3repE0EEENS1_30default_config_static_selectorELNS0_4arch9wavefront6targetE1EEEvT1_,@function
_ZN7rocprim17ROCPRIM_400000_NS6detail17trampoline_kernelINS0_14default_configENS1_25transform_config_selectorImLb0EEEZNS1_14transform_implILb0ES3_S5_NS0_17constant_iteratorImlEEPmNS0_8identityImEEEE10hipError_tT2_T3_mT4_P12ihipStream_tbEUlT_E_NS1_11comp_targetILNS1_3genE10ELNS1_11target_archE1201ELNS1_3gpuE5ELNS1_3repE0EEENS1_30default_config_static_selectorELNS0_4arch9wavefront6targetE1EEEvT1_: ; @_ZN7rocprim17ROCPRIM_400000_NS6detail17trampoline_kernelINS0_14default_configENS1_25transform_config_selectorImLb0EEEZNS1_14transform_implILb0ES3_S5_NS0_17constant_iteratorImlEEPmNS0_8identityImEEEE10hipError_tT2_T3_mT4_P12ihipStream_tbEUlT_E_NS1_11comp_targetILNS1_3genE10ELNS1_11target_archE1201ELNS1_3gpuE5ELNS1_3repE0EEENS1_30default_config_static_selectorELNS0_4arch9wavefront6targetE1EEEvT1_
; %bb.0:
	.section	.rodata,"a",@progbits
	.p2align	6, 0x0
	.amdhsa_kernel _ZN7rocprim17ROCPRIM_400000_NS6detail17trampoline_kernelINS0_14default_configENS1_25transform_config_selectorImLb0EEEZNS1_14transform_implILb0ES3_S5_NS0_17constant_iteratorImlEEPmNS0_8identityImEEEE10hipError_tT2_T3_mT4_P12ihipStream_tbEUlT_E_NS1_11comp_targetILNS1_3genE10ELNS1_11target_archE1201ELNS1_3gpuE5ELNS1_3repE0EEENS1_30default_config_static_selectorELNS0_4arch9wavefront6targetE1EEEvT1_
		.amdhsa_group_segment_fixed_size 0
		.amdhsa_private_segment_fixed_size 0
		.amdhsa_kernarg_size 48
		.amdhsa_user_sgpr_count 6
		.amdhsa_user_sgpr_private_segment_buffer 1
		.amdhsa_user_sgpr_dispatch_ptr 0
		.amdhsa_user_sgpr_queue_ptr 0
		.amdhsa_user_sgpr_kernarg_segment_ptr 1
		.amdhsa_user_sgpr_dispatch_id 0
		.amdhsa_user_sgpr_flat_scratch_init 0
		.amdhsa_user_sgpr_private_segment_size 0
		.amdhsa_uses_dynamic_stack 0
		.amdhsa_system_sgpr_private_segment_wavefront_offset 0
		.amdhsa_system_sgpr_workgroup_id_x 1
		.amdhsa_system_sgpr_workgroup_id_y 0
		.amdhsa_system_sgpr_workgroup_id_z 0
		.amdhsa_system_sgpr_workgroup_info 0
		.amdhsa_system_vgpr_workitem_id 0
		.amdhsa_next_free_vgpr 1
		.amdhsa_next_free_sgpr 0
		.amdhsa_reserve_vcc 0
		.amdhsa_reserve_flat_scratch 0
		.amdhsa_float_round_mode_32 0
		.amdhsa_float_round_mode_16_64 0
		.amdhsa_float_denorm_mode_32 3
		.amdhsa_float_denorm_mode_16_64 3
		.amdhsa_dx10_clamp 1
		.amdhsa_ieee_mode 1
		.amdhsa_fp16_overflow 0
		.amdhsa_exception_fp_ieee_invalid_op 0
		.amdhsa_exception_fp_denorm_src 0
		.amdhsa_exception_fp_ieee_div_zero 0
		.amdhsa_exception_fp_ieee_overflow 0
		.amdhsa_exception_fp_ieee_underflow 0
		.amdhsa_exception_fp_ieee_inexact 0
		.amdhsa_exception_int_div_zero 0
	.end_amdhsa_kernel
	.section	.text._ZN7rocprim17ROCPRIM_400000_NS6detail17trampoline_kernelINS0_14default_configENS1_25transform_config_selectorImLb0EEEZNS1_14transform_implILb0ES3_S5_NS0_17constant_iteratorImlEEPmNS0_8identityImEEEE10hipError_tT2_T3_mT4_P12ihipStream_tbEUlT_E_NS1_11comp_targetILNS1_3genE10ELNS1_11target_archE1201ELNS1_3gpuE5ELNS1_3repE0EEENS1_30default_config_static_selectorELNS0_4arch9wavefront6targetE1EEEvT1_,"axG",@progbits,_ZN7rocprim17ROCPRIM_400000_NS6detail17trampoline_kernelINS0_14default_configENS1_25transform_config_selectorImLb0EEEZNS1_14transform_implILb0ES3_S5_NS0_17constant_iteratorImlEEPmNS0_8identityImEEEE10hipError_tT2_T3_mT4_P12ihipStream_tbEUlT_E_NS1_11comp_targetILNS1_3genE10ELNS1_11target_archE1201ELNS1_3gpuE5ELNS1_3repE0EEENS1_30default_config_static_selectorELNS0_4arch9wavefront6targetE1EEEvT1_,comdat
.Lfunc_end359:
	.size	_ZN7rocprim17ROCPRIM_400000_NS6detail17trampoline_kernelINS0_14default_configENS1_25transform_config_selectorImLb0EEEZNS1_14transform_implILb0ES3_S5_NS0_17constant_iteratorImlEEPmNS0_8identityImEEEE10hipError_tT2_T3_mT4_P12ihipStream_tbEUlT_E_NS1_11comp_targetILNS1_3genE10ELNS1_11target_archE1201ELNS1_3gpuE5ELNS1_3repE0EEENS1_30default_config_static_selectorELNS0_4arch9wavefront6targetE1EEEvT1_, .Lfunc_end359-_ZN7rocprim17ROCPRIM_400000_NS6detail17trampoline_kernelINS0_14default_configENS1_25transform_config_selectorImLb0EEEZNS1_14transform_implILb0ES3_S5_NS0_17constant_iteratorImlEEPmNS0_8identityImEEEE10hipError_tT2_T3_mT4_P12ihipStream_tbEUlT_E_NS1_11comp_targetILNS1_3genE10ELNS1_11target_archE1201ELNS1_3gpuE5ELNS1_3repE0EEENS1_30default_config_static_selectorELNS0_4arch9wavefront6targetE1EEEvT1_
                                        ; -- End function
	.set _ZN7rocprim17ROCPRIM_400000_NS6detail17trampoline_kernelINS0_14default_configENS1_25transform_config_selectorImLb0EEEZNS1_14transform_implILb0ES3_S5_NS0_17constant_iteratorImlEEPmNS0_8identityImEEEE10hipError_tT2_T3_mT4_P12ihipStream_tbEUlT_E_NS1_11comp_targetILNS1_3genE10ELNS1_11target_archE1201ELNS1_3gpuE5ELNS1_3repE0EEENS1_30default_config_static_selectorELNS0_4arch9wavefront6targetE1EEEvT1_.num_vgpr, 0
	.set _ZN7rocprim17ROCPRIM_400000_NS6detail17trampoline_kernelINS0_14default_configENS1_25transform_config_selectorImLb0EEEZNS1_14transform_implILb0ES3_S5_NS0_17constant_iteratorImlEEPmNS0_8identityImEEEE10hipError_tT2_T3_mT4_P12ihipStream_tbEUlT_E_NS1_11comp_targetILNS1_3genE10ELNS1_11target_archE1201ELNS1_3gpuE5ELNS1_3repE0EEENS1_30default_config_static_selectorELNS0_4arch9wavefront6targetE1EEEvT1_.num_agpr, 0
	.set _ZN7rocprim17ROCPRIM_400000_NS6detail17trampoline_kernelINS0_14default_configENS1_25transform_config_selectorImLb0EEEZNS1_14transform_implILb0ES3_S5_NS0_17constant_iteratorImlEEPmNS0_8identityImEEEE10hipError_tT2_T3_mT4_P12ihipStream_tbEUlT_E_NS1_11comp_targetILNS1_3genE10ELNS1_11target_archE1201ELNS1_3gpuE5ELNS1_3repE0EEENS1_30default_config_static_selectorELNS0_4arch9wavefront6targetE1EEEvT1_.numbered_sgpr, 0
	.set _ZN7rocprim17ROCPRIM_400000_NS6detail17trampoline_kernelINS0_14default_configENS1_25transform_config_selectorImLb0EEEZNS1_14transform_implILb0ES3_S5_NS0_17constant_iteratorImlEEPmNS0_8identityImEEEE10hipError_tT2_T3_mT4_P12ihipStream_tbEUlT_E_NS1_11comp_targetILNS1_3genE10ELNS1_11target_archE1201ELNS1_3gpuE5ELNS1_3repE0EEENS1_30default_config_static_selectorELNS0_4arch9wavefront6targetE1EEEvT1_.num_named_barrier, 0
	.set _ZN7rocprim17ROCPRIM_400000_NS6detail17trampoline_kernelINS0_14default_configENS1_25transform_config_selectorImLb0EEEZNS1_14transform_implILb0ES3_S5_NS0_17constant_iteratorImlEEPmNS0_8identityImEEEE10hipError_tT2_T3_mT4_P12ihipStream_tbEUlT_E_NS1_11comp_targetILNS1_3genE10ELNS1_11target_archE1201ELNS1_3gpuE5ELNS1_3repE0EEENS1_30default_config_static_selectorELNS0_4arch9wavefront6targetE1EEEvT1_.private_seg_size, 0
	.set _ZN7rocprim17ROCPRIM_400000_NS6detail17trampoline_kernelINS0_14default_configENS1_25transform_config_selectorImLb0EEEZNS1_14transform_implILb0ES3_S5_NS0_17constant_iteratorImlEEPmNS0_8identityImEEEE10hipError_tT2_T3_mT4_P12ihipStream_tbEUlT_E_NS1_11comp_targetILNS1_3genE10ELNS1_11target_archE1201ELNS1_3gpuE5ELNS1_3repE0EEENS1_30default_config_static_selectorELNS0_4arch9wavefront6targetE1EEEvT1_.uses_vcc, 0
	.set _ZN7rocprim17ROCPRIM_400000_NS6detail17trampoline_kernelINS0_14default_configENS1_25transform_config_selectorImLb0EEEZNS1_14transform_implILb0ES3_S5_NS0_17constant_iteratorImlEEPmNS0_8identityImEEEE10hipError_tT2_T3_mT4_P12ihipStream_tbEUlT_E_NS1_11comp_targetILNS1_3genE10ELNS1_11target_archE1201ELNS1_3gpuE5ELNS1_3repE0EEENS1_30default_config_static_selectorELNS0_4arch9wavefront6targetE1EEEvT1_.uses_flat_scratch, 0
	.set _ZN7rocprim17ROCPRIM_400000_NS6detail17trampoline_kernelINS0_14default_configENS1_25transform_config_selectorImLb0EEEZNS1_14transform_implILb0ES3_S5_NS0_17constant_iteratorImlEEPmNS0_8identityImEEEE10hipError_tT2_T3_mT4_P12ihipStream_tbEUlT_E_NS1_11comp_targetILNS1_3genE10ELNS1_11target_archE1201ELNS1_3gpuE5ELNS1_3repE0EEENS1_30default_config_static_selectorELNS0_4arch9wavefront6targetE1EEEvT1_.has_dyn_sized_stack, 0
	.set _ZN7rocprim17ROCPRIM_400000_NS6detail17trampoline_kernelINS0_14default_configENS1_25transform_config_selectorImLb0EEEZNS1_14transform_implILb0ES3_S5_NS0_17constant_iteratorImlEEPmNS0_8identityImEEEE10hipError_tT2_T3_mT4_P12ihipStream_tbEUlT_E_NS1_11comp_targetILNS1_3genE10ELNS1_11target_archE1201ELNS1_3gpuE5ELNS1_3repE0EEENS1_30default_config_static_selectorELNS0_4arch9wavefront6targetE1EEEvT1_.has_recursion, 0
	.set _ZN7rocprim17ROCPRIM_400000_NS6detail17trampoline_kernelINS0_14default_configENS1_25transform_config_selectorImLb0EEEZNS1_14transform_implILb0ES3_S5_NS0_17constant_iteratorImlEEPmNS0_8identityImEEEE10hipError_tT2_T3_mT4_P12ihipStream_tbEUlT_E_NS1_11comp_targetILNS1_3genE10ELNS1_11target_archE1201ELNS1_3gpuE5ELNS1_3repE0EEENS1_30default_config_static_selectorELNS0_4arch9wavefront6targetE1EEEvT1_.has_indirect_call, 0
	.section	.AMDGPU.csdata,"",@progbits
; Kernel info:
; codeLenInByte = 0
; TotalNumSgprs: 4
; NumVgprs: 0
; ScratchSize: 0
; MemoryBound: 0
; FloatMode: 240
; IeeeMode: 1
; LDSByteSize: 0 bytes/workgroup (compile time only)
; SGPRBlocks: 0
; VGPRBlocks: 0
; NumSGPRsForWavesPerEU: 4
; NumVGPRsForWavesPerEU: 1
; Occupancy: 10
; WaveLimiterHint : 0
; COMPUTE_PGM_RSRC2:SCRATCH_EN: 0
; COMPUTE_PGM_RSRC2:USER_SGPR: 6
; COMPUTE_PGM_RSRC2:TRAP_HANDLER: 0
; COMPUTE_PGM_RSRC2:TGID_X_EN: 1
; COMPUTE_PGM_RSRC2:TGID_Y_EN: 0
; COMPUTE_PGM_RSRC2:TGID_Z_EN: 0
; COMPUTE_PGM_RSRC2:TIDIG_COMP_CNT: 0
	.section	.text._ZN7rocprim17ROCPRIM_400000_NS6detail17trampoline_kernelINS0_14default_configENS1_25transform_config_selectorImLb0EEEZNS1_14transform_implILb0ES3_S5_NS0_17constant_iteratorImlEEPmNS0_8identityImEEEE10hipError_tT2_T3_mT4_P12ihipStream_tbEUlT_E_NS1_11comp_targetILNS1_3genE10ELNS1_11target_archE1200ELNS1_3gpuE4ELNS1_3repE0EEENS1_30default_config_static_selectorELNS0_4arch9wavefront6targetE1EEEvT1_,"axG",@progbits,_ZN7rocprim17ROCPRIM_400000_NS6detail17trampoline_kernelINS0_14default_configENS1_25transform_config_selectorImLb0EEEZNS1_14transform_implILb0ES3_S5_NS0_17constant_iteratorImlEEPmNS0_8identityImEEEE10hipError_tT2_T3_mT4_P12ihipStream_tbEUlT_E_NS1_11comp_targetILNS1_3genE10ELNS1_11target_archE1200ELNS1_3gpuE4ELNS1_3repE0EEENS1_30default_config_static_selectorELNS0_4arch9wavefront6targetE1EEEvT1_,comdat
	.protected	_ZN7rocprim17ROCPRIM_400000_NS6detail17trampoline_kernelINS0_14default_configENS1_25transform_config_selectorImLb0EEEZNS1_14transform_implILb0ES3_S5_NS0_17constant_iteratorImlEEPmNS0_8identityImEEEE10hipError_tT2_T3_mT4_P12ihipStream_tbEUlT_E_NS1_11comp_targetILNS1_3genE10ELNS1_11target_archE1200ELNS1_3gpuE4ELNS1_3repE0EEENS1_30default_config_static_selectorELNS0_4arch9wavefront6targetE1EEEvT1_ ; -- Begin function _ZN7rocprim17ROCPRIM_400000_NS6detail17trampoline_kernelINS0_14default_configENS1_25transform_config_selectorImLb0EEEZNS1_14transform_implILb0ES3_S5_NS0_17constant_iteratorImlEEPmNS0_8identityImEEEE10hipError_tT2_T3_mT4_P12ihipStream_tbEUlT_E_NS1_11comp_targetILNS1_3genE10ELNS1_11target_archE1200ELNS1_3gpuE4ELNS1_3repE0EEENS1_30default_config_static_selectorELNS0_4arch9wavefront6targetE1EEEvT1_
	.globl	_ZN7rocprim17ROCPRIM_400000_NS6detail17trampoline_kernelINS0_14default_configENS1_25transform_config_selectorImLb0EEEZNS1_14transform_implILb0ES3_S5_NS0_17constant_iteratorImlEEPmNS0_8identityImEEEE10hipError_tT2_T3_mT4_P12ihipStream_tbEUlT_E_NS1_11comp_targetILNS1_3genE10ELNS1_11target_archE1200ELNS1_3gpuE4ELNS1_3repE0EEENS1_30default_config_static_selectorELNS0_4arch9wavefront6targetE1EEEvT1_
	.p2align	8
	.type	_ZN7rocprim17ROCPRIM_400000_NS6detail17trampoline_kernelINS0_14default_configENS1_25transform_config_selectorImLb0EEEZNS1_14transform_implILb0ES3_S5_NS0_17constant_iteratorImlEEPmNS0_8identityImEEEE10hipError_tT2_T3_mT4_P12ihipStream_tbEUlT_E_NS1_11comp_targetILNS1_3genE10ELNS1_11target_archE1200ELNS1_3gpuE4ELNS1_3repE0EEENS1_30default_config_static_selectorELNS0_4arch9wavefront6targetE1EEEvT1_,@function
_ZN7rocprim17ROCPRIM_400000_NS6detail17trampoline_kernelINS0_14default_configENS1_25transform_config_selectorImLb0EEEZNS1_14transform_implILb0ES3_S5_NS0_17constant_iteratorImlEEPmNS0_8identityImEEEE10hipError_tT2_T3_mT4_P12ihipStream_tbEUlT_E_NS1_11comp_targetILNS1_3genE10ELNS1_11target_archE1200ELNS1_3gpuE4ELNS1_3repE0EEENS1_30default_config_static_selectorELNS0_4arch9wavefront6targetE1EEEvT1_: ; @_ZN7rocprim17ROCPRIM_400000_NS6detail17trampoline_kernelINS0_14default_configENS1_25transform_config_selectorImLb0EEEZNS1_14transform_implILb0ES3_S5_NS0_17constant_iteratorImlEEPmNS0_8identityImEEEE10hipError_tT2_T3_mT4_P12ihipStream_tbEUlT_E_NS1_11comp_targetILNS1_3genE10ELNS1_11target_archE1200ELNS1_3gpuE4ELNS1_3repE0EEENS1_30default_config_static_selectorELNS0_4arch9wavefront6targetE1EEEvT1_
; %bb.0:
	.section	.rodata,"a",@progbits
	.p2align	6, 0x0
	.amdhsa_kernel _ZN7rocprim17ROCPRIM_400000_NS6detail17trampoline_kernelINS0_14default_configENS1_25transform_config_selectorImLb0EEEZNS1_14transform_implILb0ES3_S5_NS0_17constant_iteratorImlEEPmNS0_8identityImEEEE10hipError_tT2_T3_mT4_P12ihipStream_tbEUlT_E_NS1_11comp_targetILNS1_3genE10ELNS1_11target_archE1200ELNS1_3gpuE4ELNS1_3repE0EEENS1_30default_config_static_selectorELNS0_4arch9wavefront6targetE1EEEvT1_
		.amdhsa_group_segment_fixed_size 0
		.amdhsa_private_segment_fixed_size 0
		.amdhsa_kernarg_size 48
		.amdhsa_user_sgpr_count 6
		.amdhsa_user_sgpr_private_segment_buffer 1
		.amdhsa_user_sgpr_dispatch_ptr 0
		.amdhsa_user_sgpr_queue_ptr 0
		.amdhsa_user_sgpr_kernarg_segment_ptr 1
		.amdhsa_user_sgpr_dispatch_id 0
		.amdhsa_user_sgpr_flat_scratch_init 0
		.amdhsa_user_sgpr_private_segment_size 0
		.amdhsa_uses_dynamic_stack 0
		.amdhsa_system_sgpr_private_segment_wavefront_offset 0
		.amdhsa_system_sgpr_workgroup_id_x 1
		.amdhsa_system_sgpr_workgroup_id_y 0
		.amdhsa_system_sgpr_workgroup_id_z 0
		.amdhsa_system_sgpr_workgroup_info 0
		.amdhsa_system_vgpr_workitem_id 0
		.amdhsa_next_free_vgpr 1
		.amdhsa_next_free_sgpr 0
		.amdhsa_reserve_vcc 0
		.amdhsa_reserve_flat_scratch 0
		.amdhsa_float_round_mode_32 0
		.amdhsa_float_round_mode_16_64 0
		.amdhsa_float_denorm_mode_32 3
		.amdhsa_float_denorm_mode_16_64 3
		.amdhsa_dx10_clamp 1
		.amdhsa_ieee_mode 1
		.amdhsa_fp16_overflow 0
		.amdhsa_exception_fp_ieee_invalid_op 0
		.amdhsa_exception_fp_denorm_src 0
		.amdhsa_exception_fp_ieee_div_zero 0
		.amdhsa_exception_fp_ieee_overflow 0
		.amdhsa_exception_fp_ieee_underflow 0
		.amdhsa_exception_fp_ieee_inexact 0
		.amdhsa_exception_int_div_zero 0
	.end_amdhsa_kernel
	.section	.text._ZN7rocprim17ROCPRIM_400000_NS6detail17trampoline_kernelINS0_14default_configENS1_25transform_config_selectorImLb0EEEZNS1_14transform_implILb0ES3_S5_NS0_17constant_iteratorImlEEPmNS0_8identityImEEEE10hipError_tT2_T3_mT4_P12ihipStream_tbEUlT_E_NS1_11comp_targetILNS1_3genE10ELNS1_11target_archE1200ELNS1_3gpuE4ELNS1_3repE0EEENS1_30default_config_static_selectorELNS0_4arch9wavefront6targetE1EEEvT1_,"axG",@progbits,_ZN7rocprim17ROCPRIM_400000_NS6detail17trampoline_kernelINS0_14default_configENS1_25transform_config_selectorImLb0EEEZNS1_14transform_implILb0ES3_S5_NS0_17constant_iteratorImlEEPmNS0_8identityImEEEE10hipError_tT2_T3_mT4_P12ihipStream_tbEUlT_E_NS1_11comp_targetILNS1_3genE10ELNS1_11target_archE1200ELNS1_3gpuE4ELNS1_3repE0EEENS1_30default_config_static_selectorELNS0_4arch9wavefront6targetE1EEEvT1_,comdat
.Lfunc_end360:
	.size	_ZN7rocprim17ROCPRIM_400000_NS6detail17trampoline_kernelINS0_14default_configENS1_25transform_config_selectorImLb0EEEZNS1_14transform_implILb0ES3_S5_NS0_17constant_iteratorImlEEPmNS0_8identityImEEEE10hipError_tT2_T3_mT4_P12ihipStream_tbEUlT_E_NS1_11comp_targetILNS1_3genE10ELNS1_11target_archE1200ELNS1_3gpuE4ELNS1_3repE0EEENS1_30default_config_static_selectorELNS0_4arch9wavefront6targetE1EEEvT1_, .Lfunc_end360-_ZN7rocprim17ROCPRIM_400000_NS6detail17trampoline_kernelINS0_14default_configENS1_25transform_config_selectorImLb0EEEZNS1_14transform_implILb0ES3_S5_NS0_17constant_iteratorImlEEPmNS0_8identityImEEEE10hipError_tT2_T3_mT4_P12ihipStream_tbEUlT_E_NS1_11comp_targetILNS1_3genE10ELNS1_11target_archE1200ELNS1_3gpuE4ELNS1_3repE0EEENS1_30default_config_static_selectorELNS0_4arch9wavefront6targetE1EEEvT1_
                                        ; -- End function
	.set _ZN7rocprim17ROCPRIM_400000_NS6detail17trampoline_kernelINS0_14default_configENS1_25transform_config_selectorImLb0EEEZNS1_14transform_implILb0ES3_S5_NS0_17constant_iteratorImlEEPmNS0_8identityImEEEE10hipError_tT2_T3_mT4_P12ihipStream_tbEUlT_E_NS1_11comp_targetILNS1_3genE10ELNS1_11target_archE1200ELNS1_3gpuE4ELNS1_3repE0EEENS1_30default_config_static_selectorELNS0_4arch9wavefront6targetE1EEEvT1_.num_vgpr, 0
	.set _ZN7rocprim17ROCPRIM_400000_NS6detail17trampoline_kernelINS0_14default_configENS1_25transform_config_selectorImLb0EEEZNS1_14transform_implILb0ES3_S5_NS0_17constant_iteratorImlEEPmNS0_8identityImEEEE10hipError_tT2_T3_mT4_P12ihipStream_tbEUlT_E_NS1_11comp_targetILNS1_3genE10ELNS1_11target_archE1200ELNS1_3gpuE4ELNS1_3repE0EEENS1_30default_config_static_selectorELNS0_4arch9wavefront6targetE1EEEvT1_.num_agpr, 0
	.set _ZN7rocprim17ROCPRIM_400000_NS6detail17trampoline_kernelINS0_14default_configENS1_25transform_config_selectorImLb0EEEZNS1_14transform_implILb0ES3_S5_NS0_17constant_iteratorImlEEPmNS0_8identityImEEEE10hipError_tT2_T3_mT4_P12ihipStream_tbEUlT_E_NS1_11comp_targetILNS1_3genE10ELNS1_11target_archE1200ELNS1_3gpuE4ELNS1_3repE0EEENS1_30default_config_static_selectorELNS0_4arch9wavefront6targetE1EEEvT1_.numbered_sgpr, 0
	.set _ZN7rocprim17ROCPRIM_400000_NS6detail17trampoline_kernelINS0_14default_configENS1_25transform_config_selectorImLb0EEEZNS1_14transform_implILb0ES3_S5_NS0_17constant_iteratorImlEEPmNS0_8identityImEEEE10hipError_tT2_T3_mT4_P12ihipStream_tbEUlT_E_NS1_11comp_targetILNS1_3genE10ELNS1_11target_archE1200ELNS1_3gpuE4ELNS1_3repE0EEENS1_30default_config_static_selectorELNS0_4arch9wavefront6targetE1EEEvT1_.num_named_barrier, 0
	.set _ZN7rocprim17ROCPRIM_400000_NS6detail17trampoline_kernelINS0_14default_configENS1_25transform_config_selectorImLb0EEEZNS1_14transform_implILb0ES3_S5_NS0_17constant_iteratorImlEEPmNS0_8identityImEEEE10hipError_tT2_T3_mT4_P12ihipStream_tbEUlT_E_NS1_11comp_targetILNS1_3genE10ELNS1_11target_archE1200ELNS1_3gpuE4ELNS1_3repE0EEENS1_30default_config_static_selectorELNS0_4arch9wavefront6targetE1EEEvT1_.private_seg_size, 0
	.set _ZN7rocprim17ROCPRIM_400000_NS6detail17trampoline_kernelINS0_14default_configENS1_25transform_config_selectorImLb0EEEZNS1_14transform_implILb0ES3_S5_NS0_17constant_iteratorImlEEPmNS0_8identityImEEEE10hipError_tT2_T3_mT4_P12ihipStream_tbEUlT_E_NS1_11comp_targetILNS1_3genE10ELNS1_11target_archE1200ELNS1_3gpuE4ELNS1_3repE0EEENS1_30default_config_static_selectorELNS0_4arch9wavefront6targetE1EEEvT1_.uses_vcc, 0
	.set _ZN7rocprim17ROCPRIM_400000_NS6detail17trampoline_kernelINS0_14default_configENS1_25transform_config_selectorImLb0EEEZNS1_14transform_implILb0ES3_S5_NS0_17constant_iteratorImlEEPmNS0_8identityImEEEE10hipError_tT2_T3_mT4_P12ihipStream_tbEUlT_E_NS1_11comp_targetILNS1_3genE10ELNS1_11target_archE1200ELNS1_3gpuE4ELNS1_3repE0EEENS1_30default_config_static_selectorELNS0_4arch9wavefront6targetE1EEEvT1_.uses_flat_scratch, 0
	.set _ZN7rocprim17ROCPRIM_400000_NS6detail17trampoline_kernelINS0_14default_configENS1_25transform_config_selectorImLb0EEEZNS1_14transform_implILb0ES3_S5_NS0_17constant_iteratorImlEEPmNS0_8identityImEEEE10hipError_tT2_T3_mT4_P12ihipStream_tbEUlT_E_NS1_11comp_targetILNS1_3genE10ELNS1_11target_archE1200ELNS1_3gpuE4ELNS1_3repE0EEENS1_30default_config_static_selectorELNS0_4arch9wavefront6targetE1EEEvT1_.has_dyn_sized_stack, 0
	.set _ZN7rocprim17ROCPRIM_400000_NS6detail17trampoline_kernelINS0_14default_configENS1_25transform_config_selectorImLb0EEEZNS1_14transform_implILb0ES3_S5_NS0_17constant_iteratorImlEEPmNS0_8identityImEEEE10hipError_tT2_T3_mT4_P12ihipStream_tbEUlT_E_NS1_11comp_targetILNS1_3genE10ELNS1_11target_archE1200ELNS1_3gpuE4ELNS1_3repE0EEENS1_30default_config_static_selectorELNS0_4arch9wavefront6targetE1EEEvT1_.has_recursion, 0
	.set _ZN7rocprim17ROCPRIM_400000_NS6detail17trampoline_kernelINS0_14default_configENS1_25transform_config_selectorImLb0EEEZNS1_14transform_implILb0ES3_S5_NS0_17constant_iteratorImlEEPmNS0_8identityImEEEE10hipError_tT2_T3_mT4_P12ihipStream_tbEUlT_E_NS1_11comp_targetILNS1_3genE10ELNS1_11target_archE1200ELNS1_3gpuE4ELNS1_3repE0EEENS1_30default_config_static_selectorELNS0_4arch9wavefront6targetE1EEEvT1_.has_indirect_call, 0
	.section	.AMDGPU.csdata,"",@progbits
; Kernel info:
; codeLenInByte = 0
; TotalNumSgprs: 4
; NumVgprs: 0
; ScratchSize: 0
; MemoryBound: 0
; FloatMode: 240
; IeeeMode: 1
; LDSByteSize: 0 bytes/workgroup (compile time only)
; SGPRBlocks: 0
; VGPRBlocks: 0
; NumSGPRsForWavesPerEU: 4
; NumVGPRsForWavesPerEU: 1
; Occupancy: 10
; WaveLimiterHint : 0
; COMPUTE_PGM_RSRC2:SCRATCH_EN: 0
; COMPUTE_PGM_RSRC2:USER_SGPR: 6
; COMPUTE_PGM_RSRC2:TRAP_HANDLER: 0
; COMPUTE_PGM_RSRC2:TGID_X_EN: 1
; COMPUTE_PGM_RSRC2:TGID_Y_EN: 0
; COMPUTE_PGM_RSRC2:TGID_Z_EN: 0
; COMPUTE_PGM_RSRC2:TIDIG_COMP_CNT: 0
	.section	.text._ZN7rocprim17ROCPRIM_400000_NS6detail17trampoline_kernelINS0_14default_configENS1_25transform_config_selectorImLb0EEEZNS1_14transform_implILb0ES3_S5_NS0_17constant_iteratorImlEEPmNS0_8identityImEEEE10hipError_tT2_T3_mT4_P12ihipStream_tbEUlT_E_NS1_11comp_targetILNS1_3genE9ELNS1_11target_archE1100ELNS1_3gpuE3ELNS1_3repE0EEENS1_30default_config_static_selectorELNS0_4arch9wavefront6targetE1EEEvT1_,"axG",@progbits,_ZN7rocprim17ROCPRIM_400000_NS6detail17trampoline_kernelINS0_14default_configENS1_25transform_config_selectorImLb0EEEZNS1_14transform_implILb0ES3_S5_NS0_17constant_iteratorImlEEPmNS0_8identityImEEEE10hipError_tT2_T3_mT4_P12ihipStream_tbEUlT_E_NS1_11comp_targetILNS1_3genE9ELNS1_11target_archE1100ELNS1_3gpuE3ELNS1_3repE0EEENS1_30default_config_static_selectorELNS0_4arch9wavefront6targetE1EEEvT1_,comdat
	.protected	_ZN7rocprim17ROCPRIM_400000_NS6detail17trampoline_kernelINS0_14default_configENS1_25transform_config_selectorImLb0EEEZNS1_14transform_implILb0ES3_S5_NS0_17constant_iteratorImlEEPmNS0_8identityImEEEE10hipError_tT2_T3_mT4_P12ihipStream_tbEUlT_E_NS1_11comp_targetILNS1_3genE9ELNS1_11target_archE1100ELNS1_3gpuE3ELNS1_3repE0EEENS1_30default_config_static_selectorELNS0_4arch9wavefront6targetE1EEEvT1_ ; -- Begin function _ZN7rocprim17ROCPRIM_400000_NS6detail17trampoline_kernelINS0_14default_configENS1_25transform_config_selectorImLb0EEEZNS1_14transform_implILb0ES3_S5_NS0_17constant_iteratorImlEEPmNS0_8identityImEEEE10hipError_tT2_T3_mT4_P12ihipStream_tbEUlT_E_NS1_11comp_targetILNS1_3genE9ELNS1_11target_archE1100ELNS1_3gpuE3ELNS1_3repE0EEENS1_30default_config_static_selectorELNS0_4arch9wavefront6targetE1EEEvT1_
	.globl	_ZN7rocprim17ROCPRIM_400000_NS6detail17trampoline_kernelINS0_14default_configENS1_25transform_config_selectorImLb0EEEZNS1_14transform_implILb0ES3_S5_NS0_17constant_iteratorImlEEPmNS0_8identityImEEEE10hipError_tT2_T3_mT4_P12ihipStream_tbEUlT_E_NS1_11comp_targetILNS1_3genE9ELNS1_11target_archE1100ELNS1_3gpuE3ELNS1_3repE0EEENS1_30default_config_static_selectorELNS0_4arch9wavefront6targetE1EEEvT1_
	.p2align	8
	.type	_ZN7rocprim17ROCPRIM_400000_NS6detail17trampoline_kernelINS0_14default_configENS1_25transform_config_selectorImLb0EEEZNS1_14transform_implILb0ES3_S5_NS0_17constant_iteratorImlEEPmNS0_8identityImEEEE10hipError_tT2_T3_mT4_P12ihipStream_tbEUlT_E_NS1_11comp_targetILNS1_3genE9ELNS1_11target_archE1100ELNS1_3gpuE3ELNS1_3repE0EEENS1_30default_config_static_selectorELNS0_4arch9wavefront6targetE1EEEvT1_,@function
_ZN7rocprim17ROCPRIM_400000_NS6detail17trampoline_kernelINS0_14default_configENS1_25transform_config_selectorImLb0EEEZNS1_14transform_implILb0ES3_S5_NS0_17constant_iteratorImlEEPmNS0_8identityImEEEE10hipError_tT2_T3_mT4_P12ihipStream_tbEUlT_E_NS1_11comp_targetILNS1_3genE9ELNS1_11target_archE1100ELNS1_3gpuE3ELNS1_3repE0EEENS1_30default_config_static_selectorELNS0_4arch9wavefront6targetE1EEEvT1_: ; @_ZN7rocprim17ROCPRIM_400000_NS6detail17trampoline_kernelINS0_14default_configENS1_25transform_config_selectorImLb0EEEZNS1_14transform_implILb0ES3_S5_NS0_17constant_iteratorImlEEPmNS0_8identityImEEEE10hipError_tT2_T3_mT4_P12ihipStream_tbEUlT_E_NS1_11comp_targetILNS1_3genE9ELNS1_11target_archE1100ELNS1_3gpuE3ELNS1_3repE0EEENS1_30default_config_static_selectorELNS0_4arch9wavefront6targetE1EEEvT1_
; %bb.0:
	.section	.rodata,"a",@progbits
	.p2align	6, 0x0
	.amdhsa_kernel _ZN7rocprim17ROCPRIM_400000_NS6detail17trampoline_kernelINS0_14default_configENS1_25transform_config_selectorImLb0EEEZNS1_14transform_implILb0ES3_S5_NS0_17constant_iteratorImlEEPmNS0_8identityImEEEE10hipError_tT2_T3_mT4_P12ihipStream_tbEUlT_E_NS1_11comp_targetILNS1_3genE9ELNS1_11target_archE1100ELNS1_3gpuE3ELNS1_3repE0EEENS1_30default_config_static_selectorELNS0_4arch9wavefront6targetE1EEEvT1_
		.amdhsa_group_segment_fixed_size 0
		.amdhsa_private_segment_fixed_size 0
		.amdhsa_kernarg_size 48
		.amdhsa_user_sgpr_count 6
		.amdhsa_user_sgpr_private_segment_buffer 1
		.amdhsa_user_sgpr_dispatch_ptr 0
		.amdhsa_user_sgpr_queue_ptr 0
		.amdhsa_user_sgpr_kernarg_segment_ptr 1
		.amdhsa_user_sgpr_dispatch_id 0
		.amdhsa_user_sgpr_flat_scratch_init 0
		.amdhsa_user_sgpr_private_segment_size 0
		.amdhsa_uses_dynamic_stack 0
		.amdhsa_system_sgpr_private_segment_wavefront_offset 0
		.amdhsa_system_sgpr_workgroup_id_x 1
		.amdhsa_system_sgpr_workgroup_id_y 0
		.amdhsa_system_sgpr_workgroup_id_z 0
		.amdhsa_system_sgpr_workgroup_info 0
		.amdhsa_system_vgpr_workitem_id 0
		.amdhsa_next_free_vgpr 1
		.amdhsa_next_free_sgpr 0
		.amdhsa_reserve_vcc 0
		.amdhsa_reserve_flat_scratch 0
		.amdhsa_float_round_mode_32 0
		.amdhsa_float_round_mode_16_64 0
		.amdhsa_float_denorm_mode_32 3
		.amdhsa_float_denorm_mode_16_64 3
		.amdhsa_dx10_clamp 1
		.amdhsa_ieee_mode 1
		.amdhsa_fp16_overflow 0
		.amdhsa_exception_fp_ieee_invalid_op 0
		.amdhsa_exception_fp_denorm_src 0
		.amdhsa_exception_fp_ieee_div_zero 0
		.amdhsa_exception_fp_ieee_overflow 0
		.amdhsa_exception_fp_ieee_underflow 0
		.amdhsa_exception_fp_ieee_inexact 0
		.amdhsa_exception_int_div_zero 0
	.end_amdhsa_kernel
	.section	.text._ZN7rocprim17ROCPRIM_400000_NS6detail17trampoline_kernelINS0_14default_configENS1_25transform_config_selectorImLb0EEEZNS1_14transform_implILb0ES3_S5_NS0_17constant_iteratorImlEEPmNS0_8identityImEEEE10hipError_tT2_T3_mT4_P12ihipStream_tbEUlT_E_NS1_11comp_targetILNS1_3genE9ELNS1_11target_archE1100ELNS1_3gpuE3ELNS1_3repE0EEENS1_30default_config_static_selectorELNS0_4arch9wavefront6targetE1EEEvT1_,"axG",@progbits,_ZN7rocprim17ROCPRIM_400000_NS6detail17trampoline_kernelINS0_14default_configENS1_25transform_config_selectorImLb0EEEZNS1_14transform_implILb0ES3_S5_NS0_17constant_iteratorImlEEPmNS0_8identityImEEEE10hipError_tT2_T3_mT4_P12ihipStream_tbEUlT_E_NS1_11comp_targetILNS1_3genE9ELNS1_11target_archE1100ELNS1_3gpuE3ELNS1_3repE0EEENS1_30default_config_static_selectorELNS0_4arch9wavefront6targetE1EEEvT1_,comdat
.Lfunc_end361:
	.size	_ZN7rocprim17ROCPRIM_400000_NS6detail17trampoline_kernelINS0_14default_configENS1_25transform_config_selectorImLb0EEEZNS1_14transform_implILb0ES3_S5_NS0_17constant_iteratorImlEEPmNS0_8identityImEEEE10hipError_tT2_T3_mT4_P12ihipStream_tbEUlT_E_NS1_11comp_targetILNS1_3genE9ELNS1_11target_archE1100ELNS1_3gpuE3ELNS1_3repE0EEENS1_30default_config_static_selectorELNS0_4arch9wavefront6targetE1EEEvT1_, .Lfunc_end361-_ZN7rocprim17ROCPRIM_400000_NS6detail17trampoline_kernelINS0_14default_configENS1_25transform_config_selectorImLb0EEEZNS1_14transform_implILb0ES3_S5_NS0_17constant_iteratorImlEEPmNS0_8identityImEEEE10hipError_tT2_T3_mT4_P12ihipStream_tbEUlT_E_NS1_11comp_targetILNS1_3genE9ELNS1_11target_archE1100ELNS1_3gpuE3ELNS1_3repE0EEENS1_30default_config_static_selectorELNS0_4arch9wavefront6targetE1EEEvT1_
                                        ; -- End function
	.set _ZN7rocprim17ROCPRIM_400000_NS6detail17trampoline_kernelINS0_14default_configENS1_25transform_config_selectorImLb0EEEZNS1_14transform_implILb0ES3_S5_NS0_17constant_iteratorImlEEPmNS0_8identityImEEEE10hipError_tT2_T3_mT4_P12ihipStream_tbEUlT_E_NS1_11comp_targetILNS1_3genE9ELNS1_11target_archE1100ELNS1_3gpuE3ELNS1_3repE0EEENS1_30default_config_static_selectorELNS0_4arch9wavefront6targetE1EEEvT1_.num_vgpr, 0
	.set _ZN7rocprim17ROCPRIM_400000_NS6detail17trampoline_kernelINS0_14default_configENS1_25transform_config_selectorImLb0EEEZNS1_14transform_implILb0ES3_S5_NS0_17constant_iteratorImlEEPmNS0_8identityImEEEE10hipError_tT2_T3_mT4_P12ihipStream_tbEUlT_E_NS1_11comp_targetILNS1_3genE9ELNS1_11target_archE1100ELNS1_3gpuE3ELNS1_3repE0EEENS1_30default_config_static_selectorELNS0_4arch9wavefront6targetE1EEEvT1_.num_agpr, 0
	.set _ZN7rocprim17ROCPRIM_400000_NS6detail17trampoline_kernelINS0_14default_configENS1_25transform_config_selectorImLb0EEEZNS1_14transform_implILb0ES3_S5_NS0_17constant_iteratorImlEEPmNS0_8identityImEEEE10hipError_tT2_T3_mT4_P12ihipStream_tbEUlT_E_NS1_11comp_targetILNS1_3genE9ELNS1_11target_archE1100ELNS1_3gpuE3ELNS1_3repE0EEENS1_30default_config_static_selectorELNS0_4arch9wavefront6targetE1EEEvT1_.numbered_sgpr, 0
	.set _ZN7rocprim17ROCPRIM_400000_NS6detail17trampoline_kernelINS0_14default_configENS1_25transform_config_selectorImLb0EEEZNS1_14transform_implILb0ES3_S5_NS0_17constant_iteratorImlEEPmNS0_8identityImEEEE10hipError_tT2_T3_mT4_P12ihipStream_tbEUlT_E_NS1_11comp_targetILNS1_3genE9ELNS1_11target_archE1100ELNS1_3gpuE3ELNS1_3repE0EEENS1_30default_config_static_selectorELNS0_4arch9wavefront6targetE1EEEvT1_.num_named_barrier, 0
	.set _ZN7rocprim17ROCPRIM_400000_NS6detail17trampoline_kernelINS0_14default_configENS1_25transform_config_selectorImLb0EEEZNS1_14transform_implILb0ES3_S5_NS0_17constant_iteratorImlEEPmNS0_8identityImEEEE10hipError_tT2_T3_mT4_P12ihipStream_tbEUlT_E_NS1_11comp_targetILNS1_3genE9ELNS1_11target_archE1100ELNS1_3gpuE3ELNS1_3repE0EEENS1_30default_config_static_selectorELNS0_4arch9wavefront6targetE1EEEvT1_.private_seg_size, 0
	.set _ZN7rocprim17ROCPRIM_400000_NS6detail17trampoline_kernelINS0_14default_configENS1_25transform_config_selectorImLb0EEEZNS1_14transform_implILb0ES3_S5_NS0_17constant_iteratorImlEEPmNS0_8identityImEEEE10hipError_tT2_T3_mT4_P12ihipStream_tbEUlT_E_NS1_11comp_targetILNS1_3genE9ELNS1_11target_archE1100ELNS1_3gpuE3ELNS1_3repE0EEENS1_30default_config_static_selectorELNS0_4arch9wavefront6targetE1EEEvT1_.uses_vcc, 0
	.set _ZN7rocprim17ROCPRIM_400000_NS6detail17trampoline_kernelINS0_14default_configENS1_25transform_config_selectorImLb0EEEZNS1_14transform_implILb0ES3_S5_NS0_17constant_iteratorImlEEPmNS0_8identityImEEEE10hipError_tT2_T3_mT4_P12ihipStream_tbEUlT_E_NS1_11comp_targetILNS1_3genE9ELNS1_11target_archE1100ELNS1_3gpuE3ELNS1_3repE0EEENS1_30default_config_static_selectorELNS0_4arch9wavefront6targetE1EEEvT1_.uses_flat_scratch, 0
	.set _ZN7rocprim17ROCPRIM_400000_NS6detail17trampoline_kernelINS0_14default_configENS1_25transform_config_selectorImLb0EEEZNS1_14transform_implILb0ES3_S5_NS0_17constant_iteratorImlEEPmNS0_8identityImEEEE10hipError_tT2_T3_mT4_P12ihipStream_tbEUlT_E_NS1_11comp_targetILNS1_3genE9ELNS1_11target_archE1100ELNS1_3gpuE3ELNS1_3repE0EEENS1_30default_config_static_selectorELNS0_4arch9wavefront6targetE1EEEvT1_.has_dyn_sized_stack, 0
	.set _ZN7rocprim17ROCPRIM_400000_NS6detail17trampoline_kernelINS0_14default_configENS1_25transform_config_selectorImLb0EEEZNS1_14transform_implILb0ES3_S5_NS0_17constant_iteratorImlEEPmNS0_8identityImEEEE10hipError_tT2_T3_mT4_P12ihipStream_tbEUlT_E_NS1_11comp_targetILNS1_3genE9ELNS1_11target_archE1100ELNS1_3gpuE3ELNS1_3repE0EEENS1_30default_config_static_selectorELNS0_4arch9wavefront6targetE1EEEvT1_.has_recursion, 0
	.set _ZN7rocprim17ROCPRIM_400000_NS6detail17trampoline_kernelINS0_14default_configENS1_25transform_config_selectorImLb0EEEZNS1_14transform_implILb0ES3_S5_NS0_17constant_iteratorImlEEPmNS0_8identityImEEEE10hipError_tT2_T3_mT4_P12ihipStream_tbEUlT_E_NS1_11comp_targetILNS1_3genE9ELNS1_11target_archE1100ELNS1_3gpuE3ELNS1_3repE0EEENS1_30default_config_static_selectorELNS0_4arch9wavefront6targetE1EEEvT1_.has_indirect_call, 0
	.section	.AMDGPU.csdata,"",@progbits
; Kernel info:
; codeLenInByte = 0
; TotalNumSgprs: 4
; NumVgprs: 0
; ScratchSize: 0
; MemoryBound: 0
; FloatMode: 240
; IeeeMode: 1
; LDSByteSize: 0 bytes/workgroup (compile time only)
; SGPRBlocks: 0
; VGPRBlocks: 0
; NumSGPRsForWavesPerEU: 4
; NumVGPRsForWavesPerEU: 1
; Occupancy: 10
; WaveLimiterHint : 0
; COMPUTE_PGM_RSRC2:SCRATCH_EN: 0
; COMPUTE_PGM_RSRC2:USER_SGPR: 6
; COMPUTE_PGM_RSRC2:TRAP_HANDLER: 0
; COMPUTE_PGM_RSRC2:TGID_X_EN: 1
; COMPUTE_PGM_RSRC2:TGID_Y_EN: 0
; COMPUTE_PGM_RSRC2:TGID_Z_EN: 0
; COMPUTE_PGM_RSRC2:TIDIG_COMP_CNT: 0
	.section	.text._ZN7rocprim17ROCPRIM_400000_NS6detail17trampoline_kernelINS0_14default_configENS1_25transform_config_selectorImLb0EEEZNS1_14transform_implILb0ES3_S5_NS0_17constant_iteratorImlEEPmNS0_8identityImEEEE10hipError_tT2_T3_mT4_P12ihipStream_tbEUlT_E_NS1_11comp_targetILNS1_3genE8ELNS1_11target_archE1030ELNS1_3gpuE2ELNS1_3repE0EEENS1_30default_config_static_selectorELNS0_4arch9wavefront6targetE1EEEvT1_,"axG",@progbits,_ZN7rocprim17ROCPRIM_400000_NS6detail17trampoline_kernelINS0_14default_configENS1_25transform_config_selectorImLb0EEEZNS1_14transform_implILb0ES3_S5_NS0_17constant_iteratorImlEEPmNS0_8identityImEEEE10hipError_tT2_T3_mT4_P12ihipStream_tbEUlT_E_NS1_11comp_targetILNS1_3genE8ELNS1_11target_archE1030ELNS1_3gpuE2ELNS1_3repE0EEENS1_30default_config_static_selectorELNS0_4arch9wavefront6targetE1EEEvT1_,comdat
	.protected	_ZN7rocprim17ROCPRIM_400000_NS6detail17trampoline_kernelINS0_14default_configENS1_25transform_config_selectorImLb0EEEZNS1_14transform_implILb0ES3_S5_NS0_17constant_iteratorImlEEPmNS0_8identityImEEEE10hipError_tT2_T3_mT4_P12ihipStream_tbEUlT_E_NS1_11comp_targetILNS1_3genE8ELNS1_11target_archE1030ELNS1_3gpuE2ELNS1_3repE0EEENS1_30default_config_static_selectorELNS0_4arch9wavefront6targetE1EEEvT1_ ; -- Begin function _ZN7rocprim17ROCPRIM_400000_NS6detail17trampoline_kernelINS0_14default_configENS1_25transform_config_selectorImLb0EEEZNS1_14transform_implILb0ES3_S5_NS0_17constant_iteratorImlEEPmNS0_8identityImEEEE10hipError_tT2_T3_mT4_P12ihipStream_tbEUlT_E_NS1_11comp_targetILNS1_3genE8ELNS1_11target_archE1030ELNS1_3gpuE2ELNS1_3repE0EEENS1_30default_config_static_selectorELNS0_4arch9wavefront6targetE1EEEvT1_
	.globl	_ZN7rocprim17ROCPRIM_400000_NS6detail17trampoline_kernelINS0_14default_configENS1_25transform_config_selectorImLb0EEEZNS1_14transform_implILb0ES3_S5_NS0_17constant_iteratorImlEEPmNS0_8identityImEEEE10hipError_tT2_T3_mT4_P12ihipStream_tbEUlT_E_NS1_11comp_targetILNS1_3genE8ELNS1_11target_archE1030ELNS1_3gpuE2ELNS1_3repE0EEENS1_30default_config_static_selectorELNS0_4arch9wavefront6targetE1EEEvT1_
	.p2align	8
	.type	_ZN7rocprim17ROCPRIM_400000_NS6detail17trampoline_kernelINS0_14default_configENS1_25transform_config_selectorImLb0EEEZNS1_14transform_implILb0ES3_S5_NS0_17constant_iteratorImlEEPmNS0_8identityImEEEE10hipError_tT2_T3_mT4_P12ihipStream_tbEUlT_E_NS1_11comp_targetILNS1_3genE8ELNS1_11target_archE1030ELNS1_3gpuE2ELNS1_3repE0EEENS1_30default_config_static_selectorELNS0_4arch9wavefront6targetE1EEEvT1_,@function
_ZN7rocprim17ROCPRIM_400000_NS6detail17trampoline_kernelINS0_14default_configENS1_25transform_config_selectorImLb0EEEZNS1_14transform_implILb0ES3_S5_NS0_17constant_iteratorImlEEPmNS0_8identityImEEEE10hipError_tT2_T3_mT4_P12ihipStream_tbEUlT_E_NS1_11comp_targetILNS1_3genE8ELNS1_11target_archE1030ELNS1_3gpuE2ELNS1_3repE0EEENS1_30default_config_static_selectorELNS0_4arch9wavefront6targetE1EEEvT1_: ; @_ZN7rocprim17ROCPRIM_400000_NS6detail17trampoline_kernelINS0_14default_configENS1_25transform_config_selectorImLb0EEEZNS1_14transform_implILb0ES3_S5_NS0_17constant_iteratorImlEEPmNS0_8identityImEEEE10hipError_tT2_T3_mT4_P12ihipStream_tbEUlT_E_NS1_11comp_targetILNS1_3genE8ELNS1_11target_archE1030ELNS1_3gpuE2ELNS1_3repE0EEENS1_30default_config_static_selectorELNS0_4arch9wavefront6targetE1EEEvT1_
; %bb.0:
	.section	.rodata,"a",@progbits
	.p2align	6, 0x0
	.amdhsa_kernel _ZN7rocprim17ROCPRIM_400000_NS6detail17trampoline_kernelINS0_14default_configENS1_25transform_config_selectorImLb0EEEZNS1_14transform_implILb0ES3_S5_NS0_17constant_iteratorImlEEPmNS0_8identityImEEEE10hipError_tT2_T3_mT4_P12ihipStream_tbEUlT_E_NS1_11comp_targetILNS1_3genE8ELNS1_11target_archE1030ELNS1_3gpuE2ELNS1_3repE0EEENS1_30default_config_static_selectorELNS0_4arch9wavefront6targetE1EEEvT1_
		.amdhsa_group_segment_fixed_size 0
		.amdhsa_private_segment_fixed_size 0
		.amdhsa_kernarg_size 48
		.amdhsa_user_sgpr_count 6
		.amdhsa_user_sgpr_private_segment_buffer 1
		.amdhsa_user_sgpr_dispatch_ptr 0
		.amdhsa_user_sgpr_queue_ptr 0
		.amdhsa_user_sgpr_kernarg_segment_ptr 1
		.amdhsa_user_sgpr_dispatch_id 0
		.amdhsa_user_sgpr_flat_scratch_init 0
		.amdhsa_user_sgpr_private_segment_size 0
		.amdhsa_uses_dynamic_stack 0
		.amdhsa_system_sgpr_private_segment_wavefront_offset 0
		.amdhsa_system_sgpr_workgroup_id_x 1
		.amdhsa_system_sgpr_workgroup_id_y 0
		.amdhsa_system_sgpr_workgroup_id_z 0
		.amdhsa_system_sgpr_workgroup_info 0
		.amdhsa_system_vgpr_workitem_id 0
		.amdhsa_next_free_vgpr 1
		.amdhsa_next_free_sgpr 0
		.amdhsa_reserve_vcc 0
		.amdhsa_reserve_flat_scratch 0
		.amdhsa_float_round_mode_32 0
		.amdhsa_float_round_mode_16_64 0
		.amdhsa_float_denorm_mode_32 3
		.amdhsa_float_denorm_mode_16_64 3
		.amdhsa_dx10_clamp 1
		.amdhsa_ieee_mode 1
		.amdhsa_fp16_overflow 0
		.amdhsa_exception_fp_ieee_invalid_op 0
		.amdhsa_exception_fp_denorm_src 0
		.amdhsa_exception_fp_ieee_div_zero 0
		.amdhsa_exception_fp_ieee_overflow 0
		.amdhsa_exception_fp_ieee_underflow 0
		.amdhsa_exception_fp_ieee_inexact 0
		.amdhsa_exception_int_div_zero 0
	.end_amdhsa_kernel
	.section	.text._ZN7rocprim17ROCPRIM_400000_NS6detail17trampoline_kernelINS0_14default_configENS1_25transform_config_selectorImLb0EEEZNS1_14transform_implILb0ES3_S5_NS0_17constant_iteratorImlEEPmNS0_8identityImEEEE10hipError_tT2_T3_mT4_P12ihipStream_tbEUlT_E_NS1_11comp_targetILNS1_3genE8ELNS1_11target_archE1030ELNS1_3gpuE2ELNS1_3repE0EEENS1_30default_config_static_selectorELNS0_4arch9wavefront6targetE1EEEvT1_,"axG",@progbits,_ZN7rocprim17ROCPRIM_400000_NS6detail17trampoline_kernelINS0_14default_configENS1_25transform_config_selectorImLb0EEEZNS1_14transform_implILb0ES3_S5_NS0_17constant_iteratorImlEEPmNS0_8identityImEEEE10hipError_tT2_T3_mT4_P12ihipStream_tbEUlT_E_NS1_11comp_targetILNS1_3genE8ELNS1_11target_archE1030ELNS1_3gpuE2ELNS1_3repE0EEENS1_30default_config_static_selectorELNS0_4arch9wavefront6targetE1EEEvT1_,comdat
.Lfunc_end362:
	.size	_ZN7rocprim17ROCPRIM_400000_NS6detail17trampoline_kernelINS0_14default_configENS1_25transform_config_selectorImLb0EEEZNS1_14transform_implILb0ES3_S5_NS0_17constant_iteratorImlEEPmNS0_8identityImEEEE10hipError_tT2_T3_mT4_P12ihipStream_tbEUlT_E_NS1_11comp_targetILNS1_3genE8ELNS1_11target_archE1030ELNS1_3gpuE2ELNS1_3repE0EEENS1_30default_config_static_selectorELNS0_4arch9wavefront6targetE1EEEvT1_, .Lfunc_end362-_ZN7rocprim17ROCPRIM_400000_NS6detail17trampoline_kernelINS0_14default_configENS1_25transform_config_selectorImLb0EEEZNS1_14transform_implILb0ES3_S5_NS0_17constant_iteratorImlEEPmNS0_8identityImEEEE10hipError_tT2_T3_mT4_P12ihipStream_tbEUlT_E_NS1_11comp_targetILNS1_3genE8ELNS1_11target_archE1030ELNS1_3gpuE2ELNS1_3repE0EEENS1_30default_config_static_selectorELNS0_4arch9wavefront6targetE1EEEvT1_
                                        ; -- End function
	.set _ZN7rocprim17ROCPRIM_400000_NS6detail17trampoline_kernelINS0_14default_configENS1_25transform_config_selectorImLb0EEEZNS1_14transform_implILb0ES3_S5_NS0_17constant_iteratorImlEEPmNS0_8identityImEEEE10hipError_tT2_T3_mT4_P12ihipStream_tbEUlT_E_NS1_11comp_targetILNS1_3genE8ELNS1_11target_archE1030ELNS1_3gpuE2ELNS1_3repE0EEENS1_30default_config_static_selectorELNS0_4arch9wavefront6targetE1EEEvT1_.num_vgpr, 0
	.set _ZN7rocprim17ROCPRIM_400000_NS6detail17trampoline_kernelINS0_14default_configENS1_25transform_config_selectorImLb0EEEZNS1_14transform_implILb0ES3_S5_NS0_17constant_iteratorImlEEPmNS0_8identityImEEEE10hipError_tT2_T3_mT4_P12ihipStream_tbEUlT_E_NS1_11comp_targetILNS1_3genE8ELNS1_11target_archE1030ELNS1_3gpuE2ELNS1_3repE0EEENS1_30default_config_static_selectorELNS0_4arch9wavefront6targetE1EEEvT1_.num_agpr, 0
	.set _ZN7rocprim17ROCPRIM_400000_NS6detail17trampoline_kernelINS0_14default_configENS1_25transform_config_selectorImLb0EEEZNS1_14transform_implILb0ES3_S5_NS0_17constant_iteratorImlEEPmNS0_8identityImEEEE10hipError_tT2_T3_mT4_P12ihipStream_tbEUlT_E_NS1_11comp_targetILNS1_3genE8ELNS1_11target_archE1030ELNS1_3gpuE2ELNS1_3repE0EEENS1_30default_config_static_selectorELNS0_4arch9wavefront6targetE1EEEvT1_.numbered_sgpr, 0
	.set _ZN7rocprim17ROCPRIM_400000_NS6detail17trampoline_kernelINS0_14default_configENS1_25transform_config_selectorImLb0EEEZNS1_14transform_implILb0ES3_S5_NS0_17constant_iteratorImlEEPmNS0_8identityImEEEE10hipError_tT2_T3_mT4_P12ihipStream_tbEUlT_E_NS1_11comp_targetILNS1_3genE8ELNS1_11target_archE1030ELNS1_3gpuE2ELNS1_3repE0EEENS1_30default_config_static_selectorELNS0_4arch9wavefront6targetE1EEEvT1_.num_named_barrier, 0
	.set _ZN7rocprim17ROCPRIM_400000_NS6detail17trampoline_kernelINS0_14default_configENS1_25transform_config_selectorImLb0EEEZNS1_14transform_implILb0ES3_S5_NS0_17constant_iteratorImlEEPmNS0_8identityImEEEE10hipError_tT2_T3_mT4_P12ihipStream_tbEUlT_E_NS1_11comp_targetILNS1_3genE8ELNS1_11target_archE1030ELNS1_3gpuE2ELNS1_3repE0EEENS1_30default_config_static_selectorELNS0_4arch9wavefront6targetE1EEEvT1_.private_seg_size, 0
	.set _ZN7rocprim17ROCPRIM_400000_NS6detail17trampoline_kernelINS0_14default_configENS1_25transform_config_selectorImLb0EEEZNS1_14transform_implILb0ES3_S5_NS0_17constant_iteratorImlEEPmNS0_8identityImEEEE10hipError_tT2_T3_mT4_P12ihipStream_tbEUlT_E_NS1_11comp_targetILNS1_3genE8ELNS1_11target_archE1030ELNS1_3gpuE2ELNS1_3repE0EEENS1_30default_config_static_selectorELNS0_4arch9wavefront6targetE1EEEvT1_.uses_vcc, 0
	.set _ZN7rocprim17ROCPRIM_400000_NS6detail17trampoline_kernelINS0_14default_configENS1_25transform_config_selectorImLb0EEEZNS1_14transform_implILb0ES3_S5_NS0_17constant_iteratorImlEEPmNS0_8identityImEEEE10hipError_tT2_T3_mT4_P12ihipStream_tbEUlT_E_NS1_11comp_targetILNS1_3genE8ELNS1_11target_archE1030ELNS1_3gpuE2ELNS1_3repE0EEENS1_30default_config_static_selectorELNS0_4arch9wavefront6targetE1EEEvT1_.uses_flat_scratch, 0
	.set _ZN7rocprim17ROCPRIM_400000_NS6detail17trampoline_kernelINS0_14default_configENS1_25transform_config_selectorImLb0EEEZNS1_14transform_implILb0ES3_S5_NS0_17constant_iteratorImlEEPmNS0_8identityImEEEE10hipError_tT2_T3_mT4_P12ihipStream_tbEUlT_E_NS1_11comp_targetILNS1_3genE8ELNS1_11target_archE1030ELNS1_3gpuE2ELNS1_3repE0EEENS1_30default_config_static_selectorELNS0_4arch9wavefront6targetE1EEEvT1_.has_dyn_sized_stack, 0
	.set _ZN7rocprim17ROCPRIM_400000_NS6detail17trampoline_kernelINS0_14default_configENS1_25transform_config_selectorImLb0EEEZNS1_14transform_implILb0ES3_S5_NS0_17constant_iteratorImlEEPmNS0_8identityImEEEE10hipError_tT2_T3_mT4_P12ihipStream_tbEUlT_E_NS1_11comp_targetILNS1_3genE8ELNS1_11target_archE1030ELNS1_3gpuE2ELNS1_3repE0EEENS1_30default_config_static_selectorELNS0_4arch9wavefront6targetE1EEEvT1_.has_recursion, 0
	.set _ZN7rocprim17ROCPRIM_400000_NS6detail17trampoline_kernelINS0_14default_configENS1_25transform_config_selectorImLb0EEEZNS1_14transform_implILb0ES3_S5_NS0_17constant_iteratorImlEEPmNS0_8identityImEEEE10hipError_tT2_T3_mT4_P12ihipStream_tbEUlT_E_NS1_11comp_targetILNS1_3genE8ELNS1_11target_archE1030ELNS1_3gpuE2ELNS1_3repE0EEENS1_30default_config_static_selectorELNS0_4arch9wavefront6targetE1EEEvT1_.has_indirect_call, 0
	.section	.AMDGPU.csdata,"",@progbits
; Kernel info:
; codeLenInByte = 0
; TotalNumSgprs: 4
; NumVgprs: 0
; ScratchSize: 0
; MemoryBound: 0
; FloatMode: 240
; IeeeMode: 1
; LDSByteSize: 0 bytes/workgroup (compile time only)
; SGPRBlocks: 0
; VGPRBlocks: 0
; NumSGPRsForWavesPerEU: 4
; NumVGPRsForWavesPerEU: 1
; Occupancy: 10
; WaveLimiterHint : 0
; COMPUTE_PGM_RSRC2:SCRATCH_EN: 0
; COMPUTE_PGM_RSRC2:USER_SGPR: 6
; COMPUTE_PGM_RSRC2:TRAP_HANDLER: 0
; COMPUTE_PGM_RSRC2:TGID_X_EN: 1
; COMPUTE_PGM_RSRC2:TGID_Y_EN: 0
; COMPUTE_PGM_RSRC2:TGID_Z_EN: 0
; COMPUTE_PGM_RSRC2:TIDIG_COMP_CNT: 0
	.section	.text._ZN7rocprim17ROCPRIM_400000_NS6detail25reduce_by_key_init_kernelINS1_19lookback_scan_stateINS0_5tupleIJjlEEELb0ELb0EEElNS1_16block_id_wrapperIjLb0EEEEEvT_jbjPmPT0_T1_,"axG",@progbits,_ZN7rocprim17ROCPRIM_400000_NS6detail25reduce_by_key_init_kernelINS1_19lookback_scan_stateINS0_5tupleIJjlEEELb0ELb0EEElNS1_16block_id_wrapperIjLb0EEEEEvT_jbjPmPT0_T1_,comdat
	.protected	_ZN7rocprim17ROCPRIM_400000_NS6detail25reduce_by_key_init_kernelINS1_19lookback_scan_stateINS0_5tupleIJjlEEELb0ELb0EEElNS1_16block_id_wrapperIjLb0EEEEEvT_jbjPmPT0_T1_ ; -- Begin function _ZN7rocprim17ROCPRIM_400000_NS6detail25reduce_by_key_init_kernelINS1_19lookback_scan_stateINS0_5tupleIJjlEEELb0ELb0EEElNS1_16block_id_wrapperIjLb0EEEEEvT_jbjPmPT0_T1_
	.globl	_ZN7rocprim17ROCPRIM_400000_NS6detail25reduce_by_key_init_kernelINS1_19lookback_scan_stateINS0_5tupleIJjlEEELb0ELb0EEElNS1_16block_id_wrapperIjLb0EEEEEvT_jbjPmPT0_T1_
	.p2align	8
	.type	_ZN7rocprim17ROCPRIM_400000_NS6detail25reduce_by_key_init_kernelINS1_19lookback_scan_stateINS0_5tupleIJjlEEELb0ELb0EEElNS1_16block_id_wrapperIjLb0EEEEEvT_jbjPmPT0_T1_,@function
_ZN7rocprim17ROCPRIM_400000_NS6detail25reduce_by_key_init_kernelINS1_19lookback_scan_stateINS0_5tupleIJjlEEELb0ELb0EEElNS1_16block_id_wrapperIjLb0EEEEEvT_jbjPmPT0_T1_: ; @_ZN7rocprim17ROCPRIM_400000_NS6detail25reduce_by_key_init_kernelINS1_19lookback_scan_stateINS0_5tupleIJjlEEELb0ELb0EEElNS1_16block_id_wrapperIjLb0EEEEEvT_jbjPmPT0_T1_
; %bb.0:
	s_load_dwordx8 s[8:15], s[4:5], 0x18
	s_load_dword s0, s[4:5], 0x4c
	s_load_dwordx2 s[16:17], s[4:5], 0x10
	s_waitcnt lgkmcnt(0)
	s_and_b32 s1, s9, 1
	s_and_b32 s0, s0, 0xffff
	s_mul_i32 s6, s6, s0
	s_cmp_eq_u32 s1, 0
	v_add_u32_e32 v0, s6, v0
	s_mov_b64 s[0:1], -1
	s_cbranch_scc1 .LBB363_5
; %bb.1:
	s_andn2_b64 vcc, exec, s[0:1]
	s_cbranch_vccz .LBB363_10
.LBB363_2:
	v_cmp_gt_u32_e32 vcc, s8, v0
	s_and_saveexec_b64 s[0:1], vcc
	s_cbranch_execnz .LBB363_13
.LBB363_3:
	s_or_b64 exec, exec, s[0:1]
	v_cmp_gt_u32_e32 vcc, 64, v0
	s_and_saveexec_b64 s[0:1], vcc
	s_cbranch_execnz .LBB363_14
.LBB363_4:
	s_endpgm
.LBB363_5:
	s_cmp_lt_u32 s10, s8
	s_cselect_b32 s0, s10, 0
	v_cmp_eq_u32_e32 vcc, s0, v0
	s_and_saveexec_b64 s[6:7], vcc
	s_cbranch_execz .LBB363_9
; %bb.6:
	s_add_i32 s10, s10, 64
	v_mov_b32_e32 v1, s10
	global_load_ubyte v2, v1, s[16:17] glc
	s_load_dwordx4 s[0:3], s[4:5], 0x0
	v_mov_b32_e32 v1, 0
	s_add_u32 s4, s16, s10
	s_mov_b32 s11, 0
	s_addc_u32 s5, s17, 0
	s_waitcnt vmcnt(0)
	v_cmp_ne_u32_sdwa s[18:19], v2, v1 src0_sel:WORD_0 src1_sel:DWORD
	s_and_b64 vcc, exec, s[18:19]
	v_readfirstlane_b32 s9, v2
	s_cbranch_vccnz .LBB363_8
.LBB363_7:                              ; =>This Inner Loop Header: Depth=1
	global_load_ubyte v2, v1, s[4:5] glc
	s_waitcnt vmcnt(0)
	v_cmp_eq_u32_sdwa s[18:19], v2, v1 src0_sel:WORD_0 src1_sel:DWORD
	s_and_b64 vcc, exec, s[18:19]
	v_readfirstlane_b32 s9, v2
	s_cbranch_vccnz .LBB363_7
.LBB363_8:
	s_and_b32 s4, 0xffff, s9
	s_cmp_eq_u32 s4, 1
	s_waitcnt lgkmcnt(0)
	s_cselect_b32 s3, s1, s3
	s_cselect_b32 s2, s0, s2
	s_lshl_b64 s[0:1], s[10:11], 4
	s_add_u32 s0, s2, s0
	v_mov_b32_e32 v5, 0
	s_addc_u32 s1, s3, s1
	buffer_wbinvl1_vol
	global_load_dword v6, v5, s[0:1]
	global_load_dwordx2 v[1:2], v5, s[12:13]
	global_load_dwordx2 v[3:4], v5, s[0:1] offset:8
	s_waitcnt vmcnt(1)
	v_add_co_u32_e32 v1, vcc, v1, v6
	v_addc_co_u32_e32 v2, vcc, 0, v2, vcc
	global_store_dwordx2 v5, v[1:2], s[12:13]
	s_waitcnt vmcnt(1)
	global_store_dwordx2 v5, v[3:4], s[14:15]
.LBB363_9:
	s_or_b64 exec, exec, s[6:7]
	s_cbranch_execnz .LBB363_2
.LBB363_10:
	s_cmp_lg_u64 s[12:13], 0
	s_cselect_b64 s[0:1], -1, 0
	v_cmp_eq_u32_e32 vcc, 0, v0
	s_and_b64 s[2:3], s[0:1], vcc
	s_and_saveexec_b64 s[0:1], s[2:3]
	s_cbranch_execz .LBB363_12
; %bb.11:
	v_mov_b32_e32 v1, 0
	v_mov_b32_e32 v2, v1
	global_store_dwordx2 v1, v[1:2], s[12:13]
.LBB363_12:
	s_or_b64 exec, exec, s[0:1]
	v_cmp_gt_u32_e32 vcc, s8, v0
	s_and_saveexec_b64 s[0:1], vcc
	s_cbranch_execz .LBB363_3
.LBB363_13:
	v_add_u32_e32 v1, 64, v0
	v_mov_b32_e32 v2, 0
	global_store_byte v1, v2, s[16:17]
	s_or_b64 exec, exec, s[0:1]
	v_cmp_gt_u32_e32 vcc, 64, v0
	s_and_saveexec_b64 s[0:1], vcc
	s_cbranch_execz .LBB363_4
.LBB363_14:
	v_mov_b32_e32 v1, 0xff
	global_store_byte v0, v1, s[16:17]
	s_endpgm
	.section	.rodata,"a",@progbits
	.p2align	6, 0x0
	.amdhsa_kernel _ZN7rocprim17ROCPRIM_400000_NS6detail25reduce_by_key_init_kernelINS1_19lookback_scan_stateINS0_5tupleIJjlEEELb0ELb0EEElNS1_16block_id_wrapperIjLb0EEEEEvT_jbjPmPT0_T1_
		.amdhsa_group_segment_fixed_size 0
		.amdhsa_private_segment_fixed_size 0
		.amdhsa_kernarg_size 320
		.amdhsa_user_sgpr_count 6
		.amdhsa_user_sgpr_private_segment_buffer 1
		.amdhsa_user_sgpr_dispatch_ptr 0
		.amdhsa_user_sgpr_queue_ptr 0
		.amdhsa_user_sgpr_kernarg_segment_ptr 1
		.amdhsa_user_sgpr_dispatch_id 0
		.amdhsa_user_sgpr_flat_scratch_init 0
		.amdhsa_user_sgpr_private_segment_size 0
		.amdhsa_uses_dynamic_stack 0
		.amdhsa_system_sgpr_private_segment_wavefront_offset 0
		.amdhsa_system_sgpr_workgroup_id_x 1
		.amdhsa_system_sgpr_workgroup_id_y 0
		.amdhsa_system_sgpr_workgroup_id_z 0
		.amdhsa_system_sgpr_workgroup_info 0
		.amdhsa_system_vgpr_workitem_id 0
		.amdhsa_next_free_vgpr 7
		.amdhsa_next_free_sgpr 20
		.amdhsa_reserve_vcc 1
		.amdhsa_reserve_flat_scratch 0
		.amdhsa_float_round_mode_32 0
		.amdhsa_float_round_mode_16_64 0
		.amdhsa_float_denorm_mode_32 3
		.amdhsa_float_denorm_mode_16_64 3
		.amdhsa_dx10_clamp 1
		.amdhsa_ieee_mode 1
		.amdhsa_fp16_overflow 0
		.amdhsa_exception_fp_ieee_invalid_op 0
		.amdhsa_exception_fp_denorm_src 0
		.amdhsa_exception_fp_ieee_div_zero 0
		.amdhsa_exception_fp_ieee_overflow 0
		.amdhsa_exception_fp_ieee_underflow 0
		.amdhsa_exception_fp_ieee_inexact 0
		.amdhsa_exception_int_div_zero 0
	.end_amdhsa_kernel
	.section	.text._ZN7rocprim17ROCPRIM_400000_NS6detail25reduce_by_key_init_kernelINS1_19lookback_scan_stateINS0_5tupleIJjlEEELb0ELb0EEElNS1_16block_id_wrapperIjLb0EEEEEvT_jbjPmPT0_T1_,"axG",@progbits,_ZN7rocprim17ROCPRIM_400000_NS6detail25reduce_by_key_init_kernelINS1_19lookback_scan_stateINS0_5tupleIJjlEEELb0ELb0EEElNS1_16block_id_wrapperIjLb0EEEEEvT_jbjPmPT0_T1_,comdat
.Lfunc_end363:
	.size	_ZN7rocprim17ROCPRIM_400000_NS6detail25reduce_by_key_init_kernelINS1_19lookback_scan_stateINS0_5tupleIJjlEEELb0ELb0EEElNS1_16block_id_wrapperIjLb0EEEEEvT_jbjPmPT0_T1_, .Lfunc_end363-_ZN7rocprim17ROCPRIM_400000_NS6detail25reduce_by_key_init_kernelINS1_19lookback_scan_stateINS0_5tupleIJjlEEELb0ELb0EEElNS1_16block_id_wrapperIjLb0EEEEEvT_jbjPmPT0_T1_
                                        ; -- End function
	.set _ZN7rocprim17ROCPRIM_400000_NS6detail25reduce_by_key_init_kernelINS1_19lookback_scan_stateINS0_5tupleIJjlEEELb0ELb0EEElNS1_16block_id_wrapperIjLb0EEEEEvT_jbjPmPT0_T1_.num_vgpr, 7
	.set _ZN7rocprim17ROCPRIM_400000_NS6detail25reduce_by_key_init_kernelINS1_19lookback_scan_stateINS0_5tupleIJjlEEELb0ELb0EEElNS1_16block_id_wrapperIjLb0EEEEEvT_jbjPmPT0_T1_.num_agpr, 0
	.set _ZN7rocprim17ROCPRIM_400000_NS6detail25reduce_by_key_init_kernelINS1_19lookback_scan_stateINS0_5tupleIJjlEEELb0ELb0EEElNS1_16block_id_wrapperIjLb0EEEEEvT_jbjPmPT0_T1_.numbered_sgpr, 20
	.set _ZN7rocprim17ROCPRIM_400000_NS6detail25reduce_by_key_init_kernelINS1_19lookback_scan_stateINS0_5tupleIJjlEEELb0ELb0EEElNS1_16block_id_wrapperIjLb0EEEEEvT_jbjPmPT0_T1_.num_named_barrier, 0
	.set _ZN7rocprim17ROCPRIM_400000_NS6detail25reduce_by_key_init_kernelINS1_19lookback_scan_stateINS0_5tupleIJjlEEELb0ELb0EEElNS1_16block_id_wrapperIjLb0EEEEEvT_jbjPmPT0_T1_.private_seg_size, 0
	.set _ZN7rocprim17ROCPRIM_400000_NS6detail25reduce_by_key_init_kernelINS1_19lookback_scan_stateINS0_5tupleIJjlEEELb0ELb0EEElNS1_16block_id_wrapperIjLb0EEEEEvT_jbjPmPT0_T1_.uses_vcc, 1
	.set _ZN7rocprim17ROCPRIM_400000_NS6detail25reduce_by_key_init_kernelINS1_19lookback_scan_stateINS0_5tupleIJjlEEELb0ELb0EEElNS1_16block_id_wrapperIjLb0EEEEEvT_jbjPmPT0_T1_.uses_flat_scratch, 0
	.set _ZN7rocprim17ROCPRIM_400000_NS6detail25reduce_by_key_init_kernelINS1_19lookback_scan_stateINS0_5tupleIJjlEEELb0ELb0EEElNS1_16block_id_wrapperIjLb0EEEEEvT_jbjPmPT0_T1_.has_dyn_sized_stack, 0
	.set _ZN7rocprim17ROCPRIM_400000_NS6detail25reduce_by_key_init_kernelINS1_19lookback_scan_stateINS0_5tupleIJjlEEELb0ELb0EEElNS1_16block_id_wrapperIjLb0EEEEEvT_jbjPmPT0_T1_.has_recursion, 0
	.set _ZN7rocprim17ROCPRIM_400000_NS6detail25reduce_by_key_init_kernelINS1_19lookback_scan_stateINS0_5tupleIJjlEEELb0ELb0EEElNS1_16block_id_wrapperIjLb0EEEEEvT_jbjPmPT0_T1_.has_indirect_call, 0
	.section	.AMDGPU.csdata,"",@progbits
; Kernel info:
; codeLenInByte = 436
; TotalNumSgprs: 24
; NumVgprs: 7
; ScratchSize: 0
; MemoryBound: 0
; FloatMode: 240
; IeeeMode: 1
; LDSByteSize: 0 bytes/workgroup (compile time only)
; SGPRBlocks: 2
; VGPRBlocks: 1
; NumSGPRsForWavesPerEU: 24
; NumVGPRsForWavesPerEU: 7
; Occupancy: 10
; WaveLimiterHint : 0
; COMPUTE_PGM_RSRC2:SCRATCH_EN: 0
; COMPUTE_PGM_RSRC2:USER_SGPR: 6
; COMPUTE_PGM_RSRC2:TRAP_HANDLER: 0
; COMPUTE_PGM_RSRC2:TGID_X_EN: 1
; COMPUTE_PGM_RSRC2:TGID_Y_EN: 0
; COMPUTE_PGM_RSRC2:TGID_Z_EN: 0
; COMPUTE_PGM_RSRC2:TIDIG_COMP_CNT: 0
	.section	.text._ZN7rocprim17ROCPRIM_400000_NS6detail17trampoline_kernelINS0_14default_configENS1_29reduce_by_key_config_selectorIhlN6thrust23THRUST_200600_302600_NS4plusIlEEEEZZNS1_33reduce_by_key_impl_wrapped_configILNS1_25lookback_scan_determinismE0ES3_S9_PhNS6_17constant_iteratorIiNS6_11use_defaultESE_EENS6_10device_ptrIhEENSG_IlEEPmS8_NS6_8equal_toIhEEEE10hipError_tPvRmT2_T3_mT4_T5_T6_T7_T8_P12ihipStream_tbENKUlT_T0_E_clISt17integral_constantIbLb0EES13_EEDaSY_SZ_EUlSY_E_NS1_11comp_targetILNS1_3genE0ELNS1_11target_archE4294967295ELNS1_3gpuE0ELNS1_3repE0EEENS1_30default_config_static_selectorELNS0_4arch9wavefront6targetE1EEEvT1_,"axG",@progbits,_ZN7rocprim17ROCPRIM_400000_NS6detail17trampoline_kernelINS0_14default_configENS1_29reduce_by_key_config_selectorIhlN6thrust23THRUST_200600_302600_NS4plusIlEEEEZZNS1_33reduce_by_key_impl_wrapped_configILNS1_25lookback_scan_determinismE0ES3_S9_PhNS6_17constant_iteratorIiNS6_11use_defaultESE_EENS6_10device_ptrIhEENSG_IlEEPmS8_NS6_8equal_toIhEEEE10hipError_tPvRmT2_T3_mT4_T5_T6_T7_T8_P12ihipStream_tbENKUlT_T0_E_clISt17integral_constantIbLb0EES13_EEDaSY_SZ_EUlSY_E_NS1_11comp_targetILNS1_3genE0ELNS1_11target_archE4294967295ELNS1_3gpuE0ELNS1_3repE0EEENS1_30default_config_static_selectorELNS0_4arch9wavefront6targetE1EEEvT1_,comdat
	.protected	_ZN7rocprim17ROCPRIM_400000_NS6detail17trampoline_kernelINS0_14default_configENS1_29reduce_by_key_config_selectorIhlN6thrust23THRUST_200600_302600_NS4plusIlEEEEZZNS1_33reduce_by_key_impl_wrapped_configILNS1_25lookback_scan_determinismE0ES3_S9_PhNS6_17constant_iteratorIiNS6_11use_defaultESE_EENS6_10device_ptrIhEENSG_IlEEPmS8_NS6_8equal_toIhEEEE10hipError_tPvRmT2_T3_mT4_T5_T6_T7_T8_P12ihipStream_tbENKUlT_T0_E_clISt17integral_constantIbLb0EES13_EEDaSY_SZ_EUlSY_E_NS1_11comp_targetILNS1_3genE0ELNS1_11target_archE4294967295ELNS1_3gpuE0ELNS1_3repE0EEENS1_30default_config_static_selectorELNS0_4arch9wavefront6targetE1EEEvT1_ ; -- Begin function _ZN7rocprim17ROCPRIM_400000_NS6detail17trampoline_kernelINS0_14default_configENS1_29reduce_by_key_config_selectorIhlN6thrust23THRUST_200600_302600_NS4plusIlEEEEZZNS1_33reduce_by_key_impl_wrapped_configILNS1_25lookback_scan_determinismE0ES3_S9_PhNS6_17constant_iteratorIiNS6_11use_defaultESE_EENS6_10device_ptrIhEENSG_IlEEPmS8_NS6_8equal_toIhEEEE10hipError_tPvRmT2_T3_mT4_T5_T6_T7_T8_P12ihipStream_tbENKUlT_T0_E_clISt17integral_constantIbLb0EES13_EEDaSY_SZ_EUlSY_E_NS1_11comp_targetILNS1_3genE0ELNS1_11target_archE4294967295ELNS1_3gpuE0ELNS1_3repE0EEENS1_30default_config_static_selectorELNS0_4arch9wavefront6targetE1EEEvT1_
	.globl	_ZN7rocprim17ROCPRIM_400000_NS6detail17trampoline_kernelINS0_14default_configENS1_29reduce_by_key_config_selectorIhlN6thrust23THRUST_200600_302600_NS4plusIlEEEEZZNS1_33reduce_by_key_impl_wrapped_configILNS1_25lookback_scan_determinismE0ES3_S9_PhNS6_17constant_iteratorIiNS6_11use_defaultESE_EENS6_10device_ptrIhEENSG_IlEEPmS8_NS6_8equal_toIhEEEE10hipError_tPvRmT2_T3_mT4_T5_T6_T7_T8_P12ihipStream_tbENKUlT_T0_E_clISt17integral_constantIbLb0EES13_EEDaSY_SZ_EUlSY_E_NS1_11comp_targetILNS1_3genE0ELNS1_11target_archE4294967295ELNS1_3gpuE0ELNS1_3repE0EEENS1_30default_config_static_selectorELNS0_4arch9wavefront6targetE1EEEvT1_
	.p2align	8
	.type	_ZN7rocprim17ROCPRIM_400000_NS6detail17trampoline_kernelINS0_14default_configENS1_29reduce_by_key_config_selectorIhlN6thrust23THRUST_200600_302600_NS4plusIlEEEEZZNS1_33reduce_by_key_impl_wrapped_configILNS1_25lookback_scan_determinismE0ES3_S9_PhNS6_17constant_iteratorIiNS6_11use_defaultESE_EENS6_10device_ptrIhEENSG_IlEEPmS8_NS6_8equal_toIhEEEE10hipError_tPvRmT2_T3_mT4_T5_T6_T7_T8_P12ihipStream_tbENKUlT_T0_E_clISt17integral_constantIbLb0EES13_EEDaSY_SZ_EUlSY_E_NS1_11comp_targetILNS1_3genE0ELNS1_11target_archE4294967295ELNS1_3gpuE0ELNS1_3repE0EEENS1_30default_config_static_selectorELNS0_4arch9wavefront6targetE1EEEvT1_,@function
_ZN7rocprim17ROCPRIM_400000_NS6detail17trampoline_kernelINS0_14default_configENS1_29reduce_by_key_config_selectorIhlN6thrust23THRUST_200600_302600_NS4plusIlEEEEZZNS1_33reduce_by_key_impl_wrapped_configILNS1_25lookback_scan_determinismE0ES3_S9_PhNS6_17constant_iteratorIiNS6_11use_defaultESE_EENS6_10device_ptrIhEENSG_IlEEPmS8_NS6_8equal_toIhEEEE10hipError_tPvRmT2_T3_mT4_T5_T6_T7_T8_P12ihipStream_tbENKUlT_T0_E_clISt17integral_constantIbLb0EES13_EEDaSY_SZ_EUlSY_E_NS1_11comp_targetILNS1_3genE0ELNS1_11target_archE4294967295ELNS1_3gpuE0ELNS1_3repE0EEENS1_30default_config_static_selectorELNS0_4arch9wavefront6targetE1EEEvT1_: ; @_ZN7rocprim17ROCPRIM_400000_NS6detail17trampoline_kernelINS0_14default_configENS1_29reduce_by_key_config_selectorIhlN6thrust23THRUST_200600_302600_NS4plusIlEEEEZZNS1_33reduce_by_key_impl_wrapped_configILNS1_25lookback_scan_determinismE0ES3_S9_PhNS6_17constant_iteratorIiNS6_11use_defaultESE_EENS6_10device_ptrIhEENSG_IlEEPmS8_NS6_8equal_toIhEEEE10hipError_tPvRmT2_T3_mT4_T5_T6_T7_T8_P12ihipStream_tbENKUlT_T0_E_clISt17integral_constantIbLb0EES13_EEDaSY_SZ_EUlSY_E_NS1_11comp_targetILNS1_3genE0ELNS1_11target_archE4294967295ELNS1_3gpuE0ELNS1_3repE0EEENS1_30default_config_static_selectorELNS0_4arch9wavefront6targetE1EEEvT1_
; %bb.0:
	.section	.rodata,"a",@progbits
	.p2align	6, 0x0
	.amdhsa_kernel _ZN7rocprim17ROCPRIM_400000_NS6detail17trampoline_kernelINS0_14default_configENS1_29reduce_by_key_config_selectorIhlN6thrust23THRUST_200600_302600_NS4plusIlEEEEZZNS1_33reduce_by_key_impl_wrapped_configILNS1_25lookback_scan_determinismE0ES3_S9_PhNS6_17constant_iteratorIiNS6_11use_defaultESE_EENS6_10device_ptrIhEENSG_IlEEPmS8_NS6_8equal_toIhEEEE10hipError_tPvRmT2_T3_mT4_T5_T6_T7_T8_P12ihipStream_tbENKUlT_T0_E_clISt17integral_constantIbLb0EES13_EEDaSY_SZ_EUlSY_E_NS1_11comp_targetILNS1_3genE0ELNS1_11target_archE4294967295ELNS1_3gpuE0ELNS1_3repE0EEENS1_30default_config_static_selectorELNS0_4arch9wavefront6targetE1EEEvT1_
		.amdhsa_group_segment_fixed_size 0
		.amdhsa_private_segment_fixed_size 0
		.amdhsa_kernarg_size 144
		.amdhsa_user_sgpr_count 6
		.amdhsa_user_sgpr_private_segment_buffer 1
		.amdhsa_user_sgpr_dispatch_ptr 0
		.amdhsa_user_sgpr_queue_ptr 0
		.amdhsa_user_sgpr_kernarg_segment_ptr 1
		.amdhsa_user_sgpr_dispatch_id 0
		.amdhsa_user_sgpr_flat_scratch_init 0
		.amdhsa_user_sgpr_private_segment_size 0
		.amdhsa_uses_dynamic_stack 0
		.amdhsa_system_sgpr_private_segment_wavefront_offset 0
		.amdhsa_system_sgpr_workgroup_id_x 1
		.amdhsa_system_sgpr_workgroup_id_y 0
		.amdhsa_system_sgpr_workgroup_id_z 0
		.amdhsa_system_sgpr_workgroup_info 0
		.amdhsa_system_vgpr_workitem_id 0
		.amdhsa_next_free_vgpr 1
		.amdhsa_next_free_sgpr 0
		.amdhsa_reserve_vcc 0
		.amdhsa_reserve_flat_scratch 0
		.amdhsa_float_round_mode_32 0
		.amdhsa_float_round_mode_16_64 0
		.amdhsa_float_denorm_mode_32 3
		.amdhsa_float_denorm_mode_16_64 3
		.amdhsa_dx10_clamp 1
		.amdhsa_ieee_mode 1
		.amdhsa_fp16_overflow 0
		.amdhsa_exception_fp_ieee_invalid_op 0
		.amdhsa_exception_fp_denorm_src 0
		.amdhsa_exception_fp_ieee_div_zero 0
		.amdhsa_exception_fp_ieee_overflow 0
		.amdhsa_exception_fp_ieee_underflow 0
		.amdhsa_exception_fp_ieee_inexact 0
		.amdhsa_exception_int_div_zero 0
	.end_amdhsa_kernel
	.section	.text._ZN7rocprim17ROCPRIM_400000_NS6detail17trampoline_kernelINS0_14default_configENS1_29reduce_by_key_config_selectorIhlN6thrust23THRUST_200600_302600_NS4plusIlEEEEZZNS1_33reduce_by_key_impl_wrapped_configILNS1_25lookback_scan_determinismE0ES3_S9_PhNS6_17constant_iteratorIiNS6_11use_defaultESE_EENS6_10device_ptrIhEENSG_IlEEPmS8_NS6_8equal_toIhEEEE10hipError_tPvRmT2_T3_mT4_T5_T6_T7_T8_P12ihipStream_tbENKUlT_T0_E_clISt17integral_constantIbLb0EES13_EEDaSY_SZ_EUlSY_E_NS1_11comp_targetILNS1_3genE0ELNS1_11target_archE4294967295ELNS1_3gpuE0ELNS1_3repE0EEENS1_30default_config_static_selectorELNS0_4arch9wavefront6targetE1EEEvT1_,"axG",@progbits,_ZN7rocprim17ROCPRIM_400000_NS6detail17trampoline_kernelINS0_14default_configENS1_29reduce_by_key_config_selectorIhlN6thrust23THRUST_200600_302600_NS4plusIlEEEEZZNS1_33reduce_by_key_impl_wrapped_configILNS1_25lookback_scan_determinismE0ES3_S9_PhNS6_17constant_iteratorIiNS6_11use_defaultESE_EENS6_10device_ptrIhEENSG_IlEEPmS8_NS6_8equal_toIhEEEE10hipError_tPvRmT2_T3_mT4_T5_T6_T7_T8_P12ihipStream_tbENKUlT_T0_E_clISt17integral_constantIbLb0EES13_EEDaSY_SZ_EUlSY_E_NS1_11comp_targetILNS1_3genE0ELNS1_11target_archE4294967295ELNS1_3gpuE0ELNS1_3repE0EEENS1_30default_config_static_selectorELNS0_4arch9wavefront6targetE1EEEvT1_,comdat
.Lfunc_end364:
	.size	_ZN7rocprim17ROCPRIM_400000_NS6detail17trampoline_kernelINS0_14default_configENS1_29reduce_by_key_config_selectorIhlN6thrust23THRUST_200600_302600_NS4plusIlEEEEZZNS1_33reduce_by_key_impl_wrapped_configILNS1_25lookback_scan_determinismE0ES3_S9_PhNS6_17constant_iteratorIiNS6_11use_defaultESE_EENS6_10device_ptrIhEENSG_IlEEPmS8_NS6_8equal_toIhEEEE10hipError_tPvRmT2_T3_mT4_T5_T6_T7_T8_P12ihipStream_tbENKUlT_T0_E_clISt17integral_constantIbLb0EES13_EEDaSY_SZ_EUlSY_E_NS1_11comp_targetILNS1_3genE0ELNS1_11target_archE4294967295ELNS1_3gpuE0ELNS1_3repE0EEENS1_30default_config_static_selectorELNS0_4arch9wavefront6targetE1EEEvT1_, .Lfunc_end364-_ZN7rocprim17ROCPRIM_400000_NS6detail17trampoline_kernelINS0_14default_configENS1_29reduce_by_key_config_selectorIhlN6thrust23THRUST_200600_302600_NS4plusIlEEEEZZNS1_33reduce_by_key_impl_wrapped_configILNS1_25lookback_scan_determinismE0ES3_S9_PhNS6_17constant_iteratorIiNS6_11use_defaultESE_EENS6_10device_ptrIhEENSG_IlEEPmS8_NS6_8equal_toIhEEEE10hipError_tPvRmT2_T3_mT4_T5_T6_T7_T8_P12ihipStream_tbENKUlT_T0_E_clISt17integral_constantIbLb0EES13_EEDaSY_SZ_EUlSY_E_NS1_11comp_targetILNS1_3genE0ELNS1_11target_archE4294967295ELNS1_3gpuE0ELNS1_3repE0EEENS1_30default_config_static_selectorELNS0_4arch9wavefront6targetE1EEEvT1_
                                        ; -- End function
	.set _ZN7rocprim17ROCPRIM_400000_NS6detail17trampoline_kernelINS0_14default_configENS1_29reduce_by_key_config_selectorIhlN6thrust23THRUST_200600_302600_NS4plusIlEEEEZZNS1_33reduce_by_key_impl_wrapped_configILNS1_25lookback_scan_determinismE0ES3_S9_PhNS6_17constant_iteratorIiNS6_11use_defaultESE_EENS6_10device_ptrIhEENSG_IlEEPmS8_NS6_8equal_toIhEEEE10hipError_tPvRmT2_T3_mT4_T5_T6_T7_T8_P12ihipStream_tbENKUlT_T0_E_clISt17integral_constantIbLb0EES13_EEDaSY_SZ_EUlSY_E_NS1_11comp_targetILNS1_3genE0ELNS1_11target_archE4294967295ELNS1_3gpuE0ELNS1_3repE0EEENS1_30default_config_static_selectorELNS0_4arch9wavefront6targetE1EEEvT1_.num_vgpr, 0
	.set _ZN7rocprim17ROCPRIM_400000_NS6detail17trampoline_kernelINS0_14default_configENS1_29reduce_by_key_config_selectorIhlN6thrust23THRUST_200600_302600_NS4plusIlEEEEZZNS1_33reduce_by_key_impl_wrapped_configILNS1_25lookback_scan_determinismE0ES3_S9_PhNS6_17constant_iteratorIiNS6_11use_defaultESE_EENS6_10device_ptrIhEENSG_IlEEPmS8_NS6_8equal_toIhEEEE10hipError_tPvRmT2_T3_mT4_T5_T6_T7_T8_P12ihipStream_tbENKUlT_T0_E_clISt17integral_constantIbLb0EES13_EEDaSY_SZ_EUlSY_E_NS1_11comp_targetILNS1_3genE0ELNS1_11target_archE4294967295ELNS1_3gpuE0ELNS1_3repE0EEENS1_30default_config_static_selectorELNS0_4arch9wavefront6targetE1EEEvT1_.num_agpr, 0
	.set _ZN7rocprim17ROCPRIM_400000_NS6detail17trampoline_kernelINS0_14default_configENS1_29reduce_by_key_config_selectorIhlN6thrust23THRUST_200600_302600_NS4plusIlEEEEZZNS1_33reduce_by_key_impl_wrapped_configILNS1_25lookback_scan_determinismE0ES3_S9_PhNS6_17constant_iteratorIiNS6_11use_defaultESE_EENS6_10device_ptrIhEENSG_IlEEPmS8_NS6_8equal_toIhEEEE10hipError_tPvRmT2_T3_mT4_T5_T6_T7_T8_P12ihipStream_tbENKUlT_T0_E_clISt17integral_constantIbLb0EES13_EEDaSY_SZ_EUlSY_E_NS1_11comp_targetILNS1_3genE0ELNS1_11target_archE4294967295ELNS1_3gpuE0ELNS1_3repE0EEENS1_30default_config_static_selectorELNS0_4arch9wavefront6targetE1EEEvT1_.numbered_sgpr, 0
	.set _ZN7rocprim17ROCPRIM_400000_NS6detail17trampoline_kernelINS0_14default_configENS1_29reduce_by_key_config_selectorIhlN6thrust23THRUST_200600_302600_NS4plusIlEEEEZZNS1_33reduce_by_key_impl_wrapped_configILNS1_25lookback_scan_determinismE0ES3_S9_PhNS6_17constant_iteratorIiNS6_11use_defaultESE_EENS6_10device_ptrIhEENSG_IlEEPmS8_NS6_8equal_toIhEEEE10hipError_tPvRmT2_T3_mT4_T5_T6_T7_T8_P12ihipStream_tbENKUlT_T0_E_clISt17integral_constantIbLb0EES13_EEDaSY_SZ_EUlSY_E_NS1_11comp_targetILNS1_3genE0ELNS1_11target_archE4294967295ELNS1_3gpuE0ELNS1_3repE0EEENS1_30default_config_static_selectorELNS0_4arch9wavefront6targetE1EEEvT1_.num_named_barrier, 0
	.set _ZN7rocprim17ROCPRIM_400000_NS6detail17trampoline_kernelINS0_14default_configENS1_29reduce_by_key_config_selectorIhlN6thrust23THRUST_200600_302600_NS4plusIlEEEEZZNS1_33reduce_by_key_impl_wrapped_configILNS1_25lookback_scan_determinismE0ES3_S9_PhNS6_17constant_iteratorIiNS6_11use_defaultESE_EENS6_10device_ptrIhEENSG_IlEEPmS8_NS6_8equal_toIhEEEE10hipError_tPvRmT2_T3_mT4_T5_T6_T7_T8_P12ihipStream_tbENKUlT_T0_E_clISt17integral_constantIbLb0EES13_EEDaSY_SZ_EUlSY_E_NS1_11comp_targetILNS1_3genE0ELNS1_11target_archE4294967295ELNS1_3gpuE0ELNS1_3repE0EEENS1_30default_config_static_selectorELNS0_4arch9wavefront6targetE1EEEvT1_.private_seg_size, 0
	.set _ZN7rocprim17ROCPRIM_400000_NS6detail17trampoline_kernelINS0_14default_configENS1_29reduce_by_key_config_selectorIhlN6thrust23THRUST_200600_302600_NS4plusIlEEEEZZNS1_33reduce_by_key_impl_wrapped_configILNS1_25lookback_scan_determinismE0ES3_S9_PhNS6_17constant_iteratorIiNS6_11use_defaultESE_EENS6_10device_ptrIhEENSG_IlEEPmS8_NS6_8equal_toIhEEEE10hipError_tPvRmT2_T3_mT4_T5_T6_T7_T8_P12ihipStream_tbENKUlT_T0_E_clISt17integral_constantIbLb0EES13_EEDaSY_SZ_EUlSY_E_NS1_11comp_targetILNS1_3genE0ELNS1_11target_archE4294967295ELNS1_3gpuE0ELNS1_3repE0EEENS1_30default_config_static_selectorELNS0_4arch9wavefront6targetE1EEEvT1_.uses_vcc, 0
	.set _ZN7rocprim17ROCPRIM_400000_NS6detail17trampoline_kernelINS0_14default_configENS1_29reduce_by_key_config_selectorIhlN6thrust23THRUST_200600_302600_NS4plusIlEEEEZZNS1_33reduce_by_key_impl_wrapped_configILNS1_25lookback_scan_determinismE0ES3_S9_PhNS6_17constant_iteratorIiNS6_11use_defaultESE_EENS6_10device_ptrIhEENSG_IlEEPmS8_NS6_8equal_toIhEEEE10hipError_tPvRmT2_T3_mT4_T5_T6_T7_T8_P12ihipStream_tbENKUlT_T0_E_clISt17integral_constantIbLb0EES13_EEDaSY_SZ_EUlSY_E_NS1_11comp_targetILNS1_3genE0ELNS1_11target_archE4294967295ELNS1_3gpuE0ELNS1_3repE0EEENS1_30default_config_static_selectorELNS0_4arch9wavefront6targetE1EEEvT1_.uses_flat_scratch, 0
	.set _ZN7rocprim17ROCPRIM_400000_NS6detail17trampoline_kernelINS0_14default_configENS1_29reduce_by_key_config_selectorIhlN6thrust23THRUST_200600_302600_NS4plusIlEEEEZZNS1_33reduce_by_key_impl_wrapped_configILNS1_25lookback_scan_determinismE0ES3_S9_PhNS6_17constant_iteratorIiNS6_11use_defaultESE_EENS6_10device_ptrIhEENSG_IlEEPmS8_NS6_8equal_toIhEEEE10hipError_tPvRmT2_T3_mT4_T5_T6_T7_T8_P12ihipStream_tbENKUlT_T0_E_clISt17integral_constantIbLb0EES13_EEDaSY_SZ_EUlSY_E_NS1_11comp_targetILNS1_3genE0ELNS1_11target_archE4294967295ELNS1_3gpuE0ELNS1_3repE0EEENS1_30default_config_static_selectorELNS0_4arch9wavefront6targetE1EEEvT1_.has_dyn_sized_stack, 0
	.set _ZN7rocprim17ROCPRIM_400000_NS6detail17trampoline_kernelINS0_14default_configENS1_29reduce_by_key_config_selectorIhlN6thrust23THRUST_200600_302600_NS4plusIlEEEEZZNS1_33reduce_by_key_impl_wrapped_configILNS1_25lookback_scan_determinismE0ES3_S9_PhNS6_17constant_iteratorIiNS6_11use_defaultESE_EENS6_10device_ptrIhEENSG_IlEEPmS8_NS6_8equal_toIhEEEE10hipError_tPvRmT2_T3_mT4_T5_T6_T7_T8_P12ihipStream_tbENKUlT_T0_E_clISt17integral_constantIbLb0EES13_EEDaSY_SZ_EUlSY_E_NS1_11comp_targetILNS1_3genE0ELNS1_11target_archE4294967295ELNS1_3gpuE0ELNS1_3repE0EEENS1_30default_config_static_selectorELNS0_4arch9wavefront6targetE1EEEvT1_.has_recursion, 0
	.set _ZN7rocprim17ROCPRIM_400000_NS6detail17trampoline_kernelINS0_14default_configENS1_29reduce_by_key_config_selectorIhlN6thrust23THRUST_200600_302600_NS4plusIlEEEEZZNS1_33reduce_by_key_impl_wrapped_configILNS1_25lookback_scan_determinismE0ES3_S9_PhNS6_17constant_iteratorIiNS6_11use_defaultESE_EENS6_10device_ptrIhEENSG_IlEEPmS8_NS6_8equal_toIhEEEE10hipError_tPvRmT2_T3_mT4_T5_T6_T7_T8_P12ihipStream_tbENKUlT_T0_E_clISt17integral_constantIbLb0EES13_EEDaSY_SZ_EUlSY_E_NS1_11comp_targetILNS1_3genE0ELNS1_11target_archE4294967295ELNS1_3gpuE0ELNS1_3repE0EEENS1_30default_config_static_selectorELNS0_4arch9wavefront6targetE1EEEvT1_.has_indirect_call, 0
	.section	.AMDGPU.csdata,"",@progbits
; Kernel info:
; codeLenInByte = 0
; TotalNumSgprs: 4
; NumVgprs: 0
; ScratchSize: 0
; MemoryBound: 0
; FloatMode: 240
; IeeeMode: 1
; LDSByteSize: 0 bytes/workgroup (compile time only)
; SGPRBlocks: 0
; VGPRBlocks: 0
; NumSGPRsForWavesPerEU: 4
; NumVGPRsForWavesPerEU: 1
; Occupancy: 10
; WaveLimiterHint : 0
; COMPUTE_PGM_RSRC2:SCRATCH_EN: 0
; COMPUTE_PGM_RSRC2:USER_SGPR: 6
; COMPUTE_PGM_RSRC2:TRAP_HANDLER: 0
; COMPUTE_PGM_RSRC2:TGID_X_EN: 1
; COMPUTE_PGM_RSRC2:TGID_Y_EN: 0
; COMPUTE_PGM_RSRC2:TGID_Z_EN: 0
; COMPUTE_PGM_RSRC2:TIDIG_COMP_CNT: 0
	.section	.text._ZN7rocprim17ROCPRIM_400000_NS6detail17trampoline_kernelINS0_14default_configENS1_29reduce_by_key_config_selectorIhlN6thrust23THRUST_200600_302600_NS4plusIlEEEEZZNS1_33reduce_by_key_impl_wrapped_configILNS1_25lookback_scan_determinismE0ES3_S9_PhNS6_17constant_iteratorIiNS6_11use_defaultESE_EENS6_10device_ptrIhEENSG_IlEEPmS8_NS6_8equal_toIhEEEE10hipError_tPvRmT2_T3_mT4_T5_T6_T7_T8_P12ihipStream_tbENKUlT_T0_E_clISt17integral_constantIbLb0EES13_EEDaSY_SZ_EUlSY_E_NS1_11comp_targetILNS1_3genE5ELNS1_11target_archE942ELNS1_3gpuE9ELNS1_3repE0EEENS1_30default_config_static_selectorELNS0_4arch9wavefront6targetE1EEEvT1_,"axG",@progbits,_ZN7rocprim17ROCPRIM_400000_NS6detail17trampoline_kernelINS0_14default_configENS1_29reduce_by_key_config_selectorIhlN6thrust23THRUST_200600_302600_NS4plusIlEEEEZZNS1_33reduce_by_key_impl_wrapped_configILNS1_25lookback_scan_determinismE0ES3_S9_PhNS6_17constant_iteratorIiNS6_11use_defaultESE_EENS6_10device_ptrIhEENSG_IlEEPmS8_NS6_8equal_toIhEEEE10hipError_tPvRmT2_T3_mT4_T5_T6_T7_T8_P12ihipStream_tbENKUlT_T0_E_clISt17integral_constantIbLb0EES13_EEDaSY_SZ_EUlSY_E_NS1_11comp_targetILNS1_3genE5ELNS1_11target_archE942ELNS1_3gpuE9ELNS1_3repE0EEENS1_30default_config_static_selectorELNS0_4arch9wavefront6targetE1EEEvT1_,comdat
	.protected	_ZN7rocprim17ROCPRIM_400000_NS6detail17trampoline_kernelINS0_14default_configENS1_29reduce_by_key_config_selectorIhlN6thrust23THRUST_200600_302600_NS4plusIlEEEEZZNS1_33reduce_by_key_impl_wrapped_configILNS1_25lookback_scan_determinismE0ES3_S9_PhNS6_17constant_iteratorIiNS6_11use_defaultESE_EENS6_10device_ptrIhEENSG_IlEEPmS8_NS6_8equal_toIhEEEE10hipError_tPvRmT2_T3_mT4_T5_T6_T7_T8_P12ihipStream_tbENKUlT_T0_E_clISt17integral_constantIbLb0EES13_EEDaSY_SZ_EUlSY_E_NS1_11comp_targetILNS1_3genE5ELNS1_11target_archE942ELNS1_3gpuE9ELNS1_3repE0EEENS1_30default_config_static_selectorELNS0_4arch9wavefront6targetE1EEEvT1_ ; -- Begin function _ZN7rocprim17ROCPRIM_400000_NS6detail17trampoline_kernelINS0_14default_configENS1_29reduce_by_key_config_selectorIhlN6thrust23THRUST_200600_302600_NS4plusIlEEEEZZNS1_33reduce_by_key_impl_wrapped_configILNS1_25lookback_scan_determinismE0ES3_S9_PhNS6_17constant_iteratorIiNS6_11use_defaultESE_EENS6_10device_ptrIhEENSG_IlEEPmS8_NS6_8equal_toIhEEEE10hipError_tPvRmT2_T3_mT4_T5_T6_T7_T8_P12ihipStream_tbENKUlT_T0_E_clISt17integral_constantIbLb0EES13_EEDaSY_SZ_EUlSY_E_NS1_11comp_targetILNS1_3genE5ELNS1_11target_archE942ELNS1_3gpuE9ELNS1_3repE0EEENS1_30default_config_static_selectorELNS0_4arch9wavefront6targetE1EEEvT1_
	.globl	_ZN7rocprim17ROCPRIM_400000_NS6detail17trampoline_kernelINS0_14default_configENS1_29reduce_by_key_config_selectorIhlN6thrust23THRUST_200600_302600_NS4plusIlEEEEZZNS1_33reduce_by_key_impl_wrapped_configILNS1_25lookback_scan_determinismE0ES3_S9_PhNS6_17constant_iteratorIiNS6_11use_defaultESE_EENS6_10device_ptrIhEENSG_IlEEPmS8_NS6_8equal_toIhEEEE10hipError_tPvRmT2_T3_mT4_T5_T6_T7_T8_P12ihipStream_tbENKUlT_T0_E_clISt17integral_constantIbLb0EES13_EEDaSY_SZ_EUlSY_E_NS1_11comp_targetILNS1_3genE5ELNS1_11target_archE942ELNS1_3gpuE9ELNS1_3repE0EEENS1_30default_config_static_selectorELNS0_4arch9wavefront6targetE1EEEvT1_
	.p2align	8
	.type	_ZN7rocprim17ROCPRIM_400000_NS6detail17trampoline_kernelINS0_14default_configENS1_29reduce_by_key_config_selectorIhlN6thrust23THRUST_200600_302600_NS4plusIlEEEEZZNS1_33reduce_by_key_impl_wrapped_configILNS1_25lookback_scan_determinismE0ES3_S9_PhNS6_17constant_iteratorIiNS6_11use_defaultESE_EENS6_10device_ptrIhEENSG_IlEEPmS8_NS6_8equal_toIhEEEE10hipError_tPvRmT2_T3_mT4_T5_T6_T7_T8_P12ihipStream_tbENKUlT_T0_E_clISt17integral_constantIbLb0EES13_EEDaSY_SZ_EUlSY_E_NS1_11comp_targetILNS1_3genE5ELNS1_11target_archE942ELNS1_3gpuE9ELNS1_3repE0EEENS1_30default_config_static_selectorELNS0_4arch9wavefront6targetE1EEEvT1_,@function
_ZN7rocprim17ROCPRIM_400000_NS6detail17trampoline_kernelINS0_14default_configENS1_29reduce_by_key_config_selectorIhlN6thrust23THRUST_200600_302600_NS4plusIlEEEEZZNS1_33reduce_by_key_impl_wrapped_configILNS1_25lookback_scan_determinismE0ES3_S9_PhNS6_17constant_iteratorIiNS6_11use_defaultESE_EENS6_10device_ptrIhEENSG_IlEEPmS8_NS6_8equal_toIhEEEE10hipError_tPvRmT2_T3_mT4_T5_T6_T7_T8_P12ihipStream_tbENKUlT_T0_E_clISt17integral_constantIbLb0EES13_EEDaSY_SZ_EUlSY_E_NS1_11comp_targetILNS1_3genE5ELNS1_11target_archE942ELNS1_3gpuE9ELNS1_3repE0EEENS1_30default_config_static_selectorELNS0_4arch9wavefront6targetE1EEEvT1_: ; @_ZN7rocprim17ROCPRIM_400000_NS6detail17trampoline_kernelINS0_14default_configENS1_29reduce_by_key_config_selectorIhlN6thrust23THRUST_200600_302600_NS4plusIlEEEEZZNS1_33reduce_by_key_impl_wrapped_configILNS1_25lookback_scan_determinismE0ES3_S9_PhNS6_17constant_iteratorIiNS6_11use_defaultESE_EENS6_10device_ptrIhEENSG_IlEEPmS8_NS6_8equal_toIhEEEE10hipError_tPvRmT2_T3_mT4_T5_T6_T7_T8_P12ihipStream_tbENKUlT_T0_E_clISt17integral_constantIbLb0EES13_EEDaSY_SZ_EUlSY_E_NS1_11comp_targetILNS1_3genE5ELNS1_11target_archE942ELNS1_3gpuE9ELNS1_3repE0EEENS1_30default_config_static_selectorELNS0_4arch9wavefront6targetE1EEEvT1_
; %bb.0:
	.section	.rodata,"a",@progbits
	.p2align	6, 0x0
	.amdhsa_kernel _ZN7rocprim17ROCPRIM_400000_NS6detail17trampoline_kernelINS0_14default_configENS1_29reduce_by_key_config_selectorIhlN6thrust23THRUST_200600_302600_NS4plusIlEEEEZZNS1_33reduce_by_key_impl_wrapped_configILNS1_25lookback_scan_determinismE0ES3_S9_PhNS6_17constant_iteratorIiNS6_11use_defaultESE_EENS6_10device_ptrIhEENSG_IlEEPmS8_NS6_8equal_toIhEEEE10hipError_tPvRmT2_T3_mT4_T5_T6_T7_T8_P12ihipStream_tbENKUlT_T0_E_clISt17integral_constantIbLb0EES13_EEDaSY_SZ_EUlSY_E_NS1_11comp_targetILNS1_3genE5ELNS1_11target_archE942ELNS1_3gpuE9ELNS1_3repE0EEENS1_30default_config_static_selectorELNS0_4arch9wavefront6targetE1EEEvT1_
		.amdhsa_group_segment_fixed_size 0
		.amdhsa_private_segment_fixed_size 0
		.amdhsa_kernarg_size 144
		.amdhsa_user_sgpr_count 6
		.amdhsa_user_sgpr_private_segment_buffer 1
		.amdhsa_user_sgpr_dispatch_ptr 0
		.amdhsa_user_sgpr_queue_ptr 0
		.amdhsa_user_sgpr_kernarg_segment_ptr 1
		.amdhsa_user_sgpr_dispatch_id 0
		.amdhsa_user_sgpr_flat_scratch_init 0
		.amdhsa_user_sgpr_private_segment_size 0
		.amdhsa_uses_dynamic_stack 0
		.amdhsa_system_sgpr_private_segment_wavefront_offset 0
		.amdhsa_system_sgpr_workgroup_id_x 1
		.amdhsa_system_sgpr_workgroup_id_y 0
		.amdhsa_system_sgpr_workgroup_id_z 0
		.amdhsa_system_sgpr_workgroup_info 0
		.amdhsa_system_vgpr_workitem_id 0
		.amdhsa_next_free_vgpr 1
		.amdhsa_next_free_sgpr 0
		.amdhsa_reserve_vcc 0
		.amdhsa_reserve_flat_scratch 0
		.amdhsa_float_round_mode_32 0
		.amdhsa_float_round_mode_16_64 0
		.amdhsa_float_denorm_mode_32 3
		.amdhsa_float_denorm_mode_16_64 3
		.amdhsa_dx10_clamp 1
		.amdhsa_ieee_mode 1
		.amdhsa_fp16_overflow 0
		.amdhsa_exception_fp_ieee_invalid_op 0
		.amdhsa_exception_fp_denorm_src 0
		.amdhsa_exception_fp_ieee_div_zero 0
		.amdhsa_exception_fp_ieee_overflow 0
		.amdhsa_exception_fp_ieee_underflow 0
		.amdhsa_exception_fp_ieee_inexact 0
		.amdhsa_exception_int_div_zero 0
	.end_amdhsa_kernel
	.section	.text._ZN7rocprim17ROCPRIM_400000_NS6detail17trampoline_kernelINS0_14default_configENS1_29reduce_by_key_config_selectorIhlN6thrust23THRUST_200600_302600_NS4plusIlEEEEZZNS1_33reduce_by_key_impl_wrapped_configILNS1_25lookback_scan_determinismE0ES3_S9_PhNS6_17constant_iteratorIiNS6_11use_defaultESE_EENS6_10device_ptrIhEENSG_IlEEPmS8_NS6_8equal_toIhEEEE10hipError_tPvRmT2_T3_mT4_T5_T6_T7_T8_P12ihipStream_tbENKUlT_T0_E_clISt17integral_constantIbLb0EES13_EEDaSY_SZ_EUlSY_E_NS1_11comp_targetILNS1_3genE5ELNS1_11target_archE942ELNS1_3gpuE9ELNS1_3repE0EEENS1_30default_config_static_selectorELNS0_4arch9wavefront6targetE1EEEvT1_,"axG",@progbits,_ZN7rocprim17ROCPRIM_400000_NS6detail17trampoline_kernelINS0_14default_configENS1_29reduce_by_key_config_selectorIhlN6thrust23THRUST_200600_302600_NS4plusIlEEEEZZNS1_33reduce_by_key_impl_wrapped_configILNS1_25lookback_scan_determinismE0ES3_S9_PhNS6_17constant_iteratorIiNS6_11use_defaultESE_EENS6_10device_ptrIhEENSG_IlEEPmS8_NS6_8equal_toIhEEEE10hipError_tPvRmT2_T3_mT4_T5_T6_T7_T8_P12ihipStream_tbENKUlT_T0_E_clISt17integral_constantIbLb0EES13_EEDaSY_SZ_EUlSY_E_NS1_11comp_targetILNS1_3genE5ELNS1_11target_archE942ELNS1_3gpuE9ELNS1_3repE0EEENS1_30default_config_static_selectorELNS0_4arch9wavefront6targetE1EEEvT1_,comdat
.Lfunc_end365:
	.size	_ZN7rocprim17ROCPRIM_400000_NS6detail17trampoline_kernelINS0_14default_configENS1_29reduce_by_key_config_selectorIhlN6thrust23THRUST_200600_302600_NS4plusIlEEEEZZNS1_33reduce_by_key_impl_wrapped_configILNS1_25lookback_scan_determinismE0ES3_S9_PhNS6_17constant_iteratorIiNS6_11use_defaultESE_EENS6_10device_ptrIhEENSG_IlEEPmS8_NS6_8equal_toIhEEEE10hipError_tPvRmT2_T3_mT4_T5_T6_T7_T8_P12ihipStream_tbENKUlT_T0_E_clISt17integral_constantIbLb0EES13_EEDaSY_SZ_EUlSY_E_NS1_11comp_targetILNS1_3genE5ELNS1_11target_archE942ELNS1_3gpuE9ELNS1_3repE0EEENS1_30default_config_static_selectorELNS0_4arch9wavefront6targetE1EEEvT1_, .Lfunc_end365-_ZN7rocprim17ROCPRIM_400000_NS6detail17trampoline_kernelINS0_14default_configENS1_29reduce_by_key_config_selectorIhlN6thrust23THRUST_200600_302600_NS4plusIlEEEEZZNS1_33reduce_by_key_impl_wrapped_configILNS1_25lookback_scan_determinismE0ES3_S9_PhNS6_17constant_iteratorIiNS6_11use_defaultESE_EENS6_10device_ptrIhEENSG_IlEEPmS8_NS6_8equal_toIhEEEE10hipError_tPvRmT2_T3_mT4_T5_T6_T7_T8_P12ihipStream_tbENKUlT_T0_E_clISt17integral_constantIbLb0EES13_EEDaSY_SZ_EUlSY_E_NS1_11comp_targetILNS1_3genE5ELNS1_11target_archE942ELNS1_3gpuE9ELNS1_3repE0EEENS1_30default_config_static_selectorELNS0_4arch9wavefront6targetE1EEEvT1_
                                        ; -- End function
	.set _ZN7rocprim17ROCPRIM_400000_NS6detail17trampoline_kernelINS0_14default_configENS1_29reduce_by_key_config_selectorIhlN6thrust23THRUST_200600_302600_NS4plusIlEEEEZZNS1_33reduce_by_key_impl_wrapped_configILNS1_25lookback_scan_determinismE0ES3_S9_PhNS6_17constant_iteratorIiNS6_11use_defaultESE_EENS6_10device_ptrIhEENSG_IlEEPmS8_NS6_8equal_toIhEEEE10hipError_tPvRmT2_T3_mT4_T5_T6_T7_T8_P12ihipStream_tbENKUlT_T0_E_clISt17integral_constantIbLb0EES13_EEDaSY_SZ_EUlSY_E_NS1_11comp_targetILNS1_3genE5ELNS1_11target_archE942ELNS1_3gpuE9ELNS1_3repE0EEENS1_30default_config_static_selectorELNS0_4arch9wavefront6targetE1EEEvT1_.num_vgpr, 0
	.set _ZN7rocprim17ROCPRIM_400000_NS6detail17trampoline_kernelINS0_14default_configENS1_29reduce_by_key_config_selectorIhlN6thrust23THRUST_200600_302600_NS4plusIlEEEEZZNS1_33reduce_by_key_impl_wrapped_configILNS1_25lookback_scan_determinismE0ES3_S9_PhNS6_17constant_iteratorIiNS6_11use_defaultESE_EENS6_10device_ptrIhEENSG_IlEEPmS8_NS6_8equal_toIhEEEE10hipError_tPvRmT2_T3_mT4_T5_T6_T7_T8_P12ihipStream_tbENKUlT_T0_E_clISt17integral_constantIbLb0EES13_EEDaSY_SZ_EUlSY_E_NS1_11comp_targetILNS1_3genE5ELNS1_11target_archE942ELNS1_3gpuE9ELNS1_3repE0EEENS1_30default_config_static_selectorELNS0_4arch9wavefront6targetE1EEEvT1_.num_agpr, 0
	.set _ZN7rocprim17ROCPRIM_400000_NS6detail17trampoline_kernelINS0_14default_configENS1_29reduce_by_key_config_selectorIhlN6thrust23THRUST_200600_302600_NS4plusIlEEEEZZNS1_33reduce_by_key_impl_wrapped_configILNS1_25lookback_scan_determinismE0ES3_S9_PhNS6_17constant_iteratorIiNS6_11use_defaultESE_EENS6_10device_ptrIhEENSG_IlEEPmS8_NS6_8equal_toIhEEEE10hipError_tPvRmT2_T3_mT4_T5_T6_T7_T8_P12ihipStream_tbENKUlT_T0_E_clISt17integral_constantIbLb0EES13_EEDaSY_SZ_EUlSY_E_NS1_11comp_targetILNS1_3genE5ELNS1_11target_archE942ELNS1_3gpuE9ELNS1_3repE0EEENS1_30default_config_static_selectorELNS0_4arch9wavefront6targetE1EEEvT1_.numbered_sgpr, 0
	.set _ZN7rocprim17ROCPRIM_400000_NS6detail17trampoline_kernelINS0_14default_configENS1_29reduce_by_key_config_selectorIhlN6thrust23THRUST_200600_302600_NS4plusIlEEEEZZNS1_33reduce_by_key_impl_wrapped_configILNS1_25lookback_scan_determinismE0ES3_S9_PhNS6_17constant_iteratorIiNS6_11use_defaultESE_EENS6_10device_ptrIhEENSG_IlEEPmS8_NS6_8equal_toIhEEEE10hipError_tPvRmT2_T3_mT4_T5_T6_T7_T8_P12ihipStream_tbENKUlT_T0_E_clISt17integral_constantIbLb0EES13_EEDaSY_SZ_EUlSY_E_NS1_11comp_targetILNS1_3genE5ELNS1_11target_archE942ELNS1_3gpuE9ELNS1_3repE0EEENS1_30default_config_static_selectorELNS0_4arch9wavefront6targetE1EEEvT1_.num_named_barrier, 0
	.set _ZN7rocprim17ROCPRIM_400000_NS6detail17trampoline_kernelINS0_14default_configENS1_29reduce_by_key_config_selectorIhlN6thrust23THRUST_200600_302600_NS4plusIlEEEEZZNS1_33reduce_by_key_impl_wrapped_configILNS1_25lookback_scan_determinismE0ES3_S9_PhNS6_17constant_iteratorIiNS6_11use_defaultESE_EENS6_10device_ptrIhEENSG_IlEEPmS8_NS6_8equal_toIhEEEE10hipError_tPvRmT2_T3_mT4_T5_T6_T7_T8_P12ihipStream_tbENKUlT_T0_E_clISt17integral_constantIbLb0EES13_EEDaSY_SZ_EUlSY_E_NS1_11comp_targetILNS1_3genE5ELNS1_11target_archE942ELNS1_3gpuE9ELNS1_3repE0EEENS1_30default_config_static_selectorELNS0_4arch9wavefront6targetE1EEEvT1_.private_seg_size, 0
	.set _ZN7rocprim17ROCPRIM_400000_NS6detail17trampoline_kernelINS0_14default_configENS1_29reduce_by_key_config_selectorIhlN6thrust23THRUST_200600_302600_NS4plusIlEEEEZZNS1_33reduce_by_key_impl_wrapped_configILNS1_25lookback_scan_determinismE0ES3_S9_PhNS6_17constant_iteratorIiNS6_11use_defaultESE_EENS6_10device_ptrIhEENSG_IlEEPmS8_NS6_8equal_toIhEEEE10hipError_tPvRmT2_T3_mT4_T5_T6_T7_T8_P12ihipStream_tbENKUlT_T0_E_clISt17integral_constantIbLb0EES13_EEDaSY_SZ_EUlSY_E_NS1_11comp_targetILNS1_3genE5ELNS1_11target_archE942ELNS1_3gpuE9ELNS1_3repE0EEENS1_30default_config_static_selectorELNS0_4arch9wavefront6targetE1EEEvT1_.uses_vcc, 0
	.set _ZN7rocprim17ROCPRIM_400000_NS6detail17trampoline_kernelINS0_14default_configENS1_29reduce_by_key_config_selectorIhlN6thrust23THRUST_200600_302600_NS4plusIlEEEEZZNS1_33reduce_by_key_impl_wrapped_configILNS1_25lookback_scan_determinismE0ES3_S9_PhNS6_17constant_iteratorIiNS6_11use_defaultESE_EENS6_10device_ptrIhEENSG_IlEEPmS8_NS6_8equal_toIhEEEE10hipError_tPvRmT2_T3_mT4_T5_T6_T7_T8_P12ihipStream_tbENKUlT_T0_E_clISt17integral_constantIbLb0EES13_EEDaSY_SZ_EUlSY_E_NS1_11comp_targetILNS1_3genE5ELNS1_11target_archE942ELNS1_3gpuE9ELNS1_3repE0EEENS1_30default_config_static_selectorELNS0_4arch9wavefront6targetE1EEEvT1_.uses_flat_scratch, 0
	.set _ZN7rocprim17ROCPRIM_400000_NS6detail17trampoline_kernelINS0_14default_configENS1_29reduce_by_key_config_selectorIhlN6thrust23THRUST_200600_302600_NS4plusIlEEEEZZNS1_33reduce_by_key_impl_wrapped_configILNS1_25lookback_scan_determinismE0ES3_S9_PhNS6_17constant_iteratorIiNS6_11use_defaultESE_EENS6_10device_ptrIhEENSG_IlEEPmS8_NS6_8equal_toIhEEEE10hipError_tPvRmT2_T3_mT4_T5_T6_T7_T8_P12ihipStream_tbENKUlT_T0_E_clISt17integral_constantIbLb0EES13_EEDaSY_SZ_EUlSY_E_NS1_11comp_targetILNS1_3genE5ELNS1_11target_archE942ELNS1_3gpuE9ELNS1_3repE0EEENS1_30default_config_static_selectorELNS0_4arch9wavefront6targetE1EEEvT1_.has_dyn_sized_stack, 0
	.set _ZN7rocprim17ROCPRIM_400000_NS6detail17trampoline_kernelINS0_14default_configENS1_29reduce_by_key_config_selectorIhlN6thrust23THRUST_200600_302600_NS4plusIlEEEEZZNS1_33reduce_by_key_impl_wrapped_configILNS1_25lookback_scan_determinismE0ES3_S9_PhNS6_17constant_iteratorIiNS6_11use_defaultESE_EENS6_10device_ptrIhEENSG_IlEEPmS8_NS6_8equal_toIhEEEE10hipError_tPvRmT2_T3_mT4_T5_T6_T7_T8_P12ihipStream_tbENKUlT_T0_E_clISt17integral_constantIbLb0EES13_EEDaSY_SZ_EUlSY_E_NS1_11comp_targetILNS1_3genE5ELNS1_11target_archE942ELNS1_3gpuE9ELNS1_3repE0EEENS1_30default_config_static_selectorELNS0_4arch9wavefront6targetE1EEEvT1_.has_recursion, 0
	.set _ZN7rocprim17ROCPRIM_400000_NS6detail17trampoline_kernelINS0_14default_configENS1_29reduce_by_key_config_selectorIhlN6thrust23THRUST_200600_302600_NS4plusIlEEEEZZNS1_33reduce_by_key_impl_wrapped_configILNS1_25lookback_scan_determinismE0ES3_S9_PhNS6_17constant_iteratorIiNS6_11use_defaultESE_EENS6_10device_ptrIhEENSG_IlEEPmS8_NS6_8equal_toIhEEEE10hipError_tPvRmT2_T3_mT4_T5_T6_T7_T8_P12ihipStream_tbENKUlT_T0_E_clISt17integral_constantIbLb0EES13_EEDaSY_SZ_EUlSY_E_NS1_11comp_targetILNS1_3genE5ELNS1_11target_archE942ELNS1_3gpuE9ELNS1_3repE0EEENS1_30default_config_static_selectorELNS0_4arch9wavefront6targetE1EEEvT1_.has_indirect_call, 0
	.section	.AMDGPU.csdata,"",@progbits
; Kernel info:
; codeLenInByte = 0
; TotalNumSgprs: 4
; NumVgprs: 0
; ScratchSize: 0
; MemoryBound: 0
; FloatMode: 240
; IeeeMode: 1
; LDSByteSize: 0 bytes/workgroup (compile time only)
; SGPRBlocks: 0
; VGPRBlocks: 0
; NumSGPRsForWavesPerEU: 4
; NumVGPRsForWavesPerEU: 1
; Occupancy: 10
; WaveLimiterHint : 0
; COMPUTE_PGM_RSRC2:SCRATCH_EN: 0
; COMPUTE_PGM_RSRC2:USER_SGPR: 6
; COMPUTE_PGM_RSRC2:TRAP_HANDLER: 0
; COMPUTE_PGM_RSRC2:TGID_X_EN: 1
; COMPUTE_PGM_RSRC2:TGID_Y_EN: 0
; COMPUTE_PGM_RSRC2:TGID_Z_EN: 0
; COMPUTE_PGM_RSRC2:TIDIG_COMP_CNT: 0
	.section	.text._ZN7rocprim17ROCPRIM_400000_NS6detail17trampoline_kernelINS0_14default_configENS1_29reduce_by_key_config_selectorIhlN6thrust23THRUST_200600_302600_NS4plusIlEEEEZZNS1_33reduce_by_key_impl_wrapped_configILNS1_25lookback_scan_determinismE0ES3_S9_PhNS6_17constant_iteratorIiNS6_11use_defaultESE_EENS6_10device_ptrIhEENSG_IlEEPmS8_NS6_8equal_toIhEEEE10hipError_tPvRmT2_T3_mT4_T5_T6_T7_T8_P12ihipStream_tbENKUlT_T0_E_clISt17integral_constantIbLb0EES13_EEDaSY_SZ_EUlSY_E_NS1_11comp_targetILNS1_3genE4ELNS1_11target_archE910ELNS1_3gpuE8ELNS1_3repE0EEENS1_30default_config_static_selectorELNS0_4arch9wavefront6targetE1EEEvT1_,"axG",@progbits,_ZN7rocprim17ROCPRIM_400000_NS6detail17trampoline_kernelINS0_14default_configENS1_29reduce_by_key_config_selectorIhlN6thrust23THRUST_200600_302600_NS4plusIlEEEEZZNS1_33reduce_by_key_impl_wrapped_configILNS1_25lookback_scan_determinismE0ES3_S9_PhNS6_17constant_iteratorIiNS6_11use_defaultESE_EENS6_10device_ptrIhEENSG_IlEEPmS8_NS6_8equal_toIhEEEE10hipError_tPvRmT2_T3_mT4_T5_T6_T7_T8_P12ihipStream_tbENKUlT_T0_E_clISt17integral_constantIbLb0EES13_EEDaSY_SZ_EUlSY_E_NS1_11comp_targetILNS1_3genE4ELNS1_11target_archE910ELNS1_3gpuE8ELNS1_3repE0EEENS1_30default_config_static_selectorELNS0_4arch9wavefront6targetE1EEEvT1_,comdat
	.protected	_ZN7rocprim17ROCPRIM_400000_NS6detail17trampoline_kernelINS0_14default_configENS1_29reduce_by_key_config_selectorIhlN6thrust23THRUST_200600_302600_NS4plusIlEEEEZZNS1_33reduce_by_key_impl_wrapped_configILNS1_25lookback_scan_determinismE0ES3_S9_PhNS6_17constant_iteratorIiNS6_11use_defaultESE_EENS6_10device_ptrIhEENSG_IlEEPmS8_NS6_8equal_toIhEEEE10hipError_tPvRmT2_T3_mT4_T5_T6_T7_T8_P12ihipStream_tbENKUlT_T0_E_clISt17integral_constantIbLb0EES13_EEDaSY_SZ_EUlSY_E_NS1_11comp_targetILNS1_3genE4ELNS1_11target_archE910ELNS1_3gpuE8ELNS1_3repE0EEENS1_30default_config_static_selectorELNS0_4arch9wavefront6targetE1EEEvT1_ ; -- Begin function _ZN7rocprim17ROCPRIM_400000_NS6detail17trampoline_kernelINS0_14default_configENS1_29reduce_by_key_config_selectorIhlN6thrust23THRUST_200600_302600_NS4plusIlEEEEZZNS1_33reduce_by_key_impl_wrapped_configILNS1_25lookback_scan_determinismE0ES3_S9_PhNS6_17constant_iteratorIiNS6_11use_defaultESE_EENS6_10device_ptrIhEENSG_IlEEPmS8_NS6_8equal_toIhEEEE10hipError_tPvRmT2_T3_mT4_T5_T6_T7_T8_P12ihipStream_tbENKUlT_T0_E_clISt17integral_constantIbLb0EES13_EEDaSY_SZ_EUlSY_E_NS1_11comp_targetILNS1_3genE4ELNS1_11target_archE910ELNS1_3gpuE8ELNS1_3repE0EEENS1_30default_config_static_selectorELNS0_4arch9wavefront6targetE1EEEvT1_
	.globl	_ZN7rocprim17ROCPRIM_400000_NS6detail17trampoline_kernelINS0_14default_configENS1_29reduce_by_key_config_selectorIhlN6thrust23THRUST_200600_302600_NS4plusIlEEEEZZNS1_33reduce_by_key_impl_wrapped_configILNS1_25lookback_scan_determinismE0ES3_S9_PhNS6_17constant_iteratorIiNS6_11use_defaultESE_EENS6_10device_ptrIhEENSG_IlEEPmS8_NS6_8equal_toIhEEEE10hipError_tPvRmT2_T3_mT4_T5_T6_T7_T8_P12ihipStream_tbENKUlT_T0_E_clISt17integral_constantIbLb0EES13_EEDaSY_SZ_EUlSY_E_NS1_11comp_targetILNS1_3genE4ELNS1_11target_archE910ELNS1_3gpuE8ELNS1_3repE0EEENS1_30default_config_static_selectorELNS0_4arch9wavefront6targetE1EEEvT1_
	.p2align	8
	.type	_ZN7rocprim17ROCPRIM_400000_NS6detail17trampoline_kernelINS0_14default_configENS1_29reduce_by_key_config_selectorIhlN6thrust23THRUST_200600_302600_NS4plusIlEEEEZZNS1_33reduce_by_key_impl_wrapped_configILNS1_25lookback_scan_determinismE0ES3_S9_PhNS6_17constant_iteratorIiNS6_11use_defaultESE_EENS6_10device_ptrIhEENSG_IlEEPmS8_NS6_8equal_toIhEEEE10hipError_tPvRmT2_T3_mT4_T5_T6_T7_T8_P12ihipStream_tbENKUlT_T0_E_clISt17integral_constantIbLb0EES13_EEDaSY_SZ_EUlSY_E_NS1_11comp_targetILNS1_3genE4ELNS1_11target_archE910ELNS1_3gpuE8ELNS1_3repE0EEENS1_30default_config_static_selectorELNS0_4arch9wavefront6targetE1EEEvT1_,@function
_ZN7rocprim17ROCPRIM_400000_NS6detail17trampoline_kernelINS0_14default_configENS1_29reduce_by_key_config_selectorIhlN6thrust23THRUST_200600_302600_NS4plusIlEEEEZZNS1_33reduce_by_key_impl_wrapped_configILNS1_25lookback_scan_determinismE0ES3_S9_PhNS6_17constant_iteratorIiNS6_11use_defaultESE_EENS6_10device_ptrIhEENSG_IlEEPmS8_NS6_8equal_toIhEEEE10hipError_tPvRmT2_T3_mT4_T5_T6_T7_T8_P12ihipStream_tbENKUlT_T0_E_clISt17integral_constantIbLb0EES13_EEDaSY_SZ_EUlSY_E_NS1_11comp_targetILNS1_3genE4ELNS1_11target_archE910ELNS1_3gpuE8ELNS1_3repE0EEENS1_30default_config_static_selectorELNS0_4arch9wavefront6targetE1EEEvT1_: ; @_ZN7rocprim17ROCPRIM_400000_NS6detail17trampoline_kernelINS0_14default_configENS1_29reduce_by_key_config_selectorIhlN6thrust23THRUST_200600_302600_NS4plusIlEEEEZZNS1_33reduce_by_key_impl_wrapped_configILNS1_25lookback_scan_determinismE0ES3_S9_PhNS6_17constant_iteratorIiNS6_11use_defaultESE_EENS6_10device_ptrIhEENSG_IlEEPmS8_NS6_8equal_toIhEEEE10hipError_tPvRmT2_T3_mT4_T5_T6_T7_T8_P12ihipStream_tbENKUlT_T0_E_clISt17integral_constantIbLb0EES13_EEDaSY_SZ_EUlSY_E_NS1_11comp_targetILNS1_3genE4ELNS1_11target_archE910ELNS1_3gpuE8ELNS1_3repE0EEENS1_30default_config_static_selectorELNS0_4arch9wavefront6targetE1EEEvT1_
; %bb.0:
	.section	.rodata,"a",@progbits
	.p2align	6, 0x0
	.amdhsa_kernel _ZN7rocprim17ROCPRIM_400000_NS6detail17trampoline_kernelINS0_14default_configENS1_29reduce_by_key_config_selectorIhlN6thrust23THRUST_200600_302600_NS4plusIlEEEEZZNS1_33reduce_by_key_impl_wrapped_configILNS1_25lookback_scan_determinismE0ES3_S9_PhNS6_17constant_iteratorIiNS6_11use_defaultESE_EENS6_10device_ptrIhEENSG_IlEEPmS8_NS6_8equal_toIhEEEE10hipError_tPvRmT2_T3_mT4_T5_T6_T7_T8_P12ihipStream_tbENKUlT_T0_E_clISt17integral_constantIbLb0EES13_EEDaSY_SZ_EUlSY_E_NS1_11comp_targetILNS1_3genE4ELNS1_11target_archE910ELNS1_3gpuE8ELNS1_3repE0EEENS1_30default_config_static_selectorELNS0_4arch9wavefront6targetE1EEEvT1_
		.amdhsa_group_segment_fixed_size 0
		.amdhsa_private_segment_fixed_size 0
		.amdhsa_kernarg_size 144
		.amdhsa_user_sgpr_count 6
		.amdhsa_user_sgpr_private_segment_buffer 1
		.amdhsa_user_sgpr_dispatch_ptr 0
		.amdhsa_user_sgpr_queue_ptr 0
		.amdhsa_user_sgpr_kernarg_segment_ptr 1
		.amdhsa_user_sgpr_dispatch_id 0
		.amdhsa_user_sgpr_flat_scratch_init 0
		.amdhsa_user_sgpr_private_segment_size 0
		.amdhsa_uses_dynamic_stack 0
		.amdhsa_system_sgpr_private_segment_wavefront_offset 0
		.amdhsa_system_sgpr_workgroup_id_x 1
		.amdhsa_system_sgpr_workgroup_id_y 0
		.amdhsa_system_sgpr_workgroup_id_z 0
		.amdhsa_system_sgpr_workgroup_info 0
		.amdhsa_system_vgpr_workitem_id 0
		.amdhsa_next_free_vgpr 1
		.amdhsa_next_free_sgpr 0
		.amdhsa_reserve_vcc 0
		.amdhsa_reserve_flat_scratch 0
		.amdhsa_float_round_mode_32 0
		.amdhsa_float_round_mode_16_64 0
		.amdhsa_float_denorm_mode_32 3
		.amdhsa_float_denorm_mode_16_64 3
		.amdhsa_dx10_clamp 1
		.amdhsa_ieee_mode 1
		.amdhsa_fp16_overflow 0
		.amdhsa_exception_fp_ieee_invalid_op 0
		.amdhsa_exception_fp_denorm_src 0
		.amdhsa_exception_fp_ieee_div_zero 0
		.amdhsa_exception_fp_ieee_overflow 0
		.amdhsa_exception_fp_ieee_underflow 0
		.amdhsa_exception_fp_ieee_inexact 0
		.amdhsa_exception_int_div_zero 0
	.end_amdhsa_kernel
	.section	.text._ZN7rocprim17ROCPRIM_400000_NS6detail17trampoline_kernelINS0_14default_configENS1_29reduce_by_key_config_selectorIhlN6thrust23THRUST_200600_302600_NS4plusIlEEEEZZNS1_33reduce_by_key_impl_wrapped_configILNS1_25lookback_scan_determinismE0ES3_S9_PhNS6_17constant_iteratorIiNS6_11use_defaultESE_EENS6_10device_ptrIhEENSG_IlEEPmS8_NS6_8equal_toIhEEEE10hipError_tPvRmT2_T3_mT4_T5_T6_T7_T8_P12ihipStream_tbENKUlT_T0_E_clISt17integral_constantIbLb0EES13_EEDaSY_SZ_EUlSY_E_NS1_11comp_targetILNS1_3genE4ELNS1_11target_archE910ELNS1_3gpuE8ELNS1_3repE0EEENS1_30default_config_static_selectorELNS0_4arch9wavefront6targetE1EEEvT1_,"axG",@progbits,_ZN7rocprim17ROCPRIM_400000_NS6detail17trampoline_kernelINS0_14default_configENS1_29reduce_by_key_config_selectorIhlN6thrust23THRUST_200600_302600_NS4plusIlEEEEZZNS1_33reduce_by_key_impl_wrapped_configILNS1_25lookback_scan_determinismE0ES3_S9_PhNS6_17constant_iteratorIiNS6_11use_defaultESE_EENS6_10device_ptrIhEENSG_IlEEPmS8_NS6_8equal_toIhEEEE10hipError_tPvRmT2_T3_mT4_T5_T6_T7_T8_P12ihipStream_tbENKUlT_T0_E_clISt17integral_constantIbLb0EES13_EEDaSY_SZ_EUlSY_E_NS1_11comp_targetILNS1_3genE4ELNS1_11target_archE910ELNS1_3gpuE8ELNS1_3repE0EEENS1_30default_config_static_selectorELNS0_4arch9wavefront6targetE1EEEvT1_,comdat
.Lfunc_end366:
	.size	_ZN7rocprim17ROCPRIM_400000_NS6detail17trampoline_kernelINS0_14default_configENS1_29reduce_by_key_config_selectorIhlN6thrust23THRUST_200600_302600_NS4plusIlEEEEZZNS1_33reduce_by_key_impl_wrapped_configILNS1_25lookback_scan_determinismE0ES3_S9_PhNS6_17constant_iteratorIiNS6_11use_defaultESE_EENS6_10device_ptrIhEENSG_IlEEPmS8_NS6_8equal_toIhEEEE10hipError_tPvRmT2_T3_mT4_T5_T6_T7_T8_P12ihipStream_tbENKUlT_T0_E_clISt17integral_constantIbLb0EES13_EEDaSY_SZ_EUlSY_E_NS1_11comp_targetILNS1_3genE4ELNS1_11target_archE910ELNS1_3gpuE8ELNS1_3repE0EEENS1_30default_config_static_selectorELNS0_4arch9wavefront6targetE1EEEvT1_, .Lfunc_end366-_ZN7rocprim17ROCPRIM_400000_NS6detail17trampoline_kernelINS0_14default_configENS1_29reduce_by_key_config_selectorIhlN6thrust23THRUST_200600_302600_NS4plusIlEEEEZZNS1_33reduce_by_key_impl_wrapped_configILNS1_25lookback_scan_determinismE0ES3_S9_PhNS6_17constant_iteratorIiNS6_11use_defaultESE_EENS6_10device_ptrIhEENSG_IlEEPmS8_NS6_8equal_toIhEEEE10hipError_tPvRmT2_T3_mT4_T5_T6_T7_T8_P12ihipStream_tbENKUlT_T0_E_clISt17integral_constantIbLb0EES13_EEDaSY_SZ_EUlSY_E_NS1_11comp_targetILNS1_3genE4ELNS1_11target_archE910ELNS1_3gpuE8ELNS1_3repE0EEENS1_30default_config_static_selectorELNS0_4arch9wavefront6targetE1EEEvT1_
                                        ; -- End function
	.set _ZN7rocprim17ROCPRIM_400000_NS6detail17trampoline_kernelINS0_14default_configENS1_29reduce_by_key_config_selectorIhlN6thrust23THRUST_200600_302600_NS4plusIlEEEEZZNS1_33reduce_by_key_impl_wrapped_configILNS1_25lookback_scan_determinismE0ES3_S9_PhNS6_17constant_iteratorIiNS6_11use_defaultESE_EENS6_10device_ptrIhEENSG_IlEEPmS8_NS6_8equal_toIhEEEE10hipError_tPvRmT2_T3_mT4_T5_T6_T7_T8_P12ihipStream_tbENKUlT_T0_E_clISt17integral_constantIbLb0EES13_EEDaSY_SZ_EUlSY_E_NS1_11comp_targetILNS1_3genE4ELNS1_11target_archE910ELNS1_3gpuE8ELNS1_3repE0EEENS1_30default_config_static_selectorELNS0_4arch9wavefront6targetE1EEEvT1_.num_vgpr, 0
	.set _ZN7rocprim17ROCPRIM_400000_NS6detail17trampoline_kernelINS0_14default_configENS1_29reduce_by_key_config_selectorIhlN6thrust23THRUST_200600_302600_NS4plusIlEEEEZZNS1_33reduce_by_key_impl_wrapped_configILNS1_25lookback_scan_determinismE0ES3_S9_PhNS6_17constant_iteratorIiNS6_11use_defaultESE_EENS6_10device_ptrIhEENSG_IlEEPmS8_NS6_8equal_toIhEEEE10hipError_tPvRmT2_T3_mT4_T5_T6_T7_T8_P12ihipStream_tbENKUlT_T0_E_clISt17integral_constantIbLb0EES13_EEDaSY_SZ_EUlSY_E_NS1_11comp_targetILNS1_3genE4ELNS1_11target_archE910ELNS1_3gpuE8ELNS1_3repE0EEENS1_30default_config_static_selectorELNS0_4arch9wavefront6targetE1EEEvT1_.num_agpr, 0
	.set _ZN7rocprim17ROCPRIM_400000_NS6detail17trampoline_kernelINS0_14default_configENS1_29reduce_by_key_config_selectorIhlN6thrust23THRUST_200600_302600_NS4plusIlEEEEZZNS1_33reduce_by_key_impl_wrapped_configILNS1_25lookback_scan_determinismE0ES3_S9_PhNS6_17constant_iteratorIiNS6_11use_defaultESE_EENS6_10device_ptrIhEENSG_IlEEPmS8_NS6_8equal_toIhEEEE10hipError_tPvRmT2_T3_mT4_T5_T6_T7_T8_P12ihipStream_tbENKUlT_T0_E_clISt17integral_constantIbLb0EES13_EEDaSY_SZ_EUlSY_E_NS1_11comp_targetILNS1_3genE4ELNS1_11target_archE910ELNS1_3gpuE8ELNS1_3repE0EEENS1_30default_config_static_selectorELNS0_4arch9wavefront6targetE1EEEvT1_.numbered_sgpr, 0
	.set _ZN7rocprim17ROCPRIM_400000_NS6detail17trampoline_kernelINS0_14default_configENS1_29reduce_by_key_config_selectorIhlN6thrust23THRUST_200600_302600_NS4plusIlEEEEZZNS1_33reduce_by_key_impl_wrapped_configILNS1_25lookback_scan_determinismE0ES3_S9_PhNS6_17constant_iteratorIiNS6_11use_defaultESE_EENS6_10device_ptrIhEENSG_IlEEPmS8_NS6_8equal_toIhEEEE10hipError_tPvRmT2_T3_mT4_T5_T6_T7_T8_P12ihipStream_tbENKUlT_T0_E_clISt17integral_constantIbLb0EES13_EEDaSY_SZ_EUlSY_E_NS1_11comp_targetILNS1_3genE4ELNS1_11target_archE910ELNS1_3gpuE8ELNS1_3repE0EEENS1_30default_config_static_selectorELNS0_4arch9wavefront6targetE1EEEvT1_.num_named_barrier, 0
	.set _ZN7rocprim17ROCPRIM_400000_NS6detail17trampoline_kernelINS0_14default_configENS1_29reduce_by_key_config_selectorIhlN6thrust23THRUST_200600_302600_NS4plusIlEEEEZZNS1_33reduce_by_key_impl_wrapped_configILNS1_25lookback_scan_determinismE0ES3_S9_PhNS6_17constant_iteratorIiNS6_11use_defaultESE_EENS6_10device_ptrIhEENSG_IlEEPmS8_NS6_8equal_toIhEEEE10hipError_tPvRmT2_T3_mT4_T5_T6_T7_T8_P12ihipStream_tbENKUlT_T0_E_clISt17integral_constantIbLb0EES13_EEDaSY_SZ_EUlSY_E_NS1_11comp_targetILNS1_3genE4ELNS1_11target_archE910ELNS1_3gpuE8ELNS1_3repE0EEENS1_30default_config_static_selectorELNS0_4arch9wavefront6targetE1EEEvT1_.private_seg_size, 0
	.set _ZN7rocprim17ROCPRIM_400000_NS6detail17trampoline_kernelINS0_14default_configENS1_29reduce_by_key_config_selectorIhlN6thrust23THRUST_200600_302600_NS4plusIlEEEEZZNS1_33reduce_by_key_impl_wrapped_configILNS1_25lookback_scan_determinismE0ES3_S9_PhNS6_17constant_iteratorIiNS6_11use_defaultESE_EENS6_10device_ptrIhEENSG_IlEEPmS8_NS6_8equal_toIhEEEE10hipError_tPvRmT2_T3_mT4_T5_T6_T7_T8_P12ihipStream_tbENKUlT_T0_E_clISt17integral_constantIbLb0EES13_EEDaSY_SZ_EUlSY_E_NS1_11comp_targetILNS1_3genE4ELNS1_11target_archE910ELNS1_3gpuE8ELNS1_3repE0EEENS1_30default_config_static_selectorELNS0_4arch9wavefront6targetE1EEEvT1_.uses_vcc, 0
	.set _ZN7rocprim17ROCPRIM_400000_NS6detail17trampoline_kernelINS0_14default_configENS1_29reduce_by_key_config_selectorIhlN6thrust23THRUST_200600_302600_NS4plusIlEEEEZZNS1_33reduce_by_key_impl_wrapped_configILNS1_25lookback_scan_determinismE0ES3_S9_PhNS6_17constant_iteratorIiNS6_11use_defaultESE_EENS6_10device_ptrIhEENSG_IlEEPmS8_NS6_8equal_toIhEEEE10hipError_tPvRmT2_T3_mT4_T5_T6_T7_T8_P12ihipStream_tbENKUlT_T0_E_clISt17integral_constantIbLb0EES13_EEDaSY_SZ_EUlSY_E_NS1_11comp_targetILNS1_3genE4ELNS1_11target_archE910ELNS1_3gpuE8ELNS1_3repE0EEENS1_30default_config_static_selectorELNS0_4arch9wavefront6targetE1EEEvT1_.uses_flat_scratch, 0
	.set _ZN7rocprim17ROCPRIM_400000_NS6detail17trampoline_kernelINS0_14default_configENS1_29reduce_by_key_config_selectorIhlN6thrust23THRUST_200600_302600_NS4plusIlEEEEZZNS1_33reduce_by_key_impl_wrapped_configILNS1_25lookback_scan_determinismE0ES3_S9_PhNS6_17constant_iteratorIiNS6_11use_defaultESE_EENS6_10device_ptrIhEENSG_IlEEPmS8_NS6_8equal_toIhEEEE10hipError_tPvRmT2_T3_mT4_T5_T6_T7_T8_P12ihipStream_tbENKUlT_T0_E_clISt17integral_constantIbLb0EES13_EEDaSY_SZ_EUlSY_E_NS1_11comp_targetILNS1_3genE4ELNS1_11target_archE910ELNS1_3gpuE8ELNS1_3repE0EEENS1_30default_config_static_selectorELNS0_4arch9wavefront6targetE1EEEvT1_.has_dyn_sized_stack, 0
	.set _ZN7rocprim17ROCPRIM_400000_NS6detail17trampoline_kernelINS0_14default_configENS1_29reduce_by_key_config_selectorIhlN6thrust23THRUST_200600_302600_NS4plusIlEEEEZZNS1_33reduce_by_key_impl_wrapped_configILNS1_25lookback_scan_determinismE0ES3_S9_PhNS6_17constant_iteratorIiNS6_11use_defaultESE_EENS6_10device_ptrIhEENSG_IlEEPmS8_NS6_8equal_toIhEEEE10hipError_tPvRmT2_T3_mT4_T5_T6_T7_T8_P12ihipStream_tbENKUlT_T0_E_clISt17integral_constantIbLb0EES13_EEDaSY_SZ_EUlSY_E_NS1_11comp_targetILNS1_3genE4ELNS1_11target_archE910ELNS1_3gpuE8ELNS1_3repE0EEENS1_30default_config_static_selectorELNS0_4arch9wavefront6targetE1EEEvT1_.has_recursion, 0
	.set _ZN7rocprim17ROCPRIM_400000_NS6detail17trampoline_kernelINS0_14default_configENS1_29reduce_by_key_config_selectorIhlN6thrust23THRUST_200600_302600_NS4plusIlEEEEZZNS1_33reduce_by_key_impl_wrapped_configILNS1_25lookback_scan_determinismE0ES3_S9_PhNS6_17constant_iteratorIiNS6_11use_defaultESE_EENS6_10device_ptrIhEENSG_IlEEPmS8_NS6_8equal_toIhEEEE10hipError_tPvRmT2_T3_mT4_T5_T6_T7_T8_P12ihipStream_tbENKUlT_T0_E_clISt17integral_constantIbLb0EES13_EEDaSY_SZ_EUlSY_E_NS1_11comp_targetILNS1_3genE4ELNS1_11target_archE910ELNS1_3gpuE8ELNS1_3repE0EEENS1_30default_config_static_selectorELNS0_4arch9wavefront6targetE1EEEvT1_.has_indirect_call, 0
	.section	.AMDGPU.csdata,"",@progbits
; Kernel info:
; codeLenInByte = 0
; TotalNumSgprs: 4
; NumVgprs: 0
; ScratchSize: 0
; MemoryBound: 0
; FloatMode: 240
; IeeeMode: 1
; LDSByteSize: 0 bytes/workgroup (compile time only)
; SGPRBlocks: 0
; VGPRBlocks: 0
; NumSGPRsForWavesPerEU: 4
; NumVGPRsForWavesPerEU: 1
; Occupancy: 10
; WaveLimiterHint : 0
; COMPUTE_PGM_RSRC2:SCRATCH_EN: 0
; COMPUTE_PGM_RSRC2:USER_SGPR: 6
; COMPUTE_PGM_RSRC2:TRAP_HANDLER: 0
; COMPUTE_PGM_RSRC2:TGID_X_EN: 1
; COMPUTE_PGM_RSRC2:TGID_Y_EN: 0
; COMPUTE_PGM_RSRC2:TGID_Z_EN: 0
; COMPUTE_PGM_RSRC2:TIDIG_COMP_CNT: 0
	.section	.text._ZN7rocprim17ROCPRIM_400000_NS6detail17trampoline_kernelINS0_14default_configENS1_29reduce_by_key_config_selectorIhlN6thrust23THRUST_200600_302600_NS4plusIlEEEEZZNS1_33reduce_by_key_impl_wrapped_configILNS1_25lookback_scan_determinismE0ES3_S9_PhNS6_17constant_iteratorIiNS6_11use_defaultESE_EENS6_10device_ptrIhEENSG_IlEEPmS8_NS6_8equal_toIhEEEE10hipError_tPvRmT2_T3_mT4_T5_T6_T7_T8_P12ihipStream_tbENKUlT_T0_E_clISt17integral_constantIbLb0EES13_EEDaSY_SZ_EUlSY_E_NS1_11comp_targetILNS1_3genE3ELNS1_11target_archE908ELNS1_3gpuE7ELNS1_3repE0EEENS1_30default_config_static_selectorELNS0_4arch9wavefront6targetE1EEEvT1_,"axG",@progbits,_ZN7rocprim17ROCPRIM_400000_NS6detail17trampoline_kernelINS0_14default_configENS1_29reduce_by_key_config_selectorIhlN6thrust23THRUST_200600_302600_NS4plusIlEEEEZZNS1_33reduce_by_key_impl_wrapped_configILNS1_25lookback_scan_determinismE0ES3_S9_PhNS6_17constant_iteratorIiNS6_11use_defaultESE_EENS6_10device_ptrIhEENSG_IlEEPmS8_NS6_8equal_toIhEEEE10hipError_tPvRmT2_T3_mT4_T5_T6_T7_T8_P12ihipStream_tbENKUlT_T0_E_clISt17integral_constantIbLb0EES13_EEDaSY_SZ_EUlSY_E_NS1_11comp_targetILNS1_3genE3ELNS1_11target_archE908ELNS1_3gpuE7ELNS1_3repE0EEENS1_30default_config_static_selectorELNS0_4arch9wavefront6targetE1EEEvT1_,comdat
	.protected	_ZN7rocprim17ROCPRIM_400000_NS6detail17trampoline_kernelINS0_14default_configENS1_29reduce_by_key_config_selectorIhlN6thrust23THRUST_200600_302600_NS4plusIlEEEEZZNS1_33reduce_by_key_impl_wrapped_configILNS1_25lookback_scan_determinismE0ES3_S9_PhNS6_17constant_iteratorIiNS6_11use_defaultESE_EENS6_10device_ptrIhEENSG_IlEEPmS8_NS6_8equal_toIhEEEE10hipError_tPvRmT2_T3_mT4_T5_T6_T7_T8_P12ihipStream_tbENKUlT_T0_E_clISt17integral_constantIbLb0EES13_EEDaSY_SZ_EUlSY_E_NS1_11comp_targetILNS1_3genE3ELNS1_11target_archE908ELNS1_3gpuE7ELNS1_3repE0EEENS1_30default_config_static_selectorELNS0_4arch9wavefront6targetE1EEEvT1_ ; -- Begin function _ZN7rocprim17ROCPRIM_400000_NS6detail17trampoline_kernelINS0_14default_configENS1_29reduce_by_key_config_selectorIhlN6thrust23THRUST_200600_302600_NS4plusIlEEEEZZNS1_33reduce_by_key_impl_wrapped_configILNS1_25lookback_scan_determinismE0ES3_S9_PhNS6_17constant_iteratorIiNS6_11use_defaultESE_EENS6_10device_ptrIhEENSG_IlEEPmS8_NS6_8equal_toIhEEEE10hipError_tPvRmT2_T3_mT4_T5_T6_T7_T8_P12ihipStream_tbENKUlT_T0_E_clISt17integral_constantIbLb0EES13_EEDaSY_SZ_EUlSY_E_NS1_11comp_targetILNS1_3genE3ELNS1_11target_archE908ELNS1_3gpuE7ELNS1_3repE0EEENS1_30default_config_static_selectorELNS0_4arch9wavefront6targetE1EEEvT1_
	.globl	_ZN7rocprim17ROCPRIM_400000_NS6detail17trampoline_kernelINS0_14default_configENS1_29reduce_by_key_config_selectorIhlN6thrust23THRUST_200600_302600_NS4plusIlEEEEZZNS1_33reduce_by_key_impl_wrapped_configILNS1_25lookback_scan_determinismE0ES3_S9_PhNS6_17constant_iteratorIiNS6_11use_defaultESE_EENS6_10device_ptrIhEENSG_IlEEPmS8_NS6_8equal_toIhEEEE10hipError_tPvRmT2_T3_mT4_T5_T6_T7_T8_P12ihipStream_tbENKUlT_T0_E_clISt17integral_constantIbLb0EES13_EEDaSY_SZ_EUlSY_E_NS1_11comp_targetILNS1_3genE3ELNS1_11target_archE908ELNS1_3gpuE7ELNS1_3repE0EEENS1_30default_config_static_selectorELNS0_4arch9wavefront6targetE1EEEvT1_
	.p2align	8
	.type	_ZN7rocprim17ROCPRIM_400000_NS6detail17trampoline_kernelINS0_14default_configENS1_29reduce_by_key_config_selectorIhlN6thrust23THRUST_200600_302600_NS4plusIlEEEEZZNS1_33reduce_by_key_impl_wrapped_configILNS1_25lookback_scan_determinismE0ES3_S9_PhNS6_17constant_iteratorIiNS6_11use_defaultESE_EENS6_10device_ptrIhEENSG_IlEEPmS8_NS6_8equal_toIhEEEE10hipError_tPvRmT2_T3_mT4_T5_T6_T7_T8_P12ihipStream_tbENKUlT_T0_E_clISt17integral_constantIbLb0EES13_EEDaSY_SZ_EUlSY_E_NS1_11comp_targetILNS1_3genE3ELNS1_11target_archE908ELNS1_3gpuE7ELNS1_3repE0EEENS1_30default_config_static_selectorELNS0_4arch9wavefront6targetE1EEEvT1_,@function
_ZN7rocprim17ROCPRIM_400000_NS6detail17trampoline_kernelINS0_14default_configENS1_29reduce_by_key_config_selectorIhlN6thrust23THRUST_200600_302600_NS4plusIlEEEEZZNS1_33reduce_by_key_impl_wrapped_configILNS1_25lookback_scan_determinismE0ES3_S9_PhNS6_17constant_iteratorIiNS6_11use_defaultESE_EENS6_10device_ptrIhEENSG_IlEEPmS8_NS6_8equal_toIhEEEE10hipError_tPvRmT2_T3_mT4_T5_T6_T7_T8_P12ihipStream_tbENKUlT_T0_E_clISt17integral_constantIbLb0EES13_EEDaSY_SZ_EUlSY_E_NS1_11comp_targetILNS1_3genE3ELNS1_11target_archE908ELNS1_3gpuE7ELNS1_3repE0EEENS1_30default_config_static_selectorELNS0_4arch9wavefront6targetE1EEEvT1_: ; @_ZN7rocprim17ROCPRIM_400000_NS6detail17trampoline_kernelINS0_14default_configENS1_29reduce_by_key_config_selectorIhlN6thrust23THRUST_200600_302600_NS4plusIlEEEEZZNS1_33reduce_by_key_impl_wrapped_configILNS1_25lookback_scan_determinismE0ES3_S9_PhNS6_17constant_iteratorIiNS6_11use_defaultESE_EENS6_10device_ptrIhEENSG_IlEEPmS8_NS6_8equal_toIhEEEE10hipError_tPvRmT2_T3_mT4_T5_T6_T7_T8_P12ihipStream_tbENKUlT_T0_E_clISt17integral_constantIbLb0EES13_EEDaSY_SZ_EUlSY_E_NS1_11comp_targetILNS1_3genE3ELNS1_11target_archE908ELNS1_3gpuE7ELNS1_3repE0EEENS1_30default_config_static_selectorELNS0_4arch9wavefront6targetE1EEEvT1_
; %bb.0:
	.section	.rodata,"a",@progbits
	.p2align	6, 0x0
	.amdhsa_kernel _ZN7rocprim17ROCPRIM_400000_NS6detail17trampoline_kernelINS0_14default_configENS1_29reduce_by_key_config_selectorIhlN6thrust23THRUST_200600_302600_NS4plusIlEEEEZZNS1_33reduce_by_key_impl_wrapped_configILNS1_25lookback_scan_determinismE0ES3_S9_PhNS6_17constant_iteratorIiNS6_11use_defaultESE_EENS6_10device_ptrIhEENSG_IlEEPmS8_NS6_8equal_toIhEEEE10hipError_tPvRmT2_T3_mT4_T5_T6_T7_T8_P12ihipStream_tbENKUlT_T0_E_clISt17integral_constantIbLb0EES13_EEDaSY_SZ_EUlSY_E_NS1_11comp_targetILNS1_3genE3ELNS1_11target_archE908ELNS1_3gpuE7ELNS1_3repE0EEENS1_30default_config_static_selectorELNS0_4arch9wavefront6targetE1EEEvT1_
		.amdhsa_group_segment_fixed_size 0
		.amdhsa_private_segment_fixed_size 0
		.amdhsa_kernarg_size 144
		.amdhsa_user_sgpr_count 6
		.amdhsa_user_sgpr_private_segment_buffer 1
		.amdhsa_user_sgpr_dispatch_ptr 0
		.amdhsa_user_sgpr_queue_ptr 0
		.amdhsa_user_sgpr_kernarg_segment_ptr 1
		.amdhsa_user_sgpr_dispatch_id 0
		.amdhsa_user_sgpr_flat_scratch_init 0
		.amdhsa_user_sgpr_private_segment_size 0
		.amdhsa_uses_dynamic_stack 0
		.amdhsa_system_sgpr_private_segment_wavefront_offset 0
		.amdhsa_system_sgpr_workgroup_id_x 1
		.amdhsa_system_sgpr_workgroup_id_y 0
		.amdhsa_system_sgpr_workgroup_id_z 0
		.amdhsa_system_sgpr_workgroup_info 0
		.amdhsa_system_vgpr_workitem_id 0
		.amdhsa_next_free_vgpr 1
		.amdhsa_next_free_sgpr 0
		.amdhsa_reserve_vcc 0
		.amdhsa_reserve_flat_scratch 0
		.amdhsa_float_round_mode_32 0
		.amdhsa_float_round_mode_16_64 0
		.amdhsa_float_denorm_mode_32 3
		.amdhsa_float_denorm_mode_16_64 3
		.amdhsa_dx10_clamp 1
		.amdhsa_ieee_mode 1
		.amdhsa_fp16_overflow 0
		.amdhsa_exception_fp_ieee_invalid_op 0
		.amdhsa_exception_fp_denorm_src 0
		.amdhsa_exception_fp_ieee_div_zero 0
		.amdhsa_exception_fp_ieee_overflow 0
		.amdhsa_exception_fp_ieee_underflow 0
		.amdhsa_exception_fp_ieee_inexact 0
		.amdhsa_exception_int_div_zero 0
	.end_amdhsa_kernel
	.section	.text._ZN7rocprim17ROCPRIM_400000_NS6detail17trampoline_kernelINS0_14default_configENS1_29reduce_by_key_config_selectorIhlN6thrust23THRUST_200600_302600_NS4plusIlEEEEZZNS1_33reduce_by_key_impl_wrapped_configILNS1_25lookback_scan_determinismE0ES3_S9_PhNS6_17constant_iteratorIiNS6_11use_defaultESE_EENS6_10device_ptrIhEENSG_IlEEPmS8_NS6_8equal_toIhEEEE10hipError_tPvRmT2_T3_mT4_T5_T6_T7_T8_P12ihipStream_tbENKUlT_T0_E_clISt17integral_constantIbLb0EES13_EEDaSY_SZ_EUlSY_E_NS1_11comp_targetILNS1_3genE3ELNS1_11target_archE908ELNS1_3gpuE7ELNS1_3repE0EEENS1_30default_config_static_selectorELNS0_4arch9wavefront6targetE1EEEvT1_,"axG",@progbits,_ZN7rocprim17ROCPRIM_400000_NS6detail17trampoline_kernelINS0_14default_configENS1_29reduce_by_key_config_selectorIhlN6thrust23THRUST_200600_302600_NS4plusIlEEEEZZNS1_33reduce_by_key_impl_wrapped_configILNS1_25lookback_scan_determinismE0ES3_S9_PhNS6_17constant_iteratorIiNS6_11use_defaultESE_EENS6_10device_ptrIhEENSG_IlEEPmS8_NS6_8equal_toIhEEEE10hipError_tPvRmT2_T3_mT4_T5_T6_T7_T8_P12ihipStream_tbENKUlT_T0_E_clISt17integral_constantIbLb0EES13_EEDaSY_SZ_EUlSY_E_NS1_11comp_targetILNS1_3genE3ELNS1_11target_archE908ELNS1_3gpuE7ELNS1_3repE0EEENS1_30default_config_static_selectorELNS0_4arch9wavefront6targetE1EEEvT1_,comdat
.Lfunc_end367:
	.size	_ZN7rocprim17ROCPRIM_400000_NS6detail17trampoline_kernelINS0_14default_configENS1_29reduce_by_key_config_selectorIhlN6thrust23THRUST_200600_302600_NS4plusIlEEEEZZNS1_33reduce_by_key_impl_wrapped_configILNS1_25lookback_scan_determinismE0ES3_S9_PhNS6_17constant_iteratorIiNS6_11use_defaultESE_EENS6_10device_ptrIhEENSG_IlEEPmS8_NS6_8equal_toIhEEEE10hipError_tPvRmT2_T3_mT4_T5_T6_T7_T8_P12ihipStream_tbENKUlT_T0_E_clISt17integral_constantIbLb0EES13_EEDaSY_SZ_EUlSY_E_NS1_11comp_targetILNS1_3genE3ELNS1_11target_archE908ELNS1_3gpuE7ELNS1_3repE0EEENS1_30default_config_static_selectorELNS0_4arch9wavefront6targetE1EEEvT1_, .Lfunc_end367-_ZN7rocprim17ROCPRIM_400000_NS6detail17trampoline_kernelINS0_14default_configENS1_29reduce_by_key_config_selectorIhlN6thrust23THRUST_200600_302600_NS4plusIlEEEEZZNS1_33reduce_by_key_impl_wrapped_configILNS1_25lookback_scan_determinismE0ES3_S9_PhNS6_17constant_iteratorIiNS6_11use_defaultESE_EENS6_10device_ptrIhEENSG_IlEEPmS8_NS6_8equal_toIhEEEE10hipError_tPvRmT2_T3_mT4_T5_T6_T7_T8_P12ihipStream_tbENKUlT_T0_E_clISt17integral_constantIbLb0EES13_EEDaSY_SZ_EUlSY_E_NS1_11comp_targetILNS1_3genE3ELNS1_11target_archE908ELNS1_3gpuE7ELNS1_3repE0EEENS1_30default_config_static_selectorELNS0_4arch9wavefront6targetE1EEEvT1_
                                        ; -- End function
	.set _ZN7rocprim17ROCPRIM_400000_NS6detail17trampoline_kernelINS0_14default_configENS1_29reduce_by_key_config_selectorIhlN6thrust23THRUST_200600_302600_NS4plusIlEEEEZZNS1_33reduce_by_key_impl_wrapped_configILNS1_25lookback_scan_determinismE0ES3_S9_PhNS6_17constant_iteratorIiNS6_11use_defaultESE_EENS6_10device_ptrIhEENSG_IlEEPmS8_NS6_8equal_toIhEEEE10hipError_tPvRmT2_T3_mT4_T5_T6_T7_T8_P12ihipStream_tbENKUlT_T0_E_clISt17integral_constantIbLb0EES13_EEDaSY_SZ_EUlSY_E_NS1_11comp_targetILNS1_3genE3ELNS1_11target_archE908ELNS1_3gpuE7ELNS1_3repE0EEENS1_30default_config_static_selectorELNS0_4arch9wavefront6targetE1EEEvT1_.num_vgpr, 0
	.set _ZN7rocprim17ROCPRIM_400000_NS6detail17trampoline_kernelINS0_14default_configENS1_29reduce_by_key_config_selectorIhlN6thrust23THRUST_200600_302600_NS4plusIlEEEEZZNS1_33reduce_by_key_impl_wrapped_configILNS1_25lookback_scan_determinismE0ES3_S9_PhNS6_17constant_iteratorIiNS6_11use_defaultESE_EENS6_10device_ptrIhEENSG_IlEEPmS8_NS6_8equal_toIhEEEE10hipError_tPvRmT2_T3_mT4_T5_T6_T7_T8_P12ihipStream_tbENKUlT_T0_E_clISt17integral_constantIbLb0EES13_EEDaSY_SZ_EUlSY_E_NS1_11comp_targetILNS1_3genE3ELNS1_11target_archE908ELNS1_3gpuE7ELNS1_3repE0EEENS1_30default_config_static_selectorELNS0_4arch9wavefront6targetE1EEEvT1_.num_agpr, 0
	.set _ZN7rocprim17ROCPRIM_400000_NS6detail17trampoline_kernelINS0_14default_configENS1_29reduce_by_key_config_selectorIhlN6thrust23THRUST_200600_302600_NS4plusIlEEEEZZNS1_33reduce_by_key_impl_wrapped_configILNS1_25lookback_scan_determinismE0ES3_S9_PhNS6_17constant_iteratorIiNS6_11use_defaultESE_EENS6_10device_ptrIhEENSG_IlEEPmS8_NS6_8equal_toIhEEEE10hipError_tPvRmT2_T3_mT4_T5_T6_T7_T8_P12ihipStream_tbENKUlT_T0_E_clISt17integral_constantIbLb0EES13_EEDaSY_SZ_EUlSY_E_NS1_11comp_targetILNS1_3genE3ELNS1_11target_archE908ELNS1_3gpuE7ELNS1_3repE0EEENS1_30default_config_static_selectorELNS0_4arch9wavefront6targetE1EEEvT1_.numbered_sgpr, 0
	.set _ZN7rocprim17ROCPRIM_400000_NS6detail17trampoline_kernelINS0_14default_configENS1_29reduce_by_key_config_selectorIhlN6thrust23THRUST_200600_302600_NS4plusIlEEEEZZNS1_33reduce_by_key_impl_wrapped_configILNS1_25lookback_scan_determinismE0ES3_S9_PhNS6_17constant_iteratorIiNS6_11use_defaultESE_EENS6_10device_ptrIhEENSG_IlEEPmS8_NS6_8equal_toIhEEEE10hipError_tPvRmT2_T3_mT4_T5_T6_T7_T8_P12ihipStream_tbENKUlT_T0_E_clISt17integral_constantIbLb0EES13_EEDaSY_SZ_EUlSY_E_NS1_11comp_targetILNS1_3genE3ELNS1_11target_archE908ELNS1_3gpuE7ELNS1_3repE0EEENS1_30default_config_static_selectorELNS0_4arch9wavefront6targetE1EEEvT1_.num_named_barrier, 0
	.set _ZN7rocprim17ROCPRIM_400000_NS6detail17trampoline_kernelINS0_14default_configENS1_29reduce_by_key_config_selectorIhlN6thrust23THRUST_200600_302600_NS4plusIlEEEEZZNS1_33reduce_by_key_impl_wrapped_configILNS1_25lookback_scan_determinismE0ES3_S9_PhNS6_17constant_iteratorIiNS6_11use_defaultESE_EENS6_10device_ptrIhEENSG_IlEEPmS8_NS6_8equal_toIhEEEE10hipError_tPvRmT2_T3_mT4_T5_T6_T7_T8_P12ihipStream_tbENKUlT_T0_E_clISt17integral_constantIbLb0EES13_EEDaSY_SZ_EUlSY_E_NS1_11comp_targetILNS1_3genE3ELNS1_11target_archE908ELNS1_3gpuE7ELNS1_3repE0EEENS1_30default_config_static_selectorELNS0_4arch9wavefront6targetE1EEEvT1_.private_seg_size, 0
	.set _ZN7rocprim17ROCPRIM_400000_NS6detail17trampoline_kernelINS0_14default_configENS1_29reduce_by_key_config_selectorIhlN6thrust23THRUST_200600_302600_NS4plusIlEEEEZZNS1_33reduce_by_key_impl_wrapped_configILNS1_25lookback_scan_determinismE0ES3_S9_PhNS6_17constant_iteratorIiNS6_11use_defaultESE_EENS6_10device_ptrIhEENSG_IlEEPmS8_NS6_8equal_toIhEEEE10hipError_tPvRmT2_T3_mT4_T5_T6_T7_T8_P12ihipStream_tbENKUlT_T0_E_clISt17integral_constantIbLb0EES13_EEDaSY_SZ_EUlSY_E_NS1_11comp_targetILNS1_3genE3ELNS1_11target_archE908ELNS1_3gpuE7ELNS1_3repE0EEENS1_30default_config_static_selectorELNS0_4arch9wavefront6targetE1EEEvT1_.uses_vcc, 0
	.set _ZN7rocprim17ROCPRIM_400000_NS6detail17trampoline_kernelINS0_14default_configENS1_29reduce_by_key_config_selectorIhlN6thrust23THRUST_200600_302600_NS4plusIlEEEEZZNS1_33reduce_by_key_impl_wrapped_configILNS1_25lookback_scan_determinismE0ES3_S9_PhNS6_17constant_iteratorIiNS6_11use_defaultESE_EENS6_10device_ptrIhEENSG_IlEEPmS8_NS6_8equal_toIhEEEE10hipError_tPvRmT2_T3_mT4_T5_T6_T7_T8_P12ihipStream_tbENKUlT_T0_E_clISt17integral_constantIbLb0EES13_EEDaSY_SZ_EUlSY_E_NS1_11comp_targetILNS1_3genE3ELNS1_11target_archE908ELNS1_3gpuE7ELNS1_3repE0EEENS1_30default_config_static_selectorELNS0_4arch9wavefront6targetE1EEEvT1_.uses_flat_scratch, 0
	.set _ZN7rocprim17ROCPRIM_400000_NS6detail17trampoline_kernelINS0_14default_configENS1_29reduce_by_key_config_selectorIhlN6thrust23THRUST_200600_302600_NS4plusIlEEEEZZNS1_33reduce_by_key_impl_wrapped_configILNS1_25lookback_scan_determinismE0ES3_S9_PhNS6_17constant_iteratorIiNS6_11use_defaultESE_EENS6_10device_ptrIhEENSG_IlEEPmS8_NS6_8equal_toIhEEEE10hipError_tPvRmT2_T3_mT4_T5_T6_T7_T8_P12ihipStream_tbENKUlT_T0_E_clISt17integral_constantIbLb0EES13_EEDaSY_SZ_EUlSY_E_NS1_11comp_targetILNS1_3genE3ELNS1_11target_archE908ELNS1_3gpuE7ELNS1_3repE0EEENS1_30default_config_static_selectorELNS0_4arch9wavefront6targetE1EEEvT1_.has_dyn_sized_stack, 0
	.set _ZN7rocprim17ROCPRIM_400000_NS6detail17trampoline_kernelINS0_14default_configENS1_29reduce_by_key_config_selectorIhlN6thrust23THRUST_200600_302600_NS4plusIlEEEEZZNS1_33reduce_by_key_impl_wrapped_configILNS1_25lookback_scan_determinismE0ES3_S9_PhNS6_17constant_iteratorIiNS6_11use_defaultESE_EENS6_10device_ptrIhEENSG_IlEEPmS8_NS6_8equal_toIhEEEE10hipError_tPvRmT2_T3_mT4_T5_T6_T7_T8_P12ihipStream_tbENKUlT_T0_E_clISt17integral_constantIbLb0EES13_EEDaSY_SZ_EUlSY_E_NS1_11comp_targetILNS1_3genE3ELNS1_11target_archE908ELNS1_3gpuE7ELNS1_3repE0EEENS1_30default_config_static_selectorELNS0_4arch9wavefront6targetE1EEEvT1_.has_recursion, 0
	.set _ZN7rocprim17ROCPRIM_400000_NS6detail17trampoline_kernelINS0_14default_configENS1_29reduce_by_key_config_selectorIhlN6thrust23THRUST_200600_302600_NS4plusIlEEEEZZNS1_33reduce_by_key_impl_wrapped_configILNS1_25lookback_scan_determinismE0ES3_S9_PhNS6_17constant_iteratorIiNS6_11use_defaultESE_EENS6_10device_ptrIhEENSG_IlEEPmS8_NS6_8equal_toIhEEEE10hipError_tPvRmT2_T3_mT4_T5_T6_T7_T8_P12ihipStream_tbENKUlT_T0_E_clISt17integral_constantIbLb0EES13_EEDaSY_SZ_EUlSY_E_NS1_11comp_targetILNS1_3genE3ELNS1_11target_archE908ELNS1_3gpuE7ELNS1_3repE0EEENS1_30default_config_static_selectorELNS0_4arch9wavefront6targetE1EEEvT1_.has_indirect_call, 0
	.section	.AMDGPU.csdata,"",@progbits
; Kernel info:
; codeLenInByte = 0
; TotalNumSgprs: 4
; NumVgprs: 0
; ScratchSize: 0
; MemoryBound: 0
; FloatMode: 240
; IeeeMode: 1
; LDSByteSize: 0 bytes/workgroup (compile time only)
; SGPRBlocks: 0
; VGPRBlocks: 0
; NumSGPRsForWavesPerEU: 4
; NumVGPRsForWavesPerEU: 1
; Occupancy: 10
; WaveLimiterHint : 0
; COMPUTE_PGM_RSRC2:SCRATCH_EN: 0
; COMPUTE_PGM_RSRC2:USER_SGPR: 6
; COMPUTE_PGM_RSRC2:TRAP_HANDLER: 0
; COMPUTE_PGM_RSRC2:TGID_X_EN: 1
; COMPUTE_PGM_RSRC2:TGID_Y_EN: 0
; COMPUTE_PGM_RSRC2:TGID_Z_EN: 0
; COMPUTE_PGM_RSRC2:TIDIG_COMP_CNT: 0
	.section	.text._ZN7rocprim17ROCPRIM_400000_NS6detail17trampoline_kernelINS0_14default_configENS1_29reduce_by_key_config_selectorIhlN6thrust23THRUST_200600_302600_NS4plusIlEEEEZZNS1_33reduce_by_key_impl_wrapped_configILNS1_25lookback_scan_determinismE0ES3_S9_PhNS6_17constant_iteratorIiNS6_11use_defaultESE_EENS6_10device_ptrIhEENSG_IlEEPmS8_NS6_8equal_toIhEEEE10hipError_tPvRmT2_T3_mT4_T5_T6_T7_T8_P12ihipStream_tbENKUlT_T0_E_clISt17integral_constantIbLb0EES13_EEDaSY_SZ_EUlSY_E_NS1_11comp_targetILNS1_3genE2ELNS1_11target_archE906ELNS1_3gpuE6ELNS1_3repE0EEENS1_30default_config_static_selectorELNS0_4arch9wavefront6targetE1EEEvT1_,"axG",@progbits,_ZN7rocprim17ROCPRIM_400000_NS6detail17trampoline_kernelINS0_14default_configENS1_29reduce_by_key_config_selectorIhlN6thrust23THRUST_200600_302600_NS4plusIlEEEEZZNS1_33reduce_by_key_impl_wrapped_configILNS1_25lookback_scan_determinismE0ES3_S9_PhNS6_17constant_iteratorIiNS6_11use_defaultESE_EENS6_10device_ptrIhEENSG_IlEEPmS8_NS6_8equal_toIhEEEE10hipError_tPvRmT2_T3_mT4_T5_T6_T7_T8_P12ihipStream_tbENKUlT_T0_E_clISt17integral_constantIbLb0EES13_EEDaSY_SZ_EUlSY_E_NS1_11comp_targetILNS1_3genE2ELNS1_11target_archE906ELNS1_3gpuE6ELNS1_3repE0EEENS1_30default_config_static_selectorELNS0_4arch9wavefront6targetE1EEEvT1_,comdat
	.protected	_ZN7rocprim17ROCPRIM_400000_NS6detail17trampoline_kernelINS0_14default_configENS1_29reduce_by_key_config_selectorIhlN6thrust23THRUST_200600_302600_NS4plusIlEEEEZZNS1_33reduce_by_key_impl_wrapped_configILNS1_25lookback_scan_determinismE0ES3_S9_PhNS6_17constant_iteratorIiNS6_11use_defaultESE_EENS6_10device_ptrIhEENSG_IlEEPmS8_NS6_8equal_toIhEEEE10hipError_tPvRmT2_T3_mT4_T5_T6_T7_T8_P12ihipStream_tbENKUlT_T0_E_clISt17integral_constantIbLb0EES13_EEDaSY_SZ_EUlSY_E_NS1_11comp_targetILNS1_3genE2ELNS1_11target_archE906ELNS1_3gpuE6ELNS1_3repE0EEENS1_30default_config_static_selectorELNS0_4arch9wavefront6targetE1EEEvT1_ ; -- Begin function _ZN7rocprim17ROCPRIM_400000_NS6detail17trampoline_kernelINS0_14default_configENS1_29reduce_by_key_config_selectorIhlN6thrust23THRUST_200600_302600_NS4plusIlEEEEZZNS1_33reduce_by_key_impl_wrapped_configILNS1_25lookback_scan_determinismE0ES3_S9_PhNS6_17constant_iteratorIiNS6_11use_defaultESE_EENS6_10device_ptrIhEENSG_IlEEPmS8_NS6_8equal_toIhEEEE10hipError_tPvRmT2_T3_mT4_T5_T6_T7_T8_P12ihipStream_tbENKUlT_T0_E_clISt17integral_constantIbLb0EES13_EEDaSY_SZ_EUlSY_E_NS1_11comp_targetILNS1_3genE2ELNS1_11target_archE906ELNS1_3gpuE6ELNS1_3repE0EEENS1_30default_config_static_selectorELNS0_4arch9wavefront6targetE1EEEvT1_
	.globl	_ZN7rocprim17ROCPRIM_400000_NS6detail17trampoline_kernelINS0_14default_configENS1_29reduce_by_key_config_selectorIhlN6thrust23THRUST_200600_302600_NS4plusIlEEEEZZNS1_33reduce_by_key_impl_wrapped_configILNS1_25lookback_scan_determinismE0ES3_S9_PhNS6_17constant_iteratorIiNS6_11use_defaultESE_EENS6_10device_ptrIhEENSG_IlEEPmS8_NS6_8equal_toIhEEEE10hipError_tPvRmT2_T3_mT4_T5_T6_T7_T8_P12ihipStream_tbENKUlT_T0_E_clISt17integral_constantIbLb0EES13_EEDaSY_SZ_EUlSY_E_NS1_11comp_targetILNS1_3genE2ELNS1_11target_archE906ELNS1_3gpuE6ELNS1_3repE0EEENS1_30default_config_static_selectorELNS0_4arch9wavefront6targetE1EEEvT1_
	.p2align	8
	.type	_ZN7rocprim17ROCPRIM_400000_NS6detail17trampoline_kernelINS0_14default_configENS1_29reduce_by_key_config_selectorIhlN6thrust23THRUST_200600_302600_NS4plusIlEEEEZZNS1_33reduce_by_key_impl_wrapped_configILNS1_25lookback_scan_determinismE0ES3_S9_PhNS6_17constant_iteratorIiNS6_11use_defaultESE_EENS6_10device_ptrIhEENSG_IlEEPmS8_NS6_8equal_toIhEEEE10hipError_tPvRmT2_T3_mT4_T5_T6_T7_T8_P12ihipStream_tbENKUlT_T0_E_clISt17integral_constantIbLb0EES13_EEDaSY_SZ_EUlSY_E_NS1_11comp_targetILNS1_3genE2ELNS1_11target_archE906ELNS1_3gpuE6ELNS1_3repE0EEENS1_30default_config_static_selectorELNS0_4arch9wavefront6targetE1EEEvT1_,@function
_ZN7rocprim17ROCPRIM_400000_NS6detail17trampoline_kernelINS0_14default_configENS1_29reduce_by_key_config_selectorIhlN6thrust23THRUST_200600_302600_NS4plusIlEEEEZZNS1_33reduce_by_key_impl_wrapped_configILNS1_25lookback_scan_determinismE0ES3_S9_PhNS6_17constant_iteratorIiNS6_11use_defaultESE_EENS6_10device_ptrIhEENSG_IlEEPmS8_NS6_8equal_toIhEEEE10hipError_tPvRmT2_T3_mT4_T5_T6_T7_T8_P12ihipStream_tbENKUlT_T0_E_clISt17integral_constantIbLb0EES13_EEDaSY_SZ_EUlSY_E_NS1_11comp_targetILNS1_3genE2ELNS1_11target_archE906ELNS1_3gpuE6ELNS1_3repE0EEENS1_30default_config_static_selectorELNS0_4arch9wavefront6targetE1EEEvT1_: ; @_ZN7rocprim17ROCPRIM_400000_NS6detail17trampoline_kernelINS0_14default_configENS1_29reduce_by_key_config_selectorIhlN6thrust23THRUST_200600_302600_NS4plusIlEEEEZZNS1_33reduce_by_key_impl_wrapped_configILNS1_25lookback_scan_determinismE0ES3_S9_PhNS6_17constant_iteratorIiNS6_11use_defaultESE_EENS6_10device_ptrIhEENSG_IlEEPmS8_NS6_8equal_toIhEEEE10hipError_tPvRmT2_T3_mT4_T5_T6_T7_T8_P12ihipStream_tbENKUlT_T0_E_clISt17integral_constantIbLb0EES13_EEDaSY_SZ_EUlSY_E_NS1_11comp_targetILNS1_3genE2ELNS1_11target_archE906ELNS1_3gpuE6ELNS1_3repE0EEENS1_30default_config_static_selectorELNS0_4arch9wavefront6targetE1EEEvT1_
; %bb.0:
	s_load_dwordx16 s[40:55], s[4:5], 0x40
	s_load_dwordx4 s[8:11], s[4:5], 0x0
	s_load_dword s14, s[4:5], 0x18
	s_load_dwordx4 s[56:59], s[4:5], 0x20
	s_load_dwordx2 s[38:39], s[4:5], 0x30
	s_add_u32 s0, s0, s7
	s_waitcnt lgkmcnt(0)
	s_mul_i32 s7, s48, s47
	s_mul_hi_u32 s12, s48, s46
	s_addc_u32 s1, s1, 0
	s_add_i32 s7, s12, s7
	s_mul_i32 s12, s49, s46
	s_add_i32 s7, s7, s12
	s_add_u32 s8, s8, s10
	s_addc_u32 s9, s9, s11
	s_mul_i32 s10, s6, 0xf00
	s_add_u32 s8, s8, s10
	s_mul_i32 s12, s48, s46
	s_addc_u32 s9, s9, 0
	s_add_u32 s10, s12, s6
	s_addc_u32 s11, s7, 0
	s_add_u32 s18, s50, -1
	s_addc_u32 s19, s51, -1
	s_cmp_eq_u64 s[10:11], s[18:19]
	s_cselect_b64 s[48:49], -1, 0
	s_cmp_lg_u64 s[10:11], s[18:19]
	s_mov_b64 s[16:17], -1
	s_cselect_b64 s[12:13], -1, 0
	s_mul_i32 s33, s18, 0xfffff100
	s_and_b64 vcc, exec, s[48:49]
	v_mad_u32_u24 v2, v0, 14, v0
	s_cbranch_vccnz .LBB368_2
; %bb.1:
	global_load_ubyte v1, v0, s[8:9]
	global_load_ubyte v6, v0, s[8:9] offset:256
	global_load_ubyte v7, v0, s[8:9] offset:512
	;; [unrolled: 1-line block ×14, first 2 shown]
	s_ashr_i32 s15, s14, 31
	v_mov_b32_e32 v4, s14
	v_mul_u32_u24_e32 v3, 15, v0
	v_mad_i32_i24 v20, v0, -7, v2
	v_mov_b32_e32 v5, s15
	s_waitcnt vmcnt(14)
	ds_write_b8 v0, v1
	s_waitcnt vmcnt(13)
	ds_write_b8 v0, v6 offset:256
	s_waitcnt vmcnt(12)
	ds_write_b8 v0, v7 offset:512
	;; [unrolled: 2-line block ×14, first 2 shown]
	s_waitcnt lgkmcnt(0)
	s_barrier
	ds_read_u8 v72, v2
	ds_read_u8 v71, v2 offset:1
	ds_read_u8 v1, v2 offset:2
	ds_read_b96 v[30:32], v2 offset:3
	s_waitcnt lgkmcnt(0)
	s_barrier
	ds_write2st64_b64 v20, v[4:5], v[4:5] offset1:4
	ds_write2st64_b64 v20, v[4:5], v[4:5] offset0:8 offset1:12
	ds_write2st64_b64 v20, v[4:5], v[4:5] offset0:16 offset1:20
	;; [unrolled: 1-line block ×6, first 2 shown]
	ds_write_b64 v20, v[4:5] offset:28672
	s_waitcnt lgkmcnt(0)
	s_barrier
	s_load_dwordx2 s[60:61], s[4:5], 0x80
	s_add_i32 s33, s33, s52
	s_cbranch_execz .LBB368_3
	s_branch .LBB368_34
.LBB368_2:
                                        ; implicit-def: $vgpr30
                                        ; implicit-def: $vgpr72
                                        ; implicit-def: $vgpr71
                                        ; implicit-def: $vgpr1
                                        ; implicit-def: $vgpr3
	s_load_dwordx2 s[60:61], s[4:5], 0x80
	s_andn2_b64 vcc, exec, s[16:17]
	s_add_i32 s33, s33, s52
	s_cbranch_vccnz .LBB368_34
.LBB368_3:
	v_cmp_gt_u32_e32 vcc, s33, v0
                                        ; implicit-def: $vgpr1
	s_and_saveexec_b64 s[4:5], vcc
	s_cbranch_execz .LBB368_5
; %bb.4:
	global_load_ubyte v1, v0, s[8:9]
.LBB368_5:
	s_or_b64 exec, exec, s[4:5]
	v_or_b32_e32 v3, 0x100, v0
	v_cmp_gt_u32_e32 vcc, s33, v3
                                        ; implicit-def: $vgpr3
	s_and_saveexec_b64 s[4:5], vcc
	s_cbranch_execz .LBB368_7
; %bb.6:
	global_load_ubyte v3, v0, s[8:9] offset:256
.LBB368_7:
	s_or_b64 exec, exec, s[4:5]
	v_or_b32_e32 v4, 0x200, v0
	v_cmp_gt_u32_e32 vcc, s33, v4
                                        ; implicit-def: $vgpr4
	s_and_saveexec_b64 s[4:5], vcc
	s_cbranch_execz .LBB368_9
; %bb.8:
	global_load_ubyte v4, v0, s[8:9] offset:512
.LBB368_9:
	s_or_b64 exec, exec, s[4:5]
	v_or_b32_e32 v5, 0x300, v0
	v_cmp_gt_u32_e32 vcc, s33, v5
                                        ; implicit-def: $vgpr5
	s_and_saveexec_b64 s[4:5], vcc
	s_cbranch_execz .LBB368_11
; %bb.10:
	global_load_ubyte v5, v0, s[8:9] offset:768
.LBB368_11:
	s_or_b64 exec, exec, s[4:5]
	v_or_b32_e32 v6, 0x400, v0
	v_cmp_gt_u32_e32 vcc, s33, v6
                                        ; implicit-def: $vgpr6
	s_and_saveexec_b64 s[4:5], vcc
	s_cbranch_execz .LBB368_13
; %bb.12:
	global_load_ubyte v6, v0, s[8:9] offset:1024
.LBB368_13:
	s_or_b64 exec, exec, s[4:5]
	v_or_b32_e32 v7, 0x500, v0
	v_cmp_gt_u32_e32 vcc, s33, v7
                                        ; implicit-def: $vgpr7
	s_and_saveexec_b64 s[4:5], vcc
	s_cbranch_execz .LBB368_15
; %bb.14:
	global_load_ubyte v7, v0, s[8:9] offset:1280
.LBB368_15:
	s_or_b64 exec, exec, s[4:5]
	v_or_b32_e32 v8, 0x600, v0
	v_cmp_gt_u32_e32 vcc, s33, v8
                                        ; implicit-def: $vgpr8
	s_and_saveexec_b64 s[4:5], vcc
	s_cbranch_execz .LBB368_17
; %bb.16:
	global_load_ubyte v8, v0, s[8:9] offset:1536
.LBB368_17:
	s_or_b64 exec, exec, s[4:5]
	v_or_b32_e32 v9, 0x700, v0
	v_cmp_gt_u32_e32 vcc, s33, v9
                                        ; implicit-def: $vgpr9
	s_and_saveexec_b64 s[4:5], vcc
	s_cbranch_execz .LBB368_19
; %bb.18:
	global_load_ubyte v9, v0, s[8:9] offset:1792
.LBB368_19:
	s_or_b64 exec, exec, s[4:5]
	v_or_b32_e32 v10, 0x800, v0
	v_cmp_gt_u32_e32 vcc, s33, v10
                                        ; implicit-def: $vgpr10
	s_and_saveexec_b64 s[4:5], vcc
	s_cbranch_execz .LBB368_21
; %bb.20:
	global_load_ubyte v10, v0, s[8:9] offset:2048
.LBB368_21:
	s_or_b64 exec, exec, s[4:5]
	v_or_b32_e32 v11, 0x900, v0
	v_cmp_gt_u32_e32 vcc, s33, v11
                                        ; implicit-def: $vgpr11
	s_and_saveexec_b64 s[4:5], vcc
	s_cbranch_execz .LBB368_23
; %bb.22:
	global_load_ubyte v11, v0, s[8:9] offset:2304
.LBB368_23:
	s_or_b64 exec, exec, s[4:5]
	v_or_b32_e32 v12, 0xa00, v0
	v_cmp_gt_u32_e32 vcc, s33, v12
                                        ; implicit-def: $vgpr12
	s_and_saveexec_b64 s[4:5], vcc
	s_cbranch_execz .LBB368_25
; %bb.24:
	global_load_ubyte v12, v0, s[8:9] offset:2560
.LBB368_25:
	s_or_b64 exec, exec, s[4:5]
	v_or_b32_e32 v13, 0xb00, v0
	v_cmp_gt_u32_e32 vcc, s33, v13
                                        ; implicit-def: $vgpr13
	s_and_saveexec_b64 s[4:5], vcc
	s_cbranch_execz .LBB368_27
; %bb.26:
	global_load_ubyte v13, v0, s[8:9] offset:2816
.LBB368_27:
	s_or_b64 exec, exec, s[4:5]
	v_or_b32_e32 v14, 0xc00, v0
	v_cmp_gt_u32_e32 vcc, s33, v14
                                        ; implicit-def: $vgpr14
	s_and_saveexec_b64 s[4:5], vcc
	s_cbranch_execz .LBB368_29
; %bb.28:
	global_load_ubyte v14, v0, s[8:9] offset:3072
.LBB368_29:
	s_or_b64 exec, exec, s[4:5]
	v_or_b32_e32 v15, 0xd00, v0
	v_cmp_gt_u32_e32 vcc, s33, v15
                                        ; implicit-def: $vgpr15
	s_and_saveexec_b64 s[4:5], vcc
	s_cbranch_execz .LBB368_31
; %bb.30:
	global_load_ubyte v15, v0, s[8:9] offset:3328
.LBB368_31:
	s_or_b64 exec, exec, s[4:5]
	v_or_b32_e32 v16, 0xe00, v0
	v_cmp_gt_u32_e32 vcc, s33, v16
                                        ; implicit-def: $vgpr16
	s_and_saveexec_b64 s[4:5], vcc
	s_cbranch_execz .LBB368_33
; %bb.32:
	global_load_ubyte v16, v0, s[8:9] offset:3584
.LBB368_33:
	s_or_b64 exec, exec, s[4:5]
	s_waitcnt vmcnt(0)
	ds_write_b8 v0, v1
	ds_write_b8 v0, v3 offset:256
	ds_write_b8 v0, v4 offset:512
	;; [unrolled: 1-line block ×14, first 2 shown]
	s_waitcnt lgkmcnt(0)
	s_barrier
	ds_read_u8 v72, v2
	ds_read_u8 v71, v2 offset:1
	ds_read_u8 v1, v2 offset:2
	ds_read_b96 v[30:32], v2 offset:3
	s_ashr_i32 s15, s14, 31
	v_mov_b32_e32 v4, s14
	v_mul_u32_u24_e32 v3, 15, v0
	v_mad_i32_i24 v2, v0, -7, v2
	v_mov_b32_e32 v5, s15
	s_waitcnt lgkmcnt(0)
	s_barrier
	ds_write2st64_b64 v2, v[4:5], v[4:5] offset1:4
	ds_write2st64_b64 v2, v[4:5], v[4:5] offset0:8 offset1:12
	ds_write2st64_b64 v2, v[4:5], v[4:5] offset0:16 offset1:20
	;; [unrolled: 1-line block ×6, first 2 shown]
	ds_write_b64 v2, v[4:5] offset:28672
	s_waitcnt lgkmcnt(0)
	s_barrier
.LBB368_34:
	v_lshlrev_b32_e32 v26, 3, v3
	s_waitcnt lgkmcnt(0)
	ds_read_b64 v[67:68], v26 offset:112
	ds_read2_b64 v[2:5], v26 offset0:12 offset1:13
	ds_read2_b64 v[6:9], v26 offset0:10 offset1:11
	;; [unrolled: 1-line block ×6, first 2 shown]
	ds_read2_b64 v[26:29], v26 offset1:1
	s_cmp_eq_u64 s[10:11], 0
	s_cselect_b64 s[50:51], -1, 0
	s_cmp_lg_u64 s[10:11], 0
	s_mov_b64 s[14:15], 0
	s_cselect_b64 s[4:5], -1, 0
	s_and_b64 vcc, exec, s[12:13]
	s_waitcnt lgkmcnt(0)
	s_barrier
	s_cbranch_vccz .LBB368_39
; %bb.35:
	s_and_b64 vcc, exec, s[4:5]
	s_cbranch_vccz .LBB368_40
; %bb.36:
	v_mov_b32_e32 v33, 0
	global_load_ubyte v33, v33, s[8:9] offset:-1
	s_movk_i32 s7, 0xff
	v_lshrrev_b32_e32 v34, 24, v32
	v_and_b32_sdwa v35, v32, s7 dst_sel:DWORD dst_unused:UNUSED_PAD src0_sel:WORD_1 src1_sel:DWORD
	v_cmp_ne_u16_e32 vcc, v35, v34
	ds_write_b8 v0, v34
	v_cndmask_b32_e64 v34, 0, 1, vcc
	buffer_store_dword v34, off, s[0:3], 0 offset:56
	v_lshrrev_b32_e32 v34, 8, v32
	v_cmp_ne_u16_sdwa s[12:13], v34, v35 src0_sel:BYTE_0 src1_sel:DWORD
	v_cndmask_b32_e64 v35, 0, 1, s[12:13]
	v_cmp_ne_u16_sdwa s[12:13], v32, v34 src0_sel:BYTE_0 src1_sel:BYTE_0
	v_cndmask_b32_e64 v34, 0, 1, s[12:13]
	v_cmp_ne_u16_sdwa s[12:13], v31, v32 src0_sel:BYTE_3 src1_sel:BYTE_0
	buffer_store_dword v34, off, s[0:3], 0 offset:48
	v_cndmask_b32_e64 v34, 0, 1, s[12:13]
	buffer_store_dword v34, off, s[0:3], 0 offset:44
	v_and_b32_sdwa v34, v31, s7 dst_sel:DWORD dst_unused:UNUSED_PAD src0_sel:WORD_1 src1_sel:DWORD
	v_cmp_ne_u16_sdwa s[12:13], v34, v31 src0_sel:DWORD src1_sel:BYTE_3
	buffer_store_dword v35, off, s[0:3], 0 offset:52
	v_cndmask_b32_e64 v35, 0, 1, s[12:13]
	buffer_store_dword v35, off, s[0:3], 0 offset:40
	v_lshrrev_b32_e32 v35, 8, v31
	v_cmp_ne_u16_sdwa s[12:13], v35, v34 src0_sel:BYTE_0 src1_sel:DWORD
	v_cndmask_b32_e64 v34, 0, 1, s[12:13]
	v_cmp_ne_u16_sdwa s[12:13], v31, v35 src0_sel:BYTE_0 src1_sel:BYTE_0
	buffer_store_dword v34, off, s[0:3], 0 offset:36
	v_cndmask_b32_e64 v34, 0, 1, s[12:13]
	v_cmp_ne_u16_sdwa s[12:13], v30, v31 src0_sel:BYTE_3 src1_sel:BYTE_0
	buffer_store_dword v34, off, s[0:3], 0 offset:32
	v_cndmask_b32_e64 v34, 0, 1, s[12:13]
	buffer_store_dword v34, off, s[0:3], 0 offset:28
	v_and_b32_sdwa v34, v30, s7 dst_sel:DWORD dst_unused:UNUSED_PAD src0_sel:WORD_1 src1_sel:DWORD
	v_cmp_ne_u16_sdwa s[12:13], v34, v30 src0_sel:DWORD src1_sel:BYTE_3
	v_cndmask_b32_e64 v35, 0, 1, s[12:13]
	buffer_store_dword v35, off, s[0:3], 0 offset:24
	v_lshrrev_b32_e32 v35, 8, v30
	v_cmp_ne_u16_sdwa s[12:13], v35, v34 src0_sel:BYTE_0 src1_sel:DWORD
	v_cndmask_b32_e64 v34, 0, 1, s[12:13]
	v_cmp_ne_u16_sdwa s[12:13], v30, v35 src0_sel:BYTE_0 src1_sel:BYTE_0
	buffer_store_dword v34, off, s[0:3], 0 offset:20
	v_cndmask_b32_e64 v34, 0, 1, s[12:13]
	v_cmp_ne_u16_sdwa s[12:13], v1, v30 src0_sel:BYTE_0 src1_sel:BYTE_0
	buffer_store_dword v34, off, s[0:3], 0 offset:16
	;; [unrolled: 3-line block ×4, first 2 shown]
	v_cndmask_b32_e64 v34, 0, 1, s[12:13]
	v_cmp_ne_u32_e32 vcc, 0, v0
	buffer_store_dword v34, off, s[0:3], 0 offset:4
	s_waitcnt vmcnt(0) lgkmcnt(0)
	s_barrier
	s_and_saveexec_b64 s[12:13], vcc
; %bb.37:
	v_add_u32_e32 v33, -1, v0
	ds_read_u8 v33, v33
; %bb.38:
	s_or_b64 exec, exec, s[12:13]
	s_waitcnt lgkmcnt(0)
	v_cmp_ne_u16_sdwa s[12:13], v33, v72 src0_sel:BYTE_0 src1_sel:BYTE_0
	s_mov_b64 s[14:15], -1
	s_branch .LBB368_44
.LBB368_39:
                                        ; implicit-def: $sgpr12_sgpr13
	s_cbranch_execnz .LBB368_45
	s_branch .LBB368_53
.LBB368_40:
                                        ; implicit-def: $sgpr12_sgpr13
	s_cbranch_execz .LBB368_44
; %bb.41:
	s_movk_i32 s7, 0xff
	v_lshrrev_b32_e32 v33, 24, v32
	v_and_b32_sdwa v34, v32, s7 dst_sel:DWORD dst_unused:UNUSED_PAD src0_sel:WORD_1 src1_sel:DWORD
	v_cmp_ne_u16_e32 vcc, v34, v33
	ds_write_b8 v0, v33
	v_cndmask_b32_e64 v33, 0, 1, vcc
	buffer_store_dword v33, off, s[0:3], 0 offset:56
	v_lshrrev_b32_e32 v33, 8, v32
	v_cmp_ne_u16_sdwa s[12:13], v33, v34 src0_sel:BYTE_0 src1_sel:DWORD
	v_cndmask_b32_e64 v34, 0, 1, s[12:13]
	v_cmp_ne_u16_sdwa s[12:13], v32, v33 src0_sel:BYTE_0 src1_sel:BYTE_0
	v_cndmask_b32_e64 v33, 0, 1, s[12:13]
	v_cmp_ne_u16_sdwa s[12:13], v31, v32 src0_sel:BYTE_3 src1_sel:BYTE_0
	buffer_store_dword v33, off, s[0:3], 0 offset:48
	v_cndmask_b32_e64 v33, 0, 1, s[12:13]
	buffer_store_dword v33, off, s[0:3], 0 offset:44
	v_and_b32_sdwa v33, v31, s7 dst_sel:DWORD dst_unused:UNUSED_PAD src0_sel:WORD_1 src1_sel:DWORD
	v_cmp_ne_u16_sdwa s[12:13], v33, v31 src0_sel:DWORD src1_sel:BYTE_3
	buffer_store_dword v34, off, s[0:3], 0 offset:52
	v_cndmask_b32_e64 v34, 0, 1, s[12:13]
	buffer_store_dword v34, off, s[0:3], 0 offset:40
	v_lshrrev_b32_e32 v34, 8, v31
	v_cmp_ne_u16_sdwa s[12:13], v34, v33 src0_sel:BYTE_0 src1_sel:DWORD
	v_cndmask_b32_e64 v33, 0, 1, s[12:13]
	v_cmp_ne_u16_sdwa s[12:13], v31, v34 src0_sel:BYTE_0 src1_sel:BYTE_0
	buffer_store_dword v33, off, s[0:3], 0 offset:36
	v_cndmask_b32_e64 v33, 0, 1, s[12:13]
	v_cmp_ne_u16_sdwa s[12:13], v30, v31 src0_sel:BYTE_3 src1_sel:BYTE_0
	buffer_store_dword v33, off, s[0:3], 0 offset:32
	v_cndmask_b32_e64 v33, 0, 1, s[12:13]
	buffer_store_dword v33, off, s[0:3], 0 offset:28
	v_and_b32_sdwa v33, v30, s7 dst_sel:DWORD dst_unused:UNUSED_PAD src0_sel:WORD_1 src1_sel:DWORD
	v_cmp_ne_u16_sdwa s[12:13], v33, v30 src0_sel:DWORD src1_sel:BYTE_3
	v_cndmask_b32_e64 v34, 0, 1, s[12:13]
	buffer_store_dword v34, off, s[0:3], 0 offset:24
	v_lshrrev_b32_e32 v34, 8, v30
	v_cmp_ne_u16_sdwa s[12:13], v34, v33 src0_sel:BYTE_0 src1_sel:DWORD
	v_cndmask_b32_e64 v33, 0, 1, s[12:13]
	v_cmp_ne_u16_sdwa s[12:13], v30, v34 src0_sel:BYTE_0 src1_sel:BYTE_0
	buffer_store_dword v33, off, s[0:3], 0 offset:20
	v_cndmask_b32_e64 v33, 0, 1, s[12:13]
	v_cmp_ne_u16_sdwa s[12:13], v1, v30 src0_sel:BYTE_0 src1_sel:BYTE_0
	buffer_store_dword v33, off, s[0:3], 0 offset:16
	;; [unrolled: 3-line block ×4, first 2 shown]
	v_cndmask_b32_e64 v33, 0, 1, s[12:13]
	buffer_store_dword v33, off, s[0:3], 0 offset:4
	v_mov_b32_e32 v33, 1
	v_cmp_ne_u32_e32 vcc, 0, v0
	s_waitcnt vmcnt(0) lgkmcnt(0)
	s_barrier
	buffer_store_dword v33, off, s[0:3], 0
                                        ; implicit-def: $sgpr12_sgpr13
	s_and_saveexec_b64 s[16:17], vcc
	s_xor_b64 s[16:17], exec, s[16:17]
	s_cbranch_execz .LBB368_43
; %bb.42:
	v_add_u32_e32 v33, -1, v0
	ds_read_u8 v33, v33
	s_or_b64 s[14:15], s[14:15], exec
	s_waitcnt lgkmcnt(0)
	v_cmp_ne_u16_sdwa s[12:13], v33, v72 src0_sel:DWORD src1_sel:BYTE_0
.LBB368_43:
	s_or_b64 exec, exec, s[16:17]
.LBB368_44:
	s_branch .LBB368_53
.LBB368_45:
	s_mul_i32 s7, s11, 0xfffff100
	s_mul_hi_u32 s11, s10, 0xfffff100
	s_sub_i32 s11, s11, s10
	s_add_i32 s11, s11, s7
	s_mul_i32 s7, s10, 0xfffff100
	s_add_u32 s10, s7, s52
	s_addc_u32 s11, s11, s53
	s_and_b64 vcc, exec, s[4:5]
	v_mad_u32_u24 v33, v0, 15, 14
	v_mad_u32_u24 v59, v0, 15, 13
	;; [unrolled: 1-line block ×4, first 2 shown]
	v_cmp_ne_u16_sdwa s[22:23], v31, v32 src0_sel:BYTE_3 src1_sel:BYTE_0
	v_mad_u32_u24 v53, v0, 15, 10
	v_mad_u32_u24 v51, v0, 15, 9
	;; [unrolled: 1-line block ×4, first 2 shown]
	v_cmp_ne_u16_sdwa s[20:21], v30, v31 src0_sel:BYTE_3 src1_sel:BYTE_0
	v_mad_u32_u24 v45, v0, 15, 6
	v_mad_u32_u24 v43, v0, 15, 5
	;; [unrolled: 1-line block ×4, first 2 shown]
	v_cmp_ne_u16_sdwa s[18:19], v1, v30 src0_sel:BYTE_0 src1_sel:BYTE_0
	v_mad_u32_u24 v37, v0, 15, 2
	v_cmp_ne_u16_sdwa s[16:17], v71, v1 src0_sel:BYTE_0 src1_sel:BYTE_0
	v_mad_u32_u24 v35, v0, 15, 1
	v_cmp_ne_u16_sdwa s[12:13], v72, v71 src0_sel:BYTE_0 src1_sel:BYTE_0
	v_cmp_ne_u32_e64 s[4:5], 0, v0
	s_cbranch_vccz .LBB368_49
; %bb.46:
	v_mov_b32_e32 v34, 0
	global_load_ubyte v63, v34, s[8:9] offset:-1
	s_movk_i32 s7, 0xff
	v_lshrrev_b32_e32 v36, 24, v32
	v_cmp_gt_u64_e32 vcc, s[10:11], v[33:34]
	v_and_b32_sdwa v38, v32, s7 dst_sel:DWORD dst_unused:UNUSED_PAD src0_sel:WORD_1 src1_sel:DWORD
	v_cmp_ne_u16_e64 s[8:9], v38, v36
	s_and_b64 s[8:9], vcc, s[8:9]
	ds_write_b8 v0, v36
	v_cndmask_b32_e64 v36, 0, 1, s[8:9]
	v_mov_b32_e32 v60, v34
	buffer_store_dword v36, off, s[0:3], 0 offset:56
	v_cmp_gt_u64_e32 vcc, s[10:11], v[59:60]
	v_lshrrev_b32_e32 v36, 8, v32
	v_cmp_ne_u16_sdwa s[8:9], v36, v38 src0_sel:BYTE_0 src1_sel:DWORD
	v_mov_b32_e32 v58, v34
	s_and_b64 s[8:9], vcc, s[8:9]
	v_cmp_gt_u64_e32 vcc, s[10:11], v[57:58]
	v_cndmask_b32_e64 v38, 0, 1, s[8:9]
	v_cmp_ne_u16_sdwa s[8:9], v32, v36 src0_sel:BYTE_0 src1_sel:BYTE_0
	v_mov_b32_e32 v56, v34
	s_and_b64 s[8:9], vcc, s[8:9]
	v_cmp_gt_u64_e32 vcc, s[10:11], v[55:56]
	v_cndmask_b32_e64 v36, 0, 1, s[8:9]
	s_and_b64 s[8:9], vcc, s[22:23]
	buffer_store_dword v36, off, s[0:3], 0 offset:48
	v_cndmask_b32_e64 v36, 0, 1, s[8:9]
	v_mov_b32_e32 v54, v34
	buffer_store_dword v36, off, s[0:3], 0 offset:44
	v_cmp_gt_u64_e32 vcc, s[10:11], v[53:54]
	v_and_b32_sdwa v36, v31, s7 dst_sel:DWORD dst_unused:UNUSED_PAD src0_sel:WORD_1 src1_sel:DWORD
	v_cmp_ne_u16_sdwa s[8:9], v36, v31 src0_sel:DWORD src1_sel:BYTE_3
	s_and_b64 s[8:9], vcc, s[8:9]
	buffer_store_dword v38, off, s[0:3], 0 offset:52
	v_cndmask_b32_e64 v38, 0, 1, s[8:9]
	v_mov_b32_e32 v52, v34
	buffer_store_dword v38, off, s[0:3], 0 offset:40
	v_cmp_gt_u64_e32 vcc, s[10:11], v[51:52]
	v_lshrrev_b32_e32 v38, 8, v31
	v_cmp_ne_u16_sdwa s[8:9], v38, v36 src0_sel:BYTE_0 src1_sel:DWORD
	v_mov_b32_e32 v50, v34
	s_and_b64 s[8:9], vcc, s[8:9]
	v_cmp_gt_u64_e32 vcc, s[10:11], v[49:50]
	v_cndmask_b32_e64 v36, 0, 1, s[8:9]
	v_cmp_ne_u16_sdwa s[8:9], v31, v38 src0_sel:BYTE_0 src1_sel:BYTE_0
	v_mov_b32_e32 v48, v34
	s_and_b64 s[8:9], vcc, s[8:9]
	v_cmp_gt_u64_e32 vcc, s[10:11], v[47:48]
	buffer_store_dword v36, off, s[0:3], 0 offset:36
	v_cndmask_b32_e64 v36, 0, 1, s[8:9]
	s_and_b64 s[8:9], vcc, s[20:21]
	buffer_store_dword v36, off, s[0:3], 0 offset:32
	v_cndmask_b32_e64 v36, 0, 1, s[8:9]
	v_mov_b32_e32 v46, v34
	buffer_store_dword v36, off, s[0:3], 0 offset:28
	v_cmp_gt_u64_e32 vcc, s[10:11], v[45:46]
	v_and_b32_sdwa v36, v30, s7 dst_sel:DWORD dst_unused:UNUSED_PAD src0_sel:WORD_1 src1_sel:DWORD
	v_cmp_ne_u16_sdwa s[8:9], v36, v30 src0_sel:DWORD src1_sel:BYTE_3
	s_and_b64 s[8:9], vcc, s[8:9]
	v_cndmask_b32_e64 v38, 0, 1, s[8:9]
	v_mov_b32_e32 v44, v34
	buffer_store_dword v38, off, s[0:3], 0 offset:24
	v_cmp_gt_u64_e32 vcc, s[10:11], v[43:44]
	v_lshrrev_b32_e32 v38, 8, v30
	v_cmp_ne_u16_sdwa s[8:9], v38, v36 src0_sel:BYTE_0 src1_sel:DWORD
	v_mov_b32_e32 v42, v34
	s_and_b64 s[8:9], vcc, s[8:9]
	v_cmp_gt_u64_e32 vcc, s[10:11], v[41:42]
	v_cndmask_b32_e64 v36, 0, 1, s[8:9]
	v_cmp_ne_u16_sdwa s[8:9], v30, v38 src0_sel:BYTE_0 src1_sel:BYTE_0
	v_mov_b32_e32 v40, v34
	s_and_b64 s[8:9], vcc, s[8:9]
	v_cmp_gt_u64_e32 vcc, s[10:11], v[39:40]
	buffer_store_dword v36, off, s[0:3], 0 offset:20
	v_cndmask_b32_e64 v36, 0, 1, s[8:9]
	s_and_b64 s[8:9], vcc, s[18:19]
	v_mov_b32_e32 v38, v34
	buffer_store_dword v36, off, s[0:3], 0 offset:16
	v_cndmask_b32_e64 v36, 0, 1, s[8:9]
	v_cmp_gt_u64_e32 vcc, s[10:11], v[37:38]
	buffer_store_dword v36, off, s[0:3], 0 offset:12
	v_mov_b32_e32 v36, v34
	s_and_b64 s[8:9], vcc, s[16:17]
	v_cmp_gt_u64_e32 vcc, s[10:11], v[35:36]
	v_cndmask_b32_e64 v38, 0, 1, s[8:9]
	s_and_b64 s[8:9], vcc, s[12:13]
	v_mul_u32_u24_e32 v61, 15, v0
	v_cndmask_b32_e64 v36, 0, 1, s[8:9]
	buffer_store_dword v38, off, s[0:3], 0 offset:8
	buffer_store_dword v36, off, s[0:3], 0 offset:4
	s_waitcnt vmcnt(0) lgkmcnt(0)
	s_barrier
	s_and_saveexec_b64 s[8:9], s[4:5]
; %bb.47:
	v_add_u32_e32 v36, -1, v0
	ds_read_u8 v63, v36
; %bb.48:
	s_or_b64 exec, exec, s[8:9]
	v_mov_b32_e32 v62, v34
	v_cmp_gt_u64_e32 vcc, s[10:11], v[61:62]
	s_waitcnt lgkmcnt(0)
	v_cmp_ne_u16_sdwa s[4:5], v63, v72 src0_sel:BYTE_0 src1_sel:BYTE_0
	s_and_b64 s[12:13], vcc, s[4:5]
	s_mov_b64 s[14:15], -1
	s_branch .LBB368_53
.LBB368_49:
                                        ; implicit-def: $sgpr12_sgpr13
	s_cbranch_execz .LBB368_53
; %bb.50:
	v_mov_b32_e32 v34, 0
	s_movk_i32 s7, 0xff
	v_lshrrev_b32_e32 v36, 24, v32
	v_cmp_gt_u64_e32 vcc, s[10:11], v[33:34]
	v_and_b32_sdwa v33, v32, s7 dst_sel:DWORD dst_unused:UNUSED_PAD src0_sel:WORD_1 src1_sel:DWORD
	v_cmp_ne_u16_e64 s[4:5], v33, v36
	s_and_b64 s[4:5], vcc, s[4:5]
	ds_write_b8 v0, v36
	v_cndmask_b32_e64 v36, 0, 1, s[4:5]
	v_mov_b32_e32 v60, v34
	buffer_store_dword v36, off, s[0:3], 0 offset:56
	v_cmp_gt_u64_e32 vcc, s[10:11], v[59:60]
	v_lshrrev_b32_e32 v36, 8, v32
	v_cmp_ne_u16_sdwa s[4:5], v36, v33 src0_sel:BYTE_0 src1_sel:DWORD
	v_mov_b32_e32 v58, v34
	s_and_b64 s[4:5], vcc, s[4:5]
	v_cmp_gt_u64_e32 vcc, s[10:11], v[57:58]
	v_cndmask_b32_e64 v33, 0, 1, s[4:5]
	v_cmp_ne_u16_sdwa s[4:5], v32, v36 src0_sel:BYTE_0 src1_sel:BYTE_0
	v_mov_b32_e32 v56, v34
	s_and_b64 s[4:5], vcc, s[4:5]
	v_cmp_gt_u64_e32 vcc, s[10:11], v[55:56]
	buffer_store_dword v33, off, s[0:3], 0 offset:52
	v_cndmask_b32_e64 v33, 0, 1, s[4:5]
	v_cmp_ne_u16_sdwa s[4:5], v31, v32 src0_sel:BYTE_3 src1_sel:BYTE_0
	s_and_b64 s[4:5], vcc, s[4:5]
	buffer_store_dword v33, off, s[0:3], 0 offset:48
	v_cndmask_b32_e64 v33, 0, 1, s[4:5]
	v_mov_b32_e32 v54, v34
	buffer_store_dword v33, off, s[0:3], 0 offset:44
	v_cmp_gt_u64_e32 vcc, s[10:11], v[53:54]
	v_and_b32_sdwa v33, v31, s7 dst_sel:DWORD dst_unused:UNUSED_PAD src0_sel:WORD_1 src1_sel:DWORD
	v_cmp_ne_u16_sdwa s[4:5], v33, v31 src0_sel:DWORD src1_sel:BYTE_3
	s_and_b64 s[4:5], vcc, s[4:5]
	v_cndmask_b32_e64 v36, 0, 1, s[4:5]
	v_mov_b32_e32 v52, v34
	buffer_store_dword v36, off, s[0:3], 0 offset:40
	v_cmp_gt_u64_e32 vcc, s[10:11], v[51:52]
	v_lshrrev_b32_e32 v36, 8, v31
	v_cmp_ne_u16_sdwa s[4:5], v36, v33 src0_sel:BYTE_0 src1_sel:DWORD
	v_mov_b32_e32 v50, v34
	s_and_b64 s[4:5], vcc, s[4:5]
	v_cmp_gt_u64_e32 vcc, s[10:11], v[49:50]
	v_cndmask_b32_e64 v33, 0, 1, s[4:5]
	v_cmp_ne_u16_sdwa s[4:5], v31, v36 src0_sel:BYTE_0 src1_sel:BYTE_0
	v_mov_b32_e32 v48, v34
	s_and_b64 s[4:5], vcc, s[4:5]
	v_cmp_gt_u64_e32 vcc, s[10:11], v[47:48]
	buffer_store_dword v33, off, s[0:3], 0 offset:36
	v_cndmask_b32_e64 v33, 0, 1, s[4:5]
	v_cmp_ne_u16_sdwa s[4:5], v30, v31 src0_sel:BYTE_3 src1_sel:BYTE_0
	s_and_b64 s[4:5], vcc, s[4:5]
	buffer_store_dword v33, off, s[0:3], 0 offset:32
	v_cndmask_b32_e64 v33, 0, 1, s[4:5]
	v_mov_b32_e32 v46, v34
	buffer_store_dword v33, off, s[0:3], 0 offset:28
	v_cmp_gt_u64_e32 vcc, s[10:11], v[45:46]
	v_and_b32_sdwa v33, v30, s7 dst_sel:DWORD dst_unused:UNUSED_PAD src0_sel:WORD_1 src1_sel:DWORD
	v_cmp_ne_u16_sdwa s[4:5], v33, v30 src0_sel:DWORD src1_sel:BYTE_3
	s_and_b64 s[4:5], vcc, s[4:5]
	v_cndmask_b32_e64 v36, 0, 1, s[4:5]
	v_mov_b32_e32 v44, v34
	buffer_store_dword v36, off, s[0:3], 0 offset:24
	v_cmp_gt_u64_e32 vcc, s[10:11], v[43:44]
	v_lshrrev_b32_e32 v36, 8, v30
	v_cmp_ne_u16_sdwa s[4:5], v36, v33 src0_sel:BYTE_0 src1_sel:DWORD
	v_mov_b32_e32 v42, v34
	s_and_b64 s[4:5], vcc, s[4:5]
	v_cmp_gt_u64_e32 vcc, s[10:11], v[41:42]
	v_cndmask_b32_e64 v33, 0, 1, s[4:5]
	v_cmp_ne_u16_sdwa s[4:5], v30, v36 src0_sel:BYTE_0 src1_sel:BYTE_0
	v_mov_b32_e32 v40, v34
	s_and_b64 s[4:5], vcc, s[4:5]
	v_cmp_gt_u64_e32 vcc, s[10:11], v[39:40]
	buffer_store_dword v33, off, s[0:3], 0 offset:20
	v_cndmask_b32_e64 v33, 0, 1, s[4:5]
	v_cmp_ne_u16_sdwa s[4:5], v1, v30 src0_sel:BYTE_0 src1_sel:BYTE_0
	v_mov_b32_e32 v38, v34
	s_and_b64 s[4:5], vcc, s[4:5]
	v_cmp_gt_u64_e32 vcc, s[10:11], v[37:38]
	buffer_store_dword v33, off, s[0:3], 0 offset:16
	;; [unrolled: 6-line block ×3, first 2 shown]
	v_cndmask_b32_e64 v33, 0, 1, s[4:5]
	v_cmp_ne_u16_sdwa s[4:5], v72, v71 src0_sel:BYTE_0 src1_sel:BYTE_0
	s_and_b64 s[4:5], vcc, s[4:5]
	buffer_store_dword v33, off, s[0:3], 0 offset:8
	v_mov_b32_e32 v33, 1
	v_cndmask_b32_e64 v35, 0, 1, s[4:5]
	v_cmp_ne_u32_e32 vcc, 0, v0
	buffer_store_dword v35, off, s[0:3], 0 offset:4
	s_waitcnt vmcnt(0) lgkmcnt(0)
	s_barrier
	buffer_store_dword v33, off, s[0:3], 0
                                        ; implicit-def: $sgpr12_sgpr13
	s_and_saveexec_b64 s[4:5], vcc
	s_cbranch_execz .LBB368_52
; %bb.51:
	v_add_u32_e32 v33, -1, v0
	ds_read_u8 v35, v33
	v_mul_u32_u24_e32 v33, 15, v0
	v_cmp_gt_u64_e32 vcc, s[10:11], v[33:34]
	s_or_b64 s[14:15], s[14:15], exec
	s_waitcnt lgkmcnt(0)
	v_cmp_ne_u16_sdwa s[8:9], v35, v72 src0_sel:BYTE_0 src1_sel:BYTE_0
	s_and_b64 s[12:13], vcc, s[8:9]
.LBB368_52:
	s_or_b64 exec, exec, s[4:5]
.LBB368_53:
	v_mov_b32_e32 v73, 1
	s_and_saveexec_b64 s[4:5], s[14:15]
	s_cbranch_execz .LBB368_55
; %bb.54:
	v_cndmask_b32_e64 v73, 0, 1, s[12:13]
	buffer_store_dword v73, off, s[0:3], 0
.LBB368_55:
	s_or_b64 exec, exec, s[4:5]
	buffer_load_dword v86, off, s[0:3], 0 offset:4
	buffer_load_dword v85, off, s[0:3], 0 offset:8
	;; [unrolled: 1-line block ×14, first 2 shown]
	s_cmp_eq_u64 s[46:47], 0
	s_cselect_b64 s[46:47], -1, 0
	s_cmp_lg_u32 s6, 0
	v_mbcnt_lo_u32_b32 v88, -1, 0
	s_waitcnt vmcnt(13)
	v_cmp_eq_u32_e64 s[28:29], 0, v86
	s_waitcnt vmcnt(12)
	v_add3_u32 v33, v86, v73, v85
	v_cmp_eq_u32_e64 s[26:27], 0, v85
	s_waitcnt vmcnt(11)
	v_cmp_eq_u32_e64 s[24:25], 0, v74
	s_waitcnt vmcnt(10)
	v_cmp_eq_u32_e64 s[22:23], 0, v75
	s_waitcnt vmcnt(9)
	v_cmp_eq_u32_e64 s[20:21], 0, v76
	s_waitcnt vmcnt(8)
	v_cmp_eq_u32_e64 s[18:19], 0, v77
	s_waitcnt vmcnt(7)
	v_cmp_eq_u32_e64 s[16:17], 0, v78
	s_waitcnt vmcnt(6)
	v_cmp_eq_u32_e64 s[14:15], 0, v79
	s_waitcnt vmcnt(5)
	v_cmp_eq_u32_e64 s[12:13], 0, v80
	s_waitcnt vmcnt(4)
	v_cmp_eq_u32_e64 s[10:11], 0, v81
	s_waitcnt vmcnt(3)
	v_cmp_eq_u32_e64 s[8:9], 0, v82
	s_waitcnt vmcnt(2)
	v_cmp_eq_u32_e64 s[34:35], 0, v83
	s_waitcnt vmcnt(1)
	v_cmp_eq_u32_e64 s[4:5], 0, v84
	s_waitcnt vmcnt(0)
	v_cmp_eq_u32_e32 vcc, 0, v87
	v_add3_u32 v89, v33, v74, v75
	s_cbranch_scc0 .LBB368_117
; %bb.56:
	v_cndmask_b32_e64 v34, 0, v26, s[28:29]
	v_cndmask_b32_e64 v33, 0, v27, s[28:29]
	v_add_co_u32_e64 v34, s[30:31], v34, v28
	v_addc_co_u32_e64 v33, s[30:31], v33, v29, s[30:31]
	v_cndmask_b32_e64 v34, 0, v34, s[26:27]
	v_cndmask_b32_e64 v33, 0, v33, s[26:27]
	v_add_co_u32_e64 v34, s[30:31], v34, v22
	v_addc_co_u32_e64 v33, s[30:31], v33, v23, s[30:31]
	;; [unrolled: 4-line block ×11, first 2 shown]
	v_cndmask_b32_e64 v34, 0, v34, s[34:35]
	v_add3_u32 v35, v89, v76, v77
	v_cndmask_b32_e64 v33, 0, v33, s[34:35]
	v_add_co_u32_e64 v34, s[30:31], v34, v2
	v_add3_u32 v35, v35, v78, v79
	v_addc_co_u32_e64 v33, s[30:31], v33, v3, s[30:31]
	v_cndmask_b32_e64 v34, 0, v34, s[4:5]
	v_add3_u32 v35, v35, v80, v81
	v_cndmask_b32_e64 v33, 0, v33, s[4:5]
	v_add_co_u32_e64 v34, s[30:31], v34, v4
	v_add3_u32 v35, v35, v82, v83
	v_addc_co_u32_e64 v33, s[30:31], v33, v5, s[30:31]
	v_cndmask_b32_e32 v34, 0, v34, vcc
	v_add3_u32 v37, v35, v84, v87
	v_cndmask_b32_e32 v33, 0, v33, vcc
	v_add_co_u32_e32 v35, vcc, v34, v67
	v_mbcnt_hi_u32_b32 v42, -1, v88
	v_addc_co_u32_e32 v36, vcc, v33, v68, vcc
	v_and_b32_e32 v33, 15, v42
	v_mov_b32_dpp v38, v37 row_shr:1 row_mask:0xf bank_mask:0xf
	v_mov_b32_dpp v34, v35 row_shr:1 row_mask:0xf bank_mask:0xf
	;; [unrolled: 1-line block ×3, first 2 shown]
	v_cmp_ne_u32_e32 vcc, 0, v33
	s_and_saveexec_b64 s[30:31], vcc
; %bb.57:
	v_cmp_eq_u32_e32 vcc, 0, v37
	v_cndmask_b32_e32 v34, 0, v34, vcc
	v_add_u32_e32 v38, v38, v37
	v_cndmask_b32_e32 v37, 0, v39, vcc
	v_add_co_u32_e32 v35, vcc, v34, v35
	v_addc_co_u32_e32 v36, vcc, v37, v36, vcc
	v_mov_b32_e32 v37, v38
; %bb.58:
	s_or_b64 exec, exec, s[30:31]
	s_nop 0
	v_mov_b32_dpp v38, v37 row_shr:2 row_mask:0xf bank_mask:0xf
	v_mov_b32_dpp v34, v35 row_shr:2 row_mask:0xf bank_mask:0xf
	v_mov_b32_dpp v39, v36 row_shr:2 row_mask:0xf bank_mask:0xf
	v_cmp_lt_u32_e32 vcc, 1, v33
	s_and_saveexec_b64 s[30:31], vcc
; %bb.59:
	v_cmp_eq_u32_e32 vcc, 0, v37
	v_cndmask_b32_e32 v34, 0, v34, vcc
	v_add_u32_e32 v38, v38, v37
	v_cndmask_b32_e32 v37, 0, v39, vcc
	v_add_co_u32_e32 v35, vcc, v34, v35
	v_addc_co_u32_e32 v36, vcc, v37, v36, vcc
	v_mov_b32_e32 v37, v38
; %bb.60:
	s_or_b64 exec, exec, s[30:31]
	s_nop 0
	v_mov_b32_dpp v38, v37 row_shr:4 row_mask:0xf bank_mask:0xf
	v_mov_b32_dpp v34, v35 row_shr:4 row_mask:0xf bank_mask:0xf
	v_mov_b32_dpp v39, v36 row_shr:4 row_mask:0xf bank_mask:0xf
	v_cmp_lt_u32_e32 vcc, 3, v33
	;; [unrolled: 16-line block ×3, first 2 shown]
	s_and_saveexec_b64 s[30:31], vcc
; %bb.63:
	v_cmp_eq_u32_e32 vcc, 0, v37
	v_cndmask_b32_e32 v34, 0, v34, vcc
	v_add_u32_e32 v33, v38, v37
	v_cndmask_b32_e32 v37, 0, v39, vcc
	v_add_co_u32_e32 v35, vcc, v34, v35
	v_addc_co_u32_e32 v36, vcc, v37, v36, vcc
	v_mov_b32_e32 v37, v33
; %bb.64:
	s_or_b64 exec, exec, s[30:31]
	v_and_b32_e32 v39, 16, v42
	v_mov_b32_dpp v34, v37 row_bcast:15 row_mask:0xf bank_mask:0xf
	v_mov_b32_dpp v33, v35 row_bcast:15 row_mask:0xf bank_mask:0xf
	;; [unrolled: 1-line block ×3, first 2 shown]
	v_cmp_ne_u32_e32 vcc, 0, v39
	s_and_saveexec_b64 s[30:31], vcc
; %bb.65:
	v_cmp_eq_u32_e32 vcc, 0, v37
	v_cndmask_b32_e32 v33, 0, v33, vcc
	v_add_u32_e32 v34, v34, v37
	v_cndmask_b32_e32 v37, 0, v38, vcc
	v_add_co_u32_e32 v35, vcc, v33, v35
	v_addc_co_u32_e32 v36, vcc, v37, v36, vcc
	v_mov_b32_e32 v37, v34
; %bb.66:
	s_or_b64 exec, exec, s[30:31]
	s_nop 0
	v_mov_b32_dpp v34, v37 row_bcast:31 row_mask:0xf bank_mask:0xf
	v_mov_b32_dpp v33, v35 row_bcast:31 row_mask:0xf bank_mask:0xf
	v_mov_b32_dpp v38, v36 row_bcast:31 row_mask:0xf bank_mask:0xf
	v_cmp_lt_u32_e32 vcc, 31, v42
	s_and_saveexec_b64 s[30:31], vcc
; %bb.67:
	v_cmp_eq_u32_e32 vcc, 0, v37
	v_cndmask_b32_e32 v33, 0, v33, vcc
	v_add_u32_e32 v34, v34, v37
	v_cndmask_b32_e32 v37, 0, v38, vcc
	v_add_co_u32_e32 v35, vcc, v33, v35
	v_addc_co_u32_e32 v36, vcc, v37, v36, vcc
	v_mov_b32_e32 v37, v34
; %bb.68:
	s_or_b64 exec, exec, s[30:31]
	v_lshrrev_b32_e32 v33, 6, v0
	v_or_b32_e32 v34, 63, v0
	v_cmp_eq_u32_e32 vcc, v0, v34
	v_lshlrev_b32_e32 v38, 4, v33
	s_and_saveexec_b64 s[30:31], vcc
	s_cbranch_execz .LBB368_70
; %bb.69:
	ds_write_b32 v38, v37 offset:544
	ds_write_b64 v38, v[35:36] offset:552
.LBB368_70:
	s_or_b64 exec, exec, s[30:31]
	v_cmp_gt_u32_e32 vcc, 4, v0
	s_waitcnt lgkmcnt(0)
	s_barrier
	s_and_saveexec_b64 s[30:31], vcc
	s_cbranch_execz .LBB368_76
; %bb.71:
	v_lshlrev_b32_e32 v39, 4, v0
	ds_read_b32 v40, v39 offset:544
	ds_read_b64 v[33:34], v39 offset:552
	v_and_b32_e32 v41, 3, v42
	v_cmp_ne_u32_e32 vcc, 0, v41
	s_waitcnt lgkmcnt(1)
	v_mov_b32_dpp v44, v40 row_shr:1 row_mask:0xf bank_mask:0xf
	s_waitcnt lgkmcnt(0)
	v_mov_b32_dpp v43, v33 row_shr:1 row_mask:0xf bank_mask:0xf
	v_mov_b32_dpp v45, v34 row_shr:1 row_mask:0xf bank_mask:0xf
	s_and_saveexec_b64 s[36:37], vcc
; %bb.72:
	v_cmp_eq_u32_e32 vcc, 0, v40
	v_cndmask_b32_e32 v43, 0, v43, vcc
	v_add_u32_e32 v44, v44, v40
	v_cndmask_b32_e32 v40, 0, v45, vcc
	v_add_co_u32_e32 v33, vcc, v43, v33
	v_addc_co_u32_e32 v34, vcc, v40, v34, vcc
	v_mov_b32_e32 v40, v44
; %bb.73:
	s_or_b64 exec, exec, s[36:37]
	s_nop 0
	v_mov_b32_dpp v44, v40 row_shr:2 row_mask:0xf bank_mask:0xf
	v_mov_b32_dpp v43, v33 row_shr:2 row_mask:0xf bank_mask:0xf
	;; [unrolled: 1-line block ×3, first 2 shown]
	v_cmp_lt_u32_e32 vcc, 1, v41
	s_and_saveexec_b64 s[36:37], vcc
; %bb.74:
	v_cmp_eq_u32_e32 vcc, 0, v40
	v_cndmask_b32_e32 v43, 0, v43, vcc
	v_add_u32_e32 v41, v44, v40
	v_cndmask_b32_e32 v40, 0, v45, vcc
	v_add_co_u32_e32 v33, vcc, v43, v33
	v_addc_co_u32_e32 v34, vcc, v40, v34, vcc
	v_mov_b32_e32 v40, v41
; %bb.75:
	s_or_b64 exec, exec, s[36:37]
	ds_write_b32 v39, v40 offset:544
	ds_write_b64 v39, v[33:34] offset:552
.LBB368_76:
	s_or_b64 exec, exec, s[30:31]
	v_mov_b32_e32 v33, 0
	v_cmp_gt_u32_e32 vcc, 64, v0
	v_cmp_lt_u32_e64 s[30:31], 63, v0
	v_mov_b32_e32 v34, 0
	v_mov_b32_e32 v45, 0
	s_waitcnt lgkmcnt(0)
	s_barrier
	s_and_saveexec_b64 s[36:37], s[30:31]
	s_cbranch_execz .LBB368_78
; %bb.77:
	ds_read_b32 v45, v38 offset:528
	ds_read_b64 v[33:34], v38 offset:536
	v_cmp_eq_u32_e64 s[30:31], 0, v37
	s_waitcnt lgkmcnt(1)
	v_add_u32_e32 v38, v45, v37
	s_waitcnt lgkmcnt(0)
	v_cndmask_b32_e64 v39, 0, v33, s[30:31]
	v_cndmask_b32_e64 v37, 0, v34, s[30:31]
	v_add_co_u32_e64 v35, s[30:31], v39, v35
	v_addc_co_u32_e64 v36, s[30:31], v37, v36, s[30:31]
	v_mov_b32_e32 v37, v38
.LBB368_78:
	s_or_b64 exec, exec, s[36:37]
	v_subrev_co_u32_e64 v38, s[30:31], 1, v42
	v_and_b32_e32 v39, 64, v42
	v_cmp_lt_i32_e64 s[36:37], v38, v39
	v_cndmask_b32_e64 v38, v38, v42, s[36:37]
	v_lshlrev_b32_e32 v38, 2, v38
	ds_bpermute_b32 v46, v38, v37
	ds_bpermute_b32 v47, v38, v35
	;; [unrolled: 1-line block ×3, first 2 shown]
	s_and_saveexec_b64 s[52:53], vcc
	s_cbranch_execz .LBB368_122
; %bb.79:
	v_mov_b32_e32 v39, 0
	ds_read_b32 v49, v39 offset:592
	ds_read_b64 v[35:36], v39 offset:600
	s_and_saveexec_b64 s[36:37], s[30:31]
	s_cbranch_execz .LBB368_81
; %bb.80:
	s_add_i32 s62, s6, 64
	s_mov_b32 s63, 0
	s_lshl_b64 s[64:65], s[62:63], 4
	s_add_u32 s64, s40, s64
	s_addc_u32 s65, s41, s65
	v_mov_b32_e32 v37, 1
	v_mov_b32_e32 v38, s62
	s_waitcnt lgkmcnt(1)
	global_store_dword v39, v49, s[64:65]
	s_waitcnt lgkmcnt(0)
	global_store_dwordx2 v39, v[35:36], s[64:65] offset:8
	s_waitcnt vmcnt(0)
	buffer_wbinvl1_vol
	global_store_byte v38, v37, s[44:45]
.LBB368_81:
	s_or_b64 exec, exec, s[36:37]
	v_xad_u32 v37, v42, -1, s6
	v_add_u32_e32 v38, 64, v37
	global_load_ubyte v50, v38, s[44:45] glc
	s_waitcnt vmcnt(0)
	v_cmp_eq_u16_e32 vcc, 0, v50
	s_and_saveexec_b64 s[36:37], vcc
	s_cbranch_execz .LBB368_85
; %bb.82:
	v_mov_b32_e32 v41, s45
	v_add_co_u32_e32 v40, vcc, s44, v38
	v_addc_co_u32_e32 v41, vcc, 0, v41, vcc
	s_mov_b64 s[62:63], 0
.LBB368_83:                             ; =>This Inner Loop Header: Depth=1
	global_load_ubyte v50, v[40:41], off glc
	s_waitcnt vmcnt(0)
	v_cmp_ne_u16_e32 vcc, 0, v50
	s_or_b64 s[62:63], vcc, s[62:63]
	s_andn2_b64 exec, exec, s[62:63]
	s_cbranch_execnz .LBB368_83
; %bb.84:
	s_or_b64 exec, exec, s[62:63]
.LBB368_85:
	s_or_b64 exec, exec, s[36:37]
	v_mov_b32_e32 v40, s43
	v_mov_b32_e32 v41, s41
	v_cmp_eq_u16_e32 vcc, 1, v50
	v_cndmask_b32_e32 v40, v40, v41, vcc
	v_mov_b32_e32 v41, s42
	v_mov_b32_e32 v43, s40
	v_lshlrev_b64 v[38:39], 4, v[38:39]
	v_cndmask_b32_e32 v41, v41, v43, vcc
	v_add_co_u32_e32 v38, vcc, v41, v38
	v_addc_co_u32_e32 v39, vcc, v40, v39, vcc
	s_waitcnt lgkmcnt(0)
	buffer_wbinvl1_vol
	global_load_dword v65, v[38:39], off
	global_load_dwordx2 v[43:44], v[38:39], off offset:8
	v_and_b32_e32 v51, 63, v42
	v_lshlrev_b64 v[39:40], v42, -1
	v_cmp_ne_u32_e64 s[36:37], 63, v51
	v_cmp_eq_u16_e32 vcc, 2, v50
	v_addc_co_u32_e64 v38, s[36:37], 0, v42, s[36:37]
	v_and_b32_e32 v41, vcc_hi, v40
	v_lshlrev_b32_e32 v52, 2, v38
	v_or_b32_e32 v38, 0x80000000, v41
	v_and_b32_e32 v55, vcc_lo, v39
	v_ffbl_b32_e32 v38, v38
	v_add_u32_e32 v38, 32, v38
	v_ffbl_b32_e32 v55, v55
	v_min_u32_e32 v38, v55, v38
	v_cmp_lt_u32_e32 vcc, v51, v38
	s_waitcnt vmcnt(1)
	ds_bpermute_b32 v53, v52, v65
	s_waitcnt vmcnt(0)
	ds_bpermute_b32 v41, v52, v43
	ds_bpermute_b32 v54, v52, v44
	s_and_saveexec_b64 s[36:37], vcc
	s_cbranch_execz .LBB368_87
; %bb.86:
	v_cmp_eq_u32_e32 vcc, 0, v65
	s_waitcnt lgkmcnt(1)
	v_cndmask_b32_e32 v41, 0, v41, vcc
	v_add_u32_e32 v53, v53, v65
	s_waitcnt lgkmcnt(0)
	v_cndmask_b32_e32 v54, 0, v54, vcc
	v_add_co_u32_e32 v43, vcc, v41, v43
	v_addc_co_u32_e32 v44, vcc, v54, v44, vcc
	v_mov_b32_e32 v65, v53
.LBB368_87:
	s_or_b64 exec, exec, s[36:37]
	v_cmp_gt_u32_e32 vcc, 62, v51
	s_waitcnt lgkmcnt(1)
	v_cndmask_b32_e64 v41, 0, 2, vcc
	v_add_lshl_u32 v53, v41, v42, 2
	ds_bpermute_b32 v55, v53, v65
	ds_bpermute_b32 v41, v53, v43
	ds_bpermute_b32 v56, v53, v44
	s_waitcnt lgkmcnt(3)
	v_add_u32_e32 v54, 2, v51
	v_cmp_le_u32_e32 vcc, v54, v38
	s_and_saveexec_b64 s[36:37], vcc
	s_cbranch_execz .LBB368_89
; %bb.88:
	v_cmp_eq_u32_e32 vcc, 0, v65
	s_waitcnt lgkmcnt(1)
	v_cndmask_b32_e32 v41, 0, v41, vcc
	v_add_u32_e32 v55, v55, v65
	s_waitcnt lgkmcnt(0)
	v_cndmask_b32_e32 v56, 0, v56, vcc
	v_add_co_u32_e32 v43, vcc, v41, v43
	v_addc_co_u32_e32 v44, vcc, v56, v44, vcc
	v_mov_b32_e32 v65, v55
.LBB368_89:
	s_or_b64 exec, exec, s[36:37]
	v_cmp_gt_u32_e32 vcc, 60, v51
	s_waitcnt lgkmcnt(1)
	v_cndmask_b32_e64 v41, 0, 4, vcc
	v_add_lshl_u32 v55, v41, v42, 2
	ds_bpermute_b32 v57, v55, v65
	ds_bpermute_b32 v41, v55, v43
	ds_bpermute_b32 v58, v55, v44
	s_waitcnt lgkmcnt(3)
	v_add_u32_e32 v56, 4, v51
	v_cmp_le_u32_e32 vcc, v56, v38
	;; [unrolled: 24-line block ×4, first 2 shown]
	s_and_saveexec_b64 s[36:37], vcc
	s_cbranch_execz .LBB368_95
; %bb.94:
	v_cmp_eq_u32_e32 vcc, 0, v65
	s_waitcnt lgkmcnt(1)
	v_cndmask_b32_e32 v41, 0, v41, vcc
	v_add_u32_e32 v61, v61, v65
	s_waitcnt lgkmcnt(0)
	v_cndmask_b32_e32 v62, 0, v62, vcc
	v_add_co_u32_e32 v43, vcc, v41, v43
	v_addc_co_u32_e32 v44, vcc, v62, v44, vcc
	v_mov_b32_e32 v65, v61
.LBB368_95:
	s_or_b64 exec, exec, s[36:37]
	s_waitcnt lgkmcnt(1)
	v_mov_b32_e32 v41, 0x80
	s_waitcnt lgkmcnt(0)
	v_lshl_or_b32 v62, v42, 2, v41
	ds_bpermute_b32 v42, v62, v65
	ds_bpermute_b32 v41, v62, v43
	;; [unrolled: 1-line block ×3, first 2 shown]
	v_add_u32_e32 v63, 32, v51
	v_cmp_le_u32_e32 vcc, v63, v38
	s_and_saveexec_b64 s[36:37], vcc
	s_cbranch_execz .LBB368_97
; %bb.96:
	v_cmp_eq_u32_e32 vcc, 0, v65
	s_waitcnt lgkmcnt(1)
	v_cndmask_b32_e32 v41, 0, v41, vcc
	v_add_u32_e32 v38, v42, v65
	s_waitcnt lgkmcnt(0)
	v_cndmask_b32_e32 v42, 0, v61, vcc
	v_add_co_u32_e32 v43, vcc, v41, v43
	v_addc_co_u32_e32 v44, vcc, v42, v44, vcc
	v_mov_b32_e32 v65, v38
.LBB368_97:
	s_or_b64 exec, exec, s[36:37]
	v_mov_b32_e32 v38, 0
	v_mov_b32_e32 v64, 2
	s_branch .LBB368_100
.LBB368_98:                             ;   in Loop: Header=BB368_100 Depth=1
	s_or_b64 exec, exec, s[36:37]
	v_cmp_eq_u32_e32 vcc, 0, v61
	v_cndmask_b32_e32 v43, 0, v43, vcc
	v_cndmask_b32_e32 v44, 0, v44, vcc
	v_add_co_u32_e32 v43, vcc, v43, v41
	v_subrev_u32_e32 v37, 64, v37
	v_add_u32_e32 v65, v66, v61
	v_addc_co_u32_e32 v44, vcc, v44, v42, vcc
	s_mov_b64 s[36:37], 0
.LBB368_99:                             ;   in Loop: Header=BB368_100 Depth=1
	s_and_b64 vcc, exec, s[36:37]
	s_cbranch_vccnz .LBB368_118
.LBB368_100:                            ; =>This Loop Header: Depth=1
                                        ;     Child Loop BB368_103 Depth 2
	s_waitcnt lgkmcnt(1)
	v_mov_b32_e32 v41, v43
	v_cmp_ne_u16_sdwa s[36:37], v50, v64 src0_sel:BYTE_0 src1_sel:DWORD
	v_mov_b32_e32 v42, v44
	s_waitcnt lgkmcnt(0)
	v_mov_b32_e32 v61, v65
	s_cmp_lg_u64 s[36:37], exec
	s_mov_b64 s[36:37], -1
                                        ; implicit-def: $vgpr43_vgpr44
                                        ; implicit-def: $vgpr65
                                        ; implicit-def: $vgpr50
	s_cbranch_scc1 .LBB368_99
; %bb.101:                              ;   in Loop: Header=BB368_100 Depth=1
	global_load_ubyte v50, v37, s[44:45] glc
	s_waitcnt vmcnt(0)
	v_cmp_eq_u16_e32 vcc, 0, v50
	s_and_saveexec_b64 s[36:37], vcc
	s_cbranch_execz .LBB368_105
; %bb.102:                              ;   in Loop: Header=BB368_100 Depth=1
	v_mov_b32_e32 v44, s45
	v_add_co_u32_e32 v43, vcc, s44, v37
	v_addc_co_u32_e32 v44, vcc, 0, v44, vcc
	s_mov_b64 s[62:63], 0
.LBB368_103:                            ;   Parent Loop BB368_100 Depth=1
                                        ; =>  This Inner Loop Header: Depth=2
	global_load_ubyte v50, v[43:44], off glc
	s_waitcnt vmcnt(0)
	v_cmp_ne_u16_e32 vcc, 0, v50
	s_or_b64 s[62:63], vcc, s[62:63]
	s_andn2_b64 exec, exec, s[62:63]
	s_cbranch_execnz .LBB368_103
; %bb.104:                              ;   in Loop: Header=BB368_100 Depth=1
	s_or_b64 exec, exec, s[62:63]
.LBB368_105:                            ;   in Loop: Header=BB368_100 Depth=1
	s_or_b64 exec, exec, s[36:37]
	v_mov_b32_e32 v43, s43
	v_mov_b32_e32 v44, s41
	v_cmp_eq_u16_e32 vcc, 1, v50
	v_cndmask_b32_e32 v65, v43, v44, vcc
	v_mov_b32_e32 v43, s42
	v_mov_b32_e32 v44, s40
	v_cndmask_b32_e32 v66, v43, v44, vcc
	v_lshlrev_b64 v[43:44], 4, v[37:38]
	buffer_wbinvl1_vol
	v_add_co_u32_e32 v43, vcc, v66, v43
	v_addc_co_u32_e32 v44, vcc, v65, v44, vcc
	global_load_dword v66, v[43:44], off
	s_nop 0
	global_load_dwordx2 v[43:44], v[43:44], off offset:8
	v_cmp_eq_u16_e32 vcc, 2, v50
	v_and_b32_e32 v65, vcc_hi, v40
	v_or_b32_e32 v65, 0x80000000, v65
	v_and_b32_e32 v91, vcc_lo, v39
	v_ffbl_b32_e32 v65, v65
	v_add_u32_e32 v65, 32, v65
	v_ffbl_b32_e32 v91, v91
	v_min_u32_e32 v65, v91, v65
	v_cmp_lt_u32_e32 vcc, v51, v65
	s_waitcnt vmcnt(1)
	ds_bpermute_b32 v70, v52, v66
	s_waitcnt vmcnt(0)
	ds_bpermute_b32 v69, v52, v43
	ds_bpermute_b32 v90, v52, v44
	s_and_saveexec_b64 s[36:37], vcc
	s_cbranch_execz .LBB368_107
; %bb.106:                              ;   in Loop: Header=BB368_100 Depth=1
	v_cmp_eq_u32_e32 vcc, 0, v66
	s_waitcnt lgkmcnt(1)
	v_cndmask_b32_e32 v69, 0, v69, vcc
	v_add_u32_e32 v70, v70, v66
	s_waitcnt lgkmcnt(0)
	v_cndmask_b32_e32 v66, 0, v90, vcc
	v_add_co_u32_e32 v43, vcc, v69, v43
	v_addc_co_u32_e32 v44, vcc, v66, v44, vcc
	v_mov_b32_e32 v66, v70
.LBB368_107:                            ;   in Loop: Header=BB368_100 Depth=1
	s_or_b64 exec, exec, s[36:37]
	s_waitcnt lgkmcnt(2)
	ds_bpermute_b32 v70, v53, v66
	s_waitcnt lgkmcnt(2)
	ds_bpermute_b32 v69, v53, v43
	s_waitcnt lgkmcnt(2)
	ds_bpermute_b32 v90, v53, v44
	v_cmp_le_u32_e32 vcc, v54, v65
	s_and_saveexec_b64 s[36:37], vcc
	s_cbranch_execz .LBB368_109
; %bb.108:                              ;   in Loop: Header=BB368_100 Depth=1
	v_cmp_eq_u32_e32 vcc, 0, v66
	s_waitcnt lgkmcnt(1)
	v_cndmask_b32_e32 v69, 0, v69, vcc
	v_add_u32_e32 v70, v70, v66
	s_waitcnt lgkmcnt(0)
	v_cndmask_b32_e32 v66, 0, v90, vcc
	v_add_co_u32_e32 v43, vcc, v69, v43
	v_addc_co_u32_e32 v44, vcc, v66, v44, vcc
	v_mov_b32_e32 v66, v70
.LBB368_109:                            ;   in Loop: Header=BB368_100 Depth=1
	s_or_b64 exec, exec, s[36:37]
	s_waitcnt lgkmcnt(2)
	ds_bpermute_b32 v70, v55, v66
	s_waitcnt lgkmcnt(2)
	ds_bpermute_b32 v69, v55, v43
	s_waitcnt lgkmcnt(2)
	ds_bpermute_b32 v90, v55, v44
	v_cmp_le_u32_e32 vcc, v56, v65
	;; [unrolled: 21-line block ×5, first 2 shown]
	s_and_saveexec_b64 s[36:37], vcc
	s_cbranch_execz .LBB368_98
; %bb.116:                              ;   in Loop: Header=BB368_100 Depth=1
	v_cmp_eq_u32_e32 vcc, 0, v66
	s_waitcnt lgkmcnt(1)
	v_cndmask_b32_e32 v69, 0, v69, vcc
	v_add_u32_e32 v65, v70, v66
	s_waitcnt lgkmcnt(0)
	v_cndmask_b32_e32 v66, 0, v90, vcc
	v_add_co_u32_e32 v43, vcc, v69, v43
	v_addc_co_u32_e32 v44, vcc, v66, v44, vcc
	v_mov_b32_e32 v66, v65
	s_branch .LBB368_98
.LBB368_117:
                                        ; implicit-def: $vgpr33
                                        ; implicit-def: $vgpr35_vgpr36
                                        ; implicit-def: $vgpr37
                                        ; implicit-def: $vgpr63_vgpr64
                                        ; implicit-def: $vgpr39_vgpr40
                                        ; implicit-def: $vgpr41_vgpr42
                                        ; implicit-def: $vgpr43_vgpr44
                                        ; implicit-def: $vgpr45_vgpr46
                                        ; implicit-def: $vgpr47_vgpr48
                                        ; implicit-def: $vgpr49_vgpr50
                                        ; implicit-def: $vgpr51_vgpr52
                                        ; implicit-def: $vgpr53_vgpr54
                                        ; implicit-def: $vgpr55_vgpr56
                                        ; implicit-def: $vgpr57_vgpr58
                                        ; implicit-def: $vgpr59_vgpr60
                                        ; implicit-def: $vgpr61_vgpr62
                                        ; implicit-def: $vgpr65_vgpr66
                                        ; implicit-def: $vgpr69_vgpr70
                                        ; implicit-def: $vgpr34
	s_cbranch_execnz .LBB368_123
	s_branch .LBB368_150
.LBB368_118:
	s_and_saveexec_b64 s[36:37], s[30:31]
	s_cbranch_execz .LBB368_120
; %bb.119:
	s_mov_b32 s7, 0
	v_cmp_eq_u32_e32 vcc, 0, v49
	s_add_i32 s6, s6, 64
	v_cndmask_b32_e32 v37, 0, v41, vcc
	s_lshl_b64 s[40:41], s[6:7], 4
	v_cndmask_b32_e32 v38, 0, v42, vcc
	v_add_co_u32_e32 v37, vcc, v37, v35
	s_add_u32 s40, s42, s40
	v_add_u32_e32 v39, v61, v49
	v_addc_co_u32_e32 v38, vcc, v38, v36, vcc
	s_addc_u32 s41, s43, s41
	v_mov_b32_e32 v40, 0
	global_store_dword v40, v39, s[40:41]
	global_store_dwordx2 v40, v[37:38], s[40:41] offset:8
	v_mov_b32_e32 v37, 2
	v_mov_b32_e32 v38, s6
	s_waitcnt vmcnt(0) lgkmcnt(0)
	buffer_wbinvl1_vol
	global_store_byte v38, v37, s[44:45]
	ds_write_b32 v40, v49 offset:512
	ds_write_b64 v40, v[35:36] offset:520
	ds_write_b32 v40, v61 offset:528
	ds_write_b64 v40, v[41:42] offset:536
.LBB368_120:
	s_or_b64 exec, exec, s[36:37]
	v_cmp_eq_u32_e32 vcc, 0, v0
	s_and_b64 exec, exec, vcc
	s_cbranch_execz .LBB368_122
; %bb.121:
	v_mov_b32_e32 v35, 0
	ds_write_b32 v35, v61 offset:592
	ds_write_b64 v35, v[41:42] offset:600
.LBB368_122:
	s_or_b64 exec, exec, s[52:53]
	v_mov_b32_e32 v38, 0
	s_waitcnt vmcnt(0) lgkmcnt(0)
	s_barrier
	ds_read_b32 v37, v38 offset:592
	ds_read_b64 v[35:36], v38 offset:600
	v_cndmask_b32_e64 v39, v46, v45, s[30:31]
	v_cmp_eq_u32_e32 vcc, 0, v39
	v_cndmask_b32_e64 v33, v47, v33, s[30:31]
	v_cndmask_b32_e64 v34, v48, v34, s[30:31]
	s_waitcnt lgkmcnt(0)
	v_cndmask_b32_e32 v41, 0, v35, vcc
	v_cndmask_b32_e32 v40, 0, v36, vcc
	v_add_co_u32_e32 v33, vcc, v41, v33
	v_addc_co_u32_e32 v40, vcc, v40, v34, vcc
	v_cmp_eq_u32_e32 vcc, 0, v0
	v_cndmask_b32_e64 v34, v39, 0, vcc
	v_cndmask_b32_e32 v64, v40, v36, vcc
	v_cndmask_b32_e32 v63, v33, v35, vcc
	v_cmp_eq_u32_e32 vcc, 0, v73
	v_cndmask_b32_e32 v35, 0, v63, vcc
	v_cndmask_b32_e32 v33, 0, v64, vcc
	v_add_co_u32_e32 v39, vcc, v35, v26
	v_addc_co_u32_e32 v40, vcc, v33, v27, vcc
	v_cndmask_b32_e64 v35, 0, v39, s[28:29]
	v_cndmask_b32_e64 v33, 0, v40, s[28:29]
	v_add_co_u32_e32 v41, vcc, v35, v28
	v_addc_co_u32_e32 v42, vcc, v33, v29, vcc
	v_cndmask_b32_e64 v35, 0, v41, s[26:27]
	v_cndmask_b32_e64 v33, 0, v42, s[26:27]
	;; [unrolled: 4-line block ×11, first 2 shown]
	v_add_co_u32_e32 v61, vcc, v35, v8
	v_add_u32_e32 v34, v37, v34
	v_addc_co_u32_e32 v62, vcc, v33, v9, vcc
	s_barrier
	ds_read_b32 v33, v38 offset:512
	ds_read_b64 v[35:36], v38 offset:520
	ds_read_b32 v37, v38 offset:528
	ds_read_b64 v[90:91], v38 offset:536
	v_cndmask_b32_e64 v65, 0, v61, s[34:35]
	v_cndmask_b32_e64 v66, 0, v62, s[34:35]
	v_add_co_u32_e32 v65, vcc, v65, v2
	v_addc_co_u32_e32 v66, vcc, v66, v3, vcc
	s_waitcnt lgkmcnt(3)
	v_cmp_eq_u32_e32 vcc, 0, v33
	s_waitcnt lgkmcnt(0)
	v_cndmask_b32_e32 v90, 0, v90, vcc
	v_cndmask_b32_e32 v38, 0, v91, vcc
	v_add_co_u32_e32 v35, vcc, v90, v35
	v_cndmask_b32_e64 v70, 0, v66, s[4:5]
	v_cndmask_b32_e64 v69, 0, v65, s[4:5]
	v_addc_co_u32_e32 v36, vcc, v38, v36, vcc
	s_branch .LBB368_150
.LBB368_123:
	s_cmp_eq_u64 s[60:61], 0
	s_cselect_b64 s[4:5], -1, 0
	s_or_b64 s[4:5], s[46:47], s[4:5]
	v_mov_b32_e32 v38, v27
	s_and_b64 vcc, exec, s[4:5]
	v_mov_b32_e32 v37, v26
	s_cbranch_vccnz .LBB368_125
; %bb.124:
	v_mov_b32_e32 v33, 0
	global_load_dwordx2 v[37:38], v33, s[60:61]
.LBB368_125:
	v_cmp_eq_u32_e64 s[26:27], 0, v86
	v_cndmask_b32_e64 v34, 0, v26, s[26:27]
	v_cndmask_b32_e64 v33, 0, v27, s[26:27]
	v_add_co_u32_e32 v34, vcc, v34, v28
	v_cmp_eq_u32_e64 s[24:25], 0, v85
	v_addc_co_u32_e32 v33, vcc, v33, v29, vcc
	v_cndmask_b32_e64 v34, 0, v34, s[24:25]
	v_cndmask_b32_e64 v33, 0, v33, s[24:25]
	v_add_co_u32_e32 v34, vcc, v34, v22
	v_cmp_eq_u32_e64 s[22:23], 0, v74
	v_addc_co_u32_e32 v33, vcc, v33, v23, vcc
	;; [unrolled: 5-line block ×11, first 2 shown]
	v_cndmask_b32_e64 v34, 0, v34, s[6:7]
	v_cndmask_b32_e64 v33, 0, v33, s[6:7]
	v_add_co_u32_e32 v34, vcc, v34, v2
	v_addc_co_u32_e32 v33, vcc, v33, v3, vcc
	v_cmp_eq_u32_e32 vcc, 0, v84
	v_add3_u32 v35, v89, v76, v77
	v_cndmask_b32_e32 v34, 0, v34, vcc
	v_add3_u32 v35, v35, v78, v79
	v_cndmask_b32_e32 v33, 0, v33, vcc
	v_add_co_u32_e64 v34, s[28:29], v34, v4
	v_add3_u32 v35, v35, v80, v81
	v_addc_co_u32_e64 v33, s[28:29], v33, v5, s[28:29]
	v_add3_u32 v35, v35, v82, v83
	v_cmp_eq_u32_e64 s[28:29], 0, v87
	v_add3_u32 v40, v35, v84, v87
	v_cndmask_b32_e64 v35, 0, v33, s[28:29]
	v_cndmask_b32_e64 v33, 0, v34, s[28:29]
	v_add_co_u32_e64 v33, s[28:29], v33, v67
	v_mbcnt_hi_u32_b32 v39, -1, v88
	v_addc_co_u32_e64 v34, s[28:29], v35, v68, s[28:29]
	v_and_b32_e32 v35, 15, v39
	v_mov_b32_dpp v41, v40 row_shr:1 row_mask:0xf bank_mask:0xf
	v_mov_b32_dpp v36, v33 row_shr:1 row_mask:0xf bank_mask:0xf
	;; [unrolled: 1-line block ×3, first 2 shown]
	v_cmp_ne_u32_e64 s[28:29], 0, v35
	s_and_saveexec_b64 s[30:31], s[28:29]
; %bb.126:
	v_cmp_eq_u32_e64 s[28:29], 0, v40
	v_cndmask_b32_e64 v36, 0, v36, s[28:29]
	v_add_u32_e32 v41, v41, v40
	v_cndmask_b32_e64 v40, 0, v42, s[28:29]
	v_add_co_u32_e64 v33, s[28:29], v36, v33
	v_addc_co_u32_e64 v34, s[28:29], v40, v34, s[28:29]
	v_mov_b32_e32 v40, v41
; %bb.127:
	s_or_b64 exec, exec, s[30:31]
	s_nop 0
	v_mov_b32_dpp v41, v40 row_shr:2 row_mask:0xf bank_mask:0xf
	v_mov_b32_dpp v36, v33 row_shr:2 row_mask:0xf bank_mask:0xf
	v_mov_b32_dpp v42, v34 row_shr:2 row_mask:0xf bank_mask:0xf
	v_cmp_lt_u32_e64 s[28:29], 1, v35
	s_and_saveexec_b64 s[30:31], s[28:29]
; %bb.128:
	v_cmp_eq_u32_e64 s[28:29], 0, v40
	v_cndmask_b32_e64 v36, 0, v36, s[28:29]
	v_add_u32_e32 v41, v41, v40
	v_cndmask_b32_e64 v40, 0, v42, s[28:29]
	v_add_co_u32_e64 v33, s[28:29], v36, v33
	v_addc_co_u32_e64 v34, s[28:29], v40, v34, s[28:29]
	v_mov_b32_e32 v40, v41
; %bb.129:
	s_or_b64 exec, exec, s[30:31]
	s_nop 0
	v_mov_b32_dpp v41, v40 row_shr:4 row_mask:0xf bank_mask:0xf
	v_mov_b32_dpp v36, v33 row_shr:4 row_mask:0xf bank_mask:0xf
	v_mov_b32_dpp v42, v34 row_shr:4 row_mask:0xf bank_mask:0xf
	v_cmp_lt_u32_e64 s[28:29], 3, v35
	s_and_saveexec_b64 s[30:31], s[28:29]
; %bb.130:
	v_cmp_eq_u32_e64 s[28:29], 0, v40
	v_cndmask_b32_e64 v36, 0, v36, s[28:29]
	v_add_u32_e32 v41, v41, v40
	v_cndmask_b32_e64 v40, 0, v42, s[28:29]
	v_add_co_u32_e64 v33, s[28:29], v36, v33
	v_addc_co_u32_e64 v34, s[28:29], v40, v34, s[28:29]
	v_mov_b32_e32 v40, v41
; %bb.131:
	s_or_b64 exec, exec, s[30:31]
	s_nop 0
	v_mov_b32_dpp v41, v40 row_shr:8 row_mask:0xf bank_mask:0xf
	v_mov_b32_dpp v36, v33 row_shr:8 row_mask:0xf bank_mask:0xf
	v_mov_b32_dpp v42, v34 row_shr:8 row_mask:0xf bank_mask:0xf
	v_cmp_lt_u32_e64 s[28:29], 7, v35
	s_and_saveexec_b64 s[30:31], s[28:29]
; %bb.132:
	v_cmp_eq_u32_e64 s[28:29], 0, v40
	v_cndmask_b32_e64 v36, 0, v36, s[28:29]
	v_add_u32_e32 v35, v41, v40
	v_cndmask_b32_e64 v40, 0, v42, s[28:29]
	v_add_co_u32_e64 v33, s[28:29], v36, v33
	v_addc_co_u32_e64 v34, s[28:29], v40, v34, s[28:29]
	v_mov_b32_e32 v40, v35
; %bb.133:
	s_or_b64 exec, exec, s[30:31]
	v_and_b32_e32 v42, 16, v39
	v_mov_b32_dpp v36, v40 row_bcast:15 row_mask:0xf bank_mask:0xf
	v_mov_b32_dpp v35, v33 row_bcast:15 row_mask:0xf bank_mask:0xf
	;; [unrolled: 1-line block ×3, first 2 shown]
	v_cmp_ne_u32_e64 s[28:29], 0, v42
	s_and_saveexec_b64 s[30:31], s[28:29]
; %bb.134:
	v_cmp_eq_u32_e64 s[28:29], 0, v40
	v_cndmask_b32_e64 v35, 0, v35, s[28:29]
	v_add_u32_e32 v36, v36, v40
	v_cndmask_b32_e64 v40, 0, v41, s[28:29]
	v_add_co_u32_e64 v33, s[28:29], v35, v33
	v_addc_co_u32_e64 v34, s[28:29], v40, v34, s[28:29]
	v_mov_b32_e32 v40, v36
; %bb.135:
	s_or_b64 exec, exec, s[30:31]
	s_nop 0
	v_mov_b32_dpp v36, v40 row_bcast:31 row_mask:0xf bank_mask:0xf
	v_mov_b32_dpp v35, v33 row_bcast:31 row_mask:0xf bank_mask:0xf
	;; [unrolled: 1-line block ×3, first 2 shown]
	v_cmp_lt_u32_e64 s[28:29], 31, v39
	s_and_saveexec_b64 s[30:31], s[28:29]
; %bb.136:
	v_cmp_eq_u32_e64 s[28:29], 0, v40
	v_cndmask_b32_e64 v35, 0, v35, s[28:29]
	v_add_u32_e32 v36, v36, v40
	v_cndmask_b32_e64 v40, 0, v41, s[28:29]
	v_add_co_u32_e64 v33, s[28:29], v35, v33
	v_addc_co_u32_e64 v34, s[28:29], v40, v34, s[28:29]
	v_mov_b32_e32 v40, v36
; %bb.137:
	s_or_b64 exec, exec, s[30:31]
	v_lshrrev_b32_e32 v35, 6, v0
	v_or_b32_e32 v36, 63, v0
	v_cmp_eq_u32_e64 s[28:29], v0, v36
	v_lshlrev_b32_e32 v41, 4, v35
	s_and_saveexec_b64 s[30:31], s[28:29]
	s_cbranch_execz .LBB368_139
; %bb.138:
	ds_write_b32 v41, v40 offset:544
	ds_write_b64 v41, v[33:34] offset:552
.LBB368_139:
	s_or_b64 exec, exec, s[30:31]
	v_cmp_gt_u32_e64 s[28:29], 4, v0
	s_waitcnt vmcnt(0) lgkmcnt(0)
	s_barrier
	s_and_saveexec_b64 s[30:31], s[28:29]
	s_cbranch_execz .LBB368_145
; %bb.140:
	v_lshlrev_b32_e32 v42, 4, v0
	ds_read_b32 v43, v42 offset:544
	ds_read_b64 v[35:36], v42 offset:552
	v_and_b32_e32 v44, 3, v39
	v_cmp_ne_u32_e64 s[28:29], 0, v44
	s_waitcnt lgkmcnt(1)
	v_mov_b32_dpp v46, v43 row_shr:1 row_mask:0xf bank_mask:0xf
	s_waitcnt lgkmcnt(0)
	v_mov_b32_dpp v45, v35 row_shr:1 row_mask:0xf bank_mask:0xf
	v_mov_b32_dpp v47, v36 row_shr:1 row_mask:0xf bank_mask:0xf
	s_and_saveexec_b64 s[34:35], s[28:29]
; %bb.141:
	v_cmp_eq_u32_e64 s[28:29], 0, v43
	v_cndmask_b32_e64 v45, 0, v45, s[28:29]
	v_add_u32_e32 v46, v46, v43
	v_cndmask_b32_e64 v43, 0, v47, s[28:29]
	v_add_co_u32_e64 v35, s[28:29], v45, v35
	v_addc_co_u32_e64 v36, s[28:29], v43, v36, s[28:29]
	v_mov_b32_e32 v43, v46
; %bb.142:
	s_or_b64 exec, exec, s[34:35]
	s_nop 0
	v_mov_b32_dpp v46, v43 row_shr:2 row_mask:0xf bank_mask:0xf
	v_mov_b32_dpp v45, v35 row_shr:2 row_mask:0xf bank_mask:0xf
	;; [unrolled: 1-line block ×3, first 2 shown]
	v_cmp_lt_u32_e64 s[28:29], 1, v44
	s_and_saveexec_b64 s[34:35], s[28:29]
; %bb.143:
	v_cmp_eq_u32_e64 s[28:29], 0, v43
	v_cndmask_b32_e64 v45, 0, v45, s[28:29]
	v_add_u32_e32 v44, v46, v43
	v_cndmask_b32_e64 v43, 0, v47, s[28:29]
	v_add_co_u32_e64 v35, s[28:29], v45, v35
	v_addc_co_u32_e64 v36, s[28:29], v43, v36, s[28:29]
	v_mov_b32_e32 v43, v44
; %bb.144:
	s_or_b64 exec, exec, s[34:35]
	ds_write_b32 v42, v43 offset:544
	ds_write_b64 v42, v[35:36] offset:552
.LBB368_145:
	s_or_b64 exec, exec, s[30:31]
	v_mov_b32_e32 v35, v37
	v_cmp_lt_u32_e64 s[28:29], 63, v0
	v_mov_b32_e32 v67, 0
	v_mov_b32_e32 v42, 0
	;; [unrolled: 1-line block ×3, first 2 shown]
	s_waitcnt lgkmcnt(0)
	s_barrier
	s_and_saveexec_b64 s[30:31], s[28:29]
	s_cbranch_execz .LBB368_147
; %bb.146:
	ds_read_b32 v42, v41 offset:528
	ds_read_b64 v[35:36], v41 offset:536
	s_waitcnt lgkmcnt(1)
	v_cmp_eq_u32_e64 s[28:29], 0, v42
	v_cndmask_b32_e64 v43, 0, v37, s[28:29]
	v_cndmask_b32_e64 v41, 0, v38, s[28:29]
	s_waitcnt lgkmcnt(0)
	v_add_co_u32_e64 v35, s[28:29], v43, v35
	v_addc_co_u32_e64 v36, s[28:29], v41, v36, s[28:29]
.LBB368_147:
	s_or_b64 exec, exec, s[30:31]
	v_cmp_eq_u32_e64 s[28:29], 0, v40
	v_cndmask_b32_e64 v43, 0, v35, s[28:29]
	v_add_u32_e32 v41, v42, v40
	v_cndmask_b32_e64 v40, 0, v36, s[28:29]
	v_add_co_u32_e64 v33, s[28:29], v43, v33
	v_addc_co_u32_e64 v34, s[28:29], v40, v34, s[28:29]
	v_subrev_co_u32_e64 v40, s[28:29], 1, v39
	v_and_b32_e32 v43, 64, v39
	v_cmp_lt_i32_e64 s[30:31], v40, v43
	v_cndmask_b32_e64 v39, v40, v39, s[30:31]
	v_lshlrev_b32_e32 v39, 2, v39
	ds_bpermute_b32 v40, v39, v41
	ds_bpermute_b32 v41, v39, v34
	;; [unrolled: 1-line block ×3, first 2 shown]
	v_cmp_eq_u32_e64 s[30:31], 0, v73
	s_waitcnt lgkmcnt(2)
	v_cndmask_b32_e64 v34, v40, v42, s[28:29]
	s_waitcnt lgkmcnt(1)
	v_cndmask_b32_e64 v64, v41, v36, s[28:29]
	;; [unrolled: 2-line block ×3, first 2 shown]
	v_cmp_eq_u32_e64 s[28:29], 0, v0
	v_cndmask_b32_e64 v33, v63, v37, s[28:29]
	v_cndmask_b32_e64 v35, v64, v38, s[28:29]
	;; [unrolled: 1-line block ×4, first 2 shown]
	v_add_co_u32_e64 v39, s[30:31], v33, v26
	v_addc_co_u32_e64 v40, s[30:31], v35, v27, s[30:31]
	v_cndmask_b32_e64 v27, 0, v39, s[26:27]
	v_cndmask_b32_e64 v26, 0, v40, s[26:27]
	v_add_co_u32_e64 v41, s[26:27], v27, v28
	v_addc_co_u32_e64 v42, s[26:27], v26, v29, s[26:27]
	v_cndmask_b32_e64 v27, 0, v41, s[24:25]
	v_cndmask_b32_e64 v26, 0, v42, s[24:25]
	;; [unrolled: 4-line block ×11, first 2 shown]
	v_add_co_u32_e64 v61, s[4:5], v7, v8
	v_addc_co_u32_e64 v62, s[4:5], v6, v9, s[4:5]
	v_cndmask_b32_e64 v7, 0, v61, s[6:7]
	ds_read_b32 v33, v67 offset:592
	v_cndmask_b32_e64 v6, 0, v62, s[6:7]
	v_add_co_u32_e64 v65, s[4:5], v7, v2
	v_addc_co_u32_e64 v66, s[4:5], v6, v3, s[4:5]
	ds_read_b64 v[2:3], v67 offset:600
	v_cndmask_b32_e32 v70, 0, v66, vcc
	v_cndmask_b32_e32 v69, 0, v65, vcc
	s_waitcnt lgkmcnt(1)
	v_cmp_eq_u32_e32 vcc, 0, v33
	v_cndmask_b32_e32 v7, 0, v37, vcc
	v_cndmask_b32_e32 v6, 0, v38, vcc
	s_waitcnt lgkmcnt(0)
	v_add_co_u32_e32 v35, vcc, v7, v2
	v_addc_co_u32_e32 v36, vcc, v6, v3, vcc
	s_and_saveexec_b64 s[4:5], s[28:29]
	s_cbranch_execz .LBB368_149
; %bb.148:
	v_mov_b32_e32 v64, v38
	v_mov_b32_e32 v34, 0
	;; [unrolled: 1-line block ×4, first 2 shown]
	global_store_dword v34, v33, s[42:43] offset:1024
	global_store_dwordx2 v34, v[35:36], s[42:43] offset:1032
	s_waitcnt vmcnt(0)
	buffer_wbinvl1_vol
	global_store_byte v34, v2, s[44:45] offset:64
.LBB368_149:
	s_or_b64 exec, exec, s[4:5]
	v_mov_b32_e32 v37, 0
.LBB368_150:
	s_cmp_eq_u64 s[54:55], 0
	s_cselect_b64 s[4:5], -1, 0
	s_or_b64 s[4:5], s[46:47], s[4:5]
	v_mov_b32_e32 v10, 0
	s_and_b64 vcc, exec, s[4:5]
	v_mov_b32_e32 v11, 0
	s_waitcnt vmcnt(0)
	s_barrier
	s_cbranch_vccnz .LBB368_152
; %bb.151:
	v_mov_b32_e32 v2, 0
	global_load_dwordx2 v[10:11], v2, s[54:55]
.LBB368_152:
	s_nop 0
	buffer_load_dword v2, off, s[0:3], 0
	buffer_load_dword v3, off, s[0:3], 0 offset:4
	buffer_load_dword v6, off, s[0:3], 0 offset:8
	;; [unrolled: 1-line block ×14, first 2 shown]
	v_mov_b32_e32 v12, s57
	s_waitcnt vmcnt(15)
	v_add_co_u32_e32 v13, vcc, s56, v10
	v_addc_co_u32_e32 v12, vcc, v12, v11, vcc
	v_add_co_u32_e32 v26, vcc, v13, v37
	v_addc_co_u32_e32 v27, vcc, 0, v12, vcc
	v_add_u32_e32 v25, v34, v73
	v_add_u32_e32 v24, v25, v86
	;; [unrolled: 1-line block ×12, first 2 shown]
	s_movk_i32 s36, 0x100
	v_add_u32_e32 v13, v14, v83
	v_mov_b32_e32 v38, 0
	v_add_u32_e32 v12, v13, v84
	s_mov_b64 s[40:41], -1
	s_waitcnt vmcnt(14)
	v_cmp_eq_u32_e32 vcc, 0, v2
	v_cmp_ne_u32_e64 s[34:35], 0, v2
	v_cndmask_b32_e64 v2, 1, 2, vcc
	s_waitcnt vmcnt(13)
	v_cmp_eq_u32_e32 vcc, 0, v3
	v_cmp_ne_u32_e64 s[30:31], 0, v3
	v_cndmask_b32_e64 v3, 1, 2, vcc
	;; [unrolled: 4-line block ×3, first 2 shown]
	s_waitcnt vmcnt(11)
	v_cmp_eq_u32_e32 vcc, 0, v7
	v_and_b32_e32 v2, v3, v2
	v_cmp_ne_u32_e64 s[26:27], 0, v7
	v_cndmask_b32_e64 v7, 1, 2, vcc
	s_waitcnt vmcnt(10)
	v_cmp_eq_u32_e32 vcc, 0, v8
	v_and_b32_e32 v2, v2, v6
	v_cmp_ne_u32_e64 s[24:25], 0, v8
	v_cndmask_b32_e64 v8, 1, 2, vcc
	;; [unrolled: 5-line block ×7, first 2 shown]
	s_waitcnt vmcnt(4)
	v_cmp_eq_u32_e32 vcc, 0, v87
	v_and_b32_e32 v2, v2, v67
	v_cndmask_b32_e64 v73, 1, 2, vcc
	s_waitcnt vmcnt(3)
	v_cmp_eq_u32_e32 vcc, 0, v88
	v_and_b32_e32 v2, v2, v68
	v_cndmask_b32_e64 v74, 1, 2, vcc
	;; [unrolled: 4-line block ×4, first 2 shown]
	v_and_b32_e32 v2, v2, v75
	s_waitcnt vmcnt(0)
	v_cmp_eq_u32_e32 vcc, 0, v91
	v_and_b32_e32 v2, v2, v76
	v_cndmask_b32_e64 v3, 1, 2, vcc
	v_and_b32_e32 v2, v2, v3
	v_cmp_gt_u32_e32 vcc, s36, v33
	v_cmp_ne_u32_e64 s[12:13], 0, v87
	v_cmp_ne_u32_e64 s[10:11], 0, v88
	;; [unrolled: 1-line block ×5, first 2 shown]
	v_cmp_gt_i16_e64 s[36:37], 2, v2
	s_cbranch_vccz .LBB368_159
; %bb.153:
	s_and_saveexec_b64 s[40:41], s[36:37]
	s_cbranch_execz .LBB368_158
; %bb.154:
	v_cmp_ne_u16_e32 vcc, 1, v2
	s_mov_b64 s[42:43], 0
	s_and_saveexec_b64 s[36:37], vcc
	s_xor_b64 s[36:37], exec, s[36:37]
	s_cbranch_execnz .LBB368_206
; %bb.155:
	s_andn2_saveexec_b64 s[36:37], s[36:37]
	s_cbranch_execnz .LBB368_222
.LBB368_156:
	s_or_b64 exec, exec, s[36:37]
	s_and_b64 exec, exec, s[42:43]
	s_cbranch_execz .LBB368_158
.LBB368_157:
	v_sub_u32_e32 v3, v12, v37
	v_lshrrev_b32_e32 v6, 24, v32
	v_readfirstlane_b32 s36, v26
	v_readfirstlane_b32 s37, v27
	s_nop 4
	global_store_byte v3, v6, s[36:37]
.LBB368_158:
	s_or_b64 exec, exec, s[40:41]
	s_mov_b64 s[40:41], 0
.LBB368_159:
	s_and_b64 vcc, exec, s[40:41]
	s_cbranch_vccz .LBB368_181
; %bb.160:
	v_cmp_gt_i16_e32 vcc, 2, v2
	s_and_saveexec_b64 s[36:37], vcc
	s_cbranch_execz .LBB368_165
; %bb.161:
	v_cmp_ne_u16_e32 vcc, 1, v2
	s_mov_b64 s[42:43], 0
	s_and_saveexec_b64 s[40:41], vcc
	s_xor_b64 s[40:41], exec, s[40:41]
	s_cbranch_execnz .LBB368_223
; %bb.162:
	s_andn2_saveexec_b64 s[4:5], s[40:41]
	s_cbranch_execnz .LBB368_239
.LBB368_163:
	s_or_b64 exec, exec, s[4:5]
	s_and_b64 exec, exec, s[42:43]
.LBB368_164:
	v_sub_u32_e32 v1, v12, v37
	v_lshrrev_b32_e32 v2, 24, v32
	ds_write_b8 v1, v2
.LBB368_165:
	s_or_b64 exec, exec, s[36:37]
	v_cmp_lt_u32_e32 vcc, v0, v33
	s_waitcnt vmcnt(0) lgkmcnt(0)
	s_barrier
	s_and_saveexec_b64 s[4:5], vcc
	s_cbranch_execz .LBB368_180
; %bb.166:
	v_xad_u32 v2, v0, -1, v33
	s_movk_i32 s6, 0x1b00
	s_movk_i32 s8, 0x1aff
	v_cmp_gt_u32_e64 s[6:7], s6, v2
	v_cmp_lt_u32_e32 vcc, s8, v2
	v_mov_b32_e32 v1, v0
	s_and_saveexec_b64 s[8:9], vcc
	s_cbranch_execz .LBB368_177
; %bb.167:
	v_sub_u32_e32 v1, v0, v33
	v_or_b32_e32 v1, 0xff, v1
	v_cmp_ge_u32_e32 vcc, v1, v0
	s_mov_b64 s[12:13], -1
	v_mov_b32_e32 v1, v0
	s_and_saveexec_b64 s[10:11], vcc
	s_cbranch_execz .LBB368_176
; %bb.168:
	v_lshrrev_b32_e32 v28, 8, v2
	v_add_u32_e32 v6, -3, v28
	v_or_b32_e32 v3, 0x300, v0
	v_lshrrev_b32_e32 v7, 2, v6
	v_or_b32_e32 v2, 0x200, v0
	v_or_b32_e32 v1, 0x100, v0
	v_add_u32_e32 v29, 1, v7
	v_cmp_lt_u32_e32 vcc, 11, v6
	v_mov_b32_e32 v9, v3
	v_mov_b32_e32 v32, 0
	;; [unrolled: 1-line block ×5, first 2 shown]
	s_and_saveexec_b64 s[12:13], vcc
	s_cbranch_execz .LBB368_172
; %bb.169:
	v_mov_b32_e32 v9, v3
	v_and_b32_e32 v30, 0x7ffffffc, v29
	s_mov_b32 s16, 0
	s_mov_b64 s[14:15], 0
	v_mov_b32_e32 v31, v0
	v_mov_b32_e32 v8, v2
	;; [unrolled: 1-line block ×4, first 2 shown]
.LBB368_170:                            ; =>This Inner Loop Header: Depth=1
	v_add_co_u32_e32 v1, vcc, v26, v6
	v_addc_co_u32_e32 v2, vcc, 0, v27, vcc
	v_add_co_u32_e32 v67, vcc, v26, v7
	v_addc_co_u32_e32 v68, vcc, 0, v27, vcc
	;; [unrolled: 2-line block ×4, first 2 shown]
	v_add_u32_e32 v75, 0x400, v6
	v_add_co_u32_e32 v75, vcc, v26, v75
	v_add_u32_e32 v77, 0x400, v7
	v_addc_co_u32_e32 v76, vcc, 0, v27, vcc
	v_add_co_u32_e32 v77, vcc, v26, v77
	v_add_u32_e32 v32, 0x400, v8
	v_addc_co_u32_e32 v78, vcc, 0, v27, vcc
	;; [unrolled: 3-line block ×10, first 2 shown]
	v_add_co_u32_e32 v95, vcc, v26, v95
	ds_read_u8 v99, v31
	ds_read_u8 v100, v31 offset:256
	ds_read_u8 v101, v31 offset:512
	;; [unrolled: 1-line block ×7, first 2 shown]
	v_add_u32_e32 v97, 0xc00, v9
	ds_read_u8 v107, v31 offset:2048
	ds_read_u8 v108, v31 offset:2304
	;; [unrolled: 1-line block ×8, first 2 shown]
	v_addc_co_u32_e32 v96, vcc, 0, v27, vcc
	v_add_co_u32_e32 v97, vcc, v26, v97
	v_add_u32_e32 v30, -4, v30
	v_addc_co_u32_e32 v98, vcc, 0, v27, vcc
	s_add_i32 s16, s16, 16
	v_cmp_eq_u32_e32 vcc, 0, v30
	v_add_u32_e32 v9, 0x1000, v9
	v_add_u32_e32 v8, 0x1000, v8
	;; [unrolled: 1-line block ×5, first 2 shown]
	v_mov_b32_e32 v32, s16
	s_or_b64 s[14:15], vcc, s[14:15]
	s_waitcnt lgkmcnt(14)
	global_store_byte v[1:2], v99, off
	global_store_byte v[67:68], v100, off
	s_waitcnt lgkmcnt(13)
	global_store_byte v[71:72], v101, off
	s_waitcnt lgkmcnt(12)
	;; [unrolled: 2-line block ×14, first 2 shown]
	global_store_byte v[97:98], v114, off
	s_andn2_b64 exec, exec, s[14:15]
	s_cbranch_execnz .LBB368_170
; %bb.171:
	s_or_b64 exec, exec, s[14:15]
.LBB368_172:
	s_or_b64 exec, exec, s[12:13]
	v_and_b32_e32 v1, 3, v29
	v_cmp_ne_u32_e32 vcc, 0, v1
	s_and_saveexec_b64 s[12:13], vcc
	s_cbranch_execz .LBB368_175
; %bb.173:
	v_lshl_or_b32 v2, v32, 8, v0
	s_mov_b64 s[14:15], 0
.LBB368_174:                            ; =>This Inner Loop Header: Depth=1
	v_add_co_u32_e32 v29, vcc, v26, v6
	v_addc_co_u32_e32 v30, vcc, 0, v27, vcc
	v_add_co_u32_e32 v31, vcc, v26, v7
	v_addc_co_u32_e32 v32, vcc, 0, v27, vcc
	;; [unrolled: 2-line block ×3, first 2 shown]
	ds_read_u8 v3, v2
	ds_read_u8 v73, v2 offset:256
	ds_read_u8 v74, v2 offset:512
	;; [unrolled: 1-line block ×3, first 2 shown]
	v_add_co_u32_e32 v71, vcc, v26, v9
	v_addc_co_u32_e32 v72, vcc, 0, v27, vcc
	v_add_u32_e32 v1, -1, v1
	v_cmp_eq_u32_e32 vcc, 0, v1
	v_add_u32_e32 v9, 0x400, v9
	v_add_u32_e32 v8, 0x400, v8
	;; [unrolled: 1-line block ×5, first 2 shown]
	s_or_b64 s[14:15], vcc, s[14:15]
	s_waitcnt lgkmcnt(3)
	global_store_byte v[29:30], v3, off
	s_waitcnt lgkmcnt(2)
	global_store_byte v[31:32], v73, off
	;; [unrolled: 2-line block ×4, first 2 shown]
	s_andn2_b64 exec, exec, s[14:15]
	s_cbranch_execnz .LBB368_174
.LBB368_175:
	s_or_b64 exec, exec, s[12:13]
	v_add_u32_e32 v2, 1, v28
	v_and_b32_e32 v3, 0x1fffffc, v2
	v_cmp_ne_u32_e32 vcc, v2, v3
	v_lshl_or_b32 v1, v3, 8, v0
	s_orn2_b64 s[12:13], vcc, exec
.LBB368_176:
	s_or_b64 exec, exec, s[10:11]
	s_andn2_b64 s[6:7], s[6:7], exec
	s_and_b64 s[10:11], s[12:13], exec
	s_or_b64 s[6:7], s[6:7], s[10:11]
.LBB368_177:
	s_or_b64 exec, exec, s[8:9]
	s_and_b64 exec, exec, s[6:7]
	s_cbranch_execz .LBB368_180
; %bb.178:
	s_mov_b64 s[6:7], 0
.LBB368_179:                            ; =>This Inner Loop Header: Depth=1
	ds_read_u8 v2, v1
	v_readfirstlane_b32 s8, v26
	v_readfirstlane_b32 s9, v27
	s_waitcnt lgkmcnt(0)
	s_nop 3
	global_store_byte v1, v2, s[8:9]
	v_add_u32_e32 v1, 0x100, v1
	v_cmp_ge_u32_e32 vcc, v1, v33
	s_or_b64 s[6:7], vcc, s[6:7]
	s_andn2_b64 exec, exec, s[6:7]
	s_cbranch_execnz .LBB368_179
.LBB368_180:
	s_or_b64 exec, exec, s[4:5]
.LBB368_181:
	v_cmp_eq_u32_e32 vcc, 0, v0
	s_and_b64 s[6:7], vcc, s[50:51]
	s_waitcnt vmcnt(0)
	s_barrier
	s_and_saveexec_b64 s[4:5], s[6:7]
	s_cbranch_execz .LBB368_183
; %bb.182:
	v_mov_b32_e32 v1, 0
	buffer_store_dword v1, off, s[0:3], 0
.LBB368_183:
	s_or_b64 exec, exec, s[4:5]
	s_mul_hi_u32 s4, s33, 0x88888889
	s_lshr_b32 s4, s4, 3
	v_cmp_eq_u32_e32 vcc, s4, v0
	s_and_b64 s[6:7], s[48:49], vcc
	s_and_saveexec_b64 s[4:5], s[6:7]
	s_cbranch_execz .LBB368_185
; %bb.184:
	s_lshl_b32 s6, s33, 2
	v_mov_b32_e32 v1, s6
	s_movk_i32 s6, 0xffc4
	v_mad_i32_i24 v1, v0, s6, v1
	v_mov_b32_e32 v2, 1
	buffer_store_dword v2, v1, s[0:3], 0 offen
.LBB368_185:
	s_or_b64 exec, exec, s[4:5]
	buffer_load_dword v9, off, s[0:3], 0
	buffer_load_dword v26, off, s[0:3], 0 offset:4
	buffer_load_dword v27, off, s[0:3], 0 offset:8
	;; [unrolled: 1-line block ×13, first 2 shown]
	v_add_co_u32_e32 v1, vcc, v69, v4
	buffer_load_dword v69, off, s[0:3], 0 offset:56
	v_lshlrev_b64 v[3:4], 3, v[10:11]
	v_addc_co_u32_e32 v2, vcc, v70, v5, vcc
	v_mov_b32_e32 v5, s59
	v_lshlrev_b64 v[6:7], 3, v[37:38]
	v_add_co_u32_e32 v3, vcc, s58, v3
	v_addc_co_u32_e32 v4, vcc, v5, v4, vcc
	v_cndmask_b32_e64 v8, 0, 1, s[50:51]
	v_add_co_u32_e32 v3, vcc, v3, v6
	v_lshlrev_b32_e32 v70, 3, v8
	v_addc_co_u32_e32 v4, vcc, v4, v7, vcc
	v_add_co_u32_e32 v6, vcc, v3, v70
	v_addc_co_u32_e32 v7, vcc, 0, v4, vcc
	v_add_co_u32_e32 v6, vcc, -8, v6
	v_addc_co_u32_e32 v7, vcc, -1, v7, vcc
	s_cmpk_lg_i32 s33, 0xf00
	s_cselect_b64 s[4:5], -1, 0
	s_and_b64 s[4:5], s[48:49], s[4:5]
	v_sub_u32_e32 v38, v33, v8
	v_cndmask_b32_e64 v75, 0, 1, s[4:5]
	v_add_u32_e32 v5, v38, v75
	s_movk_i32 s36, 0x100
	v_add_u32_e32 v8, v37, v8
	s_mov_b64 s[40:41], -1
	s_waitcnt vmcnt(14)
	v_cmp_eq_u32_e32 vcc, 0, v9
	v_cmp_ne_u32_e64 s[34:35], 0, v9
	v_cndmask_b32_e64 v9, 1, 2, vcc
	s_waitcnt vmcnt(13)
	v_cmp_eq_u32_e32 vcc, 0, v26
	v_cmp_ne_u32_e64 s[30:31], 0, v26
	v_cndmask_b32_e64 v26, 1, 2, vcc
	;; [unrolled: 4-line block ×3, first 2 shown]
	s_waitcnt vmcnt(11)
	v_cmp_eq_u32_e32 vcc, 0, v28
	v_and_b32_e32 v9, v26, v9
	v_cmp_ne_u32_e64 s[26:27], 0, v28
	v_cndmask_b32_e64 v28, 1, 2, vcc
	s_waitcnt vmcnt(10)
	v_cmp_eq_u32_e32 vcc, 0, v29
	v_and_b32_e32 v9, v9, v27
	v_cmp_ne_u32_e64 s[24:25], 0, v29
	v_cndmask_b32_e64 v29, 1, 2, vcc
	;; [unrolled: 5-line block ×5, first 2 shown]
	s_waitcnt vmcnt(6)
	v_cmp_eq_u32_e32 vcc, 0, v67
	v_and_b32_e32 v9, v9, v31
	v_cndmask_b32_e64 v38, 1, 2, vcc
	s_waitcnt vmcnt(5)
	v_cmp_eq_u32_e32 vcc, 0, v68
	v_and_b32_e32 v9, v9, v32
	v_cmp_ne_u32_e64 s[16:17], 0, v67
	v_cndmask_b32_e64 v67, 1, 2, vcc
	s_waitcnt vmcnt(4)
	v_cmp_eq_u32_e32 vcc, 0, v71
	v_and_b32_e32 v9, v9, v38
	v_cmp_ne_u32_e64 s[14:15], 0, v68
	v_cndmask_b32_e64 v68, 1, 2, vcc
	v_and_b32_e32 v9, v9, v67
	s_waitcnt vmcnt(3)
	v_cmp_eq_u32_e32 vcc, 0, v72
	v_and_b32_e32 v9, v9, v68
	v_cndmask_b32_e64 v26, 1, 2, vcc
	s_waitcnt vmcnt(2)
	v_cmp_eq_u32_e32 vcc, 0, v73
	v_and_b32_e32 v9, v9, v26
	v_cndmask_b32_e64 v26, 1, 2, vcc
	;; [unrolled: 4-line block ×4, first 2 shown]
	v_and_b32_e32 v9, v9, v26
	v_cmp_gt_u32_e32 vcc, s36, v5
	v_cmp_ne_u32_e64 s[12:13], 0, v71
	v_cmp_ne_u32_e64 s[8:9], 0, v72
	;; [unrolled: 1-line block ×5, first 2 shown]
	v_cmp_gt_i16_e64 s[36:37], 2, v9
	s_cbranch_vccz .LBB368_192
; %bb.186:
	s_and_saveexec_b64 s[40:41], s[36:37]
	s_cbranch_execz .LBB368_191
; %bb.187:
	v_cmp_ne_u16_e32 vcc, 1, v9
	s_mov_b64 s[42:43], 0
	s_and_saveexec_b64 s[36:37], vcc
	s_xor_b64 s[36:37], exec, s[36:37]
	s_cbranch_execnz .LBB368_240
; %bb.188:
	s_andn2_saveexec_b64 s[36:37], s[36:37]
	s_cbranch_execnz .LBB368_256
.LBB368_189:
	s_or_b64 exec, exec, s[36:37]
	s_and_b64 exec, exec, s[42:43]
	s_cbranch_execz .LBB368_191
.LBB368_190:
	v_sub_u32_e32 v26, v12, v8
	v_mov_b32_e32 v27, 0
	v_lshlrev_b64 v[26:27], 3, v[26:27]
	v_add_co_u32_e32 v26, vcc, v6, v26
	v_addc_co_u32_e32 v27, vcc, v7, v27, vcc
	global_store_dwordx2 v[26:27], v[1:2], off
.LBB368_191:
	s_or_b64 exec, exec, s[40:41]
	s_mov_b64 s[40:41], 0
.LBB368_192:
	s_and_b64 vcc, exec, s[40:41]
	s_cbranch_vccz .LBB368_202
; %bb.193:
	v_cmp_gt_i16_e32 vcc, 2, v9
	s_and_saveexec_b64 s[36:37], vcc
	s_cbranch_execz .LBB368_198
; %bb.194:
	v_cmp_ne_u16_e32 vcc, 1, v9
	s_mov_b64 s[42:43], 0
	s_and_saveexec_b64 s[40:41], vcc
	s_xor_b64 s[40:41], exec, s[40:41]
	s_cbranch_execnz .LBB368_257
; %bb.195:
	s_andn2_saveexec_b64 s[4:5], s[40:41]
	s_cbranch_execnz .LBB368_273
.LBB368_196:
	s_or_b64 exec, exec, s[4:5]
	s_and_b64 exec, exec, s[42:43]
.LBB368_197:
	v_sub_u32_e32 v8, v12, v8
	v_lshlrev_b32_e32 v8, 3, v8
	ds_write_b64 v8, v[1:2]
.LBB368_198:
	s_or_b64 exec, exec, s[36:37]
	v_cmp_lt_u32_e32 vcc, v0, v5
	s_waitcnt vmcnt(0) lgkmcnt(0)
	s_barrier
	s_and_saveexec_b64 s[6:7], vcc
	s_cbranch_execz .LBB368_201
; %bb.199:
	v_lshlrev_b32_e32 v8, 3, v0
	s_mov_b64 s[8:9], 0
	v_mov_b32_e32 v2, 0
	v_mov_b32_e32 v1, v0
.LBB368_200:                            ; =>This Inner Loop Header: Depth=1
	ds_read_b64 v[14:15], v8
	v_lshlrev_b64 v[12:13], 3, v[1:2]
	v_add_u32_e32 v1, 0x100, v1
	v_cmp_ge_u32_e32 vcc, v1, v5
	v_add_co_u32_e64 v12, s[4:5], v6, v12
	v_add_u32_e32 v8, 0x800, v8
	v_addc_co_u32_e64 v13, s[4:5], v7, v13, s[4:5]
	s_or_b64 s[8:9], vcc, s[8:9]
	s_waitcnt lgkmcnt(0)
	global_store_dwordx2 v[12:13], v[14:15], off
	s_andn2_b64 exec, exec, s[8:9]
	s_cbranch_execnz .LBB368_200
.LBB368_201:
	s_or_b64 exec, exec, s[6:7]
.LBB368_202:
	s_movk_i32 s4, 0xff
	v_cmp_eq_u32_e32 vcc, s4, v0
	s_and_b64 s[4:5], vcc, s[48:49]
	s_and_saveexec_b64 s[6:7], s[4:5]
	s_cbranch_execz .LBB368_205
; %bb.203:
	v_add_co_u32_e32 v0, vcc, v33, v37
	v_addc_co_u32_e64 v1, s[4:5], 0, 0, vcc
	v_add_co_u32_e32 v0, vcc, v0, v10
	v_mov_b32_e32 v34, 0
	v_addc_co_u32_e32 v1, vcc, v1, v11, vcc
	s_cmpk_lg_i32 s33, 0xf00
	global_store_dwordx2 v34, v[0:1], s[38:39]
	s_cbranch_scc1 .LBB368_205
; %bb.204:
	v_lshlrev_b64 v[0:1], 3, v[33:34]
	v_add_co_u32_e32 v0, vcc, v3, v0
	v_addc_co_u32_e32 v1, vcc, v4, v1, vcc
	global_store_dwordx2 v[0:1], v[35:36], off offset:-8
.LBB368_205:
	s_endpgm
.LBB368_206:
	s_and_saveexec_b64 s[42:43], s[34:35]
	s_cbranch_execnz .LBB368_274
; %bb.207:
	s_or_b64 exec, exec, s[42:43]
	s_and_saveexec_b64 s[42:43], s[30:31]
	s_cbranch_execnz .LBB368_275
.LBB368_208:
	s_or_b64 exec, exec, s[42:43]
	s_and_saveexec_b64 s[42:43], s[28:29]
	s_cbranch_execnz .LBB368_276
.LBB368_209:
	s_or_b64 exec, exec, s[42:43]
	s_and_saveexec_b64 s[42:43], s[26:27]
	s_cbranch_execnz .LBB368_277
.LBB368_210:
	s_or_b64 exec, exec, s[42:43]
	s_and_saveexec_b64 s[42:43], s[24:25]
	s_cbranch_execnz .LBB368_278
.LBB368_211:
	s_or_b64 exec, exec, s[42:43]
	s_and_saveexec_b64 s[42:43], s[22:23]
	s_cbranch_execnz .LBB368_279
.LBB368_212:
	s_or_b64 exec, exec, s[42:43]
	s_and_saveexec_b64 s[42:43], s[20:21]
	s_cbranch_execnz .LBB368_280
.LBB368_213:
	s_or_b64 exec, exec, s[42:43]
	s_and_saveexec_b64 s[42:43], s[18:19]
	s_cbranch_execnz .LBB368_281
.LBB368_214:
	s_or_b64 exec, exec, s[42:43]
	s_and_saveexec_b64 s[42:43], s[16:17]
	s_cbranch_execnz .LBB368_282
.LBB368_215:
	s_or_b64 exec, exec, s[42:43]
	s_and_saveexec_b64 s[42:43], s[14:15]
	s_cbranch_execnz .LBB368_283
.LBB368_216:
	s_or_b64 exec, exec, s[42:43]
	s_and_saveexec_b64 s[42:43], s[12:13]
	s_cbranch_execnz .LBB368_284
.LBB368_217:
	s_or_b64 exec, exec, s[42:43]
	s_and_saveexec_b64 s[42:43], s[10:11]
	s_cbranch_execnz .LBB368_285
.LBB368_218:
	s_or_b64 exec, exec, s[42:43]
	s_and_saveexec_b64 s[42:43], s[6:7]
	s_cbranch_execnz .LBB368_286
.LBB368_219:
	s_or_b64 exec, exec, s[42:43]
	s_and_saveexec_b64 s[42:43], s[4:5]
	s_cbranch_execz .LBB368_221
.LBB368_220:
	v_sub_u32_e32 v3, v13, v37
	v_readfirstlane_b32 s44, v26
	v_readfirstlane_b32 s45, v27
	s_nop 4
	global_store_byte_d16_hi v3, v32, s[44:45]
.LBB368_221:
	s_or_b64 exec, exec, s[42:43]
	s_and_b64 s[42:43], s[8:9], exec
	s_andn2_saveexec_b64 s[36:37], s[36:37]
	s_cbranch_execz .LBB368_156
.LBB368_222:
	v_sub_u32_e32 v3, v34, v37
	v_readfirstlane_b32 s44, v26
	v_readfirstlane_b32 s45, v27
	v_lshrrev_b32_e32 v6, 8, v30
	s_or_b64 s[42:43], s[42:43], exec
	s_nop 2
	global_store_byte v3, v72, s[44:45]
	v_sub_u32_e32 v3, v25, v37
	global_store_byte v3, v71, s[44:45]
	v_sub_u32_e32 v3, v24, v37
	global_store_byte v3, v1, s[44:45]
	v_sub_u32_e32 v3, v23, v37
	global_store_byte v3, v30, s[44:45]
	v_sub_u32_e32 v3, v22, v37
	global_store_byte v3, v6, s[44:45]
	v_sub_u32_e32 v3, v21, v37
	global_store_byte_d16_hi v3, v30, s[44:45]
	v_sub_u32_e32 v3, v20, v37
	v_lshrrev_b32_e32 v6, 24, v30
	global_store_byte v3, v6, s[44:45]
	v_sub_u32_e32 v3, v19, v37
	global_store_byte v3, v31, s[44:45]
	v_sub_u32_e32 v3, v18, v37
	v_lshrrev_b32_e32 v6, 8, v31
	global_store_byte v3, v6, s[44:45]
	v_sub_u32_e32 v3, v17, v37
	global_store_byte_d16_hi v3, v31, s[44:45]
	v_sub_u32_e32 v3, v16, v37
	v_lshrrev_b32_e32 v6, 24, v31
	global_store_byte v3, v6, s[44:45]
	v_sub_u32_e32 v3, v15, v37
	global_store_byte v3, v32, s[44:45]
	v_sub_u32_e32 v3, v14, v37
	v_lshrrev_b32_e32 v6, 8, v32
	global_store_byte v3, v6, s[44:45]
	v_sub_u32_e32 v3, v13, v37
	global_store_byte_d16_hi v3, v32, s[44:45]
	s_or_b64 exec, exec, s[36:37]
	s_and_b64 exec, exec, s[42:43]
	s_cbranch_execnz .LBB368_157
	s_branch .LBB368_158
.LBB368_223:
	s_and_saveexec_b64 s[42:43], s[34:35]
	s_cbranch_execnz .LBB368_287
; %bb.224:
	s_or_b64 exec, exec, s[42:43]
	s_and_saveexec_b64 s[34:35], s[30:31]
	s_cbranch_execnz .LBB368_288
.LBB368_225:
	s_or_b64 exec, exec, s[34:35]
	s_and_saveexec_b64 s[30:31], s[28:29]
	s_cbranch_execnz .LBB368_289
.LBB368_226:
	s_or_b64 exec, exec, s[30:31]
	s_and_saveexec_b64 s[28:29], s[26:27]
	s_cbranch_execnz .LBB368_290
.LBB368_227:
	s_or_b64 exec, exec, s[28:29]
	s_and_saveexec_b64 s[26:27], s[24:25]
	s_cbranch_execnz .LBB368_291
.LBB368_228:
	s_or_b64 exec, exec, s[26:27]
	s_and_saveexec_b64 s[24:25], s[22:23]
	s_cbranch_execnz .LBB368_292
.LBB368_229:
	s_or_b64 exec, exec, s[24:25]
	s_and_saveexec_b64 s[22:23], s[20:21]
	s_cbranch_execnz .LBB368_293
.LBB368_230:
	s_or_b64 exec, exec, s[22:23]
	s_and_saveexec_b64 s[20:21], s[18:19]
	s_cbranch_execnz .LBB368_294
.LBB368_231:
	s_or_b64 exec, exec, s[20:21]
	s_and_saveexec_b64 s[18:19], s[16:17]
	s_cbranch_execnz .LBB368_295
.LBB368_232:
	s_or_b64 exec, exec, s[18:19]
	s_and_saveexec_b64 s[16:17], s[14:15]
	s_cbranch_execnz .LBB368_296
.LBB368_233:
	s_or_b64 exec, exec, s[16:17]
	s_and_saveexec_b64 s[14:15], s[12:13]
	s_cbranch_execnz .LBB368_297
.LBB368_234:
	s_or_b64 exec, exec, s[14:15]
	s_and_saveexec_b64 s[12:13], s[10:11]
	s_cbranch_execnz .LBB368_298
.LBB368_235:
	s_or_b64 exec, exec, s[12:13]
	s_and_saveexec_b64 s[10:11], s[6:7]
	s_cbranch_execnz .LBB368_299
.LBB368_236:
	s_or_b64 exec, exec, s[10:11]
	s_and_saveexec_b64 s[6:7], s[4:5]
.LBB368_237:
	v_sub_u32_e32 v1, v13, v37
	ds_write_b8_d16_hi v1, v32
.LBB368_238:
	s_or_b64 exec, exec, s[6:7]
	s_and_b64 s[42:43], s[8:9], exec
                                        ; implicit-def: $vgpr72
                                        ; implicit-def: $vgpr71
                                        ; implicit-def: $vgpr1
	s_andn2_saveexec_b64 s[4:5], s[40:41]
	s_cbranch_execz .LBB368_163
.LBB368_239:
	v_sub_u32_e32 v2, v34, v37
	ds_write_b8 v2, v72
	v_sub_u32_e32 v2, v25, v37
	ds_write_b8 v2, v71
	;; [unrolled: 2-line block ×4, first 2 shown]
	v_sub_u32_e32 v1, v22, v37
	v_lshrrev_b32_e32 v2, 8, v30
	ds_write_b8 v1, v2
	v_sub_u32_e32 v1, v21, v37
	ds_write_b8_d16_hi v1, v30
	v_sub_u32_e32 v1, v20, v37
	v_lshrrev_b32_e32 v2, 24, v30
	ds_write_b8 v1, v2
	v_sub_u32_e32 v1, v19, v37
	ds_write_b8 v1, v31
	v_sub_u32_e32 v1, v18, v37
	v_lshrrev_b32_e32 v2, 8, v31
	ds_write_b8 v1, v2
	v_sub_u32_e32 v1, v17, v37
	ds_write_b8_d16_hi v1, v31
	v_sub_u32_e32 v1, v16, v37
	v_lshrrev_b32_e32 v2, 24, v31
	ds_write_b8 v1, v2
	v_sub_u32_e32 v1, v15, v37
	ds_write_b8 v1, v32
	v_sub_u32_e32 v1, v14, v37
	v_lshrrev_b32_e32 v2, 8, v32
	ds_write_b8 v1, v2
	v_sub_u32_e32 v1, v13, v37
	s_or_b64 s[42:43], s[42:43], exec
	ds_write_b8_d16_hi v1, v32
	s_or_b64 exec, exec, s[4:5]
	s_and_b64 exec, exec, s[42:43]
	s_cbranch_execnz .LBB368_164
	s_branch .LBB368_165
.LBB368_240:
	s_and_saveexec_b64 s[42:43], s[34:35]
	s_cbranch_execnz .LBB368_300
; %bb.241:
	s_or_b64 exec, exec, s[42:43]
	s_and_saveexec_b64 s[42:43], s[30:31]
	s_cbranch_execnz .LBB368_301
.LBB368_242:
	s_or_b64 exec, exec, s[42:43]
	s_and_saveexec_b64 s[42:43], s[28:29]
	s_cbranch_execnz .LBB368_302
.LBB368_243:
	s_or_b64 exec, exec, s[42:43]
	s_and_saveexec_b64 s[42:43], s[26:27]
	s_cbranch_execnz .LBB368_303
.LBB368_244:
	s_or_b64 exec, exec, s[42:43]
	s_and_saveexec_b64 s[42:43], s[24:25]
	s_cbranch_execnz .LBB368_304
.LBB368_245:
	s_or_b64 exec, exec, s[42:43]
	s_and_saveexec_b64 s[42:43], s[22:23]
	s_cbranch_execnz .LBB368_305
.LBB368_246:
	s_or_b64 exec, exec, s[42:43]
	s_and_saveexec_b64 s[42:43], s[20:21]
	s_cbranch_execnz .LBB368_306
.LBB368_247:
	s_or_b64 exec, exec, s[42:43]
	s_and_saveexec_b64 s[42:43], s[18:19]
	s_cbranch_execnz .LBB368_307
.LBB368_248:
	s_or_b64 exec, exec, s[42:43]
	s_and_saveexec_b64 s[42:43], s[16:17]
	s_cbranch_execnz .LBB368_308
.LBB368_249:
	s_or_b64 exec, exec, s[42:43]
	s_and_saveexec_b64 s[42:43], s[14:15]
	s_cbranch_execnz .LBB368_309
.LBB368_250:
	s_or_b64 exec, exec, s[42:43]
	s_and_saveexec_b64 s[42:43], s[12:13]
	s_cbranch_execnz .LBB368_310
.LBB368_251:
	s_or_b64 exec, exec, s[42:43]
	s_and_saveexec_b64 s[42:43], s[8:9]
	s_cbranch_execnz .LBB368_311
.LBB368_252:
	s_or_b64 exec, exec, s[42:43]
	s_and_saveexec_b64 s[42:43], s[10:11]
	s_cbranch_execnz .LBB368_312
.LBB368_253:
	s_or_b64 exec, exec, s[42:43]
	s_and_saveexec_b64 s[42:43], s[6:7]
	s_cbranch_execz .LBB368_255
.LBB368_254:
	v_sub_u32_e32 v26, v13, v8
	v_mov_b32_e32 v27, 0
	v_lshlrev_b64 v[26:27], 3, v[26:27]
	v_add_co_u32_e32 v26, vcc, v6, v26
	v_addc_co_u32_e32 v27, vcc, v7, v27, vcc
	global_store_dwordx2 v[26:27], v[65:66], off
.LBB368_255:
	s_or_b64 exec, exec, s[42:43]
	s_and_b64 s[42:43], s[4:5], exec
	s_andn2_saveexec_b64 s[36:37], s[36:37]
	s_cbranch_execz .LBB368_189
.LBB368_256:
	v_sub_u32_e32 v26, v34, v8
	v_mov_b32_e32 v27, 0
	v_lshlrev_b64 v[28:29], 3, v[26:27]
	v_sub_u32_e32 v26, v25, v8
	v_add_co_u32_e32 v28, vcc, v6, v28
	v_addc_co_u32_e32 v29, vcc, v7, v29, vcc
	global_store_dwordx2 v[28:29], v[63:64], off
	v_lshlrev_b64 v[28:29], 3, v[26:27]
	v_sub_u32_e32 v26, v24, v8
	v_add_co_u32_e32 v28, vcc, v6, v28
	v_addc_co_u32_e32 v29, vcc, v7, v29, vcc
	global_store_dwordx2 v[28:29], v[39:40], off
	;; [unrolled: 5-line block ×12, first 2 shown]
	v_lshlrev_b64 v[28:29], 3, v[26:27]
	v_sub_u32_e32 v26, v13, v8
	v_add_co_u32_e32 v28, vcc, v6, v28
	v_lshlrev_b64 v[26:27], 3, v[26:27]
	v_addc_co_u32_e32 v29, vcc, v7, v29, vcc
	v_add_co_u32_e32 v26, vcc, v6, v26
	v_addc_co_u32_e32 v27, vcc, v7, v27, vcc
	s_or_b64 s[42:43], s[42:43], exec
	global_store_dwordx2 v[28:29], v[61:62], off
	global_store_dwordx2 v[26:27], v[65:66], off
	s_or_b64 exec, exec, s[36:37]
	s_and_b64 exec, exec, s[42:43]
	s_cbranch_execnz .LBB368_190
	s_branch .LBB368_191
.LBB368_257:
	s_and_saveexec_b64 s[42:43], s[34:35]
	s_cbranch_execnz .LBB368_313
; %bb.258:
	s_or_b64 exec, exec, s[42:43]
	s_and_saveexec_b64 s[34:35], s[30:31]
	s_cbranch_execnz .LBB368_314
.LBB368_259:
	s_or_b64 exec, exec, s[34:35]
	s_and_saveexec_b64 s[30:31], s[28:29]
	s_cbranch_execnz .LBB368_315
.LBB368_260:
	s_or_b64 exec, exec, s[30:31]
	s_and_saveexec_b64 s[28:29], s[26:27]
	s_cbranch_execnz .LBB368_316
.LBB368_261:
	s_or_b64 exec, exec, s[28:29]
	s_and_saveexec_b64 s[26:27], s[24:25]
	s_cbranch_execnz .LBB368_317
.LBB368_262:
	s_or_b64 exec, exec, s[26:27]
	s_and_saveexec_b64 s[24:25], s[22:23]
	s_cbranch_execnz .LBB368_318
.LBB368_263:
	s_or_b64 exec, exec, s[24:25]
	s_and_saveexec_b64 s[22:23], s[20:21]
	s_cbranch_execnz .LBB368_319
.LBB368_264:
	s_or_b64 exec, exec, s[22:23]
	s_and_saveexec_b64 s[20:21], s[18:19]
	s_cbranch_execnz .LBB368_320
.LBB368_265:
	s_or_b64 exec, exec, s[20:21]
	s_and_saveexec_b64 s[18:19], s[16:17]
	s_cbranch_execnz .LBB368_321
.LBB368_266:
	s_or_b64 exec, exec, s[18:19]
	s_and_saveexec_b64 s[16:17], s[14:15]
	s_cbranch_execnz .LBB368_322
.LBB368_267:
	s_or_b64 exec, exec, s[16:17]
	s_and_saveexec_b64 s[14:15], s[12:13]
	s_cbranch_execnz .LBB368_323
.LBB368_268:
	s_or_b64 exec, exec, s[14:15]
	s_and_saveexec_b64 s[12:13], s[8:9]
	s_cbranch_execnz .LBB368_324
.LBB368_269:
	s_or_b64 exec, exec, s[12:13]
	s_and_saveexec_b64 s[8:9], s[10:11]
	s_cbranch_execnz .LBB368_325
.LBB368_270:
	s_or_b64 exec, exec, s[8:9]
	s_and_saveexec_b64 s[8:9], s[6:7]
.LBB368_271:
	v_sub_u32_e32 v9, v13, v8
	v_lshlrev_b32_e32 v9, 3, v9
	ds_write_b64 v9, v[65:66]
.LBB368_272:
	s_or_b64 exec, exec, s[8:9]
	s_and_b64 s[42:43], s[4:5], exec
                                        ; implicit-def: $vgpr63_vgpr64
                                        ; implicit-def: $vgpr39_vgpr40
                                        ; implicit-def: $vgpr41_vgpr42
                                        ; implicit-def: $vgpr43_vgpr44
                                        ; implicit-def: $vgpr45_vgpr46
                                        ; implicit-def: $vgpr47_vgpr48
                                        ; implicit-def: $vgpr49_vgpr50
                                        ; implicit-def: $vgpr51_vgpr52
                                        ; implicit-def: $vgpr53_vgpr54
                                        ; implicit-def: $vgpr55_vgpr56
                                        ; implicit-def: $vgpr57_vgpr58
                                        ; implicit-def: $vgpr59_vgpr60
                                        ; implicit-def: $vgpr61_vgpr62
                                        ; implicit-def: $vgpr65_vgpr66
                                        ; implicit-def: $vgpr34
                                        ; implicit-def: $vgpr25
                                        ; implicit-def: $vgpr24
                                        ; implicit-def: $vgpr23
                                        ; implicit-def: $vgpr22
                                        ; implicit-def: $vgpr21
                                        ; implicit-def: $vgpr20
                                        ; implicit-def: $vgpr19
                                        ; implicit-def: $vgpr18
                                        ; implicit-def: $vgpr17
                                        ; implicit-def: $vgpr16
                                        ; implicit-def: $vgpr15
                                        ; implicit-def: $vgpr14
                                        ; implicit-def: $vgpr13
	s_andn2_saveexec_b64 s[4:5], s[40:41]
	s_cbranch_execz .LBB368_196
.LBB368_273:
	v_sub_u32_e32 v9, v34, v8
	v_lshlrev_b32_e32 v9, 3, v9
	ds_write_b64 v9, v[63:64]
	v_sub_u32_e32 v9, v25, v8
	v_lshlrev_b32_e32 v9, 3, v9
	ds_write_b64 v9, v[39:40]
	;; [unrolled: 3-line block ×13, first 2 shown]
	v_sub_u32_e32 v9, v13, v8
	v_lshlrev_b32_e32 v9, 3, v9
	s_or_b64 s[42:43], s[42:43], exec
	ds_write_b64 v9, v[65:66]
	s_or_b64 exec, exec, s[4:5]
	s_and_b64 exec, exec, s[42:43]
	s_cbranch_execnz .LBB368_197
	s_branch .LBB368_198
.LBB368_274:
	v_sub_u32_e32 v3, v34, v37
	v_readfirstlane_b32 s44, v26
	v_readfirstlane_b32 s45, v27
	s_nop 4
	global_store_byte v3, v72, s[44:45]
	s_or_b64 exec, exec, s[42:43]
	s_and_saveexec_b64 s[42:43], s[30:31]
	s_cbranch_execz .LBB368_208
.LBB368_275:
	v_sub_u32_e32 v3, v25, v37
	v_readfirstlane_b32 s44, v26
	v_readfirstlane_b32 s45, v27
	s_nop 4
	global_store_byte v3, v71, s[44:45]
	s_or_b64 exec, exec, s[42:43]
	s_and_saveexec_b64 s[42:43], s[28:29]
	s_cbranch_execz .LBB368_209
.LBB368_276:
	v_sub_u32_e32 v3, v24, v37
	v_readfirstlane_b32 s44, v26
	v_readfirstlane_b32 s45, v27
	s_nop 4
	global_store_byte v3, v1, s[44:45]
	s_or_b64 exec, exec, s[42:43]
	s_and_saveexec_b64 s[42:43], s[26:27]
	s_cbranch_execz .LBB368_210
.LBB368_277:
	v_sub_u32_e32 v3, v23, v37
	v_readfirstlane_b32 s44, v26
	v_readfirstlane_b32 s45, v27
	s_nop 4
	global_store_byte v3, v30, s[44:45]
	s_or_b64 exec, exec, s[42:43]
	s_and_saveexec_b64 s[42:43], s[24:25]
	s_cbranch_execz .LBB368_211
.LBB368_278:
	v_sub_u32_e32 v3, v22, v37
	v_lshrrev_b32_e32 v6, 8, v30
	v_readfirstlane_b32 s44, v26
	v_readfirstlane_b32 s45, v27
	s_nop 4
	global_store_byte v3, v6, s[44:45]
	s_or_b64 exec, exec, s[42:43]
	s_and_saveexec_b64 s[42:43], s[22:23]
	s_cbranch_execz .LBB368_212
.LBB368_279:
	v_sub_u32_e32 v3, v21, v37
	v_readfirstlane_b32 s44, v26
	v_readfirstlane_b32 s45, v27
	s_nop 4
	global_store_byte_d16_hi v3, v30, s[44:45]
	s_or_b64 exec, exec, s[42:43]
	s_and_saveexec_b64 s[42:43], s[20:21]
	s_cbranch_execz .LBB368_213
.LBB368_280:
	v_sub_u32_e32 v3, v20, v37
	v_lshrrev_b32_e32 v6, 24, v30
	v_readfirstlane_b32 s44, v26
	v_readfirstlane_b32 s45, v27
	s_nop 4
	global_store_byte v3, v6, s[44:45]
	s_or_b64 exec, exec, s[42:43]
	s_and_saveexec_b64 s[42:43], s[18:19]
	s_cbranch_execz .LBB368_214
.LBB368_281:
	v_sub_u32_e32 v3, v19, v37
	v_readfirstlane_b32 s44, v26
	v_readfirstlane_b32 s45, v27
	s_nop 4
	global_store_byte v3, v31, s[44:45]
	s_or_b64 exec, exec, s[42:43]
	s_and_saveexec_b64 s[42:43], s[16:17]
	s_cbranch_execz .LBB368_215
.LBB368_282:
	v_sub_u32_e32 v3, v18, v37
	v_lshrrev_b32_e32 v6, 8, v31
	v_readfirstlane_b32 s44, v26
	v_readfirstlane_b32 s45, v27
	s_nop 4
	global_store_byte v3, v6, s[44:45]
	s_or_b64 exec, exec, s[42:43]
	s_and_saveexec_b64 s[42:43], s[14:15]
	s_cbranch_execz .LBB368_216
.LBB368_283:
	v_sub_u32_e32 v3, v17, v37
	v_readfirstlane_b32 s44, v26
	v_readfirstlane_b32 s45, v27
	s_nop 4
	global_store_byte_d16_hi v3, v31, s[44:45]
	s_or_b64 exec, exec, s[42:43]
	s_and_saveexec_b64 s[42:43], s[12:13]
	s_cbranch_execz .LBB368_217
.LBB368_284:
	v_sub_u32_e32 v3, v16, v37
	v_lshrrev_b32_e32 v6, 24, v31
	v_readfirstlane_b32 s44, v26
	v_readfirstlane_b32 s45, v27
	s_nop 4
	global_store_byte v3, v6, s[44:45]
	s_or_b64 exec, exec, s[42:43]
	s_and_saveexec_b64 s[42:43], s[10:11]
	s_cbranch_execz .LBB368_218
.LBB368_285:
	v_sub_u32_e32 v3, v15, v37
	v_readfirstlane_b32 s44, v26
	v_readfirstlane_b32 s45, v27
	s_nop 4
	global_store_byte v3, v32, s[44:45]
	s_or_b64 exec, exec, s[42:43]
	s_and_saveexec_b64 s[42:43], s[6:7]
	s_cbranch_execz .LBB368_219
.LBB368_286:
	v_sub_u32_e32 v3, v14, v37
	v_lshrrev_b32_e32 v6, 8, v32
	v_readfirstlane_b32 s44, v26
	v_readfirstlane_b32 s45, v27
	s_nop 4
	global_store_byte v3, v6, s[44:45]
	s_or_b64 exec, exec, s[42:43]
	s_and_saveexec_b64 s[42:43], s[4:5]
	s_cbranch_execnz .LBB368_220
	s_branch .LBB368_221
.LBB368_287:
	v_sub_u32_e32 v2, v34, v37
	ds_write_b8 v2, v72
	s_or_b64 exec, exec, s[42:43]
	s_and_saveexec_b64 s[34:35], s[30:31]
	s_cbranch_execz .LBB368_225
.LBB368_288:
	v_sub_u32_e32 v2, v25, v37
	ds_write_b8 v2, v71
	s_or_b64 exec, exec, s[34:35]
	s_and_saveexec_b64 s[30:31], s[28:29]
	s_cbranch_execz .LBB368_226
.LBB368_289:
	v_sub_u32_e32 v2, v24, v37
	ds_write_b8 v2, v1
	s_or_b64 exec, exec, s[30:31]
	s_and_saveexec_b64 s[28:29], s[26:27]
	s_cbranch_execz .LBB368_227
.LBB368_290:
	v_sub_u32_e32 v1, v23, v37
	ds_write_b8 v1, v30
	s_or_b64 exec, exec, s[28:29]
	s_and_saveexec_b64 s[26:27], s[24:25]
	s_cbranch_execz .LBB368_228
.LBB368_291:
	v_sub_u32_e32 v1, v22, v37
	v_lshrrev_b32_e32 v2, 8, v30
	ds_write_b8 v1, v2
	s_or_b64 exec, exec, s[26:27]
	s_and_saveexec_b64 s[24:25], s[22:23]
	s_cbranch_execz .LBB368_229
.LBB368_292:
	v_sub_u32_e32 v1, v21, v37
	ds_write_b8_d16_hi v1, v30
	s_or_b64 exec, exec, s[24:25]
	s_and_saveexec_b64 s[22:23], s[20:21]
	s_cbranch_execz .LBB368_230
.LBB368_293:
	v_sub_u32_e32 v1, v20, v37
	v_lshrrev_b32_e32 v2, 24, v30
	ds_write_b8 v1, v2
	s_or_b64 exec, exec, s[22:23]
	s_and_saveexec_b64 s[20:21], s[18:19]
	s_cbranch_execz .LBB368_231
.LBB368_294:
	v_sub_u32_e32 v1, v19, v37
	ds_write_b8 v1, v31
	s_or_b64 exec, exec, s[20:21]
	s_and_saveexec_b64 s[18:19], s[16:17]
	s_cbranch_execz .LBB368_232
.LBB368_295:
	v_sub_u32_e32 v1, v18, v37
	v_lshrrev_b32_e32 v2, 8, v31
	ds_write_b8 v1, v2
	s_or_b64 exec, exec, s[18:19]
	s_and_saveexec_b64 s[16:17], s[14:15]
	s_cbranch_execz .LBB368_233
.LBB368_296:
	v_sub_u32_e32 v1, v17, v37
	ds_write_b8_d16_hi v1, v31
	s_or_b64 exec, exec, s[16:17]
	s_and_saveexec_b64 s[14:15], s[12:13]
	s_cbranch_execz .LBB368_234
.LBB368_297:
	v_sub_u32_e32 v1, v16, v37
	v_lshrrev_b32_e32 v2, 24, v31
	ds_write_b8 v1, v2
	s_or_b64 exec, exec, s[14:15]
	s_and_saveexec_b64 s[12:13], s[10:11]
	s_cbranch_execz .LBB368_235
.LBB368_298:
	v_sub_u32_e32 v1, v15, v37
	ds_write_b8 v1, v32
	s_or_b64 exec, exec, s[12:13]
	s_and_saveexec_b64 s[10:11], s[6:7]
	s_cbranch_execz .LBB368_236
.LBB368_299:
	v_sub_u32_e32 v1, v14, v37
	v_lshrrev_b32_e32 v2, 8, v32
	ds_write_b8 v1, v2
	s_or_b64 exec, exec, s[10:11]
	s_and_saveexec_b64 s[6:7], s[4:5]
	s_cbranch_execnz .LBB368_237
	s_branch .LBB368_238
.LBB368_300:
	v_sub_u32_e32 v26, v34, v8
	v_mov_b32_e32 v27, 0
	v_lshlrev_b64 v[26:27], 3, v[26:27]
	v_add_co_u32_e32 v26, vcc, v6, v26
	v_addc_co_u32_e32 v27, vcc, v7, v27, vcc
	global_store_dwordx2 v[26:27], v[63:64], off
	s_or_b64 exec, exec, s[42:43]
	s_and_saveexec_b64 s[42:43], s[30:31]
	s_cbranch_execz .LBB368_242
.LBB368_301:
	v_sub_u32_e32 v26, v25, v8
	v_mov_b32_e32 v27, 0
	v_lshlrev_b64 v[26:27], 3, v[26:27]
	v_add_co_u32_e32 v26, vcc, v6, v26
	v_addc_co_u32_e32 v27, vcc, v7, v27, vcc
	global_store_dwordx2 v[26:27], v[39:40], off
	s_or_b64 exec, exec, s[42:43]
	s_and_saveexec_b64 s[42:43], s[28:29]
	s_cbranch_execz .LBB368_243
.LBB368_302:
	v_sub_u32_e32 v26, v24, v8
	v_mov_b32_e32 v27, 0
	v_lshlrev_b64 v[26:27], 3, v[26:27]
	v_add_co_u32_e32 v26, vcc, v6, v26
	v_addc_co_u32_e32 v27, vcc, v7, v27, vcc
	global_store_dwordx2 v[26:27], v[41:42], off
	s_or_b64 exec, exec, s[42:43]
	s_and_saveexec_b64 s[42:43], s[26:27]
	s_cbranch_execz .LBB368_244
.LBB368_303:
	v_sub_u32_e32 v26, v23, v8
	v_mov_b32_e32 v27, 0
	v_lshlrev_b64 v[26:27], 3, v[26:27]
	v_add_co_u32_e32 v26, vcc, v6, v26
	v_addc_co_u32_e32 v27, vcc, v7, v27, vcc
	global_store_dwordx2 v[26:27], v[43:44], off
	s_or_b64 exec, exec, s[42:43]
	s_and_saveexec_b64 s[42:43], s[24:25]
	s_cbranch_execz .LBB368_245
.LBB368_304:
	v_sub_u32_e32 v26, v22, v8
	v_mov_b32_e32 v27, 0
	v_lshlrev_b64 v[26:27], 3, v[26:27]
	v_add_co_u32_e32 v26, vcc, v6, v26
	v_addc_co_u32_e32 v27, vcc, v7, v27, vcc
	global_store_dwordx2 v[26:27], v[45:46], off
	s_or_b64 exec, exec, s[42:43]
	s_and_saveexec_b64 s[42:43], s[22:23]
	s_cbranch_execz .LBB368_246
.LBB368_305:
	v_sub_u32_e32 v26, v21, v8
	v_mov_b32_e32 v27, 0
	v_lshlrev_b64 v[26:27], 3, v[26:27]
	v_add_co_u32_e32 v26, vcc, v6, v26
	v_addc_co_u32_e32 v27, vcc, v7, v27, vcc
	global_store_dwordx2 v[26:27], v[47:48], off
	s_or_b64 exec, exec, s[42:43]
	s_and_saveexec_b64 s[42:43], s[20:21]
	s_cbranch_execz .LBB368_247
.LBB368_306:
	v_sub_u32_e32 v26, v20, v8
	v_mov_b32_e32 v27, 0
	v_lshlrev_b64 v[26:27], 3, v[26:27]
	v_add_co_u32_e32 v26, vcc, v6, v26
	v_addc_co_u32_e32 v27, vcc, v7, v27, vcc
	global_store_dwordx2 v[26:27], v[49:50], off
	s_or_b64 exec, exec, s[42:43]
	s_and_saveexec_b64 s[42:43], s[18:19]
	s_cbranch_execz .LBB368_248
.LBB368_307:
	v_sub_u32_e32 v26, v19, v8
	v_mov_b32_e32 v27, 0
	v_lshlrev_b64 v[26:27], 3, v[26:27]
	v_add_co_u32_e32 v26, vcc, v6, v26
	v_addc_co_u32_e32 v27, vcc, v7, v27, vcc
	global_store_dwordx2 v[26:27], v[51:52], off
	s_or_b64 exec, exec, s[42:43]
	s_and_saveexec_b64 s[42:43], s[16:17]
	s_cbranch_execz .LBB368_249
.LBB368_308:
	v_sub_u32_e32 v26, v18, v8
	v_mov_b32_e32 v27, 0
	v_lshlrev_b64 v[26:27], 3, v[26:27]
	v_add_co_u32_e32 v26, vcc, v6, v26
	v_addc_co_u32_e32 v27, vcc, v7, v27, vcc
	global_store_dwordx2 v[26:27], v[53:54], off
	s_or_b64 exec, exec, s[42:43]
	s_and_saveexec_b64 s[42:43], s[14:15]
	s_cbranch_execz .LBB368_250
.LBB368_309:
	v_sub_u32_e32 v26, v17, v8
	v_mov_b32_e32 v27, 0
	v_lshlrev_b64 v[26:27], 3, v[26:27]
	v_add_co_u32_e32 v26, vcc, v6, v26
	v_addc_co_u32_e32 v27, vcc, v7, v27, vcc
	global_store_dwordx2 v[26:27], v[55:56], off
	s_or_b64 exec, exec, s[42:43]
	s_and_saveexec_b64 s[42:43], s[12:13]
	s_cbranch_execz .LBB368_251
.LBB368_310:
	v_sub_u32_e32 v26, v16, v8
	v_mov_b32_e32 v27, 0
	v_lshlrev_b64 v[26:27], 3, v[26:27]
	v_add_co_u32_e32 v26, vcc, v6, v26
	v_addc_co_u32_e32 v27, vcc, v7, v27, vcc
	global_store_dwordx2 v[26:27], v[57:58], off
	s_or_b64 exec, exec, s[42:43]
	s_and_saveexec_b64 s[42:43], s[8:9]
	s_cbranch_execz .LBB368_252
.LBB368_311:
	v_sub_u32_e32 v26, v15, v8
	v_mov_b32_e32 v27, 0
	v_lshlrev_b64 v[26:27], 3, v[26:27]
	v_add_co_u32_e32 v26, vcc, v6, v26
	v_addc_co_u32_e32 v27, vcc, v7, v27, vcc
	global_store_dwordx2 v[26:27], v[59:60], off
	s_or_b64 exec, exec, s[42:43]
	s_and_saveexec_b64 s[42:43], s[10:11]
	s_cbranch_execz .LBB368_253
.LBB368_312:
	v_sub_u32_e32 v26, v14, v8
	v_mov_b32_e32 v27, 0
	v_lshlrev_b64 v[26:27], 3, v[26:27]
	v_add_co_u32_e32 v26, vcc, v6, v26
	v_addc_co_u32_e32 v27, vcc, v7, v27, vcc
	global_store_dwordx2 v[26:27], v[61:62], off
	s_or_b64 exec, exec, s[42:43]
	s_and_saveexec_b64 s[42:43], s[6:7]
	s_cbranch_execnz .LBB368_254
	s_branch .LBB368_255
.LBB368_313:
	v_sub_u32_e32 v9, v34, v8
	v_lshlrev_b32_e32 v9, 3, v9
	ds_write_b64 v9, v[63:64]
	s_or_b64 exec, exec, s[42:43]
	s_and_saveexec_b64 s[34:35], s[30:31]
	s_cbranch_execz .LBB368_259
.LBB368_314:
	v_sub_u32_e32 v9, v25, v8
	v_lshlrev_b32_e32 v9, 3, v9
	ds_write_b64 v9, v[39:40]
	s_or_b64 exec, exec, s[34:35]
	s_and_saveexec_b64 s[30:31], s[28:29]
	s_cbranch_execz .LBB368_260
.LBB368_315:
	v_sub_u32_e32 v9, v24, v8
	v_lshlrev_b32_e32 v9, 3, v9
	ds_write_b64 v9, v[41:42]
	s_or_b64 exec, exec, s[30:31]
	s_and_saveexec_b64 s[28:29], s[26:27]
	s_cbranch_execz .LBB368_261
.LBB368_316:
	v_sub_u32_e32 v9, v23, v8
	v_lshlrev_b32_e32 v9, 3, v9
	ds_write_b64 v9, v[43:44]
	s_or_b64 exec, exec, s[28:29]
	s_and_saveexec_b64 s[26:27], s[24:25]
	s_cbranch_execz .LBB368_262
.LBB368_317:
	v_sub_u32_e32 v9, v22, v8
	v_lshlrev_b32_e32 v9, 3, v9
	ds_write_b64 v9, v[45:46]
	s_or_b64 exec, exec, s[26:27]
	s_and_saveexec_b64 s[24:25], s[22:23]
	s_cbranch_execz .LBB368_263
.LBB368_318:
	v_sub_u32_e32 v9, v21, v8
	v_lshlrev_b32_e32 v9, 3, v9
	ds_write_b64 v9, v[47:48]
	s_or_b64 exec, exec, s[24:25]
	s_and_saveexec_b64 s[22:23], s[20:21]
	s_cbranch_execz .LBB368_264
.LBB368_319:
	v_sub_u32_e32 v9, v20, v8
	v_lshlrev_b32_e32 v9, 3, v9
	ds_write_b64 v9, v[49:50]
	s_or_b64 exec, exec, s[22:23]
	s_and_saveexec_b64 s[20:21], s[18:19]
	s_cbranch_execz .LBB368_265
.LBB368_320:
	v_sub_u32_e32 v9, v19, v8
	v_lshlrev_b32_e32 v9, 3, v9
	ds_write_b64 v9, v[51:52]
	s_or_b64 exec, exec, s[20:21]
	s_and_saveexec_b64 s[18:19], s[16:17]
	s_cbranch_execz .LBB368_266
.LBB368_321:
	v_sub_u32_e32 v9, v18, v8
	v_lshlrev_b32_e32 v9, 3, v9
	ds_write_b64 v9, v[53:54]
	s_or_b64 exec, exec, s[18:19]
	s_and_saveexec_b64 s[16:17], s[14:15]
	s_cbranch_execz .LBB368_267
.LBB368_322:
	v_sub_u32_e32 v9, v17, v8
	v_lshlrev_b32_e32 v9, 3, v9
	ds_write_b64 v9, v[55:56]
	s_or_b64 exec, exec, s[16:17]
	s_and_saveexec_b64 s[14:15], s[12:13]
	s_cbranch_execz .LBB368_268
.LBB368_323:
	v_sub_u32_e32 v9, v16, v8
	v_lshlrev_b32_e32 v9, 3, v9
	ds_write_b64 v9, v[57:58]
	s_or_b64 exec, exec, s[14:15]
	s_and_saveexec_b64 s[12:13], s[8:9]
	s_cbranch_execz .LBB368_269
.LBB368_324:
	v_sub_u32_e32 v9, v15, v8
	v_lshlrev_b32_e32 v9, 3, v9
	ds_write_b64 v9, v[59:60]
	s_or_b64 exec, exec, s[12:13]
	s_and_saveexec_b64 s[8:9], s[10:11]
	s_cbranch_execz .LBB368_270
.LBB368_325:
	v_sub_u32_e32 v9, v14, v8
	v_lshlrev_b32_e32 v9, 3, v9
	ds_write_b64 v9, v[61:62]
	s_or_b64 exec, exec, s[8:9]
	s_and_saveexec_b64 s[8:9], s[6:7]
	s_cbranch_execnz .LBB368_271
	s_branch .LBB368_272
	.section	.rodata,"a",@progbits
	.p2align	6, 0x0
	.amdhsa_kernel _ZN7rocprim17ROCPRIM_400000_NS6detail17trampoline_kernelINS0_14default_configENS1_29reduce_by_key_config_selectorIhlN6thrust23THRUST_200600_302600_NS4plusIlEEEEZZNS1_33reduce_by_key_impl_wrapped_configILNS1_25lookback_scan_determinismE0ES3_S9_PhNS6_17constant_iteratorIiNS6_11use_defaultESE_EENS6_10device_ptrIhEENSG_IlEEPmS8_NS6_8equal_toIhEEEE10hipError_tPvRmT2_T3_mT4_T5_T6_T7_T8_P12ihipStream_tbENKUlT_T0_E_clISt17integral_constantIbLb0EES13_EEDaSY_SZ_EUlSY_E_NS1_11comp_targetILNS1_3genE2ELNS1_11target_archE906ELNS1_3gpuE6ELNS1_3repE0EEENS1_30default_config_static_selectorELNS0_4arch9wavefront6targetE1EEEvT1_
		.amdhsa_group_segment_fixed_size 30720
		.amdhsa_private_segment_fixed_size 64
		.amdhsa_kernarg_size 144
		.amdhsa_user_sgpr_count 6
		.amdhsa_user_sgpr_private_segment_buffer 1
		.amdhsa_user_sgpr_dispatch_ptr 0
		.amdhsa_user_sgpr_queue_ptr 0
		.amdhsa_user_sgpr_kernarg_segment_ptr 1
		.amdhsa_user_sgpr_dispatch_id 0
		.amdhsa_user_sgpr_flat_scratch_init 0
		.amdhsa_user_sgpr_private_segment_size 0
		.amdhsa_uses_dynamic_stack 0
		.amdhsa_system_sgpr_private_segment_wavefront_offset 1
		.amdhsa_system_sgpr_workgroup_id_x 1
		.amdhsa_system_sgpr_workgroup_id_y 0
		.amdhsa_system_sgpr_workgroup_id_z 0
		.amdhsa_system_sgpr_workgroup_info 0
		.amdhsa_system_vgpr_workitem_id 0
		.amdhsa_next_free_vgpr 115
		.amdhsa_next_free_sgpr 98
		.amdhsa_reserve_vcc 1
		.amdhsa_reserve_flat_scratch 0
		.amdhsa_float_round_mode_32 0
		.amdhsa_float_round_mode_16_64 0
		.amdhsa_float_denorm_mode_32 3
		.amdhsa_float_denorm_mode_16_64 3
		.amdhsa_dx10_clamp 1
		.amdhsa_ieee_mode 1
		.amdhsa_fp16_overflow 0
		.amdhsa_exception_fp_ieee_invalid_op 0
		.amdhsa_exception_fp_denorm_src 0
		.amdhsa_exception_fp_ieee_div_zero 0
		.amdhsa_exception_fp_ieee_overflow 0
		.amdhsa_exception_fp_ieee_underflow 0
		.amdhsa_exception_fp_ieee_inexact 0
		.amdhsa_exception_int_div_zero 0
	.end_amdhsa_kernel
	.section	.text._ZN7rocprim17ROCPRIM_400000_NS6detail17trampoline_kernelINS0_14default_configENS1_29reduce_by_key_config_selectorIhlN6thrust23THRUST_200600_302600_NS4plusIlEEEEZZNS1_33reduce_by_key_impl_wrapped_configILNS1_25lookback_scan_determinismE0ES3_S9_PhNS6_17constant_iteratorIiNS6_11use_defaultESE_EENS6_10device_ptrIhEENSG_IlEEPmS8_NS6_8equal_toIhEEEE10hipError_tPvRmT2_T3_mT4_T5_T6_T7_T8_P12ihipStream_tbENKUlT_T0_E_clISt17integral_constantIbLb0EES13_EEDaSY_SZ_EUlSY_E_NS1_11comp_targetILNS1_3genE2ELNS1_11target_archE906ELNS1_3gpuE6ELNS1_3repE0EEENS1_30default_config_static_selectorELNS0_4arch9wavefront6targetE1EEEvT1_,"axG",@progbits,_ZN7rocprim17ROCPRIM_400000_NS6detail17trampoline_kernelINS0_14default_configENS1_29reduce_by_key_config_selectorIhlN6thrust23THRUST_200600_302600_NS4plusIlEEEEZZNS1_33reduce_by_key_impl_wrapped_configILNS1_25lookback_scan_determinismE0ES3_S9_PhNS6_17constant_iteratorIiNS6_11use_defaultESE_EENS6_10device_ptrIhEENSG_IlEEPmS8_NS6_8equal_toIhEEEE10hipError_tPvRmT2_T3_mT4_T5_T6_T7_T8_P12ihipStream_tbENKUlT_T0_E_clISt17integral_constantIbLb0EES13_EEDaSY_SZ_EUlSY_E_NS1_11comp_targetILNS1_3genE2ELNS1_11target_archE906ELNS1_3gpuE6ELNS1_3repE0EEENS1_30default_config_static_selectorELNS0_4arch9wavefront6targetE1EEEvT1_,comdat
.Lfunc_end368:
	.size	_ZN7rocprim17ROCPRIM_400000_NS6detail17trampoline_kernelINS0_14default_configENS1_29reduce_by_key_config_selectorIhlN6thrust23THRUST_200600_302600_NS4plusIlEEEEZZNS1_33reduce_by_key_impl_wrapped_configILNS1_25lookback_scan_determinismE0ES3_S9_PhNS6_17constant_iteratorIiNS6_11use_defaultESE_EENS6_10device_ptrIhEENSG_IlEEPmS8_NS6_8equal_toIhEEEE10hipError_tPvRmT2_T3_mT4_T5_T6_T7_T8_P12ihipStream_tbENKUlT_T0_E_clISt17integral_constantIbLb0EES13_EEDaSY_SZ_EUlSY_E_NS1_11comp_targetILNS1_3genE2ELNS1_11target_archE906ELNS1_3gpuE6ELNS1_3repE0EEENS1_30default_config_static_selectorELNS0_4arch9wavefront6targetE1EEEvT1_, .Lfunc_end368-_ZN7rocprim17ROCPRIM_400000_NS6detail17trampoline_kernelINS0_14default_configENS1_29reduce_by_key_config_selectorIhlN6thrust23THRUST_200600_302600_NS4plusIlEEEEZZNS1_33reduce_by_key_impl_wrapped_configILNS1_25lookback_scan_determinismE0ES3_S9_PhNS6_17constant_iteratorIiNS6_11use_defaultESE_EENS6_10device_ptrIhEENSG_IlEEPmS8_NS6_8equal_toIhEEEE10hipError_tPvRmT2_T3_mT4_T5_T6_T7_T8_P12ihipStream_tbENKUlT_T0_E_clISt17integral_constantIbLb0EES13_EEDaSY_SZ_EUlSY_E_NS1_11comp_targetILNS1_3genE2ELNS1_11target_archE906ELNS1_3gpuE6ELNS1_3repE0EEENS1_30default_config_static_selectorELNS0_4arch9wavefront6targetE1EEEvT1_
                                        ; -- End function
	.set _ZN7rocprim17ROCPRIM_400000_NS6detail17trampoline_kernelINS0_14default_configENS1_29reduce_by_key_config_selectorIhlN6thrust23THRUST_200600_302600_NS4plusIlEEEEZZNS1_33reduce_by_key_impl_wrapped_configILNS1_25lookback_scan_determinismE0ES3_S9_PhNS6_17constant_iteratorIiNS6_11use_defaultESE_EENS6_10device_ptrIhEENSG_IlEEPmS8_NS6_8equal_toIhEEEE10hipError_tPvRmT2_T3_mT4_T5_T6_T7_T8_P12ihipStream_tbENKUlT_T0_E_clISt17integral_constantIbLb0EES13_EEDaSY_SZ_EUlSY_E_NS1_11comp_targetILNS1_3genE2ELNS1_11target_archE906ELNS1_3gpuE6ELNS1_3repE0EEENS1_30default_config_static_selectorELNS0_4arch9wavefront6targetE1EEEvT1_.num_vgpr, 115
	.set _ZN7rocprim17ROCPRIM_400000_NS6detail17trampoline_kernelINS0_14default_configENS1_29reduce_by_key_config_selectorIhlN6thrust23THRUST_200600_302600_NS4plusIlEEEEZZNS1_33reduce_by_key_impl_wrapped_configILNS1_25lookback_scan_determinismE0ES3_S9_PhNS6_17constant_iteratorIiNS6_11use_defaultESE_EENS6_10device_ptrIhEENSG_IlEEPmS8_NS6_8equal_toIhEEEE10hipError_tPvRmT2_T3_mT4_T5_T6_T7_T8_P12ihipStream_tbENKUlT_T0_E_clISt17integral_constantIbLb0EES13_EEDaSY_SZ_EUlSY_E_NS1_11comp_targetILNS1_3genE2ELNS1_11target_archE906ELNS1_3gpuE6ELNS1_3repE0EEENS1_30default_config_static_selectorELNS0_4arch9wavefront6targetE1EEEvT1_.num_agpr, 0
	.set _ZN7rocprim17ROCPRIM_400000_NS6detail17trampoline_kernelINS0_14default_configENS1_29reduce_by_key_config_selectorIhlN6thrust23THRUST_200600_302600_NS4plusIlEEEEZZNS1_33reduce_by_key_impl_wrapped_configILNS1_25lookback_scan_determinismE0ES3_S9_PhNS6_17constant_iteratorIiNS6_11use_defaultESE_EENS6_10device_ptrIhEENSG_IlEEPmS8_NS6_8equal_toIhEEEE10hipError_tPvRmT2_T3_mT4_T5_T6_T7_T8_P12ihipStream_tbENKUlT_T0_E_clISt17integral_constantIbLb0EES13_EEDaSY_SZ_EUlSY_E_NS1_11comp_targetILNS1_3genE2ELNS1_11target_archE906ELNS1_3gpuE6ELNS1_3repE0EEENS1_30default_config_static_selectorELNS0_4arch9wavefront6targetE1EEEvT1_.numbered_sgpr, 66
	.set _ZN7rocprim17ROCPRIM_400000_NS6detail17trampoline_kernelINS0_14default_configENS1_29reduce_by_key_config_selectorIhlN6thrust23THRUST_200600_302600_NS4plusIlEEEEZZNS1_33reduce_by_key_impl_wrapped_configILNS1_25lookback_scan_determinismE0ES3_S9_PhNS6_17constant_iteratorIiNS6_11use_defaultESE_EENS6_10device_ptrIhEENSG_IlEEPmS8_NS6_8equal_toIhEEEE10hipError_tPvRmT2_T3_mT4_T5_T6_T7_T8_P12ihipStream_tbENKUlT_T0_E_clISt17integral_constantIbLb0EES13_EEDaSY_SZ_EUlSY_E_NS1_11comp_targetILNS1_3genE2ELNS1_11target_archE906ELNS1_3gpuE6ELNS1_3repE0EEENS1_30default_config_static_selectorELNS0_4arch9wavefront6targetE1EEEvT1_.num_named_barrier, 0
	.set _ZN7rocprim17ROCPRIM_400000_NS6detail17trampoline_kernelINS0_14default_configENS1_29reduce_by_key_config_selectorIhlN6thrust23THRUST_200600_302600_NS4plusIlEEEEZZNS1_33reduce_by_key_impl_wrapped_configILNS1_25lookback_scan_determinismE0ES3_S9_PhNS6_17constant_iteratorIiNS6_11use_defaultESE_EENS6_10device_ptrIhEENSG_IlEEPmS8_NS6_8equal_toIhEEEE10hipError_tPvRmT2_T3_mT4_T5_T6_T7_T8_P12ihipStream_tbENKUlT_T0_E_clISt17integral_constantIbLb0EES13_EEDaSY_SZ_EUlSY_E_NS1_11comp_targetILNS1_3genE2ELNS1_11target_archE906ELNS1_3gpuE6ELNS1_3repE0EEENS1_30default_config_static_selectorELNS0_4arch9wavefront6targetE1EEEvT1_.private_seg_size, 64
	.set _ZN7rocprim17ROCPRIM_400000_NS6detail17trampoline_kernelINS0_14default_configENS1_29reduce_by_key_config_selectorIhlN6thrust23THRUST_200600_302600_NS4plusIlEEEEZZNS1_33reduce_by_key_impl_wrapped_configILNS1_25lookback_scan_determinismE0ES3_S9_PhNS6_17constant_iteratorIiNS6_11use_defaultESE_EENS6_10device_ptrIhEENSG_IlEEPmS8_NS6_8equal_toIhEEEE10hipError_tPvRmT2_T3_mT4_T5_T6_T7_T8_P12ihipStream_tbENKUlT_T0_E_clISt17integral_constantIbLb0EES13_EEDaSY_SZ_EUlSY_E_NS1_11comp_targetILNS1_3genE2ELNS1_11target_archE906ELNS1_3gpuE6ELNS1_3repE0EEENS1_30default_config_static_selectorELNS0_4arch9wavefront6targetE1EEEvT1_.uses_vcc, 1
	.set _ZN7rocprim17ROCPRIM_400000_NS6detail17trampoline_kernelINS0_14default_configENS1_29reduce_by_key_config_selectorIhlN6thrust23THRUST_200600_302600_NS4plusIlEEEEZZNS1_33reduce_by_key_impl_wrapped_configILNS1_25lookback_scan_determinismE0ES3_S9_PhNS6_17constant_iteratorIiNS6_11use_defaultESE_EENS6_10device_ptrIhEENSG_IlEEPmS8_NS6_8equal_toIhEEEE10hipError_tPvRmT2_T3_mT4_T5_T6_T7_T8_P12ihipStream_tbENKUlT_T0_E_clISt17integral_constantIbLb0EES13_EEDaSY_SZ_EUlSY_E_NS1_11comp_targetILNS1_3genE2ELNS1_11target_archE906ELNS1_3gpuE6ELNS1_3repE0EEENS1_30default_config_static_selectorELNS0_4arch9wavefront6targetE1EEEvT1_.uses_flat_scratch, 0
	.set _ZN7rocprim17ROCPRIM_400000_NS6detail17trampoline_kernelINS0_14default_configENS1_29reduce_by_key_config_selectorIhlN6thrust23THRUST_200600_302600_NS4plusIlEEEEZZNS1_33reduce_by_key_impl_wrapped_configILNS1_25lookback_scan_determinismE0ES3_S9_PhNS6_17constant_iteratorIiNS6_11use_defaultESE_EENS6_10device_ptrIhEENSG_IlEEPmS8_NS6_8equal_toIhEEEE10hipError_tPvRmT2_T3_mT4_T5_T6_T7_T8_P12ihipStream_tbENKUlT_T0_E_clISt17integral_constantIbLb0EES13_EEDaSY_SZ_EUlSY_E_NS1_11comp_targetILNS1_3genE2ELNS1_11target_archE906ELNS1_3gpuE6ELNS1_3repE0EEENS1_30default_config_static_selectorELNS0_4arch9wavefront6targetE1EEEvT1_.has_dyn_sized_stack, 0
	.set _ZN7rocprim17ROCPRIM_400000_NS6detail17trampoline_kernelINS0_14default_configENS1_29reduce_by_key_config_selectorIhlN6thrust23THRUST_200600_302600_NS4plusIlEEEEZZNS1_33reduce_by_key_impl_wrapped_configILNS1_25lookback_scan_determinismE0ES3_S9_PhNS6_17constant_iteratorIiNS6_11use_defaultESE_EENS6_10device_ptrIhEENSG_IlEEPmS8_NS6_8equal_toIhEEEE10hipError_tPvRmT2_T3_mT4_T5_T6_T7_T8_P12ihipStream_tbENKUlT_T0_E_clISt17integral_constantIbLb0EES13_EEDaSY_SZ_EUlSY_E_NS1_11comp_targetILNS1_3genE2ELNS1_11target_archE906ELNS1_3gpuE6ELNS1_3repE0EEENS1_30default_config_static_selectorELNS0_4arch9wavefront6targetE1EEEvT1_.has_recursion, 0
	.set _ZN7rocprim17ROCPRIM_400000_NS6detail17trampoline_kernelINS0_14default_configENS1_29reduce_by_key_config_selectorIhlN6thrust23THRUST_200600_302600_NS4plusIlEEEEZZNS1_33reduce_by_key_impl_wrapped_configILNS1_25lookback_scan_determinismE0ES3_S9_PhNS6_17constant_iteratorIiNS6_11use_defaultESE_EENS6_10device_ptrIhEENSG_IlEEPmS8_NS6_8equal_toIhEEEE10hipError_tPvRmT2_T3_mT4_T5_T6_T7_T8_P12ihipStream_tbENKUlT_T0_E_clISt17integral_constantIbLb0EES13_EEDaSY_SZ_EUlSY_E_NS1_11comp_targetILNS1_3genE2ELNS1_11target_archE906ELNS1_3gpuE6ELNS1_3repE0EEENS1_30default_config_static_selectorELNS0_4arch9wavefront6targetE1EEEvT1_.has_indirect_call, 0
	.section	.AMDGPU.csdata,"",@progbits
; Kernel info:
; codeLenInByte = 16936
; TotalNumSgprs: 70
; NumVgprs: 115
; ScratchSize: 64
; MemoryBound: 0
; FloatMode: 240
; IeeeMode: 1
; LDSByteSize: 30720 bytes/workgroup (compile time only)
; SGPRBlocks: 12
; VGPRBlocks: 28
; NumSGPRsForWavesPerEU: 102
; NumVGPRsForWavesPerEU: 115
; Occupancy: 2
; WaveLimiterHint : 1
; COMPUTE_PGM_RSRC2:SCRATCH_EN: 1
; COMPUTE_PGM_RSRC2:USER_SGPR: 6
; COMPUTE_PGM_RSRC2:TRAP_HANDLER: 0
; COMPUTE_PGM_RSRC2:TGID_X_EN: 1
; COMPUTE_PGM_RSRC2:TGID_Y_EN: 0
; COMPUTE_PGM_RSRC2:TGID_Z_EN: 0
; COMPUTE_PGM_RSRC2:TIDIG_COMP_CNT: 0
	.section	.text._ZN7rocprim17ROCPRIM_400000_NS6detail17trampoline_kernelINS0_14default_configENS1_29reduce_by_key_config_selectorIhlN6thrust23THRUST_200600_302600_NS4plusIlEEEEZZNS1_33reduce_by_key_impl_wrapped_configILNS1_25lookback_scan_determinismE0ES3_S9_PhNS6_17constant_iteratorIiNS6_11use_defaultESE_EENS6_10device_ptrIhEENSG_IlEEPmS8_NS6_8equal_toIhEEEE10hipError_tPvRmT2_T3_mT4_T5_T6_T7_T8_P12ihipStream_tbENKUlT_T0_E_clISt17integral_constantIbLb0EES13_EEDaSY_SZ_EUlSY_E_NS1_11comp_targetILNS1_3genE10ELNS1_11target_archE1201ELNS1_3gpuE5ELNS1_3repE0EEENS1_30default_config_static_selectorELNS0_4arch9wavefront6targetE1EEEvT1_,"axG",@progbits,_ZN7rocprim17ROCPRIM_400000_NS6detail17trampoline_kernelINS0_14default_configENS1_29reduce_by_key_config_selectorIhlN6thrust23THRUST_200600_302600_NS4plusIlEEEEZZNS1_33reduce_by_key_impl_wrapped_configILNS1_25lookback_scan_determinismE0ES3_S9_PhNS6_17constant_iteratorIiNS6_11use_defaultESE_EENS6_10device_ptrIhEENSG_IlEEPmS8_NS6_8equal_toIhEEEE10hipError_tPvRmT2_T3_mT4_T5_T6_T7_T8_P12ihipStream_tbENKUlT_T0_E_clISt17integral_constantIbLb0EES13_EEDaSY_SZ_EUlSY_E_NS1_11comp_targetILNS1_3genE10ELNS1_11target_archE1201ELNS1_3gpuE5ELNS1_3repE0EEENS1_30default_config_static_selectorELNS0_4arch9wavefront6targetE1EEEvT1_,comdat
	.protected	_ZN7rocprim17ROCPRIM_400000_NS6detail17trampoline_kernelINS0_14default_configENS1_29reduce_by_key_config_selectorIhlN6thrust23THRUST_200600_302600_NS4plusIlEEEEZZNS1_33reduce_by_key_impl_wrapped_configILNS1_25lookback_scan_determinismE0ES3_S9_PhNS6_17constant_iteratorIiNS6_11use_defaultESE_EENS6_10device_ptrIhEENSG_IlEEPmS8_NS6_8equal_toIhEEEE10hipError_tPvRmT2_T3_mT4_T5_T6_T7_T8_P12ihipStream_tbENKUlT_T0_E_clISt17integral_constantIbLb0EES13_EEDaSY_SZ_EUlSY_E_NS1_11comp_targetILNS1_3genE10ELNS1_11target_archE1201ELNS1_3gpuE5ELNS1_3repE0EEENS1_30default_config_static_selectorELNS0_4arch9wavefront6targetE1EEEvT1_ ; -- Begin function _ZN7rocprim17ROCPRIM_400000_NS6detail17trampoline_kernelINS0_14default_configENS1_29reduce_by_key_config_selectorIhlN6thrust23THRUST_200600_302600_NS4plusIlEEEEZZNS1_33reduce_by_key_impl_wrapped_configILNS1_25lookback_scan_determinismE0ES3_S9_PhNS6_17constant_iteratorIiNS6_11use_defaultESE_EENS6_10device_ptrIhEENSG_IlEEPmS8_NS6_8equal_toIhEEEE10hipError_tPvRmT2_T3_mT4_T5_T6_T7_T8_P12ihipStream_tbENKUlT_T0_E_clISt17integral_constantIbLb0EES13_EEDaSY_SZ_EUlSY_E_NS1_11comp_targetILNS1_3genE10ELNS1_11target_archE1201ELNS1_3gpuE5ELNS1_3repE0EEENS1_30default_config_static_selectorELNS0_4arch9wavefront6targetE1EEEvT1_
	.globl	_ZN7rocprim17ROCPRIM_400000_NS6detail17trampoline_kernelINS0_14default_configENS1_29reduce_by_key_config_selectorIhlN6thrust23THRUST_200600_302600_NS4plusIlEEEEZZNS1_33reduce_by_key_impl_wrapped_configILNS1_25lookback_scan_determinismE0ES3_S9_PhNS6_17constant_iteratorIiNS6_11use_defaultESE_EENS6_10device_ptrIhEENSG_IlEEPmS8_NS6_8equal_toIhEEEE10hipError_tPvRmT2_T3_mT4_T5_T6_T7_T8_P12ihipStream_tbENKUlT_T0_E_clISt17integral_constantIbLb0EES13_EEDaSY_SZ_EUlSY_E_NS1_11comp_targetILNS1_3genE10ELNS1_11target_archE1201ELNS1_3gpuE5ELNS1_3repE0EEENS1_30default_config_static_selectorELNS0_4arch9wavefront6targetE1EEEvT1_
	.p2align	8
	.type	_ZN7rocprim17ROCPRIM_400000_NS6detail17trampoline_kernelINS0_14default_configENS1_29reduce_by_key_config_selectorIhlN6thrust23THRUST_200600_302600_NS4plusIlEEEEZZNS1_33reduce_by_key_impl_wrapped_configILNS1_25lookback_scan_determinismE0ES3_S9_PhNS6_17constant_iteratorIiNS6_11use_defaultESE_EENS6_10device_ptrIhEENSG_IlEEPmS8_NS6_8equal_toIhEEEE10hipError_tPvRmT2_T3_mT4_T5_T6_T7_T8_P12ihipStream_tbENKUlT_T0_E_clISt17integral_constantIbLb0EES13_EEDaSY_SZ_EUlSY_E_NS1_11comp_targetILNS1_3genE10ELNS1_11target_archE1201ELNS1_3gpuE5ELNS1_3repE0EEENS1_30default_config_static_selectorELNS0_4arch9wavefront6targetE1EEEvT1_,@function
_ZN7rocprim17ROCPRIM_400000_NS6detail17trampoline_kernelINS0_14default_configENS1_29reduce_by_key_config_selectorIhlN6thrust23THRUST_200600_302600_NS4plusIlEEEEZZNS1_33reduce_by_key_impl_wrapped_configILNS1_25lookback_scan_determinismE0ES3_S9_PhNS6_17constant_iteratorIiNS6_11use_defaultESE_EENS6_10device_ptrIhEENSG_IlEEPmS8_NS6_8equal_toIhEEEE10hipError_tPvRmT2_T3_mT4_T5_T6_T7_T8_P12ihipStream_tbENKUlT_T0_E_clISt17integral_constantIbLb0EES13_EEDaSY_SZ_EUlSY_E_NS1_11comp_targetILNS1_3genE10ELNS1_11target_archE1201ELNS1_3gpuE5ELNS1_3repE0EEENS1_30default_config_static_selectorELNS0_4arch9wavefront6targetE1EEEvT1_: ; @_ZN7rocprim17ROCPRIM_400000_NS6detail17trampoline_kernelINS0_14default_configENS1_29reduce_by_key_config_selectorIhlN6thrust23THRUST_200600_302600_NS4plusIlEEEEZZNS1_33reduce_by_key_impl_wrapped_configILNS1_25lookback_scan_determinismE0ES3_S9_PhNS6_17constant_iteratorIiNS6_11use_defaultESE_EENS6_10device_ptrIhEENSG_IlEEPmS8_NS6_8equal_toIhEEEE10hipError_tPvRmT2_T3_mT4_T5_T6_T7_T8_P12ihipStream_tbENKUlT_T0_E_clISt17integral_constantIbLb0EES13_EEDaSY_SZ_EUlSY_E_NS1_11comp_targetILNS1_3genE10ELNS1_11target_archE1201ELNS1_3gpuE5ELNS1_3repE0EEENS1_30default_config_static_selectorELNS0_4arch9wavefront6targetE1EEEvT1_
; %bb.0:
	.section	.rodata,"a",@progbits
	.p2align	6, 0x0
	.amdhsa_kernel _ZN7rocprim17ROCPRIM_400000_NS6detail17trampoline_kernelINS0_14default_configENS1_29reduce_by_key_config_selectorIhlN6thrust23THRUST_200600_302600_NS4plusIlEEEEZZNS1_33reduce_by_key_impl_wrapped_configILNS1_25lookback_scan_determinismE0ES3_S9_PhNS6_17constant_iteratorIiNS6_11use_defaultESE_EENS6_10device_ptrIhEENSG_IlEEPmS8_NS6_8equal_toIhEEEE10hipError_tPvRmT2_T3_mT4_T5_T6_T7_T8_P12ihipStream_tbENKUlT_T0_E_clISt17integral_constantIbLb0EES13_EEDaSY_SZ_EUlSY_E_NS1_11comp_targetILNS1_3genE10ELNS1_11target_archE1201ELNS1_3gpuE5ELNS1_3repE0EEENS1_30default_config_static_selectorELNS0_4arch9wavefront6targetE1EEEvT1_
		.amdhsa_group_segment_fixed_size 0
		.amdhsa_private_segment_fixed_size 0
		.amdhsa_kernarg_size 144
		.amdhsa_user_sgpr_count 6
		.amdhsa_user_sgpr_private_segment_buffer 1
		.amdhsa_user_sgpr_dispatch_ptr 0
		.amdhsa_user_sgpr_queue_ptr 0
		.amdhsa_user_sgpr_kernarg_segment_ptr 1
		.amdhsa_user_sgpr_dispatch_id 0
		.amdhsa_user_sgpr_flat_scratch_init 0
		.amdhsa_user_sgpr_private_segment_size 0
		.amdhsa_uses_dynamic_stack 0
		.amdhsa_system_sgpr_private_segment_wavefront_offset 0
		.amdhsa_system_sgpr_workgroup_id_x 1
		.amdhsa_system_sgpr_workgroup_id_y 0
		.amdhsa_system_sgpr_workgroup_id_z 0
		.amdhsa_system_sgpr_workgroup_info 0
		.amdhsa_system_vgpr_workitem_id 0
		.amdhsa_next_free_vgpr 1
		.amdhsa_next_free_sgpr 0
		.amdhsa_reserve_vcc 0
		.amdhsa_reserve_flat_scratch 0
		.amdhsa_float_round_mode_32 0
		.amdhsa_float_round_mode_16_64 0
		.amdhsa_float_denorm_mode_32 3
		.amdhsa_float_denorm_mode_16_64 3
		.amdhsa_dx10_clamp 1
		.amdhsa_ieee_mode 1
		.amdhsa_fp16_overflow 0
		.amdhsa_exception_fp_ieee_invalid_op 0
		.amdhsa_exception_fp_denorm_src 0
		.amdhsa_exception_fp_ieee_div_zero 0
		.amdhsa_exception_fp_ieee_overflow 0
		.amdhsa_exception_fp_ieee_underflow 0
		.amdhsa_exception_fp_ieee_inexact 0
		.amdhsa_exception_int_div_zero 0
	.end_amdhsa_kernel
	.section	.text._ZN7rocprim17ROCPRIM_400000_NS6detail17trampoline_kernelINS0_14default_configENS1_29reduce_by_key_config_selectorIhlN6thrust23THRUST_200600_302600_NS4plusIlEEEEZZNS1_33reduce_by_key_impl_wrapped_configILNS1_25lookback_scan_determinismE0ES3_S9_PhNS6_17constant_iteratorIiNS6_11use_defaultESE_EENS6_10device_ptrIhEENSG_IlEEPmS8_NS6_8equal_toIhEEEE10hipError_tPvRmT2_T3_mT4_T5_T6_T7_T8_P12ihipStream_tbENKUlT_T0_E_clISt17integral_constantIbLb0EES13_EEDaSY_SZ_EUlSY_E_NS1_11comp_targetILNS1_3genE10ELNS1_11target_archE1201ELNS1_3gpuE5ELNS1_3repE0EEENS1_30default_config_static_selectorELNS0_4arch9wavefront6targetE1EEEvT1_,"axG",@progbits,_ZN7rocprim17ROCPRIM_400000_NS6detail17trampoline_kernelINS0_14default_configENS1_29reduce_by_key_config_selectorIhlN6thrust23THRUST_200600_302600_NS4plusIlEEEEZZNS1_33reduce_by_key_impl_wrapped_configILNS1_25lookback_scan_determinismE0ES3_S9_PhNS6_17constant_iteratorIiNS6_11use_defaultESE_EENS6_10device_ptrIhEENSG_IlEEPmS8_NS6_8equal_toIhEEEE10hipError_tPvRmT2_T3_mT4_T5_T6_T7_T8_P12ihipStream_tbENKUlT_T0_E_clISt17integral_constantIbLb0EES13_EEDaSY_SZ_EUlSY_E_NS1_11comp_targetILNS1_3genE10ELNS1_11target_archE1201ELNS1_3gpuE5ELNS1_3repE0EEENS1_30default_config_static_selectorELNS0_4arch9wavefront6targetE1EEEvT1_,comdat
.Lfunc_end369:
	.size	_ZN7rocprim17ROCPRIM_400000_NS6detail17trampoline_kernelINS0_14default_configENS1_29reduce_by_key_config_selectorIhlN6thrust23THRUST_200600_302600_NS4plusIlEEEEZZNS1_33reduce_by_key_impl_wrapped_configILNS1_25lookback_scan_determinismE0ES3_S9_PhNS6_17constant_iteratorIiNS6_11use_defaultESE_EENS6_10device_ptrIhEENSG_IlEEPmS8_NS6_8equal_toIhEEEE10hipError_tPvRmT2_T3_mT4_T5_T6_T7_T8_P12ihipStream_tbENKUlT_T0_E_clISt17integral_constantIbLb0EES13_EEDaSY_SZ_EUlSY_E_NS1_11comp_targetILNS1_3genE10ELNS1_11target_archE1201ELNS1_3gpuE5ELNS1_3repE0EEENS1_30default_config_static_selectorELNS0_4arch9wavefront6targetE1EEEvT1_, .Lfunc_end369-_ZN7rocprim17ROCPRIM_400000_NS6detail17trampoline_kernelINS0_14default_configENS1_29reduce_by_key_config_selectorIhlN6thrust23THRUST_200600_302600_NS4plusIlEEEEZZNS1_33reduce_by_key_impl_wrapped_configILNS1_25lookback_scan_determinismE0ES3_S9_PhNS6_17constant_iteratorIiNS6_11use_defaultESE_EENS6_10device_ptrIhEENSG_IlEEPmS8_NS6_8equal_toIhEEEE10hipError_tPvRmT2_T3_mT4_T5_T6_T7_T8_P12ihipStream_tbENKUlT_T0_E_clISt17integral_constantIbLb0EES13_EEDaSY_SZ_EUlSY_E_NS1_11comp_targetILNS1_3genE10ELNS1_11target_archE1201ELNS1_3gpuE5ELNS1_3repE0EEENS1_30default_config_static_selectorELNS0_4arch9wavefront6targetE1EEEvT1_
                                        ; -- End function
	.set _ZN7rocprim17ROCPRIM_400000_NS6detail17trampoline_kernelINS0_14default_configENS1_29reduce_by_key_config_selectorIhlN6thrust23THRUST_200600_302600_NS4plusIlEEEEZZNS1_33reduce_by_key_impl_wrapped_configILNS1_25lookback_scan_determinismE0ES3_S9_PhNS6_17constant_iteratorIiNS6_11use_defaultESE_EENS6_10device_ptrIhEENSG_IlEEPmS8_NS6_8equal_toIhEEEE10hipError_tPvRmT2_T3_mT4_T5_T6_T7_T8_P12ihipStream_tbENKUlT_T0_E_clISt17integral_constantIbLb0EES13_EEDaSY_SZ_EUlSY_E_NS1_11comp_targetILNS1_3genE10ELNS1_11target_archE1201ELNS1_3gpuE5ELNS1_3repE0EEENS1_30default_config_static_selectorELNS0_4arch9wavefront6targetE1EEEvT1_.num_vgpr, 0
	.set _ZN7rocprim17ROCPRIM_400000_NS6detail17trampoline_kernelINS0_14default_configENS1_29reduce_by_key_config_selectorIhlN6thrust23THRUST_200600_302600_NS4plusIlEEEEZZNS1_33reduce_by_key_impl_wrapped_configILNS1_25lookback_scan_determinismE0ES3_S9_PhNS6_17constant_iteratorIiNS6_11use_defaultESE_EENS6_10device_ptrIhEENSG_IlEEPmS8_NS6_8equal_toIhEEEE10hipError_tPvRmT2_T3_mT4_T5_T6_T7_T8_P12ihipStream_tbENKUlT_T0_E_clISt17integral_constantIbLb0EES13_EEDaSY_SZ_EUlSY_E_NS1_11comp_targetILNS1_3genE10ELNS1_11target_archE1201ELNS1_3gpuE5ELNS1_3repE0EEENS1_30default_config_static_selectorELNS0_4arch9wavefront6targetE1EEEvT1_.num_agpr, 0
	.set _ZN7rocprim17ROCPRIM_400000_NS6detail17trampoline_kernelINS0_14default_configENS1_29reduce_by_key_config_selectorIhlN6thrust23THRUST_200600_302600_NS4plusIlEEEEZZNS1_33reduce_by_key_impl_wrapped_configILNS1_25lookback_scan_determinismE0ES3_S9_PhNS6_17constant_iteratorIiNS6_11use_defaultESE_EENS6_10device_ptrIhEENSG_IlEEPmS8_NS6_8equal_toIhEEEE10hipError_tPvRmT2_T3_mT4_T5_T6_T7_T8_P12ihipStream_tbENKUlT_T0_E_clISt17integral_constantIbLb0EES13_EEDaSY_SZ_EUlSY_E_NS1_11comp_targetILNS1_3genE10ELNS1_11target_archE1201ELNS1_3gpuE5ELNS1_3repE0EEENS1_30default_config_static_selectorELNS0_4arch9wavefront6targetE1EEEvT1_.numbered_sgpr, 0
	.set _ZN7rocprim17ROCPRIM_400000_NS6detail17trampoline_kernelINS0_14default_configENS1_29reduce_by_key_config_selectorIhlN6thrust23THRUST_200600_302600_NS4plusIlEEEEZZNS1_33reduce_by_key_impl_wrapped_configILNS1_25lookback_scan_determinismE0ES3_S9_PhNS6_17constant_iteratorIiNS6_11use_defaultESE_EENS6_10device_ptrIhEENSG_IlEEPmS8_NS6_8equal_toIhEEEE10hipError_tPvRmT2_T3_mT4_T5_T6_T7_T8_P12ihipStream_tbENKUlT_T0_E_clISt17integral_constantIbLb0EES13_EEDaSY_SZ_EUlSY_E_NS1_11comp_targetILNS1_3genE10ELNS1_11target_archE1201ELNS1_3gpuE5ELNS1_3repE0EEENS1_30default_config_static_selectorELNS0_4arch9wavefront6targetE1EEEvT1_.num_named_barrier, 0
	.set _ZN7rocprim17ROCPRIM_400000_NS6detail17trampoline_kernelINS0_14default_configENS1_29reduce_by_key_config_selectorIhlN6thrust23THRUST_200600_302600_NS4plusIlEEEEZZNS1_33reduce_by_key_impl_wrapped_configILNS1_25lookback_scan_determinismE0ES3_S9_PhNS6_17constant_iteratorIiNS6_11use_defaultESE_EENS6_10device_ptrIhEENSG_IlEEPmS8_NS6_8equal_toIhEEEE10hipError_tPvRmT2_T3_mT4_T5_T6_T7_T8_P12ihipStream_tbENKUlT_T0_E_clISt17integral_constantIbLb0EES13_EEDaSY_SZ_EUlSY_E_NS1_11comp_targetILNS1_3genE10ELNS1_11target_archE1201ELNS1_3gpuE5ELNS1_3repE0EEENS1_30default_config_static_selectorELNS0_4arch9wavefront6targetE1EEEvT1_.private_seg_size, 0
	.set _ZN7rocprim17ROCPRIM_400000_NS6detail17trampoline_kernelINS0_14default_configENS1_29reduce_by_key_config_selectorIhlN6thrust23THRUST_200600_302600_NS4plusIlEEEEZZNS1_33reduce_by_key_impl_wrapped_configILNS1_25lookback_scan_determinismE0ES3_S9_PhNS6_17constant_iteratorIiNS6_11use_defaultESE_EENS6_10device_ptrIhEENSG_IlEEPmS8_NS6_8equal_toIhEEEE10hipError_tPvRmT2_T3_mT4_T5_T6_T7_T8_P12ihipStream_tbENKUlT_T0_E_clISt17integral_constantIbLb0EES13_EEDaSY_SZ_EUlSY_E_NS1_11comp_targetILNS1_3genE10ELNS1_11target_archE1201ELNS1_3gpuE5ELNS1_3repE0EEENS1_30default_config_static_selectorELNS0_4arch9wavefront6targetE1EEEvT1_.uses_vcc, 0
	.set _ZN7rocprim17ROCPRIM_400000_NS6detail17trampoline_kernelINS0_14default_configENS1_29reduce_by_key_config_selectorIhlN6thrust23THRUST_200600_302600_NS4plusIlEEEEZZNS1_33reduce_by_key_impl_wrapped_configILNS1_25lookback_scan_determinismE0ES3_S9_PhNS6_17constant_iteratorIiNS6_11use_defaultESE_EENS6_10device_ptrIhEENSG_IlEEPmS8_NS6_8equal_toIhEEEE10hipError_tPvRmT2_T3_mT4_T5_T6_T7_T8_P12ihipStream_tbENKUlT_T0_E_clISt17integral_constantIbLb0EES13_EEDaSY_SZ_EUlSY_E_NS1_11comp_targetILNS1_3genE10ELNS1_11target_archE1201ELNS1_3gpuE5ELNS1_3repE0EEENS1_30default_config_static_selectorELNS0_4arch9wavefront6targetE1EEEvT1_.uses_flat_scratch, 0
	.set _ZN7rocprim17ROCPRIM_400000_NS6detail17trampoline_kernelINS0_14default_configENS1_29reduce_by_key_config_selectorIhlN6thrust23THRUST_200600_302600_NS4plusIlEEEEZZNS1_33reduce_by_key_impl_wrapped_configILNS1_25lookback_scan_determinismE0ES3_S9_PhNS6_17constant_iteratorIiNS6_11use_defaultESE_EENS6_10device_ptrIhEENSG_IlEEPmS8_NS6_8equal_toIhEEEE10hipError_tPvRmT2_T3_mT4_T5_T6_T7_T8_P12ihipStream_tbENKUlT_T0_E_clISt17integral_constantIbLb0EES13_EEDaSY_SZ_EUlSY_E_NS1_11comp_targetILNS1_3genE10ELNS1_11target_archE1201ELNS1_3gpuE5ELNS1_3repE0EEENS1_30default_config_static_selectorELNS0_4arch9wavefront6targetE1EEEvT1_.has_dyn_sized_stack, 0
	.set _ZN7rocprim17ROCPRIM_400000_NS6detail17trampoline_kernelINS0_14default_configENS1_29reduce_by_key_config_selectorIhlN6thrust23THRUST_200600_302600_NS4plusIlEEEEZZNS1_33reduce_by_key_impl_wrapped_configILNS1_25lookback_scan_determinismE0ES3_S9_PhNS6_17constant_iteratorIiNS6_11use_defaultESE_EENS6_10device_ptrIhEENSG_IlEEPmS8_NS6_8equal_toIhEEEE10hipError_tPvRmT2_T3_mT4_T5_T6_T7_T8_P12ihipStream_tbENKUlT_T0_E_clISt17integral_constantIbLb0EES13_EEDaSY_SZ_EUlSY_E_NS1_11comp_targetILNS1_3genE10ELNS1_11target_archE1201ELNS1_3gpuE5ELNS1_3repE0EEENS1_30default_config_static_selectorELNS0_4arch9wavefront6targetE1EEEvT1_.has_recursion, 0
	.set _ZN7rocprim17ROCPRIM_400000_NS6detail17trampoline_kernelINS0_14default_configENS1_29reduce_by_key_config_selectorIhlN6thrust23THRUST_200600_302600_NS4plusIlEEEEZZNS1_33reduce_by_key_impl_wrapped_configILNS1_25lookback_scan_determinismE0ES3_S9_PhNS6_17constant_iteratorIiNS6_11use_defaultESE_EENS6_10device_ptrIhEENSG_IlEEPmS8_NS6_8equal_toIhEEEE10hipError_tPvRmT2_T3_mT4_T5_T6_T7_T8_P12ihipStream_tbENKUlT_T0_E_clISt17integral_constantIbLb0EES13_EEDaSY_SZ_EUlSY_E_NS1_11comp_targetILNS1_3genE10ELNS1_11target_archE1201ELNS1_3gpuE5ELNS1_3repE0EEENS1_30default_config_static_selectorELNS0_4arch9wavefront6targetE1EEEvT1_.has_indirect_call, 0
	.section	.AMDGPU.csdata,"",@progbits
; Kernel info:
; codeLenInByte = 0
; TotalNumSgprs: 4
; NumVgprs: 0
; ScratchSize: 0
; MemoryBound: 0
; FloatMode: 240
; IeeeMode: 1
; LDSByteSize: 0 bytes/workgroup (compile time only)
; SGPRBlocks: 0
; VGPRBlocks: 0
; NumSGPRsForWavesPerEU: 4
; NumVGPRsForWavesPerEU: 1
; Occupancy: 10
; WaveLimiterHint : 0
; COMPUTE_PGM_RSRC2:SCRATCH_EN: 0
; COMPUTE_PGM_RSRC2:USER_SGPR: 6
; COMPUTE_PGM_RSRC2:TRAP_HANDLER: 0
; COMPUTE_PGM_RSRC2:TGID_X_EN: 1
; COMPUTE_PGM_RSRC2:TGID_Y_EN: 0
; COMPUTE_PGM_RSRC2:TGID_Z_EN: 0
; COMPUTE_PGM_RSRC2:TIDIG_COMP_CNT: 0
	.section	.text._ZN7rocprim17ROCPRIM_400000_NS6detail17trampoline_kernelINS0_14default_configENS1_29reduce_by_key_config_selectorIhlN6thrust23THRUST_200600_302600_NS4plusIlEEEEZZNS1_33reduce_by_key_impl_wrapped_configILNS1_25lookback_scan_determinismE0ES3_S9_PhNS6_17constant_iteratorIiNS6_11use_defaultESE_EENS6_10device_ptrIhEENSG_IlEEPmS8_NS6_8equal_toIhEEEE10hipError_tPvRmT2_T3_mT4_T5_T6_T7_T8_P12ihipStream_tbENKUlT_T0_E_clISt17integral_constantIbLb0EES13_EEDaSY_SZ_EUlSY_E_NS1_11comp_targetILNS1_3genE10ELNS1_11target_archE1200ELNS1_3gpuE4ELNS1_3repE0EEENS1_30default_config_static_selectorELNS0_4arch9wavefront6targetE1EEEvT1_,"axG",@progbits,_ZN7rocprim17ROCPRIM_400000_NS6detail17trampoline_kernelINS0_14default_configENS1_29reduce_by_key_config_selectorIhlN6thrust23THRUST_200600_302600_NS4plusIlEEEEZZNS1_33reduce_by_key_impl_wrapped_configILNS1_25lookback_scan_determinismE0ES3_S9_PhNS6_17constant_iteratorIiNS6_11use_defaultESE_EENS6_10device_ptrIhEENSG_IlEEPmS8_NS6_8equal_toIhEEEE10hipError_tPvRmT2_T3_mT4_T5_T6_T7_T8_P12ihipStream_tbENKUlT_T0_E_clISt17integral_constantIbLb0EES13_EEDaSY_SZ_EUlSY_E_NS1_11comp_targetILNS1_3genE10ELNS1_11target_archE1200ELNS1_3gpuE4ELNS1_3repE0EEENS1_30default_config_static_selectorELNS0_4arch9wavefront6targetE1EEEvT1_,comdat
	.protected	_ZN7rocprim17ROCPRIM_400000_NS6detail17trampoline_kernelINS0_14default_configENS1_29reduce_by_key_config_selectorIhlN6thrust23THRUST_200600_302600_NS4plusIlEEEEZZNS1_33reduce_by_key_impl_wrapped_configILNS1_25lookback_scan_determinismE0ES3_S9_PhNS6_17constant_iteratorIiNS6_11use_defaultESE_EENS6_10device_ptrIhEENSG_IlEEPmS8_NS6_8equal_toIhEEEE10hipError_tPvRmT2_T3_mT4_T5_T6_T7_T8_P12ihipStream_tbENKUlT_T0_E_clISt17integral_constantIbLb0EES13_EEDaSY_SZ_EUlSY_E_NS1_11comp_targetILNS1_3genE10ELNS1_11target_archE1200ELNS1_3gpuE4ELNS1_3repE0EEENS1_30default_config_static_selectorELNS0_4arch9wavefront6targetE1EEEvT1_ ; -- Begin function _ZN7rocprim17ROCPRIM_400000_NS6detail17trampoline_kernelINS0_14default_configENS1_29reduce_by_key_config_selectorIhlN6thrust23THRUST_200600_302600_NS4plusIlEEEEZZNS1_33reduce_by_key_impl_wrapped_configILNS1_25lookback_scan_determinismE0ES3_S9_PhNS6_17constant_iteratorIiNS6_11use_defaultESE_EENS6_10device_ptrIhEENSG_IlEEPmS8_NS6_8equal_toIhEEEE10hipError_tPvRmT2_T3_mT4_T5_T6_T7_T8_P12ihipStream_tbENKUlT_T0_E_clISt17integral_constantIbLb0EES13_EEDaSY_SZ_EUlSY_E_NS1_11comp_targetILNS1_3genE10ELNS1_11target_archE1200ELNS1_3gpuE4ELNS1_3repE0EEENS1_30default_config_static_selectorELNS0_4arch9wavefront6targetE1EEEvT1_
	.globl	_ZN7rocprim17ROCPRIM_400000_NS6detail17trampoline_kernelINS0_14default_configENS1_29reduce_by_key_config_selectorIhlN6thrust23THRUST_200600_302600_NS4plusIlEEEEZZNS1_33reduce_by_key_impl_wrapped_configILNS1_25lookback_scan_determinismE0ES3_S9_PhNS6_17constant_iteratorIiNS6_11use_defaultESE_EENS6_10device_ptrIhEENSG_IlEEPmS8_NS6_8equal_toIhEEEE10hipError_tPvRmT2_T3_mT4_T5_T6_T7_T8_P12ihipStream_tbENKUlT_T0_E_clISt17integral_constantIbLb0EES13_EEDaSY_SZ_EUlSY_E_NS1_11comp_targetILNS1_3genE10ELNS1_11target_archE1200ELNS1_3gpuE4ELNS1_3repE0EEENS1_30default_config_static_selectorELNS0_4arch9wavefront6targetE1EEEvT1_
	.p2align	8
	.type	_ZN7rocprim17ROCPRIM_400000_NS6detail17trampoline_kernelINS0_14default_configENS1_29reduce_by_key_config_selectorIhlN6thrust23THRUST_200600_302600_NS4plusIlEEEEZZNS1_33reduce_by_key_impl_wrapped_configILNS1_25lookback_scan_determinismE0ES3_S9_PhNS6_17constant_iteratorIiNS6_11use_defaultESE_EENS6_10device_ptrIhEENSG_IlEEPmS8_NS6_8equal_toIhEEEE10hipError_tPvRmT2_T3_mT4_T5_T6_T7_T8_P12ihipStream_tbENKUlT_T0_E_clISt17integral_constantIbLb0EES13_EEDaSY_SZ_EUlSY_E_NS1_11comp_targetILNS1_3genE10ELNS1_11target_archE1200ELNS1_3gpuE4ELNS1_3repE0EEENS1_30default_config_static_selectorELNS0_4arch9wavefront6targetE1EEEvT1_,@function
_ZN7rocprim17ROCPRIM_400000_NS6detail17trampoline_kernelINS0_14default_configENS1_29reduce_by_key_config_selectorIhlN6thrust23THRUST_200600_302600_NS4plusIlEEEEZZNS1_33reduce_by_key_impl_wrapped_configILNS1_25lookback_scan_determinismE0ES3_S9_PhNS6_17constant_iteratorIiNS6_11use_defaultESE_EENS6_10device_ptrIhEENSG_IlEEPmS8_NS6_8equal_toIhEEEE10hipError_tPvRmT2_T3_mT4_T5_T6_T7_T8_P12ihipStream_tbENKUlT_T0_E_clISt17integral_constantIbLb0EES13_EEDaSY_SZ_EUlSY_E_NS1_11comp_targetILNS1_3genE10ELNS1_11target_archE1200ELNS1_3gpuE4ELNS1_3repE0EEENS1_30default_config_static_selectorELNS0_4arch9wavefront6targetE1EEEvT1_: ; @_ZN7rocprim17ROCPRIM_400000_NS6detail17trampoline_kernelINS0_14default_configENS1_29reduce_by_key_config_selectorIhlN6thrust23THRUST_200600_302600_NS4plusIlEEEEZZNS1_33reduce_by_key_impl_wrapped_configILNS1_25lookback_scan_determinismE0ES3_S9_PhNS6_17constant_iteratorIiNS6_11use_defaultESE_EENS6_10device_ptrIhEENSG_IlEEPmS8_NS6_8equal_toIhEEEE10hipError_tPvRmT2_T3_mT4_T5_T6_T7_T8_P12ihipStream_tbENKUlT_T0_E_clISt17integral_constantIbLb0EES13_EEDaSY_SZ_EUlSY_E_NS1_11comp_targetILNS1_3genE10ELNS1_11target_archE1200ELNS1_3gpuE4ELNS1_3repE0EEENS1_30default_config_static_selectorELNS0_4arch9wavefront6targetE1EEEvT1_
; %bb.0:
	.section	.rodata,"a",@progbits
	.p2align	6, 0x0
	.amdhsa_kernel _ZN7rocprim17ROCPRIM_400000_NS6detail17trampoline_kernelINS0_14default_configENS1_29reduce_by_key_config_selectorIhlN6thrust23THRUST_200600_302600_NS4plusIlEEEEZZNS1_33reduce_by_key_impl_wrapped_configILNS1_25lookback_scan_determinismE0ES3_S9_PhNS6_17constant_iteratorIiNS6_11use_defaultESE_EENS6_10device_ptrIhEENSG_IlEEPmS8_NS6_8equal_toIhEEEE10hipError_tPvRmT2_T3_mT4_T5_T6_T7_T8_P12ihipStream_tbENKUlT_T0_E_clISt17integral_constantIbLb0EES13_EEDaSY_SZ_EUlSY_E_NS1_11comp_targetILNS1_3genE10ELNS1_11target_archE1200ELNS1_3gpuE4ELNS1_3repE0EEENS1_30default_config_static_selectorELNS0_4arch9wavefront6targetE1EEEvT1_
		.amdhsa_group_segment_fixed_size 0
		.amdhsa_private_segment_fixed_size 0
		.amdhsa_kernarg_size 144
		.amdhsa_user_sgpr_count 6
		.amdhsa_user_sgpr_private_segment_buffer 1
		.amdhsa_user_sgpr_dispatch_ptr 0
		.amdhsa_user_sgpr_queue_ptr 0
		.amdhsa_user_sgpr_kernarg_segment_ptr 1
		.amdhsa_user_sgpr_dispatch_id 0
		.amdhsa_user_sgpr_flat_scratch_init 0
		.amdhsa_user_sgpr_private_segment_size 0
		.amdhsa_uses_dynamic_stack 0
		.amdhsa_system_sgpr_private_segment_wavefront_offset 0
		.amdhsa_system_sgpr_workgroup_id_x 1
		.amdhsa_system_sgpr_workgroup_id_y 0
		.amdhsa_system_sgpr_workgroup_id_z 0
		.amdhsa_system_sgpr_workgroup_info 0
		.amdhsa_system_vgpr_workitem_id 0
		.amdhsa_next_free_vgpr 1
		.amdhsa_next_free_sgpr 0
		.amdhsa_reserve_vcc 0
		.amdhsa_reserve_flat_scratch 0
		.amdhsa_float_round_mode_32 0
		.amdhsa_float_round_mode_16_64 0
		.amdhsa_float_denorm_mode_32 3
		.amdhsa_float_denorm_mode_16_64 3
		.amdhsa_dx10_clamp 1
		.amdhsa_ieee_mode 1
		.amdhsa_fp16_overflow 0
		.amdhsa_exception_fp_ieee_invalid_op 0
		.amdhsa_exception_fp_denorm_src 0
		.amdhsa_exception_fp_ieee_div_zero 0
		.amdhsa_exception_fp_ieee_overflow 0
		.amdhsa_exception_fp_ieee_underflow 0
		.amdhsa_exception_fp_ieee_inexact 0
		.amdhsa_exception_int_div_zero 0
	.end_amdhsa_kernel
	.section	.text._ZN7rocprim17ROCPRIM_400000_NS6detail17trampoline_kernelINS0_14default_configENS1_29reduce_by_key_config_selectorIhlN6thrust23THRUST_200600_302600_NS4plusIlEEEEZZNS1_33reduce_by_key_impl_wrapped_configILNS1_25lookback_scan_determinismE0ES3_S9_PhNS6_17constant_iteratorIiNS6_11use_defaultESE_EENS6_10device_ptrIhEENSG_IlEEPmS8_NS6_8equal_toIhEEEE10hipError_tPvRmT2_T3_mT4_T5_T6_T7_T8_P12ihipStream_tbENKUlT_T0_E_clISt17integral_constantIbLb0EES13_EEDaSY_SZ_EUlSY_E_NS1_11comp_targetILNS1_3genE10ELNS1_11target_archE1200ELNS1_3gpuE4ELNS1_3repE0EEENS1_30default_config_static_selectorELNS0_4arch9wavefront6targetE1EEEvT1_,"axG",@progbits,_ZN7rocprim17ROCPRIM_400000_NS6detail17trampoline_kernelINS0_14default_configENS1_29reduce_by_key_config_selectorIhlN6thrust23THRUST_200600_302600_NS4plusIlEEEEZZNS1_33reduce_by_key_impl_wrapped_configILNS1_25lookback_scan_determinismE0ES3_S9_PhNS6_17constant_iteratorIiNS6_11use_defaultESE_EENS6_10device_ptrIhEENSG_IlEEPmS8_NS6_8equal_toIhEEEE10hipError_tPvRmT2_T3_mT4_T5_T6_T7_T8_P12ihipStream_tbENKUlT_T0_E_clISt17integral_constantIbLb0EES13_EEDaSY_SZ_EUlSY_E_NS1_11comp_targetILNS1_3genE10ELNS1_11target_archE1200ELNS1_3gpuE4ELNS1_3repE0EEENS1_30default_config_static_selectorELNS0_4arch9wavefront6targetE1EEEvT1_,comdat
.Lfunc_end370:
	.size	_ZN7rocprim17ROCPRIM_400000_NS6detail17trampoline_kernelINS0_14default_configENS1_29reduce_by_key_config_selectorIhlN6thrust23THRUST_200600_302600_NS4plusIlEEEEZZNS1_33reduce_by_key_impl_wrapped_configILNS1_25lookback_scan_determinismE0ES3_S9_PhNS6_17constant_iteratorIiNS6_11use_defaultESE_EENS6_10device_ptrIhEENSG_IlEEPmS8_NS6_8equal_toIhEEEE10hipError_tPvRmT2_T3_mT4_T5_T6_T7_T8_P12ihipStream_tbENKUlT_T0_E_clISt17integral_constantIbLb0EES13_EEDaSY_SZ_EUlSY_E_NS1_11comp_targetILNS1_3genE10ELNS1_11target_archE1200ELNS1_3gpuE4ELNS1_3repE0EEENS1_30default_config_static_selectorELNS0_4arch9wavefront6targetE1EEEvT1_, .Lfunc_end370-_ZN7rocprim17ROCPRIM_400000_NS6detail17trampoline_kernelINS0_14default_configENS1_29reduce_by_key_config_selectorIhlN6thrust23THRUST_200600_302600_NS4plusIlEEEEZZNS1_33reduce_by_key_impl_wrapped_configILNS1_25lookback_scan_determinismE0ES3_S9_PhNS6_17constant_iteratorIiNS6_11use_defaultESE_EENS6_10device_ptrIhEENSG_IlEEPmS8_NS6_8equal_toIhEEEE10hipError_tPvRmT2_T3_mT4_T5_T6_T7_T8_P12ihipStream_tbENKUlT_T0_E_clISt17integral_constantIbLb0EES13_EEDaSY_SZ_EUlSY_E_NS1_11comp_targetILNS1_3genE10ELNS1_11target_archE1200ELNS1_3gpuE4ELNS1_3repE0EEENS1_30default_config_static_selectorELNS0_4arch9wavefront6targetE1EEEvT1_
                                        ; -- End function
	.set _ZN7rocprim17ROCPRIM_400000_NS6detail17trampoline_kernelINS0_14default_configENS1_29reduce_by_key_config_selectorIhlN6thrust23THRUST_200600_302600_NS4plusIlEEEEZZNS1_33reduce_by_key_impl_wrapped_configILNS1_25lookback_scan_determinismE0ES3_S9_PhNS6_17constant_iteratorIiNS6_11use_defaultESE_EENS6_10device_ptrIhEENSG_IlEEPmS8_NS6_8equal_toIhEEEE10hipError_tPvRmT2_T3_mT4_T5_T6_T7_T8_P12ihipStream_tbENKUlT_T0_E_clISt17integral_constantIbLb0EES13_EEDaSY_SZ_EUlSY_E_NS1_11comp_targetILNS1_3genE10ELNS1_11target_archE1200ELNS1_3gpuE4ELNS1_3repE0EEENS1_30default_config_static_selectorELNS0_4arch9wavefront6targetE1EEEvT1_.num_vgpr, 0
	.set _ZN7rocprim17ROCPRIM_400000_NS6detail17trampoline_kernelINS0_14default_configENS1_29reduce_by_key_config_selectorIhlN6thrust23THRUST_200600_302600_NS4plusIlEEEEZZNS1_33reduce_by_key_impl_wrapped_configILNS1_25lookback_scan_determinismE0ES3_S9_PhNS6_17constant_iteratorIiNS6_11use_defaultESE_EENS6_10device_ptrIhEENSG_IlEEPmS8_NS6_8equal_toIhEEEE10hipError_tPvRmT2_T3_mT4_T5_T6_T7_T8_P12ihipStream_tbENKUlT_T0_E_clISt17integral_constantIbLb0EES13_EEDaSY_SZ_EUlSY_E_NS1_11comp_targetILNS1_3genE10ELNS1_11target_archE1200ELNS1_3gpuE4ELNS1_3repE0EEENS1_30default_config_static_selectorELNS0_4arch9wavefront6targetE1EEEvT1_.num_agpr, 0
	.set _ZN7rocprim17ROCPRIM_400000_NS6detail17trampoline_kernelINS0_14default_configENS1_29reduce_by_key_config_selectorIhlN6thrust23THRUST_200600_302600_NS4plusIlEEEEZZNS1_33reduce_by_key_impl_wrapped_configILNS1_25lookback_scan_determinismE0ES3_S9_PhNS6_17constant_iteratorIiNS6_11use_defaultESE_EENS6_10device_ptrIhEENSG_IlEEPmS8_NS6_8equal_toIhEEEE10hipError_tPvRmT2_T3_mT4_T5_T6_T7_T8_P12ihipStream_tbENKUlT_T0_E_clISt17integral_constantIbLb0EES13_EEDaSY_SZ_EUlSY_E_NS1_11comp_targetILNS1_3genE10ELNS1_11target_archE1200ELNS1_3gpuE4ELNS1_3repE0EEENS1_30default_config_static_selectorELNS0_4arch9wavefront6targetE1EEEvT1_.numbered_sgpr, 0
	.set _ZN7rocprim17ROCPRIM_400000_NS6detail17trampoline_kernelINS0_14default_configENS1_29reduce_by_key_config_selectorIhlN6thrust23THRUST_200600_302600_NS4plusIlEEEEZZNS1_33reduce_by_key_impl_wrapped_configILNS1_25lookback_scan_determinismE0ES3_S9_PhNS6_17constant_iteratorIiNS6_11use_defaultESE_EENS6_10device_ptrIhEENSG_IlEEPmS8_NS6_8equal_toIhEEEE10hipError_tPvRmT2_T3_mT4_T5_T6_T7_T8_P12ihipStream_tbENKUlT_T0_E_clISt17integral_constantIbLb0EES13_EEDaSY_SZ_EUlSY_E_NS1_11comp_targetILNS1_3genE10ELNS1_11target_archE1200ELNS1_3gpuE4ELNS1_3repE0EEENS1_30default_config_static_selectorELNS0_4arch9wavefront6targetE1EEEvT1_.num_named_barrier, 0
	.set _ZN7rocprim17ROCPRIM_400000_NS6detail17trampoline_kernelINS0_14default_configENS1_29reduce_by_key_config_selectorIhlN6thrust23THRUST_200600_302600_NS4plusIlEEEEZZNS1_33reduce_by_key_impl_wrapped_configILNS1_25lookback_scan_determinismE0ES3_S9_PhNS6_17constant_iteratorIiNS6_11use_defaultESE_EENS6_10device_ptrIhEENSG_IlEEPmS8_NS6_8equal_toIhEEEE10hipError_tPvRmT2_T3_mT4_T5_T6_T7_T8_P12ihipStream_tbENKUlT_T0_E_clISt17integral_constantIbLb0EES13_EEDaSY_SZ_EUlSY_E_NS1_11comp_targetILNS1_3genE10ELNS1_11target_archE1200ELNS1_3gpuE4ELNS1_3repE0EEENS1_30default_config_static_selectorELNS0_4arch9wavefront6targetE1EEEvT1_.private_seg_size, 0
	.set _ZN7rocprim17ROCPRIM_400000_NS6detail17trampoline_kernelINS0_14default_configENS1_29reduce_by_key_config_selectorIhlN6thrust23THRUST_200600_302600_NS4plusIlEEEEZZNS1_33reduce_by_key_impl_wrapped_configILNS1_25lookback_scan_determinismE0ES3_S9_PhNS6_17constant_iteratorIiNS6_11use_defaultESE_EENS6_10device_ptrIhEENSG_IlEEPmS8_NS6_8equal_toIhEEEE10hipError_tPvRmT2_T3_mT4_T5_T6_T7_T8_P12ihipStream_tbENKUlT_T0_E_clISt17integral_constantIbLb0EES13_EEDaSY_SZ_EUlSY_E_NS1_11comp_targetILNS1_3genE10ELNS1_11target_archE1200ELNS1_3gpuE4ELNS1_3repE0EEENS1_30default_config_static_selectorELNS0_4arch9wavefront6targetE1EEEvT1_.uses_vcc, 0
	.set _ZN7rocprim17ROCPRIM_400000_NS6detail17trampoline_kernelINS0_14default_configENS1_29reduce_by_key_config_selectorIhlN6thrust23THRUST_200600_302600_NS4plusIlEEEEZZNS1_33reduce_by_key_impl_wrapped_configILNS1_25lookback_scan_determinismE0ES3_S9_PhNS6_17constant_iteratorIiNS6_11use_defaultESE_EENS6_10device_ptrIhEENSG_IlEEPmS8_NS6_8equal_toIhEEEE10hipError_tPvRmT2_T3_mT4_T5_T6_T7_T8_P12ihipStream_tbENKUlT_T0_E_clISt17integral_constantIbLb0EES13_EEDaSY_SZ_EUlSY_E_NS1_11comp_targetILNS1_3genE10ELNS1_11target_archE1200ELNS1_3gpuE4ELNS1_3repE0EEENS1_30default_config_static_selectorELNS0_4arch9wavefront6targetE1EEEvT1_.uses_flat_scratch, 0
	.set _ZN7rocprim17ROCPRIM_400000_NS6detail17trampoline_kernelINS0_14default_configENS1_29reduce_by_key_config_selectorIhlN6thrust23THRUST_200600_302600_NS4plusIlEEEEZZNS1_33reduce_by_key_impl_wrapped_configILNS1_25lookback_scan_determinismE0ES3_S9_PhNS6_17constant_iteratorIiNS6_11use_defaultESE_EENS6_10device_ptrIhEENSG_IlEEPmS8_NS6_8equal_toIhEEEE10hipError_tPvRmT2_T3_mT4_T5_T6_T7_T8_P12ihipStream_tbENKUlT_T0_E_clISt17integral_constantIbLb0EES13_EEDaSY_SZ_EUlSY_E_NS1_11comp_targetILNS1_3genE10ELNS1_11target_archE1200ELNS1_3gpuE4ELNS1_3repE0EEENS1_30default_config_static_selectorELNS0_4arch9wavefront6targetE1EEEvT1_.has_dyn_sized_stack, 0
	.set _ZN7rocprim17ROCPRIM_400000_NS6detail17trampoline_kernelINS0_14default_configENS1_29reduce_by_key_config_selectorIhlN6thrust23THRUST_200600_302600_NS4plusIlEEEEZZNS1_33reduce_by_key_impl_wrapped_configILNS1_25lookback_scan_determinismE0ES3_S9_PhNS6_17constant_iteratorIiNS6_11use_defaultESE_EENS6_10device_ptrIhEENSG_IlEEPmS8_NS6_8equal_toIhEEEE10hipError_tPvRmT2_T3_mT4_T5_T6_T7_T8_P12ihipStream_tbENKUlT_T0_E_clISt17integral_constantIbLb0EES13_EEDaSY_SZ_EUlSY_E_NS1_11comp_targetILNS1_3genE10ELNS1_11target_archE1200ELNS1_3gpuE4ELNS1_3repE0EEENS1_30default_config_static_selectorELNS0_4arch9wavefront6targetE1EEEvT1_.has_recursion, 0
	.set _ZN7rocprim17ROCPRIM_400000_NS6detail17trampoline_kernelINS0_14default_configENS1_29reduce_by_key_config_selectorIhlN6thrust23THRUST_200600_302600_NS4plusIlEEEEZZNS1_33reduce_by_key_impl_wrapped_configILNS1_25lookback_scan_determinismE0ES3_S9_PhNS6_17constant_iteratorIiNS6_11use_defaultESE_EENS6_10device_ptrIhEENSG_IlEEPmS8_NS6_8equal_toIhEEEE10hipError_tPvRmT2_T3_mT4_T5_T6_T7_T8_P12ihipStream_tbENKUlT_T0_E_clISt17integral_constantIbLb0EES13_EEDaSY_SZ_EUlSY_E_NS1_11comp_targetILNS1_3genE10ELNS1_11target_archE1200ELNS1_3gpuE4ELNS1_3repE0EEENS1_30default_config_static_selectorELNS0_4arch9wavefront6targetE1EEEvT1_.has_indirect_call, 0
	.section	.AMDGPU.csdata,"",@progbits
; Kernel info:
; codeLenInByte = 0
; TotalNumSgprs: 4
; NumVgprs: 0
; ScratchSize: 0
; MemoryBound: 0
; FloatMode: 240
; IeeeMode: 1
; LDSByteSize: 0 bytes/workgroup (compile time only)
; SGPRBlocks: 0
; VGPRBlocks: 0
; NumSGPRsForWavesPerEU: 4
; NumVGPRsForWavesPerEU: 1
; Occupancy: 10
; WaveLimiterHint : 0
; COMPUTE_PGM_RSRC2:SCRATCH_EN: 0
; COMPUTE_PGM_RSRC2:USER_SGPR: 6
; COMPUTE_PGM_RSRC2:TRAP_HANDLER: 0
; COMPUTE_PGM_RSRC2:TGID_X_EN: 1
; COMPUTE_PGM_RSRC2:TGID_Y_EN: 0
; COMPUTE_PGM_RSRC2:TGID_Z_EN: 0
; COMPUTE_PGM_RSRC2:TIDIG_COMP_CNT: 0
	.section	.text._ZN7rocprim17ROCPRIM_400000_NS6detail17trampoline_kernelINS0_14default_configENS1_29reduce_by_key_config_selectorIhlN6thrust23THRUST_200600_302600_NS4plusIlEEEEZZNS1_33reduce_by_key_impl_wrapped_configILNS1_25lookback_scan_determinismE0ES3_S9_PhNS6_17constant_iteratorIiNS6_11use_defaultESE_EENS6_10device_ptrIhEENSG_IlEEPmS8_NS6_8equal_toIhEEEE10hipError_tPvRmT2_T3_mT4_T5_T6_T7_T8_P12ihipStream_tbENKUlT_T0_E_clISt17integral_constantIbLb0EES13_EEDaSY_SZ_EUlSY_E_NS1_11comp_targetILNS1_3genE9ELNS1_11target_archE1100ELNS1_3gpuE3ELNS1_3repE0EEENS1_30default_config_static_selectorELNS0_4arch9wavefront6targetE1EEEvT1_,"axG",@progbits,_ZN7rocprim17ROCPRIM_400000_NS6detail17trampoline_kernelINS0_14default_configENS1_29reduce_by_key_config_selectorIhlN6thrust23THRUST_200600_302600_NS4plusIlEEEEZZNS1_33reduce_by_key_impl_wrapped_configILNS1_25lookback_scan_determinismE0ES3_S9_PhNS6_17constant_iteratorIiNS6_11use_defaultESE_EENS6_10device_ptrIhEENSG_IlEEPmS8_NS6_8equal_toIhEEEE10hipError_tPvRmT2_T3_mT4_T5_T6_T7_T8_P12ihipStream_tbENKUlT_T0_E_clISt17integral_constantIbLb0EES13_EEDaSY_SZ_EUlSY_E_NS1_11comp_targetILNS1_3genE9ELNS1_11target_archE1100ELNS1_3gpuE3ELNS1_3repE0EEENS1_30default_config_static_selectorELNS0_4arch9wavefront6targetE1EEEvT1_,comdat
	.protected	_ZN7rocprim17ROCPRIM_400000_NS6detail17trampoline_kernelINS0_14default_configENS1_29reduce_by_key_config_selectorIhlN6thrust23THRUST_200600_302600_NS4plusIlEEEEZZNS1_33reduce_by_key_impl_wrapped_configILNS1_25lookback_scan_determinismE0ES3_S9_PhNS6_17constant_iteratorIiNS6_11use_defaultESE_EENS6_10device_ptrIhEENSG_IlEEPmS8_NS6_8equal_toIhEEEE10hipError_tPvRmT2_T3_mT4_T5_T6_T7_T8_P12ihipStream_tbENKUlT_T0_E_clISt17integral_constantIbLb0EES13_EEDaSY_SZ_EUlSY_E_NS1_11comp_targetILNS1_3genE9ELNS1_11target_archE1100ELNS1_3gpuE3ELNS1_3repE0EEENS1_30default_config_static_selectorELNS0_4arch9wavefront6targetE1EEEvT1_ ; -- Begin function _ZN7rocprim17ROCPRIM_400000_NS6detail17trampoline_kernelINS0_14default_configENS1_29reduce_by_key_config_selectorIhlN6thrust23THRUST_200600_302600_NS4plusIlEEEEZZNS1_33reduce_by_key_impl_wrapped_configILNS1_25lookback_scan_determinismE0ES3_S9_PhNS6_17constant_iteratorIiNS6_11use_defaultESE_EENS6_10device_ptrIhEENSG_IlEEPmS8_NS6_8equal_toIhEEEE10hipError_tPvRmT2_T3_mT4_T5_T6_T7_T8_P12ihipStream_tbENKUlT_T0_E_clISt17integral_constantIbLb0EES13_EEDaSY_SZ_EUlSY_E_NS1_11comp_targetILNS1_3genE9ELNS1_11target_archE1100ELNS1_3gpuE3ELNS1_3repE0EEENS1_30default_config_static_selectorELNS0_4arch9wavefront6targetE1EEEvT1_
	.globl	_ZN7rocprim17ROCPRIM_400000_NS6detail17trampoline_kernelINS0_14default_configENS1_29reduce_by_key_config_selectorIhlN6thrust23THRUST_200600_302600_NS4plusIlEEEEZZNS1_33reduce_by_key_impl_wrapped_configILNS1_25lookback_scan_determinismE0ES3_S9_PhNS6_17constant_iteratorIiNS6_11use_defaultESE_EENS6_10device_ptrIhEENSG_IlEEPmS8_NS6_8equal_toIhEEEE10hipError_tPvRmT2_T3_mT4_T5_T6_T7_T8_P12ihipStream_tbENKUlT_T0_E_clISt17integral_constantIbLb0EES13_EEDaSY_SZ_EUlSY_E_NS1_11comp_targetILNS1_3genE9ELNS1_11target_archE1100ELNS1_3gpuE3ELNS1_3repE0EEENS1_30default_config_static_selectorELNS0_4arch9wavefront6targetE1EEEvT1_
	.p2align	8
	.type	_ZN7rocprim17ROCPRIM_400000_NS6detail17trampoline_kernelINS0_14default_configENS1_29reduce_by_key_config_selectorIhlN6thrust23THRUST_200600_302600_NS4plusIlEEEEZZNS1_33reduce_by_key_impl_wrapped_configILNS1_25lookback_scan_determinismE0ES3_S9_PhNS6_17constant_iteratorIiNS6_11use_defaultESE_EENS6_10device_ptrIhEENSG_IlEEPmS8_NS6_8equal_toIhEEEE10hipError_tPvRmT2_T3_mT4_T5_T6_T7_T8_P12ihipStream_tbENKUlT_T0_E_clISt17integral_constantIbLb0EES13_EEDaSY_SZ_EUlSY_E_NS1_11comp_targetILNS1_3genE9ELNS1_11target_archE1100ELNS1_3gpuE3ELNS1_3repE0EEENS1_30default_config_static_selectorELNS0_4arch9wavefront6targetE1EEEvT1_,@function
_ZN7rocprim17ROCPRIM_400000_NS6detail17trampoline_kernelINS0_14default_configENS1_29reduce_by_key_config_selectorIhlN6thrust23THRUST_200600_302600_NS4plusIlEEEEZZNS1_33reduce_by_key_impl_wrapped_configILNS1_25lookback_scan_determinismE0ES3_S9_PhNS6_17constant_iteratorIiNS6_11use_defaultESE_EENS6_10device_ptrIhEENSG_IlEEPmS8_NS6_8equal_toIhEEEE10hipError_tPvRmT2_T3_mT4_T5_T6_T7_T8_P12ihipStream_tbENKUlT_T0_E_clISt17integral_constantIbLb0EES13_EEDaSY_SZ_EUlSY_E_NS1_11comp_targetILNS1_3genE9ELNS1_11target_archE1100ELNS1_3gpuE3ELNS1_3repE0EEENS1_30default_config_static_selectorELNS0_4arch9wavefront6targetE1EEEvT1_: ; @_ZN7rocprim17ROCPRIM_400000_NS6detail17trampoline_kernelINS0_14default_configENS1_29reduce_by_key_config_selectorIhlN6thrust23THRUST_200600_302600_NS4plusIlEEEEZZNS1_33reduce_by_key_impl_wrapped_configILNS1_25lookback_scan_determinismE0ES3_S9_PhNS6_17constant_iteratorIiNS6_11use_defaultESE_EENS6_10device_ptrIhEENSG_IlEEPmS8_NS6_8equal_toIhEEEE10hipError_tPvRmT2_T3_mT4_T5_T6_T7_T8_P12ihipStream_tbENKUlT_T0_E_clISt17integral_constantIbLb0EES13_EEDaSY_SZ_EUlSY_E_NS1_11comp_targetILNS1_3genE9ELNS1_11target_archE1100ELNS1_3gpuE3ELNS1_3repE0EEENS1_30default_config_static_selectorELNS0_4arch9wavefront6targetE1EEEvT1_
; %bb.0:
	.section	.rodata,"a",@progbits
	.p2align	6, 0x0
	.amdhsa_kernel _ZN7rocprim17ROCPRIM_400000_NS6detail17trampoline_kernelINS0_14default_configENS1_29reduce_by_key_config_selectorIhlN6thrust23THRUST_200600_302600_NS4plusIlEEEEZZNS1_33reduce_by_key_impl_wrapped_configILNS1_25lookback_scan_determinismE0ES3_S9_PhNS6_17constant_iteratorIiNS6_11use_defaultESE_EENS6_10device_ptrIhEENSG_IlEEPmS8_NS6_8equal_toIhEEEE10hipError_tPvRmT2_T3_mT4_T5_T6_T7_T8_P12ihipStream_tbENKUlT_T0_E_clISt17integral_constantIbLb0EES13_EEDaSY_SZ_EUlSY_E_NS1_11comp_targetILNS1_3genE9ELNS1_11target_archE1100ELNS1_3gpuE3ELNS1_3repE0EEENS1_30default_config_static_selectorELNS0_4arch9wavefront6targetE1EEEvT1_
		.amdhsa_group_segment_fixed_size 0
		.amdhsa_private_segment_fixed_size 0
		.amdhsa_kernarg_size 144
		.amdhsa_user_sgpr_count 6
		.amdhsa_user_sgpr_private_segment_buffer 1
		.amdhsa_user_sgpr_dispatch_ptr 0
		.amdhsa_user_sgpr_queue_ptr 0
		.amdhsa_user_sgpr_kernarg_segment_ptr 1
		.amdhsa_user_sgpr_dispatch_id 0
		.amdhsa_user_sgpr_flat_scratch_init 0
		.amdhsa_user_sgpr_private_segment_size 0
		.amdhsa_uses_dynamic_stack 0
		.amdhsa_system_sgpr_private_segment_wavefront_offset 0
		.amdhsa_system_sgpr_workgroup_id_x 1
		.amdhsa_system_sgpr_workgroup_id_y 0
		.amdhsa_system_sgpr_workgroup_id_z 0
		.amdhsa_system_sgpr_workgroup_info 0
		.amdhsa_system_vgpr_workitem_id 0
		.amdhsa_next_free_vgpr 1
		.amdhsa_next_free_sgpr 0
		.amdhsa_reserve_vcc 0
		.amdhsa_reserve_flat_scratch 0
		.amdhsa_float_round_mode_32 0
		.amdhsa_float_round_mode_16_64 0
		.amdhsa_float_denorm_mode_32 3
		.amdhsa_float_denorm_mode_16_64 3
		.amdhsa_dx10_clamp 1
		.amdhsa_ieee_mode 1
		.amdhsa_fp16_overflow 0
		.amdhsa_exception_fp_ieee_invalid_op 0
		.amdhsa_exception_fp_denorm_src 0
		.amdhsa_exception_fp_ieee_div_zero 0
		.amdhsa_exception_fp_ieee_overflow 0
		.amdhsa_exception_fp_ieee_underflow 0
		.amdhsa_exception_fp_ieee_inexact 0
		.amdhsa_exception_int_div_zero 0
	.end_amdhsa_kernel
	.section	.text._ZN7rocprim17ROCPRIM_400000_NS6detail17trampoline_kernelINS0_14default_configENS1_29reduce_by_key_config_selectorIhlN6thrust23THRUST_200600_302600_NS4plusIlEEEEZZNS1_33reduce_by_key_impl_wrapped_configILNS1_25lookback_scan_determinismE0ES3_S9_PhNS6_17constant_iteratorIiNS6_11use_defaultESE_EENS6_10device_ptrIhEENSG_IlEEPmS8_NS6_8equal_toIhEEEE10hipError_tPvRmT2_T3_mT4_T5_T6_T7_T8_P12ihipStream_tbENKUlT_T0_E_clISt17integral_constantIbLb0EES13_EEDaSY_SZ_EUlSY_E_NS1_11comp_targetILNS1_3genE9ELNS1_11target_archE1100ELNS1_3gpuE3ELNS1_3repE0EEENS1_30default_config_static_selectorELNS0_4arch9wavefront6targetE1EEEvT1_,"axG",@progbits,_ZN7rocprim17ROCPRIM_400000_NS6detail17trampoline_kernelINS0_14default_configENS1_29reduce_by_key_config_selectorIhlN6thrust23THRUST_200600_302600_NS4plusIlEEEEZZNS1_33reduce_by_key_impl_wrapped_configILNS1_25lookback_scan_determinismE0ES3_S9_PhNS6_17constant_iteratorIiNS6_11use_defaultESE_EENS6_10device_ptrIhEENSG_IlEEPmS8_NS6_8equal_toIhEEEE10hipError_tPvRmT2_T3_mT4_T5_T6_T7_T8_P12ihipStream_tbENKUlT_T0_E_clISt17integral_constantIbLb0EES13_EEDaSY_SZ_EUlSY_E_NS1_11comp_targetILNS1_3genE9ELNS1_11target_archE1100ELNS1_3gpuE3ELNS1_3repE0EEENS1_30default_config_static_selectorELNS0_4arch9wavefront6targetE1EEEvT1_,comdat
.Lfunc_end371:
	.size	_ZN7rocprim17ROCPRIM_400000_NS6detail17trampoline_kernelINS0_14default_configENS1_29reduce_by_key_config_selectorIhlN6thrust23THRUST_200600_302600_NS4plusIlEEEEZZNS1_33reduce_by_key_impl_wrapped_configILNS1_25lookback_scan_determinismE0ES3_S9_PhNS6_17constant_iteratorIiNS6_11use_defaultESE_EENS6_10device_ptrIhEENSG_IlEEPmS8_NS6_8equal_toIhEEEE10hipError_tPvRmT2_T3_mT4_T5_T6_T7_T8_P12ihipStream_tbENKUlT_T0_E_clISt17integral_constantIbLb0EES13_EEDaSY_SZ_EUlSY_E_NS1_11comp_targetILNS1_3genE9ELNS1_11target_archE1100ELNS1_3gpuE3ELNS1_3repE0EEENS1_30default_config_static_selectorELNS0_4arch9wavefront6targetE1EEEvT1_, .Lfunc_end371-_ZN7rocprim17ROCPRIM_400000_NS6detail17trampoline_kernelINS0_14default_configENS1_29reduce_by_key_config_selectorIhlN6thrust23THRUST_200600_302600_NS4plusIlEEEEZZNS1_33reduce_by_key_impl_wrapped_configILNS1_25lookback_scan_determinismE0ES3_S9_PhNS6_17constant_iteratorIiNS6_11use_defaultESE_EENS6_10device_ptrIhEENSG_IlEEPmS8_NS6_8equal_toIhEEEE10hipError_tPvRmT2_T3_mT4_T5_T6_T7_T8_P12ihipStream_tbENKUlT_T0_E_clISt17integral_constantIbLb0EES13_EEDaSY_SZ_EUlSY_E_NS1_11comp_targetILNS1_3genE9ELNS1_11target_archE1100ELNS1_3gpuE3ELNS1_3repE0EEENS1_30default_config_static_selectorELNS0_4arch9wavefront6targetE1EEEvT1_
                                        ; -- End function
	.set _ZN7rocprim17ROCPRIM_400000_NS6detail17trampoline_kernelINS0_14default_configENS1_29reduce_by_key_config_selectorIhlN6thrust23THRUST_200600_302600_NS4plusIlEEEEZZNS1_33reduce_by_key_impl_wrapped_configILNS1_25lookback_scan_determinismE0ES3_S9_PhNS6_17constant_iteratorIiNS6_11use_defaultESE_EENS6_10device_ptrIhEENSG_IlEEPmS8_NS6_8equal_toIhEEEE10hipError_tPvRmT2_T3_mT4_T5_T6_T7_T8_P12ihipStream_tbENKUlT_T0_E_clISt17integral_constantIbLb0EES13_EEDaSY_SZ_EUlSY_E_NS1_11comp_targetILNS1_3genE9ELNS1_11target_archE1100ELNS1_3gpuE3ELNS1_3repE0EEENS1_30default_config_static_selectorELNS0_4arch9wavefront6targetE1EEEvT1_.num_vgpr, 0
	.set _ZN7rocprim17ROCPRIM_400000_NS6detail17trampoline_kernelINS0_14default_configENS1_29reduce_by_key_config_selectorIhlN6thrust23THRUST_200600_302600_NS4plusIlEEEEZZNS1_33reduce_by_key_impl_wrapped_configILNS1_25lookback_scan_determinismE0ES3_S9_PhNS6_17constant_iteratorIiNS6_11use_defaultESE_EENS6_10device_ptrIhEENSG_IlEEPmS8_NS6_8equal_toIhEEEE10hipError_tPvRmT2_T3_mT4_T5_T6_T7_T8_P12ihipStream_tbENKUlT_T0_E_clISt17integral_constantIbLb0EES13_EEDaSY_SZ_EUlSY_E_NS1_11comp_targetILNS1_3genE9ELNS1_11target_archE1100ELNS1_3gpuE3ELNS1_3repE0EEENS1_30default_config_static_selectorELNS0_4arch9wavefront6targetE1EEEvT1_.num_agpr, 0
	.set _ZN7rocprim17ROCPRIM_400000_NS6detail17trampoline_kernelINS0_14default_configENS1_29reduce_by_key_config_selectorIhlN6thrust23THRUST_200600_302600_NS4plusIlEEEEZZNS1_33reduce_by_key_impl_wrapped_configILNS1_25lookback_scan_determinismE0ES3_S9_PhNS6_17constant_iteratorIiNS6_11use_defaultESE_EENS6_10device_ptrIhEENSG_IlEEPmS8_NS6_8equal_toIhEEEE10hipError_tPvRmT2_T3_mT4_T5_T6_T7_T8_P12ihipStream_tbENKUlT_T0_E_clISt17integral_constantIbLb0EES13_EEDaSY_SZ_EUlSY_E_NS1_11comp_targetILNS1_3genE9ELNS1_11target_archE1100ELNS1_3gpuE3ELNS1_3repE0EEENS1_30default_config_static_selectorELNS0_4arch9wavefront6targetE1EEEvT1_.numbered_sgpr, 0
	.set _ZN7rocprim17ROCPRIM_400000_NS6detail17trampoline_kernelINS0_14default_configENS1_29reduce_by_key_config_selectorIhlN6thrust23THRUST_200600_302600_NS4plusIlEEEEZZNS1_33reduce_by_key_impl_wrapped_configILNS1_25lookback_scan_determinismE0ES3_S9_PhNS6_17constant_iteratorIiNS6_11use_defaultESE_EENS6_10device_ptrIhEENSG_IlEEPmS8_NS6_8equal_toIhEEEE10hipError_tPvRmT2_T3_mT4_T5_T6_T7_T8_P12ihipStream_tbENKUlT_T0_E_clISt17integral_constantIbLb0EES13_EEDaSY_SZ_EUlSY_E_NS1_11comp_targetILNS1_3genE9ELNS1_11target_archE1100ELNS1_3gpuE3ELNS1_3repE0EEENS1_30default_config_static_selectorELNS0_4arch9wavefront6targetE1EEEvT1_.num_named_barrier, 0
	.set _ZN7rocprim17ROCPRIM_400000_NS6detail17trampoline_kernelINS0_14default_configENS1_29reduce_by_key_config_selectorIhlN6thrust23THRUST_200600_302600_NS4plusIlEEEEZZNS1_33reduce_by_key_impl_wrapped_configILNS1_25lookback_scan_determinismE0ES3_S9_PhNS6_17constant_iteratorIiNS6_11use_defaultESE_EENS6_10device_ptrIhEENSG_IlEEPmS8_NS6_8equal_toIhEEEE10hipError_tPvRmT2_T3_mT4_T5_T6_T7_T8_P12ihipStream_tbENKUlT_T0_E_clISt17integral_constantIbLb0EES13_EEDaSY_SZ_EUlSY_E_NS1_11comp_targetILNS1_3genE9ELNS1_11target_archE1100ELNS1_3gpuE3ELNS1_3repE0EEENS1_30default_config_static_selectorELNS0_4arch9wavefront6targetE1EEEvT1_.private_seg_size, 0
	.set _ZN7rocprim17ROCPRIM_400000_NS6detail17trampoline_kernelINS0_14default_configENS1_29reduce_by_key_config_selectorIhlN6thrust23THRUST_200600_302600_NS4plusIlEEEEZZNS1_33reduce_by_key_impl_wrapped_configILNS1_25lookback_scan_determinismE0ES3_S9_PhNS6_17constant_iteratorIiNS6_11use_defaultESE_EENS6_10device_ptrIhEENSG_IlEEPmS8_NS6_8equal_toIhEEEE10hipError_tPvRmT2_T3_mT4_T5_T6_T7_T8_P12ihipStream_tbENKUlT_T0_E_clISt17integral_constantIbLb0EES13_EEDaSY_SZ_EUlSY_E_NS1_11comp_targetILNS1_3genE9ELNS1_11target_archE1100ELNS1_3gpuE3ELNS1_3repE0EEENS1_30default_config_static_selectorELNS0_4arch9wavefront6targetE1EEEvT1_.uses_vcc, 0
	.set _ZN7rocprim17ROCPRIM_400000_NS6detail17trampoline_kernelINS0_14default_configENS1_29reduce_by_key_config_selectorIhlN6thrust23THRUST_200600_302600_NS4plusIlEEEEZZNS1_33reduce_by_key_impl_wrapped_configILNS1_25lookback_scan_determinismE0ES3_S9_PhNS6_17constant_iteratorIiNS6_11use_defaultESE_EENS6_10device_ptrIhEENSG_IlEEPmS8_NS6_8equal_toIhEEEE10hipError_tPvRmT2_T3_mT4_T5_T6_T7_T8_P12ihipStream_tbENKUlT_T0_E_clISt17integral_constantIbLb0EES13_EEDaSY_SZ_EUlSY_E_NS1_11comp_targetILNS1_3genE9ELNS1_11target_archE1100ELNS1_3gpuE3ELNS1_3repE0EEENS1_30default_config_static_selectorELNS0_4arch9wavefront6targetE1EEEvT1_.uses_flat_scratch, 0
	.set _ZN7rocprim17ROCPRIM_400000_NS6detail17trampoline_kernelINS0_14default_configENS1_29reduce_by_key_config_selectorIhlN6thrust23THRUST_200600_302600_NS4plusIlEEEEZZNS1_33reduce_by_key_impl_wrapped_configILNS1_25lookback_scan_determinismE0ES3_S9_PhNS6_17constant_iteratorIiNS6_11use_defaultESE_EENS6_10device_ptrIhEENSG_IlEEPmS8_NS6_8equal_toIhEEEE10hipError_tPvRmT2_T3_mT4_T5_T6_T7_T8_P12ihipStream_tbENKUlT_T0_E_clISt17integral_constantIbLb0EES13_EEDaSY_SZ_EUlSY_E_NS1_11comp_targetILNS1_3genE9ELNS1_11target_archE1100ELNS1_3gpuE3ELNS1_3repE0EEENS1_30default_config_static_selectorELNS0_4arch9wavefront6targetE1EEEvT1_.has_dyn_sized_stack, 0
	.set _ZN7rocprim17ROCPRIM_400000_NS6detail17trampoline_kernelINS0_14default_configENS1_29reduce_by_key_config_selectorIhlN6thrust23THRUST_200600_302600_NS4plusIlEEEEZZNS1_33reduce_by_key_impl_wrapped_configILNS1_25lookback_scan_determinismE0ES3_S9_PhNS6_17constant_iteratorIiNS6_11use_defaultESE_EENS6_10device_ptrIhEENSG_IlEEPmS8_NS6_8equal_toIhEEEE10hipError_tPvRmT2_T3_mT4_T5_T6_T7_T8_P12ihipStream_tbENKUlT_T0_E_clISt17integral_constantIbLb0EES13_EEDaSY_SZ_EUlSY_E_NS1_11comp_targetILNS1_3genE9ELNS1_11target_archE1100ELNS1_3gpuE3ELNS1_3repE0EEENS1_30default_config_static_selectorELNS0_4arch9wavefront6targetE1EEEvT1_.has_recursion, 0
	.set _ZN7rocprim17ROCPRIM_400000_NS6detail17trampoline_kernelINS0_14default_configENS1_29reduce_by_key_config_selectorIhlN6thrust23THRUST_200600_302600_NS4plusIlEEEEZZNS1_33reduce_by_key_impl_wrapped_configILNS1_25lookback_scan_determinismE0ES3_S9_PhNS6_17constant_iteratorIiNS6_11use_defaultESE_EENS6_10device_ptrIhEENSG_IlEEPmS8_NS6_8equal_toIhEEEE10hipError_tPvRmT2_T3_mT4_T5_T6_T7_T8_P12ihipStream_tbENKUlT_T0_E_clISt17integral_constantIbLb0EES13_EEDaSY_SZ_EUlSY_E_NS1_11comp_targetILNS1_3genE9ELNS1_11target_archE1100ELNS1_3gpuE3ELNS1_3repE0EEENS1_30default_config_static_selectorELNS0_4arch9wavefront6targetE1EEEvT1_.has_indirect_call, 0
	.section	.AMDGPU.csdata,"",@progbits
; Kernel info:
; codeLenInByte = 0
; TotalNumSgprs: 4
; NumVgprs: 0
; ScratchSize: 0
; MemoryBound: 0
; FloatMode: 240
; IeeeMode: 1
; LDSByteSize: 0 bytes/workgroup (compile time only)
; SGPRBlocks: 0
; VGPRBlocks: 0
; NumSGPRsForWavesPerEU: 4
; NumVGPRsForWavesPerEU: 1
; Occupancy: 10
; WaveLimiterHint : 0
; COMPUTE_PGM_RSRC2:SCRATCH_EN: 0
; COMPUTE_PGM_RSRC2:USER_SGPR: 6
; COMPUTE_PGM_RSRC2:TRAP_HANDLER: 0
; COMPUTE_PGM_RSRC2:TGID_X_EN: 1
; COMPUTE_PGM_RSRC2:TGID_Y_EN: 0
; COMPUTE_PGM_RSRC2:TGID_Z_EN: 0
; COMPUTE_PGM_RSRC2:TIDIG_COMP_CNT: 0
	.section	.text._ZN7rocprim17ROCPRIM_400000_NS6detail17trampoline_kernelINS0_14default_configENS1_29reduce_by_key_config_selectorIhlN6thrust23THRUST_200600_302600_NS4plusIlEEEEZZNS1_33reduce_by_key_impl_wrapped_configILNS1_25lookback_scan_determinismE0ES3_S9_PhNS6_17constant_iteratorIiNS6_11use_defaultESE_EENS6_10device_ptrIhEENSG_IlEEPmS8_NS6_8equal_toIhEEEE10hipError_tPvRmT2_T3_mT4_T5_T6_T7_T8_P12ihipStream_tbENKUlT_T0_E_clISt17integral_constantIbLb0EES13_EEDaSY_SZ_EUlSY_E_NS1_11comp_targetILNS1_3genE8ELNS1_11target_archE1030ELNS1_3gpuE2ELNS1_3repE0EEENS1_30default_config_static_selectorELNS0_4arch9wavefront6targetE1EEEvT1_,"axG",@progbits,_ZN7rocprim17ROCPRIM_400000_NS6detail17trampoline_kernelINS0_14default_configENS1_29reduce_by_key_config_selectorIhlN6thrust23THRUST_200600_302600_NS4plusIlEEEEZZNS1_33reduce_by_key_impl_wrapped_configILNS1_25lookback_scan_determinismE0ES3_S9_PhNS6_17constant_iteratorIiNS6_11use_defaultESE_EENS6_10device_ptrIhEENSG_IlEEPmS8_NS6_8equal_toIhEEEE10hipError_tPvRmT2_T3_mT4_T5_T6_T7_T8_P12ihipStream_tbENKUlT_T0_E_clISt17integral_constantIbLb0EES13_EEDaSY_SZ_EUlSY_E_NS1_11comp_targetILNS1_3genE8ELNS1_11target_archE1030ELNS1_3gpuE2ELNS1_3repE0EEENS1_30default_config_static_selectorELNS0_4arch9wavefront6targetE1EEEvT1_,comdat
	.protected	_ZN7rocprim17ROCPRIM_400000_NS6detail17trampoline_kernelINS0_14default_configENS1_29reduce_by_key_config_selectorIhlN6thrust23THRUST_200600_302600_NS4plusIlEEEEZZNS1_33reduce_by_key_impl_wrapped_configILNS1_25lookback_scan_determinismE0ES3_S9_PhNS6_17constant_iteratorIiNS6_11use_defaultESE_EENS6_10device_ptrIhEENSG_IlEEPmS8_NS6_8equal_toIhEEEE10hipError_tPvRmT2_T3_mT4_T5_T6_T7_T8_P12ihipStream_tbENKUlT_T0_E_clISt17integral_constantIbLb0EES13_EEDaSY_SZ_EUlSY_E_NS1_11comp_targetILNS1_3genE8ELNS1_11target_archE1030ELNS1_3gpuE2ELNS1_3repE0EEENS1_30default_config_static_selectorELNS0_4arch9wavefront6targetE1EEEvT1_ ; -- Begin function _ZN7rocprim17ROCPRIM_400000_NS6detail17trampoline_kernelINS0_14default_configENS1_29reduce_by_key_config_selectorIhlN6thrust23THRUST_200600_302600_NS4plusIlEEEEZZNS1_33reduce_by_key_impl_wrapped_configILNS1_25lookback_scan_determinismE0ES3_S9_PhNS6_17constant_iteratorIiNS6_11use_defaultESE_EENS6_10device_ptrIhEENSG_IlEEPmS8_NS6_8equal_toIhEEEE10hipError_tPvRmT2_T3_mT4_T5_T6_T7_T8_P12ihipStream_tbENKUlT_T0_E_clISt17integral_constantIbLb0EES13_EEDaSY_SZ_EUlSY_E_NS1_11comp_targetILNS1_3genE8ELNS1_11target_archE1030ELNS1_3gpuE2ELNS1_3repE0EEENS1_30default_config_static_selectorELNS0_4arch9wavefront6targetE1EEEvT1_
	.globl	_ZN7rocprim17ROCPRIM_400000_NS6detail17trampoline_kernelINS0_14default_configENS1_29reduce_by_key_config_selectorIhlN6thrust23THRUST_200600_302600_NS4plusIlEEEEZZNS1_33reduce_by_key_impl_wrapped_configILNS1_25lookback_scan_determinismE0ES3_S9_PhNS6_17constant_iteratorIiNS6_11use_defaultESE_EENS6_10device_ptrIhEENSG_IlEEPmS8_NS6_8equal_toIhEEEE10hipError_tPvRmT2_T3_mT4_T5_T6_T7_T8_P12ihipStream_tbENKUlT_T0_E_clISt17integral_constantIbLb0EES13_EEDaSY_SZ_EUlSY_E_NS1_11comp_targetILNS1_3genE8ELNS1_11target_archE1030ELNS1_3gpuE2ELNS1_3repE0EEENS1_30default_config_static_selectorELNS0_4arch9wavefront6targetE1EEEvT1_
	.p2align	8
	.type	_ZN7rocprim17ROCPRIM_400000_NS6detail17trampoline_kernelINS0_14default_configENS1_29reduce_by_key_config_selectorIhlN6thrust23THRUST_200600_302600_NS4plusIlEEEEZZNS1_33reduce_by_key_impl_wrapped_configILNS1_25lookback_scan_determinismE0ES3_S9_PhNS6_17constant_iteratorIiNS6_11use_defaultESE_EENS6_10device_ptrIhEENSG_IlEEPmS8_NS6_8equal_toIhEEEE10hipError_tPvRmT2_T3_mT4_T5_T6_T7_T8_P12ihipStream_tbENKUlT_T0_E_clISt17integral_constantIbLb0EES13_EEDaSY_SZ_EUlSY_E_NS1_11comp_targetILNS1_3genE8ELNS1_11target_archE1030ELNS1_3gpuE2ELNS1_3repE0EEENS1_30default_config_static_selectorELNS0_4arch9wavefront6targetE1EEEvT1_,@function
_ZN7rocprim17ROCPRIM_400000_NS6detail17trampoline_kernelINS0_14default_configENS1_29reduce_by_key_config_selectorIhlN6thrust23THRUST_200600_302600_NS4plusIlEEEEZZNS1_33reduce_by_key_impl_wrapped_configILNS1_25lookback_scan_determinismE0ES3_S9_PhNS6_17constant_iteratorIiNS6_11use_defaultESE_EENS6_10device_ptrIhEENSG_IlEEPmS8_NS6_8equal_toIhEEEE10hipError_tPvRmT2_T3_mT4_T5_T6_T7_T8_P12ihipStream_tbENKUlT_T0_E_clISt17integral_constantIbLb0EES13_EEDaSY_SZ_EUlSY_E_NS1_11comp_targetILNS1_3genE8ELNS1_11target_archE1030ELNS1_3gpuE2ELNS1_3repE0EEENS1_30default_config_static_selectorELNS0_4arch9wavefront6targetE1EEEvT1_: ; @_ZN7rocprim17ROCPRIM_400000_NS6detail17trampoline_kernelINS0_14default_configENS1_29reduce_by_key_config_selectorIhlN6thrust23THRUST_200600_302600_NS4plusIlEEEEZZNS1_33reduce_by_key_impl_wrapped_configILNS1_25lookback_scan_determinismE0ES3_S9_PhNS6_17constant_iteratorIiNS6_11use_defaultESE_EENS6_10device_ptrIhEENSG_IlEEPmS8_NS6_8equal_toIhEEEE10hipError_tPvRmT2_T3_mT4_T5_T6_T7_T8_P12ihipStream_tbENKUlT_T0_E_clISt17integral_constantIbLb0EES13_EEDaSY_SZ_EUlSY_E_NS1_11comp_targetILNS1_3genE8ELNS1_11target_archE1030ELNS1_3gpuE2ELNS1_3repE0EEENS1_30default_config_static_selectorELNS0_4arch9wavefront6targetE1EEEvT1_
; %bb.0:
	.section	.rodata,"a",@progbits
	.p2align	6, 0x0
	.amdhsa_kernel _ZN7rocprim17ROCPRIM_400000_NS6detail17trampoline_kernelINS0_14default_configENS1_29reduce_by_key_config_selectorIhlN6thrust23THRUST_200600_302600_NS4plusIlEEEEZZNS1_33reduce_by_key_impl_wrapped_configILNS1_25lookback_scan_determinismE0ES3_S9_PhNS6_17constant_iteratorIiNS6_11use_defaultESE_EENS6_10device_ptrIhEENSG_IlEEPmS8_NS6_8equal_toIhEEEE10hipError_tPvRmT2_T3_mT4_T5_T6_T7_T8_P12ihipStream_tbENKUlT_T0_E_clISt17integral_constantIbLb0EES13_EEDaSY_SZ_EUlSY_E_NS1_11comp_targetILNS1_3genE8ELNS1_11target_archE1030ELNS1_3gpuE2ELNS1_3repE0EEENS1_30default_config_static_selectorELNS0_4arch9wavefront6targetE1EEEvT1_
		.amdhsa_group_segment_fixed_size 0
		.amdhsa_private_segment_fixed_size 0
		.amdhsa_kernarg_size 144
		.amdhsa_user_sgpr_count 6
		.amdhsa_user_sgpr_private_segment_buffer 1
		.amdhsa_user_sgpr_dispatch_ptr 0
		.amdhsa_user_sgpr_queue_ptr 0
		.amdhsa_user_sgpr_kernarg_segment_ptr 1
		.amdhsa_user_sgpr_dispatch_id 0
		.amdhsa_user_sgpr_flat_scratch_init 0
		.amdhsa_user_sgpr_private_segment_size 0
		.amdhsa_uses_dynamic_stack 0
		.amdhsa_system_sgpr_private_segment_wavefront_offset 0
		.amdhsa_system_sgpr_workgroup_id_x 1
		.amdhsa_system_sgpr_workgroup_id_y 0
		.amdhsa_system_sgpr_workgroup_id_z 0
		.amdhsa_system_sgpr_workgroup_info 0
		.amdhsa_system_vgpr_workitem_id 0
		.amdhsa_next_free_vgpr 1
		.amdhsa_next_free_sgpr 0
		.amdhsa_reserve_vcc 0
		.amdhsa_reserve_flat_scratch 0
		.amdhsa_float_round_mode_32 0
		.amdhsa_float_round_mode_16_64 0
		.amdhsa_float_denorm_mode_32 3
		.amdhsa_float_denorm_mode_16_64 3
		.amdhsa_dx10_clamp 1
		.amdhsa_ieee_mode 1
		.amdhsa_fp16_overflow 0
		.amdhsa_exception_fp_ieee_invalid_op 0
		.amdhsa_exception_fp_denorm_src 0
		.amdhsa_exception_fp_ieee_div_zero 0
		.amdhsa_exception_fp_ieee_overflow 0
		.amdhsa_exception_fp_ieee_underflow 0
		.amdhsa_exception_fp_ieee_inexact 0
		.amdhsa_exception_int_div_zero 0
	.end_amdhsa_kernel
	.section	.text._ZN7rocprim17ROCPRIM_400000_NS6detail17trampoline_kernelINS0_14default_configENS1_29reduce_by_key_config_selectorIhlN6thrust23THRUST_200600_302600_NS4plusIlEEEEZZNS1_33reduce_by_key_impl_wrapped_configILNS1_25lookback_scan_determinismE0ES3_S9_PhNS6_17constant_iteratorIiNS6_11use_defaultESE_EENS6_10device_ptrIhEENSG_IlEEPmS8_NS6_8equal_toIhEEEE10hipError_tPvRmT2_T3_mT4_T5_T6_T7_T8_P12ihipStream_tbENKUlT_T0_E_clISt17integral_constantIbLb0EES13_EEDaSY_SZ_EUlSY_E_NS1_11comp_targetILNS1_3genE8ELNS1_11target_archE1030ELNS1_3gpuE2ELNS1_3repE0EEENS1_30default_config_static_selectorELNS0_4arch9wavefront6targetE1EEEvT1_,"axG",@progbits,_ZN7rocprim17ROCPRIM_400000_NS6detail17trampoline_kernelINS0_14default_configENS1_29reduce_by_key_config_selectorIhlN6thrust23THRUST_200600_302600_NS4plusIlEEEEZZNS1_33reduce_by_key_impl_wrapped_configILNS1_25lookback_scan_determinismE0ES3_S9_PhNS6_17constant_iteratorIiNS6_11use_defaultESE_EENS6_10device_ptrIhEENSG_IlEEPmS8_NS6_8equal_toIhEEEE10hipError_tPvRmT2_T3_mT4_T5_T6_T7_T8_P12ihipStream_tbENKUlT_T0_E_clISt17integral_constantIbLb0EES13_EEDaSY_SZ_EUlSY_E_NS1_11comp_targetILNS1_3genE8ELNS1_11target_archE1030ELNS1_3gpuE2ELNS1_3repE0EEENS1_30default_config_static_selectorELNS0_4arch9wavefront6targetE1EEEvT1_,comdat
.Lfunc_end372:
	.size	_ZN7rocprim17ROCPRIM_400000_NS6detail17trampoline_kernelINS0_14default_configENS1_29reduce_by_key_config_selectorIhlN6thrust23THRUST_200600_302600_NS4plusIlEEEEZZNS1_33reduce_by_key_impl_wrapped_configILNS1_25lookback_scan_determinismE0ES3_S9_PhNS6_17constant_iteratorIiNS6_11use_defaultESE_EENS6_10device_ptrIhEENSG_IlEEPmS8_NS6_8equal_toIhEEEE10hipError_tPvRmT2_T3_mT4_T5_T6_T7_T8_P12ihipStream_tbENKUlT_T0_E_clISt17integral_constantIbLb0EES13_EEDaSY_SZ_EUlSY_E_NS1_11comp_targetILNS1_3genE8ELNS1_11target_archE1030ELNS1_3gpuE2ELNS1_3repE0EEENS1_30default_config_static_selectorELNS0_4arch9wavefront6targetE1EEEvT1_, .Lfunc_end372-_ZN7rocprim17ROCPRIM_400000_NS6detail17trampoline_kernelINS0_14default_configENS1_29reduce_by_key_config_selectorIhlN6thrust23THRUST_200600_302600_NS4plusIlEEEEZZNS1_33reduce_by_key_impl_wrapped_configILNS1_25lookback_scan_determinismE0ES3_S9_PhNS6_17constant_iteratorIiNS6_11use_defaultESE_EENS6_10device_ptrIhEENSG_IlEEPmS8_NS6_8equal_toIhEEEE10hipError_tPvRmT2_T3_mT4_T5_T6_T7_T8_P12ihipStream_tbENKUlT_T0_E_clISt17integral_constantIbLb0EES13_EEDaSY_SZ_EUlSY_E_NS1_11comp_targetILNS1_3genE8ELNS1_11target_archE1030ELNS1_3gpuE2ELNS1_3repE0EEENS1_30default_config_static_selectorELNS0_4arch9wavefront6targetE1EEEvT1_
                                        ; -- End function
	.set _ZN7rocprim17ROCPRIM_400000_NS6detail17trampoline_kernelINS0_14default_configENS1_29reduce_by_key_config_selectorIhlN6thrust23THRUST_200600_302600_NS4plusIlEEEEZZNS1_33reduce_by_key_impl_wrapped_configILNS1_25lookback_scan_determinismE0ES3_S9_PhNS6_17constant_iteratorIiNS6_11use_defaultESE_EENS6_10device_ptrIhEENSG_IlEEPmS8_NS6_8equal_toIhEEEE10hipError_tPvRmT2_T3_mT4_T5_T6_T7_T8_P12ihipStream_tbENKUlT_T0_E_clISt17integral_constantIbLb0EES13_EEDaSY_SZ_EUlSY_E_NS1_11comp_targetILNS1_3genE8ELNS1_11target_archE1030ELNS1_3gpuE2ELNS1_3repE0EEENS1_30default_config_static_selectorELNS0_4arch9wavefront6targetE1EEEvT1_.num_vgpr, 0
	.set _ZN7rocprim17ROCPRIM_400000_NS6detail17trampoline_kernelINS0_14default_configENS1_29reduce_by_key_config_selectorIhlN6thrust23THRUST_200600_302600_NS4plusIlEEEEZZNS1_33reduce_by_key_impl_wrapped_configILNS1_25lookback_scan_determinismE0ES3_S9_PhNS6_17constant_iteratorIiNS6_11use_defaultESE_EENS6_10device_ptrIhEENSG_IlEEPmS8_NS6_8equal_toIhEEEE10hipError_tPvRmT2_T3_mT4_T5_T6_T7_T8_P12ihipStream_tbENKUlT_T0_E_clISt17integral_constantIbLb0EES13_EEDaSY_SZ_EUlSY_E_NS1_11comp_targetILNS1_3genE8ELNS1_11target_archE1030ELNS1_3gpuE2ELNS1_3repE0EEENS1_30default_config_static_selectorELNS0_4arch9wavefront6targetE1EEEvT1_.num_agpr, 0
	.set _ZN7rocprim17ROCPRIM_400000_NS6detail17trampoline_kernelINS0_14default_configENS1_29reduce_by_key_config_selectorIhlN6thrust23THRUST_200600_302600_NS4plusIlEEEEZZNS1_33reduce_by_key_impl_wrapped_configILNS1_25lookback_scan_determinismE0ES3_S9_PhNS6_17constant_iteratorIiNS6_11use_defaultESE_EENS6_10device_ptrIhEENSG_IlEEPmS8_NS6_8equal_toIhEEEE10hipError_tPvRmT2_T3_mT4_T5_T6_T7_T8_P12ihipStream_tbENKUlT_T0_E_clISt17integral_constantIbLb0EES13_EEDaSY_SZ_EUlSY_E_NS1_11comp_targetILNS1_3genE8ELNS1_11target_archE1030ELNS1_3gpuE2ELNS1_3repE0EEENS1_30default_config_static_selectorELNS0_4arch9wavefront6targetE1EEEvT1_.numbered_sgpr, 0
	.set _ZN7rocprim17ROCPRIM_400000_NS6detail17trampoline_kernelINS0_14default_configENS1_29reduce_by_key_config_selectorIhlN6thrust23THRUST_200600_302600_NS4plusIlEEEEZZNS1_33reduce_by_key_impl_wrapped_configILNS1_25lookback_scan_determinismE0ES3_S9_PhNS6_17constant_iteratorIiNS6_11use_defaultESE_EENS6_10device_ptrIhEENSG_IlEEPmS8_NS6_8equal_toIhEEEE10hipError_tPvRmT2_T3_mT4_T5_T6_T7_T8_P12ihipStream_tbENKUlT_T0_E_clISt17integral_constantIbLb0EES13_EEDaSY_SZ_EUlSY_E_NS1_11comp_targetILNS1_3genE8ELNS1_11target_archE1030ELNS1_3gpuE2ELNS1_3repE0EEENS1_30default_config_static_selectorELNS0_4arch9wavefront6targetE1EEEvT1_.num_named_barrier, 0
	.set _ZN7rocprim17ROCPRIM_400000_NS6detail17trampoline_kernelINS0_14default_configENS1_29reduce_by_key_config_selectorIhlN6thrust23THRUST_200600_302600_NS4plusIlEEEEZZNS1_33reduce_by_key_impl_wrapped_configILNS1_25lookback_scan_determinismE0ES3_S9_PhNS6_17constant_iteratorIiNS6_11use_defaultESE_EENS6_10device_ptrIhEENSG_IlEEPmS8_NS6_8equal_toIhEEEE10hipError_tPvRmT2_T3_mT4_T5_T6_T7_T8_P12ihipStream_tbENKUlT_T0_E_clISt17integral_constantIbLb0EES13_EEDaSY_SZ_EUlSY_E_NS1_11comp_targetILNS1_3genE8ELNS1_11target_archE1030ELNS1_3gpuE2ELNS1_3repE0EEENS1_30default_config_static_selectorELNS0_4arch9wavefront6targetE1EEEvT1_.private_seg_size, 0
	.set _ZN7rocprim17ROCPRIM_400000_NS6detail17trampoline_kernelINS0_14default_configENS1_29reduce_by_key_config_selectorIhlN6thrust23THRUST_200600_302600_NS4plusIlEEEEZZNS1_33reduce_by_key_impl_wrapped_configILNS1_25lookback_scan_determinismE0ES3_S9_PhNS6_17constant_iteratorIiNS6_11use_defaultESE_EENS6_10device_ptrIhEENSG_IlEEPmS8_NS6_8equal_toIhEEEE10hipError_tPvRmT2_T3_mT4_T5_T6_T7_T8_P12ihipStream_tbENKUlT_T0_E_clISt17integral_constantIbLb0EES13_EEDaSY_SZ_EUlSY_E_NS1_11comp_targetILNS1_3genE8ELNS1_11target_archE1030ELNS1_3gpuE2ELNS1_3repE0EEENS1_30default_config_static_selectorELNS0_4arch9wavefront6targetE1EEEvT1_.uses_vcc, 0
	.set _ZN7rocprim17ROCPRIM_400000_NS6detail17trampoline_kernelINS0_14default_configENS1_29reduce_by_key_config_selectorIhlN6thrust23THRUST_200600_302600_NS4plusIlEEEEZZNS1_33reduce_by_key_impl_wrapped_configILNS1_25lookback_scan_determinismE0ES3_S9_PhNS6_17constant_iteratorIiNS6_11use_defaultESE_EENS6_10device_ptrIhEENSG_IlEEPmS8_NS6_8equal_toIhEEEE10hipError_tPvRmT2_T3_mT4_T5_T6_T7_T8_P12ihipStream_tbENKUlT_T0_E_clISt17integral_constantIbLb0EES13_EEDaSY_SZ_EUlSY_E_NS1_11comp_targetILNS1_3genE8ELNS1_11target_archE1030ELNS1_3gpuE2ELNS1_3repE0EEENS1_30default_config_static_selectorELNS0_4arch9wavefront6targetE1EEEvT1_.uses_flat_scratch, 0
	.set _ZN7rocprim17ROCPRIM_400000_NS6detail17trampoline_kernelINS0_14default_configENS1_29reduce_by_key_config_selectorIhlN6thrust23THRUST_200600_302600_NS4plusIlEEEEZZNS1_33reduce_by_key_impl_wrapped_configILNS1_25lookback_scan_determinismE0ES3_S9_PhNS6_17constant_iteratorIiNS6_11use_defaultESE_EENS6_10device_ptrIhEENSG_IlEEPmS8_NS6_8equal_toIhEEEE10hipError_tPvRmT2_T3_mT4_T5_T6_T7_T8_P12ihipStream_tbENKUlT_T0_E_clISt17integral_constantIbLb0EES13_EEDaSY_SZ_EUlSY_E_NS1_11comp_targetILNS1_3genE8ELNS1_11target_archE1030ELNS1_3gpuE2ELNS1_3repE0EEENS1_30default_config_static_selectorELNS0_4arch9wavefront6targetE1EEEvT1_.has_dyn_sized_stack, 0
	.set _ZN7rocprim17ROCPRIM_400000_NS6detail17trampoline_kernelINS0_14default_configENS1_29reduce_by_key_config_selectorIhlN6thrust23THRUST_200600_302600_NS4plusIlEEEEZZNS1_33reduce_by_key_impl_wrapped_configILNS1_25lookback_scan_determinismE0ES3_S9_PhNS6_17constant_iteratorIiNS6_11use_defaultESE_EENS6_10device_ptrIhEENSG_IlEEPmS8_NS6_8equal_toIhEEEE10hipError_tPvRmT2_T3_mT4_T5_T6_T7_T8_P12ihipStream_tbENKUlT_T0_E_clISt17integral_constantIbLb0EES13_EEDaSY_SZ_EUlSY_E_NS1_11comp_targetILNS1_3genE8ELNS1_11target_archE1030ELNS1_3gpuE2ELNS1_3repE0EEENS1_30default_config_static_selectorELNS0_4arch9wavefront6targetE1EEEvT1_.has_recursion, 0
	.set _ZN7rocprim17ROCPRIM_400000_NS6detail17trampoline_kernelINS0_14default_configENS1_29reduce_by_key_config_selectorIhlN6thrust23THRUST_200600_302600_NS4plusIlEEEEZZNS1_33reduce_by_key_impl_wrapped_configILNS1_25lookback_scan_determinismE0ES3_S9_PhNS6_17constant_iteratorIiNS6_11use_defaultESE_EENS6_10device_ptrIhEENSG_IlEEPmS8_NS6_8equal_toIhEEEE10hipError_tPvRmT2_T3_mT4_T5_T6_T7_T8_P12ihipStream_tbENKUlT_T0_E_clISt17integral_constantIbLb0EES13_EEDaSY_SZ_EUlSY_E_NS1_11comp_targetILNS1_3genE8ELNS1_11target_archE1030ELNS1_3gpuE2ELNS1_3repE0EEENS1_30default_config_static_selectorELNS0_4arch9wavefront6targetE1EEEvT1_.has_indirect_call, 0
	.section	.AMDGPU.csdata,"",@progbits
; Kernel info:
; codeLenInByte = 0
; TotalNumSgprs: 4
; NumVgprs: 0
; ScratchSize: 0
; MemoryBound: 0
; FloatMode: 240
; IeeeMode: 1
; LDSByteSize: 0 bytes/workgroup (compile time only)
; SGPRBlocks: 0
; VGPRBlocks: 0
; NumSGPRsForWavesPerEU: 4
; NumVGPRsForWavesPerEU: 1
; Occupancy: 10
; WaveLimiterHint : 0
; COMPUTE_PGM_RSRC2:SCRATCH_EN: 0
; COMPUTE_PGM_RSRC2:USER_SGPR: 6
; COMPUTE_PGM_RSRC2:TRAP_HANDLER: 0
; COMPUTE_PGM_RSRC2:TGID_X_EN: 1
; COMPUTE_PGM_RSRC2:TGID_Y_EN: 0
; COMPUTE_PGM_RSRC2:TGID_Z_EN: 0
; COMPUTE_PGM_RSRC2:TIDIG_COMP_CNT: 0
	.section	.text._ZN7rocprim17ROCPRIM_400000_NS6detail25reduce_by_key_init_kernelINS1_19lookback_scan_stateINS0_5tupleIJjlEEELb1ELb0EEElNS1_16block_id_wrapperIjLb1EEEEEvT_jbjPmPT0_T1_,"axG",@progbits,_ZN7rocprim17ROCPRIM_400000_NS6detail25reduce_by_key_init_kernelINS1_19lookback_scan_stateINS0_5tupleIJjlEEELb1ELb0EEElNS1_16block_id_wrapperIjLb1EEEEEvT_jbjPmPT0_T1_,comdat
	.protected	_ZN7rocprim17ROCPRIM_400000_NS6detail25reduce_by_key_init_kernelINS1_19lookback_scan_stateINS0_5tupleIJjlEEELb1ELb0EEElNS1_16block_id_wrapperIjLb1EEEEEvT_jbjPmPT0_T1_ ; -- Begin function _ZN7rocprim17ROCPRIM_400000_NS6detail25reduce_by_key_init_kernelINS1_19lookback_scan_stateINS0_5tupleIJjlEEELb1ELb0EEElNS1_16block_id_wrapperIjLb1EEEEEvT_jbjPmPT0_T1_
	.globl	_ZN7rocprim17ROCPRIM_400000_NS6detail25reduce_by_key_init_kernelINS1_19lookback_scan_stateINS0_5tupleIJjlEEELb1ELb0EEElNS1_16block_id_wrapperIjLb1EEEEEvT_jbjPmPT0_T1_
	.p2align	8
	.type	_ZN7rocprim17ROCPRIM_400000_NS6detail25reduce_by_key_init_kernelINS1_19lookback_scan_stateINS0_5tupleIJjlEEELb1ELb0EEElNS1_16block_id_wrapperIjLb1EEEEEvT_jbjPmPT0_T1_,@function
_ZN7rocprim17ROCPRIM_400000_NS6detail25reduce_by_key_init_kernelINS1_19lookback_scan_stateINS0_5tupleIJjlEEELb1ELb0EEElNS1_16block_id_wrapperIjLb1EEEEEvT_jbjPmPT0_T1_: ; @_ZN7rocprim17ROCPRIM_400000_NS6detail25reduce_by_key_init_kernelINS1_19lookback_scan_stateINS0_5tupleIJjlEEELb1ELb0EEElNS1_16block_id_wrapperIjLb1EEEEEvT_jbjPmPT0_T1_
; %bb.0:
	s_load_dwordx8 s[8:15], s[4:5], 0x18
	s_load_dword s0, s[4:5], 0x4c
	s_load_dwordx2 s[18:19], s[4:5], 0x38
	s_load_dwordx2 s[16:17], s[4:5], 0x10
	s_waitcnt lgkmcnt(0)
	s_and_b32 s1, s9, 1
	s_and_b32 s0, s0, 0xffff
	s_mul_i32 s6, s6, s0
	s_cmp_eq_u32 s1, 0
	v_add_u32_e32 v0, s6, v0
	s_mov_b64 s[0:1], -1
	s_cbranch_scc1 .LBB373_6
; %bb.1:
	s_andn2_b64 vcc, exec, s[0:1]
	v_cmp_eq_u32_e64 s[0:1], 0, v0
	s_cbranch_vccz .LBB373_14
.LBB373_2:
	v_cmp_eq_u32_e32 vcc, 0, v0
	s_and_saveexec_b64 s[0:1], vcc
	s_cbranch_execnz .LBB373_17
.LBB373_3:
	s_or_b64 exec, exec, s[0:1]
	v_cmp_gt_u32_e32 vcc, s8, v0
	s_and_saveexec_b64 s[0:1], vcc
	s_cbranch_execnz .LBB373_18
.LBB373_4:
	s_or_b64 exec, exec, s[0:1]
	v_cmp_gt_u32_e32 vcc, 64, v0
	s_and_saveexec_b64 s[0:1], vcc
	s_cbranch_execnz .LBB373_19
.LBB373_5:
	s_endpgm
.LBB373_6:
	s_cmp_lt_u32 s10, s8
	s_cselect_b32 s0, s10, 0
	v_cmp_eq_u32_e32 vcc, s0, v0
	s_and_saveexec_b64 s[6:7], vcc
	s_cbranch_execz .LBB373_13
; %bb.7:
	s_add_i32 s10, s10, 64
	v_mov_b32_e32 v1, s10
	global_load_ubyte v2, v1, s[16:17] glc
	s_load_dwordx4 s[0:3], s[4:5], 0x0
	v_mov_b32_e32 v1, 0
	s_add_u32 s4, s16, s10
	s_mov_b32 s11, 0
	s_addc_u32 s5, s17, 0
	s_waitcnt vmcnt(0)
	v_cmp_ne_u32_sdwa s[20:21], v2, v1 src0_sel:WORD_0 src1_sel:DWORD
	s_and_b64 vcc, exec, s[20:21]
	v_readfirstlane_b32 s20, v2
	s_cbranch_vccnz .LBB373_12
; %bb.8:
	s_mov_b32 s9, 1
.LBB373_9:                              ; =>This Loop Header: Depth=1
                                        ;     Child Loop BB373_10 Depth 2
	s_mov_b32 s20, s9
.LBB373_10:                             ;   Parent Loop BB373_9 Depth=1
                                        ; =>  This Inner Loop Header: Depth=2
	s_add_i32 s20, s20, -1
	s_cmp_eq_u32 s20, 0
	s_sleep 1
	s_cbranch_scc0 .LBB373_10
; %bb.11:                               ;   in Loop: Header=BB373_9 Depth=1
	global_load_ubyte v2, v1, s[4:5] glc
	s_cmp_lt_u32 s9, 32
	s_cselect_b64 s[20:21], -1, 0
	s_cmp_lg_u64 s[20:21], 0
	s_addc_u32 s9, s9, 0
	s_waitcnt vmcnt(0)
	v_cmp_ne_u32_sdwa s[20:21], v2, v1 src0_sel:WORD_0 src1_sel:DWORD
	s_and_b64 vcc, exec, s[20:21]
	v_readfirstlane_b32 s20, v2
	s_cbranch_vccz .LBB373_9
.LBB373_12:
	s_and_b32 s4, 0xffff, s20
	s_cmp_eq_u32 s4, 1
	s_waitcnt lgkmcnt(0)
	s_cselect_b32 s3, s1, s3
	s_cselect_b32 s2, s0, s2
	s_lshl_b64 s[0:1], s[10:11], 4
	s_add_u32 s0, s2, s0
	v_mov_b32_e32 v5, 0
	s_addc_u32 s1, s3, s1
	buffer_wbinvl1_vol
	global_load_dword v6, v5, s[0:1]
	global_load_dwordx2 v[1:2], v5, s[12:13]
	global_load_dwordx2 v[3:4], v5, s[0:1] offset:8
	s_waitcnt vmcnt(1)
	v_add_co_u32_e32 v1, vcc, v1, v6
	v_addc_co_u32_e32 v2, vcc, 0, v2, vcc
	global_store_dwordx2 v5, v[1:2], s[12:13]
	s_waitcnt vmcnt(1)
	global_store_dwordx2 v5, v[3:4], s[14:15]
.LBB373_13:
	s_or_b64 exec, exec, s[6:7]
	v_cmp_eq_u32_e64 s[0:1], 0, v0
	s_cbranch_execnz .LBB373_2
.LBB373_14:
	s_cmp_lg_u64 s[12:13], 0
	s_cselect_b64 s[2:3], -1, 0
	s_and_b64 s[2:3], s[2:3], s[0:1]
	s_and_saveexec_b64 s[0:1], s[2:3]
	s_cbranch_execz .LBB373_16
; %bb.15:
	v_mov_b32_e32 v1, 0
	v_mov_b32_e32 v2, v1
	global_store_dwordx2 v1, v[1:2], s[12:13]
.LBB373_16:
	s_or_b64 exec, exec, s[0:1]
	v_cmp_eq_u32_e32 vcc, 0, v0
	s_and_saveexec_b64 s[0:1], vcc
	s_cbranch_execz .LBB373_3
.LBB373_17:
	v_mov_b32_e32 v1, 0
	global_store_dword v1, v1, s[18:19]
	s_or_b64 exec, exec, s[0:1]
	v_cmp_gt_u32_e32 vcc, s8, v0
	s_and_saveexec_b64 s[0:1], vcc
	s_cbranch_execz .LBB373_4
.LBB373_18:
	v_add_u32_e32 v1, 64, v0
	v_mov_b32_e32 v2, 0
	global_store_byte v1, v2, s[16:17]
	s_or_b64 exec, exec, s[0:1]
	v_cmp_gt_u32_e32 vcc, 64, v0
	s_and_saveexec_b64 s[0:1], vcc
	s_cbranch_execz .LBB373_5
.LBB373_19:
	v_mov_b32_e32 v1, 0xff
	global_store_byte v0, v1, s[16:17]
	s_endpgm
	.section	.rodata,"a",@progbits
	.p2align	6, 0x0
	.amdhsa_kernel _ZN7rocprim17ROCPRIM_400000_NS6detail25reduce_by_key_init_kernelINS1_19lookback_scan_stateINS0_5tupleIJjlEEELb1ELb0EEElNS1_16block_id_wrapperIjLb1EEEEEvT_jbjPmPT0_T1_
		.amdhsa_group_segment_fixed_size 0
		.amdhsa_private_segment_fixed_size 0
		.amdhsa_kernarg_size 320
		.amdhsa_user_sgpr_count 6
		.amdhsa_user_sgpr_private_segment_buffer 1
		.amdhsa_user_sgpr_dispatch_ptr 0
		.amdhsa_user_sgpr_queue_ptr 0
		.amdhsa_user_sgpr_kernarg_segment_ptr 1
		.amdhsa_user_sgpr_dispatch_id 0
		.amdhsa_user_sgpr_flat_scratch_init 0
		.amdhsa_user_sgpr_private_segment_size 0
		.amdhsa_uses_dynamic_stack 0
		.amdhsa_system_sgpr_private_segment_wavefront_offset 0
		.amdhsa_system_sgpr_workgroup_id_x 1
		.amdhsa_system_sgpr_workgroup_id_y 0
		.amdhsa_system_sgpr_workgroup_id_z 0
		.amdhsa_system_sgpr_workgroup_info 0
		.amdhsa_system_vgpr_workitem_id 0
		.amdhsa_next_free_vgpr 7
		.amdhsa_next_free_sgpr 22
		.amdhsa_reserve_vcc 1
		.amdhsa_reserve_flat_scratch 0
		.amdhsa_float_round_mode_32 0
		.amdhsa_float_round_mode_16_64 0
		.amdhsa_float_denorm_mode_32 3
		.amdhsa_float_denorm_mode_16_64 3
		.amdhsa_dx10_clamp 1
		.amdhsa_ieee_mode 1
		.amdhsa_fp16_overflow 0
		.amdhsa_exception_fp_ieee_invalid_op 0
		.amdhsa_exception_fp_denorm_src 0
		.amdhsa_exception_fp_ieee_div_zero 0
		.amdhsa_exception_fp_ieee_overflow 0
		.amdhsa_exception_fp_ieee_underflow 0
		.amdhsa_exception_fp_ieee_inexact 0
		.amdhsa_exception_int_div_zero 0
	.end_amdhsa_kernel
	.section	.text._ZN7rocprim17ROCPRIM_400000_NS6detail25reduce_by_key_init_kernelINS1_19lookback_scan_stateINS0_5tupleIJjlEEELb1ELb0EEElNS1_16block_id_wrapperIjLb1EEEEEvT_jbjPmPT0_T1_,"axG",@progbits,_ZN7rocprim17ROCPRIM_400000_NS6detail25reduce_by_key_init_kernelINS1_19lookback_scan_stateINS0_5tupleIJjlEEELb1ELb0EEElNS1_16block_id_wrapperIjLb1EEEEEvT_jbjPmPT0_T1_,comdat
.Lfunc_end373:
	.size	_ZN7rocprim17ROCPRIM_400000_NS6detail25reduce_by_key_init_kernelINS1_19lookback_scan_stateINS0_5tupleIJjlEEELb1ELb0EEElNS1_16block_id_wrapperIjLb1EEEEEvT_jbjPmPT0_T1_, .Lfunc_end373-_ZN7rocprim17ROCPRIM_400000_NS6detail25reduce_by_key_init_kernelINS1_19lookback_scan_stateINS0_5tupleIJjlEEELb1ELb0EEElNS1_16block_id_wrapperIjLb1EEEEEvT_jbjPmPT0_T1_
                                        ; -- End function
	.set _ZN7rocprim17ROCPRIM_400000_NS6detail25reduce_by_key_init_kernelINS1_19lookback_scan_stateINS0_5tupleIJjlEEELb1ELb0EEElNS1_16block_id_wrapperIjLb1EEEEEvT_jbjPmPT0_T1_.num_vgpr, 7
	.set _ZN7rocprim17ROCPRIM_400000_NS6detail25reduce_by_key_init_kernelINS1_19lookback_scan_stateINS0_5tupleIJjlEEELb1ELb0EEElNS1_16block_id_wrapperIjLb1EEEEEvT_jbjPmPT0_T1_.num_agpr, 0
	.set _ZN7rocprim17ROCPRIM_400000_NS6detail25reduce_by_key_init_kernelINS1_19lookback_scan_stateINS0_5tupleIJjlEEELb1ELb0EEElNS1_16block_id_wrapperIjLb1EEEEEvT_jbjPmPT0_T1_.numbered_sgpr, 22
	.set _ZN7rocprim17ROCPRIM_400000_NS6detail25reduce_by_key_init_kernelINS1_19lookback_scan_stateINS0_5tupleIJjlEEELb1ELb0EEElNS1_16block_id_wrapperIjLb1EEEEEvT_jbjPmPT0_T1_.num_named_barrier, 0
	.set _ZN7rocprim17ROCPRIM_400000_NS6detail25reduce_by_key_init_kernelINS1_19lookback_scan_stateINS0_5tupleIJjlEEELb1ELb0EEElNS1_16block_id_wrapperIjLb1EEEEEvT_jbjPmPT0_T1_.private_seg_size, 0
	.set _ZN7rocprim17ROCPRIM_400000_NS6detail25reduce_by_key_init_kernelINS1_19lookback_scan_stateINS0_5tupleIJjlEEELb1ELb0EEElNS1_16block_id_wrapperIjLb1EEEEEvT_jbjPmPT0_T1_.uses_vcc, 1
	.set _ZN7rocprim17ROCPRIM_400000_NS6detail25reduce_by_key_init_kernelINS1_19lookback_scan_stateINS0_5tupleIJjlEEELb1ELb0EEElNS1_16block_id_wrapperIjLb1EEEEEvT_jbjPmPT0_T1_.uses_flat_scratch, 0
	.set _ZN7rocprim17ROCPRIM_400000_NS6detail25reduce_by_key_init_kernelINS1_19lookback_scan_stateINS0_5tupleIJjlEEELb1ELb0EEElNS1_16block_id_wrapperIjLb1EEEEEvT_jbjPmPT0_T1_.has_dyn_sized_stack, 0
	.set _ZN7rocprim17ROCPRIM_400000_NS6detail25reduce_by_key_init_kernelINS1_19lookback_scan_stateINS0_5tupleIJjlEEELb1ELb0EEElNS1_16block_id_wrapperIjLb1EEEEEvT_jbjPmPT0_T1_.has_recursion, 0
	.set _ZN7rocprim17ROCPRIM_400000_NS6detail25reduce_by_key_init_kernelINS1_19lookback_scan_stateINS0_5tupleIJjlEEELb1ELb0EEElNS1_16block_id_wrapperIjLb1EEEEEvT_jbjPmPT0_T1_.has_indirect_call, 0
	.section	.AMDGPU.csdata,"",@progbits
; Kernel info:
; codeLenInByte = 540
; TotalNumSgprs: 26
; NumVgprs: 7
; ScratchSize: 0
; MemoryBound: 0
; FloatMode: 240
; IeeeMode: 1
; LDSByteSize: 0 bytes/workgroup (compile time only)
; SGPRBlocks: 3
; VGPRBlocks: 1
; NumSGPRsForWavesPerEU: 26
; NumVGPRsForWavesPerEU: 7
; Occupancy: 10
; WaveLimiterHint : 0
; COMPUTE_PGM_RSRC2:SCRATCH_EN: 0
; COMPUTE_PGM_RSRC2:USER_SGPR: 6
; COMPUTE_PGM_RSRC2:TRAP_HANDLER: 0
; COMPUTE_PGM_RSRC2:TGID_X_EN: 1
; COMPUTE_PGM_RSRC2:TGID_Y_EN: 0
; COMPUTE_PGM_RSRC2:TGID_Z_EN: 0
; COMPUTE_PGM_RSRC2:TIDIG_COMP_CNT: 0
	.section	.text._ZN7rocprim17ROCPRIM_400000_NS6detail17trampoline_kernelINS0_14default_configENS1_29reduce_by_key_config_selectorIhlN6thrust23THRUST_200600_302600_NS4plusIlEEEEZZNS1_33reduce_by_key_impl_wrapped_configILNS1_25lookback_scan_determinismE0ES3_S9_PhNS6_17constant_iteratorIiNS6_11use_defaultESE_EENS6_10device_ptrIhEENSG_IlEEPmS8_NS6_8equal_toIhEEEE10hipError_tPvRmT2_T3_mT4_T5_T6_T7_T8_P12ihipStream_tbENKUlT_T0_E_clISt17integral_constantIbLb1EES13_EEDaSY_SZ_EUlSY_E_NS1_11comp_targetILNS1_3genE0ELNS1_11target_archE4294967295ELNS1_3gpuE0ELNS1_3repE0EEENS1_30default_config_static_selectorELNS0_4arch9wavefront6targetE1EEEvT1_,"axG",@progbits,_ZN7rocprim17ROCPRIM_400000_NS6detail17trampoline_kernelINS0_14default_configENS1_29reduce_by_key_config_selectorIhlN6thrust23THRUST_200600_302600_NS4plusIlEEEEZZNS1_33reduce_by_key_impl_wrapped_configILNS1_25lookback_scan_determinismE0ES3_S9_PhNS6_17constant_iteratorIiNS6_11use_defaultESE_EENS6_10device_ptrIhEENSG_IlEEPmS8_NS6_8equal_toIhEEEE10hipError_tPvRmT2_T3_mT4_T5_T6_T7_T8_P12ihipStream_tbENKUlT_T0_E_clISt17integral_constantIbLb1EES13_EEDaSY_SZ_EUlSY_E_NS1_11comp_targetILNS1_3genE0ELNS1_11target_archE4294967295ELNS1_3gpuE0ELNS1_3repE0EEENS1_30default_config_static_selectorELNS0_4arch9wavefront6targetE1EEEvT1_,comdat
	.protected	_ZN7rocprim17ROCPRIM_400000_NS6detail17trampoline_kernelINS0_14default_configENS1_29reduce_by_key_config_selectorIhlN6thrust23THRUST_200600_302600_NS4plusIlEEEEZZNS1_33reduce_by_key_impl_wrapped_configILNS1_25lookback_scan_determinismE0ES3_S9_PhNS6_17constant_iteratorIiNS6_11use_defaultESE_EENS6_10device_ptrIhEENSG_IlEEPmS8_NS6_8equal_toIhEEEE10hipError_tPvRmT2_T3_mT4_T5_T6_T7_T8_P12ihipStream_tbENKUlT_T0_E_clISt17integral_constantIbLb1EES13_EEDaSY_SZ_EUlSY_E_NS1_11comp_targetILNS1_3genE0ELNS1_11target_archE4294967295ELNS1_3gpuE0ELNS1_3repE0EEENS1_30default_config_static_selectorELNS0_4arch9wavefront6targetE1EEEvT1_ ; -- Begin function _ZN7rocprim17ROCPRIM_400000_NS6detail17trampoline_kernelINS0_14default_configENS1_29reduce_by_key_config_selectorIhlN6thrust23THRUST_200600_302600_NS4plusIlEEEEZZNS1_33reduce_by_key_impl_wrapped_configILNS1_25lookback_scan_determinismE0ES3_S9_PhNS6_17constant_iteratorIiNS6_11use_defaultESE_EENS6_10device_ptrIhEENSG_IlEEPmS8_NS6_8equal_toIhEEEE10hipError_tPvRmT2_T3_mT4_T5_T6_T7_T8_P12ihipStream_tbENKUlT_T0_E_clISt17integral_constantIbLb1EES13_EEDaSY_SZ_EUlSY_E_NS1_11comp_targetILNS1_3genE0ELNS1_11target_archE4294967295ELNS1_3gpuE0ELNS1_3repE0EEENS1_30default_config_static_selectorELNS0_4arch9wavefront6targetE1EEEvT1_
	.globl	_ZN7rocprim17ROCPRIM_400000_NS6detail17trampoline_kernelINS0_14default_configENS1_29reduce_by_key_config_selectorIhlN6thrust23THRUST_200600_302600_NS4plusIlEEEEZZNS1_33reduce_by_key_impl_wrapped_configILNS1_25lookback_scan_determinismE0ES3_S9_PhNS6_17constant_iteratorIiNS6_11use_defaultESE_EENS6_10device_ptrIhEENSG_IlEEPmS8_NS6_8equal_toIhEEEE10hipError_tPvRmT2_T3_mT4_T5_T6_T7_T8_P12ihipStream_tbENKUlT_T0_E_clISt17integral_constantIbLb1EES13_EEDaSY_SZ_EUlSY_E_NS1_11comp_targetILNS1_3genE0ELNS1_11target_archE4294967295ELNS1_3gpuE0ELNS1_3repE0EEENS1_30default_config_static_selectorELNS0_4arch9wavefront6targetE1EEEvT1_
	.p2align	8
	.type	_ZN7rocprim17ROCPRIM_400000_NS6detail17trampoline_kernelINS0_14default_configENS1_29reduce_by_key_config_selectorIhlN6thrust23THRUST_200600_302600_NS4plusIlEEEEZZNS1_33reduce_by_key_impl_wrapped_configILNS1_25lookback_scan_determinismE0ES3_S9_PhNS6_17constant_iteratorIiNS6_11use_defaultESE_EENS6_10device_ptrIhEENSG_IlEEPmS8_NS6_8equal_toIhEEEE10hipError_tPvRmT2_T3_mT4_T5_T6_T7_T8_P12ihipStream_tbENKUlT_T0_E_clISt17integral_constantIbLb1EES13_EEDaSY_SZ_EUlSY_E_NS1_11comp_targetILNS1_3genE0ELNS1_11target_archE4294967295ELNS1_3gpuE0ELNS1_3repE0EEENS1_30default_config_static_selectorELNS0_4arch9wavefront6targetE1EEEvT1_,@function
_ZN7rocprim17ROCPRIM_400000_NS6detail17trampoline_kernelINS0_14default_configENS1_29reduce_by_key_config_selectorIhlN6thrust23THRUST_200600_302600_NS4plusIlEEEEZZNS1_33reduce_by_key_impl_wrapped_configILNS1_25lookback_scan_determinismE0ES3_S9_PhNS6_17constant_iteratorIiNS6_11use_defaultESE_EENS6_10device_ptrIhEENSG_IlEEPmS8_NS6_8equal_toIhEEEE10hipError_tPvRmT2_T3_mT4_T5_T6_T7_T8_P12ihipStream_tbENKUlT_T0_E_clISt17integral_constantIbLb1EES13_EEDaSY_SZ_EUlSY_E_NS1_11comp_targetILNS1_3genE0ELNS1_11target_archE4294967295ELNS1_3gpuE0ELNS1_3repE0EEENS1_30default_config_static_selectorELNS0_4arch9wavefront6targetE1EEEvT1_: ; @_ZN7rocprim17ROCPRIM_400000_NS6detail17trampoline_kernelINS0_14default_configENS1_29reduce_by_key_config_selectorIhlN6thrust23THRUST_200600_302600_NS4plusIlEEEEZZNS1_33reduce_by_key_impl_wrapped_configILNS1_25lookback_scan_determinismE0ES3_S9_PhNS6_17constant_iteratorIiNS6_11use_defaultESE_EENS6_10device_ptrIhEENSG_IlEEPmS8_NS6_8equal_toIhEEEE10hipError_tPvRmT2_T3_mT4_T5_T6_T7_T8_P12ihipStream_tbENKUlT_T0_E_clISt17integral_constantIbLb1EES13_EEDaSY_SZ_EUlSY_E_NS1_11comp_targetILNS1_3genE0ELNS1_11target_archE4294967295ELNS1_3gpuE0ELNS1_3repE0EEENS1_30default_config_static_selectorELNS0_4arch9wavefront6targetE1EEEvT1_
; %bb.0:
	.section	.rodata,"a",@progbits
	.p2align	6, 0x0
	.amdhsa_kernel _ZN7rocprim17ROCPRIM_400000_NS6detail17trampoline_kernelINS0_14default_configENS1_29reduce_by_key_config_selectorIhlN6thrust23THRUST_200600_302600_NS4plusIlEEEEZZNS1_33reduce_by_key_impl_wrapped_configILNS1_25lookback_scan_determinismE0ES3_S9_PhNS6_17constant_iteratorIiNS6_11use_defaultESE_EENS6_10device_ptrIhEENSG_IlEEPmS8_NS6_8equal_toIhEEEE10hipError_tPvRmT2_T3_mT4_T5_T6_T7_T8_P12ihipStream_tbENKUlT_T0_E_clISt17integral_constantIbLb1EES13_EEDaSY_SZ_EUlSY_E_NS1_11comp_targetILNS1_3genE0ELNS1_11target_archE4294967295ELNS1_3gpuE0ELNS1_3repE0EEENS1_30default_config_static_selectorELNS0_4arch9wavefront6targetE1EEEvT1_
		.amdhsa_group_segment_fixed_size 0
		.amdhsa_private_segment_fixed_size 0
		.amdhsa_kernarg_size 144
		.amdhsa_user_sgpr_count 6
		.amdhsa_user_sgpr_private_segment_buffer 1
		.amdhsa_user_sgpr_dispatch_ptr 0
		.amdhsa_user_sgpr_queue_ptr 0
		.amdhsa_user_sgpr_kernarg_segment_ptr 1
		.amdhsa_user_sgpr_dispatch_id 0
		.amdhsa_user_sgpr_flat_scratch_init 0
		.amdhsa_user_sgpr_private_segment_size 0
		.amdhsa_uses_dynamic_stack 0
		.amdhsa_system_sgpr_private_segment_wavefront_offset 0
		.amdhsa_system_sgpr_workgroup_id_x 1
		.amdhsa_system_sgpr_workgroup_id_y 0
		.amdhsa_system_sgpr_workgroup_id_z 0
		.amdhsa_system_sgpr_workgroup_info 0
		.amdhsa_system_vgpr_workitem_id 0
		.amdhsa_next_free_vgpr 1
		.amdhsa_next_free_sgpr 0
		.amdhsa_reserve_vcc 0
		.amdhsa_reserve_flat_scratch 0
		.amdhsa_float_round_mode_32 0
		.amdhsa_float_round_mode_16_64 0
		.amdhsa_float_denorm_mode_32 3
		.amdhsa_float_denorm_mode_16_64 3
		.amdhsa_dx10_clamp 1
		.amdhsa_ieee_mode 1
		.amdhsa_fp16_overflow 0
		.amdhsa_exception_fp_ieee_invalid_op 0
		.amdhsa_exception_fp_denorm_src 0
		.amdhsa_exception_fp_ieee_div_zero 0
		.amdhsa_exception_fp_ieee_overflow 0
		.amdhsa_exception_fp_ieee_underflow 0
		.amdhsa_exception_fp_ieee_inexact 0
		.amdhsa_exception_int_div_zero 0
	.end_amdhsa_kernel
	.section	.text._ZN7rocprim17ROCPRIM_400000_NS6detail17trampoline_kernelINS0_14default_configENS1_29reduce_by_key_config_selectorIhlN6thrust23THRUST_200600_302600_NS4plusIlEEEEZZNS1_33reduce_by_key_impl_wrapped_configILNS1_25lookback_scan_determinismE0ES3_S9_PhNS6_17constant_iteratorIiNS6_11use_defaultESE_EENS6_10device_ptrIhEENSG_IlEEPmS8_NS6_8equal_toIhEEEE10hipError_tPvRmT2_T3_mT4_T5_T6_T7_T8_P12ihipStream_tbENKUlT_T0_E_clISt17integral_constantIbLb1EES13_EEDaSY_SZ_EUlSY_E_NS1_11comp_targetILNS1_3genE0ELNS1_11target_archE4294967295ELNS1_3gpuE0ELNS1_3repE0EEENS1_30default_config_static_selectorELNS0_4arch9wavefront6targetE1EEEvT1_,"axG",@progbits,_ZN7rocprim17ROCPRIM_400000_NS6detail17trampoline_kernelINS0_14default_configENS1_29reduce_by_key_config_selectorIhlN6thrust23THRUST_200600_302600_NS4plusIlEEEEZZNS1_33reduce_by_key_impl_wrapped_configILNS1_25lookback_scan_determinismE0ES3_S9_PhNS6_17constant_iteratorIiNS6_11use_defaultESE_EENS6_10device_ptrIhEENSG_IlEEPmS8_NS6_8equal_toIhEEEE10hipError_tPvRmT2_T3_mT4_T5_T6_T7_T8_P12ihipStream_tbENKUlT_T0_E_clISt17integral_constantIbLb1EES13_EEDaSY_SZ_EUlSY_E_NS1_11comp_targetILNS1_3genE0ELNS1_11target_archE4294967295ELNS1_3gpuE0ELNS1_3repE0EEENS1_30default_config_static_selectorELNS0_4arch9wavefront6targetE1EEEvT1_,comdat
.Lfunc_end374:
	.size	_ZN7rocprim17ROCPRIM_400000_NS6detail17trampoline_kernelINS0_14default_configENS1_29reduce_by_key_config_selectorIhlN6thrust23THRUST_200600_302600_NS4plusIlEEEEZZNS1_33reduce_by_key_impl_wrapped_configILNS1_25lookback_scan_determinismE0ES3_S9_PhNS6_17constant_iteratorIiNS6_11use_defaultESE_EENS6_10device_ptrIhEENSG_IlEEPmS8_NS6_8equal_toIhEEEE10hipError_tPvRmT2_T3_mT4_T5_T6_T7_T8_P12ihipStream_tbENKUlT_T0_E_clISt17integral_constantIbLb1EES13_EEDaSY_SZ_EUlSY_E_NS1_11comp_targetILNS1_3genE0ELNS1_11target_archE4294967295ELNS1_3gpuE0ELNS1_3repE0EEENS1_30default_config_static_selectorELNS0_4arch9wavefront6targetE1EEEvT1_, .Lfunc_end374-_ZN7rocprim17ROCPRIM_400000_NS6detail17trampoline_kernelINS0_14default_configENS1_29reduce_by_key_config_selectorIhlN6thrust23THRUST_200600_302600_NS4plusIlEEEEZZNS1_33reduce_by_key_impl_wrapped_configILNS1_25lookback_scan_determinismE0ES3_S9_PhNS6_17constant_iteratorIiNS6_11use_defaultESE_EENS6_10device_ptrIhEENSG_IlEEPmS8_NS6_8equal_toIhEEEE10hipError_tPvRmT2_T3_mT4_T5_T6_T7_T8_P12ihipStream_tbENKUlT_T0_E_clISt17integral_constantIbLb1EES13_EEDaSY_SZ_EUlSY_E_NS1_11comp_targetILNS1_3genE0ELNS1_11target_archE4294967295ELNS1_3gpuE0ELNS1_3repE0EEENS1_30default_config_static_selectorELNS0_4arch9wavefront6targetE1EEEvT1_
                                        ; -- End function
	.set _ZN7rocprim17ROCPRIM_400000_NS6detail17trampoline_kernelINS0_14default_configENS1_29reduce_by_key_config_selectorIhlN6thrust23THRUST_200600_302600_NS4plusIlEEEEZZNS1_33reduce_by_key_impl_wrapped_configILNS1_25lookback_scan_determinismE0ES3_S9_PhNS6_17constant_iteratorIiNS6_11use_defaultESE_EENS6_10device_ptrIhEENSG_IlEEPmS8_NS6_8equal_toIhEEEE10hipError_tPvRmT2_T3_mT4_T5_T6_T7_T8_P12ihipStream_tbENKUlT_T0_E_clISt17integral_constantIbLb1EES13_EEDaSY_SZ_EUlSY_E_NS1_11comp_targetILNS1_3genE0ELNS1_11target_archE4294967295ELNS1_3gpuE0ELNS1_3repE0EEENS1_30default_config_static_selectorELNS0_4arch9wavefront6targetE1EEEvT1_.num_vgpr, 0
	.set _ZN7rocprim17ROCPRIM_400000_NS6detail17trampoline_kernelINS0_14default_configENS1_29reduce_by_key_config_selectorIhlN6thrust23THRUST_200600_302600_NS4plusIlEEEEZZNS1_33reduce_by_key_impl_wrapped_configILNS1_25lookback_scan_determinismE0ES3_S9_PhNS6_17constant_iteratorIiNS6_11use_defaultESE_EENS6_10device_ptrIhEENSG_IlEEPmS8_NS6_8equal_toIhEEEE10hipError_tPvRmT2_T3_mT4_T5_T6_T7_T8_P12ihipStream_tbENKUlT_T0_E_clISt17integral_constantIbLb1EES13_EEDaSY_SZ_EUlSY_E_NS1_11comp_targetILNS1_3genE0ELNS1_11target_archE4294967295ELNS1_3gpuE0ELNS1_3repE0EEENS1_30default_config_static_selectorELNS0_4arch9wavefront6targetE1EEEvT1_.num_agpr, 0
	.set _ZN7rocprim17ROCPRIM_400000_NS6detail17trampoline_kernelINS0_14default_configENS1_29reduce_by_key_config_selectorIhlN6thrust23THRUST_200600_302600_NS4plusIlEEEEZZNS1_33reduce_by_key_impl_wrapped_configILNS1_25lookback_scan_determinismE0ES3_S9_PhNS6_17constant_iteratorIiNS6_11use_defaultESE_EENS6_10device_ptrIhEENSG_IlEEPmS8_NS6_8equal_toIhEEEE10hipError_tPvRmT2_T3_mT4_T5_T6_T7_T8_P12ihipStream_tbENKUlT_T0_E_clISt17integral_constantIbLb1EES13_EEDaSY_SZ_EUlSY_E_NS1_11comp_targetILNS1_3genE0ELNS1_11target_archE4294967295ELNS1_3gpuE0ELNS1_3repE0EEENS1_30default_config_static_selectorELNS0_4arch9wavefront6targetE1EEEvT1_.numbered_sgpr, 0
	.set _ZN7rocprim17ROCPRIM_400000_NS6detail17trampoline_kernelINS0_14default_configENS1_29reduce_by_key_config_selectorIhlN6thrust23THRUST_200600_302600_NS4plusIlEEEEZZNS1_33reduce_by_key_impl_wrapped_configILNS1_25lookback_scan_determinismE0ES3_S9_PhNS6_17constant_iteratorIiNS6_11use_defaultESE_EENS6_10device_ptrIhEENSG_IlEEPmS8_NS6_8equal_toIhEEEE10hipError_tPvRmT2_T3_mT4_T5_T6_T7_T8_P12ihipStream_tbENKUlT_T0_E_clISt17integral_constantIbLb1EES13_EEDaSY_SZ_EUlSY_E_NS1_11comp_targetILNS1_3genE0ELNS1_11target_archE4294967295ELNS1_3gpuE0ELNS1_3repE0EEENS1_30default_config_static_selectorELNS0_4arch9wavefront6targetE1EEEvT1_.num_named_barrier, 0
	.set _ZN7rocprim17ROCPRIM_400000_NS6detail17trampoline_kernelINS0_14default_configENS1_29reduce_by_key_config_selectorIhlN6thrust23THRUST_200600_302600_NS4plusIlEEEEZZNS1_33reduce_by_key_impl_wrapped_configILNS1_25lookback_scan_determinismE0ES3_S9_PhNS6_17constant_iteratorIiNS6_11use_defaultESE_EENS6_10device_ptrIhEENSG_IlEEPmS8_NS6_8equal_toIhEEEE10hipError_tPvRmT2_T3_mT4_T5_T6_T7_T8_P12ihipStream_tbENKUlT_T0_E_clISt17integral_constantIbLb1EES13_EEDaSY_SZ_EUlSY_E_NS1_11comp_targetILNS1_3genE0ELNS1_11target_archE4294967295ELNS1_3gpuE0ELNS1_3repE0EEENS1_30default_config_static_selectorELNS0_4arch9wavefront6targetE1EEEvT1_.private_seg_size, 0
	.set _ZN7rocprim17ROCPRIM_400000_NS6detail17trampoline_kernelINS0_14default_configENS1_29reduce_by_key_config_selectorIhlN6thrust23THRUST_200600_302600_NS4plusIlEEEEZZNS1_33reduce_by_key_impl_wrapped_configILNS1_25lookback_scan_determinismE0ES3_S9_PhNS6_17constant_iteratorIiNS6_11use_defaultESE_EENS6_10device_ptrIhEENSG_IlEEPmS8_NS6_8equal_toIhEEEE10hipError_tPvRmT2_T3_mT4_T5_T6_T7_T8_P12ihipStream_tbENKUlT_T0_E_clISt17integral_constantIbLb1EES13_EEDaSY_SZ_EUlSY_E_NS1_11comp_targetILNS1_3genE0ELNS1_11target_archE4294967295ELNS1_3gpuE0ELNS1_3repE0EEENS1_30default_config_static_selectorELNS0_4arch9wavefront6targetE1EEEvT1_.uses_vcc, 0
	.set _ZN7rocprim17ROCPRIM_400000_NS6detail17trampoline_kernelINS0_14default_configENS1_29reduce_by_key_config_selectorIhlN6thrust23THRUST_200600_302600_NS4plusIlEEEEZZNS1_33reduce_by_key_impl_wrapped_configILNS1_25lookback_scan_determinismE0ES3_S9_PhNS6_17constant_iteratorIiNS6_11use_defaultESE_EENS6_10device_ptrIhEENSG_IlEEPmS8_NS6_8equal_toIhEEEE10hipError_tPvRmT2_T3_mT4_T5_T6_T7_T8_P12ihipStream_tbENKUlT_T0_E_clISt17integral_constantIbLb1EES13_EEDaSY_SZ_EUlSY_E_NS1_11comp_targetILNS1_3genE0ELNS1_11target_archE4294967295ELNS1_3gpuE0ELNS1_3repE0EEENS1_30default_config_static_selectorELNS0_4arch9wavefront6targetE1EEEvT1_.uses_flat_scratch, 0
	.set _ZN7rocprim17ROCPRIM_400000_NS6detail17trampoline_kernelINS0_14default_configENS1_29reduce_by_key_config_selectorIhlN6thrust23THRUST_200600_302600_NS4plusIlEEEEZZNS1_33reduce_by_key_impl_wrapped_configILNS1_25lookback_scan_determinismE0ES3_S9_PhNS6_17constant_iteratorIiNS6_11use_defaultESE_EENS6_10device_ptrIhEENSG_IlEEPmS8_NS6_8equal_toIhEEEE10hipError_tPvRmT2_T3_mT4_T5_T6_T7_T8_P12ihipStream_tbENKUlT_T0_E_clISt17integral_constantIbLb1EES13_EEDaSY_SZ_EUlSY_E_NS1_11comp_targetILNS1_3genE0ELNS1_11target_archE4294967295ELNS1_3gpuE0ELNS1_3repE0EEENS1_30default_config_static_selectorELNS0_4arch9wavefront6targetE1EEEvT1_.has_dyn_sized_stack, 0
	.set _ZN7rocprim17ROCPRIM_400000_NS6detail17trampoline_kernelINS0_14default_configENS1_29reduce_by_key_config_selectorIhlN6thrust23THRUST_200600_302600_NS4plusIlEEEEZZNS1_33reduce_by_key_impl_wrapped_configILNS1_25lookback_scan_determinismE0ES3_S9_PhNS6_17constant_iteratorIiNS6_11use_defaultESE_EENS6_10device_ptrIhEENSG_IlEEPmS8_NS6_8equal_toIhEEEE10hipError_tPvRmT2_T3_mT4_T5_T6_T7_T8_P12ihipStream_tbENKUlT_T0_E_clISt17integral_constantIbLb1EES13_EEDaSY_SZ_EUlSY_E_NS1_11comp_targetILNS1_3genE0ELNS1_11target_archE4294967295ELNS1_3gpuE0ELNS1_3repE0EEENS1_30default_config_static_selectorELNS0_4arch9wavefront6targetE1EEEvT1_.has_recursion, 0
	.set _ZN7rocprim17ROCPRIM_400000_NS6detail17trampoline_kernelINS0_14default_configENS1_29reduce_by_key_config_selectorIhlN6thrust23THRUST_200600_302600_NS4plusIlEEEEZZNS1_33reduce_by_key_impl_wrapped_configILNS1_25lookback_scan_determinismE0ES3_S9_PhNS6_17constant_iteratorIiNS6_11use_defaultESE_EENS6_10device_ptrIhEENSG_IlEEPmS8_NS6_8equal_toIhEEEE10hipError_tPvRmT2_T3_mT4_T5_T6_T7_T8_P12ihipStream_tbENKUlT_T0_E_clISt17integral_constantIbLb1EES13_EEDaSY_SZ_EUlSY_E_NS1_11comp_targetILNS1_3genE0ELNS1_11target_archE4294967295ELNS1_3gpuE0ELNS1_3repE0EEENS1_30default_config_static_selectorELNS0_4arch9wavefront6targetE1EEEvT1_.has_indirect_call, 0
	.section	.AMDGPU.csdata,"",@progbits
; Kernel info:
; codeLenInByte = 0
; TotalNumSgprs: 4
; NumVgprs: 0
; ScratchSize: 0
; MemoryBound: 0
; FloatMode: 240
; IeeeMode: 1
; LDSByteSize: 0 bytes/workgroup (compile time only)
; SGPRBlocks: 0
; VGPRBlocks: 0
; NumSGPRsForWavesPerEU: 4
; NumVGPRsForWavesPerEU: 1
; Occupancy: 10
; WaveLimiterHint : 0
; COMPUTE_PGM_RSRC2:SCRATCH_EN: 0
; COMPUTE_PGM_RSRC2:USER_SGPR: 6
; COMPUTE_PGM_RSRC2:TRAP_HANDLER: 0
; COMPUTE_PGM_RSRC2:TGID_X_EN: 1
; COMPUTE_PGM_RSRC2:TGID_Y_EN: 0
; COMPUTE_PGM_RSRC2:TGID_Z_EN: 0
; COMPUTE_PGM_RSRC2:TIDIG_COMP_CNT: 0
	.section	.text._ZN7rocprim17ROCPRIM_400000_NS6detail17trampoline_kernelINS0_14default_configENS1_29reduce_by_key_config_selectorIhlN6thrust23THRUST_200600_302600_NS4plusIlEEEEZZNS1_33reduce_by_key_impl_wrapped_configILNS1_25lookback_scan_determinismE0ES3_S9_PhNS6_17constant_iteratorIiNS6_11use_defaultESE_EENS6_10device_ptrIhEENSG_IlEEPmS8_NS6_8equal_toIhEEEE10hipError_tPvRmT2_T3_mT4_T5_T6_T7_T8_P12ihipStream_tbENKUlT_T0_E_clISt17integral_constantIbLb1EES13_EEDaSY_SZ_EUlSY_E_NS1_11comp_targetILNS1_3genE5ELNS1_11target_archE942ELNS1_3gpuE9ELNS1_3repE0EEENS1_30default_config_static_selectorELNS0_4arch9wavefront6targetE1EEEvT1_,"axG",@progbits,_ZN7rocprim17ROCPRIM_400000_NS6detail17trampoline_kernelINS0_14default_configENS1_29reduce_by_key_config_selectorIhlN6thrust23THRUST_200600_302600_NS4plusIlEEEEZZNS1_33reduce_by_key_impl_wrapped_configILNS1_25lookback_scan_determinismE0ES3_S9_PhNS6_17constant_iteratorIiNS6_11use_defaultESE_EENS6_10device_ptrIhEENSG_IlEEPmS8_NS6_8equal_toIhEEEE10hipError_tPvRmT2_T3_mT4_T5_T6_T7_T8_P12ihipStream_tbENKUlT_T0_E_clISt17integral_constantIbLb1EES13_EEDaSY_SZ_EUlSY_E_NS1_11comp_targetILNS1_3genE5ELNS1_11target_archE942ELNS1_3gpuE9ELNS1_3repE0EEENS1_30default_config_static_selectorELNS0_4arch9wavefront6targetE1EEEvT1_,comdat
	.protected	_ZN7rocprim17ROCPRIM_400000_NS6detail17trampoline_kernelINS0_14default_configENS1_29reduce_by_key_config_selectorIhlN6thrust23THRUST_200600_302600_NS4plusIlEEEEZZNS1_33reduce_by_key_impl_wrapped_configILNS1_25lookback_scan_determinismE0ES3_S9_PhNS6_17constant_iteratorIiNS6_11use_defaultESE_EENS6_10device_ptrIhEENSG_IlEEPmS8_NS6_8equal_toIhEEEE10hipError_tPvRmT2_T3_mT4_T5_T6_T7_T8_P12ihipStream_tbENKUlT_T0_E_clISt17integral_constantIbLb1EES13_EEDaSY_SZ_EUlSY_E_NS1_11comp_targetILNS1_3genE5ELNS1_11target_archE942ELNS1_3gpuE9ELNS1_3repE0EEENS1_30default_config_static_selectorELNS0_4arch9wavefront6targetE1EEEvT1_ ; -- Begin function _ZN7rocprim17ROCPRIM_400000_NS6detail17trampoline_kernelINS0_14default_configENS1_29reduce_by_key_config_selectorIhlN6thrust23THRUST_200600_302600_NS4plusIlEEEEZZNS1_33reduce_by_key_impl_wrapped_configILNS1_25lookback_scan_determinismE0ES3_S9_PhNS6_17constant_iteratorIiNS6_11use_defaultESE_EENS6_10device_ptrIhEENSG_IlEEPmS8_NS6_8equal_toIhEEEE10hipError_tPvRmT2_T3_mT4_T5_T6_T7_T8_P12ihipStream_tbENKUlT_T0_E_clISt17integral_constantIbLb1EES13_EEDaSY_SZ_EUlSY_E_NS1_11comp_targetILNS1_3genE5ELNS1_11target_archE942ELNS1_3gpuE9ELNS1_3repE0EEENS1_30default_config_static_selectorELNS0_4arch9wavefront6targetE1EEEvT1_
	.globl	_ZN7rocprim17ROCPRIM_400000_NS6detail17trampoline_kernelINS0_14default_configENS1_29reduce_by_key_config_selectorIhlN6thrust23THRUST_200600_302600_NS4plusIlEEEEZZNS1_33reduce_by_key_impl_wrapped_configILNS1_25lookback_scan_determinismE0ES3_S9_PhNS6_17constant_iteratorIiNS6_11use_defaultESE_EENS6_10device_ptrIhEENSG_IlEEPmS8_NS6_8equal_toIhEEEE10hipError_tPvRmT2_T3_mT4_T5_T6_T7_T8_P12ihipStream_tbENKUlT_T0_E_clISt17integral_constantIbLb1EES13_EEDaSY_SZ_EUlSY_E_NS1_11comp_targetILNS1_3genE5ELNS1_11target_archE942ELNS1_3gpuE9ELNS1_3repE0EEENS1_30default_config_static_selectorELNS0_4arch9wavefront6targetE1EEEvT1_
	.p2align	8
	.type	_ZN7rocprim17ROCPRIM_400000_NS6detail17trampoline_kernelINS0_14default_configENS1_29reduce_by_key_config_selectorIhlN6thrust23THRUST_200600_302600_NS4plusIlEEEEZZNS1_33reduce_by_key_impl_wrapped_configILNS1_25lookback_scan_determinismE0ES3_S9_PhNS6_17constant_iteratorIiNS6_11use_defaultESE_EENS6_10device_ptrIhEENSG_IlEEPmS8_NS6_8equal_toIhEEEE10hipError_tPvRmT2_T3_mT4_T5_T6_T7_T8_P12ihipStream_tbENKUlT_T0_E_clISt17integral_constantIbLb1EES13_EEDaSY_SZ_EUlSY_E_NS1_11comp_targetILNS1_3genE5ELNS1_11target_archE942ELNS1_3gpuE9ELNS1_3repE0EEENS1_30default_config_static_selectorELNS0_4arch9wavefront6targetE1EEEvT1_,@function
_ZN7rocprim17ROCPRIM_400000_NS6detail17trampoline_kernelINS0_14default_configENS1_29reduce_by_key_config_selectorIhlN6thrust23THRUST_200600_302600_NS4plusIlEEEEZZNS1_33reduce_by_key_impl_wrapped_configILNS1_25lookback_scan_determinismE0ES3_S9_PhNS6_17constant_iteratorIiNS6_11use_defaultESE_EENS6_10device_ptrIhEENSG_IlEEPmS8_NS6_8equal_toIhEEEE10hipError_tPvRmT2_T3_mT4_T5_T6_T7_T8_P12ihipStream_tbENKUlT_T0_E_clISt17integral_constantIbLb1EES13_EEDaSY_SZ_EUlSY_E_NS1_11comp_targetILNS1_3genE5ELNS1_11target_archE942ELNS1_3gpuE9ELNS1_3repE0EEENS1_30default_config_static_selectorELNS0_4arch9wavefront6targetE1EEEvT1_: ; @_ZN7rocprim17ROCPRIM_400000_NS6detail17trampoline_kernelINS0_14default_configENS1_29reduce_by_key_config_selectorIhlN6thrust23THRUST_200600_302600_NS4plusIlEEEEZZNS1_33reduce_by_key_impl_wrapped_configILNS1_25lookback_scan_determinismE0ES3_S9_PhNS6_17constant_iteratorIiNS6_11use_defaultESE_EENS6_10device_ptrIhEENSG_IlEEPmS8_NS6_8equal_toIhEEEE10hipError_tPvRmT2_T3_mT4_T5_T6_T7_T8_P12ihipStream_tbENKUlT_T0_E_clISt17integral_constantIbLb1EES13_EEDaSY_SZ_EUlSY_E_NS1_11comp_targetILNS1_3genE5ELNS1_11target_archE942ELNS1_3gpuE9ELNS1_3repE0EEENS1_30default_config_static_selectorELNS0_4arch9wavefront6targetE1EEEvT1_
; %bb.0:
	.section	.rodata,"a",@progbits
	.p2align	6, 0x0
	.amdhsa_kernel _ZN7rocprim17ROCPRIM_400000_NS6detail17trampoline_kernelINS0_14default_configENS1_29reduce_by_key_config_selectorIhlN6thrust23THRUST_200600_302600_NS4plusIlEEEEZZNS1_33reduce_by_key_impl_wrapped_configILNS1_25lookback_scan_determinismE0ES3_S9_PhNS6_17constant_iteratorIiNS6_11use_defaultESE_EENS6_10device_ptrIhEENSG_IlEEPmS8_NS6_8equal_toIhEEEE10hipError_tPvRmT2_T3_mT4_T5_T6_T7_T8_P12ihipStream_tbENKUlT_T0_E_clISt17integral_constantIbLb1EES13_EEDaSY_SZ_EUlSY_E_NS1_11comp_targetILNS1_3genE5ELNS1_11target_archE942ELNS1_3gpuE9ELNS1_3repE0EEENS1_30default_config_static_selectorELNS0_4arch9wavefront6targetE1EEEvT1_
		.amdhsa_group_segment_fixed_size 0
		.amdhsa_private_segment_fixed_size 0
		.amdhsa_kernarg_size 144
		.amdhsa_user_sgpr_count 6
		.amdhsa_user_sgpr_private_segment_buffer 1
		.amdhsa_user_sgpr_dispatch_ptr 0
		.amdhsa_user_sgpr_queue_ptr 0
		.amdhsa_user_sgpr_kernarg_segment_ptr 1
		.amdhsa_user_sgpr_dispatch_id 0
		.amdhsa_user_sgpr_flat_scratch_init 0
		.amdhsa_user_sgpr_private_segment_size 0
		.amdhsa_uses_dynamic_stack 0
		.amdhsa_system_sgpr_private_segment_wavefront_offset 0
		.amdhsa_system_sgpr_workgroup_id_x 1
		.amdhsa_system_sgpr_workgroup_id_y 0
		.amdhsa_system_sgpr_workgroup_id_z 0
		.amdhsa_system_sgpr_workgroup_info 0
		.amdhsa_system_vgpr_workitem_id 0
		.amdhsa_next_free_vgpr 1
		.amdhsa_next_free_sgpr 0
		.amdhsa_reserve_vcc 0
		.amdhsa_reserve_flat_scratch 0
		.amdhsa_float_round_mode_32 0
		.amdhsa_float_round_mode_16_64 0
		.amdhsa_float_denorm_mode_32 3
		.amdhsa_float_denorm_mode_16_64 3
		.amdhsa_dx10_clamp 1
		.amdhsa_ieee_mode 1
		.amdhsa_fp16_overflow 0
		.amdhsa_exception_fp_ieee_invalid_op 0
		.amdhsa_exception_fp_denorm_src 0
		.amdhsa_exception_fp_ieee_div_zero 0
		.amdhsa_exception_fp_ieee_overflow 0
		.amdhsa_exception_fp_ieee_underflow 0
		.amdhsa_exception_fp_ieee_inexact 0
		.amdhsa_exception_int_div_zero 0
	.end_amdhsa_kernel
	.section	.text._ZN7rocprim17ROCPRIM_400000_NS6detail17trampoline_kernelINS0_14default_configENS1_29reduce_by_key_config_selectorIhlN6thrust23THRUST_200600_302600_NS4plusIlEEEEZZNS1_33reduce_by_key_impl_wrapped_configILNS1_25lookback_scan_determinismE0ES3_S9_PhNS6_17constant_iteratorIiNS6_11use_defaultESE_EENS6_10device_ptrIhEENSG_IlEEPmS8_NS6_8equal_toIhEEEE10hipError_tPvRmT2_T3_mT4_T5_T6_T7_T8_P12ihipStream_tbENKUlT_T0_E_clISt17integral_constantIbLb1EES13_EEDaSY_SZ_EUlSY_E_NS1_11comp_targetILNS1_3genE5ELNS1_11target_archE942ELNS1_3gpuE9ELNS1_3repE0EEENS1_30default_config_static_selectorELNS0_4arch9wavefront6targetE1EEEvT1_,"axG",@progbits,_ZN7rocprim17ROCPRIM_400000_NS6detail17trampoline_kernelINS0_14default_configENS1_29reduce_by_key_config_selectorIhlN6thrust23THRUST_200600_302600_NS4plusIlEEEEZZNS1_33reduce_by_key_impl_wrapped_configILNS1_25lookback_scan_determinismE0ES3_S9_PhNS6_17constant_iteratorIiNS6_11use_defaultESE_EENS6_10device_ptrIhEENSG_IlEEPmS8_NS6_8equal_toIhEEEE10hipError_tPvRmT2_T3_mT4_T5_T6_T7_T8_P12ihipStream_tbENKUlT_T0_E_clISt17integral_constantIbLb1EES13_EEDaSY_SZ_EUlSY_E_NS1_11comp_targetILNS1_3genE5ELNS1_11target_archE942ELNS1_3gpuE9ELNS1_3repE0EEENS1_30default_config_static_selectorELNS0_4arch9wavefront6targetE1EEEvT1_,comdat
.Lfunc_end375:
	.size	_ZN7rocprim17ROCPRIM_400000_NS6detail17trampoline_kernelINS0_14default_configENS1_29reduce_by_key_config_selectorIhlN6thrust23THRUST_200600_302600_NS4plusIlEEEEZZNS1_33reduce_by_key_impl_wrapped_configILNS1_25lookback_scan_determinismE0ES3_S9_PhNS6_17constant_iteratorIiNS6_11use_defaultESE_EENS6_10device_ptrIhEENSG_IlEEPmS8_NS6_8equal_toIhEEEE10hipError_tPvRmT2_T3_mT4_T5_T6_T7_T8_P12ihipStream_tbENKUlT_T0_E_clISt17integral_constantIbLb1EES13_EEDaSY_SZ_EUlSY_E_NS1_11comp_targetILNS1_3genE5ELNS1_11target_archE942ELNS1_3gpuE9ELNS1_3repE0EEENS1_30default_config_static_selectorELNS0_4arch9wavefront6targetE1EEEvT1_, .Lfunc_end375-_ZN7rocprim17ROCPRIM_400000_NS6detail17trampoline_kernelINS0_14default_configENS1_29reduce_by_key_config_selectorIhlN6thrust23THRUST_200600_302600_NS4plusIlEEEEZZNS1_33reduce_by_key_impl_wrapped_configILNS1_25lookback_scan_determinismE0ES3_S9_PhNS6_17constant_iteratorIiNS6_11use_defaultESE_EENS6_10device_ptrIhEENSG_IlEEPmS8_NS6_8equal_toIhEEEE10hipError_tPvRmT2_T3_mT4_T5_T6_T7_T8_P12ihipStream_tbENKUlT_T0_E_clISt17integral_constantIbLb1EES13_EEDaSY_SZ_EUlSY_E_NS1_11comp_targetILNS1_3genE5ELNS1_11target_archE942ELNS1_3gpuE9ELNS1_3repE0EEENS1_30default_config_static_selectorELNS0_4arch9wavefront6targetE1EEEvT1_
                                        ; -- End function
	.set _ZN7rocprim17ROCPRIM_400000_NS6detail17trampoline_kernelINS0_14default_configENS1_29reduce_by_key_config_selectorIhlN6thrust23THRUST_200600_302600_NS4plusIlEEEEZZNS1_33reduce_by_key_impl_wrapped_configILNS1_25lookback_scan_determinismE0ES3_S9_PhNS6_17constant_iteratorIiNS6_11use_defaultESE_EENS6_10device_ptrIhEENSG_IlEEPmS8_NS6_8equal_toIhEEEE10hipError_tPvRmT2_T3_mT4_T5_T6_T7_T8_P12ihipStream_tbENKUlT_T0_E_clISt17integral_constantIbLb1EES13_EEDaSY_SZ_EUlSY_E_NS1_11comp_targetILNS1_3genE5ELNS1_11target_archE942ELNS1_3gpuE9ELNS1_3repE0EEENS1_30default_config_static_selectorELNS0_4arch9wavefront6targetE1EEEvT1_.num_vgpr, 0
	.set _ZN7rocprim17ROCPRIM_400000_NS6detail17trampoline_kernelINS0_14default_configENS1_29reduce_by_key_config_selectorIhlN6thrust23THRUST_200600_302600_NS4plusIlEEEEZZNS1_33reduce_by_key_impl_wrapped_configILNS1_25lookback_scan_determinismE0ES3_S9_PhNS6_17constant_iteratorIiNS6_11use_defaultESE_EENS6_10device_ptrIhEENSG_IlEEPmS8_NS6_8equal_toIhEEEE10hipError_tPvRmT2_T3_mT4_T5_T6_T7_T8_P12ihipStream_tbENKUlT_T0_E_clISt17integral_constantIbLb1EES13_EEDaSY_SZ_EUlSY_E_NS1_11comp_targetILNS1_3genE5ELNS1_11target_archE942ELNS1_3gpuE9ELNS1_3repE0EEENS1_30default_config_static_selectorELNS0_4arch9wavefront6targetE1EEEvT1_.num_agpr, 0
	.set _ZN7rocprim17ROCPRIM_400000_NS6detail17trampoline_kernelINS0_14default_configENS1_29reduce_by_key_config_selectorIhlN6thrust23THRUST_200600_302600_NS4plusIlEEEEZZNS1_33reduce_by_key_impl_wrapped_configILNS1_25lookback_scan_determinismE0ES3_S9_PhNS6_17constant_iteratorIiNS6_11use_defaultESE_EENS6_10device_ptrIhEENSG_IlEEPmS8_NS6_8equal_toIhEEEE10hipError_tPvRmT2_T3_mT4_T5_T6_T7_T8_P12ihipStream_tbENKUlT_T0_E_clISt17integral_constantIbLb1EES13_EEDaSY_SZ_EUlSY_E_NS1_11comp_targetILNS1_3genE5ELNS1_11target_archE942ELNS1_3gpuE9ELNS1_3repE0EEENS1_30default_config_static_selectorELNS0_4arch9wavefront6targetE1EEEvT1_.numbered_sgpr, 0
	.set _ZN7rocprim17ROCPRIM_400000_NS6detail17trampoline_kernelINS0_14default_configENS1_29reduce_by_key_config_selectorIhlN6thrust23THRUST_200600_302600_NS4plusIlEEEEZZNS1_33reduce_by_key_impl_wrapped_configILNS1_25lookback_scan_determinismE0ES3_S9_PhNS6_17constant_iteratorIiNS6_11use_defaultESE_EENS6_10device_ptrIhEENSG_IlEEPmS8_NS6_8equal_toIhEEEE10hipError_tPvRmT2_T3_mT4_T5_T6_T7_T8_P12ihipStream_tbENKUlT_T0_E_clISt17integral_constantIbLb1EES13_EEDaSY_SZ_EUlSY_E_NS1_11comp_targetILNS1_3genE5ELNS1_11target_archE942ELNS1_3gpuE9ELNS1_3repE0EEENS1_30default_config_static_selectorELNS0_4arch9wavefront6targetE1EEEvT1_.num_named_barrier, 0
	.set _ZN7rocprim17ROCPRIM_400000_NS6detail17trampoline_kernelINS0_14default_configENS1_29reduce_by_key_config_selectorIhlN6thrust23THRUST_200600_302600_NS4plusIlEEEEZZNS1_33reduce_by_key_impl_wrapped_configILNS1_25lookback_scan_determinismE0ES3_S9_PhNS6_17constant_iteratorIiNS6_11use_defaultESE_EENS6_10device_ptrIhEENSG_IlEEPmS8_NS6_8equal_toIhEEEE10hipError_tPvRmT2_T3_mT4_T5_T6_T7_T8_P12ihipStream_tbENKUlT_T0_E_clISt17integral_constantIbLb1EES13_EEDaSY_SZ_EUlSY_E_NS1_11comp_targetILNS1_3genE5ELNS1_11target_archE942ELNS1_3gpuE9ELNS1_3repE0EEENS1_30default_config_static_selectorELNS0_4arch9wavefront6targetE1EEEvT1_.private_seg_size, 0
	.set _ZN7rocprim17ROCPRIM_400000_NS6detail17trampoline_kernelINS0_14default_configENS1_29reduce_by_key_config_selectorIhlN6thrust23THRUST_200600_302600_NS4plusIlEEEEZZNS1_33reduce_by_key_impl_wrapped_configILNS1_25lookback_scan_determinismE0ES3_S9_PhNS6_17constant_iteratorIiNS6_11use_defaultESE_EENS6_10device_ptrIhEENSG_IlEEPmS8_NS6_8equal_toIhEEEE10hipError_tPvRmT2_T3_mT4_T5_T6_T7_T8_P12ihipStream_tbENKUlT_T0_E_clISt17integral_constantIbLb1EES13_EEDaSY_SZ_EUlSY_E_NS1_11comp_targetILNS1_3genE5ELNS1_11target_archE942ELNS1_3gpuE9ELNS1_3repE0EEENS1_30default_config_static_selectorELNS0_4arch9wavefront6targetE1EEEvT1_.uses_vcc, 0
	.set _ZN7rocprim17ROCPRIM_400000_NS6detail17trampoline_kernelINS0_14default_configENS1_29reduce_by_key_config_selectorIhlN6thrust23THRUST_200600_302600_NS4plusIlEEEEZZNS1_33reduce_by_key_impl_wrapped_configILNS1_25lookback_scan_determinismE0ES3_S9_PhNS6_17constant_iteratorIiNS6_11use_defaultESE_EENS6_10device_ptrIhEENSG_IlEEPmS8_NS6_8equal_toIhEEEE10hipError_tPvRmT2_T3_mT4_T5_T6_T7_T8_P12ihipStream_tbENKUlT_T0_E_clISt17integral_constantIbLb1EES13_EEDaSY_SZ_EUlSY_E_NS1_11comp_targetILNS1_3genE5ELNS1_11target_archE942ELNS1_3gpuE9ELNS1_3repE0EEENS1_30default_config_static_selectorELNS0_4arch9wavefront6targetE1EEEvT1_.uses_flat_scratch, 0
	.set _ZN7rocprim17ROCPRIM_400000_NS6detail17trampoline_kernelINS0_14default_configENS1_29reduce_by_key_config_selectorIhlN6thrust23THRUST_200600_302600_NS4plusIlEEEEZZNS1_33reduce_by_key_impl_wrapped_configILNS1_25lookback_scan_determinismE0ES3_S9_PhNS6_17constant_iteratorIiNS6_11use_defaultESE_EENS6_10device_ptrIhEENSG_IlEEPmS8_NS6_8equal_toIhEEEE10hipError_tPvRmT2_T3_mT4_T5_T6_T7_T8_P12ihipStream_tbENKUlT_T0_E_clISt17integral_constantIbLb1EES13_EEDaSY_SZ_EUlSY_E_NS1_11comp_targetILNS1_3genE5ELNS1_11target_archE942ELNS1_3gpuE9ELNS1_3repE0EEENS1_30default_config_static_selectorELNS0_4arch9wavefront6targetE1EEEvT1_.has_dyn_sized_stack, 0
	.set _ZN7rocprim17ROCPRIM_400000_NS6detail17trampoline_kernelINS0_14default_configENS1_29reduce_by_key_config_selectorIhlN6thrust23THRUST_200600_302600_NS4plusIlEEEEZZNS1_33reduce_by_key_impl_wrapped_configILNS1_25lookback_scan_determinismE0ES3_S9_PhNS6_17constant_iteratorIiNS6_11use_defaultESE_EENS6_10device_ptrIhEENSG_IlEEPmS8_NS6_8equal_toIhEEEE10hipError_tPvRmT2_T3_mT4_T5_T6_T7_T8_P12ihipStream_tbENKUlT_T0_E_clISt17integral_constantIbLb1EES13_EEDaSY_SZ_EUlSY_E_NS1_11comp_targetILNS1_3genE5ELNS1_11target_archE942ELNS1_3gpuE9ELNS1_3repE0EEENS1_30default_config_static_selectorELNS0_4arch9wavefront6targetE1EEEvT1_.has_recursion, 0
	.set _ZN7rocprim17ROCPRIM_400000_NS6detail17trampoline_kernelINS0_14default_configENS1_29reduce_by_key_config_selectorIhlN6thrust23THRUST_200600_302600_NS4plusIlEEEEZZNS1_33reduce_by_key_impl_wrapped_configILNS1_25lookback_scan_determinismE0ES3_S9_PhNS6_17constant_iteratorIiNS6_11use_defaultESE_EENS6_10device_ptrIhEENSG_IlEEPmS8_NS6_8equal_toIhEEEE10hipError_tPvRmT2_T3_mT4_T5_T6_T7_T8_P12ihipStream_tbENKUlT_T0_E_clISt17integral_constantIbLb1EES13_EEDaSY_SZ_EUlSY_E_NS1_11comp_targetILNS1_3genE5ELNS1_11target_archE942ELNS1_3gpuE9ELNS1_3repE0EEENS1_30default_config_static_selectorELNS0_4arch9wavefront6targetE1EEEvT1_.has_indirect_call, 0
	.section	.AMDGPU.csdata,"",@progbits
; Kernel info:
; codeLenInByte = 0
; TotalNumSgprs: 4
; NumVgprs: 0
; ScratchSize: 0
; MemoryBound: 0
; FloatMode: 240
; IeeeMode: 1
; LDSByteSize: 0 bytes/workgroup (compile time only)
; SGPRBlocks: 0
; VGPRBlocks: 0
; NumSGPRsForWavesPerEU: 4
; NumVGPRsForWavesPerEU: 1
; Occupancy: 10
; WaveLimiterHint : 0
; COMPUTE_PGM_RSRC2:SCRATCH_EN: 0
; COMPUTE_PGM_RSRC2:USER_SGPR: 6
; COMPUTE_PGM_RSRC2:TRAP_HANDLER: 0
; COMPUTE_PGM_RSRC2:TGID_X_EN: 1
; COMPUTE_PGM_RSRC2:TGID_Y_EN: 0
; COMPUTE_PGM_RSRC2:TGID_Z_EN: 0
; COMPUTE_PGM_RSRC2:TIDIG_COMP_CNT: 0
	.section	.text._ZN7rocprim17ROCPRIM_400000_NS6detail17trampoline_kernelINS0_14default_configENS1_29reduce_by_key_config_selectorIhlN6thrust23THRUST_200600_302600_NS4plusIlEEEEZZNS1_33reduce_by_key_impl_wrapped_configILNS1_25lookback_scan_determinismE0ES3_S9_PhNS6_17constant_iteratorIiNS6_11use_defaultESE_EENS6_10device_ptrIhEENSG_IlEEPmS8_NS6_8equal_toIhEEEE10hipError_tPvRmT2_T3_mT4_T5_T6_T7_T8_P12ihipStream_tbENKUlT_T0_E_clISt17integral_constantIbLb1EES13_EEDaSY_SZ_EUlSY_E_NS1_11comp_targetILNS1_3genE4ELNS1_11target_archE910ELNS1_3gpuE8ELNS1_3repE0EEENS1_30default_config_static_selectorELNS0_4arch9wavefront6targetE1EEEvT1_,"axG",@progbits,_ZN7rocprim17ROCPRIM_400000_NS6detail17trampoline_kernelINS0_14default_configENS1_29reduce_by_key_config_selectorIhlN6thrust23THRUST_200600_302600_NS4plusIlEEEEZZNS1_33reduce_by_key_impl_wrapped_configILNS1_25lookback_scan_determinismE0ES3_S9_PhNS6_17constant_iteratorIiNS6_11use_defaultESE_EENS6_10device_ptrIhEENSG_IlEEPmS8_NS6_8equal_toIhEEEE10hipError_tPvRmT2_T3_mT4_T5_T6_T7_T8_P12ihipStream_tbENKUlT_T0_E_clISt17integral_constantIbLb1EES13_EEDaSY_SZ_EUlSY_E_NS1_11comp_targetILNS1_3genE4ELNS1_11target_archE910ELNS1_3gpuE8ELNS1_3repE0EEENS1_30default_config_static_selectorELNS0_4arch9wavefront6targetE1EEEvT1_,comdat
	.protected	_ZN7rocprim17ROCPRIM_400000_NS6detail17trampoline_kernelINS0_14default_configENS1_29reduce_by_key_config_selectorIhlN6thrust23THRUST_200600_302600_NS4plusIlEEEEZZNS1_33reduce_by_key_impl_wrapped_configILNS1_25lookback_scan_determinismE0ES3_S9_PhNS6_17constant_iteratorIiNS6_11use_defaultESE_EENS6_10device_ptrIhEENSG_IlEEPmS8_NS6_8equal_toIhEEEE10hipError_tPvRmT2_T3_mT4_T5_T6_T7_T8_P12ihipStream_tbENKUlT_T0_E_clISt17integral_constantIbLb1EES13_EEDaSY_SZ_EUlSY_E_NS1_11comp_targetILNS1_3genE4ELNS1_11target_archE910ELNS1_3gpuE8ELNS1_3repE0EEENS1_30default_config_static_selectorELNS0_4arch9wavefront6targetE1EEEvT1_ ; -- Begin function _ZN7rocprim17ROCPRIM_400000_NS6detail17trampoline_kernelINS0_14default_configENS1_29reduce_by_key_config_selectorIhlN6thrust23THRUST_200600_302600_NS4plusIlEEEEZZNS1_33reduce_by_key_impl_wrapped_configILNS1_25lookback_scan_determinismE0ES3_S9_PhNS6_17constant_iteratorIiNS6_11use_defaultESE_EENS6_10device_ptrIhEENSG_IlEEPmS8_NS6_8equal_toIhEEEE10hipError_tPvRmT2_T3_mT4_T5_T6_T7_T8_P12ihipStream_tbENKUlT_T0_E_clISt17integral_constantIbLb1EES13_EEDaSY_SZ_EUlSY_E_NS1_11comp_targetILNS1_3genE4ELNS1_11target_archE910ELNS1_3gpuE8ELNS1_3repE0EEENS1_30default_config_static_selectorELNS0_4arch9wavefront6targetE1EEEvT1_
	.globl	_ZN7rocprim17ROCPRIM_400000_NS6detail17trampoline_kernelINS0_14default_configENS1_29reduce_by_key_config_selectorIhlN6thrust23THRUST_200600_302600_NS4plusIlEEEEZZNS1_33reduce_by_key_impl_wrapped_configILNS1_25lookback_scan_determinismE0ES3_S9_PhNS6_17constant_iteratorIiNS6_11use_defaultESE_EENS6_10device_ptrIhEENSG_IlEEPmS8_NS6_8equal_toIhEEEE10hipError_tPvRmT2_T3_mT4_T5_T6_T7_T8_P12ihipStream_tbENKUlT_T0_E_clISt17integral_constantIbLb1EES13_EEDaSY_SZ_EUlSY_E_NS1_11comp_targetILNS1_3genE4ELNS1_11target_archE910ELNS1_3gpuE8ELNS1_3repE0EEENS1_30default_config_static_selectorELNS0_4arch9wavefront6targetE1EEEvT1_
	.p2align	8
	.type	_ZN7rocprim17ROCPRIM_400000_NS6detail17trampoline_kernelINS0_14default_configENS1_29reduce_by_key_config_selectorIhlN6thrust23THRUST_200600_302600_NS4plusIlEEEEZZNS1_33reduce_by_key_impl_wrapped_configILNS1_25lookback_scan_determinismE0ES3_S9_PhNS6_17constant_iteratorIiNS6_11use_defaultESE_EENS6_10device_ptrIhEENSG_IlEEPmS8_NS6_8equal_toIhEEEE10hipError_tPvRmT2_T3_mT4_T5_T6_T7_T8_P12ihipStream_tbENKUlT_T0_E_clISt17integral_constantIbLb1EES13_EEDaSY_SZ_EUlSY_E_NS1_11comp_targetILNS1_3genE4ELNS1_11target_archE910ELNS1_3gpuE8ELNS1_3repE0EEENS1_30default_config_static_selectorELNS0_4arch9wavefront6targetE1EEEvT1_,@function
_ZN7rocprim17ROCPRIM_400000_NS6detail17trampoline_kernelINS0_14default_configENS1_29reduce_by_key_config_selectorIhlN6thrust23THRUST_200600_302600_NS4plusIlEEEEZZNS1_33reduce_by_key_impl_wrapped_configILNS1_25lookback_scan_determinismE0ES3_S9_PhNS6_17constant_iteratorIiNS6_11use_defaultESE_EENS6_10device_ptrIhEENSG_IlEEPmS8_NS6_8equal_toIhEEEE10hipError_tPvRmT2_T3_mT4_T5_T6_T7_T8_P12ihipStream_tbENKUlT_T0_E_clISt17integral_constantIbLb1EES13_EEDaSY_SZ_EUlSY_E_NS1_11comp_targetILNS1_3genE4ELNS1_11target_archE910ELNS1_3gpuE8ELNS1_3repE0EEENS1_30default_config_static_selectorELNS0_4arch9wavefront6targetE1EEEvT1_: ; @_ZN7rocprim17ROCPRIM_400000_NS6detail17trampoline_kernelINS0_14default_configENS1_29reduce_by_key_config_selectorIhlN6thrust23THRUST_200600_302600_NS4plusIlEEEEZZNS1_33reduce_by_key_impl_wrapped_configILNS1_25lookback_scan_determinismE0ES3_S9_PhNS6_17constant_iteratorIiNS6_11use_defaultESE_EENS6_10device_ptrIhEENSG_IlEEPmS8_NS6_8equal_toIhEEEE10hipError_tPvRmT2_T3_mT4_T5_T6_T7_T8_P12ihipStream_tbENKUlT_T0_E_clISt17integral_constantIbLb1EES13_EEDaSY_SZ_EUlSY_E_NS1_11comp_targetILNS1_3genE4ELNS1_11target_archE910ELNS1_3gpuE8ELNS1_3repE0EEENS1_30default_config_static_selectorELNS0_4arch9wavefront6targetE1EEEvT1_
; %bb.0:
	.section	.rodata,"a",@progbits
	.p2align	6, 0x0
	.amdhsa_kernel _ZN7rocprim17ROCPRIM_400000_NS6detail17trampoline_kernelINS0_14default_configENS1_29reduce_by_key_config_selectorIhlN6thrust23THRUST_200600_302600_NS4plusIlEEEEZZNS1_33reduce_by_key_impl_wrapped_configILNS1_25lookback_scan_determinismE0ES3_S9_PhNS6_17constant_iteratorIiNS6_11use_defaultESE_EENS6_10device_ptrIhEENSG_IlEEPmS8_NS6_8equal_toIhEEEE10hipError_tPvRmT2_T3_mT4_T5_T6_T7_T8_P12ihipStream_tbENKUlT_T0_E_clISt17integral_constantIbLb1EES13_EEDaSY_SZ_EUlSY_E_NS1_11comp_targetILNS1_3genE4ELNS1_11target_archE910ELNS1_3gpuE8ELNS1_3repE0EEENS1_30default_config_static_selectorELNS0_4arch9wavefront6targetE1EEEvT1_
		.amdhsa_group_segment_fixed_size 0
		.amdhsa_private_segment_fixed_size 0
		.amdhsa_kernarg_size 144
		.amdhsa_user_sgpr_count 6
		.amdhsa_user_sgpr_private_segment_buffer 1
		.amdhsa_user_sgpr_dispatch_ptr 0
		.amdhsa_user_sgpr_queue_ptr 0
		.amdhsa_user_sgpr_kernarg_segment_ptr 1
		.amdhsa_user_sgpr_dispatch_id 0
		.amdhsa_user_sgpr_flat_scratch_init 0
		.amdhsa_user_sgpr_private_segment_size 0
		.amdhsa_uses_dynamic_stack 0
		.amdhsa_system_sgpr_private_segment_wavefront_offset 0
		.amdhsa_system_sgpr_workgroup_id_x 1
		.amdhsa_system_sgpr_workgroup_id_y 0
		.amdhsa_system_sgpr_workgroup_id_z 0
		.amdhsa_system_sgpr_workgroup_info 0
		.amdhsa_system_vgpr_workitem_id 0
		.amdhsa_next_free_vgpr 1
		.amdhsa_next_free_sgpr 0
		.amdhsa_reserve_vcc 0
		.amdhsa_reserve_flat_scratch 0
		.amdhsa_float_round_mode_32 0
		.amdhsa_float_round_mode_16_64 0
		.amdhsa_float_denorm_mode_32 3
		.amdhsa_float_denorm_mode_16_64 3
		.amdhsa_dx10_clamp 1
		.amdhsa_ieee_mode 1
		.amdhsa_fp16_overflow 0
		.amdhsa_exception_fp_ieee_invalid_op 0
		.amdhsa_exception_fp_denorm_src 0
		.amdhsa_exception_fp_ieee_div_zero 0
		.amdhsa_exception_fp_ieee_overflow 0
		.amdhsa_exception_fp_ieee_underflow 0
		.amdhsa_exception_fp_ieee_inexact 0
		.amdhsa_exception_int_div_zero 0
	.end_amdhsa_kernel
	.section	.text._ZN7rocprim17ROCPRIM_400000_NS6detail17trampoline_kernelINS0_14default_configENS1_29reduce_by_key_config_selectorIhlN6thrust23THRUST_200600_302600_NS4plusIlEEEEZZNS1_33reduce_by_key_impl_wrapped_configILNS1_25lookback_scan_determinismE0ES3_S9_PhNS6_17constant_iteratorIiNS6_11use_defaultESE_EENS6_10device_ptrIhEENSG_IlEEPmS8_NS6_8equal_toIhEEEE10hipError_tPvRmT2_T3_mT4_T5_T6_T7_T8_P12ihipStream_tbENKUlT_T0_E_clISt17integral_constantIbLb1EES13_EEDaSY_SZ_EUlSY_E_NS1_11comp_targetILNS1_3genE4ELNS1_11target_archE910ELNS1_3gpuE8ELNS1_3repE0EEENS1_30default_config_static_selectorELNS0_4arch9wavefront6targetE1EEEvT1_,"axG",@progbits,_ZN7rocprim17ROCPRIM_400000_NS6detail17trampoline_kernelINS0_14default_configENS1_29reduce_by_key_config_selectorIhlN6thrust23THRUST_200600_302600_NS4plusIlEEEEZZNS1_33reduce_by_key_impl_wrapped_configILNS1_25lookback_scan_determinismE0ES3_S9_PhNS6_17constant_iteratorIiNS6_11use_defaultESE_EENS6_10device_ptrIhEENSG_IlEEPmS8_NS6_8equal_toIhEEEE10hipError_tPvRmT2_T3_mT4_T5_T6_T7_T8_P12ihipStream_tbENKUlT_T0_E_clISt17integral_constantIbLb1EES13_EEDaSY_SZ_EUlSY_E_NS1_11comp_targetILNS1_3genE4ELNS1_11target_archE910ELNS1_3gpuE8ELNS1_3repE0EEENS1_30default_config_static_selectorELNS0_4arch9wavefront6targetE1EEEvT1_,comdat
.Lfunc_end376:
	.size	_ZN7rocprim17ROCPRIM_400000_NS6detail17trampoline_kernelINS0_14default_configENS1_29reduce_by_key_config_selectorIhlN6thrust23THRUST_200600_302600_NS4plusIlEEEEZZNS1_33reduce_by_key_impl_wrapped_configILNS1_25lookback_scan_determinismE0ES3_S9_PhNS6_17constant_iteratorIiNS6_11use_defaultESE_EENS6_10device_ptrIhEENSG_IlEEPmS8_NS6_8equal_toIhEEEE10hipError_tPvRmT2_T3_mT4_T5_T6_T7_T8_P12ihipStream_tbENKUlT_T0_E_clISt17integral_constantIbLb1EES13_EEDaSY_SZ_EUlSY_E_NS1_11comp_targetILNS1_3genE4ELNS1_11target_archE910ELNS1_3gpuE8ELNS1_3repE0EEENS1_30default_config_static_selectorELNS0_4arch9wavefront6targetE1EEEvT1_, .Lfunc_end376-_ZN7rocprim17ROCPRIM_400000_NS6detail17trampoline_kernelINS0_14default_configENS1_29reduce_by_key_config_selectorIhlN6thrust23THRUST_200600_302600_NS4plusIlEEEEZZNS1_33reduce_by_key_impl_wrapped_configILNS1_25lookback_scan_determinismE0ES3_S9_PhNS6_17constant_iteratorIiNS6_11use_defaultESE_EENS6_10device_ptrIhEENSG_IlEEPmS8_NS6_8equal_toIhEEEE10hipError_tPvRmT2_T3_mT4_T5_T6_T7_T8_P12ihipStream_tbENKUlT_T0_E_clISt17integral_constantIbLb1EES13_EEDaSY_SZ_EUlSY_E_NS1_11comp_targetILNS1_3genE4ELNS1_11target_archE910ELNS1_3gpuE8ELNS1_3repE0EEENS1_30default_config_static_selectorELNS0_4arch9wavefront6targetE1EEEvT1_
                                        ; -- End function
	.set _ZN7rocprim17ROCPRIM_400000_NS6detail17trampoline_kernelINS0_14default_configENS1_29reduce_by_key_config_selectorIhlN6thrust23THRUST_200600_302600_NS4plusIlEEEEZZNS1_33reduce_by_key_impl_wrapped_configILNS1_25lookback_scan_determinismE0ES3_S9_PhNS6_17constant_iteratorIiNS6_11use_defaultESE_EENS6_10device_ptrIhEENSG_IlEEPmS8_NS6_8equal_toIhEEEE10hipError_tPvRmT2_T3_mT4_T5_T6_T7_T8_P12ihipStream_tbENKUlT_T0_E_clISt17integral_constantIbLb1EES13_EEDaSY_SZ_EUlSY_E_NS1_11comp_targetILNS1_3genE4ELNS1_11target_archE910ELNS1_3gpuE8ELNS1_3repE0EEENS1_30default_config_static_selectorELNS0_4arch9wavefront6targetE1EEEvT1_.num_vgpr, 0
	.set _ZN7rocprim17ROCPRIM_400000_NS6detail17trampoline_kernelINS0_14default_configENS1_29reduce_by_key_config_selectorIhlN6thrust23THRUST_200600_302600_NS4plusIlEEEEZZNS1_33reduce_by_key_impl_wrapped_configILNS1_25lookback_scan_determinismE0ES3_S9_PhNS6_17constant_iteratorIiNS6_11use_defaultESE_EENS6_10device_ptrIhEENSG_IlEEPmS8_NS6_8equal_toIhEEEE10hipError_tPvRmT2_T3_mT4_T5_T6_T7_T8_P12ihipStream_tbENKUlT_T0_E_clISt17integral_constantIbLb1EES13_EEDaSY_SZ_EUlSY_E_NS1_11comp_targetILNS1_3genE4ELNS1_11target_archE910ELNS1_3gpuE8ELNS1_3repE0EEENS1_30default_config_static_selectorELNS0_4arch9wavefront6targetE1EEEvT1_.num_agpr, 0
	.set _ZN7rocprim17ROCPRIM_400000_NS6detail17trampoline_kernelINS0_14default_configENS1_29reduce_by_key_config_selectorIhlN6thrust23THRUST_200600_302600_NS4plusIlEEEEZZNS1_33reduce_by_key_impl_wrapped_configILNS1_25lookback_scan_determinismE0ES3_S9_PhNS6_17constant_iteratorIiNS6_11use_defaultESE_EENS6_10device_ptrIhEENSG_IlEEPmS8_NS6_8equal_toIhEEEE10hipError_tPvRmT2_T3_mT4_T5_T6_T7_T8_P12ihipStream_tbENKUlT_T0_E_clISt17integral_constantIbLb1EES13_EEDaSY_SZ_EUlSY_E_NS1_11comp_targetILNS1_3genE4ELNS1_11target_archE910ELNS1_3gpuE8ELNS1_3repE0EEENS1_30default_config_static_selectorELNS0_4arch9wavefront6targetE1EEEvT1_.numbered_sgpr, 0
	.set _ZN7rocprim17ROCPRIM_400000_NS6detail17trampoline_kernelINS0_14default_configENS1_29reduce_by_key_config_selectorIhlN6thrust23THRUST_200600_302600_NS4plusIlEEEEZZNS1_33reduce_by_key_impl_wrapped_configILNS1_25lookback_scan_determinismE0ES3_S9_PhNS6_17constant_iteratorIiNS6_11use_defaultESE_EENS6_10device_ptrIhEENSG_IlEEPmS8_NS6_8equal_toIhEEEE10hipError_tPvRmT2_T3_mT4_T5_T6_T7_T8_P12ihipStream_tbENKUlT_T0_E_clISt17integral_constantIbLb1EES13_EEDaSY_SZ_EUlSY_E_NS1_11comp_targetILNS1_3genE4ELNS1_11target_archE910ELNS1_3gpuE8ELNS1_3repE0EEENS1_30default_config_static_selectorELNS0_4arch9wavefront6targetE1EEEvT1_.num_named_barrier, 0
	.set _ZN7rocprim17ROCPRIM_400000_NS6detail17trampoline_kernelINS0_14default_configENS1_29reduce_by_key_config_selectorIhlN6thrust23THRUST_200600_302600_NS4plusIlEEEEZZNS1_33reduce_by_key_impl_wrapped_configILNS1_25lookback_scan_determinismE0ES3_S9_PhNS6_17constant_iteratorIiNS6_11use_defaultESE_EENS6_10device_ptrIhEENSG_IlEEPmS8_NS6_8equal_toIhEEEE10hipError_tPvRmT2_T3_mT4_T5_T6_T7_T8_P12ihipStream_tbENKUlT_T0_E_clISt17integral_constantIbLb1EES13_EEDaSY_SZ_EUlSY_E_NS1_11comp_targetILNS1_3genE4ELNS1_11target_archE910ELNS1_3gpuE8ELNS1_3repE0EEENS1_30default_config_static_selectorELNS0_4arch9wavefront6targetE1EEEvT1_.private_seg_size, 0
	.set _ZN7rocprim17ROCPRIM_400000_NS6detail17trampoline_kernelINS0_14default_configENS1_29reduce_by_key_config_selectorIhlN6thrust23THRUST_200600_302600_NS4plusIlEEEEZZNS1_33reduce_by_key_impl_wrapped_configILNS1_25lookback_scan_determinismE0ES3_S9_PhNS6_17constant_iteratorIiNS6_11use_defaultESE_EENS6_10device_ptrIhEENSG_IlEEPmS8_NS6_8equal_toIhEEEE10hipError_tPvRmT2_T3_mT4_T5_T6_T7_T8_P12ihipStream_tbENKUlT_T0_E_clISt17integral_constantIbLb1EES13_EEDaSY_SZ_EUlSY_E_NS1_11comp_targetILNS1_3genE4ELNS1_11target_archE910ELNS1_3gpuE8ELNS1_3repE0EEENS1_30default_config_static_selectorELNS0_4arch9wavefront6targetE1EEEvT1_.uses_vcc, 0
	.set _ZN7rocprim17ROCPRIM_400000_NS6detail17trampoline_kernelINS0_14default_configENS1_29reduce_by_key_config_selectorIhlN6thrust23THRUST_200600_302600_NS4plusIlEEEEZZNS1_33reduce_by_key_impl_wrapped_configILNS1_25lookback_scan_determinismE0ES3_S9_PhNS6_17constant_iteratorIiNS6_11use_defaultESE_EENS6_10device_ptrIhEENSG_IlEEPmS8_NS6_8equal_toIhEEEE10hipError_tPvRmT2_T3_mT4_T5_T6_T7_T8_P12ihipStream_tbENKUlT_T0_E_clISt17integral_constantIbLb1EES13_EEDaSY_SZ_EUlSY_E_NS1_11comp_targetILNS1_3genE4ELNS1_11target_archE910ELNS1_3gpuE8ELNS1_3repE0EEENS1_30default_config_static_selectorELNS0_4arch9wavefront6targetE1EEEvT1_.uses_flat_scratch, 0
	.set _ZN7rocprim17ROCPRIM_400000_NS6detail17trampoline_kernelINS0_14default_configENS1_29reduce_by_key_config_selectorIhlN6thrust23THRUST_200600_302600_NS4plusIlEEEEZZNS1_33reduce_by_key_impl_wrapped_configILNS1_25lookback_scan_determinismE0ES3_S9_PhNS6_17constant_iteratorIiNS6_11use_defaultESE_EENS6_10device_ptrIhEENSG_IlEEPmS8_NS6_8equal_toIhEEEE10hipError_tPvRmT2_T3_mT4_T5_T6_T7_T8_P12ihipStream_tbENKUlT_T0_E_clISt17integral_constantIbLb1EES13_EEDaSY_SZ_EUlSY_E_NS1_11comp_targetILNS1_3genE4ELNS1_11target_archE910ELNS1_3gpuE8ELNS1_3repE0EEENS1_30default_config_static_selectorELNS0_4arch9wavefront6targetE1EEEvT1_.has_dyn_sized_stack, 0
	.set _ZN7rocprim17ROCPRIM_400000_NS6detail17trampoline_kernelINS0_14default_configENS1_29reduce_by_key_config_selectorIhlN6thrust23THRUST_200600_302600_NS4plusIlEEEEZZNS1_33reduce_by_key_impl_wrapped_configILNS1_25lookback_scan_determinismE0ES3_S9_PhNS6_17constant_iteratorIiNS6_11use_defaultESE_EENS6_10device_ptrIhEENSG_IlEEPmS8_NS6_8equal_toIhEEEE10hipError_tPvRmT2_T3_mT4_T5_T6_T7_T8_P12ihipStream_tbENKUlT_T0_E_clISt17integral_constantIbLb1EES13_EEDaSY_SZ_EUlSY_E_NS1_11comp_targetILNS1_3genE4ELNS1_11target_archE910ELNS1_3gpuE8ELNS1_3repE0EEENS1_30default_config_static_selectorELNS0_4arch9wavefront6targetE1EEEvT1_.has_recursion, 0
	.set _ZN7rocprim17ROCPRIM_400000_NS6detail17trampoline_kernelINS0_14default_configENS1_29reduce_by_key_config_selectorIhlN6thrust23THRUST_200600_302600_NS4plusIlEEEEZZNS1_33reduce_by_key_impl_wrapped_configILNS1_25lookback_scan_determinismE0ES3_S9_PhNS6_17constant_iteratorIiNS6_11use_defaultESE_EENS6_10device_ptrIhEENSG_IlEEPmS8_NS6_8equal_toIhEEEE10hipError_tPvRmT2_T3_mT4_T5_T6_T7_T8_P12ihipStream_tbENKUlT_T0_E_clISt17integral_constantIbLb1EES13_EEDaSY_SZ_EUlSY_E_NS1_11comp_targetILNS1_3genE4ELNS1_11target_archE910ELNS1_3gpuE8ELNS1_3repE0EEENS1_30default_config_static_selectorELNS0_4arch9wavefront6targetE1EEEvT1_.has_indirect_call, 0
	.section	.AMDGPU.csdata,"",@progbits
; Kernel info:
; codeLenInByte = 0
; TotalNumSgprs: 4
; NumVgprs: 0
; ScratchSize: 0
; MemoryBound: 0
; FloatMode: 240
; IeeeMode: 1
; LDSByteSize: 0 bytes/workgroup (compile time only)
; SGPRBlocks: 0
; VGPRBlocks: 0
; NumSGPRsForWavesPerEU: 4
; NumVGPRsForWavesPerEU: 1
; Occupancy: 10
; WaveLimiterHint : 0
; COMPUTE_PGM_RSRC2:SCRATCH_EN: 0
; COMPUTE_PGM_RSRC2:USER_SGPR: 6
; COMPUTE_PGM_RSRC2:TRAP_HANDLER: 0
; COMPUTE_PGM_RSRC2:TGID_X_EN: 1
; COMPUTE_PGM_RSRC2:TGID_Y_EN: 0
; COMPUTE_PGM_RSRC2:TGID_Z_EN: 0
; COMPUTE_PGM_RSRC2:TIDIG_COMP_CNT: 0
	.section	.text._ZN7rocprim17ROCPRIM_400000_NS6detail17trampoline_kernelINS0_14default_configENS1_29reduce_by_key_config_selectorIhlN6thrust23THRUST_200600_302600_NS4plusIlEEEEZZNS1_33reduce_by_key_impl_wrapped_configILNS1_25lookback_scan_determinismE0ES3_S9_PhNS6_17constant_iteratorIiNS6_11use_defaultESE_EENS6_10device_ptrIhEENSG_IlEEPmS8_NS6_8equal_toIhEEEE10hipError_tPvRmT2_T3_mT4_T5_T6_T7_T8_P12ihipStream_tbENKUlT_T0_E_clISt17integral_constantIbLb1EES13_EEDaSY_SZ_EUlSY_E_NS1_11comp_targetILNS1_3genE3ELNS1_11target_archE908ELNS1_3gpuE7ELNS1_3repE0EEENS1_30default_config_static_selectorELNS0_4arch9wavefront6targetE1EEEvT1_,"axG",@progbits,_ZN7rocprim17ROCPRIM_400000_NS6detail17trampoline_kernelINS0_14default_configENS1_29reduce_by_key_config_selectorIhlN6thrust23THRUST_200600_302600_NS4plusIlEEEEZZNS1_33reduce_by_key_impl_wrapped_configILNS1_25lookback_scan_determinismE0ES3_S9_PhNS6_17constant_iteratorIiNS6_11use_defaultESE_EENS6_10device_ptrIhEENSG_IlEEPmS8_NS6_8equal_toIhEEEE10hipError_tPvRmT2_T3_mT4_T5_T6_T7_T8_P12ihipStream_tbENKUlT_T0_E_clISt17integral_constantIbLb1EES13_EEDaSY_SZ_EUlSY_E_NS1_11comp_targetILNS1_3genE3ELNS1_11target_archE908ELNS1_3gpuE7ELNS1_3repE0EEENS1_30default_config_static_selectorELNS0_4arch9wavefront6targetE1EEEvT1_,comdat
	.protected	_ZN7rocprim17ROCPRIM_400000_NS6detail17trampoline_kernelINS0_14default_configENS1_29reduce_by_key_config_selectorIhlN6thrust23THRUST_200600_302600_NS4plusIlEEEEZZNS1_33reduce_by_key_impl_wrapped_configILNS1_25lookback_scan_determinismE0ES3_S9_PhNS6_17constant_iteratorIiNS6_11use_defaultESE_EENS6_10device_ptrIhEENSG_IlEEPmS8_NS6_8equal_toIhEEEE10hipError_tPvRmT2_T3_mT4_T5_T6_T7_T8_P12ihipStream_tbENKUlT_T0_E_clISt17integral_constantIbLb1EES13_EEDaSY_SZ_EUlSY_E_NS1_11comp_targetILNS1_3genE3ELNS1_11target_archE908ELNS1_3gpuE7ELNS1_3repE0EEENS1_30default_config_static_selectorELNS0_4arch9wavefront6targetE1EEEvT1_ ; -- Begin function _ZN7rocprim17ROCPRIM_400000_NS6detail17trampoline_kernelINS0_14default_configENS1_29reduce_by_key_config_selectorIhlN6thrust23THRUST_200600_302600_NS4plusIlEEEEZZNS1_33reduce_by_key_impl_wrapped_configILNS1_25lookback_scan_determinismE0ES3_S9_PhNS6_17constant_iteratorIiNS6_11use_defaultESE_EENS6_10device_ptrIhEENSG_IlEEPmS8_NS6_8equal_toIhEEEE10hipError_tPvRmT2_T3_mT4_T5_T6_T7_T8_P12ihipStream_tbENKUlT_T0_E_clISt17integral_constantIbLb1EES13_EEDaSY_SZ_EUlSY_E_NS1_11comp_targetILNS1_3genE3ELNS1_11target_archE908ELNS1_3gpuE7ELNS1_3repE0EEENS1_30default_config_static_selectorELNS0_4arch9wavefront6targetE1EEEvT1_
	.globl	_ZN7rocprim17ROCPRIM_400000_NS6detail17trampoline_kernelINS0_14default_configENS1_29reduce_by_key_config_selectorIhlN6thrust23THRUST_200600_302600_NS4plusIlEEEEZZNS1_33reduce_by_key_impl_wrapped_configILNS1_25lookback_scan_determinismE0ES3_S9_PhNS6_17constant_iteratorIiNS6_11use_defaultESE_EENS6_10device_ptrIhEENSG_IlEEPmS8_NS6_8equal_toIhEEEE10hipError_tPvRmT2_T3_mT4_T5_T6_T7_T8_P12ihipStream_tbENKUlT_T0_E_clISt17integral_constantIbLb1EES13_EEDaSY_SZ_EUlSY_E_NS1_11comp_targetILNS1_3genE3ELNS1_11target_archE908ELNS1_3gpuE7ELNS1_3repE0EEENS1_30default_config_static_selectorELNS0_4arch9wavefront6targetE1EEEvT1_
	.p2align	8
	.type	_ZN7rocprim17ROCPRIM_400000_NS6detail17trampoline_kernelINS0_14default_configENS1_29reduce_by_key_config_selectorIhlN6thrust23THRUST_200600_302600_NS4plusIlEEEEZZNS1_33reduce_by_key_impl_wrapped_configILNS1_25lookback_scan_determinismE0ES3_S9_PhNS6_17constant_iteratorIiNS6_11use_defaultESE_EENS6_10device_ptrIhEENSG_IlEEPmS8_NS6_8equal_toIhEEEE10hipError_tPvRmT2_T3_mT4_T5_T6_T7_T8_P12ihipStream_tbENKUlT_T0_E_clISt17integral_constantIbLb1EES13_EEDaSY_SZ_EUlSY_E_NS1_11comp_targetILNS1_3genE3ELNS1_11target_archE908ELNS1_3gpuE7ELNS1_3repE0EEENS1_30default_config_static_selectorELNS0_4arch9wavefront6targetE1EEEvT1_,@function
_ZN7rocprim17ROCPRIM_400000_NS6detail17trampoline_kernelINS0_14default_configENS1_29reduce_by_key_config_selectorIhlN6thrust23THRUST_200600_302600_NS4plusIlEEEEZZNS1_33reduce_by_key_impl_wrapped_configILNS1_25lookback_scan_determinismE0ES3_S9_PhNS6_17constant_iteratorIiNS6_11use_defaultESE_EENS6_10device_ptrIhEENSG_IlEEPmS8_NS6_8equal_toIhEEEE10hipError_tPvRmT2_T3_mT4_T5_T6_T7_T8_P12ihipStream_tbENKUlT_T0_E_clISt17integral_constantIbLb1EES13_EEDaSY_SZ_EUlSY_E_NS1_11comp_targetILNS1_3genE3ELNS1_11target_archE908ELNS1_3gpuE7ELNS1_3repE0EEENS1_30default_config_static_selectorELNS0_4arch9wavefront6targetE1EEEvT1_: ; @_ZN7rocprim17ROCPRIM_400000_NS6detail17trampoline_kernelINS0_14default_configENS1_29reduce_by_key_config_selectorIhlN6thrust23THRUST_200600_302600_NS4plusIlEEEEZZNS1_33reduce_by_key_impl_wrapped_configILNS1_25lookback_scan_determinismE0ES3_S9_PhNS6_17constant_iteratorIiNS6_11use_defaultESE_EENS6_10device_ptrIhEENSG_IlEEPmS8_NS6_8equal_toIhEEEE10hipError_tPvRmT2_T3_mT4_T5_T6_T7_T8_P12ihipStream_tbENKUlT_T0_E_clISt17integral_constantIbLb1EES13_EEDaSY_SZ_EUlSY_E_NS1_11comp_targetILNS1_3genE3ELNS1_11target_archE908ELNS1_3gpuE7ELNS1_3repE0EEENS1_30default_config_static_selectorELNS0_4arch9wavefront6targetE1EEEvT1_
; %bb.0:
	.section	.rodata,"a",@progbits
	.p2align	6, 0x0
	.amdhsa_kernel _ZN7rocprim17ROCPRIM_400000_NS6detail17trampoline_kernelINS0_14default_configENS1_29reduce_by_key_config_selectorIhlN6thrust23THRUST_200600_302600_NS4plusIlEEEEZZNS1_33reduce_by_key_impl_wrapped_configILNS1_25lookback_scan_determinismE0ES3_S9_PhNS6_17constant_iteratorIiNS6_11use_defaultESE_EENS6_10device_ptrIhEENSG_IlEEPmS8_NS6_8equal_toIhEEEE10hipError_tPvRmT2_T3_mT4_T5_T6_T7_T8_P12ihipStream_tbENKUlT_T0_E_clISt17integral_constantIbLb1EES13_EEDaSY_SZ_EUlSY_E_NS1_11comp_targetILNS1_3genE3ELNS1_11target_archE908ELNS1_3gpuE7ELNS1_3repE0EEENS1_30default_config_static_selectorELNS0_4arch9wavefront6targetE1EEEvT1_
		.amdhsa_group_segment_fixed_size 0
		.amdhsa_private_segment_fixed_size 0
		.amdhsa_kernarg_size 144
		.amdhsa_user_sgpr_count 6
		.amdhsa_user_sgpr_private_segment_buffer 1
		.amdhsa_user_sgpr_dispatch_ptr 0
		.amdhsa_user_sgpr_queue_ptr 0
		.amdhsa_user_sgpr_kernarg_segment_ptr 1
		.amdhsa_user_sgpr_dispatch_id 0
		.amdhsa_user_sgpr_flat_scratch_init 0
		.amdhsa_user_sgpr_private_segment_size 0
		.amdhsa_uses_dynamic_stack 0
		.amdhsa_system_sgpr_private_segment_wavefront_offset 0
		.amdhsa_system_sgpr_workgroup_id_x 1
		.amdhsa_system_sgpr_workgroup_id_y 0
		.amdhsa_system_sgpr_workgroup_id_z 0
		.amdhsa_system_sgpr_workgroup_info 0
		.amdhsa_system_vgpr_workitem_id 0
		.amdhsa_next_free_vgpr 1
		.amdhsa_next_free_sgpr 0
		.amdhsa_reserve_vcc 0
		.amdhsa_reserve_flat_scratch 0
		.amdhsa_float_round_mode_32 0
		.amdhsa_float_round_mode_16_64 0
		.amdhsa_float_denorm_mode_32 3
		.amdhsa_float_denorm_mode_16_64 3
		.amdhsa_dx10_clamp 1
		.amdhsa_ieee_mode 1
		.amdhsa_fp16_overflow 0
		.amdhsa_exception_fp_ieee_invalid_op 0
		.amdhsa_exception_fp_denorm_src 0
		.amdhsa_exception_fp_ieee_div_zero 0
		.amdhsa_exception_fp_ieee_overflow 0
		.amdhsa_exception_fp_ieee_underflow 0
		.amdhsa_exception_fp_ieee_inexact 0
		.amdhsa_exception_int_div_zero 0
	.end_amdhsa_kernel
	.section	.text._ZN7rocprim17ROCPRIM_400000_NS6detail17trampoline_kernelINS0_14default_configENS1_29reduce_by_key_config_selectorIhlN6thrust23THRUST_200600_302600_NS4plusIlEEEEZZNS1_33reduce_by_key_impl_wrapped_configILNS1_25lookback_scan_determinismE0ES3_S9_PhNS6_17constant_iteratorIiNS6_11use_defaultESE_EENS6_10device_ptrIhEENSG_IlEEPmS8_NS6_8equal_toIhEEEE10hipError_tPvRmT2_T3_mT4_T5_T6_T7_T8_P12ihipStream_tbENKUlT_T0_E_clISt17integral_constantIbLb1EES13_EEDaSY_SZ_EUlSY_E_NS1_11comp_targetILNS1_3genE3ELNS1_11target_archE908ELNS1_3gpuE7ELNS1_3repE0EEENS1_30default_config_static_selectorELNS0_4arch9wavefront6targetE1EEEvT1_,"axG",@progbits,_ZN7rocprim17ROCPRIM_400000_NS6detail17trampoline_kernelINS0_14default_configENS1_29reduce_by_key_config_selectorIhlN6thrust23THRUST_200600_302600_NS4plusIlEEEEZZNS1_33reduce_by_key_impl_wrapped_configILNS1_25lookback_scan_determinismE0ES3_S9_PhNS6_17constant_iteratorIiNS6_11use_defaultESE_EENS6_10device_ptrIhEENSG_IlEEPmS8_NS6_8equal_toIhEEEE10hipError_tPvRmT2_T3_mT4_T5_T6_T7_T8_P12ihipStream_tbENKUlT_T0_E_clISt17integral_constantIbLb1EES13_EEDaSY_SZ_EUlSY_E_NS1_11comp_targetILNS1_3genE3ELNS1_11target_archE908ELNS1_3gpuE7ELNS1_3repE0EEENS1_30default_config_static_selectorELNS0_4arch9wavefront6targetE1EEEvT1_,comdat
.Lfunc_end377:
	.size	_ZN7rocprim17ROCPRIM_400000_NS6detail17trampoline_kernelINS0_14default_configENS1_29reduce_by_key_config_selectorIhlN6thrust23THRUST_200600_302600_NS4plusIlEEEEZZNS1_33reduce_by_key_impl_wrapped_configILNS1_25lookback_scan_determinismE0ES3_S9_PhNS6_17constant_iteratorIiNS6_11use_defaultESE_EENS6_10device_ptrIhEENSG_IlEEPmS8_NS6_8equal_toIhEEEE10hipError_tPvRmT2_T3_mT4_T5_T6_T7_T8_P12ihipStream_tbENKUlT_T0_E_clISt17integral_constantIbLb1EES13_EEDaSY_SZ_EUlSY_E_NS1_11comp_targetILNS1_3genE3ELNS1_11target_archE908ELNS1_3gpuE7ELNS1_3repE0EEENS1_30default_config_static_selectorELNS0_4arch9wavefront6targetE1EEEvT1_, .Lfunc_end377-_ZN7rocprim17ROCPRIM_400000_NS6detail17trampoline_kernelINS0_14default_configENS1_29reduce_by_key_config_selectorIhlN6thrust23THRUST_200600_302600_NS4plusIlEEEEZZNS1_33reduce_by_key_impl_wrapped_configILNS1_25lookback_scan_determinismE0ES3_S9_PhNS6_17constant_iteratorIiNS6_11use_defaultESE_EENS6_10device_ptrIhEENSG_IlEEPmS8_NS6_8equal_toIhEEEE10hipError_tPvRmT2_T3_mT4_T5_T6_T7_T8_P12ihipStream_tbENKUlT_T0_E_clISt17integral_constantIbLb1EES13_EEDaSY_SZ_EUlSY_E_NS1_11comp_targetILNS1_3genE3ELNS1_11target_archE908ELNS1_3gpuE7ELNS1_3repE0EEENS1_30default_config_static_selectorELNS0_4arch9wavefront6targetE1EEEvT1_
                                        ; -- End function
	.set _ZN7rocprim17ROCPRIM_400000_NS6detail17trampoline_kernelINS0_14default_configENS1_29reduce_by_key_config_selectorIhlN6thrust23THRUST_200600_302600_NS4plusIlEEEEZZNS1_33reduce_by_key_impl_wrapped_configILNS1_25lookback_scan_determinismE0ES3_S9_PhNS6_17constant_iteratorIiNS6_11use_defaultESE_EENS6_10device_ptrIhEENSG_IlEEPmS8_NS6_8equal_toIhEEEE10hipError_tPvRmT2_T3_mT4_T5_T6_T7_T8_P12ihipStream_tbENKUlT_T0_E_clISt17integral_constantIbLb1EES13_EEDaSY_SZ_EUlSY_E_NS1_11comp_targetILNS1_3genE3ELNS1_11target_archE908ELNS1_3gpuE7ELNS1_3repE0EEENS1_30default_config_static_selectorELNS0_4arch9wavefront6targetE1EEEvT1_.num_vgpr, 0
	.set _ZN7rocprim17ROCPRIM_400000_NS6detail17trampoline_kernelINS0_14default_configENS1_29reduce_by_key_config_selectorIhlN6thrust23THRUST_200600_302600_NS4plusIlEEEEZZNS1_33reduce_by_key_impl_wrapped_configILNS1_25lookback_scan_determinismE0ES3_S9_PhNS6_17constant_iteratorIiNS6_11use_defaultESE_EENS6_10device_ptrIhEENSG_IlEEPmS8_NS6_8equal_toIhEEEE10hipError_tPvRmT2_T3_mT4_T5_T6_T7_T8_P12ihipStream_tbENKUlT_T0_E_clISt17integral_constantIbLb1EES13_EEDaSY_SZ_EUlSY_E_NS1_11comp_targetILNS1_3genE3ELNS1_11target_archE908ELNS1_3gpuE7ELNS1_3repE0EEENS1_30default_config_static_selectorELNS0_4arch9wavefront6targetE1EEEvT1_.num_agpr, 0
	.set _ZN7rocprim17ROCPRIM_400000_NS6detail17trampoline_kernelINS0_14default_configENS1_29reduce_by_key_config_selectorIhlN6thrust23THRUST_200600_302600_NS4plusIlEEEEZZNS1_33reduce_by_key_impl_wrapped_configILNS1_25lookback_scan_determinismE0ES3_S9_PhNS6_17constant_iteratorIiNS6_11use_defaultESE_EENS6_10device_ptrIhEENSG_IlEEPmS8_NS6_8equal_toIhEEEE10hipError_tPvRmT2_T3_mT4_T5_T6_T7_T8_P12ihipStream_tbENKUlT_T0_E_clISt17integral_constantIbLb1EES13_EEDaSY_SZ_EUlSY_E_NS1_11comp_targetILNS1_3genE3ELNS1_11target_archE908ELNS1_3gpuE7ELNS1_3repE0EEENS1_30default_config_static_selectorELNS0_4arch9wavefront6targetE1EEEvT1_.numbered_sgpr, 0
	.set _ZN7rocprim17ROCPRIM_400000_NS6detail17trampoline_kernelINS0_14default_configENS1_29reduce_by_key_config_selectorIhlN6thrust23THRUST_200600_302600_NS4plusIlEEEEZZNS1_33reduce_by_key_impl_wrapped_configILNS1_25lookback_scan_determinismE0ES3_S9_PhNS6_17constant_iteratorIiNS6_11use_defaultESE_EENS6_10device_ptrIhEENSG_IlEEPmS8_NS6_8equal_toIhEEEE10hipError_tPvRmT2_T3_mT4_T5_T6_T7_T8_P12ihipStream_tbENKUlT_T0_E_clISt17integral_constantIbLb1EES13_EEDaSY_SZ_EUlSY_E_NS1_11comp_targetILNS1_3genE3ELNS1_11target_archE908ELNS1_3gpuE7ELNS1_3repE0EEENS1_30default_config_static_selectorELNS0_4arch9wavefront6targetE1EEEvT1_.num_named_barrier, 0
	.set _ZN7rocprim17ROCPRIM_400000_NS6detail17trampoline_kernelINS0_14default_configENS1_29reduce_by_key_config_selectorIhlN6thrust23THRUST_200600_302600_NS4plusIlEEEEZZNS1_33reduce_by_key_impl_wrapped_configILNS1_25lookback_scan_determinismE0ES3_S9_PhNS6_17constant_iteratorIiNS6_11use_defaultESE_EENS6_10device_ptrIhEENSG_IlEEPmS8_NS6_8equal_toIhEEEE10hipError_tPvRmT2_T3_mT4_T5_T6_T7_T8_P12ihipStream_tbENKUlT_T0_E_clISt17integral_constantIbLb1EES13_EEDaSY_SZ_EUlSY_E_NS1_11comp_targetILNS1_3genE3ELNS1_11target_archE908ELNS1_3gpuE7ELNS1_3repE0EEENS1_30default_config_static_selectorELNS0_4arch9wavefront6targetE1EEEvT1_.private_seg_size, 0
	.set _ZN7rocprim17ROCPRIM_400000_NS6detail17trampoline_kernelINS0_14default_configENS1_29reduce_by_key_config_selectorIhlN6thrust23THRUST_200600_302600_NS4plusIlEEEEZZNS1_33reduce_by_key_impl_wrapped_configILNS1_25lookback_scan_determinismE0ES3_S9_PhNS6_17constant_iteratorIiNS6_11use_defaultESE_EENS6_10device_ptrIhEENSG_IlEEPmS8_NS6_8equal_toIhEEEE10hipError_tPvRmT2_T3_mT4_T5_T6_T7_T8_P12ihipStream_tbENKUlT_T0_E_clISt17integral_constantIbLb1EES13_EEDaSY_SZ_EUlSY_E_NS1_11comp_targetILNS1_3genE3ELNS1_11target_archE908ELNS1_3gpuE7ELNS1_3repE0EEENS1_30default_config_static_selectorELNS0_4arch9wavefront6targetE1EEEvT1_.uses_vcc, 0
	.set _ZN7rocprim17ROCPRIM_400000_NS6detail17trampoline_kernelINS0_14default_configENS1_29reduce_by_key_config_selectorIhlN6thrust23THRUST_200600_302600_NS4plusIlEEEEZZNS1_33reduce_by_key_impl_wrapped_configILNS1_25lookback_scan_determinismE0ES3_S9_PhNS6_17constant_iteratorIiNS6_11use_defaultESE_EENS6_10device_ptrIhEENSG_IlEEPmS8_NS6_8equal_toIhEEEE10hipError_tPvRmT2_T3_mT4_T5_T6_T7_T8_P12ihipStream_tbENKUlT_T0_E_clISt17integral_constantIbLb1EES13_EEDaSY_SZ_EUlSY_E_NS1_11comp_targetILNS1_3genE3ELNS1_11target_archE908ELNS1_3gpuE7ELNS1_3repE0EEENS1_30default_config_static_selectorELNS0_4arch9wavefront6targetE1EEEvT1_.uses_flat_scratch, 0
	.set _ZN7rocprim17ROCPRIM_400000_NS6detail17trampoline_kernelINS0_14default_configENS1_29reduce_by_key_config_selectorIhlN6thrust23THRUST_200600_302600_NS4plusIlEEEEZZNS1_33reduce_by_key_impl_wrapped_configILNS1_25lookback_scan_determinismE0ES3_S9_PhNS6_17constant_iteratorIiNS6_11use_defaultESE_EENS6_10device_ptrIhEENSG_IlEEPmS8_NS6_8equal_toIhEEEE10hipError_tPvRmT2_T3_mT4_T5_T6_T7_T8_P12ihipStream_tbENKUlT_T0_E_clISt17integral_constantIbLb1EES13_EEDaSY_SZ_EUlSY_E_NS1_11comp_targetILNS1_3genE3ELNS1_11target_archE908ELNS1_3gpuE7ELNS1_3repE0EEENS1_30default_config_static_selectorELNS0_4arch9wavefront6targetE1EEEvT1_.has_dyn_sized_stack, 0
	.set _ZN7rocprim17ROCPRIM_400000_NS6detail17trampoline_kernelINS0_14default_configENS1_29reduce_by_key_config_selectorIhlN6thrust23THRUST_200600_302600_NS4plusIlEEEEZZNS1_33reduce_by_key_impl_wrapped_configILNS1_25lookback_scan_determinismE0ES3_S9_PhNS6_17constant_iteratorIiNS6_11use_defaultESE_EENS6_10device_ptrIhEENSG_IlEEPmS8_NS6_8equal_toIhEEEE10hipError_tPvRmT2_T3_mT4_T5_T6_T7_T8_P12ihipStream_tbENKUlT_T0_E_clISt17integral_constantIbLb1EES13_EEDaSY_SZ_EUlSY_E_NS1_11comp_targetILNS1_3genE3ELNS1_11target_archE908ELNS1_3gpuE7ELNS1_3repE0EEENS1_30default_config_static_selectorELNS0_4arch9wavefront6targetE1EEEvT1_.has_recursion, 0
	.set _ZN7rocprim17ROCPRIM_400000_NS6detail17trampoline_kernelINS0_14default_configENS1_29reduce_by_key_config_selectorIhlN6thrust23THRUST_200600_302600_NS4plusIlEEEEZZNS1_33reduce_by_key_impl_wrapped_configILNS1_25lookback_scan_determinismE0ES3_S9_PhNS6_17constant_iteratorIiNS6_11use_defaultESE_EENS6_10device_ptrIhEENSG_IlEEPmS8_NS6_8equal_toIhEEEE10hipError_tPvRmT2_T3_mT4_T5_T6_T7_T8_P12ihipStream_tbENKUlT_T0_E_clISt17integral_constantIbLb1EES13_EEDaSY_SZ_EUlSY_E_NS1_11comp_targetILNS1_3genE3ELNS1_11target_archE908ELNS1_3gpuE7ELNS1_3repE0EEENS1_30default_config_static_selectorELNS0_4arch9wavefront6targetE1EEEvT1_.has_indirect_call, 0
	.section	.AMDGPU.csdata,"",@progbits
; Kernel info:
; codeLenInByte = 0
; TotalNumSgprs: 4
; NumVgprs: 0
; ScratchSize: 0
; MemoryBound: 0
; FloatMode: 240
; IeeeMode: 1
; LDSByteSize: 0 bytes/workgroup (compile time only)
; SGPRBlocks: 0
; VGPRBlocks: 0
; NumSGPRsForWavesPerEU: 4
; NumVGPRsForWavesPerEU: 1
; Occupancy: 10
; WaveLimiterHint : 0
; COMPUTE_PGM_RSRC2:SCRATCH_EN: 0
; COMPUTE_PGM_RSRC2:USER_SGPR: 6
; COMPUTE_PGM_RSRC2:TRAP_HANDLER: 0
; COMPUTE_PGM_RSRC2:TGID_X_EN: 1
; COMPUTE_PGM_RSRC2:TGID_Y_EN: 0
; COMPUTE_PGM_RSRC2:TGID_Z_EN: 0
; COMPUTE_PGM_RSRC2:TIDIG_COMP_CNT: 0
	.section	.text._ZN7rocprim17ROCPRIM_400000_NS6detail17trampoline_kernelINS0_14default_configENS1_29reduce_by_key_config_selectorIhlN6thrust23THRUST_200600_302600_NS4plusIlEEEEZZNS1_33reduce_by_key_impl_wrapped_configILNS1_25lookback_scan_determinismE0ES3_S9_PhNS6_17constant_iteratorIiNS6_11use_defaultESE_EENS6_10device_ptrIhEENSG_IlEEPmS8_NS6_8equal_toIhEEEE10hipError_tPvRmT2_T3_mT4_T5_T6_T7_T8_P12ihipStream_tbENKUlT_T0_E_clISt17integral_constantIbLb1EES13_EEDaSY_SZ_EUlSY_E_NS1_11comp_targetILNS1_3genE2ELNS1_11target_archE906ELNS1_3gpuE6ELNS1_3repE0EEENS1_30default_config_static_selectorELNS0_4arch9wavefront6targetE1EEEvT1_,"axG",@progbits,_ZN7rocprim17ROCPRIM_400000_NS6detail17trampoline_kernelINS0_14default_configENS1_29reduce_by_key_config_selectorIhlN6thrust23THRUST_200600_302600_NS4plusIlEEEEZZNS1_33reduce_by_key_impl_wrapped_configILNS1_25lookback_scan_determinismE0ES3_S9_PhNS6_17constant_iteratorIiNS6_11use_defaultESE_EENS6_10device_ptrIhEENSG_IlEEPmS8_NS6_8equal_toIhEEEE10hipError_tPvRmT2_T3_mT4_T5_T6_T7_T8_P12ihipStream_tbENKUlT_T0_E_clISt17integral_constantIbLb1EES13_EEDaSY_SZ_EUlSY_E_NS1_11comp_targetILNS1_3genE2ELNS1_11target_archE906ELNS1_3gpuE6ELNS1_3repE0EEENS1_30default_config_static_selectorELNS0_4arch9wavefront6targetE1EEEvT1_,comdat
	.protected	_ZN7rocprim17ROCPRIM_400000_NS6detail17trampoline_kernelINS0_14default_configENS1_29reduce_by_key_config_selectorIhlN6thrust23THRUST_200600_302600_NS4plusIlEEEEZZNS1_33reduce_by_key_impl_wrapped_configILNS1_25lookback_scan_determinismE0ES3_S9_PhNS6_17constant_iteratorIiNS6_11use_defaultESE_EENS6_10device_ptrIhEENSG_IlEEPmS8_NS6_8equal_toIhEEEE10hipError_tPvRmT2_T3_mT4_T5_T6_T7_T8_P12ihipStream_tbENKUlT_T0_E_clISt17integral_constantIbLb1EES13_EEDaSY_SZ_EUlSY_E_NS1_11comp_targetILNS1_3genE2ELNS1_11target_archE906ELNS1_3gpuE6ELNS1_3repE0EEENS1_30default_config_static_selectorELNS0_4arch9wavefront6targetE1EEEvT1_ ; -- Begin function _ZN7rocprim17ROCPRIM_400000_NS6detail17trampoline_kernelINS0_14default_configENS1_29reduce_by_key_config_selectorIhlN6thrust23THRUST_200600_302600_NS4plusIlEEEEZZNS1_33reduce_by_key_impl_wrapped_configILNS1_25lookback_scan_determinismE0ES3_S9_PhNS6_17constant_iteratorIiNS6_11use_defaultESE_EENS6_10device_ptrIhEENSG_IlEEPmS8_NS6_8equal_toIhEEEE10hipError_tPvRmT2_T3_mT4_T5_T6_T7_T8_P12ihipStream_tbENKUlT_T0_E_clISt17integral_constantIbLb1EES13_EEDaSY_SZ_EUlSY_E_NS1_11comp_targetILNS1_3genE2ELNS1_11target_archE906ELNS1_3gpuE6ELNS1_3repE0EEENS1_30default_config_static_selectorELNS0_4arch9wavefront6targetE1EEEvT1_
	.globl	_ZN7rocprim17ROCPRIM_400000_NS6detail17trampoline_kernelINS0_14default_configENS1_29reduce_by_key_config_selectorIhlN6thrust23THRUST_200600_302600_NS4plusIlEEEEZZNS1_33reduce_by_key_impl_wrapped_configILNS1_25lookback_scan_determinismE0ES3_S9_PhNS6_17constant_iteratorIiNS6_11use_defaultESE_EENS6_10device_ptrIhEENSG_IlEEPmS8_NS6_8equal_toIhEEEE10hipError_tPvRmT2_T3_mT4_T5_T6_T7_T8_P12ihipStream_tbENKUlT_T0_E_clISt17integral_constantIbLb1EES13_EEDaSY_SZ_EUlSY_E_NS1_11comp_targetILNS1_3genE2ELNS1_11target_archE906ELNS1_3gpuE6ELNS1_3repE0EEENS1_30default_config_static_selectorELNS0_4arch9wavefront6targetE1EEEvT1_
	.p2align	8
	.type	_ZN7rocprim17ROCPRIM_400000_NS6detail17trampoline_kernelINS0_14default_configENS1_29reduce_by_key_config_selectorIhlN6thrust23THRUST_200600_302600_NS4plusIlEEEEZZNS1_33reduce_by_key_impl_wrapped_configILNS1_25lookback_scan_determinismE0ES3_S9_PhNS6_17constant_iteratorIiNS6_11use_defaultESE_EENS6_10device_ptrIhEENSG_IlEEPmS8_NS6_8equal_toIhEEEE10hipError_tPvRmT2_T3_mT4_T5_T6_T7_T8_P12ihipStream_tbENKUlT_T0_E_clISt17integral_constantIbLb1EES13_EEDaSY_SZ_EUlSY_E_NS1_11comp_targetILNS1_3genE2ELNS1_11target_archE906ELNS1_3gpuE6ELNS1_3repE0EEENS1_30default_config_static_selectorELNS0_4arch9wavefront6targetE1EEEvT1_,@function
_ZN7rocprim17ROCPRIM_400000_NS6detail17trampoline_kernelINS0_14default_configENS1_29reduce_by_key_config_selectorIhlN6thrust23THRUST_200600_302600_NS4plusIlEEEEZZNS1_33reduce_by_key_impl_wrapped_configILNS1_25lookback_scan_determinismE0ES3_S9_PhNS6_17constant_iteratorIiNS6_11use_defaultESE_EENS6_10device_ptrIhEENSG_IlEEPmS8_NS6_8equal_toIhEEEE10hipError_tPvRmT2_T3_mT4_T5_T6_T7_T8_P12ihipStream_tbENKUlT_T0_E_clISt17integral_constantIbLb1EES13_EEDaSY_SZ_EUlSY_E_NS1_11comp_targetILNS1_3genE2ELNS1_11target_archE906ELNS1_3gpuE6ELNS1_3repE0EEENS1_30default_config_static_selectorELNS0_4arch9wavefront6targetE1EEEvT1_: ; @_ZN7rocprim17ROCPRIM_400000_NS6detail17trampoline_kernelINS0_14default_configENS1_29reduce_by_key_config_selectorIhlN6thrust23THRUST_200600_302600_NS4plusIlEEEEZZNS1_33reduce_by_key_impl_wrapped_configILNS1_25lookback_scan_determinismE0ES3_S9_PhNS6_17constant_iteratorIiNS6_11use_defaultESE_EENS6_10device_ptrIhEENSG_IlEEPmS8_NS6_8equal_toIhEEEE10hipError_tPvRmT2_T3_mT4_T5_T6_T7_T8_P12ihipStream_tbENKUlT_T0_E_clISt17integral_constantIbLb1EES13_EEDaSY_SZ_EUlSY_E_NS1_11comp_targetILNS1_3genE2ELNS1_11target_archE906ELNS1_3gpuE6ELNS1_3repE0EEENS1_30default_config_static_selectorELNS0_4arch9wavefront6targetE1EEEvT1_
; %bb.0:
	s_endpgm
	.section	.rodata,"a",@progbits
	.p2align	6, 0x0
	.amdhsa_kernel _ZN7rocprim17ROCPRIM_400000_NS6detail17trampoline_kernelINS0_14default_configENS1_29reduce_by_key_config_selectorIhlN6thrust23THRUST_200600_302600_NS4plusIlEEEEZZNS1_33reduce_by_key_impl_wrapped_configILNS1_25lookback_scan_determinismE0ES3_S9_PhNS6_17constant_iteratorIiNS6_11use_defaultESE_EENS6_10device_ptrIhEENSG_IlEEPmS8_NS6_8equal_toIhEEEE10hipError_tPvRmT2_T3_mT4_T5_T6_T7_T8_P12ihipStream_tbENKUlT_T0_E_clISt17integral_constantIbLb1EES13_EEDaSY_SZ_EUlSY_E_NS1_11comp_targetILNS1_3genE2ELNS1_11target_archE906ELNS1_3gpuE6ELNS1_3repE0EEENS1_30default_config_static_selectorELNS0_4arch9wavefront6targetE1EEEvT1_
		.amdhsa_group_segment_fixed_size 0
		.amdhsa_private_segment_fixed_size 0
		.amdhsa_kernarg_size 144
		.amdhsa_user_sgpr_count 6
		.amdhsa_user_sgpr_private_segment_buffer 1
		.amdhsa_user_sgpr_dispatch_ptr 0
		.amdhsa_user_sgpr_queue_ptr 0
		.amdhsa_user_sgpr_kernarg_segment_ptr 1
		.amdhsa_user_sgpr_dispatch_id 0
		.amdhsa_user_sgpr_flat_scratch_init 0
		.amdhsa_user_sgpr_private_segment_size 0
		.amdhsa_uses_dynamic_stack 0
		.amdhsa_system_sgpr_private_segment_wavefront_offset 0
		.amdhsa_system_sgpr_workgroup_id_x 1
		.amdhsa_system_sgpr_workgroup_id_y 0
		.amdhsa_system_sgpr_workgroup_id_z 0
		.amdhsa_system_sgpr_workgroup_info 0
		.amdhsa_system_vgpr_workitem_id 0
		.amdhsa_next_free_vgpr 1
		.amdhsa_next_free_sgpr 0
		.amdhsa_reserve_vcc 0
		.amdhsa_reserve_flat_scratch 0
		.amdhsa_float_round_mode_32 0
		.amdhsa_float_round_mode_16_64 0
		.amdhsa_float_denorm_mode_32 3
		.amdhsa_float_denorm_mode_16_64 3
		.amdhsa_dx10_clamp 1
		.amdhsa_ieee_mode 1
		.amdhsa_fp16_overflow 0
		.amdhsa_exception_fp_ieee_invalid_op 0
		.amdhsa_exception_fp_denorm_src 0
		.amdhsa_exception_fp_ieee_div_zero 0
		.amdhsa_exception_fp_ieee_overflow 0
		.amdhsa_exception_fp_ieee_underflow 0
		.amdhsa_exception_fp_ieee_inexact 0
		.amdhsa_exception_int_div_zero 0
	.end_amdhsa_kernel
	.section	.text._ZN7rocprim17ROCPRIM_400000_NS6detail17trampoline_kernelINS0_14default_configENS1_29reduce_by_key_config_selectorIhlN6thrust23THRUST_200600_302600_NS4plusIlEEEEZZNS1_33reduce_by_key_impl_wrapped_configILNS1_25lookback_scan_determinismE0ES3_S9_PhNS6_17constant_iteratorIiNS6_11use_defaultESE_EENS6_10device_ptrIhEENSG_IlEEPmS8_NS6_8equal_toIhEEEE10hipError_tPvRmT2_T3_mT4_T5_T6_T7_T8_P12ihipStream_tbENKUlT_T0_E_clISt17integral_constantIbLb1EES13_EEDaSY_SZ_EUlSY_E_NS1_11comp_targetILNS1_3genE2ELNS1_11target_archE906ELNS1_3gpuE6ELNS1_3repE0EEENS1_30default_config_static_selectorELNS0_4arch9wavefront6targetE1EEEvT1_,"axG",@progbits,_ZN7rocprim17ROCPRIM_400000_NS6detail17trampoline_kernelINS0_14default_configENS1_29reduce_by_key_config_selectorIhlN6thrust23THRUST_200600_302600_NS4plusIlEEEEZZNS1_33reduce_by_key_impl_wrapped_configILNS1_25lookback_scan_determinismE0ES3_S9_PhNS6_17constant_iteratorIiNS6_11use_defaultESE_EENS6_10device_ptrIhEENSG_IlEEPmS8_NS6_8equal_toIhEEEE10hipError_tPvRmT2_T3_mT4_T5_T6_T7_T8_P12ihipStream_tbENKUlT_T0_E_clISt17integral_constantIbLb1EES13_EEDaSY_SZ_EUlSY_E_NS1_11comp_targetILNS1_3genE2ELNS1_11target_archE906ELNS1_3gpuE6ELNS1_3repE0EEENS1_30default_config_static_selectorELNS0_4arch9wavefront6targetE1EEEvT1_,comdat
.Lfunc_end378:
	.size	_ZN7rocprim17ROCPRIM_400000_NS6detail17trampoline_kernelINS0_14default_configENS1_29reduce_by_key_config_selectorIhlN6thrust23THRUST_200600_302600_NS4plusIlEEEEZZNS1_33reduce_by_key_impl_wrapped_configILNS1_25lookback_scan_determinismE0ES3_S9_PhNS6_17constant_iteratorIiNS6_11use_defaultESE_EENS6_10device_ptrIhEENSG_IlEEPmS8_NS6_8equal_toIhEEEE10hipError_tPvRmT2_T3_mT4_T5_T6_T7_T8_P12ihipStream_tbENKUlT_T0_E_clISt17integral_constantIbLb1EES13_EEDaSY_SZ_EUlSY_E_NS1_11comp_targetILNS1_3genE2ELNS1_11target_archE906ELNS1_3gpuE6ELNS1_3repE0EEENS1_30default_config_static_selectorELNS0_4arch9wavefront6targetE1EEEvT1_, .Lfunc_end378-_ZN7rocprim17ROCPRIM_400000_NS6detail17trampoline_kernelINS0_14default_configENS1_29reduce_by_key_config_selectorIhlN6thrust23THRUST_200600_302600_NS4plusIlEEEEZZNS1_33reduce_by_key_impl_wrapped_configILNS1_25lookback_scan_determinismE0ES3_S9_PhNS6_17constant_iteratorIiNS6_11use_defaultESE_EENS6_10device_ptrIhEENSG_IlEEPmS8_NS6_8equal_toIhEEEE10hipError_tPvRmT2_T3_mT4_T5_T6_T7_T8_P12ihipStream_tbENKUlT_T0_E_clISt17integral_constantIbLb1EES13_EEDaSY_SZ_EUlSY_E_NS1_11comp_targetILNS1_3genE2ELNS1_11target_archE906ELNS1_3gpuE6ELNS1_3repE0EEENS1_30default_config_static_selectorELNS0_4arch9wavefront6targetE1EEEvT1_
                                        ; -- End function
	.set _ZN7rocprim17ROCPRIM_400000_NS6detail17trampoline_kernelINS0_14default_configENS1_29reduce_by_key_config_selectorIhlN6thrust23THRUST_200600_302600_NS4plusIlEEEEZZNS1_33reduce_by_key_impl_wrapped_configILNS1_25lookback_scan_determinismE0ES3_S9_PhNS6_17constant_iteratorIiNS6_11use_defaultESE_EENS6_10device_ptrIhEENSG_IlEEPmS8_NS6_8equal_toIhEEEE10hipError_tPvRmT2_T3_mT4_T5_T6_T7_T8_P12ihipStream_tbENKUlT_T0_E_clISt17integral_constantIbLb1EES13_EEDaSY_SZ_EUlSY_E_NS1_11comp_targetILNS1_3genE2ELNS1_11target_archE906ELNS1_3gpuE6ELNS1_3repE0EEENS1_30default_config_static_selectorELNS0_4arch9wavefront6targetE1EEEvT1_.num_vgpr, 0
	.set _ZN7rocprim17ROCPRIM_400000_NS6detail17trampoline_kernelINS0_14default_configENS1_29reduce_by_key_config_selectorIhlN6thrust23THRUST_200600_302600_NS4plusIlEEEEZZNS1_33reduce_by_key_impl_wrapped_configILNS1_25lookback_scan_determinismE0ES3_S9_PhNS6_17constant_iteratorIiNS6_11use_defaultESE_EENS6_10device_ptrIhEENSG_IlEEPmS8_NS6_8equal_toIhEEEE10hipError_tPvRmT2_T3_mT4_T5_T6_T7_T8_P12ihipStream_tbENKUlT_T0_E_clISt17integral_constantIbLb1EES13_EEDaSY_SZ_EUlSY_E_NS1_11comp_targetILNS1_3genE2ELNS1_11target_archE906ELNS1_3gpuE6ELNS1_3repE0EEENS1_30default_config_static_selectorELNS0_4arch9wavefront6targetE1EEEvT1_.num_agpr, 0
	.set _ZN7rocprim17ROCPRIM_400000_NS6detail17trampoline_kernelINS0_14default_configENS1_29reduce_by_key_config_selectorIhlN6thrust23THRUST_200600_302600_NS4plusIlEEEEZZNS1_33reduce_by_key_impl_wrapped_configILNS1_25lookback_scan_determinismE0ES3_S9_PhNS6_17constant_iteratorIiNS6_11use_defaultESE_EENS6_10device_ptrIhEENSG_IlEEPmS8_NS6_8equal_toIhEEEE10hipError_tPvRmT2_T3_mT4_T5_T6_T7_T8_P12ihipStream_tbENKUlT_T0_E_clISt17integral_constantIbLb1EES13_EEDaSY_SZ_EUlSY_E_NS1_11comp_targetILNS1_3genE2ELNS1_11target_archE906ELNS1_3gpuE6ELNS1_3repE0EEENS1_30default_config_static_selectorELNS0_4arch9wavefront6targetE1EEEvT1_.numbered_sgpr, 0
	.set _ZN7rocprim17ROCPRIM_400000_NS6detail17trampoline_kernelINS0_14default_configENS1_29reduce_by_key_config_selectorIhlN6thrust23THRUST_200600_302600_NS4plusIlEEEEZZNS1_33reduce_by_key_impl_wrapped_configILNS1_25lookback_scan_determinismE0ES3_S9_PhNS6_17constant_iteratorIiNS6_11use_defaultESE_EENS6_10device_ptrIhEENSG_IlEEPmS8_NS6_8equal_toIhEEEE10hipError_tPvRmT2_T3_mT4_T5_T6_T7_T8_P12ihipStream_tbENKUlT_T0_E_clISt17integral_constantIbLb1EES13_EEDaSY_SZ_EUlSY_E_NS1_11comp_targetILNS1_3genE2ELNS1_11target_archE906ELNS1_3gpuE6ELNS1_3repE0EEENS1_30default_config_static_selectorELNS0_4arch9wavefront6targetE1EEEvT1_.num_named_barrier, 0
	.set _ZN7rocprim17ROCPRIM_400000_NS6detail17trampoline_kernelINS0_14default_configENS1_29reduce_by_key_config_selectorIhlN6thrust23THRUST_200600_302600_NS4plusIlEEEEZZNS1_33reduce_by_key_impl_wrapped_configILNS1_25lookback_scan_determinismE0ES3_S9_PhNS6_17constant_iteratorIiNS6_11use_defaultESE_EENS6_10device_ptrIhEENSG_IlEEPmS8_NS6_8equal_toIhEEEE10hipError_tPvRmT2_T3_mT4_T5_T6_T7_T8_P12ihipStream_tbENKUlT_T0_E_clISt17integral_constantIbLb1EES13_EEDaSY_SZ_EUlSY_E_NS1_11comp_targetILNS1_3genE2ELNS1_11target_archE906ELNS1_3gpuE6ELNS1_3repE0EEENS1_30default_config_static_selectorELNS0_4arch9wavefront6targetE1EEEvT1_.private_seg_size, 0
	.set _ZN7rocprim17ROCPRIM_400000_NS6detail17trampoline_kernelINS0_14default_configENS1_29reduce_by_key_config_selectorIhlN6thrust23THRUST_200600_302600_NS4plusIlEEEEZZNS1_33reduce_by_key_impl_wrapped_configILNS1_25lookback_scan_determinismE0ES3_S9_PhNS6_17constant_iteratorIiNS6_11use_defaultESE_EENS6_10device_ptrIhEENSG_IlEEPmS8_NS6_8equal_toIhEEEE10hipError_tPvRmT2_T3_mT4_T5_T6_T7_T8_P12ihipStream_tbENKUlT_T0_E_clISt17integral_constantIbLb1EES13_EEDaSY_SZ_EUlSY_E_NS1_11comp_targetILNS1_3genE2ELNS1_11target_archE906ELNS1_3gpuE6ELNS1_3repE0EEENS1_30default_config_static_selectorELNS0_4arch9wavefront6targetE1EEEvT1_.uses_vcc, 0
	.set _ZN7rocprim17ROCPRIM_400000_NS6detail17trampoline_kernelINS0_14default_configENS1_29reduce_by_key_config_selectorIhlN6thrust23THRUST_200600_302600_NS4plusIlEEEEZZNS1_33reduce_by_key_impl_wrapped_configILNS1_25lookback_scan_determinismE0ES3_S9_PhNS6_17constant_iteratorIiNS6_11use_defaultESE_EENS6_10device_ptrIhEENSG_IlEEPmS8_NS6_8equal_toIhEEEE10hipError_tPvRmT2_T3_mT4_T5_T6_T7_T8_P12ihipStream_tbENKUlT_T0_E_clISt17integral_constantIbLb1EES13_EEDaSY_SZ_EUlSY_E_NS1_11comp_targetILNS1_3genE2ELNS1_11target_archE906ELNS1_3gpuE6ELNS1_3repE0EEENS1_30default_config_static_selectorELNS0_4arch9wavefront6targetE1EEEvT1_.uses_flat_scratch, 0
	.set _ZN7rocprim17ROCPRIM_400000_NS6detail17trampoline_kernelINS0_14default_configENS1_29reduce_by_key_config_selectorIhlN6thrust23THRUST_200600_302600_NS4plusIlEEEEZZNS1_33reduce_by_key_impl_wrapped_configILNS1_25lookback_scan_determinismE0ES3_S9_PhNS6_17constant_iteratorIiNS6_11use_defaultESE_EENS6_10device_ptrIhEENSG_IlEEPmS8_NS6_8equal_toIhEEEE10hipError_tPvRmT2_T3_mT4_T5_T6_T7_T8_P12ihipStream_tbENKUlT_T0_E_clISt17integral_constantIbLb1EES13_EEDaSY_SZ_EUlSY_E_NS1_11comp_targetILNS1_3genE2ELNS1_11target_archE906ELNS1_3gpuE6ELNS1_3repE0EEENS1_30default_config_static_selectorELNS0_4arch9wavefront6targetE1EEEvT1_.has_dyn_sized_stack, 0
	.set _ZN7rocprim17ROCPRIM_400000_NS6detail17trampoline_kernelINS0_14default_configENS1_29reduce_by_key_config_selectorIhlN6thrust23THRUST_200600_302600_NS4plusIlEEEEZZNS1_33reduce_by_key_impl_wrapped_configILNS1_25lookback_scan_determinismE0ES3_S9_PhNS6_17constant_iteratorIiNS6_11use_defaultESE_EENS6_10device_ptrIhEENSG_IlEEPmS8_NS6_8equal_toIhEEEE10hipError_tPvRmT2_T3_mT4_T5_T6_T7_T8_P12ihipStream_tbENKUlT_T0_E_clISt17integral_constantIbLb1EES13_EEDaSY_SZ_EUlSY_E_NS1_11comp_targetILNS1_3genE2ELNS1_11target_archE906ELNS1_3gpuE6ELNS1_3repE0EEENS1_30default_config_static_selectorELNS0_4arch9wavefront6targetE1EEEvT1_.has_recursion, 0
	.set _ZN7rocprim17ROCPRIM_400000_NS6detail17trampoline_kernelINS0_14default_configENS1_29reduce_by_key_config_selectorIhlN6thrust23THRUST_200600_302600_NS4plusIlEEEEZZNS1_33reduce_by_key_impl_wrapped_configILNS1_25lookback_scan_determinismE0ES3_S9_PhNS6_17constant_iteratorIiNS6_11use_defaultESE_EENS6_10device_ptrIhEENSG_IlEEPmS8_NS6_8equal_toIhEEEE10hipError_tPvRmT2_T3_mT4_T5_T6_T7_T8_P12ihipStream_tbENKUlT_T0_E_clISt17integral_constantIbLb1EES13_EEDaSY_SZ_EUlSY_E_NS1_11comp_targetILNS1_3genE2ELNS1_11target_archE906ELNS1_3gpuE6ELNS1_3repE0EEENS1_30default_config_static_selectorELNS0_4arch9wavefront6targetE1EEEvT1_.has_indirect_call, 0
	.section	.AMDGPU.csdata,"",@progbits
; Kernel info:
; codeLenInByte = 4
; TotalNumSgprs: 4
; NumVgprs: 0
; ScratchSize: 0
; MemoryBound: 0
; FloatMode: 240
; IeeeMode: 1
; LDSByteSize: 0 bytes/workgroup (compile time only)
; SGPRBlocks: 0
; VGPRBlocks: 0
; NumSGPRsForWavesPerEU: 4
; NumVGPRsForWavesPerEU: 1
; Occupancy: 10
; WaveLimiterHint : 0
; COMPUTE_PGM_RSRC2:SCRATCH_EN: 0
; COMPUTE_PGM_RSRC2:USER_SGPR: 6
; COMPUTE_PGM_RSRC2:TRAP_HANDLER: 0
; COMPUTE_PGM_RSRC2:TGID_X_EN: 1
; COMPUTE_PGM_RSRC2:TGID_Y_EN: 0
; COMPUTE_PGM_RSRC2:TGID_Z_EN: 0
; COMPUTE_PGM_RSRC2:TIDIG_COMP_CNT: 0
	.section	.text._ZN7rocprim17ROCPRIM_400000_NS6detail17trampoline_kernelINS0_14default_configENS1_29reduce_by_key_config_selectorIhlN6thrust23THRUST_200600_302600_NS4plusIlEEEEZZNS1_33reduce_by_key_impl_wrapped_configILNS1_25lookback_scan_determinismE0ES3_S9_PhNS6_17constant_iteratorIiNS6_11use_defaultESE_EENS6_10device_ptrIhEENSG_IlEEPmS8_NS6_8equal_toIhEEEE10hipError_tPvRmT2_T3_mT4_T5_T6_T7_T8_P12ihipStream_tbENKUlT_T0_E_clISt17integral_constantIbLb1EES13_EEDaSY_SZ_EUlSY_E_NS1_11comp_targetILNS1_3genE10ELNS1_11target_archE1201ELNS1_3gpuE5ELNS1_3repE0EEENS1_30default_config_static_selectorELNS0_4arch9wavefront6targetE1EEEvT1_,"axG",@progbits,_ZN7rocprim17ROCPRIM_400000_NS6detail17trampoline_kernelINS0_14default_configENS1_29reduce_by_key_config_selectorIhlN6thrust23THRUST_200600_302600_NS4plusIlEEEEZZNS1_33reduce_by_key_impl_wrapped_configILNS1_25lookback_scan_determinismE0ES3_S9_PhNS6_17constant_iteratorIiNS6_11use_defaultESE_EENS6_10device_ptrIhEENSG_IlEEPmS8_NS6_8equal_toIhEEEE10hipError_tPvRmT2_T3_mT4_T5_T6_T7_T8_P12ihipStream_tbENKUlT_T0_E_clISt17integral_constantIbLb1EES13_EEDaSY_SZ_EUlSY_E_NS1_11comp_targetILNS1_3genE10ELNS1_11target_archE1201ELNS1_3gpuE5ELNS1_3repE0EEENS1_30default_config_static_selectorELNS0_4arch9wavefront6targetE1EEEvT1_,comdat
	.protected	_ZN7rocprim17ROCPRIM_400000_NS6detail17trampoline_kernelINS0_14default_configENS1_29reduce_by_key_config_selectorIhlN6thrust23THRUST_200600_302600_NS4plusIlEEEEZZNS1_33reduce_by_key_impl_wrapped_configILNS1_25lookback_scan_determinismE0ES3_S9_PhNS6_17constant_iteratorIiNS6_11use_defaultESE_EENS6_10device_ptrIhEENSG_IlEEPmS8_NS6_8equal_toIhEEEE10hipError_tPvRmT2_T3_mT4_T5_T6_T7_T8_P12ihipStream_tbENKUlT_T0_E_clISt17integral_constantIbLb1EES13_EEDaSY_SZ_EUlSY_E_NS1_11comp_targetILNS1_3genE10ELNS1_11target_archE1201ELNS1_3gpuE5ELNS1_3repE0EEENS1_30default_config_static_selectorELNS0_4arch9wavefront6targetE1EEEvT1_ ; -- Begin function _ZN7rocprim17ROCPRIM_400000_NS6detail17trampoline_kernelINS0_14default_configENS1_29reduce_by_key_config_selectorIhlN6thrust23THRUST_200600_302600_NS4plusIlEEEEZZNS1_33reduce_by_key_impl_wrapped_configILNS1_25lookback_scan_determinismE0ES3_S9_PhNS6_17constant_iteratorIiNS6_11use_defaultESE_EENS6_10device_ptrIhEENSG_IlEEPmS8_NS6_8equal_toIhEEEE10hipError_tPvRmT2_T3_mT4_T5_T6_T7_T8_P12ihipStream_tbENKUlT_T0_E_clISt17integral_constantIbLb1EES13_EEDaSY_SZ_EUlSY_E_NS1_11comp_targetILNS1_3genE10ELNS1_11target_archE1201ELNS1_3gpuE5ELNS1_3repE0EEENS1_30default_config_static_selectorELNS0_4arch9wavefront6targetE1EEEvT1_
	.globl	_ZN7rocprim17ROCPRIM_400000_NS6detail17trampoline_kernelINS0_14default_configENS1_29reduce_by_key_config_selectorIhlN6thrust23THRUST_200600_302600_NS4plusIlEEEEZZNS1_33reduce_by_key_impl_wrapped_configILNS1_25lookback_scan_determinismE0ES3_S9_PhNS6_17constant_iteratorIiNS6_11use_defaultESE_EENS6_10device_ptrIhEENSG_IlEEPmS8_NS6_8equal_toIhEEEE10hipError_tPvRmT2_T3_mT4_T5_T6_T7_T8_P12ihipStream_tbENKUlT_T0_E_clISt17integral_constantIbLb1EES13_EEDaSY_SZ_EUlSY_E_NS1_11comp_targetILNS1_3genE10ELNS1_11target_archE1201ELNS1_3gpuE5ELNS1_3repE0EEENS1_30default_config_static_selectorELNS0_4arch9wavefront6targetE1EEEvT1_
	.p2align	8
	.type	_ZN7rocprim17ROCPRIM_400000_NS6detail17trampoline_kernelINS0_14default_configENS1_29reduce_by_key_config_selectorIhlN6thrust23THRUST_200600_302600_NS4plusIlEEEEZZNS1_33reduce_by_key_impl_wrapped_configILNS1_25lookback_scan_determinismE0ES3_S9_PhNS6_17constant_iteratorIiNS6_11use_defaultESE_EENS6_10device_ptrIhEENSG_IlEEPmS8_NS6_8equal_toIhEEEE10hipError_tPvRmT2_T3_mT4_T5_T6_T7_T8_P12ihipStream_tbENKUlT_T0_E_clISt17integral_constantIbLb1EES13_EEDaSY_SZ_EUlSY_E_NS1_11comp_targetILNS1_3genE10ELNS1_11target_archE1201ELNS1_3gpuE5ELNS1_3repE0EEENS1_30default_config_static_selectorELNS0_4arch9wavefront6targetE1EEEvT1_,@function
_ZN7rocprim17ROCPRIM_400000_NS6detail17trampoline_kernelINS0_14default_configENS1_29reduce_by_key_config_selectorIhlN6thrust23THRUST_200600_302600_NS4plusIlEEEEZZNS1_33reduce_by_key_impl_wrapped_configILNS1_25lookback_scan_determinismE0ES3_S9_PhNS6_17constant_iteratorIiNS6_11use_defaultESE_EENS6_10device_ptrIhEENSG_IlEEPmS8_NS6_8equal_toIhEEEE10hipError_tPvRmT2_T3_mT4_T5_T6_T7_T8_P12ihipStream_tbENKUlT_T0_E_clISt17integral_constantIbLb1EES13_EEDaSY_SZ_EUlSY_E_NS1_11comp_targetILNS1_3genE10ELNS1_11target_archE1201ELNS1_3gpuE5ELNS1_3repE0EEENS1_30default_config_static_selectorELNS0_4arch9wavefront6targetE1EEEvT1_: ; @_ZN7rocprim17ROCPRIM_400000_NS6detail17trampoline_kernelINS0_14default_configENS1_29reduce_by_key_config_selectorIhlN6thrust23THRUST_200600_302600_NS4plusIlEEEEZZNS1_33reduce_by_key_impl_wrapped_configILNS1_25lookback_scan_determinismE0ES3_S9_PhNS6_17constant_iteratorIiNS6_11use_defaultESE_EENS6_10device_ptrIhEENSG_IlEEPmS8_NS6_8equal_toIhEEEE10hipError_tPvRmT2_T3_mT4_T5_T6_T7_T8_P12ihipStream_tbENKUlT_T0_E_clISt17integral_constantIbLb1EES13_EEDaSY_SZ_EUlSY_E_NS1_11comp_targetILNS1_3genE10ELNS1_11target_archE1201ELNS1_3gpuE5ELNS1_3repE0EEENS1_30default_config_static_selectorELNS0_4arch9wavefront6targetE1EEEvT1_
; %bb.0:
	.section	.rodata,"a",@progbits
	.p2align	6, 0x0
	.amdhsa_kernel _ZN7rocprim17ROCPRIM_400000_NS6detail17trampoline_kernelINS0_14default_configENS1_29reduce_by_key_config_selectorIhlN6thrust23THRUST_200600_302600_NS4plusIlEEEEZZNS1_33reduce_by_key_impl_wrapped_configILNS1_25lookback_scan_determinismE0ES3_S9_PhNS6_17constant_iteratorIiNS6_11use_defaultESE_EENS6_10device_ptrIhEENSG_IlEEPmS8_NS6_8equal_toIhEEEE10hipError_tPvRmT2_T3_mT4_T5_T6_T7_T8_P12ihipStream_tbENKUlT_T0_E_clISt17integral_constantIbLb1EES13_EEDaSY_SZ_EUlSY_E_NS1_11comp_targetILNS1_3genE10ELNS1_11target_archE1201ELNS1_3gpuE5ELNS1_3repE0EEENS1_30default_config_static_selectorELNS0_4arch9wavefront6targetE1EEEvT1_
		.amdhsa_group_segment_fixed_size 0
		.amdhsa_private_segment_fixed_size 0
		.amdhsa_kernarg_size 144
		.amdhsa_user_sgpr_count 6
		.amdhsa_user_sgpr_private_segment_buffer 1
		.amdhsa_user_sgpr_dispatch_ptr 0
		.amdhsa_user_sgpr_queue_ptr 0
		.amdhsa_user_sgpr_kernarg_segment_ptr 1
		.amdhsa_user_sgpr_dispatch_id 0
		.amdhsa_user_sgpr_flat_scratch_init 0
		.amdhsa_user_sgpr_private_segment_size 0
		.amdhsa_uses_dynamic_stack 0
		.amdhsa_system_sgpr_private_segment_wavefront_offset 0
		.amdhsa_system_sgpr_workgroup_id_x 1
		.amdhsa_system_sgpr_workgroup_id_y 0
		.amdhsa_system_sgpr_workgroup_id_z 0
		.amdhsa_system_sgpr_workgroup_info 0
		.amdhsa_system_vgpr_workitem_id 0
		.amdhsa_next_free_vgpr 1
		.amdhsa_next_free_sgpr 0
		.amdhsa_reserve_vcc 0
		.amdhsa_reserve_flat_scratch 0
		.amdhsa_float_round_mode_32 0
		.amdhsa_float_round_mode_16_64 0
		.amdhsa_float_denorm_mode_32 3
		.amdhsa_float_denorm_mode_16_64 3
		.amdhsa_dx10_clamp 1
		.amdhsa_ieee_mode 1
		.amdhsa_fp16_overflow 0
		.amdhsa_exception_fp_ieee_invalid_op 0
		.amdhsa_exception_fp_denorm_src 0
		.amdhsa_exception_fp_ieee_div_zero 0
		.amdhsa_exception_fp_ieee_overflow 0
		.amdhsa_exception_fp_ieee_underflow 0
		.amdhsa_exception_fp_ieee_inexact 0
		.amdhsa_exception_int_div_zero 0
	.end_amdhsa_kernel
	.section	.text._ZN7rocprim17ROCPRIM_400000_NS6detail17trampoline_kernelINS0_14default_configENS1_29reduce_by_key_config_selectorIhlN6thrust23THRUST_200600_302600_NS4plusIlEEEEZZNS1_33reduce_by_key_impl_wrapped_configILNS1_25lookback_scan_determinismE0ES3_S9_PhNS6_17constant_iteratorIiNS6_11use_defaultESE_EENS6_10device_ptrIhEENSG_IlEEPmS8_NS6_8equal_toIhEEEE10hipError_tPvRmT2_T3_mT4_T5_T6_T7_T8_P12ihipStream_tbENKUlT_T0_E_clISt17integral_constantIbLb1EES13_EEDaSY_SZ_EUlSY_E_NS1_11comp_targetILNS1_3genE10ELNS1_11target_archE1201ELNS1_3gpuE5ELNS1_3repE0EEENS1_30default_config_static_selectorELNS0_4arch9wavefront6targetE1EEEvT1_,"axG",@progbits,_ZN7rocprim17ROCPRIM_400000_NS6detail17trampoline_kernelINS0_14default_configENS1_29reduce_by_key_config_selectorIhlN6thrust23THRUST_200600_302600_NS4plusIlEEEEZZNS1_33reduce_by_key_impl_wrapped_configILNS1_25lookback_scan_determinismE0ES3_S9_PhNS6_17constant_iteratorIiNS6_11use_defaultESE_EENS6_10device_ptrIhEENSG_IlEEPmS8_NS6_8equal_toIhEEEE10hipError_tPvRmT2_T3_mT4_T5_T6_T7_T8_P12ihipStream_tbENKUlT_T0_E_clISt17integral_constantIbLb1EES13_EEDaSY_SZ_EUlSY_E_NS1_11comp_targetILNS1_3genE10ELNS1_11target_archE1201ELNS1_3gpuE5ELNS1_3repE0EEENS1_30default_config_static_selectorELNS0_4arch9wavefront6targetE1EEEvT1_,comdat
.Lfunc_end379:
	.size	_ZN7rocprim17ROCPRIM_400000_NS6detail17trampoline_kernelINS0_14default_configENS1_29reduce_by_key_config_selectorIhlN6thrust23THRUST_200600_302600_NS4plusIlEEEEZZNS1_33reduce_by_key_impl_wrapped_configILNS1_25lookback_scan_determinismE0ES3_S9_PhNS6_17constant_iteratorIiNS6_11use_defaultESE_EENS6_10device_ptrIhEENSG_IlEEPmS8_NS6_8equal_toIhEEEE10hipError_tPvRmT2_T3_mT4_T5_T6_T7_T8_P12ihipStream_tbENKUlT_T0_E_clISt17integral_constantIbLb1EES13_EEDaSY_SZ_EUlSY_E_NS1_11comp_targetILNS1_3genE10ELNS1_11target_archE1201ELNS1_3gpuE5ELNS1_3repE0EEENS1_30default_config_static_selectorELNS0_4arch9wavefront6targetE1EEEvT1_, .Lfunc_end379-_ZN7rocprim17ROCPRIM_400000_NS6detail17trampoline_kernelINS0_14default_configENS1_29reduce_by_key_config_selectorIhlN6thrust23THRUST_200600_302600_NS4plusIlEEEEZZNS1_33reduce_by_key_impl_wrapped_configILNS1_25lookback_scan_determinismE0ES3_S9_PhNS6_17constant_iteratorIiNS6_11use_defaultESE_EENS6_10device_ptrIhEENSG_IlEEPmS8_NS6_8equal_toIhEEEE10hipError_tPvRmT2_T3_mT4_T5_T6_T7_T8_P12ihipStream_tbENKUlT_T0_E_clISt17integral_constantIbLb1EES13_EEDaSY_SZ_EUlSY_E_NS1_11comp_targetILNS1_3genE10ELNS1_11target_archE1201ELNS1_3gpuE5ELNS1_3repE0EEENS1_30default_config_static_selectorELNS0_4arch9wavefront6targetE1EEEvT1_
                                        ; -- End function
	.set _ZN7rocprim17ROCPRIM_400000_NS6detail17trampoline_kernelINS0_14default_configENS1_29reduce_by_key_config_selectorIhlN6thrust23THRUST_200600_302600_NS4plusIlEEEEZZNS1_33reduce_by_key_impl_wrapped_configILNS1_25lookback_scan_determinismE0ES3_S9_PhNS6_17constant_iteratorIiNS6_11use_defaultESE_EENS6_10device_ptrIhEENSG_IlEEPmS8_NS6_8equal_toIhEEEE10hipError_tPvRmT2_T3_mT4_T5_T6_T7_T8_P12ihipStream_tbENKUlT_T0_E_clISt17integral_constantIbLb1EES13_EEDaSY_SZ_EUlSY_E_NS1_11comp_targetILNS1_3genE10ELNS1_11target_archE1201ELNS1_3gpuE5ELNS1_3repE0EEENS1_30default_config_static_selectorELNS0_4arch9wavefront6targetE1EEEvT1_.num_vgpr, 0
	.set _ZN7rocprim17ROCPRIM_400000_NS6detail17trampoline_kernelINS0_14default_configENS1_29reduce_by_key_config_selectorIhlN6thrust23THRUST_200600_302600_NS4plusIlEEEEZZNS1_33reduce_by_key_impl_wrapped_configILNS1_25lookback_scan_determinismE0ES3_S9_PhNS6_17constant_iteratorIiNS6_11use_defaultESE_EENS6_10device_ptrIhEENSG_IlEEPmS8_NS6_8equal_toIhEEEE10hipError_tPvRmT2_T3_mT4_T5_T6_T7_T8_P12ihipStream_tbENKUlT_T0_E_clISt17integral_constantIbLb1EES13_EEDaSY_SZ_EUlSY_E_NS1_11comp_targetILNS1_3genE10ELNS1_11target_archE1201ELNS1_3gpuE5ELNS1_3repE0EEENS1_30default_config_static_selectorELNS0_4arch9wavefront6targetE1EEEvT1_.num_agpr, 0
	.set _ZN7rocprim17ROCPRIM_400000_NS6detail17trampoline_kernelINS0_14default_configENS1_29reduce_by_key_config_selectorIhlN6thrust23THRUST_200600_302600_NS4plusIlEEEEZZNS1_33reduce_by_key_impl_wrapped_configILNS1_25lookback_scan_determinismE0ES3_S9_PhNS6_17constant_iteratorIiNS6_11use_defaultESE_EENS6_10device_ptrIhEENSG_IlEEPmS8_NS6_8equal_toIhEEEE10hipError_tPvRmT2_T3_mT4_T5_T6_T7_T8_P12ihipStream_tbENKUlT_T0_E_clISt17integral_constantIbLb1EES13_EEDaSY_SZ_EUlSY_E_NS1_11comp_targetILNS1_3genE10ELNS1_11target_archE1201ELNS1_3gpuE5ELNS1_3repE0EEENS1_30default_config_static_selectorELNS0_4arch9wavefront6targetE1EEEvT1_.numbered_sgpr, 0
	.set _ZN7rocprim17ROCPRIM_400000_NS6detail17trampoline_kernelINS0_14default_configENS1_29reduce_by_key_config_selectorIhlN6thrust23THRUST_200600_302600_NS4plusIlEEEEZZNS1_33reduce_by_key_impl_wrapped_configILNS1_25lookback_scan_determinismE0ES3_S9_PhNS6_17constant_iteratorIiNS6_11use_defaultESE_EENS6_10device_ptrIhEENSG_IlEEPmS8_NS6_8equal_toIhEEEE10hipError_tPvRmT2_T3_mT4_T5_T6_T7_T8_P12ihipStream_tbENKUlT_T0_E_clISt17integral_constantIbLb1EES13_EEDaSY_SZ_EUlSY_E_NS1_11comp_targetILNS1_3genE10ELNS1_11target_archE1201ELNS1_3gpuE5ELNS1_3repE0EEENS1_30default_config_static_selectorELNS0_4arch9wavefront6targetE1EEEvT1_.num_named_barrier, 0
	.set _ZN7rocprim17ROCPRIM_400000_NS6detail17trampoline_kernelINS0_14default_configENS1_29reduce_by_key_config_selectorIhlN6thrust23THRUST_200600_302600_NS4plusIlEEEEZZNS1_33reduce_by_key_impl_wrapped_configILNS1_25lookback_scan_determinismE0ES3_S9_PhNS6_17constant_iteratorIiNS6_11use_defaultESE_EENS6_10device_ptrIhEENSG_IlEEPmS8_NS6_8equal_toIhEEEE10hipError_tPvRmT2_T3_mT4_T5_T6_T7_T8_P12ihipStream_tbENKUlT_T0_E_clISt17integral_constantIbLb1EES13_EEDaSY_SZ_EUlSY_E_NS1_11comp_targetILNS1_3genE10ELNS1_11target_archE1201ELNS1_3gpuE5ELNS1_3repE0EEENS1_30default_config_static_selectorELNS0_4arch9wavefront6targetE1EEEvT1_.private_seg_size, 0
	.set _ZN7rocprim17ROCPRIM_400000_NS6detail17trampoline_kernelINS0_14default_configENS1_29reduce_by_key_config_selectorIhlN6thrust23THRUST_200600_302600_NS4plusIlEEEEZZNS1_33reduce_by_key_impl_wrapped_configILNS1_25lookback_scan_determinismE0ES3_S9_PhNS6_17constant_iteratorIiNS6_11use_defaultESE_EENS6_10device_ptrIhEENSG_IlEEPmS8_NS6_8equal_toIhEEEE10hipError_tPvRmT2_T3_mT4_T5_T6_T7_T8_P12ihipStream_tbENKUlT_T0_E_clISt17integral_constantIbLb1EES13_EEDaSY_SZ_EUlSY_E_NS1_11comp_targetILNS1_3genE10ELNS1_11target_archE1201ELNS1_3gpuE5ELNS1_3repE0EEENS1_30default_config_static_selectorELNS0_4arch9wavefront6targetE1EEEvT1_.uses_vcc, 0
	.set _ZN7rocprim17ROCPRIM_400000_NS6detail17trampoline_kernelINS0_14default_configENS1_29reduce_by_key_config_selectorIhlN6thrust23THRUST_200600_302600_NS4plusIlEEEEZZNS1_33reduce_by_key_impl_wrapped_configILNS1_25lookback_scan_determinismE0ES3_S9_PhNS6_17constant_iteratorIiNS6_11use_defaultESE_EENS6_10device_ptrIhEENSG_IlEEPmS8_NS6_8equal_toIhEEEE10hipError_tPvRmT2_T3_mT4_T5_T6_T7_T8_P12ihipStream_tbENKUlT_T0_E_clISt17integral_constantIbLb1EES13_EEDaSY_SZ_EUlSY_E_NS1_11comp_targetILNS1_3genE10ELNS1_11target_archE1201ELNS1_3gpuE5ELNS1_3repE0EEENS1_30default_config_static_selectorELNS0_4arch9wavefront6targetE1EEEvT1_.uses_flat_scratch, 0
	.set _ZN7rocprim17ROCPRIM_400000_NS6detail17trampoline_kernelINS0_14default_configENS1_29reduce_by_key_config_selectorIhlN6thrust23THRUST_200600_302600_NS4plusIlEEEEZZNS1_33reduce_by_key_impl_wrapped_configILNS1_25lookback_scan_determinismE0ES3_S9_PhNS6_17constant_iteratorIiNS6_11use_defaultESE_EENS6_10device_ptrIhEENSG_IlEEPmS8_NS6_8equal_toIhEEEE10hipError_tPvRmT2_T3_mT4_T5_T6_T7_T8_P12ihipStream_tbENKUlT_T0_E_clISt17integral_constantIbLb1EES13_EEDaSY_SZ_EUlSY_E_NS1_11comp_targetILNS1_3genE10ELNS1_11target_archE1201ELNS1_3gpuE5ELNS1_3repE0EEENS1_30default_config_static_selectorELNS0_4arch9wavefront6targetE1EEEvT1_.has_dyn_sized_stack, 0
	.set _ZN7rocprim17ROCPRIM_400000_NS6detail17trampoline_kernelINS0_14default_configENS1_29reduce_by_key_config_selectorIhlN6thrust23THRUST_200600_302600_NS4plusIlEEEEZZNS1_33reduce_by_key_impl_wrapped_configILNS1_25lookback_scan_determinismE0ES3_S9_PhNS6_17constant_iteratorIiNS6_11use_defaultESE_EENS6_10device_ptrIhEENSG_IlEEPmS8_NS6_8equal_toIhEEEE10hipError_tPvRmT2_T3_mT4_T5_T6_T7_T8_P12ihipStream_tbENKUlT_T0_E_clISt17integral_constantIbLb1EES13_EEDaSY_SZ_EUlSY_E_NS1_11comp_targetILNS1_3genE10ELNS1_11target_archE1201ELNS1_3gpuE5ELNS1_3repE0EEENS1_30default_config_static_selectorELNS0_4arch9wavefront6targetE1EEEvT1_.has_recursion, 0
	.set _ZN7rocprim17ROCPRIM_400000_NS6detail17trampoline_kernelINS0_14default_configENS1_29reduce_by_key_config_selectorIhlN6thrust23THRUST_200600_302600_NS4plusIlEEEEZZNS1_33reduce_by_key_impl_wrapped_configILNS1_25lookback_scan_determinismE0ES3_S9_PhNS6_17constant_iteratorIiNS6_11use_defaultESE_EENS6_10device_ptrIhEENSG_IlEEPmS8_NS6_8equal_toIhEEEE10hipError_tPvRmT2_T3_mT4_T5_T6_T7_T8_P12ihipStream_tbENKUlT_T0_E_clISt17integral_constantIbLb1EES13_EEDaSY_SZ_EUlSY_E_NS1_11comp_targetILNS1_3genE10ELNS1_11target_archE1201ELNS1_3gpuE5ELNS1_3repE0EEENS1_30default_config_static_selectorELNS0_4arch9wavefront6targetE1EEEvT1_.has_indirect_call, 0
	.section	.AMDGPU.csdata,"",@progbits
; Kernel info:
; codeLenInByte = 0
; TotalNumSgprs: 4
; NumVgprs: 0
; ScratchSize: 0
; MemoryBound: 0
; FloatMode: 240
; IeeeMode: 1
; LDSByteSize: 0 bytes/workgroup (compile time only)
; SGPRBlocks: 0
; VGPRBlocks: 0
; NumSGPRsForWavesPerEU: 4
; NumVGPRsForWavesPerEU: 1
; Occupancy: 10
; WaveLimiterHint : 0
; COMPUTE_PGM_RSRC2:SCRATCH_EN: 0
; COMPUTE_PGM_RSRC2:USER_SGPR: 6
; COMPUTE_PGM_RSRC2:TRAP_HANDLER: 0
; COMPUTE_PGM_RSRC2:TGID_X_EN: 1
; COMPUTE_PGM_RSRC2:TGID_Y_EN: 0
; COMPUTE_PGM_RSRC2:TGID_Z_EN: 0
; COMPUTE_PGM_RSRC2:TIDIG_COMP_CNT: 0
	.section	.text._ZN7rocprim17ROCPRIM_400000_NS6detail17trampoline_kernelINS0_14default_configENS1_29reduce_by_key_config_selectorIhlN6thrust23THRUST_200600_302600_NS4plusIlEEEEZZNS1_33reduce_by_key_impl_wrapped_configILNS1_25lookback_scan_determinismE0ES3_S9_PhNS6_17constant_iteratorIiNS6_11use_defaultESE_EENS6_10device_ptrIhEENSG_IlEEPmS8_NS6_8equal_toIhEEEE10hipError_tPvRmT2_T3_mT4_T5_T6_T7_T8_P12ihipStream_tbENKUlT_T0_E_clISt17integral_constantIbLb1EES13_EEDaSY_SZ_EUlSY_E_NS1_11comp_targetILNS1_3genE10ELNS1_11target_archE1200ELNS1_3gpuE4ELNS1_3repE0EEENS1_30default_config_static_selectorELNS0_4arch9wavefront6targetE1EEEvT1_,"axG",@progbits,_ZN7rocprim17ROCPRIM_400000_NS6detail17trampoline_kernelINS0_14default_configENS1_29reduce_by_key_config_selectorIhlN6thrust23THRUST_200600_302600_NS4plusIlEEEEZZNS1_33reduce_by_key_impl_wrapped_configILNS1_25lookback_scan_determinismE0ES3_S9_PhNS6_17constant_iteratorIiNS6_11use_defaultESE_EENS6_10device_ptrIhEENSG_IlEEPmS8_NS6_8equal_toIhEEEE10hipError_tPvRmT2_T3_mT4_T5_T6_T7_T8_P12ihipStream_tbENKUlT_T0_E_clISt17integral_constantIbLb1EES13_EEDaSY_SZ_EUlSY_E_NS1_11comp_targetILNS1_3genE10ELNS1_11target_archE1200ELNS1_3gpuE4ELNS1_3repE0EEENS1_30default_config_static_selectorELNS0_4arch9wavefront6targetE1EEEvT1_,comdat
	.protected	_ZN7rocprim17ROCPRIM_400000_NS6detail17trampoline_kernelINS0_14default_configENS1_29reduce_by_key_config_selectorIhlN6thrust23THRUST_200600_302600_NS4plusIlEEEEZZNS1_33reduce_by_key_impl_wrapped_configILNS1_25lookback_scan_determinismE0ES3_S9_PhNS6_17constant_iteratorIiNS6_11use_defaultESE_EENS6_10device_ptrIhEENSG_IlEEPmS8_NS6_8equal_toIhEEEE10hipError_tPvRmT2_T3_mT4_T5_T6_T7_T8_P12ihipStream_tbENKUlT_T0_E_clISt17integral_constantIbLb1EES13_EEDaSY_SZ_EUlSY_E_NS1_11comp_targetILNS1_3genE10ELNS1_11target_archE1200ELNS1_3gpuE4ELNS1_3repE0EEENS1_30default_config_static_selectorELNS0_4arch9wavefront6targetE1EEEvT1_ ; -- Begin function _ZN7rocprim17ROCPRIM_400000_NS6detail17trampoline_kernelINS0_14default_configENS1_29reduce_by_key_config_selectorIhlN6thrust23THRUST_200600_302600_NS4plusIlEEEEZZNS1_33reduce_by_key_impl_wrapped_configILNS1_25lookback_scan_determinismE0ES3_S9_PhNS6_17constant_iteratorIiNS6_11use_defaultESE_EENS6_10device_ptrIhEENSG_IlEEPmS8_NS6_8equal_toIhEEEE10hipError_tPvRmT2_T3_mT4_T5_T6_T7_T8_P12ihipStream_tbENKUlT_T0_E_clISt17integral_constantIbLb1EES13_EEDaSY_SZ_EUlSY_E_NS1_11comp_targetILNS1_3genE10ELNS1_11target_archE1200ELNS1_3gpuE4ELNS1_3repE0EEENS1_30default_config_static_selectorELNS0_4arch9wavefront6targetE1EEEvT1_
	.globl	_ZN7rocprim17ROCPRIM_400000_NS6detail17trampoline_kernelINS0_14default_configENS1_29reduce_by_key_config_selectorIhlN6thrust23THRUST_200600_302600_NS4plusIlEEEEZZNS1_33reduce_by_key_impl_wrapped_configILNS1_25lookback_scan_determinismE0ES3_S9_PhNS6_17constant_iteratorIiNS6_11use_defaultESE_EENS6_10device_ptrIhEENSG_IlEEPmS8_NS6_8equal_toIhEEEE10hipError_tPvRmT2_T3_mT4_T5_T6_T7_T8_P12ihipStream_tbENKUlT_T0_E_clISt17integral_constantIbLb1EES13_EEDaSY_SZ_EUlSY_E_NS1_11comp_targetILNS1_3genE10ELNS1_11target_archE1200ELNS1_3gpuE4ELNS1_3repE0EEENS1_30default_config_static_selectorELNS0_4arch9wavefront6targetE1EEEvT1_
	.p2align	8
	.type	_ZN7rocprim17ROCPRIM_400000_NS6detail17trampoline_kernelINS0_14default_configENS1_29reduce_by_key_config_selectorIhlN6thrust23THRUST_200600_302600_NS4plusIlEEEEZZNS1_33reduce_by_key_impl_wrapped_configILNS1_25lookback_scan_determinismE0ES3_S9_PhNS6_17constant_iteratorIiNS6_11use_defaultESE_EENS6_10device_ptrIhEENSG_IlEEPmS8_NS6_8equal_toIhEEEE10hipError_tPvRmT2_T3_mT4_T5_T6_T7_T8_P12ihipStream_tbENKUlT_T0_E_clISt17integral_constantIbLb1EES13_EEDaSY_SZ_EUlSY_E_NS1_11comp_targetILNS1_3genE10ELNS1_11target_archE1200ELNS1_3gpuE4ELNS1_3repE0EEENS1_30default_config_static_selectorELNS0_4arch9wavefront6targetE1EEEvT1_,@function
_ZN7rocprim17ROCPRIM_400000_NS6detail17trampoline_kernelINS0_14default_configENS1_29reduce_by_key_config_selectorIhlN6thrust23THRUST_200600_302600_NS4plusIlEEEEZZNS1_33reduce_by_key_impl_wrapped_configILNS1_25lookback_scan_determinismE0ES3_S9_PhNS6_17constant_iteratorIiNS6_11use_defaultESE_EENS6_10device_ptrIhEENSG_IlEEPmS8_NS6_8equal_toIhEEEE10hipError_tPvRmT2_T3_mT4_T5_T6_T7_T8_P12ihipStream_tbENKUlT_T0_E_clISt17integral_constantIbLb1EES13_EEDaSY_SZ_EUlSY_E_NS1_11comp_targetILNS1_3genE10ELNS1_11target_archE1200ELNS1_3gpuE4ELNS1_3repE0EEENS1_30default_config_static_selectorELNS0_4arch9wavefront6targetE1EEEvT1_: ; @_ZN7rocprim17ROCPRIM_400000_NS6detail17trampoline_kernelINS0_14default_configENS1_29reduce_by_key_config_selectorIhlN6thrust23THRUST_200600_302600_NS4plusIlEEEEZZNS1_33reduce_by_key_impl_wrapped_configILNS1_25lookback_scan_determinismE0ES3_S9_PhNS6_17constant_iteratorIiNS6_11use_defaultESE_EENS6_10device_ptrIhEENSG_IlEEPmS8_NS6_8equal_toIhEEEE10hipError_tPvRmT2_T3_mT4_T5_T6_T7_T8_P12ihipStream_tbENKUlT_T0_E_clISt17integral_constantIbLb1EES13_EEDaSY_SZ_EUlSY_E_NS1_11comp_targetILNS1_3genE10ELNS1_11target_archE1200ELNS1_3gpuE4ELNS1_3repE0EEENS1_30default_config_static_selectorELNS0_4arch9wavefront6targetE1EEEvT1_
; %bb.0:
	.section	.rodata,"a",@progbits
	.p2align	6, 0x0
	.amdhsa_kernel _ZN7rocprim17ROCPRIM_400000_NS6detail17trampoline_kernelINS0_14default_configENS1_29reduce_by_key_config_selectorIhlN6thrust23THRUST_200600_302600_NS4plusIlEEEEZZNS1_33reduce_by_key_impl_wrapped_configILNS1_25lookback_scan_determinismE0ES3_S9_PhNS6_17constant_iteratorIiNS6_11use_defaultESE_EENS6_10device_ptrIhEENSG_IlEEPmS8_NS6_8equal_toIhEEEE10hipError_tPvRmT2_T3_mT4_T5_T6_T7_T8_P12ihipStream_tbENKUlT_T0_E_clISt17integral_constantIbLb1EES13_EEDaSY_SZ_EUlSY_E_NS1_11comp_targetILNS1_3genE10ELNS1_11target_archE1200ELNS1_3gpuE4ELNS1_3repE0EEENS1_30default_config_static_selectorELNS0_4arch9wavefront6targetE1EEEvT1_
		.amdhsa_group_segment_fixed_size 0
		.amdhsa_private_segment_fixed_size 0
		.amdhsa_kernarg_size 144
		.amdhsa_user_sgpr_count 6
		.amdhsa_user_sgpr_private_segment_buffer 1
		.amdhsa_user_sgpr_dispatch_ptr 0
		.amdhsa_user_sgpr_queue_ptr 0
		.amdhsa_user_sgpr_kernarg_segment_ptr 1
		.amdhsa_user_sgpr_dispatch_id 0
		.amdhsa_user_sgpr_flat_scratch_init 0
		.amdhsa_user_sgpr_private_segment_size 0
		.amdhsa_uses_dynamic_stack 0
		.amdhsa_system_sgpr_private_segment_wavefront_offset 0
		.amdhsa_system_sgpr_workgroup_id_x 1
		.amdhsa_system_sgpr_workgroup_id_y 0
		.amdhsa_system_sgpr_workgroup_id_z 0
		.amdhsa_system_sgpr_workgroup_info 0
		.amdhsa_system_vgpr_workitem_id 0
		.amdhsa_next_free_vgpr 1
		.amdhsa_next_free_sgpr 0
		.amdhsa_reserve_vcc 0
		.amdhsa_reserve_flat_scratch 0
		.amdhsa_float_round_mode_32 0
		.amdhsa_float_round_mode_16_64 0
		.amdhsa_float_denorm_mode_32 3
		.amdhsa_float_denorm_mode_16_64 3
		.amdhsa_dx10_clamp 1
		.amdhsa_ieee_mode 1
		.amdhsa_fp16_overflow 0
		.amdhsa_exception_fp_ieee_invalid_op 0
		.amdhsa_exception_fp_denorm_src 0
		.amdhsa_exception_fp_ieee_div_zero 0
		.amdhsa_exception_fp_ieee_overflow 0
		.amdhsa_exception_fp_ieee_underflow 0
		.amdhsa_exception_fp_ieee_inexact 0
		.amdhsa_exception_int_div_zero 0
	.end_amdhsa_kernel
	.section	.text._ZN7rocprim17ROCPRIM_400000_NS6detail17trampoline_kernelINS0_14default_configENS1_29reduce_by_key_config_selectorIhlN6thrust23THRUST_200600_302600_NS4plusIlEEEEZZNS1_33reduce_by_key_impl_wrapped_configILNS1_25lookback_scan_determinismE0ES3_S9_PhNS6_17constant_iteratorIiNS6_11use_defaultESE_EENS6_10device_ptrIhEENSG_IlEEPmS8_NS6_8equal_toIhEEEE10hipError_tPvRmT2_T3_mT4_T5_T6_T7_T8_P12ihipStream_tbENKUlT_T0_E_clISt17integral_constantIbLb1EES13_EEDaSY_SZ_EUlSY_E_NS1_11comp_targetILNS1_3genE10ELNS1_11target_archE1200ELNS1_3gpuE4ELNS1_3repE0EEENS1_30default_config_static_selectorELNS0_4arch9wavefront6targetE1EEEvT1_,"axG",@progbits,_ZN7rocprim17ROCPRIM_400000_NS6detail17trampoline_kernelINS0_14default_configENS1_29reduce_by_key_config_selectorIhlN6thrust23THRUST_200600_302600_NS4plusIlEEEEZZNS1_33reduce_by_key_impl_wrapped_configILNS1_25lookback_scan_determinismE0ES3_S9_PhNS6_17constant_iteratorIiNS6_11use_defaultESE_EENS6_10device_ptrIhEENSG_IlEEPmS8_NS6_8equal_toIhEEEE10hipError_tPvRmT2_T3_mT4_T5_T6_T7_T8_P12ihipStream_tbENKUlT_T0_E_clISt17integral_constantIbLb1EES13_EEDaSY_SZ_EUlSY_E_NS1_11comp_targetILNS1_3genE10ELNS1_11target_archE1200ELNS1_3gpuE4ELNS1_3repE0EEENS1_30default_config_static_selectorELNS0_4arch9wavefront6targetE1EEEvT1_,comdat
.Lfunc_end380:
	.size	_ZN7rocprim17ROCPRIM_400000_NS6detail17trampoline_kernelINS0_14default_configENS1_29reduce_by_key_config_selectorIhlN6thrust23THRUST_200600_302600_NS4plusIlEEEEZZNS1_33reduce_by_key_impl_wrapped_configILNS1_25lookback_scan_determinismE0ES3_S9_PhNS6_17constant_iteratorIiNS6_11use_defaultESE_EENS6_10device_ptrIhEENSG_IlEEPmS8_NS6_8equal_toIhEEEE10hipError_tPvRmT2_T3_mT4_T5_T6_T7_T8_P12ihipStream_tbENKUlT_T0_E_clISt17integral_constantIbLb1EES13_EEDaSY_SZ_EUlSY_E_NS1_11comp_targetILNS1_3genE10ELNS1_11target_archE1200ELNS1_3gpuE4ELNS1_3repE0EEENS1_30default_config_static_selectorELNS0_4arch9wavefront6targetE1EEEvT1_, .Lfunc_end380-_ZN7rocprim17ROCPRIM_400000_NS6detail17trampoline_kernelINS0_14default_configENS1_29reduce_by_key_config_selectorIhlN6thrust23THRUST_200600_302600_NS4plusIlEEEEZZNS1_33reduce_by_key_impl_wrapped_configILNS1_25lookback_scan_determinismE0ES3_S9_PhNS6_17constant_iteratorIiNS6_11use_defaultESE_EENS6_10device_ptrIhEENSG_IlEEPmS8_NS6_8equal_toIhEEEE10hipError_tPvRmT2_T3_mT4_T5_T6_T7_T8_P12ihipStream_tbENKUlT_T0_E_clISt17integral_constantIbLb1EES13_EEDaSY_SZ_EUlSY_E_NS1_11comp_targetILNS1_3genE10ELNS1_11target_archE1200ELNS1_3gpuE4ELNS1_3repE0EEENS1_30default_config_static_selectorELNS0_4arch9wavefront6targetE1EEEvT1_
                                        ; -- End function
	.set _ZN7rocprim17ROCPRIM_400000_NS6detail17trampoline_kernelINS0_14default_configENS1_29reduce_by_key_config_selectorIhlN6thrust23THRUST_200600_302600_NS4plusIlEEEEZZNS1_33reduce_by_key_impl_wrapped_configILNS1_25lookback_scan_determinismE0ES3_S9_PhNS6_17constant_iteratorIiNS6_11use_defaultESE_EENS6_10device_ptrIhEENSG_IlEEPmS8_NS6_8equal_toIhEEEE10hipError_tPvRmT2_T3_mT4_T5_T6_T7_T8_P12ihipStream_tbENKUlT_T0_E_clISt17integral_constantIbLb1EES13_EEDaSY_SZ_EUlSY_E_NS1_11comp_targetILNS1_3genE10ELNS1_11target_archE1200ELNS1_3gpuE4ELNS1_3repE0EEENS1_30default_config_static_selectorELNS0_4arch9wavefront6targetE1EEEvT1_.num_vgpr, 0
	.set _ZN7rocprim17ROCPRIM_400000_NS6detail17trampoline_kernelINS0_14default_configENS1_29reduce_by_key_config_selectorIhlN6thrust23THRUST_200600_302600_NS4plusIlEEEEZZNS1_33reduce_by_key_impl_wrapped_configILNS1_25lookback_scan_determinismE0ES3_S9_PhNS6_17constant_iteratorIiNS6_11use_defaultESE_EENS6_10device_ptrIhEENSG_IlEEPmS8_NS6_8equal_toIhEEEE10hipError_tPvRmT2_T3_mT4_T5_T6_T7_T8_P12ihipStream_tbENKUlT_T0_E_clISt17integral_constantIbLb1EES13_EEDaSY_SZ_EUlSY_E_NS1_11comp_targetILNS1_3genE10ELNS1_11target_archE1200ELNS1_3gpuE4ELNS1_3repE0EEENS1_30default_config_static_selectorELNS0_4arch9wavefront6targetE1EEEvT1_.num_agpr, 0
	.set _ZN7rocprim17ROCPRIM_400000_NS6detail17trampoline_kernelINS0_14default_configENS1_29reduce_by_key_config_selectorIhlN6thrust23THRUST_200600_302600_NS4plusIlEEEEZZNS1_33reduce_by_key_impl_wrapped_configILNS1_25lookback_scan_determinismE0ES3_S9_PhNS6_17constant_iteratorIiNS6_11use_defaultESE_EENS6_10device_ptrIhEENSG_IlEEPmS8_NS6_8equal_toIhEEEE10hipError_tPvRmT2_T3_mT4_T5_T6_T7_T8_P12ihipStream_tbENKUlT_T0_E_clISt17integral_constantIbLb1EES13_EEDaSY_SZ_EUlSY_E_NS1_11comp_targetILNS1_3genE10ELNS1_11target_archE1200ELNS1_3gpuE4ELNS1_3repE0EEENS1_30default_config_static_selectorELNS0_4arch9wavefront6targetE1EEEvT1_.numbered_sgpr, 0
	.set _ZN7rocprim17ROCPRIM_400000_NS6detail17trampoline_kernelINS0_14default_configENS1_29reduce_by_key_config_selectorIhlN6thrust23THRUST_200600_302600_NS4plusIlEEEEZZNS1_33reduce_by_key_impl_wrapped_configILNS1_25lookback_scan_determinismE0ES3_S9_PhNS6_17constant_iteratorIiNS6_11use_defaultESE_EENS6_10device_ptrIhEENSG_IlEEPmS8_NS6_8equal_toIhEEEE10hipError_tPvRmT2_T3_mT4_T5_T6_T7_T8_P12ihipStream_tbENKUlT_T0_E_clISt17integral_constantIbLb1EES13_EEDaSY_SZ_EUlSY_E_NS1_11comp_targetILNS1_3genE10ELNS1_11target_archE1200ELNS1_3gpuE4ELNS1_3repE0EEENS1_30default_config_static_selectorELNS0_4arch9wavefront6targetE1EEEvT1_.num_named_barrier, 0
	.set _ZN7rocprim17ROCPRIM_400000_NS6detail17trampoline_kernelINS0_14default_configENS1_29reduce_by_key_config_selectorIhlN6thrust23THRUST_200600_302600_NS4plusIlEEEEZZNS1_33reduce_by_key_impl_wrapped_configILNS1_25lookback_scan_determinismE0ES3_S9_PhNS6_17constant_iteratorIiNS6_11use_defaultESE_EENS6_10device_ptrIhEENSG_IlEEPmS8_NS6_8equal_toIhEEEE10hipError_tPvRmT2_T3_mT4_T5_T6_T7_T8_P12ihipStream_tbENKUlT_T0_E_clISt17integral_constantIbLb1EES13_EEDaSY_SZ_EUlSY_E_NS1_11comp_targetILNS1_3genE10ELNS1_11target_archE1200ELNS1_3gpuE4ELNS1_3repE0EEENS1_30default_config_static_selectorELNS0_4arch9wavefront6targetE1EEEvT1_.private_seg_size, 0
	.set _ZN7rocprim17ROCPRIM_400000_NS6detail17trampoline_kernelINS0_14default_configENS1_29reduce_by_key_config_selectorIhlN6thrust23THRUST_200600_302600_NS4plusIlEEEEZZNS1_33reduce_by_key_impl_wrapped_configILNS1_25lookback_scan_determinismE0ES3_S9_PhNS6_17constant_iteratorIiNS6_11use_defaultESE_EENS6_10device_ptrIhEENSG_IlEEPmS8_NS6_8equal_toIhEEEE10hipError_tPvRmT2_T3_mT4_T5_T6_T7_T8_P12ihipStream_tbENKUlT_T0_E_clISt17integral_constantIbLb1EES13_EEDaSY_SZ_EUlSY_E_NS1_11comp_targetILNS1_3genE10ELNS1_11target_archE1200ELNS1_3gpuE4ELNS1_3repE0EEENS1_30default_config_static_selectorELNS0_4arch9wavefront6targetE1EEEvT1_.uses_vcc, 0
	.set _ZN7rocprim17ROCPRIM_400000_NS6detail17trampoline_kernelINS0_14default_configENS1_29reduce_by_key_config_selectorIhlN6thrust23THRUST_200600_302600_NS4plusIlEEEEZZNS1_33reduce_by_key_impl_wrapped_configILNS1_25lookback_scan_determinismE0ES3_S9_PhNS6_17constant_iteratorIiNS6_11use_defaultESE_EENS6_10device_ptrIhEENSG_IlEEPmS8_NS6_8equal_toIhEEEE10hipError_tPvRmT2_T3_mT4_T5_T6_T7_T8_P12ihipStream_tbENKUlT_T0_E_clISt17integral_constantIbLb1EES13_EEDaSY_SZ_EUlSY_E_NS1_11comp_targetILNS1_3genE10ELNS1_11target_archE1200ELNS1_3gpuE4ELNS1_3repE0EEENS1_30default_config_static_selectorELNS0_4arch9wavefront6targetE1EEEvT1_.uses_flat_scratch, 0
	.set _ZN7rocprim17ROCPRIM_400000_NS6detail17trampoline_kernelINS0_14default_configENS1_29reduce_by_key_config_selectorIhlN6thrust23THRUST_200600_302600_NS4plusIlEEEEZZNS1_33reduce_by_key_impl_wrapped_configILNS1_25lookback_scan_determinismE0ES3_S9_PhNS6_17constant_iteratorIiNS6_11use_defaultESE_EENS6_10device_ptrIhEENSG_IlEEPmS8_NS6_8equal_toIhEEEE10hipError_tPvRmT2_T3_mT4_T5_T6_T7_T8_P12ihipStream_tbENKUlT_T0_E_clISt17integral_constantIbLb1EES13_EEDaSY_SZ_EUlSY_E_NS1_11comp_targetILNS1_3genE10ELNS1_11target_archE1200ELNS1_3gpuE4ELNS1_3repE0EEENS1_30default_config_static_selectorELNS0_4arch9wavefront6targetE1EEEvT1_.has_dyn_sized_stack, 0
	.set _ZN7rocprim17ROCPRIM_400000_NS6detail17trampoline_kernelINS0_14default_configENS1_29reduce_by_key_config_selectorIhlN6thrust23THRUST_200600_302600_NS4plusIlEEEEZZNS1_33reduce_by_key_impl_wrapped_configILNS1_25lookback_scan_determinismE0ES3_S9_PhNS6_17constant_iteratorIiNS6_11use_defaultESE_EENS6_10device_ptrIhEENSG_IlEEPmS8_NS6_8equal_toIhEEEE10hipError_tPvRmT2_T3_mT4_T5_T6_T7_T8_P12ihipStream_tbENKUlT_T0_E_clISt17integral_constantIbLb1EES13_EEDaSY_SZ_EUlSY_E_NS1_11comp_targetILNS1_3genE10ELNS1_11target_archE1200ELNS1_3gpuE4ELNS1_3repE0EEENS1_30default_config_static_selectorELNS0_4arch9wavefront6targetE1EEEvT1_.has_recursion, 0
	.set _ZN7rocprim17ROCPRIM_400000_NS6detail17trampoline_kernelINS0_14default_configENS1_29reduce_by_key_config_selectorIhlN6thrust23THRUST_200600_302600_NS4plusIlEEEEZZNS1_33reduce_by_key_impl_wrapped_configILNS1_25lookback_scan_determinismE0ES3_S9_PhNS6_17constant_iteratorIiNS6_11use_defaultESE_EENS6_10device_ptrIhEENSG_IlEEPmS8_NS6_8equal_toIhEEEE10hipError_tPvRmT2_T3_mT4_T5_T6_T7_T8_P12ihipStream_tbENKUlT_T0_E_clISt17integral_constantIbLb1EES13_EEDaSY_SZ_EUlSY_E_NS1_11comp_targetILNS1_3genE10ELNS1_11target_archE1200ELNS1_3gpuE4ELNS1_3repE0EEENS1_30default_config_static_selectorELNS0_4arch9wavefront6targetE1EEEvT1_.has_indirect_call, 0
	.section	.AMDGPU.csdata,"",@progbits
; Kernel info:
; codeLenInByte = 0
; TotalNumSgprs: 4
; NumVgprs: 0
; ScratchSize: 0
; MemoryBound: 0
; FloatMode: 240
; IeeeMode: 1
; LDSByteSize: 0 bytes/workgroup (compile time only)
; SGPRBlocks: 0
; VGPRBlocks: 0
; NumSGPRsForWavesPerEU: 4
; NumVGPRsForWavesPerEU: 1
; Occupancy: 10
; WaveLimiterHint : 0
; COMPUTE_PGM_RSRC2:SCRATCH_EN: 0
; COMPUTE_PGM_RSRC2:USER_SGPR: 6
; COMPUTE_PGM_RSRC2:TRAP_HANDLER: 0
; COMPUTE_PGM_RSRC2:TGID_X_EN: 1
; COMPUTE_PGM_RSRC2:TGID_Y_EN: 0
; COMPUTE_PGM_RSRC2:TGID_Z_EN: 0
; COMPUTE_PGM_RSRC2:TIDIG_COMP_CNT: 0
	.section	.text._ZN7rocprim17ROCPRIM_400000_NS6detail17trampoline_kernelINS0_14default_configENS1_29reduce_by_key_config_selectorIhlN6thrust23THRUST_200600_302600_NS4plusIlEEEEZZNS1_33reduce_by_key_impl_wrapped_configILNS1_25lookback_scan_determinismE0ES3_S9_PhNS6_17constant_iteratorIiNS6_11use_defaultESE_EENS6_10device_ptrIhEENSG_IlEEPmS8_NS6_8equal_toIhEEEE10hipError_tPvRmT2_T3_mT4_T5_T6_T7_T8_P12ihipStream_tbENKUlT_T0_E_clISt17integral_constantIbLb1EES13_EEDaSY_SZ_EUlSY_E_NS1_11comp_targetILNS1_3genE9ELNS1_11target_archE1100ELNS1_3gpuE3ELNS1_3repE0EEENS1_30default_config_static_selectorELNS0_4arch9wavefront6targetE1EEEvT1_,"axG",@progbits,_ZN7rocprim17ROCPRIM_400000_NS6detail17trampoline_kernelINS0_14default_configENS1_29reduce_by_key_config_selectorIhlN6thrust23THRUST_200600_302600_NS4plusIlEEEEZZNS1_33reduce_by_key_impl_wrapped_configILNS1_25lookback_scan_determinismE0ES3_S9_PhNS6_17constant_iteratorIiNS6_11use_defaultESE_EENS6_10device_ptrIhEENSG_IlEEPmS8_NS6_8equal_toIhEEEE10hipError_tPvRmT2_T3_mT4_T5_T6_T7_T8_P12ihipStream_tbENKUlT_T0_E_clISt17integral_constantIbLb1EES13_EEDaSY_SZ_EUlSY_E_NS1_11comp_targetILNS1_3genE9ELNS1_11target_archE1100ELNS1_3gpuE3ELNS1_3repE0EEENS1_30default_config_static_selectorELNS0_4arch9wavefront6targetE1EEEvT1_,comdat
	.protected	_ZN7rocprim17ROCPRIM_400000_NS6detail17trampoline_kernelINS0_14default_configENS1_29reduce_by_key_config_selectorIhlN6thrust23THRUST_200600_302600_NS4plusIlEEEEZZNS1_33reduce_by_key_impl_wrapped_configILNS1_25lookback_scan_determinismE0ES3_S9_PhNS6_17constant_iteratorIiNS6_11use_defaultESE_EENS6_10device_ptrIhEENSG_IlEEPmS8_NS6_8equal_toIhEEEE10hipError_tPvRmT2_T3_mT4_T5_T6_T7_T8_P12ihipStream_tbENKUlT_T0_E_clISt17integral_constantIbLb1EES13_EEDaSY_SZ_EUlSY_E_NS1_11comp_targetILNS1_3genE9ELNS1_11target_archE1100ELNS1_3gpuE3ELNS1_3repE0EEENS1_30default_config_static_selectorELNS0_4arch9wavefront6targetE1EEEvT1_ ; -- Begin function _ZN7rocprim17ROCPRIM_400000_NS6detail17trampoline_kernelINS0_14default_configENS1_29reduce_by_key_config_selectorIhlN6thrust23THRUST_200600_302600_NS4plusIlEEEEZZNS1_33reduce_by_key_impl_wrapped_configILNS1_25lookback_scan_determinismE0ES3_S9_PhNS6_17constant_iteratorIiNS6_11use_defaultESE_EENS6_10device_ptrIhEENSG_IlEEPmS8_NS6_8equal_toIhEEEE10hipError_tPvRmT2_T3_mT4_T5_T6_T7_T8_P12ihipStream_tbENKUlT_T0_E_clISt17integral_constantIbLb1EES13_EEDaSY_SZ_EUlSY_E_NS1_11comp_targetILNS1_3genE9ELNS1_11target_archE1100ELNS1_3gpuE3ELNS1_3repE0EEENS1_30default_config_static_selectorELNS0_4arch9wavefront6targetE1EEEvT1_
	.globl	_ZN7rocprim17ROCPRIM_400000_NS6detail17trampoline_kernelINS0_14default_configENS1_29reduce_by_key_config_selectorIhlN6thrust23THRUST_200600_302600_NS4plusIlEEEEZZNS1_33reduce_by_key_impl_wrapped_configILNS1_25lookback_scan_determinismE0ES3_S9_PhNS6_17constant_iteratorIiNS6_11use_defaultESE_EENS6_10device_ptrIhEENSG_IlEEPmS8_NS6_8equal_toIhEEEE10hipError_tPvRmT2_T3_mT4_T5_T6_T7_T8_P12ihipStream_tbENKUlT_T0_E_clISt17integral_constantIbLb1EES13_EEDaSY_SZ_EUlSY_E_NS1_11comp_targetILNS1_3genE9ELNS1_11target_archE1100ELNS1_3gpuE3ELNS1_3repE0EEENS1_30default_config_static_selectorELNS0_4arch9wavefront6targetE1EEEvT1_
	.p2align	8
	.type	_ZN7rocprim17ROCPRIM_400000_NS6detail17trampoline_kernelINS0_14default_configENS1_29reduce_by_key_config_selectorIhlN6thrust23THRUST_200600_302600_NS4plusIlEEEEZZNS1_33reduce_by_key_impl_wrapped_configILNS1_25lookback_scan_determinismE0ES3_S9_PhNS6_17constant_iteratorIiNS6_11use_defaultESE_EENS6_10device_ptrIhEENSG_IlEEPmS8_NS6_8equal_toIhEEEE10hipError_tPvRmT2_T3_mT4_T5_T6_T7_T8_P12ihipStream_tbENKUlT_T0_E_clISt17integral_constantIbLb1EES13_EEDaSY_SZ_EUlSY_E_NS1_11comp_targetILNS1_3genE9ELNS1_11target_archE1100ELNS1_3gpuE3ELNS1_3repE0EEENS1_30default_config_static_selectorELNS0_4arch9wavefront6targetE1EEEvT1_,@function
_ZN7rocprim17ROCPRIM_400000_NS6detail17trampoline_kernelINS0_14default_configENS1_29reduce_by_key_config_selectorIhlN6thrust23THRUST_200600_302600_NS4plusIlEEEEZZNS1_33reduce_by_key_impl_wrapped_configILNS1_25lookback_scan_determinismE0ES3_S9_PhNS6_17constant_iteratorIiNS6_11use_defaultESE_EENS6_10device_ptrIhEENSG_IlEEPmS8_NS6_8equal_toIhEEEE10hipError_tPvRmT2_T3_mT4_T5_T6_T7_T8_P12ihipStream_tbENKUlT_T0_E_clISt17integral_constantIbLb1EES13_EEDaSY_SZ_EUlSY_E_NS1_11comp_targetILNS1_3genE9ELNS1_11target_archE1100ELNS1_3gpuE3ELNS1_3repE0EEENS1_30default_config_static_selectorELNS0_4arch9wavefront6targetE1EEEvT1_: ; @_ZN7rocprim17ROCPRIM_400000_NS6detail17trampoline_kernelINS0_14default_configENS1_29reduce_by_key_config_selectorIhlN6thrust23THRUST_200600_302600_NS4plusIlEEEEZZNS1_33reduce_by_key_impl_wrapped_configILNS1_25lookback_scan_determinismE0ES3_S9_PhNS6_17constant_iteratorIiNS6_11use_defaultESE_EENS6_10device_ptrIhEENSG_IlEEPmS8_NS6_8equal_toIhEEEE10hipError_tPvRmT2_T3_mT4_T5_T6_T7_T8_P12ihipStream_tbENKUlT_T0_E_clISt17integral_constantIbLb1EES13_EEDaSY_SZ_EUlSY_E_NS1_11comp_targetILNS1_3genE9ELNS1_11target_archE1100ELNS1_3gpuE3ELNS1_3repE0EEENS1_30default_config_static_selectorELNS0_4arch9wavefront6targetE1EEEvT1_
; %bb.0:
	.section	.rodata,"a",@progbits
	.p2align	6, 0x0
	.amdhsa_kernel _ZN7rocprim17ROCPRIM_400000_NS6detail17trampoline_kernelINS0_14default_configENS1_29reduce_by_key_config_selectorIhlN6thrust23THRUST_200600_302600_NS4plusIlEEEEZZNS1_33reduce_by_key_impl_wrapped_configILNS1_25lookback_scan_determinismE0ES3_S9_PhNS6_17constant_iteratorIiNS6_11use_defaultESE_EENS6_10device_ptrIhEENSG_IlEEPmS8_NS6_8equal_toIhEEEE10hipError_tPvRmT2_T3_mT4_T5_T6_T7_T8_P12ihipStream_tbENKUlT_T0_E_clISt17integral_constantIbLb1EES13_EEDaSY_SZ_EUlSY_E_NS1_11comp_targetILNS1_3genE9ELNS1_11target_archE1100ELNS1_3gpuE3ELNS1_3repE0EEENS1_30default_config_static_selectorELNS0_4arch9wavefront6targetE1EEEvT1_
		.amdhsa_group_segment_fixed_size 0
		.amdhsa_private_segment_fixed_size 0
		.amdhsa_kernarg_size 144
		.amdhsa_user_sgpr_count 6
		.amdhsa_user_sgpr_private_segment_buffer 1
		.amdhsa_user_sgpr_dispatch_ptr 0
		.amdhsa_user_sgpr_queue_ptr 0
		.amdhsa_user_sgpr_kernarg_segment_ptr 1
		.amdhsa_user_sgpr_dispatch_id 0
		.amdhsa_user_sgpr_flat_scratch_init 0
		.amdhsa_user_sgpr_private_segment_size 0
		.amdhsa_uses_dynamic_stack 0
		.amdhsa_system_sgpr_private_segment_wavefront_offset 0
		.amdhsa_system_sgpr_workgroup_id_x 1
		.amdhsa_system_sgpr_workgroup_id_y 0
		.amdhsa_system_sgpr_workgroup_id_z 0
		.amdhsa_system_sgpr_workgroup_info 0
		.amdhsa_system_vgpr_workitem_id 0
		.amdhsa_next_free_vgpr 1
		.amdhsa_next_free_sgpr 0
		.amdhsa_reserve_vcc 0
		.amdhsa_reserve_flat_scratch 0
		.amdhsa_float_round_mode_32 0
		.amdhsa_float_round_mode_16_64 0
		.amdhsa_float_denorm_mode_32 3
		.amdhsa_float_denorm_mode_16_64 3
		.amdhsa_dx10_clamp 1
		.amdhsa_ieee_mode 1
		.amdhsa_fp16_overflow 0
		.amdhsa_exception_fp_ieee_invalid_op 0
		.amdhsa_exception_fp_denorm_src 0
		.amdhsa_exception_fp_ieee_div_zero 0
		.amdhsa_exception_fp_ieee_overflow 0
		.amdhsa_exception_fp_ieee_underflow 0
		.amdhsa_exception_fp_ieee_inexact 0
		.amdhsa_exception_int_div_zero 0
	.end_amdhsa_kernel
	.section	.text._ZN7rocprim17ROCPRIM_400000_NS6detail17trampoline_kernelINS0_14default_configENS1_29reduce_by_key_config_selectorIhlN6thrust23THRUST_200600_302600_NS4plusIlEEEEZZNS1_33reduce_by_key_impl_wrapped_configILNS1_25lookback_scan_determinismE0ES3_S9_PhNS6_17constant_iteratorIiNS6_11use_defaultESE_EENS6_10device_ptrIhEENSG_IlEEPmS8_NS6_8equal_toIhEEEE10hipError_tPvRmT2_T3_mT4_T5_T6_T7_T8_P12ihipStream_tbENKUlT_T0_E_clISt17integral_constantIbLb1EES13_EEDaSY_SZ_EUlSY_E_NS1_11comp_targetILNS1_3genE9ELNS1_11target_archE1100ELNS1_3gpuE3ELNS1_3repE0EEENS1_30default_config_static_selectorELNS0_4arch9wavefront6targetE1EEEvT1_,"axG",@progbits,_ZN7rocprim17ROCPRIM_400000_NS6detail17trampoline_kernelINS0_14default_configENS1_29reduce_by_key_config_selectorIhlN6thrust23THRUST_200600_302600_NS4plusIlEEEEZZNS1_33reduce_by_key_impl_wrapped_configILNS1_25lookback_scan_determinismE0ES3_S9_PhNS6_17constant_iteratorIiNS6_11use_defaultESE_EENS6_10device_ptrIhEENSG_IlEEPmS8_NS6_8equal_toIhEEEE10hipError_tPvRmT2_T3_mT4_T5_T6_T7_T8_P12ihipStream_tbENKUlT_T0_E_clISt17integral_constantIbLb1EES13_EEDaSY_SZ_EUlSY_E_NS1_11comp_targetILNS1_3genE9ELNS1_11target_archE1100ELNS1_3gpuE3ELNS1_3repE0EEENS1_30default_config_static_selectorELNS0_4arch9wavefront6targetE1EEEvT1_,comdat
.Lfunc_end381:
	.size	_ZN7rocprim17ROCPRIM_400000_NS6detail17trampoline_kernelINS0_14default_configENS1_29reduce_by_key_config_selectorIhlN6thrust23THRUST_200600_302600_NS4plusIlEEEEZZNS1_33reduce_by_key_impl_wrapped_configILNS1_25lookback_scan_determinismE0ES3_S9_PhNS6_17constant_iteratorIiNS6_11use_defaultESE_EENS6_10device_ptrIhEENSG_IlEEPmS8_NS6_8equal_toIhEEEE10hipError_tPvRmT2_T3_mT4_T5_T6_T7_T8_P12ihipStream_tbENKUlT_T0_E_clISt17integral_constantIbLb1EES13_EEDaSY_SZ_EUlSY_E_NS1_11comp_targetILNS1_3genE9ELNS1_11target_archE1100ELNS1_3gpuE3ELNS1_3repE0EEENS1_30default_config_static_selectorELNS0_4arch9wavefront6targetE1EEEvT1_, .Lfunc_end381-_ZN7rocprim17ROCPRIM_400000_NS6detail17trampoline_kernelINS0_14default_configENS1_29reduce_by_key_config_selectorIhlN6thrust23THRUST_200600_302600_NS4plusIlEEEEZZNS1_33reduce_by_key_impl_wrapped_configILNS1_25lookback_scan_determinismE0ES3_S9_PhNS6_17constant_iteratorIiNS6_11use_defaultESE_EENS6_10device_ptrIhEENSG_IlEEPmS8_NS6_8equal_toIhEEEE10hipError_tPvRmT2_T3_mT4_T5_T6_T7_T8_P12ihipStream_tbENKUlT_T0_E_clISt17integral_constantIbLb1EES13_EEDaSY_SZ_EUlSY_E_NS1_11comp_targetILNS1_3genE9ELNS1_11target_archE1100ELNS1_3gpuE3ELNS1_3repE0EEENS1_30default_config_static_selectorELNS0_4arch9wavefront6targetE1EEEvT1_
                                        ; -- End function
	.set _ZN7rocprim17ROCPRIM_400000_NS6detail17trampoline_kernelINS0_14default_configENS1_29reduce_by_key_config_selectorIhlN6thrust23THRUST_200600_302600_NS4plusIlEEEEZZNS1_33reduce_by_key_impl_wrapped_configILNS1_25lookback_scan_determinismE0ES3_S9_PhNS6_17constant_iteratorIiNS6_11use_defaultESE_EENS6_10device_ptrIhEENSG_IlEEPmS8_NS6_8equal_toIhEEEE10hipError_tPvRmT2_T3_mT4_T5_T6_T7_T8_P12ihipStream_tbENKUlT_T0_E_clISt17integral_constantIbLb1EES13_EEDaSY_SZ_EUlSY_E_NS1_11comp_targetILNS1_3genE9ELNS1_11target_archE1100ELNS1_3gpuE3ELNS1_3repE0EEENS1_30default_config_static_selectorELNS0_4arch9wavefront6targetE1EEEvT1_.num_vgpr, 0
	.set _ZN7rocprim17ROCPRIM_400000_NS6detail17trampoline_kernelINS0_14default_configENS1_29reduce_by_key_config_selectorIhlN6thrust23THRUST_200600_302600_NS4plusIlEEEEZZNS1_33reduce_by_key_impl_wrapped_configILNS1_25lookback_scan_determinismE0ES3_S9_PhNS6_17constant_iteratorIiNS6_11use_defaultESE_EENS6_10device_ptrIhEENSG_IlEEPmS8_NS6_8equal_toIhEEEE10hipError_tPvRmT2_T3_mT4_T5_T6_T7_T8_P12ihipStream_tbENKUlT_T0_E_clISt17integral_constantIbLb1EES13_EEDaSY_SZ_EUlSY_E_NS1_11comp_targetILNS1_3genE9ELNS1_11target_archE1100ELNS1_3gpuE3ELNS1_3repE0EEENS1_30default_config_static_selectorELNS0_4arch9wavefront6targetE1EEEvT1_.num_agpr, 0
	.set _ZN7rocprim17ROCPRIM_400000_NS6detail17trampoline_kernelINS0_14default_configENS1_29reduce_by_key_config_selectorIhlN6thrust23THRUST_200600_302600_NS4plusIlEEEEZZNS1_33reduce_by_key_impl_wrapped_configILNS1_25lookback_scan_determinismE0ES3_S9_PhNS6_17constant_iteratorIiNS6_11use_defaultESE_EENS6_10device_ptrIhEENSG_IlEEPmS8_NS6_8equal_toIhEEEE10hipError_tPvRmT2_T3_mT4_T5_T6_T7_T8_P12ihipStream_tbENKUlT_T0_E_clISt17integral_constantIbLb1EES13_EEDaSY_SZ_EUlSY_E_NS1_11comp_targetILNS1_3genE9ELNS1_11target_archE1100ELNS1_3gpuE3ELNS1_3repE0EEENS1_30default_config_static_selectorELNS0_4arch9wavefront6targetE1EEEvT1_.numbered_sgpr, 0
	.set _ZN7rocprim17ROCPRIM_400000_NS6detail17trampoline_kernelINS0_14default_configENS1_29reduce_by_key_config_selectorIhlN6thrust23THRUST_200600_302600_NS4plusIlEEEEZZNS1_33reduce_by_key_impl_wrapped_configILNS1_25lookback_scan_determinismE0ES3_S9_PhNS6_17constant_iteratorIiNS6_11use_defaultESE_EENS6_10device_ptrIhEENSG_IlEEPmS8_NS6_8equal_toIhEEEE10hipError_tPvRmT2_T3_mT4_T5_T6_T7_T8_P12ihipStream_tbENKUlT_T0_E_clISt17integral_constantIbLb1EES13_EEDaSY_SZ_EUlSY_E_NS1_11comp_targetILNS1_3genE9ELNS1_11target_archE1100ELNS1_3gpuE3ELNS1_3repE0EEENS1_30default_config_static_selectorELNS0_4arch9wavefront6targetE1EEEvT1_.num_named_barrier, 0
	.set _ZN7rocprim17ROCPRIM_400000_NS6detail17trampoline_kernelINS0_14default_configENS1_29reduce_by_key_config_selectorIhlN6thrust23THRUST_200600_302600_NS4plusIlEEEEZZNS1_33reduce_by_key_impl_wrapped_configILNS1_25lookback_scan_determinismE0ES3_S9_PhNS6_17constant_iteratorIiNS6_11use_defaultESE_EENS6_10device_ptrIhEENSG_IlEEPmS8_NS6_8equal_toIhEEEE10hipError_tPvRmT2_T3_mT4_T5_T6_T7_T8_P12ihipStream_tbENKUlT_T0_E_clISt17integral_constantIbLb1EES13_EEDaSY_SZ_EUlSY_E_NS1_11comp_targetILNS1_3genE9ELNS1_11target_archE1100ELNS1_3gpuE3ELNS1_3repE0EEENS1_30default_config_static_selectorELNS0_4arch9wavefront6targetE1EEEvT1_.private_seg_size, 0
	.set _ZN7rocprim17ROCPRIM_400000_NS6detail17trampoline_kernelINS0_14default_configENS1_29reduce_by_key_config_selectorIhlN6thrust23THRUST_200600_302600_NS4plusIlEEEEZZNS1_33reduce_by_key_impl_wrapped_configILNS1_25lookback_scan_determinismE0ES3_S9_PhNS6_17constant_iteratorIiNS6_11use_defaultESE_EENS6_10device_ptrIhEENSG_IlEEPmS8_NS6_8equal_toIhEEEE10hipError_tPvRmT2_T3_mT4_T5_T6_T7_T8_P12ihipStream_tbENKUlT_T0_E_clISt17integral_constantIbLb1EES13_EEDaSY_SZ_EUlSY_E_NS1_11comp_targetILNS1_3genE9ELNS1_11target_archE1100ELNS1_3gpuE3ELNS1_3repE0EEENS1_30default_config_static_selectorELNS0_4arch9wavefront6targetE1EEEvT1_.uses_vcc, 0
	.set _ZN7rocprim17ROCPRIM_400000_NS6detail17trampoline_kernelINS0_14default_configENS1_29reduce_by_key_config_selectorIhlN6thrust23THRUST_200600_302600_NS4plusIlEEEEZZNS1_33reduce_by_key_impl_wrapped_configILNS1_25lookback_scan_determinismE0ES3_S9_PhNS6_17constant_iteratorIiNS6_11use_defaultESE_EENS6_10device_ptrIhEENSG_IlEEPmS8_NS6_8equal_toIhEEEE10hipError_tPvRmT2_T3_mT4_T5_T6_T7_T8_P12ihipStream_tbENKUlT_T0_E_clISt17integral_constantIbLb1EES13_EEDaSY_SZ_EUlSY_E_NS1_11comp_targetILNS1_3genE9ELNS1_11target_archE1100ELNS1_3gpuE3ELNS1_3repE0EEENS1_30default_config_static_selectorELNS0_4arch9wavefront6targetE1EEEvT1_.uses_flat_scratch, 0
	.set _ZN7rocprim17ROCPRIM_400000_NS6detail17trampoline_kernelINS0_14default_configENS1_29reduce_by_key_config_selectorIhlN6thrust23THRUST_200600_302600_NS4plusIlEEEEZZNS1_33reduce_by_key_impl_wrapped_configILNS1_25lookback_scan_determinismE0ES3_S9_PhNS6_17constant_iteratorIiNS6_11use_defaultESE_EENS6_10device_ptrIhEENSG_IlEEPmS8_NS6_8equal_toIhEEEE10hipError_tPvRmT2_T3_mT4_T5_T6_T7_T8_P12ihipStream_tbENKUlT_T0_E_clISt17integral_constantIbLb1EES13_EEDaSY_SZ_EUlSY_E_NS1_11comp_targetILNS1_3genE9ELNS1_11target_archE1100ELNS1_3gpuE3ELNS1_3repE0EEENS1_30default_config_static_selectorELNS0_4arch9wavefront6targetE1EEEvT1_.has_dyn_sized_stack, 0
	.set _ZN7rocprim17ROCPRIM_400000_NS6detail17trampoline_kernelINS0_14default_configENS1_29reduce_by_key_config_selectorIhlN6thrust23THRUST_200600_302600_NS4plusIlEEEEZZNS1_33reduce_by_key_impl_wrapped_configILNS1_25lookback_scan_determinismE0ES3_S9_PhNS6_17constant_iteratorIiNS6_11use_defaultESE_EENS6_10device_ptrIhEENSG_IlEEPmS8_NS6_8equal_toIhEEEE10hipError_tPvRmT2_T3_mT4_T5_T6_T7_T8_P12ihipStream_tbENKUlT_T0_E_clISt17integral_constantIbLb1EES13_EEDaSY_SZ_EUlSY_E_NS1_11comp_targetILNS1_3genE9ELNS1_11target_archE1100ELNS1_3gpuE3ELNS1_3repE0EEENS1_30default_config_static_selectorELNS0_4arch9wavefront6targetE1EEEvT1_.has_recursion, 0
	.set _ZN7rocprim17ROCPRIM_400000_NS6detail17trampoline_kernelINS0_14default_configENS1_29reduce_by_key_config_selectorIhlN6thrust23THRUST_200600_302600_NS4plusIlEEEEZZNS1_33reduce_by_key_impl_wrapped_configILNS1_25lookback_scan_determinismE0ES3_S9_PhNS6_17constant_iteratorIiNS6_11use_defaultESE_EENS6_10device_ptrIhEENSG_IlEEPmS8_NS6_8equal_toIhEEEE10hipError_tPvRmT2_T3_mT4_T5_T6_T7_T8_P12ihipStream_tbENKUlT_T0_E_clISt17integral_constantIbLb1EES13_EEDaSY_SZ_EUlSY_E_NS1_11comp_targetILNS1_3genE9ELNS1_11target_archE1100ELNS1_3gpuE3ELNS1_3repE0EEENS1_30default_config_static_selectorELNS0_4arch9wavefront6targetE1EEEvT1_.has_indirect_call, 0
	.section	.AMDGPU.csdata,"",@progbits
; Kernel info:
; codeLenInByte = 0
; TotalNumSgprs: 4
; NumVgprs: 0
; ScratchSize: 0
; MemoryBound: 0
; FloatMode: 240
; IeeeMode: 1
; LDSByteSize: 0 bytes/workgroup (compile time only)
; SGPRBlocks: 0
; VGPRBlocks: 0
; NumSGPRsForWavesPerEU: 4
; NumVGPRsForWavesPerEU: 1
; Occupancy: 10
; WaveLimiterHint : 0
; COMPUTE_PGM_RSRC2:SCRATCH_EN: 0
; COMPUTE_PGM_RSRC2:USER_SGPR: 6
; COMPUTE_PGM_RSRC2:TRAP_HANDLER: 0
; COMPUTE_PGM_RSRC2:TGID_X_EN: 1
; COMPUTE_PGM_RSRC2:TGID_Y_EN: 0
; COMPUTE_PGM_RSRC2:TGID_Z_EN: 0
; COMPUTE_PGM_RSRC2:TIDIG_COMP_CNT: 0
	.section	.text._ZN7rocprim17ROCPRIM_400000_NS6detail17trampoline_kernelINS0_14default_configENS1_29reduce_by_key_config_selectorIhlN6thrust23THRUST_200600_302600_NS4plusIlEEEEZZNS1_33reduce_by_key_impl_wrapped_configILNS1_25lookback_scan_determinismE0ES3_S9_PhNS6_17constant_iteratorIiNS6_11use_defaultESE_EENS6_10device_ptrIhEENSG_IlEEPmS8_NS6_8equal_toIhEEEE10hipError_tPvRmT2_T3_mT4_T5_T6_T7_T8_P12ihipStream_tbENKUlT_T0_E_clISt17integral_constantIbLb1EES13_EEDaSY_SZ_EUlSY_E_NS1_11comp_targetILNS1_3genE8ELNS1_11target_archE1030ELNS1_3gpuE2ELNS1_3repE0EEENS1_30default_config_static_selectorELNS0_4arch9wavefront6targetE1EEEvT1_,"axG",@progbits,_ZN7rocprim17ROCPRIM_400000_NS6detail17trampoline_kernelINS0_14default_configENS1_29reduce_by_key_config_selectorIhlN6thrust23THRUST_200600_302600_NS4plusIlEEEEZZNS1_33reduce_by_key_impl_wrapped_configILNS1_25lookback_scan_determinismE0ES3_S9_PhNS6_17constant_iteratorIiNS6_11use_defaultESE_EENS6_10device_ptrIhEENSG_IlEEPmS8_NS6_8equal_toIhEEEE10hipError_tPvRmT2_T3_mT4_T5_T6_T7_T8_P12ihipStream_tbENKUlT_T0_E_clISt17integral_constantIbLb1EES13_EEDaSY_SZ_EUlSY_E_NS1_11comp_targetILNS1_3genE8ELNS1_11target_archE1030ELNS1_3gpuE2ELNS1_3repE0EEENS1_30default_config_static_selectorELNS0_4arch9wavefront6targetE1EEEvT1_,comdat
	.protected	_ZN7rocprim17ROCPRIM_400000_NS6detail17trampoline_kernelINS0_14default_configENS1_29reduce_by_key_config_selectorIhlN6thrust23THRUST_200600_302600_NS4plusIlEEEEZZNS1_33reduce_by_key_impl_wrapped_configILNS1_25lookback_scan_determinismE0ES3_S9_PhNS6_17constant_iteratorIiNS6_11use_defaultESE_EENS6_10device_ptrIhEENSG_IlEEPmS8_NS6_8equal_toIhEEEE10hipError_tPvRmT2_T3_mT4_T5_T6_T7_T8_P12ihipStream_tbENKUlT_T0_E_clISt17integral_constantIbLb1EES13_EEDaSY_SZ_EUlSY_E_NS1_11comp_targetILNS1_3genE8ELNS1_11target_archE1030ELNS1_3gpuE2ELNS1_3repE0EEENS1_30default_config_static_selectorELNS0_4arch9wavefront6targetE1EEEvT1_ ; -- Begin function _ZN7rocprim17ROCPRIM_400000_NS6detail17trampoline_kernelINS0_14default_configENS1_29reduce_by_key_config_selectorIhlN6thrust23THRUST_200600_302600_NS4plusIlEEEEZZNS1_33reduce_by_key_impl_wrapped_configILNS1_25lookback_scan_determinismE0ES3_S9_PhNS6_17constant_iteratorIiNS6_11use_defaultESE_EENS6_10device_ptrIhEENSG_IlEEPmS8_NS6_8equal_toIhEEEE10hipError_tPvRmT2_T3_mT4_T5_T6_T7_T8_P12ihipStream_tbENKUlT_T0_E_clISt17integral_constantIbLb1EES13_EEDaSY_SZ_EUlSY_E_NS1_11comp_targetILNS1_3genE8ELNS1_11target_archE1030ELNS1_3gpuE2ELNS1_3repE0EEENS1_30default_config_static_selectorELNS0_4arch9wavefront6targetE1EEEvT1_
	.globl	_ZN7rocprim17ROCPRIM_400000_NS6detail17trampoline_kernelINS0_14default_configENS1_29reduce_by_key_config_selectorIhlN6thrust23THRUST_200600_302600_NS4plusIlEEEEZZNS1_33reduce_by_key_impl_wrapped_configILNS1_25lookback_scan_determinismE0ES3_S9_PhNS6_17constant_iteratorIiNS6_11use_defaultESE_EENS6_10device_ptrIhEENSG_IlEEPmS8_NS6_8equal_toIhEEEE10hipError_tPvRmT2_T3_mT4_T5_T6_T7_T8_P12ihipStream_tbENKUlT_T0_E_clISt17integral_constantIbLb1EES13_EEDaSY_SZ_EUlSY_E_NS1_11comp_targetILNS1_3genE8ELNS1_11target_archE1030ELNS1_3gpuE2ELNS1_3repE0EEENS1_30default_config_static_selectorELNS0_4arch9wavefront6targetE1EEEvT1_
	.p2align	8
	.type	_ZN7rocprim17ROCPRIM_400000_NS6detail17trampoline_kernelINS0_14default_configENS1_29reduce_by_key_config_selectorIhlN6thrust23THRUST_200600_302600_NS4plusIlEEEEZZNS1_33reduce_by_key_impl_wrapped_configILNS1_25lookback_scan_determinismE0ES3_S9_PhNS6_17constant_iteratorIiNS6_11use_defaultESE_EENS6_10device_ptrIhEENSG_IlEEPmS8_NS6_8equal_toIhEEEE10hipError_tPvRmT2_T3_mT4_T5_T6_T7_T8_P12ihipStream_tbENKUlT_T0_E_clISt17integral_constantIbLb1EES13_EEDaSY_SZ_EUlSY_E_NS1_11comp_targetILNS1_3genE8ELNS1_11target_archE1030ELNS1_3gpuE2ELNS1_3repE0EEENS1_30default_config_static_selectorELNS0_4arch9wavefront6targetE1EEEvT1_,@function
_ZN7rocprim17ROCPRIM_400000_NS6detail17trampoline_kernelINS0_14default_configENS1_29reduce_by_key_config_selectorIhlN6thrust23THRUST_200600_302600_NS4plusIlEEEEZZNS1_33reduce_by_key_impl_wrapped_configILNS1_25lookback_scan_determinismE0ES3_S9_PhNS6_17constant_iteratorIiNS6_11use_defaultESE_EENS6_10device_ptrIhEENSG_IlEEPmS8_NS6_8equal_toIhEEEE10hipError_tPvRmT2_T3_mT4_T5_T6_T7_T8_P12ihipStream_tbENKUlT_T0_E_clISt17integral_constantIbLb1EES13_EEDaSY_SZ_EUlSY_E_NS1_11comp_targetILNS1_3genE8ELNS1_11target_archE1030ELNS1_3gpuE2ELNS1_3repE0EEENS1_30default_config_static_selectorELNS0_4arch9wavefront6targetE1EEEvT1_: ; @_ZN7rocprim17ROCPRIM_400000_NS6detail17trampoline_kernelINS0_14default_configENS1_29reduce_by_key_config_selectorIhlN6thrust23THRUST_200600_302600_NS4plusIlEEEEZZNS1_33reduce_by_key_impl_wrapped_configILNS1_25lookback_scan_determinismE0ES3_S9_PhNS6_17constant_iteratorIiNS6_11use_defaultESE_EENS6_10device_ptrIhEENSG_IlEEPmS8_NS6_8equal_toIhEEEE10hipError_tPvRmT2_T3_mT4_T5_T6_T7_T8_P12ihipStream_tbENKUlT_T0_E_clISt17integral_constantIbLb1EES13_EEDaSY_SZ_EUlSY_E_NS1_11comp_targetILNS1_3genE8ELNS1_11target_archE1030ELNS1_3gpuE2ELNS1_3repE0EEENS1_30default_config_static_selectorELNS0_4arch9wavefront6targetE1EEEvT1_
; %bb.0:
	.section	.rodata,"a",@progbits
	.p2align	6, 0x0
	.amdhsa_kernel _ZN7rocprim17ROCPRIM_400000_NS6detail17trampoline_kernelINS0_14default_configENS1_29reduce_by_key_config_selectorIhlN6thrust23THRUST_200600_302600_NS4plusIlEEEEZZNS1_33reduce_by_key_impl_wrapped_configILNS1_25lookback_scan_determinismE0ES3_S9_PhNS6_17constant_iteratorIiNS6_11use_defaultESE_EENS6_10device_ptrIhEENSG_IlEEPmS8_NS6_8equal_toIhEEEE10hipError_tPvRmT2_T3_mT4_T5_T6_T7_T8_P12ihipStream_tbENKUlT_T0_E_clISt17integral_constantIbLb1EES13_EEDaSY_SZ_EUlSY_E_NS1_11comp_targetILNS1_3genE8ELNS1_11target_archE1030ELNS1_3gpuE2ELNS1_3repE0EEENS1_30default_config_static_selectorELNS0_4arch9wavefront6targetE1EEEvT1_
		.amdhsa_group_segment_fixed_size 0
		.amdhsa_private_segment_fixed_size 0
		.amdhsa_kernarg_size 144
		.amdhsa_user_sgpr_count 6
		.amdhsa_user_sgpr_private_segment_buffer 1
		.amdhsa_user_sgpr_dispatch_ptr 0
		.amdhsa_user_sgpr_queue_ptr 0
		.amdhsa_user_sgpr_kernarg_segment_ptr 1
		.amdhsa_user_sgpr_dispatch_id 0
		.amdhsa_user_sgpr_flat_scratch_init 0
		.amdhsa_user_sgpr_private_segment_size 0
		.amdhsa_uses_dynamic_stack 0
		.amdhsa_system_sgpr_private_segment_wavefront_offset 0
		.amdhsa_system_sgpr_workgroup_id_x 1
		.amdhsa_system_sgpr_workgroup_id_y 0
		.amdhsa_system_sgpr_workgroup_id_z 0
		.amdhsa_system_sgpr_workgroup_info 0
		.amdhsa_system_vgpr_workitem_id 0
		.amdhsa_next_free_vgpr 1
		.amdhsa_next_free_sgpr 0
		.amdhsa_reserve_vcc 0
		.amdhsa_reserve_flat_scratch 0
		.amdhsa_float_round_mode_32 0
		.amdhsa_float_round_mode_16_64 0
		.amdhsa_float_denorm_mode_32 3
		.amdhsa_float_denorm_mode_16_64 3
		.amdhsa_dx10_clamp 1
		.amdhsa_ieee_mode 1
		.amdhsa_fp16_overflow 0
		.amdhsa_exception_fp_ieee_invalid_op 0
		.amdhsa_exception_fp_denorm_src 0
		.amdhsa_exception_fp_ieee_div_zero 0
		.amdhsa_exception_fp_ieee_overflow 0
		.amdhsa_exception_fp_ieee_underflow 0
		.amdhsa_exception_fp_ieee_inexact 0
		.amdhsa_exception_int_div_zero 0
	.end_amdhsa_kernel
	.section	.text._ZN7rocprim17ROCPRIM_400000_NS6detail17trampoline_kernelINS0_14default_configENS1_29reduce_by_key_config_selectorIhlN6thrust23THRUST_200600_302600_NS4plusIlEEEEZZNS1_33reduce_by_key_impl_wrapped_configILNS1_25lookback_scan_determinismE0ES3_S9_PhNS6_17constant_iteratorIiNS6_11use_defaultESE_EENS6_10device_ptrIhEENSG_IlEEPmS8_NS6_8equal_toIhEEEE10hipError_tPvRmT2_T3_mT4_T5_T6_T7_T8_P12ihipStream_tbENKUlT_T0_E_clISt17integral_constantIbLb1EES13_EEDaSY_SZ_EUlSY_E_NS1_11comp_targetILNS1_3genE8ELNS1_11target_archE1030ELNS1_3gpuE2ELNS1_3repE0EEENS1_30default_config_static_selectorELNS0_4arch9wavefront6targetE1EEEvT1_,"axG",@progbits,_ZN7rocprim17ROCPRIM_400000_NS6detail17trampoline_kernelINS0_14default_configENS1_29reduce_by_key_config_selectorIhlN6thrust23THRUST_200600_302600_NS4plusIlEEEEZZNS1_33reduce_by_key_impl_wrapped_configILNS1_25lookback_scan_determinismE0ES3_S9_PhNS6_17constant_iteratorIiNS6_11use_defaultESE_EENS6_10device_ptrIhEENSG_IlEEPmS8_NS6_8equal_toIhEEEE10hipError_tPvRmT2_T3_mT4_T5_T6_T7_T8_P12ihipStream_tbENKUlT_T0_E_clISt17integral_constantIbLb1EES13_EEDaSY_SZ_EUlSY_E_NS1_11comp_targetILNS1_3genE8ELNS1_11target_archE1030ELNS1_3gpuE2ELNS1_3repE0EEENS1_30default_config_static_selectorELNS0_4arch9wavefront6targetE1EEEvT1_,comdat
.Lfunc_end382:
	.size	_ZN7rocprim17ROCPRIM_400000_NS6detail17trampoline_kernelINS0_14default_configENS1_29reduce_by_key_config_selectorIhlN6thrust23THRUST_200600_302600_NS4plusIlEEEEZZNS1_33reduce_by_key_impl_wrapped_configILNS1_25lookback_scan_determinismE0ES3_S9_PhNS6_17constant_iteratorIiNS6_11use_defaultESE_EENS6_10device_ptrIhEENSG_IlEEPmS8_NS6_8equal_toIhEEEE10hipError_tPvRmT2_T3_mT4_T5_T6_T7_T8_P12ihipStream_tbENKUlT_T0_E_clISt17integral_constantIbLb1EES13_EEDaSY_SZ_EUlSY_E_NS1_11comp_targetILNS1_3genE8ELNS1_11target_archE1030ELNS1_3gpuE2ELNS1_3repE0EEENS1_30default_config_static_selectorELNS0_4arch9wavefront6targetE1EEEvT1_, .Lfunc_end382-_ZN7rocprim17ROCPRIM_400000_NS6detail17trampoline_kernelINS0_14default_configENS1_29reduce_by_key_config_selectorIhlN6thrust23THRUST_200600_302600_NS4plusIlEEEEZZNS1_33reduce_by_key_impl_wrapped_configILNS1_25lookback_scan_determinismE0ES3_S9_PhNS6_17constant_iteratorIiNS6_11use_defaultESE_EENS6_10device_ptrIhEENSG_IlEEPmS8_NS6_8equal_toIhEEEE10hipError_tPvRmT2_T3_mT4_T5_T6_T7_T8_P12ihipStream_tbENKUlT_T0_E_clISt17integral_constantIbLb1EES13_EEDaSY_SZ_EUlSY_E_NS1_11comp_targetILNS1_3genE8ELNS1_11target_archE1030ELNS1_3gpuE2ELNS1_3repE0EEENS1_30default_config_static_selectorELNS0_4arch9wavefront6targetE1EEEvT1_
                                        ; -- End function
	.set _ZN7rocprim17ROCPRIM_400000_NS6detail17trampoline_kernelINS0_14default_configENS1_29reduce_by_key_config_selectorIhlN6thrust23THRUST_200600_302600_NS4plusIlEEEEZZNS1_33reduce_by_key_impl_wrapped_configILNS1_25lookback_scan_determinismE0ES3_S9_PhNS6_17constant_iteratorIiNS6_11use_defaultESE_EENS6_10device_ptrIhEENSG_IlEEPmS8_NS6_8equal_toIhEEEE10hipError_tPvRmT2_T3_mT4_T5_T6_T7_T8_P12ihipStream_tbENKUlT_T0_E_clISt17integral_constantIbLb1EES13_EEDaSY_SZ_EUlSY_E_NS1_11comp_targetILNS1_3genE8ELNS1_11target_archE1030ELNS1_3gpuE2ELNS1_3repE0EEENS1_30default_config_static_selectorELNS0_4arch9wavefront6targetE1EEEvT1_.num_vgpr, 0
	.set _ZN7rocprim17ROCPRIM_400000_NS6detail17trampoline_kernelINS0_14default_configENS1_29reduce_by_key_config_selectorIhlN6thrust23THRUST_200600_302600_NS4plusIlEEEEZZNS1_33reduce_by_key_impl_wrapped_configILNS1_25lookback_scan_determinismE0ES3_S9_PhNS6_17constant_iteratorIiNS6_11use_defaultESE_EENS6_10device_ptrIhEENSG_IlEEPmS8_NS6_8equal_toIhEEEE10hipError_tPvRmT2_T3_mT4_T5_T6_T7_T8_P12ihipStream_tbENKUlT_T0_E_clISt17integral_constantIbLb1EES13_EEDaSY_SZ_EUlSY_E_NS1_11comp_targetILNS1_3genE8ELNS1_11target_archE1030ELNS1_3gpuE2ELNS1_3repE0EEENS1_30default_config_static_selectorELNS0_4arch9wavefront6targetE1EEEvT1_.num_agpr, 0
	.set _ZN7rocprim17ROCPRIM_400000_NS6detail17trampoline_kernelINS0_14default_configENS1_29reduce_by_key_config_selectorIhlN6thrust23THRUST_200600_302600_NS4plusIlEEEEZZNS1_33reduce_by_key_impl_wrapped_configILNS1_25lookback_scan_determinismE0ES3_S9_PhNS6_17constant_iteratorIiNS6_11use_defaultESE_EENS6_10device_ptrIhEENSG_IlEEPmS8_NS6_8equal_toIhEEEE10hipError_tPvRmT2_T3_mT4_T5_T6_T7_T8_P12ihipStream_tbENKUlT_T0_E_clISt17integral_constantIbLb1EES13_EEDaSY_SZ_EUlSY_E_NS1_11comp_targetILNS1_3genE8ELNS1_11target_archE1030ELNS1_3gpuE2ELNS1_3repE0EEENS1_30default_config_static_selectorELNS0_4arch9wavefront6targetE1EEEvT1_.numbered_sgpr, 0
	.set _ZN7rocprim17ROCPRIM_400000_NS6detail17trampoline_kernelINS0_14default_configENS1_29reduce_by_key_config_selectorIhlN6thrust23THRUST_200600_302600_NS4plusIlEEEEZZNS1_33reduce_by_key_impl_wrapped_configILNS1_25lookback_scan_determinismE0ES3_S9_PhNS6_17constant_iteratorIiNS6_11use_defaultESE_EENS6_10device_ptrIhEENSG_IlEEPmS8_NS6_8equal_toIhEEEE10hipError_tPvRmT2_T3_mT4_T5_T6_T7_T8_P12ihipStream_tbENKUlT_T0_E_clISt17integral_constantIbLb1EES13_EEDaSY_SZ_EUlSY_E_NS1_11comp_targetILNS1_3genE8ELNS1_11target_archE1030ELNS1_3gpuE2ELNS1_3repE0EEENS1_30default_config_static_selectorELNS0_4arch9wavefront6targetE1EEEvT1_.num_named_barrier, 0
	.set _ZN7rocprim17ROCPRIM_400000_NS6detail17trampoline_kernelINS0_14default_configENS1_29reduce_by_key_config_selectorIhlN6thrust23THRUST_200600_302600_NS4plusIlEEEEZZNS1_33reduce_by_key_impl_wrapped_configILNS1_25lookback_scan_determinismE0ES3_S9_PhNS6_17constant_iteratorIiNS6_11use_defaultESE_EENS6_10device_ptrIhEENSG_IlEEPmS8_NS6_8equal_toIhEEEE10hipError_tPvRmT2_T3_mT4_T5_T6_T7_T8_P12ihipStream_tbENKUlT_T0_E_clISt17integral_constantIbLb1EES13_EEDaSY_SZ_EUlSY_E_NS1_11comp_targetILNS1_3genE8ELNS1_11target_archE1030ELNS1_3gpuE2ELNS1_3repE0EEENS1_30default_config_static_selectorELNS0_4arch9wavefront6targetE1EEEvT1_.private_seg_size, 0
	.set _ZN7rocprim17ROCPRIM_400000_NS6detail17trampoline_kernelINS0_14default_configENS1_29reduce_by_key_config_selectorIhlN6thrust23THRUST_200600_302600_NS4plusIlEEEEZZNS1_33reduce_by_key_impl_wrapped_configILNS1_25lookback_scan_determinismE0ES3_S9_PhNS6_17constant_iteratorIiNS6_11use_defaultESE_EENS6_10device_ptrIhEENSG_IlEEPmS8_NS6_8equal_toIhEEEE10hipError_tPvRmT2_T3_mT4_T5_T6_T7_T8_P12ihipStream_tbENKUlT_T0_E_clISt17integral_constantIbLb1EES13_EEDaSY_SZ_EUlSY_E_NS1_11comp_targetILNS1_3genE8ELNS1_11target_archE1030ELNS1_3gpuE2ELNS1_3repE0EEENS1_30default_config_static_selectorELNS0_4arch9wavefront6targetE1EEEvT1_.uses_vcc, 0
	.set _ZN7rocprim17ROCPRIM_400000_NS6detail17trampoline_kernelINS0_14default_configENS1_29reduce_by_key_config_selectorIhlN6thrust23THRUST_200600_302600_NS4plusIlEEEEZZNS1_33reduce_by_key_impl_wrapped_configILNS1_25lookback_scan_determinismE0ES3_S9_PhNS6_17constant_iteratorIiNS6_11use_defaultESE_EENS6_10device_ptrIhEENSG_IlEEPmS8_NS6_8equal_toIhEEEE10hipError_tPvRmT2_T3_mT4_T5_T6_T7_T8_P12ihipStream_tbENKUlT_T0_E_clISt17integral_constantIbLb1EES13_EEDaSY_SZ_EUlSY_E_NS1_11comp_targetILNS1_3genE8ELNS1_11target_archE1030ELNS1_3gpuE2ELNS1_3repE0EEENS1_30default_config_static_selectorELNS0_4arch9wavefront6targetE1EEEvT1_.uses_flat_scratch, 0
	.set _ZN7rocprim17ROCPRIM_400000_NS6detail17trampoline_kernelINS0_14default_configENS1_29reduce_by_key_config_selectorIhlN6thrust23THRUST_200600_302600_NS4plusIlEEEEZZNS1_33reduce_by_key_impl_wrapped_configILNS1_25lookback_scan_determinismE0ES3_S9_PhNS6_17constant_iteratorIiNS6_11use_defaultESE_EENS6_10device_ptrIhEENSG_IlEEPmS8_NS6_8equal_toIhEEEE10hipError_tPvRmT2_T3_mT4_T5_T6_T7_T8_P12ihipStream_tbENKUlT_T0_E_clISt17integral_constantIbLb1EES13_EEDaSY_SZ_EUlSY_E_NS1_11comp_targetILNS1_3genE8ELNS1_11target_archE1030ELNS1_3gpuE2ELNS1_3repE0EEENS1_30default_config_static_selectorELNS0_4arch9wavefront6targetE1EEEvT1_.has_dyn_sized_stack, 0
	.set _ZN7rocprim17ROCPRIM_400000_NS6detail17trampoline_kernelINS0_14default_configENS1_29reduce_by_key_config_selectorIhlN6thrust23THRUST_200600_302600_NS4plusIlEEEEZZNS1_33reduce_by_key_impl_wrapped_configILNS1_25lookback_scan_determinismE0ES3_S9_PhNS6_17constant_iteratorIiNS6_11use_defaultESE_EENS6_10device_ptrIhEENSG_IlEEPmS8_NS6_8equal_toIhEEEE10hipError_tPvRmT2_T3_mT4_T5_T6_T7_T8_P12ihipStream_tbENKUlT_T0_E_clISt17integral_constantIbLb1EES13_EEDaSY_SZ_EUlSY_E_NS1_11comp_targetILNS1_3genE8ELNS1_11target_archE1030ELNS1_3gpuE2ELNS1_3repE0EEENS1_30default_config_static_selectorELNS0_4arch9wavefront6targetE1EEEvT1_.has_recursion, 0
	.set _ZN7rocprim17ROCPRIM_400000_NS6detail17trampoline_kernelINS0_14default_configENS1_29reduce_by_key_config_selectorIhlN6thrust23THRUST_200600_302600_NS4plusIlEEEEZZNS1_33reduce_by_key_impl_wrapped_configILNS1_25lookback_scan_determinismE0ES3_S9_PhNS6_17constant_iteratorIiNS6_11use_defaultESE_EENS6_10device_ptrIhEENSG_IlEEPmS8_NS6_8equal_toIhEEEE10hipError_tPvRmT2_T3_mT4_T5_T6_T7_T8_P12ihipStream_tbENKUlT_T0_E_clISt17integral_constantIbLb1EES13_EEDaSY_SZ_EUlSY_E_NS1_11comp_targetILNS1_3genE8ELNS1_11target_archE1030ELNS1_3gpuE2ELNS1_3repE0EEENS1_30default_config_static_selectorELNS0_4arch9wavefront6targetE1EEEvT1_.has_indirect_call, 0
	.section	.AMDGPU.csdata,"",@progbits
; Kernel info:
; codeLenInByte = 0
; TotalNumSgprs: 4
; NumVgprs: 0
; ScratchSize: 0
; MemoryBound: 0
; FloatMode: 240
; IeeeMode: 1
; LDSByteSize: 0 bytes/workgroup (compile time only)
; SGPRBlocks: 0
; VGPRBlocks: 0
; NumSGPRsForWavesPerEU: 4
; NumVGPRsForWavesPerEU: 1
; Occupancy: 10
; WaveLimiterHint : 0
; COMPUTE_PGM_RSRC2:SCRATCH_EN: 0
; COMPUTE_PGM_RSRC2:USER_SGPR: 6
; COMPUTE_PGM_RSRC2:TRAP_HANDLER: 0
; COMPUTE_PGM_RSRC2:TGID_X_EN: 1
; COMPUTE_PGM_RSRC2:TGID_Y_EN: 0
; COMPUTE_PGM_RSRC2:TGID_Z_EN: 0
; COMPUTE_PGM_RSRC2:TIDIG_COMP_CNT: 0
	.section	.text._ZN7rocprim17ROCPRIM_400000_NS6detail25reduce_by_key_init_kernelINS1_19lookback_scan_stateINS0_5tupleIJjlEEELb1ELb0EEElNS1_16block_id_wrapperIjLb0EEEEEvT_jbjPmPT0_T1_,"axG",@progbits,_ZN7rocprim17ROCPRIM_400000_NS6detail25reduce_by_key_init_kernelINS1_19lookback_scan_stateINS0_5tupleIJjlEEELb1ELb0EEElNS1_16block_id_wrapperIjLb0EEEEEvT_jbjPmPT0_T1_,comdat
	.protected	_ZN7rocprim17ROCPRIM_400000_NS6detail25reduce_by_key_init_kernelINS1_19lookback_scan_stateINS0_5tupleIJjlEEELb1ELb0EEElNS1_16block_id_wrapperIjLb0EEEEEvT_jbjPmPT0_T1_ ; -- Begin function _ZN7rocprim17ROCPRIM_400000_NS6detail25reduce_by_key_init_kernelINS1_19lookback_scan_stateINS0_5tupleIJjlEEELb1ELb0EEElNS1_16block_id_wrapperIjLb0EEEEEvT_jbjPmPT0_T1_
	.globl	_ZN7rocprim17ROCPRIM_400000_NS6detail25reduce_by_key_init_kernelINS1_19lookback_scan_stateINS0_5tupleIJjlEEELb1ELb0EEElNS1_16block_id_wrapperIjLb0EEEEEvT_jbjPmPT0_T1_
	.p2align	8
	.type	_ZN7rocprim17ROCPRIM_400000_NS6detail25reduce_by_key_init_kernelINS1_19lookback_scan_stateINS0_5tupleIJjlEEELb1ELb0EEElNS1_16block_id_wrapperIjLb0EEEEEvT_jbjPmPT0_T1_,@function
_ZN7rocprim17ROCPRIM_400000_NS6detail25reduce_by_key_init_kernelINS1_19lookback_scan_stateINS0_5tupleIJjlEEELb1ELb0EEElNS1_16block_id_wrapperIjLb0EEEEEvT_jbjPmPT0_T1_: ; @_ZN7rocprim17ROCPRIM_400000_NS6detail25reduce_by_key_init_kernelINS1_19lookback_scan_stateINS0_5tupleIJjlEEELb1ELb0EEElNS1_16block_id_wrapperIjLb0EEEEEvT_jbjPmPT0_T1_
; %bb.0:
	s_load_dwordx8 s[8:15], s[4:5], 0x18
	s_load_dword s0, s[4:5], 0x4c
	s_load_dwordx2 s[16:17], s[4:5], 0x10
	s_waitcnt lgkmcnt(0)
	s_and_b32 s1, s9, 1
	s_and_b32 s0, s0, 0xffff
	s_mul_i32 s6, s6, s0
	s_cmp_eq_u32 s1, 0
	v_add_u32_e32 v0, s6, v0
	s_mov_b64 s[0:1], -1
	s_cbranch_scc1 .LBB383_5
; %bb.1:
	s_andn2_b64 vcc, exec, s[0:1]
	s_cbranch_vccz .LBB383_13
.LBB383_2:
	v_cmp_gt_u32_e32 vcc, s8, v0
	s_and_saveexec_b64 s[0:1], vcc
	s_cbranch_execnz .LBB383_16
.LBB383_3:
	s_or_b64 exec, exec, s[0:1]
	v_cmp_gt_u32_e32 vcc, 64, v0
	s_and_saveexec_b64 s[0:1], vcc
	s_cbranch_execnz .LBB383_17
.LBB383_4:
	s_endpgm
.LBB383_5:
	s_cmp_lt_u32 s10, s8
	s_cselect_b32 s0, s10, 0
	v_cmp_eq_u32_e32 vcc, s0, v0
	s_and_saveexec_b64 s[6:7], vcc
	s_cbranch_execz .LBB383_12
; %bb.6:
	s_add_i32 s10, s10, 64
	v_mov_b32_e32 v1, s10
	global_load_ubyte v2, v1, s[16:17] glc
	s_load_dwordx4 s[0:3], s[4:5], 0x0
	v_mov_b32_e32 v1, 0
	s_add_u32 s4, s16, s10
	s_mov_b32 s11, 0
	s_addc_u32 s5, s17, 0
	s_waitcnt vmcnt(0)
	v_cmp_ne_u32_sdwa s[18:19], v2, v1 src0_sel:WORD_0 src1_sel:DWORD
	s_and_b64 vcc, exec, s[18:19]
	v_readfirstlane_b32 s18, v2
	s_cbranch_vccnz .LBB383_11
; %bb.7:
	s_mov_b32 s9, 1
.LBB383_8:                              ; =>This Loop Header: Depth=1
                                        ;     Child Loop BB383_9 Depth 2
	s_mov_b32 s18, s9
.LBB383_9:                              ;   Parent Loop BB383_8 Depth=1
                                        ; =>  This Inner Loop Header: Depth=2
	s_add_i32 s18, s18, -1
	s_cmp_eq_u32 s18, 0
	s_sleep 1
	s_cbranch_scc0 .LBB383_9
; %bb.10:                               ;   in Loop: Header=BB383_8 Depth=1
	global_load_ubyte v2, v1, s[4:5] glc
	s_cmp_lt_u32 s9, 32
	s_cselect_b64 s[18:19], -1, 0
	s_cmp_lg_u64 s[18:19], 0
	s_addc_u32 s9, s9, 0
	s_waitcnt vmcnt(0)
	v_cmp_ne_u32_sdwa s[18:19], v2, v1 src0_sel:WORD_0 src1_sel:DWORD
	s_and_b64 vcc, exec, s[18:19]
	v_readfirstlane_b32 s18, v2
	s_cbranch_vccz .LBB383_8
.LBB383_11:
	s_and_b32 s4, 0xffff, s18
	s_cmp_eq_u32 s4, 1
	s_waitcnt lgkmcnt(0)
	s_cselect_b32 s3, s1, s3
	s_cselect_b32 s2, s0, s2
	s_lshl_b64 s[0:1], s[10:11], 4
	s_add_u32 s0, s2, s0
	v_mov_b32_e32 v5, 0
	s_addc_u32 s1, s3, s1
	buffer_wbinvl1_vol
	global_load_dword v6, v5, s[0:1]
	global_load_dwordx2 v[1:2], v5, s[12:13]
	global_load_dwordx2 v[3:4], v5, s[0:1] offset:8
	s_waitcnt vmcnt(1)
	v_add_co_u32_e32 v1, vcc, v1, v6
	v_addc_co_u32_e32 v2, vcc, 0, v2, vcc
	global_store_dwordx2 v5, v[1:2], s[12:13]
	s_waitcnt vmcnt(1)
	global_store_dwordx2 v5, v[3:4], s[14:15]
.LBB383_12:
	s_or_b64 exec, exec, s[6:7]
	s_cbranch_execnz .LBB383_2
.LBB383_13:
	s_cmp_lg_u64 s[12:13], 0
	s_cselect_b64 s[0:1], -1, 0
	v_cmp_eq_u32_e32 vcc, 0, v0
	s_and_b64 s[2:3], s[0:1], vcc
	s_and_saveexec_b64 s[0:1], s[2:3]
	s_cbranch_execz .LBB383_15
; %bb.14:
	v_mov_b32_e32 v1, 0
	v_mov_b32_e32 v2, v1
	global_store_dwordx2 v1, v[1:2], s[12:13]
.LBB383_15:
	s_or_b64 exec, exec, s[0:1]
	v_cmp_gt_u32_e32 vcc, s8, v0
	s_and_saveexec_b64 s[0:1], vcc
	s_cbranch_execz .LBB383_3
.LBB383_16:
	v_add_u32_e32 v1, 64, v0
	v_mov_b32_e32 v2, 0
	global_store_byte v1, v2, s[16:17]
	s_or_b64 exec, exec, s[0:1]
	v_cmp_gt_u32_e32 vcc, 64, v0
	s_and_saveexec_b64 s[0:1], vcc
	s_cbranch_execz .LBB383_4
.LBB383_17:
	v_mov_b32_e32 v1, 0xff
	global_store_byte v0, v1, s[16:17]
	s_endpgm
	.section	.rodata,"a",@progbits
	.p2align	6, 0x0
	.amdhsa_kernel _ZN7rocprim17ROCPRIM_400000_NS6detail25reduce_by_key_init_kernelINS1_19lookback_scan_stateINS0_5tupleIJjlEEELb1ELb0EEElNS1_16block_id_wrapperIjLb0EEEEEvT_jbjPmPT0_T1_
		.amdhsa_group_segment_fixed_size 0
		.amdhsa_private_segment_fixed_size 0
		.amdhsa_kernarg_size 320
		.amdhsa_user_sgpr_count 6
		.amdhsa_user_sgpr_private_segment_buffer 1
		.amdhsa_user_sgpr_dispatch_ptr 0
		.amdhsa_user_sgpr_queue_ptr 0
		.amdhsa_user_sgpr_kernarg_segment_ptr 1
		.amdhsa_user_sgpr_dispatch_id 0
		.amdhsa_user_sgpr_flat_scratch_init 0
		.amdhsa_user_sgpr_private_segment_size 0
		.amdhsa_uses_dynamic_stack 0
		.amdhsa_system_sgpr_private_segment_wavefront_offset 0
		.amdhsa_system_sgpr_workgroup_id_x 1
		.amdhsa_system_sgpr_workgroup_id_y 0
		.amdhsa_system_sgpr_workgroup_id_z 0
		.amdhsa_system_sgpr_workgroup_info 0
		.amdhsa_system_vgpr_workitem_id 0
		.amdhsa_next_free_vgpr 7
		.amdhsa_next_free_sgpr 20
		.amdhsa_reserve_vcc 1
		.amdhsa_reserve_flat_scratch 0
		.amdhsa_float_round_mode_32 0
		.amdhsa_float_round_mode_16_64 0
		.amdhsa_float_denorm_mode_32 3
		.amdhsa_float_denorm_mode_16_64 3
		.amdhsa_dx10_clamp 1
		.amdhsa_ieee_mode 1
		.amdhsa_fp16_overflow 0
		.amdhsa_exception_fp_ieee_invalid_op 0
		.amdhsa_exception_fp_denorm_src 0
		.amdhsa_exception_fp_ieee_div_zero 0
		.amdhsa_exception_fp_ieee_overflow 0
		.amdhsa_exception_fp_ieee_underflow 0
		.amdhsa_exception_fp_ieee_inexact 0
		.amdhsa_exception_int_div_zero 0
	.end_amdhsa_kernel
	.section	.text._ZN7rocprim17ROCPRIM_400000_NS6detail25reduce_by_key_init_kernelINS1_19lookback_scan_stateINS0_5tupleIJjlEEELb1ELb0EEElNS1_16block_id_wrapperIjLb0EEEEEvT_jbjPmPT0_T1_,"axG",@progbits,_ZN7rocprim17ROCPRIM_400000_NS6detail25reduce_by_key_init_kernelINS1_19lookback_scan_stateINS0_5tupleIJjlEEELb1ELb0EEElNS1_16block_id_wrapperIjLb0EEEEEvT_jbjPmPT0_T1_,comdat
.Lfunc_end383:
	.size	_ZN7rocprim17ROCPRIM_400000_NS6detail25reduce_by_key_init_kernelINS1_19lookback_scan_stateINS0_5tupleIJjlEEELb1ELb0EEElNS1_16block_id_wrapperIjLb0EEEEEvT_jbjPmPT0_T1_, .Lfunc_end383-_ZN7rocprim17ROCPRIM_400000_NS6detail25reduce_by_key_init_kernelINS1_19lookback_scan_stateINS0_5tupleIJjlEEELb1ELb0EEElNS1_16block_id_wrapperIjLb0EEEEEvT_jbjPmPT0_T1_
                                        ; -- End function
	.set _ZN7rocprim17ROCPRIM_400000_NS6detail25reduce_by_key_init_kernelINS1_19lookback_scan_stateINS0_5tupleIJjlEEELb1ELb0EEElNS1_16block_id_wrapperIjLb0EEEEEvT_jbjPmPT0_T1_.num_vgpr, 7
	.set _ZN7rocprim17ROCPRIM_400000_NS6detail25reduce_by_key_init_kernelINS1_19lookback_scan_stateINS0_5tupleIJjlEEELb1ELb0EEElNS1_16block_id_wrapperIjLb0EEEEEvT_jbjPmPT0_T1_.num_agpr, 0
	.set _ZN7rocprim17ROCPRIM_400000_NS6detail25reduce_by_key_init_kernelINS1_19lookback_scan_stateINS0_5tupleIJjlEEELb1ELb0EEElNS1_16block_id_wrapperIjLb0EEEEEvT_jbjPmPT0_T1_.numbered_sgpr, 20
	.set _ZN7rocprim17ROCPRIM_400000_NS6detail25reduce_by_key_init_kernelINS1_19lookback_scan_stateINS0_5tupleIJjlEEELb1ELb0EEElNS1_16block_id_wrapperIjLb0EEEEEvT_jbjPmPT0_T1_.num_named_barrier, 0
	.set _ZN7rocprim17ROCPRIM_400000_NS6detail25reduce_by_key_init_kernelINS1_19lookback_scan_stateINS0_5tupleIJjlEEELb1ELb0EEElNS1_16block_id_wrapperIjLb0EEEEEvT_jbjPmPT0_T1_.private_seg_size, 0
	.set _ZN7rocprim17ROCPRIM_400000_NS6detail25reduce_by_key_init_kernelINS1_19lookback_scan_stateINS0_5tupleIJjlEEELb1ELb0EEElNS1_16block_id_wrapperIjLb0EEEEEvT_jbjPmPT0_T1_.uses_vcc, 1
	.set _ZN7rocprim17ROCPRIM_400000_NS6detail25reduce_by_key_init_kernelINS1_19lookback_scan_stateINS0_5tupleIJjlEEELb1ELb0EEElNS1_16block_id_wrapperIjLb0EEEEEvT_jbjPmPT0_T1_.uses_flat_scratch, 0
	.set _ZN7rocprim17ROCPRIM_400000_NS6detail25reduce_by_key_init_kernelINS1_19lookback_scan_stateINS0_5tupleIJjlEEELb1ELb0EEElNS1_16block_id_wrapperIjLb0EEEEEvT_jbjPmPT0_T1_.has_dyn_sized_stack, 0
	.set _ZN7rocprim17ROCPRIM_400000_NS6detail25reduce_by_key_init_kernelINS1_19lookback_scan_stateINS0_5tupleIJjlEEELb1ELb0EEElNS1_16block_id_wrapperIjLb0EEEEEvT_jbjPmPT0_T1_.has_recursion, 0
	.set _ZN7rocprim17ROCPRIM_400000_NS6detail25reduce_by_key_init_kernelINS1_19lookback_scan_stateINS0_5tupleIJjlEEELb1ELb0EEElNS1_16block_id_wrapperIjLb0EEEEEvT_jbjPmPT0_T1_.has_indirect_call, 0
	.section	.AMDGPU.csdata,"",@progbits
; Kernel info:
; codeLenInByte = 476
; TotalNumSgprs: 24
; NumVgprs: 7
; ScratchSize: 0
; MemoryBound: 0
; FloatMode: 240
; IeeeMode: 1
; LDSByteSize: 0 bytes/workgroup (compile time only)
; SGPRBlocks: 2
; VGPRBlocks: 1
; NumSGPRsForWavesPerEU: 24
; NumVGPRsForWavesPerEU: 7
; Occupancy: 10
; WaveLimiterHint : 0
; COMPUTE_PGM_RSRC2:SCRATCH_EN: 0
; COMPUTE_PGM_RSRC2:USER_SGPR: 6
; COMPUTE_PGM_RSRC2:TRAP_HANDLER: 0
; COMPUTE_PGM_RSRC2:TGID_X_EN: 1
; COMPUTE_PGM_RSRC2:TGID_Y_EN: 0
; COMPUTE_PGM_RSRC2:TGID_Z_EN: 0
; COMPUTE_PGM_RSRC2:TIDIG_COMP_CNT: 0
	.section	.text._ZN7rocprim17ROCPRIM_400000_NS6detail17trampoline_kernelINS0_14default_configENS1_29reduce_by_key_config_selectorIhlN6thrust23THRUST_200600_302600_NS4plusIlEEEEZZNS1_33reduce_by_key_impl_wrapped_configILNS1_25lookback_scan_determinismE0ES3_S9_PhNS6_17constant_iteratorIiNS6_11use_defaultESE_EENS6_10device_ptrIhEENSG_IlEEPmS8_NS6_8equal_toIhEEEE10hipError_tPvRmT2_T3_mT4_T5_T6_T7_T8_P12ihipStream_tbENKUlT_T0_E_clISt17integral_constantIbLb1EES12_IbLb0EEEEDaSY_SZ_EUlSY_E_NS1_11comp_targetILNS1_3genE0ELNS1_11target_archE4294967295ELNS1_3gpuE0ELNS1_3repE0EEENS1_30default_config_static_selectorELNS0_4arch9wavefront6targetE1EEEvT1_,"axG",@progbits,_ZN7rocprim17ROCPRIM_400000_NS6detail17trampoline_kernelINS0_14default_configENS1_29reduce_by_key_config_selectorIhlN6thrust23THRUST_200600_302600_NS4plusIlEEEEZZNS1_33reduce_by_key_impl_wrapped_configILNS1_25lookback_scan_determinismE0ES3_S9_PhNS6_17constant_iteratorIiNS6_11use_defaultESE_EENS6_10device_ptrIhEENSG_IlEEPmS8_NS6_8equal_toIhEEEE10hipError_tPvRmT2_T3_mT4_T5_T6_T7_T8_P12ihipStream_tbENKUlT_T0_E_clISt17integral_constantIbLb1EES12_IbLb0EEEEDaSY_SZ_EUlSY_E_NS1_11comp_targetILNS1_3genE0ELNS1_11target_archE4294967295ELNS1_3gpuE0ELNS1_3repE0EEENS1_30default_config_static_selectorELNS0_4arch9wavefront6targetE1EEEvT1_,comdat
	.protected	_ZN7rocprim17ROCPRIM_400000_NS6detail17trampoline_kernelINS0_14default_configENS1_29reduce_by_key_config_selectorIhlN6thrust23THRUST_200600_302600_NS4plusIlEEEEZZNS1_33reduce_by_key_impl_wrapped_configILNS1_25lookback_scan_determinismE0ES3_S9_PhNS6_17constant_iteratorIiNS6_11use_defaultESE_EENS6_10device_ptrIhEENSG_IlEEPmS8_NS6_8equal_toIhEEEE10hipError_tPvRmT2_T3_mT4_T5_T6_T7_T8_P12ihipStream_tbENKUlT_T0_E_clISt17integral_constantIbLb1EES12_IbLb0EEEEDaSY_SZ_EUlSY_E_NS1_11comp_targetILNS1_3genE0ELNS1_11target_archE4294967295ELNS1_3gpuE0ELNS1_3repE0EEENS1_30default_config_static_selectorELNS0_4arch9wavefront6targetE1EEEvT1_ ; -- Begin function _ZN7rocprim17ROCPRIM_400000_NS6detail17trampoline_kernelINS0_14default_configENS1_29reduce_by_key_config_selectorIhlN6thrust23THRUST_200600_302600_NS4plusIlEEEEZZNS1_33reduce_by_key_impl_wrapped_configILNS1_25lookback_scan_determinismE0ES3_S9_PhNS6_17constant_iteratorIiNS6_11use_defaultESE_EENS6_10device_ptrIhEENSG_IlEEPmS8_NS6_8equal_toIhEEEE10hipError_tPvRmT2_T3_mT4_T5_T6_T7_T8_P12ihipStream_tbENKUlT_T0_E_clISt17integral_constantIbLb1EES12_IbLb0EEEEDaSY_SZ_EUlSY_E_NS1_11comp_targetILNS1_3genE0ELNS1_11target_archE4294967295ELNS1_3gpuE0ELNS1_3repE0EEENS1_30default_config_static_selectorELNS0_4arch9wavefront6targetE1EEEvT1_
	.globl	_ZN7rocprim17ROCPRIM_400000_NS6detail17trampoline_kernelINS0_14default_configENS1_29reduce_by_key_config_selectorIhlN6thrust23THRUST_200600_302600_NS4plusIlEEEEZZNS1_33reduce_by_key_impl_wrapped_configILNS1_25lookback_scan_determinismE0ES3_S9_PhNS6_17constant_iteratorIiNS6_11use_defaultESE_EENS6_10device_ptrIhEENSG_IlEEPmS8_NS6_8equal_toIhEEEE10hipError_tPvRmT2_T3_mT4_T5_T6_T7_T8_P12ihipStream_tbENKUlT_T0_E_clISt17integral_constantIbLb1EES12_IbLb0EEEEDaSY_SZ_EUlSY_E_NS1_11comp_targetILNS1_3genE0ELNS1_11target_archE4294967295ELNS1_3gpuE0ELNS1_3repE0EEENS1_30default_config_static_selectorELNS0_4arch9wavefront6targetE1EEEvT1_
	.p2align	8
	.type	_ZN7rocprim17ROCPRIM_400000_NS6detail17trampoline_kernelINS0_14default_configENS1_29reduce_by_key_config_selectorIhlN6thrust23THRUST_200600_302600_NS4plusIlEEEEZZNS1_33reduce_by_key_impl_wrapped_configILNS1_25lookback_scan_determinismE0ES3_S9_PhNS6_17constant_iteratorIiNS6_11use_defaultESE_EENS6_10device_ptrIhEENSG_IlEEPmS8_NS6_8equal_toIhEEEE10hipError_tPvRmT2_T3_mT4_T5_T6_T7_T8_P12ihipStream_tbENKUlT_T0_E_clISt17integral_constantIbLb1EES12_IbLb0EEEEDaSY_SZ_EUlSY_E_NS1_11comp_targetILNS1_3genE0ELNS1_11target_archE4294967295ELNS1_3gpuE0ELNS1_3repE0EEENS1_30default_config_static_selectorELNS0_4arch9wavefront6targetE1EEEvT1_,@function
_ZN7rocprim17ROCPRIM_400000_NS6detail17trampoline_kernelINS0_14default_configENS1_29reduce_by_key_config_selectorIhlN6thrust23THRUST_200600_302600_NS4plusIlEEEEZZNS1_33reduce_by_key_impl_wrapped_configILNS1_25lookback_scan_determinismE0ES3_S9_PhNS6_17constant_iteratorIiNS6_11use_defaultESE_EENS6_10device_ptrIhEENSG_IlEEPmS8_NS6_8equal_toIhEEEE10hipError_tPvRmT2_T3_mT4_T5_T6_T7_T8_P12ihipStream_tbENKUlT_T0_E_clISt17integral_constantIbLb1EES12_IbLb0EEEEDaSY_SZ_EUlSY_E_NS1_11comp_targetILNS1_3genE0ELNS1_11target_archE4294967295ELNS1_3gpuE0ELNS1_3repE0EEENS1_30default_config_static_selectorELNS0_4arch9wavefront6targetE1EEEvT1_: ; @_ZN7rocprim17ROCPRIM_400000_NS6detail17trampoline_kernelINS0_14default_configENS1_29reduce_by_key_config_selectorIhlN6thrust23THRUST_200600_302600_NS4plusIlEEEEZZNS1_33reduce_by_key_impl_wrapped_configILNS1_25lookback_scan_determinismE0ES3_S9_PhNS6_17constant_iteratorIiNS6_11use_defaultESE_EENS6_10device_ptrIhEENSG_IlEEPmS8_NS6_8equal_toIhEEEE10hipError_tPvRmT2_T3_mT4_T5_T6_T7_T8_P12ihipStream_tbENKUlT_T0_E_clISt17integral_constantIbLb1EES12_IbLb0EEEEDaSY_SZ_EUlSY_E_NS1_11comp_targetILNS1_3genE0ELNS1_11target_archE4294967295ELNS1_3gpuE0ELNS1_3repE0EEENS1_30default_config_static_selectorELNS0_4arch9wavefront6targetE1EEEvT1_
; %bb.0:
	.section	.rodata,"a",@progbits
	.p2align	6, 0x0
	.amdhsa_kernel _ZN7rocprim17ROCPRIM_400000_NS6detail17trampoline_kernelINS0_14default_configENS1_29reduce_by_key_config_selectorIhlN6thrust23THRUST_200600_302600_NS4plusIlEEEEZZNS1_33reduce_by_key_impl_wrapped_configILNS1_25lookback_scan_determinismE0ES3_S9_PhNS6_17constant_iteratorIiNS6_11use_defaultESE_EENS6_10device_ptrIhEENSG_IlEEPmS8_NS6_8equal_toIhEEEE10hipError_tPvRmT2_T3_mT4_T5_T6_T7_T8_P12ihipStream_tbENKUlT_T0_E_clISt17integral_constantIbLb1EES12_IbLb0EEEEDaSY_SZ_EUlSY_E_NS1_11comp_targetILNS1_3genE0ELNS1_11target_archE4294967295ELNS1_3gpuE0ELNS1_3repE0EEENS1_30default_config_static_selectorELNS0_4arch9wavefront6targetE1EEEvT1_
		.amdhsa_group_segment_fixed_size 0
		.amdhsa_private_segment_fixed_size 0
		.amdhsa_kernarg_size 144
		.amdhsa_user_sgpr_count 6
		.amdhsa_user_sgpr_private_segment_buffer 1
		.amdhsa_user_sgpr_dispatch_ptr 0
		.amdhsa_user_sgpr_queue_ptr 0
		.amdhsa_user_sgpr_kernarg_segment_ptr 1
		.amdhsa_user_sgpr_dispatch_id 0
		.amdhsa_user_sgpr_flat_scratch_init 0
		.amdhsa_user_sgpr_private_segment_size 0
		.amdhsa_uses_dynamic_stack 0
		.amdhsa_system_sgpr_private_segment_wavefront_offset 0
		.amdhsa_system_sgpr_workgroup_id_x 1
		.amdhsa_system_sgpr_workgroup_id_y 0
		.amdhsa_system_sgpr_workgroup_id_z 0
		.amdhsa_system_sgpr_workgroup_info 0
		.amdhsa_system_vgpr_workitem_id 0
		.amdhsa_next_free_vgpr 1
		.amdhsa_next_free_sgpr 0
		.amdhsa_reserve_vcc 0
		.amdhsa_reserve_flat_scratch 0
		.amdhsa_float_round_mode_32 0
		.amdhsa_float_round_mode_16_64 0
		.amdhsa_float_denorm_mode_32 3
		.amdhsa_float_denorm_mode_16_64 3
		.amdhsa_dx10_clamp 1
		.amdhsa_ieee_mode 1
		.amdhsa_fp16_overflow 0
		.amdhsa_exception_fp_ieee_invalid_op 0
		.amdhsa_exception_fp_denorm_src 0
		.amdhsa_exception_fp_ieee_div_zero 0
		.amdhsa_exception_fp_ieee_overflow 0
		.amdhsa_exception_fp_ieee_underflow 0
		.amdhsa_exception_fp_ieee_inexact 0
		.amdhsa_exception_int_div_zero 0
	.end_amdhsa_kernel
	.section	.text._ZN7rocprim17ROCPRIM_400000_NS6detail17trampoline_kernelINS0_14default_configENS1_29reduce_by_key_config_selectorIhlN6thrust23THRUST_200600_302600_NS4plusIlEEEEZZNS1_33reduce_by_key_impl_wrapped_configILNS1_25lookback_scan_determinismE0ES3_S9_PhNS6_17constant_iteratorIiNS6_11use_defaultESE_EENS6_10device_ptrIhEENSG_IlEEPmS8_NS6_8equal_toIhEEEE10hipError_tPvRmT2_T3_mT4_T5_T6_T7_T8_P12ihipStream_tbENKUlT_T0_E_clISt17integral_constantIbLb1EES12_IbLb0EEEEDaSY_SZ_EUlSY_E_NS1_11comp_targetILNS1_3genE0ELNS1_11target_archE4294967295ELNS1_3gpuE0ELNS1_3repE0EEENS1_30default_config_static_selectorELNS0_4arch9wavefront6targetE1EEEvT1_,"axG",@progbits,_ZN7rocprim17ROCPRIM_400000_NS6detail17trampoline_kernelINS0_14default_configENS1_29reduce_by_key_config_selectorIhlN6thrust23THRUST_200600_302600_NS4plusIlEEEEZZNS1_33reduce_by_key_impl_wrapped_configILNS1_25lookback_scan_determinismE0ES3_S9_PhNS6_17constant_iteratorIiNS6_11use_defaultESE_EENS6_10device_ptrIhEENSG_IlEEPmS8_NS6_8equal_toIhEEEE10hipError_tPvRmT2_T3_mT4_T5_T6_T7_T8_P12ihipStream_tbENKUlT_T0_E_clISt17integral_constantIbLb1EES12_IbLb0EEEEDaSY_SZ_EUlSY_E_NS1_11comp_targetILNS1_3genE0ELNS1_11target_archE4294967295ELNS1_3gpuE0ELNS1_3repE0EEENS1_30default_config_static_selectorELNS0_4arch9wavefront6targetE1EEEvT1_,comdat
.Lfunc_end384:
	.size	_ZN7rocprim17ROCPRIM_400000_NS6detail17trampoline_kernelINS0_14default_configENS1_29reduce_by_key_config_selectorIhlN6thrust23THRUST_200600_302600_NS4plusIlEEEEZZNS1_33reduce_by_key_impl_wrapped_configILNS1_25lookback_scan_determinismE0ES3_S9_PhNS6_17constant_iteratorIiNS6_11use_defaultESE_EENS6_10device_ptrIhEENSG_IlEEPmS8_NS6_8equal_toIhEEEE10hipError_tPvRmT2_T3_mT4_T5_T6_T7_T8_P12ihipStream_tbENKUlT_T0_E_clISt17integral_constantIbLb1EES12_IbLb0EEEEDaSY_SZ_EUlSY_E_NS1_11comp_targetILNS1_3genE0ELNS1_11target_archE4294967295ELNS1_3gpuE0ELNS1_3repE0EEENS1_30default_config_static_selectorELNS0_4arch9wavefront6targetE1EEEvT1_, .Lfunc_end384-_ZN7rocprim17ROCPRIM_400000_NS6detail17trampoline_kernelINS0_14default_configENS1_29reduce_by_key_config_selectorIhlN6thrust23THRUST_200600_302600_NS4plusIlEEEEZZNS1_33reduce_by_key_impl_wrapped_configILNS1_25lookback_scan_determinismE0ES3_S9_PhNS6_17constant_iteratorIiNS6_11use_defaultESE_EENS6_10device_ptrIhEENSG_IlEEPmS8_NS6_8equal_toIhEEEE10hipError_tPvRmT2_T3_mT4_T5_T6_T7_T8_P12ihipStream_tbENKUlT_T0_E_clISt17integral_constantIbLb1EES12_IbLb0EEEEDaSY_SZ_EUlSY_E_NS1_11comp_targetILNS1_3genE0ELNS1_11target_archE4294967295ELNS1_3gpuE0ELNS1_3repE0EEENS1_30default_config_static_selectorELNS0_4arch9wavefront6targetE1EEEvT1_
                                        ; -- End function
	.set _ZN7rocprim17ROCPRIM_400000_NS6detail17trampoline_kernelINS0_14default_configENS1_29reduce_by_key_config_selectorIhlN6thrust23THRUST_200600_302600_NS4plusIlEEEEZZNS1_33reduce_by_key_impl_wrapped_configILNS1_25lookback_scan_determinismE0ES3_S9_PhNS6_17constant_iteratorIiNS6_11use_defaultESE_EENS6_10device_ptrIhEENSG_IlEEPmS8_NS6_8equal_toIhEEEE10hipError_tPvRmT2_T3_mT4_T5_T6_T7_T8_P12ihipStream_tbENKUlT_T0_E_clISt17integral_constantIbLb1EES12_IbLb0EEEEDaSY_SZ_EUlSY_E_NS1_11comp_targetILNS1_3genE0ELNS1_11target_archE4294967295ELNS1_3gpuE0ELNS1_3repE0EEENS1_30default_config_static_selectorELNS0_4arch9wavefront6targetE1EEEvT1_.num_vgpr, 0
	.set _ZN7rocprim17ROCPRIM_400000_NS6detail17trampoline_kernelINS0_14default_configENS1_29reduce_by_key_config_selectorIhlN6thrust23THRUST_200600_302600_NS4plusIlEEEEZZNS1_33reduce_by_key_impl_wrapped_configILNS1_25lookback_scan_determinismE0ES3_S9_PhNS6_17constant_iteratorIiNS6_11use_defaultESE_EENS6_10device_ptrIhEENSG_IlEEPmS8_NS6_8equal_toIhEEEE10hipError_tPvRmT2_T3_mT4_T5_T6_T7_T8_P12ihipStream_tbENKUlT_T0_E_clISt17integral_constantIbLb1EES12_IbLb0EEEEDaSY_SZ_EUlSY_E_NS1_11comp_targetILNS1_3genE0ELNS1_11target_archE4294967295ELNS1_3gpuE0ELNS1_3repE0EEENS1_30default_config_static_selectorELNS0_4arch9wavefront6targetE1EEEvT1_.num_agpr, 0
	.set _ZN7rocprim17ROCPRIM_400000_NS6detail17trampoline_kernelINS0_14default_configENS1_29reduce_by_key_config_selectorIhlN6thrust23THRUST_200600_302600_NS4plusIlEEEEZZNS1_33reduce_by_key_impl_wrapped_configILNS1_25lookback_scan_determinismE0ES3_S9_PhNS6_17constant_iteratorIiNS6_11use_defaultESE_EENS6_10device_ptrIhEENSG_IlEEPmS8_NS6_8equal_toIhEEEE10hipError_tPvRmT2_T3_mT4_T5_T6_T7_T8_P12ihipStream_tbENKUlT_T0_E_clISt17integral_constantIbLb1EES12_IbLb0EEEEDaSY_SZ_EUlSY_E_NS1_11comp_targetILNS1_3genE0ELNS1_11target_archE4294967295ELNS1_3gpuE0ELNS1_3repE0EEENS1_30default_config_static_selectorELNS0_4arch9wavefront6targetE1EEEvT1_.numbered_sgpr, 0
	.set _ZN7rocprim17ROCPRIM_400000_NS6detail17trampoline_kernelINS0_14default_configENS1_29reduce_by_key_config_selectorIhlN6thrust23THRUST_200600_302600_NS4plusIlEEEEZZNS1_33reduce_by_key_impl_wrapped_configILNS1_25lookback_scan_determinismE0ES3_S9_PhNS6_17constant_iteratorIiNS6_11use_defaultESE_EENS6_10device_ptrIhEENSG_IlEEPmS8_NS6_8equal_toIhEEEE10hipError_tPvRmT2_T3_mT4_T5_T6_T7_T8_P12ihipStream_tbENKUlT_T0_E_clISt17integral_constantIbLb1EES12_IbLb0EEEEDaSY_SZ_EUlSY_E_NS1_11comp_targetILNS1_3genE0ELNS1_11target_archE4294967295ELNS1_3gpuE0ELNS1_3repE0EEENS1_30default_config_static_selectorELNS0_4arch9wavefront6targetE1EEEvT1_.num_named_barrier, 0
	.set _ZN7rocprim17ROCPRIM_400000_NS6detail17trampoline_kernelINS0_14default_configENS1_29reduce_by_key_config_selectorIhlN6thrust23THRUST_200600_302600_NS4plusIlEEEEZZNS1_33reduce_by_key_impl_wrapped_configILNS1_25lookback_scan_determinismE0ES3_S9_PhNS6_17constant_iteratorIiNS6_11use_defaultESE_EENS6_10device_ptrIhEENSG_IlEEPmS8_NS6_8equal_toIhEEEE10hipError_tPvRmT2_T3_mT4_T5_T6_T7_T8_P12ihipStream_tbENKUlT_T0_E_clISt17integral_constantIbLb1EES12_IbLb0EEEEDaSY_SZ_EUlSY_E_NS1_11comp_targetILNS1_3genE0ELNS1_11target_archE4294967295ELNS1_3gpuE0ELNS1_3repE0EEENS1_30default_config_static_selectorELNS0_4arch9wavefront6targetE1EEEvT1_.private_seg_size, 0
	.set _ZN7rocprim17ROCPRIM_400000_NS6detail17trampoline_kernelINS0_14default_configENS1_29reduce_by_key_config_selectorIhlN6thrust23THRUST_200600_302600_NS4plusIlEEEEZZNS1_33reduce_by_key_impl_wrapped_configILNS1_25lookback_scan_determinismE0ES3_S9_PhNS6_17constant_iteratorIiNS6_11use_defaultESE_EENS6_10device_ptrIhEENSG_IlEEPmS8_NS6_8equal_toIhEEEE10hipError_tPvRmT2_T3_mT4_T5_T6_T7_T8_P12ihipStream_tbENKUlT_T0_E_clISt17integral_constantIbLb1EES12_IbLb0EEEEDaSY_SZ_EUlSY_E_NS1_11comp_targetILNS1_3genE0ELNS1_11target_archE4294967295ELNS1_3gpuE0ELNS1_3repE0EEENS1_30default_config_static_selectorELNS0_4arch9wavefront6targetE1EEEvT1_.uses_vcc, 0
	.set _ZN7rocprim17ROCPRIM_400000_NS6detail17trampoline_kernelINS0_14default_configENS1_29reduce_by_key_config_selectorIhlN6thrust23THRUST_200600_302600_NS4plusIlEEEEZZNS1_33reduce_by_key_impl_wrapped_configILNS1_25lookback_scan_determinismE0ES3_S9_PhNS6_17constant_iteratorIiNS6_11use_defaultESE_EENS6_10device_ptrIhEENSG_IlEEPmS8_NS6_8equal_toIhEEEE10hipError_tPvRmT2_T3_mT4_T5_T6_T7_T8_P12ihipStream_tbENKUlT_T0_E_clISt17integral_constantIbLb1EES12_IbLb0EEEEDaSY_SZ_EUlSY_E_NS1_11comp_targetILNS1_3genE0ELNS1_11target_archE4294967295ELNS1_3gpuE0ELNS1_3repE0EEENS1_30default_config_static_selectorELNS0_4arch9wavefront6targetE1EEEvT1_.uses_flat_scratch, 0
	.set _ZN7rocprim17ROCPRIM_400000_NS6detail17trampoline_kernelINS0_14default_configENS1_29reduce_by_key_config_selectorIhlN6thrust23THRUST_200600_302600_NS4plusIlEEEEZZNS1_33reduce_by_key_impl_wrapped_configILNS1_25lookback_scan_determinismE0ES3_S9_PhNS6_17constant_iteratorIiNS6_11use_defaultESE_EENS6_10device_ptrIhEENSG_IlEEPmS8_NS6_8equal_toIhEEEE10hipError_tPvRmT2_T3_mT4_T5_T6_T7_T8_P12ihipStream_tbENKUlT_T0_E_clISt17integral_constantIbLb1EES12_IbLb0EEEEDaSY_SZ_EUlSY_E_NS1_11comp_targetILNS1_3genE0ELNS1_11target_archE4294967295ELNS1_3gpuE0ELNS1_3repE0EEENS1_30default_config_static_selectorELNS0_4arch9wavefront6targetE1EEEvT1_.has_dyn_sized_stack, 0
	.set _ZN7rocprim17ROCPRIM_400000_NS6detail17trampoline_kernelINS0_14default_configENS1_29reduce_by_key_config_selectorIhlN6thrust23THRUST_200600_302600_NS4plusIlEEEEZZNS1_33reduce_by_key_impl_wrapped_configILNS1_25lookback_scan_determinismE0ES3_S9_PhNS6_17constant_iteratorIiNS6_11use_defaultESE_EENS6_10device_ptrIhEENSG_IlEEPmS8_NS6_8equal_toIhEEEE10hipError_tPvRmT2_T3_mT4_T5_T6_T7_T8_P12ihipStream_tbENKUlT_T0_E_clISt17integral_constantIbLb1EES12_IbLb0EEEEDaSY_SZ_EUlSY_E_NS1_11comp_targetILNS1_3genE0ELNS1_11target_archE4294967295ELNS1_3gpuE0ELNS1_3repE0EEENS1_30default_config_static_selectorELNS0_4arch9wavefront6targetE1EEEvT1_.has_recursion, 0
	.set _ZN7rocprim17ROCPRIM_400000_NS6detail17trampoline_kernelINS0_14default_configENS1_29reduce_by_key_config_selectorIhlN6thrust23THRUST_200600_302600_NS4plusIlEEEEZZNS1_33reduce_by_key_impl_wrapped_configILNS1_25lookback_scan_determinismE0ES3_S9_PhNS6_17constant_iteratorIiNS6_11use_defaultESE_EENS6_10device_ptrIhEENSG_IlEEPmS8_NS6_8equal_toIhEEEE10hipError_tPvRmT2_T3_mT4_T5_T6_T7_T8_P12ihipStream_tbENKUlT_T0_E_clISt17integral_constantIbLb1EES12_IbLb0EEEEDaSY_SZ_EUlSY_E_NS1_11comp_targetILNS1_3genE0ELNS1_11target_archE4294967295ELNS1_3gpuE0ELNS1_3repE0EEENS1_30default_config_static_selectorELNS0_4arch9wavefront6targetE1EEEvT1_.has_indirect_call, 0
	.section	.AMDGPU.csdata,"",@progbits
; Kernel info:
; codeLenInByte = 0
; TotalNumSgprs: 4
; NumVgprs: 0
; ScratchSize: 0
; MemoryBound: 0
; FloatMode: 240
; IeeeMode: 1
; LDSByteSize: 0 bytes/workgroup (compile time only)
; SGPRBlocks: 0
; VGPRBlocks: 0
; NumSGPRsForWavesPerEU: 4
; NumVGPRsForWavesPerEU: 1
; Occupancy: 10
; WaveLimiterHint : 0
; COMPUTE_PGM_RSRC2:SCRATCH_EN: 0
; COMPUTE_PGM_RSRC2:USER_SGPR: 6
; COMPUTE_PGM_RSRC2:TRAP_HANDLER: 0
; COMPUTE_PGM_RSRC2:TGID_X_EN: 1
; COMPUTE_PGM_RSRC2:TGID_Y_EN: 0
; COMPUTE_PGM_RSRC2:TGID_Z_EN: 0
; COMPUTE_PGM_RSRC2:TIDIG_COMP_CNT: 0
	.section	.text._ZN7rocprim17ROCPRIM_400000_NS6detail17trampoline_kernelINS0_14default_configENS1_29reduce_by_key_config_selectorIhlN6thrust23THRUST_200600_302600_NS4plusIlEEEEZZNS1_33reduce_by_key_impl_wrapped_configILNS1_25lookback_scan_determinismE0ES3_S9_PhNS6_17constant_iteratorIiNS6_11use_defaultESE_EENS6_10device_ptrIhEENSG_IlEEPmS8_NS6_8equal_toIhEEEE10hipError_tPvRmT2_T3_mT4_T5_T6_T7_T8_P12ihipStream_tbENKUlT_T0_E_clISt17integral_constantIbLb1EES12_IbLb0EEEEDaSY_SZ_EUlSY_E_NS1_11comp_targetILNS1_3genE5ELNS1_11target_archE942ELNS1_3gpuE9ELNS1_3repE0EEENS1_30default_config_static_selectorELNS0_4arch9wavefront6targetE1EEEvT1_,"axG",@progbits,_ZN7rocprim17ROCPRIM_400000_NS6detail17trampoline_kernelINS0_14default_configENS1_29reduce_by_key_config_selectorIhlN6thrust23THRUST_200600_302600_NS4plusIlEEEEZZNS1_33reduce_by_key_impl_wrapped_configILNS1_25lookback_scan_determinismE0ES3_S9_PhNS6_17constant_iteratorIiNS6_11use_defaultESE_EENS6_10device_ptrIhEENSG_IlEEPmS8_NS6_8equal_toIhEEEE10hipError_tPvRmT2_T3_mT4_T5_T6_T7_T8_P12ihipStream_tbENKUlT_T0_E_clISt17integral_constantIbLb1EES12_IbLb0EEEEDaSY_SZ_EUlSY_E_NS1_11comp_targetILNS1_3genE5ELNS1_11target_archE942ELNS1_3gpuE9ELNS1_3repE0EEENS1_30default_config_static_selectorELNS0_4arch9wavefront6targetE1EEEvT1_,comdat
	.protected	_ZN7rocprim17ROCPRIM_400000_NS6detail17trampoline_kernelINS0_14default_configENS1_29reduce_by_key_config_selectorIhlN6thrust23THRUST_200600_302600_NS4plusIlEEEEZZNS1_33reduce_by_key_impl_wrapped_configILNS1_25lookback_scan_determinismE0ES3_S9_PhNS6_17constant_iteratorIiNS6_11use_defaultESE_EENS6_10device_ptrIhEENSG_IlEEPmS8_NS6_8equal_toIhEEEE10hipError_tPvRmT2_T3_mT4_T5_T6_T7_T8_P12ihipStream_tbENKUlT_T0_E_clISt17integral_constantIbLb1EES12_IbLb0EEEEDaSY_SZ_EUlSY_E_NS1_11comp_targetILNS1_3genE5ELNS1_11target_archE942ELNS1_3gpuE9ELNS1_3repE0EEENS1_30default_config_static_selectorELNS0_4arch9wavefront6targetE1EEEvT1_ ; -- Begin function _ZN7rocprim17ROCPRIM_400000_NS6detail17trampoline_kernelINS0_14default_configENS1_29reduce_by_key_config_selectorIhlN6thrust23THRUST_200600_302600_NS4plusIlEEEEZZNS1_33reduce_by_key_impl_wrapped_configILNS1_25lookback_scan_determinismE0ES3_S9_PhNS6_17constant_iteratorIiNS6_11use_defaultESE_EENS6_10device_ptrIhEENSG_IlEEPmS8_NS6_8equal_toIhEEEE10hipError_tPvRmT2_T3_mT4_T5_T6_T7_T8_P12ihipStream_tbENKUlT_T0_E_clISt17integral_constantIbLb1EES12_IbLb0EEEEDaSY_SZ_EUlSY_E_NS1_11comp_targetILNS1_3genE5ELNS1_11target_archE942ELNS1_3gpuE9ELNS1_3repE0EEENS1_30default_config_static_selectorELNS0_4arch9wavefront6targetE1EEEvT1_
	.globl	_ZN7rocprim17ROCPRIM_400000_NS6detail17trampoline_kernelINS0_14default_configENS1_29reduce_by_key_config_selectorIhlN6thrust23THRUST_200600_302600_NS4plusIlEEEEZZNS1_33reduce_by_key_impl_wrapped_configILNS1_25lookback_scan_determinismE0ES3_S9_PhNS6_17constant_iteratorIiNS6_11use_defaultESE_EENS6_10device_ptrIhEENSG_IlEEPmS8_NS6_8equal_toIhEEEE10hipError_tPvRmT2_T3_mT4_T5_T6_T7_T8_P12ihipStream_tbENKUlT_T0_E_clISt17integral_constantIbLb1EES12_IbLb0EEEEDaSY_SZ_EUlSY_E_NS1_11comp_targetILNS1_3genE5ELNS1_11target_archE942ELNS1_3gpuE9ELNS1_3repE0EEENS1_30default_config_static_selectorELNS0_4arch9wavefront6targetE1EEEvT1_
	.p2align	8
	.type	_ZN7rocprim17ROCPRIM_400000_NS6detail17trampoline_kernelINS0_14default_configENS1_29reduce_by_key_config_selectorIhlN6thrust23THRUST_200600_302600_NS4plusIlEEEEZZNS1_33reduce_by_key_impl_wrapped_configILNS1_25lookback_scan_determinismE0ES3_S9_PhNS6_17constant_iteratorIiNS6_11use_defaultESE_EENS6_10device_ptrIhEENSG_IlEEPmS8_NS6_8equal_toIhEEEE10hipError_tPvRmT2_T3_mT4_T5_T6_T7_T8_P12ihipStream_tbENKUlT_T0_E_clISt17integral_constantIbLb1EES12_IbLb0EEEEDaSY_SZ_EUlSY_E_NS1_11comp_targetILNS1_3genE5ELNS1_11target_archE942ELNS1_3gpuE9ELNS1_3repE0EEENS1_30default_config_static_selectorELNS0_4arch9wavefront6targetE1EEEvT1_,@function
_ZN7rocprim17ROCPRIM_400000_NS6detail17trampoline_kernelINS0_14default_configENS1_29reduce_by_key_config_selectorIhlN6thrust23THRUST_200600_302600_NS4plusIlEEEEZZNS1_33reduce_by_key_impl_wrapped_configILNS1_25lookback_scan_determinismE0ES3_S9_PhNS6_17constant_iteratorIiNS6_11use_defaultESE_EENS6_10device_ptrIhEENSG_IlEEPmS8_NS6_8equal_toIhEEEE10hipError_tPvRmT2_T3_mT4_T5_T6_T7_T8_P12ihipStream_tbENKUlT_T0_E_clISt17integral_constantIbLb1EES12_IbLb0EEEEDaSY_SZ_EUlSY_E_NS1_11comp_targetILNS1_3genE5ELNS1_11target_archE942ELNS1_3gpuE9ELNS1_3repE0EEENS1_30default_config_static_selectorELNS0_4arch9wavefront6targetE1EEEvT1_: ; @_ZN7rocprim17ROCPRIM_400000_NS6detail17trampoline_kernelINS0_14default_configENS1_29reduce_by_key_config_selectorIhlN6thrust23THRUST_200600_302600_NS4plusIlEEEEZZNS1_33reduce_by_key_impl_wrapped_configILNS1_25lookback_scan_determinismE0ES3_S9_PhNS6_17constant_iteratorIiNS6_11use_defaultESE_EENS6_10device_ptrIhEENSG_IlEEPmS8_NS6_8equal_toIhEEEE10hipError_tPvRmT2_T3_mT4_T5_T6_T7_T8_P12ihipStream_tbENKUlT_T0_E_clISt17integral_constantIbLb1EES12_IbLb0EEEEDaSY_SZ_EUlSY_E_NS1_11comp_targetILNS1_3genE5ELNS1_11target_archE942ELNS1_3gpuE9ELNS1_3repE0EEENS1_30default_config_static_selectorELNS0_4arch9wavefront6targetE1EEEvT1_
; %bb.0:
	.section	.rodata,"a",@progbits
	.p2align	6, 0x0
	.amdhsa_kernel _ZN7rocprim17ROCPRIM_400000_NS6detail17trampoline_kernelINS0_14default_configENS1_29reduce_by_key_config_selectorIhlN6thrust23THRUST_200600_302600_NS4plusIlEEEEZZNS1_33reduce_by_key_impl_wrapped_configILNS1_25lookback_scan_determinismE0ES3_S9_PhNS6_17constant_iteratorIiNS6_11use_defaultESE_EENS6_10device_ptrIhEENSG_IlEEPmS8_NS6_8equal_toIhEEEE10hipError_tPvRmT2_T3_mT4_T5_T6_T7_T8_P12ihipStream_tbENKUlT_T0_E_clISt17integral_constantIbLb1EES12_IbLb0EEEEDaSY_SZ_EUlSY_E_NS1_11comp_targetILNS1_3genE5ELNS1_11target_archE942ELNS1_3gpuE9ELNS1_3repE0EEENS1_30default_config_static_selectorELNS0_4arch9wavefront6targetE1EEEvT1_
		.amdhsa_group_segment_fixed_size 0
		.amdhsa_private_segment_fixed_size 0
		.amdhsa_kernarg_size 144
		.amdhsa_user_sgpr_count 6
		.amdhsa_user_sgpr_private_segment_buffer 1
		.amdhsa_user_sgpr_dispatch_ptr 0
		.amdhsa_user_sgpr_queue_ptr 0
		.amdhsa_user_sgpr_kernarg_segment_ptr 1
		.amdhsa_user_sgpr_dispatch_id 0
		.amdhsa_user_sgpr_flat_scratch_init 0
		.amdhsa_user_sgpr_private_segment_size 0
		.amdhsa_uses_dynamic_stack 0
		.amdhsa_system_sgpr_private_segment_wavefront_offset 0
		.amdhsa_system_sgpr_workgroup_id_x 1
		.amdhsa_system_sgpr_workgroup_id_y 0
		.amdhsa_system_sgpr_workgroup_id_z 0
		.amdhsa_system_sgpr_workgroup_info 0
		.amdhsa_system_vgpr_workitem_id 0
		.amdhsa_next_free_vgpr 1
		.amdhsa_next_free_sgpr 0
		.amdhsa_reserve_vcc 0
		.amdhsa_reserve_flat_scratch 0
		.amdhsa_float_round_mode_32 0
		.amdhsa_float_round_mode_16_64 0
		.amdhsa_float_denorm_mode_32 3
		.amdhsa_float_denorm_mode_16_64 3
		.amdhsa_dx10_clamp 1
		.amdhsa_ieee_mode 1
		.amdhsa_fp16_overflow 0
		.amdhsa_exception_fp_ieee_invalid_op 0
		.amdhsa_exception_fp_denorm_src 0
		.amdhsa_exception_fp_ieee_div_zero 0
		.amdhsa_exception_fp_ieee_overflow 0
		.amdhsa_exception_fp_ieee_underflow 0
		.amdhsa_exception_fp_ieee_inexact 0
		.amdhsa_exception_int_div_zero 0
	.end_amdhsa_kernel
	.section	.text._ZN7rocprim17ROCPRIM_400000_NS6detail17trampoline_kernelINS0_14default_configENS1_29reduce_by_key_config_selectorIhlN6thrust23THRUST_200600_302600_NS4plusIlEEEEZZNS1_33reduce_by_key_impl_wrapped_configILNS1_25lookback_scan_determinismE0ES3_S9_PhNS6_17constant_iteratorIiNS6_11use_defaultESE_EENS6_10device_ptrIhEENSG_IlEEPmS8_NS6_8equal_toIhEEEE10hipError_tPvRmT2_T3_mT4_T5_T6_T7_T8_P12ihipStream_tbENKUlT_T0_E_clISt17integral_constantIbLb1EES12_IbLb0EEEEDaSY_SZ_EUlSY_E_NS1_11comp_targetILNS1_3genE5ELNS1_11target_archE942ELNS1_3gpuE9ELNS1_3repE0EEENS1_30default_config_static_selectorELNS0_4arch9wavefront6targetE1EEEvT1_,"axG",@progbits,_ZN7rocprim17ROCPRIM_400000_NS6detail17trampoline_kernelINS0_14default_configENS1_29reduce_by_key_config_selectorIhlN6thrust23THRUST_200600_302600_NS4plusIlEEEEZZNS1_33reduce_by_key_impl_wrapped_configILNS1_25lookback_scan_determinismE0ES3_S9_PhNS6_17constant_iteratorIiNS6_11use_defaultESE_EENS6_10device_ptrIhEENSG_IlEEPmS8_NS6_8equal_toIhEEEE10hipError_tPvRmT2_T3_mT4_T5_T6_T7_T8_P12ihipStream_tbENKUlT_T0_E_clISt17integral_constantIbLb1EES12_IbLb0EEEEDaSY_SZ_EUlSY_E_NS1_11comp_targetILNS1_3genE5ELNS1_11target_archE942ELNS1_3gpuE9ELNS1_3repE0EEENS1_30default_config_static_selectorELNS0_4arch9wavefront6targetE1EEEvT1_,comdat
.Lfunc_end385:
	.size	_ZN7rocprim17ROCPRIM_400000_NS6detail17trampoline_kernelINS0_14default_configENS1_29reduce_by_key_config_selectorIhlN6thrust23THRUST_200600_302600_NS4plusIlEEEEZZNS1_33reduce_by_key_impl_wrapped_configILNS1_25lookback_scan_determinismE0ES3_S9_PhNS6_17constant_iteratorIiNS6_11use_defaultESE_EENS6_10device_ptrIhEENSG_IlEEPmS8_NS6_8equal_toIhEEEE10hipError_tPvRmT2_T3_mT4_T5_T6_T7_T8_P12ihipStream_tbENKUlT_T0_E_clISt17integral_constantIbLb1EES12_IbLb0EEEEDaSY_SZ_EUlSY_E_NS1_11comp_targetILNS1_3genE5ELNS1_11target_archE942ELNS1_3gpuE9ELNS1_3repE0EEENS1_30default_config_static_selectorELNS0_4arch9wavefront6targetE1EEEvT1_, .Lfunc_end385-_ZN7rocprim17ROCPRIM_400000_NS6detail17trampoline_kernelINS0_14default_configENS1_29reduce_by_key_config_selectorIhlN6thrust23THRUST_200600_302600_NS4plusIlEEEEZZNS1_33reduce_by_key_impl_wrapped_configILNS1_25lookback_scan_determinismE0ES3_S9_PhNS6_17constant_iteratorIiNS6_11use_defaultESE_EENS6_10device_ptrIhEENSG_IlEEPmS8_NS6_8equal_toIhEEEE10hipError_tPvRmT2_T3_mT4_T5_T6_T7_T8_P12ihipStream_tbENKUlT_T0_E_clISt17integral_constantIbLb1EES12_IbLb0EEEEDaSY_SZ_EUlSY_E_NS1_11comp_targetILNS1_3genE5ELNS1_11target_archE942ELNS1_3gpuE9ELNS1_3repE0EEENS1_30default_config_static_selectorELNS0_4arch9wavefront6targetE1EEEvT1_
                                        ; -- End function
	.set _ZN7rocprim17ROCPRIM_400000_NS6detail17trampoline_kernelINS0_14default_configENS1_29reduce_by_key_config_selectorIhlN6thrust23THRUST_200600_302600_NS4plusIlEEEEZZNS1_33reduce_by_key_impl_wrapped_configILNS1_25lookback_scan_determinismE0ES3_S9_PhNS6_17constant_iteratorIiNS6_11use_defaultESE_EENS6_10device_ptrIhEENSG_IlEEPmS8_NS6_8equal_toIhEEEE10hipError_tPvRmT2_T3_mT4_T5_T6_T7_T8_P12ihipStream_tbENKUlT_T0_E_clISt17integral_constantIbLb1EES12_IbLb0EEEEDaSY_SZ_EUlSY_E_NS1_11comp_targetILNS1_3genE5ELNS1_11target_archE942ELNS1_3gpuE9ELNS1_3repE0EEENS1_30default_config_static_selectorELNS0_4arch9wavefront6targetE1EEEvT1_.num_vgpr, 0
	.set _ZN7rocprim17ROCPRIM_400000_NS6detail17trampoline_kernelINS0_14default_configENS1_29reduce_by_key_config_selectorIhlN6thrust23THRUST_200600_302600_NS4plusIlEEEEZZNS1_33reduce_by_key_impl_wrapped_configILNS1_25lookback_scan_determinismE0ES3_S9_PhNS6_17constant_iteratorIiNS6_11use_defaultESE_EENS6_10device_ptrIhEENSG_IlEEPmS8_NS6_8equal_toIhEEEE10hipError_tPvRmT2_T3_mT4_T5_T6_T7_T8_P12ihipStream_tbENKUlT_T0_E_clISt17integral_constantIbLb1EES12_IbLb0EEEEDaSY_SZ_EUlSY_E_NS1_11comp_targetILNS1_3genE5ELNS1_11target_archE942ELNS1_3gpuE9ELNS1_3repE0EEENS1_30default_config_static_selectorELNS0_4arch9wavefront6targetE1EEEvT1_.num_agpr, 0
	.set _ZN7rocprim17ROCPRIM_400000_NS6detail17trampoline_kernelINS0_14default_configENS1_29reduce_by_key_config_selectorIhlN6thrust23THRUST_200600_302600_NS4plusIlEEEEZZNS1_33reduce_by_key_impl_wrapped_configILNS1_25lookback_scan_determinismE0ES3_S9_PhNS6_17constant_iteratorIiNS6_11use_defaultESE_EENS6_10device_ptrIhEENSG_IlEEPmS8_NS6_8equal_toIhEEEE10hipError_tPvRmT2_T3_mT4_T5_T6_T7_T8_P12ihipStream_tbENKUlT_T0_E_clISt17integral_constantIbLb1EES12_IbLb0EEEEDaSY_SZ_EUlSY_E_NS1_11comp_targetILNS1_3genE5ELNS1_11target_archE942ELNS1_3gpuE9ELNS1_3repE0EEENS1_30default_config_static_selectorELNS0_4arch9wavefront6targetE1EEEvT1_.numbered_sgpr, 0
	.set _ZN7rocprim17ROCPRIM_400000_NS6detail17trampoline_kernelINS0_14default_configENS1_29reduce_by_key_config_selectorIhlN6thrust23THRUST_200600_302600_NS4plusIlEEEEZZNS1_33reduce_by_key_impl_wrapped_configILNS1_25lookback_scan_determinismE0ES3_S9_PhNS6_17constant_iteratorIiNS6_11use_defaultESE_EENS6_10device_ptrIhEENSG_IlEEPmS8_NS6_8equal_toIhEEEE10hipError_tPvRmT2_T3_mT4_T5_T6_T7_T8_P12ihipStream_tbENKUlT_T0_E_clISt17integral_constantIbLb1EES12_IbLb0EEEEDaSY_SZ_EUlSY_E_NS1_11comp_targetILNS1_3genE5ELNS1_11target_archE942ELNS1_3gpuE9ELNS1_3repE0EEENS1_30default_config_static_selectorELNS0_4arch9wavefront6targetE1EEEvT1_.num_named_barrier, 0
	.set _ZN7rocprim17ROCPRIM_400000_NS6detail17trampoline_kernelINS0_14default_configENS1_29reduce_by_key_config_selectorIhlN6thrust23THRUST_200600_302600_NS4plusIlEEEEZZNS1_33reduce_by_key_impl_wrapped_configILNS1_25lookback_scan_determinismE0ES3_S9_PhNS6_17constant_iteratorIiNS6_11use_defaultESE_EENS6_10device_ptrIhEENSG_IlEEPmS8_NS6_8equal_toIhEEEE10hipError_tPvRmT2_T3_mT4_T5_T6_T7_T8_P12ihipStream_tbENKUlT_T0_E_clISt17integral_constantIbLb1EES12_IbLb0EEEEDaSY_SZ_EUlSY_E_NS1_11comp_targetILNS1_3genE5ELNS1_11target_archE942ELNS1_3gpuE9ELNS1_3repE0EEENS1_30default_config_static_selectorELNS0_4arch9wavefront6targetE1EEEvT1_.private_seg_size, 0
	.set _ZN7rocprim17ROCPRIM_400000_NS6detail17trampoline_kernelINS0_14default_configENS1_29reduce_by_key_config_selectorIhlN6thrust23THRUST_200600_302600_NS4plusIlEEEEZZNS1_33reduce_by_key_impl_wrapped_configILNS1_25lookback_scan_determinismE0ES3_S9_PhNS6_17constant_iteratorIiNS6_11use_defaultESE_EENS6_10device_ptrIhEENSG_IlEEPmS8_NS6_8equal_toIhEEEE10hipError_tPvRmT2_T3_mT4_T5_T6_T7_T8_P12ihipStream_tbENKUlT_T0_E_clISt17integral_constantIbLb1EES12_IbLb0EEEEDaSY_SZ_EUlSY_E_NS1_11comp_targetILNS1_3genE5ELNS1_11target_archE942ELNS1_3gpuE9ELNS1_3repE0EEENS1_30default_config_static_selectorELNS0_4arch9wavefront6targetE1EEEvT1_.uses_vcc, 0
	.set _ZN7rocprim17ROCPRIM_400000_NS6detail17trampoline_kernelINS0_14default_configENS1_29reduce_by_key_config_selectorIhlN6thrust23THRUST_200600_302600_NS4plusIlEEEEZZNS1_33reduce_by_key_impl_wrapped_configILNS1_25lookback_scan_determinismE0ES3_S9_PhNS6_17constant_iteratorIiNS6_11use_defaultESE_EENS6_10device_ptrIhEENSG_IlEEPmS8_NS6_8equal_toIhEEEE10hipError_tPvRmT2_T3_mT4_T5_T6_T7_T8_P12ihipStream_tbENKUlT_T0_E_clISt17integral_constantIbLb1EES12_IbLb0EEEEDaSY_SZ_EUlSY_E_NS1_11comp_targetILNS1_3genE5ELNS1_11target_archE942ELNS1_3gpuE9ELNS1_3repE0EEENS1_30default_config_static_selectorELNS0_4arch9wavefront6targetE1EEEvT1_.uses_flat_scratch, 0
	.set _ZN7rocprim17ROCPRIM_400000_NS6detail17trampoline_kernelINS0_14default_configENS1_29reduce_by_key_config_selectorIhlN6thrust23THRUST_200600_302600_NS4plusIlEEEEZZNS1_33reduce_by_key_impl_wrapped_configILNS1_25lookback_scan_determinismE0ES3_S9_PhNS6_17constant_iteratorIiNS6_11use_defaultESE_EENS6_10device_ptrIhEENSG_IlEEPmS8_NS6_8equal_toIhEEEE10hipError_tPvRmT2_T3_mT4_T5_T6_T7_T8_P12ihipStream_tbENKUlT_T0_E_clISt17integral_constantIbLb1EES12_IbLb0EEEEDaSY_SZ_EUlSY_E_NS1_11comp_targetILNS1_3genE5ELNS1_11target_archE942ELNS1_3gpuE9ELNS1_3repE0EEENS1_30default_config_static_selectorELNS0_4arch9wavefront6targetE1EEEvT1_.has_dyn_sized_stack, 0
	.set _ZN7rocprim17ROCPRIM_400000_NS6detail17trampoline_kernelINS0_14default_configENS1_29reduce_by_key_config_selectorIhlN6thrust23THRUST_200600_302600_NS4plusIlEEEEZZNS1_33reduce_by_key_impl_wrapped_configILNS1_25lookback_scan_determinismE0ES3_S9_PhNS6_17constant_iteratorIiNS6_11use_defaultESE_EENS6_10device_ptrIhEENSG_IlEEPmS8_NS6_8equal_toIhEEEE10hipError_tPvRmT2_T3_mT4_T5_T6_T7_T8_P12ihipStream_tbENKUlT_T0_E_clISt17integral_constantIbLb1EES12_IbLb0EEEEDaSY_SZ_EUlSY_E_NS1_11comp_targetILNS1_3genE5ELNS1_11target_archE942ELNS1_3gpuE9ELNS1_3repE0EEENS1_30default_config_static_selectorELNS0_4arch9wavefront6targetE1EEEvT1_.has_recursion, 0
	.set _ZN7rocprim17ROCPRIM_400000_NS6detail17trampoline_kernelINS0_14default_configENS1_29reduce_by_key_config_selectorIhlN6thrust23THRUST_200600_302600_NS4plusIlEEEEZZNS1_33reduce_by_key_impl_wrapped_configILNS1_25lookback_scan_determinismE0ES3_S9_PhNS6_17constant_iteratorIiNS6_11use_defaultESE_EENS6_10device_ptrIhEENSG_IlEEPmS8_NS6_8equal_toIhEEEE10hipError_tPvRmT2_T3_mT4_T5_T6_T7_T8_P12ihipStream_tbENKUlT_T0_E_clISt17integral_constantIbLb1EES12_IbLb0EEEEDaSY_SZ_EUlSY_E_NS1_11comp_targetILNS1_3genE5ELNS1_11target_archE942ELNS1_3gpuE9ELNS1_3repE0EEENS1_30default_config_static_selectorELNS0_4arch9wavefront6targetE1EEEvT1_.has_indirect_call, 0
	.section	.AMDGPU.csdata,"",@progbits
; Kernel info:
; codeLenInByte = 0
; TotalNumSgprs: 4
; NumVgprs: 0
; ScratchSize: 0
; MemoryBound: 0
; FloatMode: 240
; IeeeMode: 1
; LDSByteSize: 0 bytes/workgroup (compile time only)
; SGPRBlocks: 0
; VGPRBlocks: 0
; NumSGPRsForWavesPerEU: 4
; NumVGPRsForWavesPerEU: 1
; Occupancy: 10
; WaveLimiterHint : 0
; COMPUTE_PGM_RSRC2:SCRATCH_EN: 0
; COMPUTE_PGM_RSRC2:USER_SGPR: 6
; COMPUTE_PGM_RSRC2:TRAP_HANDLER: 0
; COMPUTE_PGM_RSRC2:TGID_X_EN: 1
; COMPUTE_PGM_RSRC2:TGID_Y_EN: 0
; COMPUTE_PGM_RSRC2:TGID_Z_EN: 0
; COMPUTE_PGM_RSRC2:TIDIG_COMP_CNT: 0
	.section	.text._ZN7rocprim17ROCPRIM_400000_NS6detail17trampoline_kernelINS0_14default_configENS1_29reduce_by_key_config_selectorIhlN6thrust23THRUST_200600_302600_NS4plusIlEEEEZZNS1_33reduce_by_key_impl_wrapped_configILNS1_25lookback_scan_determinismE0ES3_S9_PhNS6_17constant_iteratorIiNS6_11use_defaultESE_EENS6_10device_ptrIhEENSG_IlEEPmS8_NS6_8equal_toIhEEEE10hipError_tPvRmT2_T3_mT4_T5_T6_T7_T8_P12ihipStream_tbENKUlT_T0_E_clISt17integral_constantIbLb1EES12_IbLb0EEEEDaSY_SZ_EUlSY_E_NS1_11comp_targetILNS1_3genE4ELNS1_11target_archE910ELNS1_3gpuE8ELNS1_3repE0EEENS1_30default_config_static_selectorELNS0_4arch9wavefront6targetE1EEEvT1_,"axG",@progbits,_ZN7rocprim17ROCPRIM_400000_NS6detail17trampoline_kernelINS0_14default_configENS1_29reduce_by_key_config_selectorIhlN6thrust23THRUST_200600_302600_NS4plusIlEEEEZZNS1_33reduce_by_key_impl_wrapped_configILNS1_25lookback_scan_determinismE0ES3_S9_PhNS6_17constant_iteratorIiNS6_11use_defaultESE_EENS6_10device_ptrIhEENSG_IlEEPmS8_NS6_8equal_toIhEEEE10hipError_tPvRmT2_T3_mT4_T5_T6_T7_T8_P12ihipStream_tbENKUlT_T0_E_clISt17integral_constantIbLb1EES12_IbLb0EEEEDaSY_SZ_EUlSY_E_NS1_11comp_targetILNS1_3genE4ELNS1_11target_archE910ELNS1_3gpuE8ELNS1_3repE0EEENS1_30default_config_static_selectorELNS0_4arch9wavefront6targetE1EEEvT1_,comdat
	.protected	_ZN7rocprim17ROCPRIM_400000_NS6detail17trampoline_kernelINS0_14default_configENS1_29reduce_by_key_config_selectorIhlN6thrust23THRUST_200600_302600_NS4plusIlEEEEZZNS1_33reduce_by_key_impl_wrapped_configILNS1_25lookback_scan_determinismE0ES3_S9_PhNS6_17constant_iteratorIiNS6_11use_defaultESE_EENS6_10device_ptrIhEENSG_IlEEPmS8_NS6_8equal_toIhEEEE10hipError_tPvRmT2_T3_mT4_T5_T6_T7_T8_P12ihipStream_tbENKUlT_T0_E_clISt17integral_constantIbLb1EES12_IbLb0EEEEDaSY_SZ_EUlSY_E_NS1_11comp_targetILNS1_3genE4ELNS1_11target_archE910ELNS1_3gpuE8ELNS1_3repE0EEENS1_30default_config_static_selectorELNS0_4arch9wavefront6targetE1EEEvT1_ ; -- Begin function _ZN7rocprim17ROCPRIM_400000_NS6detail17trampoline_kernelINS0_14default_configENS1_29reduce_by_key_config_selectorIhlN6thrust23THRUST_200600_302600_NS4plusIlEEEEZZNS1_33reduce_by_key_impl_wrapped_configILNS1_25lookback_scan_determinismE0ES3_S9_PhNS6_17constant_iteratorIiNS6_11use_defaultESE_EENS6_10device_ptrIhEENSG_IlEEPmS8_NS6_8equal_toIhEEEE10hipError_tPvRmT2_T3_mT4_T5_T6_T7_T8_P12ihipStream_tbENKUlT_T0_E_clISt17integral_constantIbLb1EES12_IbLb0EEEEDaSY_SZ_EUlSY_E_NS1_11comp_targetILNS1_3genE4ELNS1_11target_archE910ELNS1_3gpuE8ELNS1_3repE0EEENS1_30default_config_static_selectorELNS0_4arch9wavefront6targetE1EEEvT1_
	.globl	_ZN7rocprim17ROCPRIM_400000_NS6detail17trampoline_kernelINS0_14default_configENS1_29reduce_by_key_config_selectorIhlN6thrust23THRUST_200600_302600_NS4plusIlEEEEZZNS1_33reduce_by_key_impl_wrapped_configILNS1_25lookback_scan_determinismE0ES3_S9_PhNS6_17constant_iteratorIiNS6_11use_defaultESE_EENS6_10device_ptrIhEENSG_IlEEPmS8_NS6_8equal_toIhEEEE10hipError_tPvRmT2_T3_mT4_T5_T6_T7_T8_P12ihipStream_tbENKUlT_T0_E_clISt17integral_constantIbLb1EES12_IbLb0EEEEDaSY_SZ_EUlSY_E_NS1_11comp_targetILNS1_3genE4ELNS1_11target_archE910ELNS1_3gpuE8ELNS1_3repE0EEENS1_30default_config_static_selectorELNS0_4arch9wavefront6targetE1EEEvT1_
	.p2align	8
	.type	_ZN7rocprim17ROCPRIM_400000_NS6detail17trampoline_kernelINS0_14default_configENS1_29reduce_by_key_config_selectorIhlN6thrust23THRUST_200600_302600_NS4plusIlEEEEZZNS1_33reduce_by_key_impl_wrapped_configILNS1_25lookback_scan_determinismE0ES3_S9_PhNS6_17constant_iteratorIiNS6_11use_defaultESE_EENS6_10device_ptrIhEENSG_IlEEPmS8_NS6_8equal_toIhEEEE10hipError_tPvRmT2_T3_mT4_T5_T6_T7_T8_P12ihipStream_tbENKUlT_T0_E_clISt17integral_constantIbLb1EES12_IbLb0EEEEDaSY_SZ_EUlSY_E_NS1_11comp_targetILNS1_3genE4ELNS1_11target_archE910ELNS1_3gpuE8ELNS1_3repE0EEENS1_30default_config_static_selectorELNS0_4arch9wavefront6targetE1EEEvT1_,@function
_ZN7rocprim17ROCPRIM_400000_NS6detail17trampoline_kernelINS0_14default_configENS1_29reduce_by_key_config_selectorIhlN6thrust23THRUST_200600_302600_NS4plusIlEEEEZZNS1_33reduce_by_key_impl_wrapped_configILNS1_25lookback_scan_determinismE0ES3_S9_PhNS6_17constant_iteratorIiNS6_11use_defaultESE_EENS6_10device_ptrIhEENSG_IlEEPmS8_NS6_8equal_toIhEEEE10hipError_tPvRmT2_T3_mT4_T5_T6_T7_T8_P12ihipStream_tbENKUlT_T0_E_clISt17integral_constantIbLb1EES12_IbLb0EEEEDaSY_SZ_EUlSY_E_NS1_11comp_targetILNS1_3genE4ELNS1_11target_archE910ELNS1_3gpuE8ELNS1_3repE0EEENS1_30default_config_static_selectorELNS0_4arch9wavefront6targetE1EEEvT1_: ; @_ZN7rocprim17ROCPRIM_400000_NS6detail17trampoline_kernelINS0_14default_configENS1_29reduce_by_key_config_selectorIhlN6thrust23THRUST_200600_302600_NS4plusIlEEEEZZNS1_33reduce_by_key_impl_wrapped_configILNS1_25lookback_scan_determinismE0ES3_S9_PhNS6_17constant_iteratorIiNS6_11use_defaultESE_EENS6_10device_ptrIhEENSG_IlEEPmS8_NS6_8equal_toIhEEEE10hipError_tPvRmT2_T3_mT4_T5_T6_T7_T8_P12ihipStream_tbENKUlT_T0_E_clISt17integral_constantIbLb1EES12_IbLb0EEEEDaSY_SZ_EUlSY_E_NS1_11comp_targetILNS1_3genE4ELNS1_11target_archE910ELNS1_3gpuE8ELNS1_3repE0EEENS1_30default_config_static_selectorELNS0_4arch9wavefront6targetE1EEEvT1_
; %bb.0:
	.section	.rodata,"a",@progbits
	.p2align	6, 0x0
	.amdhsa_kernel _ZN7rocprim17ROCPRIM_400000_NS6detail17trampoline_kernelINS0_14default_configENS1_29reduce_by_key_config_selectorIhlN6thrust23THRUST_200600_302600_NS4plusIlEEEEZZNS1_33reduce_by_key_impl_wrapped_configILNS1_25lookback_scan_determinismE0ES3_S9_PhNS6_17constant_iteratorIiNS6_11use_defaultESE_EENS6_10device_ptrIhEENSG_IlEEPmS8_NS6_8equal_toIhEEEE10hipError_tPvRmT2_T3_mT4_T5_T6_T7_T8_P12ihipStream_tbENKUlT_T0_E_clISt17integral_constantIbLb1EES12_IbLb0EEEEDaSY_SZ_EUlSY_E_NS1_11comp_targetILNS1_3genE4ELNS1_11target_archE910ELNS1_3gpuE8ELNS1_3repE0EEENS1_30default_config_static_selectorELNS0_4arch9wavefront6targetE1EEEvT1_
		.amdhsa_group_segment_fixed_size 0
		.amdhsa_private_segment_fixed_size 0
		.amdhsa_kernarg_size 144
		.amdhsa_user_sgpr_count 6
		.amdhsa_user_sgpr_private_segment_buffer 1
		.amdhsa_user_sgpr_dispatch_ptr 0
		.amdhsa_user_sgpr_queue_ptr 0
		.amdhsa_user_sgpr_kernarg_segment_ptr 1
		.amdhsa_user_sgpr_dispatch_id 0
		.amdhsa_user_sgpr_flat_scratch_init 0
		.amdhsa_user_sgpr_private_segment_size 0
		.amdhsa_uses_dynamic_stack 0
		.amdhsa_system_sgpr_private_segment_wavefront_offset 0
		.amdhsa_system_sgpr_workgroup_id_x 1
		.amdhsa_system_sgpr_workgroup_id_y 0
		.amdhsa_system_sgpr_workgroup_id_z 0
		.amdhsa_system_sgpr_workgroup_info 0
		.amdhsa_system_vgpr_workitem_id 0
		.amdhsa_next_free_vgpr 1
		.amdhsa_next_free_sgpr 0
		.amdhsa_reserve_vcc 0
		.amdhsa_reserve_flat_scratch 0
		.amdhsa_float_round_mode_32 0
		.amdhsa_float_round_mode_16_64 0
		.amdhsa_float_denorm_mode_32 3
		.amdhsa_float_denorm_mode_16_64 3
		.amdhsa_dx10_clamp 1
		.amdhsa_ieee_mode 1
		.amdhsa_fp16_overflow 0
		.amdhsa_exception_fp_ieee_invalid_op 0
		.amdhsa_exception_fp_denorm_src 0
		.amdhsa_exception_fp_ieee_div_zero 0
		.amdhsa_exception_fp_ieee_overflow 0
		.amdhsa_exception_fp_ieee_underflow 0
		.amdhsa_exception_fp_ieee_inexact 0
		.amdhsa_exception_int_div_zero 0
	.end_amdhsa_kernel
	.section	.text._ZN7rocprim17ROCPRIM_400000_NS6detail17trampoline_kernelINS0_14default_configENS1_29reduce_by_key_config_selectorIhlN6thrust23THRUST_200600_302600_NS4plusIlEEEEZZNS1_33reduce_by_key_impl_wrapped_configILNS1_25lookback_scan_determinismE0ES3_S9_PhNS6_17constant_iteratorIiNS6_11use_defaultESE_EENS6_10device_ptrIhEENSG_IlEEPmS8_NS6_8equal_toIhEEEE10hipError_tPvRmT2_T3_mT4_T5_T6_T7_T8_P12ihipStream_tbENKUlT_T0_E_clISt17integral_constantIbLb1EES12_IbLb0EEEEDaSY_SZ_EUlSY_E_NS1_11comp_targetILNS1_3genE4ELNS1_11target_archE910ELNS1_3gpuE8ELNS1_3repE0EEENS1_30default_config_static_selectorELNS0_4arch9wavefront6targetE1EEEvT1_,"axG",@progbits,_ZN7rocprim17ROCPRIM_400000_NS6detail17trampoline_kernelINS0_14default_configENS1_29reduce_by_key_config_selectorIhlN6thrust23THRUST_200600_302600_NS4plusIlEEEEZZNS1_33reduce_by_key_impl_wrapped_configILNS1_25lookback_scan_determinismE0ES3_S9_PhNS6_17constant_iteratorIiNS6_11use_defaultESE_EENS6_10device_ptrIhEENSG_IlEEPmS8_NS6_8equal_toIhEEEE10hipError_tPvRmT2_T3_mT4_T5_T6_T7_T8_P12ihipStream_tbENKUlT_T0_E_clISt17integral_constantIbLb1EES12_IbLb0EEEEDaSY_SZ_EUlSY_E_NS1_11comp_targetILNS1_3genE4ELNS1_11target_archE910ELNS1_3gpuE8ELNS1_3repE0EEENS1_30default_config_static_selectorELNS0_4arch9wavefront6targetE1EEEvT1_,comdat
.Lfunc_end386:
	.size	_ZN7rocprim17ROCPRIM_400000_NS6detail17trampoline_kernelINS0_14default_configENS1_29reduce_by_key_config_selectorIhlN6thrust23THRUST_200600_302600_NS4plusIlEEEEZZNS1_33reduce_by_key_impl_wrapped_configILNS1_25lookback_scan_determinismE0ES3_S9_PhNS6_17constant_iteratorIiNS6_11use_defaultESE_EENS6_10device_ptrIhEENSG_IlEEPmS8_NS6_8equal_toIhEEEE10hipError_tPvRmT2_T3_mT4_T5_T6_T7_T8_P12ihipStream_tbENKUlT_T0_E_clISt17integral_constantIbLb1EES12_IbLb0EEEEDaSY_SZ_EUlSY_E_NS1_11comp_targetILNS1_3genE4ELNS1_11target_archE910ELNS1_3gpuE8ELNS1_3repE0EEENS1_30default_config_static_selectorELNS0_4arch9wavefront6targetE1EEEvT1_, .Lfunc_end386-_ZN7rocprim17ROCPRIM_400000_NS6detail17trampoline_kernelINS0_14default_configENS1_29reduce_by_key_config_selectorIhlN6thrust23THRUST_200600_302600_NS4plusIlEEEEZZNS1_33reduce_by_key_impl_wrapped_configILNS1_25lookback_scan_determinismE0ES3_S9_PhNS6_17constant_iteratorIiNS6_11use_defaultESE_EENS6_10device_ptrIhEENSG_IlEEPmS8_NS6_8equal_toIhEEEE10hipError_tPvRmT2_T3_mT4_T5_T6_T7_T8_P12ihipStream_tbENKUlT_T0_E_clISt17integral_constantIbLb1EES12_IbLb0EEEEDaSY_SZ_EUlSY_E_NS1_11comp_targetILNS1_3genE4ELNS1_11target_archE910ELNS1_3gpuE8ELNS1_3repE0EEENS1_30default_config_static_selectorELNS0_4arch9wavefront6targetE1EEEvT1_
                                        ; -- End function
	.set _ZN7rocprim17ROCPRIM_400000_NS6detail17trampoline_kernelINS0_14default_configENS1_29reduce_by_key_config_selectorIhlN6thrust23THRUST_200600_302600_NS4plusIlEEEEZZNS1_33reduce_by_key_impl_wrapped_configILNS1_25lookback_scan_determinismE0ES3_S9_PhNS6_17constant_iteratorIiNS6_11use_defaultESE_EENS6_10device_ptrIhEENSG_IlEEPmS8_NS6_8equal_toIhEEEE10hipError_tPvRmT2_T3_mT4_T5_T6_T7_T8_P12ihipStream_tbENKUlT_T0_E_clISt17integral_constantIbLb1EES12_IbLb0EEEEDaSY_SZ_EUlSY_E_NS1_11comp_targetILNS1_3genE4ELNS1_11target_archE910ELNS1_3gpuE8ELNS1_3repE0EEENS1_30default_config_static_selectorELNS0_4arch9wavefront6targetE1EEEvT1_.num_vgpr, 0
	.set _ZN7rocprim17ROCPRIM_400000_NS6detail17trampoline_kernelINS0_14default_configENS1_29reduce_by_key_config_selectorIhlN6thrust23THRUST_200600_302600_NS4plusIlEEEEZZNS1_33reduce_by_key_impl_wrapped_configILNS1_25lookback_scan_determinismE0ES3_S9_PhNS6_17constant_iteratorIiNS6_11use_defaultESE_EENS6_10device_ptrIhEENSG_IlEEPmS8_NS6_8equal_toIhEEEE10hipError_tPvRmT2_T3_mT4_T5_T6_T7_T8_P12ihipStream_tbENKUlT_T0_E_clISt17integral_constantIbLb1EES12_IbLb0EEEEDaSY_SZ_EUlSY_E_NS1_11comp_targetILNS1_3genE4ELNS1_11target_archE910ELNS1_3gpuE8ELNS1_3repE0EEENS1_30default_config_static_selectorELNS0_4arch9wavefront6targetE1EEEvT1_.num_agpr, 0
	.set _ZN7rocprim17ROCPRIM_400000_NS6detail17trampoline_kernelINS0_14default_configENS1_29reduce_by_key_config_selectorIhlN6thrust23THRUST_200600_302600_NS4plusIlEEEEZZNS1_33reduce_by_key_impl_wrapped_configILNS1_25lookback_scan_determinismE0ES3_S9_PhNS6_17constant_iteratorIiNS6_11use_defaultESE_EENS6_10device_ptrIhEENSG_IlEEPmS8_NS6_8equal_toIhEEEE10hipError_tPvRmT2_T3_mT4_T5_T6_T7_T8_P12ihipStream_tbENKUlT_T0_E_clISt17integral_constantIbLb1EES12_IbLb0EEEEDaSY_SZ_EUlSY_E_NS1_11comp_targetILNS1_3genE4ELNS1_11target_archE910ELNS1_3gpuE8ELNS1_3repE0EEENS1_30default_config_static_selectorELNS0_4arch9wavefront6targetE1EEEvT1_.numbered_sgpr, 0
	.set _ZN7rocprim17ROCPRIM_400000_NS6detail17trampoline_kernelINS0_14default_configENS1_29reduce_by_key_config_selectorIhlN6thrust23THRUST_200600_302600_NS4plusIlEEEEZZNS1_33reduce_by_key_impl_wrapped_configILNS1_25lookback_scan_determinismE0ES3_S9_PhNS6_17constant_iteratorIiNS6_11use_defaultESE_EENS6_10device_ptrIhEENSG_IlEEPmS8_NS6_8equal_toIhEEEE10hipError_tPvRmT2_T3_mT4_T5_T6_T7_T8_P12ihipStream_tbENKUlT_T0_E_clISt17integral_constantIbLb1EES12_IbLb0EEEEDaSY_SZ_EUlSY_E_NS1_11comp_targetILNS1_3genE4ELNS1_11target_archE910ELNS1_3gpuE8ELNS1_3repE0EEENS1_30default_config_static_selectorELNS0_4arch9wavefront6targetE1EEEvT1_.num_named_barrier, 0
	.set _ZN7rocprim17ROCPRIM_400000_NS6detail17trampoline_kernelINS0_14default_configENS1_29reduce_by_key_config_selectorIhlN6thrust23THRUST_200600_302600_NS4plusIlEEEEZZNS1_33reduce_by_key_impl_wrapped_configILNS1_25lookback_scan_determinismE0ES3_S9_PhNS6_17constant_iteratorIiNS6_11use_defaultESE_EENS6_10device_ptrIhEENSG_IlEEPmS8_NS6_8equal_toIhEEEE10hipError_tPvRmT2_T3_mT4_T5_T6_T7_T8_P12ihipStream_tbENKUlT_T0_E_clISt17integral_constantIbLb1EES12_IbLb0EEEEDaSY_SZ_EUlSY_E_NS1_11comp_targetILNS1_3genE4ELNS1_11target_archE910ELNS1_3gpuE8ELNS1_3repE0EEENS1_30default_config_static_selectorELNS0_4arch9wavefront6targetE1EEEvT1_.private_seg_size, 0
	.set _ZN7rocprim17ROCPRIM_400000_NS6detail17trampoline_kernelINS0_14default_configENS1_29reduce_by_key_config_selectorIhlN6thrust23THRUST_200600_302600_NS4plusIlEEEEZZNS1_33reduce_by_key_impl_wrapped_configILNS1_25lookback_scan_determinismE0ES3_S9_PhNS6_17constant_iteratorIiNS6_11use_defaultESE_EENS6_10device_ptrIhEENSG_IlEEPmS8_NS6_8equal_toIhEEEE10hipError_tPvRmT2_T3_mT4_T5_T6_T7_T8_P12ihipStream_tbENKUlT_T0_E_clISt17integral_constantIbLb1EES12_IbLb0EEEEDaSY_SZ_EUlSY_E_NS1_11comp_targetILNS1_3genE4ELNS1_11target_archE910ELNS1_3gpuE8ELNS1_3repE0EEENS1_30default_config_static_selectorELNS0_4arch9wavefront6targetE1EEEvT1_.uses_vcc, 0
	.set _ZN7rocprim17ROCPRIM_400000_NS6detail17trampoline_kernelINS0_14default_configENS1_29reduce_by_key_config_selectorIhlN6thrust23THRUST_200600_302600_NS4plusIlEEEEZZNS1_33reduce_by_key_impl_wrapped_configILNS1_25lookback_scan_determinismE0ES3_S9_PhNS6_17constant_iteratorIiNS6_11use_defaultESE_EENS6_10device_ptrIhEENSG_IlEEPmS8_NS6_8equal_toIhEEEE10hipError_tPvRmT2_T3_mT4_T5_T6_T7_T8_P12ihipStream_tbENKUlT_T0_E_clISt17integral_constantIbLb1EES12_IbLb0EEEEDaSY_SZ_EUlSY_E_NS1_11comp_targetILNS1_3genE4ELNS1_11target_archE910ELNS1_3gpuE8ELNS1_3repE0EEENS1_30default_config_static_selectorELNS0_4arch9wavefront6targetE1EEEvT1_.uses_flat_scratch, 0
	.set _ZN7rocprim17ROCPRIM_400000_NS6detail17trampoline_kernelINS0_14default_configENS1_29reduce_by_key_config_selectorIhlN6thrust23THRUST_200600_302600_NS4plusIlEEEEZZNS1_33reduce_by_key_impl_wrapped_configILNS1_25lookback_scan_determinismE0ES3_S9_PhNS6_17constant_iteratorIiNS6_11use_defaultESE_EENS6_10device_ptrIhEENSG_IlEEPmS8_NS6_8equal_toIhEEEE10hipError_tPvRmT2_T3_mT4_T5_T6_T7_T8_P12ihipStream_tbENKUlT_T0_E_clISt17integral_constantIbLb1EES12_IbLb0EEEEDaSY_SZ_EUlSY_E_NS1_11comp_targetILNS1_3genE4ELNS1_11target_archE910ELNS1_3gpuE8ELNS1_3repE0EEENS1_30default_config_static_selectorELNS0_4arch9wavefront6targetE1EEEvT1_.has_dyn_sized_stack, 0
	.set _ZN7rocprim17ROCPRIM_400000_NS6detail17trampoline_kernelINS0_14default_configENS1_29reduce_by_key_config_selectorIhlN6thrust23THRUST_200600_302600_NS4plusIlEEEEZZNS1_33reduce_by_key_impl_wrapped_configILNS1_25lookback_scan_determinismE0ES3_S9_PhNS6_17constant_iteratorIiNS6_11use_defaultESE_EENS6_10device_ptrIhEENSG_IlEEPmS8_NS6_8equal_toIhEEEE10hipError_tPvRmT2_T3_mT4_T5_T6_T7_T8_P12ihipStream_tbENKUlT_T0_E_clISt17integral_constantIbLb1EES12_IbLb0EEEEDaSY_SZ_EUlSY_E_NS1_11comp_targetILNS1_3genE4ELNS1_11target_archE910ELNS1_3gpuE8ELNS1_3repE0EEENS1_30default_config_static_selectorELNS0_4arch9wavefront6targetE1EEEvT1_.has_recursion, 0
	.set _ZN7rocprim17ROCPRIM_400000_NS6detail17trampoline_kernelINS0_14default_configENS1_29reduce_by_key_config_selectorIhlN6thrust23THRUST_200600_302600_NS4plusIlEEEEZZNS1_33reduce_by_key_impl_wrapped_configILNS1_25lookback_scan_determinismE0ES3_S9_PhNS6_17constant_iteratorIiNS6_11use_defaultESE_EENS6_10device_ptrIhEENSG_IlEEPmS8_NS6_8equal_toIhEEEE10hipError_tPvRmT2_T3_mT4_T5_T6_T7_T8_P12ihipStream_tbENKUlT_T0_E_clISt17integral_constantIbLb1EES12_IbLb0EEEEDaSY_SZ_EUlSY_E_NS1_11comp_targetILNS1_3genE4ELNS1_11target_archE910ELNS1_3gpuE8ELNS1_3repE0EEENS1_30default_config_static_selectorELNS0_4arch9wavefront6targetE1EEEvT1_.has_indirect_call, 0
	.section	.AMDGPU.csdata,"",@progbits
; Kernel info:
; codeLenInByte = 0
; TotalNumSgprs: 4
; NumVgprs: 0
; ScratchSize: 0
; MemoryBound: 0
; FloatMode: 240
; IeeeMode: 1
; LDSByteSize: 0 bytes/workgroup (compile time only)
; SGPRBlocks: 0
; VGPRBlocks: 0
; NumSGPRsForWavesPerEU: 4
; NumVGPRsForWavesPerEU: 1
; Occupancy: 10
; WaveLimiterHint : 0
; COMPUTE_PGM_RSRC2:SCRATCH_EN: 0
; COMPUTE_PGM_RSRC2:USER_SGPR: 6
; COMPUTE_PGM_RSRC2:TRAP_HANDLER: 0
; COMPUTE_PGM_RSRC2:TGID_X_EN: 1
; COMPUTE_PGM_RSRC2:TGID_Y_EN: 0
; COMPUTE_PGM_RSRC2:TGID_Z_EN: 0
; COMPUTE_PGM_RSRC2:TIDIG_COMP_CNT: 0
	.section	.text._ZN7rocprim17ROCPRIM_400000_NS6detail17trampoline_kernelINS0_14default_configENS1_29reduce_by_key_config_selectorIhlN6thrust23THRUST_200600_302600_NS4plusIlEEEEZZNS1_33reduce_by_key_impl_wrapped_configILNS1_25lookback_scan_determinismE0ES3_S9_PhNS6_17constant_iteratorIiNS6_11use_defaultESE_EENS6_10device_ptrIhEENSG_IlEEPmS8_NS6_8equal_toIhEEEE10hipError_tPvRmT2_T3_mT4_T5_T6_T7_T8_P12ihipStream_tbENKUlT_T0_E_clISt17integral_constantIbLb1EES12_IbLb0EEEEDaSY_SZ_EUlSY_E_NS1_11comp_targetILNS1_3genE3ELNS1_11target_archE908ELNS1_3gpuE7ELNS1_3repE0EEENS1_30default_config_static_selectorELNS0_4arch9wavefront6targetE1EEEvT1_,"axG",@progbits,_ZN7rocprim17ROCPRIM_400000_NS6detail17trampoline_kernelINS0_14default_configENS1_29reduce_by_key_config_selectorIhlN6thrust23THRUST_200600_302600_NS4plusIlEEEEZZNS1_33reduce_by_key_impl_wrapped_configILNS1_25lookback_scan_determinismE0ES3_S9_PhNS6_17constant_iteratorIiNS6_11use_defaultESE_EENS6_10device_ptrIhEENSG_IlEEPmS8_NS6_8equal_toIhEEEE10hipError_tPvRmT2_T3_mT4_T5_T6_T7_T8_P12ihipStream_tbENKUlT_T0_E_clISt17integral_constantIbLb1EES12_IbLb0EEEEDaSY_SZ_EUlSY_E_NS1_11comp_targetILNS1_3genE3ELNS1_11target_archE908ELNS1_3gpuE7ELNS1_3repE0EEENS1_30default_config_static_selectorELNS0_4arch9wavefront6targetE1EEEvT1_,comdat
	.protected	_ZN7rocprim17ROCPRIM_400000_NS6detail17trampoline_kernelINS0_14default_configENS1_29reduce_by_key_config_selectorIhlN6thrust23THRUST_200600_302600_NS4plusIlEEEEZZNS1_33reduce_by_key_impl_wrapped_configILNS1_25lookback_scan_determinismE0ES3_S9_PhNS6_17constant_iteratorIiNS6_11use_defaultESE_EENS6_10device_ptrIhEENSG_IlEEPmS8_NS6_8equal_toIhEEEE10hipError_tPvRmT2_T3_mT4_T5_T6_T7_T8_P12ihipStream_tbENKUlT_T0_E_clISt17integral_constantIbLb1EES12_IbLb0EEEEDaSY_SZ_EUlSY_E_NS1_11comp_targetILNS1_3genE3ELNS1_11target_archE908ELNS1_3gpuE7ELNS1_3repE0EEENS1_30default_config_static_selectorELNS0_4arch9wavefront6targetE1EEEvT1_ ; -- Begin function _ZN7rocprim17ROCPRIM_400000_NS6detail17trampoline_kernelINS0_14default_configENS1_29reduce_by_key_config_selectorIhlN6thrust23THRUST_200600_302600_NS4plusIlEEEEZZNS1_33reduce_by_key_impl_wrapped_configILNS1_25lookback_scan_determinismE0ES3_S9_PhNS6_17constant_iteratorIiNS6_11use_defaultESE_EENS6_10device_ptrIhEENSG_IlEEPmS8_NS6_8equal_toIhEEEE10hipError_tPvRmT2_T3_mT4_T5_T6_T7_T8_P12ihipStream_tbENKUlT_T0_E_clISt17integral_constantIbLb1EES12_IbLb0EEEEDaSY_SZ_EUlSY_E_NS1_11comp_targetILNS1_3genE3ELNS1_11target_archE908ELNS1_3gpuE7ELNS1_3repE0EEENS1_30default_config_static_selectorELNS0_4arch9wavefront6targetE1EEEvT1_
	.globl	_ZN7rocprim17ROCPRIM_400000_NS6detail17trampoline_kernelINS0_14default_configENS1_29reduce_by_key_config_selectorIhlN6thrust23THRUST_200600_302600_NS4plusIlEEEEZZNS1_33reduce_by_key_impl_wrapped_configILNS1_25lookback_scan_determinismE0ES3_S9_PhNS6_17constant_iteratorIiNS6_11use_defaultESE_EENS6_10device_ptrIhEENSG_IlEEPmS8_NS6_8equal_toIhEEEE10hipError_tPvRmT2_T3_mT4_T5_T6_T7_T8_P12ihipStream_tbENKUlT_T0_E_clISt17integral_constantIbLb1EES12_IbLb0EEEEDaSY_SZ_EUlSY_E_NS1_11comp_targetILNS1_3genE3ELNS1_11target_archE908ELNS1_3gpuE7ELNS1_3repE0EEENS1_30default_config_static_selectorELNS0_4arch9wavefront6targetE1EEEvT1_
	.p2align	8
	.type	_ZN7rocprim17ROCPRIM_400000_NS6detail17trampoline_kernelINS0_14default_configENS1_29reduce_by_key_config_selectorIhlN6thrust23THRUST_200600_302600_NS4plusIlEEEEZZNS1_33reduce_by_key_impl_wrapped_configILNS1_25lookback_scan_determinismE0ES3_S9_PhNS6_17constant_iteratorIiNS6_11use_defaultESE_EENS6_10device_ptrIhEENSG_IlEEPmS8_NS6_8equal_toIhEEEE10hipError_tPvRmT2_T3_mT4_T5_T6_T7_T8_P12ihipStream_tbENKUlT_T0_E_clISt17integral_constantIbLb1EES12_IbLb0EEEEDaSY_SZ_EUlSY_E_NS1_11comp_targetILNS1_3genE3ELNS1_11target_archE908ELNS1_3gpuE7ELNS1_3repE0EEENS1_30default_config_static_selectorELNS0_4arch9wavefront6targetE1EEEvT1_,@function
_ZN7rocprim17ROCPRIM_400000_NS6detail17trampoline_kernelINS0_14default_configENS1_29reduce_by_key_config_selectorIhlN6thrust23THRUST_200600_302600_NS4plusIlEEEEZZNS1_33reduce_by_key_impl_wrapped_configILNS1_25lookback_scan_determinismE0ES3_S9_PhNS6_17constant_iteratorIiNS6_11use_defaultESE_EENS6_10device_ptrIhEENSG_IlEEPmS8_NS6_8equal_toIhEEEE10hipError_tPvRmT2_T3_mT4_T5_T6_T7_T8_P12ihipStream_tbENKUlT_T0_E_clISt17integral_constantIbLb1EES12_IbLb0EEEEDaSY_SZ_EUlSY_E_NS1_11comp_targetILNS1_3genE3ELNS1_11target_archE908ELNS1_3gpuE7ELNS1_3repE0EEENS1_30default_config_static_selectorELNS0_4arch9wavefront6targetE1EEEvT1_: ; @_ZN7rocprim17ROCPRIM_400000_NS6detail17trampoline_kernelINS0_14default_configENS1_29reduce_by_key_config_selectorIhlN6thrust23THRUST_200600_302600_NS4plusIlEEEEZZNS1_33reduce_by_key_impl_wrapped_configILNS1_25lookback_scan_determinismE0ES3_S9_PhNS6_17constant_iteratorIiNS6_11use_defaultESE_EENS6_10device_ptrIhEENSG_IlEEPmS8_NS6_8equal_toIhEEEE10hipError_tPvRmT2_T3_mT4_T5_T6_T7_T8_P12ihipStream_tbENKUlT_T0_E_clISt17integral_constantIbLb1EES12_IbLb0EEEEDaSY_SZ_EUlSY_E_NS1_11comp_targetILNS1_3genE3ELNS1_11target_archE908ELNS1_3gpuE7ELNS1_3repE0EEENS1_30default_config_static_selectorELNS0_4arch9wavefront6targetE1EEEvT1_
; %bb.0:
	.section	.rodata,"a",@progbits
	.p2align	6, 0x0
	.amdhsa_kernel _ZN7rocprim17ROCPRIM_400000_NS6detail17trampoline_kernelINS0_14default_configENS1_29reduce_by_key_config_selectorIhlN6thrust23THRUST_200600_302600_NS4plusIlEEEEZZNS1_33reduce_by_key_impl_wrapped_configILNS1_25lookback_scan_determinismE0ES3_S9_PhNS6_17constant_iteratorIiNS6_11use_defaultESE_EENS6_10device_ptrIhEENSG_IlEEPmS8_NS6_8equal_toIhEEEE10hipError_tPvRmT2_T3_mT4_T5_T6_T7_T8_P12ihipStream_tbENKUlT_T0_E_clISt17integral_constantIbLb1EES12_IbLb0EEEEDaSY_SZ_EUlSY_E_NS1_11comp_targetILNS1_3genE3ELNS1_11target_archE908ELNS1_3gpuE7ELNS1_3repE0EEENS1_30default_config_static_selectorELNS0_4arch9wavefront6targetE1EEEvT1_
		.amdhsa_group_segment_fixed_size 0
		.amdhsa_private_segment_fixed_size 0
		.amdhsa_kernarg_size 144
		.amdhsa_user_sgpr_count 6
		.amdhsa_user_sgpr_private_segment_buffer 1
		.amdhsa_user_sgpr_dispatch_ptr 0
		.amdhsa_user_sgpr_queue_ptr 0
		.amdhsa_user_sgpr_kernarg_segment_ptr 1
		.amdhsa_user_sgpr_dispatch_id 0
		.amdhsa_user_sgpr_flat_scratch_init 0
		.amdhsa_user_sgpr_private_segment_size 0
		.amdhsa_uses_dynamic_stack 0
		.amdhsa_system_sgpr_private_segment_wavefront_offset 0
		.amdhsa_system_sgpr_workgroup_id_x 1
		.amdhsa_system_sgpr_workgroup_id_y 0
		.amdhsa_system_sgpr_workgroup_id_z 0
		.amdhsa_system_sgpr_workgroup_info 0
		.amdhsa_system_vgpr_workitem_id 0
		.amdhsa_next_free_vgpr 1
		.amdhsa_next_free_sgpr 0
		.amdhsa_reserve_vcc 0
		.amdhsa_reserve_flat_scratch 0
		.amdhsa_float_round_mode_32 0
		.amdhsa_float_round_mode_16_64 0
		.amdhsa_float_denorm_mode_32 3
		.amdhsa_float_denorm_mode_16_64 3
		.amdhsa_dx10_clamp 1
		.amdhsa_ieee_mode 1
		.amdhsa_fp16_overflow 0
		.amdhsa_exception_fp_ieee_invalid_op 0
		.amdhsa_exception_fp_denorm_src 0
		.amdhsa_exception_fp_ieee_div_zero 0
		.amdhsa_exception_fp_ieee_overflow 0
		.amdhsa_exception_fp_ieee_underflow 0
		.amdhsa_exception_fp_ieee_inexact 0
		.amdhsa_exception_int_div_zero 0
	.end_amdhsa_kernel
	.section	.text._ZN7rocprim17ROCPRIM_400000_NS6detail17trampoline_kernelINS0_14default_configENS1_29reduce_by_key_config_selectorIhlN6thrust23THRUST_200600_302600_NS4plusIlEEEEZZNS1_33reduce_by_key_impl_wrapped_configILNS1_25lookback_scan_determinismE0ES3_S9_PhNS6_17constant_iteratorIiNS6_11use_defaultESE_EENS6_10device_ptrIhEENSG_IlEEPmS8_NS6_8equal_toIhEEEE10hipError_tPvRmT2_T3_mT4_T5_T6_T7_T8_P12ihipStream_tbENKUlT_T0_E_clISt17integral_constantIbLb1EES12_IbLb0EEEEDaSY_SZ_EUlSY_E_NS1_11comp_targetILNS1_3genE3ELNS1_11target_archE908ELNS1_3gpuE7ELNS1_3repE0EEENS1_30default_config_static_selectorELNS0_4arch9wavefront6targetE1EEEvT1_,"axG",@progbits,_ZN7rocprim17ROCPRIM_400000_NS6detail17trampoline_kernelINS0_14default_configENS1_29reduce_by_key_config_selectorIhlN6thrust23THRUST_200600_302600_NS4plusIlEEEEZZNS1_33reduce_by_key_impl_wrapped_configILNS1_25lookback_scan_determinismE0ES3_S9_PhNS6_17constant_iteratorIiNS6_11use_defaultESE_EENS6_10device_ptrIhEENSG_IlEEPmS8_NS6_8equal_toIhEEEE10hipError_tPvRmT2_T3_mT4_T5_T6_T7_T8_P12ihipStream_tbENKUlT_T0_E_clISt17integral_constantIbLb1EES12_IbLb0EEEEDaSY_SZ_EUlSY_E_NS1_11comp_targetILNS1_3genE3ELNS1_11target_archE908ELNS1_3gpuE7ELNS1_3repE0EEENS1_30default_config_static_selectorELNS0_4arch9wavefront6targetE1EEEvT1_,comdat
.Lfunc_end387:
	.size	_ZN7rocprim17ROCPRIM_400000_NS6detail17trampoline_kernelINS0_14default_configENS1_29reduce_by_key_config_selectorIhlN6thrust23THRUST_200600_302600_NS4plusIlEEEEZZNS1_33reduce_by_key_impl_wrapped_configILNS1_25lookback_scan_determinismE0ES3_S9_PhNS6_17constant_iteratorIiNS6_11use_defaultESE_EENS6_10device_ptrIhEENSG_IlEEPmS8_NS6_8equal_toIhEEEE10hipError_tPvRmT2_T3_mT4_T5_T6_T7_T8_P12ihipStream_tbENKUlT_T0_E_clISt17integral_constantIbLb1EES12_IbLb0EEEEDaSY_SZ_EUlSY_E_NS1_11comp_targetILNS1_3genE3ELNS1_11target_archE908ELNS1_3gpuE7ELNS1_3repE0EEENS1_30default_config_static_selectorELNS0_4arch9wavefront6targetE1EEEvT1_, .Lfunc_end387-_ZN7rocprim17ROCPRIM_400000_NS6detail17trampoline_kernelINS0_14default_configENS1_29reduce_by_key_config_selectorIhlN6thrust23THRUST_200600_302600_NS4plusIlEEEEZZNS1_33reduce_by_key_impl_wrapped_configILNS1_25lookback_scan_determinismE0ES3_S9_PhNS6_17constant_iteratorIiNS6_11use_defaultESE_EENS6_10device_ptrIhEENSG_IlEEPmS8_NS6_8equal_toIhEEEE10hipError_tPvRmT2_T3_mT4_T5_T6_T7_T8_P12ihipStream_tbENKUlT_T0_E_clISt17integral_constantIbLb1EES12_IbLb0EEEEDaSY_SZ_EUlSY_E_NS1_11comp_targetILNS1_3genE3ELNS1_11target_archE908ELNS1_3gpuE7ELNS1_3repE0EEENS1_30default_config_static_selectorELNS0_4arch9wavefront6targetE1EEEvT1_
                                        ; -- End function
	.set _ZN7rocprim17ROCPRIM_400000_NS6detail17trampoline_kernelINS0_14default_configENS1_29reduce_by_key_config_selectorIhlN6thrust23THRUST_200600_302600_NS4plusIlEEEEZZNS1_33reduce_by_key_impl_wrapped_configILNS1_25lookback_scan_determinismE0ES3_S9_PhNS6_17constant_iteratorIiNS6_11use_defaultESE_EENS6_10device_ptrIhEENSG_IlEEPmS8_NS6_8equal_toIhEEEE10hipError_tPvRmT2_T3_mT4_T5_T6_T7_T8_P12ihipStream_tbENKUlT_T0_E_clISt17integral_constantIbLb1EES12_IbLb0EEEEDaSY_SZ_EUlSY_E_NS1_11comp_targetILNS1_3genE3ELNS1_11target_archE908ELNS1_3gpuE7ELNS1_3repE0EEENS1_30default_config_static_selectorELNS0_4arch9wavefront6targetE1EEEvT1_.num_vgpr, 0
	.set _ZN7rocprim17ROCPRIM_400000_NS6detail17trampoline_kernelINS0_14default_configENS1_29reduce_by_key_config_selectorIhlN6thrust23THRUST_200600_302600_NS4plusIlEEEEZZNS1_33reduce_by_key_impl_wrapped_configILNS1_25lookback_scan_determinismE0ES3_S9_PhNS6_17constant_iteratorIiNS6_11use_defaultESE_EENS6_10device_ptrIhEENSG_IlEEPmS8_NS6_8equal_toIhEEEE10hipError_tPvRmT2_T3_mT4_T5_T6_T7_T8_P12ihipStream_tbENKUlT_T0_E_clISt17integral_constantIbLb1EES12_IbLb0EEEEDaSY_SZ_EUlSY_E_NS1_11comp_targetILNS1_3genE3ELNS1_11target_archE908ELNS1_3gpuE7ELNS1_3repE0EEENS1_30default_config_static_selectorELNS0_4arch9wavefront6targetE1EEEvT1_.num_agpr, 0
	.set _ZN7rocprim17ROCPRIM_400000_NS6detail17trampoline_kernelINS0_14default_configENS1_29reduce_by_key_config_selectorIhlN6thrust23THRUST_200600_302600_NS4plusIlEEEEZZNS1_33reduce_by_key_impl_wrapped_configILNS1_25lookback_scan_determinismE0ES3_S9_PhNS6_17constant_iteratorIiNS6_11use_defaultESE_EENS6_10device_ptrIhEENSG_IlEEPmS8_NS6_8equal_toIhEEEE10hipError_tPvRmT2_T3_mT4_T5_T6_T7_T8_P12ihipStream_tbENKUlT_T0_E_clISt17integral_constantIbLb1EES12_IbLb0EEEEDaSY_SZ_EUlSY_E_NS1_11comp_targetILNS1_3genE3ELNS1_11target_archE908ELNS1_3gpuE7ELNS1_3repE0EEENS1_30default_config_static_selectorELNS0_4arch9wavefront6targetE1EEEvT1_.numbered_sgpr, 0
	.set _ZN7rocprim17ROCPRIM_400000_NS6detail17trampoline_kernelINS0_14default_configENS1_29reduce_by_key_config_selectorIhlN6thrust23THRUST_200600_302600_NS4plusIlEEEEZZNS1_33reduce_by_key_impl_wrapped_configILNS1_25lookback_scan_determinismE0ES3_S9_PhNS6_17constant_iteratorIiNS6_11use_defaultESE_EENS6_10device_ptrIhEENSG_IlEEPmS8_NS6_8equal_toIhEEEE10hipError_tPvRmT2_T3_mT4_T5_T6_T7_T8_P12ihipStream_tbENKUlT_T0_E_clISt17integral_constantIbLb1EES12_IbLb0EEEEDaSY_SZ_EUlSY_E_NS1_11comp_targetILNS1_3genE3ELNS1_11target_archE908ELNS1_3gpuE7ELNS1_3repE0EEENS1_30default_config_static_selectorELNS0_4arch9wavefront6targetE1EEEvT1_.num_named_barrier, 0
	.set _ZN7rocprim17ROCPRIM_400000_NS6detail17trampoline_kernelINS0_14default_configENS1_29reduce_by_key_config_selectorIhlN6thrust23THRUST_200600_302600_NS4plusIlEEEEZZNS1_33reduce_by_key_impl_wrapped_configILNS1_25lookback_scan_determinismE0ES3_S9_PhNS6_17constant_iteratorIiNS6_11use_defaultESE_EENS6_10device_ptrIhEENSG_IlEEPmS8_NS6_8equal_toIhEEEE10hipError_tPvRmT2_T3_mT4_T5_T6_T7_T8_P12ihipStream_tbENKUlT_T0_E_clISt17integral_constantIbLb1EES12_IbLb0EEEEDaSY_SZ_EUlSY_E_NS1_11comp_targetILNS1_3genE3ELNS1_11target_archE908ELNS1_3gpuE7ELNS1_3repE0EEENS1_30default_config_static_selectorELNS0_4arch9wavefront6targetE1EEEvT1_.private_seg_size, 0
	.set _ZN7rocprim17ROCPRIM_400000_NS6detail17trampoline_kernelINS0_14default_configENS1_29reduce_by_key_config_selectorIhlN6thrust23THRUST_200600_302600_NS4plusIlEEEEZZNS1_33reduce_by_key_impl_wrapped_configILNS1_25lookback_scan_determinismE0ES3_S9_PhNS6_17constant_iteratorIiNS6_11use_defaultESE_EENS6_10device_ptrIhEENSG_IlEEPmS8_NS6_8equal_toIhEEEE10hipError_tPvRmT2_T3_mT4_T5_T6_T7_T8_P12ihipStream_tbENKUlT_T0_E_clISt17integral_constantIbLb1EES12_IbLb0EEEEDaSY_SZ_EUlSY_E_NS1_11comp_targetILNS1_3genE3ELNS1_11target_archE908ELNS1_3gpuE7ELNS1_3repE0EEENS1_30default_config_static_selectorELNS0_4arch9wavefront6targetE1EEEvT1_.uses_vcc, 0
	.set _ZN7rocprim17ROCPRIM_400000_NS6detail17trampoline_kernelINS0_14default_configENS1_29reduce_by_key_config_selectorIhlN6thrust23THRUST_200600_302600_NS4plusIlEEEEZZNS1_33reduce_by_key_impl_wrapped_configILNS1_25lookback_scan_determinismE0ES3_S9_PhNS6_17constant_iteratorIiNS6_11use_defaultESE_EENS6_10device_ptrIhEENSG_IlEEPmS8_NS6_8equal_toIhEEEE10hipError_tPvRmT2_T3_mT4_T5_T6_T7_T8_P12ihipStream_tbENKUlT_T0_E_clISt17integral_constantIbLb1EES12_IbLb0EEEEDaSY_SZ_EUlSY_E_NS1_11comp_targetILNS1_3genE3ELNS1_11target_archE908ELNS1_3gpuE7ELNS1_3repE0EEENS1_30default_config_static_selectorELNS0_4arch9wavefront6targetE1EEEvT1_.uses_flat_scratch, 0
	.set _ZN7rocprim17ROCPRIM_400000_NS6detail17trampoline_kernelINS0_14default_configENS1_29reduce_by_key_config_selectorIhlN6thrust23THRUST_200600_302600_NS4plusIlEEEEZZNS1_33reduce_by_key_impl_wrapped_configILNS1_25lookback_scan_determinismE0ES3_S9_PhNS6_17constant_iteratorIiNS6_11use_defaultESE_EENS6_10device_ptrIhEENSG_IlEEPmS8_NS6_8equal_toIhEEEE10hipError_tPvRmT2_T3_mT4_T5_T6_T7_T8_P12ihipStream_tbENKUlT_T0_E_clISt17integral_constantIbLb1EES12_IbLb0EEEEDaSY_SZ_EUlSY_E_NS1_11comp_targetILNS1_3genE3ELNS1_11target_archE908ELNS1_3gpuE7ELNS1_3repE0EEENS1_30default_config_static_selectorELNS0_4arch9wavefront6targetE1EEEvT1_.has_dyn_sized_stack, 0
	.set _ZN7rocprim17ROCPRIM_400000_NS6detail17trampoline_kernelINS0_14default_configENS1_29reduce_by_key_config_selectorIhlN6thrust23THRUST_200600_302600_NS4plusIlEEEEZZNS1_33reduce_by_key_impl_wrapped_configILNS1_25lookback_scan_determinismE0ES3_S9_PhNS6_17constant_iteratorIiNS6_11use_defaultESE_EENS6_10device_ptrIhEENSG_IlEEPmS8_NS6_8equal_toIhEEEE10hipError_tPvRmT2_T3_mT4_T5_T6_T7_T8_P12ihipStream_tbENKUlT_T0_E_clISt17integral_constantIbLb1EES12_IbLb0EEEEDaSY_SZ_EUlSY_E_NS1_11comp_targetILNS1_3genE3ELNS1_11target_archE908ELNS1_3gpuE7ELNS1_3repE0EEENS1_30default_config_static_selectorELNS0_4arch9wavefront6targetE1EEEvT1_.has_recursion, 0
	.set _ZN7rocprim17ROCPRIM_400000_NS6detail17trampoline_kernelINS0_14default_configENS1_29reduce_by_key_config_selectorIhlN6thrust23THRUST_200600_302600_NS4plusIlEEEEZZNS1_33reduce_by_key_impl_wrapped_configILNS1_25lookback_scan_determinismE0ES3_S9_PhNS6_17constant_iteratorIiNS6_11use_defaultESE_EENS6_10device_ptrIhEENSG_IlEEPmS8_NS6_8equal_toIhEEEE10hipError_tPvRmT2_T3_mT4_T5_T6_T7_T8_P12ihipStream_tbENKUlT_T0_E_clISt17integral_constantIbLb1EES12_IbLb0EEEEDaSY_SZ_EUlSY_E_NS1_11comp_targetILNS1_3genE3ELNS1_11target_archE908ELNS1_3gpuE7ELNS1_3repE0EEENS1_30default_config_static_selectorELNS0_4arch9wavefront6targetE1EEEvT1_.has_indirect_call, 0
	.section	.AMDGPU.csdata,"",@progbits
; Kernel info:
; codeLenInByte = 0
; TotalNumSgprs: 4
; NumVgprs: 0
; ScratchSize: 0
; MemoryBound: 0
; FloatMode: 240
; IeeeMode: 1
; LDSByteSize: 0 bytes/workgroup (compile time only)
; SGPRBlocks: 0
; VGPRBlocks: 0
; NumSGPRsForWavesPerEU: 4
; NumVGPRsForWavesPerEU: 1
; Occupancy: 10
; WaveLimiterHint : 0
; COMPUTE_PGM_RSRC2:SCRATCH_EN: 0
; COMPUTE_PGM_RSRC2:USER_SGPR: 6
; COMPUTE_PGM_RSRC2:TRAP_HANDLER: 0
; COMPUTE_PGM_RSRC2:TGID_X_EN: 1
; COMPUTE_PGM_RSRC2:TGID_Y_EN: 0
; COMPUTE_PGM_RSRC2:TGID_Z_EN: 0
; COMPUTE_PGM_RSRC2:TIDIG_COMP_CNT: 0
	.section	.text._ZN7rocprim17ROCPRIM_400000_NS6detail17trampoline_kernelINS0_14default_configENS1_29reduce_by_key_config_selectorIhlN6thrust23THRUST_200600_302600_NS4plusIlEEEEZZNS1_33reduce_by_key_impl_wrapped_configILNS1_25lookback_scan_determinismE0ES3_S9_PhNS6_17constant_iteratorIiNS6_11use_defaultESE_EENS6_10device_ptrIhEENSG_IlEEPmS8_NS6_8equal_toIhEEEE10hipError_tPvRmT2_T3_mT4_T5_T6_T7_T8_P12ihipStream_tbENKUlT_T0_E_clISt17integral_constantIbLb1EES12_IbLb0EEEEDaSY_SZ_EUlSY_E_NS1_11comp_targetILNS1_3genE2ELNS1_11target_archE906ELNS1_3gpuE6ELNS1_3repE0EEENS1_30default_config_static_selectorELNS0_4arch9wavefront6targetE1EEEvT1_,"axG",@progbits,_ZN7rocprim17ROCPRIM_400000_NS6detail17trampoline_kernelINS0_14default_configENS1_29reduce_by_key_config_selectorIhlN6thrust23THRUST_200600_302600_NS4plusIlEEEEZZNS1_33reduce_by_key_impl_wrapped_configILNS1_25lookback_scan_determinismE0ES3_S9_PhNS6_17constant_iteratorIiNS6_11use_defaultESE_EENS6_10device_ptrIhEENSG_IlEEPmS8_NS6_8equal_toIhEEEE10hipError_tPvRmT2_T3_mT4_T5_T6_T7_T8_P12ihipStream_tbENKUlT_T0_E_clISt17integral_constantIbLb1EES12_IbLb0EEEEDaSY_SZ_EUlSY_E_NS1_11comp_targetILNS1_3genE2ELNS1_11target_archE906ELNS1_3gpuE6ELNS1_3repE0EEENS1_30default_config_static_selectorELNS0_4arch9wavefront6targetE1EEEvT1_,comdat
	.protected	_ZN7rocprim17ROCPRIM_400000_NS6detail17trampoline_kernelINS0_14default_configENS1_29reduce_by_key_config_selectorIhlN6thrust23THRUST_200600_302600_NS4plusIlEEEEZZNS1_33reduce_by_key_impl_wrapped_configILNS1_25lookback_scan_determinismE0ES3_S9_PhNS6_17constant_iteratorIiNS6_11use_defaultESE_EENS6_10device_ptrIhEENSG_IlEEPmS8_NS6_8equal_toIhEEEE10hipError_tPvRmT2_T3_mT4_T5_T6_T7_T8_P12ihipStream_tbENKUlT_T0_E_clISt17integral_constantIbLb1EES12_IbLb0EEEEDaSY_SZ_EUlSY_E_NS1_11comp_targetILNS1_3genE2ELNS1_11target_archE906ELNS1_3gpuE6ELNS1_3repE0EEENS1_30default_config_static_selectorELNS0_4arch9wavefront6targetE1EEEvT1_ ; -- Begin function _ZN7rocprim17ROCPRIM_400000_NS6detail17trampoline_kernelINS0_14default_configENS1_29reduce_by_key_config_selectorIhlN6thrust23THRUST_200600_302600_NS4plusIlEEEEZZNS1_33reduce_by_key_impl_wrapped_configILNS1_25lookback_scan_determinismE0ES3_S9_PhNS6_17constant_iteratorIiNS6_11use_defaultESE_EENS6_10device_ptrIhEENSG_IlEEPmS8_NS6_8equal_toIhEEEE10hipError_tPvRmT2_T3_mT4_T5_T6_T7_T8_P12ihipStream_tbENKUlT_T0_E_clISt17integral_constantIbLb1EES12_IbLb0EEEEDaSY_SZ_EUlSY_E_NS1_11comp_targetILNS1_3genE2ELNS1_11target_archE906ELNS1_3gpuE6ELNS1_3repE0EEENS1_30default_config_static_selectorELNS0_4arch9wavefront6targetE1EEEvT1_
	.globl	_ZN7rocprim17ROCPRIM_400000_NS6detail17trampoline_kernelINS0_14default_configENS1_29reduce_by_key_config_selectorIhlN6thrust23THRUST_200600_302600_NS4plusIlEEEEZZNS1_33reduce_by_key_impl_wrapped_configILNS1_25lookback_scan_determinismE0ES3_S9_PhNS6_17constant_iteratorIiNS6_11use_defaultESE_EENS6_10device_ptrIhEENSG_IlEEPmS8_NS6_8equal_toIhEEEE10hipError_tPvRmT2_T3_mT4_T5_T6_T7_T8_P12ihipStream_tbENKUlT_T0_E_clISt17integral_constantIbLb1EES12_IbLb0EEEEDaSY_SZ_EUlSY_E_NS1_11comp_targetILNS1_3genE2ELNS1_11target_archE906ELNS1_3gpuE6ELNS1_3repE0EEENS1_30default_config_static_selectorELNS0_4arch9wavefront6targetE1EEEvT1_
	.p2align	8
	.type	_ZN7rocprim17ROCPRIM_400000_NS6detail17trampoline_kernelINS0_14default_configENS1_29reduce_by_key_config_selectorIhlN6thrust23THRUST_200600_302600_NS4plusIlEEEEZZNS1_33reduce_by_key_impl_wrapped_configILNS1_25lookback_scan_determinismE0ES3_S9_PhNS6_17constant_iteratorIiNS6_11use_defaultESE_EENS6_10device_ptrIhEENSG_IlEEPmS8_NS6_8equal_toIhEEEE10hipError_tPvRmT2_T3_mT4_T5_T6_T7_T8_P12ihipStream_tbENKUlT_T0_E_clISt17integral_constantIbLb1EES12_IbLb0EEEEDaSY_SZ_EUlSY_E_NS1_11comp_targetILNS1_3genE2ELNS1_11target_archE906ELNS1_3gpuE6ELNS1_3repE0EEENS1_30default_config_static_selectorELNS0_4arch9wavefront6targetE1EEEvT1_,@function
_ZN7rocprim17ROCPRIM_400000_NS6detail17trampoline_kernelINS0_14default_configENS1_29reduce_by_key_config_selectorIhlN6thrust23THRUST_200600_302600_NS4plusIlEEEEZZNS1_33reduce_by_key_impl_wrapped_configILNS1_25lookback_scan_determinismE0ES3_S9_PhNS6_17constant_iteratorIiNS6_11use_defaultESE_EENS6_10device_ptrIhEENSG_IlEEPmS8_NS6_8equal_toIhEEEE10hipError_tPvRmT2_T3_mT4_T5_T6_T7_T8_P12ihipStream_tbENKUlT_T0_E_clISt17integral_constantIbLb1EES12_IbLb0EEEEDaSY_SZ_EUlSY_E_NS1_11comp_targetILNS1_3genE2ELNS1_11target_archE906ELNS1_3gpuE6ELNS1_3repE0EEENS1_30default_config_static_selectorELNS0_4arch9wavefront6targetE1EEEvT1_: ; @_ZN7rocprim17ROCPRIM_400000_NS6detail17trampoline_kernelINS0_14default_configENS1_29reduce_by_key_config_selectorIhlN6thrust23THRUST_200600_302600_NS4plusIlEEEEZZNS1_33reduce_by_key_impl_wrapped_configILNS1_25lookback_scan_determinismE0ES3_S9_PhNS6_17constant_iteratorIiNS6_11use_defaultESE_EENS6_10device_ptrIhEENSG_IlEEPmS8_NS6_8equal_toIhEEEE10hipError_tPvRmT2_T3_mT4_T5_T6_T7_T8_P12ihipStream_tbENKUlT_T0_E_clISt17integral_constantIbLb1EES12_IbLb0EEEEDaSY_SZ_EUlSY_E_NS1_11comp_targetILNS1_3genE2ELNS1_11target_archE906ELNS1_3gpuE6ELNS1_3repE0EEENS1_30default_config_static_selectorELNS0_4arch9wavefront6targetE1EEEvT1_
; %bb.0:
	s_endpgm
	.section	.rodata,"a",@progbits
	.p2align	6, 0x0
	.amdhsa_kernel _ZN7rocprim17ROCPRIM_400000_NS6detail17trampoline_kernelINS0_14default_configENS1_29reduce_by_key_config_selectorIhlN6thrust23THRUST_200600_302600_NS4plusIlEEEEZZNS1_33reduce_by_key_impl_wrapped_configILNS1_25lookback_scan_determinismE0ES3_S9_PhNS6_17constant_iteratorIiNS6_11use_defaultESE_EENS6_10device_ptrIhEENSG_IlEEPmS8_NS6_8equal_toIhEEEE10hipError_tPvRmT2_T3_mT4_T5_T6_T7_T8_P12ihipStream_tbENKUlT_T0_E_clISt17integral_constantIbLb1EES12_IbLb0EEEEDaSY_SZ_EUlSY_E_NS1_11comp_targetILNS1_3genE2ELNS1_11target_archE906ELNS1_3gpuE6ELNS1_3repE0EEENS1_30default_config_static_selectorELNS0_4arch9wavefront6targetE1EEEvT1_
		.amdhsa_group_segment_fixed_size 0
		.amdhsa_private_segment_fixed_size 0
		.amdhsa_kernarg_size 144
		.amdhsa_user_sgpr_count 6
		.amdhsa_user_sgpr_private_segment_buffer 1
		.amdhsa_user_sgpr_dispatch_ptr 0
		.amdhsa_user_sgpr_queue_ptr 0
		.amdhsa_user_sgpr_kernarg_segment_ptr 1
		.amdhsa_user_sgpr_dispatch_id 0
		.amdhsa_user_sgpr_flat_scratch_init 0
		.amdhsa_user_sgpr_private_segment_size 0
		.amdhsa_uses_dynamic_stack 0
		.amdhsa_system_sgpr_private_segment_wavefront_offset 0
		.amdhsa_system_sgpr_workgroup_id_x 1
		.amdhsa_system_sgpr_workgroup_id_y 0
		.amdhsa_system_sgpr_workgroup_id_z 0
		.amdhsa_system_sgpr_workgroup_info 0
		.amdhsa_system_vgpr_workitem_id 0
		.amdhsa_next_free_vgpr 1
		.amdhsa_next_free_sgpr 0
		.amdhsa_reserve_vcc 0
		.amdhsa_reserve_flat_scratch 0
		.amdhsa_float_round_mode_32 0
		.amdhsa_float_round_mode_16_64 0
		.amdhsa_float_denorm_mode_32 3
		.amdhsa_float_denorm_mode_16_64 3
		.amdhsa_dx10_clamp 1
		.amdhsa_ieee_mode 1
		.amdhsa_fp16_overflow 0
		.amdhsa_exception_fp_ieee_invalid_op 0
		.amdhsa_exception_fp_denorm_src 0
		.amdhsa_exception_fp_ieee_div_zero 0
		.amdhsa_exception_fp_ieee_overflow 0
		.amdhsa_exception_fp_ieee_underflow 0
		.amdhsa_exception_fp_ieee_inexact 0
		.amdhsa_exception_int_div_zero 0
	.end_amdhsa_kernel
	.section	.text._ZN7rocprim17ROCPRIM_400000_NS6detail17trampoline_kernelINS0_14default_configENS1_29reduce_by_key_config_selectorIhlN6thrust23THRUST_200600_302600_NS4plusIlEEEEZZNS1_33reduce_by_key_impl_wrapped_configILNS1_25lookback_scan_determinismE0ES3_S9_PhNS6_17constant_iteratorIiNS6_11use_defaultESE_EENS6_10device_ptrIhEENSG_IlEEPmS8_NS6_8equal_toIhEEEE10hipError_tPvRmT2_T3_mT4_T5_T6_T7_T8_P12ihipStream_tbENKUlT_T0_E_clISt17integral_constantIbLb1EES12_IbLb0EEEEDaSY_SZ_EUlSY_E_NS1_11comp_targetILNS1_3genE2ELNS1_11target_archE906ELNS1_3gpuE6ELNS1_3repE0EEENS1_30default_config_static_selectorELNS0_4arch9wavefront6targetE1EEEvT1_,"axG",@progbits,_ZN7rocprim17ROCPRIM_400000_NS6detail17trampoline_kernelINS0_14default_configENS1_29reduce_by_key_config_selectorIhlN6thrust23THRUST_200600_302600_NS4plusIlEEEEZZNS1_33reduce_by_key_impl_wrapped_configILNS1_25lookback_scan_determinismE0ES3_S9_PhNS6_17constant_iteratorIiNS6_11use_defaultESE_EENS6_10device_ptrIhEENSG_IlEEPmS8_NS6_8equal_toIhEEEE10hipError_tPvRmT2_T3_mT4_T5_T6_T7_T8_P12ihipStream_tbENKUlT_T0_E_clISt17integral_constantIbLb1EES12_IbLb0EEEEDaSY_SZ_EUlSY_E_NS1_11comp_targetILNS1_3genE2ELNS1_11target_archE906ELNS1_3gpuE6ELNS1_3repE0EEENS1_30default_config_static_selectorELNS0_4arch9wavefront6targetE1EEEvT1_,comdat
.Lfunc_end388:
	.size	_ZN7rocprim17ROCPRIM_400000_NS6detail17trampoline_kernelINS0_14default_configENS1_29reduce_by_key_config_selectorIhlN6thrust23THRUST_200600_302600_NS4plusIlEEEEZZNS1_33reduce_by_key_impl_wrapped_configILNS1_25lookback_scan_determinismE0ES3_S9_PhNS6_17constant_iteratorIiNS6_11use_defaultESE_EENS6_10device_ptrIhEENSG_IlEEPmS8_NS6_8equal_toIhEEEE10hipError_tPvRmT2_T3_mT4_T5_T6_T7_T8_P12ihipStream_tbENKUlT_T0_E_clISt17integral_constantIbLb1EES12_IbLb0EEEEDaSY_SZ_EUlSY_E_NS1_11comp_targetILNS1_3genE2ELNS1_11target_archE906ELNS1_3gpuE6ELNS1_3repE0EEENS1_30default_config_static_selectorELNS0_4arch9wavefront6targetE1EEEvT1_, .Lfunc_end388-_ZN7rocprim17ROCPRIM_400000_NS6detail17trampoline_kernelINS0_14default_configENS1_29reduce_by_key_config_selectorIhlN6thrust23THRUST_200600_302600_NS4plusIlEEEEZZNS1_33reduce_by_key_impl_wrapped_configILNS1_25lookback_scan_determinismE0ES3_S9_PhNS6_17constant_iteratorIiNS6_11use_defaultESE_EENS6_10device_ptrIhEENSG_IlEEPmS8_NS6_8equal_toIhEEEE10hipError_tPvRmT2_T3_mT4_T5_T6_T7_T8_P12ihipStream_tbENKUlT_T0_E_clISt17integral_constantIbLb1EES12_IbLb0EEEEDaSY_SZ_EUlSY_E_NS1_11comp_targetILNS1_3genE2ELNS1_11target_archE906ELNS1_3gpuE6ELNS1_3repE0EEENS1_30default_config_static_selectorELNS0_4arch9wavefront6targetE1EEEvT1_
                                        ; -- End function
	.set _ZN7rocprim17ROCPRIM_400000_NS6detail17trampoline_kernelINS0_14default_configENS1_29reduce_by_key_config_selectorIhlN6thrust23THRUST_200600_302600_NS4plusIlEEEEZZNS1_33reduce_by_key_impl_wrapped_configILNS1_25lookback_scan_determinismE0ES3_S9_PhNS6_17constant_iteratorIiNS6_11use_defaultESE_EENS6_10device_ptrIhEENSG_IlEEPmS8_NS6_8equal_toIhEEEE10hipError_tPvRmT2_T3_mT4_T5_T6_T7_T8_P12ihipStream_tbENKUlT_T0_E_clISt17integral_constantIbLb1EES12_IbLb0EEEEDaSY_SZ_EUlSY_E_NS1_11comp_targetILNS1_3genE2ELNS1_11target_archE906ELNS1_3gpuE6ELNS1_3repE0EEENS1_30default_config_static_selectorELNS0_4arch9wavefront6targetE1EEEvT1_.num_vgpr, 0
	.set _ZN7rocprim17ROCPRIM_400000_NS6detail17trampoline_kernelINS0_14default_configENS1_29reduce_by_key_config_selectorIhlN6thrust23THRUST_200600_302600_NS4plusIlEEEEZZNS1_33reduce_by_key_impl_wrapped_configILNS1_25lookback_scan_determinismE0ES3_S9_PhNS6_17constant_iteratorIiNS6_11use_defaultESE_EENS6_10device_ptrIhEENSG_IlEEPmS8_NS6_8equal_toIhEEEE10hipError_tPvRmT2_T3_mT4_T5_T6_T7_T8_P12ihipStream_tbENKUlT_T0_E_clISt17integral_constantIbLb1EES12_IbLb0EEEEDaSY_SZ_EUlSY_E_NS1_11comp_targetILNS1_3genE2ELNS1_11target_archE906ELNS1_3gpuE6ELNS1_3repE0EEENS1_30default_config_static_selectorELNS0_4arch9wavefront6targetE1EEEvT1_.num_agpr, 0
	.set _ZN7rocprim17ROCPRIM_400000_NS6detail17trampoline_kernelINS0_14default_configENS1_29reduce_by_key_config_selectorIhlN6thrust23THRUST_200600_302600_NS4plusIlEEEEZZNS1_33reduce_by_key_impl_wrapped_configILNS1_25lookback_scan_determinismE0ES3_S9_PhNS6_17constant_iteratorIiNS6_11use_defaultESE_EENS6_10device_ptrIhEENSG_IlEEPmS8_NS6_8equal_toIhEEEE10hipError_tPvRmT2_T3_mT4_T5_T6_T7_T8_P12ihipStream_tbENKUlT_T0_E_clISt17integral_constantIbLb1EES12_IbLb0EEEEDaSY_SZ_EUlSY_E_NS1_11comp_targetILNS1_3genE2ELNS1_11target_archE906ELNS1_3gpuE6ELNS1_3repE0EEENS1_30default_config_static_selectorELNS0_4arch9wavefront6targetE1EEEvT1_.numbered_sgpr, 0
	.set _ZN7rocprim17ROCPRIM_400000_NS6detail17trampoline_kernelINS0_14default_configENS1_29reduce_by_key_config_selectorIhlN6thrust23THRUST_200600_302600_NS4plusIlEEEEZZNS1_33reduce_by_key_impl_wrapped_configILNS1_25lookback_scan_determinismE0ES3_S9_PhNS6_17constant_iteratorIiNS6_11use_defaultESE_EENS6_10device_ptrIhEENSG_IlEEPmS8_NS6_8equal_toIhEEEE10hipError_tPvRmT2_T3_mT4_T5_T6_T7_T8_P12ihipStream_tbENKUlT_T0_E_clISt17integral_constantIbLb1EES12_IbLb0EEEEDaSY_SZ_EUlSY_E_NS1_11comp_targetILNS1_3genE2ELNS1_11target_archE906ELNS1_3gpuE6ELNS1_3repE0EEENS1_30default_config_static_selectorELNS0_4arch9wavefront6targetE1EEEvT1_.num_named_barrier, 0
	.set _ZN7rocprim17ROCPRIM_400000_NS6detail17trampoline_kernelINS0_14default_configENS1_29reduce_by_key_config_selectorIhlN6thrust23THRUST_200600_302600_NS4plusIlEEEEZZNS1_33reduce_by_key_impl_wrapped_configILNS1_25lookback_scan_determinismE0ES3_S9_PhNS6_17constant_iteratorIiNS6_11use_defaultESE_EENS6_10device_ptrIhEENSG_IlEEPmS8_NS6_8equal_toIhEEEE10hipError_tPvRmT2_T3_mT4_T5_T6_T7_T8_P12ihipStream_tbENKUlT_T0_E_clISt17integral_constantIbLb1EES12_IbLb0EEEEDaSY_SZ_EUlSY_E_NS1_11comp_targetILNS1_3genE2ELNS1_11target_archE906ELNS1_3gpuE6ELNS1_3repE0EEENS1_30default_config_static_selectorELNS0_4arch9wavefront6targetE1EEEvT1_.private_seg_size, 0
	.set _ZN7rocprim17ROCPRIM_400000_NS6detail17trampoline_kernelINS0_14default_configENS1_29reduce_by_key_config_selectorIhlN6thrust23THRUST_200600_302600_NS4plusIlEEEEZZNS1_33reduce_by_key_impl_wrapped_configILNS1_25lookback_scan_determinismE0ES3_S9_PhNS6_17constant_iteratorIiNS6_11use_defaultESE_EENS6_10device_ptrIhEENSG_IlEEPmS8_NS6_8equal_toIhEEEE10hipError_tPvRmT2_T3_mT4_T5_T6_T7_T8_P12ihipStream_tbENKUlT_T0_E_clISt17integral_constantIbLb1EES12_IbLb0EEEEDaSY_SZ_EUlSY_E_NS1_11comp_targetILNS1_3genE2ELNS1_11target_archE906ELNS1_3gpuE6ELNS1_3repE0EEENS1_30default_config_static_selectorELNS0_4arch9wavefront6targetE1EEEvT1_.uses_vcc, 0
	.set _ZN7rocprim17ROCPRIM_400000_NS6detail17trampoline_kernelINS0_14default_configENS1_29reduce_by_key_config_selectorIhlN6thrust23THRUST_200600_302600_NS4plusIlEEEEZZNS1_33reduce_by_key_impl_wrapped_configILNS1_25lookback_scan_determinismE0ES3_S9_PhNS6_17constant_iteratorIiNS6_11use_defaultESE_EENS6_10device_ptrIhEENSG_IlEEPmS8_NS6_8equal_toIhEEEE10hipError_tPvRmT2_T3_mT4_T5_T6_T7_T8_P12ihipStream_tbENKUlT_T0_E_clISt17integral_constantIbLb1EES12_IbLb0EEEEDaSY_SZ_EUlSY_E_NS1_11comp_targetILNS1_3genE2ELNS1_11target_archE906ELNS1_3gpuE6ELNS1_3repE0EEENS1_30default_config_static_selectorELNS0_4arch9wavefront6targetE1EEEvT1_.uses_flat_scratch, 0
	.set _ZN7rocprim17ROCPRIM_400000_NS6detail17trampoline_kernelINS0_14default_configENS1_29reduce_by_key_config_selectorIhlN6thrust23THRUST_200600_302600_NS4plusIlEEEEZZNS1_33reduce_by_key_impl_wrapped_configILNS1_25lookback_scan_determinismE0ES3_S9_PhNS6_17constant_iteratorIiNS6_11use_defaultESE_EENS6_10device_ptrIhEENSG_IlEEPmS8_NS6_8equal_toIhEEEE10hipError_tPvRmT2_T3_mT4_T5_T6_T7_T8_P12ihipStream_tbENKUlT_T0_E_clISt17integral_constantIbLb1EES12_IbLb0EEEEDaSY_SZ_EUlSY_E_NS1_11comp_targetILNS1_3genE2ELNS1_11target_archE906ELNS1_3gpuE6ELNS1_3repE0EEENS1_30default_config_static_selectorELNS0_4arch9wavefront6targetE1EEEvT1_.has_dyn_sized_stack, 0
	.set _ZN7rocprim17ROCPRIM_400000_NS6detail17trampoline_kernelINS0_14default_configENS1_29reduce_by_key_config_selectorIhlN6thrust23THRUST_200600_302600_NS4plusIlEEEEZZNS1_33reduce_by_key_impl_wrapped_configILNS1_25lookback_scan_determinismE0ES3_S9_PhNS6_17constant_iteratorIiNS6_11use_defaultESE_EENS6_10device_ptrIhEENSG_IlEEPmS8_NS6_8equal_toIhEEEE10hipError_tPvRmT2_T3_mT4_T5_T6_T7_T8_P12ihipStream_tbENKUlT_T0_E_clISt17integral_constantIbLb1EES12_IbLb0EEEEDaSY_SZ_EUlSY_E_NS1_11comp_targetILNS1_3genE2ELNS1_11target_archE906ELNS1_3gpuE6ELNS1_3repE0EEENS1_30default_config_static_selectorELNS0_4arch9wavefront6targetE1EEEvT1_.has_recursion, 0
	.set _ZN7rocprim17ROCPRIM_400000_NS6detail17trampoline_kernelINS0_14default_configENS1_29reduce_by_key_config_selectorIhlN6thrust23THRUST_200600_302600_NS4plusIlEEEEZZNS1_33reduce_by_key_impl_wrapped_configILNS1_25lookback_scan_determinismE0ES3_S9_PhNS6_17constant_iteratorIiNS6_11use_defaultESE_EENS6_10device_ptrIhEENSG_IlEEPmS8_NS6_8equal_toIhEEEE10hipError_tPvRmT2_T3_mT4_T5_T6_T7_T8_P12ihipStream_tbENKUlT_T0_E_clISt17integral_constantIbLb1EES12_IbLb0EEEEDaSY_SZ_EUlSY_E_NS1_11comp_targetILNS1_3genE2ELNS1_11target_archE906ELNS1_3gpuE6ELNS1_3repE0EEENS1_30default_config_static_selectorELNS0_4arch9wavefront6targetE1EEEvT1_.has_indirect_call, 0
	.section	.AMDGPU.csdata,"",@progbits
; Kernel info:
; codeLenInByte = 4
; TotalNumSgprs: 4
; NumVgprs: 0
; ScratchSize: 0
; MemoryBound: 0
; FloatMode: 240
; IeeeMode: 1
; LDSByteSize: 0 bytes/workgroup (compile time only)
; SGPRBlocks: 0
; VGPRBlocks: 0
; NumSGPRsForWavesPerEU: 4
; NumVGPRsForWavesPerEU: 1
; Occupancy: 10
; WaveLimiterHint : 0
; COMPUTE_PGM_RSRC2:SCRATCH_EN: 0
; COMPUTE_PGM_RSRC2:USER_SGPR: 6
; COMPUTE_PGM_RSRC2:TRAP_HANDLER: 0
; COMPUTE_PGM_RSRC2:TGID_X_EN: 1
; COMPUTE_PGM_RSRC2:TGID_Y_EN: 0
; COMPUTE_PGM_RSRC2:TGID_Z_EN: 0
; COMPUTE_PGM_RSRC2:TIDIG_COMP_CNT: 0
	.section	.text._ZN7rocprim17ROCPRIM_400000_NS6detail17trampoline_kernelINS0_14default_configENS1_29reduce_by_key_config_selectorIhlN6thrust23THRUST_200600_302600_NS4plusIlEEEEZZNS1_33reduce_by_key_impl_wrapped_configILNS1_25lookback_scan_determinismE0ES3_S9_PhNS6_17constant_iteratorIiNS6_11use_defaultESE_EENS6_10device_ptrIhEENSG_IlEEPmS8_NS6_8equal_toIhEEEE10hipError_tPvRmT2_T3_mT4_T5_T6_T7_T8_P12ihipStream_tbENKUlT_T0_E_clISt17integral_constantIbLb1EES12_IbLb0EEEEDaSY_SZ_EUlSY_E_NS1_11comp_targetILNS1_3genE10ELNS1_11target_archE1201ELNS1_3gpuE5ELNS1_3repE0EEENS1_30default_config_static_selectorELNS0_4arch9wavefront6targetE1EEEvT1_,"axG",@progbits,_ZN7rocprim17ROCPRIM_400000_NS6detail17trampoline_kernelINS0_14default_configENS1_29reduce_by_key_config_selectorIhlN6thrust23THRUST_200600_302600_NS4plusIlEEEEZZNS1_33reduce_by_key_impl_wrapped_configILNS1_25lookback_scan_determinismE0ES3_S9_PhNS6_17constant_iteratorIiNS6_11use_defaultESE_EENS6_10device_ptrIhEENSG_IlEEPmS8_NS6_8equal_toIhEEEE10hipError_tPvRmT2_T3_mT4_T5_T6_T7_T8_P12ihipStream_tbENKUlT_T0_E_clISt17integral_constantIbLb1EES12_IbLb0EEEEDaSY_SZ_EUlSY_E_NS1_11comp_targetILNS1_3genE10ELNS1_11target_archE1201ELNS1_3gpuE5ELNS1_3repE0EEENS1_30default_config_static_selectorELNS0_4arch9wavefront6targetE1EEEvT1_,comdat
	.protected	_ZN7rocprim17ROCPRIM_400000_NS6detail17trampoline_kernelINS0_14default_configENS1_29reduce_by_key_config_selectorIhlN6thrust23THRUST_200600_302600_NS4plusIlEEEEZZNS1_33reduce_by_key_impl_wrapped_configILNS1_25lookback_scan_determinismE0ES3_S9_PhNS6_17constant_iteratorIiNS6_11use_defaultESE_EENS6_10device_ptrIhEENSG_IlEEPmS8_NS6_8equal_toIhEEEE10hipError_tPvRmT2_T3_mT4_T5_T6_T7_T8_P12ihipStream_tbENKUlT_T0_E_clISt17integral_constantIbLb1EES12_IbLb0EEEEDaSY_SZ_EUlSY_E_NS1_11comp_targetILNS1_3genE10ELNS1_11target_archE1201ELNS1_3gpuE5ELNS1_3repE0EEENS1_30default_config_static_selectorELNS0_4arch9wavefront6targetE1EEEvT1_ ; -- Begin function _ZN7rocprim17ROCPRIM_400000_NS6detail17trampoline_kernelINS0_14default_configENS1_29reduce_by_key_config_selectorIhlN6thrust23THRUST_200600_302600_NS4plusIlEEEEZZNS1_33reduce_by_key_impl_wrapped_configILNS1_25lookback_scan_determinismE0ES3_S9_PhNS6_17constant_iteratorIiNS6_11use_defaultESE_EENS6_10device_ptrIhEENSG_IlEEPmS8_NS6_8equal_toIhEEEE10hipError_tPvRmT2_T3_mT4_T5_T6_T7_T8_P12ihipStream_tbENKUlT_T0_E_clISt17integral_constantIbLb1EES12_IbLb0EEEEDaSY_SZ_EUlSY_E_NS1_11comp_targetILNS1_3genE10ELNS1_11target_archE1201ELNS1_3gpuE5ELNS1_3repE0EEENS1_30default_config_static_selectorELNS0_4arch9wavefront6targetE1EEEvT1_
	.globl	_ZN7rocprim17ROCPRIM_400000_NS6detail17trampoline_kernelINS0_14default_configENS1_29reduce_by_key_config_selectorIhlN6thrust23THRUST_200600_302600_NS4plusIlEEEEZZNS1_33reduce_by_key_impl_wrapped_configILNS1_25lookback_scan_determinismE0ES3_S9_PhNS6_17constant_iteratorIiNS6_11use_defaultESE_EENS6_10device_ptrIhEENSG_IlEEPmS8_NS6_8equal_toIhEEEE10hipError_tPvRmT2_T3_mT4_T5_T6_T7_T8_P12ihipStream_tbENKUlT_T0_E_clISt17integral_constantIbLb1EES12_IbLb0EEEEDaSY_SZ_EUlSY_E_NS1_11comp_targetILNS1_3genE10ELNS1_11target_archE1201ELNS1_3gpuE5ELNS1_3repE0EEENS1_30default_config_static_selectorELNS0_4arch9wavefront6targetE1EEEvT1_
	.p2align	8
	.type	_ZN7rocprim17ROCPRIM_400000_NS6detail17trampoline_kernelINS0_14default_configENS1_29reduce_by_key_config_selectorIhlN6thrust23THRUST_200600_302600_NS4plusIlEEEEZZNS1_33reduce_by_key_impl_wrapped_configILNS1_25lookback_scan_determinismE0ES3_S9_PhNS6_17constant_iteratorIiNS6_11use_defaultESE_EENS6_10device_ptrIhEENSG_IlEEPmS8_NS6_8equal_toIhEEEE10hipError_tPvRmT2_T3_mT4_T5_T6_T7_T8_P12ihipStream_tbENKUlT_T0_E_clISt17integral_constantIbLb1EES12_IbLb0EEEEDaSY_SZ_EUlSY_E_NS1_11comp_targetILNS1_3genE10ELNS1_11target_archE1201ELNS1_3gpuE5ELNS1_3repE0EEENS1_30default_config_static_selectorELNS0_4arch9wavefront6targetE1EEEvT1_,@function
_ZN7rocprim17ROCPRIM_400000_NS6detail17trampoline_kernelINS0_14default_configENS1_29reduce_by_key_config_selectorIhlN6thrust23THRUST_200600_302600_NS4plusIlEEEEZZNS1_33reduce_by_key_impl_wrapped_configILNS1_25lookback_scan_determinismE0ES3_S9_PhNS6_17constant_iteratorIiNS6_11use_defaultESE_EENS6_10device_ptrIhEENSG_IlEEPmS8_NS6_8equal_toIhEEEE10hipError_tPvRmT2_T3_mT4_T5_T6_T7_T8_P12ihipStream_tbENKUlT_T0_E_clISt17integral_constantIbLb1EES12_IbLb0EEEEDaSY_SZ_EUlSY_E_NS1_11comp_targetILNS1_3genE10ELNS1_11target_archE1201ELNS1_3gpuE5ELNS1_3repE0EEENS1_30default_config_static_selectorELNS0_4arch9wavefront6targetE1EEEvT1_: ; @_ZN7rocprim17ROCPRIM_400000_NS6detail17trampoline_kernelINS0_14default_configENS1_29reduce_by_key_config_selectorIhlN6thrust23THRUST_200600_302600_NS4plusIlEEEEZZNS1_33reduce_by_key_impl_wrapped_configILNS1_25lookback_scan_determinismE0ES3_S9_PhNS6_17constant_iteratorIiNS6_11use_defaultESE_EENS6_10device_ptrIhEENSG_IlEEPmS8_NS6_8equal_toIhEEEE10hipError_tPvRmT2_T3_mT4_T5_T6_T7_T8_P12ihipStream_tbENKUlT_T0_E_clISt17integral_constantIbLb1EES12_IbLb0EEEEDaSY_SZ_EUlSY_E_NS1_11comp_targetILNS1_3genE10ELNS1_11target_archE1201ELNS1_3gpuE5ELNS1_3repE0EEENS1_30default_config_static_selectorELNS0_4arch9wavefront6targetE1EEEvT1_
; %bb.0:
	.section	.rodata,"a",@progbits
	.p2align	6, 0x0
	.amdhsa_kernel _ZN7rocprim17ROCPRIM_400000_NS6detail17trampoline_kernelINS0_14default_configENS1_29reduce_by_key_config_selectorIhlN6thrust23THRUST_200600_302600_NS4plusIlEEEEZZNS1_33reduce_by_key_impl_wrapped_configILNS1_25lookback_scan_determinismE0ES3_S9_PhNS6_17constant_iteratorIiNS6_11use_defaultESE_EENS6_10device_ptrIhEENSG_IlEEPmS8_NS6_8equal_toIhEEEE10hipError_tPvRmT2_T3_mT4_T5_T6_T7_T8_P12ihipStream_tbENKUlT_T0_E_clISt17integral_constantIbLb1EES12_IbLb0EEEEDaSY_SZ_EUlSY_E_NS1_11comp_targetILNS1_3genE10ELNS1_11target_archE1201ELNS1_3gpuE5ELNS1_3repE0EEENS1_30default_config_static_selectorELNS0_4arch9wavefront6targetE1EEEvT1_
		.amdhsa_group_segment_fixed_size 0
		.amdhsa_private_segment_fixed_size 0
		.amdhsa_kernarg_size 144
		.amdhsa_user_sgpr_count 6
		.amdhsa_user_sgpr_private_segment_buffer 1
		.amdhsa_user_sgpr_dispatch_ptr 0
		.amdhsa_user_sgpr_queue_ptr 0
		.amdhsa_user_sgpr_kernarg_segment_ptr 1
		.amdhsa_user_sgpr_dispatch_id 0
		.amdhsa_user_sgpr_flat_scratch_init 0
		.amdhsa_user_sgpr_private_segment_size 0
		.amdhsa_uses_dynamic_stack 0
		.amdhsa_system_sgpr_private_segment_wavefront_offset 0
		.amdhsa_system_sgpr_workgroup_id_x 1
		.amdhsa_system_sgpr_workgroup_id_y 0
		.amdhsa_system_sgpr_workgroup_id_z 0
		.amdhsa_system_sgpr_workgroup_info 0
		.amdhsa_system_vgpr_workitem_id 0
		.amdhsa_next_free_vgpr 1
		.amdhsa_next_free_sgpr 0
		.amdhsa_reserve_vcc 0
		.amdhsa_reserve_flat_scratch 0
		.amdhsa_float_round_mode_32 0
		.amdhsa_float_round_mode_16_64 0
		.amdhsa_float_denorm_mode_32 3
		.amdhsa_float_denorm_mode_16_64 3
		.amdhsa_dx10_clamp 1
		.amdhsa_ieee_mode 1
		.amdhsa_fp16_overflow 0
		.amdhsa_exception_fp_ieee_invalid_op 0
		.amdhsa_exception_fp_denorm_src 0
		.amdhsa_exception_fp_ieee_div_zero 0
		.amdhsa_exception_fp_ieee_overflow 0
		.amdhsa_exception_fp_ieee_underflow 0
		.amdhsa_exception_fp_ieee_inexact 0
		.amdhsa_exception_int_div_zero 0
	.end_amdhsa_kernel
	.section	.text._ZN7rocprim17ROCPRIM_400000_NS6detail17trampoline_kernelINS0_14default_configENS1_29reduce_by_key_config_selectorIhlN6thrust23THRUST_200600_302600_NS4plusIlEEEEZZNS1_33reduce_by_key_impl_wrapped_configILNS1_25lookback_scan_determinismE0ES3_S9_PhNS6_17constant_iteratorIiNS6_11use_defaultESE_EENS6_10device_ptrIhEENSG_IlEEPmS8_NS6_8equal_toIhEEEE10hipError_tPvRmT2_T3_mT4_T5_T6_T7_T8_P12ihipStream_tbENKUlT_T0_E_clISt17integral_constantIbLb1EES12_IbLb0EEEEDaSY_SZ_EUlSY_E_NS1_11comp_targetILNS1_3genE10ELNS1_11target_archE1201ELNS1_3gpuE5ELNS1_3repE0EEENS1_30default_config_static_selectorELNS0_4arch9wavefront6targetE1EEEvT1_,"axG",@progbits,_ZN7rocprim17ROCPRIM_400000_NS6detail17trampoline_kernelINS0_14default_configENS1_29reduce_by_key_config_selectorIhlN6thrust23THRUST_200600_302600_NS4plusIlEEEEZZNS1_33reduce_by_key_impl_wrapped_configILNS1_25lookback_scan_determinismE0ES3_S9_PhNS6_17constant_iteratorIiNS6_11use_defaultESE_EENS6_10device_ptrIhEENSG_IlEEPmS8_NS6_8equal_toIhEEEE10hipError_tPvRmT2_T3_mT4_T5_T6_T7_T8_P12ihipStream_tbENKUlT_T0_E_clISt17integral_constantIbLb1EES12_IbLb0EEEEDaSY_SZ_EUlSY_E_NS1_11comp_targetILNS1_3genE10ELNS1_11target_archE1201ELNS1_3gpuE5ELNS1_3repE0EEENS1_30default_config_static_selectorELNS0_4arch9wavefront6targetE1EEEvT1_,comdat
.Lfunc_end389:
	.size	_ZN7rocprim17ROCPRIM_400000_NS6detail17trampoline_kernelINS0_14default_configENS1_29reduce_by_key_config_selectorIhlN6thrust23THRUST_200600_302600_NS4plusIlEEEEZZNS1_33reduce_by_key_impl_wrapped_configILNS1_25lookback_scan_determinismE0ES3_S9_PhNS6_17constant_iteratorIiNS6_11use_defaultESE_EENS6_10device_ptrIhEENSG_IlEEPmS8_NS6_8equal_toIhEEEE10hipError_tPvRmT2_T3_mT4_T5_T6_T7_T8_P12ihipStream_tbENKUlT_T0_E_clISt17integral_constantIbLb1EES12_IbLb0EEEEDaSY_SZ_EUlSY_E_NS1_11comp_targetILNS1_3genE10ELNS1_11target_archE1201ELNS1_3gpuE5ELNS1_3repE0EEENS1_30default_config_static_selectorELNS0_4arch9wavefront6targetE1EEEvT1_, .Lfunc_end389-_ZN7rocprim17ROCPRIM_400000_NS6detail17trampoline_kernelINS0_14default_configENS1_29reduce_by_key_config_selectorIhlN6thrust23THRUST_200600_302600_NS4plusIlEEEEZZNS1_33reduce_by_key_impl_wrapped_configILNS1_25lookback_scan_determinismE0ES3_S9_PhNS6_17constant_iteratorIiNS6_11use_defaultESE_EENS6_10device_ptrIhEENSG_IlEEPmS8_NS6_8equal_toIhEEEE10hipError_tPvRmT2_T3_mT4_T5_T6_T7_T8_P12ihipStream_tbENKUlT_T0_E_clISt17integral_constantIbLb1EES12_IbLb0EEEEDaSY_SZ_EUlSY_E_NS1_11comp_targetILNS1_3genE10ELNS1_11target_archE1201ELNS1_3gpuE5ELNS1_3repE0EEENS1_30default_config_static_selectorELNS0_4arch9wavefront6targetE1EEEvT1_
                                        ; -- End function
	.set _ZN7rocprim17ROCPRIM_400000_NS6detail17trampoline_kernelINS0_14default_configENS1_29reduce_by_key_config_selectorIhlN6thrust23THRUST_200600_302600_NS4plusIlEEEEZZNS1_33reduce_by_key_impl_wrapped_configILNS1_25lookback_scan_determinismE0ES3_S9_PhNS6_17constant_iteratorIiNS6_11use_defaultESE_EENS6_10device_ptrIhEENSG_IlEEPmS8_NS6_8equal_toIhEEEE10hipError_tPvRmT2_T3_mT4_T5_T6_T7_T8_P12ihipStream_tbENKUlT_T0_E_clISt17integral_constantIbLb1EES12_IbLb0EEEEDaSY_SZ_EUlSY_E_NS1_11comp_targetILNS1_3genE10ELNS1_11target_archE1201ELNS1_3gpuE5ELNS1_3repE0EEENS1_30default_config_static_selectorELNS0_4arch9wavefront6targetE1EEEvT1_.num_vgpr, 0
	.set _ZN7rocprim17ROCPRIM_400000_NS6detail17trampoline_kernelINS0_14default_configENS1_29reduce_by_key_config_selectorIhlN6thrust23THRUST_200600_302600_NS4plusIlEEEEZZNS1_33reduce_by_key_impl_wrapped_configILNS1_25lookback_scan_determinismE0ES3_S9_PhNS6_17constant_iteratorIiNS6_11use_defaultESE_EENS6_10device_ptrIhEENSG_IlEEPmS8_NS6_8equal_toIhEEEE10hipError_tPvRmT2_T3_mT4_T5_T6_T7_T8_P12ihipStream_tbENKUlT_T0_E_clISt17integral_constantIbLb1EES12_IbLb0EEEEDaSY_SZ_EUlSY_E_NS1_11comp_targetILNS1_3genE10ELNS1_11target_archE1201ELNS1_3gpuE5ELNS1_3repE0EEENS1_30default_config_static_selectorELNS0_4arch9wavefront6targetE1EEEvT1_.num_agpr, 0
	.set _ZN7rocprim17ROCPRIM_400000_NS6detail17trampoline_kernelINS0_14default_configENS1_29reduce_by_key_config_selectorIhlN6thrust23THRUST_200600_302600_NS4plusIlEEEEZZNS1_33reduce_by_key_impl_wrapped_configILNS1_25lookback_scan_determinismE0ES3_S9_PhNS6_17constant_iteratorIiNS6_11use_defaultESE_EENS6_10device_ptrIhEENSG_IlEEPmS8_NS6_8equal_toIhEEEE10hipError_tPvRmT2_T3_mT4_T5_T6_T7_T8_P12ihipStream_tbENKUlT_T0_E_clISt17integral_constantIbLb1EES12_IbLb0EEEEDaSY_SZ_EUlSY_E_NS1_11comp_targetILNS1_3genE10ELNS1_11target_archE1201ELNS1_3gpuE5ELNS1_3repE0EEENS1_30default_config_static_selectorELNS0_4arch9wavefront6targetE1EEEvT1_.numbered_sgpr, 0
	.set _ZN7rocprim17ROCPRIM_400000_NS6detail17trampoline_kernelINS0_14default_configENS1_29reduce_by_key_config_selectorIhlN6thrust23THRUST_200600_302600_NS4plusIlEEEEZZNS1_33reduce_by_key_impl_wrapped_configILNS1_25lookback_scan_determinismE0ES3_S9_PhNS6_17constant_iteratorIiNS6_11use_defaultESE_EENS6_10device_ptrIhEENSG_IlEEPmS8_NS6_8equal_toIhEEEE10hipError_tPvRmT2_T3_mT4_T5_T6_T7_T8_P12ihipStream_tbENKUlT_T0_E_clISt17integral_constantIbLb1EES12_IbLb0EEEEDaSY_SZ_EUlSY_E_NS1_11comp_targetILNS1_3genE10ELNS1_11target_archE1201ELNS1_3gpuE5ELNS1_3repE0EEENS1_30default_config_static_selectorELNS0_4arch9wavefront6targetE1EEEvT1_.num_named_barrier, 0
	.set _ZN7rocprim17ROCPRIM_400000_NS6detail17trampoline_kernelINS0_14default_configENS1_29reduce_by_key_config_selectorIhlN6thrust23THRUST_200600_302600_NS4plusIlEEEEZZNS1_33reduce_by_key_impl_wrapped_configILNS1_25lookback_scan_determinismE0ES3_S9_PhNS6_17constant_iteratorIiNS6_11use_defaultESE_EENS6_10device_ptrIhEENSG_IlEEPmS8_NS6_8equal_toIhEEEE10hipError_tPvRmT2_T3_mT4_T5_T6_T7_T8_P12ihipStream_tbENKUlT_T0_E_clISt17integral_constantIbLb1EES12_IbLb0EEEEDaSY_SZ_EUlSY_E_NS1_11comp_targetILNS1_3genE10ELNS1_11target_archE1201ELNS1_3gpuE5ELNS1_3repE0EEENS1_30default_config_static_selectorELNS0_4arch9wavefront6targetE1EEEvT1_.private_seg_size, 0
	.set _ZN7rocprim17ROCPRIM_400000_NS6detail17trampoline_kernelINS0_14default_configENS1_29reduce_by_key_config_selectorIhlN6thrust23THRUST_200600_302600_NS4plusIlEEEEZZNS1_33reduce_by_key_impl_wrapped_configILNS1_25lookback_scan_determinismE0ES3_S9_PhNS6_17constant_iteratorIiNS6_11use_defaultESE_EENS6_10device_ptrIhEENSG_IlEEPmS8_NS6_8equal_toIhEEEE10hipError_tPvRmT2_T3_mT4_T5_T6_T7_T8_P12ihipStream_tbENKUlT_T0_E_clISt17integral_constantIbLb1EES12_IbLb0EEEEDaSY_SZ_EUlSY_E_NS1_11comp_targetILNS1_3genE10ELNS1_11target_archE1201ELNS1_3gpuE5ELNS1_3repE0EEENS1_30default_config_static_selectorELNS0_4arch9wavefront6targetE1EEEvT1_.uses_vcc, 0
	.set _ZN7rocprim17ROCPRIM_400000_NS6detail17trampoline_kernelINS0_14default_configENS1_29reduce_by_key_config_selectorIhlN6thrust23THRUST_200600_302600_NS4plusIlEEEEZZNS1_33reduce_by_key_impl_wrapped_configILNS1_25lookback_scan_determinismE0ES3_S9_PhNS6_17constant_iteratorIiNS6_11use_defaultESE_EENS6_10device_ptrIhEENSG_IlEEPmS8_NS6_8equal_toIhEEEE10hipError_tPvRmT2_T3_mT4_T5_T6_T7_T8_P12ihipStream_tbENKUlT_T0_E_clISt17integral_constantIbLb1EES12_IbLb0EEEEDaSY_SZ_EUlSY_E_NS1_11comp_targetILNS1_3genE10ELNS1_11target_archE1201ELNS1_3gpuE5ELNS1_3repE0EEENS1_30default_config_static_selectorELNS0_4arch9wavefront6targetE1EEEvT1_.uses_flat_scratch, 0
	.set _ZN7rocprim17ROCPRIM_400000_NS6detail17trampoline_kernelINS0_14default_configENS1_29reduce_by_key_config_selectorIhlN6thrust23THRUST_200600_302600_NS4plusIlEEEEZZNS1_33reduce_by_key_impl_wrapped_configILNS1_25lookback_scan_determinismE0ES3_S9_PhNS6_17constant_iteratorIiNS6_11use_defaultESE_EENS6_10device_ptrIhEENSG_IlEEPmS8_NS6_8equal_toIhEEEE10hipError_tPvRmT2_T3_mT4_T5_T6_T7_T8_P12ihipStream_tbENKUlT_T0_E_clISt17integral_constantIbLb1EES12_IbLb0EEEEDaSY_SZ_EUlSY_E_NS1_11comp_targetILNS1_3genE10ELNS1_11target_archE1201ELNS1_3gpuE5ELNS1_3repE0EEENS1_30default_config_static_selectorELNS0_4arch9wavefront6targetE1EEEvT1_.has_dyn_sized_stack, 0
	.set _ZN7rocprim17ROCPRIM_400000_NS6detail17trampoline_kernelINS0_14default_configENS1_29reduce_by_key_config_selectorIhlN6thrust23THRUST_200600_302600_NS4plusIlEEEEZZNS1_33reduce_by_key_impl_wrapped_configILNS1_25lookback_scan_determinismE0ES3_S9_PhNS6_17constant_iteratorIiNS6_11use_defaultESE_EENS6_10device_ptrIhEENSG_IlEEPmS8_NS6_8equal_toIhEEEE10hipError_tPvRmT2_T3_mT4_T5_T6_T7_T8_P12ihipStream_tbENKUlT_T0_E_clISt17integral_constantIbLb1EES12_IbLb0EEEEDaSY_SZ_EUlSY_E_NS1_11comp_targetILNS1_3genE10ELNS1_11target_archE1201ELNS1_3gpuE5ELNS1_3repE0EEENS1_30default_config_static_selectorELNS0_4arch9wavefront6targetE1EEEvT1_.has_recursion, 0
	.set _ZN7rocprim17ROCPRIM_400000_NS6detail17trampoline_kernelINS0_14default_configENS1_29reduce_by_key_config_selectorIhlN6thrust23THRUST_200600_302600_NS4plusIlEEEEZZNS1_33reduce_by_key_impl_wrapped_configILNS1_25lookback_scan_determinismE0ES3_S9_PhNS6_17constant_iteratorIiNS6_11use_defaultESE_EENS6_10device_ptrIhEENSG_IlEEPmS8_NS6_8equal_toIhEEEE10hipError_tPvRmT2_T3_mT4_T5_T6_T7_T8_P12ihipStream_tbENKUlT_T0_E_clISt17integral_constantIbLb1EES12_IbLb0EEEEDaSY_SZ_EUlSY_E_NS1_11comp_targetILNS1_3genE10ELNS1_11target_archE1201ELNS1_3gpuE5ELNS1_3repE0EEENS1_30default_config_static_selectorELNS0_4arch9wavefront6targetE1EEEvT1_.has_indirect_call, 0
	.section	.AMDGPU.csdata,"",@progbits
; Kernel info:
; codeLenInByte = 0
; TotalNumSgprs: 4
; NumVgprs: 0
; ScratchSize: 0
; MemoryBound: 0
; FloatMode: 240
; IeeeMode: 1
; LDSByteSize: 0 bytes/workgroup (compile time only)
; SGPRBlocks: 0
; VGPRBlocks: 0
; NumSGPRsForWavesPerEU: 4
; NumVGPRsForWavesPerEU: 1
; Occupancy: 10
; WaveLimiterHint : 0
; COMPUTE_PGM_RSRC2:SCRATCH_EN: 0
; COMPUTE_PGM_RSRC2:USER_SGPR: 6
; COMPUTE_PGM_RSRC2:TRAP_HANDLER: 0
; COMPUTE_PGM_RSRC2:TGID_X_EN: 1
; COMPUTE_PGM_RSRC2:TGID_Y_EN: 0
; COMPUTE_PGM_RSRC2:TGID_Z_EN: 0
; COMPUTE_PGM_RSRC2:TIDIG_COMP_CNT: 0
	.section	.text._ZN7rocprim17ROCPRIM_400000_NS6detail17trampoline_kernelINS0_14default_configENS1_29reduce_by_key_config_selectorIhlN6thrust23THRUST_200600_302600_NS4plusIlEEEEZZNS1_33reduce_by_key_impl_wrapped_configILNS1_25lookback_scan_determinismE0ES3_S9_PhNS6_17constant_iteratorIiNS6_11use_defaultESE_EENS6_10device_ptrIhEENSG_IlEEPmS8_NS6_8equal_toIhEEEE10hipError_tPvRmT2_T3_mT4_T5_T6_T7_T8_P12ihipStream_tbENKUlT_T0_E_clISt17integral_constantIbLb1EES12_IbLb0EEEEDaSY_SZ_EUlSY_E_NS1_11comp_targetILNS1_3genE10ELNS1_11target_archE1200ELNS1_3gpuE4ELNS1_3repE0EEENS1_30default_config_static_selectorELNS0_4arch9wavefront6targetE1EEEvT1_,"axG",@progbits,_ZN7rocprim17ROCPRIM_400000_NS6detail17trampoline_kernelINS0_14default_configENS1_29reduce_by_key_config_selectorIhlN6thrust23THRUST_200600_302600_NS4plusIlEEEEZZNS1_33reduce_by_key_impl_wrapped_configILNS1_25lookback_scan_determinismE0ES3_S9_PhNS6_17constant_iteratorIiNS6_11use_defaultESE_EENS6_10device_ptrIhEENSG_IlEEPmS8_NS6_8equal_toIhEEEE10hipError_tPvRmT2_T3_mT4_T5_T6_T7_T8_P12ihipStream_tbENKUlT_T0_E_clISt17integral_constantIbLb1EES12_IbLb0EEEEDaSY_SZ_EUlSY_E_NS1_11comp_targetILNS1_3genE10ELNS1_11target_archE1200ELNS1_3gpuE4ELNS1_3repE0EEENS1_30default_config_static_selectorELNS0_4arch9wavefront6targetE1EEEvT1_,comdat
	.protected	_ZN7rocprim17ROCPRIM_400000_NS6detail17trampoline_kernelINS0_14default_configENS1_29reduce_by_key_config_selectorIhlN6thrust23THRUST_200600_302600_NS4plusIlEEEEZZNS1_33reduce_by_key_impl_wrapped_configILNS1_25lookback_scan_determinismE0ES3_S9_PhNS6_17constant_iteratorIiNS6_11use_defaultESE_EENS6_10device_ptrIhEENSG_IlEEPmS8_NS6_8equal_toIhEEEE10hipError_tPvRmT2_T3_mT4_T5_T6_T7_T8_P12ihipStream_tbENKUlT_T0_E_clISt17integral_constantIbLb1EES12_IbLb0EEEEDaSY_SZ_EUlSY_E_NS1_11comp_targetILNS1_3genE10ELNS1_11target_archE1200ELNS1_3gpuE4ELNS1_3repE0EEENS1_30default_config_static_selectorELNS0_4arch9wavefront6targetE1EEEvT1_ ; -- Begin function _ZN7rocprim17ROCPRIM_400000_NS6detail17trampoline_kernelINS0_14default_configENS1_29reduce_by_key_config_selectorIhlN6thrust23THRUST_200600_302600_NS4plusIlEEEEZZNS1_33reduce_by_key_impl_wrapped_configILNS1_25lookback_scan_determinismE0ES3_S9_PhNS6_17constant_iteratorIiNS6_11use_defaultESE_EENS6_10device_ptrIhEENSG_IlEEPmS8_NS6_8equal_toIhEEEE10hipError_tPvRmT2_T3_mT4_T5_T6_T7_T8_P12ihipStream_tbENKUlT_T0_E_clISt17integral_constantIbLb1EES12_IbLb0EEEEDaSY_SZ_EUlSY_E_NS1_11comp_targetILNS1_3genE10ELNS1_11target_archE1200ELNS1_3gpuE4ELNS1_3repE0EEENS1_30default_config_static_selectorELNS0_4arch9wavefront6targetE1EEEvT1_
	.globl	_ZN7rocprim17ROCPRIM_400000_NS6detail17trampoline_kernelINS0_14default_configENS1_29reduce_by_key_config_selectorIhlN6thrust23THRUST_200600_302600_NS4plusIlEEEEZZNS1_33reduce_by_key_impl_wrapped_configILNS1_25lookback_scan_determinismE0ES3_S9_PhNS6_17constant_iteratorIiNS6_11use_defaultESE_EENS6_10device_ptrIhEENSG_IlEEPmS8_NS6_8equal_toIhEEEE10hipError_tPvRmT2_T3_mT4_T5_T6_T7_T8_P12ihipStream_tbENKUlT_T0_E_clISt17integral_constantIbLb1EES12_IbLb0EEEEDaSY_SZ_EUlSY_E_NS1_11comp_targetILNS1_3genE10ELNS1_11target_archE1200ELNS1_3gpuE4ELNS1_3repE0EEENS1_30default_config_static_selectorELNS0_4arch9wavefront6targetE1EEEvT1_
	.p2align	8
	.type	_ZN7rocprim17ROCPRIM_400000_NS6detail17trampoline_kernelINS0_14default_configENS1_29reduce_by_key_config_selectorIhlN6thrust23THRUST_200600_302600_NS4plusIlEEEEZZNS1_33reduce_by_key_impl_wrapped_configILNS1_25lookback_scan_determinismE0ES3_S9_PhNS6_17constant_iteratorIiNS6_11use_defaultESE_EENS6_10device_ptrIhEENSG_IlEEPmS8_NS6_8equal_toIhEEEE10hipError_tPvRmT2_T3_mT4_T5_T6_T7_T8_P12ihipStream_tbENKUlT_T0_E_clISt17integral_constantIbLb1EES12_IbLb0EEEEDaSY_SZ_EUlSY_E_NS1_11comp_targetILNS1_3genE10ELNS1_11target_archE1200ELNS1_3gpuE4ELNS1_3repE0EEENS1_30default_config_static_selectorELNS0_4arch9wavefront6targetE1EEEvT1_,@function
_ZN7rocprim17ROCPRIM_400000_NS6detail17trampoline_kernelINS0_14default_configENS1_29reduce_by_key_config_selectorIhlN6thrust23THRUST_200600_302600_NS4plusIlEEEEZZNS1_33reduce_by_key_impl_wrapped_configILNS1_25lookback_scan_determinismE0ES3_S9_PhNS6_17constant_iteratorIiNS6_11use_defaultESE_EENS6_10device_ptrIhEENSG_IlEEPmS8_NS6_8equal_toIhEEEE10hipError_tPvRmT2_T3_mT4_T5_T6_T7_T8_P12ihipStream_tbENKUlT_T0_E_clISt17integral_constantIbLb1EES12_IbLb0EEEEDaSY_SZ_EUlSY_E_NS1_11comp_targetILNS1_3genE10ELNS1_11target_archE1200ELNS1_3gpuE4ELNS1_3repE0EEENS1_30default_config_static_selectorELNS0_4arch9wavefront6targetE1EEEvT1_: ; @_ZN7rocprim17ROCPRIM_400000_NS6detail17trampoline_kernelINS0_14default_configENS1_29reduce_by_key_config_selectorIhlN6thrust23THRUST_200600_302600_NS4plusIlEEEEZZNS1_33reduce_by_key_impl_wrapped_configILNS1_25lookback_scan_determinismE0ES3_S9_PhNS6_17constant_iteratorIiNS6_11use_defaultESE_EENS6_10device_ptrIhEENSG_IlEEPmS8_NS6_8equal_toIhEEEE10hipError_tPvRmT2_T3_mT4_T5_T6_T7_T8_P12ihipStream_tbENKUlT_T0_E_clISt17integral_constantIbLb1EES12_IbLb0EEEEDaSY_SZ_EUlSY_E_NS1_11comp_targetILNS1_3genE10ELNS1_11target_archE1200ELNS1_3gpuE4ELNS1_3repE0EEENS1_30default_config_static_selectorELNS0_4arch9wavefront6targetE1EEEvT1_
; %bb.0:
	.section	.rodata,"a",@progbits
	.p2align	6, 0x0
	.amdhsa_kernel _ZN7rocprim17ROCPRIM_400000_NS6detail17trampoline_kernelINS0_14default_configENS1_29reduce_by_key_config_selectorIhlN6thrust23THRUST_200600_302600_NS4plusIlEEEEZZNS1_33reduce_by_key_impl_wrapped_configILNS1_25lookback_scan_determinismE0ES3_S9_PhNS6_17constant_iteratorIiNS6_11use_defaultESE_EENS6_10device_ptrIhEENSG_IlEEPmS8_NS6_8equal_toIhEEEE10hipError_tPvRmT2_T3_mT4_T5_T6_T7_T8_P12ihipStream_tbENKUlT_T0_E_clISt17integral_constantIbLb1EES12_IbLb0EEEEDaSY_SZ_EUlSY_E_NS1_11comp_targetILNS1_3genE10ELNS1_11target_archE1200ELNS1_3gpuE4ELNS1_3repE0EEENS1_30default_config_static_selectorELNS0_4arch9wavefront6targetE1EEEvT1_
		.amdhsa_group_segment_fixed_size 0
		.amdhsa_private_segment_fixed_size 0
		.amdhsa_kernarg_size 144
		.amdhsa_user_sgpr_count 6
		.amdhsa_user_sgpr_private_segment_buffer 1
		.amdhsa_user_sgpr_dispatch_ptr 0
		.amdhsa_user_sgpr_queue_ptr 0
		.amdhsa_user_sgpr_kernarg_segment_ptr 1
		.amdhsa_user_sgpr_dispatch_id 0
		.amdhsa_user_sgpr_flat_scratch_init 0
		.amdhsa_user_sgpr_private_segment_size 0
		.amdhsa_uses_dynamic_stack 0
		.amdhsa_system_sgpr_private_segment_wavefront_offset 0
		.amdhsa_system_sgpr_workgroup_id_x 1
		.amdhsa_system_sgpr_workgroup_id_y 0
		.amdhsa_system_sgpr_workgroup_id_z 0
		.amdhsa_system_sgpr_workgroup_info 0
		.amdhsa_system_vgpr_workitem_id 0
		.amdhsa_next_free_vgpr 1
		.amdhsa_next_free_sgpr 0
		.amdhsa_reserve_vcc 0
		.amdhsa_reserve_flat_scratch 0
		.amdhsa_float_round_mode_32 0
		.amdhsa_float_round_mode_16_64 0
		.amdhsa_float_denorm_mode_32 3
		.amdhsa_float_denorm_mode_16_64 3
		.amdhsa_dx10_clamp 1
		.amdhsa_ieee_mode 1
		.amdhsa_fp16_overflow 0
		.amdhsa_exception_fp_ieee_invalid_op 0
		.amdhsa_exception_fp_denorm_src 0
		.amdhsa_exception_fp_ieee_div_zero 0
		.amdhsa_exception_fp_ieee_overflow 0
		.amdhsa_exception_fp_ieee_underflow 0
		.amdhsa_exception_fp_ieee_inexact 0
		.amdhsa_exception_int_div_zero 0
	.end_amdhsa_kernel
	.section	.text._ZN7rocprim17ROCPRIM_400000_NS6detail17trampoline_kernelINS0_14default_configENS1_29reduce_by_key_config_selectorIhlN6thrust23THRUST_200600_302600_NS4plusIlEEEEZZNS1_33reduce_by_key_impl_wrapped_configILNS1_25lookback_scan_determinismE0ES3_S9_PhNS6_17constant_iteratorIiNS6_11use_defaultESE_EENS6_10device_ptrIhEENSG_IlEEPmS8_NS6_8equal_toIhEEEE10hipError_tPvRmT2_T3_mT4_T5_T6_T7_T8_P12ihipStream_tbENKUlT_T0_E_clISt17integral_constantIbLb1EES12_IbLb0EEEEDaSY_SZ_EUlSY_E_NS1_11comp_targetILNS1_3genE10ELNS1_11target_archE1200ELNS1_3gpuE4ELNS1_3repE0EEENS1_30default_config_static_selectorELNS0_4arch9wavefront6targetE1EEEvT1_,"axG",@progbits,_ZN7rocprim17ROCPRIM_400000_NS6detail17trampoline_kernelINS0_14default_configENS1_29reduce_by_key_config_selectorIhlN6thrust23THRUST_200600_302600_NS4plusIlEEEEZZNS1_33reduce_by_key_impl_wrapped_configILNS1_25lookback_scan_determinismE0ES3_S9_PhNS6_17constant_iteratorIiNS6_11use_defaultESE_EENS6_10device_ptrIhEENSG_IlEEPmS8_NS6_8equal_toIhEEEE10hipError_tPvRmT2_T3_mT4_T5_T6_T7_T8_P12ihipStream_tbENKUlT_T0_E_clISt17integral_constantIbLb1EES12_IbLb0EEEEDaSY_SZ_EUlSY_E_NS1_11comp_targetILNS1_3genE10ELNS1_11target_archE1200ELNS1_3gpuE4ELNS1_3repE0EEENS1_30default_config_static_selectorELNS0_4arch9wavefront6targetE1EEEvT1_,comdat
.Lfunc_end390:
	.size	_ZN7rocprim17ROCPRIM_400000_NS6detail17trampoline_kernelINS0_14default_configENS1_29reduce_by_key_config_selectorIhlN6thrust23THRUST_200600_302600_NS4plusIlEEEEZZNS1_33reduce_by_key_impl_wrapped_configILNS1_25lookback_scan_determinismE0ES3_S9_PhNS6_17constant_iteratorIiNS6_11use_defaultESE_EENS6_10device_ptrIhEENSG_IlEEPmS8_NS6_8equal_toIhEEEE10hipError_tPvRmT2_T3_mT4_T5_T6_T7_T8_P12ihipStream_tbENKUlT_T0_E_clISt17integral_constantIbLb1EES12_IbLb0EEEEDaSY_SZ_EUlSY_E_NS1_11comp_targetILNS1_3genE10ELNS1_11target_archE1200ELNS1_3gpuE4ELNS1_3repE0EEENS1_30default_config_static_selectorELNS0_4arch9wavefront6targetE1EEEvT1_, .Lfunc_end390-_ZN7rocprim17ROCPRIM_400000_NS6detail17trampoline_kernelINS0_14default_configENS1_29reduce_by_key_config_selectorIhlN6thrust23THRUST_200600_302600_NS4plusIlEEEEZZNS1_33reduce_by_key_impl_wrapped_configILNS1_25lookback_scan_determinismE0ES3_S9_PhNS6_17constant_iteratorIiNS6_11use_defaultESE_EENS6_10device_ptrIhEENSG_IlEEPmS8_NS6_8equal_toIhEEEE10hipError_tPvRmT2_T3_mT4_T5_T6_T7_T8_P12ihipStream_tbENKUlT_T0_E_clISt17integral_constantIbLb1EES12_IbLb0EEEEDaSY_SZ_EUlSY_E_NS1_11comp_targetILNS1_3genE10ELNS1_11target_archE1200ELNS1_3gpuE4ELNS1_3repE0EEENS1_30default_config_static_selectorELNS0_4arch9wavefront6targetE1EEEvT1_
                                        ; -- End function
	.set _ZN7rocprim17ROCPRIM_400000_NS6detail17trampoline_kernelINS0_14default_configENS1_29reduce_by_key_config_selectorIhlN6thrust23THRUST_200600_302600_NS4plusIlEEEEZZNS1_33reduce_by_key_impl_wrapped_configILNS1_25lookback_scan_determinismE0ES3_S9_PhNS6_17constant_iteratorIiNS6_11use_defaultESE_EENS6_10device_ptrIhEENSG_IlEEPmS8_NS6_8equal_toIhEEEE10hipError_tPvRmT2_T3_mT4_T5_T6_T7_T8_P12ihipStream_tbENKUlT_T0_E_clISt17integral_constantIbLb1EES12_IbLb0EEEEDaSY_SZ_EUlSY_E_NS1_11comp_targetILNS1_3genE10ELNS1_11target_archE1200ELNS1_3gpuE4ELNS1_3repE0EEENS1_30default_config_static_selectorELNS0_4arch9wavefront6targetE1EEEvT1_.num_vgpr, 0
	.set _ZN7rocprim17ROCPRIM_400000_NS6detail17trampoline_kernelINS0_14default_configENS1_29reduce_by_key_config_selectorIhlN6thrust23THRUST_200600_302600_NS4plusIlEEEEZZNS1_33reduce_by_key_impl_wrapped_configILNS1_25lookback_scan_determinismE0ES3_S9_PhNS6_17constant_iteratorIiNS6_11use_defaultESE_EENS6_10device_ptrIhEENSG_IlEEPmS8_NS6_8equal_toIhEEEE10hipError_tPvRmT2_T3_mT4_T5_T6_T7_T8_P12ihipStream_tbENKUlT_T0_E_clISt17integral_constantIbLb1EES12_IbLb0EEEEDaSY_SZ_EUlSY_E_NS1_11comp_targetILNS1_3genE10ELNS1_11target_archE1200ELNS1_3gpuE4ELNS1_3repE0EEENS1_30default_config_static_selectorELNS0_4arch9wavefront6targetE1EEEvT1_.num_agpr, 0
	.set _ZN7rocprim17ROCPRIM_400000_NS6detail17trampoline_kernelINS0_14default_configENS1_29reduce_by_key_config_selectorIhlN6thrust23THRUST_200600_302600_NS4plusIlEEEEZZNS1_33reduce_by_key_impl_wrapped_configILNS1_25lookback_scan_determinismE0ES3_S9_PhNS6_17constant_iteratorIiNS6_11use_defaultESE_EENS6_10device_ptrIhEENSG_IlEEPmS8_NS6_8equal_toIhEEEE10hipError_tPvRmT2_T3_mT4_T5_T6_T7_T8_P12ihipStream_tbENKUlT_T0_E_clISt17integral_constantIbLb1EES12_IbLb0EEEEDaSY_SZ_EUlSY_E_NS1_11comp_targetILNS1_3genE10ELNS1_11target_archE1200ELNS1_3gpuE4ELNS1_3repE0EEENS1_30default_config_static_selectorELNS0_4arch9wavefront6targetE1EEEvT1_.numbered_sgpr, 0
	.set _ZN7rocprim17ROCPRIM_400000_NS6detail17trampoline_kernelINS0_14default_configENS1_29reduce_by_key_config_selectorIhlN6thrust23THRUST_200600_302600_NS4plusIlEEEEZZNS1_33reduce_by_key_impl_wrapped_configILNS1_25lookback_scan_determinismE0ES3_S9_PhNS6_17constant_iteratorIiNS6_11use_defaultESE_EENS6_10device_ptrIhEENSG_IlEEPmS8_NS6_8equal_toIhEEEE10hipError_tPvRmT2_T3_mT4_T5_T6_T7_T8_P12ihipStream_tbENKUlT_T0_E_clISt17integral_constantIbLb1EES12_IbLb0EEEEDaSY_SZ_EUlSY_E_NS1_11comp_targetILNS1_3genE10ELNS1_11target_archE1200ELNS1_3gpuE4ELNS1_3repE0EEENS1_30default_config_static_selectorELNS0_4arch9wavefront6targetE1EEEvT1_.num_named_barrier, 0
	.set _ZN7rocprim17ROCPRIM_400000_NS6detail17trampoline_kernelINS0_14default_configENS1_29reduce_by_key_config_selectorIhlN6thrust23THRUST_200600_302600_NS4plusIlEEEEZZNS1_33reduce_by_key_impl_wrapped_configILNS1_25lookback_scan_determinismE0ES3_S9_PhNS6_17constant_iteratorIiNS6_11use_defaultESE_EENS6_10device_ptrIhEENSG_IlEEPmS8_NS6_8equal_toIhEEEE10hipError_tPvRmT2_T3_mT4_T5_T6_T7_T8_P12ihipStream_tbENKUlT_T0_E_clISt17integral_constantIbLb1EES12_IbLb0EEEEDaSY_SZ_EUlSY_E_NS1_11comp_targetILNS1_3genE10ELNS1_11target_archE1200ELNS1_3gpuE4ELNS1_3repE0EEENS1_30default_config_static_selectorELNS0_4arch9wavefront6targetE1EEEvT1_.private_seg_size, 0
	.set _ZN7rocprim17ROCPRIM_400000_NS6detail17trampoline_kernelINS0_14default_configENS1_29reduce_by_key_config_selectorIhlN6thrust23THRUST_200600_302600_NS4plusIlEEEEZZNS1_33reduce_by_key_impl_wrapped_configILNS1_25lookback_scan_determinismE0ES3_S9_PhNS6_17constant_iteratorIiNS6_11use_defaultESE_EENS6_10device_ptrIhEENSG_IlEEPmS8_NS6_8equal_toIhEEEE10hipError_tPvRmT2_T3_mT4_T5_T6_T7_T8_P12ihipStream_tbENKUlT_T0_E_clISt17integral_constantIbLb1EES12_IbLb0EEEEDaSY_SZ_EUlSY_E_NS1_11comp_targetILNS1_3genE10ELNS1_11target_archE1200ELNS1_3gpuE4ELNS1_3repE0EEENS1_30default_config_static_selectorELNS0_4arch9wavefront6targetE1EEEvT1_.uses_vcc, 0
	.set _ZN7rocprim17ROCPRIM_400000_NS6detail17trampoline_kernelINS0_14default_configENS1_29reduce_by_key_config_selectorIhlN6thrust23THRUST_200600_302600_NS4plusIlEEEEZZNS1_33reduce_by_key_impl_wrapped_configILNS1_25lookback_scan_determinismE0ES3_S9_PhNS6_17constant_iteratorIiNS6_11use_defaultESE_EENS6_10device_ptrIhEENSG_IlEEPmS8_NS6_8equal_toIhEEEE10hipError_tPvRmT2_T3_mT4_T5_T6_T7_T8_P12ihipStream_tbENKUlT_T0_E_clISt17integral_constantIbLb1EES12_IbLb0EEEEDaSY_SZ_EUlSY_E_NS1_11comp_targetILNS1_3genE10ELNS1_11target_archE1200ELNS1_3gpuE4ELNS1_3repE0EEENS1_30default_config_static_selectorELNS0_4arch9wavefront6targetE1EEEvT1_.uses_flat_scratch, 0
	.set _ZN7rocprim17ROCPRIM_400000_NS6detail17trampoline_kernelINS0_14default_configENS1_29reduce_by_key_config_selectorIhlN6thrust23THRUST_200600_302600_NS4plusIlEEEEZZNS1_33reduce_by_key_impl_wrapped_configILNS1_25lookback_scan_determinismE0ES3_S9_PhNS6_17constant_iteratorIiNS6_11use_defaultESE_EENS6_10device_ptrIhEENSG_IlEEPmS8_NS6_8equal_toIhEEEE10hipError_tPvRmT2_T3_mT4_T5_T6_T7_T8_P12ihipStream_tbENKUlT_T0_E_clISt17integral_constantIbLb1EES12_IbLb0EEEEDaSY_SZ_EUlSY_E_NS1_11comp_targetILNS1_3genE10ELNS1_11target_archE1200ELNS1_3gpuE4ELNS1_3repE0EEENS1_30default_config_static_selectorELNS0_4arch9wavefront6targetE1EEEvT1_.has_dyn_sized_stack, 0
	.set _ZN7rocprim17ROCPRIM_400000_NS6detail17trampoline_kernelINS0_14default_configENS1_29reduce_by_key_config_selectorIhlN6thrust23THRUST_200600_302600_NS4plusIlEEEEZZNS1_33reduce_by_key_impl_wrapped_configILNS1_25lookback_scan_determinismE0ES3_S9_PhNS6_17constant_iteratorIiNS6_11use_defaultESE_EENS6_10device_ptrIhEENSG_IlEEPmS8_NS6_8equal_toIhEEEE10hipError_tPvRmT2_T3_mT4_T5_T6_T7_T8_P12ihipStream_tbENKUlT_T0_E_clISt17integral_constantIbLb1EES12_IbLb0EEEEDaSY_SZ_EUlSY_E_NS1_11comp_targetILNS1_3genE10ELNS1_11target_archE1200ELNS1_3gpuE4ELNS1_3repE0EEENS1_30default_config_static_selectorELNS0_4arch9wavefront6targetE1EEEvT1_.has_recursion, 0
	.set _ZN7rocprim17ROCPRIM_400000_NS6detail17trampoline_kernelINS0_14default_configENS1_29reduce_by_key_config_selectorIhlN6thrust23THRUST_200600_302600_NS4plusIlEEEEZZNS1_33reduce_by_key_impl_wrapped_configILNS1_25lookback_scan_determinismE0ES3_S9_PhNS6_17constant_iteratorIiNS6_11use_defaultESE_EENS6_10device_ptrIhEENSG_IlEEPmS8_NS6_8equal_toIhEEEE10hipError_tPvRmT2_T3_mT4_T5_T6_T7_T8_P12ihipStream_tbENKUlT_T0_E_clISt17integral_constantIbLb1EES12_IbLb0EEEEDaSY_SZ_EUlSY_E_NS1_11comp_targetILNS1_3genE10ELNS1_11target_archE1200ELNS1_3gpuE4ELNS1_3repE0EEENS1_30default_config_static_selectorELNS0_4arch9wavefront6targetE1EEEvT1_.has_indirect_call, 0
	.section	.AMDGPU.csdata,"",@progbits
; Kernel info:
; codeLenInByte = 0
; TotalNumSgprs: 4
; NumVgprs: 0
; ScratchSize: 0
; MemoryBound: 0
; FloatMode: 240
; IeeeMode: 1
; LDSByteSize: 0 bytes/workgroup (compile time only)
; SGPRBlocks: 0
; VGPRBlocks: 0
; NumSGPRsForWavesPerEU: 4
; NumVGPRsForWavesPerEU: 1
; Occupancy: 10
; WaveLimiterHint : 0
; COMPUTE_PGM_RSRC2:SCRATCH_EN: 0
; COMPUTE_PGM_RSRC2:USER_SGPR: 6
; COMPUTE_PGM_RSRC2:TRAP_HANDLER: 0
; COMPUTE_PGM_RSRC2:TGID_X_EN: 1
; COMPUTE_PGM_RSRC2:TGID_Y_EN: 0
; COMPUTE_PGM_RSRC2:TGID_Z_EN: 0
; COMPUTE_PGM_RSRC2:TIDIG_COMP_CNT: 0
	.section	.text._ZN7rocprim17ROCPRIM_400000_NS6detail17trampoline_kernelINS0_14default_configENS1_29reduce_by_key_config_selectorIhlN6thrust23THRUST_200600_302600_NS4plusIlEEEEZZNS1_33reduce_by_key_impl_wrapped_configILNS1_25lookback_scan_determinismE0ES3_S9_PhNS6_17constant_iteratorIiNS6_11use_defaultESE_EENS6_10device_ptrIhEENSG_IlEEPmS8_NS6_8equal_toIhEEEE10hipError_tPvRmT2_T3_mT4_T5_T6_T7_T8_P12ihipStream_tbENKUlT_T0_E_clISt17integral_constantIbLb1EES12_IbLb0EEEEDaSY_SZ_EUlSY_E_NS1_11comp_targetILNS1_3genE9ELNS1_11target_archE1100ELNS1_3gpuE3ELNS1_3repE0EEENS1_30default_config_static_selectorELNS0_4arch9wavefront6targetE1EEEvT1_,"axG",@progbits,_ZN7rocprim17ROCPRIM_400000_NS6detail17trampoline_kernelINS0_14default_configENS1_29reduce_by_key_config_selectorIhlN6thrust23THRUST_200600_302600_NS4plusIlEEEEZZNS1_33reduce_by_key_impl_wrapped_configILNS1_25lookback_scan_determinismE0ES3_S9_PhNS6_17constant_iteratorIiNS6_11use_defaultESE_EENS6_10device_ptrIhEENSG_IlEEPmS8_NS6_8equal_toIhEEEE10hipError_tPvRmT2_T3_mT4_T5_T6_T7_T8_P12ihipStream_tbENKUlT_T0_E_clISt17integral_constantIbLb1EES12_IbLb0EEEEDaSY_SZ_EUlSY_E_NS1_11comp_targetILNS1_3genE9ELNS1_11target_archE1100ELNS1_3gpuE3ELNS1_3repE0EEENS1_30default_config_static_selectorELNS0_4arch9wavefront6targetE1EEEvT1_,comdat
	.protected	_ZN7rocprim17ROCPRIM_400000_NS6detail17trampoline_kernelINS0_14default_configENS1_29reduce_by_key_config_selectorIhlN6thrust23THRUST_200600_302600_NS4plusIlEEEEZZNS1_33reduce_by_key_impl_wrapped_configILNS1_25lookback_scan_determinismE0ES3_S9_PhNS6_17constant_iteratorIiNS6_11use_defaultESE_EENS6_10device_ptrIhEENSG_IlEEPmS8_NS6_8equal_toIhEEEE10hipError_tPvRmT2_T3_mT4_T5_T6_T7_T8_P12ihipStream_tbENKUlT_T0_E_clISt17integral_constantIbLb1EES12_IbLb0EEEEDaSY_SZ_EUlSY_E_NS1_11comp_targetILNS1_3genE9ELNS1_11target_archE1100ELNS1_3gpuE3ELNS1_3repE0EEENS1_30default_config_static_selectorELNS0_4arch9wavefront6targetE1EEEvT1_ ; -- Begin function _ZN7rocprim17ROCPRIM_400000_NS6detail17trampoline_kernelINS0_14default_configENS1_29reduce_by_key_config_selectorIhlN6thrust23THRUST_200600_302600_NS4plusIlEEEEZZNS1_33reduce_by_key_impl_wrapped_configILNS1_25lookback_scan_determinismE0ES3_S9_PhNS6_17constant_iteratorIiNS6_11use_defaultESE_EENS6_10device_ptrIhEENSG_IlEEPmS8_NS6_8equal_toIhEEEE10hipError_tPvRmT2_T3_mT4_T5_T6_T7_T8_P12ihipStream_tbENKUlT_T0_E_clISt17integral_constantIbLb1EES12_IbLb0EEEEDaSY_SZ_EUlSY_E_NS1_11comp_targetILNS1_3genE9ELNS1_11target_archE1100ELNS1_3gpuE3ELNS1_3repE0EEENS1_30default_config_static_selectorELNS0_4arch9wavefront6targetE1EEEvT1_
	.globl	_ZN7rocprim17ROCPRIM_400000_NS6detail17trampoline_kernelINS0_14default_configENS1_29reduce_by_key_config_selectorIhlN6thrust23THRUST_200600_302600_NS4plusIlEEEEZZNS1_33reduce_by_key_impl_wrapped_configILNS1_25lookback_scan_determinismE0ES3_S9_PhNS6_17constant_iteratorIiNS6_11use_defaultESE_EENS6_10device_ptrIhEENSG_IlEEPmS8_NS6_8equal_toIhEEEE10hipError_tPvRmT2_T3_mT4_T5_T6_T7_T8_P12ihipStream_tbENKUlT_T0_E_clISt17integral_constantIbLb1EES12_IbLb0EEEEDaSY_SZ_EUlSY_E_NS1_11comp_targetILNS1_3genE9ELNS1_11target_archE1100ELNS1_3gpuE3ELNS1_3repE0EEENS1_30default_config_static_selectorELNS0_4arch9wavefront6targetE1EEEvT1_
	.p2align	8
	.type	_ZN7rocprim17ROCPRIM_400000_NS6detail17trampoline_kernelINS0_14default_configENS1_29reduce_by_key_config_selectorIhlN6thrust23THRUST_200600_302600_NS4plusIlEEEEZZNS1_33reduce_by_key_impl_wrapped_configILNS1_25lookback_scan_determinismE0ES3_S9_PhNS6_17constant_iteratorIiNS6_11use_defaultESE_EENS6_10device_ptrIhEENSG_IlEEPmS8_NS6_8equal_toIhEEEE10hipError_tPvRmT2_T3_mT4_T5_T6_T7_T8_P12ihipStream_tbENKUlT_T0_E_clISt17integral_constantIbLb1EES12_IbLb0EEEEDaSY_SZ_EUlSY_E_NS1_11comp_targetILNS1_3genE9ELNS1_11target_archE1100ELNS1_3gpuE3ELNS1_3repE0EEENS1_30default_config_static_selectorELNS0_4arch9wavefront6targetE1EEEvT1_,@function
_ZN7rocprim17ROCPRIM_400000_NS6detail17trampoline_kernelINS0_14default_configENS1_29reduce_by_key_config_selectorIhlN6thrust23THRUST_200600_302600_NS4plusIlEEEEZZNS1_33reduce_by_key_impl_wrapped_configILNS1_25lookback_scan_determinismE0ES3_S9_PhNS6_17constant_iteratorIiNS6_11use_defaultESE_EENS6_10device_ptrIhEENSG_IlEEPmS8_NS6_8equal_toIhEEEE10hipError_tPvRmT2_T3_mT4_T5_T6_T7_T8_P12ihipStream_tbENKUlT_T0_E_clISt17integral_constantIbLb1EES12_IbLb0EEEEDaSY_SZ_EUlSY_E_NS1_11comp_targetILNS1_3genE9ELNS1_11target_archE1100ELNS1_3gpuE3ELNS1_3repE0EEENS1_30default_config_static_selectorELNS0_4arch9wavefront6targetE1EEEvT1_: ; @_ZN7rocprim17ROCPRIM_400000_NS6detail17trampoline_kernelINS0_14default_configENS1_29reduce_by_key_config_selectorIhlN6thrust23THRUST_200600_302600_NS4plusIlEEEEZZNS1_33reduce_by_key_impl_wrapped_configILNS1_25lookback_scan_determinismE0ES3_S9_PhNS6_17constant_iteratorIiNS6_11use_defaultESE_EENS6_10device_ptrIhEENSG_IlEEPmS8_NS6_8equal_toIhEEEE10hipError_tPvRmT2_T3_mT4_T5_T6_T7_T8_P12ihipStream_tbENKUlT_T0_E_clISt17integral_constantIbLb1EES12_IbLb0EEEEDaSY_SZ_EUlSY_E_NS1_11comp_targetILNS1_3genE9ELNS1_11target_archE1100ELNS1_3gpuE3ELNS1_3repE0EEENS1_30default_config_static_selectorELNS0_4arch9wavefront6targetE1EEEvT1_
; %bb.0:
	.section	.rodata,"a",@progbits
	.p2align	6, 0x0
	.amdhsa_kernel _ZN7rocprim17ROCPRIM_400000_NS6detail17trampoline_kernelINS0_14default_configENS1_29reduce_by_key_config_selectorIhlN6thrust23THRUST_200600_302600_NS4plusIlEEEEZZNS1_33reduce_by_key_impl_wrapped_configILNS1_25lookback_scan_determinismE0ES3_S9_PhNS6_17constant_iteratorIiNS6_11use_defaultESE_EENS6_10device_ptrIhEENSG_IlEEPmS8_NS6_8equal_toIhEEEE10hipError_tPvRmT2_T3_mT4_T5_T6_T7_T8_P12ihipStream_tbENKUlT_T0_E_clISt17integral_constantIbLb1EES12_IbLb0EEEEDaSY_SZ_EUlSY_E_NS1_11comp_targetILNS1_3genE9ELNS1_11target_archE1100ELNS1_3gpuE3ELNS1_3repE0EEENS1_30default_config_static_selectorELNS0_4arch9wavefront6targetE1EEEvT1_
		.amdhsa_group_segment_fixed_size 0
		.amdhsa_private_segment_fixed_size 0
		.amdhsa_kernarg_size 144
		.amdhsa_user_sgpr_count 6
		.amdhsa_user_sgpr_private_segment_buffer 1
		.amdhsa_user_sgpr_dispatch_ptr 0
		.amdhsa_user_sgpr_queue_ptr 0
		.amdhsa_user_sgpr_kernarg_segment_ptr 1
		.amdhsa_user_sgpr_dispatch_id 0
		.amdhsa_user_sgpr_flat_scratch_init 0
		.amdhsa_user_sgpr_private_segment_size 0
		.amdhsa_uses_dynamic_stack 0
		.amdhsa_system_sgpr_private_segment_wavefront_offset 0
		.amdhsa_system_sgpr_workgroup_id_x 1
		.amdhsa_system_sgpr_workgroup_id_y 0
		.amdhsa_system_sgpr_workgroup_id_z 0
		.amdhsa_system_sgpr_workgroup_info 0
		.amdhsa_system_vgpr_workitem_id 0
		.amdhsa_next_free_vgpr 1
		.amdhsa_next_free_sgpr 0
		.amdhsa_reserve_vcc 0
		.amdhsa_reserve_flat_scratch 0
		.amdhsa_float_round_mode_32 0
		.amdhsa_float_round_mode_16_64 0
		.amdhsa_float_denorm_mode_32 3
		.amdhsa_float_denorm_mode_16_64 3
		.amdhsa_dx10_clamp 1
		.amdhsa_ieee_mode 1
		.amdhsa_fp16_overflow 0
		.amdhsa_exception_fp_ieee_invalid_op 0
		.amdhsa_exception_fp_denorm_src 0
		.amdhsa_exception_fp_ieee_div_zero 0
		.amdhsa_exception_fp_ieee_overflow 0
		.amdhsa_exception_fp_ieee_underflow 0
		.amdhsa_exception_fp_ieee_inexact 0
		.amdhsa_exception_int_div_zero 0
	.end_amdhsa_kernel
	.section	.text._ZN7rocprim17ROCPRIM_400000_NS6detail17trampoline_kernelINS0_14default_configENS1_29reduce_by_key_config_selectorIhlN6thrust23THRUST_200600_302600_NS4plusIlEEEEZZNS1_33reduce_by_key_impl_wrapped_configILNS1_25lookback_scan_determinismE0ES3_S9_PhNS6_17constant_iteratorIiNS6_11use_defaultESE_EENS6_10device_ptrIhEENSG_IlEEPmS8_NS6_8equal_toIhEEEE10hipError_tPvRmT2_T3_mT4_T5_T6_T7_T8_P12ihipStream_tbENKUlT_T0_E_clISt17integral_constantIbLb1EES12_IbLb0EEEEDaSY_SZ_EUlSY_E_NS1_11comp_targetILNS1_3genE9ELNS1_11target_archE1100ELNS1_3gpuE3ELNS1_3repE0EEENS1_30default_config_static_selectorELNS0_4arch9wavefront6targetE1EEEvT1_,"axG",@progbits,_ZN7rocprim17ROCPRIM_400000_NS6detail17trampoline_kernelINS0_14default_configENS1_29reduce_by_key_config_selectorIhlN6thrust23THRUST_200600_302600_NS4plusIlEEEEZZNS1_33reduce_by_key_impl_wrapped_configILNS1_25lookback_scan_determinismE0ES3_S9_PhNS6_17constant_iteratorIiNS6_11use_defaultESE_EENS6_10device_ptrIhEENSG_IlEEPmS8_NS6_8equal_toIhEEEE10hipError_tPvRmT2_T3_mT4_T5_T6_T7_T8_P12ihipStream_tbENKUlT_T0_E_clISt17integral_constantIbLb1EES12_IbLb0EEEEDaSY_SZ_EUlSY_E_NS1_11comp_targetILNS1_3genE9ELNS1_11target_archE1100ELNS1_3gpuE3ELNS1_3repE0EEENS1_30default_config_static_selectorELNS0_4arch9wavefront6targetE1EEEvT1_,comdat
.Lfunc_end391:
	.size	_ZN7rocprim17ROCPRIM_400000_NS6detail17trampoline_kernelINS0_14default_configENS1_29reduce_by_key_config_selectorIhlN6thrust23THRUST_200600_302600_NS4plusIlEEEEZZNS1_33reduce_by_key_impl_wrapped_configILNS1_25lookback_scan_determinismE0ES3_S9_PhNS6_17constant_iteratorIiNS6_11use_defaultESE_EENS6_10device_ptrIhEENSG_IlEEPmS8_NS6_8equal_toIhEEEE10hipError_tPvRmT2_T3_mT4_T5_T6_T7_T8_P12ihipStream_tbENKUlT_T0_E_clISt17integral_constantIbLb1EES12_IbLb0EEEEDaSY_SZ_EUlSY_E_NS1_11comp_targetILNS1_3genE9ELNS1_11target_archE1100ELNS1_3gpuE3ELNS1_3repE0EEENS1_30default_config_static_selectorELNS0_4arch9wavefront6targetE1EEEvT1_, .Lfunc_end391-_ZN7rocprim17ROCPRIM_400000_NS6detail17trampoline_kernelINS0_14default_configENS1_29reduce_by_key_config_selectorIhlN6thrust23THRUST_200600_302600_NS4plusIlEEEEZZNS1_33reduce_by_key_impl_wrapped_configILNS1_25lookback_scan_determinismE0ES3_S9_PhNS6_17constant_iteratorIiNS6_11use_defaultESE_EENS6_10device_ptrIhEENSG_IlEEPmS8_NS6_8equal_toIhEEEE10hipError_tPvRmT2_T3_mT4_T5_T6_T7_T8_P12ihipStream_tbENKUlT_T0_E_clISt17integral_constantIbLb1EES12_IbLb0EEEEDaSY_SZ_EUlSY_E_NS1_11comp_targetILNS1_3genE9ELNS1_11target_archE1100ELNS1_3gpuE3ELNS1_3repE0EEENS1_30default_config_static_selectorELNS0_4arch9wavefront6targetE1EEEvT1_
                                        ; -- End function
	.set _ZN7rocprim17ROCPRIM_400000_NS6detail17trampoline_kernelINS0_14default_configENS1_29reduce_by_key_config_selectorIhlN6thrust23THRUST_200600_302600_NS4plusIlEEEEZZNS1_33reduce_by_key_impl_wrapped_configILNS1_25lookback_scan_determinismE0ES3_S9_PhNS6_17constant_iteratorIiNS6_11use_defaultESE_EENS6_10device_ptrIhEENSG_IlEEPmS8_NS6_8equal_toIhEEEE10hipError_tPvRmT2_T3_mT4_T5_T6_T7_T8_P12ihipStream_tbENKUlT_T0_E_clISt17integral_constantIbLb1EES12_IbLb0EEEEDaSY_SZ_EUlSY_E_NS1_11comp_targetILNS1_3genE9ELNS1_11target_archE1100ELNS1_3gpuE3ELNS1_3repE0EEENS1_30default_config_static_selectorELNS0_4arch9wavefront6targetE1EEEvT1_.num_vgpr, 0
	.set _ZN7rocprim17ROCPRIM_400000_NS6detail17trampoline_kernelINS0_14default_configENS1_29reduce_by_key_config_selectorIhlN6thrust23THRUST_200600_302600_NS4plusIlEEEEZZNS1_33reduce_by_key_impl_wrapped_configILNS1_25lookback_scan_determinismE0ES3_S9_PhNS6_17constant_iteratorIiNS6_11use_defaultESE_EENS6_10device_ptrIhEENSG_IlEEPmS8_NS6_8equal_toIhEEEE10hipError_tPvRmT2_T3_mT4_T5_T6_T7_T8_P12ihipStream_tbENKUlT_T0_E_clISt17integral_constantIbLb1EES12_IbLb0EEEEDaSY_SZ_EUlSY_E_NS1_11comp_targetILNS1_3genE9ELNS1_11target_archE1100ELNS1_3gpuE3ELNS1_3repE0EEENS1_30default_config_static_selectorELNS0_4arch9wavefront6targetE1EEEvT1_.num_agpr, 0
	.set _ZN7rocprim17ROCPRIM_400000_NS6detail17trampoline_kernelINS0_14default_configENS1_29reduce_by_key_config_selectorIhlN6thrust23THRUST_200600_302600_NS4plusIlEEEEZZNS1_33reduce_by_key_impl_wrapped_configILNS1_25lookback_scan_determinismE0ES3_S9_PhNS6_17constant_iteratorIiNS6_11use_defaultESE_EENS6_10device_ptrIhEENSG_IlEEPmS8_NS6_8equal_toIhEEEE10hipError_tPvRmT2_T3_mT4_T5_T6_T7_T8_P12ihipStream_tbENKUlT_T0_E_clISt17integral_constantIbLb1EES12_IbLb0EEEEDaSY_SZ_EUlSY_E_NS1_11comp_targetILNS1_3genE9ELNS1_11target_archE1100ELNS1_3gpuE3ELNS1_3repE0EEENS1_30default_config_static_selectorELNS0_4arch9wavefront6targetE1EEEvT1_.numbered_sgpr, 0
	.set _ZN7rocprim17ROCPRIM_400000_NS6detail17trampoline_kernelINS0_14default_configENS1_29reduce_by_key_config_selectorIhlN6thrust23THRUST_200600_302600_NS4plusIlEEEEZZNS1_33reduce_by_key_impl_wrapped_configILNS1_25lookback_scan_determinismE0ES3_S9_PhNS6_17constant_iteratorIiNS6_11use_defaultESE_EENS6_10device_ptrIhEENSG_IlEEPmS8_NS6_8equal_toIhEEEE10hipError_tPvRmT2_T3_mT4_T5_T6_T7_T8_P12ihipStream_tbENKUlT_T0_E_clISt17integral_constantIbLb1EES12_IbLb0EEEEDaSY_SZ_EUlSY_E_NS1_11comp_targetILNS1_3genE9ELNS1_11target_archE1100ELNS1_3gpuE3ELNS1_3repE0EEENS1_30default_config_static_selectorELNS0_4arch9wavefront6targetE1EEEvT1_.num_named_barrier, 0
	.set _ZN7rocprim17ROCPRIM_400000_NS6detail17trampoline_kernelINS0_14default_configENS1_29reduce_by_key_config_selectorIhlN6thrust23THRUST_200600_302600_NS4plusIlEEEEZZNS1_33reduce_by_key_impl_wrapped_configILNS1_25lookback_scan_determinismE0ES3_S9_PhNS6_17constant_iteratorIiNS6_11use_defaultESE_EENS6_10device_ptrIhEENSG_IlEEPmS8_NS6_8equal_toIhEEEE10hipError_tPvRmT2_T3_mT4_T5_T6_T7_T8_P12ihipStream_tbENKUlT_T0_E_clISt17integral_constantIbLb1EES12_IbLb0EEEEDaSY_SZ_EUlSY_E_NS1_11comp_targetILNS1_3genE9ELNS1_11target_archE1100ELNS1_3gpuE3ELNS1_3repE0EEENS1_30default_config_static_selectorELNS0_4arch9wavefront6targetE1EEEvT1_.private_seg_size, 0
	.set _ZN7rocprim17ROCPRIM_400000_NS6detail17trampoline_kernelINS0_14default_configENS1_29reduce_by_key_config_selectorIhlN6thrust23THRUST_200600_302600_NS4plusIlEEEEZZNS1_33reduce_by_key_impl_wrapped_configILNS1_25lookback_scan_determinismE0ES3_S9_PhNS6_17constant_iteratorIiNS6_11use_defaultESE_EENS6_10device_ptrIhEENSG_IlEEPmS8_NS6_8equal_toIhEEEE10hipError_tPvRmT2_T3_mT4_T5_T6_T7_T8_P12ihipStream_tbENKUlT_T0_E_clISt17integral_constantIbLb1EES12_IbLb0EEEEDaSY_SZ_EUlSY_E_NS1_11comp_targetILNS1_3genE9ELNS1_11target_archE1100ELNS1_3gpuE3ELNS1_3repE0EEENS1_30default_config_static_selectorELNS0_4arch9wavefront6targetE1EEEvT1_.uses_vcc, 0
	.set _ZN7rocprim17ROCPRIM_400000_NS6detail17trampoline_kernelINS0_14default_configENS1_29reduce_by_key_config_selectorIhlN6thrust23THRUST_200600_302600_NS4plusIlEEEEZZNS1_33reduce_by_key_impl_wrapped_configILNS1_25lookback_scan_determinismE0ES3_S9_PhNS6_17constant_iteratorIiNS6_11use_defaultESE_EENS6_10device_ptrIhEENSG_IlEEPmS8_NS6_8equal_toIhEEEE10hipError_tPvRmT2_T3_mT4_T5_T6_T7_T8_P12ihipStream_tbENKUlT_T0_E_clISt17integral_constantIbLb1EES12_IbLb0EEEEDaSY_SZ_EUlSY_E_NS1_11comp_targetILNS1_3genE9ELNS1_11target_archE1100ELNS1_3gpuE3ELNS1_3repE0EEENS1_30default_config_static_selectorELNS0_4arch9wavefront6targetE1EEEvT1_.uses_flat_scratch, 0
	.set _ZN7rocprim17ROCPRIM_400000_NS6detail17trampoline_kernelINS0_14default_configENS1_29reduce_by_key_config_selectorIhlN6thrust23THRUST_200600_302600_NS4plusIlEEEEZZNS1_33reduce_by_key_impl_wrapped_configILNS1_25lookback_scan_determinismE0ES3_S9_PhNS6_17constant_iteratorIiNS6_11use_defaultESE_EENS6_10device_ptrIhEENSG_IlEEPmS8_NS6_8equal_toIhEEEE10hipError_tPvRmT2_T3_mT4_T5_T6_T7_T8_P12ihipStream_tbENKUlT_T0_E_clISt17integral_constantIbLb1EES12_IbLb0EEEEDaSY_SZ_EUlSY_E_NS1_11comp_targetILNS1_3genE9ELNS1_11target_archE1100ELNS1_3gpuE3ELNS1_3repE0EEENS1_30default_config_static_selectorELNS0_4arch9wavefront6targetE1EEEvT1_.has_dyn_sized_stack, 0
	.set _ZN7rocprim17ROCPRIM_400000_NS6detail17trampoline_kernelINS0_14default_configENS1_29reduce_by_key_config_selectorIhlN6thrust23THRUST_200600_302600_NS4plusIlEEEEZZNS1_33reduce_by_key_impl_wrapped_configILNS1_25lookback_scan_determinismE0ES3_S9_PhNS6_17constant_iteratorIiNS6_11use_defaultESE_EENS6_10device_ptrIhEENSG_IlEEPmS8_NS6_8equal_toIhEEEE10hipError_tPvRmT2_T3_mT4_T5_T6_T7_T8_P12ihipStream_tbENKUlT_T0_E_clISt17integral_constantIbLb1EES12_IbLb0EEEEDaSY_SZ_EUlSY_E_NS1_11comp_targetILNS1_3genE9ELNS1_11target_archE1100ELNS1_3gpuE3ELNS1_3repE0EEENS1_30default_config_static_selectorELNS0_4arch9wavefront6targetE1EEEvT1_.has_recursion, 0
	.set _ZN7rocprim17ROCPRIM_400000_NS6detail17trampoline_kernelINS0_14default_configENS1_29reduce_by_key_config_selectorIhlN6thrust23THRUST_200600_302600_NS4plusIlEEEEZZNS1_33reduce_by_key_impl_wrapped_configILNS1_25lookback_scan_determinismE0ES3_S9_PhNS6_17constant_iteratorIiNS6_11use_defaultESE_EENS6_10device_ptrIhEENSG_IlEEPmS8_NS6_8equal_toIhEEEE10hipError_tPvRmT2_T3_mT4_T5_T6_T7_T8_P12ihipStream_tbENKUlT_T0_E_clISt17integral_constantIbLb1EES12_IbLb0EEEEDaSY_SZ_EUlSY_E_NS1_11comp_targetILNS1_3genE9ELNS1_11target_archE1100ELNS1_3gpuE3ELNS1_3repE0EEENS1_30default_config_static_selectorELNS0_4arch9wavefront6targetE1EEEvT1_.has_indirect_call, 0
	.section	.AMDGPU.csdata,"",@progbits
; Kernel info:
; codeLenInByte = 0
; TotalNumSgprs: 4
; NumVgprs: 0
; ScratchSize: 0
; MemoryBound: 0
; FloatMode: 240
; IeeeMode: 1
; LDSByteSize: 0 bytes/workgroup (compile time only)
; SGPRBlocks: 0
; VGPRBlocks: 0
; NumSGPRsForWavesPerEU: 4
; NumVGPRsForWavesPerEU: 1
; Occupancy: 10
; WaveLimiterHint : 0
; COMPUTE_PGM_RSRC2:SCRATCH_EN: 0
; COMPUTE_PGM_RSRC2:USER_SGPR: 6
; COMPUTE_PGM_RSRC2:TRAP_HANDLER: 0
; COMPUTE_PGM_RSRC2:TGID_X_EN: 1
; COMPUTE_PGM_RSRC2:TGID_Y_EN: 0
; COMPUTE_PGM_RSRC2:TGID_Z_EN: 0
; COMPUTE_PGM_RSRC2:TIDIG_COMP_CNT: 0
	.section	.text._ZN7rocprim17ROCPRIM_400000_NS6detail17trampoline_kernelINS0_14default_configENS1_29reduce_by_key_config_selectorIhlN6thrust23THRUST_200600_302600_NS4plusIlEEEEZZNS1_33reduce_by_key_impl_wrapped_configILNS1_25lookback_scan_determinismE0ES3_S9_PhNS6_17constant_iteratorIiNS6_11use_defaultESE_EENS6_10device_ptrIhEENSG_IlEEPmS8_NS6_8equal_toIhEEEE10hipError_tPvRmT2_T3_mT4_T5_T6_T7_T8_P12ihipStream_tbENKUlT_T0_E_clISt17integral_constantIbLb1EES12_IbLb0EEEEDaSY_SZ_EUlSY_E_NS1_11comp_targetILNS1_3genE8ELNS1_11target_archE1030ELNS1_3gpuE2ELNS1_3repE0EEENS1_30default_config_static_selectorELNS0_4arch9wavefront6targetE1EEEvT1_,"axG",@progbits,_ZN7rocprim17ROCPRIM_400000_NS6detail17trampoline_kernelINS0_14default_configENS1_29reduce_by_key_config_selectorIhlN6thrust23THRUST_200600_302600_NS4plusIlEEEEZZNS1_33reduce_by_key_impl_wrapped_configILNS1_25lookback_scan_determinismE0ES3_S9_PhNS6_17constant_iteratorIiNS6_11use_defaultESE_EENS6_10device_ptrIhEENSG_IlEEPmS8_NS6_8equal_toIhEEEE10hipError_tPvRmT2_T3_mT4_T5_T6_T7_T8_P12ihipStream_tbENKUlT_T0_E_clISt17integral_constantIbLb1EES12_IbLb0EEEEDaSY_SZ_EUlSY_E_NS1_11comp_targetILNS1_3genE8ELNS1_11target_archE1030ELNS1_3gpuE2ELNS1_3repE0EEENS1_30default_config_static_selectorELNS0_4arch9wavefront6targetE1EEEvT1_,comdat
	.protected	_ZN7rocprim17ROCPRIM_400000_NS6detail17trampoline_kernelINS0_14default_configENS1_29reduce_by_key_config_selectorIhlN6thrust23THRUST_200600_302600_NS4plusIlEEEEZZNS1_33reduce_by_key_impl_wrapped_configILNS1_25lookback_scan_determinismE0ES3_S9_PhNS6_17constant_iteratorIiNS6_11use_defaultESE_EENS6_10device_ptrIhEENSG_IlEEPmS8_NS6_8equal_toIhEEEE10hipError_tPvRmT2_T3_mT4_T5_T6_T7_T8_P12ihipStream_tbENKUlT_T0_E_clISt17integral_constantIbLb1EES12_IbLb0EEEEDaSY_SZ_EUlSY_E_NS1_11comp_targetILNS1_3genE8ELNS1_11target_archE1030ELNS1_3gpuE2ELNS1_3repE0EEENS1_30default_config_static_selectorELNS0_4arch9wavefront6targetE1EEEvT1_ ; -- Begin function _ZN7rocprim17ROCPRIM_400000_NS6detail17trampoline_kernelINS0_14default_configENS1_29reduce_by_key_config_selectorIhlN6thrust23THRUST_200600_302600_NS4plusIlEEEEZZNS1_33reduce_by_key_impl_wrapped_configILNS1_25lookback_scan_determinismE0ES3_S9_PhNS6_17constant_iteratorIiNS6_11use_defaultESE_EENS6_10device_ptrIhEENSG_IlEEPmS8_NS6_8equal_toIhEEEE10hipError_tPvRmT2_T3_mT4_T5_T6_T7_T8_P12ihipStream_tbENKUlT_T0_E_clISt17integral_constantIbLb1EES12_IbLb0EEEEDaSY_SZ_EUlSY_E_NS1_11comp_targetILNS1_3genE8ELNS1_11target_archE1030ELNS1_3gpuE2ELNS1_3repE0EEENS1_30default_config_static_selectorELNS0_4arch9wavefront6targetE1EEEvT1_
	.globl	_ZN7rocprim17ROCPRIM_400000_NS6detail17trampoline_kernelINS0_14default_configENS1_29reduce_by_key_config_selectorIhlN6thrust23THRUST_200600_302600_NS4plusIlEEEEZZNS1_33reduce_by_key_impl_wrapped_configILNS1_25lookback_scan_determinismE0ES3_S9_PhNS6_17constant_iteratorIiNS6_11use_defaultESE_EENS6_10device_ptrIhEENSG_IlEEPmS8_NS6_8equal_toIhEEEE10hipError_tPvRmT2_T3_mT4_T5_T6_T7_T8_P12ihipStream_tbENKUlT_T0_E_clISt17integral_constantIbLb1EES12_IbLb0EEEEDaSY_SZ_EUlSY_E_NS1_11comp_targetILNS1_3genE8ELNS1_11target_archE1030ELNS1_3gpuE2ELNS1_3repE0EEENS1_30default_config_static_selectorELNS0_4arch9wavefront6targetE1EEEvT1_
	.p2align	8
	.type	_ZN7rocprim17ROCPRIM_400000_NS6detail17trampoline_kernelINS0_14default_configENS1_29reduce_by_key_config_selectorIhlN6thrust23THRUST_200600_302600_NS4plusIlEEEEZZNS1_33reduce_by_key_impl_wrapped_configILNS1_25lookback_scan_determinismE0ES3_S9_PhNS6_17constant_iteratorIiNS6_11use_defaultESE_EENS6_10device_ptrIhEENSG_IlEEPmS8_NS6_8equal_toIhEEEE10hipError_tPvRmT2_T3_mT4_T5_T6_T7_T8_P12ihipStream_tbENKUlT_T0_E_clISt17integral_constantIbLb1EES12_IbLb0EEEEDaSY_SZ_EUlSY_E_NS1_11comp_targetILNS1_3genE8ELNS1_11target_archE1030ELNS1_3gpuE2ELNS1_3repE0EEENS1_30default_config_static_selectorELNS0_4arch9wavefront6targetE1EEEvT1_,@function
_ZN7rocprim17ROCPRIM_400000_NS6detail17trampoline_kernelINS0_14default_configENS1_29reduce_by_key_config_selectorIhlN6thrust23THRUST_200600_302600_NS4plusIlEEEEZZNS1_33reduce_by_key_impl_wrapped_configILNS1_25lookback_scan_determinismE0ES3_S9_PhNS6_17constant_iteratorIiNS6_11use_defaultESE_EENS6_10device_ptrIhEENSG_IlEEPmS8_NS6_8equal_toIhEEEE10hipError_tPvRmT2_T3_mT4_T5_T6_T7_T8_P12ihipStream_tbENKUlT_T0_E_clISt17integral_constantIbLb1EES12_IbLb0EEEEDaSY_SZ_EUlSY_E_NS1_11comp_targetILNS1_3genE8ELNS1_11target_archE1030ELNS1_3gpuE2ELNS1_3repE0EEENS1_30default_config_static_selectorELNS0_4arch9wavefront6targetE1EEEvT1_: ; @_ZN7rocprim17ROCPRIM_400000_NS6detail17trampoline_kernelINS0_14default_configENS1_29reduce_by_key_config_selectorIhlN6thrust23THRUST_200600_302600_NS4plusIlEEEEZZNS1_33reduce_by_key_impl_wrapped_configILNS1_25lookback_scan_determinismE0ES3_S9_PhNS6_17constant_iteratorIiNS6_11use_defaultESE_EENS6_10device_ptrIhEENSG_IlEEPmS8_NS6_8equal_toIhEEEE10hipError_tPvRmT2_T3_mT4_T5_T6_T7_T8_P12ihipStream_tbENKUlT_T0_E_clISt17integral_constantIbLb1EES12_IbLb0EEEEDaSY_SZ_EUlSY_E_NS1_11comp_targetILNS1_3genE8ELNS1_11target_archE1030ELNS1_3gpuE2ELNS1_3repE0EEENS1_30default_config_static_selectorELNS0_4arch9wavefront6targetE1EEEvT1_
; %bb.0:
	.section	.rodata,"a",@progbits
	.p2align	6, 0x0
	.amdhsa_kernel _ZN7rocprim17ROCPRIM_400000_NS6detail17trampoline_kernelINS0_14default_configENS1_29reduce_by_key_config_selectorIhlN6thrust23THRUST_200600_302600_NS4plusIlEEEEZZNS1_33reduce_by_key_impl_wrapped_configILNS1_25lookback_scan_determinismE0ES3_S9_PhNS6_17constant_iteratorIiNS6_11use_defaultESE_EENS6_10device_ptrIhEENSG_IlEEPmS8_NS6_8equal_toIhEEEE10hipError_tPvRmT2_T3_mT4_T5_T6_T7_T8_P12ihipStream_tbENKUlT_T0_E_clISt17integral_constantIbLb1EES12_IbLb0EEEEDaSY_SZ_EUlSY_E_NS1_11comp_targetILNS1_3genE8ELNS1_11target_archE1030ELNS1_3gpuE2ELNS1_3repE0EEENS1_30default_config_static_selectorELNS0_4arch9wavefront6targetE1EEEvT1_
		.amdhsa_group_segment_fixed_size 0
		.amdhsa_private_segment_fixed_size 0
		.amdhsa_kernarg_size 144
		.amdhsa_user_sgpr_count 6
		.amdhsa_user_sgpr_private_segment_buffer 1
		.amdhsa_user_sgpr_dispatch_ptr 0
		.amdhsa_user_sgpr_queue_ptr 0
		.amdhsa_user_sgpr_kernarg_segment_ptr 1
		.amdhsa_user_sgpr_dispatch_id 0
		.amdhsa_user_sgpr_flat_scratch_init 0
		.amdhsa_user_sgpr_private_segment_size 0
		.amdhsa_uses_dynamic_stack 0
		.amdhsa_system_sgpr_private_segment_wavefront_offset 0
		.amdhsa_system_sgpr_workgroup_id_x 1
		.amdhsa_system_sgpr_workgroup_id_y 0
		.amdhsa_system_sgpr_workgroup_id_z 0
		.amdhsa_system_sgpr_workgroup_info 0
		.amdhsa_system_vgpr_workitem_id 0
		.amdhsa_next_free_vgpr 1
		.amdhsa_next_free_sgpr 0
		.amdhsa_reserve_vcc 0
		.amdhsa_reserve_flat_scratch 0
		.amdhsa_float_round_mode_32 0
		.amdhsa_float_round_mode_16_64 0
		.amdhsa_float_denorm_mode_32 3
		.amdhsa_float_denorm_mode_16_64 3
		.amdhsa_dx10_clamp 1
		.amdhsa_ieee_mode 1
		.amdhsa_fp16_overflow 0
		.amdhsa_exception_fp_ieee_invalid_op 0
		.amdhsa_exception_fp_denorm_src 0
		.amdhsa_exception_fp_ieee_div_zero 0
		.amdhsa_exception_fp_ieee_overflow 0
		.amdhsa_exception_fp_ieee_underflow 0
		.amdhsa_exception_fp_ieee_inexact 0
		.amdhsa_exception_int_div_zero 0
	.end_amdhsa_kernel
	.section	.text._ZN7rocprim17ROCPRIM_400000_NS6detail17trampoline_kernelINS0_14default_configENS1_29reduce_by_key_config_selectorIhlN6thrust23THRUST_200600_302600_NS4plusIlEEEEZZNS1_33reduce_by_key_impl_wrapped_configILNS1_25lookback_scan_determinismE0ES3_S9_PhNS6_17constant_iteratorIiNS6_11use_defaultESE_EENS6_10device_ptrIhEENSG_IlEEPmS8_NS6_8equal_toIhEEEE10hipError_tPvRmT2_T3_mT4_T5_T6_T7_T8_P12ihipStream_tbENKUlT_T0_E_clISt17integral_constantIbLb1EES12_IbLb0EEEEDaSY_SZ_EUlSY_E_NS1_11comp_targetILNS1_3genE8ELNS1_11target_archE1030ELNS1_3gpuE2ELNS1_3repE0EEENS1_30default_config_static_selectorELNS0_4arch9wavefront6targetE1EEEvT1_,"axG",@progbits,_ZN7rocprim17ROCPRIM_400000_NS6detail17trampoline_kernelINS0_14default_configENS1_29reduce_by_key_config_selectorIhlN6thrust23THRUST_200600_302600_NS4plusIlEEEEZZNS1_33reduce_by_key_impl_wrapped_configILNS1_25lookback_scan_determinismE0ES3_S9_PhNS6_17constant_iteratorIiNS6_11use_defaultESE_EENS6_10device_ptrIhEENSG_IlEEPmS8_NS6_8equal_toIhEEEE10hipError_tPvRmT2_T3_mT4_T5_T6_T7_T8_P12ihipStream_tbENKUlT_T0_E_clISt17integral_constantIbLb1EES12_IbLb0EEEEDaSY_SZ_EUlSY_E_NS1_11comp_targetILNS1_3genE8ELNS1_11target_archE1030ELNS1_3gpuE2ELNS1_3repE0EEENS1_30default_config_static_selectorELNS0_4arch9wavefront6targetE1EEEvT1_,comdat
.Lfunc_end392:
	.size	_ZN7rocprim17ROCPRIM_400000_NS6detail17trampoline_kernelINS0_14default_configENS1_29reduce_by_key_config_selectorIhlN6thrust23THRUST_200600_302600_NS4plusIlEEEEZZNS1_33reduce_by_key_impl_wrapped_configILNS1_25lookback_scan_determinismE0ES3_S9_PhNS6_17constant_iteratorIiNS6_11use_defaultESE_EENS6_10device_ptrIhEENSG_IlEEPmS8_NS6_8equal_toIhEEEE10hipError_tPvRmT2_T3_mT4_T5_T6_T7_T8_P12ihipStream_tbENKUlT_T0_E_clISt17integral_constantIbLb1EES12_IbLb0EEEEDaSY_SZ_EUlSY_E_NS1_11comp_targetILNS1_3genE8ELNS1_11target_archE1030ELNS1_3gpuE2ELNS1_3repE0EEENS1_30default_config_static_selectorELNS0_4arch9wavefront6targetE1EEEvT1_, .Lfunc_end392-_ZN7rocprim17ROCPRIM_400000_NS6detail17trampoline_kernelINS0_14default_configENS1_29reduce_by_key_config_selectorIhlN6thrust23THRUST_200600_302600_NS4plusIlEEEEZZNS1_33reduce_by_key_impl_wrapped_configILNS1_25lookback_scan_determinismE0ES3_S9_PhNS6_17constant_iteratorIiNS6_11use_defaultESE_EENS6_10device_ptrIhEENSG_IlEEPmS8_NS6_8equal_toIhEEEE10hipError_tPvRmT2_T3_mT4_T5_T6_T7_T8_P12ihipStream_tbENKUlT_T0_E_clISt17integral_constantIbLb1EES12_IbLb0EEEEDaSY_SZ_EUlSY_E_NS1_11comp_targetILNS1_3genE8ELNS1_11target_archE1030ELNS1_3gpuE2ELNS1_3repE0EEENS1_30default_config_static_selectorELNS0_4arch9wavefront6targetE1EEEvT1_
                                        ; -- End function
	.set _ZN7rocprim17ROCPRIM_400000_NS6detail17trampoline_kernelINS0_14default_configENS1_29reduce_by_key_config_selectorIhlN6thrust23THRUST_200600_302600_NS4plusIlEEEEZZNS1_33reduce_by_key_impl_wrapped_configILNS1_25lookback_scan_determinismE0ES3_S9_PhNS6_17constant_iteratorIiNS6_11use_defaultESE_EENS6_10device_ptrIhEENSG_IlEEPmS8_NS6_8equal_toIhEEEE10hipError_tPvRmT2_T3_mT4_T5_T6_T7_T8_P12ihipStream_tbENKUlT_T0_E_clISt17integral_constantIbLb1EES12_IbLb0EEEEDaSY_SZ_EUlSY_E_NS1_11comp_targetILNS1_3genE8ELNS1_11target_archE1030ELNS1_3gpuE2ELNS1_3repE0EEENS1_30default_config_static_selectorELNS0_4arch9wavefront6targetE1EEEvT1_.num_vgpr, 0
	.set _ZN7rocprim17ROCPRIM_400000_NS6detail17trampoline_kernelINS0_14default_configENS1_29reduce_by_key_config_selectorIhlN6thrust23THRUST_200600_302600_NS4plusIlEEEEZZNS1_33reduce_by_key_impl_wrapped_configILNS1_25lookback_scan_determinismE0ES3_S9_PhNS6_17constant_iteratorIiNS6_11use_defaultESE_EENS6_10device_ptrIhEENSG_IlEEPmS8_NS6_8equal_toIhEEEE10hipError_tPvRmT2_T3_mT4_T5_T6_T7_T8_P12ihipStream_tbENKUlT_T0_E_clISt17integral_constantIbLb1EES12_IbLb0EEEEDaSY_SZ_EUlSY_E_NS1_11comp_targetILNS1_3genE8ELNS1_11target_archE1030ELNS1_3gpuE2ELNS1_3repE0EEENS1_30default_config_static_selectorELNS0_4arch9wavefront6targetE1EEEvT1_.num_agpr, 0
	.set _ZN7rocprim17ROCPRIM_400000_NS6detail17trampoline_kernelINS0_14default_configENS1_29reduce_by_key_config_selectorIhlN6thrust23THRUST_200600_302600_NS4plusIlEEEEZZNS1_33reduce_by_key_impl_wrapped_configILNS1_25lookback_scan_determinismE0ES3_S9_PhNS6_17constant_iteratorIiNS6_11use_defaultESE_EENS6_10device_ptrIhEENSG_IlEEPmS8_NS6_8equal_toIhEEEE10hipError_tPvRmT2_T3_mT4_T5_T6_T7_T8_P12ihipStream_tbENKUlT_T0_E_clISt17integral_constantIbLb1EES12_IbLb0EEEEDaSY_SZ_EUlSY_E_NS1_11comp_targetILNS1_3genE8ELNS1_11target_archE1030ELNS1_3gpuE2ELNS1_3repE0EEENS1_30default_config_static_selectorELNS0_4arch9wavefront6targetE1EEEvT1_.numbered_sgpr, 0
	.set _ZN7rocprim17ROCPRIM_400000_NS6detail17trampoline_kernelINS0_14default_configENS1_29reduce_by_key_config_selectorIhlN6thrust23THRUST_200600_302600_NS4plusIlEEEEZZNS1_33reduce_by_key_impl_wrapped_configILNS1_25lookback_scan_determinismE0ES3_S9_PhNS6_17constant_iteratorIiNS6_11use_defaultESE_EENS6_10device_ptrIhEENSG_IlEEPmS8_NS6_8equal_toIhEEEE10hipError_tPvRmT2_T3_mT4_T5_T6_T7_T8_P12ihipStream_tbENKUlT_T0_E_clISt17integral_constantIbLb1EES12_IbLb0EEEEDaSY_SZ_EUlSY_E_NS1_11comp_targetILNS1_3genE8ELNS1_11target_archE1030ELNS1_3gpuE2ELNS1_3repE0EEENS1_30default_config_static_selectorELNS0_4arch9wavefront6targetE1EEEvT1_.num_named_barrier, 0
	.set _ZN7rocprim17ROCPRIM_400000_NS6detail17trampoline_kernelINS0_14default_configENS1_29reduce_by_key_config_selectorIhlN6thrust23THRUST_200600_302600_NS4plusIlEEEEZZNS1_33reduce_by_key_impl_wrapped_configILNS1_25lookback_scan_determinismE0ES3_S9_PhNS6_17constant_iteratorIiNS6_11use_defaultESE_EENS6_10device_ptrIhEENSG_IlEEPmS8_NS6_8equal_toIhEEEE10hipError_tPvRmT2_T3_mT4_T5_T6_T7_T8_P12ihipStream_tbENKUlT_T0_E_clISt17integral_constantIbLb1EES12_IbLb0EEEEDaSY_SZ_EUlSY_E_NS1_11comp_targetILNS1_3genE8ELNS1_11target_archE1030ELNS1_3gpuE2ELNS1_3repE0EEENS1_30default_config_static_selectorELNS0_4arch9wavefront6targetE1EEEvT1_.private_seg_size, 0
	.set _ZN7rocprim17ROCPRIM_400000_NS6detail17trampoline_kernelINS0_14default_configENS1_29reduce_by_key_config_selectorIhlN6thrust23THRUST_200600_302600_NS4plusIlEEEEZZNS1_33reduce_by_key_impl_wrapped_configILNS1_25lookback_scan_determinismE0ES3_S9_PhNS6_17constant_iteratorIiNS6_11use_defaultESE_EENS6_10device_ptrIhEENSG_IlEEPmS8_NS6_8equal_toIhEEEE10hipError_tPvRmT2_T3_mT4_T5_T6_T7_T8_P12ihipStream_tbENKUlT_T0_E_clISt17integral_constantIbLb1EES12_IbLb0EEEEDaSY_SZ_EUlSY_E_NS1_11comp_targetILNS1_3genE8ELNS1_11target_archE1030ELNS1_3gpuE2ELNS1_3repE0EEENS1_30default_config_static_selectorELNS0_4arch9wavefront6targetE1EEEvT1_.uses_vcc, 0
	.set _ZN7rocprim17ROCPRIM_400000_NS6detail17trampoline_kernelINS0_14default_configENS1_29reduce_by_key_config_selectorIhlN6thrust23THRUST_200600_302600_NS4plusIlEEEEZZNS1_33reduce_by_key_impl_wrapped_configILNS1_25lookback_scan_determinismE0ES3_S9_PhNS6_17constant_iteratorIiNS6_11use_defaultESE_EENS6_10device_ptrIhEENSG_IlEEPmS8_NS6_8equal_toIhEEEE10hipError_tPvRmT2_T3_mT4_T5_T6_T7_T8_P12ihipStream_tbENKUlT_T0_E_clISt17integral_constantIbLb1EES12_IbLb0EEEEDaSY_SZ_EUlSY_E_NS1_11comp_targetILNS1_3genE8ELNS1_11target_archE1030ELNS1_3gpuE2ELNS1_3repE0EEENS1_30default_config_static_selectorELNS0_4arch9wavefront6targetE1EEEvT1_.uses_flat_scratch, 0
	.set _ZN7rocprim17ROCPRIM_400000_NS6detail17trampoline_kernelINS0_14default_configENS1_29reduce_by_key_config_selectorIhlN6thrust23THRUST_200600_302600_NS4plusIlEEEEZZNS1_33reduce_by_key_impl_wrapped_configILNS1_25lookback_scan_determinismE0ES3_S9_PhNS6_17constant_iteratorIiNS6_11use_defaultESE_EENS6_10device_ptrIhEENSG_IlEEPmS8_NS6_8equal_toIhEEEE10hipError_tPvRmT2_T3_mT4_T5_T6_T7_T8_P12ihipStream_tbENKUlT_T0_E_clISt17integral_constantIbLb1EES12_IbLb0EEEEDaSY_SZ_EUlSY_E_NS1_11comp_targetILNS1_3genE8ELNS1_11target_archE1030ELNS1_3gpuE2ELNS1_3repE0EEENS1_30default_config_static_selectorELNS0_4arch9wavefront6targetE1EEEvT1_.has_dyn_sized_stack, 0
	.set _ZN7rocprim17ROCPRIM_400000_NS6detail17trampoline_kernelINS0_14default_configENS1_29reduce_by_key_config_selectorIhlN6thrust23THRUST_200600_302600_NS4plusIlEEEEZZNS1_33reduce_by_key_impl_wrapped_configILNS1_25lookback_scan_determinismE0ES3_S9_PhNS6_17constant_iteratorIiNS6_11use_defaultESE_EENS6_10device_ptrIhEENSG_IlEEPmS8_NS6_8equal_toIhEEEE10hipError_tPvRmT2_T3_mT4_T5_T6_T7_T8_P12ihipStream_tbENKUlT_T0_E_clISt17integral_constantIbLb1EES12_IbLb0EEEEDaSY_SZ_EUlSY_E_NS1_11comp_targetILNS1_3genE8ELNS1_11target_archE1030ELNS1_3gpuE2ELNS1_3repE0EEENS1_30default_config_static_selectorELNS0_4arch9wavefront6targetE1EEEvT1_.has_recursion, 0
	.set _ZN7rocprim17ROCPRIM_400000_NS6detail17trampoline_kernelINS0_14default_configENS1_29reduce_by_key_config_selectorIhlN6thrust23THRUST_200600_302600_NS4plusIlEEEEZZNS1_33reduce_by_key_impl_wrapped_configILNS1_25lookback_scan_determinismE0ES3_S9_PhNS6_17constant_iteratorIiNS6_11use_defaultESE_EENS6_10device_ptrIhEENSG_IlEEPmS8_NS6_8equal_toIhEEEE10hipError_tPvRmT2_T3_mT4_T5_T6_T7_T8_P12ihipStream_tbENKUlT_T0_E_clISt17integral_constantIbLb1EES12_IbLb0EEEEDaSY_SZ_EUlSY_E_NS1_11comp_targetILNS1_3genE8ELNS1_11target_archE1030ELNS1_3gpuE2ELNS1_3repE0EEENS1_30default_config_static_selectorELNS0_4arch9wavefront6targetE1EEEvT1_.has_indirect_call, 0
	.section	.AMDGPU.csdata,"",@progbits
; Kernel info:
; codeLenInByte = 0
; TotalNumSgprs: 4
; NumVgprs: 0
; ScratchSize: 0
; MemoryBound: 0
; FloatMode: 240
; IeeeMode: 1
; LDSByteSize: 0 bytes/workgroup (compile time only)
; SGPRBlocks: 0
; VGPRBlocks: 0
; NumSGPRsForWavesPerEU: 4
; NumVGPRsForWavesPerEU: 1
; Occupancy: 10
; WaveLimiterHint : 0
; COMPUTE_PGM_RSRC2:SCRATCH_EN: 0
; COMPUTE_PGM_RSRC2:USER_SGPR: 6
; COMPUTE_PGM_RSRC2:TRAP_HANDLER: 0
; COMPUTE_PGM_RSRC2:TGID_X_EN: 1
; COMPUTE_PGM_RSRC2:TGID_Y_EN: 0
; COMPUTE_PGM_RSRC2:TGID_Z_EN: 0
; COMPUTE_PGM_RSRC2:TIDIG_COMP_CNT: 0
	.section	.text._ZN7rocprim17ROCPRIM_400000_NS6detail25reduce_by_key_init_kernelINS1_19lookback_scan_stateINS0_5tupleIJjlEEELb0ELb0EEElNS1_16block_id_wrapperIjLb1EEEEEvT_jbjPmPT0_T1_,"axG",@progbits,_ZN7rocprim17ROCPRIM_400000_NS6detail25reduce_by_key_init_kernelINS1_19lookback_scan_stateINS0_5tupleIJjlEEELb0ELb0EEElNS1_16block_id_wrapperIjLb1EEEEEvT_jbjPmPT0_T1_,comdat
	.protected	_ZN7rocprim17ROCPRIM_400000_NS6detail25reduce_by_key_init_kernelINS1_19lookback_scan_stateINS0_5tupleIJjlEEELb0ELb0EEElNS1_16block_id_wrapperIjLb1EEEEEvT_jbjPmPT0_T1_ ; -- Begin function _ZN7rocprim17ROCPRIM_400000_NS6detail25reduce_by_key_init_kernelINS1_19lookback_scan_stateINS0_5tupleIJjlEEELb0ELb0EEElNS1_16block_id_wrapperIjLb1EEEEEvT_jbjPmPT0_T1_
	.globl	_ZN7rocprim17ROCPRIM_400000_NS6detail25reduce_by_key_init_kernelINS1_19lookback_scan_stateINS0_5tupleIJjlEEELb0ELb0EEElNS1_16block_id_wrapperIjLb1EEEEEvT_jbjPmPT0_T1_
	.p2align	8
	.type	_ZN7rocprim17ROCPRIM_400000_NS6detail25reduce_by_key_init_kernelINS1_19lookback_scan_stateINS0_5tupleIJjlEEELb0ELb0EEElNS1_16block_id_wrapperIjLb1EEEEEvT_jbjPmPT0_T1_,@function
_ZN7rocprim17ROCPRIM_400000_NS6detail25reduce_by_key_init_kernelINS1_19lookback_scan_stateINS0_5tupleIJjlEEELb0ELb0EEElNS1_16block_id_wrapperIjLb1EEEEEvT_jbjPmPT0_T1_: ; @_ZN7rocprim17ROCPRIM_400000_NS6detail25reduce_by_key_init_kernelINS1_19lookback_scan_stateINS0_5tupleIJjlEEELb0ELb0EEElNS1_16block_id_wrapperIjLb1EEEEEvT_jbjPmPT0_T1_
; %bb.0:
	s_load_dwordx8 s[8:15], s[4:5], 0x18
	s_load_dword s0, s[4:5], 0x4c
	s_load_dwordx2 s[18:19], s[4:5], 0x38
	s_load_dwordx2 s[16:17], s[4:5], 0x10
	s_waitcnt lgkmcnt(0)
	s_and_b32 s1, s9, 1
	s_and_b32 s0, s0, 0xffff
	s_mul_i32 s6, s6, s0
	s_cmp_eq_u32 s1, 0
	v_add_u32_e32 v0, s6, v0
	s_mov_b64 s[0:1], -1
	s_cbranch_scc1 .LBB393_6
; %bb.1:
	s_andn2_b64 vcc, exec, s[0:1]
	v_cmp_eq_u32_e64 s[0:1], 0, v0
	s_cbranch_vccz .LBB393_11
.LBB393_2:
	v_cmp_eq_u32_e32 vcc, 0, v0
	s_and_saveexec_b64 s[0:1], vcc
	s_cbranch_execnz .LBB393_14
.LBB393_3:
	s_or_b64 exec, exec, s[0:1]
	v_cmp_gt_u32_e32 vcc, s8, v0
	s_and_saveexec_b64 s[0:1], vcc
	s_cbranch_execnz .LBB393_15
.LBB393_4:
	s_or_b64 exec, exec, s[0:1]
	v_cmp_gt_u32_e32 vcc, 64, v0
	s_and_saveexec_b64 s[0:1], vcc
	s_cbranch_execnz .LBB393_16
.LBB393_5:
	s_endpgm
.LBB393_6:
	s_cmp_lt_u32 s10, s8
	s_cselect_b32 s0, s10, 0
	v_cmp_eq_u32_e32 vcc, s0, v0
	s_and_saveexec_b64 s[6:7], vcc
	s_cbranch_execz .LBB393_10
; %bb.7:
	s_add_i32 s10, s10, 64
	v_mov_b32_e32 v1, s10
	global_load_ubyte v2, v1, s[16:17] glc
	s_load_dwordx4 s[0:3], s[4:5], 0x0
	v_mov_b32_e32 v1, 0
	s_add_u32 s4, s16, s10
	s_mov_b32 s11, 0
	s_addc_u32 s5, s17, 0
	s_waitcnt vmcnt(0)
	v_cmp_ne_u32_sdwa s[20:21], v2, v1 src0_sel:WORD_0 src1_sel:DWORD
	s_and_b64 vcc, exec, s[20:21]
	v_readfirstlane_b32 s9, v2
	s_cbranch_vccnz .LBB393_9
.LBB393_8:                              ; =>This Inner Loop Header: Depth=1
	global_load_ubyte v2, v1, s[4:5] glc
	s_waitcnt vmcnt(0)
	v_cmp_eq_u32_sdwa s[20:21], v2, v1 src0_sel:WORD_0 src1_sel:DWORD
	s_and_b64 vcc, exec, s[20:21]
	v_readfirstlane_b32 s9, v2
	s_cbranch_vccnz .LBB393_8
.LBB393_9:
	s_and_b32 s4, 0xffff, s9
	s_cmp_eq_u32 s4, 1
	s_waitcnt lgkmcnt(0)
	s_cselect_b32 s3, s1, s3
	s_cselect_b32 s2, s0, s2
	s_lshl_b64 s[0:1], s[10:11], 4
	s_add_u32 s0, s2, s0
	v_mov_b32_e32 v5, 0
	s_addc_u32 s1, s3, s1
	buffer_wbinvl1_vol
	global_load_dword v6, v5, s[0:1]
	global_load_dwordx2 v[1:2], v5, s[12:13]
	global_load_dwordx2 v[3:4], v5, s[0:1] offset:8
	s_waitcnt vmcnt(1)
	v_add_co_u32_e32 v1, vcc, v1, v6
	v_addc_co_u32_e32 v2, vcc, 0, v2, vcc
	global_store_dwordx2 v5, v[1:2], s[12:13]
	s_waitcnt vmcnt(1)
	global_store_dwordx2 v5, v[3:4], s[14:15]
.LBB393_10:
	s_or_b64 exec, exec, s[6:7]
	v_cmp_eq_u32_e64 s[0:1], 0, v0
	s_cbranch_execnz .LBB393_2
.LBB393_11:
	s_cmp_lg_u64 s[12:13], 0
	s_cselect_b64 s[2:3], -1, 0
	s_and_b64 s[2:3], s[2:3], s[0:1]
	s_and_saveexec_b64 s[0:1], s[2:3]
	s_cbranch_execz .LBB393_13
; %bb.12:
	v_mov_b32_e32 v1, 0
	v_mov_b32_e32 v2, v1
	global_store_dwordx2 v1, v[1:2], s[12:13]
.LBB393_13:
	s_or_b64 exec, exec, s[0:1]
	v_cmp_eq_u32_e32 vcc, 0, v0
	s_and_saveexec_b64 s[0:1], vcc
	s_cbranch_execz .LBB393_3
.LBB393_14:
	v_mov_b32_e32 v1, 0
	global_store_dword v1, v1, s[18:19]
	s_or_b64 exec, exec, s[0:1]
	v_cmp_gt_u32_e32 vcc, s8, v0
	s_and_saveexec_b64 s[0:1], vcc
	s_cbranch_execz .LBB393_4
.LBB393_15:
	v_add_u32_e32 v1, 64, v0
	v_mov_b32_e32 v2, 0
	global_store_byte v1, v2, s[16:17]
	s_or_b64 exec, exec, s[0:1]
	v_cmp_gt_u32_e32 vcc, 64, v0
	s_and_saveexec_b64 s[0:1], vcc
	s_cbranch_execz .LBB393_5
.LBB393_16:
	v_mov_b32_e32 v1, 0xff
	global_store_byte v0, v1, s[16:17]
	s_endpgm
	.section	.rodata,"a",@progbits
	.p2align	6, 0x0
	.amdhsa_kernel _ZN7rocprim17ROCPRIM_400000_NS6detail25reduce_by_key_init_kernelINS1_19lookback_scan_stateINS0_5tupleIJjlEEELb0ELb0EEElNS1_16block_id_wrapperIjLb1EEEEEvT_jbjPmPT0_T1_
		.amdhsa_group_segment_fixed_size 0
		.amdhsa_private_segment_fixed_size 0
		.amdhsa_kernarg_size 320
		.amdhsa_user_sgpr_count 6
		.amdhsa_user_sgpr_private_segment_buffer 1
		.amdhsa_user_sgpr_dispatch_ptr 0
		.amdhsa_user_sgpr_queue_ptr 0
		.amdhsa_user_sgpr_kernarg_segment_ptr 1
		.amdhsa_user_sgpr_dispatch_id 0
		.amdhsa_user_sgpr_flat_scratch_init 0
		.amdhsa_user_sgpr_private_segment_size 0
		.amdhsa_uses_dynamic_stack 0
		.amdhsa_system_sgpr_private_segment_wavefront_offset 0
		.amdhsa_system_sgpr_workgroup_id_x 1
		.amdhsa_system_sgpr_workgroup_id_y 0
		.amdhsa_system_sgpr_workgroup_id_z 0
		.amdhsa_system_sgpr_workgroup_info 0
		.amdhsa_system_vgpr_workitem_id 0
		.amdhsa_next_free_vgpr 7
		.amdhsa_next_free_sgpr 22
		.amdhsa_reserve_vcc 1
		.amdhsa_reserve_flat_scratch 0
		.amdhsa_float_round_mode_32 0
		.amdhsa_float_round_mode_16_64 0
		.amdhsa_float_denorm_mode_32 3
		.amdhsa_float_denorm_mode_16_64 3
		.amdhsa_dx10_clamp 1
		.amdhsa_ieee_mode 1
		.amdhsa_fp16_overflow 0
		.amdhsa_exception_fp_ieee_invalid_op 0
		.amdhsa_exception_fp_denorm_src 0
		.amdhsa_exception_fp_ieee_div_zero 0
		.amdhsa_exception_fp_ieee_overflow 0
		.amdhsa_exception_fp_ieee_underflow 0
		.amdhsa_exception_fp_ieee_inexact 0
		.amdhsa_exception_int_div_zero 0
	.end_amdhsa_kernel
	.section	.text._ZN7rocprim17ROCPRIM_400000_NS6detail25reduce_by_key_init_kernelINS1_19lookback_scan_stateINS0_5tupleIJjlEEELb0ELb0EEElNS1_16block_id_wrapperIjLb1EEEEEvT_jbjPmPT0_T1_,"axG",@progbits,_ZN7rocprim17ROCPRIM_400000_NS6detail25reduce_by_key_init_kernelINS1_19lookback_scan_stateINS0_5tupleIJjlEEELb0ELb0EEElNS1_16block_id_wrapperIjLb1EEEEEvT_jbjPmPT0_T1_,comdat
.Lfunc_end393:
	.size	_ZN7rocprim17ROCPRIM_400000_NS6detail25reduce_by_key_init_kernelINS1_19lookback_scan_stateINS0_5tupleIJjlEEELb0ELb0EEElNS1_16block_id_wrapperIjLb1EEEEEvT_jbjPmPT0_T1_, .Lfunc_end393-_ZN7rocprim17ROCPRIM_400000_NS6detail25reduce_by_key_init_kernelINS1_19lookback_scan_stateINS0_5tupleIJjlEEELb0ELb0EEElNS1_16block_id_wrapperIjLb1EEEEEvT_jbjPmPT0_T1_
                                        ; -- End function
	.set _ZN7rocprim17ROCPRIM_400000_NS6detail25reduce_by_key_init_kernelINS1_19lookback_scan_stateINS0_5tupleIJjlEEELb0ELb0EEElNS1_16block_id_wrapperIjLb1EEEEEvT_jbjPmPT0_T1_.num_vgpr, 7
	.set _ZN7rocprim17ROCPRIM_400000_NS6detail25reduce_by_key_init_kernelINS1_19lookback_scan_stateINS0_5tupleIJjlEEELb0ELb0EEElNS1_16block_id_wrapperIjLb1EEEEEvT_jbjPmPT0_T1_.num_agpr, 0
	.set _ZN7rocprim17ROCPRIM_400000_NS6detail25reduce_by_key_init_kernelINS1_19lookback_scan_stateINS0_5tupleIJjlEEELb0ELb0EEElNS1_16block_id_wrapperIjLb1EEEEEvT_jbjPmPT0_T1_.numbered_sgpr, 22
	.set _ZN7rocprim17ROCPRIM_400000_NS6detail25reduce_by_key_init_kernelINS1_19lookback_scan_stateINS0_5tupleIJjlEEELb0ELb0EEElNS1_16block_id_wrapperIjLb1EEEEEvT_jbjPmPT0_T1_.num_named_barrier, 0
	.set _ZN7rocprim17ROCPRIM_400000_NS6detail25reduce_by_key_init_kernelINS1_19lookback_scan_stateINS0_5tupleIJjlEEELb0ELb0EEElNS1_16block_id_wrapperIjLb1EEEEEvT_jbjPmPT0_T1_.private_seg_size, 0
	.set _ZN7rocprim17ROCPRIM_400000_NS6detail25reduce_by_key_init_kernelINS1_19lookback_scan_stateINS0_5tupleIJjlEEELb0ELb0EEElNS1_16block_id_wrapperIjLb1EEEEEvT_jbjPmPT0_T1_.uses_vcc, 1
	.set _ZN7rocprim17ROCPRIM_400000_NS6detail25reduce_by_key_init_kernelINS1_19lookback_scan_stateINS0_5tupleIJjlEEELb0ELb0EEElNS1_16block_id_wrapperIjLb1EEEEEvT_jbjPmPT0_T1_.uses_flat_scratch, 0
	.set _ZN7rocprim17ROCPRIM_400000_NS6detail25reduce_by_key_init_kernelINS1_19lookback_scan_stateINS0_5tupleIJjlEEELb0ELb0EEElNS1_16block_id_wrapperIjLb1EEEEEvT_jbjPmPT0_T1_.has_dyn_sized_stack, 0
	.set _ZN7rocprim17ROCPRIM_400000_NS6detail25reduce_by_key_init_kernelINS1_19lookback_scan_stateINS0_5tupleIJjlEEELb0ELb0EEElNS1_16block_id_wrapperIjLb1EEEEEvT_jbjPmPT0_T1_.has_recursion, 0
	.set _ZN7rocprim17ROCPRIM_400000_NS6detail25reduce_by_key_init_kernelINS1_19lookback_scan_stateINS0_5tupleIJjlEEELb0ELb0EEElNS1_16block_id_wrapperIjLb1EEEEEvT_jbjPmPT0_T1_.has_indirect_call, 0
	.section	.AMDGPU.csdata,"",@progbits
; Kernel info:
; codeLenInByte = 500
; TotalNumSgprs: 26
; NumVgprs: 7
; ScratchSize: 0
; MemoryBound: 0
; FloatMode: 240
; IeeeMode: 1
; LDSByteSize: 0 bytes/workgroup (compile time only)
; SGPRBlocks: 3
; VGPRBlocks: 1
; NumSGPRsForWavesPerEU: 26
; NumVGPRsForWavesPerEU: 7
; Occupancy: 10
; WaveLimiterHint : 0
; COMPUTE_PGM_RSRC2:SCRATCH_EN: 0
; COMPUTE_PGM_RSRC2:USER_SGPR: 6
; COMPUTE_PGM_RSRC2:TRAP_HANDLER: 0
; COMPUTE_PGM_RSRC2:TGID_X_EN: 1
; COMPUTE_PGM_RSRC2:TGID_Y_EN: 0
; COMPUTE_PGM_RSRC2:TGID_Z_EN: 0
; COMPUTE_PGM_RSRC2:TIDIG_COMP_CNT: 0
	.section	.text._ZN7rocprim17ROCPRIM_400000_NS6detail17trampoline_kernelINS0_14default_configENS1_29reduce_by_key_config_selectorIhlN6thrust23THRUST_200600_302600_NS4plusIlEEEEZZNS1_33reduce_by_key_impl_wrapped_configILNS1_25lookback_scan_determinismE0ES3_S9_PhNS6_17constant_iteratorIiNS6_11use_defaultESE_EENS6_10device_ptrIhEENSG_IlEEPmS8_NS6_8equal_toIhEEEE10hipError_tPvRmT2_T3_mT4_T5_T6_T7_T8_P12ihipStream_tbENKUlT_T0_E_clISt17integral_constantIbLb0EES12_IbLb1EEEEDaSY_SZ_EUlSY_E_NS1_11comp_targetILNS1_3genE0ELNS1_11target_archE4294967295ELNS1_3gpuE0ELNS1_3repE0EEENS1_30default_config_static_selectorELNS0_4arch9wavefront6targetE1EEEvT1_,"axG",@progbits,_ZN7rocprim17ROCPRIM_400000_NS6detail17trampoline_kernelINS0_14default_configENS1_29reduce_by_key_config_selectorIhlN6thrust23THRUST_200600_302600_NS4plusIlEEEEZZNS1_33reduce_by_key_impl_wrapped_configILNS1_25lookback_scan_determinismE0ES3_S9_PhNS6_17constant_iteratorIiNS6_11use_defaultESE_EENS6_10device_ptrIhEENSG_IlEEPmS8_NS6_8equal_toIhEEEE10hipError_tPvRmT2_T3_mT4_T5_T6_T7_T8_P12ihipStream_tbENKUlT_T0_E_clISt17integral_constantIbLb0EES12_IbLb1EEEEDaSY_SZ_EUlSY_E_NS1_11comp_targetILNS1_3genE0ELNS1_11target_archE4294967295ELNS1_3gpuE0ELNS1_3repE0EEENS1_30default_config_static_selectorELNS0_4arch9wavefront6targetE1EEEvT1_,comdat
	.protected	_ZN7rocprim17ROCPRIM_400000_NS6detail17trampoline_kernelINS0_14default_configENS1_29reduce_by_key_config_selectorIhlN6thrust23THRUST_200600_302600_NS4plusIlEEEEZZNS1_33reduce_by_key_impl_wrapped_configILNS1_25lookback_scan_determinismE0ES3_S9_PhNS6_17constant_iteratorIiNS6_11use_defaultESE_EENS6_10device_ptrIhEENSG_IlEEPmS8_NS6_8equal_toIhEEEE10hipError_tPvRmT2_T3_mT4_T5_T6_T7_T8_P12ihipStream_tbENKUlT_T0_E_clISt17integral_constantIbLb0EES12_IbLb1EEEEDaSY_SZ_EUlSY_E_NS1_11comp_targetILNS1_3genE0ELNS1_11target_archE4294967295ELNS1_3gpuE0ELNS1_3repE0EEENS1_30default_config_static_selectorELNS0_4arch9wavefront6targetE1EEEvT1_ ; -- Begin function _ZN7rocprim17ROCPRIM_400000_NS6detail17trampoline_kernelINS0_14default_configENS1_29reduce_by_key_config_selectorIhlN6thrust23THRUST_200600_302600_NS4plusIlEEEEZZNS1_33reduce_by_key_impl_wrapped_configILNS1_25lookback_scan_determinismE0ES3_S9_PhNS6_17constant_iteratorIiNS6_11use_defaultESE_EENS6_10device_ptrIhEENSG_IlEEPmS8_NS6_8equal_toIhEEEE10hipError_tPvRmT2_T3_mT4_T5_T6_T7_T8_P12ihipStream_tbENKUlT_T0_E_clISt17integral_constantIbLb0EES12_IbLb1EEEEDaSY_SZ_EUlSY_E_NS1_11comp_targetILNS1_3genE0ELNS1_11target_archE4294967295ELNS1_3gpuE0ELNS1_3repE0EEENS1_30default_config_static_selectorELNS0_4arch9wavefront6targetE1EEEvT1_
	.globl	_ZN7rocprim17ROCPRIM_400000_NS6detail17trampoline_kernelINS0_14default_configENS1_29reduce_by_key_config_selectorIhlN6thrust23THRUST_200600_302600_NS4plusIlEEEEZZNS1_33reduce_by_key_impl_wrapped_configILNS1_25lookback_scan_determinismE0ES3_S9_PhNS6_17constant_iteratorIiNS6_11use_defaultESE_EENS6_10device_ptrIhEENSG_IlEEPmS8_NS6_8equal_toIhEEEE10hipError_tPvRmT2_T3_mT4_T5_T6_T7_T8_P12ihipStream_tbENKUlT_T0_E_clISt17integral_constantIbLb0EES12_IbLb1EEEEDaSY_SZ_EUlSY_E_NS1_11comp_targetILNS1_3genE0ELNS1_11target_archE4294967295ELNS1_3gpuE0ELNS1_3repE0EEENS1_30default_config_static_selectorELNS0_4arch9wavefront6targetE1EEEvT1_
	.p2align	8
	.type	_ZN7rocprim17ROCPRIM_400000_NS6detail17trampoline_kernelINS0_14default_configENS1_29reduce_by_key_config_selectorIhlN6thrust23THRUST_200600_302600_NS4plusIlEEEEZZNS1_33reduce_by_key_impl_wrapped_configILNS1_25lookback_scan_determinismE0ES3_S9_PhNS6_17constant_iteratorIiNS6_11use_defaultESE_EENS6_10device_ptrIhEENSG_IlEEPmS8_NS6_8equal_toIhEEEE10hipError_tPvRmT2_T3_mT4_T5_T6_T7_T8_P12ihipStream_tbENKUlT_T0_E_clISt17integral_constantIbLb0EES12_IbLb1EEEEDaSY_SZ_EUlSY_E_NS1_11comp_targetILNS1_3genE0ELNS1_11target_archE4294967295ELNS1_3gpuE0ELNS1_3repE0EEENS1_30default_config_static_selectorELNS0_4arch9wavefront6targetE1EEEvT1_,@function
_ZN7rocprim17ROCPRIM_400000_NS6detail17trampoline_kernelINS0_14default_configENS1_29reduce_by_key_config_selectorIhlN6thrust23THRUST_200600_302600_NS4plusIlEEEEZZNS1_33reduce_by_key_impl_wrapped_configILNS1_25lookback_scan_determinismE0ES3_S9_PhNS6_17constant_iteratorIiNS6_11use_defaultESE_EENS6_10device_ptrIhEENSG_IlEEPmS8_NS6_8equal_toIhEEEE10hipError_tPvRmT2_T3_mT4_T5_T6_T7_T8_P12ihipStream_tbENKUlT_T0_E_clISt17integral_constantIbLb0EES12_IbLb1EEEEDaSY_SZ_EUlSY_E_NS1_11comp_targetILNS1_3genE0ELNS1_11target_archE4294967295ELNS1_3gpuE0ELNS1_3repE0EEENS1_30default_config_static_selectorELNS0_4arch9wavefront6targetE1EEEvT1_: ; @_ZN7rocprim17ROCPRIM_400000_NS6detail17trampoline_kernelINS0_14default_configENS1_29reduce_by_key_config_selectorIhlN6thrust23THRUST_200600_302600_NS4plusIlEEEEZZNS1_33reduce_by_key_impl_wrapped_configILNS1_25lookback_scan_determinismE0ES3_S9_PhNS6_17constant_iteratorIiNS6_11use_defaultESE_EENS6_10device_ptrIhEENSG_IlEEPmS8_NS6_8equal_toIhEEEE10hipError_tPvRmT2_T3_mT4_T5_T6_T7_T8_P12ihipStream_tbENKUlT_T0_E_clISt17integral_constantIbLb0EES12_IbLb1EEEEDaSY_SZ_EUlSY_E_NS1_11comp_targetILNS1_3genE0ELNS1_11target_archE4294967295ELNS1_3gpuE0ELNS1_3repE0EEENS1_30default_config_static_selectorELNS0_4arch9wavefront6targetE1EEEvT1_
; %bb.0:
	.section	.rodata,"a",@progbits
	.p2align	6, 0x0
	.amdhsa_kernel _ZN7rocprim17ROCPRIM_400000_NS6detail17trampoline_kernelINS0_14default_configENS1_29reduce_by_key_config_selectorIhlN6thrust23THRUST_200600_302600_NS4plusIlEEEEZZNS1_33reduce_by_key_impl_wrapped_configILNS1_25lookback_scan_determinismE0ES3_S9_PhNS6_17constant_iteratorIiNS6_11use_defaultESE_EENS6_10device_ptrIhEENSG_IlEEPmS8_NS6_8equal_toIhEEEE10hipError_tPvRmT2_T3_mT4_T5_T6_T7_T8_P12ihipStream_tbENKUlT_T0_E_clISt17integral_constantIbLb0EES12_IbLb1EEEEDaSY_SZ_EUlSY_E_NS1_11comp_targetILNS1_3genE0ELNS1_11target_archE4294967295ELNS1_3gpuE0ELNS1_3repE0EEENS1_30default_config_static_selectorELNS0_4arch9wavefront6targetE1EEEvT1_
		.amdhsa_group_segment_fixed_size 0
		.amdhsa_private_segment_fixed_size 0
		.amdhsa_kernarg_size 144
		.amdhsa_user_sgpr_count 6
		.amdhsa_user_sgpr_private_segment_buffer 1
		.amdhsa_user_sgpr_dispatch_ptr 0
		.amdhsa_user_sgpr_queue_ptr 0
		.amdhsa_user_sgpr_kernarg_segment_ptr 1
		.amdhsa_user_sgpr_dispatch_id 0
		.amdhsa_user_sgpr_flat_scratch_init 0
		.amdhsa_user_sgpr_private_segment_size 0
		.amdhsa_uses_dynamic_stack 0
		.amdhsa_system_sgpr_private_segment_wavefront_offset 0
		.amdhsa_system_sgpr_workgroup_id_x 1
		.amdhsa_system_sgpr_workgroup_id_y 0
		.amdhsa_system_sgpr_workgroup_id_z 0
		.amdhsa_system_sgpr_workgroup_info 0
		.amdhsa_system_vgpr_workitem_id 0
		.amdhsa_next_free_vgpr 1
		.amdhsa_next_free_sgpr 0
		.amdhsa_reserve_vcc 0
		.amdhsa_reserve_flat_scratch 0
		.amdhsa_float_round_mode_32 0
		.amdhsa_float_round_mode_16_64 0
		.amdhsa_float_denorm_mode_32 3
		.amdhsa_float_denorm_mode_16_64 3
		.amdhsa_dx10_clamp 1
		.amdhsa_ieee_mode 1
		.amdhsa_fp16_overflow 0
		.amdhsa_exception_fp_ieee_invalid_op 0
		.amdhsa_exception_fp_denorm_src 0
		.amdhsa_exception_fp_ieee_div_zero 0
		.amdhsa_exception_fp_ieee_overflow 0
		.amdhsa_exception_fp_ieee_underflow 0
		.amdhsa_exception_fp_ieee_inexact 0
		.amdhsa_exception_int_div_zero 0
	.end_amdhsa_kernel
	.section	.text._ZN7rocprim17ROCPRIM_400000_NS6detail17trampoline_kernelINS0_14default_configENS1_29reduce_by_key_config_selectorIhlN6thrust23THRUST_200600_302600_NS4plusIlEEEEZZNS1_33reduce_by_key_impl_wrapped_configILNS1_25lookback_scan_determinismE0ES3_S9_PhNS6_17constant_iteratorIiNS6_11use_defaultESE_EENS6_10device_ptrIhEENSG_IlEEPmS8_NS6_8equal_toIhEEEE10hipError_tPvRmT2_T3_mT4_T5_T6_T7_T8_P12ihipStream_tbENKUlT_T0_E_clISt17integral_constantIbLb0EES12_IbLb1EEEEDaSY_SZ_EUlSY_E_NS1_11comp_targetILNS1_3genE0ELNS1_11target_archE4294967295ELNS1_3gpuE0ELNS1_3repE0EEENS1_30default_config_static_selectorELNS0_4arch9wavefront6targetE1EEEvT1_,"axG",@progbits,_ZN7rocprim17ROCPRIM_400000_NS6detail17trampoline_kernelINS0_14default_configENS1_29reduce_by_key_config_selectorIhlN6thrust23THRUST_200600_302600_NS4plusIlEEEEZZNS1_33reduce_by_key_impl_wrapped_configILNS1_25lookback_scan_determinismE0ES3_S9_PhNS6_17constant_iteratorIiNS6_11use_defaultESE_EENS6_10device_ptrIhEENSG_IlEEPmS8_NS6_8equal_toIhEEEE10hipError_tPvRmT2_T3_mT4_T5_T6_T7_T8_P12ihipStream_tbENKUlT_T0_E_clISt17integral_constantIbLb0EES12_IbLb1EEEEDaSY_SZ_EUlSY_E_NS1_11comp_targetILNS1_3genE0ELNS1_11target_archE4294967295ELNS1_3gpuE0ELNS1_3repE0EEENS1_30default_config_static_selectorELNS0_4arch9wavefront6targetE1EEEvT1_,comdat
.Lfunc_end394:
	.size	_ZN7rocprim17ROCPRIM_400000_NS6detail17trampoline_kernelINS0_14default_configENS1_29reduce_by_key_config_selectorIhlN6thrust23THRUST_200600_302600_NS4plusIlEEEEZZNS1_33reduce_by_key_impl_wrapped_configILNS1_25lookback_scan_determinismE0ES3_S9_PhNS6_17constant_iteratorIiNS6_11use_defaultESE_EENS6_10device_ptrIhEENSG_IlEEPmS8_NS6_8equal_toIhEEEE10hipError_tPvRmT2_T3_mT4_T5_T6_T7_T8_P12ihipStream_tbENKUlT_T0_E_clISt17integral_constantIbLb0EES12_IbLb1EEEEDaSY_SZ_EUlSY_E_NS1_11comp_targetILNS1_3genE0ELNS1_11target_archE4294967295ELNS1_3gpuE0ELNS1_3repE0EEENS1_30default_config_static_selectorELNS0_4arch9wavefront6targetE1EEEvT1_, .Lfunc_end394-_ZN7rocprim17ROCPRIM_400000_NS6detail17trampoline_kernelINS0_14default_configENS1_29reduce_by_key_config_selectorIhlN6thrust23THRUST_200600_302600_NS4plusIlEEEEZZNS1_33reduce_by_key_impl_wrapped_configILNS1_25lookback_scan_determinismE0ES3_S9_PhNS6_17constant_iteratorIiNS6_11use_defaultESE_EENS6_10device_ptrIhEENSG_IlEEPmS8_NS6_8equal_toIhEEEE10hipError_tPvRmT2_T3_mT4_T5_T6_T7_T8_P12ihipStream_tbENKUlT_T0_E_clISt17integral_constantIbLb0EES12_IbLb1EEEEDaSY_SZ_EUlSY_E_NS1_11comp_targetILNS1_3genE0ELNS1_11target_archE4294967295ELNS1_3gpuE0ELNS1_3repE0EEENS1_30default_config_static_selectorELNS0_4arch9wavefront6targetE1EEEvT1_
                                        ; -- End function
	.set _ZN7rocprim17ROCPRIM_400000_NS6detail17trampoline_kernelINS0_14default_configENS1_29reduce_by_key_config_selectorIhlN6thrust23THRUST_200600_302600_NS4plusIlEEEEZZNS1_33reduce_by_key_impl_wrapped_configILNS1_25lookback_scan_determinismE0ES3_S9_PhNS6_17constant_iteratorIiNS6_11use_defaultESE_EENS6_10device_ptrIhEENSG_IlEEPmS8_NS6_8equal_toIhEEEE10hipError_tPvRmT2_T3_mT4_T5_T6_T7_T8_P12ihipStream_tbENKUlT_T0_E_clISt17integral_constantIbLb0EES12_IbLb1EEEEDaSY_SZ_EUlSY_E_NS1_11comp_targetILNS1_3genE0ELNS1_11target_archE4294967295ELNS1_3gpuE0ELNS1_3repE0EEENS1_30default_config_static_selectorELNS0_4arch9wavefront6targetE1EEEvT1_.num_vgpr, 0
	.set _ZN7rocprim17ROCPRIM_400000_NS6detail17trampoline_kernelINS0_14default_configENS1_29reduce_by_key_config_selectorIhlN6thrust23THRUST_200600_302600_NS4plusIlEEEEZZNS1_33reduce_by_key_impl_wrapped_configILNS1_25lookback_scan_determinismE0ES3_S9_PhNS6_17constant_iteratorIiNS6_11use_defaultESE_EENS6_10device_ptrIhEENSG_IlEEPmS8_NS6_8equal_toIhEEEE10hipError_tPvRmT2_T3_mT4_T5_T6_T7_T8_P12ihipStream_tbENKUlT_T0_E_clISt17integral_constantIbLb0EES12_IbLb1EEEEDaSY_SZ_EUlSY_E_NS1_11comp_targetILNS1_3genE0ELNS1_11target_archE4294967295ELNS1_3gpuE0ELNS1_3repE0EEENS1_30default_config_static_selectorELNS0_4arch9wavefront6targetE1EEEvT1_.num_agpr, 0
	.set _ZN7rocprim17ROCPRIM_400000_NS6detail17trampoline_kernelINS0_14default_configENS1_29reduce_by_key_config_selectorIhlN6thrust23THRUST_200600_302600_NS4plusIlEEEEZZNS1_33reduce_by_key_impl_wrapped_configILNS1_25lookback_scan_determinismE0ES3_S9_PhNS6_17constant_iteratorIiNS6_11use_defaultESE_EENS6_10device_ptrIhEENSG_IlEEPmS8_NS6_8equal_toIhEEEE10hipError_tPvRmT2_T3_mT4_T5_T6_T7_T8_P12ihipStream_tbENKUlT_T0_E_clISt17integral_constantIbLb0EES12_IbLb1EEEEDaSY_SZ_EUlSY_E_NS1_11comp_targetILNS1_3genE0ELNS1_11target_archE4294967295ELNS1_3gpuE0ELNS1_3repE0EEENS1_30default_config_static_selectorELNS0_4arch9wavefront6targetE1EEEvT1_.numbered_sgpr, 0
	.set _ZN7rocprim17ROCPRIM_400000_NS6detail17trampoline_kernelINS0_14default_configENS1_29reduce_by_key_config_selectorIhlN6thrust23THRUST_200600_302600_NS4plusIlEEEEZZNS1_33reduce_by_key_impl_wrapped_configILNS1_25lookback_scan_determinismE0ES3_S9_PhNS6_17constant_iteratorIiNS6_11use_defaultESE_EENS6_10device_ptrIhEENSG_IlEEPmS8_NS6_8equal_toIhEEEE10hipError_tPvRmT2_T3_mT4_T5_T6_T7_T8_P12ihipStream_tbENKUlT_T0_E_clISt17integral_constantIbLb0EES12_IbLb1EEEEDaSY_SZ_EUlSY_E_NS1_11comp_targetILNS1_3genE0ELNS1_11target_archE4294967295ELNS1_3gpuE0ELNS1_3repE0EEENS1_30default_config_static_selectorELNS0_4arch9wavefront6targetE1EEEvT1_.num_named_barrier, 0
	.set _ZN7rocprim17ROCPRIM_400000_NS6detail17trampoline_kernelINS0_14default_configENS1_29reduce_by_key_config_selectorIhlN6thrust23THRUST_200600_302600_NS4plusIlEEEEZZNS1_33reduce_by_key_impl_wrapped_configILNS1_25lookback_scan_determinismE0ES3_S9_PhNS6_17constant_iteratorIiNS6_11use_defaultESE_EENS6_10device_ptrIhEENSG_IlEEPmS8_NS6_8equal_toIhEEEE10hipError_tPvRmT2_T3_mT4_T5_T6_T7_T8_P12ihipStream_tbENKUlT_T0_E_clISt17integral_constantIbLb0EES12_IbLb1EEEEDaSY_SZ_EUlSY_E_NS1_11comp_targetILNS1_3genE0ELNS1_11target_archE4294967295ELNS1_3gpuE0ELNS1_3repE0EEENS1_30default_config_static_selectorELNS0_4arch9wavefront6targetE1EEEvT1_.private_seg_size, 0
	.set _ZN7rocprim17ROCPRIM_400000_NS6detail17trampoline_kernelINS0_14default_configENS1_29reduce_by_key_config_selectorIhlN6thrust23THRUST_200600_302600_NS4plusIlEEEEZZNS1_33reduce_by_key_impl_wrapped_configILNS1_25lookback_scan_determinismE0ES3_S9_PhNS6_17constant_iteratorIiNS6_11use_defaultESE_EENS6_10device_ptrIhEENSG_IlEEPmS8_NS6_8equal_toIhEEEE10hipError_tPvRmT2_T3_mT4_T5_T6_T7_T8_P12ihipStream_tbENKUlT_T0_E_clISt17integral_constantIbLb0EES12_IbLb1EEEEDaSY_SZ_EUlSY_E_NS1_11comp_targetILNS1_3genE0ELNS1_11target_archE4294967295ELNS1_3gpuE0ELNS1_3repE0EEENS1_30default_config_static_selectorELNS0_4arch9wavefront6targetE1EEEvT1_.uses_vcc, 0
	.set _ZN7rocprim17ROCPRIM_400000_NS6detail17trampoline_kernelINS0_14default_configENS1_29reduce_by_key_config_selectorIhlN6thrust23THRUST_200600_302600_NS4plusIlEEEEZZNS1_33reduce_by_key_impl_wrapped_configILNS1_25lookback_scan_determinismE0ES3_S9_PhNS6_17constant_iteratorIiNS6_11use_defaultESE_EENS6_10device_ptrIhEENSG_IlEEPmS8_NS6_8equal_toIhEEEE10hipError_tPvRmT2_T3_mT4_T5_T6_T7_T8_P12ihipStream_tbENKUlT_T0_E_clISt17integral_constantIbLb0EES12_IbLb1EEEEDaSY_SZ_EUlSY_E_NS1_11comp_targetILNS1_3genE0ELNS1_11target_archE4294967295ELNS1_3gpuE0ELNS1_3repE0EEENS1_30default_config_static_selectorELNS0_4arch9wavefront6targetE1EEEvT1_.uses_flat_scratch, 0
	.set _ZN7rocprim17ROCPRIM_400000_NS6detail17trampoline_kernelINS0_14default_configENS1_29reduce_by_key_config_selectorIhlN6thrust23THRUST_200600_302600_NS4plusIlEEEEZZNS1_33reduce_by_key_impl_wrapped_configILNS1_25lookback_scan_determinismE0ES3_S9_PhNS6_17constant_iteratorIiNS6_11use_defaultESE_EENS6_10device_ptrIhEENSG_IlEEPmS8_NS6_8equal_toIhEEEE10hipError_tPvRmT2_T3_mT4_T5_T6_T7_T8_P12ihipStream_tbENKUlT_T0_E_clISt17integral_constantIbLb0EES12_IbLb1EEEEDaSY_SZ_EUlSY_E_NS1_11comp_targetILNS1_3genE0ELNS1_11target_archE4294967295ELNS1_3gpuE0ELNS1_3repE0EEENS1_30default_config_static_selectorELNS0_4arch9wavefront6targetE1EEEvT1_.has_dyn_sized_stack, 0
	.set _ZN7rocprim17ROCPRIM_400000_NS6detail17trampoline_kernelINS0_14default_configENS1_29reduce_by_key_config_selectorIhlN6thrust23THRUST_200600_302600_NS4plusIlEEEEZZNS1_33reduce_by_key_impl_wrapped_configILNS1_25lookback_scan_determinismE0ES3_S9_PhNS6_17constant_iteratorIiNS6_11use_defaultESE_EENS6_10device_ptrIhEENSG_IlEEPmS8_NS6_8equal_toIhEEEE10hipError_tPvRmT2_T3_mT4_T5_T6_T7_T8_P12ihipStream_tbENKUlT_T0_E_clISt17integral_constantIbLb0EES12_IbLb1EEEEDaSY_SZ_EUlSY_E_NS1_11comp_targetILNS1_3genE0ELNS1_11target_archE4294967295ELNS1_3gpuE0ELNS1_3repE0EEENS1_30default_config_static_selectorELNS0_4arch9wavefront6targetE1EEEvT1_.has_recursion, 0
	.set _ZN7rocprim17ROCPRIM_400000_NS6detail17trampoline_kernelINS0_14default_configENS1_29reduce_by_key_config_selectorIhlN6thrust23THRUST_200600_302600_NS4plusIlEEEEZZNS1_33reduce_by_key_impl_wrapped_configILNS1_25lookback_scan_determinismE0ES3_S9_PhNS6_17constant_iteratorIiNS6_11use_defaultESE_EENS6_10device_ptrIhEENSG_IlEEPmS8_NS6_8equal_toIhEEEE10hipError_tPvRmT2_T3_mT4_T5_T6_T7_T8_P12ihipStream_tbENKUlT_T0_E_clISt17integral_constantIbLb0EES12_IbLb1EEEEDaSY_SZ_EUlSY_E_NS1_11comp_targetILNS1_3genE0ELNS1_11target_archE4294967295ELNS1_3gpuE0ELNS1_3repE0EEENS1_30default_config_static_selectorELNS0_4arch9wavefront6targetE1EEEvT1_.has_indirect_call, 0
	.section	.AMDGPU.csdata,"",@progbits
; Kernel info:
; codeLenInByte = 0
; TotalNumSgprs: 4
; NumVgprs: 0
; ScratchSize: 0
; MemoryBound: 0
; FloatMode: 240
; IeeeMode: 1
; LDSByteSize: 0 bytes/workgroup (compile time only)
; SGPRBlocks: 0
; VGPRBlocks: 0
; NumSGPRsForWavesPerEU: 4
; NumVGPRsForWavesPerEU: 1
; Occupancy: 10
; WaveLimiterHint : 0
; COMPUTE_PGM_RSRC2:SCRATCH_EN: 0
; COMPUTE_PGM_RSRC2:USER_SGPR: 6
; COMPUTE_PGM_RSRC2:TRAP_HANDLER: 0
; COMPUTE_PGM_RSRC2:TGID_X_EN: 1
; COMPUTE_PGM_RSRC2:TGID_Y_EN: 0
; COMPUTE_PGM_RSRC2:TGID_Z_EN: 0
; COMPUTE_PGM_RSRC2:TIDIG_COMP_CNT: 0
	.section	.text._ZN7rocprim17ROCPRIM_400000_NS6detail17trampoline_kernelINS0_14default_configENS1_29reduce_by_key_config_selectorIhlN6thrust23THRUST_200600_302600_NS4plusIlEEEEZZNS1_33reduce_by_key_impl_wrapped_configILNS1_25lookback_scan_determinismE0ES3_S9_PhNS6_17constant_iteratorIiNS6_11use_defaultESE_EENS6_10device_ptrIhEENSG_IlEEPmS8_NS6_8equal_toIhEEEE10hipError_tPvRmT2_T3_mT4_T5_T6_T7_T8_P12ihipStream_tbENKUlT_T0_E_clISt17integral_constantIbLb0EES12_IbLb1EEEEDaSY_SZ_EUlSY_E_NS1_11comp_targetILNS1_3genE5ELNS1_11target_archE942ELNS1_3gpuE9ELNS1_3repE0EEENS1_30default_config_static_selectorELNS0_4arch9wavefront6targetE1EEEvT1_,"axG",@progbits,_ZN7rocprim17ROCPRIM_400000_NS6detail17trampoline_kernelINS0_14default_configENS1_29reduce_by_key_config_selectorIhlN6thrust23THRUST_200600_302600_NS4plusIlEEEEZZNS1_33reduce_by_key_impl_wrapped_configILNS1_25lookback_scan_determinismE0ES3_S9_PhNS6_17constant_iteratorIiNS6_11use_defaultESE_EENS6_10device_ptrIhEENSG_IlEEPmS8_NS6_8equal_toIhEEEE10hipError_tPvRmT2_T3_mT4_T5_T6_T7_T8_P12ihipStream_tbENKUlT_T0_E_clISt17integral_constantIbLb0EES12_IbLb1EEEEDaSY_SZ_EUlSY_E_NS1_11comp_targetILNS1_3genE5ELNS1_11target_archE942ELNS1_3gpuE9ELNS1_3repE0EEENS1_30default_config_static_selectorELNS0_4arch9wavefront6targetE1EEEvT1_,comdat
	.protected	_ZN7rocprim17ROCPRIM_400000_NS6detail17trampoline_kernelINS0_14default_configENS1_29reduce_by_key_config_selectorIhlN6thrust23THRUST_200600_302600_NS4plusIlEEEEZZNS1_33reduce_by_key_impl_wrapped_configILNS1_25lookback_scan_determinismE0ES3_S9_PhNS6_17constant_iteratorIiNS6_11use_defaultESE_EENS6_10device_ptrIhEENSG_IlEEPmS8_NS6_8equal_toIhEEEE10hipError_tPvRmT2_T3_mT4_T5_T6_T7_T8_P12ihipStream_tbENKUlT_T0_E_clISt17integral_constantIbLb0EES12_IbLb1EEEEDaSY_SZ_EUlSY_E_NS1_11comp_targetILNS1_3genE5ELNS1_11target_archE942ELNS1_3gpuE9ELNS1_3repE0EEENS1_30default_config_static_selectorELNS0_4arch9wavefront6targetE1EEEvT1_ ; -- Begin function _ZN7rocprim17ROCPRIM_400000_NS6detail17trampoline_kernelINS0_14default_configENS1_29reduce_by_key_config_selectorIhlN6thrust23THRUST_200600_302600_NS4plusIlEEEEZZNS1_33reduce_by_key_impl_wrapped_configILNS1_25lookback_scan_determinismE0ES3_S9_PhNS6_17constant_iteratorIiNS6_11use_defaultESE_EENS6_10device_ptrIhEENSG_IlEEPmS8_NS6_8equal_toIhEEEE10hipError_tPvRmT2_T3_mT4_T5_T6_T7_T8_P12ihipStream_tbENKUlT_T0_E_clISt17integral_constantIbLb0EES12_IbLb1EEEEDaSY_SZ_EUlSY_E_NS1_11comp_targetILNS1_3genE5ELNS1_11target_archE942ELNS1_3gpuE9ELNS1_3repE0EEENS1_30default_config_static_selectorELNS0_4arch9wavefront6targetE1EEEvT1_
	.globl	_ZN7rocprim17ROCPRIM_400000_NS6detail17trampoline_kernelINS0_14default_configENS1_29reduce_by_key_config_selectorIhlN6thrust23THRUST_200600_302600_NS4plusIlEEEEZZNS1_33reduce_by_key_impl_wrapped_configILNS1_25lookback_scan_determinismE0ES3_S9_PhNS6_17constant_iteratorIiNS6_11use_defaultESE_EENS6_10device_ptrIhEENSG_IlEEPmS8_NS6_8equal_toIhEEEE10hipError_tPvRmT2_T3_mT4_T5_T6_T7_T8_P12ihipStream_tbENKUlT_T0_E_clISt17integral_constantIbLb0EES12_IbLb1EEEEDaSY_SZ_EUlSY_E_NS1_11comp_targetILNS1_3genE5ELNS1_11target_archE942ELNS1_3gpuE9ELNS1_3repE0EEENS1_30default_config_static_selectorELNS0_4arch9wavefront6targetE1EEEvT1_
	.p2align	8
	.type	_ZN7rocprim17ROCPRIM_400000_NS6detail17trampoline_kernelINS0_14default_configENS1_29reduce_by_key_config_selectorIhlN6thrust23THRUST_200600_302600_NS4plusIlEEEEZZNS1_33reduce_by_key_impl_wrapped_configILNS1_25lookback_scan_determinismE0ES3_S9_PhNS6_17constant_iteratorIiNS6_11use_defaultESE_EENS6_10device_ptrIhEENSG_IlEEPmS8_NS6_8equal_toIhEEEE10hipError_tPvRmT2_T3_mT4_T5_T6_T7_T8_P12ihipStream_tbENKUlT_T0_E_clISt17integral_constantIbLb0EES12_IbLb1EEEEDaSY_SZ_EUlSY_E_NS1_11comp_targetILNS1_3genE5ELNS1_11target_archE942ELNS1_3gpuE9ELNS1_3repE0EEENS1_30default_config_static_selectorELNS0_4arch9wavefront6targetE1EEEvT1_,@function
_ZN7rocprim17ROCPRIM_400000_NS6detail17trampoline_kernelINS0_14default_configENS1_29reduce_by_key_config_selectorIhlN6thrust23THRUST_200600_302600_NS4plusIlEEEEZZNS1_33reduce_by_key_impl_wrapped_configILNS1_25lookback_scan_determinismE0ES3_S9_PhNS6_17constant_iteratorIiNS6_11use_defaultESE_EENS6_10device_ptrIhEENSG_IlEEPmS8_NS6_8equal_toIhEEEE10hipError_tPvRmT2_T3_mT4_T5_T6_T7_T8_P12ihipStream_tbENKUlT_T0_E_clISt17integral_constantIbLb0EES12_IbLb1EEEEDaSY_SZ_EUlSY_E_NS1_11comp_targetILNS1_3genE5ELNS1_11target_archE942ELNS1_3gpuE9ELNS1_3repE0EEENS1_30default_config_static_selectorELNS0_4arch9wavefront6targetE1EEEvT1_: ; @_ZN7rocprim17ROCPRIM_400000_NS6detail17trampoline_kernelINS0_14default_configENS1_29reduce_by_key_config_selectorIhlN6thrust23THRUST_200600_302600_NS4plusIlEEEEZZNS1_33reduce_by_key_impl_wrapped_configILNS1_25lookback_scan_determinismE0ES3_S9_PhNS6_17constant_iteratorIiNS6_11use_defaultESE_EENS6_10device_ptrIhEENSG_IlEEPmS8_NS6_8equal_toIhEEEE10hipError_tPvRmT2_T3_mT4_T5_T6_T7_T8_P12ihipStream_tbENKUlT_T0_E_clISt17integral_constantIbLb0EES12_IbLb1EEEEDaSY_SZ_EUlSY_E_NS1_11comp_targetILNS1_3genE5ELNS1_11target_archE942ELNS1_3gpuE9ELNS1_3repE0EEENS1_30default_config_static_selectorELNS0_4arch9wavefront6targetE1EEEvT1_
; %bb.0:
	.section	.rodata,"a",@progbits
	.p2align	6, 0x0
	.amdhsa_kernel _ZN7rocprim17ROCPRIM_400000_NS6detail17trampoline_kernelINS0_14default_configENS1_29reduce_by_key_config_selectorIhlN6thrust23THRUST_200600_302600_NS4plusIlEEEEZZNS1_33reduce_by_key_impl_wrapped_configILNS1_25lookback_scan_determinismE0ES3_S9_PhNS6_17constant_iteratorIiNS6_11use_defaultESE_EENS6_10device_ptrIhEENSG_IlEEPmS8_NS6_8equal_toIhEEEE10hipError_tPvRmT2_T3_mT4_T5_T6_T7_T8_P12ihipStream_tbENKUlT_T0_E_clISt17integral_constantIbLb0EES12_IbLb1EEEEDaSY_SZ_EUlSY_E_NS1_11comp_targetILNS1_3genE5ELNS1_11target_archE942ELNS1_3gpuE9ELNS1_3repE0EEENS1_30default_config_static_selectorELNS0_4arch9wavefront6targetE1EEEvT1_
		.amdhsa_group_segment_fixed_size 0
		.amdhsa_private_segment_fixed_size 0
		.amdhsa_kernarg_size 144
		.amdhsa_user_sgpr_count 6
		.amdhsa_user_sgpr_private_segment_buffer 1
		.amdhsa_user_sgpr_dispatch_ptr 0
		.amdhsa_user_sgpr_queue_ptr 0
		.amdhsa_user_sgpr_kernarg_segment_ptr 1
		.amdhsa_user_sgpr_dispatch_id 0
		.amdhsa_user_sgpr_flat_scratch_init 0
		.amdhsa_user_sgpr_private_segment_size 0
		.amdhsa_uses_dynamic_stack 0
		.amdhsa_system_sgpr_private_segment_wavefront_offset 0
		.amdhsa_system_sgpr_workgroup_id_x 1
		.amdhsa_system_sgpr_workgroup_id_y 0
		.amdhsa_system_sgpr_workgroup_id_z 0
		.amdhsa_system_sgpr_workgroup_info 0
		.amdhsa_system_vgpr_workitem_id 0
		.amdhsa_next_free_vgpr 1
		.amdhsa_next_free_sgpr 0
		.amdhsa_reserve_vcc 0
		.amdhsa_reserve_flat_scratch 0
		.amdhsa_float_round_mode_32 0
		.amdhsa_float_round_mode_16_64 0
		.amdhsa_float_denorm_mode_32 3
		.amdhsa_float_denorm_mode_16_64 3
		.amdhsa_dx10_clamp 1
		.amdhsa_ieee_mode 1
		.amdhsa_fp16_overflow 0
		.amdhsa_exception_fp_ieee_invalid_op 0
		.amdhsa_exception_fp_denorm_src 0
		.amdhsa_exception_fp_ieee_div_zero 0
		.amdhsa_exception_fp_ieee_overflow 0
		.amdhsa_exception_fp_ieee_underflow 0
		.amdhsa_exception_fp_ieee_inexact 0
		.amdhsa_exception_int_div_zero 0
	.end_amdhsa_kernel
	.section	.text._ZN7rocprim17ROCPRIM_400000_NS6detail17trampoline_kernelINS0_14default_configENS1_29reduce_by_key_config_selectorIhlN6thrust23THRUST_200600_302600_NS4plusIlEEEEZZNS1_33reduce_by_key_impl_wrapped_configILNS1_25lookback_scan_determinismE0ES3_S9_PhNS6_17constant_iteratorIiNS6_11use_defaultESE_EENS6_10device_ptrIhEENSG_IlEEPmS8_NS6_8equal_toIhEEEE10hipError_tPvRmT2_T3_mT4_T5_T6_T7_T8_P12ihipStream_tbENKUlT_T0_E_clISt17integral_constantIbLb0EES12_IbLb1EEEEDaSY_SZ_EUlSY_E_NS1_11comp_targetILNS1_3genE5ELNS1_11target_archE942ELNS1_3gpuE9ELNS1_3repE0EEENS1_30default_config_static_selectorELNS0_4arch9wavefront6targetE1EEEvT1_,"axG",@progbits,_ZN7rocprim17ROCPRIM_400000_NS6detail17trampoline_kernelINS0_14default_configENS1_29reduce_by_key_config_selectorIhlN6thrust23THRUST_200600_302600_NS4plusIlEEEEZZNS1_33reduce_by_key_impl_wrapped_configILNS1_25lookback_scan_determinismE0ES3_S9_PhNS6_17constant_iteratorIiNS6_11use_defaultESE_EENS6_10device_ptrIhEENSG_IlEEPmS8_NS6_8equal_toIhEEEE10hipError_tPvRmT2_T3_mT4_T5_T6_T7_T8_P12ihipStream_tbENKUlT_T0_E_clISt17integral_constantIbLb0EES12_IbLb1EEEEDaSY_SZ_EUlSY_E_NS1_11comp_targetILNS1_3genE5ELNS1_11target_archE942ELNS1_3gpuE9ELNS1_3repE0EEENS1_30default_config_static_selectorELNS0_4arch9wavefront6targetE1EEEvT1_,comdat
.Lfunc_end395:
	.size	_ZN7rocprim17ROCPRIM_400000_NS6detail17trampoline_kernelINS0_14default_configENS1_29reduce_by_key_config_selectorIhlN6thrust23THRUST_200600_302600_NS4plusIlEEEEZZNS1_33reduce_by_key_impl_wrapped_configILNS1_25lookback_scan_determinismE0ES3_S9_PhNS6_17constant_iteratorIiNS6_11use_defaultESE_EENS6_10device_ptrIhEENSG_IlEEPmS8_NS6_8equal_toIhEEEE10hipError_tPvRmT2_T3_mT4_T5_T6_T7_T8_P12ihipStream_tbENKUlT_T0_E_clISt17integral_constantIbLb0EES12_IbLb1EEEEDaSY_SZ_EUlSY_E_NS1_11comp_targetILNS1_3genE5ELNS1_11target_archE942ELNS1_3gpuE9ELNS1_3repE0EEENS1_30default_config_static_selectorELNS0_4arch9wavefront6targetE1EEEvT1_, .Lfunc_end395-_ZN7rocprim17ROCPRIM_400000_NS6detail17trampoline_kernelINS0_14default_configENS1_29reduce_by_key_config_selectorIhlN6thrust23THRUST_200600_302600_NS4plusIlEEEEZZNS1_33reduce_by_key_impl_wrapped_configILNS1_25lookback_scan_determinismE0ES3_S9_PhNS6_17constant_iteratorIiNS6_11use_defaultESE_EENS6_10device_ptrIhEENSG_IlEEPmS8_NS6_8equal_toIhEEEE10hipError_tPvRmT2_T3_mT4_T5_T6_T7_T8_P12ihipStream_tbENKUlT_T0_E_clISt17integral_constantIbLb0EES12_IbLb1EEEEDaSY_SZ_EUlSY_E_NS1_11comp_targetILNS1_3genE5ELNS1_11target_archE942ELNS1_3gpuE9ELNS1_3repE0EEENS1_30default_config_static_selectorELNS0_4arch9wavefront6targetE1EEEvT1_
                                        ; -- End function
	.set _ZN7rocprim17ROCPRIM_400000_NS6detail17trampoline_kernelINS0_14default_configENS1_29reduce_by_key_config_selectorIhlN6thrust23THRUST_200600_302600_NS4plusIlEEEEZZNS1_33reduce_by_key_impl_wrapped_configILNS1_25lookback_scan_determinismE0ES3_S9_PhNS6_17constant_iteratorIiNS6_11use_defaultESE_EENS6_10device_ptrIhEENSG_IlEEPmS8_NS6_8equal_toIhEEEE10hipError_tPvRmT2_T3_mT4_T5_T6_T7_T8_P12ihipStream_tbENKUlT_T0_E_clISt17integral_constantIbLb0EES12_IbLb1EEEEDaSY_SZ_EUlSY_E_NS1_11comp_targetILNS1_3genE5ELNS1_11target_archE942ELNS1_3gpuE9ELNS1_3repE0EEENS1_30default_config_static_selectorELNS0_4arch9wavefront6targetE1EEEvT1_.num_vgpr, 0
	.set _ZN7rocprim17ROCPRIM_400000_NS6detail17trampoline_kernelINS0_14default_configENS1_29reduce_by_key_config_selectorIhlN6thrust23THRUST_200600_302600_NS4plusIlEEEEZZNS1_33reduce_by_key_impl_wrapped_configILNS1_25lookback_scan_determinismE0ES3_S9_PhNS6_17constant_iteratorIiNS6_11use_defaultESE_EENS6_10device_ptrIhEENSG_IlEEPmS8_NS6_8equal_toIhEEEE10hipError_tPvRmT2_T3_mT4_T5_T6_T7_T8_P12ihipStream_tbENKUlT_T0_E_clISt17integral_constantIbLb0EES12_IbLb1EEEEDaSY_SZ_EUlSY_E_NS1_11comp_targetILNS1_3genE5ELNS1_11target_archE942ELNS1_3gpuE9ELNS1_3repE0EEENS1_30default_config_static_selectorELNS0_4arch9wavefront6targetE1EEEvT1_.num_agpr, 0
	.set _ZN7rocprim17ROCPRIM_400000_NS6detail17trampoline_kernelINS0_14default_configENS1_29reduce_by_key_config_selectorIhlN6thrust23THRUST_200600_302600_NS4plusIlEEEEZZNS1_33reduce_by_key_impl_wrapped_configILNS1_25lookback_scan_determinismE0ES3_S9_PhNS6_17constant_iteratorIiNS6_11use_defaultESE_EENS6_10device_ptrIhEENSG_IlEEPmS8_NS6_8equal_toIhEEEE10hipError_tPvRmT2_T3_mT4_T5_T6_T7_T8_P12ihipStream_tbENKUlT_T0_E_clISt17integral_constantIbLb0EES12_IbLb1EEEEDaSY_SZ_EUlSY_E_NS1_11comp_targetILNS1_3genE5ELNS1_11target_archE942ELNS1_3gpuE9ELNS1_3repE0EEENS1_30default_config_static_selectorELNS0_4arch9wavefront6targetE1EEEvT1_.numbered_sgpr, 0
	.set _ZN7rocprim17ROCPRIM_400000_NS6detail17trampoline_kernelINS0_14default_configENS1_29reduce_by_key_config_selectorIhlN6thrust23THRUST_200600_302600_NS4plusIlEEEEZZNS1_33reduce_by_key_impl_wrapped_configILNS1_25lookback_scan_determinismE0ES3_S9_PhNS6_17constant_iteratorIiNS6_11use_defaultESE_EENS6_10device_ptrIhEENSG_IlEEPmS8_NS6_8equal_toIhEEEE10hipError_tPvRmT2_T3_mT4_T5_T6_T7_T8_P12ihipStream_tbENKUlT_T0_E_clISt17integral_constantIbLb0EES12_IbLb1EEEEDaSY_SZ_EUlSY_E_NS1_11comp_targetILNS1_3genE5ELNS1_11target_archE942ELNS1_3gpuE9ELNS1_3repE0EEENS1_30default_config_static_selectorELNS0_4arch9wavefront6targetE1EEEvT1_.num_named_barrier, 0
	.set _ZN7rocprim17ROCPRIM_400000_NS6detail17trampoline_kernelINS0_14default_configENS1_29reduce_by_key_config_selectorIhlN6thrust23THRUST_200600_302600_NS4plusIlEEEEZZNS1_33reduce_by_key_impl_wrapped_configILNS1_25lookback_scan_determinismE0ES3_S9_PhNS6_17constant_iteratorIiNS6_11use_defaultESE_EENS6_10device_ptrIhEENSG_IlEEPmS8_NS6_8equal_toIhEEEE10hipError_tPvRmT2_T3_mT4_T5_T6_T7_T8_P12ihipStream_tbENKUlT_T0_E_clISt17integral_constantIbLb0EES12_IbLb1EEEEDaSY_SZ_EUlSY_E_NS1_11comp_targetILNS1_3genE5ELNS1_11target_archE942ELNS1_3gpuE9ELNS1_3repE0EEENS1_30default_config_static_selectorELNS0_4arch9wavefront6targetE1EEEvT1_.private_seg_size, 0
	.set _ZN7rocprim17ROCPRIM_400000_NS6detail17trampoline_kernelINS0_14default_configENS1_29reduce_by_key_config_selectorIhlN6thrust23THRUST_200600_302600_NS4plusIlEEEEZZNS1_33reduce_by_key_impl_wrapped_configILNS1_25lookback_scan_determinismE0ES3_S9_PhNS6_17constant_iteratorIiNS6_11use_defaultESE_EENS6_10device_ptrIhEENSG_IlEEPmS8_NS6_8equal_toIhEEEE10hipError_tPvRmT2_T3_mT4_T5_T6_T7_T8_P12ihipStream_tbENKUlT_T0_E_clISt17integral_constantIbLb0EES12_IbLb1EEEEDaSY_SZ_EUlSY_E_NS1_11comp_targetILNS1_3genE5ELNS1_11target_archE942ELNS1_3gpuE9ELNS1_3repE0EEENS1_30default_config_static_selectorELNS0_4arch9wavefront6targetE1EEEvT1_.uses_vcc, 0
	.set _ZN7rocprim17ROCPRIM_400000_NS6detail17trampoline_kernelINS0_14default_configENS1_29reduce_by_key_config_selectorIhlN6thrust23THRUST_200600_302600_NS4plusIlEEEEZZNS1_33reduce_by_key_impl_wrapped_configILNS1_25lookback_scan_determinismE0ES3_S9_PhNS6_17constant_iteratorIiNS6_11use_defaultESE_EENS6_10device_ptrIhEENSG_IlEEPmS8_NS6_8equal_toIhEEEE10hipError_tPvRmT2_T3_mT4_T5_T6_T7_T8_P12ihipStream_tbENKUlT_T0_E_clISt17integral_constantIbLb0EES12_IbLb1EEEEDaSY_SZ_EUlSY_E_NS1_11comp_targetILNS1_3genE5ELNS1_11target_archE942ELNS1_3gpuE9ELNS1_3repE0EEENS1_30default_config_static_selectorELNS0_4arch9wavefront6targetE1EEEvT1_.uses_flat_scratch, 0
	.set _ZN7rocprim17ROCPRIM_400000_NS6detail17trampoline_kernelINS0_14default_configENS1_29reduce_by_key_config_selectorIhlN6thrust23THRUST_200600_302600_NS4plusIlEEEEZZNS1_33reduce_by_key_impl_wrapped_configILNS1_25lookback_scan_determinismE0ES3_S9_PhNS6_17constant_iteratorIiNS6_11use_defaultESE_EENS6_10device_ptrIhEENSG_IlEEPmS8_NS6_8equal_toIhEEEE10hipError_tPvRmT2_T3_mT4_T5_T6_T7_T8_P12ihipStream_tbENKUlT_T0_E_clISt17integral_constantIbLb0EES12_IbLb1EEEEDaSY_SZ_EUlSY_E_NS1_11comp_targetILNS1_3genE5ELNS1_11target_archE942ELNS1_3gpuE9ELNS1_3repE0EEENS1_30default_config_static_selectorELNS0_4arch9wavefront6targetE1EEEvT1_.has_dyn_sized_stack, 0
	.set _ZN7rocprim17ROCPRIM_400000_NS6detail17trampoline_kernelINS0_14default_configENS1_29reduce_by_key_config_selectorIhlN6thrust23THRUST_200600_302600_NS4plusIlEEEEZZNS1_33reduce_by_key_impl_wrapped_configILNS1_25lookback_scan_determinismE0ES3_S9_PhNS6_17constant_iteratorIiNS6_11use_defaultESE_EENS6_10device_ptrIhEENSG_IlEEPmS8_NS6_8equal_toIhEEEE10hipError_tPvRmT2_T3_mT4_T5_T6_T7_T8_P12ihipStream_tbENKUlT_T0_E_clISt17integral_constantIbLb0EES12_IbLb1EEEEDaSY_SZ_EUlSY_E_NS1_11comp_targetILNS1_3genE5ELNS1_11target_archE942ELNS1_3gpuE9ELNS1_3repE0EEENS1_30default_config_static_selectorELNS0_4arch9wavefront6targetE1EEEvT1_.has_recursion, 0
	.set _ZN7rocprim17ROCPRIM_400000_NS6detail17trampoline_kernelINS0_14default_configENS1_29reduce_by_key_config_selectorIhlN6thrust23THRUST_200600_302600_NS4plusIlEEEEZZNS1_33reduce_by_key_impl_wrapped_configILNS1_25lookback_scan_determinismE0ES3_S9_PhNS6_17constant_iteratorIiNS6_11use_defaultESE_EENS6_10device_ptrIhEENSG_IlEEPmS8_NS6_8equal_toIhEEEE10hipError_tPvRmT2_T3_mT4_T5_T6_T7_T8_P12ihipStream_tbENKUlT_T0_E_clISt17integral_constantIbLb0EES12_IbLb1EEEEDaSY_SZ_EUlSY_E_NS1_11comp_targetILNS1_3genE5ELNS1_11target_archE942ELNS1_3gpuE9ELNS1_3repE0EEENS1_30default_config_static_selectorELNS0_4arch9wavefront6targetE1EEEvT1_.has_indirect_call, 0
	.section	.AMDGPU.csdata,"",@progbits
; Kernel info:
; codeLenInByte = 0
; TotalNumSgprs: 4
; NumVgprs: 0
; ScratchSize: 0
; MemoryBound: 0
; FloatMode: 240
; IeeeMode: 1
; LDSByteSize: 0 bytes/workgroup (compile time only)
; SGPRBlocks: 0
; VGPRBlocks: 0
; NumSGPRsForWavesPerEU: 4
; NumVGPRsForWavesPerEU: 1
; Occupancy: 10
; WaveLimiterHint : 0
; COMPUTE_PGM_RSRC2:SCRATCH_EN: 0
; COMPUTE_PGM_RSRC2:USER_SGPR: 6
; COMPUTE_PGM_RSRC2:TRAP_HANDLER: 0
; COMPUTE_PGM_RSRC2:TGID_X_EN: 1
; COMPUTE_PGM_RSRC2:TGID_Y_EN: 0
; COMPUTE_PGM_RSRC2:TGID_Z_EN: 0
; COMPUTE_PGM_RSRC2:TIDIG_COMP_CNT: 0
	.section	.text._ZN7rocprim17ROCPRIM_400000_NS6detail17trampoline_kernelINS0_14default_configENS1_29reduce_by_key_config_selectorIhlN6thrust23THRUST_200600_302600_NS4plusIlEEEEZZNS1_33reduce_by_key_impl_wrapped_configILNS1_25lookback_scan_determinismE0ES3_S9_PhNS6_17constant_iteratorIiNS6_11use_defaultESE_EENS6_10device_ptrIhEENSG_IlEEPmS8_NS6_8equal_toIhEEEE10hipError_tPvRmT2_T3_mT4_T5_T6_T7_T8_P12ihipStream_tbENKUlT_T0_E_clISt17integral_constantIbLb0EES12_IbLb1EEEEDaSY_SZ_EUlSY_E_NS1_11comp_targetILNS1_3genE4ELNS1_11target_archE910ELNS1_3gpuE8ELNS1_3repE0EEENS1_30default_config_static_selectorELNS0_4arch9wavefront6targetE1EEEvT1_,"axG",@progbits,_ZN7rocprim17ROCPRIM_400000_NS6detail17trampoline_kernelINS0_14default_configENS1_29reduce_by_key_config_selectorIhlN6thrust23THRUST_200600_302600_NS4plusIlEEEEZZNS1_33reduce_by_key_impl_wrapped_configILNS1_25lookback_scan_determinismE0ES3_S9_PhNS6_17constant_iteratorIiNS6_11use_defaultESE_EENS6_10device_ptrIhEENSG_IlEEPmS8_NS6_8equal_toIhEEEE10hipError_tPvRmT2_T3_mT4_T5_T6_T7_T8_P12ihipStream_tbENKUlT_T0_E_clISt17integral_constantIbLb0EES12_IbLb1EEEEDaSY_SZ_EUlSY_E_NS1_11comp_targetILNS1_3genE4ELNS1_11target_archE910ELNS1_3gpuE8ELNS1_3repE0EEENS1_30default_config_static_selectorELNS0_4arch9wavefront6targetE1EEEvT1_,comdat
	.protected	_ZN7rocprim17ROCPRIM_400000_NS6detail17trampoline_kernelINS0_14default_configENS1_29reduce_by_key_config_selectorIhlN6thrust23THRUST_200600_302600_NS4plusIlEEEEZZNS1_33reduce_by_key_impl_wrapped_configILNS1_25lookback_scan_determinismE0ES3_S9_PhNS6_17constant_iteratorIiNS6_11use_defaultESE_EENS6_10device_ptrIhEENSG_IlEEPmS8_NS6_8equal_toIhEEEE10hipError_tPvRmT2_T3_mT4_T5_T6_T7_T8_P12ihipStream_tbENKUlT_T0_E_clISt17integral_constantIbLb0EES12_IbLb1EEEEDaSY_SZ_EUlSY_E_NS1_11comp_targetILNS1_3genE4ELNS1_11target_archE910ELNS1_3gpuE8ELNS1_3repE0EEENS1_30default_config_static_selectorELNS0_4arch9wavefront6targetE1EEEvT1_ ; -- Begin function _ZN7rocprim17ROCPRIM_400000_NS6detail17trampoline_kernelINS0_14default_configENS1_29reduce_by_key_config_selectorIhlN6thrust23THRUST_200600_302600_NS4plusIlEEEEZZNS1_33reduce_by_key_impl_wrapped_configILNS1_25lookback_scan_determinismE0ES3_S9_PhNS6_17constant_iteratorIiNS6_11use_defaultESE_EENS6_10device_ptrIhEENSG_IlEEPmS8_NS6_8equal_toIhEEEE10hipError_tPvRmT2_T3_mT4_T5_T6_T7_T8_P12ihipStream_tbENKUlT_T0_E_clISt17integral_constantIbLb0EES12_IbLb1EEEEDaSY_SZ_EUlSY_E_NS1_11comp_targetILNS1_3genE4ELNS1_11target_archE910ELNS1_3gpuE8ELNS1_3repE0EEENS1_30default_config_static_selectorELNS0_4arch9wavefront6targetE1EEEvT1_
	.globl	_ZN7rocprim17ROCPRIM_400000_NS6detail17trampoline_kernelINS0_14default_configENS1_29reduce_by_key_config_selectorIhlN6thrust23THRUST_200600_302600_NS4plusIlEEEEZZNS1_33reduce_by_key_impl_wrapped_configILNS1_25lookback_scan_determinismE0ES3_S9_PhNS6_17constant_iteratorIiNS6_11use_defaultESE_EENS6_10device_ptrIhEENSG_IlEEPmS8_NS6_8equal_toIhEEEE10hipError_tPvRmT2_T3_mT4_T5_T6_T7_T8_P12ihipStream_tbENKUlT_T0_E_clISt17integral_constantIbLb0EES12_IbLb1EEEEDaSY_SZ_EUlSY_E_NS1_11comp_targetILNS1_3genE4ELNS1_11target_archE910ELNS1_3gpuE8ELNS1_3repE0EEENS1_30default_config_static_selectorELNS0_4arch9wavefront6targetE1EEEvT1_
	.p2align	8
	.type	_ZN7rocprim17ROCPRIM_400000_NS6detail17trampoline_kernelINS0_14default_configENS1_29reduce_by_key_config_selectorIhlN6thrust23THRUST_200600_302600_NS4plusIlEEEEZZNS1_33reduce_by_key_impl_wrapped_configILNS1_25lookback_scan_determinismE0ES3_S9_PhNS6_17constant_iteratorIiNS6_11use_defaultESE_EENS6_10device_ptrIhEENSG_IlEEPmS8_NS6_8equal_toIhEEEE10hipError_tPvRmT2_T3_mT4_T5_T6_T7_T8_P12ihipStream_tbENKUlT_T0_E_clISt17integral_constantIbLb0EES12_IbLb1EEEEDaSY_SZ_EUlSY_E_NS1_11comp_targetILNS1_3genE4ELNS1_11target_archE910ELNS1_3gpuE8ELNS1_3repE0EEENS1_30default_config_static_selectorELNS0_4arch9wavefront6targetE1EEEvT1_,@function
_ZN7rocprim17ROCPRIM_400000_NS6detail17trampoline_kernelINS0_14default_configENS1_29reduce_by_key_config_selectorIhlN6thrust23THRUST_200600_302600_NS4plusIlEEEEZZNS1_33reduce_by_key_impl_wrapped_configILNS1_25lookback_scan_determinismE0ES3_S9_PhNS6_17constant_iteratorIiNS6_11use_defaultESE_EENS6_10device_ptrIhEENSG_IlEEPmS8_NS6_8equal_toIhEEEE10hipError_tPvRmT2_T3_mT4_T5_T6_T7_T8_P12ihipStream_tbENKUlT_T0_E_clISt17integral_constantIbLb0EES12_IbLb1EEEEDaSY_SZ_EUlSY_E_NS1_11comp_targetILNS1_3genE4ELNS1_11target_archE910ELNS1_3gpuE8ELNS1_3repE0EEENS1_30default_config_static_selectorELNS0_4arch9wavefront6targetE1EEEvT1_: ; @_ZN7rocprim17ROCPRIM_400000_NS6detail17trampoline_kernelINS0_14default_configENS1_29reduce_by_key_config_selectorIhlN6thrust23THRUST_200600_302600_NS4plusIlEEEEZZNS1_33reduce_by_key_impl_wrapped_configILNS1_25lookback_scan_determinismE0ES3_S9_PhNS6_17constant_iteratorIiNS6_11use_defaultESE_EENS6_10device_ptrIhEENSG_IlEEPmS8_NS6_8equal_toIhEEEE10hipError_tPvRmT2_T3_mT4_T5_T6_T7_T8_P12ihipStream_tbENKUlT_T0_E_clISt17integral_constantIbLb0EES12_IbLb1EEEEDaSY_SZ_EUlSY_E_NS1_11comp_targetILNS1_3genE4ELNS1_11target_archE910ELNS1_3gpuE8ELNS1_3repE0EEENS1_30default_config_static_selectorELNS0_4arch9wavefront6targetE1EEEvT1_
; %bb.0:
	.section	.rodata,"a",@progbits
	.p2align	6, 0x0
	.amdhsa_kernel _ZN7rocprim17ROCPRIM_400000_NS6detail17trampoline_kernelINS0_14default_configENS1_29reduce_by_key_config_selectorIhlN6thrust23THRUST_200600_302600_NS4plusIlEEEEZZNS1_33reduce_by_key_impl_wrapped_configILNS1_25lookback_scan_determinismE0ES3_S9_PhNS6_17constant_iteratorIiNS6_11use_defaultESE_EENS6_10device_ptrIhEENSG_IlEEPmS8_NS6_8equal_toIhEEEE10hipError_tPvRmT2_T3_mT4_T5_T6_T7_T8_P12ihipStream_tbENKUlT_T0_E_clISt17integral_constantIbLb0EES12_IbLb1EEEEDaSY_SZ_EUlSY_E_NS1_11comp_targetILNS1_3genE4ELNS1_11target_archE910ELNS1_3gpuE8ELNS1_3repE0EEENS1_30default_config_static_selectorELNS0_4arch9wavefront6targetE1EEEvT1_
		.amdhsa_group_segment_fixed_size 0
		.amdhsa_private_segment_fixed_size 0
		.amdhsa_kernarg_size 144
		.amdhsa_user_sgpr_count 6
		.amdhsa_user_sgpr_private_segment_buffer 1
		.amdhsa_user_sgpr_dispatch_ptr 0
		.amdhsa_user_sgpr_queue_ptr 0
		.amdhsa_user_sgpr_kernarg_segment_ptr 1
		.amdhsa_user_sgpr_dispatch_id 0
		.amdhsa_user_sgpr_flat_scratch_init 0
		.amdhsa_user_sgpr_private_segment_size 0
		.amdhsa_uses_dynamic_stack 0
		.amdhsa_system_sgpr_private_segment_wavefront_offset 0
		.amdhsa_system_sgpr_workgroup_id_x 1
		.amdhsa_system_sgpr_workgroup_id_y 0
		.amdhsa_system_sgpr_workgroup_id_z 0
		.amdhsa_system_sgpr_workgroup_info 0
		.amdhsa_system_vgpr_workitem_id 0
		.amdhsa_next_free_vgpr 1
		.amdhsa_next_free_sgpr 0
		.amdhsa_reserve_vcc 0
		.amdhsa_reserve_flat_scratch 0
		.amdhsa_float_round_mode_32 0
		.amdhsa_float_round_mode_16_64 0
		.amdhsa_float_denorm_mode_32 3
		.amdhsa_float_denorm_mode_16_64 3
		.amdhsa_dx10_clamp 1
		.amdhsa_ieee_mode 1
		.amdhsa_fp16_overflow 0
		.amdhsa_exception_fp_ieee_invalid_op 0
		.amdhsa_exception_fp_denorm_src 0
		.amdhsa_exception_fp_ieee_div_zero 0
		.amdhsa_exception_fp_ieee_overflow 0
		.amdhsa_exception_fp_ieee_underflow 0
		.amdhsa_exception_fp_ieee_inexact 0
		.amdhsa_exception_int_div_zero 0
	.end_amdhsa_kernel
	.section	.text._ZN7rocprim17ROCPRIM_400000_NS6detail17trampoline_kernelINS0_14default_configENS1_29reduce_by_key_config_selectorIhlN6thrust23THRUST_200600_302600_NS4plusIlEEEEZZNS1_33reduce_by_key_impl_wrapped_configILNS1_25lookback_scan_determinismE0ES3_S9_PhNS6_17constant_iteratorIiNS6_11use_defaultESE_EENS6_10device_ptrIhEENSG_IlEEPmS8_NS6_8equal_toIhEEEE10hipError_tPvRmT2_T3_mT4_T5_T6_T7_T8_P12ihipStream_tbENKUlT_T0_E_clISt17integral_constantIbLb0EES12_IbLb1EEEEDaSY_SZ_EUlSY_E_NS1_11comp_targetILNS1_3genE4ELNS1_11target_archE910ELNS1_3gpuE8ELNS1_3repE0EEENS1_30default_config_static_selectorELNS0_4arch9wavefront6targetE1EEEvT1_,"axG",@progbits,_ZN7rocprim17ROCPRIM_400000_NS6detail17trampoline_kernelINS0_14default_configENS1_29reduce_by_key_config_selectorIhlN6thrust23THRUST_200600_302600_NS4plusIlEEEEZZNS1_33reduce_by_key_impl_wrapped_configILNS1_25lookback_scan_determinismE0ES3_S9_PhNS6_17constant_iteratorIiNS6_11use_defaultESE_EENS6_10device_ptrIhEENSG_IlEEPmS8_NS6_8equal_toIhEEEE10hipError_tPvRmT2_T3_mT4_T5_T6_T7_T8_P12ihipStream_tbENKUlT_T0_E_clISt17integral_constantIbLb0EES12_IbLb1EEEEDaSY_SZ_EUlSY_E_NS1_11comp_targetILNS1_3genE4ELNS1_11target_archE910ELNS1_3gpuE8ELNS1_3repE0EEENS1_30default_config_static_selectorELNS0_4arch9wavefront6targetE1EEEvT1_,comdat
.Lfunc_end396:
	.size	_ZN7rocprim17ROCPRIM_400000_NS6detail17trampoline_kernelINS0_14default_configENS1_29reduce_by_key_config_selectorIhlN6thrust23THRUST_200600_302600_NS4plusIlEEEEZZNS1_33reduce_by_key_impl_wrapped_configILNS1_25lookback_scan_determinismE0ES3_S9_PhNS6_17constant_iteratorIiNS6_11use_defaultESE_EENS6_10device_ptrIhEENSG_IlEEPmS8_NS6_8equal_toIhEEEE10hipError_tPvRmT2_T3_mT4_T5_T6_T7_T8_P12ihipStream_tbENKUlT_T0_E_clISt17integral_constantIbLb0EES12_IbLb1EEEEDaSY_SZ_EUlSY_E_NS1_11comp_targetILNS1_3genE4ELNS1_11target_archE910ELNS1_3gpuE8ELNS1_3repE0EEENS1_30default_config_static_selectorELNS0_4arch9wavefront6targetE1EEEvT1_, .Lfunc_end396-_ZN7rocprim17ROCPRIM_400000_NS6detail17trampoline_kernelINS0_14default_configENS1_29reduce_by_key_config_selectorIhlN6thrust23THRUST_200600_302600_NS4plusIlEEEEZZNS1_33reduce_by_key_impl_wrapped_configILNS1_25lookback_scan_determinismE0ES3_S9_PhNS6_17constant_iteratorIiNS6_11use_defaultESE_EENS6_10device_ptrIhEENSG_IlEEPmS8_NS6_8equal_toIhEEEE10hipError_tPvRmT2_T3_mT4_T5_T6_T7_T8_P12ihipStream_tbENKUlT_T0_E_clISt17integral_constantIbLb0EES12_IbLb1EEEEDaSY_SZ_EUlSY_E_NS1_11comp_targetILNS1_3genE4ELNS1_11target_archE910ELNS1_3gpuE8ELNS1_3repE0EEENS1_30default_config_static_selectorELNS0_4arch9wavefront6targetE1EEEvT1_
                                        ; -- End function
	.set _ZN7rocprim17ROCPRIM_400000_NS6detail17trampoline_kernelINS0_14default_configENS1_29reduce_by_key_config_selectorIhlN6thrust23THRUST_200600_302600_NS4plusIlEEEEZZNS1_33reduce_by_key_impl_wrapped_configILNS1_25lookback_scan_determinismE0ES3_S9_PhNS6_17constant_iteratorIiNS6_11use_defaultESE_EENS6_10device_ptrIhEENSG_IlEEPmS8_NS6_8equal_toIhEEEE10hipError_tPvRmT2_T3_mT4_T5_T6_T7_T8_P12ihipStream_tbENKUlT_T0_E_clISt17integral_constantIbLb0EES12_IbLb1EEEEDaSY_SZ_EUlSY_E_NS1_11comp_targetILNS1_3genE4ELNS1_11target_archE910ELNS1_3gpuE8ELNS1_3repE0EEENS1_30default_config_static_selectorELNS0_4arch9wavefront6targetE1EEEvT1_.num_vgpr, 0
	.set _ZN7rocprim17ROCPRIM_400000_NS6detail17trampoline_kernelINS0_14default_configENS1_29reduce_by_key_config_selectorIhlN6thrust23THRUST_200600_302600_NS4plusIlEEEEZZNS1_33reduce_by_key_impl_wrapped_configILNS1_25lookback_scan_determinismE0ES3_S9_PhNS6_17constant_iteratorIiNS6_11use_defaultESE_EENS6_10device_ptrIhEENSG_IlEEPmS8_NS6_8equal_toIhEEEE10hipError_tPvRmT2_T3_mT4_T5_T6_T7_T8_P12ihipStream_tbENKUlT_T0_E_clISt17integral_constantIbLb0EES12_IbLb1EEEEDaSY_SZ_EUlSY_E_NS1_11comp_targetILNS1_3genE4ELNS1_11target_archE910ELNS1_3gpuE8ELNS1_3repE0EEENS1_30default_config_static_selectorELNS0_4arch9wavefront6targetE1EEEvT1_.num_agpr, 0
	.set _ZN7rocprim17ROCPRIM_400000_NS6detail17trampoline_kernelINS0_14default_configENS1_29reduce_by_key_config_selectorIhlN6thrust23THRUST_200600_302600_NS4plusIlEEEEZZNS1_33reduce_by_key_impl_wrapped_configILNS1_25lookback_scan_determinismE0ES3_S9_PhNS6_17constant_iteratorIiNS6_11use_defaultESE_EENS6_10device_ptrIhEENSG_IlEEPmS8_NS6_8equal_toIhEEEE10hipError_tPvRmT2_T3_mT4_T5_T6_T7_T8_P12ihipStream_tbENKUlT_T0_E_clISt17integral_constantIbLb0EES12_IbLb1EEEEDaSY_SZ_EUlSY_E_NS1_11comp_targetILNS1_3genE4ELNS1_11target_archE910ELNS1_3gpuE8ELNS1_3repE0EEENS1_30default_config_static_selectorELNS0_4arch9wavefront6targetE1EEEvT1_.numbered_sgpr, 0
	.set _ZN7rocprim17ROCPRIM_400000_NS6detail17trampoline_kernelINS0_14default_configENS1_29reduce_by_key_config_selectorIhlN6thrust23THRUST_200600_302600_NS4plusIlEEEEZZNS1_33reduce_by_key_impl_wrapped_configILNS1_25lookback_scan_determinismE0ES3_S9_PhNS6_17constant_iteratorIiNS6_11use_defaultESE_EENS6_10device_ptrIhEENSG_IlEEPmS8_NS6_8equal_toIhEEEE10hipError_tPvRmT2_T3_mT4_T5_T6_T7_T8_P12ihipStream_tbENKUlT_T0_E_clISt17integral_constantIbLb0EES12_IbLb1EEEEDaSY_SZ_EUlSY_E_NS1_11comp_targetILNS1_3genE4ELNS1_11target_archE910ELNS1_3gpuE8ELNS1_3repE0EEENS1_30default_config_static_selectorELNS0_4arch9wavefront6targetE1EEEvT1_.num_named_barrier, 0
	.set _ZN7rocprim17ROCPRIM_400000_NS6detail17trampoline_kernelINS0_14default_configENS1_29reduce_by_key_config_selectorIhlN6thrust23THRUST_200600_302600_NS4plusIlEEEEZZNS1_33reduce_by_key_impl_wrapped_configILNS1_25lookback_scan_determinismE0ES3_S9_PhNS6_17constant_iteratorIiNS6_11use_defaultESE_EENS6_10device_ptrIhEENSG_IlEEPmS8_NS6_8equal_toIhEEEE10hipError_tPvRmT2_T3_mT4_T5_T6_T7_T8_P12ihipStream_tbENKUlT_T0_E_clISt17integral_constantIbLb0EES12_IbLb1EEEEDaSY_SZ_EUlSY_E_NS1_11comp_targetILNS1_3genE4ELNS1_11target_archE910ELNS1_3gpuE8ELNS1_3repE0EEENS1_30default_config_static_selectorELNS0_4arch9wavefront6targetE1EEEvT1_.private_seg_size, 0
	.set _ZN7rocprim17ROCPRIM_400000_NS6detail17trampoline_kernelINS0_14default_configENS1_29reduce_by_key_config_selectorIhlN6thrust23THRUST_200600_302600_NS4plusIlEEEEZZNS1_33reduce_by_key_impl_wrapped_configILNS1_25lookback_scan_determinismE0ES3_S9_PhNS6_17constant_iteratorIiNS6_11use_defaultESE_EENS6_10device_ptrIhEENSG_IlEEPmS8_NS6_8equal_toIhEEEE10hipError_tPvRmT2_T3_mT4_T5_T6_T7_T8_P12ihipStream_tbENKUlT_T0_E_clISt17integral_constantIbLb0EES12_IbLb1EEEEDaSY_SZ_EUlSY_E_NS1_11comp_targetILNS1_3genE4ELNS1_11target_archE910ELNS1_3gpuE8ELNS1_3repE0EEENS1_30default_config_static_selectorELNS0_4arch9wavefront6targetE1EEEvT1_.uses_vcc, 0
	.set _ZN7rocprim17ROCPRIM_400000_NS6detail17trampoline_kernelINS0_14default_configENS1_29reduce_by_key_config_selectorIhlN6thrust23THRUST_200600_302600_NS4plusIlEEEEZZNS1_33reduce_by_key_impl_wrapped_configILNS1_25lookback_scan_determinismE0ES3_S9_PhNS6_17constant_iteratorIiNS6_11use_defaultESE_EENS6_10device_ptrIhEENSG_IlEEPmS8_NS6_8equal_toIhEEEE10hipError_tPvRmT2_T3_mT4_T5_T6_T7_T8_P12ihipStream_tbENKUlT_T0_E_clISt17integral_constantIbLb0EES12_IbLb1EEEEDaSY_SZ_EUlSY_E_NS1_11comp_targetILNS1_3genE4ELNS1_11target_archE910ELNS1_3gpuE8ELNS1_3repE0EEENS1_30default_config_static_selectorELNS0_4arch9wavefront6targetE1EEEvT1_.uses_flat_scratch, 0
	.set _ZN7rocprim17ROCPRIM_400000_NS6detail17trampoline_kernelINS0_14default_configENS1_29reduce_by_key_config_selectorIhlN6thrust23THRUST_200600_302600_NS4plusIlEEEEZZNS1_33reduce_by_key_impl_wrapped_configILNS1_25lookback_scan_determinismE0ES3_S9_PhNS6_17constant_iteratorIiNS6_11use_defaultESE_EENS6_10device_ptrIhEENSG_IlEEPmS8_NS6_8equal_toIhEEEE10hipError_tPvRmT2_T3_mT4_T5_T6_T7_T8_P12ihipStream_tbENKUlT_T0_E_clISt17integral_constantIbLb0EES12_IbLb1EEEEDaSY_SZ_EUlSY_E_NS1_11comp_targetILNS1_3genE4ELNS1_11target_archE910ELNS1_3gpuE8ELNS1_3repE0EEENS1_30default_config_static_selectorELNS0_4arch9wavefront6targetE1EEEvT1_.has_dyn_sized_stack, 0
	.set _ZN7rocprim17ROCPRIM_400000_NS6detail17trampoline_kernelINS0_14default_configENS1_29reduce_by_key_config_selectorIhlN6thrust23THRUST_200600_302600_NS4plusIlEEEEZZNS1_33reduce_by_key_impl_wrapped_configILNS1_25lookback_scan_determinismE0ES3_S9_PhNS6_17constant_iteratorIiNS6_11use_defaultESE_EENS6_10device_ptrIhEENSG_IlEEPmS8_NS6_8equal_toIhEEEE10hipError_tPvRmT2_T3_mT4_T5_T6_T7_T8_P12ihipStream_tbENKUlT_T0_E_clISt17integral_constantIbLb0EES12_IbLb1EEEEDaSY_SZ_EUlSY_E_NS1_11comp_targetILNS1_3genE4ELNS1_11target_archE910ELNS1_3gpuE8ELNS1_3repE0EEENS1_30default_config_static_selectorELNS0_4arch9wavefront6targetE1EEEvT1_.has_recursion, 0
	.set _ZN7rocprim17ROCPRIM_400000_NS6detail17trampoline_kernelINS0_14default_configENS1_29reduce_by_key_config_selectorIhlN6thrust23THRUST_200600_302600_NS4plusIlEEEEZZNS1_33reduce_by_key_impl_wrapped_configILNS1_25lookback_scan_determinismE0ES3_S9_PhNS6_17constant_iteratorIiNS6_11use_defaultESE_EENS6_10device_ptrIhEENSG_IlEEPmS8_NS6_8equal_toIhEEEE10hipError_tPvRmT2_T3_mT4_T5_T6_T7_T8_P12ihipStream_tbENKUlT_T0_E_clISt17integral_constantIbLb0EES12_IbLb1EEEEDaSY_SZ_EUlSY_E_NS1_11comp_targetILNS1_3genE4ELNS1_11target_archE910ELNS1_3gpuE8ELNS1_3repE0EEENS1_30default_config_static_selectorELNS0_4arch9wavefront6targetE1EEEvT1_.has_indirect_call, 0
	.section	.AMDGPU.csdata,"",@progbits
; Kernel info:
; codeLenInByte = 0
; TotalNumSgprs: 4
; NumVgprs: 0
; ScratchSize: 0
; MemoryBound: 0
; FloatMode: 240
; IeeeMode: 1
; LDSByteSize: 0 bytes/workgroup (compile time only)
; SGPRBlocks: 0
; VGPRBlocks: 0
; NumSGPRsForWavesPerEU: 4
; NumVGPRsForWavesPerEU: 1
; Occupancy: 10
; WaveLimiterHint : 0
; COMPUTE_PGM_RSRC2:SCRATCH_EN: 0
; COMPUTE_PGM_RSRC2:USER_SGPR: 6
; COMPUTE_PGM_RSRC2:TRAP_HANDLER: 0
; COMPUTE_PGM_RSRC2:TGID_X_EN: 1
; COMPUTE_PGM_RSRC2:TGID_Y_EN: 0
; COMPUTE_PGM_RSRC2:TGID_Z_EN: 0
; COMPUTE_PGM_RSRC2:TIDIG_COMP_CNT: 0
	.section	.text._ZN7rocprim17ROCPRIM_400000_NS6detail17trampoline_kernelINS0_14default_configENS1_29reduce_by_key_config_selectorIhlN6thrust23THRUST_200600_302600_NS4plusIlEEEEZZNS1_33reduce_by_key_impl_wrapped_configILNS1_25lookback_scan_determinismE0ES3_S9_PhNS6_17constant_iteratorIiNS6_11use_defaultESE_EENS6_10device_ptrIhEENSG_IlEEPmS8_NS6_8equal_toIhEEEE10hipError_tPvRmT2_T3_mT4_T5_T6_T7_T8_P12ihipStream_tbENKUlT_T0_E_clISt17integral_constantIbLb0EES12_IbLb1EEEEDaSY_SZ_EUlSY_E_NS1_11comp_targetILNS1_3genE3ELNS1_11target_archE908ELNS1_3gpuE7ELNS1_3repE0EEENS1_30default_config_static_selectorELNS0_4arch9wavefront6targetE1EEEvT1_,"axG",@progbits,_ZN7rocprim17ROCPRIM_400000_NS6detail17trampoline_kernelINS0_14default_configENS1_29reduce_by_key_config_selectorIhlN6thrust23THRUST_200600_302600_NS4plusIlEEEEZZNS1_33reduce_by_key_impl_wrapped_configILNS1_25lookback_scan_determinismE0ES3_S9_PhNS6_17constant_iteratorIiNS6_11use_defaultESE_EENS6_10device_ptrIhEENSG_IlEEPmS8_NS6_8equal_toIhEEEE10hipError_tPvRmT2_T3_mT4_T5_T6_T7_T8_P12ihipStream_tbENKUlT_T0_E_clISt17integral_constantIbLb0EES12_IbLb1EEEEDaSY_SZ_EUlSY_E_NS1_11comp_targetILNS1_3genE3ELNS1_11target_archE908ELNS1_3gpuE7ELNS1_3repE0EEENS1_30default_config_static_selectorELNS0_4arch9wavefront6targetE1EEEvT1_,comdat
	.protected	_ZN7rocprim17ROCPRIM_400000_NS6detail17trampoline_kernelINS0_14default_configENS1_29reduce_by_key_config_selectorIhlN6thrust23THRUST_200600_302600_NS4plusIlEEEEZZNS1_33reduce_by_key_impl_wrapped_configILNS1_25lookback_scan_determinismE0ES3_S9_PhNS6_17constant_iteratorIiNS6_11use_defaultESE_EENS6_10device_ptrIhEENSG_IlEEPmS8_NS6_8equal_toIhEEEE10hipError_tPvRmT2_T3_mT4_T5_T6_T7_T8_P12ihipStream_tbENKUlT_T0_E_clISt17integral_constantIbLb0EES12_IbLb1EEEEDaSY_SZ_EUlSY_E_NS1_11comp_targetILNS1_3genE3ELNS1_11target_archE908ELNS1_3gpuE7ELNS1_3repE0EEENS1_30default_config_static_selectorELNS0_4arch9wavefront6targetE1EEEvT1_ ; -- Begin function _ZN7rocprim17ROCPRIM_400000_NS6detail17trampoline_kernelINS0_14default_configENS1_29reduce_by_key_config_selectorIhlN6thrust23THRUST_200600_302600_NS4plusIlEEEEZZNS1_33reduce_by_key_impl_wrapped_configILNS1_25lookback_scan_determinismE0ES3_S9_PhNS6_17constant_iteratorIiNS6_11use_defaultESE_EENS6_10device_ptrIhEENSG_IlEEPmS8_NS6_8equal_toIhEEEE10hipError_tPvRmT2_T3_mT4_T5_T6_T7_T8_P12ihipStream_tbENKUlT_T0_E_clISt17integral_constantIbLb0EES12_IbLb1EEEEDaSY_SZ_EUlSY_E_NS1_11comp_targetILNS1_3genE3ELNS1_11target_archE908ELNS1_3gpuE7ELNS1_3repE0EEENS1_30default_config_static_selectorELNS0_4arch9wavefront6targetE1EEEvT1_
	.globl	_ZN7rocprim17ROCPRIM_400000_NS6detail17trampoline_kernelINS0_14default_configENS1_29reduce_by_key_config_selectorIhlN6thrust23THRUST_200600_302600_NS4plusIlEEEEZZNS1_33reduce_by_key_impl_wrapped_configILNS1_25lookback_scan_determinismE0ES3_S9_PhNS6_17constant_iteratorIiNS6_11use_defaultESE_EENS6_10device_ptrIhEENSG_IlEEPmS8_NS6_8equal_toIhEEEE10hipError_tPvRmT2_T3_mT4_T5_T6_T7_T8_P12ihipStream_tbENKUlT_T0_E_clISt17integral_constantIbLb0EES12_IbLb1EEEEDaSY_SZ_EUlSY_E_NS1_11comp_targetILNS1_3genE3ELNS1_11target_archE908ELNS1_3gpuE7ELNS1_3repE0EEENS1_30default_config_static_selectorELNS0_4arch9wavefront6targetE1EEEvT1_
	.p2align	8
	.type	_ZN7rocprim17ROCPRIM_400000_NS6detail17trampoline_kernelINS0_14default_configENS1_29reduce_by_key_config_selectorIhlN6thrust23THRUST_200600_302600_NS4plusIlEEEEZZNS1_33reduce_by_key_impl_wrapped_configILNS1_25lookback_scan_determinismE0ES3_S9_PhNS6_17constant_iteratorIiNS6_11use_defaultESE_EENS6_10device_ptrIhEENSG_IlEEPmS8_NS6_8equal_toIhEEEE10hipError_tPvRmT2_T3_mT4_T5_T6_T7_T8_P12ihipStream_tbENKUlT_T0_E_clISt17integral_constantIbLb0EES12_IbLb1EEEEDaSY_SZ_EUlSY_E_NS1_11comp_targetILNS1_3genE3ELNS1_11target_archE908ELNS1_3gpuE7ELNS1_3repE0EEENS1_30default_config_static_selectorELNS0_4arch9wavefront6targetE1EEEvT1_,@function
_ZN7rocprim17ROCPRIM_400000_NS6detail17trampoline_kernelINS0_14default_configENS1_29reduce_by_key_config_selectorIhlN6thrust23THRUST_200600_302600_NS4plusIlEEEEZZNS1_33reduce_by_key_impl_wrapped_configILNS1_25lookback_scan_determinismE0ES3_S9_PhNS6_17constant_iteratorIiNS6_11use_defaultESE_EENS6_10device_ptrIhEENSG_IlEEPmS8_NS6_8equal_toIhEEEE10hipError_tPvRmT2_T3_mT4_T5_T6_T7_T8_P12ihipStream_tbENKUlT_T0_E_clISt17integral_constantIbLb0EES12_IbLb1EEEEDaSY_SZ_EUlSY_E_NS1_11comp_targetILNS1_3genE3ELNS1_11target_archE908ELNS1_3gpuE7ELNS1_3repE0EEENS1_30default_config_static_selectorELNS0_4arch9wavefront6targetE1EEEvT1_: ; @_ZN7rocprim17ROCPRIM_400000_NS6detail17trampoline_kernelINS0_14default_configENS1_29reduce_by_key_config_selectorIhlN6thrust23THRUST_200600_302600_NS4plusIlEEEEZZNS1_33reduce_by_key_impl_wrapped_configILNS1_25lookback_scan_determinismE0ES3_S9_PhNS6_17constant_iteratorIiNS6_11use_defaultESE_EENS6_10device_ptrIhEENSG_IlEEPmS8_NS6_8equal_toIhEEEE10hipError_tPvRmT2_T3_mT4_T5_T6_T7_T8_P12ihipStream_tbENKUlT_T0_E_clISt17integral_constantIbLb0EES12_IbLb1EEEEDaSY_SZ_EUlSY_E_NS1_11comp_targetILNS1_3genE3ELNS1_11target_archE908ELNS1_3gpuE7ELNS1_3repE0EEENS1_30default_config_static_selectorELNS0_4arch9wavefront6targetE1EEEvT1_
; %bb.0:
	.section	.rodata,"a",@progbits
	.p2align	6, 0x0
	.amdhsa_kernel _ZN7rocprim17ROCPRIM_400000_NS6detail17trampoline_kernelINS0_14default_configENS1_29reduce_by_key_config_selectorIhlN6thrust23THRUST_200600_302600_NS4plusIlEEEEZZNS1_33reduce_by_key_impl_wrapped_configILNS1_25lookback_scan_determinismE0ES3_S9_PhNS6_17constant_iteratorIiNS6_11use_defaultESE_EENS6_10device_ptrIhEENSG_IlEEPmS8_NS6_8equal_toIhEEEE10hipError_tPvRmT2_T3_mT4_T5_T6_T7_T8_P12ihipStream_tbENKUlT_T0_E_clISt17integral_constantIbLb0EES12_IbLb1EEEEDaSY_SZ_EUlSY_E_NS1_11comp_targetILNS1_3genE3ELNS1_11target_archE908ELNS1_3gpuE7ELNS1_3repE0EEENS1_30default_config_static_selectorELNS0_4arch9wavefront6targetE1EEEvT1_
		.amdhsa_group_segment_fixed_size 0
		.amdhsa_private_segment_fixed_size 0
		.amdhsa_kernarg_size 144
		.amdhsa_user_sgpr_count 6
		.amdhsa_user_sgpr_private_segment_buffer 1
		.amdhsa_user_sgpr_dispatch_ptr 0
		.amdhsa_user_sgpr_queue_ptr 0
		.amdhsa_user_sgpr_kernarg_segment_ptr 1
		.amdhsa_user_sgpr_dispatch_id 0
		.amdhsa_user_sgpr_flat_scratch_init 0
		.amdhsa_user_sgpr_private_segment_size 0
		.amdhsa_uses_dynamic_stack 0
		.amdhsa_system_sgpr_private_segment_wavefront_offset 0
		.amdhsa_system_sgpr_workgroup_id_x 1
		.amdhsa_system_sgpr_workgroup_id_y 0
		.amdhsa_system_sgpr_workgroup_id_z 0
		.amdhsa_system_sgpr_workgroup_info 0
		.amdhsa_system_vgpr_workitem_id 0
		.amdhsa_next_free_vgpr 1
		.amdhsa_next_free_sgpr 0
		.amdhsa_reserve_vcc 0
		.amdhsa_reserve_flat_scratch 0
		.amdhsa_float_round_mode_32 0
		.amdhsa_float_round_mode_16_64 0
		.amdhsa_float_denorm_mode_32 3
		.amdhsa_float_denorm_mode_16_64 3
		.amdhsa_dx10_clamp 1
		.amdhsa_ieee_mode 1
		.amdhsa_fp16_overflow 0
		.amdhsa_exception_fp_ieee_invalid_op 0
		.amdhsa_exception_fp_denorm_src 0
		.amdhsa_exception_fp_ieee_div_zero 0
		.amdhsa_exception_fp_ieee_overflow 0
		.amdhsa_exception_fp_ieee_underflow 0
		.amdhsa_exception_fp_ieee_inexact 0
		.amdhsa_exception_int_div_zero 0
	.end_amdhsa_kernel
	.section	.text._ZN7rocprim17ROCPRIM_400000_NS6detail17trampoline_kernelINS0_14default_configENS1_29reduce_by_key_config_selectorIhlN6thrust23THRUST_200600_302600_NS4plusIlEEEEZZNS1_33reduce_by_key_impl_wrapped_configILNS1_25lookback_scan_determinismE0ES3_S9_PhNS6_17constant_iteratorIiNS6_11use_defaultESE_EENS6_10device_ptrIhEENSG_IlEEPmS8_NS6_8equal_toIhEEEE10hipError_tPvRmT2_T3_mT4_T5_T6_T7_T8_P12ihipStream_tbENKUlT_T0_E_clISt17integral_constantIbLb0EES12_IbLb1EEEEDaSY_SZ_EUlSY_E_NS1_11comp_targetILNS1_3genE3ELNS1_11target_archE908ELNS1_3gpuE7ELNS1_3repE0EEENS1_30default_config_static_selectorELNS0_4arch9wavefront6targetE1EEEvT1_,"axG",@progbits,_ZN7rocprim17ROCPRIM_400000_NS6detail17trampoline_kernelINS0_14default_configENS1_29reduce_by_key_config_selectorIhlN6thrust23THRUST_200600_302600_NS4plusIlEEEEZZNS1_33reduce_by_key_impl_wrapped_configILNS1_25lookback_scan_determinismE0ES3_S9_PhNS6_17constant_iteratorIiNS6_11use_defaultESE_EENS6_10device_ptrIhEENSG_IlEEPmS8_NS6_8equal_toIhEEEE10hipError_tPvRmT2_T3_mT4_T5_T6_T7_T8_P12ihipStream_tbENKUlT_T0_E_clISt17integral_constantIbLb0EES12_IbLb1EEEEDaSY_SZ_EUlSY_E_NS1_11comp_targetILNS1_3genE3ELNS1_11target_archE908ELNS1_3gpuE7ELNS1_3repE0EEENS1_30default_config_static_selectorELNS0_4arch9wavefront6targetE1EEEvT1_,comdat
.Lfunc_end397:
	.size	_ZN7rocprim17ROCPRIM_400000_NS6detail17trampoline_kernelINS0_14default_configENS1_29reduce_by_key_config_selectorIhlN6thrust23THRUST_200600_302600_NS4plusIlEEEEZZNS1_33reduce_by_key_impl_wrapped_configILNS1_25lookback_scan_determinismE0ES3_S9_PhNS6_17constant_iteratorIiNS6_11use_defaultESE_EENS6_10device_ptrIhEENSG_IlEEPmS8_NS6_8equal_toIhEEEE10hipError_tPvRmT2_T3_mT4_T5_T6_T7_T8_P12ihipStream_tbENKUlT_T0_E_clISt17integral_constantIbLb0EES12_IbLb1EEEEDaSY_SZ_EUlSY_E_NS1_11comp_targetILNS1_3genE3ELNS1_11target_archE908ELNS1_3gpuE7ELNS1_3repE0EEENS1_30default_config_static_selectorELNS0_4arch9wavefront6targetE1EEEvT1_, .Lfunc_end397-_ZN7rocprim17ROCPRIM_400000_NS6detail17trampoline_kernelINS0_14default_configENS1_29reduce_by_key_config_selectorIhlN6thrust23THRUST_200600_302600_NS4plusIlEEEEZZNS1_33reduce_by_key_impl_wrapped_configILNS1_25lookback_scan_determinismE0ES3_S9_PhNS6_17constant_iteratorIiNS6_11use_defaultESE_EENS6_10device_ptrIhEENSG_IlEEPmS8_NS6_8equal_toIhEEEE10hipError_tPvRmT2_T3_mT4_T5_T6_T7_T8_P12ihipStream_tbENKUlT_T0_E_clISt17integral_constantIbLb0EES12_IbLb1EEEEDaSY_SZ_EUlSY_E_NS1_11comp_targetILNS1_3genE3ELNS1_11target_archE908ELNS1_3gpuE7ELNS1_3repE0EEENS1_30default_config_static_selectorELNS0_4arch9wavefront6targetE1EEEvT1_
                                        ; -- End function
	.set _ZN7rocprim17ROCPRIM_400000_NS6detail17trampoline_kernelINS0_14default_configENS1_29reduce_by_key_config_selectorIhlN6thrust23THRUST_200600_302600_NS4plusIlEEEEZZNS1_33reduce_by_key_impl_wrapped_configILNS1_25lookback_scan_determinismE0ES3_S9_PhNS6_17constant_iteratorIiNS6_11use_defaultESE_EENS6_10device_ptrIhEENSG_IlEEPmS8_NS6_8equal_toIhEEEE10hipError_tPvRmT2_T3_mT4_T5_T6_T7_T8_P12ihipStream_tbENKUlT_T0_E_clISt17integral_constantIbLb0EES12_IbLb1EEEEDaSY_SZ_EUlSY_E_NS1_11comp_targetILNS1_3genE3ELNS1_11target_archE908ELNS1_3gpuE7ELNS1_3repE0EEENS1_30default_config_static_selectorELNS0_4arch9wavefront6targetE1EEEvT1_.num_vgpr, 0
	.set _ZN7rocprim17ROCPRIM_400000_NS6detail17trampoline_kernelINS0_14default_configENS1_29reduce_by_key_config_selectorIhlN6thrust23THRUST_200600_302600_NS4plusIlEEEEZZNS1_33reduce_by_key_impl_wrapped_configILNS1_25lookback_scan_determinismE0ES3_S9_PhNS6_17constant_iteratorIiNS6_11use_defaultESE_EENS6_10device_ptrIhEENSG_IlEEPmS8_NS6_8equal_toIhEEEE10hipError_tPvRmT2_T3_mT4_T5_T6_T7_T8_P12ihipStream_tbENKUlT_T0_E_clISt17integral_constantIbLb0EES12_IbLb1EEEEDaSY_SZ_EUlSY_E_NS1_11comp_targetILNS1_3genE3ELNS1_11target_archE908ELNS1_3gpuE7ELNS1_3repE0EEENS1_30default_config_static_selectorELNS0_4arch9wavefront6targetE1EEEvT1_.num_agpr, 0
	.set _ZN7rocprim17ROCPRIM_400000_NS6detail17trampoline_kernelINS0_14default_configENS1_29reduce_by_key_config_selectorIhlN6thrust23THRUST_200600_302600_NS4plusIlEEEEZZNS1_33reduce_by_key_impl_wrapped_configILNS1_25lookback_scan_determinismE0ES3_S9_PhNS6_17constant_iteratorIiNS6_11use_defaultESE_EENS6_10device_ptrIhEENSG_IlEEPmS8_NS6_8equal_toIhEEEE10hipError_tPvRmT2_T3_mT4_T5_T6_T7_T8_P12ihipStream_tbENKUlT_T0_E_clISt17integral_constantIbLb0EES12_IbLb1EEEEDaSY_SZ_EUlSY_E_NS1_11comp_targetILNS1_3genE3ELNS1_11target_archE908ELNS1_3gpuE7ELNS1_3repE0EEENS1_30default_config_static_selectorELNS0_4arch9wavefront6targetE1EEEvT1_.numbered_sgpr, 0
	.set _ZN7rocprim17ROCPRIM_400000_NS6detail17trampoline_kernelINS0_14default_configENS1_29reduce_by_key_config_selectorIhlN6thrust23THRUST_200600_302600_NS4plusIlEEEEZZNS1_33reduce_by_key_impl_wrapped_configILNS1_25lookback_scan_determinismE0ES3_S9_PhNS6_17constant_iteratorIiNS6_11use_defaultESE_EENS6_10device_ptrIhEENSG_IlEEPmS8_NS6_8equal_toIhEEEE10hipError_tPvRmT2_T3_mT4_T5_T6_T7_T8_P12ihipStream_tbENKUlT_T0_E_clISt17integral_constantIbLb0EES12_IbLb1EEEEDaSY_SZ_EUlSY_E_NS1_11comp_targetILNS1_3genE3ELNS1_11target_archE908ELNS1_3gpuE7ELNS1_3repE0EEENS1_30default_config_static_selectorELNS0_4arch9wavefront6targetE1EEEvT1_.num_named_barrier, 0
	.set _ZN7rocprim17ROCPRIM_400000_NS6detail17trampoline_kernelINS0_14default_configENS1_29reduce_by_key_config_selectorIhlN6thrust23THRUST_200600_302600_NS4plusIlEEEEZZNS1_33reduce_by_key_impl_wrapped_configILNS1_25lookback_scan_determinismE0ES3_S9_PhNS6_17constant_iteratorIiNS6_11use_defaultESE_EENS6_10device_ptrIhEENSG_IlEEPmS8_NS6_8equal_toIhEEEE10hipError_tPvRmT2_T3_mT4_T5_T6_T7_T8_P12ihipStream_tbENKUlT_T0_E_clISt17integral_constantIbLb0EES12_IbLb1EEEEDaSY_SZ_EUlSY_E_NS1_11comp_targetILNS1_3genE3ELNS1_11target_archE908ELNS1_3gpuE7ELNS1_3repE0EEENS1_30default_config_static_selectorELNS0_4arch9wavefront6targetE1EEEvT1_.private_seg_size, 0
	.set _ZN7rocprim17ROCPRIM_400000_NS6detail17trampoline_kernelINS0_14default_configENS1_29reduce_by_key_config_selectorIhlN6thrust23THRUST_200600_302600_NS4plusIlEEEEZZNS1_33reduce_by_key_impl_wrapped_configILNS1_25lookback_scan_determinismE0ES3_S9_PhNS6_17constant_iteratorIiNS6_11use_defaultESE_EENS6_10device_ptrIhEENSG_IlEEPmS8_NS6_8equal_toIhEEEE10hipError_tPvRmT2_T3_mT4_T5_T6_T7_T8_P12ihipStream_tbENKUlT_T0_E_clISt17integral_constantIbLb0EES12_IbLb1EEEEDaSY_SZ_EUlSY_E_NS1_11comp_targetILNS1_3genE3ELNS1_11target_archE908ELNS1_3gpuE7ELNS1_3repE0EEENS1_30default_config_static_selectorELNS0_4arch9wavefront6targetE1EEEvT1_.uses_vcc, 0
	.set _ZN7rocprim17ROCPRIM_400000_NS6detail17trampoline_kernelINS0_14default_configENS1_29reduce_by_key_config_selectorIhlN6thrust23THRUST_200600_302600_NS4plusIlEEEEZZNS1_33reduce_by_key_impl_wrapped_configILNS1_25lookback_scan_determinismE0ES3_S9_PhNS6_17constant_iteratorIiNS6_11use_defaultESE_EENS6_10device_ptrIhEENSG_IlEEPmS8_NS6_8equal_toIhEEEE10hipError_tPvRmT2_T3_mT4_T5_T6_T7_T8_P12ihipStream_tbENKUlT_T0_E_clISt17integral_constantIbLb0EES12_IbLb1EEEEDaSY_SZ_EUlSY_E_NS1_11comp_targetILNS1_3genE3ELNS1_11target_archE908ELNS1_3gpuE7ELNS1_3repE0EEENS1_30default_config_static_selectorELNS0_4arch9wavefront6targetE1EEEvT1_.uses_flat_scratch, 0
	.set _ZN7rocprim17ROCPRIM_400000_NS6detail17trampoline_kernelINS0_14default_configENS1_29reduce_by_key_config_selectorIhlN6thrust23THRUST_200600_302600_NS4plusIlEEEEZZNS1_33reduce_by_key_impl_wrapped_configILNS1_25lookback_scan_determinismE0ES3_S9_PhNS6_17constant_iteratorIiNS6_11use_defaultESE_EENS6_10device_ptrIhEENSG_IlEEPmS8_NS6_8equal_toIhEEEE10hipError_tPvRmT2_T3_mT4_T5_T6_T7_T8_P12ihipStream_tbENKUlT_T0_E_clISt17integral_constantIbLb0EES12_IbLb1EEEEDaSY_SZ_EUlSY_E_NS1_11comp_targetILNS1_3genE3ELNS1_11target_archE908ELNS1_3gpuE7ELNS1_3repE0EEENS1_30default_config_static_selectorELNS0_4arch9wavefront6targetE1EEEvT1_.has_dyn_sized_stack, 0
	.set _ZN7rocprim17ROCPRIM_400000_NS6detail17trampoline_kernelINS0_14default_configENS1_29reduce_by_key_config_selectorIhlN6thrust23THRUST_200600_302600_NS4plusIlEEEEZZNS1_33reduce_by_key_impl_wrapped_configILNS1_25lookback_scan_determinismE0ES3_S9_PhNS6_17constant_iteratorIiNS6_11use_defaultESE_EENS6_10device_ptrIhEENSG_IlEEPmS8_NS6_8equal_toIhEEEE10hipError_tPvRmT2_T3_mT4_T5_T6_T7_T8_P12ihipStream_tbENKUlT_T0_E_clISt17integral_constantIbLb0EES12_IbLb1EEEEDaSY_SZ_EUlSY_E_NS1_11comp_targetILNS1_3genE3ELNS1_11target_archE908ELNS1_3gpuE7ELNS1_3repE0EEENS1_30default_config_static_selectorELNS0_4arch9wavefront6targetE1EEEvT1_.has_recursion, 0
	.set _ZN7rocprim17ROCPRIM_400000_NS6detail17trampoline_kernelINS0_14default_configENS1_29reduce_by_key_config_selectorIhlN6thrust23THRUST_200600_302600_NS4plusIlEEEEZZNS1_33reduce_by_key_impl_wrapped_configILNS1_25lookback_scan_determinismE0ES3_S9_PhNS6_17constant_iteratorIiNS6_11use_defaultESE_EENS6_10device_ptrIhEENSG_IlEEPmS8_NS6_8equal_toIhEEEE10hipError_tPvRmT2_T3_mT4_T5_T6_T7_T8_P12ihipStream_tbENKUlT_T0_E_clISt17integral_constantIbLb0EES12_IbLb1EEEEDaSY_SZ_EUlSY_E_NS1_11comp_targetILNS1_3genE3ELNS1_11target_archE908ELNS1_3gpuE7ELNS1_3repE0EEENS1_30default_config_static_selectorELNS0_4arch9wavefront6targetE1EEEvT1_.has_indirect_call, 0
	.section	.AMDGPU.csdata,"",@progbits
; Kernel info:
; codeLenInByte = 0
; TotalNumSgprs: 4
; NumVgprs: 0
; ScratchSize: 0
; MemoryBound: 0
; FloatMode: 240
; IeeeMode: 1
; LDSByteSize: 0 bytes/workgroup (compile time only)
; SGPRBlocks: 0
; VGPRBlocks: 0
; NumSGPRsForWavesPerEU: 4
; NumVGPRsForWavesPerEU: 1
; Occupancy: 10
; WaveLimiterHint : 0
; COMPUTE_PGM_RSRC2:SCRATCH_EN: 0
; COMPUTE_PGM_RSRC2:USER_SGPR: 6
; COMPUTE_PGM_RSRC2:TRAP_HANDLER: 0
; COMPUTE_PGM_RSRC2:TGID_X_EN: 1
; COMPUTE_PGM_RSRC2:TGID_Y_EN: 0
; COMPUTE_PGM_RSRC2:TGID_Z_EN: 0
; COMPUTE_PGM_RSRC2:TIDIG_COMP_CNT: 0
	.section	.text._ZN7rocprim17ROCPRIM_400000_NS6detail17trampoline_kernelINS0_14default_configENS1_29reduce_by_key_config_selectorIhlN6thrust23THRUST_200600_302600_NS4plusIlEEEEZZNS1_33reduce_by_key_impl_wrapped_configILNS1_25lookback_scan_determinismE0ES3_S9_PhNS6_17constant_iteratorIiNS6_11use_defaultESE_EENS6_10device_ptrIhEENSG_IlEEPmS8_NS6_8equal_toIhEEEE10hipError_tPvRmT2_T3_mT4_T5_T6_T7_T8_P12ihipStream_tbENKUlT_T0_E_clISt17integral_constantIbLb0EES12_IbLb1EEEEDaSY_SZ_EUlSY_E_NS1_11comp_targetILNS1_3genE2ELNS1_11target_archE906ELNS1_3gpuE6ELNS1_3repE0EEENS1_30default_config_static_selectorELNS0_4arch9wavefront6targetE1EEEvT1_,"axG",@progbits,_ZN7rocprim17ROCPRIM_400000_NS6detail17trampoline_kernelINS0_14default_configENS1_29reduce_by_key_config_selectorIhlN6thrust23THRUST_200600_302600_NS4plusIlEEEEZZNS1_33reduce_by_key_impl_wrapped_configILNS1_25lookback_scan_determinismE0ES3_S9_PhNS6_17constant_iteratorIiNS6_11use_defaultESE_EENS6_10device_ptrIhEENSG_IlEEPmS8_NS6_8equal_toIhEEEE10hipError_tPvRmT2_T3_mT4_T5_T6_T7_T8_P12ihipStream_tbENKUlT_T0_E_clISt17integral_constantIbLb0EES12_IbLb1EEEEDaSY_SZ_EUlSY_E_NS1_11comp_targetILNS1_3genE2ELNS1_11target_archE906ELNS1_3gpuE6ELNS1_3repE0EEENS1_30default_config_static_selectorELNS0_4arch9wavefront6targetE1EEEvT1_,comdat
	.protected	_ZN7rocprim17ROCPRIM_400000_NS6detail17trampoline_kernelINS0_14default_configENS1_29reduce_by_key_config_selectorIhlN6thrust23THRUST_200600_302600_NS4plusIlEEEEZZNS1_33reduce_by_key_impl_wrapped_configILNS1_25lookback_scan_determinismE0ES3_S9_PhNS6_17constant_iteratorIiNS6_11use_defaultESE_EENS6_10device_ptrIhEENSG_IlEEPmS8_NS6_8equal_toIhEEEE10hipError_tPvRmT2_T3_mT4_T5_T6_T7_T8_P12ihipStream_tbENKUlT_T0_E_clISt17integral_constantIbLb0EES12_IbLb1EEEEDaSY_SZ_EUlSY_E_NS1_11comp_targetILNS1_3genE2ELNS1_11target_archE906ELNS1_3gpuE6ELNS1_3repE0EEENS1_30default_config_static_selectorELNS0_4arch9wavefront6targetE1EEEvT1_ ; -- Begin function _ZN7rocprim17ROCPRIM_400000_NS6detail17trampoline_kernelINS0_14default_configENS1_29reduce_by_key_config_selectorIhlN6thrust23THRUST_200600_302600_NS4plusIlEEEEZZNS1_33reduce_by_key_impl_wrapped_configILNS1_25lookback_scan_determinismE0ES3_S9_PhNS6_17constant_iteratorIiNS6_11use_defaultESE_EENS6_10device_ptrIhEENSG_IlEEPmS8_NS6_8equal_toIhEEEE10hipError_tPvRmT2_T3_mT4_T5_T6_T7_T8_P12ihipStream_tbENKUlT_T0_E_clISt17integral_constantIbLb0EES12_IbLb1EEEEDaSY_SZ_EUlSY_E_NS1_11comp_targetILNS1_3genE2ELNS1_11target_archE906ELNS1_3gpuE6ELNS1_3repE0EEENS1_30default_config_static_selectorELNS0_4arch9wavefront6targetE1EEEvT1_
	.globl	_ZN7rocprim17ROCPRIM_400000_NS6detail17trampoline_kernelINS0_14default_configENS1_29reduce_by_key_config_selectorIhlN6thrust23THRUST_200600_302600_NS4plusIlEEEEZZNS1_33reduce_by_key_impl_wrapped_configILNS1_25lookback_scan_determinismE0ES3_S9_PhNS6_17constant_iteratorIiNS6_11use_defaultESE_EENS6_10device_ptrIhEENSG_IlEEPmS8_NS6_8equal_toIhEEEE10hipError_tPvRmT2_T3_mT4_T5_T6_T7_T8_P12ihipStream_tbENKUlT_T0_E_clISt17integral_constantIbLb0EES12_IbLb1EEEEDaSY_SZ_EUlSY_E_NS1_11comp_targetILNS1_3genE2ELNS1_11target_archE906ELNS1_3gpuE6ELNS1_3repE0EEENS1_30default_config_static_selectorELNS0_4arch9wavefront6targetE1EEEvT1_
	.p2align	8
	.type	_ZN7rocprim17ROCPRIM_400000_NS6detail17trampoline_kernelINS0_14default_configENS1_29reduce_by_key_config_selectorIhlN6thrust23THRUST_200600_302600_NS4plusIlEEEEZZNS1_33reduce_by_key_impl_wrapped_configILNS1_25lookback_scan_determinismE0ES3_S9_PhNS6_17constant_iteratorIiNS6_11use_defaultESE_EENS6_10device_ptrIhEENSG_IlEEPmS8_NS6_8equal_toIhEEEE10hipError_tPvRmT2_T3_mT4_T5_T6_T7_T8_P12ihipStream_tbENKUlT_T0_E_clISt17integral_constantIbLb0EES12_IbLb1EEEEDaSY_SZ_EUlSY_E_NS1_11comp_targetILNS1_3genE2ELNS1_11target_archE906ELNS1_3gpuE6ELNS1_3repE0EEENS1_30default_config_static_selectorELNS0_4arch9wavefront6targetE1EEEvT1_,@function
_ZN7rocprim17ROCPRIM_400000_NS6detail17trampoline_kernelINS0_14default_configENS1_29reduce_by_key_config_selectorIhlN6thrust23THRUST_200600_302600_NS4plusIlEEEEZZNS1_33reduce_by_key_impl_wrapped_configILNS1_25lookback_scan_determinismE0ES3_S9_PhNS6_17constant_iteratorIiNS6_11use_defaultESE_EENS6_10device_ptrIhEENSG_IlEEPmS8_NS6_8equal_toIhEEEE10hipError_tPvRmT2_T3_mT4_T5_T6_T7_T8_P12ihipStream_tbENKUlT_T0_E_clISt17integral_constantIbLb0EES12_IbLb1EEEEDaSY_SZ_EUlSY_E_NS1_11comp_targetILNS1_3genE2ELNS1_11target_archE906ELNS1_3gpuE6ELNS1_3repE0EEENS1_30default_config_static_selectorELNS0_4arch9wavefront6targetE1EEEvT1_: ; @_ZN7rocprim17ROCPRIM_400000_NS6detail17trampoline_kernelINS0_14default_configENS1_29reduce_by_key_config_selectorIhlN6thrust23THRUST_200600_302600_NS4plusIlEEEEZZNS1_33reduce_by_key_impl_wrapped_configILNS1_25lookback_scan_determinismE0ES3_S9_PhNS6_17constant_iteratorIiNS6_11use_defaultESE_EENS6_10device_ptrIhEENSG_IlEEPmS8_NS6_8equal_toIhEEEE10hipError_tPvRmT2_T3_mT4_T5_T6_T7_T8_P12ihipStream_tbENKUlT_T0_E_clISt17integral_constantIbLb0EES12_IbLb1EEEEDaSY_SZ_EUlSY_E_NS1_11comp_targetILNS1_3genE2ELNS1_11target_archE906ELNS1_3gpuE6ELNS1_3repE0EEENS1_30default_config_static_selectorELNS0_4arch9wavefront6targetE1EEEvT1_
; %bb.0:
	s_load_dwordx4 s[56:59], s[4:5], 0x20
	s_load_dwordx2 s[60:61], s[4:5], 0x30
	s_load_dwordx2 s[36:37], s[4:5], 0x80
	s_add_u32 s0, s0, s7
	s_addc_u32 s1, s1, 0
	v_cmp_ne_u32_e64 s[6:7], 0, v0
	v_cmp_eq_u32_e64 s[38:39], 0, v0
	s_and_saveexec_b64 s[8:9], s[38:39]
	s_cbranch_execz .LBB398_4
; %bb.1:
	s_mov_b64 s[12:13], exec
	v_mbcnt_lo_u32_b32 v1, s12, 0
	v_mbcnt_hi_u32_b32 v1, s13, v1
	v_cmp_eq_u32_e32 vcc, 0, v1
                                        ; implicit-def: $vgpr2
	s_and_saveexec_b64 s[10:11], vcc
	s_cbranch_execz .LBB398_3
; %bb.2:
	s_load_dwordx2 s[14:15], s[4:5], 0x88
	s_bcnt1_i32_b64 s12, s[12:13]
	v_mov_b32_e32 v2, 0
	v_mov_b32_e32 v3, s12
	s_waitcnt lgkmcnt(0)
	global_atomic_add v2, v2, v3, s[14:15] glc
.LBB398_3:
	s_or_b64 exec, exec, s[10:11]
	s_waitcnt vmcnt(0)
	v_readfirstlane_b32 s10, v2
	v_add_u32_e32 v1, s10, v1
	v_mov_b32_e32 v2, 0
	ds_write_b32 v2, v1
.LBB398_4:
	s_or_b64 exec, exec, s[8:9]
	s_load_dwordx4 s[8:11], s[4:5], 0x0
	s_load_dword s12, s[4:5], 0x18
	s_load_dwordx16 s[40:55], s[4:5], 0x40
	v_mov_b32_e32 v1, 0
	s_waitcnt lgkmcnt(0)
	s_barrier
	ds_read_b32 v1, v1
	s_mul_i32 s4, s48, s47
	s_mul_hi_u32 s5, s48, s46
	s_add_i32 s4, s5, s4
	s_mul_i32 s5, s49, s46
	s_add_i32 s5, s4, s5
	s_add_u32 s8, s8, s10
	s_mul_i32 s4, s48, s46
	s_addc_u32 s9, s9, s11
	s_waitcnt lgkmcnt(0)
	v_readfirstlane_b32 s64, v1
	s_movk_i32 s10, 0xf00
	v_mul_lo_u32 v1, v1, s10
	s_add_u32 s4, s4, s64
	s_addc_u32 s5, s5, 0
	s_add_u32 s14, s50, -1
	s_addc_u32 s15, s51, -1
	v_mov_b32_e32 v2, s9
	v_add_co_u32_e32 v33, vcc, s8, v1
	s_cmp_eq_u64 s[4:5], s[14:15]
	v_addc_co_u32_e32 v34, vcc, 0, v2, vcc
	s_cselect_b64 s[48:49], -1, 0
	s_cmp_lg_u64 s[4:5], s[14:15]
	s_mov_b64 s[10:11], -1
	s_cselect_b64 s[8:9], -1, 0
	s_mul_i32 s33, s14, 0xfffff100
	s_and_b64 vcc, exec, s[48:49]
	v_mad_u32_u24 v2, v0, 14, v0
	s_barrier
	s_cbranch_vccnz .LBB398_6
; %bb.5:
	v_readfirstlane_b32 s10, v33
	v_readfirstlane_b32 s11, v34
	s_nop 4
	global_load_ubyte v1, v0, s[10:11]
	global_load_ubyte v6, v0, s[10:11] offset:256
	global_load_ubyte v7, v0, s[10:11] offset:512
	;; [unrolled: 1-line block ×14, first 2 shown]
	s_ashr_i32 s13, s12, 31
	v_mov_b32_e32 v4, s12
	v_mul_u32_u24_e32 v3, 15, v0
	v_mad_i32_i24 v20, v0, -7, v2
	v_mov_b32_e32 v5, s13
	s_waitcnt vmcnt(14)
	ds_write_b8 v0, v1
	s_waitcnt vmcnt(13)
	ds_write_b8 v0, v6 offset:256
	s_waitcnt vmcnt(12)
	ds_write_b8 v0, v7 offset:512
	;; [unrolled: 2-line block ×14, first 2 shown]
	s_waitcnt lgkmcnt(0)
	s_barrier
	ds_read_u8 v72, v2
	ds_read_u8 v71, v2 offset:1
	ds_read_u8 v1, v2 offset:2
	ds_read_b96 v[30:32], v2 offset:3
	s_waitcnt lgkmcnt(0)
	s_barrier
	ds_write2st64_b64 v20, v[4:5], v[4:5] offset1:4
	ds_write2st64_b64 v20, v[4:5], v[4:5] offset0:8 offset1:12
	ds_write2st64_b64 v20, v[4:5], v[4:5] offset0:16 offset1:20
	;; [unrolled: 1-line block ×6, first 2 shown]
	ds_write_b64 v20, v[4:5] offset:28672
	s_waitcnt lgkmcnt(0)
	s_barrier
	s_add_i32 s33, s33, s52
	s_cbranch_execz .LBB398_7
	s_branch .LBB398_38
.LBB398_6:
                                        ; implicit-def: $vgpr30
                                        ; implicit-def: $vgpr72
                                        ; implicit-def: $vgpr71
                                        ; implicit-def: $vgpr1
                                        ; implicit-def: $vgpr3
	s_andn2_b64 vcc, exec, s[10:11]
	s_add_i32 s33, s33, s52
	s_cbranch_vccnz .LBB398_38
.LBB398_7:
	v_cmp_gt_u32_e32 vcc, s33, v0
                                        ; implicit-def: $vgpr1
	s_and_saveexec_b64 s[10:11], vcc
	s_cbranch_execz .LBB398_9
; %bb.8:
	v_readfirstlane_b32 s14, v33
	v_readfirstlane_b32 s15, v34
	s_nop 4
	global_load_ubyte v1, v0, s[14:15]
.LBB398_9:
	s_or_b64 exec, exec, s[10:11]
	v_or_b32_e32 v3, 0x100, v0
	v_cmp_gt_u32_e32 vcc, s33, v3
                                        ; implicit-def: $vgpr3
	s_and_saveexec_b64 s[10:11], vcc
	s_cbranch_execz .LBB398_11
; %bb.10:
	v_readfirstlane_b32 s14, v33
	v_readfirstlane_b32 s15, v34
	s_nop 4
	global_load_ubyte v3, v0, s[14:15] offset:256
.LBB398_11:
	s_or_b64 exec, exec, s[10:11]
	v_or_b32_e32 v4, 0x200, v0
	v_cmp_gt_u32_e32 vcc, s33, v4
                                        ; implicit-def: $vgpr4
	s_and_saveexec_b64 s[10:11], vcc
	s_cbranch_execz .LBB398_13
; %bb.12:
	v_readfirstlane_b32 s14, v33
	v_readfirstlane_b32 s15, v34
	s_nop 4
	global_load_ubyte v4, v0, s[14:15] offset:512
.LBB398_13:
	s_or_b64 exec, exec, s[10:11]
	v_or_b32_e32 v5, 0x300, v0
	v_cmp_gt_u32_e32 vcc, s33, v5
                                        ; implicit-def: $vgpr5
	s_and_saveexec_b64 s[10:11], vcc
	s_cbranch_execz .LBB398_15
; %bb.14:
	v_readfirstlane_b32 s14, v33
	v_readfirstlane_b32 s15, v34
	s_nop 4
	global_load_ubyte v5, v0, s[14:15] offset:768
.LBB398_15:
	s_or_b64 exec, exec, s[10:11]
	v_or_b32_e32 v6, 0x400, v0
	v_cmp_gt_u32_e32 vcc, s33, v6
                                        ; implicit-def: $vgpr6
	s_and_saveexec_b64 s[10:11], vcc
	s_cbranch_execz .LBB398_17
; %bb.16:
	v_readfirstlane_b32 s14, v33
	v_readfirstlane_b32 s15, v34
	s_nop 4
	global_load_ubyte v6, v0, s[14:15] offset:1024
.LBB398_17:
	s_or_b64 exec, exec, s[10:11]
	v_or_b32_e32 v7, 0x500, v0
	v_cmp_gt_u32_e32 vcc, s33, v7
                                        ; implicit-def: $vgpr7
	s_and_saveexec_b64 s[10:11], vcc
	s_cbranch_execz .LBB398_19
; %bb.18:
	v_readfirstlane_b32 s14, v33
	v_readfirstlane_b32 s15, v34
	s_nop 4
	global_load_ubyte v7, v0, s[14:15] offset:1280
.LBB398_19:
	s_or_b64 exec, exec, s[10:11]
	v_or_b32_e32 v8, 0x600, v0
	v_cmp_gt_u32_e32 vcc, s33, v8
                                        ; implicit-def: $vgpr8
	s_and_saveexec_b64 s[10:11], vcc
	s_cbranch_execz .LBB398_21
; %bb.20:
	v_readfirstlane_b32 s14, v33
	v_readfirstlane_b32 s15, v34
	s_nop 4
	global_load_ubyte v8, v0, s[14:15] offset:1536
.LBB398_21:
	s_or_b64 exec, exec, s[10:11]
	v_or_b32_e32 v9, 0x700, v0
	v_cmp_gt_u32_e32 vcc, s33, v9
                                        ; implicit-def: $vgpr9
	s_and_saveexec_b64 s[10:11], vcc
	s_cbranch_execz .LBB398_23
; %bb.22:
	v_readfirstlane_b32 s14, v33
	v_readfirstlane_b32 s15, v34
	s_nop 4
	global_load_ubyte v9, v0, s[14:15] offset:1792
.LBB398_23:
	s_or_b64 exec, exec, s[10:11]
	v_or_b32_e32 v10, 0x800, v0
	v_cmp_gt_u32_e32 vcc, s33, v10
                                        ; implicit-def: $vgpr10
	s_and_saveexec_b64 s[10:11], vcc
	s_cbranch_execz .LBB398_25
; %bb.24:
	v_readfirstlane_b32 s14, v33
	v_readfirstlane_b32 s15, v34
	s_nop 4
	global_load_ubyte v10, v0, s[14:15] offset:2048
.LBB398_25:
	s_or_b64 exec, exec, s[10:11]
	v_or_b32_e32 v11, 0x900, v0
	v_cmp_gt_u32_e32 vcc, s33, v11
                                        ; implicit-def: $vgpr11
	s_and_saveexec_b64 s[10:11], vcc
	s_cbranch_execz .LBB398_27
; %bb.26:
	v_readfirstlane_b32 s14, v33
	v_readfirstlane_b32 s15, v34
	s_nop 4
	global_load_ubyte v11, v0, s[14:15] offset:2304
.LBB398_27:
	s_or_b64 exec, exec, s[10:11]
	v_or_b32_e32 v12, 0xa00, v0
	v_cmp_gt_u32_e32 vcc, s33, v12
                                        ; implicit-def: $vgpr12
	s_and_saveexec_b64 s[10:11], vcc
	s_cbranch_execz .LBB398_29
; %bb.28:
	v_readfirstlane_b32 s14, v33
	v_readfirstlane_b32 s15, v34
	s_nop 4
	global_load_ubyte v12, v0, s[14:15] offset:2560
.LBB398_29:
	s_or_b64 exec, exec, s[10:11]
	v_or_b32_e32 v13, 0xb00, v0
	v_cmp_gt_u32_e32 vcc, s33, v13
                                        ; implicit-def: $vgpr13
	s_and_saveexec_b64 s[10:11], vcc
	s_cbranch_execz .LBB398_31
; %bb.30:
	v_readfirstlane_b32 s14, v33
	v_readfirstlane_b32 s15, v34
	s_nop 4
	global_load_ubyte v13, v0, s[14:15] offset:2816
.LBB398_31:
	s_or_b64 exec, exec, s[10:11]
	v_or_b32_e32 v14, 0xc00, v0
	v_cmp_gt_u32_e32 vcc, s33, v14
                                        ; implicit-def: $vgpr14
	s_and_saveexec_b64 s[10:11], vcc
	s_cbranch_execz .LBB398_33
; %bb.32:
	v_readfirstlane_b32 s14, v33
	v_readfirstlane_b32 s15, v34
	s_nop 4
	global_load_ubyte v14, v0, s[14:15] offset:3072
.LBB398_33:
	s_or_b64 exec, exec, s[10:11]
	v_or_b32_e32 v15, 0xd00, v0
	v_cmp_gt_u32_e32 vcc, s33, v15
                                        ; implicit-def: $vgpr15
	s_and_saveexec_b64 s[10:11], vcc
	s_cbranch_execz .LBB398_35
; %bb.34:
	v_readfirstlane_b32 s14, v33
	v_readfirstlane_b32 s15, v34
	s_nop 4
	global_load_ubyte v15, v0, s[14:15] offset:3328
.LBB398_35:
	s_or_b64 exec, exec, s[10:11]
	v_or_b32_e32 v16, 0xe00, v0
	v_cmp_gt_u32_e32 vcc, s33, v16
                                        ; implicit-def: $vgpr16
	s_and_saveexec_b64 s[10:11], vcc
	s_cbranch_execz .LBB398_37
; %bb.36:
	v_readfirstlane_b32 s14, v33
	v_readfirstlane_b32 s15, v34
	s_nop 4
	global_load_ubyte v16, v0, s[14:15] offset:3584
.LBB398_37:
	s_or_b64 exec, exec, s[10:11]
	s_waitcnt vmcnt(0)
	ds_write_b8 v0, v1
	ds_write_b8 v0, v3 offset:256
	ds_write_b8 v0, v4 offset:512
	;; [unrolled: 1-line block ×14, first 2 shown]
	s_waitcnt lgkmcnt(0)
	s_barrier
	ds_read_u8 v72, v2
	ds_read_u8 v71, v2 offset:1
	ds_read_u8 v1, v2 offset:2
	ds_read_b96 v[30:32], v2 offset:3
	s_ashr_i32 s13, s12, 31
	v_mov_b32_e32 v4, s12
	v_mul_u32_u24_e32 v3, 15, v0
	v_mad_i32_i24 v2, v0, -7, v2
	v_mov_b32_e32 v5, s13
	s_waitcnt lgkmcnt(0)
	s_barrier
	ds_write2st64_b64 v2, v[4:5], v[4:5] offset1:4
	ds_write2st64_b64 v2, v[4:5], v[4:5] offset0:8 offset1:12
	ds_write2st64_b64 v2, v[4:5], v[4:5] offset0:16 offset1:20
	;; [unrolled: 1-line block ×6, first 2 shown]
	ds_write_b64 v2, v[4:5] offset:28672
	s_waitcnt lgkmcnt(0)
	s_barrier
.LBB398_38:
	v_lshlrev_b32_e32 v26, 3, v3
	ds_read_b64 v[67:68], v26 offset:112
	ds_read2_b64 v[2:5], v26 offset0:12 offset1:13
	ds_read2_b64 v[6:9], v26 offset0:10 offset1:11
	;; [unrolled: 1-line block ×6, first 2 shown]
	ds_read2_b64 v[26:29], v26 offset1:1
	s_cmp_eq_u64 s[4:5], 0
	s_cselect_b64 s[50:51], -1, 0
	s_cmp_lg_u64 s[4:5], 0
	s_mov_b64 s[10:11], 0
	s_cselect_b64 s[12:13], -1, 0
	s_and_b64 vcc, exec, s[8:9]
	s_waitcnt lgkmcnt(0)
	s_barrier
	s_cbranch_vccz .LBB398_43
; %bb.39:
	s_and_b64 vcc, exec, s[12:13]
	s_cbranch_vccz .LBB398_44
; %bb.40:
	global_load_ubyte v35, v[33:34], off offset:-1
	s_movk_i32 s10, 0xff
	v_lshrrev_b32_e32 v36, 24, v32
	v_and_b32_sdwa v37, v32, s10 dst_sel:DWORD dst_unused:UNUSED_PAD src0_sel:WORD_1 src1_sel:DWORD
	v_cmp_ne_u16_e32 vcc, v37, v36
	ds_write_b8 v0, v36
	v_cndmask_b32_e64 v36, 0, 1, vcc
	buffer_store_dword v36, off, s[0:3], 0 offset:56
	v_lshrrev_b32_e32 v36, 8, v32
	v_cmp_ne_u16_sdwa s[8:9], v36, v37 src0_sel:BYTE_0 src1_sel:DWORD
	v_cndmask_b32_e64 v37, 0, 1, s[8:9]
	v_cmp_ne_u16_sdwa s[8:9], v32, v36 src0_sel:BYTE_0 src1_sel:BYTE_0
	v_cndmask_b32_e64 v36, 0, 1, s[8:9]
	v_cmp_ne_u16_sdwa s[8:9], v31, v32 src0_sel:BYTE_3 src1_sel:BYTE_0
	buffer_store_dword v36, off, s[0:3], 0 offset:48
	v_cndmask_b32_e64 v36, 0, 1, s[8:9]
	buffer_store_dword v36, off, s[0:3], 0 offset:44
	v_and_b32_sdwa v36, v31, s10 dst_sel:DWORD dst_unused:UNUSED_PAD src0_sel:WORD_1 src1_sel:DWORD
	v_cmp_ne_u16_sdwa s[8:9], v36, v31 src0_sel:DWORD src1_sel:BYTE_3
	buffer_store_dword v37, off, s[0:3], 0 offset:52
	v_cndmask_b32_e64 v37, 0, 1, s[8:9]
	buffer_store_dword v37, off, s[0:3], 0 offset:40
	v_lshrrev_b32_e32 v37, 8, v31
	v_cmp_ne_u16_sdwa s[8:9], v37, v36 src0_sel:BYTE_0 src1_sel:DWORD
	v_cndmask_b32_e64 v36, 0, 1, s[8:9]
	v_cmp_ne_u16_sdwa s[8:9], v31, v37 src0_sel:BYTE_0 src1_sel:BYTE_0
	buffer_store_dword v36, off, s[0:3], 0 offset:36
	v_cndmask_b32_e64 v36, 0, 1, s[8:9]
	v_cmp_ne_u16_sdwa s[8:9], v30, v31 src0_sel:BYTE_3 src1_sel:BYTE_0
	buffer_store_dword v36, off, s[0:3], 0 offset:32
	v_cndmask_b32_e64 v36, 0, 1, s[8:9]
	buffer_store_dword v36, off, s[0:3], 0 offset:28
	v_and_b32_sdwa v36, v30, s10 dst_sel:DWORD dst_unused:UNUSED_PAD src0_sel:WORD_1 src1_sel:DWORD
	v_cmp_ne_u16_sdwa s[8:9], v36, v30 src0_sel:DWORD src1_sel:BYTE_3
	v_cndmask_b32_e64 v37, 0, 1, s[8:9]
	buffer_store_dword v37, off, s[0:3], 0 offset:24
	v_lshrrev_b32_e32 v37, 8, v30
	v_cmp_ne_u16_sdwa s[8:9], v37, v36 src0_sel:BYTE_0 src1_sel:DWORD
	v_cndmask_b32_e64 v36, 0, 1, s[8:9]
	v_cmp_ne_u16_sdwa s[8:9], v30, v37 src0_sel:BYTE_0 src1_sel:BYTE_0
	buffer_store_dword v36, off, s[0:3], 0 offset:20
	v_cndmask_b32_e64 v36, 0, 1, s[8:9]
	v_cmp_ne_u16_sdwa s[8:9], v1, v30 src0_sel:BYTE_0 src1_sel:BYTE_0
	buffer_store_dword v36, off, s[0:3], 0 offset:16
	;; [unrolled: 3-line block ×4, first 2 shown]
	v_cndmask_b32_e64 v36, 0, 1, s[8:9]
	buffer_store_dword v36, off, s[0:3], 0 offset:4
	s_waitcnt vmcnt(0) lgkmcnt(0)
	s_barrier
	s_and_saveexec_b64 s[8:9], s[6:7]
; %bb.41:
	v_add_u32_e32 v35, -1, v0
	ds_read_u8 v35, v35
; %bb.42:
	s_or_b64 exec, exec, s[8:9]
	s_waitcnt lgkmcnt(0)
	v_cmp_ne_u16_sdwa s[14:15], v35, v72 src0_sel:BYTE_0 src1_sel:BYTE_0
	s_mov_b64 s[10:11], -1
	s_branch .LBB398_48
.LBB398_43:
                                        ; implicit-def: $sgpr14_sgpr15
	s_cbranch_execnz .LBB398_49
	s_branch .LBB398_57
.LBB398_44:
                                        ; implicit-def: $sgpr14_sgpr15
	s_cbranch_execz .LBB398_48
; %bb.45:
	s_movk_i32 s14, 0xff
	v_lshrrev_b32_e32 v35, 24, v32
	v_and_b32_sdwa v36, v32, s14 dst_sel:DWORD dst_unused:UNUSED_PAD src0_sel:WORD_1 src1_sel:DWORD
	v_cmp_ne_u16_e32 vcc, v36, v35
	ds_write_b8 v0, v35
	v_cndmask_b32_e64 v35, 0, 1, vcc
	buffer_store_dword v35, off, s[0:3], 0 offset:56
	v_lshrrev_b32_e32 v35, 8, v32
	v_cmp_ne_u16_sdwa s[8:9], v35, v36 src0_sel:BYTE_0 src1_sel:DWORD
	v_cndmask_b32_e64 v36, 0, 1, s[8:9]
	v_cmp_ne_u16_sdwa s[8:9], v32, v35 src0_sel:BYTE_0 src1_sel:BYTE_0
	v_cndmask_b32_e64 v35, 0, 1, s[8:9]
	v_cmp_ne_u16_sdwa s[8:9], v31, v32 src0_sel:BYTE_3 src1_sel:BYTE_0
	buffer_store_dword v35, off, s[0:3], 0 offset:48
	v_cndmask_b32_e64 v35, 0, 1, s[8:9]
	buffer_store_dword v35, off, s[0:3], 0 offset:44
	v_and_b32_sdwa v35, v31, s14 dst_sel:DWORD dst_unused:UNUSED_PAD src0_sel:WORD_1 src1_sel:DWORD
	v_cmp_ne_u16_sdwa s[8:9], v35, v31 src0_sel:DWORD src1_sel:BYTE_3
	buffer_store_dword v36, off, s[0:3], 0 offset:52
	v_cndmask_b32_e64 v36, 0, 1, s[8:9]
	buffer_store_dword v36, off, s[0:3], 0 offset:40
	v_lshrrev_b32_e32 v36, 8, v31
	v_cmp_ne_u16_sdwa s[8:9], v36, v35 src0_sel:BYTE_0 src1_sel:DWORD
	v_cndmask_b32_e64 v35, 0, 1, s[8:9]
	v_cmp_ne_u16_sdwa s[8:9], v31, v36 src0_sel:BYTE_0 src1_sel:BYTE_0
	buffer_store_dword v35, off, s[0:3], 0 offset:36
	v_cndmask_b32_e64 v35, 0, 1, s[8:9]
	v_cmp_ne_u16_sdwa s[8:9], v30, v31 src0_sel:BYTE_3 src1_sel:BYTE_0
	buffer_store_dword v35, off, s[0:3], 0 offset:32
	v_cndmask_b32_e64 v35, 0, 1, s[8:9]
	buffer_store_dword v35, off, s[0:3], 0 offset:28
	v_and_b32_sdwa v35, v30, s14 dst_sel:DWORD dst_unused:UNUSED_PAD src0_sel:WORD_1 src1_sel:DWORD
	v_cmp_ne_u16_sdwa s[8:9], v35, v30 src0_sel:DWORD src1_sel:BYTE_3
	v_cndmask_b32_e64 v36, 0, 1, s[8:9]
	buffer_store_dword v36, off, s[0:3], 0 offset:24
	v_lshrrev_b32_e32 v36, 8, v30
	v_cmp_ne_u16_sdwa s[8:9], v36, v35 src0_sel:BYTE_0 src1_sel:DWORD
	v_cndmask_b32_e64 v35, 0, 1, s[8:9]
	v_cmp_ne_u16_sdwa s[8:9], v30, v36 src0_sel:BYTE_0 src1_sel:BYTE_0
	buffer_store_dword v35, off, s[0:3], 0 offset:20
	v_cndmask_b32_e64 v35, 0, 1, s[8:9]
	v_cmp_ne_u16_sdwa s[8:9], v1, v30 src0_sel:BYTE_0 src1_sel:BYTE_0
	buffer_store_dword v35, off, s[0:3], 0 offset:16
	v_cndmask_b32_e64 v35, 0, 1, s[8:9]
	v_cmp_ne_u16_sdwa s[8:9], v71, v1 src0_sel:BYTE_0 src1_sel:BYTE_0
	buffer_store_dword v35, off, s[0:3], 0 offset:12
	v_cndmask_b32_e64 v35, 0, 1, s[8:9]
	v_cmp_ne_u16_sdwa s[8:9], v72, v71 src0_sel:BYTE_0 src1_sel:BYTE_0
	buffer_store_dword v35, off, s[0:3], 0 offset:8
	v_cndmask_b32_e64 v35, 0, 1, s[8:9]
	buffer_store_dword v35, off, s[0:3], 0 offset:4
	v_mov_b32_e32 v35, 1
	s_waitcnt vmcnt(0) lgkmcnt(0)
	s_barrier
	buffer_store_dword v35, off, s[0:3], 0
                                        ; implicit-def: $sgpr14_sgpr15
	s_and_saveexec_b64 s[8:9], s[6:7]
	s_xor_b64 s[8:9], exec, s[8:9]
	s_cbranch_execz .LBB398_47
; %bb.46:
	v_add_u32_e32 v35, -1, v0
	ds_read_u8 v35, v35
	s_or_b64 s[10:11], s[10:11], exec
	s_waitcnt lgkmcnt(0)
	v_cmp_ne_u16_sdwa s[14:15], v35, v72 src0_sel:DWORD src1_sel:BYTE_0
.LBB398_47:
	s_or_b64 exec, exec, s[8:9]
.LBB398_48:
	s_branch .LBB398_57
.LBB398_49:
	s_mul_hi_u32 s8, s4, 0xfffff100
	s_mulk_i32 s5, 0xf100
	s_sub_i32 s8, s8, s4
	s_add_i32 s5, s8, s5
	s_mulk_i32 s4, 0xf100
	s_add_u32 s8, s4, s52
	s_addc_u32 s9, s5, s53
	s_and_b64 vcc, exec, s[12:13]
	v_mad_u32_u24 v35, v0, 15, 14
	v_mad_u32_u24 v61, v0, 15, 13
	;; [unrolled: 1-line block ×4, first 2 shown]
	v_cmp_ne_u16_sdwa s[20:21], v31, v32 src0_sel:BYTE_3 src1_sel:BYTE_0
	v_mad_u32_u24 v55, v0, 15, 10
	v_mad_u32_u24 v53, v0, 15, 9
	;; [unrolled: 1-line block ×4, first 2 shown]
	v_cmp_ne_u16_sdwa s[18:19], v30, v31 src0_sel:BYTE_3 src1_sel:BYTE_0
	v_mad_u32_u24 v47, v0, 15, 6
	v_mad_u32_u24 v45, v0, 15, 5
	;; [unrolled: 1-line block ×4, first 2 shown]
	v_cmp_ne_u16_sdwa s[16:17], v1, v30 src0_sel:BYTE_0 src1_sel:BYTE_0
	v_mad_u32_u24 v39, v0, 15, 2
	v_cmp_ne_u16_sdwa s[14:15], v71, v1 src0_sel:BYTE_0 src1_sel:BYTE_0
	v_mad_u32_u24 v37, v0, 15, 1
	v_cmp_ne_u16_sdwa s[12:13], v72, v71 src0_sel:BYTE_0 src1_sel:BYTE_0
	s_cbranch_vccz .LBB398_53
; %bb.50:
	global_load_ubyte v63, v[33:34], off offset:-1
	v_mov_b32_e32 v36, 0
	s_movk_i32 s10, 0xff
	v_lshrrev_b32_e32 v34, 24, v32
	v_cmp_gt_u64_e32 vcc, s[8:9], v[35:36]
	v_and_b32_sdwa v38, v32, s10 dst_sel:DWORD dst_unused:UNUSED_PAD src0_sel:WORD_1 src1_sel:DWORD
	v_cmp_ne_u16_e64 s[4:5], v38, v34
	s_and_b64 s[4:5], vcc, s[4:5]
	ds_write_b8 v0, v34
	v_cndmask_b32_e64 v34, 0, 1, s[4:5]
	v_mov_b32_e32 v62, v36
	buffer_store_dword v34, off, s[0:3], 0 offset:56
	v_cmp_gt_u64_e32 vcc, s[8:9], v[61:62]
	v_lshrrev_b32_e32 v34, 8, v32
	v_cmp_ne_u16_sdwa s[4:5], v34, v38 src0_sel:BYTE_0 src1_sel:DWORD
	v_mov_b32_e32 v60, v36
	s_and_b64 s[4:5], vcc, s[4:5]
	v_cmp_gt_u64_e32 vcc, s[8:9], v[59:60]
	v_cndmask_b32_e64 v38, 0, 1, s[4:5]
	v_cmp_ne_u16_sdwa s[4:5], v32, v34 src0_sel:BYTE_0 src1_sel:BYTE_0
	v_mov_b32_e32 v58, v36
	s_and_b64 s[4:5], vcc, s[4:5]
	v_cmp_gt_u64_e32 vcc, s[8:9], v[57:58]
	v_cndmask_b32_e64 v34, 0, 1, s[4:5]
	s_and_b64 s[4:5], vcc, s[20:21]
	buffer_store_dword v34, off, s[0:3], 0 offset:48
	v_cndmask_b32_e64 v34, 0, 1, s[4:5]
	v_mov_b32_e32 v56, v36
	buffer_store_dword v34, off, s[0:3], 0 offset:44
	v_cmp_gt_u64_e32 vcc, s[8:9], v[55:56]
	v_and_b32_sdwa v34, v31, s10 dst_sel:DWORD dst_unused:UNUSED_PAD src0_sel:WORD_1 src1_sel:DWORD
	v_cmp_ne_u16_sdwa s[4:5], v34, v31 src0_sel:DWORD src1_sel:BYTE_3
	s_and_b64 s[4:5], vcc, s[4:5]
	buffer_store_dword v38, off, s[0:3], 0 offset:52
	v_cndmask_b32_e64 v38, 0, 1, s[4:5]
	v_mov_b32_e32 v54, v36
	buffer_store_dword v38, off, s[0:3], 0 offset:40
	v_cmp_gt_u64_e32 vcc, s[8:9], v[53:54]
	v_lshrrev_b32_e32 v38, 8, v31
	v_cmp_ne_u16_sdwa s[4:5], v38, v34 src0_sel:BYTE_0 src1_sel:DWORD
	v_mov_b32_e32 v52, v36
	s_and_b64 s[4:5], vcc, s[4:5]
	v_cmp_gt_u64_e32 vcc, s[8:9], v[51:52]
	v_cndmask_b32_e64 v34, 0, 1, s[4:5]
	v_cmp_ne_u16_sdwa s[4:5], v31, v38 src0_sel:BYTE_0 src1_sel:BYTE_0
	v_mov_b32_e32 v50, v36
	s_and_b64 s[4:5], vcc, s[4:5]
	v_cmp_gt_u64_e32 vcc, s[8:9], v[49:50]
	buffer_store_dword v34, off, s[0:3], 0 offset:36
	v_cndmask_b32_e64 v34, 0, 1, s[4:5]
	s_and_b64 s[4:5], vcc, s[18:19]
	buffer_store_dword v34, off, s[0:3], 0 offset:32
	v_cndmask_b32_e64 v34, 0, 1, s[4:5]
	v_mov_b32_e32 v48, v36
	buffer_store_dword v34, off, s[0:3], 0 offset:28
	v_cmp_gt_u64_e32 vcc, s[8:9], v[47:48]
	v_and_b32_sdwa v34, v30, s10 dst_sel:DWORD dst_unused:UNUSED_PAD src0_sel:WORD_1 src1_sel:DWORD
	v_cmp_ne_u16_sdwa s[4:5], v34, v30 src0_sel:DWORD src1_sel:BYTE_3
	s_and_b64 s[4:5], vcc, s[4:5]
	v_cndmask_b32_e64 v38, 0, 1, s[4:5]
	v_mov_b32_e32 v46, v36
	buffer_store_dword v38, off, s[0:3], 0 offset:24
	v_cmp_gt_u64_e32 vcc, s[8:9], v[45:46]
	v_lshrrev_b32_e32 v38, 8, v30
	v_cmp_ne_u16_sdwa s[4:5], v38, v34 src0_sel:BYTE_0 src1_sel:DWORD
	v_mov_b32_e32 v44, v36
	s_and_b64 s[4:5], vcc, s[4:5]
	v_cmp_gt_u64_e32 vcc, s[8:9], v[43:44]
	v_cndmask_b32_e64 v34, 0, 1, s[4:5]
	v_cmp_ne_u16_sdwa s[4:5], v30, v38 src0_sel:BYTE_0 src1_sel:BYTE_0
	v_mov_b32_e32 v42, v36
	s_and_b64 s[4:5], vcc, s[4:5]
	v_cmp_gt_u64_e32 vcc, s[8:9], v[41:42]
	v_mov_b32_e32 v40, v36
	buffer_store_dword v34, off, s[0:3], 0 offset:20
	v_cndmask_b32_e64 v34, 0, 1, s[4:5]
	s_and_b64 s[4:5], vcc, s[16:17]
	v_cmp_gt_u64_e32 vcc, s[8:9], v[39:40]
	v_mov_b32_e32 v38, v36
	buffer_store_dword v34, off, s[0:3], 0 offset:16
	v_cndmask_b32_e64 v34, 0, 1, s[4:5]
	s_and_b64 s[4:5], vcc, s[14:15]
	v_cmp_gt_u64_e32 vcc, s[8:9], v[37:38]
	buffer_store_dword v34, off, s[0:3], 0 offset:12
	v_cndmask_b32_e64 v34, 0, 1, s[4:5]
	s_and_b64 s[4:5], vcc, s[12:13]
	v_mul_u32_u24_e32 v33, 15, v0
	buffer_store_dword v34, off, s[0:3], 0 offset:8
	v_cndmask_b32_e64 v34, 0, 1, s[4:5]
	buffer_store_dword v34, off, s[0:3], 0 offset:4
	s_waitcnt vmcnt(0) lgkmcnt(0)
	s_barrier
	s_and_saveexec_b64 s[4:5], s[6:7]
; %bb.51:
	v_add_u32_e32 v34, -1, v0
	ds_read_u8 v63, v34
; %bb.52:
	s_or_b64 exec, exec, s[4:5]
	v_mov_b32_e32 v34, v36
	v_cmp_gt_u64_e32 vcc, s[8:9], v[33:34]
	s_waitcnt lgkmcnt(0)
	v_cmp_ne_u16_sdwa s[4:5], v63, v72 src0_sel:BYTE_0 src1_sel:BYTE_0
	s_and_b64 s[14:15], vcc, s[4:5]
	s_mov_b64 s[10:11], -1
	s_branch .LBB398_57
.LBB398_53:
                                        ; implicit-def: $sgpr14_sgpr15
	s_cbranch_execz .LBB398_57
; %bb.54:
	v_mov_b32_e32 v36, 0
	s_movk_i32 s12, 0xff
	v_lshrrev_b32_e32 v33, 24, v32
	v_cmp_gt_u64_e32 vcc, s[8:9], v[35:36]
	v_and_b32_sdwa v34, v32, s12 dst_sel:DWORD dst_unused:UNUSED_PAD src0_sel:WORD_1 src1_sel:DWORD
	v_cmp_ne_u16_e64 s[4:5], v34, v33
	s_and_b64 s[4:5], vcc, s[4:5]
	ds_write_b8 v0, v33
	v_cndmask_b32_e64 v33, 0, 1, s[4:5]
	v_mov_b32_e32 v62, v36
	buffer_store_dword v33, off, s[0:3], 0 offset:56
	v_cmp_gt_u64_e32 vcc, s[8:9], v[61:62]
	v_lshrrev_b32_e32 v33, 8, v32
	v_cmp_ne_u16_sdwa s[4:5], v33, v34 src0_sel:BYTE_0 src1_sel:DWORD
	v_mov_b32_e32 v60, v36
	s_and_b64 s[4:5], vcc, s[4:5]
	v_cmp_gt_u64_e32 vcc, s[8:9], v[59:60]
	v_cndmask_b32_e64 v34, 0, 1, s[4:5]
	v_cmp_ne_u16_sdwa s[4:5], v32, v33 src0_sel:BYTE_0 src1_sel:BYTE_0
	v_mov_b32_e32 v58, v36
	s_and_b64 s[4:5], vcc, s[4:5]
	v_cmp_gt_u64_e32 vcc, s[8:9], v[57:58]
	v_cndmask_b32_e64 v33, 0, 1, s[4:5]
	v_cmp_ne_u16_sdwa s[4:5], v31, v32 src0_sel:BYTE_3 src1_sel:BYTE_0
	s_and_b64 s[4:5], vcc, s[4:5]
	buffer_store_dword v33, off, s[0:3], 0 offset:48
	v_cndmask_b32_e64 v33, 0, 1, s[4:5]
	v_mov_b32_e32 v56, v36
	buffer_store_dword v33, off, s[0:3], 0 offset:44
	v_cmp_gt_u64_e32 vcc, s[8:9], v[55:56]
	v_and_b32_sdwa v33, v31, s12 dst_sel:DWORD dst_unused:UNUSED_PAD src0_sel:WORD_1 src1_sel:DWORD
	v_cmp_ne_u16_sdwa s[4:5], v33, v31 src0_sel:DWORD src1_sel:BYTE_3
	s_and_b64 s[4:5], vcc, s[4:5]
	buffer_store_dword v34, off, s[0:3], 0 offset:52
	v_cndmask_b32_e64 v34, 0, 1, s[4:5]
	v_mov_b32_e32 v54, v36
	buffer_store_dword v34, off, s[0:3], 0 offset:40
	v_cmp_gt_u64_e32 vcc, s[8:9], v[53:54]
	v_lshrrev_b32_e32 v34, 8, v31
	v_cmp_ne_u16_sdwa s[4:5], v34, v33 src0_sel:BYTE_0 src1_sel:DWORD
	v_mov_b32_e32 v52, v36
	s_and_b64 s[4:5], vcc, s[4:5]
	v_cmp_gt_u64_e32 vcc, s[8:9], v[51:52]
	v_cndmask_b32_e64 v33, 0, 1, s[4:5]
	v_cmp_ne_u16_sdwa s[4:5], v31, v34 src0_sel:BYTE_0 src1_sel:BYTE_0
	v_mov_b32_e32 v50, v36
	s_and_b64 s[4:5], vcc, s[4:5]
	v_cmp_gt_u64_e32 vcc, s[8:9], v[49:50]
	buffer_store_dword v33, off, s[0:3], 0 offset:36
	v_cndmask_b32_e64 v33, 0, 1, s[4:5]
	v_cmp_ne_u16_sdwa s[4:5], v30, v31 src0_sel:BYTE_3 src1_sel:BYTE_0
	s_and_b64 s[4:5], vcc, s[4:5]
	buffer_store_dword v33, off, s[0:3], 0 offset:32
	v_cndmask_b32_e64 v33, 0, 1, s[4:5]
	v_mov_b32_e32 v48, v36
	buffer_store_dword v33, off, s[0:3], 0 offset:28
	v_cmp_gt_u64_e32 vcc, s[8:9], v[47:48]
	v_and_b32_sdwa v33, v30, s12 dst_sel:DWORD dst_unused:UNUSED_PAD src0_sel:WORD_1 src1_sel:DWORD
	v_cmp_ne_u16_sdwa s[4:5], v33, v30 src0_sel:DWORD src1_sel:BYTE_3
	s_and_b64 s[4:5], vcc, s[4:5]
	v_cndmask_b32_e64 v34, 0, 1, s[4:5]
	v_mov_b32_e32 v46, v36
	buffer_store_dword v34, off, s[0:3], 0 offset:24
	v_cmp_gt_u64_e32 vcc, s[8:9], v[45:46]
	v_lshrrev_b32_e32 v34, 8, v30
	v_cmp_ne_u16_sdwa s[4:5], v34, v33 src0_sel:BYTE_0 src1_sel:DWORD
	v_mov_b32_e32 v44, v36
	s_and_b64 s[4:5], vcc, s[4:5]
	v_cmp_gt_u64_e32 vcc, s[8:9], v[43:44]
	v_cndmask_b32_e64 v33, 0, 1, s[4:5]
	v_cmp_ne_u16_sdwa s[4:5], v30, v34 src0_sel:BYTE_0 src1_sel:BYTE_0
	v_mov_b32_e32 v42, v36
	s_and_b64 s[4:5], vcc, s[4:5]
	v_cmp_gt_u64_e32 vcc, s[8:9], v[41:42]
	buffer_store_dword v33, off, s[0:3], 0 offset:20
	v_cndmask_b32_e64 v33, 0, 1, s[4:5]
	v_cmp_ne_u16_sdwa s[4:5], v1, v30 src0_sel:BYTE_0 src1_sel:BYTE_0
	v_mov_b32_e32 v40, v36
	s_and_b64 s[4:5], vcc, s[4:5]
	v_cmp_gt_u64_e32 vcc, s[8:9], v[39:40]
	buffer_store_dword v33, off, s[0:3], 0 offset:16
	;; [unrolled: 6-line block ×3, first 2 shown]
	v_cndmask_b32_e64 v33, 0, 1, s[4:5]
	v_cmp_ne_u16_sdwa s[4:5], v72, v71 src0_sel:BYTE_0 src1_sel:BYTE_0
	s_and_b64 s[4:5], vcc, s[4:5]
	buffer_store_dword v33, off, s[0:3], 0 offset:8
	v_mov_b32_e32 v33, 1
	v_cndmask_b32_e64 v34, 0, 1, s[4:5]
	buffer_store_dword v34, off, s[0:3], 0 offset:4
	s_waitcnt vmcnt(0) lgkmcnt(0)
	s_barrier
	buffer_store_dword v33, off, s[0:3], 0
                                        ; implicit-def: $sgpr14_sgpr15
	s_and_saveexec_b64 s[4:5], s[6:7]
	s_cbranch_execz .LBB398_56
; %bb.55:
	v_add_u32_e32 v33, -1, v0
	ds_read_u8 v33, v33
	v_mul_u32_u24_e32 v35, 15, v0
	v_cmp_gt_u64_e32 vcc, s[8:9], v[35:36]
	s_or_b64 s[10:11], s[10:11], exec
	s_waitcnt lgkmcnt(0)
	v_cmp_ne_u16_sdwa s[6:7], v33, v72 src0_sel:BYTE_0 src1_sel:BYTE_0
	s_and_b64 s[14:15], vcc, s[6:7]
.LBB398_56:
	s_or_b64 exec, exec, s[4:5]
.LBB398_57:
	v_mov_b32_e32 v73, 1
	s_and_saveexec_b64 s[4:5], s[10:11]
	s_cbranch_execz .LBB398_59
; %bb.58:
	v_cndmask_b32_e64 v73, 0, 1, s[14:15]
	buffer_store_dword v73, off, s[0:3], 0
.LBB398_59:
	s_or_b64 exec, exec, s[4:5]
	buffer_load_dword v86, off, s[0:3], 0 offset:4
	buffer_load_dword v85, off, s[0:3], 0 offset:8
	;; [unrolled: 1-line block ×14, first 2 shown]
	s_cmp_eq_u64 s[46:47], 0
	s_cselect_b64 s[46:47], -1, 0
	s_cmp_lg_u32 s64, 0
	v_mbcnt_lo_u32_b32 v88, -1, 0
	s_waitcnt vmcnt(13)
	v_cmp_eq_u32_e64 s[30:31], 0, v86
	s_waitcnt vmcnt(12)
	v_add3_u32 v33, v86, v73, v85
	v_cmp_eq_u32_e64 s[28:29], 0, v85
	s_waitcnt vmcnt(11)
	v_cmp_eq_u32_e64 s[26:27], 0, v74
	s_waitcnt vmcnt(10)
	;; [unrolled: 2-line block ×12, first 2 shown]
	v_cmp_eq_u32_e32 vcc, 0, v87
	v_add3_u32 v89, v33, v74, v75
	s_cbranch_scc0 .LBB398_121
; %bb.60:
	v_cndmask_b32_e64 v34, 0, v26, s[30:31]
	v_cndmask_b32_e64 v33, 0, v27, s[30:31]
	v_add_co_u32_e64 v34, s[4:5], v34, v28
	v_addc_co_u32_e64 v33, s[4:5], v33, v29, s[4:5]
	v_cndmask_b32_e64 v34, 0, v34, s[28:29]
	v_cndmask_b32_e64 v33, 0, v33, s[28:29]
	v_add_co_u32_e64 v34, s[4:5], v34, v22
	v_addc_co_u32_e64 v33, s[4:5], v33, v23, s[4:5]
	;; [unrolled: 4-line block ×11, first 2 shown]
	v_cndmask_b32_e64 v34, 0, v34, s[8:9]
	v_add3_u32 v35, v89, v76, v77
	v_cndmask_b32_e64 v33, 0, v33, s[8:9]
	v_add_co_u32_e64 v34, s[4:5], v34, v2
	v_add3_u32 v35, v35, v78, v79
	v_addc_co_u32_e64 v33, s[4:5], v33, v3, s[4:5]
	v_cndmask_b32_e64 v34, 0, v34, s[6:7]
	v_add3_u32 v35, v35, v80, v81
	v_cndmask_b32_e64 v33, 0, v33, s[6:7]
	v_add_co_u32_e64 v34, s[4:5], v34, v4
	v_add3_u32 v35, v35, v82, v83
	v_addc_co_u32_e64 v33, s[4:5], v33, v5, s[4:5]
	v_cndmask_b32_e32 v34, 0, v34, vcc
	v_add3_u32 v37, v35, v84, v87
	v_cndmask_b32_e32 v33, 0, v33, vcc
	v_add_co_u32_e32 v35, vcc, v34, v67
	v_mbcnt_hi_u32_b32 v42, -1, v88
	v_addc_co_u32_e32 v36, vcc, v33, v68, vcc
	v_and_b32_e32 v33, 15, v42
	v_mov_b32_dpp v38, v37 row_shr:1 row_mask:0xf bank_mask:0xf
	v_mov_b32_dpp v34, v35 row_shr:1 row_mask:0xf bank_mask:0xf
	;; [unrolled: 1-line block ×3, first 2 shown]
	v_cmp_ne_u32_e32 vcc, 0, v33
	s_and_saveexec_b64 s[4:5], vcc
; %bb.61:
	v_cmp_eq_u32_e32 vcc, 0, v37
	v_cndmask_b32_e32 v34, 0, v34, vcc
	v_add_u32_e32 v38, v38, v37
	v_cndmask_b32_e32 v37, 0, v39, vcc
	v_add_co_u32_e32 v35, vcc, v34, v35
	v_addc_co_u32_e32 v36, vcc, v37, v36, vcc
	v_mov_b32_e32 v37, v38
; %bb.62:
	s_or_b64 exec, exec, s[4:5]
	s_nop 0
	v_mov_b32_dpp v38, v37 row_shr:2 row_mask:0xf bank_mask:0xf
	v_mov_b32_dpp v34, v35 row_shr:2 row_mask:0xf bank_mask:0xf
	v_mov_b32_dpp v39, v36 row_shr:2 row_mask:0xf bank_mask:0xf
	v_cmp_lt_u32_e32 vcc, 1, v33
	s_and_saveexec_b64 s[4:5], vcc
; %bb.63:
	v_cmp_eq_u32_e32 vcc, 0, v37
	v_cndmask_b32_e32 v34, 0, v34, vcc
	v_add_u32_e32 v38, v38, v37
	v_cndmask_b32_e32 v37, 0, v39, vcc
	v_add_co_u32_e32 v35, vcc, v34, v35
	v_addc_co_u32_e32 v36, vcc, v37, v36, vcc
	v_mov_b32_e32 v37, v38
; %bb.64:
	s_or_b64 exec, exec, s[4:5]
	s_nop 0
	v_mov_b32_dpp v38, v37 row_shr:4 row_mask:0xf bank_mask:0xf
	v_mov_b32_dpp v34, v35 row_shr:4 row_mask:0xf bank_mask:0xf
	v_mov_b32_dpp v39, v36 row_shr:4 row_mask:0xf bank_mask:0xf
	v_cmp_lt_u32_e32 vcc, 3, v33
	;; [unrolled: 16-line block ×3, first 2 shown]
	s_and_saveexec_b64 s[4:5], vcc
; %bb.67:
	v_cmp_eq_u32_e32 vcc, 0, v37
	v_cndmask_b32_e32 v34, 0, v34, vcc
	v_add_u32_e32 v33, v38, v37
	v_cndmask_b32_e32 v37, 0, v39, vcc
	v_add_co_u32_e32 v35, vcc, v34, v35
	v_addc_co_u32_e32 v36, vcc, v37, v36, vcc
	v_mov_b32_e32 v37, v33
; %bb.68:
	s_or_b64 exec, exec, s[4:5]
	v_and_b32_e32 v39, 16, v42
	v_mov_b32_dpp v34, v37 row_bcast:15 row_mask:0xf bank_mask:0xf
	v_mov_b32_dpp v33, v35 row_bcast:15 row_mask:0xf bank_mask:0xf
	;; [unrolled: 1-line block ×3, first 2 shown]
	v_cmp_ne_u32_e32 vcc, 0, v39
	s_and_saveexec_b64 s[4:5], vcc
; %bb.69:
	v_cmp_eq_u32_e32 vcc, 0, v37
	v_cndmask_b32_e32 v33, 0, v33, vcc
	v_add_u32_e32 v34, v34, v37
	v_cndmask_b32_e32 v37, 0, v38, vcc
	v_add_co_u32_e32 v35, vcc, v33, v35
	v_addc_co_u32_e32 v36, vcc, v37, v36, vcc
	v_mov_b32_e32 v37, v34
; %bb.70:
	s_or_b64 exec, exec, s[4:5]
	s_nop 0
	v_mov_b32_dpp v34, v37 row_bcast:31 row_mask:0xf bank_mask:0xf
	v_mov_b32_dpp v33, v35 row_bcast:31 row_mask:0xf bank_mask:0xf
	;; [unrolled: 1-line block ×3, first 2 shown]
	v_cmp_lt_u32_e32 vcc, 31, v42
	s_and_saveexec_b64 s[4:5], vcc
; %bb.71:
	v_cmp_eq_u32_e32 vcc, 0, v37
	v_cndmask_b32_e32 v33, 0, v33, vcc
	v_add_u32_e32 v34, v34, v37
	v_cndmask_b32_e32 v37, 0, v38, vcc
	v_add_co_u32_e32 v35, vcc, v33, v35
	v_addc_co_u32_e32 v36, vcc, v37, v36, vcc
	v_mov_b32_e32 v37, v34
; %bb.72:
	s_or_b64 exec, exec, s[4:5]
	v_lshrrev_b32_e32 v33, 6, v0
	v_or_b32_e32 v34, 63, v0
	v_cmp_eq_u32_e32 vcc, v0, v34
	v_lshlrev_b32_e32 v38, 4, v33
	s_and_saveexec_b64 s[4:5], vcc
	s_cbranch_execz .LBB398_74
; %bb.73:
	ds_write_b32 v38, v37 offset:544
	ds_write_b64 v38, v[35:36] offset:552
.LBB398_74:
	s_or_b64 exec, exec, s[4:5]
	v_cmp_gt_u32_e32 vcc, 4, v0
	s_waitcnt lgkmcnt(0)
	s_barrier
	s_and_saveexec_b64 s[4:5], vcc
	s_cbranch_execz .LBB398_80
; %bb.75:
	v_lshlrev_b32_e32 v39, 4, v0
	ds_read_b32 v40, v39 offset:544
	ds_read_b64 v[33:34], v39 offset:552
	v_and_b32_e32 v41, 3, v42
	v_cmp_ne_u32_e32 vcc, 0, v41
	s_waitcnt lgkmcnt(1)
	v_mov_b32_dpp v44, v40 row_shr:1 row_mask:0xf bank_mask:0xf
	s_waitcnt lgkmcnt(0)
	v_mov_b32_dpp v43, v33 row_shr:1 row_mask:0xf bank_mask:0xf
	v_mov_b32_dpp v45, v34 row_shr:1 row_mask:0xf bank_mask:0xf
	s_and_saveexec_b64 s[34:35], vcc
; %bb.76:
	v_cmp_eq_u32_e32 vcc, 0, v40
	v_cndmask_b32_e32 v43, 0, v43, vcc
	v_add_u32_e32 v44, v44, v40
	v_cndmask_b32_e32 v40, 0, v45, vcc
	v_add_co_u32_e32 v33, vcc, v43, v33
	v_addc_co_u32_e32 v34, vcc, v40, v34, vcc
	v_mov_b32_e32 v40, v44
; %bb.77:
	s_or_b64 exec, exec, s[34:35]
	s_nop 0
	v_mov_b32_dpp v44, v40 row_shr:2 row_mask:0xf bank_mask:0xf
	v_mov_b32_dpp v43, v33 row_shr:2 row_mask:0xf bank_mask:0xf
	;; [unrolled: 1-line block ×3, first 2 shown]
	v_cmp_lt_u32_e32 vcc, 1, v41
	s_and_saveexec_b64 s[34:35], vcc
; %bb.78:
	v_cmp_eq_u32_e32 vcc, 0, v40
	v_cndmask_b32_e32 v43, 0, v43, vcc
	v_add_u32_e32 v41, v44, v40
	v_cndmask_b32_e32 v40, 0, v45, vcc
	v_add_co_u32_e32 v33, vcc, v43, v33
	v_addc_co_u32_e32 v34, vcc, v40, v34, vcc
	v_mov_b32_e32 v40, v41
; %bb.79:
	s_or_b64 exec, exec, s[34:35]
	ds_write_b32 v39, v40 offset:544
	ds_write_b64 v39, v[33:34] offset:552
.LBB398_80:
	s_or_b64 exec, exec, s[4:5]
	v_mov_b32_e32 v33, 0
	v_cmp_gt_u32_e32 vcc, 64, v0
	v_cmp_lt_u32_e64 s[4:5], 63, v0
	v_mov_b32_e32 v34, 0
	v_mov_b32_e32 v45, 0
	s_waitcnt lgkmcnt(0)
	s_barrier
	s_and_saveexec_b64 s[34:35], s[4:5]
	s_cbranch_execz .LBB398_82
; %bb.81:
	ds_read_b32 v45, v38 offset:528
	ds_read_b64 v[33:34], v38 offset:536
	v_cmp_eq_u32_e64 s[4:5], 0, v37
	s_waitcnt lgkmcnt(1)
	v_add_u32_e32 v38, v45, v37
	s_waitcnt lgkmcnt(0)
	v_cndmask_b32_e64 v39, 0, v33, s[4:5]
	v_cndmask_b32_e64 v37, 0, v34, s[4:5]
	v_add_co_u32_e64 v35, s[4:5], v39, v35
	v_addc_co_u32_e64 v36, s[4:5], v37, v36, s[4:5]
	v_mov_b32_e32 v37, v38
.LBB398_82:
	s_or_b64 exec, exec, s[34:35]
	v_subrev_co_u32_e64 v38, s[34:35], 1, v42
	v_and_b32_e32 v39, 64, v42
	v_cmp_lt_i32_e64 s[4:5], v38, v39
	v_cndmask_b32_e64 v38, v38, v42, s[4:5]
	v_lshlrev_b32_e32 v38, 2, v38
	ds_bpermute_b32 v46, v38, v37
	ds_bpermute_b32 v47, v38, v35
	;; [unrolled: 1-line block ×3, first 2 shown]
	s_and_saveexec_b64 s[52:53], vcc
	s_cbranch_execz .LBB398_126
; %bb.83:
	v_mov_b32_e32 v39, 0
	ds_read_b32 v49, v39 offset:592
	ds_read_b64 v[35:36], v39 offset:600
	s_and_saveexec_b64 s[4:5], s[34:35]
	s_cbranch_execz .LBB398_85
; %bb.84:
	s_add_i32 s62, s64, 64
	s_mov_b32 s63, 0
	s_lshl_b64 s[66:67], s[62:63], 4
	s_add_u32 s66, s40, s66
	s_addc_u32 s67, s41, s67
	v_mov_b32_e32 v37, 1
	v_mov_b32_e32 v38, s62
	s_waitcnt lgkmcnt(1)
	global_store_dword v39, v49, s[66:67]
	s_waitcnt lgkmcnt(0)
	global_store_dwordx2 v39, v[35:36], s[66:67] offset:8
	s_waitcnt vmcnt(0)
	buffer_wbinvl1_vol
	global_store_byte v38, v37, s[44:45]
.LBB398_85:
	s_or_b64 exec, exec, s[4:5]
	v_xad_u32 v37, v42, -1, s64
	v_add_u32_e32 v38, 64, v37
	global_load_ubyte v50, v38, s[44:45] glc
	s_waitcnt vmcnt(0)
	v_cmp_eq_u16_e32 vcc, 0, v50
	s_and_saveexec_b64 s[4:5], vcc
	s_cbranch_execz .LBB398_89
; %bb.86:
	v_mov_b32_e32 v41, s45
	v_add_co_u32_e32 v40, vcc, s44, v38
	v_addc_co_u32_e32 v41, vcc, 0, v41, vcc
	s_mov_b64 s[62:63], 0
.LBB398_87:                             ; =>This Inner Loop Header: Depth=1
	global_load_ubyte v50, v[40:41], off glc
	s_waitcnt vmcnt(0)
	v_cmp_ne_u16_e32 vcc, 0, v50
	s_or_b64 s[62:63], vcc, s[62:63]
	s_andn2_b64 exec, exec, s[62:63]
	s_cbranch_execnz .LBB398_87
; %bb.88:
	s_or_b64 exec, exec, s[62:63]
.LBB398_89:
	s_or_b64 exec, exec, s[4:5]
	v_mov_b32_e32 v40, s43
	v_mov_b32_e32 v41, s41
	v_cmp_eq_u16_e32 vcc, 1, v50
	v_cndmask_b32_e32 v40, v40, v41, vcc
	v_mov_b32_e32 v41, s42
	v_mov_b32_e32 v43, s40
	v_lshlrev_b64 v[38:39], 4, v[38:39]
	v_cndmask_b32_e32 v41, v41, v43, vcc
	v_add_co_u32_e32 v38, vcc, v41, v38
	v_addc_co_u32_e32 v39, vcc, v40, v39, vcc
	s_waitcnt lgkmcnt(0)
	buffer_wbinvl1_vol
	global_load_dword v65, v[38:39], off
	global_load_dwordx2 v[43:44], v[38:39], off offset:8
	v_and_b32_e32 v51, 63, v42
	v_lshlrev_b64 v[39:40], v42, -1
	v_cmp_ne_u32_e64 s[4:5], 63, v51
	v_cmp_eq_u16_e32 vcc, 2, v50
	v_addc_co_u32_e64 v38, s[4:5], 0, v42, s[4:5]
	v_and_b32_e32 v41, vcc_hi, v40
	v_lshlrev_b32_e32 v52, 2, v38
	v_or_b32_e32 v38, 0x80000000, v41
	v_and_b32_e32 v55, vcc_lo, v39
	v_ffbl_b32_e32 v38, v38
	v_add_u32_e32 v38, 32, v38
	v_ffbl_b32_e32 v55, v55
	v_min_u32_e32 v38, v55, v38
	v_cmp_lt_u32_e32 vcc, v51, v38
	s_waitcnt vmcnt(1)
	ds_bpermute_b32 v53, v52, v65
	s_waitcnt vmcnt(0)
	ds_bpermute_b32 v41, v52, v43
	ds_bpermute_b32 v54, v52, v44
	s_and_saveexec_b64 s[4:5], vcc
	s_cbranch_execz .LBB398_91
; %bb.90:
	v_cmp_eq_u32_e32 vcc, 0, v65
	s_waitcnt lgkmcnt(1)
	v_cndmask_b32_e32 v41, 0, v41, vcc
	v_add_u32_e32 v53, v53, v65
	s_waitcnt lgkmcnt(0)
	v_cndmask_b32_e32 v54, 0, v54, vcc
	v_add_co_u32_e32 v43, vcc, v41, v43
	v_addc_co_u32_e32 v44, vcc, v54, v44, vcc
	v_mov_b32_e32 v65, v53
.LBB398_91:
	s_or_b64 exec, exec, s[4:5]
	v_cmp_gt_u32_e32 vcc, 62, v51
	s_waitcnt lgkmcnt(1)
	v_cndmask_b32_e64 v41, 0, 2, vcc
	v_add_lshl_u32 v53, v41, v42, 2
	ds_bpermute_b32 v55, v53, v65
	ds_bpermute_b32 v41, v53, v43
	ds_bpermute_b32 v56, v53, v44
	s_waitcnt lgkmcnt(3)
	v_add_u32_e32 v54, 2, v51
	v_cmp_le_u32_e32 vcc, v54, v38
	s_and_saveexec_b64 s[4:5], vcc
	s_cbranch_execz .LBB398_93
; %bb.92:
	v_cmp_eq_u32_e32 vcc, 0, v65
	s_waitcnt lgkmcnt(1)
	v_cndmask_b32_e32 v41, 0, v41, vcc
	v_add_u32_e32 v55, v55, v65
	s_waitcnt lgkmcnt(0)
	v_cndmask_b32_e32 v56, 0, v56, vcc
	v_add_co_u32_e32 v43, vcc, v41, v43
	v_addc_co_u32_e32 v44, vcc, v56, v44, vcc
	v_mov_b32_e32 v65, v55
.LBB398_93:
	s_or_b64 exec, exec, s[4:5]
	v_cmp_gt_u32_e32 vcc, 60, v51
	s_waitcnt lgkmcnt(1)
	v_cndmask_b32_e64 v41, 0, 4, vcc
	v_add_lshl_u32 v55, v41, v42, 2
	ds_bpermute_b32 v57, v55, v65
	ds_bpermute_b32 v41, v55, v43
	ds_bpermute_b32 v58, v55, v44
	s_waitcnt lgkmcnt(3)
	v_add_u32_e32 v56, 4, v51
	v_cmp_le_u32_e32 vcc, v56, v38
	s_and_saveexec_b64 s[4:5], vcc
	s_cbranch_execz .LBB398_95
; %bb.94:
	v_cmp_eq_u32_e32 vcc, 0, v65
	s_waitcnt lgkmcnt(1)
	v_cndmask_b32_e32 v41, 0, v41, vcc
	v_add_u32_e32 v57, v57, v65
	s_waitcnt lgkmcnt(0)
	v_cndmask_b32_e32 v58, 0, v58, vcc
	v_add_co_u32_e32 v43, vcc, v41, v43
	v_addc_co_u32_e32 v44, vcc, v58, v44, vcc
	v_mov_b32_e32 v65, v57
.LBB398_95:
	s_or_b64 exec, exec, s[4:5]
	v_cmp_gt_u32_e32 vcc, 56, v51
	s_waitcnt lgkmcnt(1)
	v_cndmask_b32_e64 v41, 0, 8, vcc
	v_add_lshl_u32 v57, v41, v42, 2
	ds_bpermute_b32 v59, v57, v65
	ds_bpermute_b32 v41, v57, v43
	ds_bpermute_b32 v60, v57, v44
	s_waitcnt lgkmcnt(3)
	v_add_u32_e32 v58, 8, v51
	v_cmp_le_u32_e32 vcc, v58, v38
	s_and_saveexec_b64 s[4:5], vcc
	s_cbranch_execz .LBB398_97
; %bb.96:
	v_cmp_eq_u32_e32 vcc, 0, v65
	s_waitcnt lgkmcnt(1)
	v_cndmask_b32_e32 v41, 0, v41, vcc
	v_add_u32_e32 v59, v59, v65
	s_waitcnt lgkmcnt(0)
	v_cndmask_b32_e32 v60, 0, v60, vcc
	v_add_co_u32_e32 v43, vcc, v41, v43
	v_addc_co_u32_e32 v44, vcc, v60, v44, vcc
	v_mov_b32_e32 v65, v59
.LBB398_97:
	s_or_b64 exec, exec, s[4:5]
	v_cmp_gt_u32_e32 vcc, 48, v51
	s_waitcnt lgkmcnt(1)
	v_cndmask_b32_e64 v41, 0, 16, vcc
	v_add_lshl_u32 v59, v41, v42, 2
	ds_bpermute_b32 v61, v59, v65
	ds_bpermute_b32 v41, v59, v43
	ds_bpermute_b32 v62, v59, v44
	s_waitcnt lgkmcnt(3)
	v_add_u32_e32 v60, 16, v51
	v_cmp_le_u32_e32 vcc, v60, v38
	s_and_saveexec_b64 s[4:5], vcc
	s_cbranch_execz .LBB398_99
; %bb.98:
	v_cmp_eq_u32_e32 vcc, 0, v65
	s_waitcnt lgkmcnt(1)
	v_cndmask_b32_e32 v41, 0, v41, vcc
	v_add_u32_e32 v61, v61, v65
	s_waitcnt lgkmcnt(0)
	v_cndmask_b32_e32 v62, 0, v62, vcc
	v_add_co_u32_e32 v43, vcc, v41, v43
	v_addc_co_u32_e32 v44, vcc, v62, v44, vcc
	v_mov_b32_e32 v65, v61
.LBB398_99:
	s_or_b64 exec, exec, s[4:5]
	s_waitcnt lgkmcnt(1)
	v_mov_b32_e32 v41, 0x80
	s_waitcnt lgkmcnt(0)
	v_lshl_or_b32 v62, v42, 2, v41
	ds_bpermute_b32 v42, v62, v65
	ds_bpermute_b32 v41, v62, v43
	;; [unrolled: 1-line block ×3, first 2 shown]
	v_add_u32_e32 v63, 32, v51
	v_cmp_le_u32_e32 vcc, v63, v38
	s_and_saveexec_b64 s[4:5], vcc
	s_cbranch_execz .LBB398_101
; %bb.100:
	v_cmp_eq_u32_e32 vcc, 0, v65
	s_waitcnt lgkmcnt(1)
	v_cndmask_b32_e32 v41, 0, v41, vcc
	v_add_u32_e32 v38, v42, v65
	s_waitcnt lgkmcnt(0)
	v_cndmask_b32_e32 v42, 0, v61, vcc
	v_add_co_u32_e32 v43, vcc, v41, v43
	v_addc_co_u32_e32 v44, vcc, v42, v44, vcc
	v_mov_b32_e32 v65, v38
.LBB398_101:
	s_or_b64 exec, exec, s[4:5]
	v_mov_b32_e32 v38, 0
	v_mov_b32_e32 v64, 2
	s_branch .LBB398_104
.LBB398_102:                            ;   in Loop: Header=BB398_104 Depth=1
	s_or_b64 exec, exec, s[4:5]
	v_cmp_eq_u32_e32 vcc, 0, v61
	v_cndmask_b32_e32 v43, 0, v43, vcc
	v_cndmask_b32_e32 v44, 0, v44, vcc
	v_add_co_u32_e32 v43, vcc, v43, v41
	v_subrev_u32_e32 v37, 64, v37
	v_add_u32_e32 v65, v66, v61
	v_addc_co_u32_e32 v44, vcc, v44, v42, vcc
	s_mov_b64 s[4:5], 0
.LBB398_103:                            ;   in Loop: Header=BB398_104 Depth=1
	s_and_b64 vcc, exec, s[4:5]
	s_cbranch_vccnz .LBB398_122
.LBB398_104:                            ; =>This Loop Header: Depth=1
                                        ;     Child Loop BB398_107 Depth 2
	s_waitcnt lgkmcnt(1)
	v_mov_b32_e32 v41, v43
	v_cmp_ne_u16_sdwa s[4:5], v50, v64 src0_sel:BYTE_0 src1_sel:DWORD
	v_mov_b32_e32 v42, v44
	s_waitcnt lgkmcnt(0)
	v_mov_b32_e32 v61, v65
	s_cmp_lg_u64 s[4:5], exec
	s_mov_b64 s[4:5], -1
                                        ; implicit-def: $vgpr43_vgpr44
                                        ; implicit-def: $vgpr65
                                        ; implicit-def: $vgpr50
	s_cbranch_scc1 .LBB398_103
; %bb.105:                              ;   in Loop: Header=BB398_104 Depth=1
	global_load_ubyte v50, v37, s[44:45] glc
	s_waitcnt vmcnt(0)
	v_cmp_eq_u16_e32 vcc, 0, v50
	s_and_saveexec_b64 s[4:5], vcc
	s_cbranch_execz .LBB398_109
; %bb.106:                              ;   in Loop: Header=BB398_104 Depth=1
	v_mov_b32_e32 v44, s45
	v_add_co_u32_e32 v43, vcc, s44, v37
	v_addc_co_u32_e32 v44, vcc, 0, v44, vcc
	s_mov_b64 s[62:63], 0
.LBB398_107:                            ;   Parent Loop BB398_104 Depth=1
                                        ; =>  This Inner Loop Header: Depth=2
	global_load_ubyte v50, v[43:44], off glc
	s_waitcnt vmcnt(0)
	v_cmp_ne_u16_e32 vcc, 0, v50
	s_or_b64 s[62:63], vcc, s[62:63]
	s_andn2_b64 exec, exec, s[62:63]
	s_cbranch_execnz .LBB398_107
; %bb.108:                              ;   in Loop: Header=BB398_104 Depth=1
	s_or_b64 exec, exec, s[62:63]
.LBB398_109:                            ;   in Loop: Header=BB398_104 Depth=1
	s_or_b64 exec, exec, s[4:5]
	v_mov_b32_e32 v43, s43
	v_mov_b32_e32 v44, s41
	v_cmp_eq_u16_e32 vcc, 1, v50
	v_cndmask_b32_e32 v65, v43, v44, vcc
	v_mov_b32_e32 v43, s42
	v_mov_b32_e32 v44, s40
	v_cndmask_b32_e32 v66, v43, v44, vcc
	v_lshlrev_b64 v[43:44], 4, v[37:38]
	buffer_wbinvl1_vol
	v_add_co_u32_e32 v43, vcc, v66, v43
	v_addc_co_u32_e32 v44, vcc, v65, v44, vcc
	global_load_dword v66, v[43:44], off
	s_nop 0
	global_load_dwordx2 v[43:44], v[43:44], off offset:8
	v_cmp_eq_u16_e32 vcc, 2, v50
	v_and_b32_e32 v65, vcc_hi, v40
	v_or_b32_e32 v65, 0x80000000, v65
	v_and_b32_e32 v91, vcc_lo, v39
	v_ffbl_b32_e32 v65, v65
	v_add_u32_e32 v65, 32, v65
	v_ffbl_b32_e32 v91, v91
	v_min_u32_e32 v65, v91, v65
	v_cmp_lt_u32_e32 vcc, v51, v65
	s_waitcnt vmcnt(1)
	ds_bpermute_b32 v70, v52, v66
	s_waitcnt vmcnt(0)
	ds_bpermute_b32 v69, v52, v43
	ds_bpermute_b32 v90, v52, v44
	s_and_saveexec_b64 s[4:5], vcc
	s_cbranch_execz .LBB398_111
; %bb.110:                              ;   in Loop: Header=BB398_104 Depth=1
	v_cmp_eq_u32_e32 vcc, 0, v66
	s_waitcnt lgkmcnt(1)
	v_cndmask_b32_e32 v69, 0, v69, vcc
	v_add_u32_e32 v70, v70, v66
	s_waitcnt lgkmcnt(0)
	v_cndmask_b32_e32 v66, 0, v90, vcc
	v_add_co_u32_e32 v43, vcc, v69, v43
	v_addc_co_u32_e32 v44, vcc, v66, v44, vcc
	v_mov_b32_e32 v66, v70
.LBB398_111:                            ;   in Loop: Header=BB398_104 Depth=1
	s_or_b64 exec, exec, s[4:5]
	s_waitcnt lgkmcnt(2)
	ds_bpermute_b32 v70, v53, v66
	s_waitcnt lgkmcnt(2)
	ds_bpermute_b32 v69, v53, v43
	s_waitcnt lgkmcnt(2)
	ds_bpermute_b32 v90, v53, v44
	v_cmp_le_u32_e32 vcc, v54, v65
	s_and_saveexec_b64 s[4:5], vcc
	s_cbranch_execz .LBB398_113
; %bb.112:                              ;   in Loop: Header=BB398_104 Depth=1
	v_cmp_eq_u32_e32 vcc, 0, v66
	s_waitcnt lgkmcnt(1)
	v_cndmask_b32_e32 v69, 0, v69, vcc
	v_add_u32_e32 v70, v70, v66
	s_waitcnt lgkmcnt(0)
	v_cndmask_b32_e32 v66, 0, v90, vcc
	v_add_co_u32_e32 v43, vcc, v69, v43
	v_addc_co_u32_e32 v44, vcc, v66, v44, vcc
	v_mov_b32_e32 v66, v70
.LBB398_113:                            ;   in Loop: Header=BB398_104 Depth=1
	s_or_b64 exec, exec, s[4:5]
	s_waitcnt lgkmcnt(2)
	ds_bpermute_b32 v70, v55, v66
	s_waitcnt lgkmcnt(2)
	ds_bpermute_b32 v69, v55, v43
	s_waitcnt lgkmcnt(2)
	ds_bpermute_b32 v90, v55, v44
	v_cmp_le_u32_e32 vcc, v56, v65
	;; [unrolled: 21-line block ×5, first 2 shown]
	s_and_saveexec_b64 s[4:5], vcc
	s_cbranch_execz .LBB398_102
; %bb.120:                              ;   in Loop: Header=BB398_104 Depth=1
	v_cmp_eq_u32_e32 vcc, 0, v66
	s_waitcnt lgkmcnt(1)
	v_cndmask_b32_e32 v69, 0, v69, vcc
	v_add_u32_e32 v65, v70, v66
	s_waitcnt lgkmcnt(0)
	v_cndmask_b32_e32 v66, 0, v90, vcc
	v_add_co_u32_e32 v43, vcc, v69, v43
	v_addc_co_u32_e32 v44, vcc, v66, v44, vcc
	v_mov_b32_e32 v66, v65
	s_branch .LBB398_102
.LBB398_121:
                                        ; implicit-def: $vgpr33
                                        ; implicit-def: $vgpr35_vgpr36
                                        ; implicit-def: $vgpr37
                                        ; implicit-def: $vgpr63_vgpr64
                                        ; implicit-def: $vgpr39_vgpr40
                                        ; implicit-def: $vgpr41_vgpr42
                                        ; implicit-def: $vgpr43_vgpr44
                                        ; implicit-def: $vgpr45_vgpr46
                                        ; implicit-def: $vgpr47_vgpr48
                                        ; implicit-def: $vgpr49_vgpr50
                                        ; implicit-def: $vgpr51_vgpr52
                                        ; implicit-def: $vgpr53_vgpr54
                                        ; implicit-def: $vgpr55_vgpr56
                                        ; implicit-def: $vgpr57_vgpr58
                                        ; implicit-def: $vgpr59_vgpr60
                                        ; implicit-def: $vgpr61_vgpr62
                                        ; implicit-def: $vgpr65_vgpr66
                                        ; implicit-def: $vgpr69_vgpr70
                                        ; implicit-def: $vgpr34
	s_cbranch_execnz .LBB398_127
	s_branch .LBB398_154
.LBB398_122:
	s_and_saveexec_b64 s[4:5], s[34:35]
	s_cbranch_execz .LBB398_124
; %bb.123:
	s_mov_b32 s41, 0
	v_cmp_eq_u32_e32 vcc, 0, v49
	s_add_i32 s40, s64, 64
	v_cndmask_b32_e32 v37, 0, v41, vcc
	s_lshl_b64 s[62:63], s[40:41], 4
	v_cndmask_b32_e32 v38, 0, v42, vcc
	v_add_co_u32_e32 v37, vcc, v37, v35
	s_add_u32 s62, s42, s62
	v_add_u32_e32 v39, v61, v49
	v_addc_co_u32_e32 v38, vcc, v38, v36, vcc
	s_addc_u32 s63, s43, s63
	v_mov_b32_e32 v40, 0
	global_store_dword v40, v39, s[62:63]
	global_store_dwordx2 v40, v[37:38], s[62:63] offset:8
	v_mov_b32_e32 v37, 2
	v_mov_b32_e32 v38, s40
	s_waitcnt vmcnt(0) lgkmcnt(0)
	buffer_wbinvl1_vol
	global_store_byte v38, v37, s[44:45]
	ds_write_b32 v40, v49 offset:512
	ds_write_b64 v40, v[35:36] offset:520
	ds_write_b32 v40, v61 offset:528
	ds_write_b64 v40, v[41:42] offset:536
.LBB398_124:
	s_or_b64 exec, exec, s[4:5]
	s_and_b64 exec, exec, s[38:39]
	s_cbranch_execz .LBB398_126
; %bb.125:
	v_mov_b32_e32 v35, 0
	ds_write_b32 v35, v61 offset:592
	ds_write_b64 v35, v[41:42] offset:600
.LBB398_126:
	s_or_b64 exec, exec, s[52:53]
	v_mov_b32_e32 v38, 0
	s_waitcnt vmcnt(0) lgkmcnt(0)
	s_barrier
	ds_read_b32 v37, v38 offset:592
	ds_read_b64 v[35:36], v38 offset:600
	v_cndmask_b32_e64 v39, v46, v45, s[34:35]
	v_cmp_eq_u32_e32 vcc, 0, v39
	v_cndmask_b32_e64 v33, v47, v33, s[34:35]
	v_cndmask_b32_e64 v34, v48, v34, s[34:35]
	s_waitcnt lgkmcnt(0)
	v_cndmask_b32_e32 v41, 0, v35, vcc
	v_cndmask_b32_e32 v40, 0, v36, vcc
	v_add_co_u32_e32 v33, vcc, v41, v33
	v_addc_co_u32_e32 v40, vcc, v40, v34, vcc
	v_cndmask_b32_e64 v63, v33, v35, s[38:39]
	v_cmp_eq_u32_e32 vcc, 0, v73
	v_cndmask_b32_e64 v64, v40, v36, s[38:39]
	v_cndmask_b32_e32 v35, 0, v63, vcc
	v_cndmask_b32_e64 v34, v39, 0, s[38:39]
	v_cndmask_b32_e32 v33, 0, v64, vcc
	v_add_co_u32_e32 v39, vcc, v35, v26
	v_addc_co_u32_e32 v40, vcc, v33, v27, vcc
	v_cndmask_b32_e64 v35, 0, v39, s[30:31]
	v_cndmask_b32_e64 v33, 0, v40, s[30:31]
	v_add_co_u32_e32 v41, vcc, v35, v28
	v_addc_co_u32_e32 v42, vcc, v33, v29, vcc
	v_cndmask_b32_e64 v35, 0, v41, s[28:29]
	v_cndmask_b32_e64 v33, 0, v42, s[28:29]
	;; [unrolled: 4-line block ×11, first 2 shown]
	v_add_co_u32_e32 v61, vcc, v35, v8
	v_add_u32_e32 v34, v37, v34
	v_addc_co_u32_e32 v62, vcc, v33, v9, vcc
	s_barrier
	ds_read_b32 v33, v38 offset:512
	ds_read_b64 v[35:36], v38 offset:520
	ds_read_b32 v37, v38 offset:528
	ds_read_b64 v[90:91], v38 offset:536
	v_cndmask_b32_e64 v65, 0, v61, s[8:9]
	v_cndmask_b32_e64 v66, 0, v62, s[8:9]
	v_add_co_u32_e32 v65, vcc, v65, v2
	v_addc_co_u32_e32 v66, vcc, v66, v3, vcc
	s_waitcnt lgkmcnt(3)
	v_cmp_eq_u32_e32 vcc, 0, v33
	s_waitcnt lgkmcnt(0)
	v_cndmask_b32_e32 v90, 0, v90, vcc
	v_cndmask_b32_e32 v38, 0, v91, vcc
	v_add_co_u32_e32 v35, vcc, v90, v35
	v_cndmask_b32_e64 v70, 0, v66, s[6:7]
	v_cndmask_b32_e64 v69, 0, v65, s[6:7]
	v_addc_co_u32_e32 v36, vcc, v38, v36, vcc
	s_branch .LBB398_154
.LBB398_127:
	s_cmp_eq_u64 s[36:37], 0
	s_cselect_b64 s[4:5], -1, 0
	s_or_b64 s[4:5], s[46:47], s[4:5]
	v_mov_b32_e32 v38, v27
	s_and_b64 vcc, exec, s[4:5]
	v_mov_b32_e32 v37, v26
	s_cbranch_vccnz .LBB398_129
; %bb.128:
	v_mov_b32_e32 v33, 0
	global_load_dwordx2 v[37:38], v33, s[36:37]
.LBB398_129:
	v_cmp_eq_u32_e64 s[28:29], 0, v86
	v_cndmask_b32_e64 v34, 0, v26, s[28:29]
	v_cndmask_b32_e64 v33, 0, v27, s[28:29]
	v_add_co_u32_e32 v34, vcc, v34, v28
	v_cmp_eq_u32_e64 s[26:27], 0, v85
	v_addc_co_u32_e32 v33, vcc, v33, v29, vcc
	v_cndmask_b32_e64 v34, 0, v34, s[26:27]
	v_cndmask_b32_e64 v33, 0, v33, s[26:27]
	v_add_co_u32_e32 v34, vcc, v34, v22
	v_cmp_eq_u32_e64 s[24:25], 0, v74
	v_addc_co_u32_e32 v33, vcc, v33, v23, vcc
	;; [unrolled: 5-line block ×11, first 2 shown]
	v_cndmask_b32_e64 v34, 0, v34, s[8:9]
	v_cndmask_b32_e64 v33, 0, v33, s[8:9]
	v_add_co_u32_e32 v34, vcc, v34, v2
	v_addc_co_u32_e32 v33, vcc, v33, v3, vcc
	v_cmp_eq_u32_e32 vcc, 0, v84
	v_add3_u32 v35, v89, v76, v77
	v_cndmask_b32_e32 v34, 0, v34, vcc
	v_add3_u32 v35, v35, v78, v79
	v_cndmask_b32_e32 v33, 0, v33, vcc
	v_add_co_u32_e64 v34, s[4:5], v34, v4
	v_add3_u32 v35, v35, v80, v81
	v_addc_co_u32_e64 v33, s[4:5], v33, v5, s[4:5]
	v_add3_u32 v35, v35, v82, v83
	v_cmp_eq_u32_e64 s[4:5], 0, v87
	v_add3_u32 v40, v35, v84, v87
	v_cndmask_b32_e64 v35, 0, v33, s[4:5]
	v_cndmask_b32_e64 v33, 0, v34, s[4:5]
	v_add_co_u32_e64 v33, s[4:5], v33, v67
	v_mbcnt_hi_u32_b32 v39, -1, v88
	v_addc_co_u32_e64 v34, s[4:5], v35, v68, s[4:5]
	v_and_b32_e32 v35, 15, v39
	v_mov_b32_dpp v41, v40 row_shr:1 row_mask:0xf bank_mask:0xf
	v_mov_b32_dpp v36, v33 row_shr:1 row_mask:0xf bank_mask:0xf
	v_mov_b32_dpp v42, v34 row_shr:1 row_mask:0xf bank_mask:0xf
	v_cmp_ne_u32_e64 s[4:5], 0, v35
	s_and_saveexec_b64 s[30:31], s[4:5]
; %bb.130:
	v_cmp_eq_u32_e64 s[4:5], 0, v40
	v_cndmask_b32_e64 v36, 0, v36, s[4:5]
	v_add_u32_e32 v41, v41, v40
	v_cndmask_b32_e64 v40, 0, v42, s[4:5]
	v_add_co_u32_e64 v33, s[4:5], v36, v33
	v_addc_co_u32_e64 v34, s[4:5], v40, v34, s[4:5]
	v_mov_b32_e32 v40, v41
; %bb.131:
	s_or_b64 exec, exec, s[30:31]
	s_nop 0
	v_mov_b32_dpp v41, v40 row_shr:2 row_mask:0xf bank_mask:0xf
	v_mov_b32_dpp v36, v33 row_shr:2 row_mask:0xf bank_mask:0xf
	v_mov_b32_dpp v42, v34 row_shr:2 row_mask:0xf bank_mask:0xf
	v_cmp_lt_u32_e64 s[4:5], 1, v35
	s_and_saveexec_b64 s[30:31], s[4:5]
; %bb.132:
	v_cmp_eq_u32_e64 s[4:5], 0, v40
	v_cndmask_b32_e64 v36, 0, v36, s[4:5]
	v_add_u32_e32 v41, v41, v40
	v_cndmask_b32_e64 v40, 0, v42, s[4:5]
	v_add_co_u32_e64 v33, s[4:5], v36, v33
	v_addc_co_u32_e64 v34, s[4:5], v40, v34, s[4:5]
	v_mov_b32_e32 v40, v41
; %bb.133:
	s_or_b64 exec, exec, s[30:31]
	s_nop 0
	v_mov_b32_dpp v41, v40 row_shr:4 row_mask:0xf bank_mask:0xf
	v_mov_b32_dpp v36, v33 row_shr:4 row_mask:0xf bank_mask:0xf
	v_mov_b32_dpp v42, v34 row_shr:4 row_mask:0xf bank_mask:0xf
	v_cmp_lt_u32_e64 s[4:5], 3, v35
	;; [unrolled: 16-line block ×3, first 2 shown]
	s_and_saveexec_b64 s[30:31], s[4:5]
; %bb.136:
	v_cmp_eq_u32_e64 s[4:5], 0, v40
	v_cndmask_b32_e64 v36, 0, v36, s[4:5]
	v_add_u32_e32 v35, v41, v40
	v_cndmask_b32_e64 v40, 0, v42, s[4:5]
	v_add_co_u32_e64 v33, s[4:5], v36, v33
	v_addc_co_u32_e64 v34, s[4:5], v40, v34, s[4:5]
	v_mov_b32_e32 v40, v35
; %bb.137:
	s_or_b64 exec, exec, s[30:31]
	v_and_b32_e32 v42, 16, v39
	v_mov_b32_dpp v36, v40 row_bcast:15 row_mask:0xf bank_mask:0xf
	v_mov_b32_dpp v35, v33 row_bcast:15 row_mask:0xf bank_mask:0xf
	;; [unrolled: 1-line block ×3, first 2 shown]
	v_cmp_ne_u32_e64 s[4:5], 0, v42
	s_and_saveexec_b64 s[30:31], s[4:5]
; %bb.138:
	v_cmp_eq_u32_e64 s[4:5], 0, v40
	v_cndmask_b32_e64 v35, 0, v35, s[4:5]
	v_add_u32_e32 v36, v36, v40
	v_cndmask_b32_e64 v40, 0, v41, s[4:5]
	v_add_co_u32_e64 v33, s[4:5], v35, v33
	v_addc_co_u32_e64 v34, s[4:5], v40, v34, s[4:5]
	v_mov_b32_e32 v40, v36
; %bb.139:
	s_or_b64 exec, exec, s[30:31]
	s_nop 0
	v_mov_b32_dpp v36, v40 row_bcast:31 row_mask:0xf bank_mask:0xf
	v_mov_b32_dpp v35, v33 row_bcast:31 row_mask:0xf bank_mask:0xf
	v_mov_b32_dpp v41, v34 row_bcast:31 row_mask:0xf bank_mask:0xf
	v_cmp_lt_u32_e64 s[4:5], 31, v39
	s_and_saveexec_b64 s[30:31], s[4:5]
; %bb.140:
	v_cmp_eq_u32_e64 s[4:5], 0, v40
	v_cndmask_b32_e64 v35, 0, v35, s[4:5]
	v_add_u32_e32 v36, v36, v40
	v_cndmask_b32_e64 v40, 0, v41, s[4:5]
	v_add_co_u32_e64 v33, s[4:5], v35, v33
	v_addc_co_u32_e64 v34, s[4:5], v40, v34, s[4:5]
	v_mov_b32_e32 v40, v36
; %bb.141:
	s_or_b64 exec, exec, s[30:31]
	v_lshrrev_b32_e32 v35, 6, v0
	v_or_b32_e32 v36, 63, v0
	v_cmp_eq_u32_e64 s[4:5], v0, v36
	v_lshlrev_b32_e32 v41, 4, v35
	s_and_saveexec_b64 s[30:31], s[4:5]
	s_cbranch_execz .LBB398_143
; %bb.142:
	ds_write_b32 v41, v40 offset:544
	ds_write_b64 v41, v[33:34] offset:552
.LBB398_143:
	s_or_b64 exec, exec, s[30:31]
	v_cmp_gt_u32_e64 s[4:5], 4, v0
	s_waitcnt vmcnt(0) lgkmcnt(0)
	s_barrier
	s_and_saveexec_b64 s[30:31], s[4:5]
	s_cbranch_execz .LBB398_149
; %bb.144:
	v_lshlrev_b32_e32 v42, 4, v0
	ds_read_b32 v43, v42 offset:544
	ds_read_b64 v[35:36], v42 offset:552
	v_and_b32_e32 v44, 3, v39
	v_cmp_ne_u32_e64 s[4:5], 0, v44
	s_waitcnt lgkmcnt(1)
	v_mov_b32_dpp v46, v43 row_shr:1 row_mask:0xf bank_mask:0xf
	s_waitcnt lgkmcnt(0)
	v_mov_b32_dpp v45, v35 row_shr:1 row_mask:0xf bank_mask:0xf
	v_mov_b32_dpp v47, v36 row_shr:1 row_mask:0xf bank_mask:0xf
	s_and_saveexec_b64 s[34:35], s[4:5]
; %bb.145:
	v_cmp_eq_u32_e64 s[4:5], 0, v43
	v_cndmask_b32_e64 v45, 0, v45, s[4:5]
	v_add_u32_e32 v46, v46, v43
	v_cndmask_b32_e64 v43, 0, v47, s[4:5]
	v_add_co_u32_e64 v35, s[4:5], v45, v35
	v_addc_co_u32_e64 v36, s[4:5], v43, v36, s[4:5]
	v_mov_b32_e32 v43, v46
; %bb.146:
	s_or_b64 exec, exec, s[34:35]
	s_nop 0
	v_mov_b32_dpp v46, v43 row_shr:2 row_mask:0xf bank_mask:0xf
	v_mov_b32_dpp v45, v35 row_shr:2 row_mask:0xf bank_mask:0xf
	;; [unrolled: 1-line block ×3, first 2 shown]
	v_cmp_lt_u32_e64 s[4:5], 1, v44
	s_and_saveexec_b64 s[34:35], s[4:5]
; %bb.147:
	v_cmp_eq_u32_e64 s[4:5], 0, v43
	v_cndmask_b32_e64 v45, 0, v45, s[4:5]
	v_add_u32_e32 v44, v46, v43
	v_cndmask_b32_e64 v43, 0, v47, s[4:5]
	v_add_co_u32_e64 v35, s[4:5], v45, v35
	v_addc_co_u32_e64 v36, s[4:5], v43, v36, s[4:5]
	v_mov_b32_e32 v43, v44
; %bb.148:
	s_or_b64 exec, exec, s[34:35]
	ds_write_b32 v42, v43 offset:544
	ds_write_b64 v42, v[35:36] offset:552
.LBB398_149:
	s_or_b64 exec, exec, s[30:31]
	v_mov_b32_e32 v35, v37
	v_cmp_lt_u32_e64 s[4:5], 63, v0
	v_mov_b32_e32 v67, 0
	v_mov_b32_e32 v42, 0
	;; [unrolled: 1-line block ×3, first 2 shown]
	s_waitcnt lgkmcnt(0)
	s_barrier
	s_and_saveexec_b64 s[30:31], s[4:5]
	s_cbranch_execz .LBB398_151
; %bb.150:
	ds_read_b32 v42, v41 offset:528
	ds_read_b64 v[35:36], v41 offset:536
	s_waitcnt lgkmcnt(1)
	v_cmp_eq_u32_e64 s[4:5], 0, v42
	v_cndmask_b32_e64 v43, 0, v37, s[4:5]
	v_cndmask_b32_e64 v41, 0, v38, s[4:5]
	s_waitcnt lgkmcnt(0)
	v_add_co_u32_e64 v35, s[4:5], v43, v35
	v_addc_co_u32_e64 v36, s[4:5], v41, v36, s[4:5]
.LBB398_151:
	s_or_b64 exec, exec, s[30:31]
	v_cmp_eq_u32_e64 s[4:5], 0, v40
	v_cndmask_b32_e64 v43, 0, v35, s[4:5]
	v_add_u32_e32 v41, v42, v40
	v_cndmask_b32_e64 v40, 0, v36, s[4:5]
	v_add_co_u32_e64 v33, s[4:5], v43, v33
	v_addc_co_u32_e64 v34, s[4:5], v40, v34, s[4:5]
	v_subrev_co_u32_e64 v40, s[4:5], 1, v39
	v_and_b32_e32 v43, 64, v39
	v_cmp_lt_i32_e64 s[30:31], v40, v43
	v_cndmask_b32_e64 v39, v40, v39, s[30:31]
	v_lshlrev_b32_e32 v39, 2, v39
	ds_bpermute_b32 v33, v39, v33
	ds_bpermute_b32 v40, v39, v41
	;; [unrolled: 1-line block ×3, first 2 shown]
	s_waitcnt lgkmcnt(2)
	v_cndmask_b32_e64 v63, v33, v35, s[4:5]
	s_waitcnt lgkmcnt(1)
	v_cndmask_b32_e64 v34, v40, v42, s[4:5]
	;; [unrolled: 2-line block ×3, first 2 shown]
	v_cndmask_b32_e64 v33, v63, v37, s[38:39]
	v_cmp_eq_u32_e64 s[4:5], 0, v73
	v_cndmask_b32_e64 v35, v64, v38, s[38:39]
	v_cndmask_b32_e64 v33, 0, v33, s[4:5]
	v_cndmask_b32_e64 v35, 0, v35, s[4:5]
	v_add_co_u32_e64 v39, s[4:5], v33, v26
	v_addc_co_u32_e64 v40, s[4:5], v35, v27, s[4:5]
	v_cndmask_b32_e64 v27, 0, v39, s[28:29]
	v_cndmask_b32_e64 v26, 0, v40, s[28:29]
	v_add_co_u32_e64 v41, s[4:5], v27, v28
	v_addc_co_u32_e64 v42, s[4:5], v26, v29, s[4:5]
	v_cndmask_b32_e64 v27, 0, v41, s[26:27]
	v_cndmask_b32_e64 v26, 0, v42, s[26:27]
	;; [unrolled: 4-line block ×11, first 2 shown]
	v_add_co_u32_e64 v61, s[4:5], v7, v8
	v_addc_co_u32_e64 v62, s[4:5], v6, v9, s[4:5]
	v_cndmask_b32_e64 v7, 0, v61, s[8:9]
	ds_read_b32 v33, v67 offset:592
	v_cndmask_b32_e64 v6, 0, v62, s[8:9]
	v_add_co_u32_e64 v65, s[4:5], v7, v2
	v_addc_co_u32_e64 v66, s[4:5], v6, v3, s[4:5]
	ds_read_b64 v[2:3], v67 offset:600
	v_cndmask_b32_e32 v70, 0, v66, vcc
	v_cndmask_b32_e32 v69, 0, v65, vcc
	s_waitcnt lgkmcnt(1)
	v_cmp_eq_u32_e32 vcc, 0, v33
	v_cndmask_b32_e32 v7, 0, v37, vcc
	v_cndmask_b32_e32 v6, 0, v38, vcc
	s_waitcnt lgkmcnt(0)
	v_add_co_u32_e32 v35, vcc, v7, v2
	v_addc_co_u32_e32 v36, vcc, v6, v3, vcc
	s_and_saveexec_b64 s[4:5], s[38:39]
	s_cbranch_execz .LBB398_153
; %bb.152:
	v_mov_b32_e32 v64, v38
	v_mov_b32_e32 v34, 0
	;; [unrolled: 1-line block ×4, first 2 shown]
	global_store_dword v34, v33, s[42:43] offset:1024
	global_store_dwordx2 v34, v[35:36], s[42:43] offset:1032
	s_waitcnt vmcnt(0)
	buffer_wbinvl1_vol
	global_store_byte v34, v2, s[44:45] offset:64
.LBB398_153:
	s_or_b64 exec, exec, s[4:5]
	v_mov_b32_e32 v37, 0
.LBB398_154:
	s_cmp_eq_u64 s[54:55], 0
	s_cselect_b64 s[4:5], -1, 0
	s_or_b64 s[4:5], s[46:47], s[4:5]
	v_mov_b32_e32 v10, 0
	s_and_b64 vcc, exec, s[4:5]
	v_mov_b32_e32 v11, 0
	s_waitcnt vmcnt(0)
	s_barrier
	s_cbranch_vccnz .LBB398_156
; %bb.155:
	v_mov_b32_e32 v2, 0
	global_load_dwordx2 v[10:11], v2, s[54:55]
.LBB398_156:
	s_nop 0
	buffer_load_dword v2, off, s[0:3], 0
	buffer_load_dword v3, off, s[0:3], 0 offset:4
	buffer_load_dword v6, off, s[0:3], 0 offset:8
	buffer_load_dword v7, off, s[0:3], 0 offset:12
	buffer_load_dword v8, off, s[0:3], 0 offset:16
	buffer_load_dword v9, off, s[0:3], 0 offset:20
	buffer_load_dword v28, off, s[0:3], 0 offset:24
	buffer_load_dword v29, off, s[0:3], 0 offset:28
	buffer_load_dword v67, off, s[0:3], 0 offset:32
	buffer_load_dword v68, off, s[0:3], 0 offset:36
	buffer_load_dword v87, off, s[0:3], 0 offset:40
	buffer_load_dword v88, off, s[0:3], 0 offset:44
	buffer_load_dword v89, off, s[0:3], 0 offset:48
	buffer_load_dword v90, off, s[0:3], 0 offset:52
	buffer_load_dword v91, off, s[0:3], 0 offset:56
	v_mov_b32_e32 v12, s57
	s_waitcnt vmcnt(15)
	v_add_co_u32_e32 v13, vcc, s56, v10
	v_addc_co_u32_e32 v12, vcc, v12, v11, vcc
	v_add_co_u32_e32 v26, vcc, v13, v37
	v_addc_co_u32_e32 v27, vcc, 0, v12, vcc
	v_add_u32_e32 v25, v34, v73
	v_add_u32_e32 v24, v25, v86
	;; [unrolled: 1-line block ×12, first 2 shown]
	s_movk_i32 s4, 0x100
	v_add_u32_e32 v13, v14, v83
	v_mov_b32_e32 v38, 0
	v_add_u32_e32 v12, v13, v84
	s_mov_b64 s[40:41], -1
	s_waitcnt vmcnt(14)
	v_cmp_eq_u32_e32 vcc, 0, v2
	v_cmp_ne_u32_e64 s[36:37], 0, v2
	v_cndmask_b32_e64 v2, 1, 2, vcc
	s_waitcnt vmcnt(13)
	v_cmp_eq_u32_e32 vcc, 0, v3
	v_cmp_ne_u32_e64 s[34:35], 0, v3
	v_cndmask_b32_e64 v3, 1, 2, vcc
	;; [unrolled: 4-line block ×3, first 2 shown]
	s_waitcnt vmcnt(11)
	v_cmp_eq_u32_e32 vcc, 0, v7
	v_and_b32_e32 v2, v3, v2
	v_cmp_ne_u32_e64 s[28:29], 0, v7
	v_cndmask_b32_e64 v7, 1, 2, vcc
	s_waitcnt vmcnt(10)
	v_cmp_eq_u32_e32 vcc, 0, v8
	v_and_b32_e32 v2, v2, v6
	v_cmp_ne_u32_e64 s[26:27], 0, v8
	v_cndmask_b32_e64 v8, 1, 2, vcc
	;; [unrolled: 5-line block ×7, first 2 shown]
	s_waitcnt vmcnt(4)
	v_cmp_eq_u32_e32 vcc, 0, v87
	v_and_b32_e32 v2, v2, v67
	v_cndmask_b32_e64 v73, 1, 2, vcc
	s_waitcnt vmcnt(3)
	v_cmp_eq_u32_e32 vcc, 0, v88
	v_and_b32_e32 v2, v2, v68
	v_cndmask_b32_e64 v74, 1, 2, vcc
	;; [unrolled: 4-line block ×4, first 2 shown]
	v_and_b32_e32 v2, v2, v75
	s_waitcnt vmcnt(0)
	v_cmp_eq_u32_e32 vcc, 0, v91
	v_and_b32_e32 v2, v2, v76
	v_cndmask_b32_e64 v3, 1, 2, vcc
	v_and_b32_e32 v2, v2, v3
	v_cmp_gt_u32_e32 vcc, s4, v33
	v_cmp_ne_u32_e64 s[14:15], 0, v87
	v_cmp_ne_u32_e64 s[12:13], 0, v88
	;; [unrolled: 1-line block ×5, first 2 shown]
	v_cmp_gt_i16_e64 s[4:5], 2, v2
	s_cbranch_vccz .LBB398_163
; %bb.157:
	s_and_saveexec_b64 s[40:41], s[4:5]
	s_cbranch_execz .LBB398_162
; %bb.158:
	v_cmp_ne_u16_e32 vcc, 1, v2
	s_mov_b64 s[42:43], 0
	s_and_saveexec_b64 s[4:5], vcc
	s_xor_b64 s[4:5], exec, s[4:5]
	s_cbranch_execnz .LBB398_210
; %bb.159:
	s_andn2_saveexec_b64 s[4:5], s[4:5]
	s_cbranch_execnz .LBB398_226
.LBB398_160:
	s_or_b64 exec, exec, s[4:5]
	s_and_b64 exec, exec, s[42:43]
	s_cbranch_execz .LBB398_162
.LBB398_161:
	v_sub_u32_e32 v3, v12, v37
	v_lshrrev_b32_e32 v6, 24, v32
	v_readfirstlane_b32 s4, v26
	v_readfirstlane_b32 s5, v27
	s_nop 4
	global_store_byte v3, v6, s[4:5]
.LBB398_162:
	s_or_b64 exec, exec, s[40:41]
	s_mov_b64 s[40:41], 0
.LBB398_163:
	s_and_b64 vcc, exec, s[40:41]
	s_cbranch_vccz .LBB398_185
; %bb.164:
	v_cmp_gt_i16_e32 vcc, 2, v2
	s_and_saveexec_b64 s[4:5], vcc
	s_cbranch_execz .LBB398_169
; %bb.165:
	v_cmp_ne_u16_e32 vcc, 1, v2
	s_mov_b64 s[42:43], 0
	s_and_saveexec_b64 s[40:41], vcc
	s_xor_b64 s[40:41], exec, s[40:41]
	s_cbranch_execnz .LBB398_227
; %bb.166:
	s_andn2_saveexec_b64 s[6:7], s[40:41]
	s_cbranch_execnz .LBB398_243
.LBB398_167:
	s_or_b64 exec, exec, s[6:7]
	s_and_b64 exec, exec, s[42:43]
.LBB398_168:
	v_sub_u32_e32 v1, v12, v37
	v_lshrrev_b32_e32 v2, 24, v32
	ds_write_b8 v1, v2
.LBB398_169:
	s_or_b64 exec, exec, s[4:5]
	v_cmp_lt_u32_e32 vcc, v0, v33
	s_waitcnt vmcnt(0) lgkmcnt(0)
	s_barrier
	s_and_saveexec_b64 s[4:5], vcc
	s_cbranch_execz .LBB398_184
; %bb.170:
	v_xad_u32 v2, v0, -1, v33
	s_movk_i32 s6, 0x1b00
	s_movk_i32 s8, 0x1aff
	v_cmp_gt_u32_e64 s[6:7], s6, v2
	v_cmp_lt_u32_e32 vcc, s8, v2
	v_mov_b32_e32 v1, v0
	s_and_saveexec_b64 s[8:9], vcc
	s_cbranch_execz .LBB398_181
; %bb.171:
	v_sub_u32_e32 v1, v0, v33
	v_or_b32_e32 v1, 0xff, v1
	v_cmp_ge_u32_e32 vcc, v1, v0
	s_mov_b64 s[12:13], -1
	v_mov_b32_e32 v1, v0
	s_and_saveexec_b64 s[10:11], vcc
	s_cbranch_execz .LBB398_180
; %bb.172:
	v_lshrrev_b32_e32 v28, 8, v2
	v_add_u32_e32 v6, -3, v28
	v_or_b32_e32 v3, 0x300, v0
	v_lshrrev_b32_e32 v7, 2, v6
	v_or_b32_e32 v2, 0x200, v0
	v_or_b32_e32 v1, 0x100, v0
	v_add_u32_e32 v29, 1, v7
	v_cmp_lt_u32_e32 vcc, 11, v6
	v_mov_b32_e32 v9, v3
	v_mov_b32_e32 v32, 0
	;; [unrolled: 1-line block ×5, first 2 shown]
	s_and_saveexec_b64 s[12:13], vcc
	s_cbranch_execz .LBB398_176
; %bb.173:
	v_mov_b32_e32 v9, v3
	v_and_b32_e32 v30, 0x7ffffffc, v29
	s_mov_b32 s16, 0
	s_mov_b64 s[14:15], 0
	v_mov_b32_e32 v31, v0
	v_mov_b32_e32 v8, v2
	;; [unrolled: 1-line block ×4, first 2 shown]
.LBB398_174:                            ; =>This Inner Loop Header: Depth=1
	v_add_co_u32_e32 v1, vcc, v26, v6
	v_addc_co_u32_e32 v2, vcc, 0, v27, vcc
	v_add_co_u32_e32 v67, vcc, v26, v7
	v_addc_co_u32_e32 v68, vcc, 0, v27, vcc
	;; [unrolled: 2-line block ×4, first 2 shown]
	v_add_u32_e32 v75, 0x400, v6
	v_add_co_u32_e32 v75, vcc, v26, v75
	v_add_u32_e32 v77, 0x400, v7
	v_addc_co_u32_e32 v76, vcc, 0, v27, vcc
	v_add_co_u32_e32 v77, vcc, v26, v77
	v_add_u32_e32 v32, 0x400, v8
	v_addc_co_u32_e32 v78, vcc, 0, v27, vcc
	;; [unrolled: 3-line block ×10, first 2 shown]
	v_add_co_u32_e32 v95, vcc, v26, v95
	ds_read_u8 v99, v31
	ds_read_u8 v100, v31 offset:256
	ds_read_u8 v101, v31 offset:512
	ds_read_u8 v102, v31 offset:768
	ds_read_u8 v103, v31 offset:1024
	ds_read_u8 v104, v31 offset:1280
	ds_read_u8 v105, v31 offset:1536
	ds_read_u8 v106, v31 offset:1792
	v_add_u32_e32 v97, 0xc00, v9
	ds_read_u8 v107, v31 offset:2048
	ds_read_u8 v108, v31 offset:2304
	;; [unrolled: 1-line block ×8, first 2 shown]
	v_addc_co_u32_e32 v96, vcc, 0, v27, vcc
	v_add_co_u32_e32 v97, vcc, v26, v97
	v_add_u32_e32 v30, -4, v30
	v_addc_co_u32_e32 v98, vcc, 0, v27, vcc
	s_add_i32 s16, s16, 16
	v_cmp_eq_u32_e32 vcc, 0, v30
	v_add_u32_e32 v9, 0x1000, v9
	v_add_u32_e32 v8, 0x1000, v8
	;; [unrolled: 1-line block ×5, first 2 shown]
	v_mov_b32_e32 v32, s16
	s_or_b64 s[14:15], vcc, s[14:15]
	s_waitcnt lgkmcnt(14)
	global_store_byte v[1:2], v99, off
	global_store_byte v[67:68], v100, off
	s_waitcnt lgkmcnt(13)
	global_store_byte v[71:72], v101, off
	s_waitcnt lgkmcnt(12)
	;; [unrolled: 2-line block ×14, first 2 shown]
	global_store_byte v[97:98], v114, off
	s_andn2_b64 exec, exec, s[14:15]
	s_cbranch_execnz .LBB398_174
; %bb.175:
	s_or_b64 exec, exec, s[14:15]
.LBB398_176:
	s_or_b64 exec, exec, s[12:13]
	v_and_b32_e32 v1, 3, v29
	v_cmp_ne_u32_e32 vcc, 0, v1
	s_and_saveexec_b64 s[12:13], vcc
	s_cbranch_execz .LBB398_179
; %bb.177:
	v_lshl_or_b32 v2, v32, 8, v0
	s_mov_b64 s[14:15], 0
.LBB398_178:                            ; =>This Inner Loop Header: Depth=1
	v_add_co_u32_e32 v29, vcc, v26, v6
	v_addc_co_u32_e32 v30, vcc, 0, v27, vcc
	v_add_co_u32_e32 v31, vcc, v26, v7
	v_addc_co_u32_e32 v32, vcc, 0, v27, vcc
	;; [unrolled: 2-line block ×3, first 2 shown]
	ds_read_u8 v3, v2
	ds_read_u8 v73, v2 offset:256
	ds_read_u8 v74, v2 offset:512
	;; [unrolled: 1-line block ×3, first 2 shown]
	v_add_co_u32_e32 v71, vcc, v26, v9
	v_addc_co_u32_e32 v72, vcc, 0, v27, vcc
	v_add_u32_e32 v1, -1, v1
	v_cmp_eq_u32_e32 vcc, 0, v1
	v_add_u32_e32 v9, 0x400, v9
	v_add_u32_e32 v8, 0x400, v8
	;; [unrolled: 1-line block ×5, first 2 shown]
	s_or_b64 s[14:15], vcc, s[14:15]
	s_waitcnt lgkmcnt(3)
	global_store_byte v[29:30], v3, off
	s_waitcnt lgkmcnt(2)
	global_store_byte v[31:32], v73, off
	;; [unrolled: 2-line block ×4, first 2 shown]
	s_andn2_b64 exec, exec, s[14:15]
	s_cbranch_execnz .LBB398_178
.LBB398_179:
	s_or_b64 exec, exec, s[12:13]
	v_add_u32_e32 v2, 1, v28
	v_and_b32_e32 v3, 0x1fffffc, v2
	v_cmp_ne_u32_e32 vcc, v2, v3
	v_lshl_or_b32 v1, v3, 8, v0
	s_orn2_b64 s[12:13], vcc, exec
.LBB398_180:
	s_or_b64 exec, exec, s[10:11]
	s_andn2_b64 s[6:7], s[6:7], exec
	s_and_b64 s[10:11], s[12:13], exec
	s_or_b64 s[6:7], s[6:7], s[10:11]
.LBB398_181:
	s_or_b64 exec, exec, s[8:9]
	s_and_b64 exec, exec, s[6:7]
	s_cbranch_execz .LBB398_184
; %bb.182:
	s_mov_b64 s[6:7], 0
.LBB398_183:                            ; =>This Inner Loop Header: Depth=1
	ds_read_u8 v2, v1
	v_readfirstlane_b32 s8, v26
	v_readfirstlane_b32 s9, v27
	s_waitcnt lgkmcnt(0)
	s_nop 3
	global_store_byte v1, v2, s[8:9]
	v_add_u32_e32 v1, 0x100, v1
	v_cmp_ge_u32_e32 vcc, v1, v33
	s_or_b64 s[6:7], vcc, s[6:7]
	s_andn2_b64 exec, exec, s[6:7]
	s_cbranch_execnz .LBB398_183
.LBB398_184:
	s_or_b64 exec, exec, s[4:5]
.LBB398_185:
	s_and_b64 s[6:7], s[38:39], s[50:51]
	s_waitcnt vmcnt(0)
	s_barrier
	s_and_saveexec_b64 s[4:5], s[6:7]
	s_cbranch_execz .LBB398_187
; %bb.186:
	v_mov_b32_e32 v1, 0
	buffer_store_dword v1, off, s[0:3], 0
.LBB398_187:
	s_or_b64 exec, exec, s[4:5]
	s_mul_hi_u32 s4, s33, 0x88888889
	s_lshr_b32 s4, s4, 3
	v_cmp_eq_u32_e32 vcc, s4, v0
	s_and_b64 s[6:7], vcc, s[48:49]
	s_and_saveexec_b64 s[4:5], s[6:7]
	s_cbranch_execz .LBB398_189
; %bb.188:
	s_lshl_b32 s6, s33, 2
	v_mov_b32_e32 v1, s6
	s_movk_i32 s6, 0xffc4
	v_mad_i32_i24 v1, v0, s6, v1
	v_mov_b32_e32 v2, 1
	buffer_store_dword v2, v1, s[0:3], 0 offen
.LBB398_189:
	s_or_b64 exec, exec, s[4:5]
	buffer_load_dword v9, off, s[0:3], 0
	buffer_load_dword v26, off, s[0:3], 0 offset:4
	buffer_load_dword v27, off, s[0:3], 0 offset:8
	;; [unrolled: 1-line block ×13, first 2 shown]
	v_add_co_u32_e32 v1, vcc, v69, v4
	buffer_load_dword v69, off, s[0:3], 0 offset:56
	v_lshlrev_b64 v[3:4], 3, v[10:11]
	v_addc_co_u32_e32 v2, vcc, v70, v5, vcc
	v_mov_b32_e32 v5, s59
	v_lshlrev_b64 v[6:7], 3, v[37:38]
	v_add_co_u32_e32 v3, vcc, s58, v3
	v_addc_co_u32_e32 v4, vcc, v5, v4, vcc
	v_cndmask_b32_e64 v8, 0, 1, s[50:51]
	v_add_co_u32_e32 v3, vcc, v3, v6
	v_lshlrev_b32_e32 v70, 3, v8
	v_addc_co_u32_e32 v4, vcc, v4, v7, vcc
	v_add_co_u32_e32 v6, vcc, v3, v70
	v_addc_co_u32_e32 v7, vcc, 0, v4, vcc
	v_add_co_u32_e32 v6, vcc, -8, v6
	v_addc_co_u32_e32 v7, vcc, -1, v7, vcc
	s_cmpk_lg_i32 s33, 0xf00
	s_cselect_b64 s[4:5], -1, 0
	s_and_b64 s[4:5], s[4:5], s[48:49]
	v_sub_u32_e32 v38, v33, v8
	v_cndmask_b32_e64 v75, 0, 1, s[4:5]
	v_add_u32_e32 v5, v38, v75
	s_movk_i32 s36, 0x100
	v_add_u32_e32 v8, v37, v8
	s_mov_b64 s[38:39], -1
	s_waitcnt vmcnt(14)
	v_cmp_eq_u32_e32 vcc, 0, v9
	v_cmp_ne_u32_e64 s[34:35], 0, v9
	v_cndmask_b32_e64 v9, 1, 2, vcc
	s_waitcnt vmcnt(13)
	v_cmp_eq_u32_e32 vcc, 0, v26
	v_cmp_ne_u32_e64 s[30:31], 0, v26
	v_cndmask_b32_e64 v26, 1, 2, vcc
	s_waitcnt vmcnt(12)
	v_cmp_eq_u32_e32 vcc, 0, v27
	v_cmp_ne_u32_e64 s[28:29], 0, v27
	v_cndmask_b32_e64 v27, 1, 2, vcc
	s_waitcnt vmcnt(11)
	v_cmp_eq_u32_e32 vcc, 0, v28
	v_and_b32_e32 v9, v26, v9
	v_cmp_ne_u32_e64 s[26:27], 0, v28
	v_cndmask_b32_e64 v28, 1, 2, vcc
	s_waitcnt vmcnt(10)
	v_cmp_eq_u32_e32 vcc, 0, v29
	v_and_b32_e32 v9, v9, v27
	v_cmp_ne_u32_e64 s[24:25], 0, v29
	v_cndmask_b32_e64 v29, 1, 2, vcc
	;; [unrolled: 5-line block ×5, first 2 shown]
	s_waitcnt vmcnt(6)
	v_cmp_eq_u32_e32 vcc, 0, v67
	v_and_b32_e32 v9, v9, v31
	v_cndmask_b32_e64 v38, 1, 2, vcc
	s_waitcnt vmcnt(5)
	v_cmp_eq_u32_e32 vcc, 0, v68
	v_and_b32_e32 v9, v9, v32
	v_cmp_ne_u32_e64 s[16:17], 0, v67
	v_cndmask_b32_e64 v67, 1, 2, vcc
	s_waitcnt vmcnt(4)
	v_cmp_eq_u32_e32 vcc, 0, v71
	v_and_b32_e32 v9, v9, v38
	v_cmp_ne_u32_e64 s[14:15], 0, v68
	v_cndmask_b32_e64 v68, 1, 2, vcc
	v_and_b32_e32 v9, v9, v67
	s_waitcnt vmcnt(3)
	v_cmp_eq_u32_e32 vcc, 0, v72
	v_and_b32_e32 v9, v9, v68
	v_cndmask_b32_e64 v26, 1, 2, vcc
	s_waitcnt vmcnt(2)
	v_cmp_eq_u32_e32 vcc, 0, v73
	v_and_b32_e32 v9, v9, v26
	v_cndmask_b32_e64 v26, 1, 2, vcc
	;; [unrolled: 4-line block ×4, first 2 shown]
	v_and_b32_e32 v9, v9, v26
	v_cmp_gt_u32_e32 vcc, s36, v5
	v_cmp_ne_u32_e64 s[12:13], 0, v71
	v_cmp_ne_u32_e64 s[8:9], 0, v72
	;; [unrolled: 1-line block ×5, first 2 shown]
	v_cmp_gt_i16_e64 s[36:37], 2, v9
	s_cbranch_vccz .LBB398_196
; %bb.190:
	s_and_saveexec_b64 s[38:39], s[36:37]
	s_cbranch_execz .LBB398_195
; %bb.191:
	v_cmp_ne_u16_e32 vcc, 1, v9
	s_mov_b64 s[40:41], 0
	s_and_saveexec_b64 s[36:37], vcc
	s_xor_b64 s[36:37], exec, s[36:37]
	s_cbranch_execnz .LBB398_244
; %bb.192:
	s_andn2_saveexec_b64 s[36:37], s[36:37]
	s_cbranch_execnz .LBB398_260
.LBB398_193:
	s_or_b64 exec, exec, s[36:37]
	s_and_b64 exec, exec, s[40:41]
	s_cbranch_execz .LBB398_195
.LBB398_194:
	v_sub_u32_e32 v26, v12, v8
	v_mov_b32_e32 v27, 0
	v_lshlrev_b64 v[26:27], 3, v[26:27]
	v_add_co_u32_e32 v26, vcc, v6, v26
	v_addc_co_u32_e32 v27, vcc, v7, v27, vcc
	global_store_dwordx2 v[26:27], v[1:2], off
.LBB398_195:
	s_or_b64 exec, exec, s[38:39]
	s_mov_b64 s[38:39], 0
.LBB398_196:
	s_and_b64 vcc, exec, s[38:39]
	s_cbranch_vccz .LBB398_206
; %bb.197:
	v_cmp_gt_i16_e32 vcc, 2, v9
	s_and_saveexec_b64 s[36:37], vcc
	s_cbranch_execz .LBB398_202
; %bb.198:
	v_cmp_ne_u16_e32 vcc, 1, v9
	s_mov_b64 s[40:41], 0
	s_and_saveexec_b64 s[38:39], vcc
	s_xor_b64 s[38:39], exec, s[38:39]
	s_cbranch_execnz .LBB398_261
; %bb.199:
	s_andn2_saveexec_b64 s[4:5], s[38:39]
	s_cbranch_execnz .LBB398_277
.LBB398_200:
	s_or_b64 exec, exec, s[4:5]
	s_and_b64 exec, exec, s[40:41]
.LBB398_201:
	v_sub_u32_e32 v8, v12, v8
	v_lshlrev_b32_e32 v8, 3, v8
	ds_write_b64 v8, v[1:2]
.LBB398_202:
	s_or_b64 exec, exec, s[36:37]
	v_cmp_lt_u32_e32 vcc, v0, v5
	s_waitcnt vmcnt(0) lgkmcnt(0)
	s_barrier
	s_and_saveexec_b64 s[6:7], vcc
	s_cbranch_execz .LBB398_205
; %bb.203:
	v_lshlrev_b32_e32 v8, 3, v0
	s_mov_b64 s[8:9], 0
	v_mov_b32_e32 v2, 0
	v_mov_b32_e32 v1, v0
.LBB398_204:                            ; =>This Inner Loop Header: Depth=1
	ds_read_b64 v[14:15], v8
	v_lshlrev_b64 v[12:13], 3, v[1:2]
	v_add_u32_e32 v1, 0x100, v1
	v_cmp_ge_u32_e32 vcc, v1, v5
	v_add_co_u32_e64 v12, s[4:5], v6, v12
	v_add_u32_e32 v8, 0x800, v8
	v_addc_co_u32_e64 v13, s[4:5], v7, v13, s[4:5]
	s_or_b64 s[8:9], vcc, s[8:9]
	s_waitcnt lgkmcnt(0)
	global_store_dwordx2 v[12:13], v[14:15], off
	s_andn2_b64 exec, exec, s[8:9]
	s_cbranch_execnz .LBB398_204
.LBB398_205:
	s_or_b64 exec, exec, s[6:7]
.LBB398_206:
	s_movk_i32 s4, 0xff
	v_cmp_eq_u32_e32 vcc, s4, v0
	s_and_b64 s[4:5], vcc, s[48:49]
	s_and_saveexec_b64 s[6:7], s[4:5]
	s_cbranch_execz .LBB398_209
; %bb.207:
	v_add_co_u32_e32 v0, vcc, v33, v37
	v_addc_co_u32_e64 v1, s[4:5], 0, 0, vcc
	v_add_co_u32_e32 v0, vcc, v0, v10
	v_mov_b32_e32 v34, 0
	v_addc_co_u32_e32 v1, vcc, v1, v11, vcc
	s_cmpk_lg_i32 s33, 0xf00
	global_store_dwordx2 v34, v[0:1], s[60:61]
	s_cbranch_scc1 .LBB398_209
; %bb.208:
	v_lshlrev_b64 v[0:1], 3, v[33:34]
	v_add_co_u32_e32 v0, vcc, v3, v0
	v_addc_co_u32_e32 v1, vcc, v4, v1, vcc
	global_store_dwordx2 v[0:1], v[35:36], off offset:-8
.LBB398_209:
	s_endpgm
.LBB398_210:
	s_and_saveexec_b64 s[42:43], s[36:37]
	s_cbranch_execnz .LBB398_278
; %bb.211:
	s_or_b64 exec, exec, s[42:43]
	s_and_saveexec_b64 s[42:43], s[34:35]
	s_cbranch_execnz .LBB398_279
.LBB398_212:
	s_or_b64 exec, exec, s[42:43]
	s_and_saveexec_b64 s[42:43], s[30:31]
	s_cbranch_execnz .LBB398_280
.LBB398_213:
	s_or_b64 exec, exec, s[42:43]
	s_and_saveexec_b64 s[42:43], s[28:29]
	s_cbranch_execnz .LBB398_281
.LBB398_214:
	s_or_b64 exec, exec, s[42:43]
	s_and_saveexec_b64 s[42:43], s[26:27]
	s_cbranch_execnz .LBB398_282
.LBB398_215:
	s_or_b64 exec, exec, s[42:43]
	s_and_saveexec_b64 s[42:43], s[24:25]
	s_cbranch_execnz .LBB398_283
.LBB398_216:
	s_or_b64 exec, exec, s[42:43]
	s_and_saveexec_b64 s[42:43], s[22:23]
	s_cbranch_execnz .LBB398_284
.LBB398_217:
	s_or_b64 exec, exec, s[42:43]
	s_and_saveexec_b64 s[42:43], s[20:21]
	s_cbranch_execnz .LBB398_285
.LBB398_218:
	s_or_b64 exec, exec, s[42:43]
	s_and_saveexec_b64 s[42:43], s[18:19]
	s_cbranch_execnz .LBB398_286
.LBB398_219:
	s_or_b64 exec, exec, s[42:43]
	s_and_saveexec_b64 s[42:43], s[16:17]
	s_cbranch_execnz .LBB398_287
.LBB398_220:
	s_or_b64 exec, exec, s[42:43]
	s_and_saveexec_b64 s[42:43], s[14:15]
	s_cbranch_execnz .LBB398_288
.LBB398_221:
	s_or_b64 exec, exec, s[42:43]
	s_and_saveexec_b64 s[42:43], s[12:13]
	s_cbranch_execnz .LBB398_289
.LBB398_222:
	s_or_b64 exec, exec, s[42:43]
	s_and_saveexec_b64 s[42:43], s[8:9]
	s_cbranch_execnz .LBB398_290
.LBB398_223:
	s_or_b64 exec, exec, s[42:43]
	s_and_saveexec_b64 s[42:43], s[6:7]
	s_cbranch_execz .LBB398_225
.LBB398_224:
	v_sub_u32_e32 v3, v13, v37
	v_readfirstlane_b32 s44, v26
	v_readfirstlane_b32 s45, v27
	s_nop 4
	global_store_byte_d16_hi v3, v32, s[44:45]
.LBB398_225:
	s_or_b64 exec, exec, s[42:43]
	s_and_b64 s[42:43], s[10:11], exec
	s_andn2_saveexec_b64 s[4:5], s[4:5]
	s_cbranch_execz .LBB398_160
.LBB398_226:
	v_sub_u32_e32 v3, v34, v37
	v_readfirstlane_b32 s44, v26
	v_readfirstlane_b32 s45, v27
	v_lshrrev_b32_e32 v6, 8, v30
	s_or_b64 s[42:43], s[42:43], exec
	s_nop 2
	global_store_byte v3, v72, s[44:45]
	v_sub_u32_e32 v3, v25, v37
	global_store_byte v3, v71, s[44:45]
	v_sub_u32_e32 v3, v24, v37
	;; [unrolled: 2-line block ×5, first 2 shown]
	global_store_byte_d16_hi v3, v30, s[44:45]
	v_sub_u32_e32 v3, v20, v37
	v_lshrrev_b32_e32 v6, 24, v30
	global_store_byte v3, v6, s[44:45]
	v_sub_u32_e32 v3, v19, v37
	global_store_byte v3, v31, s[44:45]
	v_sub_u32_e32 v3, v18, v37
	v_lshrrev_b32_e32 v6, 8, v31
	global_store_byte v3, v6, s[44:45]
	v_sub_u32_e32 v3, v17, v37
	global_store_byte_d16_hi v3, v31, s[44:45]
	v_sub_u32_e32 v3, v16, v37
	v_lshrrev_b32_e32 v6, 24, v31
	global_store_byte v3, v6, s[44:45]
	v_sub_u32_e32 v3, v15, v37
	global_store_byte v3, v32, s[44:45]
	v_sub_u32_e32 v3, v14, v37
	v_lshrrev_b32_e32 v6, 8, v32
	global_store_byte v3, v6, s[44:45]
	v_sub_u32_e32 v3, v13, v37
	global_store_byte_d16_hi v3, v32, s[44:45]
	s_or_b64 exec, exec, s[4:5]
	s_and_b64 exec, exec, s[42:43]
	s_cbranch_execnz .LBB398_161
	s_branch .LBB398_162
.LBB398_227:
	s_and_saveexec_b64 s[42:43], s[36:37]
	s_cbranch_execnz .LBB398_291
; %bb.228:
	s_or_b64 exec, exec, s[42:43]
	s_and_saveexec_b64 s[36:37], s[34:35]
	s_cbranch_execnz .LBB398_292
.LBB398_229:
	s_or_b64 exec, exec, s[36:37]
	s_and_saveexec_b64 s[34:35], s[30:31]
	s_cbranch_execnz .LBB398_293
.LBB398_230:
	s_or_b64 exec, exec, s[34:35]
	s_and_saveexec_b64 s[30:31], s[28:29]
	s_cbranch_execnz .LBB398_294
.LBB398_231:
	s_or_b64 exec, exec, s[30:31]
	s_and_saveexec_b64 s[28:29], s[26:27]
	s_cbranch_execnz .LBB398_295
.LBB398_232:
	s_or_b64 exec, exec, s[28:29]
	s_and_saveexec_b64 s[26:27], s[24:25]
	s_cbranch_execnz .LBB398_296
.LBB398_233:
	s_or_b64 exec, exec, s[26:27]
	s_and_saveexec_b64 s[24:25], s[22:23]
	s_cbranch_execnz .LBB398_297
.LBB398_234:
	s_or_b64 exec, exec, s[24:25]
	s_and_saveexec_b64 s[22:23], s[20:21]
	s_cbranch_execnz .LBB398_298
.LBB398_235:
	s_or_b64 exec, exec, s[22:23]
	s_and_saveexec_b64 s[20:21], s[18:19]
	s_cbranch_execnz .LBB398_299
.LBB398_236:
	s_or_b64 exec, exec, s[20:21]
	s_and_saveexec_b64 s[18:19], s[16:17]
	s_cbranch_execnz .LBB398_300
.LBB398_237:
	s_or_b64 exec, exec, s[18:19]
	s_and_saveexec_b64 s[16:17], s[14:15]
	s_cbranch_execnz .LBB398_301
.LBB398_238:
	s_or_b64 exec, exec, s[16:17]
	s_and_saveexec_b64 s[14:15], s[12:13]
	s_cbranch_execnz .LBB398_302
.LBB398_239:
	s_or_b64 exec, exec, s[14:15]
	s_and_saveexec_b64 s[12:13], s[8:9]
	s_cbranch_execnz .LBB398_303
.LBB398_240:
	s_or_b64 exec, exec, s[12:13]
	s_and_saveexec_b64 s[8:9], s[6:7]
.LBB398_241:
	v_sub_u32_e32 v1, v13, v37
	ds_write_b8_d16_hi v1, v32
.LBB398_242:
	s_or_b64 exec, exec, s[8:9]
	s_and_b64 s[42:43], s[10:11], exec
                                        ; implicit-def: $vgpr72
                                        ; implicit-def: $vgpr71
                                        ; implicit-def: $vgpr1
	s_andn2_saveexec_b64 s[6:7], s[40:41]
	s_cbranch_execz .LBB398_167
.LBB398_243:
	v_sub_u32_e32 v2, v34, v37
	ds_write_b8 v2, v72
	v_sub_u32_e32 v2, v25, v37
	ds_write_b8 v2, v71
	v_sub_u32_e32 v2, v24, v37
	ds_write_b8 v2, v1
	v_sub_u32_e32 v1, v23, v37
	ds_write_b8 v1, v30
	v_sub_u32_e32 v1, v22, v37
	v_lshrrev_b32_e32 v2, 8, v30
	ds_write_b8 v1, v2
	v_sub_u32_e32 v1, v21, v37
	ds_write_b8_d16_hi v1, v30
	v_sub_u32_e32 v1, v20, v37
	v_lshrrev_b32_e32 v2, 24, v30
	ds_write_b8 v1, v2
	v_sub_u32_e32 v1, v19, v37
	ds_write_b8 v1, v31
	v_sub_u32_e32 v1, v18, v37
	v_lshrrev_b32_e32 v2, 8, v31
	ds_write_b8 v1, v2
	v_sub_u32_e32 v1, v17, v37
	ds_write_b8_d16_hi v1, v31
	v_sub_u32_e32 v1, v16, v37
	v_lshrrev_b32_e32 v2, 24, v31
	ds_write_b8 v1, v2
	v_sub_u32_e32 v1, v15, v37
	ds_write_b8 v1, v32
	v_sub_u32_e32 v1, v14, v37
	v_lshrrev_b32_e32 v2, 8, v32
	ds_write_b8 v1, v2
	v_sub_u32_e32 v1, v13, v37
	s_or_b64 s[42:43], s[42:43], exec
	ds_write_b8_d16_hi v1, v32
	s_or_b64 exec, exec, s[6:7]
	s_and_b64 exec, exec, s[42:43]
	s_cbranch_execnz .LBB398_168
	s_branch .LBB398_169
.LBB398_244:
	s_and_saveexec_b64 s[40:41], s[34:35]
	s_cbranch_execnz .LBB398_304
; %bb.245:
	s_or_b64 exec, exec, s[40:41]
	s_and_saveexec_b64 s[40:41], s[30:31]
	s_cbranch_execnz .LBB398_305
.LBB398_246:
	s_or_b64 exec, exec, s[40:41]
	s_and_saveexec_b64 s[40:41], s[28:29]
	s_cbranch_execnz .LBB398_306
.LBB398_247:
	s_or_b64 exec, exec, s[40:41]
	s_and_saveexec_b64 s[40:41], s[26:27]
	s_cbranch_execnz .LBB398_307
.LBB398_248:
	s_or_b64 exec, exec, s[40:41]
	s_and_saveexec_b64 s[40:41], s[24:25]
	s_cbranch_execnz .LBB398_308
.LBB398_249:
	s_or_b64 exec, exec, s[40:41]
	s_and_saveexec_b64 s[40:41], s[22:23]
	s_cbranch_execnz .LBB398_309
.LBB398_250:
	s_or_b64 exec, exec, s[40:41]
	s_and_saveexec_b64 s[40:41], s[20:21]
	s_cbranch_execnz .LBB398_310
.LBB398_251:
	s_or_b64 exec, exec, s[40:41]
	s_and_saveexec_b64 s[40:41], s[18:19]
	s_cbranch_execnz .LBB398_311
.LBB398_252:
	s_or_b64 exec, exec, s[40:41]
	s_and_saveexec_b64 s[40:41], s[16:17]
	s_cbranch_execnz .LBB398_312
.LBB398_253:
	s_or_b64 exec, exec, s[40:41]
	s_and_saveexec_b64 s[40:41], s[14:15]
	s_cbranch_execnz .LBB398_313
.LBB398_254:
	s_or_b64 exec, exec, s[40:41]
	s_and_saveexec_b64 s[40:41], s[12:13]
	s_cbranch_execnz .LBB398_314
.LBB398_255:
	s_or_b64 exec, exec, s[40:41]
	s_and_saveexec_b64 s[40:41], s[8:9]
	s_cbranch_execnz .LBB398_315
.LBB398_256:
	s_or_b64 exec, exec, s[40:41]
	s_and_saveexec_b64 s[40:41], s[10:11]
	s_cbranch_execnz .LBB398_316
.LBB398_257:
	s_or_b64 exec, exec, s[40:41]
	s_and_saveexec_b64 s[40:41], s[6:7]
	s_cbranch_execz .LBB398_259
.LBB398_258:
	v_sub_u32_e32 v26, v13, v8
	v_mov_b32_e32 v27, 0
	v_lshlrev_b64 v[26:27], 3, v[26:27]
	v_add_co_u32_e32 v26, vcc, v6, v26
	v_addc_co_u32_e32 v27, vcc, v7, v27, vcc
	global_store_dwordx2 v[26:27], v[65:66], off
.LBB398_259:
	s_or_b64 exec, exec, s[40:41]
	s_and_b64 s[40:41], s[4:5], exec
	s_andn2_saveexec_b64 s[36:37], s[36:37]
	s_cbranch_execz .LBB398_193
.LBB398_260:
	v_sub_u32_e32 v26, v34, v8
	v_mov_b32_e32 v27, 0
	v_lshlrev_b64 v[28:29], 3, v[26:27]
	v_sub_u32_e32 v26, v25, v8
	v_add_co_u32_e32 v28, vcc, v6, v28
	v_addc_co_u32_e32 v29, vcc, v7, v29, vcc
	global_store_dwordx2 v[28:29], v[63:64], off
	v_lshlrev_b64 v[28:29], 3, v[26:27]
	v_sub_u32_e32 v26, v24, v8
	v_add_co_u32_e32 v28, vcc, v6, v28
	v_addc_co_u32_e32 v29, vcc, v7, v29, vcc
	global_store_dwordx2 v[28:29], v[39:40], off
	;; [unrolled: 5-line block ×12, first 2 shown]
	v_lshlrev_b64 v[28:29], 3, v[26:27]
	v_sub_u32_e32 v26, v13, v8
	v_add_co_u32_e32 v28, vcc, v6, v28
	v_lshlrev_b64 v[26:27], 3, v[26:27]
	v_addc_co_u32_e32 v29, vcc, v7, v29, vcc
	v_add_co_u32_e32 v26, vcc, v6, v26
	v_addc_co_u32_e32 v27, vcc, v7, v27, vcc
	s_or_b64 s[40:41], s[40:41], exec
	global_store_dwordx2 v[28:29], v[61:62], off
	global_store_dwordx2 v[26:27], v[65:66], off
	s_or_b64 exec, exec, s[36:37]
	s_and_b64 exec, exec, s[40:41]
	s_cbranch_execnz .LBB398_194
	s_branch .LBB398_195
.LBB398_261:
	s_and_saveexec_b64 s[40:41], s[34:35]
	s_cbranch_execnz .LBB398_317
; %bb.262:
	s_or_b64 exec, exec, s[40:41]
	s_and_saveexec_b64 s[34:35], s[30:31]
	s_cbranch_execnz .LBB398_318
.LBB398_263:
	s_or_b64 exec, exec, s[34:35]
	s_and_saveexec_b64 s[30:31], s[28:29]
	s_cbranch_execnz .LBB398_319
.LBB398_264:
	s_or_b64 exec, exec, s[30:31]
	s_and_saveexec_b64 s[28:29], s[26:27]
	s_cbranch_execnz .LBB398_320
.LBB398_265:
	s_or_b64 exec, exec, s[28:29]
	s_and_saveexec_b64 s[26:27], s[24:25]
	s_cbranch_execnz .LBB398_321
.LBB398_266:
	s_or_b64 exec, exec, s[26:27]
	s_and_saveexec_b64 s[24:25], s[22:23]
	s_cbranch_execnz .LBB398_322
.LBB398_267:
	s_or_b64 exec, exec, s[24:25]
	s_and_saveexec_b64 s[22:23], s[20:21]
	s_cbranch_execnz .LBB398_323
.LBB398_268:
	s_or_b64 exec, exec, s[22:23]
	s_and_saveexec_b64 s[20:21], s[18:19]
	s_cbranch_execnz .LBB398_324
.LBB398_269:
	s_or_b64 exec, exec, s[20:21]
	s_and_saveexec_b64 s[18:19], s[16:17]
	s_cbranch_execnz .LBB398_325
.LBB398_270:
	s_or_b64 exec, exec, s[18:19]
	s_and_saveexec_b64 s[16:17], s[14:15]
	s_cbranch_execnz .LBB398_326
.LBB398_271:
	s_or_b64 exec, exec, s[16:17]
	s_and_saveexec_b64 s[14:15], s[12:13]
	s_cbranch_execnz .LBB398_327
.LBB398_272:
	s_or_b64 exec, exec, s[14:15]
	s_and_saveexec_b64 s[12:13], s[8:9]
	s_cbranch_execnz .LBB398_328
.LBB398_273:
	s_or_b64 exec, exec, s[12:13]
	s_and_saveexec_b64 s[8:9], s[10:11]
	s_cbranch_execnz .LBB398_329
.LBB398_274:
	s_or_b64 exec, exec, s[8:9]
	s_and_saveexec_b64 s[8:9], s[6:7]
.LBB398_275:
	v_sub_u32_e32 v9, v13, v8
	v_lshlrev_b32_e32 v9, 3, v9
	ds_write_b64 v9, v[65:66]
.LBB398_276:
	s_or_b64 exec, exec, s[8:9]
	s_and_b64 s[40:41], s[4:5], exec
                                        ; implicit-def: $vgpr63_vgpr64
                                        ; implicit-def: $vgpr39_vgpr40
                                        ; implicit-def: $vgpr41_vgpr42
                                        ; implicit-def: $vgpr43_vgpr44
                                        ; implicit-def: $vgpr45_vgpr46
                                        ; implicit-def: $vgpr47_vgpr48
                                        ; implicit-def: $vgpr49_vgpr50
                                        ; implicit-def: $vgpr51_vgpr52
                                        ; implicit-def: $vgpr53_vgpr54
                                        ; implicit-def: $vgpr55_vgpr56
                                        ; implicit-def: $vgpr57_vgpr58
                                        ; implicit-def: $vgpr59_vgpr60
                                        ; implicit-def: $vgpr61_vgpr62
                                        ; implicit-def: $vgpr65_vgpr66
                                        ; implicit-def: $vgpr34
                                        ; implicit-def: $vgpr25
                                        ; implicit-def: $vgpr24
                                        ; implicit-def: $vgpr23
                                        ; implicit-def: $vgpr22
                                        ; implicit-def: $vgpr21
                                        ; implicit-def: $vgpr20
                                        ; implicit-def: $vgpr19
                                        ; implicit-def: $vgpr18
                                        ; implicit-def: $vgpr17
                                        ; implicit-def: $vgpr16
                                        ; implicit-def: $vgpr15
                                        ; implicit-def: $vgpr14
                                        ; implicit-def: $vgpr13
	s_andn2_saveexec_b64 s[4:5], s[38:39]
	s_cbranch_execz .LBB398_200
.LBB398_277:
	v_sub_u32_e32 v9, v34, v8
	v_lshlrev_b32_e32 v9, 3, v9
	ds_write_b64 v9, v[63:64]
	v_sub_u32_e32 v9, v25, v8
	v_lshlrev_b32_e32 v9, 3, v9
	ds_write_b64 v9, v[39:40]
	v_sub_u32_e32 v9, v24, v8
	v_lshlrev_b32_e32 v9, 3, v9
	ds_write_b64 v9, v[41:42]
	v_sub_u32_e32 v9, v23, v8
	v_lshlrev_b32_e32 v9, 3, v9
	ds_write_b64 v9, v[43:44]
	v_sub_u32_e32 v9, v22, v8
	v_lshlrev_b32_e32 v9, 3, v9
	ds_write_b64 v9, v[45:46]
	v_sub_u32_e32 v9, v21, v8
	v_lshlrev_b32_e32 v9, 3, v9
	ds_write_b64 v9, v[47:48]
	v_sub_u32_e32 v9, v20, v8
	v_lshlrev_b32_e32 v9, 3, v9
	ds_write_b64 v9, v[49:50]
	v_sub_u32_e32 v9, v19, v8
	v_lshlrev_b32_e32 v9, 3, v9
	ds_write_b64 v9, v[51:52]
	v_sub_u32_e32 v9, v18, v8
	v_lshlrev_b32_e32 v9, 3, v9
	ds_write_b64 v9, v[53:54]
	v_sub_u32_e32 v9, v17, v8
	v_lshlrev_b32_e32 v9, 3, v9
	ds_write_b64 v9, v[55:56]
	v_sub_u32_e32 v9, v16, v8
	v_lshlrev_b32_e32 v9, 3, v9
	ds_write_b64 v9, v[57:58]
	v_sub_u32_e32 v9, v15, v8
	v_lshlrev_b32_e32 v9, 3, v9
	ds_write_b64 v9, v[59:60]
	v_sub_u32_e32 v9, v14, v8
	v_lshlrev_b32_e32 v9, 3, v9
	ds_write_b64 v9, v[61:62]
	v_sub_u32_e32 v9, v13, v8
	v_lshlrev_b32_e32 v9, 3, v9
	s_or_b64 s[40:41], s[40:41], exec
	ds_write_b64 v9, v[65:66]
	s_or_b64 exec, exec, s[4:5]
	s_and_b64 exec, exec, s[40:41]
	s_cbranch_execnz .LBB398_201
	s_branch .LBB398_202
.LBB398_278:
	v_sub_u32_e32 v3, v34, v37
	v_readfirstlane_b32 s44, v26
	v_readfirstlane_b32 s45, v27
	s_nop 4
	global_store_byte v3, v72, s[44:45]
	s_or_b64 exec, exec, s[42:43]
	s_and_saveexec_b64 s[42:43], s[34:35]
	s_cbranch_execz .LBB398_212
.LBB398_279:
	v_sub_u32_e32 v3, v25, v37
	v_readfirstlane_b32 s44, v26
	v_readfirstlane_b32 s45, v27
	s_nop 4
	global_store_byte v3, v71, s[44:45]
	s_or_b64 exec, exec, s[42:43]
	s_and_saveexec_b64 s[42:43], s[30:31]
	s_cbranch_execz .LBB398_213
.LBB398_280:
	v_sub_u32_e32 v3, v24, v37
	v_readfirstlane_b32 s44, v26
	v_readfirstlane_b32 s45, v27
	s_nop 4
	global_store_byte v3, v1, s[44:45]
	s_or_b64 exec, exec, s[42:43]
	s_and_saveexec_b64 s[42:43], s[28:29]
	s_cbranch_execz .LBB398_214
.LBB398_281:
	v_sub_u32_e32 v3, v23, v37
	v_readfirstlane_b32 s44, v26
	v_readfirstlane_b32 s45, v27
	s_nop 4
	global_store_byte v3, v30, s[44:45]
	s_or_b64 exec, exec, s[42:43]
	s_and_saveexec_b64 s[42:43], s[26:27]
	s_cbranch_execz .LBB398_215
.LBB398_282:
	v_sub_u32_e32 v3, v22, v37
	v_lshrrev_b32_e32 v6, 8, v30
	v_readfirstlane_b32 s44, v26
	v_readfirstlane_b32 s45, v27
	s_nop 4
	global_store_byte v3, v6, s[44:45]
	s_or_b64 exec, exec, s[42:43]
	s_and_saveexec_b64 s[42:43], s[24:25]
	s_cbranch_execz .LBB398_216
.LBB398_283:
	v_sub_u32_e32 v3, v21, v37
	v_readfirstlane_b32 s44, v26
	v_readfirstlane_b32 s45, v27
	s_nop 4
	global_store_byte_d16_hi v3, v30, s[44:45]
	s_or_b64 exec, exec, s[42:43]
	s_and_saveexec_b64 s[42:43], s[22:23]
	s_cbranch_execz .LBB398_217
.LBB398_284:
	v_sub_u32_e32 v3, v20, v37
	v_lshrrev_b32_e32 v6, 24, v30
	v_readfirstlane_b32 s44, v26
	v_readfirstlane_b32 s45, v27
	s_nop 4
	global_store_byte v3, v6, s[44:45]
	s_or_b64 exec, exec, s[42:43]
	s_and_saveexec_b64 s[42:43], s[20:21]
	s_cbranch_execz .LBB398_218
.LBB398_285:
	v_sub_u32_e32 v3, v19, v37
	v_readfirstlane_b32 s44, v26
	v_readfirstlane_b32 s45, v27
	s_nop 4
	global_store_byte v3, v31, s[44:45]
	s_or_b64 exec, exec, s[42:43]
	s_and_saveexec_b64 s[42:43], s[18:19]
	s_cbranch_execz .LBB398_219
.LBB398_286:
	v_sub_u32_e32 v3, v18, v37
	v_lshrrev_b32_e32 v6, 8, v31
	v_readfirstlane_b32 s44, v26
	v_readfirstlane_b32 s45, v27
	s_nop 4
	global_store_byte v3, v6, s[44:45]
	s_or_b64 exec, exec, s[42:43]
	s_and_saveexec_b64 s[42:43], s[16:17]
	s_cbranch_execz .LBB398_220
.LBB398_287:
	v_sub_u32_e32 v3, v17, v37
	v_readfirstlane_b32 s44, v26
	v_readfirstlane_b32 s45, v27
	s_nop 4
	global_store_byte_d16_hi v3, v31, s[44:45]
	s_or_b64 exec, exec, s[42:43]
	s_and_saveexec_b64 s[42:43], s[14:15]
	s_cbranch_execz .LBB398_221
.LBB398_288:
	v_sub_u32_e32 v3, v16, v37
	v_lshrrev_b32_e32 v6, 24, v31
	v_readfirstlane_b32 s44, v26
	v_readfirstlane_b32 s45, v27
	s_nop 4
	global_store_byte v3, v6, s[44:45]
	s_or_b64 exec, exec, s[42:43]
	s_and_saveexec_b64 s[42:43], s[12:13]
	s_cbranch_execz .LBB398_222
.LBB398_289:
	v_sub_u32_e32 v3, v15, v37
	v_readfirstlane_b32 s44, v26
	v_readfirstlane_b32 s45, v27
	s_nop 4
	global_store_byte v3, v32, s[44:45]
	s_or_b64 exec, exec, s[42:43]
	s_and_saveexec_b64 s[42:43], s[8:9]
	s_cbranch_execz .LBB398_223
.LBB398_290:
	v_sub_u32_e32 v3, v14, v37
	v_lshrrev_b32_e32 v6, 8, v32
	v_readfirstlane_b32 s44, v26
	v_readfirstlane_b32 s45, v27
	s_nop 4
	global_store_byte v3, v6, s[44:45]
	s_or_b64 exec, exec, s[42:43]
	s_and_saveexec_b64 s[42:43], s[6:7]
	s_cbranch_execnz .LBB398_224
	s_branch .LBB398_225
.LBB398_291:
	v_sub_u32_e32 v2, v34, v37
	ds_write_b8 v2, v72
	s_or_b64 exec, exec, s[42:43]
	s_and_saveexec_b64 s[36:37], s[34:35]
	s_cbranch_execz .LBB398_229
.LBB398_292:
	v_sub_u32_e32 v2, v25, v37
	ds_write_b8 v2, v71
	s_or_b64 exec, exec, s[36:37]
	s_and_saveexec_b64 s[34:35], s[30:31]
	s_cbranch_execz .LBB398_230
.LBB398_293:
	v_sub_u32_e32 v2, v24, v37
	ds_write_b8 v2, v1
	s_or_b64 exec, exec, s[34:35]
	s_and_saveexec_b64 s[30:31], s[28:29]
	s_cbranch_execz .LBB398_231
.LBB398_294:
	v_sub_u32_e32 v1, v23, v37
	ds_write_b8 v1, v30
	s_or_b64 exec, exec, s[30:31]
	s_and_saveexec_b64 s[28:29], s[26:27]
	s_cbranch_execz .LBB398_232
.LBB398_295:
	v_sub_u32_e32 v1, v22, v37
	v_lshrrev_b32_e32 v2, 8, v30
	ds_write_b8 v1, v2
	s_or_b64 exec, exec, s[28:29]
	s_and_saveexec_b64 s[26:27], s[24:25]
	s_cbranch_execz .LBB398_233
.LBB398_296:
	v_sub_u32_e32 v1, v21, v37
	ds_write_b8_d16_hi v1, v30
	s_or_b64 exec, exec, s[26:27]
	s_and_saveexec_b64 s[24:25], s[22:23]
	s_cbranch_execz .LBB398_234
.LBB398_297:
	v_sub_u32_e32 v1, v20, v37
	v_lshrrev_b32_e32 v2, 24, v30
	ds_write_b8 v1, v2
	s_or_b64 exec, exec, s[24:25]
	s_and_saveexec_b64 s[22:23], s[20:21]
	s_cbranch_execz .LBB398_235
.LBB398_298:
	v_sub_u32_e32 v1, v19, v37
	ds_write_b8 v1, v31
	s_or_b64 exec, exec, s[22:23]
	s_and_saveexec_b64 s[20:21], s[18:19]
	s_cbranch_execz .LBB398_236
.LBB398_299:
	v_sub_u32_e32 v1, v18, v37
	v_lshrrev_b32_e32 v2, 8, v31
	ds_write_b8 v1, v2
	s_or_b64 exec, exec, s[20:21]
	s_and_saveexec_b64 s[18:19], s[16:17]
	s_cbranch_execz .LBB398_237
.LBB398_300:
	v_sub_u32_e32 v1, v17, v37
	ds_write_b8_d16_hi v1, v31
	s_or_b64 exec, exec, s[18:19]
	s_and_saveexec_b64 s[16:17], s[14:15]
	s_cbranch_execz .LBB398_238
.LBB398_301:
	v_sub_u32_e32 v1, v16, v37
	v_lshrrev_b32_e32 v2, 24, v31
	ds_write_b8 v1, v2
	s_or_b64 exec, exec, s[16:17]
	s_and_saveexec_b64 s[14:15], s[12:13]
	s_cbranch_execz .LBB398_239
.LBB398_302:
	v_sub_u32_e32 v1, v15, v37
	ds_write_b8 v1, v32
	s_or_b64 exec, exec, s[14:15]
	s_and_saveexec_b64 s[12:13], s[8:9]
	s_cbranch_execz .LBB398_240
.LBB398_303:
	v_sub_u32_e32 v1, v14, v37
	v_lshrrev_b32_e32 v2, 8, v32
	ds_write_b8 v1, v2
	s_or_b64 exec, exec, s[12:13]
	s_and_saveexec_b64 s[8:9], s[6:7]
	s_cbranch_execnz .LBB398_241
	s_branch .LBB398_242
.LBB398_304:
	v_sub_u32_e32 v26, v34, v8
	v_mov_b32_e32 v27, 0
	v_lshlrev_b64 v[26:27], 3, v[26:27]
	v_add_co_u32_e32 v26, vcc, v6, v26
	v_addc_co_u32_e32 v27, vcc, v7, v27, vcc
	global_store_dwordx2 v[26:27], v[63:64], off
	s_or_b64 exec, exec, s[40:41]
	s_and_saveexec_b64 s[40:41], s[30:31]
	s_cbranch_execz .LBB398_246
.LBB398_305:
	v_sub_u32_e32 v26, v25, v8
	v_mov_b32_e32 v27, 0
	v_lshlrev_b64 v[26:27], 3, v[26:27]
	v_add_co_u32_e32 v26, vcc, v6, v26
	v_addc_co_u32_e32 v27, vcc, v7, v27, vcc
	global_store_dwordx2 v[26:27], v[39:40], off
	s_or_b64 exec, exec, s[40:41]
	s_and_saveexec_b64 s[40:41], s[28:29]
	s_cbranch_execz .LBB398_247
.LBB398_306:
	v_sub_u32_e32 v26, v24, v8
	v_mov_b32_e32 v27, 0
	v_lshlrev_b64 v[26:27], 3, v[26:27]
	v_add_co_u32_e32 v26, vcc, v6, v26
	v_addc_co_u32_e32 v27, vcc, v7, v27, vcc
	global_store_dwordx2 v[26:27], v[41:42], off
	s_or_b64 exec, exec, s[40:41]
	s_and_saveexec_b64 s[40:41], s[26:27]
	s_cbranch_execz .LBB398_248
.LBB398_307:
	v_sub_u32_e32 v26, v23, v8
	v_mov_b32_e32 v27, 0
	v_lshlrev_b64 v[26:27], 3, v[26:27]
	v_add_co_u32_e32 v26, vcc, v6, v26
	v_addc_co_u32_e32 v27, vcc, v7, v27, vcc
	global_store_dwordx2 v[26:27], v[43:44], off
	s_or_b64 exec, exec, s[40:41]
	s_and_saveexec_b64 s[40:41], s[24:25]
	s_cbranch_execz .LBB398_249
.LBB398_308:
	v_sub_u32_e32 v26, v22, v8
	v_mov_b32_e32 v27, 0
	v_lshlrev_b64 v[26:27], 3, v[26:27]
	v_add_co_u32_e32 v26, vcc, v6, v26
	v_addc_co_u32_e32 v27, vcc, v7, v27, vcc
	global_store_dwordx2 v[26:27], v[45:46], off
	s_or_b64 exec, exec, s[40:41]
	s_and_saveexec_b64 s[40:41], s[22:23]
	s_cbranch_execz .LBB398_250
.LBB398_309:
	v_sub_u32_e32 v26, v21, v8
	v_mov_b32_e32 v27, 0
	v_lshlrev_b64 v[26:27], 3, v[26:27]
	v_add_co_u32_e32 v26, vcc, v6, v26
	v_addc_co_u32_e32 v27, vcc, v7, v27, vcc
	global_store_dwordx2 v[26:27], v[47:48], off
	s_or_b64 exec, exec, s[40:41]
	s_and_saveexec_b64 s[40:41], s[20:21]
	s_cbranch_execz .LBB398_251
.LBB398_310:
	v_sub_u32_e32 v26, v20, v8
	v_mov_b32_e32 v27, 0
	v_lshlrev_b64 v[26:27], 3, v[26:27]
	v_add_co_u32_e32 v26, vcc, v6, v26
	v_addc_co_u32_e32 v27, vcc, v7, v27, vcc
	global_store_dwordx2 v[26:27], v[49:50], off
	s_or_b64 exec, exec, s[40:41]
	s_and_saveexec_b64 s[40:41], s[18:19]
	s_cbranch_execz .LBB398_252
.LBB398_311:
	v_sub_u32_e32 v26, v19, v8
	v_mov_b32_e32 v27, 0
	v_lshlrev_b64 v[26:27], 3, v[26:27]
	v_add_co_u32_e32 v26, vcc, v6, v26
	v_addc_co_u32_e32 v27, vcc, v7, v27, vcc
	global_store_dwordx2 v[26:27], v[51:52], off
	s_or_b64 exec, exec, s[40:41]
	s_and_saveexec_b64 s[40:41], s[16:17]
	s_cbranch_execz .LBB398_253
.LBB398_312:
	v_sub_u32_e32 v26, v18, v8
	v_mov_b32_e32 v27, 0
	v_lshlrev_b64 v[26:27], 3, v[26:27]
	v_add_co_u32_e32 v26, vcc, v6, v26
	v_addc_co_u32_e32 v27, vcc, v7, v27, vcc
	global_store_dwordx2 v[26:27], v[53:54], off
	s_or_b64 exec, exec, s[40:41]
	s_and_saveexec_b64 s[40:41], s[14:15]
	s_cbranch_execz .LBB398_254
.LBB398_313:
	v_sub_u32_e32 v26, v17, v8
	v_mov_b32_e32 v27, 0
	v_lshlrev_b64 v[26:27], 3, v[26:27]
	v_add_co_u32_e32 v26, vcc, v6, v26
	v_addc_co_u32_e32 v27, vcc, v7, v27, vcc
	global_store_dwordx2 v[26:27], v[55:56], off
	s_or_b64 exec, exec, s[40:41]
	s_and_saveexec_b64 s[40:41], s[12:13]
	s_cbranch_execz .LBB398_255
.LBB398_314:
	v_sub_u32_e32 v26, v16, v8
	v_mov_b32_e32 v27, 0
	v_lshlrev_b64 v[26:27], 3, v[26:27]
	v_add_co_u32_e32 v26, vcc, v6, v26
	v_addc_co_u32_e32 v27, vcc, v7, v27, vcc
	global_store_dwordx2 v[26:27], v[57:58], off
	s_or_b64 exec, exec, s[40:41]
	s_and_saveexec_b64 s[40:41], s[8:9]
	s_cbranch_execz .LBB398_256
.LBB398_315:
	v_sub_u32_e32 v26, v15, v8
	v_mov_b32_e32 v27, 0
	v_lshlrev_b64 v[26:27], 3, v[26:27]
	v_add_co_u32_e32 v26, vcc, v6, v26
	v_addc_co_u32_e32 v27, vcc, v7, v27, vcc
	global_store_dwordx2 v[26:27], v[59:60], off
	s_or_b64 exec, exec, s[40:41]
	s_and_saveexec_b64 s[40:41], s[10:11]
	s_cbranch_execz .LBB398_257
.LBB398_316:
	v_sub_u32_e32 v26, v14, v8
	v_mov_b32_e32 v27, 0
	v_lshlrev_b64 v[26:27], 3, v[26:27]
	v_add_co_u32_e32 v26, vcc, v6, v26
	v_addc_co_u32_e32 v27, vcc, v7, v27, vcc
	global_store_dwordx2 v[26:27], v[61:62], off
	s_or_b64 exec, exec, s[40:41]
	s_and_saveexec_b64 s[40:41], s[6:7]
	s_cbranch_execnz .LBB398_258
	s_branch .LBB398_259
.LBB398_317:
	v_sub_u32_e32 v9, v34, v8
	v_lshlrev_b32_e32 v9, 3, v9
	ds_write_b64 v9, v[63:64]
	s_or_b64 exec, exec, s[40:41]
	s_and_saveexec_b64 s[34:35], s[30:31]
	s_cbranch_execz .LBB398_263
.LBB398_318:
	v_sub_u32_e32 v9, v25, v8
	v_lshlrev_b32_e32 v9, 3, v9
	ds_write_b64 v9, v[39:40]
	s_or_b64 exec, exec, s[34:35]
	s_and_saveexec_b64 s[30:31], s[28:29]
	s_cbranch_execz .LBB398_264
.LBB398_319:
	v_sub_u32_e32 v9, v24, v8
	v_lshlrev_b32_e32 v9, 3, v9
	ds_write_b64 v9, v[41:42]
	s_or_b64 exec, exec, s[30:31]
	s_and_saveexec_b64 s[28:29], s[26:27]
	s_cbranch_execz .LBB398_265
.LBB398_320:
	v_sub_u32_e32 v9, v23, v8
	v_lshlrev_b32_e32 v9, 3, v9
	ds_write_b64 v9, v[43:44]
	s_or_b64 exec, exec, s[28:29]
	s_and_saveexec_b64 s[26:27], s[24:25]
	s_cbranch_execz .LBB398_266
.LBB398_321:
	v_sub_u32_e32 v9, v22, v8
	v_lshlrev_b32_e32 v9, 3, v9
	ds_write_b64 v9, v[45:46]
	s_or_b64 exec, exec, s[26:27]
	s_and_saveexec_b64 s[24:25], s[22:23]
	s_cbranch_execz .LBB398_267
.LBB398_322:
	v_sub_u32_e32 v9, v21, v8
	v_lshlrev_b32_e32 v9, 3, v9
	ds_write_b64 v9, v[47:48]
	s_or_b64 exec, exec, s[24:25]
	s_and_saveexec_b64 s[22:23], s[20:21]
	s_cbranch_execz .LBB398_268
.LBB398_323:
	v_sub_u32_e32 v9, v20, v8
	v_lshlrev_b32_e32 v9, 3, v9
	ds_write_b64 v9, v[49:50]
	s_or_b64 exec, exec, s[22:23]
	s_and_saveexec_b64 s[20:21], s[18:19]
	s_cbranch_execz .LBB398_269
.LBB398_324:
	v_sub_u32_e32 v9, v19, v8
	v_lshlrev_b32_e32 v9, 3, v9
	ds_write_b64 v9, v[51:52]
	s_or_b64 exec, exec, s[20:21]
	s_and_saveexec_b64 s[18:19], s[16:17]
	s_cbranch_execz .LBB398_270
.LBB398_325:
	v_sub_u32_e32 v9, v18, v8
	v_lshlrev_b32_e32 v9, 3, v9
	ds_write_b64 v9, v[53:54]
	s_or_b64 exec, exec, s[18:19]
	s_and_saveexec_b64 s[16:17], s[14:15]
	s_cbranch_execz .LBB398_271
.LBB398_326:
	v_sub_u32_e32 v9, v17, v8
	v_lshlrev_b32_e32 v9, 3, v9
	ds_write_b64 v9, v[55:56]
	s_or_b64 exec, exec, s[16:17]
	s_and_saveexec_b64 s[14:15], s[12:13]
	s_cbranch_execz .LBB398_272
.LBB398_327:
	v_sub_u32_e32 v9, v16, v8
	v_lshlrev_b32_e32 v9, 3, v9
	ds_write_b64 v9, v[57:58]
	s_or_b64 exec, exec, s[14:15]
	s_and_saveexec_b64 s[12:13], s[8:9]
	s_cbranch_execz .LBB398_273
.LBB398_328:
	v_sub_u32_e32 v9, v15, v8
	v_lshlrev_b32_e32 v9, 3, v9
	ds_write_b64 v9, v[59:60]
	s_or_b64 exec, exec, s[12:13]
	s_and_saveexec_b64 s[8:9], s[10:11]
	s_cbranch_execz .LBB398_274
.LBB398_329:
	v_sub_u32_e32 v9, v14, v8
	v_lshlrev_b32_e32 v9, 3, v9
	ds_write_b64 v9, v[61:62]
	s_or_b64 exec, exec, s[8:9]
	s_and_saveexec_b64 s[8:9], s[6:7]
	s_cbranch_execnz .LBB398_275
	s_branch .LBB398_276
	.section	.rodata,"a",@progbits
	.p2align	6, 0x0
	.amdhsa_kernel _ZN7rocprim17ROCPRIM_400000_NS6detail17trampoline_kernelINS0_14default_configENS1_29reduce_by_key_config_selectorIhlN6thrust23THRUST_200600_302600_NS4plusIlEEEEZZNS1_33reduce_by_key_impl_wrapped_configILNS1_25lookback_scan_determinismE0ES3_S9_PhNS6_17constant_iteratorIiNS6_11use_defaultESE_EENS6_10device_ptrIhEENSG_IlEEPmS8_NS6_8equal_toIhEEEE10hipError_tPvRmT2_T3_mT4_T5_T6_T7_T8_P12ihipStream_tbENKUlT_T0_E_clISt17integral_constantIbLb0EES12_IbLb1EEEEDaSY_SZ_EUlSY_E_NS1_11comp_targetILNS1_3genE2ELNS1_11target_archE906ELNS1_3gpuE6ELNS1_3repE0EEENS1_30default_config_static_selectorELNS0_4arch9wavefront6targetE1EEEvT1_
		.amdhsa_group_segment_fixed_size 30720
		.amdhsa_private_segment_fixed_size 64
		.amdhsa_kernarg_size 144
		.amdhsa_user_sgpr_count 6
		.amdhsa_user_sgpr_private_segment_buffer 1
		.amdhsa_user_sgpr_dispatch_ptr 0
		.amdhsa_user_sgpr_queue_ptr 0
		.amdhsa_user_sgpr_kernarg_segment_ptr 1
		.amdhsa_user_sgpr_dispatch_id 0
		.amdhsa_user_sgpr_flat_scratch_init 0
		.amdhsa_user_sgpr_private_segment_size 0
		.amdhsa_uses_dynamic_stack 0
		.amdhsa_system_sgpr_private_segment_wavefront_offset 1
		.amdhsa_system_sgpr_workgroup_id_x 1
		.amdhsa_system_sgpr_workgroup_id_y 0
		.amdhsa_system_sgpr_workgroup_id_z 0
		.amdhsa_system_sgpr_workgroup_info 0
		.amdhsa_system_vgpr_workitem_id 0
		.amdhsa_next_free_vgpr 115
		.amdhsa_next_free_sgpr 98
		.amdhsa_reserve_vcc 1
		.amdhsa_reserve_flat_scratch 0
		.amdhsa_float_round_mode_32 0
		.amdhsa_float_round_mode_16_64 0
		.amdhsa_float_denorm_mode_32 3
		.amdhsa_float_denorm_mode_16_64 3
		.amdhsa_dx10_clamp 1
		.amdhsa_ieee_mode 1
		.amdhsa_fp16_overflow 0
		.amdhsa_exception_fp_ieee_invalid_op 0
		.amdhsa_exception_fp_denorm_src 0
		.amdhsa_exception_fp_ieee_div_zero 0
		.amdhsa_exception_fp_ieee_overflow 0
		.amdhsa_exception_fp_ieee_underflow 0
		.amdhsa_exception_fp_ieee_inexact 0
		.amdhsa_exception_int_div_zero 0
	.end_amdhsa_kernel
	.section	.text._ZN7rocprim17ROCPRIM_400000_NS6detail17trampoline_kernelINS0_14default_configENS1_29reduce_by_key_config_selectorIhlN6thrust23THRUST_200600_302600_NS4plusIlEEEEZZNS1_33reduce_by_key_impl_wrapped_configILNS1_25lookback_scan_determinismE0ES3_S9_PhNS6_17constant_iteratorIiNS6_11use_defaultESE_EENS6_10device_ptrIhEENSG_IlEEPmS8_NS6_8equal_toIhEEEE10hipError_tPvRmT2_T3_mT4_T5_T6_T7_T8_P12ihipStream_tbENKUlT_T0_E_clISt17integral_constantIbLb0EES12_IbLb1EEEEDaSY_SZ_EUlSY_E_NS1_11comp_targetILNS1_3genE2ELNS1_11target_archE906ELNS1_3gpuE6ELNS1_3repE0EEENS1_30default_config_static_selectorELNS0_4arch9wavefront6targetE1EEEvT1_,"axG",@progbits,_ZN7rocprim17ROCPRIM_400000_NS6detail17trampoline_kernelINS0_14default_configENS1_29reduce_by_key_config_selectorIhlN6thrust23THRUST_200600_302600_NS4plusIlEEEEZZNS1_33reduce_by_key_impl_wrapped_configILNS1_25lookback_scan_determinismE0ES3_S9_PhNS6_17constant_iteratorIiNS6_11use_defaultESE_EENS6_10device_ptrIhEENSG_IlEEPmS8_NS6_8equal_toIhEEEE10hipError_tPvRmT2_T3_mT4_T5_T6_T7_T8_P12ihipStream_tbENKUlT_T0_E_clISt17integral_constantIbLb0EES12_IbLb1EEEEDaSY_SZ_EUlSY_E_NS1_11comp_targetILNS1_3genE2ELNS1_11target_archE906ELNS1_3gpuE6ELNS1_3repE0EEENS1_30default_config_static_selectorELNS0_4arch9wavefront6targetE1EEEvT1_,comdat
.Lfunc_end398:
	.size	_ZN7rocprim17ROCPRIM_400000_NS6detail17trampoline_kernelINS0_14default_configENS1_29reduce_by_key_config_selectorIhlN6thrust23THRUST_200600_302600_NS4plusIlEEEEZZNS1_33reduce_by_key_impl_wrapped_configILNS1_25lookback_scan_determinismE0ES3_S9_PhNS6_17constant_iteratorIiNS6_11use_defaultESE_EENS6_10device_ptrIhEENSG_IlEEPmS8_NS6_8equal_toIhEEEE10hipError_tPvRmT2_T3_mT4_T5_T6_T7_T8_P12ihipStream_tbENKUlT_T0_E_clISt17integral_constantIbLb0EES12_IbLb1EEEEDaSY_SZ_EUlSY_E_NS1_11comp_targetILNS1_3genE2ELNS1_11target_archE906ELNS1_3gpuE6ELNS1_3repE0EEENS1_30default_config_static_selectorELNS0_4arch9wavefront6targetE1EEEvT1_, .Lfunc_end398-_ZN7rocprim17ROCPRIM_400000_NS6detail17trampoline_kernelINS0_14default_configENS1_29reduce_by_key_config_selectorIhlN6thrust23THRUST_200600_302600_NS4plusIlEEEEZZNS1_33reduce_by_key_impl_wrapped_configILNS1_25lookback_scan_determinismE0ES3_S9_PhNS6_17constant_iteratorIiNS6_11use_defaultESE_EENS6_10device_ptrIhEENSG_IlEEPmS8_NS6_8equal_toIhEEEE10hipError_tPvRmT2_T3_mT4_T5_T6_T7_T8_P12ihipStream_tbENKUlT_T0_E_clISt17integral_constantIbLb0EES12_IbLb1EEEEDaSY_SZ_EUlSY_E_NS1_11comp_targetILNS1_3genE2ELNS1_11target_archE906ELNS1_3gpuE6ELNS1_3repE0EEENS1_30default_config_static_selectorELNS0_4arch9wavefront6targetE1EEEvT1_
                                        ; -- End function
	.set _ZN7rocprim17ROCPRIM_400000_NS6detail17trampoline_kernelINS0_14default_configENS1_29reduce_by_key_config_selectorIhlN6thrust23THRUST_200600_302600_NS4plusIlEEEEZZNS1_33reduce_by_key_impl_wrapped_configILNS1_25lookback_scan_determinismE0ES3_S9_PhNS6_17constant_iteratorIiNS6_11use_defaultESE_EENS6_10device_ptrIhEENSG_IlEEPmS8_NS6_8equal_toIhEEEE10hipError_tPvRmT2_T3_mT4_T5_T6_T7_T8_P12ihipStream_tbENKUlT_T0_E_clISt17integral_constantIbLb0EES12_IbLb1EEEEDaSY_SZ_EUlSY_E_NS1_11comp_targetILNS1_3genE2ELNS1_11target_archE906ELNS1_3gpuE6ELNS1_3repE0EEENS1_30default_config_static_selectorELNS0_4arch9wavefront6targetE1EEEvT1_.num_vgpr, 115
	.set _ZN7rocprim17ROCPRIM_400000_NS6detail17trampoline_kernelINS0_14default_configENS1_29reduce_by_key_config_selectorIhlN6thrust23THRUST_200600_302600_NS4plusIlEEEEZZNS1_33reduce_by_key_impl_wrapped_configILNS1_25lookback_scan_determinismE0ES3_S9_PhNS6_17constant_iteratorIiNS6_11use_defaultESE_EENS6_10device_ptrIhEENSG_IlEEPmS8_NS6_8equal_toIhEEEE10hipError_tPvRmT2_T3_mT4_T5_T6_T7_T8_P12ihipStream_tbENKUlT_T0_E_clISt17integral_constantIbLb0EES12_IbLb1EEEEDaSY_SZ_EUlSY_E_NS1_11comp_targetILNS1_3genE2ELNS1_11target_archE906ELNS1_3gpuE6ELNS1_3repE0EEENS1_30default_config_static_selectorELNS0_4arch9wavefront6targetE1EEEvT1_.num_agpr, 0
	.set _ZN7rocprim17ROCPRIM_400000_NS6detail17trampoline_kernelINS0_14default_configENS1_29reduce_by_key_config_selectorIhlN6thrust23THRUST_200600_302600_NS4plusIlEEEEZZNS1_33reduce_by_key_impl_wrapped_configILNS1_25lookback_scan_determinismE0ES3_S9_PhNS6_17constant_iteratorIiNS6_11use_defaultESE_EENS6_10device_ptrIhEENSG_IlEEPmS8_NS6_8equal_toIhEEEE10hipError_tPvRmT2_T3_mT4_T5_T6_T7_T8_P12ihipStream_tbENKUlT_T0_E_clISt17integral_constantIbLb0EES12_IbLb1EEEEDaSY_SZ_EUlSY_E_NS1_11comp_targetILNS1_3genE2ELNS1_11target_archE906ELNS1_3gpuE6ELNS1_3repE0EEENS1_30default_config_static_selectorELNS0_4arch9wavefront6targetE1EEEvT1_.numbered_sgpr, 68
	.set _ZN7rocprim17ROCPRIM_400000_NS6detail17trampoline_kernelINS0_14default_configENS1_29reduce_by_key_config_selectorIhlN6thrust23THRUST_200600_302600_NS4plusIlEEEEZZNS1_33reduce_by_key_impl_wrapped_configILNS1_25lookback_scan_determinismE0ES3_S9_PhNS6_17constant_iteratorIiNS6_11use_defaultESE_EENS6_10device_ptrIhEENSG_IlEEPmS8_NS6_8equal_toIhEEEE10hipError_tPvRmT2_T3_mT4_T5_T6_T7_T8_P12ihipStream_tbENKUlT_T0_E_clISt17integral_constantIbLb0EES12_IbLb1EEEEDaSY_SZ_EUlSY_E_NS1_11comp_targetILNS1_3genE2ELNS1_11target_archE906ELNS1_3gpuE6ELNS1_3repE0EEENS1_30default_config_static_selectorELNS0_4arch9wavefront6targetE1EEEvT1_.num_named_barrier, 0
	.set _ZN7rocprim17ROCPRIM_400000_NS6detail17trampoline_kernelINS0_14default_configENS1_29reduce_by_key_config_selectorIhlN6thrust23THRUST_200600_302600_NS4plusIlEEEEZZNS1_33reduce_by_key_impl_wrapped_configILNS1_25lookback_scan_determinismE0ES3_S9_PhNS6_17constant_iteratorIiNS6_11use_defaultESE_EENS6_10device_ptrIhEENSG_IlEEPmS8_NS6_8equal_toIhEEEE10hipError_tPvRmT2_T3_mT4_T5_T6_T7_T8_P12ihipStream_tbENKUlT_T0_E_clISt17integral_constantIbLb0EES12_IbLb1EEEEDaSY_SZ_EUlSY_E_NS1_11comp_targetILNS1_3genE2ELNS1_11target_archE906ELNS1_3gpuE6ELNS1_3repE0EEENS1_30default_config_static_selectorELNS0_4arch9wavefront6targetE1EEEvT1_.private_seg_size, 64
	.set _ZN7rocprim17ROCPRIM_400000_NS6detail17trampoline_kernelINS0_14default_configENS1_29reduce_by_key_config_selectorIhlN6thrust23THRUST_200600_302600_NS4plusIlEEEEZZNS1_33reduce_by_key_impl_wrapped_configILNS1_25lookback_scan_determinismE0ES3_S9_PhNS6_17constant_iteratorIiNS6_11use_defaultESE_EENS6_10device_ptrIhEENSG_IlEEPmS8_NS6_8equal_toIhEEEE10hipError_tPvRmT2_T3_mT4_T5_T6_T7_T8_P12ihipStream_tbENKUlT_T0_E_clISt17integral_constantIbLb0EES12_IbLb1EEEEDaSY_SZ_EUlSY_E_NS1_11comp_targetILNS1_3genE2ELNS1_11target_archE906ELNS1_3gpuE6ELNS1_3repE0EEENS1_30default_config_static_selectorELNS0_4arch9wavefront6targetE1EEEvT1_.uses_vcc, 1
	.set _ZN7rocprim17ROCPRIM_400000_NS6detail17trampoline_kernelINS0_14default_configENS1_29reduce_by_key_config_selectorIhlN6thrust23THRUST_200600_302600_NS4plusIlEEEEZZNS1_33reduce_by_key_impl_wrapped_configILNS1_25lookback_scan_determinismE0ES3_S9_PhNS6_17constant_iteratorIiNS6_11use_defaultESE_EENS6_10device_ptrIhEENSG_IlEEPmS8_NS6_8equal_toIhEEEE10hipError_tPvRmT2_T3_mT4_T5_T6_T7_T8_P12ihipStream_tbENKUlT_T0_E_clISt17integral_constantIbLb0EES12_IbLb1EEEEDaSY_SZ_EUlSY_E_NS1_11comp_targetILNS1_3genE2ELNS1_11target_archE906ELNS1_3gpuE6ELNS1_3repE0EEENS1_30default_config_static_selectorELNS0_4arch9wavefront6targetE1EEEvT1_.uses_flat_scratch, 0
	.set _ZN7rocprim17ROCPRIM_400000_NS6detail17trampoline_kernelINS0_14default_configENS1_29reduce_by_key_config_selectorIhlN6thrust23THRUST_200600_302600_NS4plusIlEEEEZZNS1_33reduce_by_key_impl_wrapped_configILNS1_25lookback_scan_determinismE0ES3_S9_PhNS6_17constant_iteratorIiNS6_11use_defaultESE_EENS6_10device_ptrIhEENSG_IlEEPmS8_NS6_8equal_toIhEEEE10hipError_tPvRmT2_T3_mT4_T5_T6_T7_T8_P12ihipStream_tbENKUlT_T0_E_clISt17integral_constantIbLb0EES12_IbLb1EEEEDaSY_SZ_EUlSY_E_NS1_11comp_targetILNS1_3genE2ELNS1_11target_archE906ELNS1_3gpuE6ELNS1_3repE0EEENS1_30default_config_static_selectorELNS0_4arch9wavefront6targetE1EEEvT1_.has_dyn_sized_stack, 0
	.set _ZN7rocprim17ROCPRIM_400000_NS6detail17trampoline_kernelINS0_14default_configENS1_29reduce_by_key_config_selectorIhlN6thrust23THRUST_200600_302600_NS4plusIlEEEEZZNS1_33reduce_by_key_impl_wrapped_configILNS1_25lookback_scan_determinismE0ES3_S9_PhNS6_17constant_iteratorIiNS6_11use_defaultESE_EENS6_10device_ptrIhEENSG_IlEEPmS8_NS6_8equal_toIhEEEE10hipError_tPvRmT2_T3_mT4_T5_T6_T7_T8_P12ihipStream_tbENKUlT_T0_E_clISt17integral_constantIbLb0EES12_IbLb1EEEEDaSY_SZ_EUlSY_E_NS1_11comp_targetILNS1_3genE2ELNS1_11target_archE906ELNS1_3gpuE6ELNS1_3repE0EEENS1_30default_config_static_selectorELNS0_4arch9wavefront6targetE1EEEvT1_.has_recursion, 0
	.set _ZN7rocprim17ROCPRIM_400000_NS6detail17trampoline_kernelINS0_14default_configENS1_29reduce_by_key_config_selectorIhlN6thrust23THRUST_200600_302600_NS4plusIlEEEEZZNS1_33reduce_by_key_impl_wrapped_configILNS1_25lookback_scan_determinismE0ES3_S9_PhNS6_17constant_iteratorIiNS6_11use_defaultESE_EENS6_10device_ptrIhEENSG_IlEEPmS8_NS6_8equal_toIhEEEE10hipError_tPvRmT2_T3_mT4_T5_T6_T7_T8_P12ihipStream_tbENKUlT_T0_E_clISt17integral_constantIbLb0EES12_IbLb1EEEEDaSY_SZ_EUlSY_E_NS1_11comp_targetILNS1_3genE2ELNS1_11target_archE906ELNS1_3gpuE6ELNS1_3repE0EEENS1_30default_config_static_selectorELNS0_4arch9wavefront6targetE1EEEvT1_.has_indirect_call, 0
	.section	.AMDGPU.csdata,"",@progbits
; Kernel info:
; codeLenInByte = 17228
; TotalNumSgprs: 72
; NumVgprs: 115
; ScratchSize: 64
; MemoryBound: 0
; FloatMode: 240
; IeeeMode: 1
; LDSByteSize: 30720 bytes/workgroup (compile time only)
; SGPRBlocks: 12
; VGPRBlocks: 28
; NumSGPRsForWavesPerEU: 102
; NumVGPRsForWavesPerEU: 115
; Occupancy: 2
; WaveLimiterHint : 1
; COMPUTE_PGM_RSRC2:SCRATCH_EN: 1
; COMPUTE_PGM_RSRC2:USER_SGPR: 6
; COMPUTE_PGM_RSRC2:TRAP_HANDLER: 0
; COMPUTE_PGM_RSRC2:TGID_X_EN: 1
; COMPUTE_PGM_RSRC2:TGID_Y_EN: 0
; COMPUTE_PGM_RSRC2:TGID_Z_EN: 0
; COMPUTE_PGM_RSRC2:TIDIG_COMP_CNT: 0
	.section	.text._ZN7rocprim17ROCPRIM_400000_NS6detail17trampoline_kernelINS0_14default_configENS1_29reduce_by_key_config_selectorIhlN6thrust23THRUST_200600_302600_NS4plusIlEEEEZZNS1_33reduce_by_key_impl_wrapped_configILNS1_25lookback_scan_determinismE0ES3_S9_PhNS6_17constant_iteratorIiNS6_11use_defaultESE_EENS6_10device_ptrIhEENSG_IlEEPmS8_NS6_8equal_toIhEEEE10hipError_tPvRmT2_T3_mT4_T5_T6_T7_T8_P12ihipStream_tbENKUlT_T0_E_clISt17integral_constantIbLb0EES12_IbLb1EEEEDaSY_SZ_EUlSY_E_NS1_11comp_targetILNS1_3genE10ELNS1_11target_archE1201ELNS1_3gpuE5ELNS1_3repE0EEENS1_30default_config_static_selectorELNS0_4arch9wavefront6targetE1EEEvT1_,"axG",@progbits,_ZN7rocprim17ROCPRIM_400000_NS6detail17trampoline_kernelINS0_14default_configENS1_29reduce_by_key_config_selectorIhlN6thrust23THRUST_200600_302600_NS4plusIlEEEEZZNS1_33reduce_by_key_impl_wrapped_configILNS1_25lookback_scan_determinismE0ES3_S9_PhNS6_17constant_iteratorIiNS6_11use_defaultESE_EENS6_10device_ptrIhEENSG_IlEEPmS8_NS6_8equal_toIhEEEE10hipError_tPvRmT2_T3_mT4_T5_T6_T7_T8_P12ihipStream_tbENKUlT_T0_E_clISt17integral_constantIbLb0EES12_IbLb1EEEEDaSY_SZ_EUlSY_E_NS1_11comp_targetILNS1_3genE10ELNS1_11target_archE1201ELNS1_3gpuE5ELNS1_3repE0EEENS1_30default_config_static_selectorELNS0_4arch9wavefront6targetE1EEEvT1_,comdat
	.protected	_ZN7rocprim17ROCPRIM_400000_NS6detail17trampoline_kernelINS0_14default_configENS1_29reduce_by_key_config_selectorIhlN6thrust23THRUST_200600_302600_NS4plusIlEEEEZZNS1_33reduce_by_key_impl_wrapped_configILNS1_25lookback_scan_determinismE0ES3_S9_PhNS6_17constant_iteratorIiNS6_11use_defaultESE_EENS6_10device_ptrIhEENSG_IlEEPmS8_NS6_8equal_toIhEEEE10hipError_tPvRmT2_T3_mT4_T5_T6_T7_T8_P12ihipStream_tbENKUlT_T0_E_clISt17integral_constantIbLb0EES12_IbLb1EEEEDaSY_SZ_EUlSY_E_NS1_11comp_targetILNS1_3genE10ELNS1_11target_archE1201ELNS1_3gpuE5ELNS1_3repE0EEENS1_30default_config_static_selectorELNS0_4arch9wavefront6targetE1EEEvT1_ ; -- Begin function _ZN7rocprim17ROCPRIM_400000_NS6detail17trampoline_kernelINS0_14default_configENS1_29reduce_by_key_config_selectorIhlN6thrust23THRUST_200600_302600_NS4plusIlEEEEZZNS1_33reduce_by_key_impl_wrapped_configILNS1_25lookback_scan_determinismE0ES3_S9_PhNS6_17constant_iteratorIiNS6_11use_defaultESE_EENS6_10device_ptrIhEENSG_IlEEPmS8_NS6_8equal_toIhEEEE10hipError_tPvRmT2_T3_mT4_T5_T6_T7_T8_P12ihipStream_tbENKUlT_T0_E_clISt17integral_constantIbLb0EES12_IbLb1EEEEDaSY_SZ_EUlSY_E_NS1_11comp_targetILNS1_3genE10ELNS1_11target_archE1201ELNS1_3gpuE5ELNS1_3repE0EEENS1_30default_config_static_selectorELNS0_4arch9wavefront6targetE1EEEvT1_
	.globl	_ZN7rocprim17ROCPRIM_400000_NS6detail17trampoline_kernelINS0_14default_configENS1_29reduce_by_key_config_selectorIhlN6thrust23THRUST_200600_302600_NS4plusIlEEEEZZNS1_33reduce_by_key_impl_wrapped_configILNS1_25lookback_scan_determinismE0ES3_S9_PhNS6_17constant_iteratorIiNS6_11use_defaultESE_EENS6_10device_ptrIhEENSG_IlEEPmS8_NS6_8equal_toIhEEEE10hipError_tPvRmT2_T3_mT4_T5_T6_T7_T8_P12ihipStream_tbENKUlT_T0_E_clISt17integral_constantIbLb0EES12_IbLb1EEEEDaSY_SZ_EUlSY_E_NS1_11comp_targetILNS1_3genE10ELNS1_11target_archE1201ELNS1_3gpuE5ELNS1_3repE0EEENS1_30default_config_static_selectorELNS0_4arch9wavefront6targetE1EEEvT1_
	.p2align	8
	.type	_ZN7rocprim17ROCPRIM_400000_NS6detail17trampoline_kernelINS0_14default_configENS1_29reduce_by_key_config_selectorIhlN6thrust23THRUST_200600_302600_NS4plusIlEEEEZZNS1_33reduce_by_key_impl_wrapped_configILNS1_25lookback_scan_determinismE0ES3_S9_PhNS6_17constant_iteratorIiNS6_11use_defaultESE_EENS6_10device_ptrIhEENSG_IlEEPmS8_NS6_8equal_toIhEEEE10hipError_tPvRmT2_T3_mT4_T5_T6_T7_T8_P12ihipStream_tbENKUlT_T0_E_clISt17integral_constantIbLb0EES12_IbLb1EEEEDaSY_SZ_EUlSY_E_NS1_11comp_targetILNS1_3genE10ELNS1_11target_archE1201ELNS1_3gpuE5ELNS1_3repE0EEENS1_30default_config_static_selectorELNS0_4arch9wavefront6targetE1EEEvT1_,@function
_ZN7rocprim17ROCPRIM_400000_NS6detail17trampoline_kernelINS0_14default_configENS1_29reduce_by_key_config_selectorIhlN6thrust23THRUST_200600_302600_NS4plusIlEEEEZZNS1_33reduce_by_key_impl_wrapped_configILNS1_25lookback_scan_determinismE0ES3_S9_PhNS6_17constant_iteratorIiNS6_11use_defaultESE_EENS6_10device_ptrIhEENSG_IlEEPmS8_NS6_8equal_toIhEEEE10hipError_tPvRmT2_T3_mT4_T5_T6_T7_T8_P12ihipStream_tbENKUlT_T0_E_clISt17integral_constantIbLb0EES12_IbLb1EEEEDaSY_SZ_EUlSY_E_NS1_11comp_targetILNS1_3genE10ELNS1_11target_archE1201ELNS1_3gpuE5ELNS1_3repE0EEENS1_30default_config_static_selectorELNS0_4arch9wavefront6targetE1EEEvT1_: ; @_ZN7rocprim17ROCPRIM_400000_NS6detail17trampoline_kernelINS0_14default_configENS1_29reduce_by_key_config_selectorIhlN6thrust23THRUST_200600_302600_NS4plusIlEEEEZZNS1_33reduce_by_key_impl_wrapped_configILNS1_25lookback_scan_determinismE0ES3_S9_PhNS6_17constant_iteratorIiNS6_11use_defaultESE_EENS6_10device_ptrIhEENSG_IlEEPmS8_NS6_8equal_toIhEEEE10hipError_tPvRmT2_T3_mT4_T5_T6_T7_T8_P12ihipStream_tbENKUlT_T0_E_clISt17integral_constantIbLb0EES12_IbLb1EEEEDaSY_SZ_EUlSY_E_NS1_11comp_targetILNS1_3genE10ELNS1_11target_archE1201ELNS1_3gpuE5ELNS1_3repE0EEENS1_30default_config_static_selectorELNS0_4arch9wavefront6targetE1EEEvT1_
; %bb.0:
	.section	.rodata,"a",@progbits
	.p2align	6, 0x0
	.amdhsa_kernel _ZN7rocprim17ROCPRIM_400000_NS6detail17trampoline_kernelINS0_14default_configENS1_29reduce_by_key_config_selectorIhlN6thrust23THRUST_200600_302600_NS4plusIlEEEEZZNS1_33reduce_by_key_impl_wrapped_configILNS1_25lookback_scan_determinismE0ES3_S9_PhNS6_17constant_iteratorIiNS6_11use_defaultESE_EENS6_10device_ptrIhEENSG_IlEEPmS8_NS6_8equal_toIhEEEE10hipError_tPvRmT2_T3_mT4_T5_T6_T7_T8_P12ihipStream_tbENKUlT_T0_E_clISt17integral_constantIbLb0EES12_IbLb1EEEEDaSY_SZ_EUlSY_E_NS1_11comp_targetILNS1_3genE10ELNS1_11target_archE1201ELNS1_3gpuE5ELNS1_3repE0EEENS1_30default_config_static_selectorELNS0_4arch9wavefront6targetE1EEEvT1_
		.amdhsa_group_segment_fixed_size 0
		.amdhsa_private_segment_fixed_size 0
		.amdhsa_kernarg_size 144
		.amdhsa_user_sgpr_count 6
		.amdhsa_user_sgpr_private_segment_buffer 1
		.amdhsa_user_sgpr_dispatch_ptr 0
		.amdhsa_user_sgpr_queue_ptr 0
		.amdhsa_user_sgpr_kernarg_segment_ptr 1
		.amdhsa_user_sgpr_dispatch_id 0
		.amdhsa_user_sgpr_flat_scratch_init 0
		.amdhsa_user_sgpr_private_segment_size 0
		.amdhsa_uses_dynamic_stack 0
		.amdhsa_system_sgpr_private_segment_wavefront_offset 0
		.amdhsa_system_sgpr_workgroup_id_x 1
		.amdhsa_system_sgpr_workgroup_id_y 0
		.amdhsa_system_sgpr_workgroup_id_z 0
		.amdhsa_system_sgpr_workgroup_info 0
		.amdhsa_system_vgpr_workitem_id 0
		.amdhsa_next_free_vgpr 1
		.amdhsa_next_free_sgpr 0
		.amdhsa_reserve_vcc 0
		.amdhsa_reserve_flat_scratch 0
		.amdhsa_float_round_mode_32 0
		.amdhsa_float_round_mode_16_64 0
		.amdhsa_float_denorm_mode_32 3
		.amdhsa_float_denorm_mode_16_64 3
		.amdhsa_dx10_clamp 1
		.amdhsa_ieee_mode 1
		.amdhsa_fp16_overflow 0
		.amdhsa_exception_fp_ieee_invalid_op 0
		.amdhsa_exception_fp_denorm_src 0
		.amdhsa_exception_fp_ieee_div_zero 0
		.amdhsa_exception_fp_ieee_overflow 0
		.amdhsa_exception_fp_ieee_underflow 0
		.amdhsa_exception_fp_ieee_inexact 0
		.amdhsa_exception_int_div_zero 0
	.end_amdhsa_kernel
	.section	.text._ZN7rocprim17ROCPRIM_400000_NS6detail17trampoline_kernelINS0_14default_configENS1_29reduce_by_key_config_selectorIhlN6thrust23THRUST_200600_302600_NS4plusIlEEEEZZNS1_33reduce_by_key_impl_wrapped_configILNS1_25lookback_scan_determinismE0ES3_S9_PhNS6_17constant_iteratorIiNS6_11use_defaultESE_EENS6_10device_ptrIhEENSG_IlEEPmS8_NS6_8equal_toIhEEEE10hipError_tPvRmT2_T3_mT4_T5_T6_T7_T8_P12ihipStream_tbENKUlT_T0_E_clISt17integral_constantIbLb0EES12_IbLb1EEEEDaSY_SZ_EUlSY_E_NS1_11comp_targetILNS1_3genE10ELNS1_11target_archE1201ELNS1_3gpuE5ELNS1_3repE0EEENS1_30default_config_static_selectorELNS0_4arch9wavefront6targetE1EEEvT1_,"axG",@progbits,_ZN7rocprim17ROCPRIM_400000_NS6detail17trampoline_kernelINS0_14default_configENS1_29reduce_by_key_config_selectorIhlN6thrust23THRUST_200600_302600_NS4plusIlEEEEZZNS1_33reduce_by_key_impl_wrapped_configILNS1_25lookback_scan_determinismE0ES3_S9_PhNS6_17constant_iteratorIiNS6_11use_defaultESE_EENS6_10device_ptrIhEENSG_IlEEPmS8_NS6_8equal_toIhEEEE10hipError_tPvRmT2_T3_mT4_T5_T6_T7_T8_P12ihipStream_tbENKUlT_T0_E_clISt17integral_constantIbLb0EES12_IbLb1EEEEDaSY_SZ_EUlSY_E_NS1_11comp_targetILNS1_3genE10ELNS1_11target_archE1201ELNS1_3gpuE5ELNS1_3repE0EEENS1_30default_config_static_selectorELNS0_4arch9wavefront6targetE1EEEvT1_,comdat
.Lfunc_end399:
	.size	_ZN7rocprim17ROCPRIM_400000_NS6detail17trampoline_kernelINS0_14default_configENS1_29reduce_by_key_config_selectorIhlN6thrust23THRUST_200600_302600_NS4plusIlEEEEZZNS1_33reduce_by_key_impl_wrapped_configILNS1_25lookback_scan_determinismE0ES3_S9_PhNS6_17constant_iteratorIiNS6_11use_defaultESE_EENS6_10device_ptrIhEENSG_IlEEPmS8_NS6_8equal_toIhEEEE10hipError_tPvRmT2_T3_mT4_T5_T6_T7_T8_P12ihipStream_tbENKUlT_T0_E_clISt17integral_constantIbLb0EES12_IbLb1EEEEDaSY_SZ_EUlSY_E_NS1_11comp_targetILNS1_3genE10ELNS1_11target_archE1201ELNS1_3gpuE5ELNS1_3repE0EEENS1_30default_config_static_selectorELNS0_4arch9wavefront6targetE1EEEvT1_, .Lfunc_end399-_ZN7rocprim17ROCPRIM_400000_NS6detail17trampoline_kernelINS0_14default_configENS1_29reduce_by_key_config_selectorIhlN6thrust23THRUST_200600_302600_NS4plusIlEEEEZZNS1_33reduce_by_key_impl_wrapped_configILNS1_25lookback_scan_determinismE0ES3_S9_PhNS6_17constant_iteratorIiNS6_11use_defaultESE_EENS6_10device_ptrIhEENSG_IlEEPmS8_NS6_8equal_toIhEEEE10hipError_tPvRmT2_T3_mT4_T5_T6_T7_T8_P12ihipStream_tbENKUlT_T0_E_clISt17integral_constantIbLb0EES12_IbLb1EEEEDaSY_SZ_EUlSY_E_NS1_11comp_targetILNS1_3genE10ELNS1_11target_archE1201ELNS1_3gpuE5ELNS1_3repE0EEENS1_30default_config_static_selectorELNS0_4arch9wavefront6targetE1EEEvT1_
                                        ; -- End function
	.set _ZN7rocprim17ROCPRIM_400000_NS6detail17trampoline_kernelINS0_14default_configENS1_29reduce_by_key_config_selectorIhlN6thrust23THRUST_200600_302600_NS4plusIlEEEEZZNS1_33reduce_by_key_impl_wrapped_configILNS1_25lookback_scan_determinismE0ES3_S9_PhNS6_17constant_iteratorIiNS6_11use_defaultESE_EENS6_10device_ptrIhEENSG_IlEEPmS8_NS6_8equal_toIhEEEE10hipError_tPvRmT2_T3_mT4_T5_T6_T7_T8_P12ihipStream_tbENKUlT_T0_E_clISt17integral_constantIbLb0EES12_IbLb1EEEEDaSY_SZ_EUlSY_E_NS1_11comp_targetILNS1_3genE10ELNS1_11target_archE1201ELNS1_3gpuE5ELNS1_3repE0EEENS1_30default_config_static_selectorELNS0_4arch9wavefront6targetE1EEEvT1_.num_vgpr, 0
	.set _ZN7rocprim17ROCPRIM_400000_NS6detail17trampoline_kernelINS0_14default_configENS1_29reduce_by_key_config_selectorIhlN6thrust23THRUST_200600_302600_NS4plusIlEEEEZZNS1_33reduce_by_key_impl_wrapped_configILNS1_25lookback_scan_determinismE0ES3_S9_PhNS6_17constant_iteratorIiNS6_11use_defaultESE_EENS6_10device_ptrIhEENSG_IlEEPmS8_NS6_8equal_toIhEEEE10hipError_tPvRmT2_T3_mT4_T5_T6_T7_T8_P12ihipStream_tbENKUlT_T0_E_clISt17integral_constantIbLb0EES12_IbLb1EEEEDaSY_SZ_EUlSY_E_NS1_11comp_targetILNS1_3genE10ELNS1_11target_archE1201ELNS1_3gpuE5ELNS1_3repE0EEENS1_30default_config_static_selectorELNS0_4arch9wavefront6targetE1EEEvT1_.num_agpr, 0
	.set _ZN7rocprim17ROCPRIM_400000_NS6detail17trampoline_kernelINS0_14default_configENS1_29reduce_by_key_config_selectorIhlN6thrust23THRUST_200600_302600_NS4plusIlEEEEZZNS1_33reduce_by_key_impl_wrapped_configILNS1_25lookback_scan_determinismE0ES3_S9_PhNS6_17constant_iteratorIiNS6_11use_defaultESE_EENS6_10device_ptrIhEENSG_IlEEPmS8_NS6_8equal_toIhEEEE10hipError_tPvRmT2_T3_mT4_T5_T6_T7_T8_P12ihipStream_tbENKUlT_T0_E_clISt17integral_constantIbLb0EES12_IbLb1EEEEDaSY_SZ_EUlSY_E_NS1_11comp_targetILNS1_3genE10ELNS1_11target_archE1201ELNS1_3gpuE5ELNS1_3repE0EEENS1_30default_config_static_selectorELNS0_4arch9wavefront6targetE1EEEvT1_.numbered_sgpr, 0
	.set _ZN7rocprim17ROCPRIM_400000_NS6detail17trampoline_kernelINS0_14default_configENS1_29reduce_by_key_config_selectorIhlN6thrust23THRUST_200600_302600_NS4plusIlEEEEZZNS1_33reduce_by_key_impl_wrapped_configILNS1_25lookback_scan_determinismE0ES3_S9_PhNS6_17constant_iteratorIiNS6_11use_defaultESE_EENS6_10device_ptrIhEENSG_IlEEPmS8_NS6_8equal_toIhEEEE10hipError_tPvRmT2_T3_mT4_T5_T6_T7_T8_P12ihipStream_tbENKUlT_T0_E_clISt17integral_constantIbLb0EES12_IbLb1EEEEDaSY_SZ_EUlSY_E_NS1_11comp_targetILNS1_3genE10ELNS1_11target_archE1201ELNS1_3gpuE5ELNS1_3repE0EEENS1_30default_config_static_selectorELNS0_4arch9wavefront6targetE1EEEvT1_.num_named_barrier, 0
	.set _ZN7rocprim17ROCPRIM_400000_NS6detail17trampoline_kernelINS0_14default_configENS1_29reduce_by_key_config_selectorIhlN6thrust23THRUST_200600_302600_NS4plusIlEEEEZZNS1_33reduce_by_key_impl_wrapped_configILNS1_25lookback_scan_determinismE0ES3_S9_PhNS6_17constant_iteratorIiNS6_11use_defaultESE_EENS6_10device_ptrIhEENSG_IlEEPmS8_NS6_8equal_toIhEEEE10hipError_tPvRmT2_T3_mT4_T5_T6_T7_T8_P12ihipStream_tbENKUlT_T0_E_clISt17integral_constantIbLb0EES12_IbLb1EEEEDaSY_SZ_EUlSY_E_NS1_11comp_targetILNS1_3genE10ELNS1_11target_archE1201ELNS1_3gpuE5ELNS1_3repE0EEENS1_30default_config_static_selectorELNS0_4arch9wavefront6targetE1EEEvT1_.private_seg_size, 0
	.set _ZN7rocprim17ROCPRIM_400000_NS6detail17trampoline_kernelINS0_14default_configENS1_29reduce_by_key_config_selectorIhlN6thrust23THRUST_200600_302600_NS4plusIlEEEEZZNS1_33reduce_by_key_impl_wrapped_configILNS1_25lookback_scan_determinismE0ES3_S9_PhNS6_17constant_iteratorIiNS6_11use_defaultESE_EENS6_10device_ptrIhEENSG_IlEEPmS8_NS6_8equal_toIhEEEE10hipError_tPvRmT2_T3_mT4_T5_T6_T7_T8_P12ihipStream_tbENKUlT_T0_E_clISt17integral_constantIbLb0EES12_IbLb1EEEEDaSY_SZ_EUlSY_E_NS1_11comp_targetILNS1_3genE10ELNS1_11target_archE1201ELNS1_3gpuE5ELNS1_3repE0EEENS1_30default_config_static_selectorELNS0_4arch9wavefront6targetE1EEEvT1_.uses_vcc, 0
	.set _ZN7rocprim17ROCPRIM_400000_NS6detail17trampoline_kernelINS0_14default_configENS1_29reduce_by_key_config_selectorIhlN6thrust23THRUST_200600_302600_NS4plusIlEEEEZZNS1_33reduce_by_key_impl_wrapped_configILNS1_25lookback_scan_determinismE0ES3_S9_PhNS6_17constant_iteratorIiNS6_11use_defaultESE_EENS6_10device_ptrIhEENSG_IlEEPmS8_NS6_8equal_toIhEEEE10hipError_tPvRmT2_T3_mT4_T5_T6_T7_T8_P12ihipStream_tbENKUlT_T0_E_clISt17integral_constantIbLb0EES12_IbLb1EEEEDaSY_SZ_EUlSY_E_NS1_11comp_targetILNS1_3genE10ELNS1_11target_archE1201ELNS1_3gpuE5ELNS1_3repE0EEENS1_30default_config_static_selectorELNS0_4arch9wavefront6targetE1EEEvT1_.uses_flat_scratch, 0
	.set _ZN7rocprim17ROCPRIM_400000_NS6detail17trampoline_kernelINS0_14default_configENS1_29reduce_by_key_config_selectorIhlN6thrust23THRUST_200600_302600_NS4plusIlEEEEZZNS1_33reduce_by_key_impl_wrapped_configILNS1_25lookback_scan_determinismE0ES3_S9_PhNS6_17constant_iteratorIiNS6_11use_defaultESE_EENS6_10device_ptrIhEENSG_IlEEPmS8_NS6_8equal_toIhEEEE10hipError_tPvRmT2_T3_mT4_T5_T6_T7_T8_P12ihipStream_tbENKUlT_T0_E_clISt17integral_constantIbLb0EES12_IbLb1EEEEDaSY_SZ_EUlSY_E_NS1_11comp_targetILNS1_3genE10ELNS1_11target_archE1201ELNS1_3gpuE5ELNS1_3repE0EEENS1_30default_config_static_selectorELNS0_4arch9wavefront6targetE1EEEvT1_.has_dyn_sized_stack, 0
	.set _ZN7rocprim17ROCPRIM_400000_NS6detail17trampoline_kernelINS0_14default_configENS1_29reduce_by_key_config_selectorIhlN6thrust23THRUST_200600_302600_NS4plusIlEEEEZZNS1_33reduce_by_key_impl_wrapped_configILNS1_25lookback_scan_determinismE0ES3_S9_PhNS6_17constant_iteratorIiNS6_11use_defaultESE_EENS6_10device_ptrIhEENSG_IlEEPmS8_NS6_8equal_toIhEEEE10hipError_tPvRmT2_T3_mT4_T5_T6_T7_T8_P12ihipStream_tbENKUlT_T0_E_clISt17integral_constantIbLb0EES12_IbLb1EEEEDaSY_SZ_EUlSY_E_NS1_11comp_targetILNS1_3genE10ELNS1_11target_archE1201ELNS1_3gpuE5ELNS1_3repE0EEENS1_30default_config_static_selectorELNS0_4arch9wavefront6targetE1EEEvT1_.has_recursion, 0
	.set _ZN7rocprim17ROCPRIM_400000_NS6detail17trampoline_kernelINS0_14default_configENS1_29reduce_by_key_config_selectorIhlN6thrust23THRUST_200600_302600_NS4plusIlEEEEZZNS1_33reduce_by_key_impl_wrapped_configILNS1_25lookback_scan_determinismE0ES3_S9_PhNS6_17constant_iteratorIiNS6_11use_defaultESE_EENS6_10device_ptrIhEENSG_IlEEPmS8_NS6_8equal_toIhEEEE10hipError_tPvRmT2_T3_mT4_T5_T6_T7_T8_P12ihipStream_tbENKUlT_T0_E_clISt17integral_constantIbLb0EES12_IbLb1EEEEDaSY_SZ_EUlSY_E_NS1_11comp_targetILNS1_3genE10ELNS1_11target_archE1201ELNS1_3gpuE5ELNS1_3repE0EEENS1_30default_config_static_selectorELNS0_4arch9wavefront6targetE1EEEvT1_.has_indirect_call, 0
	.section	.AMDGPU.csdata,"",@progbits
; Kernel info:
; codeLenInByte = 0
; TotalNumSgprs: 4
; NumVgprs: 0
; ScratchSize: 0
; MemoryBound: 0
; FloatMode: 240
; IeeeMode: 1
; LDSByteSize: 0 bytes/workgroup (compile time only)
; SGPRBlocks: 0
; VGPRBlocks: 0
; NumSGPRsForWavesPerEU: 4
; NumVGPRsForWavesPerEU: 1
; Occupancy: 10
; WaveLimiterHint : 0
; COMPUTE_PGM_RSRC2:SCRATCH_EN: 0
; COMPUTE_PGM_RSRC2:USER_SGPR: 6
; COMPUTE_PGM_RSRC2:TRAP_HANDLER: 0
; COMPUTE_PGM_RSRC2:TGID_X_EN: 1
; COMPUTE_PGM_RSRC2:TGID_Y_EN: 0
; COMPUTE_PGM_RSRC2:TGID_Z_EN: 0
; COMPUTE_PGM_RSRC2:TIDIG_COMP_CNT: 0
	.section	.text._ZN7rocprim17ROCPRIM_400000_NS6detail17trampoline_kernelINS0_14default_configENS1_29reduce_by_key_config_selectorIhlN6thrust23THRUST_200600_302600_NS4plusIlEEEEZZNS1_33reduce_by_key_impl_wrapped_configILNS1_25lookback_scan_determinismE0ES3_S9_PhNS6_17constant_iteratorIiNS6_11use_defaultESE_EENS6_10device_ptrIhEENSG_IlEEPmS8_NS6_8equal_toIhEEEE10hipError_tPvRmT2_T3_mT4_T5_T6_T7_T8_P12ihipStream_tbENKUlT_T0_E_clISt17integral_constantIbLb0EES12_IbLb1EEEEDaSY_SZ_EUlSY_E_NS1_11comp_targetILNS1_3genE10ELNS1_11target_archE1200ELNS1_3gpuE4ELNS1_3repE0EEENS1_30default_config_static_selectorELNS0_4arch9wavefront6targetE1EEEvT1_,"axG",@progbits,_ZN7rocprim17ROCPRIM_400000_NS6detail17trampoline_kernelINS0_14default_configENS1_29reduce_by_key_config_selectorIhlN6thrust23THRUST_200600_302600_NS4plusIlEEEEZZNS1_33reduce_by_key_impl_wrapped_configILNS1_25lookback_scan_determinismE0ES3_S9_PhNS6_17constant_iteratorIiNS6_11use_defaultESE_EENS6_10device_ptrIhEENSG_IlEEPmS8_NS6_8equal_toIhEEEE10hipError_tPvRmT2_T3_mT4_T5_T6_T7_T8_P12ihipStream_tbENKUlT_T0_E_clISt17integral_constantIbLb0EES12_IbLb1EEEEDaSY_SZ_EUlSY_E_NS1_11comp_targetILNS1_3genE10ELNS1_11target_archE1200ELNS1_3gpuE4ELNS1_3repE0EEENS1_30default_config_static_selectorELNS0_4arch9wavefront6targetE1EEEvT1_,comdat
	.protected	_ZN7rocprim17ROCPRIM_400000_NS6detail17trampoline_kernelINS0_14default_configENS1_29reduce_by_key_config_selectorIhlN6thrust23THRUST_200600_302600_NS4plusIlEEEEZZNS1_33reduce_by_key_impl_wrapped_configILNS1_25lookback_scan_determinismE0ES3_S9_PhNS6_17constant_iteratorIiNS6_11use_defaultESE_EENS6_10device_ptrIhEENSG_IlEEPmS8_NS6_8equal_toIhEEEE10hipError_tPvRmT2_T3_mT4_T5_T6_T7_T8_P12ihipStream_tbENKUlT_T0_E_clISt17integral_constantIbLb0EES12_IbLb1EEEEDaSY_SZ_EUlSY_E_NS1_11comp_targetILNS1_3genE10ELNS1_11target_archE1200ELNS1_3gpuE4ELNS1_3repE0EEENS1_30default_config_static_selectorELNS0_4arch9wavefront6targetE1EEEvT1_ ; -- Begin function _ZN7rocprim17ROCPRIM_400000_NS6detail17trampoline_kernelINS0_14default_configENS1_29reduce_by_key_config_selectorIhlN6thrust23THRUST_200600_302600_NS4plusIlEEEEZZNS1_33reduce_by_key_impl_wrapped_configILNS1_25lookback_scan_determinismE0ES3_S9_PhNS6_17constant_iteratorIiNS6_11use_defaultESE_EENS6_10device_ptrIhEENSG_IlEEPmS8_NS6_8equal_toIhEEEE10hipError_tPvRmT2_T3_mT4_T5_T6_T7_T8_P12ihipStream_tbENKUlT_T0_E_clISt17integral_constantIbLb0EES12_IbLb1EEEEDaSY_SZ_EUlSY_E_NS1_11comp_targetILNS1_3genE10ELNS1_11target_archE1200ELNS1_3gpuE4ELNS1_3repE0EEENS1_30default_config_static_selectorELNS0_4arch9wavefront6targetE1EEEvT1_
	.globl	_ZN7rocprim17ROCPRIM_400000_NS6detail17trampoline_kernelINS0_14default_configENS1_29reduce_by_key_config_selectorIhlN6thrust23THRUST_200600_302600_NS4plusIlEEEEZZNS1_33reduce_by_key_impl_wrapped_configILNS1_25lookback_scan_determinismE0ES3_S9_PhNS6_17constant_iteratorIiNS6_11use_defaultESE_EENS6_10device_ptrIhEENSG_IlEEPmS8_NS6_8equal_toIhEEEE10hipError_tPvRmT2_T3_mT4_T5_T6_T7_T8_P12ihipStream_tbENKUlT_T0_E_clISt17integral_constantIbLb0EES12_IbLb1EEEEDaSY_SZ_EUlSY_E_NS1_11comp_targetILNS1_3genE10ELNS1_11target_archE1200ELNS1_3gpuE4ELNS1_3repE0EEENS1_30default_config_static_selectorELNS0_4arch9wavefront6targetE1EEEvT1_
	.p2align	8
	.type	_ZN7rocprim17ROCPRIM_400000_NS6detail17trampoline_kernelINS0_14default_configENS1_29reduce_by_key_config_selectorIhlN6thrust23THRUST_200600_302600_NS4plusIlEEEEZZNS1_33reduce_by_key_impl_wrapped_configILNS1_25lookback_scan_determinismE0ES3_S9_PhNS6_17constant_iteratorIiNS6_11use_defaultESE_EENS6_10device_ptrIhEENSG_IlEEPmS8_NS6_8equal_toIhEEEE10hipError_tPvRmT2_T3_mT4_T5_T6_T7_T8_P12ihipStream_tbENKUlT_T0_E_clISt17integral_constantIbLb0EES12_IbLb1EEEEDaSY_SZ_EUlSY_E_NS1_11comp_targetILNS1_3genE10ELNS1_11target_archE1200ELNS1_3gpuE4ELNS1_3repE0EEENS1_30default_config_static_selectorELNS0_4arch9wavefront6targetE1EEEvT1_,@function
_ZN7rocprim17ROCPRIM_400000_NS6detail17trampoline_kernelINS0_14default_configENS1_29reduce_by_key_config_selectorIhlN6thrust23THRUST_200600_302600_NS4plusIlEEEEZZNS1_33reduce_by_key_impl_wrapped_configILNS1_25lookback_scan_determinismE0ES3_S9_PhNS6_17constant_iteratorIiNS6_11use_defaultESE_EENS6_10device_ptrIhEENSG_IlEEPmS8_NS6_8equal_toIhEEEE10hipError_tPvRmT2_T3_mT4_T5_T6_T7_T8_P12ihipStream_tbENKUlT_T0_E_clISt17integral_constantIbLb0EES12_IbLb1EEEEDaSY_SZ_EUlSY_E_NS1_11comp_targetILNS1_3genE10ELNS1_11target_archE1200ELNS1_3gpuE4ELNS1_3repE0EEENS1_30default_config_static_selectorELNS0_4arch9wavefront6targetE1EEEvT1_: ; @_ZN7rocprim17ROCPRIM_400000_NS6detail17trampoline_kernelINS0_14default_configENS1_29reduce_by_key_config_selectorIhlN6thrust23THRUST_200600_302600_NS4plusIlEEEEZZNS1_33reduce_by_key_impl_wrapped_configILNS1_25lookback_scan_determinismE0ES3_S9_PhNS6_17constant_iteratorIiNS6_11use_defaultESE_EENS6_10device_ptrIhEENSG_IlEEPmS8_NS6_8equal_toIhEEEE10hipError_tPvRmT2_T3_mT4_T5_T6_T7_T8_P12ihipStream_tbENKUlT_T0_E_clISt17integral_constantIbLb0EES12_IbLb1EEEEDaSY_SZ_EUlSY_E_NS1_11comp_targetILNS1_3genE10ELNS1_11target_archE1200ELNS1_3gpuE4ELNS1_3repE0EEENS1_30default_config_static_selectorELNS0_4arch9wavefront6targetE1EEEvT1_
; %bb.0:
	.section	.rodata,"a",@progbits
	.p2align	6, 0x0
	.amdhsa_kernel _ZN7rocprim17ROCPRIM_400000_NS6detail17trampoline_kernelINS0_14default_configENS1_29reduce_by_key_config_selectorIhlN6thrust23THRUST_200600_302600_NS4plusIlEEEEZZNS1_33reduce_by_key_impl_wrapped_configILNS1_25lookback_scan_determinismE0ES3_S9_PhNS6_17constant_iteratorIiNS6_11use_defaultESE_EENS6_10device_ptrIhEENSG_IlEEPmS8_NS6_8equal_toIhEEEE10hipError_tPvRmT2_T3_mT4_T5_T6_T7_T8_P12ihipStream_tbENKUlT_T0_E_clISt17integral_constantIbLb0EES12_IbLb1EEEEDaSY_SZ_EUlSY_E_NS1_11comp_targetILNS1_3genE10ELNS1_11target_archE1200ELNS1_3gpuE4ELNS1_3repE0EEENS1_30default_config_static_selectorELNS0_4arch9wavefront6targetE1EEEvT1_
		.amdhsa_group_segment_fixed_size 0
		.amdhsa_private_segment_fixed_size 0
		.amdhsa_kernarg_size 144
		.amdhsa_user_sgpr_count 6
		.amdhsa_user_sgpr_private_segment_buffer 1
		.amdhsa_user_sgpr_dispatch_ptr 0
		.amdhsa_user_sgpr_queue_ptr 0
		.amdhsa_user_sgpr_kernarg_segment_ptr 1
		.amdhsa_user_sgpr_dispatch_id 0
		.amdhsa_user_sgpr_flat_scratch_init 0
		.amdhsa_user_sgpr_private_segment_size 0
		.amdhsa_uses_dynamic_stack 0
		.amdhsa_system_sgpr_private_segment_wavefront_offset 0
		.amdhsa_system_sgpr_workgroup_id_x 1
		.amdhsa_system_sgpr_workgroup_id_y 0
		.amdhsa_system_sgpr_workgroup_id_z 0
		.amdhsa_system_sgpr_workgroup_info 0
		.amdhsa_system_vgpr_workitem_id 0
		.amdhsa_next_free_vgpr 1
		.amdhsa_next_free_sgpr 0
		.amdhsa_reserve_vcc 0
		.amdhsa_reserve_flat_scratch 0
		.amdhsa_float_round_mode_32 0
		.amdhsa_float_round_mode_16_64 0
		.amdhsa_float_denorm_mode_32 3
		.amdhsa_float_denorm_mode_16_64 3
		.amdhsa_dx10_clamp 1
		.amdhsa_ieee_mode 1
		.amdhsa_fp16_overflow 0
		.amdhsa_exception_fp_ieee_invalid_op 0
		.amdhsa_exception_fp_denorm_src 0
		.amdhsa_exception_fp_ieee_div_zero 0
		.amdhsa_exception_fp_ieee_overflow 0
		.amdhsa_exception_fp_ieee_underflow 0
		.amdhsa_exception_fp_ieee_inexact 0
		.amdhsa_exception_int_div_zero 0
	.end_amdhsa_kernel
	.section	.text._ZN7rocprim17ROCPRIM_400000_NS6detail17trampoline_kernelINS0_14default_configENS1_29reduce_by_key_config_selectorIhlN6thrust23THRUST_200600_302600_NS4plusIlEEEEZZNS1_33reduce_by_key_impl_wrapped_configILNS1_25lookback_scan_determinismE0ES3_S9_PhNS6_17constant_iteratorIiNS6_11use_defaultESE_EENS6_10device_ptrIhEENSG_IlEEPmS8_NS6_8equal_toIhEEEE10hipError_tPvRmT2_T3_mT4_T5_T6_T7_T8_P12ihipStream_tbENKUlT_T0_E_clISt17integral_constantIbLb0EES12_IbLb1EEEEDaSY_SZ_EUlSY_E_NS1_11comp_targetILNS1_3genE10ELNS1_11target_archE1200ELNS1_3gpuE4ELNS1_3repE0EEENS1_30default_config_static_selectorELNS0_4arch9wavefront6targetE1EEEvT1_,"axG",@progbits,_ZN7rocprim17ROCPRIM_400000_NS6detail17trampoline_kernelINS0_14default_configENS1_29reduce_by_key_config_selectorIhlN6thrust23THRUST_200600_302600_NS4plusIlEEEEZZNS1_33reduce_by_key_impl_wrapped_configILNS1_25lookback_scan_determinismE0ES3_S9_PhNS6_17constant_iteratorIiNS6_11use_defaultESE_EENS6_10device_ptrIhEENSG_IlEEPmS8_NS6_8equal_toIhEEEE10hipError_tPvRmT2_T3_mT4_T5_T6_T7_T8_P12ihipStream_tbENKUlT_T0_E_clISt17integral_constantIbLb0EES12_IbLb1EEEEDaSY_SZ_EUlSY_E_NS1_11comp_targetILNS1_3genE10ELNS1_11target_archE1200ELNS1_3gpuE4ELNS1_3repE0EEENS1_30default_config_static_selectorELNS0_4arch9wavefront6targetE1EEEvT1_,comdat
.Lfunc_end400:
	.size	_ZN7rocprim17ROCPRIM_400000_NS6detail17trampoline_kernelINS0_14default_configENS1_29reduce_by_key_config_selectorIhlN6thrust23THRUST_200600_302600_NS4plusIlEEEEZZNS1_33reduce_by_key_impl_wrapped_configILNS1_25lookback_scan_determinismE0ES3_S9_PhNS6_17constant_iteratorIiNS6_11use_defaultESE_EENS6_10device_ptrIhEENSG_IlEEPmS8_NS6_8equal_toIhEEEE10hipError_tPvRmT2_T3_mT4_T5_T6_T7_T8_P12ihipStream_tbENKUlT_T0_E_clISt17integral_constantIbLb0EES12_IbLb1EEEEDaSY_SZ_EUlSY_E_NS1_11comp_targetILNS1_3genE10ELNS1_11target_archE1200ELNS1_3gpuE4ELNS1_3repE0EEENS1_30default_config_static_selectorELNS0_4arch9wavefront6targetE1EEEvT1_, .Lfunc_end400-_ZN7rocprim17ROCPRIM_400000_NS6detail17trampoline_kernelINS0_14default_configENS1_29reduce_by_key_config_selectorIhlN6thrust23THRUST_200600_302600_NS4plusIlEEEEZZNS1_33reduce_by_key_impl_wrapped_configILNS1_25lookback_scan_determinismE0ES3_S9_PhNS6_17constant_iteratorIiNS6_11use_defaultESE_EENS6_10device_ptrIhEENSG_IlEEPmS8_NS6_8equal_toIhEEEE10hipError_tPvRmT2_T3_mT4_T5_T6_T7_T8_P12ihipStream_tbENKUlT_T0_E_clISt17integral_constantIbLb0EES12_IbLb1EEEEDaSY_SZ_EUlSY_E_NS1_11comp_targetILNS1_3genE10ELNS1_11target_archE1200ELNS1_3gpuE4ELNS1_3repE0EEENS1_30default_config_static_selectorELNS0_4arch9wavefront6targetE1EEEvT1_
                                        ; -- End function
	.set _ZN7rocprim17ROCPRIM_400000_NS6detail17trampoline_kernelINS0_14default_configENS1_29reduce_by_key_config_selectorIhlN6thrust23THRUST_200600_302600_NS4plusIlEEEEZZNS1_33reduce_by_key_impl_wrapped_configILNS1_25lookback_scan_determinismE0ES3_S9_PhNS6_17constant_iteratorIiNS6_11use_defaultESE_EENS6_10device_ptrIhEENSG_IlEEPmS8_NS6_8equal_toIhEEEE10hipError_tPvRmT2_T3_mT4_T5_T6_T7_T8_P12ihipStream_tbENKUlT_T0_E_clISt17integral_constantIbLb0EES12_IbLb1EEEEDaSY_SZ_EUlSY_E_NS1_11comp_targetILNS1_3genE10ELNS1_11target_archE1200ELNS1_3gpuE4ELNS1_3repE0EEENS1_30default_config_static_selectorELNS0_4arch9wavefront6targetE1EEEvT1_.num_vgpr, 0
	.set _ZN7rocprim17ROCPRIM_400000_NS6detail17trampoline_kernelINS0_14default_configENS1_29reduce_by_key_config_selectorIhlN6thrust23THRUST_200600_302600_NS4plusIlEEEEZZNS1_33reduce_by_key_impl_wrapped_configILNS1_25lookback_scan_determinismE0ES3_S9_PhNS6_17constant_iteratorIiNS6_11use_defaultESE_EENS6_10device_ptrIhEENSG_IlEEPmS8_NS6_8equal_toIhEEEE10hipError_tPvRmT2_T3_mT4_T5_T6_T7_T8_P12ihipStream_tbENKUlT_T0_E_clISt17integral_constantIbLb0EES12_IbLb1EEEEDaSY_SZ_EUlSY_E_NS1_11comp_targetILNS1_3genE10ELNS1_11target_archE1200ELNS1_3gpuE4ELNS1_3repE0EEENS1_30default_config_static_selectorELNS0_4arch9wavefront6targetE1EEEvT1_.num_agpr, 0
	.set _ZN7rocprim17ROCPRIM_400000_NS6detail17trampoline_kernelINS0_14default_configENS1_29reduce_by_key_config_selectorIhlN6thrust23THRUST_200600_302600_NS4plusIlEEEEZZNS1_33reduce_by_key_impl_wrapped_configILNS1_25lookback_scan_determinismE0ES3_S9_PhNS6_17constant_iteratorIiNS6_11use_defaultESE_EENS6_10device_ptrIhEENSG_IlEEPmS8_NS6_8equal_toIhEEEE10hipError_tPvRmT2_T3_mT4_T5_T6_T7_T8_P12ihipStream_tbENKUlT_T0_E_clISt17integral_constantIbLb0EES12_IbLb1EEEEDaSY_SZ_EUlSY_E_NS1_11comp_targetILNS1_3genE10ELNS1_11target_archE1200ELNS1_3gpuE4ELNS1_3repE0EEENS1_30default_config_static_selectorELNS0_4arch9wavefront6targetE1EEEvT1_.numbered_sgpr, 0
	.set _ZN7rocprim17ROCPRIM_400000_NS6detail17trampoline_kernelINS0_14default_configENS1_29reduce_by_key_config_selectorIhlN6thrust23THRUST_200600_302600_NS4plusIlEEEEZZNS1_33reduce_by_key_impl_wrapped_configILNS1_25lookback_scan_determinismE0ES3_S9_PhNS6_17constant_iteratorIiNS6_11use_defaultESE_EENS6_10device_ptrIhEENSG_IlEEPmS8_NS6_8equal_toIhEEEE10hipError_tPvRmT2_T3_mT4_T5_T6_T7_T8_P12ihipStream_tbENKUlT_T0_E_clISt17integral_constantIbLb0EES12_IbLb1EEEEDaSY_SZ_EUlSY_E_NS1_11comp_targetILNS1_3genE10ELNS1_11target_archE1200ELNS1_3gpuE4ELNS1_3repE0EEENS1_30default_config_static_selectorELNS0_4arch9wavefront6targetE1EEEvT1_.num_named_barrier, 0
	.set _ZN7rocprim17ROCPRIM_400000_NS6detail17trampoline_kernelINS0_14default_configENS1_29reduce_by_key_config_selectorIhlN6thrust23THRUST_200600_302600_NS4plusIlEEEEZZNS1_33reduce_by_key_impl_wrapped_configILNS1_25lookback_scan_determinismE0ES3_S9_PhNS6_17constant_iteratorIiNS6_11use_defaultESE_EENS6_10device_ptrIhEENSG_IlEEPmS8_NS6_8equal_toIhEEEE10hipError_tPvRmT2_T3_mT4_T5_T6_T7_T8_P12ihipStream_tbENKUlT_T0_E_clISt17integral_constantIbLb0EES12_IbLb1EEEEDaSY_SZ_EUlSY_E_NS1_11comp_targetILNS1_3genE10ELNS1_11target_archE1200ELNS1_3gpuE4ELNS1_3repE0EEENS1_30default_config_static_selectorELNS0_4arch9wavefront6targetE1EEEvT1_.private_seg_size, 0
	.set _ZN7rocprim17ROCPRIM_400000_NS6detail17trampoline_kernelINS0_14default_configENS1_29reduce_by_key_config_selectorIhlN6thrust23THRUST_200600_302600_NS4plusIlEEEEZZNS1_33reduce_by_key_impl_wrapped_configILNS1_25lookback_scan_determinismE0ES3_S9_PhNS6_17constant_iteratorIiNS6_11use_defaultESE_EENS6_10device_ptrIhEENSG_IlEEPmS8_NS6_8equal_toIhEEEE10hipError_tPvRmT2_T3_mT4_T5_T6_T7_T8_P12ihipStream_tbENKUlT_T0_E_clISt17integral_constantIbLb0EES12_IbLb1EEEEDaSY_SZ_EUlSY_E_NS1_11comp_targetILNS1_3genE10ELNS1_11target_archE1200ELNS1_3gpuE4ELNS1_3repE0EEENS1_30default_config_static_selectorELNS0_4arch9wavefront6targetE1EEEvT1_.uses_vcc, 0
	.set _ZN7rocprim17ROCPRIM_400000_NS6detail17trampoline_kernelINS0_14default_configENS1_29reduce_by_key_config_selectorIhlN6thrust23THRUST_200600_302600_NS4plusIlEEEEZZNS1_33reduce_by_key_impl_wrapped_configILNS1_25lookback_scan_determinismE0ES3_S9_PhNS6_17constant_iteratorIiNS6_11use_defaultESE_EENS6_10device_ptrIhEENSG_IlEEPmS8_NS6_8equal_toIhEEEE10hipError_tPvRmT2_T3_mT4_T5_T6_T7_T8_P12ihipStream_tbENKUlT_T0_E_clISt17integral_constantIbLb0EES12_IbLb1EEEEDaSY_SZ_EUlSY_E_NS1_11comp_targetILNS1_3genE10ELNS1_11target_archE1200ELNS1_3gpuE4ELNS1_3repE0EEENS1_30default_config_static_selectorELNS0_4arch9wavefront6targetE1EEEvT1_.uses_flat_scratch, 0
	.set _ZN7rocprim17ROCPRIM_400000_NS6detail17trampoline_kernelINS0_14default_configENS1_29reduce_by_key_config_selectorIhlN6thrust23THRUST_200600_302600_NS4plusIlEEEEZZNS1_33reduce_by_key_impl_wrapped_configILNS1_25lookback_scan_determinismE0ES3_S9_PhNS6_17constant_iteratorIiNS6_11use_defaultESE_EENS6_10device_ptrIhEENSG_IlEEPmS8_NS6_8equal_toIhEEEE10hipError_tPvRmT2_T3_mT4_T5_T6_T7_T8_P12ihipStream_tbENKUlT_T0_E_clISt17integral_constantIbLb0EES12_IbLb1EEEEDaSY_SZ_EUlSY_E_NS1_11comp_targetILNS1_3genE10ELNS1_11target_archE1200ELNS1_3gpuE4ELNS1_3repE0EEENS1_30default_config_static_selectorELNS0_4arch9wavefront6targetE1EEEvT1_.has_dyn_sized_stack, 0
	.set _ZN7rocprim17ROCPRIM_400000_NS6detail17trampoline_kernelINS0_14default_configENS1_29reduce_by_key_config_selectorIhlN6thrust23THRUST_200600_302600_NS4plusIlEEEEZZNS1_33reduce_by_key_impl_wrapped_configILNS1_25lookback_scan_determinismE0ES3_S9_PhNS6_17constant_iteratorIiNS6_11use_defaultESE_EENS6_10device_ptrIhEENSG_IlEEPmS8_NS6_8equal_toIhEEEE10hipError_tPvRmT2_T3_mT4_T5_T6_T7_T8_P12ihipStream_tbENKUlT_T0_E_clISt17integral_constantIbLb0EES12_IbLb1EEEEDaSY_SZ_EUlSY_E_NS1_11comp_targetILNS1_3genE10ELNS1_11target_archE1200ELNS1_3gpuE4ELNS1_3repE0EEENS1_30default_config_static_selectorELNS0_4arch9wavefront6targetE1EEEvT1_.has_recursion, 0
	.set _ZN7rocprim17ROCPRIM_400000_NS6detail17trampoline_kernelINS0_14default_configENS1_29reduce_by_key_config_selectorIhlN6thrust23THRUST_200600_302600_NS4plusIlEEEEZZNS1_33reduce_by_key_impl_wrapped_configILNS1_25lookback_scan_determinismE0ES3_S9_PhNS6_17constant_iteratorIiNS6_11use_defaultESE_EENS6_10device_ptrIhEENSG_IlEEPmS8_NS6_8equal_toIhEEEE10hipError_tPvRmT2_T3_mT4_T5_T6_T7_T8_P12ihipStream_tbENKUlT_T0_E_clISt17integral_constantIbLb0EES12_IbLb1EEEEDaSY_SZ_EUlSY_E_NS1_11comp_targetILNS1_3genE10ELNS1_11target_archE1200ELNS1_3gpuE4ELNS1_3repE0EEENS1_30default_config_static_selectorELNS0_4arch9wavefront6targetE1EEEvT1_.has_indirect_call, 0
	.section	.AMDGPU.csdata,"",@progbits
; Kernel info:
; codeLenInByte = 0
; TotalNumSgprs: 4
; NumVgprs: 0
; ScratchSize: 0
; MemoryBound: 0
; FloatMode: 240
; IeeeMode: 1
; LDSByteSize: 0 bytes/workgroup (compile time only)
; SGPRBlocks: 0
; VGPRBlocks: 0
; NumSGPRsForWavesPerEU: 4
; NumVGPRsForWavesPerEU: 1
; Occupancy: 10
; WaveLimiterHint : 0
; COMPUTE_PGM_RSRC2:SCRATCH_EN: 0
; COMPUTE_PGM_RSRC2:USER_SGPR: 6
; COMPUTE_PGM_RSRC2:TRAP_HANDLER: 0
; COMPUTE_PGM_RSRC2:TGID_X_EN: 1
; COMPUTE_PGM_RSRC2:TGID_Y_EN: 0
; COMPUTE_PGM_RSRC2:TGID_Z_EN: 0
; COMPUTE_PGM_RSRC2:TIDIG_COMP_CNT: 0
	.section	.text._ZN7rocprim17ROCPRIM_400000_NS6detail17trampoline_kernelINS0_14default_configENS1_29reduce_by_key_config_selectorIhlN6thrust23THRUST_200600_302600_NS4plusIlEEEEZZNS1_33reduce_by_key_impl_wrapped_configILNS1_25lookback_scan_determinismE0ES3_S9_PhNS6_17constant_iteratorIiNS6_11use_defaultESE_EENS6_10device_ptrIhEENSG_IlEEPmS8_NS6_8equal_toIhEEEE10hipError_tPvRmT2_T3_mT4_T5_T6_T7_T8_P12ihipStream_tbENKUlT_T0_E_clISt17integral_constantIbLb0EES12_IbLb1EEEEDaSY_SZ_EUlSY_E_NS1_11comp_targetILNS1_3genE9ELNS1_11target_archE1100ELNS1_3gpuE3ELNS1_3repE0EEENS1_30default_config_static_selectorELNS0_4arch9wavefront6targetE1EEEvT1_,"axG",@progbits,_ZN7rocprim17ROCPRIM_400000_NS6detail17trampoline_kernelINS0_14default_configENS1_29reduce_by_key_config_selectorIhlN6thrust23THRUST_200600_302600_NS4plusIlEEEEZZNS1_33reduce_by_key_impl_wrapped_configILNS1_25lookback_scan_determinismE0ES3_S9_PhNS6_17constant_iteratorIiNS6_11use_defaultESE_EENS6_10device_ptrIhEENSG_IlEEPmS8_NS6_8equal_toIhEEEE10hipError_tPvRmT2_T3_mT4_T5_T6_T7_T8_P12ihipStream_tbENKUlT_T0_E_clISt17integral_constantIbLb0EES12_IbLb1EEEEDaSY_SZ_EUlSY_E_NS1_11comp_targetILNS1_3genE9ELNS1_11target_archE1100ELNS1_3gpuE3ELNS1_3repE0EEENS1_30default_config_static_selectorELNS0_4arch9wavefront6targetE1EEEvT1_,comdat
	.protected	_ZN7rocprim17ROCPRIM_400000_NS6detail17trampoline_kernelINS0_14default_configENS1_29reduce_by_key_config_selectorIhlN6thrust23THRUST_200600_302600_NS4plusIlEEEEZZNS1_33reduce_by_key_impl_wrapped_configILNS1_25lookback_scan_determinismE0ES3_S9_PhNS6_17constant_iteratorIiNS6_11use_defaultESE_EENS6_10device_ptrIhEENSG_IlEEPmS8_NS6_8equal_toIhEEEE10hipError_tPvRmT2_T3_mT4_T5_T6_T7_T8_P12ihipStream_tbENKUlT_T0_E_clISt17integral_constantIbLb0EES12_IbLb1EEEEDaSY_SZ_EUlSY_E_NS1_11comp_targetILNS1_3genE9ELNS1_11target_archE1100ELNS1_3gpuE3ELNS1_3repE0EEENS1_30default_config_static_selectorELNS0_4arch9wavefront6targetE1EEEvT1_ ; -- Begin function _ZN7rocprim17ROCPRIM_400000_NS6detail17trampoline_kernelINS0_14default_configENS1_29reduce_by_key_config_selectorIhlN6thrust23THRUST_200600_302600_NS4plusIlEEEEZZNS1_33reduce_by_key_impl_wrapped_configILNS1_25lookback_scan_determinismE0ES3_S9_PhNS6_17constant_iteratorIiNS6_11use_defaultESE_EENS6_10device_ptrIhEENSG_IlEEPmS8_NS6_8equal_toIhEEEE10hipError_tPvRmT2_T3_mT4_T5_T6_T7_T8_P12ihipStream_tbENKUlT_T0_E_clISt17integral_constantIbLb0EES12_IbLb1EEEEDaSY_SZ_EUlSY_E_NS1_11comp_targetILNS1_3genE9ELNS1_11target_archE1100ELNS1_3gpuE3ELNS1_3repE0EEENS1_30default_config_static_selectorELNS0_4arch9wavefront6targetE1EEEvT1_
	.globl	_ZN7rocprim17ROCPRIM_400000_NS6detail17trampoline_kernelINS0_14default_configENS1_29reduce_by_key_config_selectorIhlN6thrust23THRUST_200600_302600_NS4plusIlEEEEZZNS1_33reduce_by_key_impl_wrapped_configILNS1_25lookback_scan_determinismE0ES3_S9_PhNS6_17constant_iteratorIiNS6_11use_defaultESE_EENS6_10device_ptrIhEENSG_IlEEPmS8_NS6_8equal_toIhEEEE10hipError_tPvRmT2_T3_mT4_T5_T6_T7_T8_P12ihipStream_tbENKUlT_T0_E_clISt17integral_constantIbLb0EES12_IbLb1EEEEDaSY_SZ_EUlSY_E_NS1_11comp_targetILNS1_3genE9ELNS1_11target_archE1100ELNS1_3gpuE3ELNS1_3repE0EEENS1_30default_config_static_selectorELNS0_4arch9wavefront6targetE1EEEvT1_
	.p2align	8
	.type	_ZN7rocprim17ROCPRIM_400000_NS6detail17trampoline_kernelINS0_14default_configENS1_29reduce_by_key_config_selectorIhlN6thrust23THRUST_200600_302600_NS4plusIlEEEEZZNS1_33reduce_by_key_impl_wrapped_configILNS1_25lookback_scan_determinismE0ES3_S9_PhNS6_17constant_iteratorIiNS6_11use_defaultESE_EENS6_10device_ptrIhEENSG_IlEEPmS8_NS6_8equal_toIhEEEE10hipError_tPvRmT2_T3_mT4_T5_T6_T7_T8_P12ihipStream_tbENKUlT_T0_E_clISt17integral_constantIbLb0EES12_IbLb1EEEEDaSY_SZ_EUlSY_E_NS1_11comp_targetILNS1_3genE9ELNS1_11target_archE1100ELNS1_3gpuE3ELNS1_3repE0EEENS1_30default_config_static_selectorELNS0_4arch9wavefront6targetE1EEEvT1_,@function
_ZN7rocprim17ROCPRIM_400000_NS6detail17trampoline_kernelINS0_14default_configENS1_29reduce_by_key_config_selectorIhlN6thrust23THRUST_200600_302600_NS4plusIlEEEEZZNS1_33reduce_by_key_impl_wrapped_configILNS1_25lookback_scan_determinismE0ES3_S9_PhNS6_17constant_iteratorIiNS6_11use_defaultESE_EENS6_10device_ptrIhEENSG_IlEEPmS8_NS6_8equal_toIhEEEE10hipError_tPvRmT2_T3_mT4_T5_T6_T7_T8_P12ihipStream_tbENKUlT_T0_E_clISt17integral_constantIbLb0EES12_IbLb1EEEEDaSY_SZ_EUlSY_E_NS1_11comp_targetILNS1_3genE9ELNS1_11target_archE1100ELNS1_3gpuE3ELNS1_3repE0EEENS1_30default_config_static_selectorELNS0_4arch9wavefront6targetE1EEEvT1_: ; @_ZN7rocprim17ROCPRIM_400000_NS6detail17trampoline_kernelINS0_14default_configENS1_29reduce_by_key_config_selectorIhlN6thrust23THRUST_200600_302600_NS4plusIlEEEEZZNS1_33reduce_by_key_impl_wrapped_configILNS1_25lookback_scan_determinismE0ES3_S9_PhNS6_17constant_iteratorIiNS6_11use_defaultESE_EENS6_10device_ptrIhEENSG_IlEEPmS8_NS6_8equal_toIhEEEE10hipError_tPvRmT2_T3_mT4_T5_T6_T7_T8_P12ihipStream_tbENKUlT_T0_E_clISt17integral_constantIbLb0EES12_IbLb1EEEEDaSY_SZ_EUlSY_E_NS1_11comp_targetILNS1_3genE9ELNS1_11target_archE1100ELNS1_3gpuE3ELNS1_3repE0EEENS1_30default_config_static_selectorELNS0_4arch9wavefront6targetE1EEEvT1_
; %bb.0:
	.section	.rodata,"a",@progbits
	.p2align	6, 0x0
	.amdhsa_kernel _ZN7rocprim17ROCPRIM_400000_NS6detail17trampoline_kernelINS0_14default_configENS1_29reduce_by_key_config_selectorIhlN6thrust23THRUST_200600_302600_NS4plusIlEEEEZZNS1_33reduce_by_key_impl_wrapped_configILNS1_25lookback_scan_determinismE0ES3_S9_PhNS6_17constant_iteratorIiNS6_11use_defaultESE_EENS6_10device_ptrIhEENSG_IlEEPmS8_NS6_8equal_toIhEEEE10hipError_tPvRmT2_T3_mT4_T5_T6_T7_T8_P12ihipStream_tbENKUlT_T0_E_clISt17integral_constantIbLb0EES12_IbLb1EEEEDaSY_SZ_EUlSY_E_NS1_11comp_targetILNS1_3genE9ELNS1_11target_archE1100ELNS1_3gpuE3ELNS1_3repE0EEENS1_30default_config_static_selectorELNS0_4arch9wavefront6targetE1EEEvT1_
		.amdhsa_group_segment_fixed_size 0
		.amdhsa_private_segment_fixed_size 0
		.amdhsa_kernarg_size 144
		.amdhsa_user_sgpr_count 6
		.amdhsa_user_sgpr_private_segment_buffer 1
		.amdhsa_user_sgpr_dispatch_ptr 0
		.amdhsa_user_sgpr_queue_ptr 0
		.amdhsa_user_sgpr_kernarg_segment_ptr 1
		.amdhsa_user_sgpr_dispatch_id 0
		.amdhsa_user_sgpr_flat_scratch_init 0
		.amdhsa_user_sgpr_private_segment_size 0
		.amdhsa_uses_dynamic_stack 0
		.amdhsa_system_sgpr_private_segment_wavefront_offset 0
		.amdhsa_system_sgpr_workgroup_id_x 1
		.amdhsa_system_sgpr_workgroup_id_y 0
		.amdhsa_system_sgpr_workgroup_id_z 0
		.amdhsa_system_sgpr_workgroup_info 0
		.amdhsa_system_vgpr_workitem_id 0
		.amdhsa_next_free_vgpr 1
		.amdhsa_next_free_sgpr 0
		.amdhsa_reserve_vcc 0
		.amdhsa_reserve_flat_scratch 0
		.amdhsa_float_round_mode_32 0
		.amdhsa_float_round_mode_16_64 0
		.amdhsa_float_denorm_mode_32 3
		.amdhsa_float_denorm_mode_16_64 3
		.amdhsa_dx10_clamp 1
		.amdhsa_ieee_mode 1
		.amdhsa_fp16_overflow 0
		.amdhsa_exception_fp_ieee_invalid_op 0
		.amdhsa_exception_fp_denorm_src 0
		.amdhsa_exception_fp_ieee_div_zero 0
		.amdhsa_exception_fp_ieee_overflow 0
		.amdhsa_exception_fp_ieee_underflow 0
		.amdhsa_exception_fp_ieee_inexact 0
		.amdhsa_exception_int_div_zero 0
	.end_amdhsa_kernel
	.section	.text._ZN7rocprim17ROCPRIM_400000_NS6detail17trampoline_kernelINS0_14default_configENS1_29reduce_by_key_config_selectorIhlN6thrust23THRUST_200600_302600_NS4plusIlEEEEZZNS1_33reduce_by_key_impl_wrapped_configILNS1_25lookback_scan_determinismE0ES3_S9_PhNS6_17constant_iteratorIiNS6_11use_defaultESE_EENS6_10device_ptrIhEENSG_IlEEPmS8_NS6_8equal_toIhEEEE10hipError_tPvRmT2_T3_mT4_T5_T6_T7_T8_P12ihipStream_tbENKUlT_T0_E_clISt17integral_constantIbLb0EES12_IbLb1EEEEDaSY_SZ_EUlSY_E_NS1_11comp_targetILNS1_3genE9ELNS1_11target_archE1100ELNS1_3gpuE3ELNS1_3repE0EEENS1_30default_config_static_selectorELNS0_4arch9wavefront6targetE1EEEvT1_,"axG",@progbits,_ZN7rocprim17ROCPRIM_400000_NS6detail17trampoline_kernelINS0_14default_configENS1_29reduce_by_key_config_selectorIhlN6thrust23THRUST_200600_302600_NS4plusIlEEEEZZNS1_33reduce_by_key_impl_wrapped_configILNS1_25lookback_scan_determinismE0ES3_S9_PhNS6_17constant_iteratorIiNS6_11use_defaultESE_EENS6_10device_ptrIhEENSG_IlEEPmS8_NS6_8equal_toIhEEEE10hipError_tPvRmT2_T3_mT4_T5_T6_T7_T8_P12ihipStream_tbENKUlT_T0_E_clISt17integral_constantIbLb0EES12_IbLb1EEEEDaSY_SZ_EUlSY_E_NS1_11comp_targetILNS1_3genE9ELNS1_11target_archE1100ELNS1_3gpuE3ELNS1_3repE0EEENS1_30default_config_static_selectorELNS0_4arch9wavefront6targetE1EEEvT1_,comdat
.Lfunc_end401:
	.size	_ZN7rocprim17ROCPRIM_400000_NS6detail17trampoline_kernelINS0_14default_configENS1_29reduce_by_key_config_selectorIhlN6thrust23THRUST_200600_302600_NS4plusIlEEEEZZNS1_33reduce_by_key_impl_wrapped_configILNS1_25lookback_scan_determinismE0ES3_S9_PhNS6_17constant_iteratorIiNS6_11use_defaultESE_EENS6_10device_ptrIhEENSG_IlEEPmS8_NS6_8equal_toIhEEEE10hipError_tPvRmT2_T3_mT4_T5_T6_T7_T8_P12ihipStream_tbENKUlT_T0_E_clISt17integral_constantIbLb0EES12_IbLb1EEEEDaSY_SZ_EUlSY_E_NS1_11comp_targetILNS1_3genE9ELNS1_11target_archE1100ELNS1_3gpuE3ELNS1_3repE0EEENS1_30default_config_static_selectorELNS0_4arch9wavefront6targetE1EEEvT1_, .Lfunc_end401-_ZN7rocprim17ROCPRIM_400000_NS6detail17trampoline_kernelINS0_14default_configENS1_29reduce_by_key_config_selectorIhlN6thrust23THRUST_200600_302600_NS4plusIlEEEEZZNS1_33reduce_by_key_impl_wrapped_configILNS1_25lookback_scan_determinismE0ES3_S9_PhNS6_17constant_iteratorIiNS6_11use_defaultESE_EENS6_10device_ptrIhEENSG_IlEEPmS8_NS6_8equal_toIhEEEE10hipError_tPvRmT2_T3_mT4_T5_T6_T7_T8_P12ihipStream_tbENKUlT_T0_E_clISt17integral_constantIbLb0EES12_IbLb1EEEEDaSY_SZ_EUlSY_E_NS1_11comp_targetILNS1_3genE9ELNS1_11target_archE1100ELNS1_3gpuE3ELNS1_3repE0EEENS1_30default_config_static_selectorELNS0_4arch9wavefront6targetE1EEEvT1_
                                        ; -- End function
	.set _ZN7rocprim17ROCPRIM_400000_NS6detail17trampoline_kernelINS0_14default_configENS1_29reduce_by_key_config_selectorIhlN6thrust23THRUST_200600_302600_NS4plusIlEEEEZZNS1_33reduce_by_key_impl_wrapped_configILNS1_25lookback_scan_determinismE0ES3_S9_PhNS6_17constant_iteratorIiNS6_11use_defaultESE_EENS6_10device_ptrIhEENSG_IlEEPmS8_NS6_8equal_toIhEEEE10hipError_tPvRmT2_T3_mT4_T5_T6_T7_T8_P12ihipStream_tbENKUlT_T0_E_clISt17integral_constantIbLb0EES12_IbLb1EEEEDaSY_SZ_EUlSY_E_NS1_11comp_targetILNS1_3genE9ELNS1_11target_archE1100ELNS1_3gpuE3ELNS1_3repE0EEENS1_30default_config_static_selectorELNS0_4arch9wavefront6targetE1EEEvT1_.num_vgpr, 0
	.set _ZN7rocprim17ROCPRIM_400000_NS6detail17trampoline_kernelINS0_14default_configENS1_29reduce_by_key_config_selectorIhlN6thrust23THRUST_200600_302600_NS4plusIlEEEEZZNS1_33reduce_by_key_impl_wrapped_configILNS1_25lookback_scan_determinismE0ES3_S9_PhNS6_17constant_iteratorIiNS6_11use_defaultESE_EENS6_10device_ptrIhEENSG_IlEEPmS8_NS6_8equal_toIhEEEE10hipError_tPvRmT2_T3_mT4_T5_T6_T7_T8_P12ihipStream_tbENKUlT_T0_E_clISt17integral_constantIbLb0EES12_IbLb1EEEEDaSY_SZ_EUlSY_E_NS1_11comp_targetILNS1_3genE9ELNS1_11target_archE1100ELNS1_3gpuE3ELNS1_3repE0EEENS1_30default_config_static_selectorELNS0_4arch9wavefront6targetE1EEEvT1_.num_agpr, 0
	.set _ZN7rocprim17ROCPRIM_400000_NS6detail17trampoline_kernelINS0_14default_configENS1_29reduce_by_key_config_selectorIhlN6thrust23THRUST_200600_302600_NS4plusIlEEEEZZNS1_33reduce_by_key_impl_wrapped_configILNS1_25lookback_scan_determinismE0ES3_S9_PhNS6_17constant_iteratorIiNS6_11use_defaultESE_EENS6_10device_ptrIhEENSG_IlEEPmS8_NS6_8equal_toIhEEEE10hipError_tPvRmT2_T3_mT4_T5_T6_T7_T8_P12ihipStream_tbENKUlT_T0_E_clISt17integral_constantIbLb0EES12_IbLb1EEEEDaSY_SZ_EUlSY_E_NS1_11comp_targetILNS1_3genE9ELNS1_11target_archE1100ELNS1_3gpuE3ELNS1_3repE0EEENS1_30default_config_static_selectorELNS0_4arch9wavefront6targetE1EEEvT1_.numbered_sgpr, 0
	.set _ZN7rocprim17ROCPRIM_400000_NS6detail17trampoline_kernelINS0_14default_configENS1_29reduce_by_key_config_selectorIhlN6thrust23THRUST_200600_302600_NS4plusIlEEEEZZNS1_33reduce_by_key_impl_wrapped_configILNS1_25lookback_scan_determinismE0ES3_S9_PhNS6_17constant_iteratorIiNS6_11use_defaultESE_EENS6_10device_ptrIhEENSG_IlEEPmS8_NS6_8equal_toIhEEEE10hipError_tPvRmT2_T3_mT4_T5_T6_T7_T8_P12ihipStream_tbENKUlT_T0_E_clISt17integral_constantIbLb0EES12_IbLb1EEEEDaSY_SZ_EUlSY_E_NS1_11comp_targetILNS1_3genE9ELNS1_11target_archE1100ELNS1_3gpuE3ELNS1_3repE0EEENS1_30default_config_static_selectorELNS0_4arch9wavefront6targetE1EEEvT1_.num_named_barrier, 0
	.set _ZN7rocprim17ROCPRIM_400000_NS6detail17trampoline_kernelINS0_14default_configENS1_29reduce_by_key_config_selectorIhlN6thrust23THRUST_200600_302600_NS4plusIlEEEEZZNS1_33reduce_by_key_impl_wrapped_configILNS1_25lookback_scan_determinismE0ES3_S9_PhNS6_17constant_iteratorIiNS6_11use_defaultESE_EENS6_10device_ptrIhEENSG_IlEEPmS8_NS6_8equal_toIhEEEE10hipError_tPvRmT2_T3_mT4_T5_T6_T7_T8_P12ihipStream_tbENKUlT_T0_E_clISt17integral_constantIbLb0EES12_IbLb1EEEEDaSY_SZ_EUlSY_E_NS1_11comp_targetILNS1_3genE9ELNS1_11target_archE1100ELNS1_3gpuE3ELNS1_3repE0EEENS1_30default_config_static_selectorELNS0_4arch9wavefront6targetE1EEEvT1_.private_seg_size, 0
	.set _ZN7rocprim17ROCPRIM_400000_NS6detail17trampoline_kernelINS0_14default_configENS1_29reduce_by_key_config_selectorIhlN6thrust23THRUST_200600_302600_NS4plusIlEEEEZZNS1_33reduce_by_key_impl_wrapped_configILNS1_25lookback_scan_determinismE0ES3_S9_PhNS6_17constant_iteratorIiNS6_11use_defaultESE_EENS6_10device_ptrIhEENSG_IlEEPmS8_NS6_8equal_toIhEEEE10hipError_tPvRmT2_T3_mT4_T5_T6_T7_T8_P12ihipStream_tbENKUlT_T0_E_clISt17integral_constantIbLb0EES12_IbLb1EEEEDaSY_SZ_EUlSY_E_NS1_11comp_targetILNS1_3genE9ELNS1_11target_archE1100ELNS1_3gpuE3ELNS1_3repE0EEENS1_30default_config_static_selectorELNS0_4arch9wavefront6targetE1EEEvT1_.uses_vcc, 0
	.set _ZN7rocprim17ROCPRIM_400000_NS6detail17trampoline_kernelINS0_14default_configENS1_29reduce_by_key_config_selectorIhlN6thrust23THRUST_200600_302600_NS4plusIlEEEEZZNS1_33reduce_by_key_impl_wrapped_configILNS1_25lookback_scan_determinismE0ES3_S9_PhNS6_17constant_iteratorIiNS6_11use_defaultESE_EENS6_10device_ptrIhEENSG_IlEEPmS8_NS6_8equal_toIhEEEE10hipError_tPvRmT2_T3_mT4_T5_T6_T7_T8_P12ihipStream_tbENKUlT_T0_E_clISt17integral_constantIbLb0EES12_IbLb1EEEEDaSY_SZ_EUlSY_E_NS1_11comp_targetILNS1_3genE9ELNS1_11target_archE1100ELNS1_3gpuE3ELNS1_3repE0EEENS1_30default_config_static_selectorELNS0_4arch9wavefront6targetE1EEEvT1_.uses_flat_scratch, 0
	.set _ZN7rocprim17ROCPRIM_400000_NS6detail17trampoline_kernelINS0_14default_configENS1_29reduce_by_key_config_selectorIhlN6thrust23THRUST_200600_302600_NS4plusIlEEEEZZNS1_33reduce_by_key_impl_wrapped_configILNS1_25lookback_scan_determinismE0ES3_S9_PhNS6_17constant_iteratorIiNS6_11use_defaultESE_EENS6_10device_ptrIhEENSG_IlEEPmS8_NS6_8equal_toIhEEEE10hipError_tPvRmT2_T3_mT4_T5_T6_T7_T8_P12ihipStream_tbENKUlT_T0_E_clISt17integral_constantIbLb0EES12_IbLb1EEEEDaSY_SZ_EUlSY_E_NS1_11comp_targetILNS1_3genE9ELNS1_11target_archE1100ELNS1_3gpuE3ELNS1_3repE0EEENS1_30default_config_static_selectorELNS0_4arch9wavefront6targetE1EEEvT1_.has_dyn_sized_stack, 0
	.set _ZN7rocprim17ROCPRIM_400000_NS6detail17trampoline_kernelINS0_14default_configENS1_29reduce_by_key_config_selectorIhlN6thrust23THRUST_200600_302600_NS4plusIlEEEEZZNS1_33reduce_by_key_impl_wrapped_configILNS1_25lookback_scan_determinismE0ES3_S9_PhNS6_17constant_iteratorIiNS6_11use_defaultESE_EENS6_10device_ptrIhEENSG_IlEEPmS8_NS6_8equal_toIhEEEE10hipError_tPvRmT2_T3_mT4_T5_T6_T7_T8_P12ihipStream_tbENKUlT_T0_E_clISt17integral_constantIbLb0EES12_IbLb1EEEEDaSY_SZ_EUlSY_E_NS1_11comp_targetILNS1_3genE9ELNS1_11target_archE1100ELNS1_3gpuE3ELNS1_3repE0EEENS1_30default_config_static_selectorELNS0_4arch9wavefront6targetE1EEEvT1_.has_recursion, 0
	.set _ZN7rocprim17ROCPRIM_400000_NS6detail17trampoline_kernelINS0_14default_configENS1_29reduce_by_key_config_selectorIhlN6thrust23THRUST_200600_302600_NS4plusIlEEEEZZNS1_33reduce_by_key_impl_wrapped_configILNS1_25lookback_scan_determinismE0ES3_S9_PhNS6_17constant_iteratorIiNS6_11use_defaultESE_EENS6_10device_ptrIhEENSG_IlEEPmS8_NS6_8equal_toIhEEEE10hipError_tPvRmT2_T3_mT4_T5_T6_T7_T8_P12ihipStream_tbENKUlT_T0_E_clISt17integral_constantIbLb0EES12_IbLb1EEEEDaSY_SZ_EUlSY_E_NS1_11comp_targetILNS1_3genE9ELNS1_11target_archE1100ELNS1_3gpuE3ELNS1_3repE0EEENS1_30default_config_static_selectorELNS0_4arch9wavefront6targetE1EEEvT1_.has_indirect_call, 0
	.section	.AMDGPU.csdata,"",@progbits
; Kernel info:
; codeLenInByte = 0
; TotalNumSgprs: 4
; NumVgprs: 0
; ScratchSize: 0
; MemoryBound: 0
; FloatMode: 240
; IeeeMode: 1
; LDSByteSize: 0 bytes/workgroup (compile time only)
; SGPRBlocks: 0
; VGPRBlocks: 0
; NumSGPRsForWavesPerEU: 4
; NumVGPRsForWavesPerEU: 1
; Occupancy: 10
; WaveLimiterHint : 0
; COMPUTE_PGM_RSRC2:SCRATCH_EN: 0
; COMPUTE_PGM_RSRC2:USER_SGPR: 6
; COMPUTE_PGM_RSRC2:TRAP_HANDLER: 0
; COMPUTE_PGM_RSRC2:TGID_X_EN: 1
; COMPUTE_PGM_RSRC2:TGID_Y_EN: 0
; COMPUTE_PGM_RSRC2:TGID_Z_EN: 0
; COMPUTE_PGM_RSRC2:TIDIG_COMP_CNT: 0
	.section	.text._ZN7rocprim17ROCPRIM_400000_NS6detail17trampoline_kernelINS0_14default_configENS1_29reduce_by_key_config_selectorIhlN6thrust23THRUST_200600_302600_NS4plusIlEEEEZZNS1_33reduce_by_key_impl_wrapped_configILNS1_25lookback_scan_determinismE0ES3_S9_PhNS6_17constant_iteratorIiNS6_11use_defaultESE_EENS6_10device_ptrIhEENSG_IlEEPmS8_NS6_8equal_toIhEEEE10hipError_tPvRmT2_T3_mT4_T5_T6_T7_T8_P12ihipStream_tbENKUlT_T0_E_clISt17integral_constantIbLb0EES12_IbLb1EEEEDaSY_SZ_EUlSY_E_NS1_11comp_targetILNS1_3genE8ELNS1_11target_archE1030ELNS1_3gpuE2ELNS1_3repE0EEENS1_30default_config_static_selectorELNS0_4arch9wavefront6targetE1EEEvT1_,"axG",@progbits,_ZN7rocprim17ROCPRIM_400000_NS6detail17trampoline_kernelINS0_14default_configENS1_29reduce_by_key_config_selectorIhlN6thrust23THRUST_200600_302600_NS4plusIlEEEEZZNS1_33reduce_by_key_impl_wrapped_configILNS1_25lookback_scan_determinismE0ES3_S9_PhNS6_17constant_iteratorIiNS6_11use_defaultESE_EENS6_10device_ptrIhEENSG_IlEEPmS8_NS6_8equal_toIhEEEE10hipError_tPvRmT2_T3_mT4_T5_T6_T7_T8_P12ihipStream_tbENKUlT_T0_E_clISt17integral_constantIbLb0EES12_IbLb1EEEEDaSY_SZ_EUlSY_E_NS1_11comp_targetILNS1_3genE8ELNS1_11target_archE1030ELNS1_3gpuE2ELNS1_3repE0EEENS1_30default_config_static_selectorELNS0_4arch9wavefront6targetE1EEEvT1_,comdat
	.protected	_ZN7rocprim17ROCPRIM_400000_NS6detail17trampoline_kernelINS0_14default_configENS1_29reduce_by_key_config_selectorIhlN6thrust23THRUST_200600_302600_NS4plusIlEEEEZZNS1_33reduce_by_key_impl_wrapped_configILNS1_25lookback_scan_determinismE0ES3_S9_PhNS6_17constant_iteratorIiNS6_11use_defaultESE_EENS6_10device_ptrIhEENSG_IlEEPmS8_NS6_8equal_toIhEEEE10hipError_tPvRmT2_T3_mT4_T5_T6_T7_T8_P12ihipStream_tbENKUlT_T0_E_clISt17integral_constantIbLb0EES12_IbLb1EEEEDaSY_SZ_EUlSY_E_NS1_11comp_targetILNS1_3genE8ELNS1_11target_archE1030ELNS1_3gpuE2ELNS1_3repE0EEENS1_30default_config_static_selectorELNS0_4arch9wavefront6targetE1EEEvT1_ ; -- Begin function _ZN7rocprim17ROCPRIM_400000_NS6detail17trampoline_kernelINS0_14default_configENS1_29reduce_by_key_config_selectorIhlN6thrust23THRUST_200600_302600_NS4plusIlEEEEZZNS1_33reduce_by_key_impl_wrapped_configILNS1_25lookback_scan_determinismE0ES3_S9_PhNS6_17constant_iteratorIiNS6_11use_defaultESE_EENS6_10device_ptrIhEENSG_IlEEPmS8_NS6_8equal_toIhEEEE10hipError_tPvRmT2_T3_mT4_T5_T6_T7_T8_P12ihipStream_tbENKUlT_T0_E_clISt17integral_constantIbLb0EES12_IbLb1EEEEDaSY_SZ_EUlSY_E_NS1_11comp_targetILNS1_3genE8ELNS1_11target_archE1030ELNS1_3gpuE2ELNS1_3repE0EEENS1_30default_config_static_selectorELNS0_4arch9wavefront6targetE1EEEvT1_
	.globl	_ZN7rocprim17ROCPRIM_400000_NS6detail17trampoline_kernelINS0_14default_configENS1_29reduce_by_key_config_selectorIhlN6thrust23THRUST_200600_302600_NS4plusIlEEEEZZNS1_33reduce_by_key_impl_wrapped_configILNS1_25lookback_scan_determinismE0ES3_S9_PhNS6_17constant_iteratorIiNS6_11use_defaultESE_EENS6_10device_ptrIhEENSG_IlEEPmS8_NS6_8equal_toIhEEEE10hipError_tPvRmT2_T3_mT4_T5_T6_T7_T8_P12ihipStream_tbENKUlT_T0_E_clISt17integral_constantIbLb0EES12_IbLb1EEEEDaSY_SZ_EUlSY_E_NS1_11comp_targetILNS1_3genE8ELNS1_11target_archE1030ELNS1_3gpuE2ELNS1_3repE0EEENS1_30default_config_static_selectorELNS0_4arch9wavefront6targetE1EEEvT1_
	.p2align	8
	.type	_ZN7rocprim17ROCPRIM_400000_NS6detail17trampoline_kernelINS0_14default_configENS1_29reduce_by_key_config_selectorIhlN6thrust23THRUST_200600_302600_NS4plusIlEEEEZZNS1_33reduce_by_key_impl_wrapped_configILNS1_25lookback_scan_determinismE0ES3_S9_PhNS6_17constant_iteratorIiNS6_11use_defaultESE_EENS6_10device_ptrIhEENSG_IlEEPmS8_NS6_8equal_toIhEEEE10hipError_tPvRmT2_T3_mT4_T5_T6_T7_T8_P12ihipStream_tbENKUlT_T0_E_clISt17integral_constantIbLb0EES12_IbLb1EEEEDaSY_SZ_EUlSY_E_NS1_11comp_targetILNS1_3genE8ELNS1_11target_archE1030ELNS1_3gpuE2ELNS1_3repE0EEENS1_30default_config_static_selectorELNS0_4arch9wavefront6targetE1EEEvT1_,@function
_ZN7rocprim17ROCPRIM_400000_NS6detail17trampoline_kernelINS0_14default_configENS1_29reduce_by_key_config_selectorIhlN6thrust23THRUST_200600_302600_NS4plusIlEEEEZZNS1_33reduce_by_key_impl_wrapped_configILNS1_25lookback_scan_determinismE0ES3_S9_PhNS6_17constant_iteratorIiNS6_11use_defaultESE_EENS6_10device_ptrIhEENSG_IlEEPmS8_NS6_8equal_toIhEEEE10hipError_tPvRmT2_T3_mT4_T5_T6_T7_T8_P12ihipStream_tbENKUlT_T0_E_clISt17integral_constantIbLb0EES12_IbLb1EEEEDaSY_SZ_EUlSY_E_NS1_11comp_targetILNS1_3genE8ELNS1_11target_archE1030ELNS1_3gpuE2ELNS1_3repE0EEENS1_30default_config_static_selectorELNS0_4arch9wavefront6targetE1EEEvT1_: ; @_ZN7rocprim17ROCPRIM_400000_NS6detail17trampoline_kernelINS0_14default_configENS1_29reduce_by_key_config_selectorIhlN6thrust23THRUST_200600_302600_NS4plusIlEEEEZZNS1_33reduce_by_key_impl_wrapped_configILNS1_25lookback_scan_determinismE0ES3_S9_PhNS6_17constant_iteratorIiNS6_11use_defaultESE_EENS6_10device_ptrIhEENSG_IlEEPmS8_NS6_8equal_toIhEEEE10hipError_tPvRmT2_T3_mT4_T5_T6_T7_T8_P12ihipStream_tbENKUlT_T0_E_clISt17integral_constantIbLb0EES12_IbLb1EEEEDaSY_SZ_EUlSY_E_NS1_11comp_targetILNS1_3genE8ELNS1_11target_archE1030ELNS1_3gpuE2ELNS1_3repE0EEENS1_30default_config_static_selectorELNS0_4arch9wavefront6targetE1EEEvT1_
; %bb.0:
	.section	.rodata,"a",@progbits
	.p2align	6, 0x0
	.amdhsa_kernel _ZN7rocprim17ROCPRIM_400000_NS6detail17trampoline_kernelINS0_14default_configENS1_29reduce_by_key_config_selectorIhlN6thrust23THRUST_200600_302600_NS4plusIlEEEEZZNS1_33reduce_by_key_impl_wrapped_configILNS1_25lookback_scan_determinismE0ES3_S9_PhNS6_17constant_iteratorIiNS6_11use_defaultESE_EENS6_10device_ptrIhEENSG_IlEEPmS8_NS6_8equal_toIhEEEE10hipError_tPvRmT2_T3_mT4_T5_T6_T7_T8_P12ihipStream_tbENKUlT_T0_E_clISt17integral_constantIbLb0EES12_IbLb1EEEEDaSY_SZ_EUlSY_E_NS1_11comp_targetILNS1_3genE8ELNS1_11target_archE1030ELNS1_3gpuE2ELNS1_3repE0EEENS1_30default_config_static_selectorELNS0_4arch9wavefront6targetE1EEEvT1_
		.amdhsa_group_segment_fixed_size 0
		.amdhsa_private_segment_fixed_size 0
		.amdhsa_kernarg_size 144
		.amdhsa_user_sgpr_count 6
		.amdhsa_user_sgpr_private_segment_buffer 1
		.amdhsa_user_sgpr_dispatch_ptr 0
		.amdhsa_user_sgpr_queue_ptr 0
		.amdhsa_user_sgpr_kernarg_segment_ptr 1
		.amdhsa_user_sgpr_dispatch_id 0
		.amdhsa_user_sgpr_flat_scratch_init 0
		.amdhsa_user_sgpr_private_segment_size 0
		.amdhsa_uses_dynamic_stack 0
		.amdhsa_system_sgpr_private_segment_wavefront_offset 0
		.amdhsa_system_sgpr_workgroup_id_x 1
		.amdhsa_system_sgpr_workgroup_id_y 0
		.amdhsa_system_sgpr_workgroup_id_z 0
		.amdhsa_system_sgpr_workgroup_info 0
		.amdhsa_system_vgpr_workitem_id 0
		.amdhsa_next_free_vgpr 1
		.amdhsa_next_free_sgpr 0
		.amdhsa_reserve_vcc 0
		.amdhsa_reserve_flat_scratch 0
		.amdhsa_float_round_mode_32 0
		.amdhsa_float_round_mode_16_64 0
		.amdhsa_float_denorm_mode_32 3
		.amdhsa_float_denorm_mode_16_64 3
		.amdhsa_dx10_clamp 1
		.amdhsa_ieee_mode 1
		.amdhsa_fp16_overflow 0
		.amdhsa_exception_fp_ieee_invalid_op 0
		.amdhsa_exception_fp_denorm_src 0
		.amdhsa_exception_fp_ieee_div_zero 0
		.amdhsa_exception_fp_ieee_overflow 0
		.amdhsa_exception_fp_ieee_underflow 0
		.amdhsa_exception_fp_ieee_inexact 0
		.amdhsa_exception_int_div_zero 0
	.end_amdhsa_kernel
	.section	.text._ZN7rocprim17ROCPRIM_400000_NS6detail17trampoline_kernelINS0_14default_configENS1_29reduce_by_key_config_selectorIhlN6thrust23THRUST_200600_302600_NS4plusIlEEEEZZNS1_33reduce_by_key_impl_wrapped_configILNS1_25lookback_scan_determinismE0ES3_S9_PhNS6_17constant_iteratorIiNS6_11use_defaultESE_EENS6_10device_ptrIhEENSG_IlEEPmS8_NS6_8equal_toIhEEEE10hipError_tPvRmT2_T3_mT4_T5_T6_T7_T8_P12ihipStream_tbENKUlT_T0_E_clISt17integral_constantIbLb0EES12_IbLb1EEEEDaSY_SZ_EUlSY_E_NS1_11comp_targetILNS1_3genE8ELNS1_11target_archE1030ELNS1_3gpuE2ELNS1_3repE0EEENS1_30default_config_static_selectorELNS0_4arch9wavefront6targetE1EEEvT1_,"axG",@progbits,_ZN7rocprim17ROCPRIM_400000_NS6detail17trampoline_kernelINS0_14default_configENS1_29reduce_by_key_config_selectorIhlN6thrust23THRUST_200600_302600_NS4plusIlEEEEZZNS1_33reduce_by_key_impl_wrapped_configILNS1_25lookback_scan_determinismE0ES3_S9_PhNS6_17constant_iteratorIiNS6_11use_defaultESE_EENS6_10device_ptrIhEENSG_IlEEPmS8_NS6_8equal_toIhEEEE10hipError_tPvRmT2_T3_mT4_T5_T6_T7_T8_P12ihipStream_tbENKUlT_T0_E_clISt17integral_constantIbLb0EES12_IbLb1EEEEDaSY_SZ_EUlSY_E_NS1_11comp_targetILNS1_3genE8ELNS1_11target_archE1030ELNS1_3gpuE2ELNS1_3repE0EEENS1_30default_config_static_selectorELNS0_4arch9wavefront6targetE1EEEvT1_,comdat
.Lfunc_end402:
	.size	_ZN7rocprim17ROCPRIM_400000_NS6detail17trampoline_kernelINS0_14default_configENS1_29reduce_by_key_config_selectorIhlN6thrust23THRUST_200600_302600_NS4plusIlEEEEZZNS1_33reduce_by_key_impl_wrapped_configILNS1_25lookback_scan_determinismE0ES3_S9_PhNS6_17constant_iteratorIiNS6_11use_defaultESE_EENS6_10device_ptrIhEENSG_IlEEPmS8_NS6_8equal_toIhEEEE10hipError_tPvRmT2_T3_mT4_T5_T6_T7_T8_P12ihipStream_tbENKUlT_T0_E_clISt17integral_constantIbLb0EES12_IbLb1EEEEDaSY_SZ_EUlSY_E_NS1_11comp_targetILNS1_3genE8ELNS1_11target_archE1030ELNS1_3gpuE2ELNS1_3repE0EEENS1_30default_config_static_selectorELNS0_4arch9wavefront6targetE1EEEvT1_, .Lfunc_end402-_ZN7rocprim17ROCPRIM_400000_NS6detail17trampoline_kernelINS0_14default_configENS1_29reduce_by_key_config_selectorIhlN6thrust23THRUST_200600_302600_NS4plusIlEEEEZZNS1_33reduce_by_key_impl_wrapped_configILNS1_25lookback_scan_determinismE0ES3_S9_PhNS6_17constant_iteratorIiNS6_11use_defaultESE_EENS6_10device_ptrIhEENSG_IlEEPmS8_NS6_8equal_toIhEEEE10hipError_tPvRmT2_T3_mT4_T5_T6_T7_T8_P12ihipStream_tbENKUlT_T0_E_clISt17integral_constantIbLb0EES12_IbLb1EEEEDaSY_SZ_EUlSY_E_NS1_11comp_targetILNS1_3genE8ELNS1_11target_archE1030ELNS1_3gpuE2ELNS1_3repE0EEENS1_30default_config_static_selectorELNS0_4arch9wavefront6targetE1EEEvT1_
                                        ; -- End function
	.set _ZN7rocprim17ROCPRIM_400000_NS6detail17trampoline_kernelINS0_14default_configENS1_29reduce_by_key_config_selectorIhlN6thrust23THRUST_200600_302600_NS4plusIlEEEEZZNS1_33reduce_by_key_impl_wrapped_configILNS1_25lookback_scan_determinismE0ES3_S9_PhNS6_17constant_iteratorIiNS6_11use_defaultESE_EENS6_10device_ptrIhEENSG_IlEEPmS8_NS6_8equal_toIhEEEE10hipError_tPvRmT2_T3_mT4_T5_T6_T7_T8_P12ihipStream_tbENKUlT_T0_E_clISt17integral_constantIbLb0EES12_IbLb1EEEEDaSY_SZ_EUlSY_E_NS1_11comp_targetILNS1_3genE8ELNS1_11target_archE1030ELNS1_3gpuE2ELNS1_3repE0EEENS1_30default_config_static_selectorELNS0_4arch9wavefront6targetE1EEEvT1_.num_vgpr, 0
	.set _ZN7rocprim17ROCPRIM_400000_NS6detail17trampoline_kernelINS0_14default_configENS1_29reduce_by_key_config_selectorIhlN6thrust23THRUST_200600_302600_NS4plusIlEEEEZZNS1_33reduce_by_key_impl_wrapped_configILNS1_25lookback_scan_determinismE0ES3_S9_PhNS6_17constant_iteratorIiNS6_11use_defaultESE_EENS6_10device_ptrIhEENSG_IlEEPmS8_NS6_8equal_toIhEEEE10hipError_tPvRmT2_T3_mT4_T5_T6_T7_T8_P12ihipStream_tbENKUlT_T0_E_clISt17integral_constantIbLb0EES12_IbLb1EEEEDaSY_SZ_EUlSY_E_NS1_11comp_targetILNS1_3genE8ELNS1_11target_archE1030ELNS1_3gpuE2ELNS1_3repE0EEENS1_30default_config_static_selectorELNS0_4arch9wavefront6targetE1EEEvT1_.num_agpr, 0
	.set _ZN7rocprim17ROCPRIM_400000_NS6detail17trampoline_kernelINS0_14default_configENS1_29reduce_by_key_config_selectorIhlN6thrust23THRUST_200600_302600_NS4plusIlEEEEZZNS1_33reduce_by_key_impl_wrapped_configILNS1_25lookback_scan_determinismE0ES3_S9_PhNS6_17constant_iteratorIiNS6_11use_defaultESE_EENS6_10device_ptrIhEENSG_IlEEPmS8_NS6_8equal_toIhEEEE10hipError_tPvRmT2_T3_mT4_T5_T6_T7_T8_P12ihipStream_tbENKUlT_T0_E_clISt17integral_constantIbLb0EES12_IbLb1EEEEDaSY_SZ_EUlSY_E_NS1_11comp_targetILNS1_3genE8ELNS1_11target_archE1030ELNS1_3gpuE2ELNS1_3repE0EEENS1_30default_config_static_selectorELNS0_4arch9wavefront6targetE1EEEvT1_.numbered_sgpr, 0
	.set _ZN7rocprim17ROCPRIM_400000_NS6detail17trampoline_kernelINS0_14default_configENS1_29reduce_by_key_config_selectorIhlN6thrust23THRUST_200600_302600_NS4plusIlEEEEZZNS1_33reduce_by_key_impl_wrapped_configILNS1_25lookback_scan_determinismE0ES3_S9_PhNS6_17constant_iteratorIiNS6_11use_defaultESE_EENS6_10device_ptrIhEENSG_IlEEPmS8_NS6_8equal_toIhEEEE10hipError_tPvRmT2_T3_mT4_T5_T6_T7_T8_P12ihipStream_tbENKUlT_T0_E_clISt17integral_constantIbLb0EES12_IbLb1EEEEDaSY_SZ_EUlSY_E_NS1_11comp_targetILNS1_3genE8ELNS1_11target_archE1030ELNS1_3gpuE2ELNS1_3repE0EEENS1_30default_config_static_selectorELNS0_4arch9wavefront6targetE1EEEvT1_.num_named_barrier, 0
	.set _ZN7rocprim17ROCPRIM_400000_NS6detail17trampoline_kernelINS0_14default_configENS1_29reduce_by_key_config_selectorIhlN6thrust23THRUST_200600_302600_NS4plusIlEEEEZZNS1_33reduce_by_key_impl_wrapped_configILNS1_25lookback_scan_determinismE0ES3_S9_PhNS6_17constant_iteratorIiNS6_11use_defaultESE_EENS6_10device_ptrIhEENSG_IlEEPmS8_NS6_8equal_toIhEEEE10hipError_tPvRmT2_T3_mT4_T5_T6_T7_T8_P12ihipStream_tbENKUlT_T0_E_clISt17integral_constantIbLb0EES12_IbLb1EEEEDaSY_SZ_EUlSY_E_NS1_11comp_targetILNS1_3genE8ELNS1_11target_archE1030ELNS1_3gpuE2ELNS1_3repE0EEENS1_30default_config_static_selectorELNS0_4arch9wavefront6targetE1EEEvT1_.private_seg_size, 0
	.set _ZN7rocprim17ROCPRIM_400000_NS6detail17trampoline_kernelINS0_14default_configENS1_29reduce_by_key_config_selectorIhlN6thrust23THRUST_200600_302600_NS4plusIlEEEEZZNS1_33reduce_by_key_impl_wrapped_configILNS1_25lookback_scan_determinismE0ES3_S9_PhNS6_17constant_iteratorIiNS6_11use_defaultESE_EENS6_10device_ptrIhEENSG_IlEEPmS8_NS6_8equal_toIhEEEE10hipError_tPvRmT2_T3_mT4_T5_T6_T7_T8_P12ihipStream_tbENKUlT_T0_E_clISt17integral_constantIbLb0EES12_IbLb1EEEEDaSY_SZ_EUlSY_E_NS1_11comp_targetILNS1_3genE8ELNS1_11target_archE1030ELNS1_3gpuE2ELNS1_3repE0EEENS1_30default_config_static_selectorELNS0_4arch9wavefront6targetE1EEEvT1_.uses_vcc, 0
	.set _ZN7rocprim17ROCPRIM_400000_NS6detail17trampoline_kernelINS0_14default_configENS1_29reduce_by_key_config_selectorIhlN6thrust23THRUST_200600_302600_NS4plusIlEEEEZZNS1_33reduce_by_key_impl_wrapped_configILNS1_25lookback_scan_determinismE0ES3_S9_PhNS6_17constant_iteratorIiNS6_11use_defaultESE_EENS6_10device_ptrIhEENSG_IlEEPmS8_NS6_8equal_toIhEEEE10hipError_tPvRmT2_T3_mT4_T5_T6_T7_T8_P12ihipStream_tbENKUlT_T0_E_clISt17integral_constantIbLb0EES12_IbLb1EEEEDaSY_SZ_EUlSY_E_NS1_11comp_targetILNS1_3genE8ELNS1_11target_archE1030ELNS1_3gpuE2ELNS1_3repE0EEENS1_30default_config_static_selectorELNS0_4arch9wavefront6targetE1EEEvT1_.uses_flat_scratch, 0
	.set _ZN7rocprim17ROCPRIM_400000_NS6detail17trampoline_kernelINS0_14default_configENS1_29reduce_by_key_config_selectorIhlN6thrust23THRUST_200600_302600_NS4plusIlEEEEZZNS1_33reduce_by_key_impl_wrapped_configILNS1_25lookback_scan_determinismE0ES3_S9_PhNS6_17constant_iteratorIiNS6_11use_defaultESE_EENS6_10device_ptrIhEENSG_IlEEPmS8_NS6_8equal_toIhEEEE10hipError_tPvRmT2_T3_mT4_T5_T6_T7_T8_P12ihipStream_tbENKUlT_T0_E_clISt17integral_constantIbLb0EES12_IbLb1EEEEDaSY_SZ_EUlSY_E_NS1_11comp_targetILNS1_3genE8ELNS1_11target_archE1030ELNS1_3gpuE2ELNS1_3repE0EEENS1_30default_config_static_selectorELNS0_4arch9wavefront6targetE1EEEvT1_.has_dyn_sized_stack, 0
	.set _ZN7rocprim17ROCPRIM_400000_NS6detail17trampoline_kernelINS0_14default_configENS1_29reduce_by_key_config_selectorIhlN6thrust23THRUST_200600_302600_NS4plusIlEEEEZZNS1_33reduce_by_key_impl_wrapped_configILNS1_25lookback_scan_determinismE0ES3_S9_PhNS6_17constant_iteratorIiNS6_11use_defaultESE_EENS6_10device_ptrIhEENSG_IlEEPmS8_NS6_8equal_toIhEEEE10hipError_tPvRmT2_T3_mT4_T5_T6_T7_T8_P12ihipStream_tbENKUlT_T0_E_clISt17integral_constantIbLb0EES12_IbLb1EEEEDaSY_SZ_EUlSY_E_NS1_11comp_targetILNS1_3genE8ELNS1_11target_archE1030ELNS1_3gpuE2ELNS1_3repE0EEENS1_30default_config_static_selectorELNS0_4arch9wavefront6targetE1EEEvT1_.has_recursion, 0
	.set _ZN7rocprim17ROCPRIM_400000_NS6detail17trampoline_kernelINS0_14default_configENS1_29reduce_by_key_config_selectorIhlN6thrust23THRUST_200600_302600_NS4plusIlEEEEZZNS1_33reduce_by_key_impl_wrapped_configILNS1_25lookback_scan_determinismE0ES3_S9_PhNS6_17constant_iteratorIiNS6_11use_defaultESE_EENS6_10device_ptrIhEENSG_IlEEPmS8_NS6_8equal_toIhEEEE10hipError_tPvRmT2_T3_mT4_T5_T6_T7_T8_P12ihipStream_tbENKUlT_T0_E_clISt17integral_constantIbLb0EES12_IbLb1EEEEDaSY_SZ_EUlSY_E_NS1_11comp_targetILNS1_3genE8ELNS1_11target_archE1030ELNS1_3gpuE2ELNS1_3repE0EEENS1_30default_config_static_selectorELNS0_4arch9wavefront6targetE1EEEvT1_.has_indirect_call, 0
	.section	.AMDGPU.csdata,"",@progbits
; Kernel info:
; codeLenInByte = 0
; TotalNumSgprs: 4
; NumVgprs: 0
; ScratchSize: 0
; MemoryBound: 0
; FloatMode: 240
; IeeeMode: 1
; LDSByteSize: 0 bytes/workgroup (compile time only)
; SGPRBlocks: 0
; VGPRBlocks: 0
; NumSGPRsForWavesPerEU: 4
; NumVGPRsForWavesPerEU: 1
; Occupancy: 10
; WaveLimiterHint : 0
; COMPUTE_PGM_RSRC2:SCRATCH_EN: 0
; COMPUTE_PGM_RSRC2:USER_SGPR: 6
; COMPUTE_PGM_RSRC2:TRAP_HANDLER: 0
; COMPUTE_PGM_RSRC2:TGID_X_EN: 1
; COMPUTE_PGM_RSRC2:TGID_Y_EN: 0
; COMPUTE_PGM_RSRC2:TGID_Z_EN: 0
; COMPUTE_PGM_RSRC2:TIDIG_COMP_CNT: 0
	.section	.text._ZN7rocprim17ROCPRIM_400000_NS6detail17trampoline_kernelINS0_14default_configENS1_22reduce_config_selectorIN6thrust23THRUST_200600_302600_NS5tupleIllNS6_9null_typeES8_S8_S8_S8_S8_S8_S8_EEEEZNS1_11reduce_implILb0ES3_PS9_SC_S9_NS6_11hip_rocprim9__extrema9arg_max_fIllNS6_4lessIlEEEEEE10hipError_tPvRmT1_T2_T3_mT4_P12ihipStream_tbEUlT_E0_NS1_11comp_targetILNS1_3genE0ELNS1_11target_archE4294967295ELNS1_3gpuE0ELNS1_3repE0EEENS1_30default_config_static_selectorELNS0_4arch9wavefront6targetE1EEEvSM_,"axG",@progbits,_ZN7rocprim17ROCPRIM_400000_NS6detail17trampoline_kernelINS0_14default_configENS1_22reduce_config_selectorIN6thrust23THRUST_200600_302600_NS5tupleIllNS6_9null_typeES8_S8_S8_S8_S8_S8_S8_EEEEZNS1_11reduce_implILb0ES3_PS9_SC_S9_NS6_11hip_rocprim9__extrema9arg_max_fIllNS6_4lessIlEEEEEE10hipError_tPvRmT1_T2_T3_mT4_P12ihipStream_tbEUlT_E0_NS1_11comp_targetILNS1_3genE0ELNS1_11target_archE4294967295ELNS1_3gpuE0ELNS1_3repE0EEENS1_30default_config_static_selectorELNS0_4arch9wavefront6targetE1EEEvSM_,comdat
	.protected	_ZN7rocprim17ROCPRIM_400000_NS6detail17trampoline_kernelINS0_14default_configENS1_22reduce_config_selectorIN6thrust23THRUST_200600_302600_NS5tupleIllNS6_9null_typeES8_S8_S8_S8_S8_S8_S8_EEEEZNS1_11reduce_implILb0ES3_PS9_SC_S9_NS6_11hip_rocprim9__extrema9arg_max_fIllNS6_4lessIlEEEEEE10hipError_tPvRmT1_T2_T3_mT4_P12ihipStream_tbEUlT_E0_NS1_11comp_targetILNS1_3genE0ELNS1_11target_archE4294967295ELNS1_3gpuE0ELNS1_3repE0EEENS1_30default_config_static_selectorELNS0_4arch9wavefront6targetE1EEEvSM_ ; -- Begin function _ZN7rocprim17ROCPRIM_400000_NS6detail17trampoline_kernelINS0_14default_configENS1_22reduce_config_selectorIN6thrust23THRUST_200600_302600_NS5tupleIllNS6_9null_typeES8_S8_S8_S8_S8_S8_S8_EEEEZNS1_11reduce_implILb0ES3_PS9_SC_S9_NS6_11hip_rocprim9__extrema9arg_max_fIllNS6_4lessIlEEEEEE10hipError_tPvRmT1_T2_T3_mT4_P12ihipStream_tbEUlT_E0_NS1_11comp_targetILNS1_3genE0ELNS1_11target_archE4294967295ELNS1_3gpuE0ELNS1_3repE0EEENS1_30default_config_static_selectorELNS0_4arch9wavefront6targetE1EEEvSM_
	.globl	_ZN7rocprim17ROCPRIM_400000_NS6detail17trampoline_kernelINS0_14default_configENS1_22reduce_config_selectorIN6thrust23THRUST_200600_302600_NS5tupleIllNS6_9null_typeES8_S8_S8_S8_S8_S8_S8_EEEEZNS1_11reduce_implILb0ES3_PS9_SC_S9_NS6_11hip_rocprim9__extrema9arg_max_fIllNS6_4lessIlEEEEEE10hipError_tPvRmT1_T2_T3_mT4_P12ihipStream_tbEUlT_E0_NS1_11comp_targetILNS1_3genE0ELNS1_11target_archE4294967295ELNS1_3gpuE0ELNS1_3repE0EEENS1_30default_config_static_selectorELNS0_4arch9wavefront6targetE1EEEvSM_
	.p2align	8
	.type	_ZN7rocprim17ROCPRIM_400000_NS6detail17trampoline_kernelINS0_14default_configENS1_22reduce_config_selectorIN6thrust23THRUST_200600_302600_NS5tupleIllNS6_9null_typeES8_S8_S8_S8_S8_S8_S8_EEEEZNS1_11reduce_implILb0ES3_PS9_SC_S9_NS6_11hip_rocprim9__extrema9arg_max_fIllNS6_4lessIlEEEEEE10hipError_tPvRmT1_T2_T3_mT4_P12ihipStream_tbEUlT_E0_NS1_11comp_targetILNS1_3genE0ELNS1_11target_archE4294967295ELNS1_3gpuE0ELNS1_3repE0EEENS1_30default_config_static_selectorELNS0_4arch9wavefront6targetE1EEEvSM_,@function
_ZN7rocprim17ROCPRIM_400000_NS6detail17trampoline_kernelINS0_14default_configENS1_22reduce_config_selectorIN6thrust23THRUST_200600_302600_NS5tupleIllNS6_9null_typeES8_S8_S8_S8_S8_S8_S8_EEEEZNS1_11reduce_implILb0ES3_PS9_SC_S9_NS6_11hip_rocprim9__extrema9arg_max_fIllNS6_4lessIlEEEEEE10hipError_tPvRmT1_T2_T3_mT4_P12ihipStream_tbEUlT_E0_NS1_11comp_targetILNS1_3genE0ELNS1_11target_archE4294967295ELNS1_3gpuE0ELNS1_3repE0EEENS1_30default_config_static_selectorELNS0_4arch9wavefront6targetE1EEEvSM_: ; @_ZN7rocprim17ROCPRIM_400000_NS6detail17trampoline_kernelINS0_14default_configENS1_22reduce_config_selectorIN6thrust23THRUST_200600_302600_NS5tupleIllNS6_9null_typeES8_S8_S8_S8_S8_S8_S8_EEEEZNS1_11reduce_implILb0ES3_PS9_SC_S9_NS6_11hip_rocprim9__extrema9arg_max_fIllNS6_4lessIlEEEEEE10hipError_tPvRmT1_T2_T3_mT4_P12ihipStream_tbEUlT_E0_NS1_11comp_targetILNS1_3genE0ELNS1_11target_archE4294967295ELNS1_3gpuE0ELNS1_3repE0EEENS1_30default_config_static_selectorELNS0_4arch9wavefront6targetE1EEEvSM_
; %bb.0:
	.section	.rodata,"a",@progbits
	.p2align	6, 0x0
	.amdhsa_kernel _ZN7rocprim17ROCPRIM_400000_NS6detail17trampoline_kernelINS0_14default_configENS1_22reduce_config_selectorIN6thrust23THRUST_200600_302600_NS5tupleIllNS6_9null_typeES8_S8_S8_S8_S8_S8_S8_EEEEZNS1_11reduce_implILb0ES3_PS9_SC_S9_NS6_11hip_rocprim9__extrema9arg_max_fIllNS6_4lessIlEEEEEE10hipError_tPvRmT1_T2_T3_mT4_P12ihipStream_tbEUlT_E0_NS1_11comp_targetILNS1_3genE0ELNS1_11target_archE4294967295ELNS1_3gpuE0ELNS1_3repE0EEENS1_30default_config_static_selectorELNS0_4arch9wavefront6targetE1EEEvSM_
		.amdhsa_group_segment_fixed_size 0
		.amdhsa_private_segment_fixed_size 0
		.amdhsa_kernarg_size 72
		.amdhsa_user_sgpr_count 6
		.amdhsa_user_sgpr_private_segment_buffer 1
		.amdhsa_user_sgpr_dispatch_ptr 0
		.amdhsa_user_sgpr_queue_ptr 0
		.amdhsa_user_sgpr_kernarg_segment_ptr 1
		.amdhsa_user_sgpr_dispatch_id 0
		.amdhsa_user_sgpr_flat_scratch_init 0
		.amdhsa_user_sgpr_private_segment_size 0
		.amdhsa_uses_dynamic_stack 0
		.amdhsa_system_sgpr_private_segment_wavefront_offset 0
		.amdhsa_system_sgpr_workgroup_id_x 1
		.amdhsa_system_sgpr_workgroup_id_y 0
		.amdhsa_system_sgpr_workgroup_id_z 0
		.amdhsa_system_sgpr_workgroup_info 0
		.amdhsa_system_vgpr_workitem_id 0
		.amdhsa_next_free_vgpr 1
		.amdhsa_next_free_sgpr 0
		.amdhsa_reserve_vcc 0
		.amdhsa_reserve_flat_scratch 0
		.amdhsa_float_round_mode_32 0
		.amdhsa_float_round_mode_16_64 0
		.amdhsa_float_denorm_mode_32 3
		.amdhsa_float_denorm_mode_16_64 3
		.amdhsa_dx10_clamp 1
		.amdhsa_ieee_mode 1
		.amdhsa_fp16_overflow 0
		.amdhsa_exception_fp_ieee_invalid_op 0
		.amdhsa_exception_fp_denorm_src 0
		.amdhsa_exception_fp_ieee_div_zero 0
		.amdhsa_exception_fp_ieee_overflow 0
		.amdhsa_exception_fp_ieee_underflow 0
		.amdhsa_exception_fp_ieee_inexact 0
		.amdhsa_exception_int_div_zero 0
	.end_amdhsa_kernel
	.section	.text._ZN7rocprim17ROCPRIM_400000_NS6detail17trampoline_kernelINS0_14default_configENS1_22reduce_config_selectorIN6thrust23THRUST_200600_302600_NS5tupleIllNS6_9null_typeES8_S8_S8_S8_S8_S8_S8_EEEEZNS1_11reduce_implILb0ES3_PS9_SC_S9_NS6_11hip_rocprim9__extrema9arg_max_fIllNS6_4lessIlEEEEEE10hipError_tPvRmT1_T2_T3_mT4_P12ihipStream_tbEUlT_E0_NS1_11comp_targetILNS1_3genE0ELNS1_11target_archE4294967295ELNS1_3gpuE0ELNS1_3repE0EEENS1_30default_config_static_selectorELNS0_4arch9wavefront6targetE1EEEvSM_,"axG",@progbits,_ZN7rocprim17ROCPRIM_400000_NS6detail17trampoline_kernelINS0_14default_configENS1_22reduce_config_selectorIN6thrust23THRUST_200600_302600_NS5tupleIllNS6_9null_typeES8_S8_S8_S8_S8_S8_S8_EEEEZNS1_11reduce_implILb0ES3_PS9_SC_S9_NS6_11hip_rocprim9__extrema9arg_max_fIllNS6_4lessIlEEEEEE10hipError_tPvRmT1_T2_T3_mT4_P12ihipStream_tbEUlT_E0_NS1_11comp_targetILNS1_3genE0ELNS1_11target_archE4294967295ELNS1_3gpuE0ELNS1_3repE0EEENS1_30default_config_static_selectorELNS0_4arch9wavefront6targetE1EEEvSM_,comdat
.Lfunc_end403:
	.size	_ZN7rocprim17ROCPRIM_400000_NS6detail17trampoline_kernelINS0_14default_configENS1_22reduce_config_selectorIN6thrust23THRUST_200600_302600_NS5tupleIllNS6_9null_typeES8_S8_S8_S8_S8_S8_S8_EEEEZNS1_11reduce_implILb0ES3_PS9_SC_S9_NS6_11hip_rocprim9__extrema9arg_max_fIllNS6_4lessIlEEEEEE10hipError_tPvRmT1_T2_T3_mT4_P12ihipStream_tbEUlT_E0_NS1_11comp_targetILNS1_3genE0ELNS1_11target_archE4294967295ELNS1_3gpuE0ELNS1_3repE0EEENS1_30default_config_static_selectorELNS0_4arch9wavefront6targetE1EEEvSM_, .Lfunc_end403-_ZN7rocprim17ROCPRIM_400000_NS6detail17trampoline_kernelINS0_14default_configENS1_22reduce_config_selectorIN6thrust23THRUST_200600_302600_NS5tupleIllNS6_9null_typeES8_S8_S8_S8_S8_S8_S8_EEEEZNS1_11reduce_implILb0ES3_PS9_SC_S9_NS6_11hip_rocprim9__extrema9arg_max_fIllNS6_4lessIlEEEEEE10hipError_tPvRmT1_T2_T3_mT4_P12ihipStream_tbEUlT_E0_NS1_11comp_targetILNS1_3genE0ELNS1_11target_archE4294967295ELNS1_3gpuE0ELNS1_3repE0EEENS1_30default_config_static_selectorELNS0_4arch9wavefront6targetE1EEEvSM_
                                        ; -- End function
	.set _ZN7rocprim17ROCPRIM_400000_NS6detail17trampoline_kernelINS0_14default_configENS1_22reduce_config_selectorIN6thrust23THRUST_200600_302600_NS5tupleIllNS6_9null_typeES8_S8_S8_S8_S8_S8_S8_EEEEZNS1_11reduce_implILb0ES3_PS9_SC_S9_NS6_11hip_rocprim9__extrema9arg_max_fIllNS6_4lessIlEEEEEE10hipError_tPvRmT1_T2_T3_mT4_P12ihipStream_tbEUlT_E0_NS1_11comp_targetILNS1_3genE0ELNS1_11target_archE4294967295ELNS1_3gpuE0ELNS1_3repE0EEENS1_30default_config_static_selectorELNS0_4arch9wavefront6targetE1EEEvSM_.num_vgpr, 0
	.set _ZN7rocprim17ROCPRIM_400000_NS6detail17trampoline_kernelINS0_14default_configENS1_22reduce_config_selectorIN6thrust23THRUST_200600_302600_NS5tupleIllNS6_9null_typeES8_S8_S8_S8_S8_S8_S8_EEEEZNS1_11reduce_implILb0ES3_PS9_SC_S9_NS6_11hip_rocprim9__extrema9arg_max_fIllNS6_4lessIlEEEEEE10hipError_tPvRmT1_T2_T3_mT4_P12ihipStream_tbEUlT_E0_NS1_11comp_targetILNS1_3genE0ELNS1_11target_archE4294967295ELNS1_3gpuE0ELNS1_3repE0EEENS1_30default_config_static_selectorELNS0_4arch9wavefront6targetE1EEEvSM_.num_agpr, 0
	.set _ZN7rocprim17ROCPRIM_400000_NS6detail17trampoline_kernelINS0_14default_configENS1_22reduce_config_selectorIN6thrust23THRUST_200600_302600_NS5tupleIllNS6_9null_typeES8_S8_S8_S8_S8_S8_S8_EEEEZNS1_11reduce_implILb0ES3_PS9_SC_S9_NS6_11hip_rocprim9__extrema9arg_max_fIllNS6_4lessIlEEEEEE10hipError_tPvRmT1_T2_T3_mT4_P12ihipStream_tbEUlT_E0_NS1_11comp_targetILNS1_3genE0ELNS1_11target_archE4294967295ELNS1_3gpuE0ELNS1_3repE0EEENS1_30default_config_static_selectorELNS0_4arch9wavefront6targetE1EEEvSM_.numbered_sgpr, 0
	.set _ZN7rocprim17ROCPRIM_400000_NS6detail17trampoline_kernelINS0_14default_configENS1_22reduce_config_selectorIN6thrust23THRUST_200600_302600_NS5tupleIllNS6_9null_typeES8_S8_S8_S8_S8_S8_S8_EEEEZNS1_11reduce_implILb0ES3_PS9_SC_S9_NS6_11hip_rocprim9__extrema9arg_max_fIllNS6_4lessIlEEEEEE10hipError_tPvRmT1_T2_T3_mT4_P12ihipStream_tbEUlT_E0_NS1_11comp_targetILNS1_3genE0ELNS1_11target_archE4294967295ELNS1_3gpuE0ELNS1_3repE0EEENS1_30default_config_static_selectorELNS0_4arch9wavefront6targetE1EEEvSM_.num_named_barrier, 0
	.set _ZN7rocprim17ROCPRIM_400000_NS6detail17trampoline_kernelINS0_14default_configENS1_22reduce_config_selectorIN6thrust23THRUST_200600_302600_NS5tupleIllNS6_9null_typeES8_S8_S8_S8_S8_S8_S8_EEEEZNS1_11reduce_implILb0ES3_PS9_SC_S9_NS6_11hip_rocprim9__extrema9arg_max_fIllNS6_4lessIlEEEEEE10hipError_tPvRmT1_T2_T3_mT4_P12ihipStream_tbEUlT_E0_NS1_11comp_targetILNS1_3genE0ELNS1_11target_archE4294967295ELNS1_3gpuE0ELNS1_3repE0EEENS1_30default_config_static_selectorELNS0_4arch9wavefront6targetE1EEEvSM_.private_seg_size, 0
	.set _ZN7rocprim17ROCPRIM_400000_NS6detail17trampoline_kernelINS0_14default_configENS1_22reduce_config_selectorIN6thrust23THRUST_200600_302600_NS5tupleIllNS6_9null_typeES8_S8_S8_S8_S8_S8_S8_EEEEZNS1_11reduce_implILb0ES3_PS9_SC_S9_NS6_11hip_rocprim9__extrema9arg_max_fIllNS6_4lessIlEEEEEE10hipError_tPvRmT1_T2_T3_mT4_P12ihipStream_tbEUlT_E0_NS1_11comp_targetILNS1_3genE0ELNS1_11target_archE4294967295ELNS1_3gpuE0ELNS1_3repE0EEENS1_30default_config_static_selectorELNS0_4arch9wavefront6targetE1EEEvSM_.uses_vcc, 0
	.set _ZN7rocprim17ROCPRIM_400000_NS6detail17trampoline_kernelINS0_14default_configENS1_22reduce_config_selectorIN6thrust23THRUST_200600_302600_NS5tupleIllNS6_9null_typeES8_S8_S8_S8_S8_S8_S8_EEEEZNS1_11reduce_implILb0ES3_PS9_SC_S9_NS6_11hip_rocprim9__extrema9arg_max_fIllNS6_4lessIlEEEEEE10hipError_tPvRmT1_T2_T3_mT4_P12ihipStream_tbEUlT_E0_NS1_11comp_targetILNS1_3genE0ELNS1_11target_archE4294967295ELNS1_3gpuE0ELNS1_3repE0EEENS1_30default_config_static_selectorELNS0_4arch9wavefront6targetE1EEEvSM_.uses_flat_scratch, 0
	.set _ZN7rocprim17ROCPRIM_400000_NS6detail17trampoline_kernelINS0_14default_configENS1_22reduce_config_selectorIN6thrust23THRUST_200600_302600_NS5tupleIllNS6_9null_typeES8_S8_S8_S8_S8_S8_S8_EEEEZNS1_11reduce_implILb0ES3_PS9_SC_S9_NS6_11hip_rocprim9__extrema9arg_max_fIllNS6_4lessIlEEEEEE10hipError_tPvRmT1_T2_T3_mT4_P12ihipStream_tbEUlT_E0_NS1_11comp_targetILNS1_3genE0ELNS1_11target_archE4294967295ELNS1_3gpuE0ELNS1_3repE0EEENS1_30default_config_static_selectorELNS0_4arch9wavefront6targetE1EEEvSM_.has_dyn_sized_stack, 0
	.set _ZN7rocprim17ROCPRIM_400000_NS6detail17trampoline_kernelINS0_14default_configENS1_22reduce_config_selectorIN6thrust23THRUST_200600_302600_NS5tupleIllNS6_9null_typeES8_S8_S8_S8_S8_S8_S8_EEEEZNS1_11reduce_implILb0ES3_PS9_SC_S9_NS6_11hip_rocprim9__extrema9arg_max_fIllNS6_4lessIlEEEEEE10hipError_tPvRmT1_T2_T3_mT4_P12ihipStream_tbEUlT_E0_NS1_11comp_targetILNS1_3genE0ELNS1_11target_archE4294967295ELNS1_3gpuE0ELNS1_3repE0EEENS1_30default_config_static_selectorELNS0_4arch9wavefront6targetE1EEEvSM_.has_recursion, 0
	.set _ZN7rocprim17ROCPRIM_400000_NS6detail17trampoline_kernelINS0_14default_configENS1_22reduce_config_selectorIN6thrust23THRUST_200600_302600_NS5tupleIllNS6_9null_typeES8_S8_S8_S8_S8_S8_S8_EEEEZNS1_11reduce_implILb0ES3_PS9_SC_S9_NS6_11hip_rocprim9__extrema9arg_max_fIllNS6_4lessIlEEEEEE10hipError_tPvRmT1_T2_T3_mT4_P12ihipStream_tbEUlT_E0_NS1_11comp_targetILNS1_3genE0ELNS1_11target_archE4294967295ELNS1_3gpuE0ELNS1_3repE0EEENS1_30default_config_static_selectorELNS0_4arch9wavefront6targetE1EEEvSM_.has_indirect_call, 0
	.section	.AMDGPU.csdata,"",@progbits
; Kernel info:
; codeLenInByte = 0
; TotalNumSgprs: 4
; NumVgprs: 0
; ScratchSize: 0
; MemoryBound: 0
; FloatMode: 240
; IeeeMode: 1
; LDSByteSize: 0 bytes/workgroup (compile time only)
; SGPRBlocks: 0
; VGPRBlocks: 0
; NumSGPRsForWavesPerEU: 4
; NumVGPRsForWavesPerEU: 1
; Occupancy: 10
; WaveLimiterHint : 0
; COMPUTE_PGM_RSRC2:SCRATCH_EN: 0
; COMPUTE_PGM_RSRC2:USER_SGPR: 6
; COMPUTE_PGM_RSRC2:TRAP_HANDLER: 0
; COMPUTE_PGM_RSRC2:TGID_X_EN: 1
; COMPUTE_PGM_RSRC2:TGID_Y_EN: 0
; COMPUTE_PGM_RSRC2:TGID_Z_EN: 0
; COMPUTE_PGM_RSRC2:TIDIG_COMP_CNT: 0
	.section	.text._ZN7rocprim17ROCPRIM_400000_NS6detail17trampoline_kernelINS0_14default_configENS1_22reduce_config_selectorIN6thrust23THRUST_200600_302600_NS5tupleIllNS6_9null_typeES8_S8_S8_S8_S8_S8_S8_EEEEZNS1_11reduce_implILb0ES3_PS9_SC_S9_NS6_11hip_rocprim9__extrema9arg_max_fIllNS6_4lessIlEEEEEE10hipError_tPvRmT1_T2_T3_mT4_P12ihipStream_tbEUlT_E0_NS1_11comp_targetILNS1_3genE5ELNS1_11target_archE942ELNS1_3gpuE9ELNS1_3repE0EEENS1_30default_config_static_selectorELNS0_4arch9wavefront6targetE1EEEvSM_,"axG",@progbits,_ZN7rocprim17ROCPRIM_400000_NS6detail17trampoline_kernelINS0_14default_configENS1_22reduce_config_selectorIN6thrust23THRUST_200600_302600_NS5tupleIllNS6_9null_typeES8_S8_S8_S8_S8_S8_S8_EEEEZNS1_11reduce_implILb0ES3_PS9_SC_S9_NS6_11hip_rocprim9__extrema9arg_max_fIllNS6_4lessIlEEEEEE10hipError_tPvRmT1_T2_T3_mT4_P12ihipStream_tbEUlT_E0_NS1_11comp_targetILNS1_3genE5ELNS1_11target_archE942ELNS1_3gpuE9ELNS1_3repE0EEENS1_30default_config_static_selectorELNS0_4arch9wavefront6targetE1EEEvSM_,comdat
	.protected	_ZN7rocprim17ROCPRIM_400000_NS6detail17trampoline_kernelINS0_14default_configENS1_22reduce_config_selectorIN6thrust23THRUST_200600_302600_NS5tupleIllNS6_9null_typeES8_S8_S8_S8_S8_S8_S8_EEEEZNS1_11reduce_implILb0ES3_PS9_SC_S9_NS6_11hip_rocprim9__extrema9arg_max_fIllNS6_4lessIlEEEEEE10hipError_tPvRmT1_T2_T3_mT4_P12ihipStream_tbEUlT_E0_NS1_11comp_targetILNS1_3genE5ELNS1_11target_archE942ELNS1_3gpuE9ELNS1_3repE0EEENS1_30default_config_static_selectorELNS0_4arch9wavefront6targetE1EEEvSM_ ; -- Begin function _ZN7rocprim17ROCPRIM_400000_NS6detail17trampoline_kernelINS0_14default_configENS1_22reduce_config_selectorIN6thrust23THRUST_200600_302600_NS5tupleIllNS6_9null_typeES8_S8_S8_S8_S8_S8_S8_EEEEZNS1_11reduce_implILb0ES3_PS9_SC_S9_NS6_11hip_rocprim9__extrema9arg_max_fIllNS6_4lessIlEEEEEE10hipError_tPvRmT1_T2_T3_mT4_P12ihipStream_tbEUlT_E0_NS1_11comp_targetILNS1_3genE5ELNS1_11target_archE942ELNS1_3gpuE9ELNS1_3repE0EEENS1_30default_config_static_selectorELNS0_4arch9wavefront6targetE1EEEvSM_
	.globl	_ZN7rocprim17ROCPRIM_400000_NS6detail17trampoline_kernelINS0_14default_configENS1_22reduce_config_selectorIN6thrust23THRUST_200600_302600_NS5tupleIllNS6_9null_typeES8_S8_S8_S8_S8_S8_S8_EEEEZNS1_11reduce_implILb0ES3_PS9_SC_S9_NS6_11hip_rocprim9__extrema9arg_max_fIllNS6_4lessIlEEEEEE10hipError_tPvRmT1_T2_T3_mT4_P12ihipStream_tbEUlT_E0_NS1_11comp_targetILNS1_3genE5ELNS1_11target_archE942ELNS1_3gpuE9ELNS1_3repE0EEENS1_30default_config_static_selectorELNS0_4arch9wavefront6targetE1EEEvSM_
	.p2align	8
	.type	_ZN7rocprim17ROCPRIM_400000_NS6detail17trampoline_kernelINS0_14default_configENS1_22reduce_config_selectorIN6thrust23THRUST_200600_302600_NS5tupleIllNS6_9null_typeES8_S8_S8_S8_S8_S8_S8_EEEEZNS1_11reduce_implILb0ES3_PS9_SC_S9_NS6_11hip_rocprim9__extrema9arg_max_fIllNS6_4lessIlEEEEEE10hipError_tPvRmT1_T2_T3_mT4_P12ihipStream_tbEUlT_E0_NS1_11comp_targetILNS1_3genE5ELNS1_11target_archE942ELNS1_3gpuE9ELNS1_3repE0EEENS1_30default_config_static_selectorELNS0_4arch9wavefront6targetE1EEEvSM_,@function
_ZN7rocprim17ROCPRIM_400000_NS6detail17trampoline_kernelINS0_14default_configENS1_22reduce_config_selectorIN6thrust23THRUST_200600_302600_NS5tupleIllNS6_9null_typeES8_S8_S8_S8_S8_S8_S8_EEEEZNS1_11reduce_implILb0ES3_PS9_SC_S9_NS6_11hip_rocprim9__extrema9arg_max_fIllNS6_4lessIlEEEEEE10hipError_tPvRmT1_T2_T3_mT4_P12ihipStream_tbEUlT_E0_NS1_11comp_targetILNS1_3genE5ELNS1_11target_archE942ELNS1_3gpuE9ELNS1_3repE0EEENS1_30default_config_static_selectorELNS0_4arch9wavefront6targetE1EEEvSM_: ; @_ZN7rocprim17ROCPRIM_400000_NS6detail17trampoline_kernelINS0_14default_configENS1_22reduce_config_selectorIN6thrust23THRUST_200600_302600_NS5tupleIllNS6_9null_typeES8_S8_S8_S8_S8_S8_S8_EEEEZNS1_11reduce_implILb0ES3_PS9_SC_S9_NS6_11hip_rocprim9__extrema9arg_max_fIllNS6_4lessIlEEEEEE10hipError_tPvRmT1_T2_T3_mT4_P12ihipStream_tbEUlT_E0_NS1_11comp_targetILNS1_3genE5ELNS1_11target_archE942ELNS1_3gpuE9ELNS1_3repE0EEENS1_30default_config_static_selectorELNS0_4arch9wavefront6targetE1EEEvSM_
; %bb.0:
	.section	.rodata,"a",@progbits
	.p2align	6, 0x0
	.amdhsa_kernel _ZN7rocprim17ROCPRIM_400000_NS6detail17trampoline_kernelINS0_14default_configENS1_22reduce_config_selectorIN6thrust23THRUST_200600_302600_NS5tupleIllNS6_9null_typeES8_S8_S8_S8_S8_S8_S8_EEEEZNS1_11reduce_implILb0ES3_PS9_SC_S9_NS6_11hip_rocprim9__extrema9arg_max_fIllNS6_4lessIlEEEEEE10hipError_tPvRmT1_T2_T3_mT4_P12ihipStream_tbEUlT_E0_NS1_11comp_targetILNS1_3genE5ELNS1_11target_archE942ELNS1_3gpuE9ELNS1_3repE0EEENS1_30default_config_static_selectorELNS0_4arch9wavefront6targetE1EEEvSM_
		.amdhsa_group_segment_fixed_size 0
		.amdhsa_private_segment_fixed_size 0
		.amdhsa_kernarg_size 72
		.amdhsa_user_sgpr_count 6
		.amdhsa_user_sgpr_private_segment_buffer 1
		.amdhsa_user_sgpr_dispatch_ptr 0
		.amdhsa_user_sgpr_queue_ptr 0
		.amdhsa_user_sgpr_kernarg_segment_ptr 1
		.amdhsa_user_sgpr_dispatch_id 0
		.amdhsa_user_sgpr_flat_scratch_init 0
		.amdhsa_user_sgpr_private_segment_size 0
		.amdhsa_uses_dynamic_stack 0
		.amdhsa_system_sgpr_private_segment_wavefront_offset 0
		.amdhsa_system_sgpr_workgroup_id_x 1
		.amdhsa_system_sgpr_workgroup_id_y 0
		.amdhsa_system_sgpr_workgroup_id_z 0
		.amdhsa_system_sgpr_workgroup_info 0
		.amdhsa_system_vgpr_workitem_id 0
		.amdhsa_next_free_vgpr 1
		.amdhsa_next_free_sgpr 0
		.amdhsa_reserve_vcc 0
		.amdhsa_reserve_flat_scratch 0
		.amdhsa_float_round_mode_32 0
		.amdhsa_float_round_mode_16_64 0
		.amdhsa_float_denorm_mode_32 3
		.amdhsa_float_denorm_mode_16_64 3
		.amdhsa_dx10_clamp 1
		.amdhsa_ieee_mode 1
		.amdhsa_fp16_overflow 0
		.amdhsa_exception_fp_ieee_invalid_op 0
		.amdhsa_exception_fp_denorm_src 0
		.amdhsa_exception_fp_ieee_div_zero 0
		.amdhsa_exception_fp_ieee_overflow 0
		.amdhsa_exception_fp_ieee_underflow 0
		.amdhsa_exception_fp_ieee_inexact 0
		.amdhsa_exception_int_div_zero 0
	.end_amdhsa_kernel
	.section	.text._ZN7rocprim17ROCPRIM_400000_NS6detail17trampoline_kernelINS0_14default_configENS1_22reduce_config_selectorIN6thrust23THRUST_200600_302600_NS5tupleIllNS6_9null_typeES8_S8_S8_S8_S8_S8_S8_EEEEZNS1_11reduce_implILb0ES3_PS9_SC_S9_NS6_11hip_rocprim9__extrema9arg_max_fIllNS6_4lessIlEEEEEE10hipError_tPvRmT1_T2_T3_mT4_P12ihipStream_tbEUlT_E0_NS1_11comp_targetILNS1_3genE5ELNS1_11target_archE942ELNS1_3gpuE9ELNS1_3repE0EEENS1_30default_config_static_selectorELNS0_4arch9wavefront6targetE1EEEvSM_,"axG",@progbits,_ZN7rocprim17ROCPRIM_400000_NS6detail17trampoline_kernelINS0_14default_configENS1_22reduce_config_selectorIN6thrust23THRUST_200600_302600_NS5tupleIllNS6_9null_typeES8_S8_S8_S8_S8_S8_S8_EEEEZNS1_11reduce_implILb0ES3_PS9_SC_S9_NS6_11hip_rocprim9__extrema9arg_max_fIllNS6_4lessIlEEEEEE10hipError_tPvRmT1_T2_T3_mT4_P12ihipStream_tbEUlT_E0_NS1_11comp_targetILNS1_3genE5ELNS1_11target_archE942ELNS1_3gpuE9ELNS1_3repE0EEENS1_30default_config_static_selectorELNS0_4arch9wavefront6targetE1EEEvSM_,comdat
.Lfunc_end404:
	.size	_ZN7rocprim17ROCPRIM_400000_NS6detail17trampoline_kernelINS0_14default_configENS1_22reduce_config_selectorIN6thrust23THRUST_200600_302600_NS5tupleIllNS6_9null_typeES8_S8_S8_S8_S8_S8_S8_EEEEZNS1_11reduce_implILb0ES3_PS9_SC_S9_NS6_11hip_rocprim9__extrema9arg_max_fIllNS6_4lessIlEEEEEE10hipError_tPvRmT1_T2_T3_mT4_P12ihipStream_tbEUlT_E0_NS1_11comp_targetILNS1_3genE5ELNS1_11target_archE942ELNS1_3gpuE9ELNS1_3repE0EEENS1_30default_config_static_selectorELNS0_4arch9wavefront6targetE1EEEvSM_, .Lfunc_end404-_ZN7rocprim17ROCPRIM_400000_NS6detail17trampoline_kernelINS0_14default_configENS1_22reduce_config_selectorIN6thrust23THRUST_200600_302600_NS5tupleIllNS6_9null_typeES8_S8_S8_S8_S8_S8_S8_EEEEZNS1_11reduce_implILb0ES3_PS9_SC_S9_NS6_11hip_rocprim9__extrema9arg_max_fIllNS6_4lessIlEEEEEE10hipError_tPvRmT1_T2_T3_mT4_P12ihipStream_tbEUlT_E0_NS1_11comp_targetILNS1_3genE5ELNS1_11target_archE942ELNS1_3gpuE9ELNS1_3repE0EEENS1_30default_config_static_selectorELNS0_4arch9wavefront6targetE1EEEvSM_
                                        ; -- End function
	.set _ZN7rocprim17ROCPRIM_400000_NS6detail17trampoline_kernelINS0_14default_configENS1_22reduce_config_selectorIN6thrust23THRUST_200600_302600_NS5tupleIllNS6_9null_typeES8_S8_S8_S8_S8_S8_S8_EEEEZNS1_11reduce_implILb0ES3_PS9_SC_S9_NS6_11hip_rocprim9__extrema9arg_max_fIllNS6_4lessIlEEEEEE10hipError_tPvRmT1_T2_T3_mT4_P12ihipStream_tbEUlT_E0_NS1_11comp_targetILNS1_3genE5ELNS1_11target_archE942ELNS1_3gpuE9ELNS1_3repE0EEENS1_30default_config_static_selectorELNS0_4arch9wavefront6targetE1EEEvSM_.num_vgpr, 0
	.set _ZN7rocprim17ROCPRIM_400000_NS6detail17trampoline_kernelINS0_14default_configENS1_22reduce_config_selectorIN6thrust23THRUST_200600_302600_NS5tupleIllNS6_9null_typeES8_S8_S8_S8_S8_S8_S8_EEEEZNS1_11reduce_implILb0ES3_PS9_SC_S9_NS6_11hip_rocprim9__extrema9arg_max_fIllNS6_4lessIlEEEEEE10hipError_tPvRmT1_T2_T3_mT4_P12ihipStream_tbEUlT_E0_NS1_11comp_targetILNS1_3genE5ELNS1_11target_archE942ELNS1_3gpuE9ELNS1_3repE0EEENS1_30default_config_static_selectorELNS0_4arch9wavefront6targetE1EEEvSM_.num_agpr, 0
	.set _ZN7rocprim17ROCPRIM_400000_NS6detail17trampoline_kernelINS0_14default_configENS1_22reduce_config_selectorIN6thrust23THRUST_200600_302600_NS5tupleIllNS6_9null_typeES8_S8_S8_S8_S8_S8_S8_EEEEZNS1_11reduce_implILb0ES3_PS9_SC_S9_NS6_11hip_rocprim9__extrema9arg_max_fIllNS6_4lessIlEEEEEE10hipError_tPvRmT1_T2_T3_mT4_P12ihipStream_tbEUlT_E0_NS1_11comp_targetILNS1_3genE5ELNS1_11target_archE942ELNS1_3gpuE9ELNS1_3repE0EEENS1_30default_config_static_selectorELNS0_4arch9wavefront6targetE1EEEvSM_.numbered_sgpr, 0
	.set _ZN7rocprim17ROCPRIM_400000_NS6detail17trampoline_kernelINS0_14default_configENS1_22reduce_config_selectorIN6thrust23THRUST_200600_302600_NS5tupleIllNS6_9null_typeES8_S8_S8_S8_S8_S8_S8_EEEEZNS1_11reduce_implILb0ES3_PS9_SC_S9_NS6_11hip_rocprim9__extrema9arg_max_fIllNS6_4lessIlEEEEEE10hipError_tPvRmT1_T2_T3_mT4_P12ihipStream_tbEUlT_E0_NS1_11comp_targetILNS1_3genE5ELNS1_11target_archE942ELNS1_3gpuE9ELNS1_3repE0EEENS1_30default_config_static_selectorELNS0_4arch9wavefront6targetE1EEEvSM_.num_named_barrier, 0
	.set _ZN7rocprim17ROCPRIM_400000_NS6detail17trampoline_kernelINS0_14default_configENS1_22reduce_config_selectorIN6thrust23THRUST_200600_302600_NS5tupleIllNS6_9null_typeES8_S8_S8_S8_S8_S8_S8_EEEEZNS1_11reduce_implILb0ES3_PS9_SC_S9_NS6_11hip_rocprim9__extrema9arg_max_fIllNS6_4lessIlEEEEEE10hipError_tPvRmT1_T2_T3_mT4_P12ihipStream_tbEUlT_E0_NS1_11comp_targetILNS1_3genE5ELNS1_11target_archE942ELNS1_3gpuE9ELNS1_3repE0EEENS1_30default_config_static_selectorELNS0_4arch9wavefront6targetE1EEEvSM_.private_seg_size, 0
	.set _ZN7rocprim17ROCPRIM_400000_NS6detail17trampoline_kernelINS0_14default_configENS1_22reduce_config_selectorIN6thrust23THRUST_200600_302600_NS5tupleIllNS6_9null_typeES8_S8_S8_S8_S8_S8_S8_EEEEZNS1_11reduce_implILb0ES3_PS9_SC_S9_NS6_11hip_rocprim9__extrema9arg_max_fIllNS6_4lessIlEEEEEE10hipError_tPvRmT1_T2_T3_mT4_P12ihipStream_tbEUlT_E0_NS1_11comp_targetILNS1_3genE5ELNS1_11target_archE942ELNS1_3gpuE9ELNS1_3repE0EEENS1_30default_config_static_selectorELNS0_4arch9wavefront6targetE1EEEvSM_.uses_vcc, 0
	.set _ZN7rocprim17ROCPRIM_400000_NS6detail17trampoline_kernelINS0_14default_configENS1_22reduce_config_selectorIN6thrust23THRUST_200600_302600_NS5tupleIllNS6_9null_typeES8_S8_S8_S8_S8_S8_S8_EEEEZNS1_11reduce_implILb0ES3_PS9_SC_S9_NS6_11hip_rocprim9__extrema9arg_max_fIllNS6_4lessIlEEEEEE10hipError_tPvRmT1_T2_T3_mT4_P12ihipStream_tbEUlT_E0_NS1_11comp_targetILNS1_3genE5ELNS1_11target_archE942ELNS1_3gpuE9ELNS1_3repE0EEENS1_30default_config_static_selectorELNS0_4arch9wavefront6targetE1EEEvSM_.uses_flat_scratch, 0
	.set _ZN7rocprim17ROCPRIM_400000_NS6detail17trampoline_kernelINS0_14default_configENS1_22reduce_config_selectorIN6thrust23THRUST_200600_302600_NS5tupleIllNS6_9null_typeES8_S8_S8_S8_S8_S8_S8_EEEEZNS1_11reduce_implILb0ES3_PS9_SC_S9_NS6_11hip_rocprim9__extrema9arg_max_fIllNS6_4lessIlEEEEEE10hipError_tPvRmT1_T2_T3_mT4_P12ihipStream_tbEUlT_E0_NS1_11comp_targetILNS1_3genE5ELNS1_11target_archE942ELNS1_3gpuE9ELNS1_3repE0EEENS1_30default_config_static_selectorELNS0_4arch9wavefront6targetE1EEEvSM_.has_dyn_sized_stack, 0
	.set _ZN7rocprim17ROCPRIM_400000_NS6detail17trampoline_kernelINS0_14default_configENS1_22reduce_config_selectorIN6thrust23THRUST_200600_302600_NS5tupleIllNS6_9null_typeES8_S8_S8_S8_S8_S8_S8_EEEEZNS1_11reduce_implILb0ES3_PS9_SC_S9_NS6_11hip_rocprim9__extrema9arg_max_fIllNS6_4lessIlEEEEEE10hipError_tPvRmT1_T2_T3_mT4_P12ihipStream_tbEUlT_E0_NS1_11comp_targetILNS1_3genE5ELNS1_11target_archE942ELNS1_3gpuE9ELNS1_3repE0EEENS1_30default_config_static_selectorELNS0_4arch9wavefront6targetE1EEEvSM_.has_recursion, 0
	.set _ZN7rocprim17ROCPRIM_400000_NS6detail17trampoline_kernelINS0_14default_configENS1_22reduce_config_selectorIN6thrust23THRUST_200600_302600_NS5tupleIllNS6_9null_typeES8_S8_S8_S8_S8_S8_S8_EEEEZNS1_11reduce_implILb0ES3_PS9_SC_S9_NS6_11hip_rocprim9__extrema9arg_max_fIllNS6_4lessIlEEEEEE10hipError_tPvRmT1_T2_T3_mT4_P12ihipStream_tbEUlT_E0_NS1_11comp_targetILNS1_3genE5ELNS1_11target_archE942ELNS1_3gpuE9ELNS1_3repE0EEENS1_30default_config_static_selectorELNS0_4arch9wavefront6targetE1EEEvSM_.has_indirect_call, 0
	.section	.AMDGPU.csdata,"",@progbits
; Kernel info:
; codeLenInByte = 0
; TotalNumSgprs: 4
; NumVgprs: 0
; ScratchSize: 0
; MemoryBound: 0
; FloatMode: 240
; IeeeMode: 1
; LDSByteSize: 0 bytes/workgroup (compile time only)
; SGPRBlocks: 0
; VGPRBlocks: 0
; NumSGPRsForWavesPerEU: 4
; NumVGPRsForWavesPerEU: 1
; Occupancy: 10
; WaveLimiterHint : 0
; COMPUTE_PGM_RSRC2:SCRATCH_EN: 0
; COMPUTE_PGM_RSRC2:USER_SGPR: 6
; COMPUTE_PGM_RSRC2:TRAP_HANDLER: 0
; COMPUTE_PGM_RSRC2:TGID_X_EN: 1
; COMPUTE_PGM_RSRC2:TGID_Y_EN: 0
; COMPUTE_PGM_RSRC2:TGID_Z_EN: 0
; COMPUTE_PGM_RSRC2:TIDIG_COMP_CNT: 0
	.section	.text._ZN7rocprim17ROCPRIM_400000_NS6detail17trampoline_kernelINS0_14default_configENS1_22reduce_config_selectorIN6thrust23THRUST_200600_302600_NS5tupleIllNS6_9null_typeES8_S8_S8_S8_S8_S8_S8_EEEEZNS1_11reduce_implILb0ES3_PS9_SC_S9_NS6_11hip_rocprim9__extrema9arg_max_fIllNS6_4lessIlEEEEEE10hipError_tPvRmT1_T2_T3_mT4_P12ihipStream_tbEUlT_E0_NS1_11comp_targetILNS1_3genE4ELNS1_11target_archE910ELNS1_3gpuE8ELNS1_3repE0EEENS1_30default_config_static_selectorELNS0_4arch9wavefront6targetE1EEEvSM_,"axG",@progbits,_ZN7rocprim17ROCPRIM_400000_NS6detail17trampoline_kernelINS0_14default_configENS1_22reduce_config_selectorIN6thrust23THRUST_200600_302600_NS5tupleIllNS6_9null_typeES8_S8_S8_S8_S8_S8_S8_EEEEZNS1_11reduce_implILb0ES3_PS9_SC_S9_NS6_11hip_rocprim9__extrema9arg_max_fIllNS6_4lessIlEEEEEE10hipError_tPvRmT1_T2_T3_mT4_P12ihipStream_tbEUlT_E0_NS1_11comp_targetILNS1_3genE4ELNS1_11target_archE910ELNS1_3gpuE8ELNS1_3repE0EEENS1_30default_config_static_selectorELNS0_4arch9wavefront6targetE1EEEvSM_,comdat
	.protected	_ZN7rocprim17ROCPRIM_400000_NS6detail17trampoline_kernelINS0_14default_configENS1_22reduce_config_selectorIN6thrust23THRUST_200600_302600_NS5tupleIllNS6_9null_typeES8_S8_S8_S8_S8_S8_S8_EEEEZNS1_11reduce_implILb0ES3_PS9_SC_S9_NS6_11hip_rocprim9__extrema9arg_max_fIllNS6_4lessIlEEEEEE10hipError_tPvRmT1_T2_T3_mT4_P12ihipStream_tbEUlT_E0_NS1_11comp_targetILNS1_3genE4ELNS1_11target_archE910ELNS1_3gpuE8ELNS1_3repE0EEENS1_30default_config_static_selectorELNS0_4arch9wavefront6targetE1EEEvSM_ ; -- Begin function _ZN7rocprim17ROCPRIM_400000_NS6detail17trampoline_kernelINS0_14default_configENS1_22reduce_config_selectorIN6thrust23THRUST_200600_302600_NS5tupleIllNS6_9null_typeES8_S8_S8_S8_S8_S8_S8_EEEEZNS1_11reduce_implILb0ES3_PS9_SC_S9_NS6_11hip_rocprim9__extrema9arg_max_fIllNS6_4lessIlEEEEEE10hipError_tPvRmT1_T2_T3_mT4_P12ihipStream_tbEUlT_E0_NS1_11comp_targetILNS1_3genE4ELNS1_11target_archE910ELNS1_3gpuE8ELNS1_3repE0EEENS1_30default_config_static_selectorELNS0_4arch9wavefront6targetE1EEEvSM_
	.globl	_ZN7rocprim17ROCPRIM_400000_NS6detail17trampoline_kernelINS0_14default_configENS1_22reduce_config_selectorIN6thrust23THRUST_200600_302600_NS5tupleIllNS6_9null_typeES8_S8_S8_S8_S8_S8_S8_EEEEZNS1_11reduce_implILb0ES3_PS9_SC_S9_NS6_11hip_rocprim9__extrema9arg_max_fIllNS6_4lessIlEEEEEE10hipError_tPvRmT1_T2_T3_mT4_P12ihipStream_tbEUlT_E0_NS1_11comp_targetILNS1_3genE4ELNS1_11target_archE910ELNS1_3gpuE8ELNS1_3repE0EEENS1_30default_config_static_selectorELNS0_4arch9wavefront6targetE1EEEvSM_
	.p2align	8
	.type	_ZN7rocprim17ROCPRIM_400000_NS6detail17trampoline_kernelINS0_14default_configENS1_22reduce_config_selectorIN6thrust23THRUST_200600_302600_NS5tupleIllNS6_9null_typeES8_S8_S8_S8_S8_S8_S8_EEEEZNS1_11reduce_implILb0ES3_PS9_SC_S9_NS6_11hip_rocprim9__extrema9arg_max_fIllNS6_4lessIlEEEEEE10hipError_tPvRmT1_T2_T3_mT4_P12ihipStream_tbEUlT_E0_NS1_11comp_targetILNS1_3genE4ELNS1_11target_archE910ELNS1_3gpuE8ELNS1_3repE0EEENS1_30default_config_static_selectorELNS0_4arch9wavefront6targetE1EEEvSM_,@function
_ZN7rocprim17ROCPRIM_400000_NS6detail17trampoline_kernelINS0_14default_configENS1_22reduce_config_selectorIN6thrust23THRUST_200600_302600_NS5tupleIllNS6_9null_typeES8_S8_S8_S8_S8_S8_S8_EEEEZNS1_11reduce_implILb0ES3_PS9_SC_S9_NS6_11hip_rocprim9__extrema9arg_max_fIllNS6_4lessIlEEEEEE10hipError_tPvRmT1_T2_T3_mT4_P12ihipStream_tbEUlT_E0_NS1_11comp_targetILNS1_3genE4ELNS1_11target_archE910ELNS1_3gpuE8ELNS1_3repE0EEENS1_30default_config_static_selectorELNS0_4arch9wavefront6targetE1EEEvSM_: ; @_ZN7rocprim17ROCPRIM_400000_NS6detail17trampoline_kernelINS0_14default_configENS1_22reduce_config_selectorIN6thrust23THRUST_200600_302600_NS5tupleIllNS6_9null_typeES8_S8_S8_S8_S8_S8_S8_EEEEZNS1_11reduce_implILb0ES3_PS9_SC_S9_NS6_11hip_rocprim9__extrema9arg_max_fIllNS6_4lessIlEEEEEE10hipError_tPvRmT1_T2_T3_mT4_P12ihipStream_tbEUlT_E0_NS1_11comp_targetILNS1_3genE4ELNS1_11target_archE910ELNS1_3gpuE8ELNS1_3repE0EEENS1_30default_config_static_selectorELNS0_4arch9wavefront6targetE1EEEvSM_
; %bb.0:
	.section	.rodata,"a",@progbits
	.p2align	6, 0x0
	.amdhsa_kernel _ZN7rocprim17ROCPRIM_400000_NS6detail17trampoline_kernelINS0_14default_configENS1_22reduce_config_selectorIN6thrust23THRUST_200600_302600_NS5tupleIllNS6_9null_typeES8_S8_S8_S8_S8_S8_S8_EEEEZNS1_11reduce_implILb0ES3_PS9_SC_S9_NS6_11hip_rocprim9__extrema9arg_max_fIllNS6_4lessIlEEEEEE10hipError_tPvRmT1_T2_T3_mT4_P12ihipStream_tbEUlT_E0_NS1_11comp_targetILNS1_3genE4ELNS1_11target_archE910ELNS1_3gpuE8ELNS1_3repE0EEENS1_30default_config_static_selectorELNS0_4arch9wavefront6targetE1EEEvSM_
		.amdhsa_group_segment_fixed_size 0
		.amdhsa_private_segment_fixed_size 0
		.amdhsa_kernarg_size 72
		.amdhsa_user_sgpr_count 6
		.amdhsa_user_sgpr_private_segment_buffer 1
		.amdhsa_user_sgpr_dispatch_ptr 0
		.amdhsa_user_sgpr_queue_ptr 0
		.amdhsa_user_sgpr_kernarg_segment_ptr 1
		.amdhsa_user_sgpr_dispatch_id 0
		.amdhsa_user_sgpr_flat_scratch_init 0
		.amdhsa_user_sgpr_private_segment_size 0
		.amdhsa_uses_dynamic_stack 0
		.amdhsa_system_sgpr_private_segment_wavefront_offset 0
		.amdhsa_system_sgpr_workgroup_id_x 1
		.amdhsa_system_sgpr_workgroup_id_y 0
		.amdhsa_system_sgpr_workgroup_id_z 0
		.amdhsa_system_sgpr_workgroup_info 0
		.amdhsa_system_vgpr_workitem_id 0
		.amdhsa_next_free_vgpr 1
		.amdhsa_next_free_sgpr 0
		.amdhsa_reserve_vcc 0
		.amdhsa_reserve_flat_scratch 0
		.amdhsa_float_round_mode_32 0
		.amdhsa_float_round_mode_16_64 0
		.amdhsa_float_denorm_mode_32 3
		.amdhsa_float_denorm_mode_16_64 3
		.amdhsa_dx10_clamp 1
		.amdhsa_ieee_mode 1
		.amdhsa_fp16_overflow 0
		.amdhsa_exception_fp_ieee_invalid_op 0
		.amdhsa_exception_fp_denorm_src 0
		.amdhsa_exception_fp_ieee_div_zero 0
		.amdhsa_exception_fp_ieee_overflow 0
		.amdhsa_exception_fp_ieee_underflow 0
		.amdhsa_exception_fp_ieee_inexact 0
		.amdhsa_exception_int_div_zero 0
	.end_amdhsa_kernel
	.section	.text._ZN7rocprim17ROCPRIM_400000_NS6detail17trampoline_kernelINS0_14default_configENS1_22reduce_config_selectorIN6thrust23THRUST_200600_302600_NS5tupleIllNS6_9null_typeES8_S8_S8_S8_S8_S8_S8_EEEEZNS1_11reduce_implILb0ES3_PS9_SC_S9_NS6_11hip_rocprim9__extrema9arg_max_fIllNS6_4lessIlEEEEEE10hipError_tPvRmT1_T2_T3_mT4_P12ihipStream_tbEUlT_E0_NS1_11comp_targetILNS1_3genE4ELNS1_11target_archE910ELNS1_3gpuE8ELNS1_3repE0EEENS1_30default_config_static_selectorELNS0_4arch9wavefront6targetE1EEEvSM_,"axG",@progbits,_ZN7rocprim17ROCPRIM_400000_NS6detail17trampoline_kernelINS0_14default_configENS1_22reduce_config_selectorIN6thrust23THRUST_200600_302600_NS5tupleIllNS6_9null_typeES8_S8_S8_S8_S8_S8_S8_EEEEZNS1_11reduce_implILb0ES3_PS9_SC_S9_NS6_11hip_rocprim9__extrema9arg_max_fIllNS6_4lessIlEEEEEE10hipError_tPvRmT1_T2_T3_mT4_P12ihipStream_tbEUlT_E0_NS1_11comp_targetILNS1_3genE4ELNS1_11target_archE910ELNS1_3gpuE8ELNS1_3repE0EEENS1_30default_config_static_selectorELNS0_4arch9wavefront6targetE1EEEvSM_,comdat
.Lfunc_end405:
	.size	_ZN7rocprim17ROCPRIM_400000_NS6detail17trampoline_kernelINS0_14default_configENS1_22reduce_config_selectorIN6thrust23THRUST_200600_302600_NS5tupleIllNS6_9null_typeES8_S8_S8_S8_S8_S8_S8_EEEEZNS1_11reduce_implILb0ES3_PS9_SC_S9_NS6_11hip_rocprim9__extrema9arg_max_fIllNS6_4lessIlEEEEEE10hipError_tPvRmT1_T2_T3_mT4_P12ihipStream_tbEUlT_E0_NS1_11comp_targetILNS1_3genE4ELNS1_11target_archE910ELNS1_3gpuE8ELNS1_3repE0EEENS1_30default_config_static_selectorELNS0_4arch9wavefront6targetE1EEEvSM_, .Lfunc_end405-_ZN7rocprim17ROCPRIM_400000_NS6detail17trampoline_kernelINS0_14default_configENS1_22reduce_config_selectorIN6thrust23THRUST_200600_302600_NS5tupleIllNS6_9null_typeES8_S8_S8_S8_S8_S8_S8_EEEEZNS1_11reduce_implILb0ES3_PS9_SC_S9_NS6_11hip_rocprim9__extrema9arg_max_fIllNS6_4lessIlEEEEEE10hipError_tPvRmT1_T2_T3_mT4_P12ihipStream_tbEUlT_E0_NS1_11comp_targetILNS1_3genE4ELNS1_11target_archE910ELNS1_3gpuE8ELNS1_3repE0EEENS1_30default_config_static_selectorELNS0_4arch9wavefront6targetE1EEEvSM_
                                        ; -- End function
	.set _ZN7rocprim17ROCPRIM_400000_NS6detail17trampoline_kernelINS0_14default_configENS1_22reduce_config_selectorIN6thrust23THRUST_200600_302600_NS5tupleIllNS6_9null_typeES8_S8_S8_S8_S8_S8_S8_EEEEZNS1_11reduce_implILb0ES3_PS9_SC_S9_NS6_11hip_rocprim9__extrema9arg_max_fIllNS6_4lessIlEEEEEE10hipError_tPvRmT1_T2_T3_mT4_P12ihipStream_tbEUlT_E0_NS1_11comp_targetILNS1_3genE4ELNS1_11target_archE910ELNS1_3gpuE8ELNS1_3repE0EEENS1_30default_config_static_selectorELNS0_4arch9wavefront6targetE1EEEvSM_.num_vgpr, 0
	.set _ZN7rocprim17ROCPRIM_400000_NS6detail17trampoline_kernelINS0_14default_configENS1_22reduce_config_selectorIN6thrust23THRUST_200600_302600_NS5tupleIllNS6_9null_typeES8_S8_S8_S8_S8_S8_S8_EEEEZNS1_11reduce_implILb0ES3_PS9_SC_S9_NS6_11hip_rocprim9__extrema9arg_max_fIllNS6_4lessIlEEEEEE10hipError_tPvRmT1_T2_T3_mT4_P12ihipStream_tbEUlT_E0_NS1_11comp_targetILNS1_3genE4ELNS1_11target_archE910ELNS1_3gpuE8ELNS1_3repE0EEENS1_30default_config_static_selectorELNS0_4arch9wavefront6targetE1EEEvSM_.num_agpr, 0
	.set _ZN7rocprim17ROCPRIM_400000_NS6detail17trampoline_kernelINS0_14default_configENS1_22reduce_config_selectorIN6thrust23THRUST_200600_302600_NS5tupleIllNS6_9null_typeES8_S8_S8_S8_S8_S8_S8_EEEEZNS1_11reduce_implILb0ES3_PS9_SC_S9_NS6_11hip_rocprim9__extrema9arg_max_fIllNS6_4lessIlEEEEEE10hipError_tPvRmT1_T2_T3_mT4_P12ihipStream_tbEUlT_E0_NS1_11comp_targetILNS1_3genE4ELNS1_11target_archE910ELNS1_3gpuE8ELNS1_3repE0EEENS1_30default_config_static_selectorELNS0_4arch9wavefront6targetE1EEEvSM_.numbered_sgpr, 0
	.set _ZN7rocprim17ROCPRIM_400000_NS6detail17trampoline_kernelINS0_14default_configENS1_22reduce_config_selectorIN6thrust23THRUST_200600_302600_NS5tupleIllNS6_9null_typeES8_S8_S8_S8_S8_S8_S8_EEEEZNS1_11reduce_implILb0ES3_PS9_SC_S9_NS6_11hip_rocprim9__extrema9arg_max_fIllNS6_4lessIlEEEEEE10hipError_tPvRmT1_T2_T3_mT4_P12ihipStream_tbEUlT_E0_NS1_11comp_targetILNS1_3genE4ELNS1_11target_archE910ELNS1_3gpuE8ELNS1_3repE0EEENS1_30default_config_static_selectorELNS0_4arch9wavefront6targetE1EEEvSM_.num_named_barrier, 0
	.set _ZN7rocprim17ROCPRIM_400000_NS6detail17trampoline_kernelINS0_14default_configENS1_22reduce_config_selectorIN6thrust23THRUST_200600_302600_NS5tupleIllNS6_9null_typeES8_S8_S8_S8_S8_S8_S8_EEEEZNS1_11reduce_implILb0ES3_PS9_SC_S9_NS6_11hip_rocprim9__extrema9arg_max_fIllNS6_4lessIlEEEEEE10hipError_tPvRmT1_T2_T3_mT4_P12ihipStream_tbEUlT_E0_NS1_11comp_targetILNS1_3genE4ELNS1_11target_archE910ELNS1_3gpuE8ELNS1_3repE0EEENS1_30default_config_static_selectorELNS0_4arch9wavefront6targetE1EEEvSM_.private_seg_size, 0
	.set _ZN7rocprim17ROCPRIM_400000_NS6detail17trampoline_kernelINS0_14default_configENS1_22reduce_config_selectorIN6thrust23THRUST_200600_302600_NS5tupleIllNS6_9null_typeES8_S8_S8_S8_S8_S8_S8_EEEEZNS1_11reduce_implILb0ES3_PS9_SC_S9_NS6_11hip_rocprim9__extrema9arg_max_fIllNS6_4lessIlEEEEEE10hipError_tPvRmT1_T2_T3_mT4_P12ihipStream_tbEUlT_E0_NS1_11comp_targetILNS1_3genE4ELNS1_11target_archE910ELNS1_3gpuE8ELNS1_3repE0EEENS1_30default_config_static_selectorELNS0_4arch9wavefront6targetE1EEEvSM_.uses_vcc, 0
	.set _ZN7rocprim17ROCPRIM_400000_NS6detail17trampoline_kernelINS0_14default_configENS1_22reduce_config_selectorIN6thrust23THRUST_200600_302600_NS5tupleIllNS6_9null_typeES8_S8_S8_S8_S8_S8_S8_EEEEZNS1_11reduce_implILb0ES3_PS9_SC_S9_NS6_11hip_rocprim9__extrema9arg_max_fIllNS6_4lessIlEEEEEE10hipError_tPvRmT1_T2_T3_mT4_P12ihipStream_tbEUlT_E0_NS1_11comp_targetILNS1_3genE4ELNS1_11target_archE910ELNS1_3gpuE8ELNS1_3repE0EEENS1_30default_config_static_selectorELNS0_4arch9wavefront6targetE1EEEvSM_.uses_flat_scratch, 0
	.set _ZN7rocprim17ROCPRIM_400000_NS6detail17trampoline_kernelINS0_14default_configENS1_22reduce_config_selectorIN6thrust23THRUST_200600_302600_NS5tupleIllNS6_9null_typeES8_S8_S8_S8_S8_S8_S8_EEEEZNS1_11reduce_implILb0ES3_PS9_SC_S9_NS6_11hip_rocprim9__extrema9arg_max_fIllNS6_4lessIlEEEEEE10hipError_tPvRmT1_T2_T3_mT4_P12ihipStream_tbEUlT_E0_NS1_11comp_targetILNS1_3genE4ELNS1_11target_archE910ELNS1_3gpuE8ELNS1_3repE0EEENS1_30default_config_static_selectorELNS0_4arch9wavefront6targetE1EEEvSM_.has_dyn_sized_stack, 0
	.set _ZN7rocprim17ROCPRIM_400000_NS6detail17trampoline_kernelINS0_14default_configENS1_22reduce_config_selectorIN6thrust23THRUST_200600_302600_NS5tupleIllNS6_9null_typeES8_S8_S8_S8_S8_S8_S8_EEEEZNS1_11reduce_implILb0ES3_PS9_SC_S9_NS6_11hip_rocprim9__extrema9arg_max_fIllNS6_4lessIlEEEEEE10hipError_tPvRmT1_T2_T3_mT4_P12ihipStream_tbEUlT_E0_NS1_11comp_targetILNS1_3genE4ELNS1_11target_archE910ELNS1_3gpuE8ELNS1_3repE0EEENS1_30default_config_static_selectorELNS0_4arch9wavefront6targetE1EEEvSM_.has_recursion, 0
	.set _ZN7rocprim17ROCPRIM_400000_NS6detail17trampoline_kernelINS0_14default_configENS1_22reduce_config_selectorIN6thrust23THRUST_200600_302600_NS5tupleIllNS6_9null_typeES8_S8_S8_S8_S8_S8_S8_EEEEZNS1_11reduce_implILb0ES3_PS9_SC_S9_NS6_11hip_rocprim9__extrema9arg_max_fIllNS6_4lessIlEEEEEE10hipError_tPvRmT1_T2_T3_mT4_P12ihipStream_tbEUlT_E0_NS1_11comp_targetILNS1_3genE4ELNS1_11target_archE910ELNS1_3gpuE8ELNS1_3repE0EEENS1_30default_config_static_selectorELNS0_4arch9wavefront6targetE1EEEvSM_.has_indirect_call, 0
	.section	.AMDGPU.csdata,"",@progbits
; Kernel info:
; codeLenInByte = 0
; TotalNumSgprs: 4
; NumVgprs: 0
; ScratchSize: 0
; MemoryBound: 0
; FloatMode: 240
; IeeeMode: 1
; LDSByteSize: 0 bytes/workgroup (compile time only)
; SGPRBlocks: 0
; VGPRBlocks: 0
; NumSGPRsForWavesPerEU: 4
; NumVGPRsForWavesPerEU: 1
; Occupancy: 10
; WaveLimiterHint : 0
; COMPUTE_PGM_RSRC2:SCRATCH_EN: 0
; COMPUTE_PGM_RSRC2:USER_SGPR: 6
; COMPUTE_PGM_RSRC2:TRAP_HANDLER: 0
; COMPUTE_PGM_RSRC2:TGID_X_EN: 1
; COMPUTE_PGM_RSRC2:TGID_Y_EN: 0
; COMPUTE_PGM_RSRC2:TGID_Z_EN: 0
; COMPUTE_PGM_RSRC2:TIDIG_COMP_CNT: 0
	.section	.text._ZN7rocprim17ROCPRIM_400000_NS6detail17trampoline_kernelINS0_14default_configENS1_22reduce_config_selectorIN6thrust23THRUST_200600_302600_NS5tupleIllNS6_9null_typeES8_S8_S8_S8_S8_S8_S8_EEEEZNS1_11reduce_implILb0ES3_PS9_SC_S9_NS6_11hip_rocprim9__extrema9arg_max_fIllNS6_4lessIlEEEEEE10hipError_tPvRmT1_T2_T3_mT4_P12ihipStream_tbEUlT_E0_NS1_11comp_targetILNS1_3genE3ELNS1_11target_archE908ELNS1_3gpuE7ELNS1_3repE0EEENS1_30default_config_static_selectorELNS0_4arch9wavefront6targetE1EEEvSM_,"axG",@progbits,_ZN7rocprim17ROCPRIM_400000_NS6detail17trampoline_kernelINS0_14default_configENS1_22reduce_config_selectorIN6thrust23THRUST_200600_302600_NS5tupleIllNS6_9null_typeES8_S8_S8_S8_S8_S8_S8_EEEEZNS1_11reduce_implILb0ES3_PS9_SC_S9_NS6_11hip_rocprim9__extrema9arg_max_fIllNS6_4lessIlEEEEEE10hipError_tPvRmT1_T2_T3_mT4_P12ihipStream_tbEUlT_E0_NS1_11comp_targetILNS1_3genE3ELNS1_11target_archE908ELNS1_3gpuE7ELNS1_3repE0EEENS1_30default_config_static_selectorELNS0_4arch9wavefront6targetE1EEEvSM_,comdat
	.protected	_ZN7rocprim17ROCPRIM_400000_NS6detail17trampoline_kernelINS0_14default_configENS1_22reduce_config_selectorIN6thrust23THRUST_200600_302600_NS5tupleIllNS6_9null_typeES8_S8_S8_S8_S8_S8_S8_EEEEZNS1_11reduce_implILb0ES3_PS9_SC_S9_NS6_11hip_rocprim9__extrema9arg_max_fIllNS6_4lessIlEEEEEE10hipError_tPvRmT1_T2_T3_mT4_P12ihipStream_tbEUlT_E0_NS1_11comp_targetILNS1_3genE3ELNS1_11target_archE908ELNS1_3gpuE7ELNS1_3repE0EEENS1_30default_config_static_selectorELNS0_4arch9wavefront6targetE1EEEvSM_ ; -- Begin function _ZN7rocprim17ROCPRIM_400000_NS6detail17trampoline_kernelINS0_14default_configENS1_22reduce_config_selectorIN6thrust23THRUST_200600_302600_NS5tupleIllNS6_9null_typeES8_S8_S8_S8_S8_S8_S8_EEEEZNS1_11reduce_implILb0ES3_PS9_SC_S9_NS6_11hip_rocprim9__extrema9arg_max_fIllNS6_4lessIlEEEEEE10hipError_tPvRmT1_T2_T3_mT4_P12ihipStream_tbEUlT_E0_NS1_11comp_targetILNS1_3genE3ELNS1_11target_archE908ELNS1_3gpuE7ELNS1_3repE0EEENS1_30default_config_static_selectorELNS0_4arch9wavefront6targetE1EEEvSM_
	.globl	_ZN7rocprim17ROCPRIM_400000_NS6detail17trampoline_kernelINS0_14default_configENS1_22reduce_config_selectorIN6thrust23THRUST_200600_302600_NS5tupleIllNS6_9null_typeES8_S8_S8_S8_S8_S8_S8_EEEEZNS1_11reduce_implILb0ES3_PS9_SC_S9_NS6_11hip_rocprim9__extrema9arg_max_fIllNS6_4lessIlEEEEEE10hipError_tPvRmT1_T2_T3_mT4_P12ihipStream_tbEUlT_E0_NS1_11comp_targetILNS1_3genE3ELNS1_11target_archE908ELNS1_3gpuE7ELNS1_3repE0EEENS1_30default_config_static_selectorELNS0_4arch9wavefront6targetE1EEEvSM_
	.p2align	8
	.type	_ZN7rocprim17ROCPRIM_400000_NS6detail17trampoline_kernelINS0_14default_configENS1_22reduce_config_selectorIN6thrust23THRUST_200600_302600_NS5tupleIllNS6_9null_typeES8_S8_S8_S8_S8_S8_S8_EEEEZNS1_11reduce_implILb0ES3_PS9_SC_S9_NS6_11hip_rocprim9__extrema9arg_max_fIllNS6_4lessIlEEEEEE10hipError_tPvRmT1_T2_T3_mT4_P12ihipStream_tbEUlT_E0_NS1_11comp_targetILNS1_3genE3ELNS1_11target_archE908ELNS1_3gpuE7ELNS1_3repE0EEENS1_30default_config_static_selectorELNS0_4arch9wavefront6targetE1EEEvSM_,@function
_ZN7rocprim17ROCPRIM_400000_NS6detail17trampoline_kernelINS0_14default_configENS1_22reduce_config_selectorIN6thrust23THRUST_200600_302600_NS5tupleIllNS6_9null_typeES8_S8_S8_S8_S8_S8_S8_EEEEZNS1_11reduce_implILb0ES3_PS9_SC_S9_NS6_11hip_rocprim9__extrema9arg_max_fIllNS6_4lessIlEEEEEE10hipError_tPvRmT1_T2_T3_mT4_P12ihipStream_tbEUlT_E0_NS1_11comp_targetILNS1_3genE3ELNS1_11target_archE908ELNS1_3gpuE7ELNS1_3repE0EEENS1_30default_config_static_selectorELNS0_4arch9wavefront6targetE1EEEvSM_: ; @_ZN7rocprim17ROCPRIM_400000_NS6detail17trampoline_kernelINS0_14default_configENS1_22reduce_config_selectorIN6thrust23THRUST_200600_302600_NS5tupleIllNS6_9null_typeES8_S8_S8_S8_S8_S8_S8_EEEEZNS1_11reduce_implILb0ES3_PS9_SC_S9_NS6_11hip_rocprim9__extrema9arg_max_fIllNS6_4lessIlEEEEEE10hipError_tPvRmT1_T2_T3_mT4_P12ihipStream_tbEUlT_E0_NS1_11comp_targetILNS1_3genE3ELNS1_11target_archE908ELNS1_3gpuE7ELNS1_3repE0EEENS1_30default_config_static_selectorELNS0_4arch9wavefront6targetE1EEEvSM_
; %bb.0:
	.section	.rodata,"a",@progbits
	.p2align	6, 0x0
	.amdhsa_kernel _ZN7rocprim17ROCPRIM_400000_NS6detail17trampoline_kernelINS0_14default_configENS1_22reduce_config_selectorIN6thrust23THRUST_200600_302600_NS5tupleIllNS6_9null_typeES8_S8_S8_S8_S8_S8_S8_EEEEZNS1_11reduce_implILb0ES3_PS9_SC_S9_NS6_11hip_rocprim9__extrema9arg_max_fIllNS6_4lessIlEEEEEE10hipError_tPvRmT1_T2_T3_mT4_P12ihipStream_tbEUlT_E0_NS1_11comp_targetILNS1_3genE3ELNS1_11target_archE908ELNS1_3gpuE7ELNS1_3repE0EEENS1_30default_config_static_selectorELNS0_4arch9wavefront6targetE1EEEvSM_
		.amdhsa_group_segment_fixed_size 0
		.amdhsa_private_segment_fixed_size 0
		.amdhsa_kernarg_size 72
		.amdhsa_user_sgpr_count 6
		.amdhsa_user_sgpr_private_segment_buffer 1
		.amdhsa_user_sgpr_dispatch_ptr 0
		.amdhsa_user_sgpr_queue_ptr 0
		.amdhsa_user_sgpr_kernarg_segment_ptr 1
		.amdhsa_user_sgpr_dispatch_id 0
		.amdhsa_user_sgpr_flat_scratch_init 0
		.amdhsa_user_sgpr_private_segment_size 0
		.amdhsa_uses_dynamic_stack 0
		.amdhsa_system_sgpr_private_segment_wavefront_offset 0
		.amdhsa_system_sgpr_workgroup_id_x 1
		.amdhsa_system_sgpr_workgroup_id_y 0
		.amdhsa_system_sgpr_workgroup_id_z 0
		.amdhsa_system_sgpr_workgroup_info 0
		.amdhsa_system_vgpr_workitem_id 0
		.amdhsa_next_free_vgpr 1
		.amdhsa_next_free_sgpr 0
		.amdhsa_reserve_vcc 0
		.amdhsa_reserve_flat_scratch 0
		.amdhsa_float_round_mode_32 0
		.amdhsa_float_round_mode_16_64 0
		.amdhsa_float_denorm_mode_32 3
		.amdhsa_float_denorm_mode_16_64 3
		.amdhsa_dx10_clamp 1
		.amdhsa_ieee_mode 1
		.amdhsa_fp16_overflow 0
		.amdhsa_exception_fp_ieee_invalid_op 0
		.amdhsa_exception_fp_denorm_src 0
		.amdhsa_exception_fp_ieee_div_zero 0
		.amdhsa_exception_fp_ieee_overflow 0
		.amdhsa_exception_fp_ieee_underflow 0
		.amdhsa_exception_fp_ieee_inexact 0
		.amdhsa_exception_int_div_zero 0
	.end_amdhsa_kernel
	.section	.text._ZN7rocprim17ROCPRIM_400000_NS6detail17trampoline_kernelINS0_14default_configENS1_22reduce_config_selectorIN6thrust23THRUST_200600_302600_NS5tupleIllNS6_9null_typeES8_S8_S8_S8_S8_S8_S8_EEEEZNS1_11reduce_implILb0ES3_PS9_SC_S9_NS6_11hip_rocprim9__extrema9arg_max_fIllNS6_4lessIlEEEEEE10hipError_tPvRmT1_T2_T3_mT4_P12ihipStream_tbEUlT_E0_NS1_11comp_targetILNS1_3genE3ELNS1_11target_archE908ELNS1_3gpuE7ELNS1_3repE0EEENS1_30default_config_static_selectorELNS0_4arch9wavefront6targetE1EEEvSM_,"axG",@progbits,_ZN7rocprim17ROCPRIM_400000_NS6detail17trampoline_kernelINS0_14default_configENS1_22reduce_config_selectorIN6thrust23THRUST_200600_302600_NS5tupleIllNS6_9null_typeES8_S8_S8_S8_S8_S8_S8_EEEEZNS1_11reduce_implILb0ES3_PS9_SC_S9_NS6_11hip_rocprim9__extrema9arg_max_fIllNS6_4lessIlEEEEEE10hipError_tPvRmT1_T2_T3_mT4_P12ihipStream_tbEUlT_E0_NS1_11comp_targetILNS1_3genE3ELNS1_11target_archE908ELNS1_3gpuE7ELNS1_3repE0EEENS1_30default_config_static_selectorELNS0_4arch9wavefront6targetE1EEEvSM_,comdat
.Lfunc_end406:
	.size	_ZN7rocprim17ROCPRIM_400000_NS6detail17trampoline_kernelINS0_14default_configENS1_22reduce_config_selectorIN6thrust23THRUST_200600_302600_NS5tupleIllNS6_9null_typeES8_S8_S8_S8_S8_S8_S8_EEEEZNS1_11reduce_implILb0ES3_PS9_SC_S9_NS6_11hip_rocprim9__extrema9arg_max_fIllNS6_4lessIlEEEEEE10hipError_tPvRmT1_T2_T3_mT4_P12ihipStream_tbEUlT_E0_NS1_11comp_targetILNS1_3genE3ELNS1_11target_archE908ELNS1_3gpuE7ELNS1_3repE0EEENS1_30default_config_static_selectorELNS0_4arch9wavefront6targetE1EEEvSM_, .Lfunc_end406-_ZN7rocprim17ROCPRIM_400000_NS6detail17trampoline_kernelINS0_14default_configENS1_22reduce_config_selectorIN6thrust23THRUST_200600_302600_NS5tupleIllNS6_9null_typeES8_S8_S8_S8_S8_S8_S8_EEEEZNS1_11reduce_implILb0ES3_PS9_SC_S9_NS6_11hip_rocprim9__extrema9arg_max_fIllNS6_4lessIlEEEEEE10hipError_tPvRmT1_T2_T3_mT4_P12ihipStream_tbEUlT_E0_NS1_11comp_targetILNS1_3genE3ELNS1_11target_archE908ELNS1_3gpuE7ELNS1_3repE0EEENS1_30default_config_static_selectorELNS0_4arch9wavefront6targetE1EEEvSM_
                                        ; -- End function
	.set _ZN7rocprim17ROCPRIM_400000_NS6detail17trampoline_kernelINS0_14default_configENS1_22reduce_config_selectorIN6thrust23THRUST_200600_302600_NS5tupleIllNS6_9null_typeES8_S8_S8_S8_S8_S8_S8_EEEEZNS1_11reduce_implILb0ES3_PS9_SC_S9_NS6_11hip_rocprim9__extrema9arg_max_fIllNS6_4lessIlEEEEEE10hipError_tPvRmT1_T2_T3_mT4_P12ihipStream_tbEUlT_E0_NS1_11comp_targetILNS1_3genE3ELNS1_11target_archE908ELNS1_3gpuE7ELNS1_3repE0EEENS1_30default_config_static_selectorELNS0_4arch9wavefront6targetE1EEEvSM_.num_vgpr, 0
	.set _ZN7rocprim17ROCPRIM_400000_NS6detail17trampoline_kernelINS0_14default_configENS1_22reduce_config_selectorIN6thrust23THRUST_200600_302600_NS5tupleIllNS6_9null_typeES8_S8_S8_S8_S8_S8_S8_EEEEZNS1_11reduce_implILb0ES3_PS9_SC_S9_NS6_11hip_rocprim9__extrema9arg_max_fIllNS6_4lessIlEEEEEE10hipError_tPvRmT1_T2_T3_mT4_P12ihipStream_tbEUlT_E0_NS1_11comp_targetILNS1_3genE3ELNS1_11target_archE908ELNS1_3gpuE7ELNS1_3repE0EEENS1_30default_config_static_selectorELNS0_4arch9wavefront6targetE1EEEvSM_.num_agpr, 0
	.set _ZN7rocprim17ROCPRIM_400000_NS6detail17trampoline_kernelINS0_14default_configENS1_22reduce_config_selectorIN6thrust23THRUST_200600_302600_NS5tupleIllNS6_9null_typeES8_S8_S8_S8_S8_S8_S8_EEEEZNS1_11reduce_implILb0ES3_PS9_SC_S9_NS6_11hip_rocprim9__extrema9arg_max_fIllNS6_4lessIlEEEEEE10hipError_tPvRmT1_T2_T3_mT4_P12ihipStream_tbEUlT_E0_NS1_11comp_targetILNS1_3genE3ELNS1_11target_archE908ELNS1_3gpuE7ELNS1_3repE0EEENS1_30default_config_static_selectorELNS0_4arch9wavefront6targetE1EEEvSM_.numbered_sgpr, 0
	.set _ZN7rocprim17ROCPRIM_400000_NS6detail17trampoline_kernelINS0_14default_configENS1_22reduce_config_selectorIN6thrust23THRUST_200600_302600_NS5tupleIllNS6_9null_typeES8_S8_S8_S8_S8_S8_S8_EEEEZNS1_11reduce_implILb0ES3_PS9_SC_S9_NS6_11hip_rocprim9__extrema9arg_max_fIllNS6_4lessIlEEEEEE10hipError_tPvRmT1_T2_T3_mT4_P12ihipStream_tbEUlT_E0_NS1_11comp_targetILNS1_3genE3ELNS1_11target_archE908ELNS1_3gpuE7ELNS1_3repE0EEENS1_30default_config_static_selectorELNS0_4arch9wavefront6targetE1EEEvSM_.num_named_barrier, 0
	.set _ZN7rocprim17ROCPRIM_400000_NS6detail17trampoline_kernelINS0_14default_configENS1_22reduce_config_selectorIN6thrust23THRUST_200600_302600_NS5tupleIllNS6_9null_typeES8_S8_S8_S8_S8_S8_S8_EEEEZNS1_11reduce_implILb0ES3_PS9_SC_S9_NS6_11hip_rocprim9__extrema9arg_max_fIllNS6_4lessIlEEEEEE10hipError_tPvRmT1_T2_T3_mT4_P12ihipStream_tbEUlT_E0_NS1_11comp_targetILNS1_3genE3ELNS1_11target_archE908ELNS1_3gpuE7ELNS1_3repE0EEENS1_30default_config_static_selectorELNS0_4arch9wavefront6targetE1EEEvSM_.private_seg_size, 0
	.set _ZN7rocprim17ROCPRIM_400000_NS6detail17trampoline_kernelINS0_14default_configENS1_22reduce_config_selectorIN6thrust23THRUST_200600_302600_NS5tupleIllNS6_9null_typeES8_S8_S8_S8_S8_S8_S8_EEEEZNS1_11reduce_implILb0ES3_PS9_SC_S9_NS6_11hip_rocprim9__extrema9arg_max_fIllNS6_4lessIlEEEEEE10hipError_tPvRmT1_T2_T3_mT4_P12ihipStream_tbEUlT_E0_NS1_11comp_targetILNS1_3genE3ELNS1_11target_archE908ELNS1_3gpuE7ELNS1_3repE0EEENS1_30default_config_static_selectorELNS0_4arch9wavefront6targetE1EEEvSM_.uses_vcc, 0
	.set _ZN7rocprim17ROCPRIM_400000_NS6detail17trampoline_kernelINS0_14default_configENS1_22reduce_config_selectorIN6thrust23THRUST_200600_302600_NS5tupleIllNS6_9null_typeES8_S8_S8_S8_S8_S8_S8_EEEEZNS1_11reduce_implILb0ES3_PS9_SC_S9_NS6_11hip_rocprim9__extrema9arg_max_fIllNS6_4lessIlEEEEEE10hipError_tPvRmT1_T2_T3_mT4_P12ihipStream_tbEUlT_E0_NS1_11comp_targetILNS1_3genE3ELNS1_11target_archE908ELNS1_3gpuE7ELNS1_3repE0EEENS1_30default_config_static_selectorELNS0_4arch9wavefront6targetE1EEEvSM_.uses_flat_scratch, 0
	.set _ZN7rocprim17ROCPRIM_400000_NS6detail17trampoline_kernelINS0_14default_configENS1_22reduce_config_selectorIN6thrust23THRUST_200600_302600_NS5tupleIllNS6_9null_typeES8_S8_S8_S8_S8_S8_S8_EEEEZNS1_11reduce_implILb0ES3_PS9_SC_S9_NS6_11hip_rocprim9__extrema9arg_max_fIllNS6_4lessIlEEEEEE10hipError_tPvRmT1_T2_T3_mT4_P12ihipStream_tbEUlT_E0_NS1_11comp_targetILNS1_3genE3ELNS1_11target_archE908ELNS1_3gpuE7ELNS1_3repE0EEENS1_30default_config_static_selectorELNS0_4arch9wavefront6targetE1EEEvSM_.has_dyn_sized_stack, 0
	.set _ZN7rocprim17ROCPRIM_400000_NS6detail17trampoline_kernelINS0_14default_configENS1_22reduce_config_selectorIN6thrust23THRUST_200600_302600_NS5tupleIllNS6_9null_typeES8_S8_S8_S8_S8_S8_S8_EEEEZNS1_11reduce_implILb0ES3_PS9_SC_S9_NS6_11hip_rocprim9__extrema9arg_max_fIllNS6_4lessIlEEEEEE10hipError_tPvRmT1_T2_T3_mT4_P12ihipStream_tbEUlT_E0_NS1_11comp_targetILNS1_3genE3ELNS1_11target_archE908ELNS1_3gpuE7ELNS1_3repE0EEENS1_30default_config_static_selectorELNS0_4arch9wavefront6targetE1EEEvSM_.has_recursion, 0
	.set _ZN7rocprim17ROCPRIM_400000_NS6detail17trampoline_kernelINS0_14default_configENS1_22reduce_config_selectorIN6thrust23THRUST_200600_302600_NS5tupleIllNS6_9null_typeES8_S8_S8_S8_S8_S8_S8_EEEEZNS1_11reduce_implILb0ES3_PS9_SC_S9_NS6_11hip_rocprim9__extrema9arg_max_fIllNS6_4lessIlEEEEEE10hipError_tPvRmT1_T2_T3_mT4_P12ihipStream_tbEUlT_E0_NS1_11comp_targetILNS1_3genE3ELNS1_11target_archE908ELNS1_3gpuE7ELNS1_3repE0EEENS1_30default_config_static_selectorELNS0_4arch9wavefront6targetE1EEEvSM_.has_indirect_call, 0
	.section	.AMDGPU.csdata,"",@progbits
; Kernel info:
; codeLenInByte = 0
; TotalNumSgprs: 4
; NumVgprs: 0
; ScratchSize: 0
; MemoryBound: 0
; FloatMode: 240
; IeeeMode: 1
; LDSByteSize: 0 bytes/workgroup (compile time only)
; SGPRBlocks: 0
; VGPRBlocks: 0
; NumSGPRsForWavesPerEU: 4
; NumVGPRsForWavesPerEU: 1
; Occupancy: 10
; WaveLimiterHint : 0
; COMPUTE_PGM_RSRC2:SCRATCH_EN: 0
; COMPUTE_PGM_RSRC2:USER_SGPR: 6
; COMPUTE_PGM_RSRC2:TRAP_HANDLER: 0
; COMPUTE_PGM_RSRC2:TGID_X_EN: 1
; COMPUTE_PGM_RSRC2:TGID_Y_EN: 0
; COMPUTE_PGM_RSRC2:TGID_Z_EN: 0
; COMPUTE_PGM_RSRC2:TIDIG_COMP_CNT: 0
	.section	.text._ZN7rocprim17ROCPRIM_400000_NS6detail17trampoline_kernelINS0_14default_configENS1_22reduce_config_selectorIN6thrust23THRUST_200600_302600_NS5tupleIllNS6_9null_typeES8_S8_S8_S8_S8_S8_S8_EEEEZNS1_11reduce_implILb0ES3_PS9_SC_S9_NS6_11hip_rocprim9__extrema9arg_max_fIllNS6_4lessIlEEEEEE10hipError_tPvRmT1_T2_T3_mT4_P12ihipStream_tbEUlT_E0_NS1_11comp_targetILNS1_3genE2ELNS1_11target_archE906ELNS1_3gpuE6ELNS1_3repE0EEENS1_30default_config_static_selectorELNS0_4arch9wavefront6targetE1EEEvSM_,"axG",@progbits,_ZN7rocprim17ROCPRIM_400000_NS6detail17trampoline_kernelINS0_14default_configENS1_22reduce_config_selectorIN6thrust23THRUST_200600_302600_NS5tupleIllNS6_9null_typeES8_S8_S8_S8_S8_S8_S8_EEEEZNS1_11reduce_implILb0ES3_PS9_SC_S9_NS6_11hip_rocprim9__extrema9arg_max_fIllNS6_4lessIlEEEEEE10hipError_tPvRmT1_T2_T3_mT4_P12ihipStream_tbEUlT_E0_NS1_11comp_targetILNS1_3genE2ELNS1_11target_archE906ELNS1_3gpuE6ELNS1_3repE0EEENS1_30default_config_static_selectorELNS0_4arch9wavefront6targetE1EEEvSM_,comdat
	.protected	_ZN7rocprim17ROCPRIM_400000_NS6detail17trampoline_kernelINS0_14default_configENS1_22reduce_config_selectorIN6thrust23THRUST_200600_302600_NS5tupleIllNS6_9null_typeES8_S8_S8_S8_S8_S8_S8_EEEEZNS1_11reduce_implILb0ES3_PS9_SC_S9_NS6_11hip_rocprim9__extrema9arg_max_fIllNS6_4lessIlEEEEEE10hipError_tPvRmT1_T2_T3_mT4_P12ihipStream_tbEUlT_E0_NS1_11comp_targetILNS1_3genE2ELNS1_11target_archE906ELNS1_3gpuE6ELNS1_3repE0EEENS1_30default_config_static_selectorELNS0_4arch9wavefront6targetE1EEEvSM_ ; -- Begin function _ZN7rocprim17ROCPRIM_400000_NS6detail17trampoline_kernelINS0_14default_configENS1_22reduce_config_selectorIN6thrust23THRUST_200600_302600_NS5tupleIllNS6_9null_typeES8_S8_S8_S8_S8_S8_S8_EEEEZNS1_11reduce_implILb0ES3_PS9_SC_S9_NS6_11hip_rocprim9__extrema9arg_max_fIllNS6_4lessIlEEEEEE10hipError_tPvRmT1_T2_T3_mT4_P12ihipStream_tbEUlT_E0_NS1_11comp_targetILNS1_3genE2ELNS1_11target_archE906ELNS1_3gpuE6ELNS1_3repE0EEENS1_30default_config_static_selectorELNS0_4arch9wavefront6targetE1EEEvSM_
	.globl	_ZN7rocprim17ROCPRIM_400000_NS6detail17trampoline_kernelINS0_14default_configENS1_22reduce_config_selectorIN6thrust23THRUST_200600_302600_NS5tupleIllNS6_9null_typeES8_S8_S8_S8_S8_S8_S8_EEEEZNS1_11reduce_implILb0ES3_PS9_SC_S9_NS6_11hip_rocprim9__extrema9arg_max_fIllNS6_4lessIlEEEEEE10hipError_tPvRmT1_T2_T3_mT4_P12ihipStream_tbEUlT_E0_NS1_11comp_targetILNS1_3genE2ELNS1_11target_archE906ELNS1_3gpuE6ELNS1_3repE0EEENS1_30default_config_static_selectorELNS0_4arch9wavefront6targetE1EEEvSM_
	.p2align	8
	.type	_ZN7rocprim17ROCPRIM_400000_NS6detail17trampoline_kernelINS0_14default_configENS1_22reduce_config_selectorIN6thrust23THRUST_200600_302600_NS5tupleIllNS6_9null_typeES8_S8_S8_S8_S8_S8_S8_EEEEZNS1_11reduce_implILb0ES3_PS9_SC_S9_NS6_11hip_rocprim9__extrema9arg_max_fIllNS6_4lessIlEEEEEE10hipError_tPvRmT1_T2_T3_mT4_P12ihipStream_tbEUlT_E0_NS1_11comp_targetILNS1_3genE2ELNS1_11target_archE906ELNS1_3gpuE6ELNS1_3repE0EEENS1_30default_config_static_selectorELNS0_4arch9wavefront6targetE1EEEvSM_,@function
_ZN7rocprim17ROCPRIM_400000_NS6detail17trampoline_kernelINS0_14default_configENS1_22reduce_config_selectorIN6thrust23THRUST_200600_302600_NS5tupleIllNS6_9null_typeES8_S8_S8_S8_S8_S8_S8_EEEEZNS1_11reduce_implILb0ES3_PS9_SC_S9_NS6_11hip_rocprim9__extrema9arg_max_fIllNS6_4lessIlEEEEEE10hipError_tPvRmT1_T2_T3_mT4_P12ihipStream_tbEUlT_E0_NS1_11comp_targetILNS1_3genE2ELNS1_11target_archE906ELNS1_3gpuE6ELNS1_3repE0EEENS1_30default_config_static_selectorELNS0_4arch9wavefront6targetE1EEEvSM_: ; @_ZN7rocprim17ROCPRIM_400000_NS6detail17trampoline_kernelINS0_14default_configENS1_22reduce_config_selectorIN6thrust23THRUST_200600_302600_NS5tupleIllNS6_9null_typeES8_S8_S8_S8_S8_S8_S8_EEEEZNS1_11reduce_implILb0ES3_PS9_SC_S9_NS6_11hip_rocprim9__extrema9arg_max_fIllNS6_4lessIlEEEEEE10hipError_tPvRmT1_T2_T3_mT4_P12ihipStream_tbEUlT_E0_NS1_11comp_targetILNS1_3genE2ELNS1_11target_archE906ELNS1_3gpuE6ELNS1_3repE0EEENS1_30default_config_static_selectorELNS0_4arch9wavefront6targetE1EEEvSM_
; %bb.0:
	s_load_dwordx16 s[8:23], s[4:5], 0x0
	s_mov_b32 s5, 0
	s_mov_b32 s7, s5
	v_lshlrev_b32_e32 v9, 4, v0
	s_waitcnt lgkmcnt(0)
	s_lshl_b64 s[0:1], s[10:11], 4
	s_add_u32 s8, s8, s0
	s_addc_u32 s9, s9, s1
	s_lshl_b32 s4, s6, 8
	s_lshr_b64 s[0:1], s[12:13], 8
	s_lshl_b64 s[2:3], s[4:5], 4
	s_add_u32 s2, s8, s2
	s_addc_u32 s3, s9, s3
	s_cmp_lg_u64 s[0:1], s[6:7]
	s_cbranch_scc0 .LBB407_18
; %bb.1:
	global_load_dwordx4 v[1:4], v9, s[2:3]
	global_load_dwordx4 v[5:8], v9, s[2:3] offset:2048
	s_waitcnt vmcnt(0)
	v_cmp_lt_i64_e32 vcc, v[5:6], v[1:2]
	v_cmp_lt_i64_e64 s[0:1], v[3:4], v[7:8]
	s_or_b64 vcc, vcc, s[0:1]
	v_cndmask_b32_e32 v10, v5, v1, vcc
	v_cndmask_b32_e32 v11, v6, v2, vcc
	;; [unrolled: 1-line block ×4, first 2 shown]
	v_cmp_lt_i64_e32 vcc, v[1:2], v[5:6]
	v_cndmask_b32_e32 v2, v11, v6, vcc
	v_cndmask_b32_e32 v1, v10, v5, vcc
	;; [unrolled: 1-line block ×4, first 2 shown]
	v_mov_b32_dpp v8, v2 quad_perm:[1,0,3,2] row_mask:0xf bank_mask:0xf bound_ctrl:1
	v_mov_b32_dpp v7, v1 quad_perm:[1,0,3,2] row_mask:0xf bank_mask:0xf bound_ctrl:1
	v_cmp_ge_i64_e32 vcc, v[7:8], v[1:2]
	v_mov_b32_dpp v5, v3 quad_perm:[1,0,3,2] row_mask:0xf bank_mask:0xf bound_ctrl:1
	v_mov_b32_dpp v10, v4 quad_perm:[1,0,3,2] row_mask:0xf bank_mask:0xf bound_ctrl:1
	s_and_saveexec_b64 s[8:9], vcc
	s_cbranch_execz .LBB407_3
; %bb.2:
	v_mov_b32_e32 v6, v10
	v_cmp_lt_i64_e32 vcc, v[1:2], v[7:8]
	v_cmp_lt_i64_e64 s[0:1], v[5:6], v[3:4]
	s_or_b64 vcc, vcc, s[0:1]
	v_cndmask_b32_e32 v2, v2, v8, vcc
	v_cndmask_b32_e32 v1, v1, v7, vcc
	;; [unrolled: 1-line block ×4, first 2 shown]
.LBB407_3:
	s_or_b64 exec, exec, s[8:9]
	v_mov_b32_dpp v7, v1 quad_perm:[2,3,0,1] row_mask:0xf bank_mask:0xf bound_ctrl:1
	v_mov_b32_dpp v8, v2 quad_perm:[2,3,0,1] row_mask:0xf bank_mask:0xf bound_ctrl:1
	v_cmp_ge_i64_e32 vcc, v[7:8], v[1:2]
	v_mov_b32_dpp v5, v3 quad_perm:[2,3,0,1] row_mask:0xf bank_mask:0xf bound_ctrl:1
	v_mov_b32_dpp v10, v4 quad_perm:[2,3,0,1] row_mask:0xf bank_mask:0xf bound_ctrl:1
	s_and_saveexec_b64 s[8:9], vcc
	s_cbranch_execz .LBB407_5
; %bb.4:
	v_mov_b32_e32 v6, v10
	v_cmp_lt_i64_e32 vcc, v[1:2], v[7:8]
	v_cmp_lt_i64_e64 s[0:1], v[5:6], v[3:4]
	s_or_b64 vcc, vcc, s[0:1]
	v_cndmask_b32_e32 v2, v2, v8, vcc
	v_cndmask_b32_e32 v1, v1, v7, vcc
	;; [unrolled: 1-line block ×4, first 2 shown]
.LBB407_5:
	s_or_b64 exec, exec, s[8:9]
	v_mov_b32_dpp v7, v1 row_ror:4 row_mask:0xf bank_mask:0xf bound_ctrl:1
	v_mov_b32_dpp v8, v2 row_ror:4 row_mask:0xf bank_mask:0xf bound_ctrl:1
	v_cmp_ge_i64_e32 vcc, v[7:8], v[1:2]
	v_mov_b32_dpp v5, v3 row_ror:4 row_mask:0xf bank_mask:0xf bound_ctrl:1
	v_mov_b32_dpp v10, v4 row_ror:4 row_mask:0xf bank_mask:0xf bound_ctrl:1
	s_and_saveexec_b64 s[8:9], vcc
	s_cbranch_execz .LBB407_7
; %bb.6:
	v_mov_b32_e32 v6, v10
	v_cmp_lt_i64_e32 vcc, v[1:2], v[7:8]
	v_cmp_lt_i64_e64 s[0:1], v[5:6], v[3:4]
	s_or_b64 vcc, vcc, s[0:1]
	v_cndmask_b32_e32 v2, v2, v8, vcc
	v_cndmask_b32_e32 v1, v1, v7, vcc
	;; [unrolled: 1-line block ×4, first 2 shown]
.LBB407_7:
	s_or_b64 exec, exec, s[8:9]
	v_mov_b32_dpp v7, v1 row_ror:8 row_mask:0xf bank_mask:0xf bound_ctrl:1
	v_mov_b32_dpp v8, v2 row_ror:8 row_mask:0xf bank_mask:0xf bound_ctrl:1
	v_cmp_ge_i64_e32 vcc, v[7:8], v[1:2]
	v_mov_b32_dpp v5, v3 row_ror:8 row_mask:0xf bank_mask:0xf bound_ctrl:1
	v_mov_b32_dpp v10, v4 row_ror:8 row_mask:0xf bank_mask:0xf bound_ctrl:1
	s_and_saveexec_b64 s[8:9], vcc
	s_cbranch_execz .LBB407_9
; %bb.8:
	v_mov_b32_e32 v6, v10
	v_cmp_lt_i64_e32 vcc, v[1:2], v[7:8]
	v_cmp_lt_i64_e64 s[0:1], v[5:6], v[3:4]
	s_or_b64 vcc, vcc, s[0:1]
	v_cndmask_b32_e32 v2, v2, v8, vcc
	v_cndmask_b32_e32 v1, v1, v7, vcc
	;; [unrolled: 1-line block ×4, first 2 shown]
.LBB407_9:
	s_or_b64 exec, exec, s[8:9]
	v_mov_b32_dpp v7, v1 row_bcast:15 row_mask:0xf bank_mask:0xf bound_ctrl:1
	v_mov_b32_dpp v8, v2 row_bcast:15 row_mask:0xf bank_mask:0xf bound_ctrl:1
	v_cmp_ge_i64_e32 vcc, v[7:8], v[1:2]
	v_mov_b32_dpp v5, v3 row_bcast:15 row_mask:0xf bank_mask:0xf bound_ctrl:1
	v_mov_b32_dpp v10, v4 row_bcast:15 row_mask:0xf bank_mask:0xf bound_ctrl:1
	s_and_saveexec_b64 s[8:9], vcc
	s_cbranch_execz .LBB407_11
; %bb.10:
	v_mov_b32_e32 v6, v10
	v_cmp_lt_i64_e32 vcc, v[1:2], v[7:8]
	v_cmp_lt_i64_e64 s[0:1], v[5:6], v[3:4]
	s_or_b64 vcc, vcc, s[0:1]
	v_cndmask_b32_e32 v2, v2, v8, vcc
	v_cndmask_b32_e32 v1, v1, v7, vcc
	;; [unrolled: 1-line block ×4, first 2 shown]
.LBB407_11:
	s_or_b64 exec, exec, s[8:9]
	v_mov_b32_dpp v5, v1 row_bcast:31 row_mask:0xf bank_mask:0xf bound_ctrl:1
	v_mov_b32_dpp v6, v2 row_bcast:31 row_mask:0xf bank_mask:0xf bound_ctrl:1
	v_cmp_ge_i64_e32 vcc, v[5:6], v[1:2]
	v_mov_b32_dpp v7, v3 row_bcast:31 row_mask:0xf bank_mask:0xf bound_ctrl:1
	v_mov_b32_dpp v10, v4 row_bcast:31 row_mask:0xf bank_mask:0xf bound_ctrl:1
	s_and_saveexec_b64 s[8:9], vcc
	s_cbranch_execz .LBB407_13
; %bb.12:
	v_mov_b32_e32 v8, v10
	v_cmp_lt_i64_e32 vcc, v[1:2], v[5:6]
	v_cmp_lt_i64_e64 s[0:1], v[7:8], v[3:4]
	s_or_b64 vcc, vcc, s[0:1]
	v_cndmask_b32_e32 v1, v1, v5, vcc
	v_cndmask_b32_e32 v2, v2, v6, vcc
	;; [unrolled: 1-line block ×4, first 2 shown]
.LBB407_13:
	s_or_b64 exec, exec, s[8:9]
	v_mbcnt_lo_u32_b32 v5, -1, 0
	v_mbcnt_hi_u32_b32 v6, -1, v5
	v_lshlrev_b32_e32 v5, 2, v6
	v_or_b32_e32 v7, 0xfc, v5
	ds_bpermute_b32 v1, v7, v1
	ds_bpermute_b32 v2, v7, v2
	ds_bpermute_b32 v3, v7, v3
	ds_bpermute_b32 v4, v7, v4
	v_cmp_eq_u32_e32 vcc, 0, v6
	s_and_saveexec_b64 s[0:1], vcc
	s_cbranch_execz .LBB407_15
; %bb.14:
	v_lshrrev_b32_e32 v7, 2, v0
	v_and_b32_e32 v7, 16, v7
	s_waitcnt lgkmcnt(0)
	ds_write2_b64 v7, v[1:2], v[3:4] offset1:1
.LBB407_15:
	s_or_b64 exec, exec, s[0:1]
	v_cmp_gt_u32_e32 vcc, 64, v0
	s_waitcnt lgkmcnt(0)
	s_barrier
	s_and_saveexec_b64 s[8:9], vcc
	s_cbranch_execz .LBB407_17
; %bb.16:
	v_and_b32_e32 v1, 1, v6
	v_lshlrev_b32_e32 v1, 4, v1
	ds_read2_b64 v[1:4], v1 offset1:1
	v_or_b32_e32 v6, 4, v5
	s_waitcnt lgkmcnt(0)
	ds_bpermute_b32 v10, v6, v2
	ds_bpermute_b32 v11, v6, v4
	;; [unrolled: 1-line block ×4, first 2 shown]
	s_waitcnt lgkmcnt(3)
	v_mov_b32_e32 v6, v10
	s_waitcnt lgkmcnt(2)
	v_mov_b32_e32 v8, v11
	s_waitcnt lgkmcnt(1)
	v_cmp_lt_i64_e32 vcc, v[5:6], v[1:2]
	s_waitcnt lgkmcnt(0)
	v_cmp_lt_i64_e64 s[0:1], v[3:4], v[7:8]
	s_or_b64 vcc, vcc, s[0:1]
	v_cndmask_b32_e32 v8, v5, v1, vcc
	v_cndmask_b32_e32 v12, v10, v2, vcc
	;; [unrolled: 1-line block ×4, first 2 shown]
	v_cmp_lt_i64_e32 vcc, v[1:2], v[5:6]
	v_cndmask_b32_e32 v4, v4, v11, vcc
	v_cndmask_b32_e32 v3, v3, v7, vcc
	;; [unrolled: 1-line block ×4, first 2 shown]
.LBB407_17:
	s_or_b64 exec, exec, s[8:9]
	s_branch .LBB407_42
.LBB407_18:
                                        ; implicit-def: $vgpr1_vgpr2
	s_cbranch_execz .LBB407_42
; %bb.19:
	s_sub_i32 s8, s12, s4
	v_mov_b32_e32 v3, 0
	v_mov_b32_e32 v1, 0
	;; [unrolled: 1-line block ×4, first 2 shown]
	v_cmp_gt_u32_e32 vcc, s8, v0
	s_and_saveexec_b64 s[0:1], vcc
	s_cbranch_execz .LBB407_21
; %bb.20:
	global_load_dwordx4 v[1:4], v9, s[2:3]
.LBB407_21:
	s_or_b64 exec, exec, s[0:1]
	v_or_b32_e32 v5, 0x80, v0
	v_cmp_gt_u32_e32 vcc, s8, v5
	s_and_saveexec_b64 s[4:5], vcc
	s_cbranch_execz .LBB407_23
; %bb.22:
	global_load_dwordx4 v[5:8], v9, s[2:3] offset:2048
	s_waitcnt vmcnt(0)
	v_cmp_lt_i64_e32 vcc, v[5:6], v[1:2]
	v_cmp_lt_i64_e64 s[0:1], v[3:4], v[7:8]
	s_or_b64 vcc, vcc, s[0:1]
	v_cndmask_b32_e32 v9, v5, v1, vcc
	v_cndmask_b32_e32 v10, v6, v2, vcc
	;; [unrolled: 1-line block ×4, first 2 shown]
	v_cmp_lt_i64_e32 vcc, v[1:2], v[5:6]
	v_cndmask_b32_e32 v4, v4, v8, vcc
	v_cndmask_b32_e32 v3, v3, v7, vcc
	;; [unrolled: 1-line block ×4, first 2 shown]
.LBB407_23:
	s_or_b64 exec, exec, s[4:5]
	v_mbcnt_lo_u32_b32 v5, -1, 0
	v_mbcnt_hi_u32_b32 v9, -1, v5
	v_and_b32_e32 v10, 63, v9
	v_cmp_ne_u32_e32 vcc, 63, v10
	v_addc_co_u32_e32 v5, vcc, 0, v9, vcc
	v_lshlrev_b32_e32 v6, 2, v5
	s_waitcnt vmcnt(0)
	ds_bpermute_b32 v5, v6, v1
	ds_bpermute_b32 v12, v6, v2
	ds_bpermute_b32 v7, v6, v3
	ds_bpermute_b32 v13, v6, v4
	s_min_u32 s4, s8, 0x80
	v_and_b32_e32 v6, 64, v0
	v_sub_u32_e64 v11, s4, v6 clamp
	v_add_u32_e32 v6, 1, v10
	v_cmp_lt_u32_e32 vcc, v6, v11
	s_and_saveexec_b64 s[0:1], vcc
	s_xor_b64 s[2:3], exec, s[0:1]
	s_cbranch_execz .LBB407_25
; %bb.24:
	s_waitcnt lgkmcnt(0)
	v_mov_b32_e32 v8, v13
	v_mov_b32_e32 v6, v12
	v_cmp_lt_i64_e32 vcc, v[5:6], v[1:2]
	v_cmp_lt_i64_e64 s[0:1], v[3:4], v[7:8]
	s_or_b64 vcc, vcc, s[0:1]
	v_cndmask_b32_e32 v8, v5, v1, vcc
	v_cndmask_b32_e32 v14, v12, v2, vcc
	v_cndmask_b32_e32 v3, v7, v3, vcc
	v_cndmask_b32_e32 v4, v13, v4, vcc
	v_cmp_lt_i64_e32 vcc, v[1:2], v[5:6]
	v_cndmask_b32_e32 v4, v4, v13, vcc
	v_cndmask_b32_e32 v3, v3, v7, vcc
	v_cndmask_b32_e32 v2, v14, v12, vcc
	v_cndmask_b32_e32 v1, v8, v5, vcc
.LBB407_25:
	s_or_b64 exec, exec, s[2:3]
	v_cmp_gt_u32_e32 vcc, 62, v10
	s_waitcnt lgkmcnt(3)
	v_cndmask_b32_e64 v5, 0, 2, vcc
	v_add_lshl_u32 v6, v5, v9, 2
	ds_bpermute_b32 v5, v6, v1
	s_waitcnt lgkmcnt(3)
	ds_bpermute_b32 v12, v6, v2
	s_waitcnt lgkmcnt(3)
	ds_bpermute_b32 v7, v6, v3
	s_waitcnt lgkmcnt(3)
	ds_bpermute_b32 v13, v6, v4
	v_add_u32_e32 v6, 2, v10
	v_cmp_lt_u32_e32 vcc, v6, v11
	s_and_saveexec_b64 s[2:3], vcc
	s_cbranch_execz .LBB407_27
; %bb.26:
	s_waitcnt lgkmcnt(0)
	v_mov_b32_e32 v8, v13
	v_mov_b32_e32 v6, v12
	v_cmp_lt_i64_e32 vcc, v[5:6], v[1:2]
	v_cmp_lt_i64_e64 s[0:1], v[3:4], v[7:8]
	s_or_b64 vcc, vcc, s[0:1]
	v_cndmask_b32_e32 v8, v5, v1, vcc
	v_cndmask_b32_e32 v14, v12, v2, vcc
	v_cndmask_b32_e32 v3, v7, v3, vcc
	v_cndmask_b32_e32 v4, v13, v4, vcc
	v_cmp_lt_i64_e32 vcc, v[1:2], v[5:6]
	v_cndmask_b32_e32 v4, v4, v13, vcc
	v_cndmask_b32_e32 v3, v3, v7, vcc
	v_cndmask_b32_e32 v2, v14, v12, vcc
	v_cndmask_b32_e32 v1, v8, v5, vcc
.LBB407_27:
	s_or_b64 exec, exec, s[2:3]
	v_cmp_gt_u32_e32 vcc, 60, v10
	s_waitcnt lgkmcnt(3)
	v_cndmask_b32_e64 v5, 0, 4, vcc
	v_add_lshl_u32 v6, v5, v9, 2
	ds_bpermute_b32 v5, v6, v1
	s_waitcnt lgkmcnt(3)
	ds_bpermute_b32 v12, v6, v2
	s_waitcnt lgkmcnt(3)
	ds_bpermute_b32 v7, v6, v3
	s_waitcnt lgkmcnt(3)
	ds_bpermute_b32 v13, v6, v4
	v_add_u32_e32 v6, 4, v10
	v_cmp_lt_u32_e32 vcc, v6, v11
	s_and_saveexec_b64 s[2:3], vcc
	;; [unrolled: 33-line block ×4, first 2 shown]
	s_cbranch_execz .LBB407_33
; %bb.32:
	s_waitcnt lgkmcnt(0)
	v_mov_b32_e32 v8, v13
	v_mov_b32_e32 v6, v12
	v_cmp_lt_i64_e32 vcc, v[5:6], v[1:2]
	v_cmp_lt_i64_e64 s[0:1], v[3:4], v[7:8]
	s_or_b64 vcc, vcc, s[0:1]
	v_cndmask_b32_e32 v8, v5, v1, vcc
	v_cndmask_b32_e32 v14, v12, v2, vcc
	;; [unrolled: 1-line block ×4, first 2 shown]
	v_cmp_lt_i64_e32 vcc, v[1:2], v[5:6]
	v_cndmask_b32_e32 v4, v4, v13, vcc
	v_cndmask_b32_e32 v3, v3, v7, vcc
	;; [unrolled: 1-line block ×4, first 2 shown]
.LBB407_33:
	s_or_b64 exec, exec, s[2:3]
	s_waitcnt lgkmcnt(2)
	v_lshlrev_b32_e32 v12, 2, v9
	v_or_b32_e32 v6, 0x80, v12
	ds_bpermute_b32 v5, v6, v1
	s_waitcnt lgkmcnt(1)
	ds_bpermute_b32 v13, v6, v2
	ds_bpermute_b32 v7, v6, v3
	;; [unrolled: 1-line block ×3, first 2 shown]
	v_add_u32_e32 v6, 32, v10
	v_cmp_lt_u32_e32 vcc, v6, v11
	s_and_saveexec_b64 s[2:3], vcc
	s_cbranch_execz .LBB407_35
; %bb.34:
	s_waitcnt lgkmcnt(2)
	v_mov_b32_e32 v6, v13
	s_waitcnt lgkmcnt(0)
	v_cmp_lt_i64_e32 vcc, v[3:4], v[7:8]
	v_cmp_lt_i64_e64 s[0:1], v[5:6], v[1:2]
	s_or_b64 vcc, s[0:1], vcc
	v_cndmask_b32_e32 v10, v5, v1, vcc
	v_cndmask_b32_e32 v11, v13, v2, vcc
	;; [unrolled: 1-line block ×4, first 2 shown]
	v_cmp_lt_i64_e32 vcc, v[1:2], v[5:6]
	v_cndmask_b32_e32 v4, v4, v8, vcc
	v_cndmask_b32_e32 v3, v3, v7, vcc
	;; [unrolled: 1-line block ×4, first 2 shown]
.LBB407_35:
	s_or_b64 exec, exec, s[2:3]
	v_cmp_eq_u32_e32 vcc, 0, v9
	s_and_saveexec_b64 s[0:1], vcc
	s_cbranch_execz .LBB407_37
; %bb.36:
	s_waitcnt lgkmcnt(3)
	v_lshrrev_b32_e32 v5, 2, v0
	v_and_b32_e32 v5, 16, v5
	ds_write2_b64 v5, v[1:2], v[3:4] offset0:4 offset1:5
.LBB407_37:
	s_or_b64 exec, exec, s[0:1]
	v_cmp_gt_u32_e32 vcc, 2, v0
	s_waitcnt lgkmcnt(0)
	s_barrier
	s_and_saveexec_b64 s[2:3], vcc
	s_cbranch_execz .LBB407_41
; %bb.38:
	v_lshlrev_b32_e32 v1, 4, v9
	ds_read2_b64 v[1:4], v1 offset0:4 offset1:5
	v_or_b32_e32 v6, 4, v12
	s_add_i32 s4, s4, 63
	s_lshr_b32 s0, s4, 6
	s_waitcnt lgkmcnt(0)
	ds_bpermute_b32 v5, v6, v1
	ds_bpermute_b32 v10, v6, v2
	;; [unrolled: 1-line block ×4, first 2 shown]
	v_and_b32_e32 v6, 1, v9
	v_add_u32_e32 v6, 1, v6
	v_cmp_gt_u32_e32 vcc, s0, v6
	s_and_saveexec_b64 s[4:5], vcc
	s_cbranch_execz .LBB407_40
; %bb.39:
	s_waitcnt lgkmcnt(2)
	v_mov_b32_e32 v6, v10
	s_waitcnt lgkmcnt(0)
	v_cmp_lt_i64_e32 vcc, v[3:4], v[7:8]
	v_cmp_lt_i64_e64 s[0:1], v[5:6], v[1:2]
	s_or_b64 vcc, s[0:1], vcc
	v_cndmask_b32_e32 v9, v5, v1, vcc
	v_cndmask_b32_e32 v11, v10, v2, vcc
	;; [unrolled: 1-line block ×4, first 2 shown]
	v_cmp_lt_i64_e32 vcc, v[1:2], v[5:6]
	v_cndmask_b32_e32 v4, v4, v8, vcc
	v_cndmask_b32_e32 v3, v3, v7, vcc
	;; [unrolled: 1-line block ×4, first 2 shown]
.LBB407_40:
	s_or_b64 exec, exec, s[4:5]
.LBB407_41:
	s_or_b64 exec, exec, s[2:3]
.LBB407_42:
	v_cmp_eq_u32_e32 vcc, 0, v0
	s_and_saveexec_b64 s[0:1], vcc
	s_cbranch_execnz .LBB407_44
; %bb.43:
	s_endpgm
.LBB407_44:
	s_mul_i32 s0, s18, s17
	s_mul_hi_u32 s1, s18, s16
	s_add_i32 s0, s1, s0
	s_mul_i32 s1, s19, s16
	s_add_i32 s1, s0, s1
	s_mul_i32 s0, s18, s16
	s_lshl_b64 s[0:1], s[0:1], 4
	s_add_u32 s2, s14, s0
	s_addc_u32 s3, s15, s1
	s_cmp_eq_u64 s[12:13], 0
	v_mov_b32_e32 v0, s23
	s_cselect_b64 vcc, -1, 0
	v_cndmask_b32_e32 v4, v4, v0, vcc
	v_mov_b32_e32 v0, s22
	v_cndmask_b32_e32 v3, v3, v0, vcc
	v_mov_b32_e32 v0, s21
	s_lshl_b64 s[0:1], s[6:7], 4
	v_cndmask_b32_e32 v2, v2, v0, vcc
	v_mov_b32_e32 v0, s20
	s_add_u32 s0, s2, s0
	v_cndmask_b32_e32 v1, v1, v0, vcc
	s_addc_u32 s1, s3, s1
	v_mov_b32_e32 v0, 0
	global_store_dwordx4 v0, v[1:4], s[0:1]
	s_endpgm
	.section	.rodata,"a",@progbits
	.p2align	6, 0x0
	.amdhsa_kernel _ZN7rocprim17ROCPRIM_400000_NS6detail17trampoline_kernelINS0_14default_configENS1_22reduce_config_selectorIN6thrust23THRUST_200600_302600_NS5tupleIllNS6_9null_typeES8_S8_S8_S8_S8_S8_S8_EEEEZNS1_11reduce_implILb0ES3_PS9_SC_S9_NS6_11hip_rocprim9__extrema9arg_max_fIllNS6_4lessIlEEEEEE10hipError_tPvRmT1_T2_T3_mT4_P12ihipStream_tbEUlT_E0_NS1_11comp_targetILNS1_3genE2ELNS1_11target_archE906ELNS1_3gpuE6ELNS1_3repE0EEENS1_30default_config_static_selectorELNS0_4arch9wavefront6targetE1EEEvSM_
		.amdhsa_group_segment_fixed_size 64
		.amdhsa_private_segment_fixed_size 0
		.amdhsa_kernarg_size 72
		.amdhsa_user_sgpr_count 6
		.amdhsa_user_sgpr_private_segment_buffer 1
		.amdhsa_user_sgpr_dispatch_ptr 0
		.amdhsa_user_sgpr_queue_ptr 0
		.amdhsa_user_sgpr_kernarg_segment_ptr 1
		.amdhsa_user_sgpr_dispatch_id 0
		.amdhsa_user_sgpr_flat_scratch_init 0
		.amdhsa_user_sgpr_private_segment_size 0
		.amdhsa_uses_dynamic_stack 0
		.amdhsa_system_sgpr_private_segment_wavefront_offset 0
		.amdhsa_system_sgpr_workgroup_id_x 1
		.amdhsa_system_sgpr_workgroup_id_y 0
		.amdhsa_system_sgpr_workgroup_id_z 0
		.amdhsa_system_sgpr_workgroup_info 0
		.amdhsa_system_vgpr_workitem_id 0
		.amdhsa_next_free_vgpr 15
		.amdhsa_next_free_sgpr 24
		.amdhsa_reserve_vcc 1
		.amdhsa_reserve_flat_scratch 0
		.amdhsa_float_round_mode_32 0
		.amdhsa_float_round_mode_16_64 0
		.amdhsa_float_denorm_mode_32 3
		.amdhsa_float_denorm_mode_16_64 3
		.amdhsa_dx10_clamp 1
		.amdhsa_ieee_mode 1
		.amdhsa_fp16_overflow 0
		.amdhsa_exception_fp_ieee_invalid_op 0
		.amdhsa_exception_fp_denorm_src 0
		.amdhsa_exception_fp_ieee_div_zero 0
		.amdhsa_exception_fp_ieee_overflow 0
		.amdhsa_exception_fp_ieee_underflow 0
		.amdhsa_exception_fp_ieee_inexact 0
		.amdhsa_exception_int_div_zero 0
	.end_amdhsa_kernel
	.section	.text._ZN7rocprim17ROCPRIM_400000_NS6detail17trampoline_kernelINS0_14default_configENS1_22reduce_config_selectorIN6thrust23THRUST_200600_302600_NS5tupleIllNS6_9null_typeES8_S8_S8_S8_S8_S8_S8_EEEEZNS1_11reduce_implILb0ES3_PS9_SC_S9_NS6_11hip_rocprim9__extrema9arg_max_fIllNS6_4lessIlEEEEEE10hipError_tPvRmT1_T2_T3_mT4_P12ihipStream_tbEUlT_E0_NS1_11comp_targetILNS1_3genE2ELNS1_11target_archE906ELNS1_3gpuE6ELNS1_3repE0EEENS1_30default_config_static_selectorELNS0_4arch9wavefront6targetE1EEEvSM_,"axG",@progbits,_ZN7rocprim17ROCPRIM_400000_NS6detail17trampoline_kernelINS0_14default_configENS1_22reduce_config_selectorIN6thrust23THRUST_200600_302600_NS5tupleIllNS6_9null_typeES8_S8_S8_S8_S8_S8_S8_EEEEZNS1_11reduce_implILb0ES3_PS9_SC_S9_NS6_11hip_rocprim9__extrema9arg_max_fIllNS6_4lessIlEEEEEE10hipError_tPvRmT1_T2_T3_mT4_P12ihipStream_tbEUlT_E0_NS1_11comp_targetILNS1_3genE2ELNS1_11target_archE906ELNS1_3gpuE6ELNS1_3repE0EEENS1_30default_config_static_selectorELNS0_4arch9wavefront6targetE1EEEvSM_,comdat
.Lfunc_end407:
	.size	_ZN7rocprim17ROCPRIM_400000_NS6detail17trampoline_kernelINS0_14default_configENS1_22reduce_config_selectorIN6thrust23THRUST_200600_302600_NS5tupleIllNS6_9null_typeES8_S8_S8_S8_S8_S8_S8_EEEEZNS1_11reduce_implILb0ES3_PS9_SC_S9_NS6_11hip_rocprim9__extrema9arg_max_fIllNS6_4lessIlEEEEEE10hipError_tPvRmT1_T2_T3_mT4_P12ihipStream_tbEUlT_E0_NS1_11comp_targetILNS1_3genE2ELNS1_11target_archE906ELNS1_3gpuE6ELNS1_3repE0EEENS1_30default_config_static_selectorELNS0_4arch9wavefront6targetE1EEEvSM_, .Lfunc_end407-_ZN7rocprim17ROCPRIM_400000_NS6detail17trampoline_kernelINS0_14default_configENS1_22reduce_config_selectorIN6thrust23THRUST_200600_302600_NS5tupleIllNS6_9null_typeES8_S8_S8_S8_S8_S8_S8_EEEEZNS1_11reduce_implILb0ES3_PS9_SC_S9_NS6_11hip_rocprim9__extrema9arg_max_fIllNS6_4lessIlEEEEEE10hipError_tPvRmT1_T2_T3_mT4_P12ihipStream_tbEUlT_E0_NS1_11comp_targetILNS1_3genE2ELNS1_11target_archE906ELNS1_3gpuE6ELNS1_3repE0EEENS1_30default_config_static_selectorELNS0_4arch9wavefront6targetE1EEEvSM_
                                        ; -- End function
	.set _ZN7rocprim17ROCPRIM_400000_NS6detail17trampoline_kernelINS0_14default_configENS1_22reduce_config_selectorIN6thrust23THRUST_200600_302600_NS5tupleIllNS6_9null_typeES8_S8_S8_S8_S8_S8_S8_EEEEZNS1_11reduce_implILb0ES3_PS9_SC_S9_NS6_11hip_rocprim9__extrema9arg_max_fIllNS6_4lessIlEEEEEE10hipError_tPvRmT1_T2_T3_mT4_P12ihipStream_tbEUlT_E0_NS1_11comp_targetILNS1_3genE2ELNS1_11target_archE906ELNS1_3gpuE6ELNS1_3repE0EEENS1_30default_config_static_selectorELNS0_4arch9wavefront6targetE1EEEvSM_.num_vgpr, 15
	.set _ZN7rocprim17ROCPRIM_400000_NS6detail17trampoline_kernelINS0_14default_configENS1_22reduce_config_selectorIN6thrust23THRUST_200600_302600_NS5tupleIllNS6_9null_typeES8_S8_S8_S8_S8_S8_S8_EEEEZNS1_11reduce_implILb0ES3_PS9_SC_S9_NS6_11hip_rocprim9__extrema9arg_max_fIllNS6_4lessIlEEEEEE10hipError_tPvRmT1_T2_T3_mT4_P12ihipStream_tbEUlT_E0_NS1_11comp_targetILNS1_3genE2ELNS1_11target_archE906ELNS1_3gpuE6ELNS1_3repE0EEENS1_30default_config_static_selectorELNS0_4arch9wavefront6targetE1EEEvSM_.num_agpr, 0
	.set _ZN7rocprim17ROCPRIM_400000_NS6detail17trampoline_kernelINS0_14default_configENS1_22reduce_config_selectorIN6thrust23THRUST_200600_302600_NS5tupleIllNS6_9null_typeES8_S8_S8_S8_S8_S8_S8_EEEEZNS1_11reduce_implILb0ES3_PS9_SC_S9_NS6_11hip_rocprim9__extrema9arg_max_fIllNS6_4lessIlEEEEEE10hipError_tPvRmT1_T2_T3_mT4_P12ihipStream_tbEUlT_E0_NS1_11comp_targetILNS1_3genE2ELNS1_11target_archE906ELNS1_3gpuE6ELNS1_3repE0EEENS1_30default_config_static_selectorELNS0_4arch9wavefront6targetE1EEEvSM_.numbered_sgpr, 24
	.set _ZN7rocprim17ROCPRIM_400000_NS6detail17trampoline_kernelINS0_14default_configENS1_22reduce_config_selectorIN6thrust23THRUST_200600_302600_NS5tupleIllNS6_9null_typeES8_S8_S8_S8_S8_S8_S8_EEEEZNS1_11reduce_implILb0ES3_PS9_SC_S9_NS6_11hip_rocprim9__extrema9arg_max_fIllNS6_4lessIlEEEEEE10hipError_tPvRmT1_T2_T3_mT4_P12ihipStream_tbEUlT_E0_NS1_11comp_targetILNS1_3genE2ELNS1_11target_archE906ELNS1_3gpuE6ELNS1_3repE0EEENS1_30default_config_static_selectorELNS0_4arch9wavefront6targetE1EEEvSM_.num_named_barrier, 0
	.set _ZN7rocprim17ROCPRIM_400000_NS6detail17trampoline_kernelINS0_14default_configENS1_22reduce_config_selectorIN6thrust23THRUST_200600_302600_NS5tupleIllNS6_9null_typeES8_S8_S8_S8_S8_S8_S8_EEEEZNS1_11reduce_implILb0ES3_PS9_SC_S9_NS6_11hip_rocprim9__extrema9arg_max_fIllNS6_4lessIlEEEEEE10hipError_tPvRmT1_T2_T3_mT4_P12ihipStream_tbEUlT_E0_NS1_11comp_targetILNS1_3genE2ELNS1_11target_archE906ELNS1_3gpuE6ELNS1_3repE0EEENS1_30default_config_static_selectorELNS0_4arch9wavefront6targetE1EEEvSM_.private_seg_size, 0
	.set _ZN7rocprim17ROCPRIM_400000_NS6detail17trampoline_kernelINS0_14default_configENS1_22reduce_config_selectorIN6thrust23THRUST_200600_302600_NS5tupleIllNS6_9null_typeES8_S8_S8_S8_S8_S8_S8_EEEEZNS1_11reduce_implILb0ES3_PS9_SC_S9_NS6_11hip_rocprim9__extrema9arg_max_fIllNS6_4lessIlEEEEEE10hipError_tPvRmT1_T2_T3_mT4_P12ihipStream_tbEUlT_E0_NS1_11comp_targetILNS1_3genE2ELNS1_11target_archE906ELNS1_3gpuE6ELNS1_3repE0EEENS1_30default_config_static_selectorELNS0_4arch9wavefront6targetE1EEEvSM_.uses_vcc, 1
	.set _ZN7rocprim17ROCPRIM_400000_NS6detail17trampoline_kernelINS0_14default_configENS1_22reduce_config_selectorIN6thrust23THRUST_200600_302600_NS5tupleIllNS6_9null_typeES8_S8_S8_S8_S8_S8_S8_EEEEZNS1_11reduce_implILb0ES3_PS9_SC_S9_NS6_11hip_rocprim9__extrema9arg_max_fIllNS6_4lessIlEEEEEE10hipError_tPvRmT1_T2_T3_mT4_P12ihipStream_tbEUlT_E0_NS1_11comp_targetILNS1_3genE2ELNS1_11target_archE906ELNS1_3gpuE6ELNS1_3repE0EEENS1_30default_config_static_selectorELNS0_4arch9wavefront6targetE1EEEvSM_.uses_flat_scratch, 0
	.set _ZN7rocprim17ROCPRIM_400000_NS6detail17trampoline_kernelINS0_14default_configENS1_22reduce_config_selectorIN6thrust23THRUST_200600_302600_NS5tupleIllNS6_9null_typeES8_S8_S8_S8_S8_S8_S8_EEEEZNS1_11reduce_implILb0ES3_PS9_SC_S9_NS6_11hip_rocprim9__extrema9arg_max_fIllNS6_4lessIlEEEEEE10hipError_tPvRmT1_T2_T3_mT4_P12ihipStream_tbEUlT_E0_NS1_11comp_targetILNS1_3genE2ELNS1_11target_archE906ELNS1_3gpuE6ELNS1_3repE0EEENS1_30default_config_static_selectorELNS0_4arch9wavefront6targetE1EEEvSM_.has_dyn_sized_stack, 0
	.set _ZN7rocprim17ROCPRIM_400000_NS6detail17trampoline_kernelINS0_14default_configENS1_22reduce_config_selectorIN6thrust23THRUST_200600_302600_NS5tupleIllNS6_9null_typeES8_S8_S8_S8_S8_S8_S8_EEEEZNS1_11reduce_implILb0ES3_PS9_SC_S9_NS6_11hip_rocprim9__extrema9arg_max_fIllNS6_4lessIlEEEEEE10hipError_tPvRmT1_T2_T3_mT4_P12ihipStream_tbEUlT_E0_NS1_11comp_targetILNS1_3genE2ELNS1_11target_archE906ELNS1_3gpuE6ELNS1_3repE0EEENS1_30default_config_static_selectorELNS0_4arch9wavefront6targetE1EEEvSM_.has_recursion, 0
	.set _ZN7rocprim17ROCPRIM_400000_NS6detail17trampoline_kernelINS0_14default_configENS1_22reduce_config_selectorIN6thrust23THRUST_200600_302600_NS5tupleIllNS6_9null_typeES8_S8_S8_S8_S8_S8_S8_EEEEZNS1_11reduce_implILb0ES3_PS9_SC_S9_NS6_11hip_rocprim9__extrema9arg_max_fIllNS6_4lessIlEEEEEE10hipError_tPvRmT1_T2_T3_mT4_P12ihipStream_tbEUlT_E0_NS1_11comp_targetILNS1_3genE2ELNS1_11target_archE906ELNS1_3gpuE6ELNS1_3repE0EEENS1_30default_config_static_selectorELNS0_4arch9wavefront6targetE1EEEvSM_.has_indirect_call, 0
	.section	.AMDGPU.csdata,"",@progbits
; Kernel info:
; codeLenInByte = 2280
; TotalNumSgprs: 28
; NumVgprs: 15
; ScratchSize: 0
; MemoryBound: 1
; FloatMode: 240
; IeeeMode: 1
; LDSByteSize: 64 bytes/workgroup (compile time only)
; SGPRBlocks: 3
; VGPRBlocks: 3
; NumSGPRsForWavesPerEU: 28
; NumVGPRsForWavesPerEU: 15
; Occupancy: 10
; WaveLimiterHint : 1
; COMPUTE_PGM_RSRC2:SCRATCH_EN: 0
; COMPUTE_PGM_RSRC2:USER_SGPR: 6
; COMPUTE_PGM_RSRC2:TRAP_HANDLER: 0
; COMPUTE_PGM_RSRC2:TGID_X_EN: 1
; COMPUTE_PGM_RSRC2:TGID_Y_EN: 0
; COMPUTE_PGM_RSRC2:TGID_Z_EN: 0
; COMPUTE_PGM_RSRC2:TIDIG_COMP_CNT: 0
	.section	.text._ZN7rocprim17ROCPRIM_400000_NS6detail17trampoline_kernelINS0_14default_configENS1_22reduce_config_selectorIN6thrust23THRUST_200600_302600_NS5tupleIllNS6_9null_typeES8_S8_S8_S8_S8_S8_S8_EEEEZNS1_11reduce_implILb0ES3_PS9_SC_S9_NS6_11hip_rocprim9__extrema9arg_max_fIllNS6_4lessIlEEEEEE10hipError_tPvRmT1_T2_T3_mT4_P12ihipStream_tbEUlT_E0_NS1_11comp_targetILNS1_3genE10ELNS1_11target_archE1201ELNS1_3gpuE5ELNS1_3repE0EEENS1_30default_config_static_selectorELNS0_4arch9wavefront6targetE1EEEvSM_,"axG",@progbits,_ZN7rocprim17ROCPRIM_400000_NS6detail17trampoline_kernelINS0_14default_configENS1_22reduce_config_selectorIN6thrust23THRUST_200600_302600_NS5tupleIllNS6_9null_typeES8_S8_S8_S8_S8_S8_S8_EEEEZNS1_11reduce_implILb0ES3_PS9_SC_S9_NS6_11hip_rocprim9__extrema9arg_max_fIllNS6_4lessIlEEEEEE10hipError_tPvRmT1_T2_T3_mT4_P12ihipStream_tbEUlT_E0_NS1_11comp_targetILNS1_3genE10ELNS1_11target_archE1201ELNS1_3gpuE5ELNS1_3repE0EEENS1_30default_config_static_selectorELNS0_4arch9wavefront6targetE1EEEvSM_,comdat
	.protected	_ZN7rocprim17ROCPRIM_400000_NS6detail17trampoline_kernelINS0_14default_configENS1_22reduce_config_selectorIN6thrust23THRUST_200600_302600_NS5tupleIllNS6_9null_typeES8_S8_S8_S8_S8_S8_S8_EEEEZNS1_11reduce_implILb0ES3_PS9_SC_S9_NS6_11hip_rocprim9__extrema9arg_max_fIllNS6_4lessIlEEEEEE10hipError_tPvRmT1_T2_T3_mT4_P12ihipStream_tbEUlT_E0_NS1_11comp_targetILNS1_3genE10ELNS1_11target_archE1201ELNS1_3gpuE5ELNS1_3repE0EEENS1_30default_config_static_selectorELNS0_4arch9wavefront6targetE1EEEvSM_ ; -- Begin function _ZN7rocprim17ROCPRIM_400000_NS6detail17trampoline_kernelINS0_14default_configENS1_22reduce_config_selectorIN6thrust23THRUST_200600_302600_NS5tupleIllNS6_9null_typeES8_S8_S8_S8_S8_S8_S8_EEEEZNS1_11reduce_implILb0ES3_PS9_SC_S9_NS6_11hip_rocprim9__extrema9arg_max_fIllNS6_4lessIlEEEEEE10hipError_tPvRmT1_T2_T3_mT4_P12ihipStream_tbEUlT_E0_NS1_11comp_targetILNS1_3genE10ELNS1_11target_archE1201ELNS1_3gpuE5ELNS1_3repE0EEENS1_30default_config_static_selectorELNS0_4arch9wavefront6targetE1EEEvSM_
	.globl	_ZN7rocprim17ROCPRIM_400000_NS6detail17trampoline_kernelINS0_14default_configENS1_22reduce_config_selectorIN6thrust23THRUST_200600_302600_NS5tupleIllNS6_9null_typeES8_S8_S8_S8_S8_S8_S8_EEEEZNS1_11reduce_implILb0ES3_PS9_SC_S9_NS6_11hip_rocprim9__extrema9arg_max_fIllNS6_4lessIlEEEEEE10hipError_tPvRmT1_T2_T3_mT4_P12ihipStream_tbEUlT_E0_NS1_11comp_targetILNS1_3genE10ELNS1_11target_archE1201ELNS1_3gpuE5ELNS1_3repE0EEENS1_30default_config_static_selectorELNS0_4arch9wavefront6targetE1EEEvSM_
	.p2align	8
	.type	_ZN7rocprim17ROCPRIM_400000_NS6detail17trampoline_kernelINS0_14default_configENS1_22reduce_config_selectorIN6thrust23THRUST_200600_302600_NS5tupleIllNS6_9null_typeES8_S8_S8_S8_S8_S8_S8_EEEEZNS1_11reduce_implILb0ES3_PS9_SC_S9_NS6_11hip_rocprim9__extrema9arg_max_fIllNS6_4lessIlEEEEEE10hipError_tPvRmT1_T2_T3_mT4_P12ihipStream_tbEUlT_E0_NS1_11comp_targetILNS1_3genE10ELNS1_11target_archE1201ELNS1_3gpuE5ELNS1_3repE0EEENS1_30default_config_static_selectorELNS0_4arch9wavefront6targetE1EEEvSM_,@function
_ZN7rocprim17ROCPRIM_400000_NS6detail17trampoline_kernelINS0_14default_configENS1_22reduce_config_selectorIN6thrust23THRUST_200600_302600_NS5tupleIllNS6_9null_typeES8_S8_S8_S8_S8_S8_S8_EEEEZNS1_11reduce_implILb0ES3_PS9_SC_S9_NS6_11hip_rocprim9__extrema9arg_max_fIllNS6_4lessIlEEEEEE10hipError_tPvRmT1_T2_T3_mT4_P12ihipStream_tbEUlT_E0_NS1_11comp_targetILNS1_3genE10ELNS1_11target_archE1201ELNS1_3gpuE5ELNS1_3repE0EEENS1_30default_config_static_selectorELNS0_4arch9wavefront6targetE1EEEvSM_: ; @_ZN7rocprim17ROCPRIM_400000_NS6detail17trampoline_kernelINS0_14default_configENS1_22reduce_config_selectorIN6thrust23THRUST_200600_302600_NS5tupleIllNS6_9null_typeES8_S8_S8_S8_S8_S8_S8_EEEEZNS1_11reduce_implILb0ES3_PS9_SC_S9_NS6_11hip_rocprim9__extrema9arg_max_fIllNS6_4lessIlEEEEEE10hipError_tPvRmT1_T2_T3_mT4_P12ihipStream_tbEUlT_E0_NS1_11comp_targetILNS1_3genE10ELNS1_11target_archE1201ELNS1_3gpuE5ELNS1_3repE0EEENS1_30default_config_static_selectorELNS0_4arch9wavefront6targetE1EEEvSM_
; %bb.0:
	.section	.rodata,"a",@progbits
	.p2align	6, 0x0
	.amdhsa_kernel _ZN7rocprim17ROCPRIM_400000_NS6detail17trampoline_kernelINS0_14default_configENS1_22reduce_config_selectorIN6thrust23THRUST_200600_302600_NS5tupleIllNS6_9null_typeES8_S8_S8_S8_S8_S8_S8_EEEEZNS1_11reduce_implILb0ES3_PS9_SC_S9_NS6_11hip_rocprim9__extrema9arg_max_fIllNS6_4lessIlEEEEEE10hipError_tPvRmT1_T2_T3_mT4_P12ihipStream_tbEUlT_E0_NS1_11comp_targetILNS1_3genE10ELNS1_11target_archE1201ELNS1_3gpuE5ELNS1_3repE0EEENS1_30default_config_static_selectorELNS0_4arch9wavefront6targetE1EEEvSM_
		.amdhsa_group_segment_fixed_size 0
		.amdhsa_private_segment_fixed_size 0
		.amdhsa_kernarg_size 72
		.amdhsa_user_sgpr_count 6
		.amdhsa_user_sgpr_private_segment_buffer 1
		.amdhsa_user_sgpr_dispatch_ptr 0
		.amdhsa_user_sgpr_queue_ptr 0
		.amdhsa_user_sgpr_kernarg_segment_ptr 1
		.amdhsa_user_sgpr_dispatch_id 0
		.amdhsa_user_sgpr_flat_scratch_init 0
		.amdhsa_user_sgpr_private_segment_size 0
		.amdhsa_uses_dynamic_stack 0
		.amdhsa_system_sgpr_private_segment_wavefront_offset 0
		.amdhsa_system_sgpr_workgroup_id_x 1
		.amdhsa_system_sgpr_workgroup_id_y 0
		.amdhsa_system_sgpr_workgroup_id_z 0
		.amdhsa_system_sgpr_workgroup_info 0
		.amdhsa_system_vgpr_workitem_id 0
		.amdhsa_next_free_vgpr 1
		.amdhsa_next_free_sgpr 0
		.amdhsa_reserve_vcc 0
		.amdhsa_reserve_flat_scratch 0
		.amdhsa_float_round_mode_32 0
		.amdhsa_float_round_mode_16_64 0
		.amdhsa_float_denorm_mode_32 3
		.amdhsa_float_denorm_mode_16_64 3
		.amdhsa_dx10_clamp 1
		.amdhsa_ieee_mode 1
		.amdhsa_fp16_overflow 0
		.amdhsa_exception_fp_ieee_invalid_op 0
		.amdhsa_exception_fp_denorm_src 0
		.amdhsa_exception_fp_ieee_div_zero 0
		.amdhsa_exception_fp_ieee_overflow 0
		.amdhsa_exception_fp_ieee_underflow 0
		.amdhsa_exception_fp_ieee_inexact 0
		.amdhsa_exception_int_div_zero 0
	.end_amdhsa_kernel
	.section	.text._ZN7rocprim17ROCPRIM_400000_NS6detail17trampoline_kernelINS0_14default_configENS1_22reduce_config_selectorIN6thrust23THRUST_200600_302600_NS5tupleIllNS6_9null_typeES8_S8_S8_S8_S8_S8_S8_EEEEZNS1_11reduce_implILb0ES3_PS9_SC_S9_NS6_11hip_rocprim9__extrema9arg_max_fIllNS6_4lessIlEEEEEE10hipError_tPvRmT1_T2_T3_mT4_P12ihipStream_tbEUlT_E0_NS1_11comp_targetILNS1_3genE10ELNS1_11target_archE1201ELNS1_3gpuE5ELNS1_3repE0EEENS1_30default_config_static_selectorELNS0_4arch9wavefront6targetE1EEEvSM_,"axG",@progbits,_ZN7rocprim17ROCPRIM_400000_NS6detail17trampoline_kernelINS0_14default_configENS1_22reduce_config_selectorIN6thrust23THRUST_200600_302600_NS5tupleIllNS6_9null_typeES8_S8_S8_S8_S8_S8_S8_EEEEZNS1_11reduce_implILb0ES3_PS9_SC_S9_NS6_11hip_rocprim9__extrema9arg_max_fIllNS6_4lessIlEEEEEE10hipError_tPvRmT1_T2_T3_mT4_P12ihipStream_tbEUlT_E0_NS1_11comp_targetILNS1_3genE10ELNS1_11target_archE1201ELNS1_3gpuE5ELNS1_3repE0EEENS1_30default_config_static_selectorELNS0_4arch9wavefront6targetE1EEEvSM_,comdat
.Lfunc_end408:
	.size	_ZN7rocprim17ROCPRIM_400000_NS6detail17trampoline_kernelINS0_14default_configENS1_22reduce_config_selectorIN6thrust23THRUST_200600_302600_NS5tupleIllNS6_9null_typeES8_S8_S8_S8_S8_S8_S8_EEEEZNS1_11reduce_implILb0ES3_PS9_SC_S9_NS6_11hip_rocprim9__extrema9arg_max_fIllNS6_4lessIlEEEEEE10hipError_tPvRmT1_T2_T3_mT4_P12ihipStream_tbEUlT_E0_NS1_11comp_targetILNS1_3genE10ELNS1_11target_archE1201ELNS1_3gpuE5ELNS1_3repE0EEENS1_30default_config_static_selectorELNS0_4arch9wavefront6targetE1EEEvSM_, .Lfunc_end408-_ZN7rocprim17ROCPRIM_400000_NS6detail17trampoline_kernelINS0_14default_configENS1_22reduce_config_selectorIN6thrust23THRUST_200600_302600_NS5tupleIllNS6_9null_typeES8_S8_S8_S8_S8_S8_S8_EEEEZNS1_11reduce_implILb0ES3_PS9_SC_S9_NS6_11hip_rocprim9__extrema9arg_max_fIllNS6_4lessIlEEEEEE10hipError_tPvRmT1_T2_T3_mT4_P12ihipStream_tbEUlT_E0_NS1_11comp_targetILNS1_3genE10ELNS1_11target_archE1201ELNS1_3gpuE5ELNS1_3repE0EEENS1_30default_config_static_selectorELNS0_4arch9wavefront6targetE1EEEvSM_
                                        ; -- End function
	.set _ZN7rocprim17ROCPRIM_400000_NS6detail17trampoline_kernelINS0_14default_configENS1_22reduce_config_selectorIN6thrust23THRUST_200600_302600_NS5tupleIllNS6_9null_typeES8_S8_S8_S8_S8_S8_S8_EEEEZNS1_11reduce_implILb0ES3_PS9_SC_S9_NS6_11hip_rocprim9__extrema9arg_max_fIllNS6_4lessIlEEEEEE10hipError_tPvRmT1_T2_T3_mT4_P12ihipStream_tbEUlT_E0_NS1_11comp_targetILNS1_3genE10ELNS1_11target_archE1201ELNS1_3gpuE5ELNS1_3repE0EEENS1_30default_config_static_selectorELNS0_4arch9wavefront6targetE1EEEvSM_.num_vgpr, 0
	.set _ZN7rocprim17ROCPRIM_400000_NS6detail17trampoline_kernelINS0_14default_configENS1_22reduce_config_selectorIN6thrust23THRUST_200600_302600_NS5tupleIllNS6_9null_typeES8_S8_S8_S8_S8_S8_S8_EEEEZNS1_11reduce_implILb0ES3_PS9_SC_S9_NS6_11hip_rocprim9__extrema9arg_max_fIllNS6_4lessIlEEEEEE10hipError_tPvRmT1_T2_T3_mT4_P12ihipStream_tbEUlT_E0_NS1_11comp_targetILNS1_3genE10ELNS1_11target_archE1201ELNS1_3gpuE5ELNS1_3repE0EEENS1_30default_config_static_selectorELNS0_4arch9wavefront6targetE1EEEvSM_.num_agpr, 0
	.set _ZN7rocprim17ROCPRIM_400000_NS6detail17trampoline_kernelINS0_14default_configENS1_22reduce_config_selectorIN6thrust23THRUST_200600_302600_NS5tupleIllNS6_9null_typeES8_S8_S8_S8_S8_S8_S8_EEEEZNS1_11reduce_implILb0ES3_PS9_SC_S9_NS6_11hip_rocprim9__extrema9arg_max_fIllNS6_4lessIlEEEEEE10hipError_tPvRmT1_T2_T3_mT4_P12ihipStream_tbEUlT_E0_NS1_11comp_targetILNS1_3genE10ELNS1_11target_archE1201ELNS1_3gpuE5ELNS1_3repE0EEENS1_30default_config_static_selectorELNS0_4arch9wavefront6targetE1EEEvSM_.numbered_sgpr, 0
	.set _ZN7rocprim17ROCPRIM_400000_NS6detail17trampoline_kernelINS0_14default_configENS1_22reduce_config_selectorIN6thrust23THRUST_200600_302600_NS5tupleIllNS6_9null_typeES8_S8_S8_S8_S8_S8_S8_EEEEZNS1_11reduce_implILb0ES3_PS9_SC_S9_NS6_11hip_rocprim9__extrema9arg_max_fIllNS6_4lessIlEEEEEE10hipError_tPvRmT1_T2_T3_mT4_P12ihipStream_tbEUlT_E0_NS1_11comp_targetILNS1_3genE10ELNS1_11target_archE1201ELNS1_3gpuE5ELNS1_3repE0EEENS1_30default_config_static_selectorELNS0_4arch9wavefront6targetE1EEEvSM_.num_named_barrier, 0
	.set _ZN7rocprim17ROCPRIM_400000_NS6detail17trampoline_kernelINS0_14default_configENS1_22reduce_config_selectorIN6thrust23THRUST_200600_302600_NS5tupleIllNS6_9null_typeES8_S8_S8_S8_S8_S8_S8_EEEEZNS1_11reduce_implILb0ES3_PS9_SC_S9_NS6_11hip_rocprim9__extrema9arg_max_fIllNS6_4lessIlEEEEEE10hipError_tPvRmT1_T2_T3_mT4_P12ihipStream_tbEUlT_E0_NS1_11comp_targetILNS1_3genE10ELNS1_11target_archE1201ELNS1_3gpuE5ELNS1_3repE0EEENS1_30default_config_static_selectorELNS0_4arch9wavefront6targetE1EEEvSM_.private_seg_size, 0
	.set _ZN7rocprim17ROCPRIM_400000_NS6detail17trampoline_kernelINS0_14default_configENS1_22reduce_config_selectorIN6thrust23THRUST_200600_302600_NS5tupleIllNS6_9null_typeES8_S8_S8_S8_S8_S8_S8_EEEEZNS1_11reduce_implILb0ES3_PS9_SC_S9_NS6_11hip_rocprim9__extrema9arg_max_fIllNS6_4lessIlEEEEEE10hipError_tPvRmT1_T2_T3_mT4_P12ihipStream_tbEUlT_E0_NS1_11comp_targetILNS1_3genE10ELNS1_11target_archE1201ELNS1_3gpuE5ELNS1_3repE0EEENS1_30default_config_static_selectorELNS0_4arch9wavefront6targetE1EEEvSM_.uses_vcc, 0
	.set _ZN7rocprim17ROCPRIM_400000_NS6detail17trampoline_kernelINS0_14default_configENS1_22reduce_config_selectorIN6thrust23THRUST_200600_302600_NS5tupleIllNS6_9null_typeES8_S8_S8_S8_S8_S8_S8_EEEEZNS1_11reduce_implILb0ES3_PS9_SC_S9_NS6_11hip_rocprim9__extrema9arg_max_fIllNS6_4lessIlEEEEEE10hipError_tPvRmT1_T2_T3_mT4_P12ihipStream_tbEUlT_E0_NS1_11comp_targetILNS1_3genE10ELNS1_11target_archE1201ELNS1_3gpuE5ELNS1_3repE0EEENS1_30default_config_static_selectorELNS0_4arch9wavefront6targetE1EEEvSM_.uses_flat_scratch, 0
	.set _ZN7rocprim17ROCPRIM_400000_NS6detail17trampoline_kernelINS0_14default_configENS1_22reduce_config_selectorIN6thrust23THRUST_200600_302600_NS5tupleIllNS6_9null_typeES8_S8_S8_S8_S8_S8_S8_EEEEZNS1_11reduce_implILb0ES3_PS9_SC_S9_NS6_11hip_rocprim9__extrema9arg_max_fIllNS6_4lessIlEEEEEE10hipError_tPvRmT1_T2_T3_mT4_P12ihipStream_tbEUlT_E0_NS1_11comp_targetILNS1_3genE10ELNS1_11target_archE1201ELNS1_3gpuE5ELNS1_3repE0EEENS1_30default_config_static_selectorELNS0_4arch9wavefront6targetE1EEEvSM_.has_dyn_sized_stack, 0
	.set _ZN7rocprim17ROCPRIM_400000_NS6detail17trampoline_kernelINS0_14default_configENS1_22reduce_config_selectorIN6thrust23THRUST_200600_302600_NS5tupleIllNS6_9null_typeES8_S8_S8_S8_S8_S8_S8_EEEEZNS1_11reduce_implILb0ES3_PS9_SC_S9_NS6_11hip_rocprim9__extrema9arg_max_fIllNS6_4lessIlEEEEEE10hipError_tPvRmT1_T2_T3_mT4_P12ihipStream_tbEUlT_E0_NS1_11comp_targetILNS1_3genE10ELNS1_11target_archE1201ELNS1_3gpuE5ELNS1_3repE0EEENS1_30default_config_static_selectorELNS0_4arch9wavefront6targetE1EEEvSM_.has_recursion, 0
	.set _ZN7rocprim17ROCPRIM_400000_NS6detail17trampoline_kernelINS0_14default_configENS1_22reduce_config_selectorIN6thrust23THRUST_200600_302600_NS5tupleIllNS6_9null_typeES8_S8_S8_S8_S8_S8_S8_EEEEZNS1_11reduce_implILb0ES3_PS9_SC_S9_NS6_11hip_rocprim9__extrema9arg_max_fIllNS6_4lessIlEEEEEE10hipError_tPvRmT1_T2_T3_mT4_P12ihipStream_tbEUlT_E0_NS1_11comp_targetILNS1_3genE10ELNS1_11target_archE1201ELNS1_3gpuE5ELNS1_3repE0EEENS1_30default_config_static_selectorELNS0_4arch9wavefront6targetE1EEEvSM_.has_indirect_call, 0
	.section	.AMDGPU.csdata,"",@progbits
; Kernel info:
; codeLenInByte = 0
; TotalNumSgprs: 4
; NumVgprs: 0
; ScratchSize: 0
; MemoryBound: 0
; FloatMode: 240
; IeeeMode: 1
; LDSByteSize: 0 bytes/workgroup (compile time only)
; SGPRBlocks: 0
; VGPRBlocks: 0
; NumSGPRsForWavesPerEU: 4
; NumVGPRsForWavesPerEU: 1
; Occupancy: 10
; WaveLimiterHint : 0
; COMPUTE_PGM_RSRC2:SCRATCH_EN: 0
; COMPUTE_PGM_RSRC2:USER_SGPR: 6
; COMPUTE_PGM_RSRC2:TRAP_HANDLER: 0
; COMPUTE_PGM_RSRC2:TGID_X_EN: 1
; COMPUTE_PGM_RSRC2:TGID_Y_EN: 0
; COMPUTE_PGM_RSRC2:TGID_Z_EN: 0
; COMPUTE_PGM_RSRC2:TIDIG_COMP_CNT: 0
	.section	.text._ZN7rocprim17ROCPRIM_400000_NS6detail17trampoline_kernelINS0_14default_configENS1_22reduce_config_selectorIN6thrust23THRUST_200600_302600_NS5tupleIllNS6_9null_typeES8_S8_S8_S8_S8_S8_S8_EEEEZNS1_11reduce_implILb0ES3_PS9_SC_S9_NS6_11hip_rocprim9__extrema9arg_max_fIllNS6_4lessIlEEEEEE10hipError_tPvRmT1_T2_T3_mT4_P12ihipStream_tbEUlT_E0_NS1_11comp_targetILNS1_3genE10ELNS1_11target_archE1200ELNS1_3gpuE4ELNS1_3repE0EEENS1_30default_config_static_selectorELNS0_4arch9wavefront6targetE1EEEvSM_,"axG",@progbits,_ZN7rocprim17ROCPRIM_400000_NS6detail17trampoline_kernelINS0_14default_configENS1_22reduce_config_selectorIN6thrust23THRUST_200600_302600_NS5tupleIllNS6_9null_typeES8_S8_S8_S8_S8_S8_S8_EEEEZNS1_11reduce_implILb0ES3_PS9_SC_S9_NS6_11hip_rocprim9__extrema9arg_max_fIllNS6_4lessIlEEEEEE10hipError_tPvRmT1_T2_T3_mT4_P12ihipStream_tbEUlT_E0_NS1_11comp_targetILNS1_3genE10ELNS1_11target_archE1200ELNS1_3gpuE4ELNS1_3repE0EEENS1_30default_config_static_selectorELNS0_4arch9wavefront6targetE1EEEvSM_,comdat
	.protected	_ZN7rocprim17ROCPRIM_400000_NS6detail17trampoline_kernelINS0_14default_configENS1_22reduce_config_selectorIN6thrust23THRUST_200600_302600_NS5tupleIllNS6_9null_typeES8_S8_S8_S8_S8_S8_S8_EEEEZNS1_11reduce_implILb0ES3_PS9_SC_S9_NS6_11hip_rocprim9__extrema9arg_max_fIllNS6_4lessIlEEEEEE10hipError_tPvRmT1_T2_T3_mT4_P12ihipStream_tbEUlT_E0_NS1_11comp_targetILNS1_3genE10ELNS1_11target_archE1200ELNS1_3gpuE4ELNS1_3repE0EEENS1_30default_config_static_selectorELNS0_4arch9wavefront6targetE1EEEvSM_ ; -- Begin function _ZN7rocprim17ROCPRIM_400000_NS6detail17trampoline_kernelINS0_14default_configENS1_22reduce_config_selectorIN6thrust23THRUST_200600_302600_NS5tupleIllNS6_9null_typeES8_S8_S8_S8_S8_S8_S8_EEEEZNS1_11reduce_implILb0ES3_PS9_SC_S9_NS6_11hip_rocprim9__extrema9arg_max_fIllNS6_4lessIlEEEEEE10hipError_tPvRmT1_T2_T3_mT4_P12ihipStream_tbEUlT_E0_NS1_11comp_targetILNS1_3genE10ELNS1_11target_archE1200ELNS1_3gpuE4ELNS1_3repE0EEENS1_30default_config_static_selectorELNS0_4arch9wavefront6targetE1EEEvSM_
	.globl	_ZN7rocprim17ROCPRIM_400000_NS6detail17trampoline_kernelINS0_14default_configENS1_22reduce_config_selectorIN6thrust23THRUST_200600_302600_NS5tupleIllNS6_9null_typeES8_S8_S8_S8_S8_S8_S8_EEEEZNS1_11reduce_implILb0ES3_PS9_SC_S9_NS6_11hip_rocprim9__extrema9arg_max_fIllNS6_4lessIlEEEEEE10hipError_tPvRmT1_T2_T3_mT4_P12ihipStream_tbEUlT_E0_NS1_11comp_targetILNS1_3genE10ELNS1_11target_archE1200ELNS1_3gpuE4ELNS1_3repE0EEENS1_30default_config_static_selectorELNS0_4arch9wavefront6targetE1EEEvSM_
	.p2align	8
	.type	_ZN7rocprim17ROCPRIM_400000_NS6detail17trampoline_kernelINS0_14default_configENS1_22reduce_config_selectorIN6thrust23THRUST_200600_302600_NS5tupleIllNS6_9null_typeES8_S8_S8_S8_S8_S8_S8_EEEEZNS1_11reduce_implILb0ES3_PS9_SC_S9_NS6_11hip_rocprim9__extrema9arg_max_fIllNS6_4lessIlEEEEEE10hipError_tPvRmT1_T2_T3_mT4_P12ihipStream_tbEUlT_E0_NS1_11comp_targetILNS1_3genE10ELNS1_11target_archE1200ELNS1_3gpuE4ELNS1_3repE0EEENS1_30default_config_static_selectorELNS0_4arch9wavefront6targetE1EEEvSM_,@function
_ZN7rocprim17ROCPRIM_400000_NS6detail17trampoline_kernelINS0_14default_configENS1_22reduce_config_selectorIN6thrust23THRUST_200600_302600_NS5tupleIllNS6_9null_typeES8_S8_S8_S8_S8_S8_S8_EEEEZNS1_11reduce_implILb0ES3_PS9_SC_S9_NS6_11hip_rocprim9__extrema9arg_max_fIllNS6_4lessIlEEEEEE10hipError_tPvRmT1_T2_T3_mT4_P12ihipStream_tbEUlT_E0_NS1_11comp_targetILNS1_3genE10ELNS1_11target_archE1200ELNS1_3gpuE4ELNS1_3repE0EEENS1_30default_config_static_selectorELNS0_4arch9wavefront6targetE1EEEvSM_: ; @_ZN7rocprim17ROCPRIM_400000_NS6detail17trampoline_kernelINS0_14default_configENS1_22reduce_config_selectorIN6thrust23THRUST_200600_302600_NS5tupleIllNS6_9null_typeES8_S8_S8_S8_S8_S8_S8_EEEEZNS1_11reduce_implILb0ES3_PS9_SC_S9_NS6_11hip_rocprim9__extrema9arg_max_fIllNS6_4lessIlEEEEEE10hipError_tPvRmT1_T2_T3_mT4_P12ihipStream_tbEUlT_E0_NS1_11comp_targetILNS1_3genE10ELNS1_11target_archE1200ELNS1_3gpuE4ELNS1_3repE0EEENS1_30default_config_static_selectorELNS0_4arch9wavefront6targetE1EEEvSM_
; %bb.0:
	.section	.rodata,"a",@progbits
	.p2align	6, 0x0
	.amdhsa_kernel _ZN7rocprim17ROCPRIM_400000_NS6detail17trampoline_kernelINS0_14default_configENS1_22reduce_config_selectorIN6thrust23THRUST_200600_302600_NS5tupleIllNS6_9null_typeES8_S8_S8_S8_S8_S8_S8_EEEEZNS1_11reduce_implILb0ES3_PS9_SC_S9_NS6_11hip_rocprim9__extrema9arg_max_fIllNS6_4lessIlEEEEEE10hipError_tPvRmT1_T2_T3_mT4_P12ihipStream_tbEUlT_E0_NS1_11comp_targetILNS1_3genE10ELNS1_11target_archE1200ELNS1_3gpuE4ELNS1_3repE0EEENS1_30default_config_static_selectorELNS0_4arch9wavefront6targetE1EEEvSM_
		.amdhsa_group_segment_fixed_size 0
		.amdhsa_private_segment_fixed_size 0
		.amdhsa_kernarg_size 72
		.amdhsa_user_sgpr_count 6
		.amdhsa_user_sgpr_private_segment_buffer 1
		.amdhsa_user_sgpr_dispatch_ptr 0
		.amdhsa_user_sgpr_queue_ptr 0
		.amdhsa_user_sgpr_kernarg_segment_ptr 1
		.amdhsa_user_sgpr_dispatch_id 0
		.amdhsa_user_sgpr_flat_scratch_init 0
		.amdhsa_user_sgpr_private_segment_size 0
		.amdhsa_uses_dynamic_stack 0
		.amdhsa_system_sgpr_private_segment_wavefront_offset 0
		.amdhsa_system_sgpr_workgroup_id_x 1
		.amdhsa_system_sgpr_workgroup_id_y 0
		.amdhsa_system_sgpr_workgroup_id_z 0
		.amdhsa_system_sgpr_workgroup_info 0
		.amdhsa_system_vgpr_workitem_id 0
		.amdhsa_next_free_vgpr 1
		.amdhsa_next_free_sgpr 0
		.amdhsa_reserve_vcc 0
		.amdhsa_reserve_flat_scratch 0
		.amdhsa_float_round_mode_32 0
		.amdhsa_float_round_mode_16_64 0
		.amdhsa_float_denorm_mode_32 3
		.amdhsa_float_denorm_mode_16_64 3
		.amdhsa_dx10_clamp 1
		.amdhsa_ieee_mode 1
		.amdhsa_fp16_overflow 0
		.amdhsa_exception_fp_ieee_invalid_op 0
		.amdhsa_exception_fp_denorm_src 0
		.amdhsa_exception_fp_ieee_div_zero 0
		.amdhsa_exception_fp_ieee_overflow 0
		.amdhsa_exception_fp_ieee_underflow 0
		.amdhsa_exception_fp_ieee_inexact 0
		.amdhsa_exception_int_div_zero 0
	.end_amdhsa_kernel
	.section	.text._ZN7rocprim17ROCPRIM_400000_NS6detail17trampoline_kernelINS0_14default_configENS1_22reduce_config_selectorIN6thrust23THRUST_200600_302600_NS5tupleIllNS6_9null_typeES8_S8_S8_S8_S8_S8_S8_EEEEZNS1_11reduce_implILb0ES3_PS9_SC_S9_NS6_11hip_rocprim9__extrema9arg_max_fIllNS6_4lessIlEEEEEE10hipError_tPvRmT1_T2_T3_mT4_P12ihipStream_tbEUlT_E0_NS1_11comp_targetILNS1_3genE10ELNS1_11target_archE1200ELNS1_3gpuE4ELNS1_3repE0EEENS1_30default_config_static_selectorELNS0_4arch9wavefront6targetE1EEEvSM_,"axG",@progbits,_ZN7rocprim17ROCPRIM_400000_NS6detail17trampoline_kernelINS0_14default_configENS1_22reduce_config_selectorIN6thrust23THRUST_200600_302600_NS5tupleIllNS6_9null_typeES8_S8_S8_S8_S8_S8_S8_EEEEZNS1_11reduce_implILb0ES3_PS9_SC_S9_NS6_11hip_rocprim9__extrema9arg_max_fIllNS6_4lessIlEEEEEE10hipError_tPvRmT1_T2_T3_mT4_P12ihipStream_tbEUlT_E0_NS1_11comp_targetILNS1_3genE10ELNS1_11target_archE1200ELNS1_3gpuE4ELNS1_3repE0EEENS1_30default_config_static_selectorELNS0_4arch9wavefront6targetE1EEEvSM_,comdat
.Lfunc_end409:
	.size	_ZN7rocprim17ROCPRIM_400000_NS6detail17trampoline_kernelINS0_14default_configENS1_22reduce_config_selectorIN6thrust23THRUST_200600_302600_NS5tupleIllNS6_9null_typeES8_S8_S8_S8_S8_S8_S8_EEEEZNS1_11reduce_implILb0ES3_PS9_SC_S9_NS6_11hip_rocprim9__extrema9arg_max_fIllNS6_4lessIlEEEEEE10hipError_tPvRmT1_T2_T3_mT4_P12ihipStream_tbEUlT_E0_NS1_11comp_targetILNS1_3genE10ELNS1_11target_archE1200ELNS1_3gpuE4ELNS1_3repE0EEENS1_30default_config_static_selectorELNS0_4arch9wavefront6targetE1EEEvSM_, .Lfunc_end409-_ZN7rocprim17ROCPRIM_400000_NS6detail17trampoline_kernelINS0_14default_configENS1_22reduce_config_selectorIN6thrust23THRUST_200600_302600_NS5tupleIllNS6_9null_typeES8_S8_S8_S8_S8_S8_S8_EEEEZNS1_11reduce_implILb0ES3_PS9_SC_S9_NS6_11hip_rocprim9__extrema9arg_max_fIllNS6_4lessIlEEEEEE10hipError_tPvRmT1_T2_T3_mT4_P12ihipStream_tbEUlT_E0_NS1_11comp_targetILNS1_3genE10ELNS1_11target_archE1200ELNS1_3gpuE4ELNS1_3repE0EEENS1_30default_config_static_selectorELNS0_4arch9wavefront6targetE1EEEvSM_
                                        ; -- End function
	.set _ZN7rocprim17ROCPRIM_400000_NS6detail17trampoline_kernelINS0_14default_configENS1_22reduce_config_selectorIN6thrust23THRUST_200600_302600_NS5tupleIllNS6_9null_typeES8_S8_S8_S8_S8_S8_S8_EEEEZNS1_11reduce_implILb0ES3_PS9_SC_S9_NS6_11hip_rocprim9__extrema9arg_max_fIllNS6_4lessIlEEEEEE10hipError_tPvRmT1_T2_T3_mT4_P12ihipStream_tbEUlT_E0_NS1_11comp_targetILNS1_3genE10ELNS1_11target_archE1200ELNS1_3gpuE4ELNS1_3repE0EEENS1_30default_config_static_selectorELNS0_4arch9wavefront6targetE1EEEvSM_.num_vgpr, 0
	.set _ZN7rocprim17ROCPRIM_400000_NS6detail17trampoline_kernelINS0_14default_configENS1_22reduce_config_selectorIN6thrust23THRUST_200600_302600_NS5tupleIllNS6_9null_typeES8_S8_S8_S8_S8_S8_S8_EEEEZNS1_11reduce_implILb0ES3_PS9_SC_S9_NS6_11hip_rocprim9__extrema9arg_max_fIllNS6_4lessIlEEEEEE10hipError_tPvRmT1_T2_T3_mT4_P12ihipStream_tbEUlT_E0_NS1_11comp_targetILNS1_3genE10ELNS1_11target_archE1200ELNS1_3gpuE4ELNS1_3repE0EEENS1_30default_config_static_selectorELNS0_4arch9wavefront6targetE1EEEvSM_.num_agpr, 0
	.set _ZN7rocprim17ROCPRIM_400000_NS6detail17trampoline_kernelINS0_14default_configENS1_22reduce_config_selectorIN6thrust23THRUST_200600_302600_NS5tupleIllNS6_9null_typeES8_S8_S8_S8_S8_S8_S8_EEEEZNS1_11reduce_implILb0ES3_PS9_SC_S9_NS6_11hip_rocprim9__extrema9arg_max_fIllNS6_4lessIlEEEEEE10hipError_tPvRmT1_T2_T3_mT4_P12ihipStream_tbEUlT_E0_NS1_11comp_targetILNS1_3genE10ELNS1_11target_archE1200ELNS1_3gpuE4ELNS1_3repE0EEENS1_30default_config_static_selectorELNS0_4arch9wavefront6targetE1EEEvSM_.numbered_sgpr, 0
	.set _ZN7rocprim17ROCPRIM_400000_NS6detail17trampoline_kernelINS0_14default_configENS1_22reduce_config_selectorIN6thrust23THRUST_200600_302600_NS5tupleIllNS6_9null_typeES8_S8_S8_S8_S8_S8_S8_EEEEZNS1_11reduce_implILb0ES3_PS9_SC_S9_NS6_11hip_rocprim9__extrema9arg_max_fIllNS6_4lessIlEEEEEE10hipError_tPvRmT1_T2_T3_mT4_P12ihipStream_tbEUlT_E0_NS1_11comp_targetILNS1_3genE10ELNS1_11target_archE1200ELNS1_3gpuE4ELNS1_3repE0EEENS1_30default_config_static_selectorELNS0_4arch9wavefront6targetE1EEEvSM_.num_named_barrier, 0
	.set _ZN7rocprim17ROCPRIM_400000_NS6detail17trampoline_kernelINS0_14default_configENS1_22reduce_config_selectorIN6thrust23THRUST_200600_302600_NS5tupleIllNS6_9null_typeES8_S8_S8_S8_S8_S8_S8_EEEEZNS1_11reduce_implILb0ES3_PS9_SC_S9_NS6_11hip_rocprim9__extrema9arg_max_fIllNS6_4lessIlEEEEEE10hipError_tPvRmT1_T2_T3_mT4_P12ihipStream_tbEUlT_E0_NS1_11comp_targetILNS1_3genE10ELNS1_11target_archE1200ELNS1_3gpuE4ELNS1_3repE0EEENS1_30default_config_static_selectorELNS0_4arch9wavefront6targetE1EEEvSM_.private_seg_size, 0
	.set _ZN7rocprim17ROCPRIM_400000_NS6detail17trampoline_kernelINS0_14default_configENS1_22reduce_config_selectorIN6thrust23THRUST_200600_302600_NS5tupleIllNS6_9null_typeES8_S8_S8_S8_S8_S8_S8_EEEEZNS1_11reduce_implILb0ES3_PS9_SC_S9_NS6_11hip_rocprim9__extrema9arg_max_fIllNS6_4lessIlEEEEEE10hipError_tPvRmT1_T2_T3_mT4_P12ihipStream_tbEUlT_E0_NS1_11comp_targetILNS1_3genE10ELNS1_11target_archE1200ELNS1_3gpuE4ELNS1_3repE0EEENS1_30default_config_static_selectorELNS0_4arch9wavefront6targetE1EEEvSM_.uses_vcc, 0
	.set _ZN7rocprim17ROCPRIM_400000_NS6detail17trampoline_kernelINS0_14default_configENS1_22reduce_config_selectorIN6thrust23THRUST_200600_302600_NS5tupleIllNS6_9null_typeES8_S8_S8_S8_S8_S8_S8_EEEEZNS1_11reduce_implILb0ES3_PS9_SC_S9_NS6_11hip_rocprim9__extrema9arg_max_fIllNS6_4lessIlEEEEEE10hipError_tPvRmT1_T2_T3_mT4_P12ihipStream_tbEUlT_E0_NS1_11comp_targetILNS1_3genE10ELNS1_11target_archE1200ELNS1_3gpuE4ELNS1_3repE0EEENS1_30default_config_static_selectorELNS0_4arch9wavefront6targetE1EEEvSM_.uses_flat_scratch, 0
	.set _ZN7rocprim17ROCPRIM_400000_NS6detail17trampoline_kernelINS0_14default_configENS1_22reduce_config_selectorIN6thrust23THRUST_200600_302600_NS5tupleIllNS6_9null_typeES8_S8_S8_S8_S8_S8_S8_EEEEZNS1_11reduce_implILb0ES3_PS9_SC_S9_NS6_11hip_rocprim9__extrema9arg_max_fIllNS6_4lessIlEEEEEE10hipError_tPvRmT1_T2_T3_mT4_P12ihipStream_tbEUlT_E0_NS1_11comp_targetILNS1_3genE10ELNS1_11target_archE1200ELNS1_3gpuE4ELNS1_3repE0EEENS1_30default_config_static_selectorELNS0_4arch9wavefront6targetE1EEEvSM_.has_dyn_sized_stack, 0
	.set _ZN7rocprim17ROCPRIM_400000_NS6detail17trampoline_kernelINS0_14default_configENS1_22reduce_config_selectorIN6thrust23THRUST_200600_302600_NS5tupleIllNS6_9null_typeES8_S8_S8_S8_S8_S8_S8_EEEEZNS1_11reduce_implILb0ES3_PS9_SC_S9_NS6_11hip_rocprim9__extrema9arg_max_fIllNS6_4lessIlEEEEEE10hipError_tPvRmT1_T2_T3_mT4_P12ihipStream_tbEUlT_E0_NS1_11comp_targetILNS1_3genE10ELNS1_11target_archE1200ELNS1_3gpuE4ELNS1_3repE0EEENS1_30default_config_static_selectorELNS0_4arch9wavefront6targetE1EEEvSM_.has_recursion, 0
	.set _ZN7rocprim17ROCPRIM_400000_NS6detail17trampoline_kernelINS0_14default_configENS1_22reduce_config_selectorIN6thrust23THRUST_200600_302600_NS5tupleIllNS6_9null_typeES8_S8_S8_S8_S8_S8_S8_EEEEZNS1_11reduce_implILb0ES3_PS9_SC_S9_NS6_11hip_rocprim9__extrema9arg_max_fIllNS6_4lessIlEEEEEE10hipError_tPvRmT1_T2_T3_mT4_P12ihipStream_tbEUlT_E0_NS1_11comp_targetILNS1_3genE10ELNS1_11target_archE1200ELNS1_3gpuE4ELNS1_3repE0EEENS1_30default_config_static_selectorELNS0_4arch9wavefront6targetE1EEEvSM_.has_indirect_call, 0
	.section	.AMDGPU.csdata,"",@progbits
; Kernel info:
; codeLenInByte = 0
; TotalNumSgprs: 4
; NumVgprs: 0
; ScratchSize: 0
; MemoryBound: 0
; FloatMode: 240
; IeeeMode: 1
; LDSByteSize: 0 bytes/workgroup (compile time only)
; SGPRBlocks: 0
; VGPRBlocks: 0
; NumSGPRsForWavesPerEU: 4
; NumVGPRsForWavesPerEU: 1
; Occupancy: 10
; WaveLimiterHint : 0
; COMPUTE_PGM_RSRC2:SCRATCH_EN: 0
; COMPUTE_PGM_RSRC2:USER_SGPR: 6
; COMPUTE_PGM_RSRC2:TRAP_HANDLER: 0
; COMPUTE_PGM_RSRC2:TGID_X_EN: 1
; COMPUTE_PGM_RSRC2:TGID_Y_EN: 0
; COMPUTE_PGM_RSRC2:TGID_Z_EN: 0
; COMPUTE_PGM_RSRC2:TIDIG_COMP_CNT: 0
	.section	.text._ZN7rocprim17ROCPRIM_400000_NS6detail17trampoline_kernelINS0_14default_configENS1_22reduce_config_selectorIN6thrust23THRUST_200600_302600_NS5tupleIllNS6_9null_typeES8_S8_S8_S8_S8_S8_S8_EEEEZNS1_11reduce_implILb0ES3_PS9_SC_S9_NS6_11hip_rocprim9__extrema9arg_max_fIllNS6_4lessIlEEEEEE10hipError_tPvRmT1_T2_T3_mT4_P12ihipStream_tbEUlT_E0_NS1_11comp_targetILNS1_3genE9ELNS1_11target_archE1100ELNS1_3gpuE3ELNS1_3repE0EEENS1_30default_config_static_selectorELNS0_4arch9wavefront6targetE1EEEvSM_,"axG",@progbits,_ZN7rocprim17ROCPRIM_400000_NS6detail17trampoline_kernelINS0_14default_configENS1_22reduce_config_selectorIN6thrust23THRUST_200600_302600_NS5tupleIllNS6_9null_typeES8_S8_S8_S8_S8_S8_S8_EEEEZNS1_11reduce_implILb0ES3_PS9_SC_S9_NS6_11hip_rocprim9__extrema9arg_max_fIllNS6_4lessIlEEEEEE10hipError_tPvRmT1_T2_T3_mT4_P12ihipStream_tbEUlT_E0_NS1_11comp_targetILNS1_3genE9ELNS1_11target_archE1100ELNS1_3gpuE3ELNS1_3repE0EEENS1_30default_config_static_selectorELNS0_4arch9wavefront6targetE1EEEvSM_,comdat
	.protected	_ZN7rocprim17ROCPRIM_400000_NS6detail17trampoline_kernelINS0_14default_configENS1_22reduce_config_selectorIN6thrust23THRUST_200600_302600_NS5tupleIllNS6_9null_typeES8_S8_S8_S8_S8_S8_S8_EEEEZNS1_11reduce_implILb0ES3_PS9_SC_S9_NS6_11hip_rocprim9__extrema9arg_max_fIllNS6_4lessIlEEEEEE10hipError_tPvRmT1_T2_T3_mT4_P12ihipStream_tbEUlT_E0_NS1_11comp_targetILNS1_3genE9ELNS1_11target_archE1100ELNS1_3gpuE3ELNS1_3repE0EEENS1_30default_config_static_selectorELNS0_4arch9wavefront6targetE1EEEvSM_ ; -- Begin function _ZN7rocprim17ROCPRIM_400000_NS6detail17trampoline_kernelINS0_14default_configENS1_22reduce_config_selectorIN6thrust23THRUST_200600_302600_NS5tupleIllNS6_9null_typeES8_S8_S8_S8_S8_S8_S8_EEEEZNS1_11reduce_implILb0ES3_PS9_SC_S9_NS6_11hip_rocprim9__extrema9arg_max_fIllNS6_4lessIlEEEEEE10hipError_tPvRmT1_T2_T3_mT4_P12ihipStream_tbEUlT_E0_NS1_11comp_targetILNS1_3genE9ELNS1_11target_archE1100ELNS1_3gpuE3ELNS1_3repE0EEENS1_30default_config_static_selectorELNS0_4arch9wavefront6targetE1EEEvSM_
	.globl	_ZN7rocprim17ROCPRIM_400000_NS6detail17trampoline_kernelINS0_14default_configENS1_22reduce_config_selectorIN6thrust23THRUST_200600_302600_NS5tupleIllNS6_9null_typeES8_S8_S8_S8_S8_S8_S8_EEEEZNS1_11reduce_implILb0ES3_PS9_SC_S9_NS6_11hip_rocprim9__extrema9arg_max_fIllNS6_4lessIlEEEEEE10hipError_tPvRmT1_T2_T3_mT4_P12ihipStream_tbEUlT_E0_NS1_11comp_targetILNS1_3genE9ELNS1_11target_archE1100ELNS1_3gpuE3ELNS1_3repE0EEENS1_30default_config_static_selectorELNS0_4arch9wavefront6targetE1EEEvSM_
	.p2align	8
	.type	_ZN7rocprim17ROCPRIM_400000_NS6detail17trampoline_kernelINS0_14default_configENS1_22reduce_config_selectorIN6thrust23THRUST_200600_302600_NS5tupleIllNS6_9null_typeES8_S8_S8_S8_S8_S8_S8_EEEEZNS1_11reduce_implILb0ES3_PS9_SC_S9_NS6_11hip_rocprim9__extrema9arg_max_fIllNS6_4lessIlEEEEEE10hipError_tPvRmT1_T2_T3_mT4_P12ihipStream_tbEUlT_E0_NS1_11comp_targetILNS1_3genE9ELNS1_11target_archE1100ELNS1_3gpuE3ELNS1_3repE0EEENS1_30default_config_static_selectorELNS0_4arch9wavefront6targetE1EEEvSM_,@function
_ZN7rocprim17ROCPRIM_400000_NS6detail17trampoline_kernelINS0_14default_configENS1_22reduce_config_selectorIN6thrust23THRUST_200600_302600_NS5tupleIllNS6_9null_typeES8_S8_S8_S8_S8_S8_S8_EEEEZNS1_11reduce_implILb0ES3_PS9_SC_S9_NS6_11hip_rocprim9__extrema9arg_max_fIllNS6_4lessIlEEEEEE10hipError_tPvRmT1_T2_T3_mT4_P12ihipStream_tbEUlT_E0_NS1_11comp_targetILNS1_3genE9ELNS1_11target_archE1100ELNS1_3gpuE3ELNS1_3repE0EEENS1_30default_config_static_selectorELNS0_4arch9wavefront6targetE1EEEvSM_: ; @_ZN7rocprim17ROCPRIM_400000_NS6detail17trampoline_kernelINS0_14default_configENS1_22reduce_config_selectorIN6thrust23THRUST_200600_302600_NS5tupleIllNS6_9null_typeES8_S8_S8_S8_S8_S8_S8_EEEEZNS1_11reduce_implILb0ES3_PS9_SC_S9_NS6_11hip_rocprim9__extrema9arg_max_fIllNS6_4lessIlEEEEEE10hipError_tPvRmT1_T2_T3_mT4_P12ihipStream_tbEUlT_E0_NS1_11comp_targetILNS1_3genE9ELNS1_11target_archE1100ELNS1_3gpuE3ELNS1_3repE0EEENS1_30default_config_static_selectorELNS0_4arch9wavefront6targetE1EEEvSM_
; %bb.0:
	.section	.rodata,"a",@progbits
	.p2align	6, 0x0
	.amdhsa_kernel _ZN7rocprim17ROCPRIM_400000_NS6detail17trampoline_kernelINS0_14default_configENS1_22reduce_config_selectorIN6thrust23THRUST_200600_302600_NS5tupleIllNS6_9null_typeES8_S8_S8_S8_S8_S8_S8_EEEEZNS1_11reduce_implILb0ES3_PS9_SC_S9_NS6_11hip_rocprim9__extrema9arg_max_fIllNS6_4lessIlEEEEEE10hipError_tPvRmT1_T2_T3_mT4_P12ihipStream_tbEUlT_E0_NS1_11comp_targetILNS1_3genE9ELNS1_11target_archE1100ELNS1_3gpuE3ELNS1_3repE0EEENS1_30default_config_static_selectorELNS0_4arch9wavefront6targetE1EEEvSM_
		.amdhsa_group_segment_fixed_size 0
		.amdhsa_private_segment_fixed_size 0
		.amdhsa_kernarg_size 72
		.amdhsa_user_sgpr_count 6
		.amdhsa_user_sgpr_private_segment_buffer 1
		.amdhsa_user_sgpr_dispatch_ptr 0
		.amdhsa_user_sgpr_queue_ptr 0
		.amdhsa_user_sgpr_kernarg_segment_ptr 1
		.amdhsa_user_sgpr_dispatch_id 0
		.amdhsa_user_sgpr_flat_scratch_init 0
		.amdhsa_user_sgpr_private_segment_size 0
		.amdhsa_uses_dynamic_stack 0
		.amdhsa_system_sgpr_private_segment_wavefront_offset 0
		.amdhsa_system_sgpr_workgroup_id_x 1
		.amdhsa_system_sgpr_workgroup_id_y 0
		.amdhsa_system_sgpr_workgroup_id_z 0
		.amdhsa_system_sgpr_workgroup_info 0
		.amdhsa_system_vgpr_workitem_id 0
		.amdhsa_next_free_vgpr 1
		.amdhsa_next_free_sgpr 0
		.amdhsa_reserve_vcc 0
		.amdhsa_reserve_flat_scratch 0
		.amdhsa_float_round_mode_32 0
		.amdhsa_float_round_mode_16_64 0
		.amdhsa_float_denorm_mode_32 3
		.amdhsa_float_denorm_mode_16_64 3
		.amdhsa_dx10_clamp 1
		.amdhsa_ieee_mode 1
		.amdhsa_fp16_overflow 0
		.amdhsa_exception_fp_ieee_invalid_op 0
		.amdhsa_exception_fp_denorm_src 0
		.amdhsa_exception_fp_ieee_div_zero 0
		.amdhsa_exception_fp_ieee_overflow 0
		.amdhsa_exception_fp_ieee_underflow 0
		.amdhsa_exception_fp_ieee_inexact 0
		.amdhsa_exception_int_div_zero 0
	.end_amdhsa_kernel
	.section	.text._ZN7rocprim17ROCPRIM_400000_NS6detail17trampoline_kernelINS0_14default_configENS1_22reduce_config_selectorIN6thrust23THRUST_200600_302600_NS5tupleIllNS6_9null_typeES8_S8_S8_S8_S8_S8_S8_EEEEZNS1_11reduce_implILb0ES3_PS9_SC_S9_NS6_11hip_rocprim9__extrema9arg_max_fIllNS6_4lessIlEEEEEE10hipError_tPvRmT1_T2_T3_mT4_P12ihipStream_tbEUlT_E0_NS1_11comp_targetILNS1_3genE9ELNS1_11target_archE1100ELNS1_3gpuE3ELNS1_3repE0EEENS1_30default_config_static_selectorELNS0_4arch9wavefront6targetE1EEEvSM_,"axG",@progbits,_ZN7rocprim17ROCPRIM_400000_NS6detail17trampoline_kernelINS0_14default_configENS1_22reduce_config_selectorIN6thrust23THRUST_200600_302600_NS5tupleIllNS6_9null_typeES8_S8_S8_S8_S8_S8_S8_EEEEZNS1_11reduce_implILb0ES3_PS9_SC_S9_NS6_11hip_rocprim9__extrema9arg_max_fIllNS6_4lessIlEEEEEE10hipError_tPvRmT1_T2_T3_mT4_P12ihipStream_tbEUlT_E0_NS1_11comp_targetILNS1_3genE9ELNS1_11target_archE1100ELNS1_3gpuE3ELNS1_3repE0EEENS1_30default_config_static_selectorELNS0_4arch9wavefront6targetE1EEEvSM_,comdat
.Lfunc_end410:
	.size	_ZN7rocprim17ROCPRIM_400000_NS6detail17trampoline_kernelINS0_14default_configENS1_22reduce_config_selectorIN6thrust23THRUST_200600_302600_NS5tupleIllNS6_9null_typeES8_S8_S8_S8_S8_S8_S8_EEEEZNS1_11reduce_implILb0ES3_PS9_SC_S9_NS6_11hip_rocprim9__extrema9arg_max_fIllNS6_4lessIlEEEEEE10hipError_tPvRmT1_T2_T3_mT4_P12ihipStream_tbEUlT_E0_NS1_11comp_targetILNS1_3genE9ELNS1_11target_archE1100ELNS1_3gpuE3ELNS1_3repE0EEENS1_30default_config_static_selectorELNS0_4arch9wavefront6targetE1EEEvSM_, .Lfunc_end410-_ZN7rocprim17ROCPRIM_400000_NS6detail17trampoline_kernelINS0_14default_configENS1_22reduce_config_selectorIN6thrust23THRUST_200600_302600_NS5tupleIllNS6_9null_typeES8_S8_S8_S8_S8_S8_S8_EEEEZNS1_11reduce_implILb0ES3_PS9_SC_S9_NS6_11hip_rocprim9__extrema9arg_max_fIllNS6_4lessIlEEEEEE10hipError_tPvRmT1_T2_T3_mT4_P12ihipStream_tbEUlT_E0_NS1_11comp_targetILNS1_3genE9ELNS1_11target_archE1100ELNS1_3gpuE3ELNS1_3repE0EEENS1_30default_config_static_selectorELNS0_4arch9wavefront6targetE1EEEvSM_
                                        ; -- End function
	.set _ZN7rocprim17ROCPRIM_400000_NS6detail17trampoline_kernelINS0_14default_configENS1_22reduce_config_selectorIN6thrust23THRUST_200600_302600_NS5tupleIllNS6_9null_typeES8_S8_S8_S8_S8_S8_S8_EEEEZNS1_11reduce_implILb0ES3_PS9_SC_S9_NS6_11hip_rocprim9__extrema9arg_max_fIllNS6_4lessIlEEEEEE10hipError_tPvRmT1_T2_T3_mT4_P12ihipStream_tbEUlT_E0_NS1_11comp_targetILNS1_3genE9ELNS1_11target_archE1100ELNS1_3gpuE3ELNS1_3repE0EEENS1_30default_config_static_selectorELNS0_4arch9wavefront6targetE1EEEvSM_.num_vgpr, 0
	.set _ZN7rocprim17ROCPRIM_400000_NS6detail17trampoline_kernelINS0_14default_configENS1_22reduce_config_selectorIN6thrust23THRUST_200600_302600_NS5tupleIllNS6_9null_typeES8_S8_S8_S8_S8_S8_S8_EEEEZNS1_11reduce_implILb0ES3_PS9_SC_S9_NS6_11hip_rocprim9__extrema9arg_max_fIllNS6_4lessIlEEEEEE10hipError_tPvRmT1_T2_T3_mT4_P12ihipStream_tbEUlT_E0_NS1_11comp_targetILNS1_3genE9ELNS1_11target_archE1100ELNS1_3gpuE3ELNS1_3repE0EEENS1_30default_config_static_selectorELNS0_4arch9wavefront6targetE1EEEvSM_.num_agpr, 0
	.set _ZN7rocprim17ROCPRIM_400000_NS6detail17trampoline_kernelINS0_14default_configENS1_22reduce_config_selectorIN6thrust23THRUST_200600_302600_NS5tupleIllNS6_9null_typeES8_S8_S8_S8_S8_S8_S8_EEEEZNS1_11reduce_implILb0ES3_PS9_SC_S9_NS6_11hip_rocprim9__extrema9arg_max_fIllNS6_4lessIlEEEEEE10hipError_tPvRmT1_T2_T3_mT4_P12ihipStream_tbEUlT_E0_NS1_11comp_targetILNS1_3genE9ELNS1_11target_archE1100ELNS1_3gpuE3ELNS1_3repE0EEENS1_30default_config_static_selectorELNS0_4arch9wavefront6targetE1EEEvSM_.numbered_sgpr, 0
	.set _ZN7rocprim17ROCPRIM_400000_NS6detail17trampoline_kernelINS0_14default_configENS1_22reduce_config_selectorIN6thrust23THRUST_200600_302600_NS5tupleIllNS6_9null_typeES8_S8_S8_S8_S8_S8_S8_EEEEZNS1_11reduce_implILb0ES3_PS9_SC_S9_NS6_11hip_rocprim9__extrema9arg_max_fIllNS6_4lessIlEEEEEE10hipError_tPvRmT1_T2_T3_mT4_P12ihipStream_tbEUlT_E0_NS1_11comp_targetILNS1_3genE9ELNS1_11target_archE1100ELNS1_3gpuE3ELNS1_3repE0EEENS1_30default_config_static_selectorELNS0_4arch9wavefront6targetE1EEEvSM_.num_named_barrier, 0
	.set _ZN7rocprim17ROCPRIM_400000_NS6detail17trampoline_kernelINS0_14default_configENS1_22reduce_config_selectorIN6thrust23THRUST_200600_302600_NS5tupleIllNS6_9null_typeES8_S8_S8_S8_S8_S8_S8_EEEEZNS1_11reduce_implILb0ES3_PS9_SC_S9_NS6_11hip_rocprim9__extrema9arg_max_fIllNS6_4lessIlEEEEEE10hipError_tPvRmT1_T2_T3_mT4_P12ihipStream_tbEUlT_E0_NS1_11comp_targetILNS1_3genE9ELNS1_11target_archE1100ELNS1_3gpuE3ELNS1_3repE0EEENS1_30default_config_static_selectorELNS0_4arch9wavefront6targetE1EEEvSM_.private_seg_size, 0
	.set _ZN7rocprim17ROCPRIM_400000_NS6detail17trampoline_kernelINS0_14default_configENS1_22reduce_config_selectorIN6thrust23THRUST_200600_302600_NS5tupleIllNS6_9null_typeES8_S8_S8_S8_S8_S8_S8_EEEEZNS1_11reduce_implILb0ES3_PS9_SC_S9_NS6_11hip_rocprim9__extrema9arg_max_fIllNS6_4lessIlEEEEEE10hipError_tPvRmT1_T2_T3_mT4_P12ihipStream_tbEUlT_E0_NS1_11comp_targetILNS1_3genE9ELNS1_11target_archE1100ELNS1_3gpuE3ELNS1_3repE0EEENS1_30default_config_static_selectorELNS0_4arch9wavefront6targetE1EEEvSM_.uses_vcc, 0
	.set _ZN7rocprim17ROCPRIM_400000_NS6detail17trampoline_kernelINS0_14default_configENS1_22reduce_config_selectorIN6thrust23THRUST_200600_302600_NS5tupleIllNS6_9null_typeES8_S8_S8_S8_S8_S8_S8_EEEEZNS1_11reduce_implILb0ES3_PS9_SC_S9_NS6_11hip_rocprim9__extrema9arg_max_fIllNS6_4lessIlEEEEEE10hipError_tPvRmT1_T2_T3_mT4_P12ihipStream_tbEUlT_E0_NS1_11comp_targetILNS1_3genE9ELNS1_11target_archE1100ELNS1_3gpuE3ELNS1_3repE0EEENS1_30default_config_static_selectorELNS0_4arch9wavefront6targetE1EEEvSM_.uses_flat_scratch, 0
	.set _ZN7rocprim17ROCPRIM_400000_NS6detail17trampoline_kernelINS0_14default_configENS1_22reduce_config_selectorIN6thrust23THRUST_200600_302600_NS5tupleIllNS6_9null_typeES8_S8_S8_S8_S8_S8_S8_EEEEZNS1_11reduce_implILb0ES3_PS9_SC_S9_NS6_11hip_rocprim9__extrema9arg_max_fIllNS6_4lessIlEEEEEE10hipError_tPvRmT1_T2_T3_mT4_P12ihipStream_tbEUlT_E0_NS1_11comp_targetILNS1_3genE9ELNS1_11target_archE1100ELNS1_3gpuE3ELNS1_3repE0EEENS1_30default_config_static_selectorELNS0_4arch9wavefront6targetE1EEEvSM_.has_dyn_sized_stack, 0
	.set _ZN7rocprim17ROCPRIM_400000_NS6detail17trampoline_kernelINS0_14default_configENS1_22reduce_config_selectorIN6thrust23THRUST_200600_302600_NS5tupleIllNS6_9null_typeES8_S8_S8_S8_S8_S8_S8_EEEEZNS1_11reduce_implILb0ES3_PS9_SC_S9_NS6_11hip_rocprim9__extrema9arg_max_fIllNS6_4lessIlEEEEEE10hipError_tPvRmT1_T2_T3_mT4_P12ihipStream_tbEUlT_E0_NS1_11comp_targetILNS1_3genE9ELNS1_11target_archE1100ELNS1_3gpuE3ELNS1_3repE0EEENS1_30default_config_static_selectorELNS0_4arch9wavefront6targetE1EEEvSM_.has_recursion, 0
	.set _ZN7rocprim17ROCPRIM_400000_NS6detail17trampoline_kernelINS0_14default_configENS1_22reduce_config_selectorIN6thrust23THRUST_200600_302600_NS5tupleIllNS6_9null_typeES8_S8_S8_S8_S8_S8_S8_EEEEZNS1_11reduce_implILb0ES3_PS9_SC_S9_NS6_11hip_rocprim9__extrema9arg_max_fIllNS6_4lessIlEEEEEE10hipError_tPvRmT1_T2_T3_mT4_P12ihipStream_tbEUlT_E0_NS1_11comp_targetILNS1_3genE9ELNS1_11target_archE1100ELNS1_3gpuE3ELNS1_3repE0EEENS1_30default_config_static_selectorELNS0_4arch9wavefront6targetE1EEEvSM_.has_indirect_call, 0
	.section	.AMDGPU.csdata,"",@progbits
; Kernel info:
; codeLenInByte = 0
; TotalNumSgprs: 4
; NumVgprs: 0
; ScratchSize: 0
; MemoryBound: 0
; FloatMode: 240
; IeeeMode: 1
; LDSByteSize: 0 bytes/workgroup (compile time only)
; SGPRBlocks: 0
; VGPRBlocks: 0
; NumSGPRsForWavesPerEU: 4
; NumVGPRsForWavesPerEU: 1
; Occupancy: 10
; WaveLimiterHint : 0
; COMPUTE_PGM_RSRC2:SCRATCH_EN: 0
; COMPUTE_PGM_RSRC2:USER_SGPR: 6
; COMPUTE_PGM_RSRC2:TRAP_HANDLER: 0
; COMPUTE_PGM_RSRC2:TGID_X_EN: 1
; COMPUTE_PGM_RSRC2:TGID_Y_EN: 0
; COMPUTE_PGM_RSRC2:TGID_Z_EN: 0
; COMPUTE_PGM_RSRC2:TIDIG_COMP_CNT: 0
	.section	.text._ZN7rocprim17ROCPRIM_400000_NS6detail17trampoline_kernelINS0_14default_configENS1_22reduce_config_selectorIN6thrust23THRUST_200600_302600_NS5tupleIllNS6_9null_typeES8_S8_S8_S8_S8_S8_S8_EEEEZNS1_11reduce_implILb0ES3_PS9_SC_S9_NS6_11hip_rocprim9__extrema9arg_max_fIllNS6_4lessIlEEEEEE10hipError_tPvRmT1_T2_T3_mT4_P12ihipStream_tbEUlT_E0_NS1_11comp_targetILNS1_3genE8ELNS1_11target_archE1030ELNS1_3gpuE2ELNS1_3repE0EEENS1_30default_config_static_selectorELNS0_4arch9wavefront6targetE1EEEvSM_,"axG",@progbits,_ZN7rocprim17ROCPRIM_400000_NS6detail17trampoline_kernelINS0_14default_configENS1_22reduce_config_selectorIN6thrust23THRUST_200600_302600_NS5tupleIllNS6_9null_typeES8_S8_S8_S8_S8_S8_S8_EEEEZNS1_11reduce_implILb0ES3_PS9_SC_S9_NS6_11hip_rocprim9__extrema9arg_max_fIllNS6_4lessIlEEEEEE10hipError_tPvRmT1_T2_T3_mT4_P12ihipStream_tbEUlT_E0_NS1_11comp_targetILNS1_3genE8ELNS1_11target_archE1030ELNS1_3gpuE2ELNS1_3repE0EEENS1_30default_config_static_selectorELNS0_4arch9wavefront6targetE1EEEvSM_,comdat
	.protected	_ZN7rocprim17ROCPRIM_400000_NS6detail17trampoline_kernelINS0_14default_configENS1_22reduce_config_selectorIN6thrust23THRUST_200600_302600_NS5tupleIllNS6_9null_typeES8_S8_S8_S8_S8_S8_S8_EEEEZNS1_11reduce_implILb0ES3_PS9_SC_S9_NS6_11hip_rocprim9__extrema9arg_max_fIllNS6_4lessIlEEEEEE10hipError_tPvRmT1_T2_T3_mT4_P12ihipStream_tbEUlT_E0_NS1_11comp_targetILNS1_3genE8ELNS1_11target_archE1030ELNS1_3gpuE2ELNS1_3repE0EEENS1_30default_config_static_selectorELNS0_4arch9wavefront6targetE1EEEvSM_ ; -- Begin function _ZN7rocprim17ROCPRIM_400000_NS6detail17trampoline_kernelINS0_14default_configENS1_22reduce_config_selectorIN6thrust23THRUST_200600_302600_NS5tupleIllNS6_9null_typeES8_S8_S8_S8_S8_S8_S8_EEEEZNS1_11reduce_implILb0ES3_PS9_SC_S9_NS6_11hip_rocprim9__extrema9arg_max_fIllNS6_4lessIlEEEEEE10hipError_tPvRmT1_T2_T3_mT4_P12ihipStream_tbEUlT_E0_NS1_11comp_targetILNS1_3genE8ELNS1_11target_archE1030ELNS1_3gpuE2ELNS1_3repE0EEENS1_30default_config_static_selectorELNS0_4arch9wavefront6targetE1EEEvSM_
	.globl	_ZN7rocprim17ROCPRIM_400000_NS6detail17trampoline_kernelINS0_14default_configENS1_22reduce_config_selectorIN6thrust23THRUST_200600_302600_NS5tupleIllNS6_9null_typeES8_S8_S8_S8_S8_S8_S8_EEEEZNS1_11reduce_implILb0ES3_PS9_SC_S9_NS6_11hip_rocprim9__extrema9arg_max_fIllNS6_4lessIlEEEEEE10hipError_tPvRmT1_T2_T3_mT4_P12ihipStream_tbEUlT_E0_NS1_11comp_targetILNS1_3genE8ELNS1_11target_archE1030ELNS1_3gpuE2ELNS1_3repE0EEENS1_30default_config_static_selectorELNS0_4arch9wavefront6targetE1EEEvSM_
	.p2align	8
	.type	_ZN7rocprim17ROCPRIM_400000_NS6detail17trampoline_kernelINS0_14default_configENS1_22reduce_config_selectorIN6thrust23THRUST_200600_302600_NS5tupleIllNS6_9null_typeES8_S8_S8_S8_S8_S8_S8_EEEEZNS1_11reduce_implILb0ES3_PS9_SC_S9_NS6_11hip_rocprim9__extrema9arg_max_fIllNS6_4lessIlEEEEEE10hipError_tPvRmT1_T2_T3_mT4_P12ihipStream_tbEUlT_E0_NS1_11comp_targetILNS1_3genE8ELNS1_11target_archE1030ELNS1_3gpuE2ELNS1_3repE0EEENS1_30default_config_static_selectorELNS0_4arch9wavefront6targetE1EEEvSM_,@function
_ZN7rocprim17ROCPRIM_400000_NS6detail17trampoline_kernelINS0_14default_configENS1_22reduce_config_selectorIN6thrust23THRUST_200600_302600_NS5tupleIllNS6_9null_typeES8_S8_S8_S8_S8_S8_S8_EEEEZNS1_11reduce_implILb0ES3_PS9_SC_S9_NS6_11hip_rocprim9__extrema9arg_max_fIllNS6_4lessIlEEEEEE10hipError_tPvRmT1_T2_T3_mT4_P12ihipStream_tbEUlT_E0_NS1_11comp_targetILNS1_3genE8ELNS1_11target_archE1030ELNS1_3gpuE2ELNS1_3repE0EEENS1_30default_config_static_selectorELNS0_4arch9wavefront6targetE1EEEvSM_: ; @_ZN7rocprim17ROCPRIM_400000_NS6detail17trampoline_kernelINS0_14default_configENS1_22reduce_config_selectorIN6thrust23THRUST_200600_302600_NS5tupleIllNS6_9null_typeES8_S8_S8_S8_S8_S8_S8_EEEEZNS1_11reduce_implILb0ES3_PS9_SC_S9_NS6_11hip_rocprim9__extrema9arg_max_fIllNS6_4lessIlEEEEEE10hipError_tPvRmT1_T2_T3_mT4_P12ihipStream_tbEUlT_E0_NS1_11comp_targetILNS1_3genE8ELNS1_11target_archE1030ELNS1_3gpuE2ELNS1_3repE0EEENS1_30default_config_static_selectorELNS0_4arch9wavefront6targetE1EEEvSM_
; %bb.0:
	.section	.rodata,"a",@progbits
	.p2align	6, 0x0
	.amdhsa_kernel _ZN7rocprim17ROCPRIM_400000_NS6detail17trampoline_kernelINS0_14default_configENS1_22reduce_config_selectorIN6thrust23THRUST_200600_302600_NS5tupleIllNS6_9null_typeES8_S8_S8_S8_S8_S8_S8_EEEEZNS1_11reduce_implILb0ES3_PS9_SC_S9_NS6_11hip_rocprim9__extrema9arg_max_fIllNS6_4lessIlEEEEEE10hipError_tPvRmT1_T2_T3_mT4_P12ihipStream_tbEUlT_E0_NS1_11comp_targetILNS1_3genE8ELNS1_11target_archE1030ELNS1_3gpuE2ELNS1_3repE0EEENS1_30default_config_static_selectorELNS0_4arch9wavefront6targetE1EEEvSM_
		.amdhsa_group_segment_fixed_size 0
		.amdhsa_private_segment_fixed_size 0
		.amdhsa_kernarg_size 72
		.amdhsa_user_sgpr_count 6
		.amdhsa_user_sgpr_private_segment_buffer 1
		.amdhsa_user_sgpr_dispatch_ptr 0
		.amdhsa_user_sgpr_queue_ptr 0
		.amdhsa_user_sgpr_kernarg_segment_ptr 1
		.amdhsa_user_sgpr_dispatch_id 0
		.amdhsa_user_sgpr_flat_scratch_init 0
		.amdhsa_user_sgpr_private_segment_size 0
		.amdhsa_uses_dynamic_stack 0
		.amdhsa_system_sgpr_private_segment_wavefront_offset 0
		.amdhsa_system_sgpr_workgroup_id_x 1
		.amdhsa_system_sgpr_workgroup_id_y 0
		.amdhsa_system_sgpr_workgroup_id_z 0
		.amdhsa_system_sgpr_workgroup_info 0
		.amdhsa_system_vgpr_workitem_id 0
		.amdhsa_next_free_vgpr 1
		.amdhsa_next_free_sgpr 0
		.amdhsa_reserve_vcc 0
		.amdhsa_reserve_flat_scratch 0
		.amdhsa_float_round_mode_32 0
		.amdhsa_float_round_mode_16_64 0
		.amdhsa_float_denorm_mode_32 3
		.amdhsa_float_denorm_mode_16_64 3
		.amdhsa_dx10_clamp 1
		.amdhsa_ieee_mode 1
		.amdhsa_fp16_overflow 0
		.amdhsa_exception_fp_ieee_invalid_op 0
		.amdhsa_exception_fp_denorm_src 0
		.amdhsa_exception_fp_ieee_div_zero 0
		.amdhsa_exception_fp_ieee_overflow 0
		.amdhsa_exception_fp_ieee_underflow 0
		.amdhsa_exception_fp_ieee_inexact 0
		.amdhsa_exception_int_div_zero 0
	.end_amdhsa_kernel
	.section	.text._ZN7rocprim17ROCPRIM_400000_NS6detail17trampoline_kernelINS0_14default_configENS1_22reduce_config_selectorIN6thrust23THRUST_200600_302600_NS5tupleIllNS6_9null_typeES8_S8_S8_S8_S8_S8_S8_EEEEZNS1_11reduce_implILb0ES3_PS9_SC_S9_NS6_11hip_rocprim9__extrema9arg_max_fIllNS6_4lessIlEEEEEE10hipError_tPvRmT1_T2_T3_mT4_P12ihipStream_tbEUlT_E0_NS1_11comp_targetILNS1_3genE8ELNS1_11target_archE1030ELNS1_3gpuE2ELNS1_3repE0EEENS1_30default_config_static_selectorELNS0_4arch9wavefront6targetE1EEEvSM_,"axG",@progbits,_ZN7rocprim17ROCPRIM_400000_NS6detail17trampoline_kernelINS0_14default_configENS1_22reduce_config_selectorIN6thrust23THRUST_200600_302600_NS5tupleIllNS6_9null_typeES8_S8_S8_S8_S8_S8_S8_EEEEZNS1_11reduce_implILb0ES3_PS9_SC_S9_NS6_11hip_rocprim9__extrema9arg_max_fIllNS6_4lessIlEEEEEE10hipError_tPvRmT1_T2_T3_mT4_P12ihipStream_tbEUlT_E0_NS1_11comp_targetILNS1_3genE8ELNS1_11target_archE1030ELNS1_3gpuE2ELNS1_3repE0EEENS1_30default_config_static_selectorELNS0_4arch9wavefront6targetE1EEEvSM_,comdat
.Lfunc_end411:
	.size	_ZN7rocprim17ROCPRIM_400000_NS6detail17trampoline_kernelINS0_14default_configENS1_22reduce_config_selectorIN6thrust23THRUST_200600_302600_NS5tupleIllNS6_9null_typeES8_S8_S8_S8_S8_S8_S8_EEEEZNS1_11reduce_implILb0ES3_PS9_SC_S9_NS6_11hip_rocprim9__extrema9arg_max_fIllNS6_4lessIlEEEEEE10hipError_tPvRmT1_T2_T3_mT4_P12ihipStream_tbEUlT_E0_NS1_11comp_targetILNS1_3genE8ELNS1_11target_archE1030ELNS1_3gpuE2ELNS1_3repE0EEENS1_30default_config_static_selectorELNS0_4arch9wavefront6targetE1EEEvSM_, .Lfunc_end411-_ZN7rocprim17ROCPRIM_400000_NS6detail17trampoline_kernelINS0_14default_configENS1_22reduce_config_selectorIN6thrust23THRUST_200600_302600_NS5tupleIllNS6_9null_typeES8_S8_S8_S8_S8_S8_S8_EEEEZNS1_11reduce_implILb0ES3_PS9_SC_S9_NS6_11hip_rocprim9__extrema9arg_max_fIllNS6_4lessIlEEEEEE10hipError_tPvRmT1_T2_T3_mT4_P12ihipStream_tbEUlT_E0_NS1_11comp_targetILNS1_3genE8ELNS1_11target_archE1030ELNS1_3gpuE2ELNS1_3repE0EEENS1_30default_config_static_selectorELNS0_4arch9wavefront6targetE1EEEvSM_
                                        ; -- End function
	.set _ZN7rocprim17ROCPRIM_400000_NS6detail17trampoline_kernelINS0_14default_configENS1_22reduce_config_selectorIN6thrust23THRUST_200600_302600_NS5tupleIllNS6_9null_typeES8_S8_S8_S8_S8_S8_S8_EEEEZNS1_11reduce_implILb0ES3_PS9_SC_S9_NS6_11hip_rocprim9__extrema9arg_max_fIllNS6_4lessIlEEEEEE10hipError_tPvRmT1_T2_T3_mT4_P12ihipStream_tbEUlT_E0_NS1_11comp_targetILNS1_3genE8ELNS1_11target_archE1030ELNS1_3gpuE2ELNS1_3repE0EEENS1_30default_config_static_selectorELNS0_4arch9wavefront6targetE1EEEvSM_.num_vgpr, 0
	.set _ZN7rocprim17ROCPRIM_400000_NS6detail17trampoline_kernelINS0_14default_configENS1_22reduce_config_selectorIN6thrust23THRUST_200600_302600_NS5tupleIllNS6_9null_typeES8_S8_S8_S8_S8_S8_S8_EEEEZNS1_11reduce_implILb0ES3_PS9_SC_S9_NS6_11hip_rocprim9__extrema9arg_max_fIllNS6_4lessIlEEEEEE10hipError_tPvRmT1_T2_T3_mT4_P12ihipStream_tbEUlT_E0_NS1_11comp_targetILNS1_3genE8ELNS1_11target_archE1030ELNS1_3gpuE2ELNS1_3repE0EEENS1_30default_config_static_selectorELNS0_4arch9wavefront6targetE1EEEvSM_.num_agpr, 0
	.set _ZN7rocprim17ROCPRIM_400000_NS6detail17trampoline_kernelINS0_14default_configENS1_22reduce_config_selectorIN6thrust23THRUST_200600_302600_NS5tupleIllNS6_9null_typeES8_S8_S8_S8_S8_S8_S8_EEEEZNS1_11reduce_implILb0ES3_PS9_SC_S9_NS6_11hip_rocprim9__extrema9arg_max_fIllNS6_4lessIlEEEEEE10hipError_tPvRmT1_T2_T3_mT4_P12ihipStream_tbEUlT_E0_NS1_11comp_targetILNS1_3genE8ELNS1_11target_archE1030ELNS1_3gpuE2ELNS1_3repE0EEENS1_30default_config_static_selectorELNS0_4arch9wavefront6targetE1EEEvSM_.numbered_sgpr, 0
	.set _ZN7rocprim17ROCPRIM_400000_NS6detail17trampoline_kernelINS0_14default_configENS1_22reduce_config_selectorIN6thrust23THRUST_200600_302600_NS5tupleIllNS6_9null_typeES8_S8_S8_S8_S8_S8_S8_EEEEZNS1_11reduce_implILb0ES3_PS9_SC_S9_NS6_11hip_rocprim9__extrema9arg_max_fIllNS6_4lessIlEEEEEE10hipError_tPvRmT1_T2_T3_mT4_P12ihipStream_tbEUlT_E0_NS1_11comp_targetILNS1_3genE8ELNS1_11target_archE1030ELNS1_3gpuE2ELNS1_3repE0EEENS1_30default_config_static_selectorELNS0_4arch9wavefront6targetE1EEEvSM_.num_named_barrier, 0
	.set _ZN7rocprim17ROCPRIM_400000_NS6detail17trampoline_kernelINS0_14default_configENS1_22reduce_config_selectorIN6thrust23THRUST_200600_302600_NS5tupleIllNS6_9null_typeES8_S8_S8_S8_S8_S8_S8_EEEEZNS1_11reduce_implILb0ES3_PS9_SC_S9_NS6_11hip_rocprim9__extrema9arg_max_fIllNS6_4lessIlEEEEEE10hipError_tPvRmT1_T2_T3_mT4_P12ihipStream_tbEUlT_E0_NS1_11comp_targetILNS1_3genE8ELNS1_11target_archE1030ELNS1_3gpuE2ELNS1_3repE0EEENS1_30default_config_static_selectorELNS0_4arch9wavefront6targetE1EEEvSM_.private_seg_size, 0
	.set _ZN7rocprim17ROCPRIM_400000_NS6detail17trampoline_kernelINS0_14default_configENS1_22reduce_config_selectorIN6thrust23THRUST_200600_302600_NS5tupleIllNS6_9null_typeES8_S8_S8_S8_S8_S8_S8_EEEEZNS1_11reduce_implILb0ES3_PS9_SC_S9_NS6_11hip_rocprim9__extrema9arg_max_fIllNS6_4lessIlEEEEEE10hipError_tPvRmT1_T2_T3_mT4_P12ihipStream_tbEUlT_E0_NS1_11comp_targetILNS1_3genE8ELNS1_11target_archE1030ELNS1_3gpuE2ELNS1_3repE0EEENS1_30default_config_static_selectorELNS0_4arch9wavefront6targetE1EEEvSM_.uses_vcc, 0
	.set _ZN7rocprim17ROCPRIM_400000_NS6detail17trampoline_kernelINS0_14default_configENS1_22reduce_config_selectorIN6thrust23THRUST_200600_302600_NS5tupleIllNS6_9null_typeES8_S8_S8_S8_S8_S8_S8_EEEEZNS1_11reduce_implILb0ES3_PS9_SC_S9_NS6_11hip_rocprim9__extrema9arg_max_fIllNS6_4lessIlEEEEEE10hipError_tPvRmT1_T2_T3_mT4_P12ihipStream_tbEUlT_E0_NS1_11comp_targetILNS1_3genE8ELNS1_11target_archE1030ELNS1_3gpuE2ELNS1_3repE0EEENS1_30default_config_static_selectorELNS0_4arch9wavefront6targetE1EEEvSM_.uses_flat_scratch, 0
	.set _ZN7rocprim17ROCPRIM_400000_NS6detail17trampoline_kernelINS0_14default_configENS1_22reduce_config_selectorIN6thrust23THRUST_200600_302600_NS5tupleIllNS6_9null_typeES8_S8_S8_S8_S8_S8_S8_EEEEZNS1_11reduce_implILb0ES3_PS9_SC_S9_NS6_11hip_rocprim9__extrema9arg_max_fIllNS6_4lessIlEEEEEE10hipError_tPvRmT1_T2_T3_mT4_P12ihipStream_tbEUlT_E0_NS1_11comp_targetILNS1_3genE8ELNS1_11target_archE1030ELNS1_3gpuE2ELNS1_3repE0EEENS1_30default_config_static_selectorELNS0_4arch9wavefront6targetE1EEEvSM_.has_dyn_sized_stack, 0
	.set _ZN7rocprim17ROCPRIM_400000_NS6detail17trampoline_kernelINS0_14default_configENS1_22reduce_config_selectorIN6thrust23THRUST_200600_302600_NS5tupleIllNS6_9null_typeES8_S8_S8_S8_S8_S8_S8_EEEEZNS1_11reduce_implILb0ES3_PS9_SC_S9_NS6_11hip_rocprim9__extrema9arg_max_fIllNS6_4lessIlEEEEEE10hipError_tPvRmT1_T2_T3_mT4_P12ihipStream_tbEUlT_E0_NS1_11comp_targetILNS1_3genE8ELNS1_11target_archE1030ELNS1_3gpuE2ELNS1_3repE0EEENS1_30default_config_static_selectorELNS0_4arch9wavefront6targetE1EEEvSM_.has_recursion, 0
	.set _ZN7rocprim17ROCPRIM_400000_NS6detail17trampoline_kernelINS0_14default_configENS1_22reduce_config_selectorIN6thrust23THRUST_200600_302600_NS5tupleIllNS6_9null_typeES8_S8_S8_S8_S8_S8_S8_EEEEZNS1_11reduce_implILb0ES3_PS9_SC_S9_NS6_11hip_rocprim9__extrema9arg_max_fIllNS6_4lessIlEEEEEE10hipError_tPvRmT1_T2_T3_mT4_P12ihipStream_tbEUlT_E0_NS1_11comp_targetILNS1_3genE8ELNS1_11target_archE1030ELNS1_3gpuE2ELNS1_3repE0EEENS1_30default_config_static_selectorELNS0_4arch9wavefront6targetE1EEEvSM_.has_indirect_call, 0
	.section	.AMDGPU.csdata,"",@progbits
; Kernel info:
; codeLenInByte = 0
; TotalNumSgprs: 4
; NumVgprs: 0
; ScratchSize: 0
; MemoryBound: 0
; FloatMode: 240
; IeeeMode: 1
; LDSByteSize: 0 bytes/workgroup (compile time only)
; SGPRBlocks: 0
; VGPRBlocks: 0
; NumSGPRsForWavesPerEU: 4
; NumVGPRsForWavesPerEU: 1
; Occupancy: 10
; WaveLimiterHint : 0
; COMPUTE_PGM_RSRC2:SCRATCH_EN: 0
; COMPUTE_PGM_RSRC2:USER_SGPR: 6
; COMPUTE_PGM_RSRC2:TRAP_HANDLER: 0
; COMPUTE_PGM_RSRC2:TGID_X_EN: 1
; COMPUTE_PGM_RSRC2:TGID_Y_EN: 0
; COMPUTE_PGM_RSRC2:TGID_Z_EN: 0
; COMPUTE_PGM_RSRC2:TIDIG_COMP_CNT: 0
	.section	.text._ZN7rocprim17ROCPRIM_400000_NS6detail17trampoline_kernelINS0_14default_configENS1_22reduce_config_selectorIN6thrust23THRUST_200600_302600_NS5tupleIllNS6_9null_typeES8_S8_S8_S8_S8_S8_S8_EEEEZNS1_11reduce_implILb0ES3_PS9_SC_S9_NS6_11hip_rocprim9__extrema9arg_max_fIllNS6_4lessIlEEEEEE10hipError_tPvRmT1_T2_T3_mT4_P12ihipStream_tbEUlT_E1_NS1_11comp_targetILNS1_3genE0ELNS1_11target_archE4294967295ELNS1_3gpuE0ELNS1_3repE0EEENS1_30default_config_static_selectorELNS0_4arch9wavefront6targetE1EEEvSM_,"axG",@progbits,_ZN7rocprim17ROCPRIM_400000_NS6detail17trampoline_kernelINS0_14default_configENS1_22reduce_config_selectorIN6thrust23THRUST_200600_302600_NS5tupleIllNS6_9null_typeES8_S8_S8_S8_S8_S8_S8_EEEEZNS1_11reduce_implILb0ES3_PS9_SC_S9_NS6_11hip_rocprim9__extrema9arg_max_fIllNS6_4lessIlEEEEEE10hipError_tPvRmT1_T2_T3_mT4_P12ihipStream_tbEUlT_E1_NS1_11comp_targetILNS1_3genE0ELNS1_11target_archE4294967295ELNS1_3gpuE0ELNS1_3repE0EEENS1_30default_config_static_selectorELNS0_4arch9wavefront6targetE1EEEvSM_,comdat
	.protected	_ZN7rocprim17ROCPRIM_400000_NS6detail17trampoline_kernelINS0_14default_configENS1_22reduce_config_selectorIN6thrust23THRUST_200600_302600_NS5tupleIllNS6_9null_typeES8_S8_S8_S8_S8_S8_S8_EEEEZNS1_11reduce_implILb0ES3_PS9_SC_S9_NS6_11hip_rocprim9__extrema9arg_max_fIllNS6_4lessIlEEEEEE10hipError_tPvRmT1_T2_T3_mT4_P12ihipStream_tbEUlT_E1_NS1_11comp_targetILNS1_3genE0ELNS1_11target_archE4294967295ELNS1_3gpuE0ELNS1_3repE0EEENS1_30default_config_static_selectorELNS0_4arch9wavefront6targetE1EEEvSM_ ; -- Begin function _ZN7rocprim17ROCPRIM_400000_NS6detail17trampoline_kernelINS0_14default_configENS1_22reduce_config_selectorIN6thrust23THRUST_200600_302600_NS5tupleIllNS6_9null_typeES8_S8_S8_S8_S8_S8_S8_EEEEZNS1_11reduce_implILb0ES3_PS9_SC_S9_NS6_11hip_rocprim9__extrema9arg_max_fIllNS6_4lessIlEEEEEE10hipError_tPvRmT1_T2_T3_mT4_P12ihipStream_tbEUlT_E1_NS1_11comp_targetILNS1_3genE0ELNS1_11target_archE4294967295ELNS1_3gpuE0ELNS1_3repE0EEENS1_30default_config_static_selectorELNS0_4arch9wavefront6targetE1EEEvSM_
	.globl	_ZN7rocprim17ROCPRIM_400000_NS6detail17trampoline_kernelINS0_14default_configENS1_22reduce_config_selectorIN6thrust23THRUST_200600_302600_NS5tupleIllNS6_9null_typeES8_S8_S8_S8_S8_S8_S8_EEEEZNS1_11reduce_implILb0ES3_PS9_SC_S9_NS6_11hip_rocprim9__extrema9arg_max_fIllNS6_4lessIlEEEEEE10hipError_tPvRmT1_T2_T3_mT4_P12ihipStream_tbEUlT_E1_NS1_11comp_targetILNS1_3genE0ELNS1_11target_archE4294967295ELNS1_3gpuE0ELNS1_3repE0EEENS1_30default_config_static_selectorELNS0_4arch9wavefront6targetE1EEEvSM_
	.p2align	8
	.type	_ZN7rocprim17ROCPRIM_400000_NS6detail17trampoline_kernelINS0_14default_configENS1_22reduce_config_selectorIN6thrust23THRUST_200600_302600_NS5tupleIllNS6_9null_typeES8_S8_S8_S8_S8_S8_S8_EEEEZNS1_11reduce_implILb0ES3_PS9_SC_S9_NS6_11hip_rocprim9__extrema9arg_max_fIllNS6_4lessIlEEEEEE10hipError_tPvRmT1_T2_T3_mT4_P12ihipStream_tbEUlT_E1_NS1_11comp_targetILNS1_3genE0ELNS1_11target_archE4294967295ELNS1_3gpuE0ELNS1_3repE0EEENS1_30default_config_static_selectorELNS0_4arch9wavefront6targetE1EEEvSM_,@function
_ZN7rocprim17ROCPRIM_400000_NS6detail17trampoline_kernelINS0_14default_configENS1_22reduce_config_selectorIN6thrust23THRUST_200600_302600_NS5tupleIllNS6_9null_typeES8_S8_S8_S8_S8_S8_S8_EEEEZNS1_11reduce_implILb0ES3_PS9_SC_S9_NS6_11hip_rocprim9__extrema9arg_max_fIllNS6_4lessIlEEEEEE10hipError_tPvRmT1_T2_T3_mT4_P12ihipStream_tbEUlT_E1_NS1_11comp_targetILNS1_3genE0ELNS1_11target_archE4294967295ELNS1_3gpuE0ELNS1_3repE0EEENS1_30default_config_static_selectorELNS0_4arch9wavefront6targetE1EEEvSM_: ; @_ZN7rocprim17ROCPRIM_400000_NS6detail17trampoline_kernelINS0_14default_configENS1_22reduce_config_selectorIN6thrust23THRUST_200600_302600_NS5tupleIllNS6_9null_typeES8_S8_S8_S8_S8_S8_S8_EEEEZNS1_11reduce_implILb0ES3_PS9_SC_S9_NS6_11hip_rocprim9__extrema9arg_max_fIllNS6_4lessIlEEEEEE10hipError_tPvRmT1_T2_T3_mT4_P12ihipStream_tbEUlT_E1_NS1_11comp_targetILNS1_3genE0ELNS1_11target_archE4294967295ELNS1_3gpuE0ELNS1_3repE0EEENS1_30default_config_static_selectorELNS0_4arch9wavefront6targetE1EEEvSM_
; %bb.0:
	.section	.rodata,"a",@progbits
	.p2align	6, 0x0
	.amdhsa_kernel _ZN7rocprim17ROCPRIM_400000_NS6detail17trampoline_kernelINS0_14default_configENS1_22reduce_config_selectorIN6thrust23THRUST_200600_302600_NS5tupleIllNS6_9null_typeES8_S8_S8_S8_S8_S8_S8_EEEEZNS1_11reduce_implILb0ES3_PS9_SC_S9_NS6_11hip_rocprim9__extrema9arg_max_fIllNS6_4lessIlEEEEEE10hipError_tPvRmT1_T2_T3_mT4_P12ihipStream_tbEUlT_E1_NS1_11comp_targetILNS1_3genE0ELNS1_11target_archE4294967295ELNS1_3gpuE0ELNS1_3repE0EEENS1_30default_config_static_selectorELNS0_4arch9wavefront6targetE1EEEvSM_
		.amdhsa_group_segment_fixed_size 0
		.amdhsa_private_segment_fixed_size 0
		.amdhsa_kernarg_size 56
		.amdhsa_user_sgpr_count 6
		.amdhsa_user_sgpr_private_segment_buffer 1
		.amdhsa_user_sgpr_dispatch_ptr 0
		.amdhsa_user_sgpr_queue_ptr 0
		.amdhsa_user_sgpr_kernarg_segment_ptr 1
		.amdhsa_user_sgpr_dispatch_id 0
		.amdhsa_user_sgpr_flat_scratch_init 0
		.amdhsa_user_sgpr_private_segment_size 0
		.amdhsa_uses_dynamic_stack 0
		.amdhsa_system_sgpr_private_segment_wavefront_offset 0
		.amdhsa_system_sgpr_workgroup_id_x 1
		.amdhsa_system_sgpr_workgroup_id_y 0
		.amdhsa_system_sgpr_workgroup_id_z 0
		.amdhsa_system_sgpr_workgroup_info 0
		.amdhsa_system_vgpr_workitem_id 0
		.amdhsa_next_free_vgpr 1
		.amdhsa_next_free_sgpr 0
		.amdhsa_reserve_vcc 0
		.amdhsa_reserve_flat_scratch 0
		.amdhsa_float_round_mode_32 0
		.amdhsa_float_round_mode_16_64 0
		.amdhsa_float_denorm_mode_32 3
		.amdhsa_float_denorm_mode_16_64 3
		.amdhsa_dx10_clamp 1
		.amdhsa_ieee_mode 1
		.amdhsa_fp16_overflow 0
		.amdhsa_exception_fp_ieee_invalid_op 0
		.amdhsa_exception_fp_denorm_src 0
		.amdhsa_exception_fp_ieee_div_zero 0
		.amdhsa_exception_fp_ieee_overflow 0
		.amdhsa_exception_fp_ieee_underflow 0
		.amdhsa_exception_fp_ieee_inexact 0
		.amdhsa_exception_int_div_zero 0
	.end_amdhsa_kernel
	.section	.text._ZN7rocprim17ROCPRIM_400000_NS6detail17trampoline_kernelINS0_14default_configENS1_22reduce_config_selectorIN6thrust23THRUST_200600_302600_NS5tupleIllNS6_9null_typeES8_S8_S8_S8_S8_S8_S8_EEEEZNS1_11reduce_implILb0ES3_PS9_SC_S9_NS6_11hip_rocprim9__extrema9arg_max_fIllNS6_4lessIlEEEEEE10hipError_tPvRmT1_T2_T3_mT4_P12ihipStream_tbEUlT_E1_NS1_11comp_targetILNS1_3genE0ELNS1_11target_archE4294967295ELNS1_3gpuE0ELNS1_3repE0EEENS1_30default_config_static_selectorELNS0_4arch9wavefront6targetE1EEEvSM_,"axG",@progbits,_ZN7rocprim17ROCPRIM_400000_NS6detail17trampoline_kernelINS0_14default_configENS1_22reduce_config_selectorIN6thrust23THRUST_200600_302600_NS5tupleIllNS6_9null_typeES8_S8_S8_S8_S8_S8_S8_EEEEZNS1_11reduce_implILb0ES3_PS9_SC_S9_NS6_11hip_rocprim9__extrema9arg_max_fIllNS6_4lessIlEEEEEE10hipError_tPvRmT1_T2_T3_mT4_P12ihipStream_tbEUlT_E1_NS1_11comp_targetILNS1_3genE0ELNS1_11target_archE4294967295ELNS1_3gpuE0ELNS1_3repE0EEENS1_30default_config_static_selectorELNS0_4arch9wavefront6targetE1EEEvSM_,comdat
.Lfunc_end412:
	.size	_ZN7rocprim17ROCPRIM_400000_NS6detail17trampoline_kernelINS0_14default_configENS1_22reduce_config_selectorIN6thrust23THRUST_200600_302600_NS5tupleIllNS6_9null_typeES8_S8_S8_S8_S8_S8_S8_EEEEZNS1_11reduce_implILb0ES3_PS9_SC_S9_NS6_11hip_rocprim9__extrema9arg_max_fIllNS6_4lessIlEEEEEE10hipError_tPvRmT1_T2_T3_mT4_P12ihipStream_tbEUlT_E1_NS1_11comp_targetILNS1_3genE0ELNS1_11target_archE4294967295ELNS1_3gpuE0ELNS1_3repE0EEENS1_30default_config_static_selectorELNS0_4arch9wavefront6targetE1EEEvSM_, .Lfunc_end412-_ZN7rocprim17ROCPRIM_400000_NS6detail17trampoline_kernelINS0_14default_configENS1_22reduce_config_selectorIN6thrust23THRUST_200600_302600_NS5tupleIllNS6_9null_typeES8_S8_S8_S8_S8_S8_S8_EEEEZNS1_11reduce_implILb0ES3_PS9_SC_S9_NS6_11hip_rocprim9__extrema9arg_max_fIllNS6_4lessIlEEEEEE10hipError_tPvRmT1_T2_T3_mT4_P12ihipStream_tbEUlT_E1_NS1_11comp_targetILNS1_3genE0ELNS1_11target_archE4294967295ELNS1_3gpuE0ELNS1_3repE0EEENS1_30default_config_static_selectorELNS0_4arch9wavefront6targetE1EEEvSM_
                                        ; -- End function
	.set _ZN7rocprim17ROCPRIM_400000_NS6detail17trampoline_kernelINS0_14default_configENS1_22reduce_config_selectorIN6thrust23THRUST_200600_302600_NS5tupleIllNS6_9null_typeES8_S8_S8_S8_S8_S8_S8_EEEEZNS1_11reduce_implILb0ES3_PS9_SC_S9_NS6_11hip_rocprim9__extrema9arg_max_fIllNS6_4lessIlEEEEEE10hipError_tPvRmT1_T2_T3_mT4_P12ihipStream_tbEUlT_E1_NS1_11comp_targetILNS1_3genE0ELNS1_11target_archE4294967295ELNS1_3gpuE0ELNS1_3repE0EEENS1_30default_config_static_selectorELNS0_4arch9wavefront6targetE1EEEvSM_.num_vgpr, 0
	.set _ZN7rocprim17ROCPRIM_400000_NS6detail17trampoline_kernelINS0_14default_configENS1_22reduce_config_selectorIN6thrust23THRUST_200600_302600_NS5tupleIllNS6_9null_typeES8_S8_S8_S8_S8_S8_S8_EEEEZNS1_11reduce_implILb0ES3_PS9_SC_S9_NS6_11hip_rocprim9__extrema9arg_max_fIllNS6_4lessIlEEEEEE10hipError_tPvRmT1_T2_T3_mT4_P12ihipStream_tbEUlT_E1_NS1_11comp_targetILNS1_3genE0ELNS1_11target_archE4294967295ELNS1_3gpuE0ELNS1_3repE0EEENS1_30default_config_static_selectorELNS0_4arch9wavefront6targetE1EEEvSM_.num_agpr, 0
	.set _ZN7rocprim17ROCPRIM_400000_NS6detail17trampoline_kernelINS0_14default_configENS1_22reduce_config_selectorIN6thrust23THRUST_200600_302600_NS5tupleIllNS6_9null_typeES8_S8_S8_S8_S8_S8_S8_EEEEZNS1_11reduce_implILb0ES3_PS9_SC_S9_NS6_11hip_rocprim9__extrema9arg_max_fIllNS6_4lessIlEEEEEE10hipError_tPvRmT1_T2_T3_mT4_P12ihipStream_tbEUlT_E1_NS1_11comp_targetILNS1_3genE0ELNS1_11target_archE4294967295ELNS1_3gpuE0ELNS1_3repE0EEENS1_30default_config_static_selectorELNS0_4arch9wavefront6targetE1EEEvSM_.numbered_sgpr, 0
	.set _ZN7rocprim17ROCPRIM_400000_NS6detail17trampoline_kernelINS0_14default_configENS1_22reduce_config_selectorIN6thrust23THRUST_200600_302600_NS5tupleIllNS6_9null_typeES8_S8_S8_S8_S8_S8_S8_EEEEZNS1_11reduce_implILb0ES3_PS9_SC_S9_NS6_11hip_rocprim9__extrema9arg_max_fIllNS6_4lessIlEEEEEE10hipError_tPvRmT1_T2_T3_mT4_P12ihipStream_tbEUlT_E1_NS1_11comp_targetILNS1_3genE0ELNS1_11target_archE4294967295ELNS1_3gpuE0ELNS1_3repE0EEENS1_30default_config_static_selectorELNS0_4arch9wavefront6targetE1EEEvSM_.num_named_barrier, 0
	.set _ZN7rocprim17ROCPRIM_400000_NS6detail17trampoline_kernelINS0_14default_configENS1_22reduce_config_selectorIN6thrust23THRUST_200600_302600_NS5tupleIllNS6_9null_typeES8_S8_S8_S8_S8_S8_S8_EEEEZNS1_11reduce_implILb0ES3_PS9_SC_S9_NS6_11hip_rocprim9__extrema9arg_max_fIllNS6_4lessIlEEEEEE10hipError_tPvRmT1_T2_T3_mT4_P12ihipStream_tbEUlT_E1_NS1_11comp_targetILNS1_3genE0ELNS1_11target_archE4294967295ELNS1_3gpuE0ELNS1_3repE0EEENS1_30default_config_static_selectorELNS0_4arch9wavefront6targetE1EEEvSM_.private_seg_size, 0
	.set _ZN7rocprim17ROCPRIM_400000_NS6detail17trampoline_kernelINS0_14default_configENS1_22reduce_config_selectorIN6thrust23THRUST_200600_302600_NS5tupleIllNS6_9null_typeES8_S8_S8_S8_S8_S8_S8_EEEEZNS1_11reduce_implILb0ES3_PS9_SC_S9_NS6_11hip_rocprim9__extrema9arg_max_fIllNS6_4lessIlEEEEEE10hipError_tPvRmT1_T2_T3_mT4_P12ihipStream_tbEUlT_E1_NS1_11comp_targetILNS1_3genE0ELNS1_11target_archE4294967295ELNS1_3gpuE0ELNS1_3repE0EEENS1_30default_config_static_selectorELNS0_4arch9wavefront6targetE1EEEvSM_.uses_vcc, 0
	.set _ZN7rocprim17ROCPRIM_400000_NS6detail17trampoline_kernelINS0_14default_configENS1_22reduce_config_selectorIN6thrust23THRUST_200600_302600_NS5tupleIllNS6_9null_typeES8_S8_S8_S8_S8_S8_S8_EEEEZNS1_11reduce_implILb0ES3_PS9_SC_S9_NS6_11hip_rocprim9__extrema9arg_max_fIllNS6_4lessIlEEEEEE10hipError_tPvRmT1_T2_T3_mT4_P12ihipStream_tbEUlT_E1_NS1_11comp_targetILNS1_3genE0ELNS1_11target_archE4294967295ELNS1_3gpuE0ELNS1_3repE0EEENS1_30default_config_static_selectorELNS0_4arch9wavefront6targetE1EEEvSM_.uses_flat_scratch, 0
	.set _ZN7rocprim17ROCPRIM_400000_NS6detail17trampoline_kernelINS0_14default_configENS1_22reduce_config_selectorIN6thrust23THRUST_200600_302600_NS5tupleIllNS6_9null_typeES8_S8_S8_S8_S8_S8_S8_EEEEZNS1_11reduce_implILb0ES3_PS9_SC_S9_NS6_11hip_rocprim9__extrema9arg_max_fIllNS6_4lessIlEEEEEE10hipError_tPvRmT1_T2_T3_mT4_P12ihipStream_tbEUlT_E1_NS1_11comp_targetILNS1_3genE0ELNS1_11target_archE4294967295ELNS1_3gpuE0ELNS1_3repE0EEENS1_30default_config_static_selectorELNS0_4arch9wavefront6targetE1EEEvSM_.has_dyn_sized_stack, 0
	.set _ZN7rocprim17ROCPRIM_400000_NS6detail17trampoline_kernelINS0_14default_configENS1_22reduce_config_selectorIN6thrust23THRUST_200600_302600_NS5tupleIllNS6_9null_typeES8_S8_S8_S8_S8_S8_S8_EEEEZNS1_11reduce_implILb0ES3_PS9_SC_S9_NS6_11hip_rocprim9__extrema9arg_max_fIllNS6_4lessIlEEEEEE10hipError_tPvRmT1_T2_T3_mT4_P12ihipStream_tbEUlT_E1_NS1_11comp_targetILNS1_3genE0ELNS1_11target_archE4294967295ELNS1_3gpuE0ELNS1_3repE0EEENS1_30default_config_static_selectorELNS0_4arch9wavefront6targetE1EEEvSM_.has_recursion, 0
	.set _ZN7rocprim17ROCPRIM_400000_NS6detail17trampoline_kernelINS0_14default_configENS1_22reduce_config_selectorIN6thrust23THRUST_200600_302600_NS5tupleIllNS6_9null_typeES8_S8_S8_S8_S8_S8_S8_EEEEZNS1_11reduce_implILb0ES3_PS9_SC_S9_NS6_11hip_rocprim9__extrema9arg_max_fIllNS6_4lessIlEEEEEE10hipError_tPvRmT1_T2_T3_mT4_P12ihipStream_tbEUlT_E1_NS1_11comp_targetILNS1_3genE0ELNS1_11target_archE4294967295ELNS1_3gpuE0ELNS1_3repE0EEENS1_30default_config_static_selectorELNS0_4arch9wavefront6targetE1EEEvSM_.has_indirect_call, 0
	.section	.AMDGPU.csdata,"",@progbits
; Kernel info:
; codeLenInByte = 0
; TotalNumSgprs: 4
; NumVgprs: 0
; ScratchSize: 0
; MemoryBound: 0
; FloatMode: 240
; IeeeMode: 1
; LDSByteSize: 0 bytes/workgroup (compile time only)
; SGPRBlocks: 0
; VGPRBlocks: 0
; NumSGPRsForWavesPerEU: 4
; NumVGPRsForWavesPerEU: 1
; Occupancy: 10
; WaveLimiterHint : 0
; COMPUTE_PGM_RSRC2:SCRATCH_EN: 0
; COMPUTE_PGM_RSRC2:USER_SGPR: 6
; COMPUTE_PGM_RSRC2:TRAP_HANDLER: 0
; COMPUTE_PGM_RSRC2:TGID_X_EN: 1
; COMPUTE_PGM_RSRC2:TGID_Y_EN: 0
; COMPUTE_PGM_RSRC2:TGID_Z_EN: 0
; COMPUTE_PGM_RSRC2:TIDIG_COMP_CNT: 0
	.section	.text._ZN7rocprim17ROCPRIM_400000_NS6detail17trampoline_kernelINS0_14default_configENS1_22reduce_config_selectorIN6thrust23THRUST_200600_302600_NS5tupleIllNS6_9null_typeES8_S8_S8_S8_S8_S8_S8_EEEEZNS1_11reduce_implILb0ES3_PS9_SC_S9_NS6_11hip_rocprim9__extrema9arg_max_fIllNS6_4lessIlEEEEEE10hipError_tPvRmT1_T2_T3_mT4_P12ihipStream_tbEUlT_E1_NS1_11comp_targetILNS1_3genE5ELNS1_11target_archE942ELNS1_3gpuE9ELNS1_3repE0EEENS1_30default_config_static_selectorELNS0_4arch9wavefront6targetE1EEEvSM_,"axG",@progbits,_ZN7rocprim17ROCPRIM_400000_NS6detail17trampoline_kernelINS0_14default_configENS1_22reduce_config_selectorIN6thrust23THRUST_200600_302600_NS5tupleIllNS6_9null_typeES8_S8_S8_S8_S8_S8_S8_EEEEZNS1_11reduce_implILb0ES3_PS9_SC_S9_NS6_11hip_rocprim9__extrema9arg_max_fIllNS6_4lessIlEEEEEE10hipError_tPvRmT1_T2_T3_mT4_P12ihipStream_tbEUlT_E1_NS1_11comp_targetILNS1_3genE5ELNS1_11target_archE942ELNS1_3gpuE9ELNS1_3repE0EEENS1_30default_config_static_selectorELNS0_4arch9wavefront6targetE1EEEvSM_,comdat
	.protected	_ZN7rocprim17ROCPRIM_400000_NS6detail17trampoline_kernelINS0_14default_configENS1_22reduce_config_selectorIN6thrust23THRUST_200600_302600_NS5tupleIllNS6_9null_typeES8_S8_S8_S8_S8_S8_S8_EEEEZNS1_11reduce_implILb0ES3_PS9_SC_S9_NS6_11hip_rocprim9__extrema9arg_max_fIllNS6_4lessIlEEEEEE10hipError_tPvRmT1_T2_T3_mT4_P12ihipStream_tbEUlT_E1_NS1_11comp_targetILNS1_3genE5ELNS1_11target_archE942ELNS1_3gpuE9ELNS1_3repE0EEENS1_30default_config_static_selectorELNS0_4arch9wavefront6targetE1EEEvSM_ ; -- Begin function _ZN7rocprim17ROCPRIM_400000_NS6detail17trampoline_kernelINS0_14default_configENS1_22reduce_config_selectorIN6thrust23THRUST_200600_302600_NS5tupleIllNS6_9null_typeES8_S8_S8_S8_S8_S8_S8_EEEEZNS1_11reduce_implILb0ES3_PS9_SC_S9_NS6_11hip_rocprim9__extrema9arg_max_fIllNS6_4lessIlEEEEEE10hipError_tPvRmT1_T2_T3_mT4_P12ihipStream_tbEUlT_E1_NS1_11comp_targetILNS1_3genE5ELNS1_11target_archE942ELNS1_3gpuE9ELNS1_3repE0EEENS1_30default_config_static_selectorELNS0_4arch9wavefront6targetE1EEEvSM_
	.globl	_ZN7rocprim17ROCPRIM_400000_NS6detail17trampoline_kernelINS0_14default_configENS1_22reduce_config_selectorIN6thrust23THRUST_200600_302600_NS5tupleIllNS6_9null_typeES8_S8_S8_S8_S8_S8_S8_EEEEZNS1_11reduce_implILb0ES3_PS9_SC_S9_NS6_11hip_rocprim9__extrema9arg_max_fIllNS6_4lessIlEEEEEE10hipError_tPvRmT1_T2_T3_mT4_P12ihipStream_tbEUlT_E1_NS1_11comp_targetILNS1_3genE5ELNS1_11target_archE942ELNS1_3gpuE9ELNS1_3repE0EEENS1_30default_config_static_selectorELNS0_4arch9wavefront6targetE1EEEvSM_
	.p2align	8
	.type	_ZN7rocprim17ROCPRIM_400000_NS6detail17trampoline_kernelINS0_14default_configENS1_22reduce_config_selectorIN6thrust23THRUST_200600_302600_NS5tupleIllNS6_9null_typeES8_S8_S8_S8_S8_S8_S8_EEEEZNS1_11reduce_implILb0ES3_PS9_SC_S9_NS6_11hip_rocprim9__extrema9arg_max_fIllNS6_4lessIlEEEEEE10hipError_tPvRmT1_T2_T3_mT4_P12ihipStream_tbEUlT_E1_NS1_11comp_targetILNS1_3genE5ELNS1_11target_archE942ELNS1_3gpuE9ELNS1_3repE0EEENS1_30default_config_static_selectorELNS0_4arch9wavefront6targetE1EEEvSM_,@function
_ZN7rocprim17ROCPRIM_400000_NS6detail17trampoline_kernelINS0_14default_configENS1_22reduce_config_selectorIN6thrust23THRUST_200600_302600_NS5tupleIllNS6_9null_typeES8_S8_S8_S8_S8_S8_S8_EEEEZNS1_11reduce_implILb0ES3_PS9_SC_S9_NS6_11hip_rocprim9__extrema9arg_max_fIllNS6_4lessIlEEEEEE10hipError_tPvRmT1_T2_T3_mT4_P12ihipStream_tbEUlT_E1_NS1_11comp_targetILNS1_3genE5ELNS1_11target_archE942ELNS1_3gpuE9ELNS1_3repE0EEENS1_30default_config_static_selectorELNS0_4arch9wavefront6targetE1EEEvSM_: ; @_ZN7rocprim17ROCPRIM_400000_NS6detail17trampoline_kernelINS0_14default_configENS1_22reduce_config_selectorIN6thrust23THRUST_200600_302600_NS5tupleIllNS6_9null_typeES8_S8_S8_S8_S8_S8_S8_EEEEZNS1_11reduce_implILb0ES3_PS9_SC_S9_NS6_11hip_rocprim9__extrema9arg_max_fIllNS6_4lessIlEEEEEE10hipError_tPvRmT1_T2_T3_mT4_P12ihipStream_tbEUlT_E1_NS1_11comp_targetILNS1_3genE5ELNS1_11target_archE942ELNS1_3gpuE9ELNS1_3repE0EEENS1_30default_config_static_selectorELNS0_4arch9wavefront6targetE1EEEvSM_
; %bb.0:
	.section	.rodata,"a",@progbits
	.p2align	6, 0x0
	.amdhsa_kernel _ZN7rocprim17ROCPRIM_400000_NS6detail17trampoline_kernelINS0_14default_configENS1_22reduce_config_selectorIN6thrust23THRUST_200600_302600_NS5tupleIllNS6_9null_typeES8_S8_S8_S8_S8_S8_S8_EEEEZNS1_11reduce_implILb0ES3_PS9_SC_S9_NS6_11hip_rocprim9__extrema9arg_max_fIllNS6_4lessIlEEEEEE10hipError_tPvRmT1_T2_T3_mT4_P12ihipStream_tbEUlT_E1_NS1_11comp_targetILNS1_3genE5ELNS1_11target_archE942ELNS1_3gpuE9ELNS1_3repE0EEENS1_30default_config_static_selectorELNS0_4arch9wavefront6targetE1EEEvSM_
		.amdhsa_group_segment_fixed_size 0
		.amdhsa_private_segment_fixed_size 0
		.amdhsa_kernarg_size 56
		.amdhsa_user_sgpr_count 6
		.amdhsa_user_sgpr_private_segment_buffer 1
		.amdhsa_user_sgpr_dispatch_ptr 0
		.amdhsa_user_sgpr_queue_ptr 0
		.amdhsa_user_sgpr_kernarg_segment_ptr 1
		.amdhsa_user_sgpr_dispatch_id 0
		.amdhsa_user_sgpr_flat_scratch_init 0
		.amdhsa_user_sgpr_private_segment_size 0
		.amdhsa_uses_dynamic_stack 0
		.amdhsa_system_sgpr_private_segment_wavefront_offset 0
		.amdhsa_system_sgpr_workgroup_id_x 1
		.amdhsa_system_sgpr_workgroup_id_y 0
		.amdhsa_system_sgpr_workgroup_id_z 0
		.amdhsa_system_sgpr_workgroup_info 0
		.amdhsa_system_vgpr_workitem_id 0
		.amdhsa_next_free_vgpr 1
		.amdhsa_next_free_sgpr 0
		.amdhsa_reserve_vcc 0
		.amdhsa_reserve_flat_scratch 0
		.amdhsa_float_round_mode_32 0
		.amdhsa_float_round_mode_16_64 0
		.amdhsa_float_denorm_mode_32 3
		.amdhsa_float_denorm_mode_16_64 3
		.amdhsa_dx10_clamp 1
		.amdhsa_ieee_mode 1
		.amdhsa_fp16_overflow 0
		.amdhsa_exception_fp_ieee_invalid_op 0
		.amdhsa_exception_fp_denorm_src 0
		.amdhsa_exception_fp_ieee_div_zero 0
		.amdhsa_exception_fp_ieee_overflow 0
		.amdhsa_exception_fp_ieee_underflow 0
		.amdhsa_exception_fp_ieee_inexact 0
		.amdhsa_exception_int_div_zero 0
	.end_amdhsa_kernel
	.section	.text._ZN7rocprim17ROCPRIM_400000_NS6detail17trampoline_kernelINS0_14default_configENS1_22reduce_config_selectorIN6thrust23THRUST_200600_302600_NS5tupleIllNS6_9null_typeES8_S8_S8_S8_S8_S8_S8_EEEEZNS1_11reduce_implILb0ES3_PS9_SC_S9_NS6_11hip_rocprim9__extrema9arg_max_fIllNS6_4lessIlEEEEEE10hipError_tPvRmT1_T2_T3_mT4_P12ihipStream_tbEUlT_E1_NS1_11comp_targetILNS1_3genE5ELNS1_11target_archE942ELNS1_3gpuE9ELNS1_3repE0EEENS1_30default_config_static_selectorELNS0_4arch9wavefront6targetE1EEEvSM_,"axG",@progbits,_ZN7rocprim17ROCPRIM_400000_NS6detail17trampoline_kernelINS0_14default_configENS1_22reduce_config_selectorIN6thrust23THRUST_200600_302600_NS5tupleIllNS6_9null_typeES8_S8_S8_S8_S8_S8_S8_EEEEZNS1_11reduce_implILb0ES3_PS9_SC_S9_NS6_11hip_rocprim9__extrema9arg_max_fIllNS6_4lessIlEEEEEE10hipError_tPvRmT1_T2_T3_mT4_P12ihipStream_tbEUlT_E1_NS1_11comp_targetILNS1_3genE5ELNS1_11target_archE942ELNS1_3gpuE9ELNS1_3repE0EEENS1_30default_config_static_selectorELNS0_4arch9wavefront6targetE1EEEvSM_,comdat
.Lfunc_end413:
	.size	_ZN7rocprim17ROCPRIM_400000_NS6detail17trampoline_kernelINS0_14default_configENS1_22reduce_config_selectorIN6thrust23THRUST_200600_302600_NS5tupleIllNS6_9null_typeES8_S8_S8_S8_S8_S8_S8_EEEEZNS1_11reduce_implILb0ES3_PS9_SC_S9_NS6_11hip_rocprim9__extrema9arg_max_fIllNS6_4lessIlEEEEEE10hipError_tPvRmT1_T2_T3_mT4_P12ihipStream_tbEUlT_E1_NS1_11comp_targetILNS1_3genE5ELNS1_11target_archE942ELNS1_3gpuE9ELNS1_3repE0EEENS1_30default_config_static_selectorELNS0_4arch9wavefront6targetE1EEEvSM_, .Lfunc_end413-_ZN7rocprim17ROCPRIM_400000_NS6detail17trampoline_kernelINS0_14default_configENS1_22reduce_config_selectorIN6thrust23THRUST_200600_302600_NS5tupleIllNS6_9null_typeES8_S8_S8_S8_S8_S8_S8_EEEEZNS1_11reduce_implILb0ES3_PS9_SC_S9_NS6_11hip_rocprim9__extrema9arg_max_fIllNS6_4lessIlEEEEEE10hipError_tPvRmT1_T2_T3_mT4_P12ihipStream_tbEUlT_E1_NS1_11comp_targetILNS1_3genE5ELNS1_11target_archE942ELNS1_3gpuE9ELNS1_3repE0EEENS1_30default_config_static_selectorELNS0_4arch9wavefront6targetE1EEEvSM_
                                        ; -- End function
	.set _ZN7rocprim17ROCPRIM_400000_NS6detail17trampoline_kernelINS0_14default_configENS1_22reduce_config_selectorIN6thrust23THRUST_200600_302600_NS5tupleIllNS6_9null_typeES8_S8_S8_S8_S8_S8_S8_EEEEZNS1_11reduce_implILb0ES3_PS9_SC_S9_NS6_11hip_rocprim9__extrema9arg_max_fIllNS6_4lessIlEEEEEE10hipError_tPvRmT1_T2_T3_mT4_P12ihipStream_tbEUlT_E1_NS1_11comp_targetILNS1_3genE5ELNS1_11target_archE942ELNS1_3gpuE9ELNS1_3repE0EEENS1_30default_config_static_selectorELNS0_4arch9wavefront6targetE1EEEvSM_.num_vgpr, 0
	.set _ZN7rocprim17ROCPRIM_400000_NS6detail17trampoline_kernelINS0_14default_configENS1_22reduce_config_selectorIN6thrust23THRUST_200600_302600_NS5tupleIllNS6_9null_typeES8_S8_S8_S8_S8_S8_S8_EEEEZNS1_11reduce_implILb0ES3_PS9_SC_S9_NS6_11hip_rocprim9__extrema9arg_max_fIllNS6_4lessIlEEEEEE10hipError_tPvRmT1_T2_T3_mT4_P12ihipStream_tbEUlT_E1_NS1_11comp_targetILNS1_3genE5ELNS1_11target_archE942ELNS1_3gpuE9ELNS1_3repE0EEENS1_30default_config_static_selectorELNS0_4arch9wavefront6targetE1EEEvSM_.num_agpr, 0
	.set _ZN7rocprim17ROCPRIM_400000_NS6detail17trampoline_kernelINS0_14default_configENS1_22reduce_config_selectorIN6thrust23THRUST_200600_302600_NS5tupleIllNS6_9null_typeES8_S8_S8_S8_S8_S8_S8_EEEEZNS1_11reduce_implILb0ES3_PS9_SC_S9_NS6_11hip_rocprim9__extrema9arg_max_fIllNS6_4lessIlEEEEEE10hipError_tPvRmT1_T2_T3_mT4_P12ihipStream_tbEUlT_E1_NS1_11comp_targetILNS1_3genE5ELNS1_11target_archE942ELNS1_3gpuE9ELNS1_3repE0EEENS1_30default_config_static_selectorELNS0_4arch9wavefront6targetE1EEEvSM_.numbered_sgpr, 0
	.set _ZN7rocprim17ROCPRIM_400000_NS6detail17trampoline_kernelINS0_14default_configENS1_22reduce_config_selectorIN6thrust23THRUST_200600_302600_NS5tupleIllNS6_9null_typeES8_S8_S8_S8_S8_S8_S8_EEEEZNS1_11reduce_implILb0ES3_PS9_SC_S9_NS6_11hip_rocprim9__extrema9arg_max_fIllNS6_4lessIlEEEEEE10hipError_tPvRmT1_T2_T3_mT4_P12ihipStream_tbEUlT_E1_NS1_11comp_targetILNS1_3genE5ELNS1_11target_archE942ELNS1_3gpuE9ELNS1_3repE0EEENS1_30default_config_static_selectorELNS0_4arch9wavefront6targetE1EEEvSM_.num_named_barrier, 0
	.set _ZN7rocprim17ROCPRIM_400000_NS6detail17trampoline_kernelINS0_14default_configENS1_22reduce_config_selectorIN6thrust23THRUST_200600_302600_NS5tupleIllNS6_9null_typeES8_S8_S8_S8_S8_S8_S8_EEEEZNS1_11reduce_implILb0ES3_PS9_SC_S9_NS6_11hip_rocprim9__extrema9arg_max_fIllNS6_4lessIlEEEEEE10hipError_tPvRmT1_T2_T3_mT4_P12ihipStream_tbEUlT_E1_NS1_11comp_targetILNS1_3genE5ELNS1_11target_archE942ELNS1_3gpuE9ELNS1_3repE0EEENS1_30default_config_static_selectorELNS0_4arch9wavefront6targetE1EEEvSM_.private_seg_size, 0
	.set _ZN7rocprim17ROCPRIM_400000_NS6detail17trampoline_kernelINS0_14default_configENS1_22reduce_config_selectorIN6thrust23THRUST_200600_302600_NS5tupleIllNS6_9null_typeES8_S8_S8_S8_S8_S8_S8_EEEEZNS1_11reduce_implILb0ES3_PS9_SC_S9_NS6_11hip_rocprim9__extrema9arg_max_fIllNS6_4lessIlEEEEEE10hipError_tPvRmT1_T2_T3_mT4_P12ihipStream_tbEUlT_E1_NS1_11comp_targetILNS1_3genE5ELNS1_11target_archE942ELNS1_3gpuE9ELNS1_3repE0EEENS1_30default_config_static_selectorELNS0_4arch9wavefront6targetE1EEEvSM_.uses_vcc, 0
	.set _ZN7rocprim17ROCPRIM_400000_NS6detail17trampoline_kernelINS0_14default_configENS1_22reduce_config_selectorIN6thrust23THRUST_200600_302600_NS5tupleIllNS6_9null_typeES8_S8_S8_S8_S8_S8_S8_EEEEZNS1_11reduce_implILb0ES3_PS9_SC_S9_NS6_11hip_rocprim9__extrema9arg_max_fIllNS6_4lessIlEEEEEE10hipError_tPvRmT1_T2_T3_mT4_P12ihipStream_tbEUlT_E1_NS1_11comp_targetILNS1_3genE5ELNS1_11target_archE942ELNS1_3gpuE9ELNS1_3repE0EEENS1_30default_config_static_selectorELNS0_4arch9wavefront6targetE1EEEvSM_.uses_flat_scratch, 0
	.set _ZN7rocprim17ROCPRIM_400000_NS6detail17trampoline_kernelINS0_14default_configENS1_22reduce_config_selectorIN6thrust23THRUST_200600_302600_NS5tupleIllNS6_9null_typeES8_S8_S8_S8_S8_S8_S8_EEEEZNS1_11reduce_implILb0ES3_PS9_SC_S9_NS6_11hip_rocprim9__extrema9arg_max_fIllNS6_4lessIlEEEEEE10hipError_tPvRmT1_T2_T3_mT4_P12ihipStream_tbEUlT_E1_NS1_11comp_targetILNS1_3genE5ELNS1_11target_archE942ELNS1_3gpuE9ELNS1_3repE0EEENS1_30default_config_static_selectorELNS0_4arch9wavefront6targetE1EEEvSM_.has_dyn_sized_stack, 0
	.set _ZN7rocprim17ROCPRIM_400000_NS6detail17trampoline_kernelINS0_14default_configENS1_22reduce_config_selectorIN6thrust23THRUST_200600_302600_NS5tupleIllNS6_9null_typeES8_S8_S8_S8_S8_S8_S8_EEEEZNS1_11reduce_implILb0ES3_PS9_SC_S9_NS6_11hip_rocprim9__extrema9arg_max_fIllNS6_4lessIlEEEEEE10hipError_tPvRmT1_T2_T3_mT4_P12ihipStream_tbEUlT_E1_NS1_11comp_targetILNS1_3genE5ELNS1_11target_archE942ELNS1_3gpuE9ELNS1_3repE0EEENS1_30default_config_static_selectorELNS0_4arch9wavefront6targetE1EEEvSM_.has_recursion, 0
	.set _ZN7rocprim17ROCPRIM_400000_NS6detail17trampoline_kernelINS0_14default_configENS1_22reduce_config_selectorIN6thrust23THRUST_200600_302600_NS5tupleIllNS6_9null_typeES8_S8_S8_S8_S8_S8_S8_EEEEZNS1_11reduce_implILb0ES3_PS9_SC_S9_NS6_11hip_rocprim9__extrema9arg_max_fIllNS6_4lessIlEEEEEE10hipError_tPvRmT1_T2_T3_mT4_P12ihipStream_tbEUlT_E1_NS1_11comp_targetILNS1_3genE5ELNS1_11target_archE942ELNS1_3gpuE9ELNS1_3repE0EEENS1_30default_config_static_selectorELNS0_4arch9wavefront6targetE1EEEvSM_.has_indirect_call, 0
	.section	.AMDGPU.csdata,"",@progbits
; Kernel info:
; codeLenInByte = 0
; TotalNumSgprs: 4
; NumVgprs: 0
; ScratchSize: 0
; MemoryBound: 0
; FloatMode: 240
; IeeeMode: 1
; LDSByteSize: 0 bytes/workgroup (compile time only)
; SGPRBlocks: 0
; VGPRBlocks: 0
; NumSGPRsForWavesPerEU: 4
; NumVGPRsForWavesPerEU: 1
; Occupancy: 10
; WaveLimiterHint : 0
; COMPUTE_PGM_RSRC2:SCRATCH_EN: 0
; COMPUTE_PGM_RSRC2:USER_SGPR: 6
; COMPUTE_PGM_RSRC2:TRAP_HANDLER: 0
; COMPUTE_PGM_RSRC2:TGID_X_EN: 1
; COMPUTE_PGM_RSRC2:TGID_Y_EN: 0
; COMPUTE_PGM_RSRC2:TGID_Z_EN: 0
; COMPUTE_PGM_RSRC2:TIDIG_COMP_CNT: 0
	.section	.text._ZN7rocprim17ROCPRIM_400000_NS6detail17trampoline_kernelINS0_14default_configENS1_22reduce_config_selectorIN6thrust23THRUST_200600_302600_NS5tupleIllNS6_9null_typeES8_S8_S8_S8_S8_S8_S8_EEEEZNS1_11reduce_implILb0ES3_PS9_SC_S9_NS6_11hip_rocprim9__extrema9arg_max_fIllNS6_4lessIlEEEEEE10hipError_tPvRmT1_T2_T3_mT4_P12ihipStream_tbEUlT_E1_NS1_11comp_targetILNS1_3genE4ELNS1_11target_archE910ELNS1_3gpuE8ELNS1_3repE0EEENS1_30default_config_static_selectorELNS0_4arch9wavefront6targetE1EEEvSM_,"axG",@progbits,_ZN7rocprim17ROCPRIM_400000_NS6detail17trampoline_kernelINS0_14default_configENS1_22reduce_config_selectorIN6thrust23THRUST_200600_302600_NS5tupleIllNS6_9null_typeES8_S8_S8_S8_S8_S8_S8_EEEEZNS1_11reduce_implILb0ES3_PS9_SC_S9_NS6_11hip_rocprim9__extrema9arg_max_fIllNS6_4lessIlEEEEEE10hipError_tPvRmT1_T2_T3_mT4_P12ihipStream_tbEUlT_E1_NS1_11comp_targetILNS1_3genE4ELNS1_11target_archE910ELNS1_3gpuE8ELNS1_3repE0EEENS1_30default_config_static_selectorELNS0_4arch9wavefront6targetE1EEEvSM_,comdat
	.protected	_ZN7rocprim17ROCPRIM_400000_NS6detail17trampoline_kernelINS0_14default_configENS1_22reduce_config_selectorIN6thrust23THRUST_200600_302600_NS5tupleIllNS6_9null_typeES8_S8_S8_S8_S8_S8_S8_EEEEZNS1_11reduce_implILb0ES3_PS9_SC_S9_NS6_11hip_rocprim9__extrema9arg_max_fIllNS6_4lessIlEEEEEE10hipError_tPvRmT1_T2_T3_mT4_P12ihipStream_tbEUlT_E1_NS1_11comp_targetILNS1_3genE4ELNS1_11target_archE910ELNS1_3gpuE8ELNS1_3repE0EEENS1_30default_config_static_selectorELNS0_4arch9wavefront6targetE1EEEvSM_ ; -- Begin function _ZN7rocprim17ROCPRIM_400000_NS6detail17trampoline_kernelINS0_14default_configENS1_22reduce_config_selectorIN6thrust23THRUST_200600_302600_NS5tupleIllNS6_9null_typeES8_S8_S8_S8_S8_S8_S8_EEEEZNS1_11reduce_implILb0ES3_PS9_SC_S9_NS6_11hip_rocprim9__extrema9arg_max_fIllNS6_4lessIlEEEEEE10hipError_tPvRmT1_T2_T3_mT4_P12ihipStream_tbEUlT_E1_NS1_11comp_targetILNS1_3genE4ELNS1_11target_archE910ELNS1_3gpuE8ELNS1_3repE0EEENS1_30default_config_static_selectorELNS0_4arch9wavefront6targetE1EEEvSM_
	.globl	_ZN7rocprim17ROCPRIM_400000_NS6detail17trampoline_kernelINS0_14default_configENS1_22reduce_config_selectorIN6thrust23THRUST_200600_302600_NS5tupleIllNS6_9null_typeES8_S8_S8_S8_S8_S8_S8_EEEEZNS1_11reduce_implILb0ES3_PS9_SC_S9_NS6_11hip_rocprim9__extrema9arg_max_fIllNS6_4lessIlEEEEEE10hipError_tPvRmT1_T2_T3_mT4_P12ihipStream_tbEUlT_E1_NS1_11comp_targetILNS1_3genE4ELNS1_11target_archE910ELNS1_3gpuE8ELNS1_3repE0EEENS1_30default_config_static_selectorELNS0_4arch9wavefront6targetE1EEEvSM_
	.p2align	8
	.type	_ZN7rocprim17ROCPRIM_400000_NS6detail17trampoline_kernelINS0_14default_configENS1_22reduce_config_selectorIN6thrust23THRUST_200600_302600_NS5tupleIllNS6_9null_typeES8_S8_S8_S8_S8_S8_S8_EEEEZNS1_11reduce_implILb0ES3_PS9_SC_S9_NS6_11hip_rocprim9__extrema9arg_max_fIllNS6_4lessIlEEEEEE10hipError_tPvRmT1_T2_T3_mT4_P12ihipStream_tbEUlT_E1_NS1_11comp_targetILNS1_3genE4ELNS1_11target_archE910ELNS1_3gpuE8ELNS1_3repE0EEENS1_30default_config_static_selectorELNS0_4arch9wavefront6targetE1EEEvSM_,@function
_ZN7rocprim17ROCPRIM_400000_NS6detail17trampoline_kernelINS0_14default_configENS1_22reduce_config_selectorIN6thrust23THRUST_200600_302600_NS5tupleIllNS6_9null_typeES8_S8_S8_S8_S8_S8_S8_EEEEZNS1_11reduce_implILb0ES3_PS9_SC_S9_NS6_11hip_rocprim9__extrema9arg_max_fIllNS6_4lessIlEEEEEE10hipError_tPvRmT1_T2_T3_mT4_P12ihipStream_tbEUlT_E1_NS1_11comp_targetILNS1_3genE4ELNS1_11target_archE910ELNS1_3gpuE8ELNS1_3repE0EEENS1_30default_config_static_selectorELNS0_4arch9wavefront6targetE1EEEvSM_: ; @_ZN7rocprim17ROCPRIM_400000_NS6detail17trampoline_kernelINS0_14default_configENS1_22reduce_config_selectorIN6thrust23THRUST_200600_302600_NS5tupleIllNS6_9null_typeES8_S8_S8_S8_S8_S8_S8_EEEEZNS1_11reduce_implILb0ES3_PS9_SC_S9_NS6_11hip_rocprim9__extrema9arg_max_fIllNS6_4lessIlEEEEEE10hipError_tPvRmT1_T2_T3_mT4_P12ihipStream_tbEUlT_E1_NS1_11comp_targetILNS1_3genE4ELNS1_11target_archE910ELNS1_3gpuE8ELNS1_3repE0EEENS1_30default_config_static_selectorELNS0_4arch9wavefront6targetE1EEEvSM_
; %bb.0:
	.section	.rodata,"a",@progbits
	.p2align	6, 0x0
	.amdhsa_kernel _ZN7rocprim17ROCPRIM_400000_NS6detail17trampoline_kernelINS0_14default_configENS1_22reduce_config_selectorIN6thrust23THRUST_200600_302600_NS5tupleIllNS6_9null_typeES8_S8_S8_S8_S8_S8_S8_EEEEZNS1_11reduce_implILb0ES3_PS9_SC_S9_NS6_11hip_rocprim9__extrema9arg_max_fIllNS6_4lessIlEEEEEE10hipError_tPvRmT1_T2_T3_mT4_P12ihipStream_tbEUlT_E1_NS1_11comp_targetILNS1_3genE4ELNS1_11target_archE910ELNS1_3gpuE8ELNS1_3repE0EEENS1_30default_config_static_selectorELNS0_4arch9wavefront6targetE1EEEvSM_
		.amdhsa_group_segment_fixed_size 0
		.amdhsa_private_segment_fixed_size 0
		.amdhsa_kernarg_size 56
		.amdhsa_user_sgpr_count 6
		.amdhsa_user_sgpr_private_segment_buffer 1
		.amdhsa_user_sgpr_dispatch_ptr 0
		.amdhsa_user_sgpr_queue_ptr 0
		.amdhsa_user_sgpr_kernarg_segment_ptr 1
		.amdhsa_user_sgpr_dispatch_id 0
		.amdhsa_user_sgpr_flat_scratch_init 0
		.amdhsa_user_sgpr_private_segment_size 0
		.amdhsa_uses_dynamic_stack 0
		.amdhsa_system_sgpr_private_segment_wavefront_offset 0
		.amdhsa_system_sgpr_workgroup_id_x 1
		.amdhsa_system_sgpr_workgroup_id_y 0
		.amdhsa_system_sgpr_workgroup_id_z 0
		.amdhsa_system_sgpr_workgroup_info 0
		.amdhsa_system_vgpr_workitem_id 0
		.amdhsa_next_free_vgpr 1
		.amdhsa_next_free_sgpr 0
		.amdhsa_reserve_vcc 0
		.amdhsa_reserve_flat_scratch 0
		.amdhsa_float_round_mode_32 0
		.amdhsa_float_round_mode_16_64 0
		.amdhsa_float_denorm_mode_32 3
		.amdhsa_float_denorm_mode_16_64 3
		.amdhsa_dx10_clamp 1
		.amdhsa_ieee_mode 1
		.amdhsa_fp16_overflow 0
		.amdhsa_exception_fp_ieee_invalid_op 0
		.amdhsa_exception_fp_denorm_src 0
		.amdhsa_exception_fp_ieee_div_zero 0
		.amdhsa_exception_fp_ieee_overflow 0
		.amdhsa_exception_fp_ieee_underflow 0
		.amdhsa_exception_fp_ieee_inexact 0
		.amdhsa_exception_int_div_zero 0
	.end_amdhsa_kernel
	.section	.text._ZN7rocprim17ROCPRIM_400000_NS6detail17trampoline_kernelINS0_14default_configENS1_22reduce_config_selectorIN6thrust23THRUST_200600_302600_NS5tupleIllNS6_9null_typeES8_S8_S8_S8_S8_S8_S8_EEEEZNS1_11reduce_implILb0ES3_PS9_SC_S9_NS6_11hip_rocprim9__extrema9arg_max_fIllNS6_4lessIlEEEEEE10hipError_tPvRmT1_T2_T3_mT4_P12ihipStream_tbEUlT_E1_NS1_11comp_targetILNS1_3genE4ELNS1_11target_archE910ELNS1_3gpuE8ELNS1_3repE0EEENS1_30default_config_static_selectorELNS0_4arch9wavefront6targetE1EEEvSM_,"axG",@progbits,_ZN7rocprim17ROCPRIM_400000_NS6detail17trampoline_kernelINS0_14default_configENS1_22reduce_config_selectorIN6thrust23THRUST_200600_302600_NS5tupleIllNS6_9null_typeES8_S8_S8_S8_S8_S8_S8_EEEEZNS1_11reduce_implILb0ES3_PS9_SC_S9_NS6_11hip_rocprim9__extrema9arg_max_fIllNS6_4lessIlEEEEEE10hipError_tPvRmT1_T2_T3_mT4_P12ihipStream_tbEUlT_E1_NS1_11comp_targetILNS1_3genE4ELNS1_11target_archE910ELNS1_3gpuE8ELNS1_3repE0EEENS1_30default_config_static_selectorELNS0_4arch9wavefront6targetE1EEEvSM_,comdat
.Lfunc_end414:
	.size	_ZN7rocprim17ROCPRIM_400000_NS6detail17trampoline_kernelINS0_14default_configENS1_22reduce_config_selectorIN6thrust23THRUST_200600_302600_NS5tupleIllNS6_9null_typeES8_S8_S8_S8_S8_S8_S8_EEEEZNS1_11reduce_implILb0ES3_PS9_SC_S9_NS6_11hip_rocprim9__extrema9arg_max_fIllNS6_4lessIlEEEEEE10hipError_tPvRmT1_T2_T3_mT4_P12ihipStream_tbEUlT_E1_NS1_11comp_targetILNS1_3genE4ELNS1_11target_archE910ELNS1_3gpuE8ELNS1_3repE0EEENS1_30default_config_static_selectorELNS0_4arch9wavefront6targetE1EEEvSM_, .Lfunc_end414-_ZN7rocprim17ROCPRIM_400000_NS6detail17trampoline_kernelINS0_14default_configENS1_22reduce_config_selectorIN6thrust23THRUST_200600_302600_NS5tupleIllNS6_9null_typeES8_S8_S8_S8_S8_S8_S8_EEEEZNS1_11reduce_implILb0ES3_PS9_SC_S9_NS6_11hip_rocprim9__extrema9arg_max_fIllNS6_4lessIlEEEEEE10hipError_tPvRmT1_T2_T3_mT4_P12ihipStream_tbEUlT_E1_NS1_11comp_targetILNS1_3genE4ELNS1_11target_archE910ELNS1_3gpuE8ELNS1_3repE0EEENS1_30default_config_static_selectorELNS0_4arch9wavefront6targetE1EEEvSM_
                                        ; -- End function
	.set _ZN7rocprim17ROCPRIM_400000_NS6detail17trampoline_kernelINS0_14default_configENS1_22reduce_config_selectorIN6thrust23THRUST_200600_302600_NS5tupleIllNS6_9null_typeES8_S8_S8_S8_S8_S8_S8_EEEEZNS1_11reduce_implILb0ES3_PS9_SC_S9_NS6_11hip_rocprim9__extrema9arg_max_fIllNS6_4lessIlEEEEEE10hipError_tPvRmT1_T2_T3_mT4_P12ihipStream_tbEUlT_E1_NS1_11comp_targetILNS1_3genE4ELNS1_11target_archE910ELNS1_3gpuE8ELNS1_3repE0EEENS1_30default_config_static_selectorELNS0_4arch9wavefront6targetE1EEEvSM_.num_vgpr, 0
	.set _ZN7rocprim17ROCPRIM_400000_NS6detail17trampoline_kernelINS0_14default_configENS1_22reduce_config_selectorIN6thrust23THRUST_200600_302600_NS5tupleIllNS6_9null_typeES8_S8_S8_S8_S8_S8_S8_EEEEZNS1_11reduce_implILb0ES3_PS9_SC_S9_NS6_11hip_rocprim9__extrema9arg_max_fIllNS6_4lessIlEEEEEE10hipError_tPvRmT1_T2_T3_mT4_P12ihipStream_tbEUlT_E1_NS1_11comp_targetILNS1_3genE4ELNS1_11target_archE910ELNS1_3gpuE8ELNS1_3repE0EEENS1_30default_config_static_selectorELNS0_4arch9wavefront6targetE1EEEvSM_.num_agpr, 0
	.set _ZN7rocprim17ROCPRIM_400000_NS6detail17trampoline_kernelINS0_14default_configENS1_22reduce_config_selectorIN6thrust23THRUST_200600_302600_NS5tupleIllNS6_9null_typeES8_S8_S8_S8_S8_S8_S8_EEEEZNS1_11reduce_implILb0ES3_PS9_SC_S9_NS6_11hip_rocprim9__extrema9arg_max_fIllNS6_4lessIlEEEEEE10hipError_tPvRmT1_T2_T3_mT4_P12ihipStream_tbEUlT_E1_NS1_11comp_targetILNS1_3genE4ELNS1_11target_archE910ELNS1_3gpuE8ELNS1_3repE0EEENS1_30default_config_static_selectorELNS0_4arch9wavefront6targetE1EEEvSM_.numbered_sgpr, 0
	.set _ZN7rocprim17ROCPRIM_400000_NS6detail17trampoline_kernelINS0_14default_configENS1_22reduce_config_selectorIN6thrust23THRUST_200600_302600_NS5tupleIllNS6_9null_typeES8_S8_S8_S8_S8_S8_S8_EEEEZNS1_11reduce_implILb0ES3_PS9_SC_S9_NS6_11hip_rocprim9__extrema9arg_max_fIllNS6_4lessIlEEEEEE10hipError_tPvRmT1_T2_T3_mT4_P12ihipStream_tbEUlT_E1_NS1_11comp_targetILNS1_3genE4ELNS1_11target_archE910ELNS1_3gpuE8ELNS1_3repE0EEENS1_30default_config_static_selectorELNS0_4arch9wavefront6targetE1EEEvSM_.num_named_barrier, 0
	.set _ZN7rocprim17ROCPRIM_400000_NS6detail17trampoline_kernelINS0_14default_configENS1_22reduce_config_selectorIN6thrust23THRUST_200600_302600_NS5tupleIllNS6_9null_typeES8_S8_S8_S8_S8_S8_S8_EEEEZNS1_11reduce_implILb0ES3_PS9_SC_S9_NS6_11hip_rocprim9__extrema9arg_max_fIllNS6_4lessIlEEEEEE10hipError_tPvRmT1_T2_T3_mT4_P12ihipStream_tbEUlT_E1_NS1_11comp_targetILNS1_3genE4ELNS1_11target_archE910ELNS1_3gpuE8ELNS1_3repE0EEENS1_30default_config_static_selectorELNS0_4arch9wavefront6targetE1EEEvSM_.private_seg_size, 0
	.set _ZN7rocprim17ROCPRIM_400000_NS6detail17trampoline_kernelINS0_14default_configENS1_22reduce_config_selectorIN6thrust23THRUST_200600_302600_NS5tupleIllNS6_9null_typeES8_S8_S8_S8_S8_S8_S8_EEEEZNS1_11reduce_implILb0ES3_PS9_SC_S9_NS6_11hip_rocprim9__extrema9arg_max_fIllNS6_4lessIlEEEEEE10hipError_tPvRmT1_T2_T3_mT4_P12ihipStream_tbEUlT_E1_NS1_11comp_targetILNS1_3genE4ELNS1_11target_archE910ELNS1_3gpuE8ELNS1_3repE0EEENS1_30default_config_static_selectorELNS0_4arch9wavefront6targetE1EEEvSM_.uses_vcc, 0
	.set _ZN7rocprim17ROCPRIM_400000_NS6detail17trampoline_kernelINS0_14default_configENS1_22reduce_config_selectorIN6thrust23THRUST_200600_302600_NS5tupleIllNS6_9null_typeES8_S8_S8_S8_S8_S8_S8_EEEEZNS1_11reduce_implILb0ES3_PS9_SC_S9_NS6_11hip_rocprim9__extrema9arg_max_fIllNS6_4lessIlEEEEEE10hipError_tPvRmT1_T2_T3_mT4_P12ihipStream_tbEUlT_E1_NS1_11comp_targetILNS1_3genE4ELNS1_11target_archE910ELNS1_3gpuE8ELNS1_3repE0EEENS1_30default_config_static_selectorELNS0_4arch9wavefront6targetE1EEEvSM_.uses_flat_scratch, 0
	.set _ZN7rocprim17ROCPRIM_400000_NS6detail17trampoline_kernelINS0_14default_configENS1_22reduce_config_selectorIN6thrust23THRUST_200600_302600_NS5tupleIllNS6_9null_typeES8_S8_S8_S8_S8_S8_S8_EEEEZNS1_11reduce_implILb0ES3_PS9_SC_S9_NS6_11hip_rocprim9__extrema9arg_max_fIllNS6_4lessIlEEEEEE10hipError_tPvRmT1_T2_T3_mT4_P12ihipStream_tbEUlT_E1_NS1_11comp_targetILNS1_3genE4ELNS1_11target_archE910ELNS1_3gpuE8ELNS1_3repE0EEENS1_30default_config_static_selectorELNS0_4arch9wavefront6targetE1EEEvSM_.has_dyn_sized_stack, 0
	.set _ZN7rocprim17ROCPRIM_400000_NS6detail17trampoline_kernelINS0_14default_configENS1_22reduce_config_selectorIN6thrust23THRUST_200600_302600_NS5tupleIllNS6_9null_typeES8_S8_S8_S8_S8_S8_S8_EEEEZNS1_11reduce_implILb0ES3_PS9_SC_S9_NS6_11hip_rocprim9__extrema9arg_max_fIllNS6_4lessIlEEEEEE10hipError_tPvRmT1_T2_T3_mT4_P12ihipStream_tbEUlT_E1_NS1_11comp_targetILNS1_3genE4ELNS1_11target_archE910ELNS1_3gpuE8ELNS1_3repE0EEENS1_30default_config_static_selectorELNS0_4arch9wavefront6targetE1EEEvSM_.has_recursion, 0
	.set _ZN7rocprim17ROCPRIM_400000_NS6detail17trampoline_kernelINS0_14default_configENS1_22reduce_config_selectorIN6thrust23THRUST_200600_302600_NS5tupleIllNS6_9null_typeES8_S8_S8_S8_S8_S8_S8_EEEEZNS1_11reduce_implILb0ES3_PS9_SC_S9_NS6_11hip_rocprim9__extrema9arg_max_fIllNS6_4lessIlEEEEEE10hipError_tPvRmT1_T2_T3_mT4_P12ihipStream_tbEUlT_E1_NS1_11comp_targetILNS1_3genE4ELNS1_11target_archE910ELNS1_3gpuE8ELNS1_3repE0EEENS1_30default_config_static_selectorELNS0_4arch9wavefront6targetE1EEEvSM_.has_indirect_call, 0
	.section	.AMDGPU.csdata,"",@progbits
; Kernel info:
; codeLenInByte = 0
; TotalNumSgprs: 4
; NumVgprs: 0
; ScratchSize: 0
; MemoryBound: 0
; FloatMode: 240
; IeeeMode: 1
; LDSByteSize: 0 bytes/workgroup (compile time only)
; SGPRBlocks: 0
; VGPRBlocks: 0
; NumSGPRsForWavesPerEU: 4
; NumVGPRsForWavesPerEU: 1
; Occupancy: 10
; WaveLimiterHint : 0
; COMPUTE_PGM_RSRC2:SCRATCH_EN: 0
; COMPUTE_PGM_RSRC2:USER_SGPR: 6
; COMPUTE_PGM_RSRC2:TRAP_HANDLER: 0
; COMPUTE_PGM_RSRC2:TGID_X_EN: 1
; COMPUTE_PGM_RSRC2:TGID_Y_EN: 0
; COMPUTE_PGM_RSRC2:TGID_Z_EN: 0
; COMPUTE_PGM_RSRC2:TIDIG_COMP_CNT: 0
	.section	.text._ZN7rocprim17ROCPRIM_400000_NS6detail17trampoline_kernelINS0_14default_configENS1_22reduce_config_selectorIN6thrust23THRUST_200600_302600_NS5tupleIllNS6_9null_typeES8_S8_S8_S8_S8_S8_S8_EEEEZNS1_11reduce_implILb0ES3_PS9_SC_S9_NS6_11hip_rocprim9__extrema9arg_max_fIllNS6_4lessIlEEEEEE10hipError_tPvRmT1_T2_T3_mT4_P12ihipStream_tbEUlT_E1_NS1_11comp_targetILNS1_3genE3ELNS1_11target_archE908ELNS1_3gpuE7ELNS1_3repE0EEENS1_30default_config_static_selectorELNS0_4arch9wavefront6targetE1EEEvSM_,"axG",@progbits,_ZN7rocprim17ROCPRIM_400000_NS6detail17trampoline_kernelINS0_14default_configENS1_22reduce_config_selectorIN6thrust23THRUST_200600_302600_NS5tupleIllNS6_9null_typeES8_S8_S8_S8_S8_S8_S8_EEEEZNS1_11reduce_implILb0ES3_PS9_SC_S9_NS6_11hip_rocprim9__extrema9arg_max_fIllNS6_4lessIlEEEEEE10hipError_tPvRmT1_T2_T3_mT4_P12ihipStream_tbEUlT_E1_NS1_11comp_targetILNS1_3genE3ELNS1_11target_archE908ELNS1_3gpuE7ELNS1_3repE0EEENS1_30default_config_static_selectorELNS0_4arch9wavefront6targetE1EEEvSM_,comdat
	.protected	_ZN7rocprim17ROCPRIM_400000_NS6detail17trampoline_kernelINS0_14default_configENS1_22reduce_config_selectorIN6thrust23THRUST_200600_302600_NS5tupleIllNS6_9null_typeES8_S8_S8_S8_S8_S8_S8_EEEEZNS1_11reduce_implILb0ES3_PS9_SC_S9_NS6_11hip_rocprim9__extrema9arg_max_fIllNS6_4lessIlEEEEEE10hipError_tPvRmT1_T2_T3_mT4_P12ihipStream_tbEUlT_E1_NS1_11comp_targetILNS1_3genE3ELNS1_11target_archE908ELNS1_3gpuE7ELNS1_3repE0EEENS1_30default_config_static_selectorELNS0_4arch9wavefront6targetE1EEEvSM_ ; -- Begin function _ZN7rocprim17ROCPRIM_400000_NS6detail17trampoline_kernelINS0_14default_configENS1_22reduce_config_selectorIN6thrust23THRUST_200600_302600_NS5tupleIllNS6_9null_typeES8_S8_S8_S8_S8_S8_S8_EEEEZNS1_11reduce_implILb0ES3_PS9_SC_S9_NS6_11hip_rocprim9__extrema9arg_max_fIllNS6_4lessIlEEEEEE10hipError_tPvRmT1_T2_T3_mT4_P12ihipStream_tbEUlT_E1_NS1_11comp_targetILNS1_3genE3ELNS1_11target_archE908ELNS1_3gpuE7ELNS1_3repE0EEENS1_30default_config_static_selectorELNS0_4arch9wavefront6targetE1EEEvSM_
	.globl	_ZN7rocprim17ROCPRIM_400000_NS6detail17trampoline_kernelINS0_14default_configENS1_22reduce_config_selectorIN6thrust23THRUST_200600_302600_NS5tupleIllNS6_9null_typeES8_S8_S8_S8_S8_S8_S8_EEEEZNS1_11reduce_implILb0ES3_PS9_SC_S9_NS6_11hip_rocprim9__extrema9arg_max_fIllNS6_4lessIlEEEEEE10hipError_tPvRmT1_T2_T3_mT4_P12ihipStream_tbEUlT_E1_NS1_11comp_targetILNS1_3genE3ELNS1_11target_archE908ELNS1_3gpuE7ELNS1_3repE0EEENS1_30default_config_static_selectorELNS0_4arch9wavefront6targetE1EEEvSM_
	.p2align	8
	.type	_ZN7rocprim17ROCPRIM_400000_NS6detail17trampoline_kernelINS0_14default_configENS1_22reduce_config_selectorIN6thrust23THRUST_200600_302600_NS5tupleIllNS6_9null_typeES8_S8_S8_S8_S8_S8_S8_EEEEZNS1_11reduce_implILb0ES3_PS9_SC_S9_NS6_11hip_rocprim9__extrema9arg_max_fIllNS6_4lessIlEEEEEE10hipError_tPvRmT1_T2_T3_mT4_P12ihipStream_tbEUlT_E1_NS1_11comp_targetILNS1_3genE3ELNS1_11target_archE908ELNS1_3gpuE7ELNS1_3repE0EEENS1_30default_config_static_selectorELNS0_4arch9wavefront6targetE1EEEvSM_,@function
_ZN7rocprim17ROCPRIM_400000_NS6detail17trampoline_kernelINS0_14default_configENS1_22reduce_config_selectorIN6thrust23THRUST_200600_302600_NS5tupleIllNS6_9null_typeES8_S8_S8_S8_S8_S8_S8_EEEEZNS1_11reduce_implILb0ES3_PS9_SC_S9_NS6_11hip_rocprim9__extrema9arg_max_fIllNS6_4lessIlEEEEEE10hipError_tPvRmT1_T2_T3_mT4_P12ihipStream_tbEUlT_E1_NS1_11comp_targetILNS1_3genE3ELNS1_11target_archE908ELNS1_3gpuE7ELNS1_3repE0EEENS1_30default_config_static_selectorELNS0_4arch9wavefront6targetE1EEEvSM_: ; @_ZN7rocprim17ROCPRIM_400000_NS6detail17trampoline_kernelINS0_14default_configENS1_22reduce_config_selectorIN6thrust23THRUST_200600_302600_NS5tupleIllNS6_9null_typeES8_S8_S8_S8_S8_S8_S8_EEEEZNS1_11reduce_implILb0ES3_PS9_SC_S9_NS6_11hip_rocprim9__extrema9arg_max_fIllNS6_4lessIlEEEEEE10hipError_tPvRmT1_T2_T3_mT4_P12ihipStream_tbEUlT_E1_NS1_11comp_targetILNS1_3genE3ELNS1_11target_archE908ELNS1_3gpuE7ELNS1_3repE0EEENS1_30default_config_static_selectorELNS0_4arch9wavefront6targetE1EEEvSM_
; %bb.0:
	.section	.rodata,"a",@progbits
	.p2align	6, 0x0
	.amdhsa_kernel _ZN7rocprim17ROCPRIM_400000_NS6detail17trampoline_kernelINS0_14default_configENS1_22reduce_config_selectorIN6thrust23THRUST_200600_302600_NS5tupleIllNS6_9null_typeES8_S8_S8_S8_S8_S8_S8_EEEEZNS1_11reduce_implILb0ES3_PS9_SC_S9_NS6_11hip_rocprim9__extrema9arg_max_fIllNS6_4lessIlEEEEEE10hipError_tPvRmT1_T2_T3_mT4_P12ihipStream_tbEUlT_E1_NS1_11comp_targetILNS1_3genE3ELNS1_11target_archE908ELNS1_3gpuE7ELNS1_3repE0EEENS1_30default_config_static_selectorELNS0_4arch9wavefront6targetE1EEEvSM_
		.amdhsa_group_segment_fixed_size 0
		.amdhsa_private_segment_fixed_size 0
		.amdhsa_kernarg_size 56
		.amdhsa_user_sgpr_count 6
		.amdhsa_user_sgpr_private_segment_buffer 1
		.amdhsa_user_sgpr_dispatch_ptr 0
		.amdhsa_user_sgpr_queue_ptr 0
		.amdhsa_user_sgpr_kernarg_segment_ptr 1
		.amdhsa_user_sgpr_dispatch_id 0
		.amdhsa_user_sgpr_flat_scratch_init 0
		.amdhsa_user_sgpr_private_segment_size 0
		.amdhsa_uses_dynamic_stack 0
		.amdhsa_system_sgpr_private_segment_wavefront_offset 0
		.amdhsa_system_sgpr_workgroup_id_x 1
		.amdhsa_system_sgpr_workgroup_id_y 0
		.amdhsa_system_sgpr_workgroup_id_z 0
		.amdhsa_system_sgpr_workgroup_info 0
		.amdhsa_system_vgpr_workitem_id 0
		.amdhsa_next_free_vgpr 1
		.amdhsa_next_free_sgpr 0
		.amdhsa_reserve_vcc 0
		.amdhsa_reserve_flat_scratch 0
		.amdhsa_float_round_mode_32 0
		.amdhsa_float_round_mode_16_64 0
		.amdhsa_float_denorm_mode_32 3
		.amdhsa_float_denorm_mode_16_64 3
		.amdhsa_dx10_clamp 1
		.amdhsa_ieee_mode 1
		.amdhsa_fp16_overflow 0
		.amdhsa_exception_fp_ieee_invalid_op 0
		.amdhsa_exception_fp_denorm_src 0
		.amdhsa_exception_fp_ieee_div_zero 0
		.amdhsa_exception_fp_ieee_overflow 0
		.amdhsa_exception_fp_ieee_underflow 0
		.amdhsa_exception_fp_ieee_inexact 0
		.amdhsa_exception_int_div_zero 0
	.end_amdhsa_kernel
	.section	.text._ZN7rocprim17ROCPRIM_400000_NS6detail17trampoline_kernelINS0_14default_configENS1_22reduce_config_selectorIN6thrust23THRUST_200600_302600_NS5tupleIllNS6_9null_typeES8_S8_S8_S8_S8_S8_S8_EEEEZNS1_11reduce_implILb0ES3_PS9_SC_S9_NS6_11hip_rocprim9__extrema9arg_max_fIllNS6_4lessIlEEEEEE10hipError_tPvRmT1_T2_T3_mT4_P12ihipStream_tbEUlT_E1_NS1_11comp_targetILNS1_3genE3ELNS1_11target_archE908ELNS1_3gpuE7ELNS1_3repE0EEENS1_30default_config_static_selectorELNS0_4arch9wavefront6targetE1EEEvSM_,"axG",@progbits,_ZN7rocprim17ROCPRIM_400000_NS6detail17trampoline_kernelINS0_14default_configENS1_22reduce_config_selectorIN6thrust23THRUST_200600_302600_NS5tupleIllNS6_9null_typeES8_S8_S8_S8_S8_S8_S8_EEEEZNS1_11reduce_implILb0ES3_PS9_SC_S9_NS6_11hip_rocprim9__extrema9arg_max_fIllNS6_4lessIlEEEEEE10hipError_tPvRmT1_T2_T3_mT4_P12ihipStream_tbEUlT_E1_NS1_11comp_targetILNS1_3genE3ELNS1_11target_archE908ELNS1_3gpuE7ELNS1_3repE0EEENS1_30default_config_static_selectorELNS0_4arch9wavefront6targetE1EEEvSM_,comdat
.Lfunc_end415:
	.size	_ZN7rocprim17ROCPRIM_400000_NS6detail17trampoline_kernelINS0_14default_configENS1_22reduce_config_selectorIN6thrust23THRUST_200600_302600_NS5tupleIllNS6_9null_typeES8_S8_S8_S8_S8_S8_S8_EEEEZNS1_11reduce_implILb0ES3_PS9_SC_S9_NS6_11hip_rocprim9__extrema9arg_max_fIllNS6_4lessIlEEEEEE10hipError_tPvRmT1_T2_T3_mT4_P12ihipStream_tbEUlT_E1_NS1_11comp_targetILNS1_3genE3ELNS1_11target_archE908ELNS1_3gpuE7ELNS1_3repE0EEENS1_30default_config_static_selectorELNS0_4arch9wavefront6targetE1EEEvSM_, .Lfunc_end415-_ZN7rocprim17ROCPRIM_400000_NS6detail17trampoline_kernelINS0_14default_configENS1_22reduce_config_selectorIN6thrust23THRUST_200600_302600_NS5tupleIllNS6_9null_typeES8_S8_S8_S8_S8_S8_S8_EEEEZNS1_11reduce_implILb0ES3_PS9_SC_S9_NS6_11hip_rocprim9__extrema9arg_max_fIllNS6_4lessIlEEEEEE10hipError_tPvRmT1_T2_T3_mT4_P12ihipStream_tbEUlT_E1_NS1_11comp_targetILNS1_3genE3ELNS1_11target_archE908ELNS1_3gpuE7ELNS1_3repE0EEENS1_30default_config_static_selectorELNS0_4arch9wavefront6targetE1EEEvSM_
                                        ; -- End function
	.set _ZN7rocprim17ROCPRIM_400000_NS6detail17trampoline_kernelINS0_14default_configENS1_22reduce_config_selectorIN6thrust23THRUST_200600_302600_NS5tupleIllNS6_9null_typeES8_S8_S8_S8_S8_S8_S8_EEEEZNS1_11reduce_implILb0ES3_PS9_SC_S9_NS6_11hip_rocprim9__extrema9arg_max_fIllNS6_4lessIlEEEEEE10hipError_tPvRmT1_T2_T3_mT4_P12ihipStream_tbEUlT_E1_NS1_11comp_targetILNS1_3genE3ELNS1_11target_archE908ELNS1_3gpuE7ELNS1_3repE0EEENS1_30default_config_static_selectorELNS0_4arch9wavefront6targetE1EEEvSM_.num_vgpr, 0
	.set _ZN7rocprim17ROCPRIM_400000_NS6detail17trampoline_kernelINS0_14default_configENS1_22reduce_config_selectorIN6thrust23THRUST_200600_302600_NS5tupleIllNS6_9null_typeES8_S8_S8_S8_S8_S8_S8_EEEEZNS1_11reduce_implILb0ES3_PS9_SC_S9_NS6_11hip_rocprim9__extrema9arg_max_fIllNS6_4lessIlEEEEEE10hipError_tPvRmT1_T2_T3_mT4_P12ihipStream_tbEUlT_E1_NS1_11comp_targetILNS1_3genE3ELNS1_11target_archE908ELNS1_3gpuE7ELNS1_3repE0EEENS1_30default_config_static_selectorELNS0_4arch9wavefront6targetE1EEEvSM_.num_agpr, 0
	.set _ZN7rocprim17ROCPRIM_400000_NS6detail17trampoline_kernelINS0_14default_configENS1_22reduce_config_selectorIN6thrust23THRUST_200600_302600_NS5tupleIllNS6_9null_typeES8_S8_S8_S8_S8_S8_S8_EEEEZNS1_11reduce_implILb0ES3_PS9_SC_S9_NS6_11hip_rocprim9__extrema9arg_max_fIllNS6_4lessIlEEEEEE10hipError_tPvRmT1_T2_T3_mT4_P12ihipStream_tbEUlT_E1_NS1_11comp_targetILNS1_3genE3ELNS1_11target_archE908ELNS1_3gpuE7ELNS1_3repE0EEENS1_30default_config_static_selectorELNS0_4arch9wavefront6targetE1EEEvSM_.numbered_sgpr, 0
	.set _ZN7rocprim17ROCPRIM_400000_NS6detail17trampoline_kernelINS0_14default_configENS1_22reduce_config_selectorIN6thrust23THRUST_200600_302600_NS5tupleIllNS6_9null_typeES8_S8_S8_S8_S8_S8_S8_EEEEZNS1_11reduce_implILb0ES3_PS9_SC_S9_NS6_11hip_rocprim9__extrema9arg_max_fIllNS6_4lessIlEEEEEE10hipError_tPvRmT1_T2_T3_mT4_P12ihipStream_tbEUlT_E1_NS1_11comp_targetILNS1_3genE3ELNS1_11target_archE908ELNS1_3gpuE7ELNS1_3repE0EEENS1_30default_config_static_selectorELNS0_4arch9wavefront6targetE1EEEvSM_.num_named_barrier, 0
	.set _ZN7rocprim17ROCPRIM_400000_NS6detail17trampoline_kernelINS0_14default_configENS1_22reduce_config_selectorIN6thrust23THRUST_200600_302600_NS5tupleIllNS6_9null_typeES8_S8_S8_S8_S8_S8_S8_EEEEZNS1_11reduce_implILb0ES3_PS9_SC_S9_NS6_11hip_rocprim9__extrema9arg_max_fIllNS6_4lessIlEEEEEE10hipError_tPvRmT1_T2_T3_mT4_P12ihipStream_tbEUlT_E1_NS1_11comp_targetILNS1_3genE3ELNS1_11target_archE908ELNS1_3gpuE7ELNS1_3repE0EEENS1_30default_config_static_selectorELNS0_4arch9wavefront6targetE1EEEvSM_.private_seg_size, 0
	.set _ZN7rocprim17ROCPRIM_400000_NS6detail17trampoline_kernelINS0_14default_configENS1_22reduce_config_selectorIN6thrust23THRUST_200600_302600_NS5tupleIllNS6_9null_typeES8_S8_S8_S8_S8_S8_S8_EEEEZNS1_11reduce_implILb0ES3_PS9_SC_S9_NS6_11hip_rocprim9__extrema9arg_max_fIllNS6_4lessIlEEEEEE10hipError_tPvRmT1_T2_T3_mT4_P12ihipStream_tbEUlT_E1_NS1_11comp_targetILNS1_3genE3ELNS1_11target_archE908ELNS1_3gpuE7ELNS1_3repE0EEENS1_30default_config_static_selectorELNS0_4arch9wavefront6targetE1EEEvSM_.uses_vcc, 0
	.set _ZN7rocprim17ROCPRIM_400000_NS6detail17trampoline_kernelINS0_14default_configENS1_22reduce_config_selectorIN6thrust23THRUST_200600_302600_NS5tupleIllNS6_9null_typeES8_S8_S8_S8_S8_S8_S8_EEEEZNS1_11reduce_implILb0ES3_PS9_SC_S9_NS6_11hip_rocprim9__extrema9arg_max_fIllNS6_4lessIlEEEEEE10hipError_tPvRmT1_T2_T3_mT4_P12ihipStream_tbEUlT_E1_NS1_11comp_targetILNS1_3genE3ELNS1_11target_archE908ELNS1_3gpuE7ELNS1_3repE0EEENS1_30default_config_static_selectorELNS0_4arch9wavefront6targetE1EEEvSM_.uses_flat_scratch, 0
	.set _ZN7rocprim17ROCPRIM_400000_NS6detail17trampoline_kernelINS0_14default_configENS1_22reduce_config_selectorIN6thrust23THRUST_200600_302600_NS5tupleIllNS6_9null_typeES8_S8_S8_S8_S8_S8_S8_EEEEZNS1_11reduce_implILb0ES3_PS9_SC_S9_NS6_11hip_rocprim9__extrema9arg_max_fIllNS6_4lessIlEEEEEE10hipError_tPvRmT1_T2_T3_mT4_P12ihipStream_tbEUlT_E1_NS1_11comp_targetILNS1_3genE3ELNS1_11target_archE908ELNS1_3gpuE7ELNS1_3repE0EEENS1_30default_config_static_selectorELNS0_4arch9wavefront6targetE1EEEvSM_.has_dyn_sized_stack, 0
	.set _ZN7rocprim17ROCPRIM_400000_NS6detail17trampoline_kernelINS0_14default_configENS1_22reduce_config_selectorIN6thrust23THRUST_200600_302600_NS5tupleIllNS6_9null_typeES8_S8_S8_S8_S8_S8_S8_EEEEZNS1_11reduce_implILb0ES3_PS9_SC_S9_NS6_11hip_rocprim9__extrema9arg_max_fIllNS6_4lessIlEEEEEE10hipError_tPvRmT1_T2_T3_mT4_P12ihipStream_tbEUlT_E1_NS1_11comp_targetILNS1_3genE3ELNS1_11target_archE908ELNS1_3gpuE7ELNS1_3repE0EEENS1_30default_config_static_selectorELNS0_4arch9wavefront6targetE1EEEvSM_.has_recursion, 0
	.set _ZN7rocprim17ROCPRIM_400000_NS6detail17trampoline_kernelINS0_14default_configENS1_22reduce_config_selectorIN6thrust23THRUST_200600_302600_NS5tupleIllNS6_9null_typeES8_S8_S8_S8_S8_S8_S8_EEEEZNS1_11reduce_implILb0ES3_PS9_SC_S9_NS6_11hip_rocprim9__extrema9arg_max_fIllNS6_4lessIlEEEEEE10hipError_tPvRmT1_T2_T3_mT4_P12ihipStream_tbEUlT_E1_NS1_11comp_targetILNS1_3genE3ELNS1_11target_archE908ELNS1_3gpuE7ELNS1_3repE0EEENS1_30default_config_static_selectorELNS0_4arch9wavefront6targetE1EEEvSM_.has_indirect_call, 0
	.section	.AMDGPU.csdata,"",@progbits
; Kernel info:
; codeLenInByte = 0
; TotalNumSgprs: 4
; NumVgprs: 0
; ScratchSize: 0
; MemoryBound: 0
; FloatMode: 240
; IeeeMode: 1
; LDSByteSize: 0 bytes/workgroup (compile time only)
; SGPRBlocks: 0
; VGPRBlocks: 0
; NumSGPRsForWavesPerEU: 4
; NumVGPRsForWavesPerEU: 1
; Occupancy: 10
; WaveLimiterHint : 0
; COMPUTE_PGM_RSRC2:SCRATCH_EN: 0
; COMPUTE_PGM_RSRC2:USER_SGPR: 6
; COMPUTE_PGM_RSRC2:TRAP_HANDLER: 0
; COMPUTE_PGM_RSRC2:TGID_X_EN: 1
; COMPUTE_PGM_RSRC2:TGID_Y_EN: 0
; COMPUTE_PGM_RSRC2:TGID_Z_EN: 0
; COMPUTE_PGM_RSRC2:TIDIG_COMP_CNT: 0
	.section	.text._ZN7rocprim17ROCPRIM_400000_NS6detail17trampoline_kernelINS0_14default_configENS1_22reduce_config_selectorIN6thrust23THRUST_200600_302600_NS5tupleIllNS6_9null_typeES8_S8_S8_S8_S8_S8_S8_EEEEZNS1_11reduce_implILb0ES3_PS9_SC_S9_NS6_11hip_rocprim9__extrema9arg_max_fIllNS6_4lessIlEEEEEE10hipError_tPvRmT1_T2_T3_mT4_P12ihipStream_tbEUlT_E1_NS1_11comp_targetILNS1_3genE2ELNS1_11target_archE906ELNS1_3gpuE6ELNS1_3repE0EEENS1_30default_config_static_selectorELNS0_4arch9wavefront6targetE1EEEvSM_,"axG",@progbits,_ZN7rocprim17ROCPRIM_400000_NS6detail17trampoline_kernelINS0_14default_configENS1_22reduce_config_selectorIN6thrust23THRUST_200600_302600_NS5tupleIllNS6_9null_typeES8_S8_S8_S8_S8_S8_S8_EEEEZNS1_11reduce_implILb0ES3_PS9_SC_S9_NS6_11hip_rocprim9__extrema9arg_max_fIllNS6_4lessIlEEEEEE10hipError_tPvRmT1_T2_T3_mT4_P12ihipStream_tbEUlT_E1_NS1_11comp_targetILNS1_3genE2ELNS1_11target_archE906ELNS1_3gpuE6ELNS1_3repE0EEENS1_30default_config_static_selectorELNS0_4arch9wavefront6targetE1EEEvSM_,comdat
	.protected	_ZN7rocprim17ROCPRIM_400000_NS6detail17trampoline_kernelINS0_14default_configENS1_22reduce_config_selectorIN6thrust23THRUST_200600_302600_NS5tupleIllNS6_9null_typeES8_S8_S8_S8_S8_S8_S8_EEEEZNS1_11reduce_implILb0ES3_PS9_SC_S9_NS6_11hip_rocprim9__extrema9arg_max_fIllNS6_4lessIlEEEEEE10hipError_tPvRmT1_T2_T3_mT4_P12ihipStream_tbEUlT_E1_NS1_11comp_targetILNS1_3genE2ELNS1_11target_archE906ELNS1_3gpuE6ELNS1_3repE0EEENS1_30default_config_static_selectorELNS0_4arch9wavefront6targetE1EEEvSM_ ; -- Begin function _ZN7rocprim17ROCPRIM_400000_NS6detail17trampoline_kernelINS0_14default_configENS1_22reduce_config_selectorIN6thrust23THRUST_200600_302600_NS5tupleIllNS6_9null_typeES8_S8_S8_S8_S8_S8_S8_EEEEZNS1_11reduce_implILb0ES3_PS9_SC_S9_NS6_11hip_rocprim9__extrema9arg_max_fIllNS6_4lessIlEEEEEE10hipError_tPvRmT1_T2_T3_mT4_P12ihipStream_tbEUlT_E1_NS1_11comp_targetILNS1_3genE2ELNS1_11target_archE906ELNS1_3gpuE6ELNS1_3repE0EEENS1_30default_config_static_selectorELNS0_4arch9wavefront6targetE1EEEvSM_
	.globl	_ZN7rocprim17ROCPRIM_400000_NS6detail17trampoline_kernelINS0_14default_configENS1_22reduce_config_selectorIN6thrust23THRUST_200600_302600_NS5tupleIllNS6_9null_typeES8_S8_S8_S8_S8_S8_S8_EEEEZNS1_11reduce_implILb0ES3_PS9_SC_S9_NS6_11hip_rocprim9__extrema9arg_max_fIllNS6_4lessIlEEEEEE10hipError_tPvRmT1_T2_T3_mT4_P12ihipStream_tbEUlT_E1_NS1_11comp_targetILNS1_3genE2ELNS1_11target_archE906ELNS1_3gpuE6ELNS1_3repE0EEENS1_30default_config_static_selectorELNS0_4arch9wavefront6targetE1EEEvSM_
	.p2align	8
	.type	_ZN7rocprim17ROCPRIM_400000_NS6detail17trampoline_kernelINS0_14default_configENS1_22reduce_config_selectorIN6thrust23THRUST_200600_302600_NS5tupleIllNS6_9null_typeES8_S8_S8_S8_S8_S8_S8_EEEEZNS1_11reduce_implILb0ES3_PS9_SC_S9_NS6_11hip_rocprim9__extrema9arg_max_fIllNS6_4lessIlEEEEEE10hipError_tPvRmT1_T2_T3_mT4_P12ihipStream_tbEUlT_E1_NS1_11comp_targetILNS1_3genE2ELNS1_11target_archE906ELNS1_3gpuE6ELNS1_3repE0EEENS1_30default_config_static_selectorELNS0_4arch9wavefront6targetE1EEEvSM_,@function
_ZN7rocprim17ROCPRIM_400000_NS6detail17trampoline_kernelINS0_14default_configENS1_22reduce_config_selectorIN6thrust23THRUST_200600_302600_NS5tupleIllNS6_9null_typeES8_S8_S8_S8_S8_S8_S8_EEEEZNS1_11reduce_implILb0ES3_PS9_SC_S9_NS6_11hip_rocprim9__extrema9arg_max_fIllNS6_4lessIlEEEEEE10hipError_tPvRmT1_T2_T3_mT4_P12ihipStream_tbEUlT_E1_NS1_11comp_targetILNS1_3genE2ELNS1_11target_archE906ELNS1_3gpuE6ELNS1_3repE0EEENS1_30default_config_static_selectorELNS0_4arch9wavefront6targetE1EEEvSM_: ; @_ZN7rocprim17ROCPRIM_400000_NS6detail17trampoline_kernelINS0_14default_configENS1_22reduce_config_selectorIN6thrust23THRUST_200600_302600_NS5tupleIllNS6_9null_typeES8_S8_S8_S8_S8_S8_S8_EEEEZNS1_11reduce_implILb0ES3_PS9_SC_S9_NS6_11hip_rocprim9__extrema9arg_max_fIllNS6_4lessIlEEEEEE10hipError_tPvRmT1_T2_T3_mT4_P12ihipStream_tbEUlT_E1_NS1_11comp_targetILNS1_3genE2ELNS1_11target_archE906ELNS1_3gpuE6ELNS1_3repE0EEENS1_30default_config_static_selectorELNS0_4arch9wavefront6targetE1EEEvSM_
; %bb.0:
	s_load_dword s30, s[4:5], 0x4
	s_load_dwordx8 s[20:27], s[4:5], 0x8
	s_waitcnt lgkmcnt(0)
	s_cmp_lt_i32 s30, 4
	s_cbranch_scc1 .LBB416_21
; %bb.1:
	s_cmp_gt_i32 s30, 7
	s_cbranch_scc0 .LBB416_22
; %bb.2:
	s_mov_b64 s[18:19], 0
	s_cmp_eq_u32 s30, 8
	s_mov_b64 s[0:1], 0
                                        ; implicit-def: $vgpr3_vgpr4
                                        ; implicit-def: $vgpr5_vgpr6
	s_cbranch_scc0 .LBB416_23
; %bb.3:
	s_mov_b32 s7, 0
	s_lshl_b32 s8, s6, 10
	s_mov_b32 s9, s7
	s_lshr_b64 s[0:1], s[22:23], 10
	s_lshl_b64 s[2:3], s[8:9], 4
	s_add_u32 s16, s20, s2
	s_addc_u32 s17, s21, s3
	s_cmp_lg_u64 s[0:1], s[6:7]
	s_cbranch_scc0 .LBB416_43
; %bb.4:
	v_lshlrev_b32_e32 v9, 4, v0
	global_load_dwordx4 v[1:4], v9, s[16:17]
	global_load_dwordx4 v[5:8], v9, s[16:17] offset:2048
	v_mov_b32_e32 v10, s17
	v_add_co_u32_e32 v27, vcc, s16, v9
	v_addc_co_u32_e32 v28, vcc, 0, v10, vcc
	v_add_co_u32_e32 v17, vcc, 0x1000, v27
	v_addc_co_u32_e32 v18, vcc, 0, v28, vcc
	global_load_dwordx4 v[9:12], v[17:18], off
	global_load_dwordx4 v[13:16], v[17:18], off offset:2048
	v_add_co_u32_e32 v25, vcc, 0x2000, v27
	v_addc_co_u32_e32 v26, vcc, 0, v28, vcc
	global_load_dwordx4 v[17:20], v[25:26], off
	global_load_dwordx4 v[21:24], v[25:26], off offset:2048
	v_add_co_u32_e32 v25, vcc, 0x3000, v27
	v_addc_co_u32_e32 v26, vcc, 0, v28, vcc
	s_waitcnt vmcnt(4)
	v_cmp_lt_i64_e64 s[0:1], v[5:6], v[1:2]
	v_cmp_lt_i64_e64 s[2:3], v[3:4], v[7:8]
	s_or_b64 vcc, s[0:1], s[2:3]
	v_cndmask_b32_e32 v29, v5, v1, vcc
	v_cndmask_b32_e32 v27, v8, v4, vcc
	v_cmp_lt_i64_e64 s[0:1], v[1:2], v[5:6]
	v_cndmask_b32_e32 v30, v6, v2, vcc
	v_cndmask_b32_e32 v31, v7, v3, vcc
	global_load_dwordx4 v[1:4], v[25:26], off
	v_cndmask_b32_e64 v28, v27, v8, s[0:1]
	v_cndmask_b32_e64 v27, v31, v7, s[0:1]
	;; [unrolled: 1-line block ×4, first 2 shown]
	global_load_dwordx4 v[5:8], v[25:26], off offset:2048
	s_waitcnt vmcnt(5)
	v_cmp_lt_i64_e32 vcc, v[9:10], v[29:30]
	v_cmp_lt_i64_e64 s[0:1], v[27:28], v[11:12]
	s_or_b64 vcc, vcc, s[0:1]
	v_cndmask_b32_e32 v25, v9, v29, vcc
	v_cndmask_b32_e32 v26, v10, v30, vcc
	v_cndmask_b32_e32 v27, v11, v27, vcc
	v_cndmask_b32_e32 v28, v12, v28, vcc
	v_cmp_lt_i64_e32 vcc, v[29:30], v[9:10]
	v_cndmask_b32_e32 v12, v28, v12, vcc
	v_cndmask_b32_e32 v11, v27, v11, vcc
	v_cndmask_b32_e32 v10, v26, v10, vcc
	v_cndmask_b32_e32 v9, v25, v9, vcc
	s_waitcnt vmcnt(4)
	v_cmp_lt_i64_e32 vcc, v[13:14], v[9:10]
	v_cmp_lt_i64_e64 s[0:1], v[11:12], v[15:16]
	s_or_b64 vcc, vcc, s[0:1]
	v_cndmask_b32_e32 v25, v13, v9, vcc
	v_cndmask_b32_e32 v26, v14, v10, vcc
	v_cndmask_b32_e32 v11, v15, v11, vcc
	v_cndmask_b32_e32 v12, v16, v12, vcc
	v_cmp_lt_i64_e32 vcc, v[9:10], v[13:14]
	v_cndmask_b32_e32 v10, v12, v16, vcc
	v_cndmask_b32_e32 v9, v11, v15, vcc
	v_cndmask_b32_e32 v12, v26, v14, vcc
	v_cndmask_b32_e32 v11, v25, v13, vcc
	;; [unrolled: 13-line block ×6, first 2 shown]
	v_mov_b32_dpp v7, v1 quad_perm:[1,0,3,2] row_mask:0xf bank_mask:0xf bound_ctrl:1
	v_mov_b32_dpp v8, v2 quad_perm:[1,0,3,2] row_mask:0xf bank_mask:0xf bound_ctrl:1
	v_cmp_ge_i64_e32 vcc, v[7:8], v[1:2]
	v_mov_b32_dpp v5, v3 quad_perm:[1,0,3,2] row_mask:0xf bank_mask:0xf bound_ctrl:1
	v_mov_b32_dpp v9, v4 quad_perm:[1,0,3,2] row_mask:0xf bank_mask:0xf bound_ctrl:1
	s_and_saveexec_b64 s[2:3], vcc
	s_cbranch_execz .LBB416_6
; %bb.5:
	v_mov_b32_e32 v6, v9
	v_cmp_lt_i64_e32 vcc, v[1:2], v[7:8]
	v_cmp_lt_i64_e64 s[0:1], v[5:6], v[3:4]
	s_or_b64 vcc, vcc, s[0:1]
	v_cndmask_b32_e32 v2, v2, v8, vcc
	v_cndmask_b32_e32 v1, v1, v7, vcc
	v_cndmask_b32_e32 v4, v4, v9, vcc
	v_cndmask_b32_e32 v3, v3, v5, vcc
.LBB416_6:
	s_or_b64 exec, exec, s[2:3]
	v_mov_b32_dpp v7, v1 quad_perm:[2,3,0,1] row_mask:0xf bank_mask:0xf bound_ctrl:1
	v_mov_b32_dpp v8, v2 quad_perm:[2,3,0,1] row_mask:0xf bank_mask:0xf bound_ctrl:1
	v_cmp_ge_i64_e32 vcc, v[7:8], v[1:2]
	v_mov_b32_dpp v5, v3 quad_perm:[2,3,0,1] row_mask:0xf bank_mask:0xf bound_ctrl:1
	v_mov_b32_dpp v9, v4 quad_perm:[2,3,0,1] row_mask:0xf bank_mask:0xf bound_ctrl:1
	s_and_saveexec_b64 s[2:3], vcc
	s_cbranch_execz .LBB416_8
; %bb.7:
	v_mov_b32_e32 v6, v9
	v_cmp_lt_i64_e32 vcc, v[1:2], v[7:8]
	v_cmp_lt_i64_e64 s[0:1], v[5:6], v[3:4]
	s_or_b64 vcc, vcc, s[0:1]
	v_cndmask_b32_e32 v2, v2, v8, vcc
	v_cndmask_b32_e32 v1, v1, v7, vcc
	v_cndmask_b32_e32 v4, v4, v9, vcc
	v_cndmask_b32_e32 v3, v3, v5, vcc
.LBB416_8:
	s_or_b64 exec, exec, s[2:3]
	v_mov_b32_dpp v7, v1 row_ror:4 row_mask:0xf bank_mask:0xf bound_ctrl:1
	v_mov_b32_dpp v8, v2 row_ror:4 row_mask:0xf bank_mask:0xf bound_ctrl:1
	v_cmp_ge_i64_e32 vcc, v[7:8], v[1:2]
	v_mov_b32_dpp v5, v3 row_ror:4 row_mask:0xf bank_mask:0xf bound_ctrl:1
	v_mov_b32_dpp v9, v4 row_ror:4 row_mask:0xf bank_mask:0xf bound_ctrl:1
	s_and_saveexec_b64 s[2:3], vcc
	s_cbranch_execz .LBB416_10
; %bb.9:
	v_mov_b32_e32 v6, v9
	v_cmp_lt_i64_e32 vcc, v[1:2], v[7:8]
	v_cmp_lt_i64_e64 s[0:1], v[5:6], v[3:4]
	s_or_b64 vcc, vcc, s[0:1]
	v_cndmask_b32_e32 v2, v2, v8, vcc
	v_cndmask_b32_e32 v1, v1, v7, vcc
	v_cndmask_b32_e32 v4, v4, v9, vcc
	v_cndmask_b32_e32 v3, v3, v5, vcc
.LBB416_10:
	s_or_b64 exec, exec, s[2:3]
	v_mov_b32_dpp v7, v1 row_ror:8 row_mask:0xf bank_mask:0xf bound_ctrl:1
	v_mov_b32_dpp v8, v2 row_ror:8 row_mask:0xf bank_mask:0xf bound_ctrl:1
	v_cmp_ge_i64_e32 vcc, v[7:8], v[1:2]
	v_mov_b32_dpp v5, v3 row_ror:8 row_mask:0xf bank_mask:0xf bound_ctrl:1
	v_mov_b32_dpp v9, v4 row_ror:8 row_mask:0xf bank_mask:0xf bound_ctrl:1
	s_and_saveexec_b64 s[2:3], vcc
	s_cbranch_execz .LBB416_12
; %bb.11:
	v_mov_b32_e32 v6, v9
	v_cmp_lt_i64_e32 vcc, v[1:2], v[7:8]
	v_cmp_lt_i64_e64 s[0:1], v[5:6], v[3:4]
	s_or_b64 vcc, vcc, s[0:1]
	v_cndmask_b32_e32 v2, v2, v8, vcc
	v_cndmask_b32_e32 v1, v1, v7, vcc
	;; [unrolled: 1-line block ×4, first 2 shown]
.LBB416_12:
	s_or_b64 exec, exec, s[2:3]
	v_mov_b32_dpp v7, v1 row_bcast:15 row_mask:0xf bank_mask:0xf bound_ctrl:1
	v_mov_b32_dpp v8, v2 row_bcast:15 row_mask:0xf bank_mask:0xf bound_ctrl:1
	v_cmp_ge_i64_e32 vcc, v[7:8], v[1:2]
	v_mov_b32_dpp v5, v3 row_bcast:15 row_mask:0xf bank_mask:0xf bound_ctrl:1
	v_mov_b32_dpp v9, v4 row_bcast:15 row_mask:0xf bank_mask:0xf bound_ctrl:1
	s_and_saveexec_b64 s[2:3], vcc
	s_cbranch_execz .LBB416_14
; %bb.13:
	v_mov_b32_e32 v6, v9
	v_cmp_lt_i64_e32 vcc, v[1:2], v[7:8]
	v_cmp_lt_i64_e64 s[0:1], v[5:6], v[3:4]
	s_or_b64 vcc, vcc, s[0:1]
	v_cndmask_b32_e32 v2, v2, v8, vcc
	v_cndmask_b32_e32 v1, v1, v7, vcc
	;; [unrolled: 1-line block ×4, first 2 shown]
.LBB416_14:
	s_or_b64 exec, exec, s[2:3]
	v_mov_b32_dpp v5, v1 row_bcast:31 row_mask:0xf bank_mask:0xf bound_ctrl:1
	v_mov_b32_dpp v6, v2 row_bcast:31 row_mask:0xf bank_mask:0xf bound_ctrl:1
	v_cmp_ge_i64_e32 vcc, v[5:6], v[1:2]
	v_mov_b32_dpp v7, v3 row_bcast:31 row_mask:0xf bank_mask:0xf bound_ctrl:1
	v_mov_b32_dpp v9, v4 row_bcast:31 row_mask:0xf bank_mask:0xf bound_ctrl:1
	s_and_saveexec_b64 s[2:3], vcc
	s_cbranch_execz .LBB416_16
; %bb.15:
	v_mov_b32_e32 v8, v9
	v_cmp_lt_i64_e32 vcc, v[1:2], v[5:6]
	v_cmp_lt_i64_e64 s[0:1], v[7:8], v[3:4]
	s_or_b64 vcc, vcc, s[0:1]
	v_cndmask_b32_e32 v1, v1, v5, vcc
	v_cndmask_b32_e32 v2, v2, v6, vcc
	;; [unrolled: 1-line block ×4, first 2 shown]
.LBB416_16:
	s_or_b64 exec, exec, s[2:3]
	v_mbcnt_lo_u32_b32 v5, -1, 0
	v_mbcnt_hi_u32_b32 v6, -1, v5
	v_lshlrev_b32_e32 v5, 2, v6
	v_or_b32_e32 v7, 0xfc, v5
	ds_bpermute_b32 v1, v7, v1
	ds_bpermute_b32 v2, v7, v2
	;; [unrolled: 1-line block ×4, first 2 shown]
	v_cmp_eq_u32_e32 vcc, 0, v6
	s_and_saveexec_b64 s[0:1], vcc
	s_cbranch_execz .LBB416_18
; %bb.17:
	v_lshrrev_b32_e32 v7, 2, v0
	v_and_b32_e32 v7, 16, v7
	s_waitcnt lgkmcnt(0)
	ds_write2_b64 v7, v[1:2], v[3:4] offset0:12 offset1:13
.LBB416_18:
	s_or_b64 exec, exec, s[0:1]
	v_cmp_gt_u32_e32 vcc, 64, v0
	s_waitcnt lgkmcnt(0)
	s_barrier
	s_and_saveexec_b64 s[2:3], vcc
	s_cbranch_execz .LBB416_20
; %bb.19:
	v_and_b32_e32 v1, 1, v6
	v_lshlrev_b32_e32 v1, 4, v1
	ds_read2_b64 v[1:4], v1 offset0:12 offset1:13
	v_or_b32_e32 v6, 4, v5
	s_waitcnt lgkmcnt(0)
	ds_bpermute_b32 v9, v6, v2
	ds_bpermute_b32 v10, v6, v4
	;; [unrolled: 1-line block ×4, first 2 shown]
	s_waitcnt lgkmcnt(3)
	v_mov_b32_e32 v6, v9
	s_waitcnt lgkmcnt(2)
	v_mov_b32_e32 v8, v10
	s_waitcnt lgkmcnt(1)
	v_cmp_lt_i64_e32 vcc, v[5:6], v[1:2]
	s_waitcnt lgkmcnt(0)
	v_cmp_lt_i64_e64 s[0:1], v[3:4], v[7:8]
	s_or_b64 vcc, vcc, s[0:1]
	v_cndmask_b32_e32 v8, v5, v1, vcc
	v_cndmask_b32_e32 v11, v9, v2, vcc
	;; [unrolled: 1-line block ×4, first 2 shown]
	v_cmp_lt_i64_e32 vcc, v[1:2], v[5:6]
	v_cndmask_b32_e32 v4, v4, v10, vcc
	v_cndmask_b32_e32 v3, v3, v7, vcc
	;; [unrolled: 1-line block ×4, first 2 shown]
.LBB416_20:
	s_or_b64 exec, exec, s[2:3]
	s_branch .LBB416_86
.LBB416_21:
	s_mov_b64 s[0:1], 0
                                        ; implicit-def: $vgpr3_vgpr4
                                        ; implicit-def: $vgpr5_vgpr6
	s_cbranch_execnz .LBB416_120
	s_branch .LBB416_209
.LBB416_22:
	s_mov_b64 s[18:19], -1
	s_mov_b64 s[0:1], 0
                                        ; implicit-def: $vgpr3_vgpr4
                                        ; implicit-def: $vgpr5_vgpr6
.LBB416_23:
	s_and_b64 vcc, exec, s[18:19]
	s_cbranch_vccz .LBB416_119
.LBB416_24:
	s_cmp_eq_u32 s30, 4
                                        ; implicit-def: $vgpr3_vgpr4
                                        ; implicit-def: $vgpr5_vgpr6
	s_cbranch_scc0 .LBB416_119
; %bb.25:
	s_mov_b32 s7, 0
	s_lshl_b32 s2, s6, 9
	s_mov_b32 s3, s7
	s_lshr_b64 s[0:1], s[22:23], 9
	s_lshl_b64 s[8:9], s[2:3], 4
	s_add_u32 s8, s20, s8
	s_addc_u32 s9, s21, s9
	s_cmp_lg_u64 s[0:1], s[6:7]
	s_cbranch_scc0 .LBB416_87
; %bb.26:
	v_lshlrev_b32_e32 v9, 4, v0
	global_load_dwordx4 v[1:4], v9, s[8:9]
	s_waitcnt lgkmcnt(0)
	global_load_dwordx4 v[5:8], v9, s[8:9] offset:2048
	v_mov_b32_e32 v10, s9
	v_add_co_u32_e32 v9, vcc, s8, v9
	v_addc_co_u32_e32 v10, vcc, 0, v10, vcc
	v_add_co_u32_e32 v17, vcc, 0x1000, v9
	v_addc_co_u32_e32 v18, vcc, 0, v10, vcc
	global_load_dwordx4 v[9:12], v[17:18], off
	global_load_dwordx4 v[13:16], v[17:18], off offset:2048
	s_waitcnt vmcnt(2)
	v_cmp_lt_i64_e32 vcc, v[5:6], v[1:2]
	v_cmp_lt_i64_e64 s[0:1], v[3:4], v[7:8]
	s_or_b64 vcc, vcc, s[0:1]
	v_cndmask_b32_e32 v17, v5, v1, vcc
	v_cndmask_b32_e32 v4, v8, v4, vcc
	v_cndmask_b32_e32 v18, v6, v2, vcc
	v_cndmask_b32_e32 v3, v7, v3, vcc
	v_cmp_lt_i64_e32 vcc, v[1:2], v[5:6]
	v_cndmask_b32_e32 v2, v4, v8, vcc
	v_cndmask_b32_e32 v1, v3, v7, vcc
	v_cndmask_b32_e32 v4, v18, v6, vcc
	v_cndmask_b32_e32 v3, v17, v5, vcc
	s_waitcnt vmcnt(1)
	v_cmp_lt_i64_e32 vcc, v[9:10], v[3:4]
	v_cmp_lt_i64_e64 s[0:1], v[1:2], v[11:12]
	s_or_b64 vcc, vcc, s[0:1]
	v_cndmask_b32_e32 v5, v9, v3, vcc
	v_cndmask_b32_e32 v6, v10, v4, vcc
	v_cndmask_b32_e32 v1, v11, v1, vcc
	v_cndmask_b32_e32 v2, v12, v2, vcc
	v_cmp_lt_i64_e32 vcc, v[3:4], v[9:10]
	v_cndmask_b32_e32 v2, v2, v12, vcc
	v_cndmask_b32_e32 v1, v1, v11, vcc
	v_cndmask_b32_e32 v4, v6, v10, vcc
	v_cndmask_b32_e32 v3, v5, v9, vcc
	;; [unrolled: 13-line block ×3, first 2 shown]
	v_mov_b32_dpp v5, v3 quad_perm:[1,0,3,2] row_mask:0xf bank_mask:0xf bound_ctrl:1
	v_mov_b32_dpp v8, v2 quad_perm:[1,0,3,2] row_mask:0xf bank_mask:0xf bound_ctrl:1
	;; [unrolled: 1-line block ×3, first 2 shown]
	v_cmp_ge_i64_e32 vcc, v[7:8], v[1:2]
	v_mov_b32_dpp v9, v4 quad_perm:[1,0,3,2] row_mask:0xf bank_mask:0xf bound_ctrl:1
	s_and_saveexec_b64 s[10:11], vcc
	s_cbranch_execz .LBB416_28
; %bb.27:
	v_mov_b32_e32 v6, v9
	v_cmp_lt_i64_e32 vcc, v[1:2], v[7:8]
	v_cmp_lt_i64_e64 s[0:1], v[5:6], v[3:4]
	s_or_b64 vcc, vcc, s[0:1]
	v_cndmask_b32_e32 v2, v2, v8, vcc
	v_cndmask_b32_e32 v1, v1, v7, vcc
	;; [unrolled: 1-line block ×4, first 2 shown]
.LBB416_28:
	s_or_b64 exec, exec, s[10:11]
	v_mov_b32_dpp v7, v1 quad_perm:[2,3,0,1] row_mask:0xf bank_mask:0xf bound_ctrl:1
	v_mov_b32_dpp v8, v2 quad_perm:[2,3,0,1] row_mask:0xf bank_mask:0xf bound_ctrl:1
	v_cmp_ge_i64_e32 vcc, v[7:8], v[1:2]
	v_mov_b32_dpp v5, v3 quad_perm:[2,3,0,1] row_mask:0xf bank_mask:0xf bound_ctrl:1
	v_mov_b32_dpp v9, v4 quad_perm:[2,3,0,1] row_mask:0xf bank_mask:0xf bound_ctrl:1
	s_and_saveexec_b64 s[10:11], vcc
	s_cbranch_execz .LBB416_30
; %bb.29:
	v_mov_b32_e32 v6, v9
	v_cmp_lt_i64_e32 vcc, v[1:2], v[7:8]
	v_cmp_lt_i64_e64 s[0:1], v[5:6], v[3:4]
	s_or_b64 vcc, vcc, s[0:1]
	v_cndmask_b32_e32 v2, v2, v8, vcc
	v_cndmask_b32_e32 v1, v1, v7, vcc
	;; [unrolled: 1-line block ×4, first 2 shown]
.LBB416_30:
	s_or_b64 exec, exec, s[10:11]
	v_mov_b32_dpp v7, v1 row_ror:4 row_mask:0xf bank_mask:0xf bound_ctrl:1
	v_mov_b32_dpp v8, v2 row_ror:4 row_mask:0xf bank_mask:0xf bound_ctrl:1
	v_cmp_ge_i64_e32 vcc, v[7:8], v[1:2]
	v_mov_b32_dpp v5, v3 row_ror:4 row_mask:0xf bank_mask:0xf bound_ctrl:1
	v_mov_b32_dpp v9, v4 row_ror:4 row_mask:0xf bank_mask:0xf bound_ctrl:1
	s_and_saveexec_b64 s[10:11], vcc
	s_cbranch_execz .LBB416_32
; %bb.31:
	v_mov_b32_e32 v6, v9
	v_cmp_lt_i64_e32 vcc, v[1:2], v[7:8]
	v_cmp_lt_i64_e64 s[0:1], v[5:6], v[3:4]
	s_or_b64 vcc, vcc, s[0:1]
	v_cndmask_b32_e32 v2, v2, v8, vcc
	v_cndmask_b32_e32 v1, v1, v7, vcc
	;; [unrolled: 1-line block ×4, first 2 shown]
.LBB416_32:
	s_or_b64 exec, exec, s[10:11]
	v_mov_b32_dpp v7, v1 row_ror:8 row_mask:0xf bank_mask:0xf bound_ctrl:1
	v_mov_b32_dpp v8, v2 row_ror:8 row_mask:0xf bank_mask:0xf bound_ctrl:1
	v_cmp_ge_i64_e32 vcc, v[7:8], v[1:2]
	v_mov_b32_dpp v5, v3 row_ror:8 row_mask:0xf bank_mask:0xf bound_ctrl:1
	v_mov_b32_dpp v9, v4 row_ror:8 row_mask:0xf bank_mask:0xf bound_ctrl:1
	s_and_saveexec_b64 s[10:11], vcc
	s_cbranch_execz .LBB416_34
; %bb.33:
	v_mov_b32_e32 v6, v9
	v_cmp_lt_i64_e32 vcc, v[1:2], v[7:8]
	v_cmp_lt_i64_e64 s[0:1], v[5:6], v[3:4]
	s_or_b64 vcc, vcc, s[0:1]
	v_cndmask_b32_e32 v2, v2, v8, vcc
	v_cndmask_b32_e32 v1, v1, v7, vcc
	;; [unrolled: 1-line block ×4, first 2 shown]
.LBB416_34:
	s_or_b64 exec, exec, s[10:11]
	v_mov_b32_dpp v7, v1 row_bcast:15 row_mask:0xf bank_mask:0xf bound_ctrl:1
	v_mov_b32_dpp v8, v2 row_bcast:15 row_mask:0xf bank_mask:0xf bound_ctrl:1
	v_cmp_ge_i64_e32 vcc, v[7:8], v[1:2]
	v_mov_b32_dpp v5, v3 row_bcast:15 row_mask:0xf bank_mask:0xf bound_ctrl:1
	v_mov_b32_dpp v9, v4 row_bcast:15 row_mask:0xf bank_mask:0xf bound_ctrl:1
	s_and_saveexec_b64 s[10:11], vcc
	s_cbranch_execz .LBB416_36
; %bb.35:
	v_mov_b32_e32 v6, v9
	v_cmp_lt_i64_e32 vcc, v[1:2], v[7:8]
	v_cmp_lt_i64_e64 s[0:1], v[5:6], v[3:4]
	s_or_b64 vcc, vcc, s[0:1]
	v_cndmask_b32_e32 v2, v2, v8, vcc
	v_cndmask_b32_e32 v1, v1, v7, vcc
	;; [unrolled: 1-line block ×4, first 2 shown]
.LBB416_36:
	s_or_b64 exec, exec, s[10:11]
	v_mov_b32_dpp v5, v1 row_bcast:31 row_mask:0xf bank_mask:0xf bound_ctrl:1
	v_mov_b32_dpp v6, v2 row_bcast:31 row_mask:0xf bank_mask:0xf bound_ctrl:1
	v_cmp_ge_i64_e32 vcc, v[5:6], v[1:2]
	v_mov_b32_dpp v7, v3 row_bcast:31 row_mask:0xf bank_mask:0xf bound_ctrl:1
	v_mov_b32_dpp v9, v4 row_bcast:31 row_mask:0xf bank_mask:0xf bound_ctrl:1
	s_and_saveexec_b64 s[10:11], vcc
	s_cbranch_execz .LBB416_38
; %bb.37:
	v_mov_b32_e32 v8, v9
	v_cmp_lt_i64_e32 vcc, v[1:2], v[5:6]
	v_cmp_lt_i64_e64 s[0:1], v[7:8], v[3:4]
	s_or_b64 vcc, vcc, s[0:1]
	v_cndmask_b32_e32 v1, v1, v5, vcc
	v_cndmask_b32_e32 v2, v2, v6, vcc
	;; [unrolled: 1-line block ×4, first 2 shown]
.LBB416_38:
	s_or_b64 exec, exec, s[10:11]
	v_mbcnt_lo_u32_b32 v5, -1, 0
	v_mbcnt_hi_u32_b32 v6, -1, v5
	v_lshlrev_b32_e32 v5, 2, v6
	v_or_b32_e32 v7, 0xfc, v5
	ds_bpermute_b32 v1, v7, v1
	ds_bpermute_b32 v2, v7, v2
	;; [unrolled: 1-line block ×4, first 2 shown]
	v_cmp_eq_u32_e32 vcc, 0, v6
	s_and_saveexec_b64 s[0:1], vcc
	s_cbranch_execz .LBB416_40
; %bb.39:
	v_lshrrev_b32_e32 v7, 2, v0
	v_and_b32_e32 v7, 16, v7
	s_waitcnt lgkmcnt(0)
	ds_write2_b64 v7, v[1:2], v[3:4] offset0:8 offset1:9
.LBB416_40:
	s_or_b64 exec, exec, s[0:1]
	v_cmp_gt_u32_e32 vcc, 64, v0
	s_waitcnt lgkmcnt(0)
	s_barrier
	s_and_saveexec_b64 s[10:11], vcc
	s_cbranch_execz .LBB416_42
; %bb.41:
	v_and_b32_e32 v1, 1, v6
	v_lshlrev_b32_e32 v1, 4, v1
	ds_read2_b64 v[1:4], v1 offset0:8 offset1:9
	v_or_b32_e32 v6, 4, v5
	s_waitcnt lgkmcnt(0)
	ds_bpermute_b32 v9, v6, v2
	ds_bpermute_b32 v10, v6, v4
	;; [unrolled: 1-line block ×4, first 2 shown]
	s_waitcnt lgkmcnt(3)
	v_mov_b32_e32 v6, v9
	s_waitcnt lgkmcnt(2)
	v_mov_b32_e32 v8, v10
	s_waitcnt lgkmcnt(1)
	v_cmp_lt_i64_e32 vcc, v[5:6], v[1:2]
	s_waitcnt lgkmcnt(0)
	v_cmp_lt_i64_e64 s[0:1], v[3:4], v[7:8]
	s_or_b64 vcc, vcc, s[0:1]
	v_cndmask_b32_e32 v8, v5, v1, vcc
	v_cndmask_b32_e32 v11, v9, v2, vcc
	;; [unrolled: 1-line block ×4, first 2 shown]
	v_cmp_lt_i64_e32 vcc, v[1:2], v[5:6]
	v_cndmask_b32_e32 v4, v4, v10, vcc
	v_cndmask_b32_e32 v3, v3, v7, vcc
	;; [unrolled: 1-line block ×4, first 2 shown]
.LBB416_42:
	s_or_b64 exec, exec, s[10:11]
	s_branch .LBB416_118
.LBB416_43:
                                        ; implicit-def: $vgpr1_vgpr2
	s_cbranch_execz .LBB416_86
; %bb.44:
	s_sub_i32 s31, s22, s8
	v_mov_b32_e32 v23, 0
	v_mov_b32_e32 v3, 0
	v_mov_b32_e32 v1, 0
	v_mov_b32_e32 v24, 0
	v_mov_b32_e32 v4, 0
	v_mov_b32_e32 v2, 0
	v_cmp_gt_u32_e32 vcc, s31, v0
	s_and_saveexec_b64 s[0:1], vcc
	s_cbranch_execz .LBB416_46
; %bb.45:
	v_lshlrev_b32_e32 v1, 4, v0
	global_load_dwordx4 v[1:4], v1, s[16:17]
.LBB416_46:
	s_or_b64 exec, exec, s[0:1]
	v_or_b32_e32 v5, 0x80, v0
	v_mov_b32_e32 v21, 0
	v_mov_b32_e32 v22, 0
	v_cmp_gt_u32_e64 s[14:15], s31, v5
	s_and_saveexec_b64 s[0:1], s[14:15]
	s_cbranch_execz .LBB416_48
; %bb.47:
	v_lshlrev_b32_e32 v5, 4, v0
	global_load_dwordx4 v[21:24], v5, s[16:17] offset:2048
.LBB416_48:
	s_or_b64 exec, exec, s[0:1]
	v_or_b32_e32 v5, 0x100, v0
	v_mov_b32_e32 v15, 0
	v_mov_b32_e32 v31, 0
	;; [unrolled: 1-line block ×6, first 2 shown]
	v_cmp_gt_u32_e64 s[12:13], s31, v5
	s_and_saveexec_b64 s[0:1], s[12:13]
	s_cbranch_execz .LBB416_50
; %bb.49:
	v_lshlrev_b32_e32 v5, 4, v5
	global_load_dwordx4 v[29:32], v5, s[16:17]
.LBB416_50:
	s_or_b64 exec, exec, s[0:1]
	v_or_b32_e32 v5, 0x180, v0
	v_mov_b32_e32 v13, 0
	v_mov_b32_e32 v14, 0
	v_cmp_gt_u32_e64 s[10:11], s31, v5
	s_and_saveexec_b64 s[0:1], s[10:11]
	s_cbranch_execz .LBB416_52
; %bb.51:
	v_lshlrev_b32_e32 v5, 4, v5
	global_load_dwordx4 v[13:16], v5, s[16:17]
.LBB416_52:
	s_or_b64 exec, exec, s[0:1]
	v_or_b32_e32 v5, 0x200, v0
	v_mov_b32_e32 v11, 0
	v_mov_b32_e32 v27, 0
	;; [unrolled: 1-line block ×6, first 2 shown]
	v_cmp_gt_u32_e64 s[8:9], s31, v5
	s_and_saveexec_b64 s[0:1], s[8:9]
	s_cbranch_execz .LBB416_54
; %bb.53:
	v_lshlrev_b32_e32 v5, 4, v5
	global_load_dwordx4 v[25:28], v5, s[16:17]
.LBB416_54:
	s_or_b64 exec, exec, s[0:1]
	v_or_b32_e32 v5, 0x280, v0
	v_mov_b32_e32 v9, 0
	v_mov_b32_e32 v10, 0
	v_cmp_gt_u32_e64 s[2:3], s31, v5
	s_and_saveexec_b64 s[0:1], s[2:3]
	s_cbranch_execz .LBB416_56
; %bb.55:
	v_lshlrev_b32_e32 v5, 4, v5
	global_load_dwordx4 v[9:12], v5, s[16:17]
.LBB416_56:
	s_or_b64 exec, exec, s[0:1]
	v_or_b32_e32 v5, 0x300, v0
	v_mov_b32_e32 v7, 0
	v_mov_b32_e32 v19, 0
	;; [unrolled: 1-line block ×6, first 2 shown]
	v_cmp_gt_u32_e64 s[0:1], s31, v5
	s_and_saveexec_b64 s[28:29], s[0:1]
	s_cbranch_execz .LBB416_58
; %bb.57:
	v_lshlrev_b32_e32 v5, 4, v5
	global_load_dwordx4 v[17:20], v5, s[16:17]
.LBB416_58:
	s_or_b64 exec, exec, s[28:29]
	v_or_b32_e32 v33, 0x380, v0
	v_mov_b32_e32 v5, 0
	v_mov_b32_e32 v6, 0
	v_cmp_gt_u32_e32 vcc, s31, v33
	s_and_saveexec_b64 s[28:29], vcc
	s_cbranch_execnz .LBB416_212
; %bb.59:
	s_or_b64 exec, exec, s[28:29]
	s_and_saveexec_b64 s[28:29], s[14:15]
	s_cbranch_execnz .LBB416_213
.LBB416_60:
	s_or_b64 exec, exec, s[28:29]
	s_and_saveexec_b64 s[16:17], s[12:13]
	s_cbranch_execnz .LBB416_214
.LBB416_61:
	s_or_b64 exec, exec, s[16:17]
	s_and_saveexec_b64 s[14:15], s[10:11]
	s_cbranch_execnz .LBB416_215
.LBB416_62:
	s_or_b64 exec, exec, s[14:15]
	s_and_saveexec_b64 s[12:13], s[8:9]
	s_cbranch_execnz .LBB416_216
.LBB416_63:
	s_or_b64 exec, exec, s[12:13]
	s_and_saveexec_b64 s[10:11], s[2:3]
	s_cbranch_execnz .LBB416_217
.LBB416_64:
	s_or_b64 exec, exec, s[10:11]
	s_and_saveexec_b64 s[8:9], s[0:1]
	s_cbranch_execnz .LBB416_218
.LBB416_65:
	s_or_b64 exec, exec, s[8:9]
	s_and_saveexec_b64 s[2:3], vcc
	s_cbranch_execz .LBB416_67
.LBB416_66:
	s_waitcnt vmcnt(0)
	v_cmp_lt_i64_e32 vcc, v[5:6], v[1:2]
	v_cmp_lt_i64_e64 s[0:1], v[3:4], v[7:8]
	s_or_b64 vcc, vcc, s[0:1]
	v_cndmask_b32_e32 v9, v5, v1, vcc
	v_cndmask_b32_e32 v10, v6, v2, vcc
	;; [unrolled: 1-line block ×4, first 2 shown]
	v_cmp_lt_i64_e32 vcc, v[1:2], v[5:6]
	v_cndmask_b32_e32 v4, v4, v8, vcc
	v_cndmask_b32_e32 v3, v3, v7, vcc
	v_cndmask_b32_e32 v2, v10, v6, vcc
	v_cndmask_b32_e32 v1, v9, v5, vcc
.LBB416_67:
	s_or_b64 exec, exec, s[2:3]
	s_waitcnt vmcnt(0)
	v_mbcnt_lo_u32_b32 v5, -1, 0
	v_mbcnt_hi_u32_b32 v9, -1, v5
	v_and_b32_e32 v10, 63, v9
	v_cmp_ne_u32_e32 vcc, 63, v10
	v_addc_co_u32_e32 v5, vcc, 0, v9, vcc
	v_lshlrev_b32_e32 v6, 2, v5
	ds_bpermute_b32 v5, v6, v1
	ds_bpermute_b32 v12, v6, v2
	;; [unrolled: 1-line block ×4, first 2 shown]
	s_min_u32 s8, s31, 0x80
	v_and_b32_e32 v6, 64, v0
	v_sub_u32_e64 v11, s8, v6 clamp
	v_add_u32_e32 v6, 1, v10
	v_cmp_lt_u32_e32 vcc, v6, v11
	s_and_saveexec_b64 s[0:1], vcc
	s_xor_b64 s[2:3], exec, s[0:1]
	s_cbranch_execz .LBB416_69
; %bb.68:
	s_waitcnt lgkmcnt(0)
	v_mov_b32_e32 v8, v13
	v_mov_b32_e32 v6, v12
	v_cmp_lt_i64_e32 vcc, v[5:6], v[1:2]
	v_cmp_lt_i64_e64 s[0:1], v[3:4], v[7:8]
	s_or_b64 vcc, vcc, s[0:1]
	v_cndmask_b32_e32 v8, v5, v1, vcc
	v_cndmask_b32_e32 v14, v12, v2, vcc
	v_cndmask_b32_e32 v3, v7, v3, vcc
	v_cndmask_b32_e32 v4, v13, v4, vcc
	v_cmp_lt_i64_e32 vcc, v[1:2], v[5:6]
	v_cndmask_b32_e32 v4, v4, v13, vcc
	v_cndmask_b32_e32 v3, v3, v7, vcc
	v_cndmask_b32_e32 v2, v14, v12, vcc
	v_cndmask_b32_e32 v1, v8, v5, vcc
.LBB416_69:
	s_or_b64 exec, exec, s[2:3]
	v_cmp_gt_u32_e32 vcc, 62, v10
	s_waitcnt lgkmcnt(3)
	v_cndmask_b32_e64 v5, 0, 2, vcc
	v_add_lshl_u32 v6, v5, v9, 2
	ds_bpermute_b32 v5, v6, v1
	s_waitcnt lgkmcnt(3)
	ds_bpermute_b32 v12, v6, v2
	s_waitcnt lgkmcnt(3)
	ds_bpermute_b32 v7, v6, v3
	s_waitcnt lgkmcnt(3)
	ds_bpermute_b32 v13, v6, v4
	v_add_u32_e32 v6, 2, v10
	v_cmp_lt_u32_e32 vcc, v6, v11
	s_and_saveexec_b64 s[2:3], vcc
	s_cbranch_execz .LBB416_71
; %bb.70:
	s_waitcnt lgkmcnt(0)
	v_mov_b32_e32 v8, v13
	v_mov_b32_e32 v6, v12
	v_cmp_lt_i64_e32 vcc, v[5:6], v[1:2]
	v_cmp_lt_i64_e64 s[0:1], v[3:4], v[7:8]
	s_or_b64 vcc, vcc, s[0:1]
	v_cndmask_b32_e32 v8, v5, v1, vcc
	v_cndmask_b32_e32 v14, v12, v2, vcc
	v_cndmask_b32_e32 v3, v7, v3, vcc
	v_cndmask_b32_e32 v4, v13, v4, vcc
	v_cmp_lt_i64_e32 vcc, v[1:2], v[5:6]
	v_cndmask_b32_e32 v4, v4, v13, vcc
	v_cndmask_b32_e32 v3, v3, v7, vcc
	v_cndmask_b32_e32 v2, v14, v12, vcc
	v_cndmask_b32_e32 v1, v8, v5, vcc
.LBB416_71:
	s_or_b64 exec, exec, s[2:3]
	v_cmp_gt_u32_e32 vcc, 60, v10
	s_waitcnt lgkmcnt(3)
	v_cndmask_b32_e64 v5, 0, 4, vcc
	v_add_lshl_u32 v6, v5, v9, 2
	ds_bpermute_b32 v5, v6, v1
	s_waitcnt lgkmcnt(3)
	ds_bpermute_b32 v12, v6, v2
	s_waitcnt lgkmcnt(3)
	ds_bpermute_b32 v7, v6, v3
	s_waitcnt lgkmcnt(3)
	ds_bpermute_b32 v13, v6, v4
	v_add_u32_e32 v6, 4, v10
	v_cmp_lt_u32_e32 vcc, v6, v11
	s_and_saveexec_b64 s[2:3], vcc
	;; [unrolled: 33-line block ×4, first 2 shown]
	s_cbranch_execz .LBB416_77
; %bb.76:
	s_waitcnt lgkmcnt(0)
	v_mov_b32_e32 v8, v13
	v_mov_b32_e32 v6, v12
	v_cmp_lt_i64_e32 vcc, v[5:6], v[1:2]
	v_cmp_lt_i64_e64 s[0:1], v[3:4], v[7:8]
	s_or_b64 vcc, vcc, s[0:1]
	v_cndmask_b32_e32 v8, v5, v1, vcc
	v_cndmask_b32_e32 v14, v12, v2, vcc
	;; [unrolled: 1-line block ×4, first 2 shown]
	v_cmp_lt_i64_e32 vcc, v[1:2], v[5:6]
	v_cndmask_b32_e32 v4, v4, v13, vcc
	v_cndmask_b32_e32 v3, v3, v7, vcc
	;; [unrolled: 1-line block ×4, first 2 shown]
.LBB416_77:
	s_or_b64 exec, exec, s[2:3]
	s_waitcnt lgkmcnt(2)
	v_lshlrev_b32_e32 v12, 2, v9
	v_or_b32_e32 v6, 0x80, v12
	ds_bpermute_b32 v5, v6, v1
	s_waitcnt lgkmcnt(1)
	ds_bpermute_b32 v13, v6, v2
	ds_bpermute_b32 v7, v6, v3
	;; [unrolled: 1-line block ×3, first 2 shown]
	v_add_u32_e32 v6, 32, v10
	v_cmp_lt_u32_e32 vcc, v6, v11
	s_and_saveexec_b64 s[2:3], vcc
	s_cbranch_execz .LBB416_79
; %bb.78:
	s_waitcnt lgkmcnt(2)
	v_mov_b32_e32 v6, v13
	s_waitcnt lgkmcnt(0)
	v_cmp_lt_i64_e32 vcc, v[3:4], v[7:8]
	v_cmp_lt_i64_e64 s[0:1], v[5:6], v[1:2]
	s_or_b64 vcc, s[0:1], vcc
	v_cndmask_b32_e32 v10, v5, v1, vcc
	v_cndmask_b32_e32 v11, v13, v2, vcc
	;; [unrolled: 1-line block ×4, first 2 shown]
	v_cmp_lt_i64_e32 vcc, v[1:2], v[5:6]
	v_cndmask_b32_e32 v4, v4, v8, vcc
	v_cndmask_b32_e32 v3, v3, v7, vcc
	;; [unrolled: 1-line block ×4, first 2 shown]
.LBB416_79:
	s_or_b64 exec, exec, s[2:3]
	v_cmp_eq_u32_e32 vcc, 0, v9
	s_and_saveexec_b64 s[0:1], vcc
	s_cbranch_execz .LBB416_81
; %bb.80:
	s_waitcnt lgkmcnt(3)
	v_lshrrev_b32_e32 v5, 2, v0
	v_and_b32_e32 v5, 16, v5
	ds_write2_b64 v5, v[1:2], v[3:4] offset0:16 offset1:17
.LBB416_81:
	s_or_b64 exec, exec, s[0:1]
	v_cmp_gt_u32_e32 vcc, 2, v0
	s_waitcnt lgkmcnt(0)
	s_barrier
	s_and_saveexec_b64 s[2:3], vcc
	s_cbranch_execz .LBB416_85
; %bb.82:
	v_lshlrev_b32_e32 v1, 4, v9
	ds_read2_b64 v[1:4], v1 offset0:16 offset1:17
	v_or_b32_e32 v6, 4, v12
	s_add_i32 s8, s8, 63
	s_lshr_b32 s0, s8, 6
	s_waitcnt lgkmcnt(0)
	ds_bpermute_b32 v5, v6, v1
	ds_bpermute_b32 v10, v6, v2
	;; [unrolled: 1-line block ×4, first 2 shown]
	v_and_b32_e32 v6, 1, v9
	v_add_u32_e32 v6, 1, v6
	v_cmp_gt_u32_e32 vcc, s0, v6
	s_and_saveexec_b64 s[8:9], vcc
	s_cbranch_execz .LBB416_84
; %bb.83:
	s_waitcnt lgkmcnt(2)
	v_mov_b32_e32 v6, v10
	s_waitcnt lgkmcnt(0)
	v_cmp_lt_i64_e32 vcc, v[3:4], v[7:8]
	v_cmp_lt_i64_e64 s[0:1], v[5:6], v[1:2]
	s_or_b64 vcc, s[0:1], vcc
	v_cndmask_b32_e32 v9, v5, v1, vcc
	v_cndmask_b32_e32 v11, v10, v2, vcc
	;; [unrolled: 1-line block ×4, first 2 shown]
	v_cmp_lt_i64_e32 vcc, v[1:2], v[5:6]
	v_cndmask_b32_e32 v4, v4, v8, vcc
	v_cndmask_b32_e32 v3, v3, v7, vcc
	;; [unrolled: 1-line block ×4, first 2 shown]
.LBB416_84:
	s_or_b64 exec, exec, s[8:9]
.LBB416_85:
	s_or_b64 exec, exec, s[2:3]
.LBB416_86:
	s_waitcnt lgkmcnt(3)
	v_mov_b32_e32 v5, s6
	v_cmp_eq_u32_e64 s[0:1], 0, v0
	v_mov_b32_e32 v6, s7
	s_and_b64 vcc, exec, s[18:19]
	s_cbranch_vccnz .LBB416_24
	s_branch .LBB416_119
.LBB416_87:
                                        ; implicit-def: $vgpr1_vgpr2
	s_cbranch_execz .LBB416_118
; %bb.88:
	s_sub_i32 s12, s22, s2
	v_mov_b32_e32 v11, 0
	v_mov_b32_e32 v3, 0
	;; [unrolled: 1-line block ×6, first 2 shown]
	v_cmp_gt_u32_e32 vcc, s12, v0
	s_and_saveexec_b64 s[0:1], vcc
	s_cbranch_execz .LBB416_90
; %bb.89:
	v_lshlrev_b32_e32 v1, 4, v0
	global_load_dwordx4 v[1:4], v1, s[8:9]
.LBB416_90:
	s_or_b64 exec, exec, s[0:1]
	v_or_b32_e32 v5, 0x80, v0
	s_waitcnt lgkmcnt(2)
	v_mov_b32_e32 v9, 0
	v_mov_b32_e32 v10, 0
	v_cmp_gt_u32_e64 s[2:3], s12, v5
	s_and_saveexec_b64 s[0:1], s[2:3]
	s_cbranch_execz .LBB416_92
; %bb.91:
	v_lshlrev_b32_e32 v5, 4, v0
	global_load_dwordx4 v[9:12], v5, s[8:9] offset:2048
.LBB416_92:
	s_or_b64 exec, exec, s[0:1]
	v_or_b32_e32 v5, 0x100, v0
	s_waitcnt lgkmcnt(0)
	v_mov_b32_e32 v7, 0
	v_mov_b32_e32 v15, 0
	;; [unrolled: 1-line block ×6, first 2 shown]
	v_cmp_gt_u32_e64 s[0:1], s12, v5
	s_and_saveexec_b64 s[10:11], s[0:1]
	s_cbranch_execz .LBB416_94
; %bb.93:
	v_lshlrev_b32_e32 v5, 4, v5
	global_load_dwordx4 v[13:16], v5, s[8:9]
.LBB416_94:
	s_or_b64 exec, exec, s[10:11]
	v_or_b32_e32 v17, 0x180, v0
	v_mov_b32_e32 v5, 0
	v_mov_b32_e32 v6, 0
	v_cmp_gt_u32_e32 vcc, s12, v17
	s_and_saveexec_b64 s[10:11], vcc
	s_cbranch_execnz .LBB416_219
; %bb.95:
	s_or_b64 exec, exec, s[10:11]
	s_and_saveexec_b64 s[10:11], s[2:3]
	s_cbranch_execnz .LBB416_220
.LBB416_96:
	s_or_b64 exec, exec, s[10:11]
	s_and_saveexec_b64 s[8:9], s[0:1]
	s_cbranch_execnz .LBB416_221
.LBB416_97:
	s_or_b64 exec, exec, s[8:9]
	s_and_saveexec_b64 s[2:3], vcc
	s_cbranch_execz .LBB416_99
.LBB416_98:
	s_waitcnt vmcnt(0)
	v_cmp_lt_i64_e32 vcc, v[5:6], v[1:2]
	v_cmp_lt_i64_e64 s[0:1], v[3:4], v[7:8]
	s_or_b64 vcc, vcc, s[0:1]
	v_cndmask_b32_e32 v9, v5, v1, vcc
	v_cndmask_b32_e32 v10, v6, v2, vcc
	;; [unrolled: 1-line block ×4, first 2 shown]
	v_cmp_lt_i64_e32 vcc, v[1:2], v[5:6]
	v_cndmask_b32_e32 v4, v4, v8, vcc
	v_cndmask_b32_e32 v3, v3, v7, vcc
	;; [unrolled: 1-line block ×4, first 2 shown]
.LBB416_99:
	s_or_b64 exec, exec, s[2:3]
	s_waitcnt vmcnt(0)
	v_mbcnt_lo_u32_b32 v5, -1, 0
	v_mbcnt_hi_u32_b32 v9, -1, v5
	v_and_b32_e32 v10, 63, v9
	v_cmp_ne_u32_e32 vcc, 63, v10
	v_addc_co_u32_e32 v5, vcc, 0, v9, vcc
	v_lshlrev_b32_e32 v6, 2, v5
	ds_bpermute_b32 v5, v6, v1
	ds_bpermute_b32 v12, v6, v2
	;; [unrolled: 1-line block ×4, first 2 shown]
	s_min_u32 s8, s12, 0x80
	v_and_b32_e32 v6, 64, v0
	v_sub_u32_e64 v11, s8, v6 clamp
	v_add_u32_e32 v6, 1, v10
	v_cmp_lt_u32_e32 vcc, v6, v11
	s_and_saveexec_b64 s[0:1], vcc
	s_xor_b64 s[2:3], exec, s[0:1]
	s_cbranch_execz .LBB416_101
; %bb.100:
	s_waitcnt lgkmcnt(0)
	v_mov_b32_e32 v8, v13
	v_mov_b32_e32 v6, v12
	v_cmp_lt_i64_e32 vcc, v[5:6], v[1:2]
	v_cmp_lt_i64_e64 s[0:1], v[3:4], v[7:8]
	s_or_b64 vcc, vcc, s[0:1]
	v_cndmask_b32_e32 v8, v5, v1, vcc
	v_cndmask_b32_e32 v14, v12, v2, vcc
	v_cndmask_b32_e32 v3, v7, v3, vcc
	v_cndmask_b32_e32 v4, v13, v4, vcc
	v_cmp_lt_i64_e32 vcc, v[1:2], v[5:6]
	v_cndmask_b32_e32 v4, v4, v13, vcc
	v_cndmask_b32_e32 v3, v3, v7, vcc
	v_cndmask_b32_e32 v2, v14, v12, vcc
	v_cndmask_b32_e32 v1, v8, v5, vcc
.LBB416_101:
	s_or_b64 exec, exec, s[2:3]
	v_cmp_gt_u32_e32 vcc, 62, v10
	s_waitcnt lgkmcnt(3)
	v_cndmask_b32_e64 v5, 0, 2, vcc
	v_add_lshl_u32 v6, v5, v9, 2
	ds_bpermute_b32 v5, v6, v1
	s_waitcnt lgkmcnt(3)
	ds_bpermute_b32 v12, v6, v2
	s_waitcnt lgkmcnt(3)
	ds_bpermute_b32 v7, v6, v3
	s_waitcnt lgkmcnt(3)
	ds_bpermute_b32 v13, v6, v4
	v_add_u32_e32 v6, 2, v10
	v_cmp_lt_u32_e32 vcc, v6, v11
	s_and_saveexec_b64 s[2:3], vcc
	s_cbranch_execz .LBB416_103
; %bb.102:
	s_waitcnt lgkmcnt(0)
	v_mov_b32_e32 v8, v13
	v_mov_b32_e32 v6, v12
	v_cmp_lt_i64_e32 vcc, v[5:6], v[1:2]
	v_cmp_lt_i64_e64 s[0:1], v[3:4], v[7:8]
	s_or_b64 vcc, vcc, s[0:1]
	v_cndmask_b32_e32 v8, v5, v1, vcc
	v_cndmask_b32_e32 v14, v12, v2, vcc
	v_cndmask_b32_e32 v3, v7, v3, vcc
	v_cndmask_b32_e32 v4, v13, v4, vcc
	v_cmp_lt_i64_e32 vcc, v[1:2], v[5:6]
	v_cndmask_b32_e32 v4, v4, v13, vcc
	v_cndmask_b32_e32 v3, v3, v7, vcc
	v_cndmask_b32_e32 v2, v14, v12, vcc
	v_cndmask_b32_e32 v1, v8, v5, vcc
.LBB416_103:
	s_or_b64 exec, exec, s[2:3]
	v_cmp_gt_u32_e32 vcc, 60, v10
	s_waitcnt lgkmcnt(3)
	v_cndmask_b32_e64 v5, 0, 4, vcc
	v_add_lshl_u32 v6, v5, v9, 2
	ds_bpermute_b32 v5, v6, v1
	s_waitcnt lgkmcnt(3)
	ds_bpermute_b32 v12, v6, v2
	s_waitcnt lgkmcnt(3)
	ds_bpermute_b32 v7, v6, v3
	s_waitcnt lgkmcnt(3)
	ds_bpermute_b32 v13, v6, v4
	v_add_u32_e32 v6, 4, v10
	v_cmp_lt_u32_e32 vcc, v6, v11
	s_and_saveexec_b64 s[2:3], vcc
	;; [unrolled: 33-line block ×4, first 2 shown]
	s_cbranch_execz .LBB416_109
; %bb.108:
	s_waitcnt lgkmcnt(0)
	v_mov_b32_e32 v8, v13
	v_mov_b32_e32 v6, v12
	v_cmp_lt_i64_e32 vcc, v[5:6], v[1:2]
	v_cmp_lt_i64_e64 s[0:1], v[3:4], v[7:8]
	s_or_b64 vcc, vcc, s[0:1]
	v_cndmask_b32_e32 v8, v5, v1, vcc
	v_cndmask_b32_e32 v14, v12, v2, vcc
	;; [unrolled: 1-line block ×4, first 2 shown]
	v_cmp_lt_i64_e32 vcc, v[1:2], v[5:6]
	v_cndmask_b32_e32 v4, v4, v13, vcc
	v_cndmask_b32_e32 v3, v3, v7, vcc
	;; [unrolled: 1-line block ×4, first 2 shown]
.LBB416_109:
	s_or_b64 exec, exec, s[2:3]
	s_waitcnt lgkmcnt(2)
	v_lshlrev_b32_e32 v12, 2, v9
	v_or_b32_e32 v6, 0x80, v12
	ds_bpermute_b32 v5, v6, v1
	s_waitcnt lgkmcnt(1)
	ds_bpermute_b32 v13, v6, v2
	ds_bpermute_b32 v7, v6, v3
	;; [unrolled: 1-line block ×3, first 2 shown]
	v_add_u32_e32 v6, 32, v10
	v_cmp_lt_u32_e32 vcc, v6, v11
	s_and_saveexec_b64 s[2:3], vcc
	s_cbranch_execz .LBB416_111
; %bb.110:
	s_waitcnt lgkmcnt(2)
	v_mov_b32_e32 v6, v13
	s_waitcnt lgkmcnt(0)
	v_cmp_lt_i64_e32 vcc, v[3:4], v[7:8]
	v_cmp_lt_i64_e64 s[0:1], v[5:6], v[1:2]
	s_or_b64 vcc, s[0:1], vcc
	v_cndmask_b32_e32 v10, v5, v1, vcc
	v_cndmask_b32_e32 v11, v13, v2, vcc
	;; [unrolled: 1-line block ×4, first 2 shown]
	v_cmp_lt_i64_e32 vcc, v[1:2], v[5:6]
	v_cndmask_b32_e32 v4, v4, v8, vcc
	v_cndmask_b32_e32 v3, v3, v7, vcc
	;; [unrolled: 1-line block ×4, first 2 shown]
.LBB416_111:
	s_or_b64 exec, exec, s[2:3]
	v_cmp_eq_u32_e32 vcc, 0, v9
	s_and_saveexec_b64 s[0:1], vcc
	s_cbranch_execz .LBB416_113
; %bb.112:
	s_waitcnt lgkmcnt(3)
	v_lshrrev_b32_e32 v5, 2, v0
	v_and_b32_e32 v5, 16, v5
	ds_write2_b64 v5, v[1:2], v[3:4] offset0:16 offset1:17
.LBB416_113:
	s_or_b64 exec, exec, s[0:1]
	v_cmp_gt_u32_e32 vcc, 2, v0
	s_waitcnt lgkmcnt(0)
	s_barrier
	s_and_saveexec_b64 s[2:3], vcc
	s_cbranch_execz .LBB416_117
; %bb.114:
	v_lshlrev_b32_e32 v1, 4, v9
	ds_read2_b64 v[1:4], v1 offset0:16 offset1:17
	v_or_b32_e32 v6, 4, v12
	s_add_i32 s8, s8, 63
	s_lshr_b32 s0, s8, 6
	s_waitcnt lgkmcnt(0)
	ds_bpermute_b32 v5, v6, v1
	ds_bpermute_b32 v10, v6, v2
	;; [unrolled: 1-line block ×4, first 2 shown]
	v_and_b32_e32 v6, 1, v9
	v_add_u32_e32 v6, 1, v6
	v_cmp_gt_u32_e32 vcc, s0, v6
	s_and_saveexec_b64 s[8:9], vcc
	s_cbranch_execz .LBB416_116
; %bb.115:
	s_waitcnt lgkmcnt(2)
	v_mov_b32_e32 v6, v10
	s_waitcnt lgkmcnt(0)
	v_cmp_lt_i64_e32 vcc, v[3:4], v[7:8]
	v_cmp_lt_i64_e64 s[0:1], v[5:6], v[1:2]
	s_or_b64 vcc, s[0:1], vcc
	v_cndmask_b32_e32 v9, v5, v1, vcc
	v_cndmask_b32_e32 v11, v10, v2, vcc
	;; [unrolled: 1-line block ×4, first 2 shown]
	v_cmp_lt_i64_e32 vcc, v[1:2], v[5:6]
	v_cndmask_b32_e32 v4, v4, v8, vcc
	v_cndmask_b32_e32 v3, v3, v7, vcc
	;; [unrolled: 1-line block ×4, first 2 shown]
.LBB416_116:
	s_or_b64 exec, exec, s[8:9]
.LBB416_117:
	s_or_b64 exec, exec, s[2:3]
.LBB416_118:
	s_waitcnt lgkmcnt(3)
	v_mov_b32_e32 v5, s6
	v_cmp_eq_u32_e64 s[0:1], 0, v0
	v_mov_b32_e32 v6, s7
.LBB416_119:
	s_branch .LBB416_209
.LBB416_120:
	s_cmp_gt_i32 s30, 1
	s_cbranch_scc0 .LBB416_140
; %bb.121:
	s_cmp_eq_u32 s30, 2
                                        ; implicit-def: $vgpr3_vgpr4
                                        ; implicit-def: $vgpr5_vgpr6
	s_cbranch_scc0 .LBB416_141
; %bb.122:
	s_mov_b32 s7, 0
	s_lshl_b32 s8, s6, 8
	s_mov_b32 s9, s7
	s_lshr_b64 s[0:1], s[22:23], 8
	s_lshl_b64 s[2:3], s[8:9], 4
	s_add_u32 s2, s20, s2
	s_addc_u32 s3, s21, s3
	s_cmp_lg_u64 s[0:1], s[6:7]
	s_cbranch_scc0 .LBB416_142
; %bb.123:
	v_lshlrev_b32_e32 v9, 4, v0
	global_load_dwordx4 v[1:4], v9, s[2:3]
	s_waitcnt lgkmcnt(0)
	global_load_dwordx4 v[5:8], v9, s[2:3] offset:2048
	s_waitcnt vmcnt(0)
	v_cmp_lt_i64_e32 vcc, v[5:6], v[1:2]
	v_cmp_lt_i64_e64 s[0:1], v[3:4], v[7:8]
	s_or_b64 vcc, vcc, s[0:1]
	v_cndmask_b32_e32 v9, v5, v1, vcc
	v_cndmask_b32_e32 v10, v6, v2, vcc
	;; [unrolled: 1-line block ×4, first 2 shown]
	v_cmp_lt_i64_e32 vcc, v[1:2], v[5:6]
	v_cndmask_b32_e32 v2, v10, v6, vcc
	v_cndmask_b32_e32 v1, v9, v5, vcc
	;; [unrolled: 1-line block ×4, first 2 shown]
	v_mov_b32_dpp v8, v2 quad_perm:[1,0,3,2] row_mask:0xf bank_mask:0xf bound_ctrl:1
	v_mov_b32_dpp v7, v1 quad_perm:[1,0,3,2] row_mask:0xf bank_mask:0xf bound_ctrl:1
	v_cmp_ge_i64_e32 vcc, v[7:8], v[1:2]
	v_mov_b32_dpp v5, v3 quad_perm:[1,0,3,2] row_mask:0xf bank_mask:0xf bound_ctrl:1
	v_mov_b32_dpp v9, v4 quad_perm:[1,0,3,2] row_mask:0xf bank_mask:0xf bound_ctrl:1
	s_and_saveexec_b64 s[10:11], vcc
	s_cbranch_execz .LBB416_125
; %bb.124:
	v_mov_b32_e32 v6, v9
	v_cmp_lt_i64_e32 vcc, v[1:2], v[7:8]
	v_cmp_lt_i64_e64 s[0:1], v[5:6], v[3:4]
	s_or_b64 vcc, vcc, s[0:1]
	v_cndmask_b32_e32 v2, v2, v8, vcc
	v_cndmask_b32_e32 v1, v1, v7, vcc
	;; [unrolled: 1-line block ×4, first 2 shown]
.LBB416_125:
	s_or_b64 exec, exec, s[10:11]
	v_mov_b32_dpp v7, v1 quad_perm:[2,3,0,1] row_mask:0xf bank_mask:0xf bound_ctrl:1
	v_mov_b32_dpp v8, v2 quad_perm:[2,3,0,1] row_mask:0xf bank_mask:0xf bound_ctrl:1
	v_cmp_ge_i64_e32 vcc, v[7:8], v[1:2]
	v_mov_b32_dpp v5, v3 quad_perm:[2,3,0,1] row_mask:0xf bank_mask:0xf bound_ctrl:1
	v_mov_b32_dpp v9, v4 quad_perm:[2,3,0,1] row_mask:0xf bank_mask:0xf bound_ctrl:1
	s_and_saveexec_b64 s[10:11], vcc
	s_cbranch_execz .LBB416_127
; %bb.126:
	v_mov_b32_e32 v6, v9
	v_cmp_lt_i64_e32 vcc, v[1:2], v[7:8]
	v_cmp_lt_i64_e64 s[0:1], v[5:6], v[3:4]
	s_or_b64 vcc, vcc, s[0:1]
	v_cndmask_b32_e32 v2, v2, v8, vcc
	v_cndmask_b32_e32 v1, v1, v7, vcc
	;; [unrolled: 1-line block ×4, first 2 shown]
.LBB416_127:
	s_or_b64 exec, exec, s[10:11]
	v_mov_b32_dpp v7, v1 row_ror:4 row_mask:0xf bank_mask:0xf bound_ctrl:1
	v_mov_b32_dpp v8, v2 row_ror:4 row_mask:0xf bank_mask:0xf bound_ctrl:1
	v_cmp_ge_i64_e32 vcc, v[7:8], v[1:2]
	v_mov_b32_dpp v5, v3 row_ror:4 row_mask:0xf bank_mask:0xf bound_ctrl:1
	v_mov_b32_dpp v9, v4 row_ror:4 row_mask:0xf bank_mask:0xf bound_ctrl:1
	s_and_saveexec_b64 s[10:11], vcc
	s_cbranch_execz .LBB416_129
; %bb.128:
	v_mov_b32_e32 v6, v9
	v_cmp_lt_i64_e32 vcc, v[1:2], v[7:8]
	v_cmp_lt_i64_e64 s[0:1], v[5:6], v[3:4]
	s_or_b64 vcc, vcc, s[0:1]
	v_cndmask_b32_e32 v2, v2, v8, vcc
	v_cndmask_b32_e32 v1, v1, v7, vcc
	v_cndmask_b32_e32 v4, v4, v9, vcc
	v_cndmask_b32_e32 v3, v3, v5, vcc
.LBB416_129:
	s_or_b64 exec, exec, s[10:11]
	v_mov_b32_dpp v7, v1 row_ror:8 row_mask:0xf bank_mask:0xf bound_ctrl:1
	v_mov_b32_dpp v8, v2 row_ror:8 row_mask:0xf bank_mask:0xf bound_ctrl:1
	v_cmp_ge_i64_e32 vcc, v[7:8], v[1:2]
	v_mov_b32_dpp v5, v3 row_ror:8 row_mask:0xf bank_mask:0xf bound_ctrl:1
	v_mov_b32_dpp v9, v4 row_ror:8 row_mask:0xf bank_mask:0xf bound_ctrl:1
	s_and_saveexec_b64 s[10:11], vcc
	s_cbranch_execz .LBB416_131
; %bb.130:
	v_mov_b32_e32 v6, v9
	v_cmp_lt_i64_e32 vcc, v[1:2], v[7:8]
	v_cmp_lt_i64_e64 s[0:1], v[5:6], v[3:4]
	s_or_b64 vcc, vcc, s[0:1]
	v_cndmask_b32_e32 v2, v2, v8, vcc
	v_cndmask_b32_e32 v1, v1, v7, vcc
	;; [unrolled: 1-line block ×4, first 2 shown]
.LBB416_131:
	s_or_b64 exec, exec, s[10:11]
	v_mov_b32_dpp v7, v1 row_bcast:15 row_mask:0xf bank_mask:0xf bound_ctrl:1
	v_mov_b32_dpp v8, v2 row_bcast:15 row_mask:0xf bank_mask:0xf bound_ctrl:1
	v_cmp_ge_i64_e32 vcc, v[7:8], v[1:2]
	v_mov_b32_dpp v5, v3 row_bcast:15 row_mask:0xf bank_mask:0xf bound_ctrl:1
	v_mov_b32_dpp v9, v4 row_bcast:15 row_mask:0xf bank_mask:0xf bound_ctrl:1
	s_and_saveexec_b64 s[10:11], vcc
	s_cbranch_execz .LBB416_133
; %bb.132:
	v_mov_b32_e32 v6, v9
	v_cmp_lt_i64_e32 vcc, v[1:2], v[7:8]
	v_cmp_lt_i64_e64 s[0:1], v[5:6], v[3:4]
	s_or_b64 vcc, vcc, s[0:1]
	v_cndmask_b32_e32 v2, v2, v8, vcc
	v_cndmask_b32_e32 v1, v1, v7, vcc
	;; [unrolled: 1-line block ×4, first 2 shown]
.LBB416_133:
	s_or_b64 exec, exec, s[10:11]
	v_mov_b32_dpp v5, v1 row_bcast:31 row_mask:0xf bank_mask:0xf bound_ctrl:1
	v_mov_b32_dpp v6, v2 row_bcast:31 row_mask:0xf bank_mask:0xf bound_ctrl:1
	v_cmp_ge_i64_e32 vcc, v[5:6], v[1:2]
	v_mov_b32_dpp v7, v3 row_bcast:31 row_mask:0xf bank_mask:0xf bound_ctrl:1
	v_mov_b32_dpp v9, v4 row_bcast:31 row_mask:0xf bank_mask:0xf bound_ctrl:1
	s_and_saveexec_b64 s[10:11], vcc
	s_cbranch_execz .LBB416_135
; %bb.134:
	v_mov_b32_e32 v8, v9
	v_cmp_lt_i64_e32 vcc, v[1:2], v[5:6]
	v_cmp_lt_i64_e64 s[0:1], v[7:8], v[3:4]
	s_or_b64 vcc, vcc, s[0:1]
	v_cndmask_b32_e32 v1, v1, v5, vcc
	v_cndmask_b32_e32 v2, v2, v6, vcc
	v_cndmask_b32_e32 v3, v3, v7, vcc
	v_cndmask_b32_e32 v4, v4, v9, vcc
.LBB416_135:
	s_or_b64 exec, exec, s[10:11]
	v_mbcnt_lo_u32_b32 v5, -1, 0
	v_mbcnt_hi_u32_b32 v6, -1, v5
	v_lshlrev_b32_e32 v5, 2, v6
	v_or_b32_e32 v7, 0xfc, v5
	ds_bpermute_b32 v1, v7, v1
	ds_bpermute_b32 v2, v7, v2
	;; [unrolled: 1-line block ×4, first 2 shown]
	v_cmp_eq_u32_e32 vcc, 0, v6
	s_and_saveexec_b64 s[0:1], vcc
	s_cbranch_execz .LBB416_137
; %bb.136:
	v_lshrrev_b32_e32 v7, 2, v0
	v_and_b32_e32 v7, 16, v7
	s_waitcnt lgkmcnt(0)
	ds_write2_b64 v7, v[1:2], v[3:4] offset0:4 offset1:5
.LBB416_137:
	s_or_b64 exec, exec, s[0:1]
	v_cmp_gt_u32_e32 vcc, 64, v0
	s_waitcnt lgkmcnt(0)
	s_barrier
	s_and_saveexec_b64 s[10:11], vcc
	s_cbranch_execz .LBB416_139
; %bb.138:
	v_and_b32_e32 v1, 1, v6
	v_lshlrev_b32_e32 v1, 4, v1
	ds_read2_b64 v[1:4], v1 offset0:4 offset1:5
	v_or_b32_e32 v6, 4, v5
	s_waitcnt lgkmcnt(0)
	ds_bpermute_b32 v9, v6, v2
	ds_bpermute_b32 v10, v6, v4
	;; [unrolled: 1-line block ×4, first 2 shown]
	s_waitcnt lgkmcnt(3)
	v_mov_b32_e32 v6, v9
	s_waitcnt lgkmcnt(2)
	v_mov_b32_e32 v8, v10
	s_waitcnt lgkmcnt(1)
	v_cmp_lt_i64_e32 vcc, v[5:6], v[1:2]
	s_waitcnt lgkmcnt(0)
	v_cmp_lt_i64_e64 s[0:1], v[3:4], v[7:8]
	s_or_b64 vcc, vcc, s[0:1]
	v_cndmask_b32_e32 v8, v5, v1, vcc
	v_cndmask_b32_e32 v11, v9, v2, vcc
	;; [unrolled: 1-line block ×4, first 2 shown]
	v_cmp_lt_i64_e32 vcc, v[1:2], v[5:6]
	v_cndmask_b32_e32 v4, v4, v10, vcc
	v_cndmask_b32_e32 v3, v3, v7, vcc
	;; [unrolled: 1-line block ×4, first 2 shown]
.LBB416_139:
	s_or_b64 exec, exec, s[10:11]
	s_branch .LBB416_166
.LBB416_140:
                                        ; implicit-def: $vgpr3_vgpr4
                                        ; implicit-def: $vgpr5_vgpr6
	s_cbranch_execnz .LBB416_167
	s_branch .LBB416_209
.LBB416_141:
	s_branch .LBB416_209
.LBB416_142:
                                        ; implicit-def: $vgpr1_vgpr2
	s_cbranch_execz .LBB416_166
; %bb.143:
	s_sub_i32 s10, s22, s8
	v_mov_b32_e32 v3, 0
	v_mov_b32_e32 v1, 0
	;; [unrolled: 1-line block ×4, first 2 shown]
	v_cmp_gt_u32_e32 vcc, s10, v0
	s_and_saveexec_b64 s[0:1], vcc
	s_cbranch_execz .LBB416_145
; %bb.144:
	v_lshlrev_b32_e32 v1, 4, v0
	global_load_dwordx4 v[1:4], v1, s[2:3]
.LBB416_145:
	s_or_b64 exec, exec, s[0:1]
	v_or_b32_e32 v5, 0x80, v0
	v_cmp_gt_u32_e32 vcc, s10, v5
	s_and_saveexec_b64 s[8:9], vcc
	s_cbranch_execz .LBB416_147
; %bb.146:
	v_lshlrev_b32_e32 v5, 4, v0
	s_waitcnt lgkmcnt(0)
	global_load_dwordx4 v[5:8], v5, s[2:3] offset:2048
	s_waitcnt vmcnt(0)
	v_cmp_lt_i64_e32 vcc, v[5:6], v[1:2]
	v_cmp_lt_i64_e64 s[0:1], v[3:4], v[7:8]
	s_or_b64 vcc, vcc, s[0:1]
	v_cndmask_b32_e32 v9, v5, v1, vcc
	v_cndmask_b32_e32 v10, v6, v2, vcc
	;; [unrolled: 1-line block ×4, first 2 shown]
	v_cmp_lt_i64_e32 vcc, v[1:2], v[5:6]
	v_cndmask_b32_e32 v4, v4, v8, vcc
	v_cndmask_b32_e32 v3, v3, v7, vcc
	;; [unrolled: 1-line block ×4, first 2 shown]
.LBB416_147:
	s_or_b64 exec, exec, s[8:9]
	v_mbcnt_lo_u32_b32 v5, -1, 0
	v_mbcnt_hi_u32_b32 v9, -1, v5
	s_waitcnt lgkmcnt(2)
	v_and_b32_e32 v10, 63, v9
	v_cmp_ne_u32_e32 vcc, 63, v10
	v_addc_co_u32_e32 v5, vcc, 0, v9, vcc
	v_lshlrev_b32_e32 v6, 2, v5
	s_waitcnt vmcnt(0)
	ds_bpermute_b32 v5, v6, v1
	ds_bpermute_b32 v12, v6, v2
	s_waitcnt lgkmcnt(3)
	ds_bpermute_b32 v7, v6, v3
	ds_bpermute_b32 v13, v6, v4
	s_min_u32 s8, s10, 0x80
	v_and_b32_e32 v6, 64, v0
	v_sub_u32_e64 v11, s8, v6 clamp
	v_add_u32_e32 v6, 1, v10
	v_cmp_lt_u32_e32 vcc, v6, v11
	s_and_saveexec_b64 s[0:1], vcc
	s_xor_b64 s[2:3], exec, s[0:1]
	s_cbranch_execz .LBB416_149
; %bb.148:
	s_waitcnt lgkmcnt(0)
	v_mov_b32_e32 v8, v13
	v_mov_b32_e32 v6, v12
	v_cmp_lt_i64_e32 vcc, v[5:6], v[1:2]
	v_cmp_lt_i64_e64 s[0:1], v[3:4], v[7:8]
	s_or_b64 vcc, vcc, s[0:1]
	v_cndmask_b32_e32 v8, v5, v1, vcc
	v_cndmask_b32_e32 v14, v12, v2, vcc
	v_cndmask_b32_e32 v3, v7, v3, vcc
	v_cndmask_b32_e32 v4, v13, v4, vcc
	v_cmp_lt_i64_e32 vcc, v[1:2], v[5:6]
	v_cndmask_b32_e32 v4, v4, v13, vcc
	v_cndmask_b32_e32 v3, v3, v7, vcc
	v_cndmask_b32_e32 v2, v14, v12, vcc
	v_cndmask_b32_e32 v1, v8, v5, vcc
.LBB416_149:
	s_or_b64 exec, exec, s[2:3]
	v_cmp_gt_u32_e32 vcc, 62, v10
	s_waitcnt lgkmcnt(3)
	v_cndmask_b32_e64 v5, 0, 2, vcc
	v_add_lshl_u32 v6, v5, v9, 2
	ds_bpermute_b32 v5, v6, v1
	s_waitcnt lgkmcnt(3)
	ds_bpermute_b32 v12, v6, v2
	s_waitcnt lgkmcnt(3)
	ds_bpermute_b32 v7, v6, v3
	s_waitcnt lgkmcnt(3)
	ds_bpermute_b32 v13, v6, v4
	v_add_u32_e32 v6, 2, v10
	v_cmp_lt_u32_e32 vcc, v6, v11
	s_and_saveexec_b64 s[2:3], vcc
	s_cbranch_execz .LBB416_151
; %bb.150:
	s_waitcnt lgkmcnt(0)
	v_mov_b32_e32 v8, v13
	v_mov_b32_e32 v6, v12
	v_cmp_lt_i64_e32 vcc, v[5:6], v[1:2]
	v_cmp_lt_i64_e64 s[0:1], v[3:4], v[7:8]
	s_or_b64 vcc, vcc, s[0:1]
	v_cndmask_b32_e32 v8, v5, v1, vcc
	v_cndmask_b32_e32 v14, v12, v2, vcc
	v_cndmask_b32_e32 v3, v7, v3, vcc
	v_cndmask_b32_e32 v4, v13, v4, vcc
	v_cmp_lt_i64_e32 vcc, v[1:2], v[5:6]
	v_cndmask_b32_e32 v4, v4, v13, vcc
	v_cndmask_b32_e32 v3, v3, v7, vcc
	v_cndmask_b32_e32 v2, v14, v12, vcc
	v_cndmask_b32_e32 v1, v8, v5, vcc
.LBB416_151:
	s_or_b64 exec, exec, s[2:3]
	v_cmp_gt_u32_e32 vcc, 60, v10
	s_waitcnt lgkmcnt(3)
	v_cndmask_b32_e64 v5, 0, 4, vcc
	v_add_lshl_u32 v6, v5, v9, 2
	ds_bpermute_b32 v5, v6, v1
	s_waitcnt lgkmcnt(3)
	ds_bpermute_b32 v12, v6, v2
	s_waitcnt lgkmcnt(3)
	ds_bpermute_b32 v7, v6, v3
	s_waitcnt lgkmcnt(3)
	ds_bpermute_b32 v13, v6, v4
	v_add_u32_e32 v6, 4, v10
	v_cmp_lt_u32_e32 vcc, v6, v11
	s_and_saveexec_b64 s[2:3], vcc
	;; [unrolled: 33-line block ×4, first 2 shown]
	s_cbranch_execz .LBB416_157
; %bb.156:
	s_waitcnt lgkmcnt(0)
	v_mov_b32_e32 v8, v13
	v_mov_b32_e32 v6, v12
	v_cmp_lt_i64_e32 vcc, v[5:6], v[1:2]
	v_cmp_lt_i64_e64 s[0:1], v[3:4], v[7:8]
	s_or_b64 vcc, vcc, s[0:1]
	v_cndmask_b32_e32 v8, v5, v1, vcc
	v_cndmask_b32_e32 v14, v12, v2, vcc
	;; [unrolled: 1-line block ×4, first 2 shown]
	v_cmp_lt_i64_e32 vcc, v[1:2], v[5:6]
	v_cndmask_b32_e32 v4, v4, v13, vcc
	v_cndmask_b32_e32 v3, v3, v7, vcc
	;; [unrolled: 1-line block ×4, first 2 shown]
.LBB416_157:
	s_or_b64 exec, exec, s[2:3]
	s_waitcnt lgkmcnt(2)
	v_lshlrev_b32_e32 v12, 2, v9
	v_or_b32_e32 v6, 0x80, v12
	ds_bpermute_b32 v5, v6, v1
	s_waitcnt lgkmcnt(1)
	ds_bpermute_b32 v13, v6, v2
	ds_bpermute_b32 v7, v6, v3
	;; [unrolled: 1-line block ×3, first 2 shown]
	v_add_u32_e32 v6, 32, v10
	v_cmp_lt_u32_e32 vcc, v6, v11
	s_and_saveexec_b64 s[2:3], vcc
	s_cbranch_execz .LBB416_159
; %bb.158:
	s_waitcnt lgkmcnt(2)
	v_mov_b32_e32 v6, v13
	s_waitcnt lgkmcnt(0)
	v_cmp_lt_i64_e32 vcc, v[3:4], v[7:8]
	v_cmp_lt_i64_e64 s[0:1], v[5:6], v[1:2]
	s_or_b64 vcc, s[0:1], vcc
	v_cndmask_b32_e32 v10, v5, v1, vcc
	v_cndmask_b32_e32 v11, v13, v2, vcc
	v_cndmask_b32_e32 v3, v7, v3, vcc
	v_cndmask_b32_e32 v4, v8, v4, vcc
	v_cmp_lt_i64_e32 vcc, v[1:2], v[5:6]
	v_cndmask_b32_e32 v4, v4, v8, vcc
	v_cndmask_b32_e32 v3, v3, v7, vcc
	;; [unrolled: 1-line block ×4, first 2 shown]
.LBB416_159:
	s_or_b64 exec, exec, s[2:3]
	v_cmp_eq_u32_e32 vcc, 0, v9
	s_and_saveexec_b64 s[0:1], vcc
	s_cbranch_execz .LBB416_161
; %bb.160:
	s_waitcnt lgkmcnt(3)
	v_lshrrev_b32_e32 v5, 2, v0
	v_and_b32_e32 v5, 16, v5
	ds_write2_b64 v5, v[1:2], v[3:4] offset0:16 offset1:17
.LBB416_161:
	s_or_b64 exec, exec, s[0:1]
	v_cmp_gt_u32_e32 vcc, 2, v0
	s_waitcnt lgkmcnt(0)
	s_barrier
	s_and_saveexec_b64 s[2:3], vcc
	s_cbranch_execz .LBB416_165
; %bb.162:
	v_lshlrev_b32_e32 v1, 4, v9
	ds_read2_b64 v[1:4], v1 offset0:16 offset1:17
	v_or_b32_e32 v6, 4, v12
	s_add_i32 s8, s8, 63
	s_lshr_b32 s0, s8, 6
	s_waitcnt lgkmcnt(0)
	ds_bpermute_b32 v5, v6, v1
	ds_bpermute_b32 v10, v6, v2
	;; [unrolled: 1-line block ×4, first 2 shown]
	v_and_b32_e32 v6, 1, v9
	v_add_u32_e32 v6, 1, v6
	v_cmp_gt_u32_e32 vcc, s0, v6
	s_and_saveexec_b64 s[8:9], vcc
	s_cbranch_execz .LBB416_164
; %bb.163:
	s_waitcnt lgkmcnt(2)
	v_mov_b32_e32 v6, v10
	s_waitcnt lgkmcnt(0)
	v_cmp_lt_i64_e32 vcc, v[3:4], v[7:8]
	v_cmp_lt_i64_e64 s[0:1], v[5:6], v[1:2]
	s_or_b64 vcc, s[0:1], vcc
	v_cndmask_b32_e32 v9, v5, v1, vcc
	v_cndmask_b32_e32 v11, v10, v2, vcc
	;; [unrolled: 1-line block ×4, first 2 shown]
	v_cmp_lt_i64_e32 vcc, v[1:2], v[5:6]
	v_cndmask_b32_e32 v4, v4, v8, vcc
	v_cndmask_b32_e32 v3, v3, v7, vcc
	;; [unrolled: 1-line block ×4, first 2 shown]
.LBB416_164:
	s_or_b64 exec, exec, s[8:9]
.LBB416_165:
	s_or_b64 exec, exec, s[2:3]
.LBB416_166:
	s_waitcnt lgkmcnt(3)
	v_mov_b32_e32 v5, s6
	v_cmp_eq_u32_e64 s[0:1], 0, v0
	v_mov_b32_e32 v6, s7
	s_branch .LBB416_209
.LBB416_167:
	s_cmp_eq_u32 s30, 1
                                        ; implicit-def: $vgpr3_vgpr4
                                        ; implicit-def: $vgpr5_vgpr6
	s_cbranch_scc0 .LBB416_209
; %bb.168:
	s_mov_b32 s3, 0
	s_lshl_b32 s2, s6, 7
	s_mov_b32 s7, s3
	s_lshr_b64 s[0:1], s[22:23], 7
	s_cmp_lg_u64 s[0:1], s[6:7]
	s_cbranch_scc0 .LBB416_186
; %bb.169:
	s_lshl_b64 s[0:1], s[2:3], 4
	s_add_u32 s0, s20, s0
	s_addc_u32 s1, s21, s1
	v_lshlrev_b32_e32 v1, 4, v0
	global_load_dwordx4 v[1:4], v1, s[0:1]
	s_waitcnt vmcnt(0) lgkmcnt(1)
	s_nop 0
	v_mov_b32_dpp v7, v1 quad_perm:[1,0,3,2] row_mask:0xf bank_mask:0xf bound_ctrl:1
	s_waitcnt lgkmcnt(0)
	v_mov_b32_dpp v8, v2 quad_perm:[1,0,3,2] row_mask:0xf bank_mask:0xf bound_ctrl:1
	v_cmp_ge_i64_e32 vcc, v[7:8], v[1:2]
	v_mov_b32_dpp v5, v3 quad_perm:[1,0,3,2] row_mask:0xf bank_mask:0xf bound_ctrl:1
	v_mov_b32_dpp v9, v4 quad_perm:[1,0,3,2] row_mask:0xf bank_mask:0xf bound_ctrl:1
	s_and_saveexec_b64 s[8:9], vcc
	s_cbranch_execz .LBB416_171
; %bb.170:
	v_mov_b32_e32 v6, v9
	v_cmp_lt_i64_e32 vcc, v[1:2], v[7:8]
	v_cmp_lt_i64_e64 s[0:1], v[5:6], v[3:4]
	s_or_b64 vcc, vcc, s[0:1]
	v_cndmask_b32_e32 v2, v2, v8, vcc
	v_cndmask_b32_e32 v1, v1, v7, vcc
	;; [unrolled: 1-line block ×4, first 2 shown]
.LBB416_171:
	s_or_b64 exec, exec, s[8:9]
	v_mov_b32_dpp v7, v1 quad_perm:[2,3,0,1] row_mask:0xf bank_mask:0xf bound_ctrl:1
	v_mov_b32_dpp v8, v2 quad_perm:[2,3,0,1] row_mask:0xf bank_mask:0xf bound_ctrl:1
	v_cmp_ge_i64_e32 vcc, v[7:8], v[1:2]
	v_mov_b32_dpp v5, v3 quad_perm:[2,3,0,1] row_mask:0xf bank_mask:0xf bound_ctrl:1
	v_mov_b32_dpp v9, v4 quad_perm:[2,3,0,1] row_mask:0xf bank_mask:0xf bound_ctrl:1
	s_and_saveexec_b64 s[8:9], vcc
	s_cbranch_execz .LBB416_173
; %bb.172:
	v_mov_b32_e32 v6, v9
	v_cmp_lt_i64_e32 vcc, v[1:2], v[7:8]
	v_cmp_lt_i64_e64 s[0:1], v[5:6], v[3:4]
	s_or_b64 vcc, vcc, s[0:1]
	v_cndmask_b32_e32 v2, v2, v8, vcc
	v_cndmask_b32_e32 v1, v1, v7, vcc
	;; [unrolled: 1-line block ×4, first 2 shown]
.LBB416_173:
	s_or_b64 exec, exec, s[8:9]
	v_mov_b32_dpp v7, v1 row_ror:4 row_mask:0xf bank_mask:0xf bound_ctrl:1
	v_mov_b32_dpp v8, v2 row_ror:4 row_mask:0xf bank_mask:0xf bound_ctrl:1
	v_cmp_ge_i64_e32 vcc, v[7:8], v[1:2]
	v_mov_b32_dpp v5, v3 row_ror:4 row_mask:0xf bank_mask:0xf bound_ctrl:1
	v_mov_b32_dpp v9, v4 row_ror:4 row_mask:0xf bank_mask:0xf bound_ctrl:1
	s_and_saveexec_b64 s[8:9], vcc
	s_cbranch_execz .LBB416_175
; %bb.174:
	v_mov_b32_e32 v6, v9
	v_cmp_lt_i64_e32 vcc, v[1:2], v[7:8]
	v_cmp_lt_i64_e64 s[0:1], v[5:6], v[3:4]
	s_or_b64 vcc, vcc, s[0:1]
	v_cndmask_b32_e32 v2, v2, v8, vcc
	v_cndmask_b32_e32 v1, v1, v7, vcc
	v_cndmask_b32_e32 v4, v4, v9, vcc
	v_cndmask_b32_e32 v3, v3, v5, vcc
.LBB416_175:
	s_or_b64 exec, exec, s[8:9]
	v_mov_b32_dpp v7, v1 row_ror:8 row_mask:0xf bank_mask:0xf bound_ctrl:1
	v_mov_b32_dpp v8, v2 row_ror:8 row_mask:0xf bank_mask:0xf bound_ctrl:1
	v_cmp_ge_i64_e32 vcc, v[7:8], v[1:2]
	v_mov_b32_dpp v5, v3 row_ror:8 row_mask:0xf bank_mask:0xf bound_ctrl:1
	v_mov_b32_dpp v9, v4 row_ror:8 row_mask:0xf bank_mask:0xf bound_ctrl:1
	s_and_saveexec_b64 s[8:9], vcc
	s_cbranch_execz .LBB416_177
; %bb.176:
	v_mov_b32_e32 v6, v9
	v_cmp_lt_i64_e32 vcc, v[1:2], v[7:8]
	v_cmp_lt_i64_e64 s[0:1], v[5:6], v[3:4]
	s_or_b64 vcc, vcc, s[0:1]
	v_cndmask_b32_e32 v2, v2, v8, vcc
	v_cndmask_b32_e32 v1, v1, v7, vcc
	;; [unrolled: 1-line block ×4, first 2 shown]
.LBB416_177:
	s_or_b64 exec, exec, s[8:9]
	v_mov_b32_dpp v7, v1 row_bcast:15 row_mask:0xf bank_mask:0xf bound_ctrl:1
	v_mov_b32_dpp v8, v2 row_bcast:15 row_mask:0xf bank_mask:0xf bound_ctrl:1
	v_cmp_ge_i64_e32 vcc, v[7:8], v[1:2]
	v_mov_b32_dpp v5, v3 row_bcast:15 row_mask:0xf bank_mask:0xf bound_ctrl:1
	v_mov_b32_dpp v9, v4 row_bcast:15 row_mask:0xf bank_mask:0xf bound_ctrl:1
	s_and_saveexec_b64 s[8:9], vcc
	s_cbranch_execz .LBB416_179
; %bb.178:
	v_mov_b32_e32 v6, v9
	v_cmp_lt_i64_e32 vcc, v[1:2], v[7:8]
	v_cmp_lt_i64_e64 s[0:1], v[5:6], v[3:4]
	s_or_b64 vcc, vcc, s[0:1]
	v_cndmask_b32_e32 v2, v2, v8, vcc
	v_cndmask_b32_e32 v1, v1, v7, vcc
	;; [unrolled: 1-line block ×4, first 2 shown]
.LBB416_179:
	s_or_b64 exec, exec, s[8:9]
	v_mov_b32_dpp v5, v1 row_bcast:31 row_mask:0xf bank_mask:0xf bound_ctrl:1
	v_mov_b32_dpp v6, v2 row_bcast:31 row_mask:0xf bank_mask:0xf bound_ctrl:1
	v_cmp_ge_i64_e32 vcc, v[5:6], v[1:2]
	v_mov_b32_dpp v7, v3 row_bcast:31 row_mask:0xf bank_mask:0xf bound_ctrl:1
	v_mov_b32_dpp v9, v4 row_bcast:31 row_mask:0xf bank_mask:0xf bound_ctrl:1
	s_and_saveexec_b64 s[8:9], vcc
	s_cbranch_execz .LBB416_181
; %bb.180:
	v_mov_b32_e32 v8, v9
	v_cmp_lt_i64_e32 vcc, v[1:2], v[5:6]
	v_cmp_lt_i64_e64 s[0:1], v[7:8], v[3:4]
	s_or_b64 vcc, vcc, s[0:1]
	v_cndmask_b32_e32 v1, v1, v5, vcc
	v_cndmask_b32_e32 v2, v2, v6, vcc
	v_cndmask_b32_e32 v3, v3, v7, vcc
	v_cndmask_b32_e32 v4, v4, v9, vcc
.LBB416_181:
	s_or_b64 exec, exec, s[8:9]
	v_mbcnt_lo_u32_b32 v5, -1, 0
	v_mbcnt_hi_u32_b32 v6, -1, v5
	v_lshlrev_b32_e32 v5, 2, v6
	v_or_b32_e32 v7, 0xfc, v5
	ds_bpermute_b32 v1, v7, v1
	ds_bpermute_b32 v2, v7, v2
	;; [unrolled: 1-line block ×4, first 2 shown]
	v_cmp_eq_u32_e32 vcc, 0, v6
	s_and_saveexec_b64 s[0:1], vcc
	s_cbranch_execz .LBB416_183
; %bb.182:
	v_lshrrev_b32_e32 v7, 2, v0
	v_and_b32_e32 v7, 16, v7
	s_waitcnt lgkmcnt(0)
	ds_write2_b64 v7, v[1:2], v[3:4] offset1:1
.LBB416_183:
	s_or_b64 exec, exec, s[0:1]
	v_cmp_gt_u32_e32 vcc, 64, v0
	s_waitcnt lgkmcnt(0)
	s_barrier
	s_and_saveexec_b64 s[8:9], vcc
	s_cbranch_execz .LBB416_185
; %bb.184:
	v_and_b32_e32 v1, 1, v6
	v_lshlrev_b32_e32 v1, 4, v1
	ds_read2_b64 v[1:4], v1 offset1:1
	v_or_b32_e32 v6, 4, v5
	s_waitcnt lgkmcnt(0)
	ds_bpermute_b32 v9, v6, v2
	ds_bpermute_b32 v10, v6, v4
	;; [unrolled: 1-line block ×4, first 2 shown]
	s_waitcnt lgkmcnt(3)
	v_mov_b32_e32 v6, v9
	s_waitcnt lgkmcnt(2)
	v_mov_b32_e32 v8, v10
	s_waitcnt lgkmcnt(1)
	v_cmp_lt_i64_e32 vcc, v[5:6], v[1:2]
	s_waitcnt lgkmcnt(0)
	v_cmp_lt_i64_e64 s[0:1], v[3:4], v[7:8]
	s_or_b64 vcc, vcc, s[0:1]
	v_cndmask_b32_e32 v8, v5, v1, vcc
	v_cndmask_b32_e32 v11, v9, v2, vcc
	;; [unrolled: 1-line block ×4, first 2 shown]
	v_cmp_lt_i64_e32 vcc, v[1:2], v[5:6]
	v_cndmask_b32_e32 v4, v4, v10, vcc
	v_cndmask_b32_e32 v3, v3, v7, vcc
	;; [unrolled: 1-line block ×4, first 2 shown]
.LBB416_185:
	s_or_b64 exec, exec, s[8:9]
	s_branch .LBB416_208
.LBB416_186:
                                        ; implicit-def: $vgpr3_vgpr4
	s_cbranch_execz .LBB416_208
; %bb.187:
	s_sub_i32 s8, s22, s2
	v_mov_b32_e32 v3, 0
	v_mov_b32_e32 v1, 0
	v_mov_b32_e32 v4, 0
	v_mov_b32_e32 v2, 0
	v_cmp_gt_u32_e32 vcc, s8, v0
	s_and_saveexec_b64 s[0:1], vcc
	s_cbranch_execz .LBB416_189
; %bb.188:
	s_lshl_b64 s[2:3], s[2:3], 4
	s_add_u32 s2, s20, s2
	s_addc_u32 s3, s21, s3
	v_lshlrev_b32_e32 v1, 4, v0
	global_load_dwordx4 v[1:4], v1, s[2:3]
.LBB416_189:
	s_or_b64 exec, exec, s[0:1]
	v_mbcnt_lo_u32_b32 v5, -1, 0
	v_mbcnt_hi_u32_b32 v9, -1, v5
	s_waitcnt lgkmcnt(2)
	v_and_b32_e32 v10, 63, v9
	v_cmp_ne_u32_e32 vcc, 63, v10
	v_addc_co_u32_e32 v5, vcc, 0, v9, vcc
	v_lshlrev_b32_e32 v6, 2, v5
	s_waitcnt vmcnt(0)
	ds_bpermute_b32 v5, v6, v1
	ds_bpermute_b32 v12, v6, v2
	s_waitcnt lgkmcnt(3)
	ds_bpermute_b32 v7, v6, v3
	ds_bpermute_b32 v13, v6, v4
	s_min_u32 s8, s8, 0x80
	v_and_b32_e32 v6, 64, v0
	v_sub_u32_e64 v11, s8, v6 clamp
	v_add_u32_e32 v6, 1, v10
	v_cmp_lt_u32_e32 vcc, v6, v11
	s_and_saveexec_b64 s[2:3], vcc
	s_cbranch_execz .LBB416_191
; %bb.190:
	s_waitcnt lgkmcnt(0)
	v_mov_b32_e32 v8, v13
	v_mov_b32_e32 v6, v12
	v_cmp_lt_i64_e32 vcc, v[5:6], v[1:2]
	v_cmp_lt_i64_e64 s[0:1], v[3:4], v[7:8]
	s_or_b64 vcc, vcc, s[0:1]
	v_cndmask_b32_e32 v8, v5, v1, vcc
	v_cndmask_b32_e32 v14, v12, v2, vcc
	v_cndmask_b32_e32 v3, v7, v3, vcc
	v_cndmask_b32_e32 v4, v13, v4, vcc
	v_cmp_lt_i64_e32 vcc, v[1:2], v[5:6]
	v_cndmask_b32_e32 v4, v4, v13, vcc
	v_cndmask_b32_e32 v3, v3, v7, vcc
	v_cndmask_b32_e32 v2, v14, v12, vcc
	v_cndmask_b32_e32 v1, v8, v5, vcc
.LBB416_191:
	s_or_b64 exec, exec, s[2:3]
	v_cmp_gt_u32_e32 vcc, 62, v10
	s_waitcnt lgkmcnt(3)
	v_cndmask_b32_e64 v5, 0, 2, vcc
	v_add_lshl_u32 v6, v5, v9, 2
	ds_bpermute_b32 v5, v6, v1
	s_waitcnt lgkmcnt(3)
	ds_bpermute_b32 v12, v6, v2
	s_waitcnt lgkmcnt(3)
	ds_bpermute_b32 v7, v6, v3
	s_waitcnt lgkmcnt(3)
	ds_bpermute_b32 v13, v6, v4
	v_add_u32_e32 v6, 2, v10
	v_cmp_lt_u32_e32 vcc, v6, v11
	s_and_saveexec_b64 s[2:3], vcc
	s_cbranch_execz .LBB416_193
; %bb.192:
	s_waitcnt lgkmcnt(0)
	v_mov_b32_e32 v8, v13
	v_mov_b32_e32 v6, v12
	v_cmp_lt_i64_e32 vcc, v[5:6], v[1:2]
	v_cmp_lt_i64_e64 s[0:1], v[3:4], v[7:8]
	s_or_b64 vcc, vcc, s[0:1]
	v_cndmask_b32_e32 v8, v5, v1, vcc
	v_cndmask_b32_e32 v14, v12, v2, vcc
	v_cndmask_b32_e32 v3, v7, v3, vcc
	v_cndmask_b32_e32 v4, v13, v4, vcc
	v_cmp_lt_i64_e32 vcc, v[1:2], v[5:6]
	v_cndmask_b32_e32 v4, v4, v13, vcc
	v_cndmask_b32_e32 v3, v3, v7, vcc
	v_cndmask_b32_e32 v2, v14, v12, vcc
	v_cndmask_b32_e32 v1, v8, v5, vcc
.LBB416_193:
	s_or_b64 exec, exec, s[2:3]
	v_cmp_gt_u32_e32 vcc, 60, v10
	s_waitcnt lgkmcnt(3)
	v_cndmask_b32_e64 v5, 0, 4, vcc
	v_add_lshl_u32 v6, v5, v9, 2
	ds_bpermute_b32 v5, v6, v1
	s_waitcnt lgkmcnt(3)
	ds_bpermute_b32 v12, v6, v2
	s_waitcnt lgkmcnt(3)
	ds_bpermute_b32 v7, v6, v3
	s_waitcnt lgkmcnt(3)
	ds_bpermute_b32 v13, v6, v4
	;; [unrolled: 33-line block ×4, first 2 shown]
	v_add_u32_e32 v6, 16, v10
	v_cmp_lt_u32_e32 vcc, v6, v11
	s_and_saveexec_b64 s[2:3], vcc
	s_cbranch_execz .LBB416_199
; %bb.198:
	s_waitcnt lgkmcnt(0)
	v_mov_b32_e32 v8, v13
	v_mov_b32_e32 v6, v12
	v_cmp_lt_i64_e32 vcc, v[5:6], v[1:2]
	v_cmp_lt_i64_e64 s[0:1], v[3:4], v[7:8]
	s_or_b64 vcc, vcc, s[0:1]
	v_cndmask_b32_e32 v8, v5, v1, vcc
	v_cndmask_b32_e32 v14, v12, v2, vcc
	;; [unrolled: 1-line block ×4, first 2 shown]
	v_cmp_lt_i64_e32 vcc, v[1:2], v[5:6]
	v_cndmask_b32_e32 v4, v4, v13, vcc
	v_cndmask_b32_e32 v3, v3, v7, vcc
	;; [unrolled: 1-line block ×4, first 2 shown]
.LBB416_199:
	s_or_b64 exec, exec, s[2:3]
	s_waitcnt lgkmcnt(2)
	v_lshlrev_b32_e32 v12, 2, v9
	v_or_b32_e32 v6, 0x80, v12
	ds_bpermute_b32 v5, v6, v1
	s_waitcnt lgkmcnt(1)
	ds_bpermute_b32 v13, v6, v2
	ds_bpermute_b32 v7, v6, v3
	;; [unrolled: 1-line block ×3, first 2 shown]
	v_add_u32_e32 v6, 32, v10
	v_cmp_lt_u32_e32 vcc, v6, v11
	s_and_saveexec_b64 s[2:3], vcc
	s_cbranch_execz .LBB416_201
; %bb.200:
	s_waitcnt lgkmcnt(2)
	v_mov_b32_e32 v6, v13
	s_waitcnt lgkmcnt(0)
	v_cmp_lt_i64_e32 vcc, v[3:4], v[7:8]
	v_cmp_lt_i64_e64 s[0:1], v[5:6], v[1:2]
	s_or_b64 vcc, s[0:1], vcc
	v_cndmask_b32_e32 v10, v5, v1, vcc
	v_cndmask_b32_e32 v11, v13, v2, vcc
	;; [unrolled: 1-line block ×4, first 2 shown]
	v_cmp_lt_i64_e32 vcc, v[1:2], v[5:6]
	v_cndmask_b32_e32 v4, v4, v8, vcc
	v_cndmask_b32_e32 v3, v3, v7, vcc
	;; [unrolled: 1-line block ×4, first 2 shown]
.LBB416_201:
	s_or_b64 exec, exec, s[2:3]
	v_cmp_eq_u32_e32 vcc, 0, v9
	s_and_saveexec_b64 s[0:1], vcc
	s_cbranch_execz .LBB416_203
; %bb.202:
	s_waitcnt lgkmcnt(3)
	v_lshrrev_b32_e32 v5, 2, v0
	v_and_b32_e32 v5, 16, v5
	ds_write2_b64 v5, v[1:2], v[3:4] offset0:16 offset1:17
.LBB416_203:
	s_or_b64 exec, exec, s[0:1]
	v_cmp_gt_u32_e32 vcc, 2, v0
	s_waitcnt lgkmcnt(0)
	s_barrier
	s_and_saveexec_b64 s[2:3], vcc
	s_cbranch_execz .LBB416_207
; %bb.204:
	v_lshlrev_b32_e32 v1, 4, v9
	ds_read2_b64 v[1:4], v1 offset0:16 offset1:17
	v_or_b32_e32 v6, 4, v12
	s_add_i32 s8, s8, 63
	s_lshr_b32 s0, s8, 6
	s_waitcnt lgkmcnt(0)
	ds_bpermute_b32 v5, v6, v1
	ds_bpermute_b32 v10, v6, v2
	;; [unrolled: 1-line block ×4, first 2 shown]
	v_and_b32_e32 v6, 1, v9
	v_add_u32_e32 v6, 1, v6
	v_cmp_gt_u32_e32 vcc, s0, v6
	s_and_saveexec_b64 s[8:9], vcc
	s_cbranch_execz .LBB416_206
; %bb.205:
	s_waitcnt lgkmcnt(2)
	v_mov_b32_e32 v6, v10
	s_waitcnt lgkmcnt(0)
	v_cmp_lt_i64_e32 vcc, v[3:4], v[7:8]
	v_cmp_lt_i64_e64 s[0:1], v[5:6], v[1:2]
	s_or_b64 vcc, s[0:1], vcc
	v_cndmask_b32_e32 v9, v5, v1, vcc
	v_cndmask_b32_e32 v11, v10, v2, vcc
	v_cndmask_b32_e32 v3, v7, v3, vcc
	v_cndmask_b32_e32 v4, v8, v4, vcc
	v_cmp_lt_i64_e32 vcc, v[1:2], v[5:6]
	v_cndmask_b32_e32 v4, v4, v8, vcc
	v_cndmask_b32_e32 v3, v3, v7, vcc
	v_cndmask_b32_e32 v2, v11, v10, vcc
	v_cndmask_b32_e32 v1, v9, v5, vcc
.LBB416_206:
	s_or_b64 exec, exec, s[8:9]
.LBB416_207:
	s_or_b64 exec, exec, s[2:3]
.LBB416_208:
	s_waitcnt lgkmcnt(3)
	v_mov_b32_e32 v5, s6
	v_cmp_eq_u32_e64 s[0:1], 0, v0
	v_mov_b32_e32 v6, s7
.LBB416_209:
	s_and_saveexec_b64 s[2:3], s[0:1]
	s_cbranch_execz .LBB416_211
; %bb.210:
	v_lshlrev_b64 v[5:6], 4, v[5:6]
	s_load_dwordx2 s[0:1], s[4:5], 0x28
	v_mov_b32_e32 v0, s25
	v_add_co_u32_e32 v5, vcc, s24, v5
	v_addc_co_u32_e32 v6, vcc, v0, v6, vcc
	s_cmp_eq_u64 s[22:23], 0
	v_mov_b32_e32 v0, s27
	s_cselect_b64 vcc, -1, 0
	v_cndmask_b32_e32 v2, v2, v0, vcc
	v_mov_b32_e32 v0, s26
	v_cndmask_b32_e32 v1, v1, v0, vcc
	s_waitcnt lgkmcnt(0)
	v_mov_b32_e32 v0, s1
	v_cndmask_b32_e32 v4, v4, v0, vcc
	v_mov_b32_e32 v0, s0
	v_cndmask_b32_e32 v3, v3, v0, vcc
	global_store_dwordx4 v[5:6], v[1:4], off
.LBB416_211:
	s_endpgm
.LBB416_212:
	v_lshlrev_b32_e32 v5, 4, v33
	global_load_dwordx4 v[5:8], v5, s[16:17]
	s_or_b64 exec, exec, s[28:29]
	s_and_saveexec_b64 s[28:29], s[14:15]
	s_cbranch_execz .LBB416_60
.LBB416_213:
	s_waitcnt vmcnt(0)
	v_cmp_lt_i64_e64 s[14:15], v[21:22], v[1:2]
	v_cmp_lt_i64_e64 s[16:17], v[3:4], v[23:24]
	s_or_b64 s[14:15], s[14:15], s[16:17]
	v_cndmask_b32_e64 v33, v21, v1, s[14:15]
	v_cndmask_b32_e64 v34, v22, v2, s[14:15]
	;; [unrolled: 1-line block ×4, first 2 shown]
	v_cmp_lt_i64_e64 s[14:15], v[1:2], v[21:22]
	v_cndmask_b32_e64 v4, v4, v24, s[14:15]
	v_cndmask_b32_e64 v3, v3, v23, s[14:15]
	;; [unrolled: 1-line block ×4, first 2 shown]
	s_or_b64 exec, exec, s[28:29]
	s_and_saveexec_b64 s[16:17], s[12:13]
	s_cbranch_execz .LBB416_61
.LBB416_214:
	s_waitcnt vmcnt(0)
	v_cmp_lt_i64_e64 s[12:13], v[29:30], v[1:2]
	v_cmp_lt_i64_e64 s[14:15], v[3:4], v[31:32]
	s_or_b64 s[12:13], s[12:13], s[14:15]
	v_cndmask_b32_e64 v21, v29, v1, s[12:13]
	v_cndmask_b32_e64 v22, v30, v2, s[12:13]
	;; [unrolled: 1-line block ×4, first 2 shown]
	v_cmp_lt_i64_e64 s[12:13], v[1:2], v[29:30]
	v_cndmask_b32_e64 v4, v4, v32, s[12:13]
	v_cndmask_b32_e64 v3, v3, v31, s[12:13]
	;; [unrolled: 1-line block ×4, first 2 shown]
	s_or_b64 exec, exec, s[16:17]
	s_and_saveexec_b64 s[14:15], s[10:11]
	s_cbranch_execz .LBB416_62
.LBB416_215:
	s_waitcnt vmcnt(0)
	v_cmp_lt_i64_e64 s[10:11], v[13:14], v[1:2]
	v_cmp_lt_i64_e64 s[12:13], v[3:4], v[15:16]
	s_or_b64 s[10:11], s[10:11], s[12:13]
	v_cndmask_b32_e64 v21, v13, v1, s[10:11]
	v_cndmask_b32_e64 v22, v14, v2, s[10:11]
	;; [unrolled: 1-line block ×4, first 2 shown]
	v_cmp_lt_i64_e64 s[10:11], v[1:2], v[13:14]
	v_cndmask_b32_e64 v4, v4, v16, s[10:11]
	v_cndmask_b32_e64 v3, v3, v15, s[10:11]
	;; [unrolled: 1-line block ×4, first 2 shown]
	s_or_b64 exec, exec, s[14:15]
	s_and_saveexec_b64 s[12:13], s[8:9]
	s_cbranch_execz .LBB416_63
.LBB416_216:
	s_waitcnt vmcnt(0)
	v_cmp_lt_i64_e64 s[8:9], v[25:26], v[1:2]
	v_cmp_lt_i64_e64 s[10:11], v[3:4], v[27:28]
	s_or_b64 s[8:9], s[8:9], s[10:11]
	v_cndmask_b32_e64 v13, v25, v1, s[8:9]
	v_cndmask_b32_e64 v14, v26, v2, s[8:9]
	;; [unrolled: 1-line block ×4, first 2 shown]
	v_cmp_lt_i64_e64 s[8:9], v[1:2], v[25:26]
	v_cndmask_b32_e64 v4, v4, v28, s[8:9]
	v_cndmask_b32_e64 v3, v3, v27, s[8:9]
	;; [unrolled: 1-line block ×4, first 2 shown]
	s_or_b64 exec, exec, s[12:13]
	s_and_saveexec_b64 s[10:11], s[2:3]
	s_cbranch_execz .LBB416_64
.LBB416_217:
	s_waitcnt vmcnt(0)
	v_cmp_lt_i64_e64 s[2:3], v[9:10], v[1:2]
	v_cmp_lt_i64_e64 s[8:9], v[3:4], v[11:12]
	s_or_b64 s[2:3], s[2:3], s[8:9]
	v_cndmask_b32_e64 v13, v9, v1, s[2:3]
	v_cndmask_b32_e64 v14, v10, v2, s[2:3]
	;; [unrolled: 1-line block ×4, first 2 shown]
	v_cmp_lt_i64_e64 s[2:3], v[1:2], v[9:10]
	v_cndmask_b32_e64 v4, v4, v12, s[2:3]
	v_cndmask_b32_e64 v3, v3, v11, s[2:3]
	;; [unrolled: 1-line block ×4, first 2 shown]
	s_or_b64 exec, exec, s[10:11]
	s_and_saveexec_b64 s[8:9], s[0:1]
	s_cbranch_execz .LBB416_65
.LBB416_218:
	s_waitcnt vmcnt(0)
	v_cmp_lt_i64_e64 s[0:1], v[17:18], v[1:2]
	v_cmp_lt_i64_e64 s[2:3], v[3:4], v[19:20]
	s_or_b64 s[0:1], s[0:1], s[2:3]
	v_cndmask_b32_e64 v9, v17, v1, s[0:1]
	v_cndmask_b32_e64 v10, v18, v2, s[0:1]
	;; [unrolled: 1-line block ×4, first 2 shown]
	v_cmp_lt_i64_e64 s[0:1], v[1:2], v[17:18]
	v_cndmask_b32_e64 v4, v4, v20, s[0:1]
	v_cndmask_b32_e64 v3, v3, v19, s[0:1]
	v_cndmask_b32_e64 v2, v10, v18, s[0:1]
	v_cndmask_b32_e64 v1, v9, v17, s[0:1]
	s_or_b64 exec, exec, s[8:9]
	s_and_saveexec_b64 s[2:3], vcc
	s_cbranch_execnz .LBB416_66
	s_branch .LBB416_67
.LBB416_219:
	v_lshlrev_b32_e32 v5, 4, v17
	global_load_dwordx4 v[5:8], v5, s[8:9]
	s_or_b64 exec, exec, s[10:11]
	s_and_saveexec_b64 s[10:11], s[2:3]
	s_cbranch_execz .LBB416_96
.LBB416_220:
	s_waitcnt vmcnt(0)
	v_cmp_lt_i64_e64 s[2:3], v[9:10], v[1:2]
	v_cmp_lt_i64_e64 s[8:9], v[3:4], v[11:12]
	s_or_b64 s[2:3], s[2:3], s[8:9]
	v_cndmask_b32_e64 v17, v9, v1, s[2:3]
	v_cndmask_b32_e64 v18, v10, v2, s[2:3]
	;; [unrolled: 1-line block ×4, first 2 shown]
	v_cmp_lt_i64_e64 s[2:3], v[1:2], v[9:10]
	v_cndmask_b32_e64 v4, v4, v12, s[2:3]
	v_cndmask_b32_e64 v3, v3, v11, s[2:3]
	;; [unrolled: 1-line block ×4, first 2 shown]
	s_or_b64 exec, exec, s[10:11]
	s_and_saveexec_b64 s[8:9], s[0:1]
	s_cbranch_execz .LBB416_97
.LBB416_221:
	s_waitcnt vmcnt(0)
	v_cmp_lt_i64_e64 s[0:1], v[13:14], v[1:2]
	v_cmp_lt_i64_e64 s[2:3], v[3:4], v[15:16]
	s_or_b64 s[0:1], s[0:1], s[2:3]
	v_cndmask_b32_e64 v9, v13, v1, s[0:1]
	v_cndmask_b32_e64 v10, v14, v2, s[0:1]
	;; [unrolled: 1-line block ×4, first 2 shown]
	v_cmp_lt_i64_e64 s[0:1], v[1:2], v[13:14]
	v_cndmask_b32_e64 v4, v4, v16, s[0:1]
	v_cndmask_b32_e64 v3, v3, v15, s[0:1]
	;; [unrolled: 1-line block ×4, first 2 shown]
	s_or_b64 exec, exec, s[8:9]
	s_and_saveexec_b64 s[2:3], vcc
	s_cbranch_execnz .LBB416_98
	s_branch .LBB416_99
	.section	.rodata,"a",@progbits
	.p2align	6, 0x0
	.amdhsa_kernel _ZN7rocprim17ROCPRIM_400000_NS6detail17trampoline_kernelINS0_14default_configENS1_22reduce_config_selectorIN6thrust23THRUST_200600_302600_NS5tupleIllNS6_9null_typeES8_S8_S8_S8_S8_S8_S8_EEEEZNS1_11reduce_implILb0ES3_PS9_SC_S9_NS6_11hip_rocprim9__extrema9arg_max_fIllNS6_4lessIlEEEEEE10hipError_tPvRmT1_T2_T3_mT4_P12ihipStream_tbEUlT_E1_NS1_11comp_targetILNS1_3genE2ELNS1_11target_archE906ELNS1_3gpuE6ELNS1_3repE0EEENS1_30default_config_static_selectorELNS0_4arch9wavefront6targetE1EEEvSM_
		.amdhsa_group_segment_fixed_size 160
		.amdhsa_private_segment_fixed_size 0
		.amdhsa_kernarg_size 56
		.amdhsa_user_sgpr_count 6
		.amdhsa_user_sgpr_private_segment_buffer 1
		.amdhsa_user_sgpr_dispatch_ptr 0
		.amdhsa_user_sgpr_queue_ptr 0
		.amdhsa_user_sgpr_kernarg_segment_ptr 1
		.amdhsa_user_sgpr_dispatch_id 0
		.amdhsa_user_sgpr_flat_scratch_init 0
		.amdhsa_user_sgpr_private_segment_size 0
		.amdhsa_uses_dynamic_stack 0
		.amdhsa_system_sgpr_private_segment_wavefront_offset 0
		.amdhsa_system_sgpr_workgroup_id_x 1
		.amdhsa_system_sgpr_workgroup_id_y 0
		.amdhsa_system_sgpr_workgroup_id_z 0
		.amdhsa_system_sgpr_workgroup_info 0
		.amdhsa_system_vgpr_workitem_id 0
		.amdhsa_next_free_vgpr 35
		.amdhsa_next_free_sgpr 32
		.amdhsa_reserve_vcc 1
		.amdhsa_reserve_flat_scratch 0
		.amdhsa_float_round_mode_32 0
		.amdhsa_float_round_mode_16_64 0
		.amdhsa_float_denorm_mode_32 3
		.amdhsa_float_denorm_mode_16_64 3
		.amdhsa_dx10_clamp 1
		.amdhsa_ieee_mode 1
		.amdhsa_fp16_overflow 0
		.amdhsa_exception_fp_ieee_invalid_op 0
		.amdhsa_exception_fp_denorm_src 0
		.amdhsa_exception_fp_ieee_div_zero 0
		.amdhsa_exception_fp_ieee_overflow 0
		.amdhsa_exception_fp_ieee_underflow 0
		.amdhsa_exception_fp_ieee_inexact 0
		.amdhsa_exception_int_div_zero 0
	.end_amdhsa_kernel
	.section	.text._ZN7rocprim17ROCPRIM_400000_NS6detail17trampoline_kernelINS0_14default_configENS1_22reduce_config_selectorIN6thrust23THRUST_200600_302600_NS5tupleIllNS6_9null_typeES8_S8_S8_S8_S8_S8_S8_EEEEZNS1_11reduce_implILb0ES3_PS9_SC_S9_NS6_11hip_rocprim9__extrema9arg_max_fIllNS6_4lessIlEEEEEE10hipError_tPvRmT1_T2_T3_mT4_P12ihipStream_tbEUlT_E1_NS1_11comp_targetILNS1_3genE2ELNS1_11target_archE906ELNS1_3gpuE6ELNS1_3repE0EEENS1_30default_config_static_selectorELNS0_4arch9wavefront6targetE1EEEvSM_,"axG",@progbits,_ZN7rocprim17ROCPRIM_400000_NS6detail17trampoline_kernelINS0_14default_configENS1_22reduce_config_selectorIN6thrust23THRUST_200600_302600_NS5tupleIllNS6_9null_typeES8_S8_S8_S8_S8_S8_S8_EEEEZNS1_11reduce_implILb0ES3_PS9_SC_S9_NS6_11hip_rocprim9__extrema9arg_max_fIllNS6_4lessIlEEEEEE10hipError_tPvRmT1_T2_T3_mT4_P12ihipStream_tbEUlT_E1_NS1_11comp_targetILNS1_3genE2ELNS1_11target_archE906ELNS1_3gpuE6ELNS1_3repE0EEENS1_30default_config_static_selectorELNS0_4arch9wavefront6targetE1EEEvSM_,comdat
.Lfunc_end416:
	.size	_ZN7rocprim17ROCPRIM_400000_NS6detail17trampoline_kernelINS0_14default_configENS1_22reduce_config_selectorIN6thrust23THRUST_200600_302600_NS5tupleIllNS6_9null_typeES8_S8_S8_S8_S8_S8_S8_EEEEZNS1_11reduce_implILb0ES3_PS9_SC_S9_NS6_11hip_rocprim9__extrema9arg_max_fIllNS6_4lessIlEEEEEE10hipError_tPvRmT1_T2_T3_mT4_P12ihipStream_tbEUlT_E1_NS1_11comp_targetILNS1_3genE2ELNS1_11target_archE906ELNS1_3gpuE6ELNS1_3repE0EEENS1_30default_config_static_selectorELNS0_4arch9wavefront6targetE1EEEvSM_, .Lfunc_end416-_ZN7rocprim17ROCPRIM_400000_NS6detail17trampoline_kernelINS0_14default_configENS1_22reduce_config_selectorIN6thrust23THRUST_200600_302600_NS5tupleIllNS6_9null_typeES8_S8_S8_S8_S8_S8_S8_EEEEZNS1_11reduce_implILb0ES3_PS9_SC_S9_NS6_11hip_rocprim9__extrema9arg_max_fIllNS6_4lessIlEEEEEE10hipError_tPvRmT1_T2_T3_mT4_P12ihipStream_tbEUlT_E1_NS1_11comp_targetILNS1_3genE2ELNS1_11target_archE906ELNS1_3gpuE6ELNS1_3repE0EEENS1_30default_config_static_selectorELNS0_4arch9wavefront6targetE1EEEvSM_
                                        ; -- End function
	.set _ZN7rocprim17ROCPRIM_400000_NS6detail17trampoline_kernelINS0_14default_configENS1_22reduce_config_selectorIN6thrust23THRUST_200600_302600_NS5tupleIllNS6_9null_typeES8_S8_S8_S8_S8_S8_S8_EEEEZNS1_11reduce_implILb0ES3_PS9_SC_S9_NS6_11hip_rocprim9__extrema9arg_max_fIllNS6_4lessIlEEEEEE10hipError_tPvRmT1_T2_T3_mT4_P12ihipStream_tbEUlT_E1_NS1_11comp_targetILNS1_3genE2ELNS1_11target_archE906ELNS1_3gpuE6ELNS1_3repE0EEENS1_30default_config_static_selectorELNS0_4arch9wavefront6targetE1EEEvSM_.num_vgpr, 35
	.set _ZN7rocprim17ROCPRIM_400000_NS6detail17trampoline_kernelINS0_14default_configENS1_22reduce_config_selectorIN6thrust23THRUST_200600_302600_NS5tupleIllNS6_9null_typeES8_S8_S8_S8_S8_S8_S8_EEEEZNS1_11reduce_implILb0ES3_PS9_SC_S9_NS6_11hip_rocprim9__extrema9arg_max_fIllNS6_4lessIlEEEEEE10hipError_tPvRmT1_T2_T3_mT4_P12ihipStream_tbEUlT_E1_NS1_11comp_targetILNS1_3genE2ELNS1_11target_archE906ELNS1_3gpuE6ELNS1_3repE0EEENS1_30default_config_static_selectorELNS0_4arch9wavefront6targetE1EEEvSM_.num_agpr, 0
	.set _ZN7rocprim17ROCPRIM_400000_NS6detail17trampoline_kernelINS0_14default_configENS1_22reduce_config_selectorIN6thrust23THRUST_200600_302600_NS5tupleIllNS6_9null_typeES8_S8_S8_S8_S8_S8_S8_EEEEZNS1_11reduce_implILb0ES3_PS9_SC_S9_NS6_11hip_rocprim9__extrema9arg_max_fIllNS6_4lessIlEEEEEE10hipError_tPvRmT1_T2_T3_mT4_P12ihipStream_tbEUlT_E1_NS1_11comp_targetILNS1_3genE2ELNS1_11target_archE906ELNS1_3gpuE6ELNS1_3repE0EEENS1_30default_config_static_selectorELNS0_4arch9wavefront6targetE1EEEvSM_.numbered_sgpr, 32
	.set _ZN7rocprim17ROCPRIM_400000_NS6detail17trampoline_kernelINS0_14default_configENS1_22reduce_config_selectorIN6thrust23THRUST_200600_302600_NS5tupleIllNS6_9null_typeES8_S8_S8_S8_S8_S8_S8_EEEEZNS1_11reduce_implILb0ES3_PS9_SC_S9_NS6_11hip_rocprim9__extrema9arg_max_fIllNS6_4lessIlEEEEEE10hipError_tPvRmT1_T2_T3_mT4_P12ihipStream_tbEUlT_E1_NS1_11comp_targetILNS1_3genE2ELNS1_11target_archE906ELNS1_3gpuE6ELNS1_3repE0EEENS1_30default_config_static_selectorELNS0_4arch9wavefront6targetE1EEEvSM_.num_named_barrier, 0
	.set _ZN7rocprim17ROCPRIM_400000_NS6detail17trampoline_kernelINS0_14default_configENS1_22reduce_config_selectorIN6thrust23THRUST_200600_302600_NS5tupleIllNS6_9null_typeES8_S8_S8_S8_S8_S8_S8_EEEEZNS1_11reduce_implILb0ES3_PS9_SC_S9_NS6_11hip_rocprim9__extrema9arg_max_fIllNS6_4lessIlEEEEEE10hipError_tPvRmT1_T2_T3_mT4_P12ihipStream_tbEUlT_E1_NS1_11comp_targetILNS1_3genE2ELNS1_11target_archE906ELNS1_3gpuE6ELNS1_3repE0EEENS1_30default_config_static_selectorELNS0_4arch9wavefront6targetE1EEEvSM_.private_seg_size, 0
	.set _ZN7rocprim17ROCPRIM_400000_NS6detail17trampoline_kernelINS0_14default_configENS1_22reduce_config_selectorIN6thrust23THRUST_200600_302600_NS5tupleIllNS6_9null_typeES8_S8_S8_S8_S8_S8_S8_EEEEZNS1_11reduce_implILb0ES3_PS9_SC_S9_NS6_11hip_rocprim9__extrema9arg_max_fIllNS6_4lessIlEEEEEE10hipError_tPvRmT1_T2_T3_mT4_P12ihipStream_tbEUlT_E1_NS1_11comp_targetILNS1_3genE2ELNS1_11target_archE906ELNS1_3gpuE6ELNS1_3repE0EEENS1_30default_config_static_selectorELNS0_4arch9wavefront6targetE1EEEvSM_.uses_vcc, 1
	.set _ZN7rocprim17ROCPRIM_400000_NS6detail17trampoline_kernelINS0_14default_configENS1_22reduce_config_selectorIN6thrust23THRUST_200600_302600_NS5tupleIllNS6_9null_typeES8_S8_S8_S8_S8_S8_S8_EEEEZNS1_11reduce_implILb0ES3_PS9_SC_S9_NS6_11hip_rocprim9__extrema9arg_max_fIllNS6_4lessIlEEEEEE10hipError_tPvRmT1_T2_T3_mT4_P12ihipStream_tbEUlT_E1_NS1_11comp_targetILNS1_3genE2ELNS1_11target_archE906ELNS1_3gpuE6ELNS1_3repE0EEENS1_30default_config_static_selectorELNS0_4arch9wavefront6targetE1EEEvSM_.uses_flat_scratch, 0
	.set _ZN7rocprim17ROCPRIM_400000_NS6detail17trampoline_kernelINS0_14default_configENS1_22reduce_config_selectorIN6thrust23THRUST_200600_302600_NS5tupleIllNS6_9null_typeES8_S8_S8_S8_S8_S8_S8_EEEEZNS1_11reduce_implILb0ES3_PS9_SC_S9_NS6_11hip_rocprim9__extrema9arg_max_fIllNS6_4lessIlEEEEEE10hipError_tPvRmT1_T2_T3_mT4_P12ihipStream_tbEUlT_E1_NS1_11comp_targetILNS1_3genE2ELNS1_11target_archE906ELNS1_3gpuE6ELNS1_3repE0EEENS1_30default_config_static_selectorELNS0_4arch9wavefront6targetE1EEEvSM_.has_dyn_sized_stack, 0
	.set _ZN7rocprim17ROCPRIM_400000_NS6detail17trampoline_kernelINS0_14default_configENS1_22reduce_config_selectorIN6thrust23THRUST_200600_302600_NS5tupleIllNS6_9null_typeES8_S8_S8_S8_S8_S8_S8_EEEEZNS1_11reduce_implILb0ES3_PS9_SC_S9_NS6_11hip_rocprim9__extrema9arg_max_fIllNS6_4lessIlEEEEEE10hipError_tPvRmT1_T2_T3_mT4_P12ihipStream_tbEUlT_E1_NS1_11comp_targetILNS1_3genE2ELNS1_11target_archE906ELNS1_3gpuE6ELNS1_3repE0EEENS1_30default_config_static_selectorELNS0_4arch9wavefront6targetE1EEEvSM_.has_recursion, 0
	.set _ZN7rocprim17ROCPRIM_400000_NS6detail17trampoline_kernelINS0_14default_configENS1_22reduce_config_selectorIN6thrust23THRUST_200600_302600_NS5tupleIllNS6_9null_typeES8_S8_S8_S8_S8_S8_S8_EEEEZNS1_11reduce_implILb0ES3_PS9_SC_S9_NS6_11hip_rocprim9__extrema9arg_max_fIllNS6_4lessIlEEEEEE10hipError_tPvRmT1_T2_T3_mT4_P12ihipStream_tbEUlT_E1_NS1_11comp_targetILNS1_3genE2ELNS1_11target_archE906ELNS1_3gpuE6ELNS1_3repE0EEENS1_30default_config_static_selectorELNS0_4arch9wavefront6targetE1EEEvSM_.has_indirect_call, 0
	.section	.AMDGPU.csdata,"",@progbits
; Kernel info:
; codeLenInByte = 10896
; TotalNumSgprs: 36
; NumVgprs: 35
; ScratchSize: 0
; MemoryBound: 1
; FloatMode: 240
; IeeeMode: 1
; LDSByteSize: 160 bytes/workgroup (compile time only)
; SGPRBlocks: 4
; VGPRBlocks: 8
; NumSGPRsForWavesPerEU: 36
; NumVGPRsForWavesPerEU: 35
; Occupancy: 7
; WaveLimiterHint : 1
; COMPUTE_PGM_RSRC2:SCRATCH_EN: 0
; COMPUTE_PGM_RSRC2:USER_SGPR: 6
; COMPUTE_PGM_RSRC2:TRAP_HANDLER: 0
; COMPUTE_PGM_RSRC2:TGID_X_EN: 1
; COMPUTE_PGM_RSRC2:TGID_Y_EN: 0
; COMPUTE_PGM_RSRC2:TGID_Z_EN: 0
; COMPUTE_PGM_RSRC2:TIDIG_COMP_CNT: 0
	.section	.text._ZN7rocprim17ROCPRIM_400000_NS6detail17trampoline_kernelINS0_14default_configENS1_22reduce_config_selectorIN6thrust23THRUST_200600_302600_NS5tupleIllNS6_9null_typeES8_S8_S8_S8_S8_S8_S8_EEEEZNS1_11reduce_implILb0ES3_PS9_SC_S9_NS6_11hip_rocprim9__extrema9arg_max_fIllNS6_4lessIlEEEEEE10hipError_tPvRmT1_T2_T3_mT4_P12ihipStream_tbEUlT_E1_NS1_11comp_targetILNS1_3genE10ELNS1_11target_archE1201ELNS1_3gpuE5ELNS1_3repE0EEENS1_30default_config_static_selectorELNS0_4arch9wavefront6targetE1EEEvSM_,"axG",@progbits,_ZN7rocprim17ROCPRIM_400000_NS6detail17trampoline_kernelINS0_14default_configENS1_22reduce_config_selectorIN6thrust23THRUST_200600_302600_NS5tupleIllNS6_9null_typeES8_S8_S8_S8_S8_S8_S8_EEEEZNS1_11reduce_implILb0ES3_PS9_SC_S9_NS6_11hip_rocprim9__extrema9arg_max_fIllNS6_4lessIlEEEEEE10hipError_tPvRmT1_T2_T3_mT4_P12ihipStream_tbEUlT_E1_NS1_11comp_targetILNS1_3genE10ELNS1_11target_archE1201ELNS1_3gpuE5ELNS1_3repE0EEENS1_30default_config_static_selectorELNS0_4arch9wavefront6targetE1EEEvSM_,comdat
	.protected	_ZN7rocprim17ROCPRIM_400000_NS6detail17trampoline_kernelINS0_14default_configENS1_22reduce_config_selectorIN6thrust23THRUST_200600_302600_NS5tupleIllNS6_9null_typeES8_S8_S8_S8_S8_S8_S8_EEEEZNS1_11reduce_implILb0ES3_PS9_SC_S9_NS6_11hip_rocprim9__extrema9arg_max_fIllNS6_4lessIlEEEEEE10hipError_tPvRmT1_T2_T3_mT4_P12ihipStream_tbEUlT_E1_NS1_11comp_targetILNS1_3genE10ELNS1_11target_archE1201ELNS1_3gpuE5ELNS1_3repE0EEENS1_30default_config_static_selectorELNS0_4arch9wavefront6targetE1EEEvSM_ ; -- Begin function _ZN7rocprim17ROCPRIM_400000_NS6detail17trampoline_kernelINS0_14default_configENS1_22reduce_config_selectorIN6thrust23THRUST_200600_302600_NS5tupleIllNS6_9null_typeES8_S8_S8_S8_S8_S8_S8_EEEEZNS1_11reduce_implILb0ES3_PS9_SC_S9_NS6_11hip_rocprim9__extrema9arg_max_fIllNS6_4lessIlEEEEEE10hipError_tPvRmT1_T2_T3_mT4_P12ihipStream_tbEUlT_E1_NS1_11comp_targetILNS1_3genE10ELNS1_11target_archE1201ELNS1_3gpuE5ELNS1_3repE0EEENS1_30default_config_static_selectorELNS0_4arch9wavefront6targetE1EEEvSM_
	.globl	_ZN7rocprim17ROCPRIM_400000_NS6detail17trampoline_kernelINS0_14default_configENS1_22reduce_config_selectorIN6thrust23THRUST_200600_302600_NS5tupleIllNS6_9null_typeES8_S8_S8_S8_S8_S8_S8_EEEEZNS1_11reduce_implILb0ES3_PS9_SC_S9_NS6_11hip_rocprim9__extrema9arg_max_fIllNS6_4lessIlEEEEEE10hipError_tPvRmT1_T2_T3_mT4_P12ihipStream_tbEUlT_E1_NS1_11comp_targetILNS1_3genE10ELNS1_11target_archE1201ELNS1_3gpuE5ELNS1_3repE0EEENS1_30default_config_static_selectorELNS0_4arch9wavefront6targetE1EEEvSM_
	.p2align	8
	.type	_ZN7rocprim17ROCPRIM_400000_NS6detail17trampoline_kernelINS0_14default_configENS1_22reduce_config_selectorIN6thrust23THRUST_200600_302600_NS5tupleIllNS6_9null_typeES8_S8_S8_S8_S8_S8_S8_EEEEZNS1_11reduce_implILb0ES3_PS9_SC_S9_NS6_11hip_rocprim9__extrema9arg_max_fIllNS6_4lessIlEEEEEE10hipError_tPvRmT1_T2_T3_mT4_P12ihipStream_tbEUlT_E1_NS1_11comp_targetILNS1_3genE10ELNS1_11target_archE1201ELNS1_3gpuE5ELNS1_3repE0EEENS1_30default_config_static_selectorELNS0_4arch9wavefront6targetE1EEEvSM_,@function
_ZN7rocprim17ROCPRIM_400000_NS6detail17trampoline_kernelINS0_14default_configENS1_22reduce_config_selectorIN6thrust23THRUST_200600_302600_NS5tupleIllNS6_9null_typeES8_S8_S8_S8_S8_S8_S8_EEEEZNS1_11reduce_implILb0ES3_PS9_SC_S9_NS6_11hip_rocprim9__extrema9arg_max_fIllNS6_4lessIlEEEEEE10hipError_tPvRmT1_T2_T3_mT4_P12ihipStream_tbEUlT_E1_NS1_11comp_targetILNS1_3genE10ELNS1_11target_archE1201ELNS1_3gpuE5ELNS1_3repE0EEENS1_30default_config_static_selectorELNS0_4arch9wavefront6targetE1EEEvSM_: ; @_ZN7rocprim17ROCPRIM_400000_NS6detail17trampoline_kernelINS0_14default_configENS1_22reduce_config_selectorIN6thrust23THRUST_200600_302600_NS5tupleIllNS6_9null_typeES8_S8_S8_S8_S8_S8_S8_EEEEZNS1_11reduce_implILb0ES3_PS9_SC_S9_NS6_11hip_rocprim9__extrema9arg_max_fIllNS6_4lessIlEEEEEE10hipError_tPvRmT1_T2_T3_mT4_P12ihipStream_tbEUlT_E1_NS1_11comp_targetILNS1_3genE10ELNS1_11target_archE1201ELNS1_3gpuE5ELNS1_3repE0EEENS1_30default_config_static_selectorELNS0_4arch9wavefront6targetE1EEEvSM_
; %bb.0:
	.section	.rodata,"a",@progbits
	.p2align	6, 0x0
	.amdhsa_kernel _ZN7rocprim17ROCPRIM_400000_NS6detail17trampoline_kernelINS0_14default_configENS1_22reduce_config_selectorIN6thrust23THRUST_200600_302600_NS5tupleIllNS6_9null_typeES8_S8_S8_S8_S8_S8_S8_EEEEZNS1_11reduce_implILb0ES3_PS9_SC_S9_NS6_11hip_rocprim9__extrema9arg_max_fIllNS6_4lessIlEEEEEE10hipError_tPvRmT1_T2_T3_mT4_P12ihipStream_tbEUlT_E1_NS1_11comp_targetILNS1_3genE10ELNS1_11target_archE1201ELNS1_3gpuE5ELNS1_3repE0EEENS1_30default_config_static_selectorELNS0_4arch9wavefront6targetE1EEEvSM_
		.amdhsa_group_segment_fixed_size 0
		.amdhsa_private_segment_fixed_size 0
		.amdhsa_kernarg_size 56
		.amdhsa_user_sgpr_count 6
		.amdhsa_user_sgpr_private_segment_buffer 1
		.amdhsa_user_sgpr_dispatch_ptr 0
		.amdhsa_user_sgpr_queue_ptr 0
		.amdhsa_user_sgpr_kernarg_segment_ptr 1
		.amdhsa_user_sgpr_dispatch_id 0
		.amdhsa_user_sgpr_flat_scratch_init 0
		.amdhsa_user_sgpr_private_segment_size 0
		.amdhsa_uses_dynamic_stack 0
		.amdhsa_system_sgpr_private_segment_wavefront_offset 0
		.amdhsa_system_sgpr_workgroup_id_x 1
		.amdhsa_system_sgpr_workgroup_id_y 0
		.amdhsa_system_sgpr_workgroup_id_z 0
		.amdhsa_system_sgpr_workgroup_info 0
		.amdhsa_system_vgpr_workitem_id 0
		.amdhsa_next_free_vgpr 1
		.amdhsa_next_free_sgpr 0
		.amdhsa_reserve_vcc 0
		.amdhsa_reserve_flat_scratch 0
		.amdhsa_float_round_mode_32 0
		.amdhsa_float_round_mode_16_64 0
		.amdhsa_float_denorm_mode_32 3
		.amdhsa_float_denorm_mode_16_64 3
		.amdhsa_dx10_clamp 1
		.amdhsa_ieee_mode 1
		.amdhsa_fp16_overflow 0
		.amdhsa_exception_fp_ieee_invalid_op 0
		.amdhsa_exception_fp_denorm_src 0
		.amdhsa_exception_fp_ieee_div_zero 0
		.amdhsa_exception_fp_ieee_overflow 0
		.amdhsa_exception_fp_ieee_underflow 0
		.amdhsa_exception_fp_ieee_inexact 0
		.amdhsa_exception_int_div_zero 0
	.end_amdhsa_kernel
	.section	.text._ZN7rocprim17ROCPRIM_400000_NS6detail17trampoline_kernelINS0_14default_configENS1_22reduce_config_selectorIN6thrust23THRUST_200600_302600_NS5tupleIllNS6_9null_typeES8_S8_S8_S8_S8_S8_S8_EEEEZNS1_11reduce_implILb0ES3_PS9_SC_S9_NS6_11hip_rocprim9__extrema9arg_max_fIllNS6_4lessIlEEEEEE10hipError_tPvRmT1_T2_T3_mT4_P12ihipStream_tbEUlT_E1_NS1_11comp_targetILNS1_3genE10ELNS1_11target_archE1201ELNS1_3gpuE5ELNS1_3repE0EEENS1_30default_config_static_selectorELNS0_4arch9wavefront6targetE1EEEvSM_,"axG",@progbits,_ZN7rocprim17ROCPRIM_400000_NS6detail17trampoline_kernelINS0_14default_configENS1_22reduce_config_selectorIN6thrust23THRUST_200600_302600_NS5tupleIllNS6_9null_typeES8_S8_S8_S8_S8_S8_S8_EEEEZNS1_11reduce_implILb0ES3_PS9_SC_S9_NS6_11hip_rocprim9__extrema9arg_max_fIllNS6_4lessIlEEEEEE10hipError_tPvRmT1_T2_T3_mT4_P12ihipStream_tbEUlT_E1_NS1_11comp_targetILNS1_3genE10ELNS1_11target_archE1201ELNS1_3gpuE5ELNS1_3repE0EEENS1_30default_config_static_selectorELNS0_4arch9wavefront6targetE1EEEvSM_,comdat
.Lfunc_end417:
	.size	_ZN7rocprim17ROCPRIM_400000_NS6detail17trampoline_kernelINS0_14default_configENS1_22reduce_config_selectorIN6thrust23THRUST_200600_302600_NS5tupleIllNS6_9null_typeES8_S8_S8_S8_S8_S8_S8_EEEEZNS1_11reduce_implILb0ES3_PS9_SC_S9_NS6_11hip_rocprim9__extrema9arg_max_fIllNS6_4lessIlEEEEEE10hipError_tPvRmT1_T2_T3_mT4_P12ihipStream_tbEUlT_E1_NS1_11comp_targetILNS1_3genE10ELNS1_11target_archE1201ELNS1_3gpuE5ELNS1_3repE0EEENS1_30default_config_static_selectorELNS0_4arch9wavefront6targetE1EEEvSM_, .Lfunc_end417-_ZN7rocprim17ROCPRIM_400000_NS6detail17trampoline_kernelINS0_14default_configENS1_22reduce_config_selectorIN6thrust23THRUST_200600_302600_NS5tupleIllNS6_9null_typeES8_S8_S8_S8_S8_S8_S8_EEEEZNS1_11reduce_implILb0ES3_PS9_SC_S9_NS6_11hip_rocprim9__extrema9arg_max_fIllNS6_4lessIlEEEEEE10hipError_tPvRmT1_T2_T3_mT4_P12ihipStream_tbEUlT_E1_NS1_11comp_targetILNS1_3genE10ELNS1_11target_archE1201ELNS1_3gpuE5ELNS1_3repE0EEENS1_30default_config_static_selectorELNS0_4arch9wavefront6targetE1EEEvSM_
                                        ; -- End function
	.set _ZN7rocprim17ROCPRIM_400000_NS6detail17trampoline_kernelINS0_14default_configENS1_22reduce_config_selectorIN6thrust23THRUST_200600_302600_NS5tupleIllNS6_9null_typeES8_S8_S8_S8_S8_S8_S8_EEEEZNS1_11reduce_implILb0ES3_PS9_SC_S9_NS6_11hip_rocprim9__extrema9arg_max_fIllNS6_4lessIlEEEEEE10hipError_tPvRmT1_T2_T3_mT4_P12ihipStream_tbEUlT_E1_NS1_11comp_targetILNS1_3genE10ELNS1_11target_archE1201ELNS1_3gpuE5ELNS1_3repE0EEENS1_30default_config_static_selectorELNS0_4arch9wavefront6targetE1EEEvSM_.num_vgpr, 0
	.set _ZN7rocprim17ROCPRIM_400000_NS6detail17trampoline_kernelINS0_14default_configENS1_22reduce_config_selectorIN6thrust23THRUST_200600_302600_NS5tupleIllNS6_9null_typeES8_S8_S8_S8_S8_S8_S8_EEEEZNS1_11reduce_implILb0ES3_PS9_SC_S9_NS6_11hip_rocprim9__extrema9arg_max_fIllNS6_4lessIlEEEEEE10hipError_tPvRmT1_T2_T3_mT4_P12ihipStream_tbEUlT_E1_NS1_11comp_targetILNS1_3genE10ELNS1_11target_archE1201ELNS1_3gpuE5ELNS1_3repE0EEENS1_30default_config_static_selectorELNS0_4arch9wavefront6targetE1EEEvSM_.num_agpr, 0
	.set _ZN7rocprim17ROCPRIM_400000_NS6detail17trampoline_kernelINS0_14default_configENS1_22reduce_config_selectorIN6thrust23THRUST_200600_302600_NS5tupleIllNS6_9null_typeES8_S8_S8_S8_S8_S8_S8_EEEEZNS1_11reduce_implILb0ES3_PS9_SC_S9_NS6_11hip_rocprim9__extrema9arg_max_fIllNS6_4lessIlEEEEEE10hipError_tPvRmT1_T2_T3_mT4_P12ihipStream_tbEUlT_E1_NS1_11comp_targetILNS1_3genE10ELNS1_11target_archE1201ELNS1_3gpuE5ELNS1_3repE0EEENS1_30default_config_static_selectorELNS0_4arch9wavefront6targetE1EEEvSM_.numbered_sgpr, 0
	.set _ZN7rocprim17ROCPRIM_400000_NS6detail17trampoline_kernelINS0_14default_configENS1_22reduce_config_selectorIN6thrust23THRUST_200600_302600_NS5tupleIllNS6_9null_typeES8_S8_S8_S8_S8_S8_S8_EEEEZNS1_11reduce_implILb0ES3_PS9_SC_S9_NS6_11hip_rocprim9__extrema9arg_max_fIllNS6_4lessIlEEEEEE10hipError_tPvRmT1_T2_T3_mT4_P12ihipStream_tbEUlT_E1_NS1_11comp_targetILNS1_3genE10ELNS1_11target_archE1201ELNS1_3gpuE5ELNS1_3repE0EEENS1_30default_config_static_selectorELNS0_4arch9wavefront6targetE1EEEvSM_.num_named_barrier, 0
	.set _ZN7rocprim17ROCPRIM_400000_NS6detail17trampoline_kernelINS0_14default_configENS1_22reduce_config_selectorIN6thrust23THRUST_200600_302600_NS5tupleIllNS6_9null_typeES8_S8_S8_S8_S8_S8_S8_EEEEZNS1_11reduce_implILb0ES3_PS9_SC_S9_NS6_11hip_rocprim9__extrema9arg_max_fIllNS6_4lessIlEEEEEE10hipError_tPvRmT1_T2_T3_mT4_P12ihipStream_tbEUlT_E1_NS1_11comp_targetILNS1_3genE10ELNS1_11target_archE1201ELNS1_3gpuE5ELNS1_3repE0EEENS1_30default_config_static_selectorELNS0_4arch9wavefront6targetE1EEEvSM_.private_seg_size, 0
	.set _ZN7rocprim17ROCPRIM_400000_NS6detail17trampoline_kernelINS0_14default_configENS1_22reduce_config_selectorIN6thrust23THRUST_200600_302600_NS5tupleIllNS6_9null_typeES8_S8_S8_S8_S8_S8_S8_EEEEZNS1_11reduce_implILb0ES3_PS9_SC_S9_NS6_11hip_rocprim9__extrema9arg_max_fIllNS6_4lessIlEEEEEE10hipError_tPvRmT1_T2_T3_mT4_P12ihipStream_tbEUlT_E1_NS1_11comp_targetILNS1_3genE10ELNS1_11target_archE1201ELNS1_3gpuE5ELNS1_3repE0EEENS1_30default_config_static_selectorELNS0_4arch9wavefront6targetE1EEEvSM_.uses_vcc, 0
	.set _ZN7rocprim17ROCPRIM_400000_NS6detail17trampoline_kernelINS0_14default_configENS1_22reduce_config_selectorIN6thrust23THRUST_200600_302600_NS5tupleIllNS6_9null_typeES8_S8_S8_S8_S8_S8_S8_EEEEZNS1_11reduce_implILb0ES3_PS9_SC_S9_NS6_11hip_rocprim9__extrema9arg_max_fIllNS6_4lessIlEEEEEE10hipError_tPvRmT1_T2_T3_mT4_P12ihipStream_tbEUlT_E1_NS1_11comp_targetILNS1_3genE10ELNS1_11target_archE1201ELNS1_3gpuE5ELNS1_3repE0EEENS1_30default_config_static_selectorELNS0_4arch9wavefront6targetE1EEEvSM_.uses_flat_scratch, 0
	.set _ZN7rocprim17ROCPRIM_400000_NS6detail17trampoline_kernelINS0_14default_configENS1_22reduce_config_selectorIN6thrust23THRUST_200600_302600_NS5tupleIllNS6_9null_typeES8_S8_S8_S8_S8_S8_S8_EEEEZNS1_11reduce_implILb0ES3_PS9_SC_S9_NS6_11hip_rocprim9__extrema9arg_max_fIllNS6_4lessIlEEEEEE10hipError_tPvRmT1_T2_T3_mT4_P12ihipStream_tbEUlT_E1_NS1_11comp_targetILNS1_3genE10ELNS1_11target_archE1201ELNS1_3gpuE5ELNS1_3repE0EEENS1_30default_config_static_selectorELNS0_4arch9wavefront6targetE1EEEvSM_.has_dyn_sized_stack, 0
	.set _ZN7rocprim17ROCPRIM_400000_NS6detail17trampoline_kernelINS0_14default_configENS1_22reduce_config_selectorIN6thrust23THRUST_200600_302600_NS5tupleIllNS6_9null_typeES8_S8_S8_S8_S8_S8_S8_EEEEZNS1_11reduce_implILb0ES3_PS9_SC_S9_NS6_11hip_rocprim9__extrema9arg_max_fIllNS6_4lessIlEEEEEE10hipError_tPvRmT1_T2_T3_mT4_P12ihipStream_tbEUlT_E1_NS1_11comp_targetILNS1_3genE10ELNS1_11target_archE1201ELNS1_3gpuE5ELNS1_3repE0EEENS1_30default_config_static_selectorELNS0_4arch9wavefront6targetE1EEEvSM_.has_recursion, 0
	.set _ZN7rocprim17ROCPRIM_400000_NS6detail17trampoline_kernelINS0_14default_configENS1_22reduce_config_selectorIN6thrust23THRUST_200600_302600_NS5tupleIllNS6_9null_typeES8_S8_S8_S8_S8_S8_S8_EEEEZNS1_11reduce_implILb0ES3_PS9_SC_S9_NS6_11hip_rocprim9__extrema9arg_max_fIllNS6_4lessIlEEEEEE10hipError_tPvRmT1_T2_T3_mT4_P12ihipStream_tbEUlT_E1_NS1_11comp_targetILNS1_3genE10ELNS1_11target_archE1201ELNS1_3gpuE5ELNS1_3repE0EEENS1_30default_config_static_selectorELNS0_4arch9wavefront6targetE1EEEvSM_.has_indirect_call, 0
	.section	.AMDGPU.csdata,"",@progbits
; Kernel info:
; codeLenInByte = 0
; TotalNumSgprs: 4
; NumVgprs: 0
; ScratchSize: 0
; MemoryBound: 0
; FloatMode: 240
; IeeeMode: 1
; LDSByteSize: 0 bytes/workgroup (compile time only)
; SGPRBlocks: 0
; VGPRBlocks: 0
; NumSGPRsForWavesPerEU: 4
; NumVGPRsForWavesPerEU: 1
; Occupancy: 10
; WaveLimiterHint : 0
; COMPUTE_PGM_RSRC2:SCRATCH_EN: 0
; COMPUTE_PGM_RSRC2:USER_SGPR: 6
; COMPUTE_PGM_RSRC2:TRAP_HANDLER: 0
; COMPUTE_PGM_RSRC2:TGID_X_EN: 1
; COMPUTE_PGM_RSRC2:TGID_Y_EN: 0
; COMPUTE_PGM_RSRC2:TGID_Z_EN: 0
; COMPUTE_PGM_RSRC2:TIDIG_COMP_CNT: 0
	.section	.text._ZN7rocprim17ROCPRIM_400000_NS6detail17trampoline_kernelINS0_14default_configENS1_22reduce_config_selectorIN6thrust23THRUST_200600_302600_NS5tupleIllNS6_9null_typeES8_S8_S8_S8_S8_S8_S8_EEEEZNS1_11reduce_implILb0ES3_PS9_SC_S9_NS6_11hip_rocprim9__extrema9arg_max_fIllNS6_4lessIlEEEEEE10hipError_tPvRmT1_T2_T3_mT4_P12ihipStream_tbEUlT_E1_NS1_11comp_targetILNS1_3genE10ELNS1_11target_archE1200ELNS1_3gpuE4ELNS1_3repE0EEENS1_30default_config_static_selectorELNS0_4arch9wavefront6targetE1EEEvSM_,"axG",@progbits,_ZN7rocprim17ROCPRIM_400000_NS6detail17trampoline_kernelINS0_14default_configENS1_22reduce_config_selectorIN6thrust23THRUST_200600_302600_NS5tupleIllNS6_9null_typeES8_S8_S8_S8_S8_S8_S8_EEEEZNS1_11reduce_implILb0ES3_PS9_SC_S9_NS6_11hip_rocprim9__extrema9arg_max_fIllNS6_4lessIlEEEEEE10hipError_tPvRmT1_T2_T3_mT4_P12ihipStream_tbEUlT_E1_NS1_11comp_targetILNS1_3genE10ELNS1_11target_archE1200ELNS1_3gpuE4ELNS1_3repE0EEENS1_30default_config_static_selectorELNS0_4arch9wavefront6targetE1EEEvSM_,comdat
	.protected	_ZN7rocprim17ROCPRIM_400000_NS6detail17trampoline_kernelINS0_14default_configENS1_22reduce_config_selectorIN6thrust23THRUST_200600_302600_NS5tupleIllNS6_9null_typeES8_S8_S8_S8_S8_S8_S8_EEEEZNS1_11reduce_implILb0ES3_PS9_SC_S9_NS6_11hip_rocprim9__extrema9arg_max_fIllNS6_4lessIlEEEEEE10hipError_tPvRmT1_T2_T3_mT4_P12ihipStream_tbEUlT_E1_NS1_11comp_targetILNS1_3genE10ELNS1_11target_archE1200ELNS1_3gpuE4ELNS1_3repE0EEENS1_30default_config_static_selectorELNS0_4arch9wavefront6targetE1EEEvSM_ ; -- Begin function _ZN7rocprim17ROCPRIM_400000_NS6detail17trampoline_kernelINS0_14default_configENS1_22reduce_config_selectorIN6thrust23THRUST_200600_302600_NS5tupleIllNS6_9null_typeES8_S8_S8_S8_S8_S8_S8_EEEEZNS1_11reduce_implILb0ES3_PS9_SC_S9_NS6_11hip_rocprim9__extrema9arg_max_fIllNS6_4lessIlEEEEEE10hipError_tPvRmT1_T2_T3_mT4_P12ihipStream_tbEUlT_E1_NS1_11comp_targetILNS1_3genE10ELNS1_11target_archE1200ELNS1_3gpuE4ELNS1_3repE0EEENS1_30default_config_static_selectorELNS0_4arch9wavefront6targetE1EEEvSM_
	.globl	_ZN7rocprim17ROCPRIM_400000_NS6detail17trampoline_kernelINS0_14default_configENS1_22reduce_config_selectorIN6thrust23THRUST_200600_302600_NS5tupleIllNS6_9null_typeES8_S8_S8_S8_S8_S8_S8_EEEEZNS1_11reduce_implILb0ES3_PS9_SC_S9_NS6_11hip_rocprim9__extrema9arg_max_fIllNS6_4lessIlEEEEEE10hipError_tPvRmT1_T2_T3_mT4_P12ihipStream_tbEUlT_E1_NS1_11comp_targetILNS1_3genE10ELNS1_11target_archE1200ELNS1_3gpuE4ELNS1_3repE0EEENS1_30default_config_static_selectorELNS0_4arch9wavefront6targetE1EEEvSM_
	.p2align	8
	.type	_ZN7rocprim17ROCPRIM_400000_NS6detail17trampoline_kernelINS0_14default_configENS1_22reduce_config_selectorIN6thrust23THRUST_200600_302600_NS5tupleIllNS6_9null_typeES8_S8_S8_S8_S8_S8_S8_EEEEZNS1_11reduce_implILb0ES3_PS9_SC_S9_NS6_11hip_rocprim9__extrema9arg_max_fIllNS6_4lessIlEEEEEE10hipError_tPvRmT1_T2_T3_mT4_P12ihipStream_tbEUlT_E1_NS1_11comp_targetILNS1_3genE10ELNS1_11target_archE1200ELNS1_3gpuE4ELNS1_3repE0EEENS1_30default_config_static_selectorELNS0_4arch9wavefront6targetE1EEEvSM_,@function
_ZN7rocprim17ROCPRIM_400000_NS6detail17trampoline_kernelINS0_14default_configENS1_22reduce_config_selectorIN6thrust23THRUST_200600_302600_NS5tupleIllNS6_9null_typeES8_S8_S8_S8_S8_S8_S8_EEEEZNS1_11reduce_implILb0ES3_PS9_SC_S9_NS6_11hip_rocprim9__extrema9arg_max_fIllNS6_4lessIlEEEEEE10hipError_tPvRmT1_T2_T3_mT4_P12ihipStream_tbEUlT_E1_NS1_11comp_targetILNS1_3genE10ELNS1_11target_archE1200ELNS1_3gpuE4ELNS1_3repE0EEENS1_30default_config_static_selectorELNS0_4arch9wavefront6targetE1EEEvSM_: ; @_ZN7rocprim17ROCPRIM_400000_NS6detail17trampoline_kernelINS0_14default_configENS1_22reduce_config_selectorIN6thrust23THRUST_200600_302600_NS5tupleIllNS6_9null_typeES8_S8_S8_S8_S8_S8_S8_EEEEZNS1_11reduce_implILb0ES3_PS9_SC_S9_NS6_11hip_rocprim9__extrema9arg_max_fIllNS6_4lessIlEEEEEE10hipError_tPvRmT1_T2_T3_mT4_P12ihipStream_tbEUlT_E1_NS1_11comp_targetILNS1_3genE10ELNS1_11target_archE1200ELNS1_3gpuE4ELNS1_3repE0EEENS1_30default_config_static_selectorELNS0_4arch9wavefront6targetE1EEEvSM_
; %bb.0:
	.section	.rodata,"a",@progbits
	.p2align	6, 0x0
	.amdhsa_kernel _ZN7rocprim17ROCPRIM_400000_NS6detail17trampoline_kernelINS0_14default_configENS1_22reduce_config_selectorIN6thrust23THRUST_200600_302600_NS5tupleIllNS6_9null_typeES8_S8_S8_S8_S8_S8_S8_EEEEZNS1_11reduce_implILb0ES3_PS9_SC_S9_NS6_11hip_rocprim9__extrema9arg_max_fIllNS6_4lessIlEEEEEE10hipError_tPvRmT1_T2_T3_mT4_P12ihipStream_tbEUlT_E1_NS1_11comp_targetILNS1_3genE10ELNS1_11target_archE1200ELNS1_3gpuE4ELNS1_3repE0EEENS1_30default_config_static_selectorELNS0_4arch9wavefront6targetE1EEEvSM_
		.amdhsa_group_segment_fixed_size 0
		.amdhsa_private_segment_fixed_size 0
		.amdhsa_kernarg_size 56
		.amdhsa_user_sgpr_count 6
		.amdhsa_user_sgpr_private_segment_buffer 1
		.amdhsa_user_sgpr_dispatch_ptr 0
		.amdhsa_user_sgpr_queue_ptr 0
		.amdhsa_user_sgpr_kernarg_segment_ptr 1
		.amdhsa_user_sgpr_dispatch_id 0
		.amdhsa_user_sgpr_flat_scratch_init 0
		.amdhsa_user_sgpr_private_segment_size 0
		.amdhsa_uses_dynamic_stack 0
		.amdhsa_system_sgpr_private_segment_wavefront_offset 0
		.amdhsa_system_sgpr_workgroup_id_x 1
		.amdhsa_system_sgpr_workgroup_id_y 0
		.amdhsa_system_sgpr_workgroup_id_z 0
		.amdhsa_system_sgpr_workgroup_info 0
		.amdhsa_system_vgpr_workitem_id 0
		.amdhsa_next_free_vgpr 1
		.amdhsa_next_free_sgpr 0
		.amdhsa_reserve_vcc 0
		.amdhsa_reserve_flat_scratch 0
		.amdhsa_float_round_mode_32 0
		.amdhsa_float_round_mode_16_64 0
		.amdhsa_float_denorm_mode_32 3
		.amdhsa_float_denorm_mode_16_64 3
		.amdhsa_dx10_clamp 1
		.amdhsa_ieee_mode 1
		.amdhsa_fp16_overflow 0
		.amdhsa_exception_fp_ieee_invalid_op 0
		.amdhsa_exception_fp_denorm_src 0
		.amdhsa_exception_fp_ieee_div_zero 0
		.amdhsa_exception_fp_ieee_overflow 0
		.amdhsa_exception_fp_ieee_underflow 0
		.amdhsa_exception_fp_ieee_inexact 0
		.amdhsa_exception_int_div_zero 0
	.end_amdhsa_kernel
	.section	.text._ZN7rocprim17ROCPRIM_400000_NS6detail17trampoline_kernelINS0_14default_configENS1_22reduce_config_selectorIN6thrust23THRUST_200600_302600_NS5tupleIllNS6_9null_typeES8_S8_S8_S8_S8_S8_S8_EEEEZNS1_11reduce_implILb0ES3_PS9_SC_S9_NS6_11hip_rocprim9__extrema9arg_max_fIllNS6_4lessIlEEEEEE10hipError_tPvRmT1_T2_T3_mT4_P12ihipStream_tbEUlT_E1_NS1_11comp_targetILNS1_3genE10ELNS1_11target_archE1200ELNS1_3gpuE4ELNS1_3repE0EEENS1_30default_config_static_selectorELNS0_4arch9wavefront6targetE1EEEvSM_,"axG",@progbits,_ZN7rocprim17ROCPRIM_400000_NS6detail17trampoline_kernelINS0_14default_configENS1_22reduce_config_selectorIN6thrust23THRUST_200600_302600_NS5tupleIllNS6_9null_typeES8_S8_S8_S8_S8_S8_S8_EEEEZNS1_11reduce_implILb0ES3_PS9_SC_S9_NS6_11hip_rocprim9__extrema9arg_max_fIllNS6_4lessIlEEEEEE10hipError_tPvRmT1_T2_T3_mT4_P12ihipStream_tbEUlT_E1_NS1_11comp_targetILNS1_3genE10ELNS1_11target_archE1200ELNS1_3gpuE4ELNS1_3repE0EEENS1_30default_config_static_selectorELNS0_4arch9wavefront6targetE1EEEvSM_,comdat
.Lfunc_end418:
	.size	_ZN7rocprim17ROCPRIM_400000_NS6detail17trampoline_kernelINS0_14default_configENS1_22reduce_config_selectorIN6thrust23THRUST_200600_302600_NS5tupleIllNS6_9null_typeES8_S8_S8_S8_S8_S8_S8_EEEEZNS1_11reduce_implILb0ES3_PS9_SC_S9_NS6_11hip_rocprim9__extrema9arg_max_fIllNS6_4lessIlEEEEEE10hipError_tPvRmT1_T2_T3_mT4_P12ihipStream_tbEUlT_E1_NS1_11comp_targetILNS1_3genE10ELNS1_11target_archE1200ELNS1_3gpuE4ELNS1_3repE0EEENS1_30default_config_static_selectorELNS0_4arch9wavefront6targetE1EEEvSM_, .Lfunc_end418-_ZN7rocprim17ROCPRIM_400000_NS6detail17trampoline_kernelINS0_14default_configENS1_22reduce_config_selectorIN6thrust23THRUST_200600_302600_NS5tupleIllNS6_9null_typeES8_S8_S8_S8_S8_S8_S8_EEEEZNS1_11reduce_implILb0ES3_PS9_SC_S9_NS6_11hip_rocprim9__extrema9arg_max_fIllNS6_4lessIlEEEEEE10hipError_tPvRmT1_T2_T3_mT4_P12ihipStream_tbEUlT_E1_NS1_11comp_targetILNS1_3genE10ELNS1_11target_archE1200ELNS1_3gpuE4ELNS1_3repE0EEENS1_30default_config_static_selectorELNS0_4arch9wavefront6targetE1EEEvSM_
                                        ; -- End function
	.set _ZN7rocprim17ROCPRIM_400000_NS6detail17trampoline_kernelINS0_14default_configENS1_22reduce_config_selectorIN6thrust23THRUST_200600_302600_NS5tupleIllNS6_9null_typeES8_S8_S8_S8_S8_S8_S8_EEEEZNS1_11reduce_implILb0ES3_PS9_SC_S9_NS6_11hip_rocprim9__extrema9arg_max_fIllNS6_4lessIlEEEEEE10hipError_tPvRmT1_T2_T3_mT4_P12ihipStream_tbEUlT_E1_NS1_11comp_targetILNS1_3genE10ELNS1_11target_archE1200ELNS1_3gpuE4ELNS1_3repE0EEENS1_30default_config_static_selectorELNS0_4arch9wavefront6targetE1EEEvSM_.num_vgpr, 0
	.set _ZN7rocprim17ROCPRIM_400000_NS6detail17trampoline_kernelINS0_14default_configENS1_22reduce_config_selectorIN6thrust23THRUST_200600_302600_NS5tupleIllNS6_9null_typeES8_S8_S8_S8_S8_S8_S8_EEEEZNS1_11reduce_implILb0ES3_PS9_SC_S9_NS6_11hip_rocprim9__extrema9arg_max_fIllNS6_4lessIlEEEEEE10hipError_tPvRmT1_T2_T3_mT4_P12ihipStream_tbEUlT_E1_NS1_11comp_targetILNS1_3genE10ELNS1_11target_archE1200ELNS1_3gpuE4ELNS1_3repE0EEENS1_30default_config_static_selectorELNS0_4arch9wavefront6targetE1EEEvSM_.num_agpr, 0
	.set _ZN7rocprim17ROCPRIM_400000_NS6detail17trampoline_kernelINS0_14default_configENS1_22reduce_config_selectorIN6thrust23THRUST_200600_302600_NS5tupleIllNS6_9null_typeES8_S8_S8_S8_S8_S8_S8_EEEEZNS1_11reduce_implILb0ES3_PS9_SC_S9_NS6_11hip_rocprim9__extrema9arg_max_fIllNS6_4lessIlEEEEEE10hipError_tPvRmT1_T2_T3_mT4_P12ihipStream_tbEUlT_E1_NS1_11comp_targetILNS1_3genE10ELNS1_11target_archE1200ELNS1_3gpuE4ELNS1_3repE0EEENS1_30default_config_static_selectorELNS0_4arch9wavefront6targetE1EEEvSM_.numbered_sgpr, 0
	.set _ZN7rocprim17ROCPRIM_400000_NS6detail17trampoline_kernelINS0_14default_configENS1_22reduce_config_selectorIN6thrust23THRUST_200600_302600_NS5tupleIllNS6_9null_typeES8_S8_S8_S8_S8_S8_S8_EEEEZNS1_11reduce_implILb0ES3_PS9_SC_S9_NS6_11hip_rocprim9__extrema9arg_max_fIllNS6_4lessIlEEEEEE10hipError_tPvRmT1_T2_T3_mT4_P12ihipStream_tbEUlT_E1_NS1_11comp_targetILNS1_3genE10ELNS1_11target_archE1200ELNS1_3gpuE4ELNS1_3repE0EEENS1_30default_config_static_selectorELNS0_4arch9wavefront6targetE1EEEvSM_.num_named_barrier, 0
	.set _ZN7rocprim17ROCPRIM_400000_NS6detail17trampoline_kernelINS0_14default_configENS1_22reduce_config_selectorIN6thrust23THRUST_200600_302600_NS5tupleIllNS6_9null_typeES8_S8_S8_S8_S8_S8_S8_EEEEZNS1_11reduce_implILb0ES3_PS9_SC_S9_NS6_11hip_rocprim9__extrema9arg_max_fIllNS6_4lessIlEEEEEE10hipError_tPvRmT1_T2_T3_mT4_P12ihipStream_tbEUlT_E1_NS1_11comp_targetILNS1_3genE10ELNS1_11target_archE1200ELNS1_3gpuE4ELNS1_3repE0EEENS1_30default_config_static_selectorELNS0_4arch9wavefront6targetE1EEEvSM_.private_seg_size, 0
	.set _ZN7rocprim17ROCPRIM_400000_NS6detail17trampoline_kernelINS0_14default_configENS1_22reduce_config_selectorIN6thrust23THRUST_200600_302600_NS5tupleIllNS6_9null_typeES8_S8_S8_S8_S8_S8_S8_EEEEZNS1_11reduce_implILb0ES3_PS9_SC_S9_NS6_11hip_rocprim9__extrema9arg_max_fIllNS6_4lessIlEEEEEE10hipError_tPvRmT1_T2_T3_mT4_P12ihipStream_tbEUlT_E1_NS1_11comp_targetILNS1_3genE10ELNS1_11target_archE1200ELNS1_3gpuE4ELNS1_3repE0EEENS1_30default_config_static_selectorELNS0_4arch9wavefront6targetE1EEEvSM_.uses_vcc, 0
	.set _ZN7rocprim17ROCPRIM_400000_NS6detail17trampoline_kernelINS0_14default_configENS1_22reduce_config_selectorIN6thrust23THRUST_200600_302600_NS5tupleIllNS6_9null_typeES8_S8_S8_S8_S8_S8_S8_EEEEZNS1_11reduce_implILb0ES3_PS9_SC_S9_NS6_11hip_rocprim9__extrema9arg_max_fIllNS6_4lessIlEEEEEE10hipError_tPvRmT1_T2_T3_mT4_P12ihipStream_tbEUlT_E1_NS1_11comp_targetILNS1_3genE10ELNS1_11target_archE1200ELNS1_3gpuE4ELNS1_3repE0EEENS1_30default_config_static_selectorELNS0_4arch9wavefront6targetE1EEEvSM_.uses_flat_scratch, 0
	.set _ZN7rocprim17ROCPRIM_400000_NS6detail17trampoline_kernelINS0_14default_configENS1_22reduce_config_selectorIN6thrust23THRUST_200600_302600_NS5tupleIllNS6_9null_typeES8_S8_S8_S8_S8_S8_S8_EEEEZNS1_11reduce_implILb0ES3_PS9_SC_S9_NS6_11hip_rocprim9__extrema9arg_max_fIllNS6_4lessIlEEEEEE10hipError_tPvRmT1_T2_T3_mT4_P12ihipStream_tbEUlT_E1_NS1_11comp_targetILNS1_3genE10ELNS1_11target_archE1200ELNS1_3gpuE4ELNS1_3repE0EEENS1_30default_config_static_selectorELNS0_4arch9wavefront6targetE1EEEvSM_.has_dyn_sized_stack, 0
	.set _ZN7rocprim17ROCPRIM_400000_NS6detail17trampoline_kernelINS0_14default_configENS1_22reduce_config_selectorIN6thrust23THRUST_200600_302600_NS5tupleIllNS6_9null_typeES8_S8_S8_S8_S8_S8_S8_EEEEZNS1_11reduce_implILb0ES3_PS9_SC_S9_NS6_11hip_rocprim9__extrema9arg_max_fIllNS6_4lessIlEEEEEE10hipError_tPvRmT1_T2_T3_mT4_P12ihipStream_tbEUlT_E1_NS1_11comp_targetILNS1_3genE10ELNS1_11target_archE1200ELNS1_3gpuE4ELNS1_3repE0EEENS1_30default_config_static_selectorELNS0_4arch9wavefront6targetE1EEEvSM_.has_recursion, 0
	.set _ZN7rocprim17ROCPRIM_400000_NS6detail17trampoline_kernelINS0_14default_configENS1_22reduce_config_selectorIN6thrust23THRUST_200600_302600_NS5tupleIllNS6_9null_typeES8_S8_S8_S8_S8_S8_S8_EEEEZNS1_11reduce_implILb0ES3_PS9_SC_S9_NS6_11hip_rocprim9__extrema9arg_max_fIllNS6_4lessIlEEEEEE10hipError_tPvRmT1_T2_T3_mT4_P12ihipStream_tbEUlT_E1_NS1_11comp_targetILNS1_3genE10ELNS1_11target_archE1200ELNS1_3gpuE4ELNS1_3repE0EEENS1_30default_config_static_selectorELNS0_4arch9wavefront6targetE1EEEvSM_.has_indirect_call, 0
	.section	.AMDGPU.csdata,"",@progbits
; Kernel info:
; codeLenInByte = 0
; TotalNumSgprs: 4
; NumVgprs: 0
; ScratchSize: 0
; MemoryBound: 0
; FloatMode: 240
; IeeeMode: 1
; LDSByteSize: 0 bytes/workgroup (compile time only)
; SGPRBlocks: 0
; VGPRBlocks: 0
; NumSGPRsForWavesPerEU: 4
; NumVGPRsForWavesPerEU: 1
; Occupancy: 10
; WaveLimiterHint : 0
; COMPUTE_PGM_RSRC2:SCRATCH_EN: 0
; COMPUTE_PGM_RSRC2:USER_SGPR: 6
; COMPUTE_PGM_RSRC2:TRAP_HANDLER: 0
; COMPUTE_PGM_RSRC2:TGID_X_EN: 1
; COMPUTE_PGM_RSRC2:TGID_Y_EN: 0
; COMPUTE_PGM_RSRC2:TGID_Z_EN: 0
; COMPUTE_PGM_RSRC2:TIDIG_COMP_CNT: 0
	.section	.text._ZN7rocprim17ROCPRIM_400000_NS6detail17trampoline_kernelINS0_14default_configENS1_22reduce_config_selectorIN6thrust23THRUST_200600_302600_NS5tupleIllNS6_9null_typeES8_S8_S8_S8_S8_S8_S8_EEEEZNS1_11reduce_implILb0ES3_PS9_SC_S9_NS6_11hip_rocprim9__extrema9arg_max_fIllNS6_4lessIlEEEEEE10hipError_tPvRmT1_T2_T3_mT4_P12ihipStream_tbEUlT_E1_NS1_11comp_targetILNS1_3genE9ELNS1_11target_archE1100ELNS1_3gpuE3ELNS1_3repE0EEENS1_30default_config_static_selectorELNS0_4arch9wavefront6targetE1EEEvSM_,"axG",@progbits,_ZN7rocprim17ROCPRIM_400000_NS6detail17trampoline_kernelINS0_14default_configENS1_22reduce_config_selectorIN6thrust23THRUST_200600_302600_NS5tupleIllNS6_9null_typeES8_S8_S8_S8_S8_S8_S8_EEEEZNS1_11reduce_implILb0ES3_PS9_SC_S9_NS6_11hip_rocprim9__extrema9arg_max_fIllNS6_4lessIlEEEEEE10hipError_tPvRmT1_T2_T3_mT4_P12ihipStream_tbEUlT_E1_NS1_11comp_targetILNS1_3genE9ELNS1_11target_archE1100ELNS1_3gpuE3ELNS1_3repE0EEENS1_30default_config_static_selectorELNS0_4arch9wavefront6targetE1EEEvSM_,comdat
	.protected	_ZN7rocprim17ROCPRIM_400000_NS6detail17trampoline_kernelINS0_14default_configENS1_22reduce_config_selectorIN6thrust23THRUST_200600_302600_NS5tupleIllNS6_9null_typeES8_S8_S8_S8_S8_S8_S8_EEEEZNS1_11reduce_implILb0ES3_PS9_SC_S9_NS6_11hip_rocprim9__extrema9arg_max_fIllNS6_4lessIlEEEEEE10hipError_tPvRmT1_T2_T3_mT4_P12ihipStream_tbEUlT_E1_NS1_11comp_targetILNS1_3genE9ELNS1_11target_archE1100ELNS1_3gpuE3ELNS1_3repE0EEENS1_30default_config_static_selectorELNS0_4arch9wavefront6targetE1EEEvSM_ ; -- Begin function _ZN7rocprim17ROCPRIM_400000_NS6detail17trampoline_kernelINS0_14default_configENS1_22reduce_config_selectorIN6thrust23THRUST_200600_302600_NS5tupleIllNS6_9null_typeES8_S8_S8_S8_S8_S8_S8_EEEEZNS1_11reduce_implILb0ES3_PS9_SC_S9_NS6_11hip_rocprim9__extrema9arg_max_fIllNS6_4lessIlEEEEEE10hipError_tPvRmT1_T2_T3_mT4_P12ihipStream_tbEUlT_E1_NS1_11comp_targetILNS1_3genE9ELNS1_11target_archE1100ELNS1_3gpuE3ELNS1_3repE0EEENS1_30default_config_static_selectorELNS0_4arch9wavefront6targetE1EEEvSM_
	.globl	_ZN7rocprim17ROCPRIM_400000_NS6detail17trampoline_kernelINS0_14default_configENS1_22reduce_config_selectorIN6thrust23THRUST_200600_302600_NS5tupleIllNS6_9null_typeES8_S8_S8_S8_S8_S8_S8_EEEEZNS1_11reduce_implILb0ES3_PS9_SC_S9_NS6_11hip_rocprim9__extrema9arg_max_fIllNS6_4lessIlEEEEEE10hipError_tPvRmT1_T2_T3_mT4_P12ihipStream_tbEUlT_E1_NS1_11comp_targetILNS1_3genE9ELNS1_11target_archE1100ELNS1_3gpuE3ELNS1_3repE0EEENS1_30default_config_static_selectorELNS0_4arch9wavefront6targetE1EEEvSM_
	.p2align	8
	.type	_ZN7rocprim17ROCPRIM_400000_NS6detail17trampoline_kernelINS0_14default_configENS1_22reduce_config_selectorIN6thrust23THRUST_200600_302600_NS5tupleIllNS6_9null_typeES8_S8_S8_S8_S8_S8_S8_EEEEZNS1_11reduce_implILb0ES3_PS9_SC_S9_NS6_11hip_rocprim9__extrema9arg_max_fIllNS6_4lessIlEEEEEE10hipError_tPvRmT1_T2_T3_mT4_P12ihipStream_tbEUlT_E1_NS1_11comp_targetILNS1_3genE9ELNS1_11target_archE1100ELNS1_3gpuE3ELNS1_3repE0EEENS1_30default_config_static_selectorELNS0_4arch9wavefront6targetE1EEEvSM_,@function
_ZN7rocprim17ROCPRIM_400000_NS6detail17trampoline_kernelINS0_14default_configENS1_22reduce_config_selectorIN6thrust23THRUST_200600_302600_NS5tupleIllNS6_9null_typeES8_S8_S8_S8_S8_S8_S8_EEEEZNS1_11reduce_implILb0ES3_PS9_SC_S9_NS6_11hip_rocprim9__extrema9arg_max_fIllNS6_4lessIlEEEEEE10hipError_tPvRmT1_T2_T3_mT4_P12ihipStream_tbEUlT_E1_NS1_11comp_targetILNS1_3genE9ELNS1_11target_archE1100ELNS1_3gpuE3ELNS1_3repE0EEENS1_30default_config_static_selectorELNS0_4arch9wavefront6targetE1EEEvSM_: ; @_ZN7rocprim17ROCPRIM_400000_NS6detail17trampoline_kernelINS0_14default_configENS1_22reduce_config_selectorIN6thrust23THRUST_200600_302600_NS5tupleIllNS6_9null_typeES8_S8_S8_S8_S8_S8_S8_EEEEZNS1_11reduce_implILb0ES3_PS9_SC_S9_NS6_11hip_rocprim9__extrema9arg_max_fIllNS6_4lessIlEEEEEE10hipError_tPvRmT1_T2_T3_mT4_P12ihipStream_tbEUlT_E1_NS1_11comp_targetILNS1_3genE9ELNS1_11target_archE1100ELNS1_3gpuE3ELNS1_3repE0EEENS1_30default_config_static_selectorELNS0_4arch9wavefront6targetE1EEEvSM_
; %bb.0:
	.section	.rodata,"a",@progbits
	.p2align	6, 0x0
	.amdhsa_kernel _ZN7rocprim17ROCPRIM_400000_NS6detail17trampoline_kernelINS0_14default_configENS1_22reduce_config_selectorIN6thrust23THRUST_200600_302600_NS5tupleIllNS6_9null_typeES8_S8_S8_S8_S8_S8_S8_EEEEZNS1_11reduce_implILb0ES3_PS9_SC_S9_NS6_11hip_rocprim9__extrema9arg_max_fIllNS6_4lessIlEEEEEE10hipError_tPvRmT1_T2_T3_mT4_P12ihipStream_tbEUlT_E1_NS1_11comp_targetILNS1_3genE9ELNS1_11target_archE1100ELNS1_3gpuE3ELNS1_3repE0EEENS1_30default_config_static_selectorELNS0_4arch9wavefront6targetE1EEEvSM_
		.amdhsa_group_segment_fixed_size 0
		.amdhsa_private_segment_fixed_size 0
		.amdhsa_kernarg_size 56
		.amdhsa_user_sgpr_count 6
		.amdhsa_user_sgpr_private_segment_buffer 1
		.amdhsa_user_sgpr_dispatch_ptr 0
		.amdhsa_user_sgpr_queue_ptr 0
		.amdhsa_user_sgpr_kernarg_segment_ptr 1
		.amdhsa_user_sgpr_dispatch_id 0
		.amdhsa_user_sgpr_flat_scratch_init 0
		.amdhsa_user_sgpr_private_segment_size 0
		.amdhsa_uses_dynamic_stack 0
		.amdhsa_system_sgpr_private_segment_wavefront_offset 0
		.amdhsa_system_sgpr_workgroup_id_x 1
		.amdhsa_system_sgpr_workgroup_id_y 0
		.amdhsa_system_sgpr_workgroup_id_z 0
		.amdhsa_system_sgpr_workgroup_info 0
		.amdhsa_system_vgpr_workitem_id 0
		.amdhsa_next_free_vgpr 1
		.amdhsa_next_free_sgpr 0
		.amdhsa_reserve_vcc 0
		.amdhsa_reserve_flat_scratch 0
		.amdhsa_float_round_mode_32 0
		.amdhsa_float_round_mode_16_64 0
		.amdhsa_float_denorm_mode_32 3
		.amdhsa_float_denorm_mode_16_64 3
		.amdhsa_dx10_clamp 1
		.amdhsa_ieee_mode 1
		.amdhsa_fp16_overflow 0
		.amdhsa_exception_fp_ieee_invalid_op 0
		.amdhsa_exception_fp_denorm_src 0
		.amdhsa_exception_fp_ieee_div_zero 0
		.amdhsa_exception_fp_ieee_overflow 0
		.amdhsa_exception_fp_ieee_underflow 0
		.amdhsa_exception_fp_ieee_inexact 0
		.amdhsa_exception_int_div_zero 0
	.end_amdhsa_kernel
	.section	.text._ZN7rocprim17ROCPRIM_400000_NS6detail17trampoline_kernelINS0_14default_configENS1_22reduce_config_selectorIN6thrust23THRUST_200600_302600_NS5tupleIllNS6_9null_typeES8_S8_S8_S8_S8_S8_S8_EEEEZNS1_11reduce_implILb0ES3_PS9_SC_S9_NS6_11hip_rocprim9__extrema9arg_max_fIllNS6_4lessIlEEEEEE10hipError_tPvRmT1_T2_T3_mT4_P12ihipStream_tbEUlT_E1_NS1_11comp_targetILNS1_3genE9ELNS1_11target_archE1100ELNS1_3gpuE3ELNS1_3repE0EEENS1_30default_config_static_selectorELNS0_4arch9wavefront6targetE1EEEvSM_,"axG",@progbits,_ZN7rocprim17ROCPRIM_400000_NS6detail17trampoline_kernelINS0_14default_configENS1_22reduce_config_selectorIN6thrust23THRUST_200600_302600_NS5tupleIllNS6_9null_typeES8_S8_S8_S8_S8_S8_S8_EEEEZNS1_11reduce_implILb0ES3_PS9_SC_S9_NS6_11hip_rocprim9__extrema9arg_max_fIllNS6_4lessIlEEEEEE10hipError_tPvRmT1_T2_T3_mT4_P12ihipStream_tbEUlT_E1_NS1_11comp_targetILNS1_3genE9ELNS1_11target_archE1100ELNS1_3gpuE3ELNS1_3repE0EEENS1_30default_config_static_selectorELNS0_4arch9wavefront6targetE1EEEvSM_,comdat
.Lfunc_end419:
	.size	_ZN7rocprim17ROCPRIM_400000_NS6detail17trampoline_kernelINS0_14default_configENS1_22reduce_config_selectorIN6thrust23THRUST_200600_302600_NS5tupleIllNS6_9null_typeES8_S8_S8_S8_S8_S8_S8_EEEEZNS1_11reduce_implILb0ES3_PS9_SC_S9_NS6_11hip_rocprim9__extrema9arg_max_fIllNS6_4lessIlEEEEEE10hipError_tPvRmT1_T2_T3_mT4_P12ihipStream_tbEUlT_E1_NS1_11comp_targetILNS1_3genE9ELNS1_11target_archE1100ELNS1_3gpuE3ELNS1_3repE0EEENS1_30default_config_static_selectorELNS0_4arch9wavefront6targetE1EEEvSM_, .Lfunc_end419-_ZN7rocprim17ROCPRIM_400000_NS6detail17trampoline_kernelINS0_14default_configENS1_22reduce_config_selectorIN6thrust23THRUST_200600_302600_NS5tupleIllNS6_9null_typeES8_S8_S8_S8_S8_S8_S8_EEEEZNS1_11reduce_implILb0ES3_PS9_SC_S9_NS6_11hip_rocprim9__extrema9arg_max_fIllNS6_4lessIlEEEEEE10hipError_tPvRmT1_T2_T3_mT4_P12ihipStream_tbEUlT_E1_NS1_11comp_targetILNS1_3genE9ELNS1_11target_archE1100ELNS1_3gpuE3ELNS1_3repE0EEENS1_30default_config_static_selectorELNS0_4arch9wavefront6targetE1EEEvSM_
                                        ; -- End function
	.set _ZN7rocprim17ROCPRIM_400000_NS6detail17trampoline_kernelINS0_14default_configENS1_22reduce_config_selectorIN6thrust23THRUST_200600_302600_NS5tupleIllNS6_9null_typeES8_S8_S8_S8_S8_S8_S8_EEEEZNS1_11reduce_implILb0ES3_PS9_SC_S9_NS6_11hip_rocprim9__extrema9arg_max_fIllNS6_4lessIlEEEEEE10hipError_tPvRmT1_T2_T3_mT4_P12ihipStream_tbEUlT_E1_NS1_11comp_targetILNS1_3genE9ELNS1_11target_archE1100ELNS1_3gpuE3ELNS1_3repE0EEENS1_30default_config_static_selectorELNS0_4arch9wavefront6targetE1EEEvSM_.num_vgpr, 0
	.set _ZN7rocprim17ROCPRIM_400000_NS6detail17trampoline_kernelINS0_14default_configENS1_22reduce_config_selectorIN6thrust23THRUST_200600_302600_NS5tupleIllNS6_9null_typeES8_S8_S8_S8_S8_S8_S8_EEEEZNS1_11reduce_implILb0ES3_PS9_SC_S9_NS6_11hip_rocprim9__extrema9arg_max_fIllNS6_4lessIlEEEEEE10hipError_tPvRmT1_T2_T3_mT4_P12ihipStream_tbEUlT_E1_NS1_11comp_targetILNS1_3genE9ELNS1_11target_archE1100ELNS1_3gpuE3ELNS1_3repE0EEENS1_30default_config_static_selectorELNS0_4arch9wavefront6targetE1EEEvSM_.num_agpr, 0
	.set _ZN7rocprim17ROCPRIM_400000_NS6detail17trampoline_kernelINS0_14default_configENS1_22reduce_config_selectorIN6thrust23THRUST_200600_302600_NS5tupleIllNS6_9null_typeES8_S8_S8_S8_S8_S8_S8_EEEEZNS1_11reduce_implILb0ES3_PS9_SC_S9_NS6_11hip_rocprim9__extrema9arg_max_fIllNS6_4lessIlEEEEEE10hipError_tPvRmT1_T2_T3_mT4_P12ihipStream_tbEUlT_E1_NS1_11comp_targetILNS1_3genE9ELNS1_11target_archE1100ELNS1_3gpuE3ELNS1_3repE0EEENS1_30default_config_static_selectorELNS0_4arch9wavefront6targetE1EEEvSM_.numbered_sgpr, 0
	.set _ZN7rocprim17ROCPRIM_400000_NS6detail17trampoline_kernelINS0_14default_configENS1_22reduce_config_selectorIN6thrust23THRUST_200600_302600_NS5tupleIllNS6_9null_typeES8_S8_S8_S8_S8_S8_S8_EEEEZNS1_11reduce_implILb0ES3_PS9_SC_S9_NS6_11hip_rocprim9__extrema9arg_max_fIllNS6_4lessIlEEEEEE10hipError_tPvRmT1_T2_T3_mT4_P12ihipStream_tbEUlT_E1_NS1_11comp_targetILNS1_3genE9ELNS1_11target_archE1100ELNS1_3gpuE3ELNS1_3repE0EEENS1_30default_config_static_selectorELNS0_4arch9wavefront6targetE1EEEvSM_.num_named_barrier, 0
	.set _ZN7rocprim17ROCPRIM_400000_NS6detail17trampoline_kernelINS0_14default_configENS1_22reduce_config_selectorIN6thrust23THRUST_200600_302600_NS5tupleIllNS6_9null_typeES8_S8_S8_S8_S8_S8_S8_EEEEZNS1_11reduce_implILb0ES3_PS9_SC_S9_NS6_11hip_rocprim9__extrema9arg_max_fIllNS6_4lessIlEEEEEE10hipError_tPvRmT1_T2_T3_mT4_P12ihipStream_tbEUlT_E1_NS1_11comp_targetILNS1_3genE9ELNS1_11target_archE1100ELNS1_3gpuE3ELNS1_3repE0EEENS1_30default_config_static_selectorELNS0_4arch9wavefront6targetE1EEEvSM_.private_seg_size, 0
	.set _ZN7rocprim17ROCPRIM_400000_NS6detail17trampoline_kernelINS0_14default_configENS1_22reduce_config_selectorIN6thrust23THRUST_200600_302600_NS5tupleIllNS6_9null_typeES8_S8_S8_S8_S8_S8_S8_EEEEZNS1_11reduce_implILb0ES3_PS9_SC_S9_NS6_11hip_rocprim9__extrema9arg_max_fIllNS6_4lessIlEEEEEE10hipError_tPvRmT1_T2_T3_mT4_P12ihipStream_tbEUlT_E1_NS1_11comp_targetILNS1_3genE9ELNS1_11target_archE1100ELNS1_3gpuE3ELNS1_3repE0EEENS1_30default_config_static_selectorELNS0_4arch9wavefront6targetE1EEEvSM_.uses_vcc, 0
	.set _ZN7rocprim17ROCPRIM_400000_NS6detail17trampoline_kernelINS0_14default_configENS1_22reduce_config_selectorIN6thrust23THRUST_200600_302600_NS5tupleIllNS6_9null_typeES8_S8_S8_S8_S8_S8_S8_EEEEZNS1_11reduce_implILb0ES3_PS9_SC_S9_NS6_11hip_rocprim9__extrema9arg_max_fIllNS6_4lessIlEEEEEE10hipError_tPvRmT1_T2_T3_mT4_P12ihipStream_tbEUlT_E1_NS1_11comp_targetILNS1_3genE9ELNS1_11target_archE1100ELNS1_3gpuE3ELNS1_3repE0EEENS1_30default_config_static_selectorELNS0_4arch9wavefront6targetE1EEEvSM_.uses_flat_scratch, 0
	.set _ZN7rocprim17ROCPRIM_400000_NS6detail17trampoline_kernelINS0_14default_configENS1_22reduce_config_selectorIN6thrust23THRUST_200600_302600_NS5tupleIllNS6_9null_typeES8_S8_S8_S8_S8_S8_S8_EEEEZNS1_11reduce_implILb0ES3_PS9_SC_S9_NS6_11hip_rocprim9__extrema9arg_max_fIllNS6_4lessIlEEEEEE10hipError_tPvRmT1_T2_T3_mT4_P12ihipStream_tbEUlT_E1_NS1_11comp_targetILNS1_3genE9ELNS1_11target_archE1100ELNS1_3gpuE3ELNS1_3repE0EEENS1_30default_config_static_selectorELNS0_4arch9wavefront6targetE1EEEvSM_.has_dyn_sized_stack, 0
	.set _ZN7rocprim17ROCPRIM_400000_NS6detail17trampoline_kernelINS0_14default_configENS1_22reduce_config_selectorIN6thrust23THRUST_200600_302600_NS5tupleIllNS6_9null_typeES8_S8_S8_S8_S8_S8_S8_EEEEZNS1_11reduce_implILb0ES3_PS9_SC_S9_NS6_11hip_rocprim9__extrema9arg_max_fIllNS6_4lessIlEEEEEE10hipError_tPvRmT1_T2_T3_mT4_P12ihipStream_tbEUlT_E1_NS1_11comp_targetILNS1_3genE9ELNS1_11target_archE1100ELNS1_3gpuE3ELNS1_3repE0EEENS1_30default_config_static_selectorELNS0_4arch9wavefront6targetE1EEEvSM_.has_recursion, 0
	.set _ZN7rocprim17ROCPRIM_400000_NS6detail17trampoline_kernelINS0_14default_configENS1_22reduce_config_selectorIN6thrust23THRUST_200600_302600_NS5tupleIllNS6_9null_typeES8_S8_S8_S8_S8_S8_S8_EEEEZNS1_11reduce_implILb0ES3_PS9_SC_S9_NS6_11hip_rocprim9__extrema9arg_max_fIllNS6_4lessIlEEEEEE10hipError_tPvRmT1_T2_T3_mT4_P12ihipStream_tbEUlT_E1_NS1_11comp_targetILNS1_3genE9ELNS1_11target_archE1100ELNS1_3gpuE3ELNS1_3repE0EEENS1_30default_config_static_selectorELNS0_4arch9wavefront6targetE1EEEvSM_.has_indirect_call, 0
	.section	.AMDGPU.csdata,"",@progbits
; Kernel info:
; codeLenInByte = 0
; TotalNumSgprs: 4
; NumVgprs: 0
; ScratchSize: 0
; MemoryBound: 0
; FloatMode: 240
; IeeeMode: 1
; LDSByteSize: 0 bytes/workgroup (compile time only)
; SGPRBlocks: 0
; VGPRBlocks: 0
; NumSGPRsForWavesPerEU: 4
; NumVGPRsForWavesPerEU: 1
; Occupancy: 10
; WaveLimiterHint : 0
; COMPUTE_PGM_RSRC2:SCRATCH_EN: 0
; COMPUTE_PGM_RSRC2:USER_SGPR: 6
; COMPUTE_PGM_RSRC2:TRAP_HANDLER: 0
; COMPUTE_PGM_RSRC2:TGID_X_EN: 1
; COMPUTE_PGM_RSRC2:TGID_Y_EN: 0
; COMPUTE_PGM_RSRC2:TGID_Z_EN: 0
; COMPUTE_PGM_RSRC2:TIDIG_COMP_CNT: 0
	.section	.text._ZN7rocprim17ROCPRIM_400000_NS6detail17trampoline_kernelINS0_14default_configENS1_22reduce_config_selectorIN6thrust23THRUST_200600_302600_NS5tupleIllNS6_9null_typeES8_S8_S8_S8_S8_S8_S8_EEEEZNS1_11reduce_implILb0ES3_PS9_SC_S9_NS6_11hip_rocprim9__extrema9arg_max_fIllNS6_4lessIlEEEEEE10hipError_tPvRmT1_T2_T3_mT4_P12ihipStream_tbEUlT_E1_NS1_11comp_targetILNS1_3genE8ELNS1_11target_archE1030ELNS1_3gpuE2ELNS1_3repE0EEENS1_30default_config_static_selectorELNS0_4arch9wavefront6targetE1EEEvSM_,"axG",@progbits,_ZN7rocprim17ROCPRIM_400000_NS6detail17trampoline_kernelINS0_14default_configENS1_22reduce_config_selectorIN6thrust23THRUST_200600_302600_NS5tupleIllNS6_9null_typeES8_S8_S8_S8_S8_S8_S8_EEEEZNS1_11reduce_implILb0ES3_PS9_SC_S9_NS6_11hip_rocprim9__extrema9arg_max_fIllNS6_4lessIlEEEEEE10hipError_tPvRmT1_T2_T3_mT4_P12ihipStream_tbEUlT_E1_NS1_11comp_targetILNS1_3genE8ELNS1_11target_archE1030ELNS1_3gpuE2ELNS1_3repE0EEENS1_30default_config_static_selectorELNS0_4arch9wavefront6targetE1EEEvSM_,comdat
	.protected	_ZN7rocprim17ROCPRIM_400000_NS6detail17trampoline_kernelINS0_14default_configENS1_22reduce_config_selectorIN6thrust23THRUST_200600_302600_NS5tupleIllNS6_9null_typeES8_S8_S8_S8_S8_S8_S8_EEEEZNS1_11reduce_implILb0ES3_PS9_SC_S9_NS6_11hip_rocprim9__extrema9arg_max_fIllNS6_4lessIlEEEEEE10hipError_tPvRmT1_T2_T3_mT4_P12ihipStream_tbEUlT_E1_NS1_11comp_targetILNS1_3genE8ELNS1_11target_archE1030ELNS1_3gpuE2ELNS1_3repE0EEENS1_30default_config_static_selectorELNS0_4arch9wavefront6targetE1EEEvSM_ ; -- Begin function _ZN7rocprim17ROCPRIM_400000_NS6detail17trampoline_kernelINS0_14default_configENS1_22reduce_config_selectorIN6thrust23THRUST_200600_302600_NS5tupleIllNS6_9null_typeES8_S8_S8_S8_S8_S8_S8_EEEEZNS1_11reduce_implILb0ES3_PS9_SC_S9_NS6_11hip_rocprim9__extrema9arg_max_fIllNS6_4lessIlEEEEEE10hipError_tPvRmT1_T2_T3_mT4_P12ihipStream_tbEUlT_E1_NS1_11comp_targetILNS1_3genE8ELNS1_11target_archE1030ELNS1_3gpuE2ELNS1_3repE0EEENS1_30default_config_static_selectorELNS0_4arch9wavefront6targetE1EEEvSM_
	.globl	_ZN7rocprim17ROCPRIM_400000_NS6detail17trampoline_kernelINS0_14default_configENS1_22reduce_config_selectorIN6thrust23THRUST_200600_302600_NS5tupleIllNS6_9null_typeES8_S8_S8_S8_S8_S8_S8_EEEEZNS1_11reduce_implILb0ES3_PS9_SC_S9_NS6_11hip_rocprim9__extrema9arg_max_fIllNS6_4lessIlEEEEEE10hipError_tPvRmT1_T2_T3_mT4_P12ihipStream_tbEUlT_E1_NS1_11comp_targetILNS1_3genE8ELNS1_11target_archE1030ELNS1_3gpuE2ELNS1_3repE0EEENS1_30default_config_static_selectorELNS0_4arch9wavefront6targetE1EEEvSM_
	.p2align	8
	.type	_ZN7rocprim17ROCPRIM_400000_NS6detail17trampoline_kernelINS0_14default_configENS1_22reduce_config_selectorIN6thrust23THRUST_200600_302600_NS5tupleIllNS6_9null_typeES8_S8_S8_S8_S8_S8_S8_EEEEZNS1_11reduce_implILb0ES3_PS9_SC_S9_NS6_11hip_rocprim9__extrema9arg_max_fIllNS6_4lessIlEEEEEE10hipError_tPvRmT1_T2_T3_mT4_P12ihipStream_tbEUlT_E1_NS1_11comp_targetILNS1_3genE8ELNS1_11target_archE1030ELNS1_3gpuE2ELNS1_3repE0EEENS1_30default_config_static_selectorELNS0_4arch9wavefront6targetE1EEEvSM_,@function
_ZN7rocprim17ROCPRIM_400000_NS6detail17trampoline_kernelINS0_14default_configENS1_22reduce_config_selectorIN6thrust23THRUST_200600_302600_NS5tupleIllNS6_9null_typeES8_S8_S8_S8_S8_S8_S8_EEEEZNS1_11reduce_implILb0ES3_PS9_SC_S9_NS6_11hip_rocprim9__extrema9arg_max_fIllNS6_4lessIlEEEEEE10hipError_tPvRmT1_T2_T3_mT4_P12ihipStream_tbEUlT_E1_NS1_11comp_targetILNS1_3genE8ELNS1_11target_archE1030ELNS1_3gpuE2ELNS1_3repE0EEENS1_30default_config_static_selectorELNS0_4arch9wavefront6targetE1EEEvSM_: ; @_ZN7rocprim17ROCPRIM_400000_NS6detail17trampoline_kernelINS0_14default_configENS1_22reduce_config_selectorIN6thrust23THRUST_200600_302600_NS5tupleIllNS6_9null_typeES8_S8_S8_S8_S8_S8_S8_EEEEZNS1_11reduce_implILb0ES3_PS9_SC_S9_NS6_11hip_rocprim9__extrema9arg_max_fIllNS6_4lessIlEEEEEE10hipError_tPvRmT1_T2_T3_mT4_P12ihipStream_tbEUlT_E1_NS1_11comp_targetILNS1_3genE8ELNS1_11target_archE1030ELNS1_3gpuE2ELNS1_3repE0EEENS1_30default_config_static_selectorELNS0_4arch9wavefront6targetE1EEEvSM_
; %bb.0:
	.section	.rodata,"a",@progbits
	.p2align	6, 0x0
	.amdhsa_kernel _ZN7rocprim17ROCPRIM_400000_NS6detail17trampoline_kernelINS0_14default_configENS1_22reduce_config_selectorIN6thrust23THRUST_200600_302600_NS5tupleIllNS6_9null_typeES8_S8_S8_S8_S8_S8_S8_EEEEZNS1_11reduce_implILb0ES3_PS9_SC_S9_NS6_11hip_rocprim9__extrema9arg_max_fIllNS6_4lessIlEEEEEE10hipError_tPvRmT1_T2_T3_mT4_P12ihipStream_tbEUlT_E1_NS1_11comp_targetILNS1_3genE8ELNS1_11target_archE1030ELNS1_3gpuE2ELNS1_3repE0EEENS1_30default_config_static_selectorELNS0_4arch9wavefront6targetE1EEEvSM_
		.amdhsa_group_segment_fixed_size 0
		.amdhsa_private_segment_fixed_size 0
		.amdhsa_kernarg_size 56
		.amdhsa_user_sgpr_count 6
		.amdhsa_user_sgpr_private_segment_buffer 1
		.amdhsa_user_sgpr_dispatch_ptr 0
		.amdhsa_user_sgpr_queue_ptr 0
		.amdhsa_user_sgpr_kernarg_segment_ptr 1
		.amdhsa_user_sgpr_dispatch_id 0
		.amdhsa_user_sgpr_flat_scratch_init 0
		.amdhsa_user_sgpr_private_segment_size 0
		.amdhsa_uses_dynamic_stack 0
		.amdhsa_system_sgpr_private_segment_wavefront_offset 0
		.amdhsa_system_sgpr_workgroup_id_x 1
		.amdhsa_system_sgpr_workgroup_id_y 0
		.amdhsa_system_sgpr_workgroup_id_z 0
		.amdhsa_system_sgpr_workgroup_info 0
		.amdhsa_system_vgpr_workitem_id 0
		.amdhsa_next_free_vgpr 1
		.amdhsa_next_free_sgpr 0
		.amdhsa_reserve_vcc 0
		.amdhsa_reserve_flat_scratch 0
		.amdhsa_float_round_mode_32 0
		.amdhsa_float_round_mode_16_64 0
		.amdhsa_float_denorm_mode_32 3
		.amdhsa_float_denorm_mode_16_64 3
		.amdhsa_dx10_clamp 1
		.amdhsa_ieee_mode 1
		.amdhsa_fp16_overflow 0
		.amdhsa_exception_fp_ieee_invalid_op 0
		.amdhsa_exception_fp_denorm_src 0
		.amdhsa_exception_fp_ieee_div_zero 0
		.amdhsa_exception_fp_ieee_overflow 0
		.amdhsa_exception_fp_ieee_underflow 0
		.amdhsa_exception_fp_ieee_inexact 0
		.amdhsa_exception_int_div_zero 0
	.end_amdhsa_kernel
	.section	.text._ZN7rocprim17ROCPRIM_400000_NS6detail17trampoline_kernelINS0_14default_configENS1_22reduce_config_selectorIN6thrust23THRUST_200600_302600_NS5tupleIllNS6_9null_typeES8_S8_S8_S8_S8_S8_S8_EEEEZNS1_11reduce_implILb0ES3_PS9_SC_S9_NS6_11hip_rocprim9__extrema9arg_max_fIllNS6_4lessIlEEEEEE10hipError_tPvRmT1_T2_T3_mT4_P12ihipStream_tbEUlT_E1_NS1_11comp_targetILNS1_3genE8ELNS1_11target_archE1030ELNS1_3gpuE2ELNS1_3repE0EEENS1_30default_config_static_selectorELNS0_4arch9wavefront6targetE1EEEvSM_,"axG",@progbits,_ZN7rocprim17ROCPRIM_400000_NS6detail17trampoline_kernelINS0_14default_configENS1_22reduce_config_selectorIN6thrust23THRUST_200600_302600_NS5tupleIllNS6_9null_typeES8_S8_S8_S8_S8_S8_S8_EEEEZNS1_11reduce_implILb0ES3_PS9_SC_S9_NS6_11hip_rocprim9__extrema9arg_max_fIllNS6_4lessIlEEEEEE10hipError_tPvRmT1_T2_T3_mT4_P12ihipStream_tbEUlT_E1_NS1_11comp_targetILNS1_3genE8ELNS1_11target_archE1030ELNS1_3gpuE2ELNS1_3repE0EEENS1_30default_config_static_selectorELNS0_4arch9wavefront6targetE1EEEvSM_,comdat
.Lfunc_end420:
	.size	_ZN7rocprim17ROCPRIM_400000_NS6detail17trampoline_kernelINS0_14default_configENS1_22reduce_config_selectorIN6thrust23THRUST_200600_302600_NS5tupleIllNS6_9null_typeES8_S8_S8_S8_S8_S8_S8_EEEEZNS1_11reduce_implILb0ES3_PS9_SC_S9_NS6_11hip_rocprim9__extrema9arg_max_fIllNS6_4lessIlEEEEEE10hipError_tPvRmT1_T2_T3_mT4_P12ihipStream_tbEUlT_E1_NS1_11comp_targetILNS1_3genE8ELNS1_11target_archE1030ELNS1_3gpuE2ELNS1_3repE0EEENS1_30default_config_static_selectorELNS0_4arch9wavefront6targetE1EEEvSM_, .Lfunc_end420-_ZN7rocprim17ROCPRIM_400000_NS6detail17trampoline_kernelINS0_14default_configENS1_22reduce_config_selectorIN6thrust23THRUST_200600_302600_NS5tupleIllNS6_9null_typeES8_S8_S8_S8_S8_S8_S8_EEEEZNS1_11reduce_implILb0ES3_PS9_SC_S9_NS6_11hip_rocprim9__extrema9arg_max_fIllNS6_4lessIlEEEEEE10hipError_tPvRmT1_T2_T3_mT4_P12ihipStream_tbEUlT_E1_NS1_11comp_targetILNS1_3genE8ELNS1_11target_archE1030ELNS1_3gpuE2ELNS1_3repE0EEENS1_30default_config_static_selectorELNS0_4arch9wavefront6targetE1EEEvSM_
                                        ; -- End function
	.set _ZN7rocprim17ROCPRIM_400000_NS6detail17trampoline_kernelINS0_14default_configENS1_22reduce_config_selectorIN6thrust23THRUST_200600_302600_NS5tupleIllNS6_9null_typeES8_S8_S8_S8_S8_S8_S8_EEEEZNS1_11reduce_implILb0ES3_PS9_SC_S9_NS6_11hip_rocprim9__extrema9arg_max_fIllNS6_4lessIlEEEEEE10hipError_tPvRmT1_T2_T3_mT4_P12ihipStream_tbEUlT_E1_NS1_11comp_targetILNS1_3genE8ELNS1_11target_archE1030ELNS1_3gpuE2ELNS1_3repE0EEENS1_30default_config_static_selectorELNS0_4arch9wavefront6targetE1EEEvSM_.num_vgpr, 0
	.set _ZN7rocprim17ROCPRIM_400000_NS6detail17trampoline_kernelINS0_14default_configENS1_22reduce_config_selectorIN6thrust23THRUST_200600_302600_NS5tupleIllNS6_9null_typeES8_S8_S8_S8_S8_S8_S8_EEEEZNS1_11reduce_implILb0ES3_PS9_SC_S9_NS6_11hip_rocprim9__extrema9arg_max_fIllNS6_4lessIlEEEEEE10hipError_tPvRmT1_T2_T3_mT4_P12ihipStream_tbEUlT_E1_NS1_11comp_targetILNS1_3genE8ELNS1_11target_archE1030ELNS1_3gpuE2ELNS1_3repE0EEENS1_30default_config_static_selectorELNS0_4arch9wavefront6targetE1EEEvSM_.num_agpr, 0
	.set _ZN7rocprim17ROCPRIM_400000_NS6detail17trampoline_kernelINS0_14default_configENS1_22reduce_config_selectorIN6thrust23THRUST_200600_302600_NS5tupleIllNS6_9null_typeES8_S8_S8_S8_S8_S8_S8_EEEEZNS1_11reduce_implILb0ES3_PS9_SC_S9_NS6_11hip_rocprim9__extrema9arg_max_fIllNS6_4lessIlEEEEEE10hipError_tPvRmT1_T2_T3_mT4_P12ihipStream_tbEUlT_E1_NS1_11comp_targetILNS1_3genE8ELNS1_11target_archE1030ELNS1_3gpuE2ELNS1_3repE0EEENS1_30default_config_static_selectorELNS0_4arch9wavefront6targetE1EEEvSM_.numbered_sgpr, 0
	.set _ZN7rocprim17ROCPRIM_400000_NS6detail17trampoline_kernelINS0_14default_configENS1_22reduce_config_selectorIN6thrust23THRUST_200600_302600_NS5tupleIllNS6_9null_typeES8_S8_S8_S8_S8_S8_S8_EEEEZNS1_11reduce_implILb0ES3_PS9_SC_S9_NS6_11hip_rocprim9__extrema9arg_max_fIllNS6_4lessIlEEEEEE10hipError_tPvRmT1_T2_T3_mT4_P12ihipStream_tbEUlT_E1_NS1_11comp_targetILNS1_3genE8ELNS1_11target_archE1030ELNS1_3gpuE2ELNS1_3repE0EEENS1_30default_config_static_selectorELNS0_4arch9wavefront6targetE1EEEvSM_.num_named_barrier, 0
	.set _ZN7rocprim17ROCPRIM_400000_NS6detail17trampoline_kernelINS0_14default_configENS1_22reduce_config_selectorIN6thrust23THRUST_200600_302600_NS5tupleIllNS6_9null_typeES8_S8_S8_S8_S8_S8_S8_EEEEZNS1_11reduce_implILb0ES3_PS9_SC_S9_NS6_11hip_rocprim9__extrema9arg_max_fIllNS6_4lessIlEEEEEE10hipError_tPvRmT1_T2_T3_mT4_P12ihipStream_tbEUlT_E1_NS1_11comp_targetILNS1_3genE8ELNS1_11target_archE1030ELNS1_3gpuE2ELNS1_3repE0EEENS1_30default_config_static_selectorELNS0_4arch9wavefront6targetE1EEEvSM_.private_seg_size, 0
	.set _ZN7rocprim17ROCPRIM_400000_NS6detail17trampoline_kernelINS0_14default_configENS1_22reduce_config_selectorIN6thrust23THRUST_200600_302600_NS5tupleIllNS6_9null_typeES8_S8_S8_S8_S8_S8_S8_EEEEZNS1_11reduce_implILb0ES3_PS9_SC_S9_NS6_11hip_rocprim9__extrema9arg_max_fIllNS6_4lessIlEEEEEE10hipError_tPvRmT1_T2_T3_mT4_P12ihipStream_tbEUlT_E1_NS1_11comp_targetILNS1_3genE8ELNS1_11target_archE1030ELNS1_3gpuE2ELNS1_3repE0EEENS1_30default_config_static_selectorELNS0_4arch9wavefront6targetE1EEEvSM_.uses_vcc, 0
	.set _ZN7rocprim17ROCPRIM_400000_NS6detail17trampoline_kernelINS0_14default_configENS1_22reduce_config_selectorIN6thrust23THRUST_200600_302600_NS5tupleIllNS6_9null_typeES8_S8_S8_S8_S8_S8_S8_EEEEZNS1_11reduce_implILb0ES3_PS9_SC_S9_NS6_11hip_rocprim9__extrema9arg_max_fIllNS6_4lessIlEEEEEE10hipError_tPvRmT1_T2_T3_mT4_P12ihipStream_tbEUlT_E1_NS1_11comp_targetILNS1_3genE8ELNS1_11target_archE1030ELNS1_3gpuE2ELNS1_3repE0EEENS1_30default_config_static_selectorELNS0_4arch9wavefront6targetE1EEEvSM_.uses_flat_scratch, 0
	.set _ZN7rocprim17ROCPRIM_400000_NS6detail17trampoline_kernelINS0_14default_configENS1_22reduce_config_selectorIN6thrust23THRUST_200600_302600_NS5tupleIllNS6_9null_typeES8_S8_S8_S8_S8_S8_S8_EEEEZNS1_11reduce_implILb0ES3_PS9_SC_S9_NS6_11hip_rocprim9__extrema9arg_max_fIllNS6_4lessIlEEEEEE10hipError_tPvRmT1_T2_T3_mT4_P12ihipStream_tbEUlT_E1_NS1_11comp_targetILNS1_3genE8ELNS1_11target_archE1030ELNS1_3gpuE2ELNS1_3repE0EEENS1_30default_config_static_selectorELNS0_4arch9wavefront6targetE1EEEvSM_.has_dyn_sized_stack, 0
	.set _ZN7rocprim17ROCPRIM_400000_NS6detail17trampoline_kernelINS0_14default_configENS1_22reduce_config_selectorIN6thrust23THRUST_200600_302600_NS5tupleIllNS6_9null_typeES8_S8_S8_S8_S8_S8_S8_EEEEZNS1_11reduce_implILb0ES3_PS9_SC_S9_NS6_11hip_rocprim9__extrema9arg_max_fIllNS6_4lessIlEEEEEE10hipError_tPvRmT1_T2_T3_mT4_P12ihipStream_tbEUlT_E1_NS1_11comp_targetILNS1_3genE8ELNS1_11target_archE1030ELNS1_3gpuE2ELNS1_3repE0EEENS1_30default_config_static_selectorELNS0_4arch9wavefront6targetE1EEEvSM_.has_recursion, 0
	.set _ZN7rocprim17ROCPRIM_400000_NS6detail17trampoline_kernelINS0_14default_configENS1_22reduce_config_selectorIN6thrust23THRUST_200600_302600_NS5tupleIllNS6_9null_typeES8_S8_S8_S8_S8_S8_S8_EEEEZNS1_11reduce_implILb0ES3_PS9_SC_S9_NS6_11hip_rocprim9__extrema9arg_max_fIllNS6_4lessIlEEEEEE10hipError_tPvRmT1_T2_T3_mT4_P12ihipStream_tbEUlT_E1_NS1_11comp_targetILNS1_3genE8ELNS1_11target_archE1030ELNS1_3gpuE2ELNS1_3repE0EEENS1_30default_config_static_selectorELNS0_4arch9wavefront6targetE1EEEvSM_.has_indirect_call, 0
	.section	.AMDGPU.csdata,"",@progbits
; Kernel info:
; codeLenInByte = 0
; TotalNumSgprs: 4
; NumVgprs: 0
; ScratchSize: 0
; MemoryBound: 0
; FloatMode: 240
; IeeeMode: 1
; LDSByteSize: 0 bytes/workgroup (compile time only)
; SGPRBlocks: 0
; VGPRBlocks: 0
; NumSGPRsForWavesPerEU: 4
; NumVGPRsForWavesPerEU: 1
; Occupancy: 10
; WaveLimiterHint : 0
; COMPUTE_PGM_RSRC2:SCRATCH_EN: 0
; COMPUTE_PGM_RSRC2:USER_SGPR: 6
; COMPUTE_PGM_RSRC2:TRAP_HANDLER: 0
; COMPUTE_PGM_RSRC2:TGID_X_EN: 1
; COMPUTE_PGM_RSRC2:TGID_Y_EN: 0
; COMPUTE_PGM_RSRC2:TGID_Z_EN: 0
; COMPUTE_PGM_RSRC2:TIDIG_COMP_CNT: 0
	.section	.text._ZN7rocprim17ROCPRIM_400000_NS6detail17trampoline_kernelINS0_14default_configENS1_22reduce_config_selectorIN6thrust23THRUST_200600_302600_NS5tupleIllNS6_9null_typeES8_S8_S8_S8_S8_S8_S8_EEEEZNS1_11reduce_implILb0ES3_NS6_12zip_iteratorINS7_INS6_10device_ptrIlEENS6_11hip_rocprim19counting_iterator_tIlEES8_S8_S8_S8_S8_S8_S8_S8_EEEEPS9_S9_NSF_9__extrema9arg_max_fIllNS6_4lessIlEEEEEE10hipError_tPvRmT1_T2_T3_mT4_P12ihipStream_tbEUlT_E0_NS1_11comp_targetILNS1_3genE0ELNS1_11target_archE4294967295ELNS1_3gpuE0ELNS1_3repE0EEENS1_30default_config_static_selectorELNS0_4arch9wavefront6targetE1EEEvST_,"axG",@progbits,_ZN7rocprim17ROCPRIM_400000_NS6detail17trampoline_kernelINS0_14default_configENS1_22reduce_config_selectorIN6thrust23THRUST_200600_302600_NS5tupleIllNS6_9null_typeES8_S8_S8_S8_S8_S8_S8_EEEEZNS1_11reduce_implILb0ES3_NS6_12zip_iteratorINS7_INS6_10device_ptrIlEENS6_11hip_rocprim19counting_iterator_tIlEES8_S8_S8_S8_S8_S8_S8_S8_EEEEPS9_S9_NSF_9__extrema9arg_max_fIllNS6_4lessIlEEEEEE10hipError_tPvRmT1_T2_T3_mT4_P12ihipStream_tbEUlT_E0_NS1_11comp_targetILNS1_3genE0ELNS1_11target_archE4294967295ELNS1_3gpuE0ELNS1_3repE0EEENS1_30default_config_static_selectorELNS0_4arch9wavefront6targetE1EEEvST_,comdat
	.protected	_ZN7rocprim17ROCPRIM_400000_NS6detail17trampoline_kernelINS0_14default_configENS1_22reduce_config_selectorIN6thrust23THRUST_200600_302600_NS5tupleIllNS6_9null_typeES8_S8_S8_S8_S8_S8_S8_EEEEZNS1_11reduce_implILb0ES3_NS6_12zip_iteratorINS7_INS6_10device_ptrIlEENS6_11hip_rocprim19counting_iterator_tIlEES8_S8_S8_S8_S8_S8_S8_S8_EEEEPS9_S9_NSF_9__extrema9arg_max_fIllNS6_4lessIlEEEEEE10hipError_tPvRmT1_T2_T3_mT4_P12ihipStream_tbEUlT_E0_NS1_11comp_targetILNS1_3genE0ELNS1_11target_archE4294967295ELNS1_3gpuE0ELNS1_3repE0EEENS1_30default_config_static_selectorELNS0_4arch9wavefront6targetE1EEEvST_ ; -- Begin function _ZN7rocprim17ROCPRIM_400000_NS6detail17trampoline_kernelINS0_14default_configENS1_22reduce_config_selectorIN6thrust23THRUST_200600_302600_NS5tupleIllNS6_9null_typeES8_S8_S8_S8_S8_S8_S8_EEEEZNS1_11reduce_implILb0ES3_NS6_12zip_iteratorINS7_INS6_10device_ptrIlEENS6_11hip_rocprim19counting_iterator_tIlEES8_S8_S8_S8_S8_S8_S8_S8_EEEEPS9_S9_NSF_9__extrema9arg_max_fIllNS6_4lessIlEEEEEE10hipError_tPvRmT1_T2_T3_mT4_P12ihipStream_tbEUlT_E0_NS1_11comp_targetILNS1_3genE0ELNS1_11target_archE4294967295ELNS1_3gpuE0ELNS1_3repE0EEENS1_30default_config_static_selectorELNS0_4arch9wavefront6targetE1EEEvST_
	.globl	_ZN7rocprim17ROCPRIM_400000_NS6detail17trampoline_kernelINS0_14default_configENS1_22reduce_config_selectorIN6thrust23THRUST_200600_302600_NS5tupleIllNS6_9null_typeES8_S8_S8_S8_S8_S8_S8_EEEEZNS1_11reduce_implILb0ES3_NS6_12zip_iteratorINS7_INS6_10device_ptrIlEENS6_11hip_rocprim19counting_iterator_tIlEES8_S8_S8_S8_S8_S8_S8_S8_EEEEPS9_S9_NSF_9__extrema9arg_max_fIllNS6_4lessIlEEEEEE10hipError_tPvRmT1_T2_T3_mT4_P12ihipStream_tbEUlT_E0_NS1_11comp_targetILNS1_3genE0ELNS1_11target_archE4294967295ELNS1_3gpuE0ELNS1_3repE0EEENS1_30default_config_static_selectorELNS0_4arch9wavefront6targetE1EEEvST_
	.p2align	8
	.type	_ZN7rocprim17ROCPRIM_400000_NS6detail17trampoline_kernelINS0_14default_configENS1_22reduce_config_selectorIN6thrust23THRUST_200600_302600_NS5tupleIllNS6_9null_typeES8_S8_S8_S8_S8_S8_S8_EEEEZNS1_11reduce_implILb0ES3_NS6_12zip_iteratorINS7_INS6_10device_ptrIlEENS6_11hip_rocprim19counting_iterator_tIlEES8_S8_S8_S8_S8_S8_S8_S8_EEEEPS9_S9_NSF_9__extrema9arg_max_fIllNS6_4lessIlEEEEEE10hipError_tPvRmT1_T2_T3_mT4_P12ihipStream_tbEUlT_E0_NS1_11comp_targetILNS1_3genE0ELNS1_11target_archE4294967295ELNS1_3gpuE0ELNS1_3repE0EEENS1_30default_config_static_selectorELNS0_4arch9wavefront6targetE1EEEvST_,@function
_ZN7rocprim17ROCPRIM_400000_NS6detail17trampoline_kernelINS0_14default_configENS1_22reduce_config_selectorIN6thrust23THRUST_200600_302600_NS5tupleIllNS6_9null_typeES8_S8_S8_S8_S8_S8_S8_EEEEZNS1_11reduce_implILb0ES3_NS6_12zip_iteratorINS7_INS6_10device_ptrIlEENS6_11hip_rocprim19counting_iterator_tIlEES8_S8_S8_S8_S8_S8_S8_S8_EEEEPS9_S9_NSF_9__extrema9arg_max_fIllNS6_4lessIlEEEEEE10hipError_tPvRmT1_T2_T3_mT4_P12ihipStream_tbEUlT_E0_NS1_11comp_targetILNS1_3genE0ELNS1_11target_archE4294967295ELNS1_3gpuE0ELNS1_3repE0EEENS1_30default_config_static_selectorELNS0_4arch9wavefront6targetE1EEEvST_: ; @_ZN7rocprim17ROCPRIM_400000_NS6detail17trampoline_kernelINS0_14default_configENS1_22reduce_config_selectorIN6thrust23THRUST_200600_302600_NS5tupleIllNS6_9null_typeES8_S8_S8_S8_S8_S8_S8_EEEEZNS1_11reduce_implILb0ES3_NS6_12zip_iteratorINS7_INS6_10device_ptrIlEENS6_11hip_rocprim19counting_iterator_tIlEES8_S8_S8_S8_S8_S8_S8_S8_EEEEPS9_S9_NSF_9__extrema9arg_max_fIllNS6_4lessIlEEEEEE10hipError_tPvRmT1_T2_T3_mT4_P12ihipStream_tbEUlT_E0_NS1_11comp_targetILNS1_3genE0ELNS1_11target_archE4294967295ELNS1_3gpuE0ELNS1_3repE0EEENS1_30default_config_static_selectorELNS0_4arch9wavefront6targetE1EEEvST_
; %bb.0:
	.section	.rodata,"a",@progbits
	.p2align	6, 0x0
	.amdhsa_kernel _ZN7rocprim17ROCPRIM_400000_NS6detail17trampoline_kernelINS0_14default_configENS1_22reduce_config_selectorIN6thrust23THRUST_200600_302600_NS5tupleIllNS6_9null_typeES8_S8_S8_S8_S8_S8_S8_EEEEZNS1_11reduce_implILb0ES3_NS6_12zip_iteratorINS7_INS6_10device_ptrIlEENS6_11hip_rocprim19counting_iterator_tIlEES8_S8_S8_S8_S8_S8_S8_S8_EEEEPS9_S9_NSF_9__extrema9arg_max_fIllNS6_4lessIlEEEEEE10hipError_tPvRmT1_T2_T3_mT4_P12ihipStream_tbEUlT_E0_NS1_11comp_targetILNS1_3genE0ELNS1_11target_archE4294967295ELNS1_3gpuE0ELNS1_3repE0EEENS1_30default_config_static_selectorELNS0_4arch9wavefront6targetE1EEEvST_
		.amdhsa_group_segment_fixed_size 0
		.amdhsa_private_segment_fixed_size 0
		.amdhsa_kernarg_size 80
		.amdhsa_user_sgpr_count 6
		.amdhsa_user_sgpr_private_segment_buffer 1
		.amdhsa_user_sgpr_dispatch_ptr 0
		.amdhsa_user_sgpr_queue_ptr 0
		.amdhsa_user_sgpr_kernarg_segment_ptr 1
		.amdhsa_user_sgpr_dispatch_id 0
		.amdhsa_user_sgpr_flat_scratch_init 0
		.amdhsa_user_sgpr_private_segment_size 0
		.amdhsa_uses_dynamic_stack 0
		.amdhsa_system_sgpr_private_segment_wavefront_offset 0
		.amdhsa_system_sgpr_workgroup_id_x 1
		.amdhsa_system_sgpr_workgroup_id_y 0
		.amdhsa_system_sgpr_workgroup_id_z 0
		.amdhsa_system_sgpr_workgroup_info 0
		.amdhsa_system_vgpr_workitem_id 0
		.amdhsa_next_free_vgpr 1
		.amdhsa_next_free_sgpr 0
		.amdhsa_reserve_vcc 0
		.amdhsa_reserve_flat_scratch 0
		.amdhsa_float_round_mode_32 0
		.amdhsa_float_round_mode_16_64 0
		.amdhsa_float_denorm_mode_32 3
		.amdhsa_float_denorm_mode_16_64 3
		.amdhsa_dx10_clamp 1
		.amdhsa_ieee_mode 1
		.amdhsa_fp16_overflow 0
		.amdhsa_exception_fp_ieee_invalid_op 0
		.amdhsa_exception_fp_denorm_src 0
		.amdhsa_exception_fp_ieee_div_zero 0
		.amdhsa_exception_fp_ieee_overflow 0
		.amdhsa_exception_fp_ieee_underflow 0
		.amdhsa_exception_fp_ieee_inexact 0
		.amdhsa_exception_int_div_zero 0
	.end_amdhsa_kernel
	.section	.text._ZN7rocprim17ROCPRIM_400000_NS6detail17trampoline_kernelINS0_14default_configENS1_22reduce_config_selectorIN6thrust23THRUST_200600_302600_NS5tupleIllNS6_9null_typeES8_S8_S8_S8_S8_S8_S8_EEEEZNS1_11reduce_implILb0ES3_NS6_12zip_iteratorINS7_INS6_10device_ptrIlEENS6_11hip_rocprim19counting_iterator_tIlEES8_S8_S8_S8_S8_S8_S8_S8_EEEEPS9_S9_NSF_9__extrema9arg_max_fIllNS6_4lessIlEEEEEE10hipError_tPvRmT1_T2_T3_mT4_P12ihipStream_tbEUlT_E0_NS1_11comp_targetILNS1_3genE0ELNS1_11target_archE4294967295ELNS1_3gpuE0ELNS1_3repE0EEENS1_30default_config_static_selectorELNS0_4arch9wavefront6targetE1EEEvST_,"axG",@progbits,_ZN7rocprim17ROCPRIM_400000_NS6detail17trampoline_kernelINS0_14default_configENS1_22reduce_config_selectorIN6thrust23THRUST_200600_302600_NS5tupleIllNS6_9null_typeES8_S8_S8_S8_S8_S8_S8_EEEEZNS1_11reduce_implILb0ES3_NS6_12zip_iteratorINS7_INS6_10device_ptrIlEENS6_11hip_rocprim19counting_iterator_tIlEES8_S8_S8_S8_S8_S8_S8_S8_EEEEPS9_S9_NSF_9__extrema9arg_max_fIllNS6_4lessIlEEEEEE10hipError_tPvRmT1_T2_T3_mT4_P12ihipStream_tbEUlT_E0_NS1_11comp_targetILNS1_3genE0ELNS1_11target_archE4294967295ELNS1_3gpuE0ELNS1_3repE0EEENS1_30default_config_static_selectorELNS0_4arch9wavefront6targetE1EEEvST_,comdat
.Lfunc_end421:
	.size	_ZN7rocprim17ROCPRIM_400000_NS6detail17trampoline_kernelINS0_14default_configENS1_22reduce_config_selectorIN6thrust23THRUST_200600_302600_NS5tupleIllNS6_9null_typeES8_S8_S8_S8_S8_S8_S8_EEEEZNS1_11reduce_implILb0ES3_NS6_12zip_iteratorINS7_INS6_10device_ptrIlEENS6_11hip_rocprim19counting_iterator_tIlEES8_S8_S8_S8_S8_S8_S8_S8_EEEEPS9_S9_NSF_9__extrema9arg_max_fIllNS6_4lessIlEEEEEE10hipError_tPvRmT1_T2_T3_mT4_P12ihipStream_tbEUlT_E0_NS1_11comp_targetILNS1_3genE0ELNS1_11target_archE4294967295ELNS1_3gpuE0ELNS1_3repE0EEENS1_30default_config_static_selectorELNS0_4arch9wavefront6targetE1EEEvST_, .Lfunc_end421-_ZN7rocprim17ROCPRIM_400000_NS6detail17trampoline_kernelINS0_14default_configENS1_22reduce_config_selectorIN6thrust23THRUST_200600_302600_NS5tupleIllNS6_9null_typeES8_S8_S8_S8_S8_S8_S8_EEEEZNS1_11reduce_implILb0ES3_NS6_12zip_iteratorINS7_INS6_10device_ptrIlEENS6_11hip_rocprim19counting_iterator_tIlEES8_S8_S8_S8_S8_S8_S8_S8_EEEEPS9_S9_NSF_9__extrema9arg_max_fIllNS6_4lessIlEEEEEE10hipError_tPvRmT1_T2_T3_mT4_P12ihipStream_tbEUlT_E0_NS1_11comp_targetILNS1_3genE0ELNS1_11target_archE4294967295ELNS1_3gpuE0ELNS1_3repE0EEENS1_30default_config_static_selectorELNS0_4arch9wavefront6targetE1EEEvST_
                                        ; -- End function
	.set _ZN7rocprim17ROCPRIM_400000_NS6detail17trampoline_kernelINS0_14default_configENS1_22reduce_config_selectorIN6thrust23THRUST_200600_302600_NS5tupleIllNS6_9null_typeES8_S8_S8_S8_S8_S8_S8_EEEEZNS1_11reduce_implILb0ES3_NS6_12zip_iteratorINS7_INS6_10device_ptrIlEENS6_11hip_rocprim19counting_iterator_tIlEES8_S8_S8_S8_S8_S8_S8_S8_EEEEPS9_S9_NSF_9__extrema9arg_max_fIllNS6_4lessIlEEEEEE10hipError_tPvRmT1_T2_T3_mT4_P12ihipStream_tbEUlT_E0_NS1_11comp_targetILNS1_3genE0ELNS1_11target_archE4294967295ELNS1_3gpuE0ELNS1_3repE0EEENS1_30default_config_static_selectorELNS0_4arch9wavefront6targetE1EEEvST_.num_vgpr, 0
	.set _ZN7rocprim17ROCPRIM_400000_NS6detail17trampoline_kernelINS0_14default_configENS1_22reduce_config_selectorIN6thrust23THRUST_200600_302600_NS5tupleIllNS6_9null_typeES8_S8_S8_S8_S8_S8_S8_EEEEZNS1_11reduce_implILb0ES3_NS6_12zip_iteratorINS7_INS6_10device_ptrIlEENS6_11hip_rocprim19counting_iterator_tIlEES8_S8_S8_S8_S8_S8_S8_S8_EEEEPS9_S9_NSF_9__extrema9arg_max_fIllNS6_4lessIlEEEEEE10hipError_tPvRmT1_T2_T3_mT4_P12ihipStream_tbEUlT_E0_NS1_11comp_targetILNS1_3genE0ELNS1_11target_archE4294967295ELNS1_3gpuE0ELNS1_3repE0EEENS1_30default_config_static_selectorELNS0_4arch9wavefront6targetE1EEEvST_.num_agpr, 0
	.set _ZN7rocprim17ROCPRIM_400000_NS6detail17trampoline_kernelINS0_14default_configENS1_22reduce_config_selectorIN6thrust23THRUST_200600_302600_NS5tupleIllNS6_9null_typeES8_S8_S8_S8_S8_S8_S8_EEEEZNS1_11reduce_implILb0ES3_NS6_12zip_iteratorINS7_INS6_10device_ptrIlEENS6_11hip_rocprim19counting_iterator_tIlEES8_S8_S8_S8_S8_S8_S8_S8_EEEEPS9_S9_NSF_9__extrema9arg_max_fIllNS6_4lessIlEEEEEE10hipError_tPvRmT1_T2_T3_mT4_P12ihipStream_tbEUlT_E0_NS1_11comp_targetILNS1_3genE0ELNS1_11target_archE4294967295ELNS1_3gpuE0ELNS1_3repE0EEENS1_30default_config_static_selectorELNS0_4arch9wavefront6targetE1EEEvST_.numbered_sgpr, 0
	.set _ZN7rocprim17ROCPRIM_400000_NS6detail17trampoline_kernelINS0_14default_configENS1_22reduce_config_selectorIN6thrust23THRUST_200600_302600_NS5tupleIllNS6_9null_typeES8_S8_S8_S8_S8_S8_S8_EEEEZNS1_11reduce_implILb0ES3_NS6_12zip_iteratorINS7_INS6_10device_ptrIlEENS6_11hip_rocprim19counting_iterator_tIlEES8_S8_S8_S8_S8_S8_S8_S8_EEEEPS9_S9_NSF_9__extrema9arg_max_fIllNS6_4lessIlEEEEEE10hipError_tPvRmT1_T2_T3_mT4_P12ihipStream_tbEUlT_E0_NS1_11comp_targetILNS1_3genE0ELNS1_11target_archE4294967295ELNS1_3gpuE0ELNS1_3repE0EEENS1_30default_config_static_selectorELNS0_4arch9wavefront6targetE1EEEvST_.num_named_barrier, 0
	.set _ZN7rocprim17ROCPRIM_400000_NS6detail17trampoline_kernelINS0_14default_configENS1_22reduce_config_selectorIN6thrust23THRUST_200600_302600_NS5tupleIllNS6_9null_typeES8_S8_S8_S8_S8_S8_S8_EEEEZNS1_11reduce_implILb0ES3_NS6_12zip_iteratorINS7_INS6_10device_ptrIlEENS6_11hip_rocprim19counting_iterator_tIlEES8_S8_S8_S8_S8_S8_S8_S8_EEEEPS9_S9_NSF_9__extrema9arg_max_fIllNS6_4lessIlEEEEEE10hipError_tPvRmT1_T2_T3_mT4_P12ihipStream_tbEUlT_E0_NS1_11comp_targetILNS1_3genE0ELNS1_11target_archE4294967295ELNS1_3gpuE0ELNS1_3repE0EEENS1_30default_config_static_selectorELNS0_4arch9wavefront6targetE1EEEvST_.private_seg_size, 0
	.set _ZN7rocprim17ROCPRIM_400000_NS6detail17trampoline_kernelINS0_14default_configENS1_22reduce_config_selectorIN6thrust23THRUST_200600_302600_NS5tupleIllNS6_9null_typeES8_S8_S8_S8_S8_S8_S8_EEEEZNS1_11reduce_implILb0ES3_NS6_12zip_iteratorINS7_INS6_10device_ptrIlEENS6_11hip_rocprim19counting_iterator_tIlEES8_S8_S8_S8_S8_S8_S8_S8_EEEEPS9_S9_NSF_9__extrema9arg_max_fIllNS6_4lessIlEEEEEE10hipError_tPvRmT1_T2_T3_mT4_P12ihipStream_tbEUlT_E0_NS1_11comp_targetILNS1_3genE0ELNS1_11target_archE4294967295ELNS1_3gpuE0ELNS1_3repE0EEENS1_30default_config_static_selectorELNS0_4arch9wavefront6targetE1EEEvST_.uses_vcc, 0
	.set _ZN7rocprim17ROCPRIM_400000_NS6detail17trampoline_kernelINS0_14default_configENS1_22reduce_config_selectorIN6thrust23THRUST_200600_302600_NS5tupleIllNS6_9null_typeES8_S8_S8_S8_S8_S8_S8_EEEEZNS1_11reduce_implILb0ES3_NS6_12zip_iteratorINS7_INS6_10device_ptrIlEENS6_11hip_rocprim19counting_iterator_tIlEES8_S8_S8_S8_S8_S8_S8_S8_EEEEPS9_S9_NSF_9__extrema9arg_max_fIllNS6_4lessIlEEEEEE10hipError_tPvRmT1_T2_T3_mT4_P12ihipStream_tbEUlT_E0_NS1_11comp_targetILNS1_3genE0ELNS1_11target_archE4294967295ELNS1_3gpuE0ELNS1_3repE0EEENS1_30default_config_static_selectorELNS0_4arch9wavefront6targetE1EEEvST_.uses_flat_scratch, 0
	.set _ZN7rocprim17ROCPRIM_400000_NS6detail17trampoline_kernelINS0_14default_configENS1_22reduce_config_selectorIN6thrust23THRUST_200600_302600_NS5tupleIllNS6_9null_typeES8_S8_S8_S8_S8_S8_S8_EEEEZNS1_11reduce_implILb0ES3_NS6_12zip_iteratorINS7_INS6_10device_ptrIlEENS6_11hip_rocprim19counting_iterator_tIlEES8_S8_S8_S8_S8_S8_S8_S8_EEEEPS9_S9_NSF_9__extrema9arg_max_fIllNS6_4lessIlEEEEEE10hipError_tPvRmT1_T2_T3_mT4_P12ihipStream_tbEUlT_E0_NS1_11comp_targetILNS1_3genE0ELNS1_11target_archE4294967295ELNS1_3gpuE0ELNS1_3repE0EEENS1_30default_config_static_selectorELNS0_4arch9wavefront6targetE1EEEvST_.has_dyn_sized_stack, 0
	.set _ZN7rocprim17ROCPRIM_400000_NS6detail17trampoline_kernelINS0_14default_configENS1_22reduce_config_selectorIN6thrust23THRUST_200600_302600_NS5tupleIllNS6_9null_typeES8_S8_S8_S8_S8_S8_S8_EEEEZNS1_11reduce_implILb0ES3_NS6_12zip_iteratorINS7_INS6_10device_ptrIlEENS6_11hip_rocprim19counting_iterator_tIlEES8_S8_S8_S8_S8_S8_S8_S8_EEEEPS9_S9_NSF_9__extrema9arg_max_fIllNS6_4lessIlEEEEEE10hipError_tPvRmT1_T2_T3_mT4_P12ihipStream_tbEUlT_E0_NS1_11comp_targetILNS1_3genE0ELNS1_11target_archE4294967295ELNS1_3gpuE0ELNS1_3repE0EEENS1_30default_config_static_selectorELNS0_4arch9wavefront6targetE1EEEvST_.has_recursion, 0
	.set _ZN7rocprim17ROCPRIM_400000_NS6detail17trampoline_kernelINS0_14default_configENS1_22reduce_config_selectorIN6thrust23THRUST_200600_302600_NS5tupleIllNS6_9null_typeES8_S8_S8_S8_S8_S8_S8_EEEEZNS1_11reduce_implILb0ES3_NS6_12zip_iteratorINS7_INS6_10device_ptrIlEENS6_11hip_rocprim19counting_iterator_tIlEES8_S8_S8_S8_S8_S8_S8_S8_EEEEPS9_S9_NSF_9__extrema9arg_max_fIllNS6_4lessIlEEEEEE10hipError_tPvRmT1_T2_T3_mT4_P12ihipStream_tbEUlT_E0_NS1_11comp_targetILNS1_3genE0ELNS1_11target_archE4294967295ELNS1_3gpuE0ELNS1_3repE0EEENS1_30default_config_static_selectorELNS0_4arch9wavefront6targetE1EEEvST_.has_indirect_call, 0
	.section	.AMDGPU.csdata,"",@progbits
; Kernel info:
; codeLenInByte = 0
; TotalNumSgprs: 4
; NumVgprs: 0
; ScratchSize: 0
; MemoryBound: 0
; FloatMode: 240
; IeeeMode: 1
; LDSByteSize: 0 bytes/workgroup (compile time only)
; SGPRBlocks: 0
; VGPRBlocks: 0
; NumSGPRsForWavesPerEU: 4
; NumVGPRsForWavesPerEU: 1
; Occupancy: 10
; WaveLimiterHint : 0
; COMPUTE_PGM_RSRC2:SCRATCH_EN: 0
; COMPUTE_PGM_RSRC2:USER_SGPR: 6
; COMPUTE_PGM_RSRC2:TRAP_HANDLER: 0
; COMPUTE_PGM_RSRC2:TGID_X_EN: 1
; COMPUTE_PGM_RSRC2:TGID_Y_EN: 0
; COMPUTE_PGM_RSRC2:TGID_Z_EN: 0
; COMPUTE_PGM_RSRC2:TIDIG_COMP_CNT: 0
	.section	.text._ZN7rocprim17ROCPRIM_400000_NS6detail17trampoline_kernelINS0_14default_configENS1_22reduce_config_selectorIN6thrust23THRUST_200600_302600_NS5tupleIllNS6_9null_typeES8_S8_S8_S8_S8_S8_S8_EEEEZNS1_11reduce_implILb0ES3_NS6_12zip_iteratorINS7_INS6_10device_ptrIlEENS6_11hip_rocprim19counting_iterator_tIlEES8_S8_S8_S8_S8_S8_S8_S8_EEEEPS9_S9_NSF_9__extrema9arg_max_fIllNS6_4lessIlEEEEEE10hipError_tPvRmT1_T2_T3_mT4_P12ihipStream_tbEUlT_E0_NS1_11comp_targetILNS1_3genE5ELNS1_11target_archE942ELNS1_3gpuE9ELNS1_3repE0EEENS1_30default_config_static_selectorELNS0_4arch9wavefront6targetE1EEEvST_,"axG",@progbits,_ZN7rocprim17ROCPRIM_400000_NS6detail17trampoline_kernelINS0_14default_configENS1_22reduce_config_selectorIN6thrust23THRUST_200600_302600_NS5tupleIllNS6_9null_typeES8_S8_S8_S8_S8_S8_S8_EEEEZNS1_11reduce_implILb0ES3_NS6_12zip_iteratorINS7_INS6_10device_ptrIlEENS6_11hip_rocprim19counting_iterator_tIlEES8_S8_S8_S8_S8_S8_S8_S8_EEEEPS9_S9_NSF_9__extrema9arg_max_fIllNS6_4lessIlEEEEEE10hipError_tPvRmT1_T2_T3_mT4_P12ihipStream_tbEUlT_E0_NS1_11comp_targetILNS1_3genE5ELNS1_11target_archE942ELNS1_3gpuE9ELNS1_3repE0EEENS1_30default_config_static_selectorELNS0_4arch9wavefront6targetE1EEEvST_,comdat
	.protected	_ZN7rocprim17ROCPRIM_400000_NS6detail17trampoline_kernelINS0_14default_configENS1_22reduce_config_selectorIN6thrust23THRUST_200600_302600_NS5tupleIllNS6_9null_typeES8_S8_S8_S8_S8_S8_S8_EEEEZNS1_11reduce_implILb0ES3_NS6_12zip_iteratorINS7_INS6_10device_ptrIlEENS6_11hip_rocprim19counting_iterator_tIlEES8_S8_S8_S8_S8_S8_S8_S8_EEEEPS9_S9_NSF_9__extrema9arg_max_fIllNS6_4lessIlEEEEEE10hipError_tPvRmT1_T2_T3_mT4_P12ihipStream_tbEUlT_E0_NS1_11comp_targetILNS1_3genE5ELNS1_11target_archE942ELNS1_3gpuE9ELNS1_3repE0EEENS1_30default_config_static_selectorELNS0_4arch9wavefront6targetE1EEEvST_ ; -- Begin function _ZN7rocprim17ROCPRIM_400000_NS6detail17trampoline_kernelINS0_14default_configENS1_22reduce_config_selectorIN6thrust23THRUST_200600_302600_NS5tupleIllNS6_9null_typeES8_S8_S8_S8_S8_S8_S8_EEEEZNS1_11reduce_implILb0ES3_NS6_12zip_iteratorINS7_INS6_10device_ptrIlEENS6_11hip_rocprim19counting_iterator_tIlEES8_S8_S8_S8_S8_S8_S8_S8_EEEEPS9_S9_NSF_9__extrema9arg_max_fIllNS6_4lessIlEEEEEE10hipError_tPvRmT1_T2_T3_mT4_P12ihipStream_tbEUlT_E0_NS1_11comp_targetILNS1_3genE5ELNS1_11target_archE942ELNS1_3gpuE9ELNS1_3repE0EEENS1_30default_config_static_selectorELNS0_4arch9wavefront6targetE1EEEvST_
	.globl	_ZN7rocprim17ROCPRIM_400000_NS6detail17trampoline_kernelINS0_14default_configENS1_22reduce_config_selectorIN6thrust23THRUST_200600_302600_NS5tupleIllNS6_9null_typeES8_S8_S8_S8_S8_S8_S8_EEEEZNS1_11reduce_implILb0ES3_NS6_12zip_iteratorINS7_INS6_10device_ptrIlEENS6_11hip_rocprim19counting_iterator_tIlEES8_S8_S8_S8_S8_S8_S8_S8_EEEEPS9_S9_NSF_9__extrema9arg_max_fIllNS6_4lessIlEEEEEE10hipError_tPvRmT1_T2_T3_mT4_P12ihipStream_tbEUlT_E0_NS1_11comp_targetILNS1_3genE5ELNS1_11target_archE942ELNS1_3gpuE9ELNS1_3repE0EEENS1_30default_config_static_selectorELNS0_4arch9wavefront6targetE1EEEvST_
	.p2align	8
	.type	_ZN7rocprim17ROCPRIM_400000_NS6detail17trampoline_kernelINS0_14default_configENS1_22reduce_config_selectorIN6thrust23THRUST_200600_302600_NS5tupleIllNS6_9null_typeES8_S8_S8_S8_S8_S8_S8_EEEEZNS1_11reduce_implILb0ES3_NS6_12zip_iteratorINS7_INS6_10device_ptrIlEENS6_11hip_rocprim19counting_iterator_tIlEES8_S8_S8_S8_S8_S8_S8_S8_EEEEPS9_S9_NSF_9__extrema9arg_max_fIllNS6_4lessIlEEEEEE10hipError_tPvRmT1_T2_T3_mT4_P12ihipStream_tbEUlT_E0_NS1_11comp_targetILNS1_3genE5ELNS1_11target_archE942ELNS1_3gpuE9ELNS1_3repE0EEENS1_30default_config_static_selectorELNS0_4arch9wavefront6targetE1EEEvST_,@function
_ZN7rocprim17ROCPRIM_400000_NS6detail17trampoline_kernelINS0_14default_configENS1_22reduce_config_selectorIN6thrust23THRUST_200600_302600_NS5tupleIllNS6_9null_typeES8_S8_S8_S8_S8_S8_S8_EEEEZNS1_11reduce_implILb0ES3_NS6_12zip_iteratorINS7_INS6_10device_ptrIlEENS6_11hip_rocprim19counting_iterator_tIlEES8_S8_S8_S8_S8_S8_S8_S8_EEEEPS9_S9_NSF_9__extrema9arg_max_fIllNS6_4lessIlEEEEEE10hipError_tPvRmT1_T2_T3_mT4_P12ihipStream_tbEUlT_E0_NS1_11comp_targetILNS1_3genE5ELNS1_11target_archE942ELNS1_3gpuE9ELNS1_3repE0EEENS1_30default_config_static_selectorELNS0_4arch9wavefront6targetE1EEEvST_: ; @_ZN7rocprim17ROCPRIM_400000_NS6detail17trampoline_kernelINS0_14default_configENS1_22reduce_config_selectorIN6thrust23THRUST_200600_302600_NS5tupleIllNS6_9null_typeES8_S8_S8_S8_S8_S8_S8_EEEEZNS1_11reduce_implILb0ES3_NS6_12zip_iteratorINS7_INS6_10device_ptrIlEENS6_11hip_rocprim19counting_iterator_tIlEES8_S8_S8_S8_S8_S8_S8_S8_EEEEPS9_S9_NSF_9__extrema9arg_max_fIllNS6_4lessIlEEEEEE10hipError_tPvRmT1_T2_T3_mT4_P12ihipStream_tbEUlT_E0_NS1_11comp_targetILNS1_3genE5ELNS1_11target_archE942ELNS1_3gpuE9ELNS1_3repE0EEENS1_30default_config_static_selectorELNS0_4arch9wavefront6targetE1EEEvST_
; %bb.0:
	.section	.rodata,"a",@progbits
	.p2align	6, 0x0
	.amdhsa_kernel _ZN7rocprim17ROCPRIM_400000_NS6detail17trampoline_kernelINS0_14default_configENS1_22reduce_config_selectorIN6thrust23THRUST_200600_302600_NS5tupleIllNS6_9null_typeES8_S8_S8_S8_S8_S8_S8_EEEEZNS1_11reduce_implILb0ES3_NS6_12zip_iteratorINS7_INS6_10device_ptrIlEENS6_11hip_rocprim19counting_iterator_tIlEES8_S8_S8_S8_S8_S8_S8_S8_EEEEPS9_S9_NSF_9__extrema9arg_max_fIllNS6_4lessIlEEEEEE10hipError_tPvRmT1_T2_T3_mT4_P12ihipStream_tbEUlT_E0_NS1_11comp_targetILNS1_3genE5ELNS1_11target_archE942ELNS1_3gpuE9ELNS1_3repE0EEENS1_30default_config_static_selectorELNS0_4arch9wavefront6targetE1EEEvST_
		.amdhsa_group_segment_fixed_size 0
		.amdhsa_private_segment_fixed_size 0
		.amdhsa_kernarg_size 80
		.amdhsa_user_sgpr_count 6
		.amdhsa_user_sgpr_private_segment_buffer 1
		.amdhsa_user_sgpr_dispatch_ptr 0
		.amdhsa_user_sgpr_queue_ptr 0
		.amdhsa_user_sgpr_kernarg_segment_ptr 1
		.amdhsa_user_sgpr_dispatch_id 0
		.amdhsa_user_sgpr_flat_scratch_init 0
		.amdhsa_user_sgpr_private_segment_size 0
		.amdhsa_uses_dynamic_stack 0
		.amdhsa_system_sgpr_private_segment_wavefront_offset 0
		.amdhsa_system_sgpr_workgroup_id_x 1
		.amdhsa_system_sgpr_workgroup_id_y 0
		.amdhsa_system_sgpr_workgroup_id_z 0
		.amdhsa_system_sgpr_workgroup_info 0
		.amdhsa_system_vgpr_workitem_id 0
		.amdhsa_next_free_vgpr 1
		.amdhsa_next_free_sgpr 0
		.amdhsa_reserve_vcc 0
		.amdhsa_reserve_flat_scratch 0
		.amdhsa_float_round_mode_32 0
		.amdhsa_float_round_mode_16_64 0
		.amdhsa_float_denorm_mode_32 3
		.amdhsa_float_denorm_mode_16_64 3
		.amdhsa_dx10_clamp 1
		.amdhsa_ieee_mode 1
		.amdhsa_fp16_overflow 0
		.amdhsa_exception_fp_ieee_invalid_op 0
		.amdhsa_exception_fp_denorm_src 0
		.amdhsa_exception_fp_ieee_div_zero 0
		.amdhsa_exception_fp_ieee_overflow 0
		.amdhsa_exception_fp_ieee_underflow 0
		.amdhsa_exception_fp_ieee_inexact 0
		.amdhsa_exception_int_div_zero 0
	.end_amdhsa_kernel
	.section	.text._ZN7rocprim17ROCPRIM_400000_NS6detail17trampoline_kernelINS0_14default_configENS1_22reduce_config_selectorIN6thrust23THRUST_200600_302600_NS5tupleIllNS6_9null_typeES8_S8_S8_S8_S8_S8_S8_EEEEZNS1_11reduce_implILb0ES3_NS6_12zip_iteratorINS7_INS6_10device_ptrIlEENS6_11hip_rocprim19counting_iterator_tIlEES8_S8_S8_S8_S8_S8_S8_S8_EEEEPS9_S9_NSF_9__extrema9arg_max_fIllNS6_4lessIlEEEEEE10hipError_tPvRmT1_T2_T3_mT4_P12ihipStream_tbEUlT_E0_NS1_11comp_targetILNS1_3genE5ELNS1_11target_archE942ELNS1_3gpuE9ELNS1_3repE0EEENS1_30default_config_static_selectorELNS0_4arch9wavefront6targetE1EEEvST_,"axG",@progbits,_ZN7rocprim17ROCPRIM_400000_NS6detail17trampoline_kernelINS0_14default_configENS1_22reduce_config_selectorIN6thrust23THRUST_200600_302600_NS5tupleIllNS6_9null_typeES8_S8_S8_S8_S8_S8_S8_EEEEZNS1_11reduce_implILb0ES3_NS6_12zip_iteratorINS7_INS6_10device_ptrIlEENS6_11hip_rocprim19counting_iterator_tIlEES8_S8_S8_S8_S8_S8_S8_S8_EEEEPS9_S9_NSF_9__extrema9arg_max_fIllNS6_4lessIlEEEEEE10hipError_tPvRmT1_T2_T3_mT4_P12ihipStream_tbEUlT_E0_NS1_11comp_targetILNS1_3genE5ELNS1_11target_archE942ELNS1_3gpuE9ELNS1_3repE0EEENS1_30default_config_static_selectorELNS0_4arch9wavefront6targetE1EEEvST_,comdat
.Lfunc_end422:
	.size	_ZN7rocprim17ROCPRIM_400000_NS6detail17trampoline_kernelINS0_14default_configENS1_22reduce_config_selectorIN6thrust23THRUST_200600_302600_NS5tupleIllNS6_9null_typeES8_S8_S8_S8_S8_S8_S8_EEEEZNS1_11reduce_implILb0ES3_NS6_12zip_iteratorINS7_INS6_10device_ptrIlEENS6_11hip_rocprim19counting_iterator_tIlEES8_S8_S8_S8_S8_S8_S8_S8_EEEEPS9_S9_NSF_9__extrema9arg_max_fIllNS6_4lessIlEEEEEE10hipError_tPvRmT1_T2_T3_mT4_P12ihipStream_tbEUlT_E0_NS1_11comp_targetILNS1_3genE5ELNS1_11target_archE942ELNS1_3gpuE9ELNS1_3repE0EEENS1_30default_config_static_selectorELNS0_4arch9wavefront6targetE1EEEvST_, .Lfunc_end422-_ZN7rocprim17ROCPRIM_400000_NS6detail17trampoline_kernelINS0_14default_configENS1_22reduce_config_selectorIN6thrust23THRUST_200600_302600_NS5tupleIllNS6_9null_typeES8_S8_S8_S8_S8_S8_S8_EEEEZNS1_11reduce_implILb0ES3_NS6_12zip_iteratorINS7_INS6_10device_ptrIlEENS6_11hip_rocprim19counting_iterator_tIlEES8_S8_S8_S8_S8_S8_S8_S8_EEEEPS9_S9_NSF_9__extrema9arg_max_fIllNS6_4lessIlEEEEEE10hipError_tPvRmT1_T2_T3_mT4_P12ihipStream_tbEUlT_E0_NS1_11comp_targetILNS1_3genE5ELNS1_11target_archE942ELNS1_3gpuE9ELNS1_3repE0EEENS1_30default_config_static_selectorELNS0_4arch9wavefront6targetE1EEEvST_
                                        ; -- End function
	.set _ZN7rocprim17ROCPRIM_400000_NS6detail17trampoline_kernelINS0_14default_configENS1_22reduce_config_selectorIN6thrust23THRUST_200600_302600_NS5tupleIllNS6_9null_typeES8_S8_S8_S8_S8_S8_S8_EEEEZNS1_11reduce_implILb0ES3_NS6_12zip_iteratorINS7_INS6_10device_ptrIlEENS6_11hip_rocprim19counting_iterator_tIlEES8_S8_S8_S8_S8_S8_S8_S8_EEEEPS9_S9_NSF_9__extrema9arg_max_fIllNS6_4lessIlEEEEEE10hipError_tPvRmT1_T2_T3_mT4_P12ihipStream_tbEUlT_E0_NS1_11comp_targetILNS1_3genE5ELNS1_11target_archE942ELNS1_3gpuE9ELNS1_3repE0EEENS1_30default_config_static_selectorELNS0_4arch9wavefront6targetE1EEEvST_.num_vgpr, 0
	.set _ZN7rocprim17ROCPRIM_400000_NS6detail17trampoline_kernelINS0_14default_configENS1_22reduce_config_selectorIN6thrust23THRUST_200600_302600_NS5tupleIllNS6_9null_typeES8_S8_S8_S8_S8_S8_S8_EEEEZNS1_11reduce_implILb0ES3_NS6_12zip_iteratorINS7_INS6_10device_ptrIlEENS6_11hip_rocprim19counting_iterator_tIlEES8_S8_S8_S8_S8_S8_S8_S8_EEEEPS9_S9_NSF_9__extrema9arg_max_fIllNS6_4lessIlEEEEEE10hipError_tPvRmT1_T2_T3_mT4_P12ihipStream_tbEUlT_E0_NS1_11comp_targetILNS1_3genE5ELNS1_11target_archE942ELNS1_3gpuE9ELNS1_3repE0EEENS1_30default_config_static_selectorELNS0_4arch9wavefront6targetE1EEEvST_.num_agpr, 0
	.set _ZN7rocprim17ROCPRIM_400000_NS6detail17trampoline_kernelINS0_14default_configENS1_22reduce_config_selectorIN6thrust23THRUST_200600_302600_NS5tupleIllNS6_9null_typeES8_S8_S8_S8_S8_S8_S8_EEEEZNS1_11reduce_implILb0ES3_NS6_12zip_iteratorINS7_INS6_10device_ptrIlEENS6_11hip_rocprim19counting_iterator_tIlEES8_S8_S8_S8_S8_S8_S8_S8_EEEEPS9_S9_NSF_9__extrema9arg_max_fIllNS6_4lessIlEEEEEE10hipError_tPvRmT1_T2_T3_mT4_P12ihipStream_tbEUlT_E0_NS1_11comp_targetILNS1_3genE5ELNS1_11target_archE942ELNS1_3gpuE9ELNS1_3repE0EEENS1_30default_config_static_selectorELNS0_4arch9wavefront6targetE1EEEvST_.numbered_sgpr, 0
	.set _ZN7rocprim17ROCPRIM_400000_NS6detail17trampoline_kernelINS0_14default_configENS1_22reduce_config_selectorIN6thrust23THRUST_200600_302600_NS5tupleIllNS6_9null_typeES8_S8_S8_S8_S8_S8_S8_EEEEZNS1_11reduce_implILb0ES3_NS6_12zip_iteratorINS7_INS6_10device_ptrIlEENS6_11hip_rocprim19counting_iterator_tIlEES8_S8_S8_S8_S8_S8_S8_S8_EEEEPS9_S9_NSF_9__extrema9arg_max_fIllNS6_4lessIlEEEEEE10hipError_tPvRmT1_T2_T3_mT4_P12ihipStream_tbEUlT_E0_NS1_11comp_targetILNS1_3genE5ELNS1_11target_archE942ELNS1_3gpuE9ELNS1_3repE0EEENS1_30default_config_static_selectorELNS0_4arch9wavefront6targetE1EEEvST_.num_named_barrier, 0
	.set _ZN7rocprim17ROCPRIM_400000_NS6detail17trampoline_kernelINS0_14default_configENS1_22reduce_config_selectorIN6thrust23THRUST_200600_302600_NS5tupleIllNS6_9null_typeES8_S8_S8_S8_S8_S8_S8_EEEEZNS1_11reduce_implILb0ES3_NS6_12zip_iteratorINS7_INS6_10device_ptrIlEENS6_11hip_rocprim19counting_iterator_tIlEES8_S8_S8_S8_S8_S8_S8_S8_EEEEPS9_S9_NSF_9__extrema9arg_max_fIllNS6_4lessIlEEEEEE10hipError_tPvRmT1_T2_T3_mT4_P12ihipStream_tbEUlT_E0_NS1_11comp_targetILNS1_3genE5ELNS1_11target_archE942ELNS1_3gpuE9ELNS1_3repE0EEENS1_30default_config_static_selectorELNS0_4arch9wavefront6targetE1EEEvST_.private_seg_size, 0
	.set _ZN7rocprim17ROCPRIM_400000_NS6detail17trampoline_kernelINS0_14default_configENS1_22reduce_config_selectorIN6thrust23THRUST_200600_302600_NS5tupleIllNS6_9null_typeES8_S8_S8_S8_S8_S8_S8_EEEEZNS1_11reduce_implILb0ES3_NS6_12zip_iteratorINS7_INS6_10device_ptrIlEENS6_11hip_rocprim19counting_iterator_tIlEES8_S8_S8_S8_S8_S8_S8_S8_EEEEPS9_S9_NSF_9__extrema9arg_max_fIllNS6_4lessIlEEEEEE10hipError_tPvRmT1_T2_T3_mT4_P12ihipStream_tbEUlT_E0_NS1_11comp_targetILNS1_3genE5ELNS1_11target_archE942ELNS1_3gpuE9ELNS1_3repE0EEENS1_30default_config_static_selectorELNS0_4arch9wavefront6targetE1EEEvST_.uses_vcc, 0
	.set _ZN7rocprim17ROCPRIM_400000_NS6detail17trampoline_kernelINS0_14default_configENS1_22reduce_config_selectorIN6thrust23THRUST_200600_302600_NS5tupleIllNS6_9null_typeES8_S8_S8_S8_S8_S8_S8_EEEEZNS1_11reduce_implILb0ES3_NS6_12zip_iteratorINS7_INS6_10device_ptrIlEENS6_11hip_rocprim19counting_iterator_tIlEES8_S8_S8_S8_S8_S8_S8_S8_EEEEPS9_S9_NSF_9__extrema9arg_max_fIllNS6_4lessIlEEEEEE10hipError_tPvRmT1_T2_T3_mT4_P12ihipStream_tbEUlT_E0_NS1_11comp_targetILNS1_3genE5ELNS1_11target_archE942ELNS1_3gpuE9ELNS1_3repE0EEENS1_30default_config_static_selectorELNS0_4arch9wavefront6targetE1EEEvST_.uses_flat_scratch, 0
	.set _ZN7rocprim17ROCPRIM_400000_NS6detail17trampoline_kernelINS0_14default_configENS1_22reduce_config_selectorIN6thrust23THRUST_200600_302600_NS5tupleIllNS6_9null_typeES8_S8_S8_S8_S8_S8_S8_EEEEZNS1_11reduce_implILb0ES3_NS6_12zip_iteratorINS7_INS6_10device_ptrIlEENS6_11hip_rocprim19counting_iterator_tIlEES8_S8_S8_S8_S8_S8_S8_S8_EEEEPS9_S9_NSF_9__extrema9arg_max_fIllNS6_4lessIlEEEEEE10hipError_tPvRmT1_T2_T3_mT4_P12ihipStream_tbEUlT_E0_NS1_11comp_targetILNS1_3genE5ELNS1_11target_archE942ELNS1_3gpuE9ELNS1_3repE0EEENS1_30default_config_static_selectorELNS0_4arch9wavefront6targetE1EEEvST_.has_dyn_sized_stack, 0
	.set _ZN7rocprim17ROCPRIM_400000_NS6detail17trampoline_kernelINS0_14default_configENS1_22reduce_config_selectorIN6thrust23THRUST_200600_302600_NS5tupleIllNS6_9null_typeES8_S8_S8_S8_S8_S8_S8_EEEEZNS1_11reduce_implILb0ES3_NS6_12zip_iteratorINS7_INS6_10device_ptrIlEENS6_11hip_rocprim19counting_iterator_tIlEES8_S8_S8_S8_S8_S8_S8_S8_EEEEPS9_S9_NSF_9__extrema9arg_max_fIllNS6_4lessIlEEEEEE10hipError_tPvRmT1_T2_T3_mT4_P12ihipStream_tbEUlT_E0_NS1_11comp_targetILNS1_3genE5ELNS1_11target_archE942ELNS1_3gpuE9ELNS1_3repE0EEENS1_30default_config_static_selectorELNS0_4arch9wavefront6targetE1EEEvST_.has_recursion, 0
	.set _ZN7rocprim17ROCPRIM_400000_NS6detail17trampoline_kernelINS0_14default_configENS1_22reduce_config_selectorIN6thrust23THRUST_200600_302600_NS5tupleIllNS6_9null_typeES8_S8_S8_S8_S8_S8_S8_EEEEZNS1_11reduce_implILb0ES3_NS6_12zip_iteratorINS7_INS6_10device_ptrIlEENS6_11hip_rocprim19counting_iterator_tIlEES8_S8_S8_S8_S8_S8_S8_S8_EEEEPS9_S9_NSF_9__extrema9arg_max_fIllNS6_4lessIlEEEEEE10hipError_tPvRmT1_T2_T3_mT4_P12ihipStream_tbEUlT_E0_NS1_11comp_targetILNS1_3genE5ELNS1_11target_archE942ELNS1_3gpuE9ELNS1_3repE0EEENS1_30default_config_static_selectorELNS0_4arch9wavefront6targetE1EEEvST_.has_indirect_call, 0
	.section	.AMDGPU.csdata,"",@progbits
; Kernel info:
; codeLenInByte = 0
; TotalNumSgprs: 4
; NumVgprs: 0
; ScratchSize: 0
; MemoryBound: 0
; FloatMode: 240
; IeeeMode: 1
; LDSByteSize: 0 bytes/workgroup (compile time only)
; SGPRBlocks: 0
; VGPRBlocks: 0
; NumSGPRsForWavesPerEU: 4
; NumVGPRsForWavesPerEU: 1
; Occupancy: 10
; WaveLimiterHint : 0
; COMPUTE_PGM_RSRC2:SCRATCH_EN: 0
; COMPUTE_PGM_RSRC2:USER_SGPR: 6
; COMPUTE_PGM_RSRC2:TRAP_HANDLER: 0
; COMPUTE_PGM_RSRC2:TGID_X_EN: 1
; COMPUTE_PGM_RSRC2:TGID_Y_EN: 0
; COMPUTE_PGM_RSRC2:TGID_Z_EN: 0
; COMPUTE_PGM_RSRC2:TIDIG_COMP_CNT: 0
	.section	.text._ZN7rocprim17ROCPRIM_400000_NS6detail17trampoline_kernelINS0_14default_configENS1_22reduce_config_selectorIN6thrust23THRUST_200600_302600_NS5tupleIllNS6_9null_typeES8_S8_S8_S8_S8_S8_S8_EEEEZNS1_11reduce_implILb0ES3_NS6_12zip_iteratorINS7_INS6_10device_ptrIlEENS6_11hip_rocprim19counting_iterator_tIlEES8_S8_S8_S8_S8_S8_S8_S8_EEEEPS9_S9_NSF_9__extrema9arg_max_fIllNS6_4lessIlEEEEEE10hipError_tPvRmT1_T2_T3_mT4_P12ihipStream_tbEUlT_E0_NS1_11comp_targetILNS1_3genE4ELNS1_11target_archE910ELNS1_3gpuE8ELNS1_3repE0EEENS1_30default_config_static_selectorELNS0_4arch9wavefront6targetE1EEEvST_,"axG",@progbits,_ZN7rocprim17ROCPRIM_400000_NS6detail17trampoline_kernelINS0_14default_configENS1_22reduce_config_selectorIN6thrust23THRUST_200600_302600_NS5tupleIllNS6_9null_typeES8_S8_S8_S8_S8_S8_S8_EEEEZNS1_11reduce_implILb0ES3_NS6_12zip_iteratorINS7_INS6_10device_ptrIlEENS6_11hip_rocprim19counting_iterator_tIlEES8_S8_S8_S8_S8_S8_S8_S8_EEEEPS9_S9_NSF_9__extrema9arg_max_fIllNS6_4lessIlEEEEEE10hipError_tPvRmT1_T2_T3_mT4_P12ihipStream_tbEUlT_E0_NS1_11comp_targetILNS1_3genE4ELNS1_11target_archE910ELNS1_3gpuE8ELNS1_3repE0EEENS1_30default_config_static_selectorELNS0_4arch9wavefront6targetE1EEEvST_,comdat
	.protected	_ZN7rocprim17ROCPRIM_400000_NS6detail17trampoline_kernelINS0_14default_configENS1_22reduce_config_selectorIN6thrust23THRUST_200600_302600_NS5tupleIllNS6_9null_typeES8_S8_S8_S8_S8_S8_S8_EEEEZNS1_11reduce_implILb0ES3_NS6_12zip_iteratorINS7_INS6_10device_ptrIlEENS6_11hip_rocprim19counting_iterator_tIlEES8_S8_S8_S8_S8_S8_S8_S8_EEEEPS9_S9_NSF_9__extrema9arg_max_fIllNS6_4lessIlEEEEEE10hipError_tPvRmT1_T2_T3_mT4_P12ihipStream_tbEUlT_E0_NS1_11comp_targetILNS1_3genE4ELNS1_11target_archE910ELNS1_3gpuE8ELNS1_3repE0EEENS1_30default_config_static_selectorELNS0_4arch9wavefront6targetE1EEEvST_ ; -- Begin function _ZN7rocprim17ROCPRIM_400000_NS6detail17trampoline_kernelINS0_14default_configENS1_22reduce_config_selectorIN6thrust23THRUST_200600_302600_NS5tupleIllNS6_9null_typeES8_S8_S8_S8_S8_S8_S8_EEEEZNS1_11reduce_implILb0ES3_NS6_12zip_iteratorINS7_INS6_10device_ptrIlEENS6_11hip_rocprim19counting_iterator_tIlEES8_S8_S8_S8_S8_S8_S8_S8_EEEEPS9_S9_NSF_9__extrema9arg_max_fIllNS6_4lessIlEEEEEE10hipError_tPvRmT1_T2_T3_mT4_P12ihipStream_tbEUlT_E0_NS1_11comp_targetILNS1_3genE4ELNS1_11target_archE910ELNS1_3gpuE8ELNS1_3repE0EEENS1_30default_config_static_selectorELNS0_4arch9wavefront6targetE1EEEvST_
	.globl	_ZN7rocprim17ROCPRIM_400000_NS6detail17trampoline_kernelINS0_14default_configENS1_22reduce_config_selectorIN6thrust23THRUST_200600_302600_NS5tupleIllNS6_9null_typeES8_S8_S8_S8_S8_S8_S8_EEEEZNS1_11reduce_implILb0ES3_NS6_12zip_iteratorINS7_INS6_10device_ptrIlEENS6_11hip_rocprim19counting_iterator_tIlEES8_S8_S8_S8_S8_S8_S8_S8_EEEEPS9_S9_NSF_9__extrema9arg_max_fIllNS6_4lessIlEEEEEE10hipError_tPvRmT1_T2_T3_mT4_P12ihipStream_tbEUlT_E0_NS1_11comp_targetILNS1_3genE4ELNS1_11target_archE910ELNS1_3gpuE8ELNS1_3repE0EEENS1_30default_config_static_selectorELNS0_4arch9wavefront6targetE1EEEvST_
	.p2align	8
	.type	_ZN7rocprim17ROCPRIM_400000_NS6detail17trampoline_kernelINS0_14default_configENS1_22reduce_config_selectorIN6thrust23THRUST_200600_302600_NS5tupleIllNS6_9null_typeES8_S8_S8_S8_S8_S8_S8_EEEEZNS1_11reduce_implILb0ES3_NS6_12zip_iteratorINS7_INS6_10device_ptrIlEENS6_11hip_rocprim19counting_iterator_tIlEES8_S8_S8_S8_S8_S8_S8_S8_EEEEPS9_S9_NSF_9__extrema9arg_max_fIllNS6_4lessIlEEEEEE10hipError_tPvRmT1_T2_T3_mT4_P12ihipStream_tbEUlT_E0_NS1_11comp_targetILNS1_3genE4ELNS1_11target_archE910ELNS1_3gpuE8ELNS1_3repE0EEENS1_30default_config_static_selectorELNS0_4arch9wavefront6targetE1EEEvST_,@function
_ZN7rocprim17ROCPRIM_400000_NS6detail17trampoline_kernelINS0_14default_configENS1_22reduce_config_selectorIN6thrust23THRUST_200600_302600_NS5tupleIllNS6_9null_typeES8_S8_S8_S8_S8_S8_S8_EEEEZNS1_11reduce_implILb0ES3_NS6_12zip_iteratorINS7_INS6_10device_ptrIlEENS6_11hip_rocprim19counting_iterator_tIlEES8_S8_S8_S8_S8_S8_S8_S8_EEEEPS9_S9_NSF_9__extrema9arg_max_fIllNS6_4lessIlEEEEEE10hipError_tPvRmT1_T2_T3_mT4_P12ihipStream_tbEUlT_E0_NS1_11comp_targetILNS1_3genE4ELNS1_11target_archE910ELNS1_3gpuE8ELNS1_3repE0EEENS1_30default_config_static_selectorELNS0_4arch9wavefront6targetE1EEEvST_: ; @_ZN7rocprim17ROCPRIM_400000_NS6detail17trampoline_kernelINS0_14default_configENS1_22reduce_config_selectorIN6thrust23THRUST_200600_302600_NS5tupleIllNS6_9null_typeES8_S8_S8_S8_S8_S8_S8_EEEEZNS1_11reduce_implILb0ES3_NS6_12zip_iteratorINS7_INS6_10device_ptrIlEENS6_11hip_rocprim19counting_iterator_tIlEES8_S8_S8_S8_S8_S8_S8_S8_EEEEPS9_S9_NSF_9__extrema9arg_max_fIllNS6_4lessIlEEEEEE10hipError_tPvRmT1_T2_T3_mT4_P12ihipStream_tbEUlT_E0_NS1_11comp_targetILNS1_3genE4ELNS1_11target_archE910ELNS1_3gpuE8ELNS1_3repE0EEENS1_30default_config_static_selectorELNS0_4arch9wavefront6targetE1EEEvST_
; %bb.0:
	.section	.rodata,"a",@progbits
	.p2align	6, 0x0
	.amdhsa_kernel _ZN7rocprim17ROCPRIM_400000_NS6detail17trampoline_kernelINS0_14default_configENS1_22reduce_config_selectorIN6thrust23THRUST_200600_302600_NS5tupleIllNS6_9null_typeES8_S8_S8_S8_S8_S8_S8_EEEEZNS1_11reduce_implILb0ES3_NS6_12zip_iteratorINS7_INS6_10device_ptrIlEENS6_11hip_rocprim19counting_iterator_tIlEES8_S8_S8_S8_S8_S8_S8_S8_EEEEPS9_S9_NSF_9__extrema9arg_max_fIllNS6_4lessIlEEEEEE10hipError_tPvRmT1_T2_T3_mT4_P12ihipStream_tbEUlT_E0_NS1_11comp_targetILNS1_3genE4ELNS1_11target_archE910ELNS1_3gpuE8ELNS1_3repE0EEENS1_30default_config_static_selectorELNS0_4arch9wavefront6targetE1EEEvST_
		.amdhsa_group_segment_fixed_size 0
		.amdhsa_private_segment_fixed_size 0
		.amdhsa_kernarg_size 80
		.amdhsa_user_sgpr_count 6
		.amdhsa_user_sgpr_private_segment_buffer 1
		.amdhsa_user_sgpr_dispatch_ptr 0
		.amdhsa_user_sgpr_queue_ptr 0
		.amdhsa_user_sgpr_kernarg_segment_ptr 1
		.amdhsa_user_sgpr_dispatch_id 0
		.amdhsa_user_sgpr_flat_scratch_init 0
		.amdhsa_user_sgpr_private_segment_size 0
		.amdhsa_uses_dynamic_stack 0
		.amdhsa_system_sgpr_private_segment_wavefront_offset 0
		.amdhsa_system_sgpr_workgroup_id_x 1
		.amdhsa_system_sgpr_workgroup_id_y 0
		.amdhsa_system_sgpr_workgroup_id_z 0
		.amdhsa_system_sgpr_workgroup_info 0
		.amdhsa_system_vgpr_workitem_id 0
		.amdhsa_next_free_vgpr 1
		.amdhsa_next_free_sgpr 0
		.amdhsa_reserve_vcc 0
		.amdhsa_reserve_flat_scratch 0
		.amdhsa_float_round_mode_32 0
		.amdhsa_float_round_mode_16_64 0
		.amdhsa_float_denorm_mode_32 3
		.amdhsa_float_denorm_mode_16_64 3
		.amdhsa_dx10_clamp 1
		.amdhsa_ieee_mode 1
		.amdhsa_fp16_overflow 0
		.amdhsa_exception_fp_ieee_invalid_op 0
		.amdhsa_exception_fp_denorm_src 0
		.amdhsa_exception_fp_ieee_div_zero 0
		.amdhsa_exception_fp_ieee_overflow 0
		.amdhsa_exception_fp_ieee_underflow 0
		.amdhsa_exception_fp_ieee_inexact 0
		.amdhsa_exception_int_div_zero 0
	.end_amdhsa_kernel
	.section	.text._ZN7rocprim17ROCPRIM_400000_NS6detail17trampoline_kernelINS0_14default_configENS1_22reduce_config_selectorIN6thrust23THRUST_200600_302600_NS5tupleIllNS6_9null_typeES8_S8_S8_S8_S8_S8_S8_EEEEZNS1_11reduce_implILb0ES3_NS6_12zip_iteratorINS7_INS6_10device_ptrIlEENS6_11hip_rocprim19counting_iterator_tIlEES8_S8_S8_S8_S8_S8_S8_S8_EEEEPS9_S9_NSF_9__extrema9arg_max_fIllNS6_4lessIlEEEEEE10hipError_tPvRmT1_T2_T3_mT4_P12ihipStream_tbEUlT_E0_NS1_11comp_targetILNS1_3genE4ELNS1_11target_archE910ELNS1_3gpuE8ELNS1_3repE0EEENS1_30default_config_static_selectorELNS0_4arch9wavefront6targetE1EEEvST_,"axG",@progbits,_ZN7rocprim17ROCPRIM_400000_NS6detail17trampoline_kernelINS0_14default_configENS1_22reduce_config_selectorIN6thrust23THRUST_200600_302600_NS5tupleIllNS6_9null_typeES8_S8_S8_S8_S8_S8_S8_EEEEZNS1_11reduce_implILb0ES3_NS6_12zip_iteratorINS7_INS6_10device_ptrIlEENS6_11hip_rocprim19counting_iterator_tIlEES8_S8_S8_S8_S8_S8_S8_S8_EEEEPS9_S9_NSF_9__extrema9arg_max_fIllNS6_4lessIlEEEEEE10hipError_tPvRmT1_T2_T3_mT4_P12ihipStream_tbEUlT_E0_NS1_11comp_targetILNS1_3genE4ELNS1_11target_archE910ELNS1_3gpuE8ELNS1_3repE0EEENS1_30default_config_static_selectorELNS0_4arch9wavefront6targetE1EEEvST_,comdat
.Lfunc_end423:
	.size	_ZN7rocprim17ROCPRIM_400000_NS6detail17trampoline_kernelINS0_14default_configENS1_22reduce_config_selectorIN6thrust23THRUST_200600_302600_NS5tupleIllNS6_9null_typeES8_S8_S8_S8_S8_S8_S8_EEEEZNS1_11reduce_implILb0ES3_NS6_12zip_iteratorINS7_INS6_10device_ptrIlEENS6_11hip_rocprim19counting_iterator_tIlEES8_S8_S8_S8_S8_S8_S8_S8_EEEEPS9_S9_NSF_9__extrema9arg_max_fIllNS6_4lessIlEEEEEE10hipError_tPvRmT1_T2_T3_mT4_P12ihipStream_tbEUlT_E0_NS1_11comp_targetILNS1_3genE4ELNS1_11target_archE910ELNS1_3gpuE8ELNS1_3repE0EEENS1_30default_config_static_selectorELNS0_4arch9wavefront6targetE1EEEvST_, .Lfunc_end423-_ZN7rocprim17ROCPRIM_400000_NS6detail17trampoline_kernelINS0_14default_configENS1_22reduce_config_selectorIN6thrust23THRUST_200600_302600_NS5tupleIllNS6_9null_typeES8_S8_S8_S8_S8_S8_S8_EEEEZNS1_11reduce_implILb0ES3_NS6_12zip_iteratorINS7_INS6_10device_ptrIlEENS6_11hip_rocprim19counting_iterator_tIlEES8_S8_S8_S8_S8_S8_S8_S8_EEEEPS9_S9_NSF_9__extrema9arg_max_fIllNS6_4lessIlEEEEEE10hipError_tPvRmT1_T2_T3_mT4_P12ihipStream_tbEUlT_E0_NS1_11comp_targetILNS1_3genE4ELNS1_11target_archE910ELNS1_3gpuE8ELNS1_3repE0EEENS1_30default_config_static_selectorELNS0_4arch9wavefront6targetE1EEEvST_
                                        ; -- End function
	.set _ZN7rocprim17ROCPRIM_400000_NS6detail17trampoline_kernelINS0_14default_configENS1_22reduce_config_selectorIN6thrust23THRUST_200600_302600_NS5tupleIllNS6_9null_typeES8_S8_S8_S8_S8_S8_S8_EEEEZNS1_11reduce_implILb0ES3_NS6_12zip_iteratorINS7_INS6_10device_ptrIlEENS6_11hip_rocprim19counting_iterator_tIlEES8_S8_S8_S8_S8_S8_S8_S8_EEEEPS9_S9_NSF_9__extrema9arg_max_fIllNS6_4lessIlEEEEEE10hipError_tPvRmT1_T2_T3_mT4_P12ihipStream_tbEUlT_E0_NS1_11comp_targetILNS1_3genE4ELNS1_11target_archE910ELNS1_3gpuE8ELNS1_3repE0EEENS1_30default_config_static_selectorELNS0_4arch9wavefront6targetE1EEEvST_.num_vgpr, 0
	.set _ZN7rocprim17ROCPRIM_400000_NS6detail17trampoline_kernelINS0_14default_configENS1_22reduce_config_selectorIN6thrust23THRUST_200600_302600_NS5tupleIllNS6_9null_typeES8_S8_S8_S8_S8_S8_S8_EEEEZNS1_11reduce_implILb0ES3_NS6_12zip_iteratorINS7_INS6_10device_ptrIlEENS6_11hip_rocprim19counting_iterator_tIlEES8_S8_S8_S8_S8_S8_S8_S8_EEEEPS9_S9_NSF_9__extrema9arg_max_fIllNS6_4lessIlEEEEEE10hipError_tPvRmT1_T2_T3_mT4_P12ihipStream_tbEUlT_E0_NS1_11comp_targetILNS1_3genE4ELNS1_11target_archE910ELNS1_3gpuE8ELNS1_3repE0EEENS1_30default_config_static_selectorELNS0_4arch9wavefront6targetE1EEEvST_.num_agpr, 0
	.set _ZN7rocprim17ROCPRIM_400000_NS6detail17trampoline_kernelINS0_14default_configENS1_22reduce_config_selectorIN6thrust23THRUST_200600_302600_NS5tupleIllNS6_9null_typeES8_S8_S8_S8_S8_S8_S8_EEEEZNS1_11reduce_implILb0ES3_NS6_12zip_iteratorINS7_INS6_10device_ptrIlEENS6_11hip_rocprim19counting_iterator_tIlEES8_S8_S8_S8_S8_S8_S8_S8_EEEEPS9_S9_NSF_9__extrema9arg_max_fIllNS6_4lessIlEEEEEE10hipError_tPvRmT1_T2_T3_mT4_P12ihipStream_tbEUlT_E0_NS1_11comp_targetILNS1_3genE4ELNS1_11target_archE910ELNS1_3gpuE8ELNS1_3repE0EEENS1_30default_config_static_selectorELNS0_4arch9wavefront6targetE1EEEvST_.numbered_sgpr, 0
	.set _ZN7rocprim17ROCPRIM_400000_NS6detail17trampoline_kernelINS0_14default_configENS1_22reduce_config_selectorIN6thrust23THRUST_200600_302600_NS5tupleIllNS6_9null_typeES8_S8_S8_S8_S8_S8_S8_EEEEZNS1_11reduce_implILb0ES3_NS6_12zip_iteratorINS7_INS6_10device_ptrIlEENS6_11hip_rocprim19counting_iterator_tIlEES8_S8_S8_S8_S8_S8_S8_S8_EEEEPS9_S9_NSF_9__extrema9arg_max_fIllNS6_4lessIlEEEEEE10hipError_tPvRmT1_T2_T3_mT4_P12ihipStream_tbEUlT_E0_NS1_11comp_targetILNS1_3genE4ELNS1_11target_archE910ELNS1_3gpuE8ELNS1_3repE0EEENS1_30default_config_static_selectorELNS0_4arch9wavefront6targetE1EEEvST_.num_named_barrier, 0
	.set _ZN7rocprim17ROCPRIM_400000_NS6detail17trampoline_kernelINS0_14default_configENS1_22reduce_config_selectorIN6thrust23THRUST_200600_302600_NS5tupleIllNS6_9null_typeES8_S8_S8_S8_S8_S8_S8_EEEEZNS1_11reduce_implILb0ES3_NS6_12zip_iteratorINS7_INS6_10device_ptrIlEENS6_11hip_rocprim19counting_iterator_tIlEES8_S8_S8_S8_S8_S8_S8_S8_EEEEPS9_S9_NSF_9__extrema9arg_max_fIllNS6_4lessIlEEEEEE10hipError_tPvRmT1_T2_T3_mT4_P12ihipStream_tbEUlT_E0_NS1_11comp_targetILNS1_3genE4ELNS1_11target_archE910ELNS1_3gpuE8ELNS1_3repE0EEENS1_30default_config_static_selectorELNS0_4arch9wavefront6targetE1EEEvST_.private_seg_size, 0
	.set _ZN7rocprim17ROCPRIM_400000_NS6detail17trampoline_kernelINS0_14default_configENS1_22reduce_config_selectorIN6thrust23THRUST_200600_302600_NS5tupleIllNS6_9null_typeES8_S8_S8_S8_S8_S8_S8_EEEEZNS1_11reduce_implILb0ES3_NS6_12zip_iteratorINS7_INS6_10device_ptrIlEENS6_11hip_rocprim19counting_iterator_tIlEES8_S8_S8_S8_S8_S8_S8_S8_EEEEPS9_S9_NSF_9__extrema9arg_max_fIllNS6_4lessIlEEEEEE10hipError_tPvRmT1_T2_T3_mT4_P12ihipStream_tbEUlT_E0_NS1_11comp_targetILNS1_3genE4ELNS1_11target_archE910ELNS1_3gpuE8ELNS1_3repE0EEENS1_30default_config_static_selectorELNS0_4arch9wavefront6targetE1EEEvST_.uses_vcc, 0
	.set _ZN7rocprim17ROCPRIM_400000_NS6detail17trampoline_kernelINS0_14default_configENS1_22reduce_config_selectorIN6thrust23THRUST_200600_302600_NS5tupleIllNS6_9null_typeES8_S8_S8_S8_S8_S8_S8_EEEEZNS1_11reduce_implILb0ES3_NS6_12zip_iteratorINS7_INS6_10device_ptrIlEENS6_11hip_rocprim19counting_iterator_tIlEES8_S8_S8_S8_S8_S8_S8_S8_EEEEPS9_S9_NSF_9__extrema9arg_max_fIllNS6_4lessIlEEEEEE10hipError_tPvRmT1_T2_T3_mT4_P12ihipStream_tbEUlT_E0_NS1_11comp_targetILNS1_3genE4ELNS1_11target_archE910ELNS1_3gpuE8ELNS1_3repE0EEENS1_30default_config_static_selectorELNS0_4arch9wavefront6targetE1EEEvST_.uses_flat_scratch, 0
	.set _ZN7rocprim17ROCPRIM_400000_NS6detail17trampoline_kernelINS0_14default_configENS1_22reduce_config_selectorIN6thrust23THRUST_200600_302600_NS5tupleIllNS6_9null_typeES8_S8_S8_S8_S8_S8_S8_EEEEZNS1_11reduce_implILb0ES3_NS6_12zip_iteratorINS7_INS6_10device_ptrIlEENS6_11hip_rocprim19counting_iterator_tIlEES8_S8_S8_S8_S8_S8_S8_S8_EEEEPS9_S9_NSF_9__extrema9arg_max_fIllNS6_4lessIlEEEEEE10hipError_tPvRmT1_T2_T3_mT4_P12ihipStream_tbEUlT_E0_NS1_11comp_targetILNS1_3genE4ELNS1_11target_archE910ELNS1_3gpuE8ELNS1_3repE0EEENS1_30default_config_static_selectorELNS0_4arch9wavefront6targetE1EEEvST_.has_dyn_sized_stack, 0
	.set _ZN7rocprim17ROCPRIM_400000_NS6detail17trampoline_kernelINS0_14default_configENS1_22reduce_config_selectorIN6thrust23THRUST_200600_302600_NS5tupleIllNS6_9null_typeES8_S8_S8_S8_S8_S8_S8_EEEEZNS1_11reduce_implILb0ES3_NS6_12zip_iteratorINS7_INS6_10device_ptrIlEENS6_11hip_rocprim19counting_iterator_tIlEES8_S8_S8_S8_S8_S8_S8_S8_EEEEPS9_S9_NSF_9__extrema9arg_max_fIllNS6_4lessIlEEEEEE10hipError_tPvRmT1_T2_T3_mT4_P12ihipStream_tbEUlT_E0_NS1_11comp_targetILNS1_3genE4ELNS1_11target_archE910ELNS1_3gpuE8ELNS1_3repE0EEENS1_30default_config_static_selectorELNS0_4arch9wavefront6targetE1EEEvST_.has_recursion, 0
	.set _ZN7rocprim17ROCPRIM_400000_NS6detail17trampoline_kernelINS0_14default_configENS1_22reduce_config_selectorIN6thrust23THRUST_200600_302600_NS5tupleIllNS6_9null_typeES8_S8_S8_S8_S8_S8_S8_EEEEZNS1_11reduce_implILb0ES3_NS6_12zip_iteratorINS7_INS6_10device_ptrIlEENS6_11hip_rocprim19counting_iterator_tIlEES8_S8_S8_S8_S8_S8_S8_S8_EEEEPS9_S9_NSF_9__extrema9arg_max_fIllNS6_4lessIlEEEEEE10hipError_tPvRmT1_T2_T3_mT4_P12ihipStream_tbEUlT_E0_NS1_11comp_targetILNS1_3genE4ELNS1_11target_archE910ELNS1_3gpuE8ELNS1_3repE0EEENS1_30default_config_static_selectorELNS0_4arch9wavefront6targetE1EEEvST_.has_indirect_call, 0
	.section	.AMDGPU.csdata,"",@progbits
; Kernel info:
; codeLenInByte = 0
; TotalNumSgprs: 4
; NumVgprs: 0
; ScratchSize: 0
; MemoryBound: 0
; FloatMode: 240
; IeeeMode: 1
; LDSByteSize: 0 bytes/workgroup (compile time only)
; SGPRBlocks: 0
; VGPRBlocks: 0
; NumSGPRsForWavesPerEU: 4
; NumVGPRsForWavesPerEU: 1
; Occupancy: 10
; WaveLimiterHint : 0
; COMPUTE_PGM_RSRC2:SCRATCH_EN: 0
; COMPUTE_PGM_RSRC2:USER_SGPR: 6
; COMPUTE_PGM_RSRC2:TRAP_HANDLER: 0
; COMPUTE_PGM_RSRC2:TGID_X_EN: 1
; COMPUTE_PGM_RSRC2:TGID_Y_EN: 0
; COMPUTE_PGM_RSRC2:TGID_Z_EN: 0
; COMPUTE_PGM_RSRC2:TIDIG_COMP_CNT: 0
	.section	.text._ZN7rocprim17ROCPRIM_400000_NS6detail17trampoline_kernelINS0_14default_configENS1_22reduce_config_selectorIN6thrust23THRUST_200600_302600_NS5tupleIllNS6_9null_typeES8_S8_S8_S8_S8_S8_S8_EEEEZNS1_11reduce_implILb0ES3_NS6_12zip_iteratorINS7_INS6_10device_ptrIlEENS6_11hip_rocprim19counting_iterator_tIlEES8_S8_S8_S8_S8_S8_S8_S8_EEEEPS9_S9_NSF_9__extrema9arg_max_fIllNS6_4lessIlEEEEEE10hipError_tPvRmT1_T2_T3_mT4_P12ihipStream_tbEUlT_E0_NS1_11comp_targetILNS1_3genE3ELNS1_11target_archE908ELNS1_3gpuE7ELNS1_3repE0EEENS1_30default_config_static_selectorELNS0_4arch9wavefront6targetE1EEEvST_,"axG",@progbits,_ZN7rocprim17ROCPRIM_400000_NS6detail17trampoline_kernelINS0_14default_configENS1_22reduce_config_selectorIN6thrust23THRUST_200600_302600_NS5tupleIllNS6_9null_typeES8_S8_S8_S8_S8_S8_S8_EEEEZNS1_11reduce_implILb0ES3_NS6_12zip_iteratorINS7_INS6_10device_ptrIlEENS6_11hip_rocprim19counting_iterator_tIlEES8_S8_S8_S8_S8_S8_S8_S8_EEEEPS9_S9_NSF_9__extrema9arg_max_fIllNS6_4lessIlEEEEEE10hipError_tPvRmT1_T2_T3_mT4_P12ihipStream_tbEUlT_E0_NS1_11comp_targetILNS1_3genE3ELNS1_11target_archE908ELNS1_3gpuE7ELNS1_3repE0EEENS1_30default_config_static_selectorELNS0_4arch9wavefront6targetE1EEEvST_,comdat
	.protected	_ZN7rocprim17ROCPRIM_400000_NS6detail17trampoline_kernelINS0_14default_configENS1_22reduce_config_selectorIN6thrust23THRUST_200600_302600_NS5tupleIllNS6_9null_typeES8_S8_S8_S8_S8_S8_S8_EEEEZNS1_11reduce_implILb0ES3_NS6_12zip_iteratorINS7_INS6_10device_ptrIlEENS6_11hip_rocprim19counting_iterator_tIlEES8_S8_S8_S8_S8_S8_S8_S8_EEEEPS9_S9_NSF_9__extrema9arg_max_fIllNS6_4lessIlEEEEEE10hipError_tPvRmT1_T2_T3_mT4_P12ihipStream_tbEUlT_E0_NS1_11comp_targetILNS1_3genE3ELNS1_11target_archE908ELNS1_3gpuE7ELNS1_3repE0EEENS1_30default_config_static_selectorELNS0_4arch9wavefront6targetE1EEEvST_ ; -- Begin function _ZN7rocprim17ROCPRIM_400000_NS6detail17trampoline_kernelINS0_14default_configENS1_22reduce_config_selectorIN6thrust23THRUST_200600_302600_NS5tupleIllNS6_9null_typeES8_S8_S8_S8_S8_S8_S8_EEEEZNS1_11reduce_implILb0ES3_NS6_12zip_iteratorINS7_INS6_10device_ptrIlEENS6_11hip_rocprim19counting_iterator_tIlEES8_S8_S8_S8_S8_S8_S8_S8_EEEEPS9_S9_NSF_9__extrema9arg_max_fIllNS6_4lessIlEEEEEE10hipError_tPvRmT1_T2_T3_mT4_P12ihipStream_tbEUlT_E0_NS1_11comp_targetILNS1_3genE3ELNS1_11target_archE908ELNS1_3gpuE7ELNS1_3repE0EEENS1_30default_config_static_selectorELNS0_4arch9wavefront6targetE1EEEvST_
	.globl	_ZN7rocprim17ROCPRIM_400000_NS6detail17trampoline_kernelINS0_14default_configENS1_22reduce_config_selectorIN6thrust23THRUST_200600_302600_NS5tupleIllNS6_9null_typeES8_S8_S8_S8_S8_S8_S8_EEEEZNS1_11reduce_implILb0ES3_NS6_12zip_iteratorINS7_INS6_10device_ptrIlEENS6_11hip_rocprim19counting_iterator_tIlEES8_S8_S8_S8_S8_S8_S8_S8_EEEEPS9_S9_NSF_9__extrema9arg_max_fIllNS6_4lessIlEEEEEE10hipError_tPvRmT1_T2_T3_mT4_P12ihipStream_tbEUlT_E0_NS1_11comp_targetILNS1_3genE3ELNS1_11target_archE908ELNS1_3gpuE7ELNS1_3repE0EEENS1_30default_config_static_selectorELNS0_4arch9wavefront6targetE1EEEvST_
	.p2align	8
	.type	_ZN7rocprim17ROCPRIM_400000_NS6detail17trampoline_kernelINS0_14default_configENS1_22reduce_config_selectorIN6thrust23THRUST_200600_302600_NS5tupleIllNS6_9null_typeES8_S8_S8_S8_S8_S8_S8_EEEEZNS1_11reduce_implILb0ES3_NS6_12zip_iteratorINS7_INS6_10device_ptrIlEENS6_11hip_rocprim19counting_iterator_tIlEES8_S8_S8_S8_S8_S8_S8_S8_EEEEPS9_S9_NSF_9__extrema9arg_max_fIllNS6_4lessIlEEEEEE10hipError_tPvRmT1_T2_T3_mT4_P12ihipStream_tbEUlT_E0_NS1_11comp_targetILNS1_3genE3ELNS1_11target_archE908ELNS1_3gpuE7ELNS1_3repE0EEENS1_30default_config_static_selectorELNS0_4arch9wavefront6targetE1EEEvST_,@function
_ZN7rocprim17ROCPRIM_400000_NS6detail17trampoline_kernelINS0_14default_configENS1_22reduce_config_selectorIN6thrust23THRUST_200600_302600_NS5tupleIllNS6_9null_typeES8_S8_S8_S8_S8_S8_S8_EEEEZNS1_11reduce_implILb0ES3_NS6_12zip_iteratorINS7_INS6_10device_ptrIlEENS6_11hip_rocprim19counting_iterator_tIlEES8_S8_S8_S8_S8_S8_S8_S8_EEEEPS9_S9_NSF_9__extrema9arg_max_fIllNS6_4lessIlEEEEEE10hipError_tPvRmT1_T2_T3_mT4_P12ihipStream_tbEUlT_E0_NS1_11comp_targetILNS1_3genE3ELNS1_11target_archE908ELNS1_3gpuE7ELNS1_3repE0EEENS1_30default_config_static_selectorELNS0_4arch9wavefront6targetE1EEEvST_: ; @_ZN7rocprim17ROCPRIM_400000_NS6detail17trampoline_kernelINS0_14default_configENS1_22reduce_config_selectorIN6thrust23THRUST_200600_302600_NS5tupleIllNS6_9null_typeES8_S8_S8_S8_S8_S8_S8_EEEEZNS1_11reduce_implILb0ES3_NS6_12zip_iteratorINS7_INS6_10device_ptrIlEENS6_11hip_rocprim19counting_iterator_tIlEES8_S8_S8_S8_S8_S8_S8_S8_EEEEPS9_S9_NSF_9__extrema9arg_max_fIllNS6_4lessIlEEEEEE10hipError_tPvRmT1_T2_T3_mT4_P12ihipStream_tbEUlT_E0_NS1_11comp_targetILNS1_3genE3ELNS1_11target_archE908ELNS1_3gpuE7ELNS1_3repE0EEENS1_30default_config_static_selectorELNS0_4arch9wavefront6targetE1EEEvST_
; %bb.0:
	.section	.rodata,"a",@progbits
	.p2align	6, 0x0
	.amdhsa_kernel _ZN7rocprim17ROCPRIM_400000_NS6detail17trampoline_kernelINS0_14default_configENS1_22reduce_config_selectorIN6thrust23THRUST_200600_302600_NS5tupleIllNS6_9null_typeES8_S8_S8_S8_S8_S8_S8_EEEEZNS1_11reduce_implILb0ES3_NS6_12zip_iteratorINS7_INS6_10device_ptrIlEENS6_11hip_rocprim19counting_iterator_tIlEES8_S8_S8_S8_S8_S8_S8_S8_EEEEPS9_S9_NSF_9__extrema9arg_max_fIllNS6_4lessIlEEEEEE10hipError_tPvRmT1_T2_T3_mT4_P12ihipStream_tbEUlT_E0_NS1_11comp_targetILNS1_3genE3ELNS1_11target_archE908ELNS1_3gpuE7ELNS1_3repE0EEENS1_30default_config_static_selectorELNS0_4arch9wavefront6targetE1EEEvST_
		.amdhsa_group_segment_fixed_size 0
		.amdhsa_private_segment_fixed_size 0
		.amdhsa_kernarg_size 80
		.amdhsa_user_sgpr_count 6
		.amdhsa_user_sgpr_private_segment_buffer 1
		.amdhsa_user_sgpr_dispatch_ptr 0
		.amdhsa_user_sgpr_queue_ptr 0
		.amdhsa_user_sgpr_kernarg_segment_ptr 1
		.amdhsa_user_sgpr_dispatch_id 0
		.amdhsa_user_sgpr_flat_scratch_init 0
		.amdhsa_user_sgpr_private_segment_size 0
		.amdhsa_uses_dynamic_stack 0
		.amdhsa_system_sgpr_private_segment_wavefront_offset 0
		.amdhsa_system_sgpr_workgroup_id_x 1
		.amdhsa_system_sgpr_workgroup_id_y 0
		.amdhsa_system_sgpr_workgroup_id_z 0
		.amdhsa_system_sgpr_workgroup_info 0
		.amdhsa_system_vgpr_workitem_id 0
		.amdhsa_next_free_vgpr 1
		.amdhsa_next_free_sgpr 0
		.amdhsa_reserve_vcc 0
		.amdhsa_reserve_flat_scratch 0
		.amdhsa_float_round_mode_32 0
		.amdhsa_float_round_mode_16_64 0
		.amdhsa_float_denorm_mode_32 3
		.amdhsa_float_denorm_mode_16_64 3
		.amdhsa_dx10_clamp 1
		.amdhsa_ieee_mode 1
		.amdhsa_fp16_overflow 0
		.amdhsa_exception_fp_ieee_invalid_op 0
		.amdhsa_exception_fp_denorm_src 0
		.amdhsa_exception_fp_ieee_div_zero 0
		.amdhsa_exception_fp_ieee_overflow 0
		.amdhsa_exception_fp_ieee_underflow 0
		.amdhsa_exception_fp_ieee_inexact 0
		.amdhsa_exception_int_div_zero 0
	.end_amdhsa_kernel
	.section	.text._ZN7rocprim17ROCPRIM_400000_NS6detail17trampoline_kernelINS0_14default_configENS1_22reduce_config_selectorIN6thrust23THRUST_200600_302600_NS5tupleIllNS6_9null_typeES8_S8_S8_S8_S8_S8_S8_EEEEZNS1_11reduce_implILb0ES3_NS6_12zip_iteratorINS7_INS6_10device_ptrIlEENS6_11hip_rocprim19counting_iterator_tIlEES8_S8_S8_S8_S8_S8_S8_S8_EEEEPS9_S9_NSF_9__extrema9arg_max_fIllNS6_4lessIlEEEEEE10hipError_tPvRmT1_T2_T3_mT4_P12ihipStream_tbEUlT_E0_NS1_11comp_targetILNS1_3genE3ELNS1_11target_archE908ELNS1_3gpuE7ELNS1_3repE0EEENS1_30default_config_static_selectorELNS0_4arch9wavefront6targetE1EEEvST_,"axG",@progbits,_ZN7rocprim17ROCPRIM_400000_NS6detail17trampoline_kernelINS0_14default_configENS1_22reduce_config_selectorIN6thrust23THRUST_200600_302600_NS5tupleIllNS6_9null_typeES8_S8_S8_S8_S8_S8_S8_EEEEZNS1_11reduce_implILb0ES3_NS6_12zip_iteratorINS7_INS6_10device_ptrIlEENS6_11hip_rocprim19counting_iterator_tIlEES8_S8_S8_S8_S8_S8_S8_S8_EEEEPS9_S9_NSF_9__extrema9arg_max_fIllNS6_4lessIlEEEEEE10hipError_tPvRmT1_T2_T3_mT4_P12ihipStream_tbEUlT_E0_NS1_11comp_targetILNS1_3genE3ELNS1_11target_archE908ELNS1_3gpuE7ELNS1_3repE0EEENS1_30default_config_static_selectorELNS0_4arch9wavefront6targetE1EEEvST_,comdat
.Lfunc_end424:
	.size	_ZN7rocprim17ROCPRIM_400000_NS6detail17trampoline_kernelINS0_14default_configENS1_22reduce_config_selectorIN6thrust23THRUST_200600_302600_NS5tupleIllNS6_9null_typeES8_S8_S8_S8_S8_S8_S8_EEEEZNS1_11reduce_implILb0ES3_NS6_12zip_iteratorINS7_INS6_10device_ptrIlEENS6_11hip_rocprim19counting_iterator_tIlEES8_S8_S8_S8_S8_S8_S8_S8_EEEEPS9_S9_NSF_9__extrema9arg_max_fIllNS6_4lessIlEEEEEE10hipError_tPvRmT1_T2_T3_mT4_P12ihipStream_tbEUlT_E0_NS1_11comp_targetILNS1_3genE3ELNS1_11target_archE908ELNS1_3gpuE7ELNS1_3repE0EEENS1_30default_config_static_selectorELNS0_4arch9wavefront6targetE1EEEvST_, .Lfunc_end424-_ZN7rocprim17ROCPRIM_400000_NS6detail17trampoline_kernelINS0_14default_configENS1_22reduce_config_selectorIN6thrust23THRUST_200600_302600_NS5tupleIllNS6_9null_typeES8_S8_S8_S8_S8_S8_S8_EEEEZNS1_11reduce_implILb0ES3_NS6_12zip_iteratorINS7_INS6_10device_ptrIlEENS6_11hip_rocprim19counting_iterator_tIlEES8_S8_S8_S8_S8_S8_S8_S8_EEEEPS9_S9_NSF_9__extrema9arg_max_fIllNS6_4lessIlEEEEEE10hipError_tPvRmT1_T2_T3_mT4_P12ihipStream_tbEUlT_E0_NS1_11comp_targetILNS1_3genE3ELNS1_11target_archE908ELNS1_3gpuE7ELNS1_3repE0EEENS1_30default_config_static_selectorELNS0_4arch9wavefront6targetE1EEEvST_
                                        ; -- End function
	.set _ZN7rocprim17ROCPRIM_400000_NS6detail17trampoline_kernelINS0_14default_configENS1_22reduce_config_selectorIN6thrust23THRUST_200600_302600_NS5tupleIllNS6_9null_typeES8_S8_S8_S8_S8_S8_S8_EEEEZNS1_11reduce_implILb0ES3_NS6_12zip_iteratorINS7_INS6_10device_ptrIlEENS6_11hip_rocprim19counting_iterator_tIlEES8_S8_S8_S8_S8_S8_S8_S8_EEEEPS9_S9_NSF_9__extrema9arg_max_fIllNS6_4lessIlEEEEEE10hipError_tPvRmT1_T2_T3_mT4_P12ihipStream_tbEUlT_E0_NS1_11comp_targetILNS1_3genE3ELNS1_11target_archE908ELNS1_3gpuE7ELNS1_3repE0EEENS1_30default_config_static_selectorELNS0_4arch9wavefront6targetE1EEEvST_.num_vgpr, 0
	.set _ZN7rocprim17ROCPRIM_400000_NS6detail17trampoline_kernelINS0_14default_configENS1_22reduce_config_selectorIN6thrust23THRUST_200600_302600_NS5tupleIllNS6_9null_typeES8_S8_S8_S8_S8_S8_S8_EEEEZNS1_11reduce_implILb0ES3_NS6_12zip_iteratorINS7_INS6_10device_ptrIlEENS6_11hip_rocprim19counting_iterator_tIlEES8_S8_S8_S8_S8_S8_S8_S8_EEEEPS9_S9_NSF_9__extrema9arg_max_fIllNS6_4lessIlEEEEEE10hipError_tPvRmT1_T2_T3_mT4_P12ihipStream_tbEUlT_E0_NS1_11comp_targetILNS1_3genE3ELNS1_11target_archE908ELNS1_3gpuE7ELNS1_3repE0EEENS1_30default_config_static_selectorELNS0_4arch9wavefront6targetE1EEEvST_.num_agpr, 0
	.set _ZN7rocprim17ROCPRIM_400000_NS6detail17trampoline_kernelINS0_14default_configENS1_22reduce_config_selectorIN6thrust23THRUST_200600_302600_NS5tupleIllNS6_9null_typeES8_S8_S8_S8_S8_S8_S8_EEEEZNS1_11reduce_implILb0ES3_NS6_12zip_iteratorINS7_INS6_10device_ptrIlEENS6_11hip_rocprim19counting_iterator_tIlEES8_S8_S8_S8_S8_S8_S8_S8_EEEEPS9_S9_NSF_9__extrema9arg_max_fIllNS6_4lessIlEEEEEE10hipError_tPvRmT1_T2_T3_mT4_P12ihipStream_tbEUlT_E0_NS1_11comp_targetILNS1_3genE3ELNS1_11target_archE908ELNS1_3gpuE7ELNS1_3repE0EEENS1_30default_config_static_selectorELNS0_4arch9wavefront6targetE1EEEvST_.numbered_sgpr, 0
	.set _ZN7rocprim17ROCPRIM_400000_NS6detail17trampoline_kernelINS0_14default_configENS1_22reduce_config_selectorIN6thrust23THRUST_200600_302600_NS5tupleIllNS6_9null_typeES8_S8_S8_S8_S8_S8_S8_EEEEZNS1_11reduce_implILb0ES3_NS6_12zip_iteratorINS7_INS6_10device_ptrIlEENS6_11hip_rocprim19counting_iterator_tIlEES8_S8_S8_S8_S8_S8_S8_S8_EEEEPS9_S9_NSF_9__extrema9arg_max_fIllNS6_4lessIlEEEEEE10hipError_tPvRmT1_T2_T3_mT4_P12ihipStream_tbEUlT_E0_NS1_11comp_targetILNS1_3genE3ELNS1_11target_archE908ELNS1_3gpuE7ELNS1_3repE0EEENS1_30default_config_static_selectorELNS0_4arch9wavefront6targetE1EEEvST_.num_named_barrier, 0
	.set _ZN7rocprim17ROCPRIM_400000_NS6detail17trampoline_kernelINS0_14default_configENS1_22reduce_config_selectorIN6thrust23THRUST_200600_302600_NS5tupleIllNS6_9null_typeES8_S8_S8_S8_S8_S8_S8_EEEEZNS1_11reduce_implILb0ES3_NS6_12zip_iteratorINS7_INS6_10device_ptrIlEENS6_11hip_rocprim19counting_iterator_tIlEES8_S8_S8_S8_S8_S8_S8_S8_EEEEPS9_S9_NSF_9__extrema9arg_max_fIllNS6_4lessIlEEEEEE10hipError_tPvRmT1_T2_T3_mT4_P12ihipStream_tbEUlT_E0_NS1_11comp_targetILNS1_3genE3ELNS1_11target_archE908ELNS1_3gpuE7ELNS1_3repE0EEENS1_30default_config_static_selectorELNS0_4arch9wavefront6targetE1EEEvST_.private_seg_size, 0
	.set _ZN7rocprim17ROCPRIM_400000_NS6detail17trampoline_kernelINS0_14default_configENS1_22reduce_config_selectorIN6thrust23THRUST_200600_302600_NS5tupleIllNS6_9null_typeES8_S8_S8_S8_S8_S8_S8_EEEEZNS1_11reduce_implILb0ES3_NS6_12zip_iteratorINS7_INS6_10device_ptrIlEENS6_11hip_rocprim19counting_iterator_tIlEES8_S8_S8_S8_S8_S8_S8_S8_EEEEPS9_S9_NSF_9__extrema9arg_max_fIllNS6_4lessIlEEEEEE10hipError_tPvRmT1_T2_T3_mT4_P12ihipStream_tbEUlT_E0_NS1_11comp_targetILNS1_3genE3ELNS1_11target_archE908ELNS1_3gpuE7ELNS1_3repE0EEENS1_30default_config_static_selectorELNS0_4arch9wavefront6targetE1EEEvST_.uses_vcc, 0
	.set _ZN7rocprim17ROCPRIM_400000_NS6detail17trampoline_kernelINS0_14default_configENS1_22reduce_config_selectorIN6thrust23THRUST_200600_302600_NS5tupleIllNS6_9null_typeES8_S8_S8_S8_S8_S8_S8_EEEEZNS1_11reduce_implILb0ES3_NS6_12zip_iteratorINS7_INS6_10device_ptrIlEENS6_11hip_rocprim19counting_iterator_tIlEES8_S8_S8_S8_S8_S8_S8_S8_EEEEPS9_S9_NSF_9__extrema9arg_max_fIllNS6_4lessIlEEEEEE10hipError_tPvRmT1_T2_T3_mT4_P12ihipStream_tbEUlT_E0_NS1_11comp_targetILNS1_3genE3ELNS1_11target_archE908ELNS1_3gpuE7ELNS1_3repE0EEENS1_30default_config_static_selectorELNS0_4arch9wavefront6targetE1EEEvST_.uses_flat_scratch, 0
	.set _ZN7rocprim17ROCPRIM_400000_NS6detail17trampoline_kernelINS0_14default_configENS1_22reduce_config_selectorIN6thrust23THRUST_200600_302600_NS5tupleIllNS6_9null_typeES8_S8_S8_S8_S8_S8_S8_EEEEZNS1_11reduce_implILb0ES3_NS6_12zip_iteratorINS7_INS6_10device_ptrIlEENS6_11hip_rocprim19counting_iterator_tIlEES8_S8_S8_S8_S8_S8_S8_S8_EEEEPS9_S9_NSF_9__extrema9arg_max_fIllNS6_4lessIlEEEEEE10hipError_tPvRmT1_T2_T3_mT4_P12ihipStream_tbEUlT_E0_NS1_11comp_targetILNS1_3genE3ELNS1_11target_archE908ELNS1_3gpuE7ELNS1_3repE0EEENS1_30default_config_static_selectorELNS0_4arch9wavefront6targetE1EEEvST_.has_dyn_sized_stack, 0
	.set _ZN7rocprim17ROCPRIM_400000_NS6detail17trampoline_kernelINS0_14default_configENS1_22reduce_config_selectorIN6thrust23THRUST_200600_302600_NS5tupleIllNS6_9null_typeES8_S8_S8_S8_S8_S8_S8_EEEEZNS1_11reduce_implILb0ES3_NS6_12zip_iteratorINS7_INS6_10device_ptrIlEENS6_11hip_rocprim19counting_iterator_tIlEES8_S8_S8_S8_S8_S8_S8_S8_EEEEPS9_S9_NSF_9__extrema9arg_max_fIllNS6_4lessIlEEEEEE10hipError_tPvRmT1_T2_T3_mT4_P12ihipStream_tbEUlT_E0_NS1_11comp_targetILNS1_3genE3ELNS1_11target_archE908ELNS1_3gpuE7ELNS1_3repE0EEENS1_30default_config_static_selectorELNS0_4arch9wavefront6targetE1EEEvST_.has_recursion, 0
	.set _ZN7rocprim17ROCPRIM_400000_NS6detail17trampoline_kernelINS0_14default_configENS1_22reduce_config_selectorIN6thrust23THRUST_200600_302600_NS5tupleIllNS6_9null_typeES8_S8_S8_S8_S8_S8_S8_EEEEZNS1_11reduce_implILb0ES3_NS6_12zip_iteratorINS7_INS6_10device_ptrIlEENS6_11hip_rocprim19counting_iterator_tIlEES8_S8_S8_S8_S8_S8_S8_S8_EEEEPS9_S9_NSF_9__extrema9arg_max_fIllNS6_4lessIlEEEEEE10hipError_tPvRmT1_T2_T3_mT4_P12ihipStream_tbEUlT_E0_NS1_11comp_targetILNS1_3genE3ELNS1_11target_archE908ELNS1_3gpuE7ELNS1_3repE0EEENS1_30default_config_static_selectorELNS0_4arch9wavefront6targetE1EEEvST_.has_indirect_call, 0
	.section	.AMDGPU.csdata,"",@progbits
; Kernel info:
; codeLenInByte = 0
; TotalNumSgprs: 4
; NumVgprs: 0
; ScratchSize: 0
; MemoryBound: 0
; FloatMode: 240
; IeeeMode: 1
; LDSByteSize: 0 bytes/workgroup (compile time only)
; SGPRBlocks: 0
; VGPRBlocks: 0
; NumSGPRsForWavesPerEU: 4
; NumVGPRsForWavesPerEU: 1
; Occupancy: 10
; WaveLimiterHint : 0
; COMPUTE_PGM_RSRC2:SCRATCH_EN: 0
; COMPUTE_PGM_RSRC2:USER_SGPR: 6
; COMPUTE_PGM_RSRC2:TRAP_HANDLER: 0
; COMPUTE_PGM_RSRC2:TGID_X_EN: 1
; COMPUTE_PGM_RSRC2:TGID_Y_EN: 0
; COMPUTE_PGM_RSRC2:TGID_Z_EN: 0
; COMPUTE_PGM_RSRC2:TIDIG_COMP_CNT: 0
	.section	.text._ZN7rocprim17ROCPRIM_400000_NS6detail17trampoline_kernelINS0_14default_configENS1_22reduce_config_selectorIN6thrust23THRUST_200600_302600_NS5tupleIllNS6_9null_typeES8_S8_S8_S8_S8_S8_S8_EEEEZNS1_11reduce_implILb0ES3_NS6_12zip_iteratorINS7_INS6_10device_ptrIlEENS6_11hip_rocprim19counting_iterator_tIlEES8_S8_S8_S8_S8_S8_S8_S8_EEEEPS9_S9_NSF_9__extrema9arg_max_fIllNS6_4lessIlEEEEEE10hipError_tPvRmT1_T2_T3_mT4_P12ihipStream_tbEUlT_E0_NS1_11comp_targetILNS1_3genE2ELNS1_11target_archE906ELNS1_3gpuE6ELNS1_3repE0EEENS1_30default_config_static_selectorELNS0_4arch9wavefront6targetE1EEEvST_,"axG",@progbits,_ZN7rocprim17ROCPRIM_400000_NS6detail17trampoline_kernelINS0_14default_configENS1_22reduce_config_selectorIN6thrust23THRUST_200600_302600_NS5tupleIllNS6_9null_typeES8_S8_S8_S8_S8_S8_S8_EEEEZNS1_11reduce_implILb0ES3_NS6_12zip_iteratorINS7_INS6_10device_ptrIlEENS6_11hip_rocprim19counting_iterator_tIlEES8_S8_S8_S8_S8_S8_S8_S8_EEEEPS9_S9_NSF_9__extrema9arg_max_fIllNS6_4lessIlEEEEEE10hipError_tPvRmT1_T2_T3_mT4_P12ihipStream_tbEUlT_E0_NS1_11comp_targetILNS1_3genE2ELNS1_11target_archE906ELNS1_3gpuE6ELNS1_3repE0EEENS1_30default_config_static_selectorELNS0_4arch9wavefront6targetE1EEEvST_,comdat
	.protected	_ZN7rocprim17ROCPRIM_400000_NS6detail17trampoline_kernelINS0_14default_configENS1_22reduce_config_selectorIN6thrust23THRUST_200600_302600_NS5tupleIllNS6_9null_typeES8_S8_S8_S8_S8_S8_S8_EEEEZNS1_11reduce_implILb0ES3_NS6_12zip_iteratorINS7_INS6_10device_ptrIlEENS6_11hip_rocprim19counting_iterator_tIlEES8_S8_S8_S8_S8_S8_S8_S8_EEEEPS9_S9_NSF_9__extrema9arg_max_fIllNS6_4lessIlEEEEEE10hipError_tPvRmT1_T2_T3_mT4_P12ihipStream_tbEUlT_E0_NS1_11comp_targetILNS1_3genE2ELNS1_11target_archE906ELNS1_3gpuE6ELNS1_3repE0EEENS1_30default_config_static_selectorELNS0_4arch9wavefront6targetE1EEEvST_ ; -- Begin function _ZN7rocprim17ROCPRIM_400000_NS6detail17trampoline_kernelINS0_14default_configENS1_22reduce_config_selectorIN6thrust23THRUST_200600_302600_NS5tupleIllNS6_9null_typeES8_S8_S8_S8_S8_S8_S8_EEEEZNS1_11reduce_implILb0ES3_NS6_12zip_iteratorINS7_INS6_10device_ptrIlEENS6_11hip_rocprim19counting_iterator_tIlEES8_S8_S8_S8_S8_S8_S8_S8_EEEEPS9_S9_NSF_9__extrema9arg_max_fIllNS6_4lessIlEEEEEE10hipError_tPvRmT1_T2_T3_mT4_P12ihipStream_tbEUlT_E0_NS1_11comp_targetILNS1_3genE2ELNS1_11target_archE906ELNS1_3gpuE6ELNS1_3repE0EEENS1_30default_config_static_selectorELNS0_4arch9wavefront6targetE1EEEvST_
	.globl	_ZN7rocprim17ROCPRIM_400000_NS6detail17trampoline_kernelINS0_14default_configENS1_22reduce_config_selectorIN6thrust23THRUST_200600_302600_NS5tupleIllNS6_9null_typeES8_S8_S8_S8_S8_S8_S8_EEEEZNS1_11reduce_implILb0ES3_NS6_12zip_iteratorINS7_INS6_10device_ptrIlEENS6_11hip_rocprim19counting_iterator_tIlEES8_S8_S8_S8_S8_S8_S8_S8_EEEEPS9_S9_NSF_9__extrema9arg_max_fIllNS6_4lessIlEEEEEE10hipError_tPvRmT1_T2_T3_mT4_P12ihipStream_tbEUlT_E0_NS1_11comp_targetILNS1_3genE2ELNS1_11target_archE906ELNS1_3gpuE6ELNS1_3repE0EEENS1_30default_config_static_selectorELNS0_4arch9wavefront6targetE1EEEvST_
	.p2align	8
	.type	_ZN7rocprim17ROCPRIM_400000_NS6detail17trampoline_kernelINS0_14default_configENS1_22reduce_config_selectorIN6thrust23THRUST_200600_302600_NS5tupleIllNS6_9null_typeES8_S8_S8_S8_S8_S8_S8_EEEEZNS1_11reduce_implILb0ES3_NS6_12zip_iteratorINS7_INS6_10device_ptrIlEENS6_11hip_rocprim19counting_iterator_tIlEES8_S8_S8_S8_S8_S8_S8_S8_EEEEPS9_S9_NSF_9__extrema9arg_max_fIllNS6_4lessIlEEEEEE10hipError_tPvRmT1_T2_T3_mT4_P12ihipStream_tbEUlT_E0_NS1_11comp_targetILNS1_3genE2ELNS1_11target_archE906ELNS1_3gpuE6ELNS1_3repE0EEENS1_30default_config_static_selectorELNS0_4arch9wavefront6targetE1EEEvST_,@function
_ZN7rocprim17ROCPRIM_400000_NS6detail17trampoline_kernelINS0_14default_configENS1_22reduce_config_selectorIN6thrust23THRUST_200600_302600_NS5tupleIllNS6_9null_typeES8_S8_S8_S8_S8_S8_S8_EEEEZNS1_11reduce_implILb0ES3_NS6_12zip_iteratorINS7_INS6_10device_ptrIlEENS6_11hip_rocprim19counting_iterator_tIlEES8_S8_S8_S8_S8_S8_S8_S8_EEEEPS9_S9_NSF_9__extrema9arg_max_fIllNS6_4lessIlEEEEEE10hipError_tPvRmT1_T2_T3_mT4_P12ihipStream_tbEUlT_E0_NS1_11comp_targetILNS1_3genE2ELNS1_11target_archE906ELNS1_3gpuE6ELNS1_3repE0EEENS1_30default_config_static_selectorELNS0_4arch9wavefront6targetE1EEEvST_: ; @_ZN7rocprim17ROCPRIM_400000_NS6detail17trampoline_kernelINS0_14default_configENS1_22reduce_config_selectorIN6thrust23THRUST_200600_302600_NS5tupleIllNS6_9null_typeES8_S8_S8_S8_S8_S8_S8_EEEEZNS1_11reduce_implILb0ES3_NS6_12zip_iteratorINS7_INS6_10device_ptrIlEENS6_11hip_rocprim19counting_iterator_tIlEES8_S8_S8_S8_S8_S8_S8_S8_EEEEPS9_S9_NSF_9__extrema9arg_max_fIllNS6_4lessIlEEEEEE10hipError_tPvRmT1_T2_T3_mT4_P12ihipStream_tbEUlT_E0_NS1_11comp_targetILNS1_3genE2ELNS1_11target_archE906ELNS1_3gpuE6ELNS1_3repE0EEENS1_30default_config_static_selectorELNS0_4arch9wavefront6targetE1EEEvST_
; %bb.0:
	s_load_dwordx16 s[8:23], s[4:5], 0x0
	s_mov_b32 s25, 0
	s_mov_b32 s7, s25
	v_lshlrev_b32_e32 v9, 3, v0
	s_waitcnt lgkmcnt(0)
	s_lshl_b64 s[0:1], s[12:13], 3
	s_add_u32 s8, s8, s0
	s_addc_u32 s9, s9, s1
	s_lshl_b32 s24, s6, 8
	s_lshr_b64 s[0:1], s[14:15], 8
	s_lshl_b64 s[2:3], s[24:25], 3
	s_add_u32 s8, s8, s2
	s_addc_u32 s9, s9, s3
	s_add_u32 s2, s10, s24
	s_addc_u32 s3, s11, 0
	;; [unrolled: 2-line block ×3, first 2 shown]
	s_cmp_lg_u64 s[0:1], s[6:7]
	s_cbranch_scc0 .LBB425_18
; %bb.1:
	global_load_dwordx2 v[3:4], v9, s[8:9]
	global_load_dwordx2 v[5:6], v9, s[8:9] offset:1024
	v_mov_b32_e32 v1, s11
	v_add_co_u32_e32 v7, vcc, s10, v0
	v_addc_co_u32_e32 v1, vcc, 0, v1, vcc
	v_add_co_u32_e32 v10, vcc, 0x80, v7
	v_addc_co_u32_e32 v8, vcc, 0, v1, vcc
	s_waitcnt vmcnt(0)
	v_cmp_gt_i64_e32 vcc, v[3:4], v[5:6]
	v_cmp_lt_i64_e64 s[0:1], v[3:4], v[5:6]
	v_cndmask_b32_e32 v2, v6, v4, vcc
	v_cndmask_b32_e64 v4, v1, v8, s[0:1]
	v_cndmask_b32_e32 v1, v5, v3, vcc
	v_mov_b32_dpp v8, v2 quad_perm:[1,0,3,2] row_mask:0xf bank_mask:0xf bound_ctrl:1
	v_cndmask_b32_e64 v3, v7, v10, s[0:1]
	v_mov_b32_dpp v7, v1 quad_perm:[1,0,3,2] row_mask:0xf bank_mask:0xf bound_ctrl:1
	v_cmp_ge_i64_e32 vcc, v[7:8], v[1:2]
	v_mov_b32_dpp v5, v3 quad_perm:[1,0,3,2] row_mask:0xf bank_mask:0xf bound_ctrl:1
	v_mov_b32_dpp v10, v4 quad_perm:[1,0,3,2] row_mask:0xf bank_mask:0xf bound_ctrl:1
	s_and_saveexec_b64 s[2:3], vcc
	s_cbranch_execz .LBB425_3
; %bb.2:
	v_mov_b32_e32 v6, v10
	v_cmp_lt_i64_e32 vcc, v[1:2], v[7:8]
	v_cmp_lt_i64_e64 s[0:1], v[5:6], v[3:4]
	s_or_b64 vcc, vcc, s[0:1]
	v_cndmask_b32_e32 v2, v2, v8, vcc
	v_cndmask_b32_e32 v1, v1, v7, vcc
	;; [unrolled: 1-line block ×4, first 2 shown]
.LBB425_3:
	s_or_b64 exec, exec, s[2:3]
	v_mov_b32_dpp v7, v1 quad_perm:[2,3,0,1] row_mask:0xf bank_mask:0xf bound_ctrl:1
	v_mov_b32_dpp v8, v2 quad_perm:[2,3,0,1] row_mask:0xf bank_mask:0xf bound_ctrl:1
	v_cmp_ge_i64_e32 vcc, v[7:8], v[1:2]
	v_mov_b32_dpp v5, v3 quad_perm:[2,3,0,1] row_mask:0xf bank_mask:0xf bound_ctrl:1
	v_mov_b32_dpp v10, v4 quad_perm:[2,3,0,1] row_mask:0xf bank_mask:0xf bound_ctrl:1
	s_and_saveexec_b64 s[2:3], vcc
	s_cbranch_execz .LBB425_5
; %bb.4:
	v_mov_b32_e32 v6, v10
	v_cmp_lt_i64_e32 vcc, v[1:2], v[7:8]
	v_cmp_lt_i64_e64 s[0:1], v[5:6], v[3:4]
	s_or_b64 vcc, vcc, s[0:1]
	v_cndmask_b32_e32 v2, v2, v8, vcc
	v_cndmask_b32_e32 v1, v1, v7, vcc
	;; [unrolled: 1-line block ×4, first 2 shown]
.LBB425_5:
	s_or_b64 exec, exec, s[2:3]
	v_mov_b32_dpp v7, v1 row_ror:4 row_mask:0xf bank_mask:0xf bound_ctrl:1
	v_mov_b32_dpp v8, v2 row_ror:4 row_mask:0xf bank_mask:0xf bound_ctrl:1
	v_cmp_ge_i64_e32 vcc, v[7:8], v[1:2]
	v_mov_b32_dpp v5, v3 row_ror:4 row_mask:0xf bank_mask:0xf bound_ctrl:1
	v_mov_b32_dpp v10, v4 row_ror:4 row_mask:0xf bank_mask:0xf bound_ctrl:1
	s_and_saveexec_b64 s[2:3], vcc
	s_cbranch_execz .LBB425_7
; %bb.6:
	v_mov_b32_e32 v6, v10
	v_cmp_lt_i64_e32 vcc, v[1:2], v[7:8]
	v_cmp_lt_i64_e64 s[0:1], v[5:6], v[3:4]
	s_or_b64 vcc, vcc, s[0:1]
	v_cndmask_b32_e32 v2, v2, v8, vcc
	v_cndmask_b32_e32 v1, v1, v7, vcc
	v_cndmask_b32_e32 v4, v4, v10, vcc
	v_cndmask_b32_e32 v3, v3, v5, vcc
.LBB425_7:
	s_or_b64 exec, exec, s[2:3]
	v_mov_b32_dpp v7, v1 row_ror:8 row_mask:0xf bank_mask:0xf bound_ctrl:1
	v_mov_b32_dpp v8, v2 row_ror:8 row_mask:0xf bank_mask:0xf bound_ctrl:1
	v_cmp_ge_i64_e32 vcc, v[7:8], v[1:2]
	v_mov_b32_dpp v5, v3 row_ror:8 row_mask:0xf bank_mask:0xf bound_ctrl:1
	v_mov_b32_dpp v10, v4 row_ror:8 row_mask:0xf bank_mask:0xf bound_ctrl:1
	s_and_saveexec_b64 s[2:3], vcc
	s_cbranch_execz .LBB425_9
; %bb.8:
	v_mov_b32_e32 v6, v10
	v_cmp_lt_i64_e32 vcc, v[1:2], v[7:8]
	v_cmp_lt_i64_e64 s[0:1], v[5:6], v[3:4]
	s_or_b64 vcc, vcc, s[0:1]
	v_cndmask_b32_e32 v2, v2, v8, vcc
	v_cndmask_b32_e32 v1, v1, v7, vcc
	;; [unrolled: 1-line block ×4, first 2 shown]
.LBB425_9:
	s_or_b64 exec, exec, s[2:3]
	v_mov_b32_dpp v7, v1 row_bcast:15 row_mask:0xf bank_mask:0xf bound_ctrl:1
	v_mov_b32_dpp v8, v2 row_bcast:15 row_mask:0xf bank_mask:0xf bound_ctrl:1
	v_cmp_ge_i64_e32 vcc, v[7:8], v[1:2]
	v_mov_b32_dpp v5, v3 row_bcast:15 row_mask:0xf bank_mask:0xf bound_ctrl:1
	v_mov_b32_dpp v10, v4 row_bcast:15 row_mask:0xf bank_mask:0xf bound_ctrl:1
	s_and_saveexec_b64 s[2:3], vcc
	s_cbranch_execz .LBB425_11
; %bb.10:
	v_mov_b32_e32 v6, v10
	v_cmp_lt_i64_e32 vcc, v[1:2], v[7:8]
	v_cmp_lt_i64_e64 s[0:1], v[5:6], v[3:4]
	s_or_b64 vcc, vcc, s[0:1]
	v_cndmask_b32_e32 v2, v2, v8, vcc
	v_cndmask_b32_e32 v1, v1, v7, vcc
	;; [unrolled: 1-line block ×4, first 2 shown]
.LBB425_11:
	s_or_b64 exec, exec, s[2:3]
	v_mov_b32_dpp v5, v1 row_bcast:31 row_mask:0xf bank_mask:0xf bound_ctrl:1
	v_mov_b32_dpp v6, v2 row_bcast:31 row_mask:0xf bank_mask:0xf bound_ctrl:1
	v_cmp_ge_i64_e32 vcc, v[5:6], v[1:2]
	v_mov_b32_dpp v7, v3 row_bcast:31 row_mask:0xf bank_mask:0xf bound_ctrl:1
	v_mov_b32_dpp v10, v4 row_bcast:31 row_mask:0xf bank_mask:0xf bound_ctrl:1
	s_and_saveexec_b64 s[2:3], vcc
	s_cbranch_execz .LBB425_13
; %bb.12:
	v_mov_b32_e32 v8, v10
	v_cmp_lt_i64_e32 vcc, v[1:2], v[5:6]
	v_cmp_lt_i64_e64 s[0:1], v[7:8], v[3:4]
	s_or_b64 vcc, vcc, s[0:1]
	v_cndmask_b32_e32 v1, v1, v5, vcc
	v_cndmask_b32_e32 v2, v2, v6, vcc
	;; [unrolled: 1-line block ×4, first 2 shown]
.LBB425_13:
	s_or_b64 exec, exec, s[2:3]
	v_mbcnt_lo_u32_b32 v5, -1, 0
	v_mbcnt_hi_u32_b32 v6, -1, v5
	v_lshlrev_b32_e32 v5, 2, v6
	v_or_b32_e32 v7, 0xfc, v5
	ds_bpermute_b32 v1, v7, v1
	ds_bpermute_b32 v2, v7, v2
	;; [unrolled: 1-line block ×4, first 2 shown]
	v_cmp_eq_u32_e32 vcc, 0, v6
	s_and_saveexec_b64 s[0:1], vcc
	s_cbranch_execz .LBB425_15
; %bb.14:
	v_lshrrev_b32_e32 v7, 2, v0
	v_and_b32_e32 v7, 16, v7
	s_waitcnt lgkmcnt(0)
	ds_write2_b64 v7, v[1:2], v[3:4] offset1:1
.LBB425_15:
	s_or_b64 exec, exec, s[0:1]
	v_cmp_gt_u32_e32 vcc, 64, v0
	s_waitcnt lgkmcnt(0)
	s_barrier
	s_and_saveexec_b64 s[2:3], vcc
	s_cbranch_execz .LBB425_17
; %bb.16:
	v_and_b32_e32 v1, 1, v6
	v_lshlrev_b32_e32 v1, 4, v1
	ds_read2_b64 v[1:4], v1 offset1:1
	v_or_b32_e32 v6, 4, v5
	s_waitcnt lgkmcnt(0)
	ds_bpermute_b32 v10, v6, v2
	ds_bpermute_b32 v11, v6, v4
	;; [unrolled: 1-line block ×4, first 2 shown]
	s_waitcnt lgkmcnt(3)
	v_mov_b32_e32 v6, v10
	s_waitcnt lgkmcnt(2)
	v_mov_b32_e32 v8, v11
	s_waitcnt lgkmcnt(1)
	v_cmp_lt_i64_e32 vcc, v[5:6], v[1:2]
	s_waitcnt lgkmcnt(0)
	v_cmp_lt_i64_e64 s[0:1], v[3:4], v[7:8]
	s_or_b64 vcc, vcc, s[0:1]
	v_cndmask_b32_e32 v8, v5, v1, vcc
	v_cndmask_b32_e32 v12, v10, v2, vcc
	;; [unrolled: 1-line block ×4, first 2 shown]
	v_cmp_lt_i64_e32 vcc, v[1:2], v[5:6]
	v_cndmask_b32_e32 v4, v4, v11, vcc
	v_cndmask_b32_e32 v3, v3, v7, vcc
	;; [unrolled: 1-line block ×4, first 2 shown]
.LBB425_17:
	s_or_b64 exec, exec, s[2:3]
	s_load_dwordx2 s[2:3], s[4:5], 0x40
	s_branch .LBB425_42
.LBB425_18:
                                        ; implicit-def: $vgpr1_vgpr2
	s_load_dwordx2 s[2:3], s[4:5], 0x40
	s_cbranch_execz .LBB425_42
; %bb.19:
	s_sub_i32 s12, s14, s24
	v_mov_b32_e32 v3, 0
	v_mov_b32_e32 v1, 0
	;; [unrolled: 1-line block ×4, first 2 shown]
	v_cmp_gt_u32_e32 vcc, s12, v0
	s_and_saveexec_b64 s[0:1], vcc
	s_cbranch_execz .LBB425_21
; %bb.20:
	global_load_dwordx2 v[1:2], v9, s[8:9]
	v_mov_b32_e32 v4, s11
	v_add_co_u32_e32 v3, vcc, s10, v0
	v_addc_co_u32_e32 v4, vcc, 0, v4, vcc
.LBB425_21:
	s_or_b64 exec, exec, s[0:1]
	v_or_b32_e32 v5, 0x80, v0
	v_cmp_gt_u32_e32 vcc, s12, v5
	s_and_saveexec_b64 s[4:5], vcc
	s_cbranch_execz .LBB425_23
; %bb.22:
	global_load_dwordx2 v[6:7], v9, s[8:9] offset:1024
	v_mov_b32_e32 v9, s11
	v_add_co_u32_e32 v8, vcc, s10, v5
	v_addc_co_u32_e32 v9, vcc, 0, v9, vcc
	v_cmp_lt_i64_e32 vcc, v[3:4], v[8:9]
	s_waitcnt vmcnt(0)
	v_cmp_lt_i64_e64 s[0:1], v[6:7], v[1:2]
	s_or_b64 vcc, s[0:1], vcc
	v_cndmask_b32_e32 v5, v6, v1, vcc
	v_cndmask_b32_e32 v10, v7, v2, vcc
	v_cndmask_b32_e32 v3, v8, v3, vcc
	v_cndmask_b32_e32 v4, v9, v4, vcc
	v_cmp_lt_i64_e32 vcc, v[1:2], v[6:7]
	v_cndmask_b32_e32 v4, v4, v9, vcc
	v_cndmask_b32_e32 v3, v3, v8, vcc
	;; [unrolled: 1-line block ×4, first 2 shown]
.LBB425_23:
	s_or_b64 exec, exec, s[4:5]
	v_mbcnt_lo_u32_b32 v5, -1, 0
	v_mbcnt_hi_u32_b32 v9, -1, v5
	v_and_b32_e32 v10, 63, v9
	v_cmp_ne_u32_e32 vcc, 63, v10
	v_addc_co_u32_e32 v5, vcc, 0, v9, vcc
	v_lshlrev_b32_e32 v6, 2, v5
	s_waitcnt vmcnt(0)
	ds_bpermute_b32 v5, v6, v1
	ds_bpermute_b32 v12, v6, v2
	;; [unrolled: 1-line block ×4, first 2 shown]
	s_min_u32 s8, s12, 0x80
	v_and_b32_e32 v6, 64, v0
	v_sub_u32_e64 v11, s8, v6 clamp
	v_add_u32_e32 v6, 1, v10
	v_cmp_lt_u32_e32 vcc, v6, v11
	s_and_saveexec_b64 s[0:1], vcc
	s_xor_b64 s[4:5], exec, s[0:1]
	s_cbranch_execz .LBB425_25
; %bb.24:
	s_waitcnt lgkmcnt(0)
	v_mov_b32_e32 v8, v13
	v_mov_b32_e32 v6, v12
	v_cmp_lt_i64_e32 vcc, v[5:6], v[1:2]
	v_cmp_lt_i64_e64 s[0:1], v[3:4], v[7:8]
	s_or_b64 vcc, vcc, s[0:1]
	v_cndmask_b32_e32 v8, v5, v1, vcc
	v_cndmask_b32_e32 v14, v12, v2, vcc
	;; [unrolled: 1-line block ×4, first 2 shown]
	v_cmp_lt_i64_e32 vcc, v[1:2], v[5:6]
	v_cndmask_b32_e32 v4, v4, v13, vcc
	v_cndmask_b32_e32 v3, v3, v7, vcc
	;; [unrolled: 1-line block ×4, first 2 shown]
.LBB425_25:
	s_or_b64 exec, exec, s[4:5]
	v_cmp_gt_u32_e32 vcc, 62, v10
	s_waitcnt lgkmcnt(0)
	v_cndmask_b32_e64 v5, 0, 2, vcc
	v_add_lshl_u32 v6, v5, v9, 2
	ds_bpermute_b32 v5, v6, v1
	ds_bpermute_b32 v12, v6, v2
	;; [unrolled: 1-line block ×4, first 2 shown]
	v_add_u32_e32 v6, 2, v10
	v_cmp_lt_u32_e32 vcc, v6, v11
	s_and_saveexec_b64 s[4:5], vcc
	s_cbranch_execz .LBB425_27
; %bb.26:
	s_waitcnt lgkmcnt(0)
	v_mov_b32_e32 v8, v13
	v_mov_b32_e32 v6, v12
	v_cmp_lt_i64_e32 vcc, v[5:6], v[1:2]
	v_cmp_lt_i64_e64 s[0:1], v[3:4], v[7:8]
	s_or_b64 vcc, vcc, s[0:1]
	v_cndmask_b32_e32 v8, v5, v1, vcc
	v_cndmask_b32_e32 v14, v12, v2, vcc
	v_cndmask_b32_e32 v3, v7, v3, vcc
	v_cndmask_b32_e32 v4, v13, v4, vcc
	v_cmp_lt_i64_e32 vcc, v[1:2], v[5:6]
	v_cndmask_b32_e32 v4, v4, v13, vcc
	v_cndmask_b32_e32 v3, v3, v7, vcc
	v_cndmask_b32_e32 v2, v14, v12, vcc
	v_cndmask_b32_e32 v1, v8, v5, vcc
.LBB425_27:
	s_or_b64 exec, exec, s[4:5]
	v_cmp_gt_u32_e32 vcc, 60, v10
	s_waitcnt lgkmcnt(3)
	v_cndmask_b32_e64 v5, 0, 4, vcc
	v_add_lshl_u32 v6, v5, v9, 2
	ds_bpermute_b32 v5, v6, v1
	s_waitcnt lgkmcnt(3)
	ds_bpermute_b32 v12, v6, v2
	s_waitcnt lgkmcnt(3)
	ds_bpermute_b32 v7, v6, v3
	s_waitcnt lgkmcnt(3)
	ds_bpermute_b32 v13, v6, v4
	v_add_u32_e32 v6, 4, v10
	v_cmp_lt_u32_e32 vcc, v6, v11
	s_and_saveexec_b64 s[4:5], vcc
	s_cbranch_execz .LBB425_29
; %bb.28:
	s_waitcnt lgkmcnt(0)
	v_mov_b32_e32 v8, v13
	v_mov_b32_e32 v6, v12
	v_cmp_lt_i64_e32 vcc, v[5:6], v[1:2]
	v_cmp_lt_i64_e64 s[0:1], v[3:4], v[7:8]
	s_or_b64 vcc, vcc, s[0:1]
	v_cndmask_b32_e32 v8, v5, v1, vcc
	v_cndmask_b32_e32 v14, v12, v2, vcc
	v_cndmask_b32_e32 v3, v7, v3, vcc
	v_cndmask_b32_e32 v4, v13, v4, vcc
	v_cmp_lt_i64_e32 vcc, v[1:2], v[5:6]
	v_cndmask_b32_e32 v4, v4, v13, vcc
	v_cndmask_b32_e32 v3, v3, v7, vcc
	v_cndmask_b32_e32 v2, v14, v12, vcc
	v_cndmask_b32_e32 v1, v8, v5, vcc
.LBB425_29:
	s_or_b64 exec, exec, s[4:5]
	v_cmp_gt_u32_e32 vcc, 56, v10
	s_waitcnt lgkmcnt(3)
	v_cndmask_b32_e64 v5, 0, 8, vcc
	v_add_lshl_u32 v6, v5, v9, 2
	ds_bpermute_b32 v5, v6, v1
	s_waitcnt lgkmcnt(3)
	ds_bpermute_b32 v12, v6, v2
	s_waitcnt lgkmcnt(3)
	ds_bpermute_b32 v7, v6, v3
	s_waitcnt lgkmcnt(3)
	ds_bpermute_b32 v13, v6, v4
	v_add_u32_e32 v6, 8, v10
	v_cmp_lt_u32_e32 vcc, v6, v11
	s_and_saveexec_b64 s[4:5], vcc
	s_cbranch_execz .LBB425_31
; %bb.30:
	s_waitcnt lgkmcnt(0)
	v_mov_b32_e32 v8, v13
	v_mov_b32_e32 v6, v12
	v_cmp_lt_i64_e32 vcc, v[5:6], v[1:2]
	v_cmp_lt_i64_e64 s[0:1], v[3:4], v[7:8]
	s_or_b64 vcc, vcc, s[0:1]
	v_cndmask_b32_e32 v8, v5, v1, vcc
	v_cndmask_b32_e32 v14, v12, v2, vcc
	v_cndmask_b32_e32 v3, v7, v3, vcc
	v_cndmask_b32_e32 v4, v13, v4, vcc
	v_cmp_lt_i64_e32 vcc, v[1:2], v[5:6]
	v_cndmask_b32_e32 v4, v4, v13, vcc
	v_cndmask_b32_e32 v3, v3, v7, vcc
	v_cndmask_b32_e32 v2, v14, v12, vcc
	v_cndmask_b32_e32 v1, v8, v5, vcc
.LBB425_31:
	s_or_b64 exec, exec, s[4:5]
	v_cmp_gt_u32_e32 vcc, 48, v10
	s_waitcnt lgkmcnt(3)
	v_cndmask_b32_e64 v5, 0, 16, vcc
	v_add_lshl_u32 v6, v5, v9, 2
	ds_bpermute_b32 v5, v6, v1
	s_waitcnt lgkmcnt(3)
	ds_bpermute_b32 v12, v6, v2
	s_waitcnt lgkmcnt(3)
	ds_bpermute_b32 v7, v6, v3
	s_waitcnt lgkmcnt(3)
	ds_bpermute_b32 v13, v6, v4
	v_add_u32_e32 v6, 16, v10
	v_cmp_lt_u32_e32 vcc, v6, v11
	s_and_saveexec_b64 s[4:5], vcc
	s_cbranch_execz .LBB425_33
; %bb.32:
	s_waitcnt lgkmcnt(0)
	v_mov_b32_e32 v8, v13
	v_mov_b32_e32 v6, v12
	v_cmp_lt_i64_e32 vcc, v[5:6], v[1:2]
	v_cmp_lt_i64_e64 s[0:1], v[3:4], v[7:8]
	s_or_b64 vcc, vcc, s[0:1]
	v_cndmask_b32_e32 v8, v5, v1, vcc
	v_cndmask_b32_e32 v14, v12, v2, vcc
	;; [unrolled: 1-line block ×4, first 2 shown]
	v_cmp_lt_i64_e32 vcc, v[1:2], v[5:6]
	v_cndmask_b32_e32 v4, v4, v13, vcc
	v_cndmask_b32_e32 v3, v3, v7, vcc
	;; [unrolled: 1-line block ×4, first 2 shown]
.LBB425_33:
	s_or_b64 exec, exec, s[4:5]
	s_waitcnt lgkmcnt(2)
	v_lshlrev_b32_e32 v12, 2, v9
	v_or_b32_e32 v6, 0x80, v12
	ds_bpermute_b32 v5, v6, v1
	s_waitcnt lgkmcnt(1)
	ds_bpermute_b32 v13, v6, v2
	ds_bpermute_b32 v7, v6, v3
	;; [unrolled: 1-line block ×3, first 2 shown]
	v_add_u32_e32 v6, 32, v10
	v_cmp_lt_u32_e32 vcc, v6, v11
	s_and_saveexec_b64 s[4:5], vcc
	s_cbranch_execz .LBB425_35
; %bb.34:
	s_waitcnt lgkmcnt(2)
	v_mov_b32_e32 v6, v13
	s_waitcnt lgkmcnt(0)
	v_cmp_lt_i64_e32 vcc, v[3:4], v[7:8]
	v_cmp_lt_i64_e64 s[0:1], v[5:6], v[1:2]
	s_or_b64 vcc, s[0:1], vcc
	v_cndmask_b32_e32 v10, v5, v1, vcc
	v_cndmask_b32_e32 v11, v13, v2, vcc
	;; [unrolled: 1-line block ×4, first 2 shown]
	v_cmp_lt_i64_e32 vcc, v[1:2], v[5:6]
	v_cndmask_b32_e32 v4, v4, v8, vcc
	v_cndmask_b32_e32 v3, v3, v7, vcc
	;; [unrolled: 1-line block ×4, first 2 shown]
.LBB425_35:
	s_or_b64 exec, exec, s[4:5]
	v_cmp_eq_u32_e32 vcc, 0, v9
	s_and_saveexec_b64 s[0:1], vcc
	s_cbranch_execz .LBB425_37
; %bb.36:
	s_waitcnt lgkmcnt(3)
	v_lshrrev_b32_e32 v5, 2, v0
	v_and_b32_e32 v5, 16, v5
	ds_write2_b64 v5, v[1:2], v[3:4] offset0:4 offset1:5
.LBB425_37:
	s_or_b64 exec, exec, s[0:1]
	v_cmp_gt_u32_e32 vcc, 2, v0
	s_waitcnt lgkmcnt(0)
	s_barrier
	s_and_saveexec_b64 s[4:5], vcc
	s_cbranch_execz .LBB425_41
; %bb.38:
	v_lshlrev_b32_e32 v1, 4, v9
	ds_read2_b64 v[1:4], v1 offset0:4 offset1:5
	v_or_b32_e32 v6, 4, v12
	s_add_i32 s8, s8, 63
	s_lshr_b32 s0, s8, 6
	s_waitcnt lgkmcnt(0)
	ds_bpermute_b32 v5, v6, v1
	ds_bpermute_b32 v10, v6, v2
	;; [unrolled: 1-line block ×4, first 2 shown]
	v_and_b32_e32 v6, 1, v9
	v_add_u32_e32 v6, 1, v6
	v_cmp_gt_u32_e32 vcc, s0, v6
	s_and_saveexec_b64 s[8:9], vcc
	s_cbranch_execz .LBB425_40
; %bb.39:
	s_waitcnt lgkmcnt(2)
	v_mov_b32_e32 v6, v10
	s_waitcnt lgkmcnt(0)
	v_cmp_lt_i64_e32 vcc, v[3:4], v[7:8]
	v_cmp_lt_i64_e64 s[0:1], v[5:6], v[1:2]
	s_or_b64 vcc, s[0:1], vcc
	v_cndmask_b32_e32 v9, v5, v1, vcc
	v_cndmask_b32_e32 v11, v10, v2, vcc
	;; [unrolled: 1-line block ×4, first 2 shown]
	v_cmp_lt_i64_e32 vcc, v[1:2], v[5:6]
	v_cndmask_b32_e32 v4, v4, v8, vcc
	v_cndmask_b32_e32 v3, v3, v7, vcc
	;; [unrolled: 1-line block ×4, first 2 shown]
.LBB425_40:
	s_or_b64 exec, exec, s[8:9]
.LBB425_41:
	s_or_b64 exec, exec, s[4:5]
.LBB425_42:
	v_cmp_eq_u32_e32 vcc, 0, v0
	s_and_saveexec_b64 s[0:1], vcc
	s_cbranch_execnz .LBB425_44
; %bb.43:
	s_endpgm
.LBB425_44:
	s_mul_i32 s0, s20, s19
	s_mul_hi_u32 s1, s20, s18
	s_add_i32 s0, s1, s0
	s_mul_i32 s1, s21, s18
	s_add_i32 s1, s0, s1
	s_mul_i32 s0, s20, s18
	s_lshl_b64 s[0:1], s[0:1], 4
	s_add_u32 s4, s16, s0
	s_addc_u32 s5, s17, s1
	s_cmp_eq_u64 s[14:15], 0
	s_waitcnt lgkmcnt(0)
	v_mov_b32_e32 v0, s3
	s_cselect_b64 vcc, -1, 0
	v_cndmask_b32_e32 v4, v4, v0, vcc
	v_mov_b32_e32 v0, s2
	v_cndmask_b32_e32 v3, v3, v0, vcc
	v_mov_b32_e32 v0, s23
	s_lshl_b64 s[0:1], s[6:7], 4
	v_cndmask_b32_e32 v2, v2, v0, vcc
	v_mov_b32_e32 v0, s22
	s_add_u32 s0, s4, s0
	v_cndmask_b32_e32 v1, v1, v0, vcc
	s_addc_u32 s1, s5, s1
	v_mov_b32_e32 v0, 0
	global_store_dwordx4 v0, v[1:4], s[0:1]
	s_endpgm
	.section	.rodata,"a",@progbits
	.p2align	6, 0x0
	.amdhsa_kernel _ZN7rocprim17ROCPRIM_400000_NS6detail17trampoline_kernelINS0_14default_configENS1_22reduce_config_selectorIN6thrust23THRUST_200600_302600_NS5tupleIllNS6_9null_typeES8_S8_S8_S8_S8_S8_S8_EEEEZNS1_11reduce_implILb0ES3_NS6_12zip_iteratorINS7_INS6_10device_ptrIlEENS6_11hip_rocprim19counting_iterator_tIlEES8_S8_S8_S8_S8_S8_S8_S8_EEEEPS9_S9_NSF_9__extrema9arg_max_fIllNS6_4lessIlEEEEEE10hipError_tPvRmT1_T2_T3_mT4_P12ihipStream_tbEUlT_E0_NS1_11comp_targetILNS1_3genE2ELNS1_11target_archE906ELNS1_3gpuE6ELNS1_3repE0EEENS1_30default_config_static_selectorELNS0_4arch9wavefront6targetE1EEEvST_
		.amdhsa_group_segment_fixed_size 64
		.amdhsa_private_segment_fixed_size 0
		.amdhsa_kernarg_size 80
		.amdhsa_user_sgpr_count 6
		.amdhsa_user_sgpr_private_segment_buffer 1
		.amdhsa_user_sgpr_dispatch_ptr 0
		.amdhsa_user_sgpr_queue_ptr 0
		.amdhsa_user_sgpr_kernarg_segment_ptr 1
		.amdhsa_user_sgpr_dispatch_id 0
		.amdhsa_user_sgpr_flat_scratch_init 0
		.amdhsa_user_sgpr_private_segment_size 0
		.amdhsa_uses_dynamic_stack 0
		.amdhsa_system_sgpr_private_segment_wavefront_offset 0
		.amdhsa_system_sgpr_workgroup_id_x 1
		.amdhsa_system_sgpr_workgroup_id_y 0
		.amdhsa_system_sgpr_workgroup_id_z 0
		.amdhsa_system_sgpr_workgroup_info 0
		.amdhsa_system_vgpr_workitem_id 0
		.amdhsa_next_free_vgpr 15
		.amdhsa_next_free_sgpr 26
		.amdhsa_reserve_vcc 1
		.amdhsa_reserve_flat_scratch 0
		.amdhsa_float_round_mode_32 0
		.amdhsa_float_round_mode_16_64 0
		.amdhsa_float_denorm_mode_32 3
		.amdhsa_float_denorm_mode_16_64 3
		.amdhsa_dx10_clamp 1
		.amdhsa_ieee_mode 1
		.amdhsa_fp16_overflow 0
		.amdhsa_exception_fp_ieee_invalid_op 0
		.amdhsa_exception_fp_denorm_src 0
		.amdhsa_exception_fp_ieee_div_zero 0
		.amdhsa_exception_fp_ieee_overflow 0
		.amdhsa_exception_fp_ieee_underflow 0
		.amdhsa_exception_fp_ieee_inexact 0
		.amdhsa_exception_int_div_zero 0
	.end_amdhsa_kernel
	.section	.text._ZN7rocprim17ROCPRIM_400000_NS6detail17trampoline_kernelINS0_14default_configENS1_22reduce_config_selectorIN6thrust23THRUST_200600_302600_NS5tupleIllNS6_9null_typeES8_S8_S8_S8_S8_S8_S8_EEEEZNS1_11reduce_implILb0ES3_NS6_12zip_iteratorINS7_INS6_10device_ptrIlEENS6_11hip_rocprim19counting_iterator_tIlEES8_S8_S8_S8_S8_S8_S8_S8_EEEEPS9_S9_NSF_9__extrema9arg_max_fIllNS6_4lessIlEEEEEE10hipError_tPvRmT1_T2_T3_mT4_P12ihipStream_tbEUlT_E0_NS1_11comp_targetILNS1_3genE2ELNS1_11target_archE906ELNS1_3gpuE6ELNS1_3repE0EEENS1_30default_config_static_selectorELNS0_4arch9wavefront6targetE1EEEvST_,"axG",@progbits,_ZN7rocprim17ROCPRIM_400000_NS6detail17trampoline_kernelINS0_14default_configENS1_22reduce_config_selectorIN6thrust23THRUST_200600_302600_NS5tupleIllNS6_9null_typeES8_S8_S8_S8_S8_S8_S8_EEEEZNS1_11reduce_implILb0ES3_NS6_12zip_iteratorINS7_INS6_10device_ptrIlEENS6_11hip_rocprim19counting_iterator_tIlEES8_S8_S8_S8_S8_S8_S8_S8_EEEEPS9_S9_NSF_9__extrema9arg_max_fIllNS6_4lessIlEEEEEE10hipError_tPvRmT1_T2_T3_mT4_P12ihipStream_tbEUlT_E0_NS1_11comp_targetILNS1_3genE2ELNS1_11target_archE906ELNS1_3gpuE6ELNS1_3repE0EEENS1_30default_config_static_selectorELNS0_4arch9wavefront6targetE1EEEvST_,comdat
.Lfunc_end425:
	.size	_ZN7rocprim17ROCPRIM_400000_NS6detail17trampoline_kernelINS0_14default_configENS1_22reduce_config_selectorIN6thrust23THRUST_200600_302600_NS5tupleIllNS6_9null_typeES8_S8_S8_S8_S8_S8_S8_EEEEZNS1_11reduce_implILb0ES3_NS6_12zip_iteratorINS7_INS6_10device_ptrIlEENS6_11hip_rocprim19counting_iterator_tIlEES8_S8_S8_S8_S8_S8_S8_S8_EEEEPS9_S9_NSF_9__extrema9arg_max_fIllNS6_4lessIlEEEEEE10hipError_tPvRmT1_T2_T3_mT4_P12ihipStream_tbEUlT_E0_NS1_11comp_targetILNS1_3genE2ELNS1_11target_archE906ELNS1_3gpuE6ELNS1_3repE0EEENS1_30default_config_static_selectorELNS0_4arch9wavefront6targetE1EEEvST_, .Lfunc_end425-_ZN7rocprim17ROCPRIM_400000_NS6detail17trampoline_kernelINS0_14default_configENS1_22reduce_config_selectorIN6thrust23THRUST_200600_302600_NS5tupleIllNS6_9null_typeES8_S8_S8_S8_S8_S8_S8_EEEEZNS1_11reduce_implILb0ES3_NS6_12zip_iteratorINS7_INS6_10device_ptrIlEENS6_11hip_rocprim19counting_iterator_tIlEES8_S8_S8_S8_S8_S8_S8_S8_EEEEPS9_S9_NSF_9__extrema9arg_max_fIllNS6_4lessIlEEEEEE10hipError_tPvRmT1_T2_T3_mT4_P12ihipStream_tbEUlT_E0_NS1_11comp_targetILNS1_3genE2ELNS1_11target_archE906ELNS1_3gpuE6ELNS1_3repE0EEENS1_30default_config_static_selectorELNS0_4arch9wavefront6targetE1EEEvST_
                                        ; -- End function
	.set _ZN7rocprim17ROCPRIM_400000_NS6detail17trampoline_kernelINS0_14default_configENS1_22reduce_config_selectorIN6thrust23THRUST_200600_302600_NS5tupleIllNS6_9null_typeES8_S8_S8_S8_S8_S8_S8_EEEEZNS1_11reduce_implILb0ES3_NS6_12zip_iteratorINS7_INS6_10device_ptrIlEENS6_11hip_rocprim19counting_iterator_tIlEES8_S8_S8_S8_S8_S8_S8_S8_EEEEPS9_S9_NSF_9__extrema9arg_max_fIllNS6_4lessIlEEEEEE10hipError_tPvRmT1_T2_T3_mT4_P12ihipStream_tbEUlT_E0_NS1_11comp_targetILNS1_3genE2ELNS1_11target_archE906ELNS1_3gpuE6ELNS1_3repE0EEENS1_30default_config_static_selectorELNS0_4arch9wavefront6targetE1EEEvST_.num_vgpr, 15
	.set _ZN7rocprim17ROCPRIM_400000_NS6detail17trampoline_kernelINS0_14default_configENS1_22reduce_config_selectorIN6thrust23THRUST_200600_302600_NS5tupleIllNS6_9null_typeES8_S8_S8_S8_S8_S8_S8_EEEEZNS1_11reduce_implILb0ES3_NS6_12zip_iteratorINS7_INS6_10device_ptrIlEENS6_11hip_rocprim19counting_iterator_tIlEES8_S8_S8_S8_S8_S8_S8_S8_EEEEPS9_S9_NSF_9__extrema9arg_max_fIllNS6_4lessIlEEEEEE10hipError_tPvRmT1_T2_T3_mT4_P12ihipStream_tbEUlT_E0_NS1_11comp_targetILNS1_3genE2ELNS1_11target_archE906ELNS1_3gpuE6ELNS1_3repE0EEENS1_30default_config_static_selectorELNS0_4arch9wavefront6targetE1EEEvST_.num_agpr, 0
	.set _ZN7rocprim17ROCPRIM_400000_NS6detail17trampoline_kernelINS0_14default_configENS1_22reduce_config_selectorIN6thrust23THRUST_200600_302600_NS5tupleIllNS6_9null_typeES8_S8_S8_S8_S8_S8_S8_EEEEZNS1_11reduce_implILb0ES3_NS6_12zip_iteratorINS7_INS6_10device_ptrIlEENS6_11hip_rocprim19counting_iterator_tIlEES8_S8_S8_S8_S8_S8_S8_S8_EEEEPS9_S9_NSF_9__extrema9arg_max_fIllNS6_4lessIlEEEEEE10hipError_tPvRmT1_T2_T3_mT4_P12ihipStream_tbEUlT_E0_NS1_11comp_targetILNS1_3genE2ELNS1_11target_archE906ELNS1_3gpuE6ELNS1_3repE0EEENS1_30default_config_static_selectorELNS0_4arch9wavefront6targetE1EEEvST_.numbered_sgpr, 26
	.set _ZN7rocprim17ROCPRIM_400000_NS6detail17trampoline_kernelINS0_14default_configENS1_22reduce_config_selectorIN6thrust23THRUST_200600_302600_NS5tupleIllNS6_9null_typeES8_S8_S8_S8_S8_S8_S8_EEEEZNS1_11reduce_implILb0ES3_NS6_12zip_iteratorINS7_INS6_10device_ptrIlEENS6_11hip_rocprim19counting_iterator_tIlEES8_S8_S8_S8_S8_S8_S8_S8_EEEEPS9_S9_NSF_9__extrema9arg_max_fIllNS6_4lessIlEEEEEE10hipError_tPvRmT1_T2_T3_mT4_P12ihipStream_tbEUlT_E0_NS1_11comp_targetILNS1_3genE2ELNS1_11target_archE906ELNS1_3gpuE6ELNS1_3repE0EEENS1_30default_config_static_selectorELNS0_4arch9wavefront6targetE1EEEvST_.num_named_barrier, 0
	.set _ZN7rocprim17ROCPRIM_400000_NS6detail17trampoline_kernelINS0_14default_configENS1_22reduce_config_selectorIN6thrust23THRUST_200600_302600_NS5tupleIllNS6_9null_typeES8_S8_S8_S8_S8_S8_S8_EEEEZNS1_11reduce_implILb0ES3_NS6_12zip_iteratorINS7_INS6_10device_ptrIlEENS6_11hip_rocprim19counting_iterator_tIlEES8_S8_S8_S8_S8_S8_S8_S8_EEEEPS9_S9_NSF_9__extrema9arg_max_fIllNS6_4lessIlEEEEEE10hipError_tPvRmT1_T2_T3_mT4_P12ihipStream_tbEUlT_E0_NS1_11comp_targetILNS1_3genE2ELNS1_11target_archE906ELNS1_3gpuE6ELNS1_3repE0EEENS1_30default_config_static_selectorELNS0_4arch9wavefront6targetE1EEEvST_.private_seg_size, 0
	.set _ZN7rocprim17ROCPRIM_400000_NS6detail17trampoline_kernelINS0_14default_configENS1_22reduce_config_selectorIN6thrust23THRUST_200600_302600_NS5tupleIllNS6_9null_typeES8_S8_S8_S8_S8_S8_S8_EEEEZNS1_11reduce_implILb0ES3_NS6_12zip_iteratorINS7_INS6_10device_ptrIlEENS6_11hip_rocprim19counting_iterator_tIlEES8_S8_S8_S8_S8_S8_S8_S8_EEEEPS9_S9_NSF_9__extrema9arg_max_fIllNS6_4lessIlEEEEEE10hipError_tPvRmT1_T2_T3_mT4_P12ihipStream_tbEUlT_E0_NS1_11comp_targetILNS1_3genE2ELNS1_11target_archE906ELNS1_3gpuE6ELNS1_3repE0EEENS1_30default_config_static_selectorELNS0_4arch9wavefront6targetE1EEEvST_.uses_vcc, 1
	.set _ZN7rocprim17ROCPRIM_400000_NS6detail17trampoline_kernelINS0_14default_configENS1_22reduce_config_selectorIN6thrust23THRUST_200600_302600_NS5tupleIllNS6_9null_typeES8_S8_S8_S8_S8_S8_S8_EEEEZNS1_11reduce_implILb0ES3_NS6_12zip_iteratorINS7_INS6_10device_ptrIlEENS6_11hip_rocprim19counting_iterator_tIlEES8_S8_S8_S8_S8_S8_S8_S8_EEEEPS9_S9_NSF_9__extrema9arg_max_fIllNS6_4lessIlEEEEEE10hipError_tPvRmT1_T2_T3_mT4_P12ihipStream_tbEUlT_E0_NS1_11comp_targetILNS1_3genE2ELNS1_11target_archE906ELNS1_3gpuE6ELNS1_3repE0EEENS1_30default_config_static_selectorELNS0_4arch9wavefront6targetE1EEEvST_.uses_flat_scratch, 0
	.set _ZN7rocprim17ROCPRIM_400000_NS6detail17trampoline_kernelINS0_14default_configENS1_22reduce_config_selectorIN6thrust23THRUST_200600_302600_NS5tupleIllNS6_9null_typeES8_S8_S8_S8_S8_S8_S8_EEEEZNS1_11reduce_implILb0ES3_NS6_12zip_iteratorINS7_INS6_10device_ptrIlEENS6_11hip_rocprim19counting_iterator_tIlEES8_S8_S8_S8_S8_S8_S8_S8_EEEEPS9_S9_NSF_9__extrema9arg_max_fIllNS6_4lessIlEEEEEE10hipError_tPvRmT1_T2_T3_mT4_P12ihipStream_tbEUlT_E0_NS1_11comp_targetILNS1_3genE2ELNS1_11target_archE906ELNS1_3gpuE6ELNS1_3repE0EEENS1_30default_config_static_selectorELNS0_4arch9wavefront6targetE1EEEvST_.has_dyn_sized_stack, 0
	.set _ZN7rocprim17ROCPRIM_400000_NS6detail17trampoline_kernelINS0_14default_configENS1_22reduce_config_selectorIN6thrust23THRUST_200600_302600_NS5tupleIllNS6_9null_typeES8_S8_S8_S8_S8_S8_S8_EEEEZNS1_11reduce_implILb0ES3_NS6_12zip_iteratorINS7_INS6_10device_ptrIlEENS6_11hip_rocprim19counting_iterator_tIlEES8_S8_S8_S8_S8_S8_S8_S8_EEEEPS9_S9_NSF_9__extrema9arg_max_fIllNS6_4lessIlEEEEEE10hipError_tPvRmT1_T2_T3_mT4_P12ihipStream_tbEUlT_E0_NS1_11comp_targetILNS1_3genE2ELNS1_11target_archE906ELNS1_3gpuE6ELNS1_3repE0EEENS1_30default_config_static_selectorELNS0_4arch9wavefront6targetE1EEEvST_.has_recursion, 0
	.set _ZN7rocprim17ROCPRIM_400000_NS6detail17trampoline_kernelINS0_14default_configENS1_22reduce_config_selectorIN6thrust23THRUST_200600_302600_NS5tupleIllNS6_9null_typeES8_S8_S8_S8_S8_S8_S8_EEEEZNS1_11reduce_implILb0ES3_NS6_12zip_iteratorINS7_INS6_10device_ptrIlEENS6_11hip_rocprim19counting_iterator_tIlEES8_S8_S8_S8_S8_S8_S8_S8_EEEEPS9_S9_NSF_9__extrema9arg_max_fIllNS6_4lessIlEEEEEE10hipError_tPvRmT1_T2_T3_mT4_P12ihipStream_tbEUlT_E0_NS1_11comp_targetILNS1_3genE2ELNS1_11target_archE906ELNS1_3gpuE6ELNS1_3repE0EEENS1_30default_config_static_selectorELNS0_4arch9wavefront6targetE1EEEvST_.has_indirect_call, 0
	.section	.AMDGPU.csdata,"",@progbits
; Kernel info:
; codeLenInByte = 2336
; TotalNumSgprs: 30
; NumVgprs: 15
; ScratchSize: 0
; MemoryBound: 0
; FloatMode: 240
; IeeeMode: 1
; LDSByteSize: 64 bytes/workgroup (compile time only)
; SGPRBlocks: 3
; VGPRBlocks: 3
; NumSGPRsForWavesPerEU: 30
; NumVGPRsForWavesPerEU: 15
; Occupancy: 10
; WaveLimiterHint : 1
; COMPUTE_PGM_RSRC2:SCRATCH_EN: 0
; COMPUTE_PGM_RSRC2:USER_SGPR: 6
; COMPUTE_PGM_RSRC2:TRAP_HANDLER: 0
; COMPUTE_PGM_RSRC2:TGID_X_EN: 1
; COMPUTE_PGM_RSRC2:TGID_Y_EN: 0
; COMPUTE_PGM_RSRC2:TGID_Z_EN: 0
; COMPUTE_PGM_RSRC2:TIDIG_COMP_CNT: 0
	.section	.text._ZN7rocprim17ROCPRIM_400000_NS6detail17trampoline_kernelINS0_14default_configENS1_22reduce_config_selectorIN6thrust23THRUST_200600_302600_NS5tupleIllNS6_9null_typeES8_S8_S8_S8_S8_S8_S8_EEEEZNS1_11reduce_implILb0ES3_NS6_12zip_iteratorINS7_INS6_10device_ptrIlEENS6_11hip_rocprim19counting_iterator_tIlEES8_S8_S8_S8_S8_S8_S8_S8_EEEEPS9_S9_NSF_9__extrema9arg_max_fIllNS6_4lessIlEEEEEE10hipError_tPvRmT1_T2_T3_mT4_P12ihipStream_tbEUlT_E0_NS1_11comp_targetILNS1_3genE10ELNS1_11target_archE1201ELNS1_3gpuE5ELNS1_3repE0EEENS1_30default_config_static_selectorELNS0_4arch9wavefront6targetE1EEEvST_,"axG",@progbits,_ZN7rocprim17ROCPRIM_400000_NS6detail17trampoline_kernelINS0_14default_configENS1_22reduce_config_selectorIN6thrust23THRUST_200600_302600_NS5tupleIllNS6_9null_typeES8_S8_S8_S8_S8_S8_S8_EEEEZNS1_11reduce_implILb0ES3_NS6_12zip_iteratorINS7_INS6_10device_ptrIlEENS6_11hip_rocprim19counting_iterator_tIlEES8_S8_S8_S8_S8_S8_S8_S8_EEEEPS9_S9_NSF_9__extrema9arg_max_fIllNS6_4lessIlEEEEEE10hipError_tPvRmT1_T2_T3_mT4_P12ihipStream_tbEUlT_E0_NS1_11comp_targetILNS1_3genE10ELNS1_11target_archE1201ELNS1_3gpuE5ELNS1_3repE0EEENS1_30default_config_static_selectorELNS0_4arch9wavefront6targetE1EEEvST_,comdat
	.protected	_ZN7rocprim17ROCPRIM_400000_NS6detail17trampoline_kernelINS0_14default_configENS1_22reduce_config_selectorIN6thrust23THRUST_200600_302600_NS5tupleIllNS6_9null_typeES8_S8_S8_S8_S8_S8_S8_EEEEZNS1_11reduce_implILb0ES3_NS6_12zip_iteratorINS7_INS6_10device_ptrIlEENS6_11hip_rocprim19counting_iterator_tIlEES8_S8_S8_S8_S8_S8_S8_S8_EEEEPS9_S9_NSF_9__extrema9arg_max_fIllNS6_4lessIlEEEEEE10hipError_tPvRmT1_T2_T3_mT4_P12ihipStream_tbEUlT_E0_NS1_11comp_targetILNS1_3genE10ELNS1_11target_archE1201ELNS1_3gpuE5ELNS1_3repE0EEENS1_30default_config_static_selectorELNS0_4arch9wavefront6targetE1EEEvST_ ; -- Begin function _ZN7rocprim17ROCPRIM_400000_NS6detail17trampoline_kernelINS0_14default_configENS1_22reduce_config_selectorIN6thrust23THRUST_200600_302600_NS5tupleIllNS6_9null_typeES8_S8_S8_S8_S8_S8_S8_EEEEZNS1_11reduce_implILb0ES3_NS6_12zip_iteratorINS7_INS6_10device_ptrIlEENS6_11hip_rocprim19counting_iterator_tIlEES8_S8_S8_S8_S8_S8_S8_S8_EEEEPS9_S9_NSF_9__extrema9arg_max_fIllNS6_4lessIlEEEEEE10hipError_tPvRmT1_T2_T3_mT4_P12ihipStream_tbEUlT_E0_NS1_11comp_targetILNS1_3genE10ELNS1_11target_archE1201ELNS1_3gpuE5ELNS1_3repE0EEENS1_30default_config_static_selectorELNS0_4arch9wavefront6targetE1EEEvST_
	.globl	_ZN7rocprim17ROCPRIM_400000_NS6detail17trampoline_kernelINS0_14default_configENS1_22reduce_config_selectorIN6thrust23THRUST_200600_302600_NS5tupleIllNS6_9null_typeES8_S8_S8_S8_S8_S8_S8_EEEEZNS1_11reduce_implILb0ES3_NS6_12zip_iteratorINS7_INS6_10device_ptrIlEENS6_11hip_rocprim19counting_iterator_tIlEES8_S8_S8_S8_S8_S8_S8_S8_EEEEPS9_S9_NSF_9__extrema9arg_max_fIllNS6_4lessIlEEEEEE10hipError_tPvRmT1_T2_T3_mT4_P12ihipStream_tbEUlT_E0_NS1_11comp_targetILNS1_3genE10ELNS1_11target_archE1201ELNS1_3gpuE5ELNS1_3repE0EEENS1_30default_config_static_selectorELNS0_4arch9wavefront6targetE1EEEvST_
	.p2align	8
	.type	_ZN7rocprim17ROCPRIM_400000_NS6detail17trampoline_kernelINS0_14default_configENS1_22reduce_config_selectorIN6thrust23THRUST_200600_302600_NS5tupleIllNS6_9null_typeES8_S8_S8_S8_S8_S8_S8_EEEEZNS1_11reduce_implILb0ES3_NS6_12zip_iteratorINS7_INS6_10device_ptrIlEENS6_11hip_rocprim19counting_iterator_tIlEES8_S8_S8_S8_S8_S8_S8_S8_EEEEPS9_S9_NSF_9__extrema9arg_max_fIllNS6_4lessIlEEEEEE10hipError_tPvRmT1_T2_T3_mT4_P12ihipStream_tbEUlT_E0_NS1_11comp_targetILNS1_3genE10ELNS1_11target_archE1201ELNS1_3gpuE5ELNS1_3repE0EEENS1_30default_config_static_selectorELNS0_4arch9wavefront6targetE1EEEvST_,@function
_ZN7rocprim17ROCPRIM_400000_NS6detail17trampoline_kernelINS0_14default_configENS1_22reduce_config_selectorIN6thrust23THRUST_200600_302600_NS5tupleIllNS6_9null_typeES8_S8_S8_S8_S8_S8_S8_EEEEZNS1_11reduce_implILb0ES3_NS6_12zip_iteratorINS7_INS6_10device_ptrIlEENS6_11hip_rocprim19counting_iterator_tIlEES8_S8_S8_S8_S8_S8_S8_S8_EEEEPS9_S9_NSF_9__extrema9arg_max_fIllNS6_4lessIlEEEEEE10hipError_tPvRmT1_T2_T3_mT4_P12ihipStream_tbEUlT_E0_NS1_11comp_targetILNS1_3genE10ELNS1_11target_archE1201ELNS1_3gpuE5ELNS1_3repE0EEENS1_30default_config_static_selectorELNS0_4arch9wavefront6targetE1EEEvST_: ; @_ZN7rocprim17ROCPRIM_400000_NS6detail17trampoline_kernelINS0_14default_configENS1_22reduce_config_selectorIN6thrust23THRUST_200600_302600_NS5tupleIllNS6_9null_typeES8_S8_S8_S8_S8_S8_S8_EEEEZNS1_11reduce_implILb0ES3_NS6_12zip_iteratorINS7_INS6_10device_ptrIlEENS6_11hip_rocprim19counting_iterator_tIlEES8_S8_S8_S8_S8_S8_S8_S8_EEEEPS9_S9_NSF_9__extrema9arg_max_fIllNS6_4lessIlEEEEEE10hipError_tPvRmT1_T2_T3_mT4_P12ihipStream_tbEUlT_E0_NS1_11comp_targetILNS1_3genE10ELNS1_11target_archE1201ELNS1_3gpuE5ELNS1_3repE0EEENS1_30default_config_static_selectorELNS0_4arch9wavefront6targetE1EEEvST_
; %bb.0:
	.section	.rodata,"a",@progbits
	.p2align	6, 0x0
	.amdhsa_kernel _ZN7rocprim17ROCPRIM_400000_NS6detail17trampoline_kernelINS0_14default_configENS1_22reduce_config_selectorIN6thrust23THRUST_200600_302600_NS5tupleIllNS6_9null_typeES8_S8_S8_S8_S8_S8_S8_EEEEZNS1_11reduce_implILb0ES3_NS6_12zip_iteratorINS7_INS6_10device_ptrIlEENS6_11hip_rocprim19counting_iterator_tIlEES8_S8_S8_S8_S8_S8_S8_S8_EEEEPS9_S9_NSF_9__extrema9arg_max_fIllNS6_4lessIlEEEEEE10hipError_tPvRmT1_T2_T3_mT4_P12ihipStream_tbEUlT_E0_NS1_11comp_targetILNS1_3genE10ELNS1_11target_archE1201ELNS1_3gpuE5ELNS1_3repE0EEENS1_30default_config_static_selectorELNS0_4arch9wavefront6targetE1EEEvST_
		.amdhsa_group_segment_fixed_size 0
		.amdhsa_private_segment_fixed_size 0
		.amdhsa_kernarg_size 80
		.amdhsa_user_sgpr_count 6
		.amdhsa_user_sgpr_private_segment_buffer 1
		.amdhsa_user_sgpr_dispatch_ptr 0
		.amdhsa_user_sgpr_queue_ptr 0
		.amdhsa_user_sgpr_kernarg_segment_ptr 1
		.amdhsa_user_sgpr_dispatch_id 0
		.amdhsa_user_sgpr_flat_scratch_init 0
		.amdhsa_user_sgpr_private_segment_size 0
		.amdhsa_uses_dynamic_stack 0
		.amdhsa_system_sgpr_private_segment_wavefront_offset 0
		.amdhsa_system_sgpr_workgroup_id_x 1
		.amdhsa_system_sgpr_workgroup_id_y 0
		.amdhsa_system_sgpr_workgroup_id_z 0
		.amdhsa_system_sgpr_workgroup_info 0
		.amdhsa_system_vgpr_workitem_id 0
		.amdhsa_next_free_vgpr 1
		.amdhsa_next_free_sgpr 0
		.amdhsa_reserve_vcc 0
		.amdhsa_reserve_flat_scratch 0
		.amdhsa_float_round_mode_32 0
		.amdhsa_float_round_mode_16_64 0
		.amdhsa_float_denorm_mode_32 3
		.amdhsa_float_denorm_mode_16_64 3
		.amdhsa_dx10_clamp 1
		.amdhsa_ieee_mode 1
		.amdhsa_fp16_overflow 0
		.amdhsa_exception_fp_ieee_invalid_op 0
		.amdhsa_exception_fp_denorm_src 0
		.amdhsa_exception_fp_ieee_div_zero 0
		.amdhsa_exception_fp_ieee_overflow 0
		.amdhsa_exception_fp_ieee_underflow 0
		.amdhsa_exception_fp_ieee_inexact 0
		.amdhsa_exception_int_div_zero 0
	.end_amdhsa_kernel
	.section	.text._ZN7rocprim17ROCPRIM_400000_NS6detail17trampoline_kernelINS0_14default_configENS1_22reduce_config_selectorIN6thrust23THRUST_200600_302600_NS5tupleIllNS6_9null_typeES8_S8_S8_S8_S8_S8_S8_EEEEZNS1_11reduce_implILb0ES3_NS6_12zip_iteratorINS7_INS6_10device_ptrIlEENS6_11hip_rocprim19counting_iterator_tIlEES8_S8_S8_S8_S8_S8_S8_S8_EEEEPS9_S9_NSF_9__extrema9arg_max_fIllNS6_4lessIlEEEEEE10hipError_tPvRmT1_T2_T3_mT4_P12ihipStream_tbEUlT_E0_NS1_11comp_targetILNS1_3genE10ELNS1_11target_archE1201ELNS1_3gpuE5ELNS1_3repE0EEENS1_30default_config_static_selectorELNS0_4arch9wavefront6targetE1EEEvST_,"axG",@progbits,_ZN7rocprim17ROCPRIM_400000_NS6detail17trampoline_kernelINS0_14default_configENS1_22reduce_config_selectorIN6thrust23THRUST_200600_302600_NS5tupleIllNS6_9null_typeES8_S8_S8_S8_S8_S8_S8_EEEEZNS1_11reduce_implILb0ES3_NS6_12zip_iteratorINS7_INS6_10device_ptrIlEENS6_11hip_rocprim19counting_iterator_tIlEES8_S8_S8_S8_S8_S8_S8_S8_EEEEPS9_S9_NSF_9__extrema9arg_max_fIllNS6_4lessIlEEEEEE10hipError_tPvRmT1_T2_T3_mT4_P12ihipStream_tbEUlT_E0_NS1_11comp_targetILNS1_3genE10ELNS1_11target_archE1201ELNS1_3gpuE5ELNS1_3repE0EEENS1_30default_config_static_selectorELNS0_4arch9wavefront6targetE1EEEvST_,comdat
.Lfunc_end426:
	.size	_ZN7rocprim17ROCPRIM_400000_NS6detail17trampoline_kernelINS0_14default_configENS1_22reduce_config_selectorIN6thrust23THRUST_200600_302600_NS5tupleIllNS6_9null_typeES8_S8_S8_S8_S8_S8_S8_EEEEZNS1_11reduce_implILb0ES3_NS6_12zip_iteratorINS7_INS6_10device_ptrIlEENS6_11hip_rocprim19counting_iterator_tIlEES8_S8_S8_S8_S8_S8_S8_S8_EEEEPS9_S9_NSF_9__extrema9arg_max_fIllNS6_4lessIlEEEEEE10hipError_tPvRmT1_T2_T3_mT4_P12ihipStream_tbEUlT_E0_NS1_11comp_targetILNS1_3genE10ELNS1_11target_archE1201ELNS1_3gpuE5ELNS1_3repE0EEENS1_30default_config_static_selectorELNS0_4arch9wavefront6targetE1EEEvST_, .Lfunc_end426-_ZN7rocprim17ROCPRIM_400000_NS6detail17trampoline_kernelINS0_14default_configENS1_22reduce_config_selectorIN6thrust23THRUST_200600_302600_NS5tupleIllNS6_9null_typeES8_S8_S8_S8_S8_S8_S8_EEEEZNS1_11reduce_implILb0ES3_NS6_12zip_iteratorINS7_INS6_10device_ptrIlEENS6_11hip_rocprim19counting_iterator_tIlEES8_S8_S8_S8_S8_S8_S8_S8_EEEEPS9_S9_NSF_9__extrema9arg_max_fIllNS6_4lessIlEEEEEE10hipError_tPvRmT1_T2_T3_mT4_P12ihipStream_tbEUlT_E0_NS1_11comp_targetILNS1_3genE10ELNS1_11target_archE1201ELNS1_3gpuE5ELNS1_3repE0EEENS1_30default_config_static_selectorELNS0_4arch9wavefront6targetE1EEEvST_
                                        ; -- End function
	.set _ZN7rocprim17ROCPRIM_400000_NS6detail17trampoline_kernelINS0_14default_configENS1_22reduce_config_selectorIN6thrust23THRUST_200600_302600_NS5tupleIllNS6_9null_typeES8_S8_S8_S8_S8_S8_S8_EEEEZNS1_11reduce_implILb0ES3_NS6_12zip_iteratorINS7_INS6_10device_ptrIlEENS6_11hip_rocprim19counting_iterator_tIlEES8_S8_S8_S8_S8_S8_S8_S8_EEEEPS9_S9_NSF_9__extrema9arg_max_fIllNS6_4lessIlEEEEEE10hipError_tPvRmT1_T2_T3_mT4_P12ihipStream_tbEUlT_E0_NS1_11comp_targetILNS1_3genE10ELNS1_11target_archE1201ELNS1_3gpuE5ELNS1_3repE0EEENS1_30default_config_static_selectorELNS0_4arch9wavefront6targetE1EEEvST_.num_vgpr, 0
	.set _ZN7rocprim17ROCPRIM_400000_NS6detail17trampoline_kernelINS0_14default_configENS1_22reduce_config_selectorIN6thrust23THRUST_200600_302600_NS5tupleIllNS6_9null_typeES8_S8_S8_S8_S8_S8_S8_EEEEZNS1_11reduce_implILb0ES3_NS6_12zip_iteratorINS7_INS6_10device_ptrIlEENS6_11hip_rocprim19counting_iterator_tIlEES8_S8_S8_S8_S8_S8_S8_S8_EEEEPS9_S9_NSF_9__extrema9arg_max_fIllNS6_4lessIlEEEEEE10hipError_tPvRmT1_T2_T3_mT4_P12ihipStream_tbEUlT_E0_NS1_11comp_targetILNS1_3genE10ELNS1_11target_archE1201ELNS1_3gpuE5ELNS1_3repE0EEENS1_30default_config_static_selectorELNS0_4arch9wavefront6targetE1EEEvST_.num_agpr, 0
	.set _ZN7rocprim17ROCPRIM_400000_NS6detail17trampoline_kernelINS0_14default_configENS1_22reduce_config_selectorIN6thrust23THRUST_200600_302600_NS5tupleIllNS6_9null_typeES8_S8_S8_S8_S8_S8_S8_EEEEZNS1_11reduce_implILb0ES3_NS6_12zip_iteratorINS7_INS6_10device_ptrIlEENS6_11hip_rocprim19counting_iterator_tIlEES8_S8_S8_S8_S8_S8_S8_S8_EEEEPS9_S9_NSF_9__extrema9arg_max_fIllNS6_4lessIlEEEEEE10hipError_tPvRmT1_T2_T3_mT4_P12ihipStream_tbEUlT_E0_NS1_11comp_targetILNS1_3genE10ELNS1_11target_archE1201ELNS1_3gpuE5ELNS1_3repE0EEENS1_30default_config_static_selectorELNS0_4arch9wavefront6targetE1EEEvST_.numbered_sgpr, 0
	.set _ZN7rocprim17ROCPRIM_400000_NS6detail17trampoline_kernelINS0_14default_configENS1_22reduce_config_selectorIN6thrust23THRUST_200600_302600_NS5tupleIllNS6_9null_typeES8_S8_S8_S8_S8_S8_S8_EEEEZNS1_11reduce_implILb0ES3_NS6_12zip_iteratorINS7_INS6_10device_ptrIlEENS6_11hip_rocprim19counting_iterator_tIlEES8_S8_S8_S8_S8_S8_S8_S8_EEEEPS9_S9_NSF_9__extrema9arg_max_fIllNS6_4lessIlEEEEEE10hipError_tPvRmT1_T2_T3_mT4_P12ihipStream_tbEUlT_E0_NS1_11comp_targetILNS1_3genE10ELNS1_11target_archE1201ELNS1_3gpuE5ELNS1_3repE0EEENS1_30default_config_static_selectorELNS0_4arch9wavefront6targetE1EEEvST_.num_named_barrier, 0
	.set _ZN7rocprim17ROCPRIM_400000_NS6detail17trampoline_kernelINS0_14default_configENS1_22reduce_config_selectorIN6thrust23THRUST_200600_302600_NS5tupleIllNS6_9null_typeES8_S8_S8_S8_S8_S8_S8_EEEEZNS1_11reduce_implILb0ES3_NS6_12zip_iteratorINS7_INS6_10device_ptrIlEENS6_11hip_rocprim19counting_iterator_tIlEES8_S8_S8_S8_S8_S8_S8_S8_EEEEPS9_S9_NSF_9__extrema9arg_max_fIllNS6_4lessIlEEEEEE10hipError_tPvRmT1_T2_T3_mT4_P12ihipStream_tbEUlT_E0_NS1_11comp_targetILNS1_3genE10ELNS1_11target_archE1201ELNS1_3gpuE5ELNS1_3repE0EEENS1_30default_config_static_selectorELNS0_4arch9wavefront6targetE1EEEvST_.private_seg_size, 0
	.set _ZN7rocprim17ROCPRIM_400000_NS6detail17trampoline_kernelINS0_14default_configENS1_22reduce_config_selectorIN6thrust23THRUST_200600_302600_NS5tupleIllNS6_9null_typeES8_S8_S8_S8_S8_S8_S8_EEEEZNS1_11reduce_implILb0ES3_NS6_12zip_iteratorINS7_INS6_10device_ptrIlEENS6_11hip_rocprim19counting_iterator_tIlEES8_S8_S8_S8_S8_S8_S8_S8_EEEEPS9_S9_NSF_9__extrema9arg_max_fIllNS6_4lessIlEEEEEE10hipError_tPvRmT1_T2_T3_mT4_P12ihipStream_tbEUlT_E0_NS1_11comp_targetILNS1_3genE10ELNS1_11target_archE1201ELNS1_3gpuE5ELNS1_3repE0EEENS1_30default_config_static_selectorELNS0_4arch9wavefront6targetE1EEEvST_.uses_vcc, 0
	.set _ZN7rocprim17ROCPRIM_400000_NS6detail17trampoline_kernelINS0_14default_configENS1_22reduce_config_selectorIN6thrust23THRUST_200600_302600_NS5tupleIllNS6_9null_typeES8_S8_S8_S8_S8_S8_S8_EEEEZNS1_11reduce_implILb0ES3_NS6_12zip_iteratorINS7_INS6_10device_ptrIlEENS6_11hip_rocprim19counting_iterator_tIlEES8_S8_S8_S8_S8_S8_S8_S8_EEEEPS9_S9_NSF_9__extrema9arg_max_fIllNS6_4lessIlEEEEEE10hipError_tPvRmT1_T2_T3_mT4_P12ihipStream_tbEUlT_E0_NS1_11comp_targetILNS1_3genE10ELNS1_11target_archE1201ELNS1_3gpuE5ELNS1_3repE0EEENS1_30default_config_static_selectorELNS0_4arch9wavefront6targetE1EEEvST_.uses_flat_scratch, 0
	.set _ZN7rocprim17ROCPRIM_400000_NS6detail17trampoline_kernelINS0_14default_configENS1_22reduce_config_selectorIN6thrust23THRUST_200600_302600_NS5tupleIllNS6_9null_typeES8_S8_S8_S8_S8_S8_S8_EEEEZNS1_11reduce_implILb0ES3_NS6_12zip_iteratorINS7_INS6_10device_ptrIlEENS6_11hip_rocprim19counting_iterator_tIlEES8_S8_S8_S8_S8_S8_S8_S8_EEEEPS9_S9_NSF_9__extrema9arg_max_fIllNS6_4lessIlEEEEEE10hipError_tPvRmT1_T2_T3_mT4_P12ihipStream_tbEUlT_E0_NS1_11comp_targetILNS1_3genE10ELNS1_11target_archE1201ELNS1_3gpuE5ELNS1_3repE0EEENS1_30default_config_static_selectorELNS0_4arch9wavefront6targetE1EEEvST_.has_dyn_sized_stack, 0
	.set _ZN7rocprim17ROCPRIM_400000_NS6detail17trampoline_kernelINS0_14default_configENS1_22reduce_config_selectorIN6thrust23THRUST_200600_302600_NS5tupleIllNS6_9null_typeES8_S8_S8_S8_S8_S8_S8_EEEEZNS1_11reduce_implILb0ES3_NS6_12zip_iteratorINS7_INS6_10device_ptrIlEENS6_11hip_rocprim19counting_iterator_tIlEES8_S8_S8_S8_S8_S8_S8_S8_EEEEPS9_S9_NSF_9__extrema9arg_max_fIllNS6_4lessIlEEEEEE10hipError_tPvRmT1_T2_T3_mT4_P12ihipStream_tbEUlT_E0_NS1_11comp_targetILNS1_3genE10ELNS1_11target_archE1201ELNS1_3gpuE5ELNS1_3repE0EEENS1_30default_config_static_selectorELNS0_4arch9wavefront6targetE1EEEvST_.has_recursion, 0
	.set _ZN7rocprim17ROCPRIM_400000_NS6detail17trampoline_kernelINS0_14default_configENS1_22reduce_config_selectorIN6thrust23THRUST_200600_302600_NS5tupleIllNS6_9null_typeES8_S8_S8_S8_S8_S8_S8_EEEEZNS1_11reduce_implILb0ES3_NS6_12zip_iteratorINS7_INS6_10device_ptrIlEENS6_11hip_rocprim19counting_iterator_tIlEES8_S8_S8_S8_S8_S8_S8_S8_EEEEPS9_S9_NSF_9__extrema9arg_max_fIllNS6_4lessIlEEEEEE10hipError_tPvRmT1_T2_T3_mT4_P12ihipStream_tbEUlT_E0_NS1_11comp_targetILNS1_3genE10ELNS1_11target_archE1201ELNS1_3gpuE5ELNS1_3repE0EEENS1_30default_config_static_selectorELNS0_4arch9wavefront6targetE1EEEvST_.has_indirect_call, 0
	.section	.AMDGPU.csdata,"",@progbits
; Kernel info:
; codeLenInByte = 0
; TotalNumSgprs: 4
; NumVgprs: 0
; ScratchSize: 0
; MemoryBound: 0
; FloatMode: 240
; IeeeMode: 1
; LDSByteSize: 0 bytes/workgroup (compile time only)
; SGPRBlocks: 0
; VGPRBlocks: 0
; NumSGPRsForWavesPerEU: 4
; NumVGPRsForWavesPerEU: 1
; Occupancy: 10
; WaveLimiterHint : 0
; COMPUTE_PGM_RSRC2:SCRATCH_EN: 0
; COMPUTE_PGM_RSRC2:USER_SGPR: 6
; COMPUTE_PGM_RSRC2:TRAP_HANDLER: 0
; COMPUTE_PGM_RSRC2:TGID_X_EN: 1
; COMPUTE_PGM_RSRC2:TGID_Y_EN: 0
; COMPUTE_PGM_RSRC2:TGID_Z_EN: 0
; COMPUTE_PGM_RSRC2:TIDIG_COMP_CNT: 0
	.section	.text._ZN7rocprim17ROCPRIM_400000_NS6detail17trampoline_kernelINS0_14default_configENS1_22reduce_config_selectorIN6thrust23THRUST_200600_302600_NS5tupleIllNS6_9null_typeES8_S8_S8_S8_S8_S8_S8_EEEEZNS1_11reduce_implILb0ES3_NS6_12zip_iteratorINS7_INS6_10device_ptrIlEENS6_11hip_rocprim19counting_iterator_tIlEES8_S8_S8_S8_S8_S8_S8_S8_EEEEPS9_S9_NSF_9__extrema9arg_max_fIllNS6_4lessIlEEEEEE10hipError_tPvRmT1_T2_T3_mT4_P12ihipStream_tbEUlT_E0_NS1_11comp_targetILNS1_3genE10ELNS1_11target_archE1200ELNS1_3gpuE4ELNS1_3repE0EEENS1_30default_config_static_selectorELNS0_4arch9wavefront6targetE1EEEvST_,"axG",@progbits,_ZN7rocprim17ROCPRIM_400000_NS6detail17trampoline_kernelINS0_14default_configENS1_22reduce_config_selectorIN6thrust23THRUST_200600_302600_NS5tupleIllNS6_9null_typeES8_S8_S8_S8_S8_S8_S8_EEEEZNS1_11reduce_implILb0ES3_NS6_12zip_iteratorINS7_INS6_10device_ptrIlEENS6_11hip_rocprim19counting_iterator_tIlEES8_S8_S8_S8_S8_S8_S8_S8_EEEEPS9_S9_NSF_9__extrema9arg_max_fIllNS6_4lessIlEEEEEE10hipError_tPvRmT1_T2_T3_mT4_P12ihipStream_tbEUlT_E0_NS1_11comp_targetILNS1_3genE10ELNS1_11target_archE1200ELNS1_3gpuE4ELNS1_3repE0EEENS1_30default_config_static_selectorELNS0_4arch9wavefront6targetE1EEEvST_,comdat
	.protected	_ZN7rocprim17ROCPRIM_400000_NS6detail17trampoline_kernelINS0_14default_configENS1_22reduce_config_selectorIN6thrust23THRUST_200600_302600_NS5tupleIllNS6_9null_typeES8_S8_S8_S8_S8_S8_S8_EEEEZNS1_11reduce_implILb0ES3_NS6_12zip_iteratorINS7_INS6_10device_ptrIlEENS6_11hip_rocprim19counting_iterator_tIlEES8_S8_S8_S8_S8_S8_S8_S8_EEEEPS9_S9_NSF_9__extrema9arg_max_fIllNS6_4lessIlEEEEEE10hipError_tPvRmT1_T2_T3_mT4_P12ihipStream_tbEUlT_E0_NS1_11comp_targetILNS1_3genE10ELNS1_11target_archE1200ELNS1_3gpuE4ELNS1_3repE0EEENS1_30default_config_static_selectorELNS0_4arch9wavefront6targetE1EEEvST_ ; -- Begin function _ZN7rocprim17ROCPRIM_400000_NS6detail17trampoline_kernelINS0_14default_configENS1_22reduce_config_selectorIN6thrust23THRUST_200600_302600_NS5tupleIllNS6_9null_typeES8_S8_S8_S8_S8_S8_S8_EEEEZNS1_11reduce_implILb0ES3_NS6_12zip_iteratorINS7_INS6_10device_ptrIlEENS6_11hip_rocprim19counting_iterator_tIlEES8_S8_S8_S8_S8_S8_S8_S8_EEEEPS9_S9_NSF_9__extrema9arg_max_fIllNS6_4lessIlEEEEEE10hipError_tPvRmT1_T2_T3_mT4_P12ihipStream_tbEUlT_E0_NS1_11comp_targetILNS1_3genE10ELNS1_11target_archE1200ELNS1_3gpuE4ELNS1_3repE0EEENS1_30default_config_static_selectorELNS0_4arch9wavefront6targetE1EEEvST_
	.globl	_ZN7rocprim17ROCPRIM_400000_NS6detail17trampoline_kernelINS0_14default_configENS1_22reduce_config_selectorIN6thrust23THRUST_200600_302600_NS5tupleIllNS6_9null_typeES8_S8_S8_S8_S8_S8_S8_EEEEZNS1_11reduce_implILb0ES3_NS6_12zip_iteratorINS7_INS6_10device_ptrIlEENS6_11hip_rocprim19counting_iterator_tIlEES8_S8_S8_S8_S8_S8_S8_S8_EEEEPS9_S9_NSF_9__extrema9arg_max_fIllNS6_4lessIlEEEEEE10hipError_tPvRmT1_T2_T3_mT4_P12ihipStream_tbEUlT_E0_NS1_11comp_targetILNS1_3genE10ELNS1_11target_archE1200ELNS1_3gpuE4ELNS1_3repE0EEENS1_30default_config_static_selectorELNS0_4arch9wavefront6targetE1EEEvST_
	.p2align	8
	.type	_ZN7rocprim17ROCPRIM_400000_NS6detail17trampoline_kernelINS0_14default_configENS1_22reduce_config_selectorIN6thrust23THRUST_200600_302600_NS5tupleIllNS6_9null_typeES8_S8_S8_S8_S8_S8_S8_EEEEZNS1_11reduce_implILb0ES3_NS6_12zip_iteratorINS7_INS6_10device_ptrIlEENS6_11hip_rocprim19counting_iterator_tIlEES8_S8_S8_S8_S8_S8_S8_S8_EEEEPS9_S9_NSF_9__extrema9arg_max_fIllNS6_4lessIlEEEEEE10hipError_tPvRmT1_T2_T3_mT4_P12ihipStream_tbEUlT_E0_NS1_11comp_targetILNS1_3genE10ELNS1_11target_archE1200ELNS1_3gpuE4ELNS1_3repE0EEENS1_30default_config_static_selectorELNS0_4arch9wavefront6targetE1EEEvST_,@function
_ZN7rocprim17ROCPRIM_400000_NS6detail17trampoline_kernelINS0_14default_configENS1_22reduce_config_selectorIN6thrust23THRUST_200600_302600_NS5tupleIllNS6_9null_typeES8_S8_S8_S8_S8_S8_S8_EEEEZNS1_11reduce_implILb0ES3_NS6_12zip_iteratorINS7_INS6_10device_ptrIlEENS6_11hip_rocprim19counting_iterator_tIlEES8_S8_S8_S8_S8_S8_S8_S8_EEEEPS9_S9_NSF_9__extrema9arg_max_fIllNS6_4lessIlEEEEEE10hipError_tPvRmT1_T2_T3_mT4_P12ihipStream_tbEUlT_E0_NS1_11comp_targetILNS1_3genE10ELNS1_11target_archE1200ELNS1_3gpuE4ELNS1_3repE0EEENS1_30default_config_static_selectorELNS0_4arch9wavefront6targetE1EEEvST_: ; @_ZN7rocprim17ROCPRIM_400000_NS6detail17trampoline_kernelINS0_14default_configENS1_22reduce_config_selectorIN6thrust23THRUST_200600_302600_NS5tupleIllNS6_9null_typeES8_S8_S8_S8_S8_S8_S8_EEEEZNS1_11reduce_implILb0ES3_NS6_12zip_iteratorINS7_INS6_10device_ptrIlEENS6_11hip_rocprim19counting_iterator_tIlEES8_S8_S8_S8_S8_S8_S8_S8_EEEEPS9_S9_NSF_9__extrema9arg_max_fIllNS6_4lessIlEEEEEE10hipError_tPvRmT1_T2_T3_mT4_P12ihipStream_tbEUlT_E0_NS1_11comp_targetILNS1_3genE10ELNS1_11target_archE1200ELNS1_3gpuE4ELNS1_3repE0EEENS1_30default_config_static_selectorELNS0_4arch9wavefront6targetE1EEEvST_
; %bb.0:
	.section	.rodata,"a",@progbits
	.p2align	6, 0x0
	.amdhsa_kernel _ZN7rocprim17ROCPRIM_400000_NS6detail17trampoline_kernelINS0_14default_configENS1_22reduce_config_selectorIN6thrust23THRUST_200600_302600_NS5tupleIllNS6_9null_typeES8_S8_S8_S8_S8_S8_S8_EEEEZNS1_11reduce_implILb0ES3_NS6_12zip_iteratorINS7_INS6_10device_ptrIlEENS6_11hip_rocprim19counting_iterator_tIlEES8_S8_S8_S8_S8_S8_S8_S8_EEEEPS9_S9_NSF_9__extrema9arg_max_fIllNS6_4lessIlEEEEEE10hipError_tPvRmT1_T2_T3_mT4_P12ihipStream_tbEUlT_E0_NS1_11comp_targetILNS1_3genE10ELNS1_11target_archE1200ELNS1_3gpuE4ELNS1_3repE0EEENS1_30default_config_static_selectorELNS0_4arch9wavefront6targetE1EEEvST_
		.amdhsa_group_segment_fixed_size 0
		.amdhsa_private_segment_fixed_size 0
		.amdhsa_kernarg_size 80
		.amdhsa_user_sgpr_count 6
		.amdhsa_user_sgpr_private_segment_buffer 1
		.amdhsa_user_sgpr_dispatch_ptr 0
		.amdhsa_user_sgpr_queue_ptr 0
		.amdhsa_user_sgpr_kernarg_segment_ptr 1
		.amdhsa_user_sgpr_dispatch_id 0
		.amdhsa_user_sgpr_flat_scratch_init 0
		.amdhsa_user_sgpr_private_segment_size 0
		.amdhsa_uses_dynamic_stack 0
		.amdhsa_system_sgpr_private_segment_wavefront_offset 0
		.amdhsa_system_sgpr_workgroup_id_x 1
		.amdhsa_system_sgpr_workgroup_id_y 0
		.amdhsa_system_sgpr_workgroup_id_z 0
		.amdhsa_system_sgpr_workgroup_info 0
		.amdhsa_system_vgpr_workitem_id 0
		.amdhsa_next_free_vgpr 1
		.amdhsa_next_free_sgpr 0
		.amdhsa_reserve_vcc 0
		.amdhsa_reserve_flat_scratch 0
		.amdhsa_float_round_mode_32 0
		.amdhsa_float_round_mode_16_64 0
		.amdhsa_float_denorm_mode_32 3
		.amdhsa_float_denorm_mode_16_64 3
		.amdhsa_dx10_clamp 1
		.amdhsa_ieee_mode 1
		.amdhsa_fp16_overflow 0
		.amdhsa_exception_fp_ieee_invalid_op 0
		.amdhsa_exception_fp_denorm_src 0
		.amdhsa_exception_fp_ieee_div_zero 0
		.amdhsa_exception_fp_ieee_overflow 0
		.amdhsa_exception_fp_ieee_underflow 0
		.amdhsa_exception_fp_ieee_inexact 0
		.amdhsa_exception_int_div_zero 0
	.end_amdhsa_kernel
	.section	.text._ZN7rocprim17ROCPRIM_400000_NS6detail17trampoline_kernelINS0_14default_configENS1_22reduce_config_selectorIN6thrust23THRUST_200600_302600_NS5tupleIllNS6_9null_typeES8_S8_S8_S8_S8_S8_S8_EEEEZNS1_11reduce_implILb0ES3_NS6_12zip_iteratorINS7_INS6_10device_ptrIlEENS6_11hip_rocprim19counting_iterator_tIlEES8_S8_S8_S8_S8_S8_S8_S8_EEEEPS9_S9_NSF_9__extrema9arg_max_fIllNS6_4lessIlEEEEEE10hipError_tPvRmT1_T2_T3_mT4_P12ihipStream_tbEUlT_E0_NS1_11comp_targetILNS1_3genE10ELNS1_11target_archE1200ELNS1_3gpuE4ELNS1_3repE0EEENS1_30default_config_static_selectorELNS0_4arch9wavefront6targetE1EEEvST_,"axG",@progbits,_ZN7rocprim17ROCPRIM_400000_NS6detail17trampoline_kernelINS0_14default_configENS1_22reduce_config_selectorIN6thrust23THRUST_200600_302600_NS5tupleIllNS6_9null_typeES8_S8_S8_S8_S8_S8_S8_EEEEZNS1_11reduce_implILb0ES3_NS6_12zip_iteratorINS7_INS6_10device_ptrIlEENS6_11hip_rocprim19counting_iterator_tIlEES8_S8_S8_S8_S8_S8_S8_S8_EEEEPS9_S9_NSF_9__extrema9arg_max_fIllNS6_4lessIlEEEEEE10hipError_tPvRmT1_T2_T3_mT4_P12ihipStream_tbEUlT_E0_NS1_11comp_targetILNS1_3genE10ELNS1_11target_archE1200ELNS1_3gpuE4ELNS1_3repE0EEENS1_30default_config_static_selectorELNS0_4arch9wavefront6targetE1EEEvST_,comdat
.Lfunc_end427:
	.size	_ZN7rocprim17ROCPRIM_400000_NS6detail17trampoline_kernelINS0_14default_configENS1_22reduce_config_selectorIN6thrust23THRUST_200600_302600_NS5tupleIllNS6_9null_typeES8_S8_S8_S8_S8_S8_S8_EEEEZNS1_11reduce_implILb0ES3_NS6_12zip_iteratorINS7_INS6_10device_ptrIlEENS6_11hip_rocprim19counting_iterator_tIlEES8_S8_S8_S8_S8_S8_S8_S8_EEEEPS9_S9_NSF_9__extrema9arg_max_fIllNS6_4lessIlEEEEEE10hipError_tPvRmT1_T2_T3_mT4_P12ihipStream_tbEUlT_E0_NS1_11comp_targetILNS1_3genE10ELNS1_11target_archE1200ELNS1_3gpuE4ELNS1_3repE0EEENS1_30default_config_static_selectorELNS0_4arch9wavefront6targetE1EEEvST_, .Lfunc_end427-_ZN7rocprim17ROCPRIM_400000_NS6detail17trampoline_kernelINS0_14default_configENS1_22reduce_config_selectorIN6thrust23THRUST_200600_302600_NS5tupleIllNS6_9null_typeES8_S8_S8_S8_S8_S8_S8_EEEEZNS1_11reduce_implILb0ES3_NS6_12zip_iteratorINS7_INS6_10device_ptrIlEENS6_11hip_rocprim19counting_iterator_tIlEES8_S8_S8_S8_S8_S8_S8_S8_EEEEPS9_S9_NSF_9__extrema9arg_max_fIllNS6_4lessIlEEEEEE10hipError_tPvRmT1_T2_T3_mT4_P12ihipStream_tbEUlT_E0_NS1_11comp_targetILNS1_3genE10ELNS1_11target_archE1200ELNS1_3gpuE4ELNS1_3repE0EEENS1_30default_config_static_selectorELNS0_4arch9wavefront6targetE1EEEvST_
                                        ; -- End function
	.set _ZN7rocprim17ROCPRIM_400000_NS6detail17trampoline_kernelINS0_14default_configENS1_22reduce_config_selectorIN6thrust23THRUST_200600_302600_NS5tupleIllNS6_9null_typeES8_S8_S8_S8_S8_S8_S8_EEEEZNS1_11reduce_implILb0ES3_NS6_12zip_iteratorINS7_INS6_10device_ptrIlEENS6_11hip_rocprim19counting_iterator_tIlEES8_S8_S8_S8_S8_S8_S8_S8_EEEEPS9_S9_NSF_9__extrema9arg_max_fIllNS6_4lessIlEEEEEE10hipError_tPvRmT1_T2_T3_mT4_P12ihipStream_tbEUlT_E0_NS1_11comp_targetILNS1_3genE10ELNS1_11target_archE1200ELNS1_3gpuE4ELNS1_3repE0EEENS1_30default_config_static_selectorELNS0_4arch9wavefront6targetE1EEEvST_.num_vgpr, 0
	.set _ZN7rocprim17ROCPRIM_400000_NS6detail17trampoline_kernelINS0_14default_configENS1_22reduce_config_selectorIN6thrust23THRUST_200600_302600_NS5tupleIllNS6_9null_typeES8_S8_S8_S8_S8_S8_S8_EEEEZNS1_11reduce_implILb0ES3_NS6_12zip_iteratorINS7_INS6_10device_ptrIlEENS6_11hip_rocprim19counting_iterator_tIlEES8_S8_S8_S8_S8_S8_S8_S8_EEEEPS9_S9_NSF_9__extrema9arg_max_fIllNS6_4lessIlEEEEEE10hipError_tPvRmT1_T2_T3_mT4_P12ihipStream_tbEUlT_E0_NS1_11comp_targetILNS1_3genE10ELNS1_11target_archE1200ELNS1_3gpuE4ELNS1_3repE0EEENS1_30default_config_static_selectorELNS0_4arch9wavefront6targetE1EEEvST_.num_agpr, 0
	.set _ZN7rocprim17ROCPRIM_400000_NS6detail17trampoline_kernelINS0_14default_configENS1_22reduce_config_selectorIN6thrust23THRUST_200600_302600_NS5tupleIllNS6_9null_typeES8_S8_S8_S8_S8_S8_S8_EEEEZNS1_11reduce_implILb0ES3_NS6_12zip_iteratorINS7_INS6_10device_ptrIlEENS6_11hip_rocprim19counting_iterator_tIlEES8_S8_S8_S8_S8_S8_S8_S8_EEEEPS9_S9_NSF_9__extrema9arg_max_fIllNS6_4lessIlEEEEEE10hipError_tPvRmT1_T2_T3_mT4_P12ihipStream_tbEUlT_E0_NS1_11comp_targetILNS1_3genE10ELNS1_11target_archE1200ELNS1_3gpuE4ELNS1_3repE0EEENS1_30default_config_static_selectorELNS0_4arch9wavefront6targetE1EEEvST_.numbered_sgpr, 0
	.set _ZN7rocprim17ROCPRIM_400000_NS6detail17trampoline_kernelINS0_14default_configENS1_22reduce_config_selectorIN6thrust23THRUST_200600_302600_NS5tupleIllNS6_9null_typeES8_S8_S8_S8_S8_S8_S8_EEEEZNS1_11reduce_implILb0ES3_NS6_12zip_iteratorINS7_INS6_10device_ptrIlEENS6_11hip_rocprim19counting_iterator_tIlEES8_S8_S8_S8_S8_S8_S8_S8_EEEEPS9_S9_NSF_9__extrema9arg_max_fIllNS6_4lessIlEEEEEE10hipError_tPvRmT1_T2_T3_mT4_P12ihipStream_tbEUlT_E0_NS1_11comp_targetILNS1_3genE10ELNS1_11target_archE1200ELNS1_3gpuE4ELNS1_3repE0EEENS1_30default_config_static_selectorELNS0_4arch9wavefront6targetE1EEEvST_.num_named_barrier, 0
	.set _ZN7rocprim17ROCPRIM_400000_NS6detail17trampoline_kernelINS0_14default_configENS1_22reduce_config_selectorIN6thrust23THRUST_200600_302600_NS5tupleIllNS6_9null_typeES8_S8_S8_S8_S8_S8_S8_EEEEZNS1_11reduce_implILb0ES3_NS6_12zip_iteratorINS7_INS6_10device_ptrIlEENS6_11hip_rocprim19counting_iterator_tIlEES8_S8_S8_S8_S8_S8_S8_S8_EEEEPS9_S9_NSF_9__extrema9arg_max_fIllNS6_4lessIlEEEEEE10hipError_tPvRmT1_T2_T3_mT4_P12ihipStream_tbEUlT_E0_NS1_11comp_targetILNS1_3genE10ELNS1_11target_archE1200ELNS1_3gpuE4ELNS1_3repE0EEENS1_30default_config_static_selectorELNS0_4arch9wavefront6targetE1EEEvST_.private_seg_size, 0
	.set _ZN7rocprim17ROCPRIM_400000_NS6detail17trampoline_kernelINS0_14default_configENS1_22reduce_config_selectorIN6thrust23THRUST_200600_302600_NS5tupleIllNS6_9null_typeES8_S8_S8_S8_S8_S8_S8_EEEEZNS1_11reduce_implILb0ES3_NS6_12zip_iteratorINS7_INS6_10device_ptrIlEENS6_11hip_rocprim19counting_iterator_tIlEES8_S8_S8_S8_S8_S8_S8_S8_EEEEPS9_S9_NSF_9__extrema9arg_max_fIllNS6_4lessIlEEEEEE10hipError_tPvRmT1_T2_T3_mT4_P12ihipStream_tbEUlT_E0_NS1_11comp_targetILNS1_3genE10ELNS1_11target_archE1200ELNS1_3gpuE4ELNS1_3repE0EEENS1_30default_config_static_selectorELNS0_4arch9wavefront6targetE1EEEvST_.uses_vcc, 0
	.set _ZN7rocprim17ROCPRIM_400000_NS6detail17trampoline_kernelINS0_14default_configENS1_22reduce_config_selectorIN6thrust23THRUST_200600_302600_NS5tupleIllNS6_9null_typeES8_S8_S8_S8_S8_S8_S8_EEEEZNS1_11reduce_implILb0ES3_NS6_12zip_iteratorINS7_INS6_10device_ptrIlEENS6_11hip_rocprim19counting_iterator_tIlEES8_S8_S8_S8_S8_S8_S8_S8_EEEEPS9_S9_NSF_9__extrema9arg_max_fIllNS6_4lessIlEEEEEE10hipError_tPvRmT1_T2_T3_mT4_P12ihipStream_tbEUlT_E0_NS1_11comp_targetILNS1_3genE10ELNS1_11target_archE1200ELNS1_3gpuE4ELNS1_3repE0EEENS1_30default_config_static_selectorELNS0_4arch9wavefront6targetE1EEEvST_.uses_flat_scratch, 0
	.set _ZN7rocprim17ROCPRIM_400000_NS6detail17trampoline_kernelINS0_14default_configENS1_22reduce_config_selectorIN6thrust23THRUST_200600_302600_NS5tupleIllNS6_9null_typeES8_S8_S8_S8_S8_S8_S8_EEEEZNS1_11reduce_implILb0ES3_NS6_12zip_iteratorINS7_INS6_10device_ptrIlEENS6_11hip_rocprim19counting_iterator_tIlEES8_S8_S8_S8_S8_S8_S8_S8_EEEEPS9_S9_NSF_9__extrema9arg_max_fIllNS6_4lessIlEEEEEE10hipError_tPvRmT1_T2_T3_mT4_P12ihipStream_tbEUlT_E0_NS1_11comp_targetILNS1_3genE10ELNS1_11target_archE1200ELNS1_3gpuE4ELNS1_3repE0EEENS1_30default_config_static_selectorELNS0_4arch9wavefront6targetE1EEEvST_.has_dyn_sized_stack, 0
	.set _ZN7rocprim17ROCPRIM_400000_NS6detail17trampoline_kernelINS0_14default_configENS1_22reduce_config_selectorIN6thrust23THRUST_200600_302600_NS5tupleIllNS6_9null_typeES8_S8_S8_S8_S8_S8_S8_EEEEZNS1_11reduce_implILb0ES3_NS6_12zip_iteratorINS7_INS6_10device_ptrIlEENS6_11hip_rocprim19counting_iterator_tIlEES8_S8_S8_S8_S8_S8_S8_S8_EEEEPS9_S9_NSF_9__extrema9arg_max_fIllNS6_4lessIlEEEEEE10hipError_tPvRmT1_T2_T3_mT4_P12ihipStream_tbEUlT_E0_NS1_11comp_targetILNS1_3genE10ELNS1_11target_archE1200ELNS1_3gpuE4ELNS1_3repE0EEENS1_30default_config_static_selectorELNS0_4arch9wavefront6targetE1EEEvST_.has_recursion, 0
	.set _ZN7rocprim17ROCPRIM_400000_NS6detail17trampoline_kernelINS0_14default_configENS1_22reduce_config_selectorIN6thrust23THRUST_200600_302600_NS5tupleIllNS6_9null_typeES8_S8_S8_S8_S8_S8_S8_EEEEZNS1_11reduce_implILb0ES3_NS6_12zip_iteratorINS7_INS6_10device_ptrIlEENS6_11hip_rocprim19counting_iterator_tIlEES8_S8_S8_S8_S8_S8_S8_S8_EEEEPS9_S9_NSF_9__extrema9arg_max_fIllNS6_4lessIlEEEEEE10hipError_tPvRmT1_T2_T3_mT4_P12ihipStream_tbEUlT_E0_NS1_11comp_targetILNS1_3genE10ELNS1_11target_archE1200ELNS1_3gpuE4ELNS1_3repE0EEENS1_30default_config_static_selectorELNS0_4arch9wavefront6targetE1EEEvST_.has_indirect_call, 0
	.section	.AMDGPU.csdata,"",@progbits
; Kernel info:
; codeLenInByte = 0
; TotalNumSgprs: 4
; NumVgprs: 0
; ScratchSize: 0
; MemoryBound: 0
; FloatMode: 240
; IeeeMode: 1
; LDSByteSize: 0 bytes/workgroup (compile time only)
; SGPRBlocks: 0
; VGPRBlocks: 0
; NumSGPRsForWavesPerEU: 4
; NumVGPRsForWavesPerEU: 1
; Occupancy: 10
; WaveLimiterHint : 0
; COMPUTE_PGM_RSRC2:SCRATCH_EN: 0
; COMPUTE_PGM_RSRC2:USER_SGPR: 6
; COMPUTE_PGM_RSRC2:TRAP_HANDLER: 0
; COMPUTE_PGM_RSRC2:TGID_X_EN: 1
; COMPUTE_PGM_RSRC2:TGID_Y_EN: 0
; COMPUTE_PGM_RSRC2:TGID_Z_EN: 0
; COMPUTE_PGM_RSRC2:TIDIG_COMP_CNT: 0
	.section	.text._ZN7rocprim17ROCPRIM_400000_NS6detail17trampoline_kernelINS0_14default_configENS1_22reduce_config_selectorIN6thrust23THRUST_200600_302600_NS5tupleIllNS6_9null_typeES8_S8_S8_S8_S8_S8_S8_EEEEZNS1_11reduce_implILb0ES3_NS6_12zip_iteratorINS7_INS6_10device_ptrIlEENS6_11hip_rocprim19counting_iterator_tIlEES8_S8_S8_S8_S8_S8_S8_S8_EEEEPS9_S9_NSF_9__extrema9arg_max_fIllNS6_4lessIlEEEEEE10hipError_tPvRmT1_T2_T3_mT4_P12ihipStream_tbEUlT_E0_NS1_11comp_targetILNS1_3genE9ELNS1_11target_archE1100ELNS1_3gpuE3ELNS1_3repE0EEENS1_30default_config_static_selectorELNS0_4arch9wavefront6targetE1EEEvST_,"axG",@progbits,_ZN7rocprim17ROCPRIM_400000_NS6detail17trampoline_kernelINS0_14default_configENS1_22reduce_config_selectorIN6thrust23THRUST_200600_302600_NS5tupleIllNS6_9null_typeES8_S8_S8_S8_S8_S8_S8_EEEEZNS1_11reduce_implILb0ES3_NS6_12zip_iteratorINS7_INS6_10device_ptrIlEENS6_11hip_rocprim19counting_iterator_tIlEES8_S8_S8_S8_S8_S8_S8_S8_EEEEPS9_S9_NSF_9__extrema9arg_max_fIllNS6_4lessIlEEEEEE10hipError_tPvRmT1_T2_T3_mT4_P12ihipStream_tbEUlT_E0_NS1_11comp_targetILNS1_3genE9ELNS1_11target_archE1100ELNS1_3gpuE3ELNS1_3repE0EEENS1_30default_config_static_selectorELNS0_4arch9wavefront6targetE1EEEvST_,comdat
	.protected	_ZN7rocprim17ROCPRIM_400000_NS6detail17trampoline_kernelINS0_14default_configENS1_22reduce_config_selectorIN6thrust23THRUST_200600_302600_NS5tupleIllNS6_9null_typeES8_S8_S8_S8_S8_S8_S8_EEEEZNS1_11reduce_implILb0ES3_NS6_12zip_iteratorINS7_INS6_10device_ptrIlEENS6_11hip_rocprim19counting_iterator_tIlEES8_S8_S8_S8_S8_S8_S8_S8_EEEEPS9_S9_NSF_9__extrema9arg_max_fIllNS6_4lessIlEEEEEE10hipError_tPvRmT1_T2_T3_mT4_P12ihipStream_tbEUlT_E0_NS1_11comp_targetILNS1_3genE9ELNS1_11target_archE1100ELNS1_3gpuE3ELNS1_3repE0EEENS1_30default_config_static_selectorELNS0_4arch9wavefront6targetE1EEEvST_ ; -- Begin function _ZN7rocprim17ROCPRIM_400000_NS6detail17trampoline_kernelINS0_14default_configENS1_22reduce_config_selectorIN6thrust23THRUST_200600_302600_NS5tupleIllNS6_9null_typeES8_S8_S8_S8_S8_S8_S8_EEEEZNS1_11reduce_implILb0ES3_NS6_12zip_iteratorINS7_INS6_10device_ptrIlEENS6_11hip_rocprim19counting_iterator_tIlEES8_S8_S8_S8_S8_S8_S8_S8_EEEEPS9_S9_NSF_9__extrema9arg_max_fIllNS6_4lessIlEEEEEE10hipError_tPvRmT1_T2_T3_mT4_P12ihipStream_tbEUlT_E0_NS1_11comp_targetILNS1_3genE9ELNS1_11target_archE1100ELNS1_3gpuE3ELNS1_3repE0EEENS1_30default_config_static_selectorELNS0_4arch9wavefront6targetE1EEEvST_
	.globl	_ZN7rocprim17ROCPRIM_400000_NS6detail17trampoline_kernelINS0_14default_configENS1_22reduce_config_selectorIN6thrust23THRUST_200600_302600_NS5tupleIllNS6_9null_typeES8_S8_S8_S8_S8_S8_S8_EEEEZNS1_11reduce_implILb0ES3_NS6_12zip_iteratorINS7_INS6_10device_ptrIlEENS6_11hip_rocprim19counting_iterator_tIlEES8_S8_S8_S8_S8_S8_S8_S8_EEEEPS9_S9_NSF_9__extrema9arg_max_fIllNS6_4lessIlEEEEEE10hipError_tPvRmT1_T2_T3_mT4_P12ihipStream_tbEUlT_E0_NS1_11comp_targetILNS1_3genE9ELNS1_11target_archE1100ELNS1_3gpuE3ELNS1_3repE0EEENS1_30default_config_static_selectorELNS0_4arch9wavefront6targetE1EEEvST_
	.p2align	8
	.type	_ZN7rocprim17ROCPRIM_400000_NS6detail17trampoline_kernelINS0_14default_configENS1_22reduce_config_selectorIN6thrust23THRUST_200600_302600_NS5tupleIllNS6_9null_typeES8_S8_S8_S8_S8_S8_S8_EEEEZNS1_11reduce_implILb0ES3_NS6_12zip_iteratorINS7_INS6_10device_ptrIlEENS6_11hip_rocprim19counting_iterator_tIlEES8_S8_S8_S8_S8_S8_S8_S8_EEEEPS9_S9_NSF_9__extrema9arg_max_fIllNS6_4lessIlEEEEEE10hipError_tPvRmT1_T2_T3_mT4_P12ihipStream_tbEUlT_E0_NS1_11comp_targetILNS1_3genE9ELNS1_11target_archE1100ELNS1_3gpuE3ELNS1_3repE0EEENS1_30default_config_static_selectorELNS0_4arch9wavefront6targetE1EEEvST_,@function
_ZN7rocprim17ROCPRIM_400000_NS6detail17trampoline_kernelINS0_14default_configENS1_22reduce_config_selectorIN6thrust23THRUST_200600_302600_NS5tupleIllNS6_9null_typeES8_S8_S8_S8_S8_S8_S8_EEEEZNS1_11reduce_implILb0ES3_NS6_12zip_iteratorINS7_INS6_10device_ptrIlEENS6_11hip_rocprim19counting_iterator_tIlEES8_S8_S8_S8_S8_S8_S8_S8_EEEEPS9_S9_NSF_9__extrema9arg_max_fIllNS6_4lessIlEEEEEE10hipError_tPvRmT1_T2_T3_mT4_P12ihipStream_tbEUlT_E0_NS1_11comp_targetILNS1_3genE9ELNS1_11target_archE1100ELNS1_3gpuE3ELNS1_3repE0EEENS1_30default_config_static_selectorELNS0_4arch9wavefront6targetE1EEEvST_: ; @_ZN7rocprim17ROCPRIM_400000_NS6detail17trampoline_kernelINS0_14default_configENS1_22reduce_config_selectorIN6thrust23THRUST_200600_302600_NS5tupleIllNS6_9null_typeES8_S8_S8_S8_S8_S8_S8_EEEEZNS1_11reduce_implILb0ES3_NS6_12zip_iteratorINS7_INS6_10device_ptrIlEENS6_11hip_rocprim19counting_iterator_tIlEES8_S8_S8_S8_S8_S8_S8_S8_EEEEPS9_S9_NSF_9__extrema9arg_max_fIllNS6_4lessIlEEEEEE10hipError_tPvRmT1_T2_T3_mT4_P12ihipStream_tbEUlT_E0_NS1_11comp_targetILNS1_3genE9ELNS1_11target_archE1100ELNS1_3gpuE3ELNS1_3repE0EEENS1_30default_config_static_selectorELNS0_4arch9wavefront6targetE1EEEvST_
; %bb.0:
	.section	.rodata,"a",@progbits
	.p2align	6, 0x0
	.amdhsa_kernel _ZN7rocprim17ROCPRIM_400000_NS6detail17trampoline_kernelINS0_14default_configENS1_22reduce_config_selectorIN6thrust23THRUST_200600_302600_NS5tupleIllNS6_9null_typeES8_S8_S8_S8_S8_S8_S8_EEEEZNS1_11reduce_implILb0ES3_NS6_12zip_iteratorINS7_INS6_10device_ptrIlEENS6_11hip_rocprim19counting_iterator_tIlEES8_S8_S8_S8_S8_S8_S8_S8_EEEEPS9_S9_NSF_9__extrema9arg_max_fIllNS6_4lessIlEEEEEE10hipError_tPvRmT1_T2_T3_mT4_P12ihipStream_tbEUlT_E0_NS1_11comp_targetILNS1_3genE9ELNS1_11target_archE1100ELNS1_3gpuE3ELNS1_3repE0EEENS1_30default_config_static_selectorELNS0_4arch9wavefront6targetE1EEEvST_
		.amdhsa_group_segment_fixed_size 0
		.amdhsa_private_segment_fixed_size 0
		.amdhsa_kernarg_size 80
		.amdhsa_user_sgpr_count 6
		.amdhsa_user_sgpr_private_segment_buffer 1
		.amdhsa_user_sgpr_dispatch_ptr 0
		.amdhsa_user_sgpr_queue_ptr 0
		.amdhsa_user_sgpr_kernarg_segment_ptr 1
		.amdhsa_user_sgpr_dispatch_id 0
		.amdhsa_user_sgpr_flat_scratch_init 0
		.amdhsa_user_sgpr_private_segment_size 0
		.amdhsa_uses_dynamic_stack 0
		.amdhsa_system_sgpr_private_segment_wavefront_offset 0
		.amdhsa_system_sgpr_workgroup_id_x 1
		.amdhsa_system_sgpr_workgroup_id_y 0
		.amdhsa_system_sgpr_workgroup_id_z 0
		.amdhsa_system_sgpr_workgroup_info 0
		.amdhsa_system_vgpr_workitem_id 0
		.amdhsa_next_free_vgpr 1
		.amdhsa_next_free_sgpr 0
		.amdhsa_reserve_vcc 0
		.amdhsa_reserve_flat_scratch 0
		.amdhsa_float_round_mode_32 0
		.amdhsa_float_round_mode_16_64 0
		.amdhsa_float_denorm_mode_32 3
		.amdhsa_float_denorm_mode_16_64 3
		.amdhsa_dx10_clamp 1
		.amdhsa_ieee_mode 1
		.amdhsa_fp16_overflow 0
		.amdhsa_exception_fp_ieee_invalid_op 0
		.amdhsa_exception_fp_denorm_src 0
		.amdhsa_exception_fp_ieee_div_zero 0
		.amdhsa_exception_fp_ieee_overflow 0
		.amdhsa_exception_fp_ieee_underflow 0
		.amdhsa_exception_fp_ieee_inexact 0
		.amdhsa_exception_int_div_zero 0
	.end_amdhsa_kernel
	.section	.text._ZN7rocprim17ROCPRIM_400000_NS6detail17trampoline_kernelINS0_14default_configENS1_22reduce_config_selectorIN6thrust23THRUST_200600_302600_NS5tupleIllNS6_9null_typeES8_S8_S8_S8_S8_S8_S8_EEEEZNS1_11reduce_implILb0ES3_NS6_12zip_iteratorINS7_INS6_10device_ptrIlEENS6_11hip_rocprim19counting_iterator_tIlEES8_S8_S8_S8_S8_S8_S8_S8_EEEEPS9_S9_NSF_9__extrema9arg_max_fIllNS6_4lessIlEEEEEE10hipError_tPvRmT1_T2_T3_mT4_P12ihipStream_tbEUlT_E0_NS1_11comp_targetILNS1_3genE9ELNS1_11target_archE1100ELNS1_3gpuE3ELNS1_3repE0EEENS1_30default_config_static_selectorELNS0_4arch9wavefront6targetE1EEEvST_,"axG",@progbits,_ZN7rocprim17ROCPRIM_400000_NS6detail17trampoline_kernelINS0_14default_configENS1_22reduce_config_selectorIN6thrust23THRUST_200600_302600_NS5tupleIllNS6_9null_typeES8_S8_S8_S8_S8_S8_S8_EEEEZNS1_11reduce_implILb0ES3_NS6_12zip_iteratorINS7_INS6_10device_ptrIlEENS6_11hip_rocprim19counting_iterator_tIlEES8_S8_S8_S8_S8_S8_S8_S8_EEEEPS9_S9_NSF_9__extrema9arg_max_fIllNS6_4lessIlEEEEEE10hipError_tPvRmT1_T2_T3_mT4_P12ihipStream_tbEUlT_E0_NS1_11comp_targetILNS1_3genE9ELNS1_11target_archE1100ELNS1_3gpuE3ELNS1_3repE0EEENS1_30default_config_static_selectorELNS0_4arch9wavefront6targetE1EEEvST_,comdat
.Lfunc_end428:
	.size	_ZN7rocprim17ROCPRIM_400000_NS6detail17trampoline_kernelINS0_14default_configENS1_22reduce_config_selectorIN6thrust23THRUST_200600_302600_NS5tupleIllNS6_9null_typeES8_S8_S8_S8_S8_S8_S8_EEEEZNS1_11reduce_implILb0ES3_NS6_12zip_iteratorINS7_INS6_10device_ptrIlEENS6_11hip_rocprim19counting_iterator_tIlEES8_S8_S8_S8_S8_S8_S8_S8_EEEEPS9_S9_NSF_9__extrema9arg_max_fIllNS6_4lessIlEEEEEE10hipError_tPvRmT1_T2_T3_mT4_P12ihipStream_tbEUlT_E0_NS1_11comp_targetILNS1_3genE9ELNS1_11target_archE1100ELNS1_3gpuE3ELNS1_3repE0EEENS1_30default_config_static_selectorELNS0_4arch9wavefront6targetE1EEEvST_, .Lfunc_end428-_ZN7rocprim17ROCPRIM_400000_NS6detail17trampoline_kernelINS0_14default_configENS1_22reduce_config_selectorIN6thrust23THRUST_200600_302600_NS5tupleIllNS6_9null_typeES8_S8_S8_S8_S8_S8_S8_EEEEZNS1_11reduce_implILb0ES3_NS6_12zip_iteratorINS7_INS6_10device_ptrIlEENS6_11hip_rocprim19counting_iterator_tIlEES8_S8_S8_S8_S8_S8_S8_S8_EEEEPS9_S9_NSF_9__extrema9arg_max_fIllNS6_4lessIlEEEEEE10hipError_tPvRmT1_T2_T3_mT4_P12ihipStream_tbEUlT_E0_NS1_11comp_targetILNS1_3genE9ELNS1_11target_archE1100ELNS1_3gpuE3ELNS1_3repE0EEENS1_30default_config_static_selectorELNS0_4arch9wavefront6targetE1EEEvST_
                                        ; -- End function
	.set _ZN7rocprim17ROCPRIM_400000_NS6detail17trampoline_kernelINS0_14default_configENS1_22reduce_config_selectorIN6thrust23THRUST_200600_302600_NS5tupleIllNS6_9null_typeES8_S8_S8_S8_S8_S8_S8_EEEEZNS1_11reduce_implILb0ES3_NS6_12zip_iteratorINS7_INS6_10device_ptrIlEENS6_11hip_rocprim19counting_iterator_tIlEES8_S8_S8_S8_S8_S8_S8_S8_EEEEPS9_S9_NSF_9__extrema9arg_max_fIllNS6_4lessIlEEEEEE10hipError_tPvRmT1_T2_T3_mT4_P12ihipStream_tbEUlT_E0_NS1_11comp_targetILNS1_3genE9ELNS1_11target_archE1100ELNS1_3gpuE3ELNS1_3repE0EEENS1_30default_config_static_selectorELNS0_4arch9wavefront6targetE1EEEvST_.num_vgpr, 0
	.set _ZN7rocprim17ROCPRIM_400000_NS6detail17trampoline_kernelINS0_14default_configENS1_22reduce_config_selectorIN6thrust23THRUST_200600_302600_NS5tupleIllNS6_9null_typeES8_S8_S8_S8_S8_S8_S8_EEEEZNS1_11reduce_implILb0ES3_NS6_12zip_iteratorINS7_INS6_10device_ptrIlEENS6_11hip_rocprim19counting_iterator_tIlEES8_S8_S8_S8_S8_S8_S8_S8_EEEEPS9_S9_NSF_9__extrema9arg_max_fIllNS6_4lessIlEEEEEE10hipError_tPvRmT1_T2_T3_mT4_P12ihipStream_tbEUlT_E0_NS1_11comp_targetILNS1_3genE9ELNS1_11target_archE1100ELNS1_3gpuE3ELNS1_3repE0EEENS1_30default_config_static_selectorELNS0_4arch9wavefront6targetE1EEEvST_.num_agpr, 0
	.set _ZN7rocprim17ROCPRIM_400000_NS6detail17trampoline_kernelINS0_14default_configENS1_22reduce_config_selectorIN6thrust23THRUST_200600_302600_NS5tupleIllNS6_9null_typeES8_S8_S8_S8_S8_S8_S8_EEEEZNS1_11reduce_implILb0ES3_NS6_12zip_iteratorINS7_INS6_10device_ptrIlEENS6_11hip_rocprim19counting_iterator_tIlEES8_S8_S8_S8_S8_S8_S8_S8_EEEEPS9_S9_NSF_9__extrema9arg_max_fIllNS6_4lessIlEEEEEE10hipError_tPvRmT1_T2_T3_mT4_P12ihipStream_tbEUlT_E0_NS1_11comp_targetILNS1_3genE9ELNS1_11target_archE1100ELNS1_3gpuE3ELNS1_3repE0EEENS1_30default_config_static_selectorELNS0_4arch9wavefront6targetE1EEEvST_.numbered_sgpr, 0
	.set _ZN7rocprim17ROCPRIM_400000_NS6detail17trampoline_kernelINS0_14default_configENS1_22reduce_config_selectorIN6thrust23THRUST_200600_302600_NS5tupleIllNS6_9null_typeES8_S8_S8_S8_S8_S8_S8_EEEEZNS1_11reduce_implILb0ES3_NS6_12zip_iteratorINS7_INS6_10device_ptrIlEENS6_11hip_rocprim19counting_iterator_tIlEES8_S8_S8_S8_S8_S8_S8_S8_EEEEPS9_S9_NSF_9__extrema9arg_max_fIllNS6_4lessIlEEEEEE10hipError_tPvRmT1_T2_T3_mT4_P12ihipStream_tbEUlT_E0_NS1_11comp_targetILNS1_3genE9ELNS1_11target_archE1100ELNS1_3gpuE3ELNS1_3repE0EEENS1_30default_config_static_selectorELNS0_4arch9wavefront6targetE1EEEvST_.num_named_barrier, 0
	.set _ZN7rocprim17ROCPRIM_400000_NS6detail17trampoline_kernelINS0_14default_configENS1_22reduce_config_selectorIN6thrust23THRUST_200600_302600_NS5tupleIllNS6_9null_typeES8_S8_S8_S8_S8_S8_S8_EEEEZNS1_11reduce_implILb0ES3_NS6_12zip_iteratorINS7_INS6_10device_ptrIlEENS6_11hip_rocprim19counting_iterator_tIlEES8_S8_S8_S8_S8_S8_S8_S8_EEEEPS9_S9_NSF_9__extrema9arg_max_fIllNS6_4lessIlEEEEEE10hipError_tPvRmT1_T2_T3_mT4_P12ihipStream_tbEUlT_E0_NS1_11comp_targetILNS1_3genE9ELNS1_11target_archE1100ELNS1_3gpuE3ELNS1_3repE0EEENS1_30default_config_static_selectorELNS0_4arch9wavefront6targetE1EEEvST_.private_seg_size, 0
	.set _ZN7rocprim17ROCPRIM_400000_NS6detail17trampoline_kernelINS0_14default_configENS1_22reduce_config_selectorIN6thrust23THRUST_200600_302600_NS5tupleIllNS6_9null_typeES8_S8_S8_S8_S8_S8_S8_EEEEZNS1_11reduce_implILb0ES3_NS6_12zip_iteratorINS7_INS6_10device_ptrIlEENS6_11hip_rocprim19counting_iterator_tIlEES8_S8_S8_S8_S8_S8_S8_S8_EEEEPS9_S9_NSF_9__extrema9arg_max_fIllNS6_4lessIlEEEEEE10hipError_tPvRmT1_T2_T3_mT4_P12ihipStream_tbEUlT_E0_NS1_11comp_targetILNS1_3genE9ELNS1_11target_archE1100ELNS1_3gpuE3ELNS1_3repE0EEENS1_30default_config_static_selectorELNS0_4arch9wavefront6targetE1EEEvST_.uses_vcc, 0
	.set _ZN7rocprim17ROCPRIM_400000_NS6detail17trampoline_kernelINS0_14default_configENS1_22reduce_config_selectorIN6thrust23THRUST_200600_302600_NS5tupleIllNS6_9null_typeES8_S8_S8_S8_S8_S8_S8_EEEEZNS1_11reduce_implILb0ES3_NS6_12zip_iteratorINS7_INS6_10device_ptrIlEENS6_11hip_rocprim19counting_iterator_tIlEES8_S8_S8_S8_S8_S8_S8_S8_EEEEPS9_S9_NSF_9__extrema9arg_max_fIllNS6_4lessIlEEEEEE10hipError_tPvRmT1_T2_T3_mT4_P12ihipStream_tbEUlT_E0_NS1_11comp_targetILNS1_3genE9ELNS1_11target_archE1100ELNS1_3gpuE3ELNS1_3repE0EEENS1_30default_config_static_selectorELNS0_4arch9wavefront6targetE1EEEvST_.uses_flat_scratch, 0
	.set _ZN7rocprim17ROCPRIM_400000_NS6detail17trampoline_kernelINS0_14default_configENS1_22reduce_config_selectorIN6thrust23THRUST_200600_302600_NS5tupleIllNS6_9null_typeES8_S8_S8_S8_S8_S8_S8_EEEEZNS1_11reduce_implILb0ES3_NS6_12zip_iteratorINS7_INS6_10device_ptrIlEENS6_11hip_rocprim19counting_iterator_tIlEES8_S8_S8_S8_S8_S8_S8_S8_EEEEPS9_S9_NSF_9__extrema9arg_max_fIllNS6_4lessIlEEEEEE10hipError_tPvRmT1_T2_T3_mT4_P12ihipStream_tbEUlT_E0_NS1_11comp_targetILNS1_3genE9ELNS1_11target_archE1100ELNS1_3gpuE3ELNS1_3repE0EEENS1_30default_config_static_selectorELNS0_4arch9wavefront6targetE1EEEvST_.has_dyn_sized_stack, 0
	.set _ZN7rocprim17ROCPRIM_400000_NS6detail17trampoline_kernelINS0_14default_configENS1_22reduce_config_selectorIN6thrust23THRUST_200600_302600_NS5tupleIllNS6_9null_typeES8_S8_S8_S8_S8_S8_S8_EEEEZNS1_11reduce_implILb0ES3_NS6_12zip_iteratorINS7_INS6_10device_ptrIlEENS6_11hip_rocprim19counting_iterator_tIlEES8_S8_S8_S8_S8_S8_S8_S8_EEEEPS9_S9_NSF_9__extrema9arg_max_fIllNS6_4lessIlEEEEEE10hipError_tPvRmT1_T2_T3_mT4_P12ihipStream_tbEUlT_E0_NS1_11comp_targetILNS1_3genE9ELNS1_11target_archE1100ELNS1_3gpuE3ELNS1_3repE0EEENS1_30default_config_static_selectorELNS0_4arch9wavefront6targetE1EEEvST_.has_recursion, 0
	.set _ZN7rocprim17ROCPRIM_400000_NS6detail17trampoline_kernelINS0_14default_configENS1_22reduce_config_selectorIN6thrust23THRUST_200600_302600_NS5tupleIllNS6_9null_typeES8_S8_S8_S8_S8_S8_S8_EEEEZNS1_11reduce_implILb0ES3_NS6_12zip_iteratorINS7_INS6_10device_ptrIlEENS6_11hip_rocprim19counting_iterator_tIlEES8_S8_S8_S8_S8_S8_S8_S8_EEEEPS9_S9_NSF_9__extrema9arg_max_fIllNS6_4lessIlEEEEEE10hipError_tPvRmT1_T2_T3_mT4_P12ihipStream_tbEUlT_E0_NS1_11comp_targetILNS1_3genE9ELNS1_11target_archE1100ELNS1_3gpuE3ELNS1_3repE0EEENS1_30default_config_static_selectorELNS0_4arch9wavefront6targetE1EEEvST_.has_indirect_call, 0
	.section	.AMDGPU.csdata,"",@progbits
; Kernel info:
; codeLenInByte = 0
; TotalNumSgprs: 4
; NumVgprs: 0
; ScratchSize: 0
; MemoryBound: 0
; FloatMode: 240
; IeeeMode: 1
; LDSByteSize: 0 bytes/workgroup (compile time only)
; SGPRBlocks: 0
; VGPRBlocks: 0
; NumSGPRsForWavesPerEU: 4
; NumVGPRsForWavesPerEU: 1
; Occupancy: 10
; WaveLimiterHint : 0
; COMPUTE_PGM_RSRC2:SCRATCH_EN: 0
; COMPUTE_PGM_RSRC2:USER_SGPR: 6
; COMPUTE_PGM_RSRC2:TRAP_HANDLER: 0
; COMPUTE_PGM_RSRC2:TGID_X_EN: 1
; COMPUTE_PGM_RSRC2:TGID_Y_EN: 0
; COMPUTE_PGM_RSRC2:TGID_Z_EN: 0
; COMPUTE_PGM_RSRC2:TIDIG_COMP_CNT: 0
	.section	.text._ZN7rocprim17ROCPRIM_400000_NS6detail17trampoline_kernelINS0_14default_configENS1_22reduce_config_selectorIN6thrust23THRUST_200600_302600_NS5tupleIllNS6_9null_typeES8_S8_S8_S8_S8_S8_S8_EEEEZNS1_11reduce_implILb0ES3_NS6_12zip_iteratorINS7_INS6_10device_ptrIlEENS6_11hip_rocprim19counting_iterator_tIlEES8_S8_S8_S8_S8_S8_S8_S8_EEEEPS9_S9_NSF_9__extrema9arg_max_fIllNS6_4lessIlEEEEEE10hipError_tPvRmT1_T2_T3_mT4_P12ihipStream_tbEUlT_E0_NS1_11comp_targetILNS1_3genE8ELNS1_11target_archE1030ELNS1_3gpuE2ELNS1_3repE0EEENS1_30default_config_static_selectorELNS0_4arch9wavefront6targetE1EEEvST_,"axG",@progbits,_ZN7rocprim17ROCPRIM_400000_NS6detail17trampoline_kernelINS0_14default_configENS1_22reduce_config_selectorIN6thrust23THRUST_200600_302600_NS5tupleIllNS6_9null_typeES8_S8_S8_S8_S8_S8_S8_EEEEZNS1_11reduce_implILb0ES3_NS6_12zip_iteratorINS7_INS6_10device_ptrIlEENS6_11hip_rocprim19counting_iterator_tIlEES8_S8_S8_S8_S8_S8_S8_S8_EEEEPS9_S9_NSF_9__extrema9arg_max_fIllNS6_4lessIlEEEEEE10hipError_tPvRmT1_T2_T3_mT4_P12ihipStream_tbEUlT_E0_NS1_11comp_targetILNS1_3genE8ELNS1_11target_archE1030ELNS1_3gpuE2ELNS1_3repE0EEENS1_30default_config_static_selectorELNS0_4arch9wavefront6targetE1EEEvST_,comdat
	.protected	_ZN7rocprim17ROCPRIM_400000_NS6detail17trampoline_kernelINS0_14default_configENS1_22reduce_config_selectorIN6thrust23THRUST_200600_302600_NS5tupleIllNS6_9null_typeES8_S8_S8_S8_S8_S8_S8_EEEEZNS1_11reduce_implILb0ES3_NS6_12zip_iteratorINS7_INS6_10device_ptrIlEENS6_11hip_rocprim19counting_iterator_tIlEES8_S8_S8_S8_S8_S8_S8_S8_EEEEPS9_S9_NSF_9__extrema9arg_max_fIllNS6_4lessIlEEEEEE10hipError_tPvRmT1_T2_T3_mT4_P12ihipStream_tbEUlT_E0_NS1_11comp_targetILNS1_3genE8ELNS1_11target_archE1030ELNS1_3gpuE2ELNS1_3repE0EEENS1_30default_config_static_selectorELNS0_4arch9wavefront6targetE1EEEvST_ ; -- Begin function _ZN7rocprim17ROCPRIM_400000_NS6detail17trampoline_kernelINS0_14default_configENS1_22reduce_config_selectorIN6thrust23THRUST_200600_302600_NS5tupleIllNS6_9null_typeES8_S8_S8_S8_S8_S8_S8_EEEEZNS1_11reduce_implILb0ES3_NS6_12zip_iteratorINS7_INS6_10device_ptrIlEENS6_11hip_rocprim19counting_iterator_tIlEES8_S8_S8_S8_S8_S8_S8_S8_EEEEPS9_S9_NSF_9__extrema9arg_max_fIllNS6_4lessIlEEEEEE10hipError_tPvRmT1_T2_T3_mT4_P12ihipStream_tbEUlT_E0_NS1_11comp_targetILNS1_3genE8ELNS1_11target_archE1030ELNS1_3gpuE2ELNS1_3repE0EEENS1_30default_config_static_selectorELNS0_4arch9wavefront6targetE1EEEvST_
	.globl	_ZN7rocprim17ROCPRIM_400000_NS6detail17trampoline_kernelINS0_14default_configENS1_22reduce_config_selectorIN6thrust23THRUST_200600_302600_NS5tupleIllNS6_9null_typeES8_S8_S8_S8_S8_S8_S8_EEEEZNS1_11reduce_implILb0ES3_NS6_12zip_iteratorINS7_INS6_10device_ptrIlEENS6_11hip_rocprim19counting_iterator_tIlEES8_S8_S8_S8_S8_S8_S8_S8_EEEEPS9_S9_NSF_9__extrema9arg_max_fIllNS6_4lessIlEEEEEE10hipError_tPvRmT1_T2_T3_mT4_P12ihipStream_tbEUlT_E0_NS1_11comp_targetILNS1_3genE8ELNS1_11target_archE1030ELNS1_3gpuE2ELNS1_3repE0EEENS1_30default_config_static_selectorELNS0_4arch9wavefront6targetE1EEEvST_
	.p2align	8
	.type	_ZN7rocprim17ROCPRIM_400000_NS6detail17trampoline_kernelINS0_14default_configENS1_22reduce_config_selectorIN6thrust23THRUST_200600_302600_NS5tupleIllNS6_9null_typeES8_S8_S8_S8_S8_S8_S8_EEEEZNS1_11reduce_implILb0ES3_NS6_12zip_iteratorINS7_INS6_10device_ptrIlEENS6_11hip_rocprim19counting_iterator_tIlEES8_S8_S8_S8_S8_S8_S8_S8_EEEEPS9_S9_NSF_9__extrema9arg_max_fIllNS6_4lessIlEEEEEE10hipError_tPvRmT1_T2_T3_mT4_P12ihipStream_tbEUlT_E0_NS1_11comp_targetILNS1_3genE8ELNS1_11target_archE1030ELNS1_3gpuE2ELNS1_3repE0EEENS1_30default_config_static_selectorELNS0_4arch9wavefront6targetE1EEEvST_,@function
_ZN7rocprim17ROCPRIM_400000_NS6detail17trampoline_kernelINS0_14default_configENS1_22reduce_config_selectorIN6thrust23THRUST_200600_302600_NS5tupleIllNS6_9null_typeES8_S8_S8_S8_S8_S8_S8_EEEEZNS1_11reduce_implILb0ES3_NS6_12zip_iteratorINS7_INS6_10device_ptrIlEENS6_11hip_rocprim19counting_iterator_tIlEES8_S8_S8_S8_S8_S8_S8_S8_EEEEPS9_S9_NSF_9__extrema9arg_max_fIllNS6_4lessIlEEEEEE10hipError_tPvRmT1_T2_T3_mT4_P12ihipStream_tbEUlT_E0_NS1_11comp_targetILNS1_3genE8ELNS1_11target_archE1030ELNS1_3gpuE2ELNS1_3repE0EEENS1_30default_config_static_selectorELNS0_4arch9wavefront6targetE1EEEvST_: ; @_ZN7rocprim17ROCPRIM_400000_NS6detail17trampoline_kernelINS0_14default_configENS1_22reduce_config_selectorIN6thrust23THRUST_200600_302600_NS5tupleIllNS6_9null_typeES8_S8_S8_S8_S8_S8_S8_EEEEZNS1_11reduce_implILb0ES3_NS6_12zip_iteratorINS7_INS6_10device_ptrIlEENS6_11hip_rocprim19counting_iterator_tIlEES8_S8_S8_S8_S8_S8_S8_S8_EEEEPS9_S9_NSF_9__extrema9arg_max_fIllNS6_4lessIlEEEEEE10hipError_tPvRmT1_T2_T3_mT4_P12ihipStream_tbEUlT_E0_NS1_11comp_targetILNS1_3genE8ELNS1_11target_archE1030ELNS1_3gpuE2ELNS1_3repE0EEENS1_30default_config_static_selectorELNS0_4arch9wavefront6targetE1EEEvST_
; %bb.0:
	.section	.rodata,"a",@progbits
	.p2align	6, 0x0
	.amdhsa_kernel _ZN7rocprim17ROCPRIM_400000_NS6detail17trampoline_kernelINS0_14default_configENS1_22reduce_config_selectorIN6thrust23THRUST_200600_302600_NS5tupleIllNS6_9null_typeES8_S8_S8_S8_S8_S8_S8_EEEEZNS1_11reduce_implILb0ES3_NS6_12zip_iteratorINS7_INS6_10device_ptrIlEENS6_11hip_rocprim19counting_iterator_tIlEES8_S8_S8_S8_S8_S8_S8_S8_EEEEPS9_S9_NSF_9__extrema9arg_max_fIllNS6_4lessIlEEEEEE10hipError_tPvRmT1_T2_T3_mT4_P12ihipStream_tbEUlT_E0_NS1_11comp_targetILNS1_3genE8ELNS1_11target_archE1030ELNS1_3gpuE2ELNS1_3repE0EEENS1_30default_config_static_selectorELNS0_4arch9wavefront6targetE1EEEvST_
		.amdhsa_group_segment_fixed_size 0
		.amdhsa_private_segment_fixed_size 0
		.amdhsa_kernarg_size 80
		.amdhsa_user_sgpr_count 6
		.amdhsa_user_sgpr_private_segment_buffer 1
		.amdhsa_user_sgpr_dispatch_ptr 0
		.amdhsa_user_sgpr_queue_ptr 0
		.amdhsa_user_sgpr_kernarg_segment_ptr 1
		.amdhsa_user_sgpr_dispatch_id 0
		.amdhsa_user_sgpr_flat_scratch_init 0
		.amdhsa_user_sgpr_private_segment_size 0
		.amdhsa_uses_dynamic_stack 0
		.amdhsa_system_sgpr_private_segment_wavefront_offset 0
		.amdhsa_system_sgpr_workgroup_id_x 1
		.amdhsa_system_sgpr_workgroup_id_y 0
		.amdhsa_system_sgpr_workgroup_id_z 0
		.amdhsa_system_sgpr_workgroup_info 0
		.amdhsa_system_vgpr_workitem_id 0
		.amdhsa_next_free_vgpr 1
		.amdhsa_next_free_sgpr 0
		.amdhsa_reserve_vcc 0
		.amdhsa_reserve_flat_scratch 0
		.amdhsa_float_round_mode_32 0
		.amdhsa_float_round_mode_16_64 0
		.amdhsa_float_denorm_mode_32 3
		.amdhsa_float_denorm_mode_16_64 3
		.amdhsa_dx10_clamp 1
		.amdhsa_ieee_mode 1
		.amdhsa_fp16_overflow 0
		.amdhsa_exception_fp_ieee_invalid_op 0
		.amdhsa_exception_fp_denorm_src 0
		.amdhsa_exception_fp_ieee_div_zero 0
		.amdhsa_exception_fp_ieee_overflow 0
		.amdhsa_exception_fp_ieee_underflow 0
		.amdhsa_exception_fp_ieee_inexact 0
		.amdhsa_exception_int_div_zero 0
	.end_amdhsa_kernel
	.section	.text._ZN7rocprim17ROCPRIM_400000_NS6detail17trampoline_kernelINS0_14default_configENS1_22reduce_config_selectorIN6thrust23THRUST_200600_302600_NS5tupleIllNS6_9null_typeES8_S8_S8_S8_S8_S8_S8_EEEEZNS1_11reduce_implILb0ES3_NS6_12zip_iteratorINS7_INS6_10device_ptrIlEENS6_11hip_rocprim19counting_iterator_tIlEES8_S8_S8_S8_S8_S8_S8_S8_EEEEPS9_S9_NSF_9__extrema9arg_max_fIllNS6_4lessIlEEEEEE10hipError_tPvRmT1_T2_T3_mT4_P12ihipStream_tbEUlT_E0_NS1_11comp_targetILNS1_3genE8ELNS1_11target_archE1030ELNS1_3gpuE2ELNS1_3repE0EEENS1_30default_config_static_selectorELNS0_4arch9wavefront6targetE1EEEvST_,"axG",@progbits,_ZN7rocprim17ROCPRIM_400000_NS6detail17trampoline_kernelINS0_14default_configENS1_22reduce_config_selectorIN6thrust23THRUST_200600_302600_NS5tupleIllNS6_9null_typeES8_S8_S8_S8_S8_S8_S8_EEEEZNS1_11reduce_implILb0ES3_NS6_12zip_iteratorINS7_INS6_10device_ptrIlEENS6_11hip_rocprim19counting_iterator_tIlEES8_S8_S8_S8_S8_S8_S8_S8_EEEEPS9_S9_NSF_9__extrema9arg_max_fIllNS6_4lessIlEEEEEE10hipError_tPvRmT1_T2_T3_mT4_P12ihipStream_tbEUlT_E0_NS1_11comp_targetILNS1_3genE8ELNS1_11target_archE1030ELNS1_3gpuE2ELNS1_3repE0EEENS1_30default_config_static_selectorELNS0_4arch9wavefront6targetE1EEEvST_,comdat
.Lfunc_end429:
	.size	_ZN7rocprim17ROCPRIM_400000_NS6detail17trampoline_kernelINS0_14default_configENS1_22reduce_config_selectorIN6thrust23THRUST_200600_302600_NS5tupleIllNS6_9null_typeES8_S8_S8_S8_S8_S8_S8_EEEEZNS1_11reduce_implILb0ES3_NS6_12zip_iteratorINS7_INS6_10device_ptrIlEENS6_11hip_rocprim19counting_iterator_tIlEES8_S8_S8_S8_S8_S8_S8_S8_EEEEPS9_S9_NSF_9__extrema9arg_max_fIllNS6_4lessIlEEEEEE10hipError_tPvRmT1_T2_T3_mT4_P12ihipStream_tbEUlT_E0_NS1_11comp_targetILNS1_3genE8ELNS1_11target_archE1030ELNS1_3gpuE2ELNS1_3repE0EEENS1_30default_config_static_selectorELNS0_4arch9wavefront6targetE1EEEvST_, .Lfunc_end429-_ZN7rocprim17ROCPRIM_400000_NS6detail17trampoline_kernelINS0_14default_configENS1_22reduce_config_selectorIN6thrust23THRUST_200600_302600_NS5tupleIllNS6_9null_typeES8_S8_S8_S8_S8_S8_S8_EEEEZNS1_11reduce_implILb0ES3_NS6_12zip_iteratorINS7_INS6_10device_ptrIlEENS6_11hip_rocprim19counting_iterator_tIlEES8_S8_S8_S8_S8_S8_S8_S8_EEEEPS9_S9_NSF_9__extrema9arg_max_fIllNS6_4lessIlEEEEEE10hipError_tPvRmT1_T2_T3_mT4_P12ihipStream_tbEUlT_E0_NS1_11comp_targetILNS1_3genE8ELNS1_11target_archE1030ELNS1_3gpuE2ELNS1_3repE0EEENS1_30default_config_static_selectorELNS0_4arch9wavefront6targetE1EEEvST_
                                        ; -- End function
	.set _ZN7rocprim17ROCPRIM_400000_NS6detail17trampoline_kernelINS0_14default_configENS1_22reduce_config_selectorIN6thrust23THRUST_200600_302600_NS5tupleIllNS6_9null_typeES8_S8_S8_S8_S8_S8_S8_EEEEZNS1_11reduce_implILb0ES3_NS6_12zip_iteratorINS7_INS6_10device_ptrIlEENS6_11hip_rocprim19counting_iterator_tIlEES8_S8_S8_S8_S8_S8_S8_S8_EEEEPS9_S9_NSF_9__extrema9arg_max_fIllNS6_4lessIlEEEEEE10hipError_tPvRmT1_T2_T3_mT4_P12ihipStream_tbEUlT_E0_NS1_11comp_targetILNS1_3genE8ELNS1_11target_archE1030ELNS1_3gpuE2ELNS1_3repE0EEENS1_30default_config_static_selectorELNS0_4arch9wavefront6targetE1EEEvST_.num_vgpr, 0
	.set _ZN7rocprim17ROCPRIM_400000_NS6detail17trampoline_kernelINS0_14default_configENS1_22reduce_config_selectorIN6thrust23THRUST_200600_302600_NS5tupleIllNS6_9null_typeES8_S8_S8_S8_S8_S8_S8_EEEEZNS1_11reduce_implILb0ES3_NS6_12zip_iteratorINS7_INS6_10device_ptrIlEENS6_11hip_rocprim19counting_iterator_tIlEES8_S8_S8_S8_S8_S8_S8_S8_EEEEPS9_S9_NSF_9__extrema9arg_max_fIllNS6_4lessIlEEEEEE10hipError_tPvRmT1_T2_T3_mT4_P12ihipStream_tbEUlT_E0_NS1_11comp_targetILNS1_3genE8ELNS1_11target_archE1030ELNS1_3gpuE2ELNS1_3repE0EEENS1_30default_config_static_selectorELNS0_4arch9wavefront6targetE1EEEvST_.num_agpr, 0
	.set _ZN7rocprim17ROCPRIM_400000_NS6detail17trampoline_kernelINS0_14default_configENS1_22reduce_config_selectorIN6thrust23THRUST_200600_302600_NS5tupleIllNS6_9null_typeES8_S8_S8_S8_S8_S8_S8_EEEEZNS1_11reduce_implILb0ES3_NS6_12zip_iteratorINS7_INS6_10device_ptrIlEENS6_11hip_rocprim19counting_iterator_tIlEES8_S8_S8_S8_S8_S8_S8_S8_EEEEPS9_S9_NSF_9__extrema9arg_max_fIllNS6_4lessIlEEEEEE10hipError_tPvRmT1_T2_T3_mT4_P12ihipStream_tbEUlT_E0_NS1_11comp_targetILNS1_3genE8ELNS1_11target_archE1030ELNS1_3gpuE2ELNS1_3repE0EEENS1_30default_config_static_selectorELNS0_4arch9wavefront6targetE1EEEvST_.numbered_sgpr, 0
	.set _ZN7rocprim17ROCPRIM_400000_NS6detail17trampoline_kernelINS0_14default_configENS1_22reduce_config_selectorIN6thrust23THRUST_200600_302600_NS5tupleIllNS6_9null_typeES8_S8_S8_S8_S8_S8_S8_EEEEZNS1_11reduce_implILb0ES3_NS6_12zip_iteratorINS7_INS6_10device_ptrIlEENS6_11hip_rocprim19counting_iterator_tIlEES8_S8_S8_S8_S8_S8_S8_S8_EEEEPS9_S9_NSF_9__extrema9arg_max_fIllNS6_4lessIlEEEEEE10hipError_tPvRmT1_T2_T3_mT4_P12ihipStream_tbEUlT_E0_NS1_11comp_targetILNS1_3genE8ELNS1_11target_archE1030ELNS1_3gpuE2ELNS1_3repE0EEENS1_30default_config_static_selectorELNS0_4arch9wavefront6targetE1EEEvST_.num_named_barrier, 0
	.set _ZN7rocprim17ROCPRIM_400000_NS6detail17trampoline_kernelINS0_14default_configENS1_22reduce_config_selectorIN6thrust23THRUST_200600_302600_NS5tupleIllNS6_9null_typeES8_S8_S8_S8_S8_S8_S8_EEEEZNS1_11reduce_implILb0ES3_NS6_12zip_iteratorINS7_INS6_10device_ptrIlEENS6_11hip_rocprim19counting_iterator_tIlEES8_S8_S8_S8_S8_S8_S8_S8_EEEEPS9_S9_NSF_9__extrema9arg_max_fIllNS6_4lessIlEEEEEE10hipError_tPvRmT1_T2_T3_mT4_P12ihipStream_tbEUlT_E0_NS1_11comp_targetILNS1_3genE8ELNS1_11target_archE1030ELNS1_3gpuE2ELNS1_3repE0EEENS1_30default_config_static_selectorELNS0_4arch9wavefront6targetE1EEEvST_.private_seg_size, 0
	.set _ZN7rocprim17ROCPRIM_400000_NS6detail17trampoline_kernelINS0_14default_configENS1_22reduce_config_selectorIN6thrust23THRUST_200600_302600_NS5tupleIllNS6_9null_typeES8_S8_S8_S8_S8_S8_S8_EEEEZNS1_11reduce_implILb0ES3_NS6_12zip_iteratorINS7_INS6_10device_ptrIlEENS6_11hip_rocprim19counting_iterator_tIlEES8_S8_S8_S8_S8_S8_S8_S8_EEEEPS9_S9_NSF_9__extrema9arg_max_fIllNS6_4lessIlEEEEEE10hipError_tPvRmT1_T2_T3_mT4_P12ihipStream_tbEUlT_E0_NS1_11comp_targetILNS1_3genE8ELNS1_11target_archE1030ELNS1_3gpuE2ELNS1_3repE0EEENS1_30default_config_static_selectorELNS0_4arch9wavefront6targetE1EEEvST_.uses_vcc, 0
	.set _ZN7rocprim17ROCPRIM_400000_NS6detail17trampoline_kernelINS0_14default_configENS1_22reduce_config_selectorIN6thrust23THRUST_200600_302600_NS5tupleIllNS6_9null_typeES8_S8_S8_S8_S8_S8_S8_EEEEZNS1_11reduce_implILb0ES3_NS6_12zip_iteratorINS7_INS6_10device_ptrIlEENS6_11hip_rocprim19counting_iterator_tIlEES8_S8_S8_S8_S8_S8_S8_S8_EEEEPS9_S9_NSF_9__extrema9arg_max_fIllNS6_4lessIlEEEEEE10hipError_tPvRmT1_T2_T3_mT4_P12ihipStream_tbEUlT_E0_NS1_11comp_targetILNS1_3genE8ELNS1_11target_archE1030ELNS1_3gpuE2ELNS1_3repE0EEENS1_30default_config_static_selectorELNS0_4arch9wavefront6targetE1EEEvST_.uses_flat_scratch, 0
	.set _ZN7rocprim17ROCPRIM_400000_NS6detail17trampoline_kernelINS0_14default_configENS1_22reduce_config_selectorIN6thrust23THRUST_200600_302600_NS5tupleIllNS6_9null_typeES8_S8_S8_S8_S8_S8_S8_EEEEZNS1_11reduce_implILb0ES3_NS6_12zip_iteratorINS7_INS6_10device_ptrIlEENS6_11hip_rocprim19counting_iterator_tIlEES8_S8_S8_S8_S8_S8_S8_S8_EEEEPS9_S9_NSF_9__extrema9arg_max_fIllNS6_4lessIlEEEEEE10hipError_tPvRmT1_T2_T3_mT4_P12ihipStream_tbEUlT_E0_NS1_11comp_targetILNS1_3genE8ELNS1_11target_archE1030ELNS1_3gpuE2ELNS1_3repE0EEENS1_30default_config_static_selectorELNS0_4arch9wavefront6targetE1EEEvST_.has_dyn_sized_stack, 0
	.set _ZN7rocprim17ROCPRIM_400000_NS6detail17trampoline_kernelINS0_14default_configENS1_22reduce_config_selectorIN6thrust23THRUST_200600_302600_NS5tupleIllNS6_9null_typeES8_S8_S8_S8_S8_S8_S8_EEEEZNS1_11reduce_implILb0ES3_NS6_12zip_iteratorINS7_INS6_10device_ptrIlEENS6_11hip_rocprim19counting_iterator_tIlEES8_S8_S8_S8_S8_S8_S8_S8_EEEEPS9_S9_NSF_9__extrema9arg_max_fIllNS6_4lessIlEEEEEE10hipError_tPvRmT1_T2_T3_mT4_P12ihipStream_tbEUlT_E0_NS1_11comp_targetILNS1_3genE8ELNS1_11target_archE1030ELNS1_3gpuE2ELNS1_3repE0EEENS1_30default_config_static_selectorELNS0_4arch9wavefront6targetE1EEEvST_.has_recursion, 0
	.set _ZN7rocprim17ROCPRIM_400000_NS6detail17trampoline_kernelINS0_14default_configENS1_22reduce_config_selectorIN6thrust23THRUST_200600_302600_NS5tupleIllNS6_9null_typeES8_S8_S8_S8_S8_S8_S8_EEEEZNS1_11reduce_implILb0ES3_NS6_12zip_iteratorINS7_INS6_10device_ptrIlEENS6_11hip_rocprim19counting_iterator_tIlEES8_S8_S8_S8_S8_S8_S8_S8_EEEEPS9_S9_NSF_9__extrema9arg_max_fIllNS6_4lessIlEEEEEE10hipError_tPvRmT1_T2_T3_mT4_P12ihipStream_tbEUlT_E0_NS1_11comp_targetILNS1_3genE8ELNS1_11target_archE1030ELNS1_3gpuE2ELNS1_3repE0EEENS1_30default_config_static_selectorELNS0_4arch9wavefront6targetE1EEEvST_.has_indirect_call, 0
	.section	.AMDGPU.csdata,"",@progbits
; Kernel info:
; codeLenInByte = 0
; TotalNumSgprs: 4
; NumVgprs: 0
; ScratchSize: 0
; MemoryBound: 0
; FloatMode: 240
; IeeeMode: 1
; LDSByteSize: 0 bytes/workgroup (compile time only)
; SGPRBlocks: 0
; VGPRBlocks: 0
; NumSGPRsForWavesPerEU: 4
; NumVGPRsForWavesPerEU: 1
; Occupancy: 10
; WaveLimiterHint : 0
; COMPUTE_PGM_RSRC2:SCRATCH_EN: 0
; COMPUTE_PGM_RSRC2:USER_SGPR: 6
; COMPUTE_PGM_RSRC2:TRAP_HANDLER: 0
; COMPUTE_PGM_RSRC2:TGID_X_EN: 1
; COMPUTE_PGM_RSRC2:TGID_Y_EN: 0
; COMPUTE_PGM_RSRC2:TGID_Z_EN: 0
; COMPUTE_PGM_RSRC2:TIDIG_COMP_CNT: 0
	.section	.text._ZN7rocprim17ROCPRIM_400000_NS6detail17trampoline_kernelINS0_14default_configENS1_22reduce_config_selectorIN6thrust23THRUST_200600_302600_NS5tupleIllNS6_9null_typeES8_S8_S8_S8_S8_S8_S8_EEEEZNS1_11reduce_implILb0ES3_NS6_12zip_iteratorINS7_INS6_10device_ptrIlEENS6_11hip_rocprim19counting_iterator_tIlEES8_S8_S8_S8_S8_S8_S8_S8_EEEEPS9_S9_NSF_9__extrema9arg_max_fIllNS6_4lessIlEEEEEE10hipError_tPvRmT1_T2_T3_mT4_P12ihipStream_tbEUlT_E1_NS1_11comp_targetILNS1_3genE0ELNS1_11target_archE4294967295ELNS1_3gpuE0ELNS1_3repE0EEENS1_30default_config_static_selectorELNS0_4arch9wavefront6targetE1EEEvST_,"axG",@progbits,_ZN7rocprim17ROCPRIM_400000_NS6detail17trampoline_kernelINS0_14default_configENS1_22reduce_config_selectorIN6thrust23THRUST_200600_302600_NS5tupleIllNS6_9null_typeES8_S8_S8_S8_S8_S8_S8_EEEEZNS1_11reduce_implILb0ES3_NS6_12zip_iteratorINS7_INS6_10device_ptrIlEENS6_11hip_rocprim19counting_iterator_tIlEES8_S8_S8_S8_S8_S8_S8_S8_EEEEPS9_S9_NSF_9__extrema9arg_max_fIllNS6_4lessIlEEEEEE10hipError_tPvRmT1_T2_T3_mT4_P12ihipStream_tbEUlT_E1_NS1_11comp_targetILNS1_3genE0ELNS1_11target_archE4294967295ELNS1_3gpuE0ELNS1_3repE0EEENS1_30default_config_static_selectorELNS0_4arch9wavefront6targetE1EEEvST_,comdat
	.protected	_ZN7rocprim17ROCPRIM_400000_NS6detail17trampoline_kernelINS0_14default_configENS1_22reduce_config_selectorIN6thrust23THRUST_200600_302600_NS5tupleIllNS6_9null_typeES8_S8_S8_S8_S8_S8_S8_EEEEZNS1_11reduce_implILb0ES3_NS6_12zip_iteratorINS7_INS6_10device_ptrIlEENS6_11hip_rocprim19counting_iterator_tIlEES8_S8_S8_S8_S8_S8_S8_S8_EEEEPS9_S9_NSF_9__extrema9arg_max_fIllNS6_4lessIlEEEEEE10hipError_tPvRmT1_T2_T3_mT4_P12ihipStream_tbEUlT_E1_NS1_11comp_targetILNS1_3genE0ELNS1_11target_archE4294967295ELNS1_3gpuE0ELNS1_3repE0EEENS1_30default_config_static_selectorELNS0_4arch9wavefront6targetE1EEEvST_ ; -- Begin function _ZN7rocprim17ROCPRIM_400000_NS6detail17trampoline_kernelINS0_14default_configENS1_22reduce_config_selectorIN6thrust23THRUST_200600_302600_NS5tupleIllNS6_9null_typeES8_S8_S8_S8_S8_S8_S8_EEEEZNS1_11reduce_implILb0ES3_NS6_12zip_iteratorINS7_INS6_10device_ptrIlEENS6_11hip_rocprim19counting_iterator_tIlEES8_S8_S8_S8_S8_S8_S8_S8_EEEEPS9_S9_NSF_9__extrema9arg_max_fIllNS6_4lessIlEEEEEE10hipError_tPvRmT1_T2_T3_mT4_P12ihipStream_tbEUlT_E1_NS1_11comp_targetILNS1_3genE0ELNS1_11target_archE4294967295ELNS1_3gpuE0ELNS1_3repE0EEENS1_30default_config_static_selectorELNS0_4arch9wavefront6targetE1EEEvST_
	.globl	_ZN7rocprim17ROCPRIM_400000_NS6detail17trampoline_kernelINS0_14default_configENS1_22reduce_config_selectorIN6thrust23THRUST_200600_302600_NS5tupleIllNS6_9null_typeES8_S8_S8_S8_S8_S8_S8_EEEEZNS1_11reduce_implILb0ES3_NS6_12zip_iteratorINS7_INS6_10device_ptrIlEENS6_11hip_rocprim19counting_iterator_tIlEES8_S8_S8_S8_S8_S8_S8_S8_EEEEPS9_S9_NSF_9__extrema9arg_max_fIllNS6_4lessIlEEEEEE10hipError_tPvRmT1_T2_T3_mT4_P12ihipStream_tbEUlT_E1_NS1_11comp_targetILNS1_3genE0ELNS1_11target_archE4294967295ELNS1_3gpuE0ELNS1_3repE0EEENS1_30default_config_static_selectorELNS0_4arch9wavefront6targetE1EEEvST_
	.p2align	8
	.type	_ZN7rocprim17ROCPRIM_400000_NS6detail17trampoline_kernelINS0_14default_configENS1_22reduce_config_selectorIN6thrust23THRUST_200600_302600_NS5tupleIllNS6_9null_typeES8_S8_S8_S8_S8_S8_S8_EEEEZNS1_11reduce_implILb0ES3_NS6_12zip_iteratorINS7_INS6_10device_ptrIlEENS6_11hip_rocprim19counting_iterator_tIlEES8_S8_S8_S8_S8_S8_S8_S8_EEEEPS9_S9_NSF_9__extrema9arg_max_fIllNS6_4lessIlEEEEEE10hipError_tPvRmT1_T2_T3_mT4_P12ihipStream_tbEUlT_E1_NS1_11comp_targetILNS1_3genE0ELNS1_11target_archE4294967295ELNS1_3gpuE0ELNS1_3repE0EEENS1_30default_config_static_selectorELNS0_4arch9wavefront6targetE1EEEvST_,@function
_ZN7rocprim17ROCPRIM_400000_NS6detail17trampoline_kernelINS0_14default_configENS1_22reduce_config_selectorIN6thrust23THRUST_200600_302600_NS5tupleIllNS6_9null_typeES8_S8_S8_S8_S8_S8_S8_EEEEZNS1_11reduce_implILb0ES3_NS6_12zip_iteratorINS7_INS6_10device_ptrIlEENS6_11hip_rocprim19counting_iterator_tIlEES8_S8_S8_S8_S8_S8_S8_S8_EEEEPS9_S9_NSF_9__extrema9arg_max_fIllNS6_4lessIlEEEEEE10hipError_tPvRmT1_T2_T3_mT4_P12ihipStream_tbEUlT_E1_NS1_11comp_targetILNS1_3genE0ELNS1_11target_archE4294967295ELNS1_3gpuE0ELNS1_3repE0EEENS1_30default_config_static_selectorELNS0_4arch9wavefront6targetE1EEEvST_: ; @_ZN7rocprim17ROCPRIM_400000_NS6detail17trampoline_kernelINS0_14default_configENS1_22reduce_config_selectorIN6thrust23THRUST_200600_302600_NS5tupleIllNS6_9null_typeES8_S8_S8_S8_S8_S8_S8_EEEEZNS1_11reduce_implILb0ES3_NS6_12zip_iteratorINS7_INS6_10device_ptrIlEENS6_11hip_rocprim19counting_iterator_tIlEES8_S8_S8_S8_S8_S8_S8_S8_EEEEPS9_S9_NSF_9__extrema9arg_max_fIllNS6_4lessIlEEEEEE10hipError_tPvRmT1_T2_T3_mT4_P12ihipStream_tbEUlT_E1_NS1_11comp_targetILNS1_3genE0ELNS1_11target_archE4294967295ELNS1_3gpuE0ELNS1_3repE0EEENS1_30default_config_static_selectorELNS0_4arch9wavefront6targetE1EEEvST_
; %bb.0:
	.section	.rodata,"a",@progbits
	.p2align	6, 0x0
	.amdhsa_kernel _ZN7rocprim17ROCPRIM_400000_NS6detail17trampoline_kernelINS0_14default_configENS1_22reduce_config_selectorIN6thrust23THRUST_200600_302600_NS5tupleIllNS6_9null_typeES8_S8_S8_S8_S8_S8_S8_EEEEZNS1_11reduce_implILb0ES3_NS6_12zip_iteratorINS7_INS6_10device_ptrIlEENS6_11hip_rocprim19counting_iterator_tIlEES8_S8_S8_S8_S8_S8_S8_S8_EEEEPS9_S9_NSF_9__extrema9arg_max_fIllNS6_4lessIlEEEEEE10hipError_tPvRmT1_T2_T3_mT4_P12ihipStream_tbEUlT_E1_NS1_11comp_targetILNS1_3genE0ELNS1_11target_archE4294967295ELNS1_3gpuE0ELNS1_3repE0EEENS1_30default_config_static_selectorELNS0_4arch9wavefront6targetE1EEEvST_
		.amdhsa_group_segment_fixed_size 0
		.amdhsa_private_segment_fixed_size 0
		.amdhsa_kernarg_size 64
		.amdhsa_user_sgpr_count 6
		.amdhsa_user_sgpr_private_segment_buffer 1
		.amdhsa_user_sgpr_dispatch_ptr 0
		.amdhsa_user_sgpr_queue_ptr 0
		.amdhsa_user_sgpr_kernarg_segment_ptr 1
		.amdhsa_user_sgpr_dispatch_id 0
		.amdhsa_user_sgpr_flat_scratch_init 0
		.amdhsa_user_sgpr_private_segment_size 0
		.amdhsa_uses_dynamic_stack 0
		.amdhsa_system_sgpr_private_segment_wavefront_offset 0
		.amdhsa_system_sgpr_workgroup_id_x 1
		.amdhsa_system_sgpr_workgroup_id_y 0
		.amdhsa_system_sgpr_workgroup_id_z 0
		.amdhsa_system_sgpr_workgroup_info 0
		.amdhsa_system_vgpr_workitem_id 0
		.amdhsa_next_free_vgpr 1
		.amdhsa_next_free_sgpr 0
		.amdhsa_reserve_vcc 0
		.amdhsa_reserve_flat_scratch 0
		.amdhsa_float_round_mode_32 0
		.amdhsa_float_round_mode_16_64 0
		.amdhsa_float_denorm_mode_32 3
		.amdhsa_float_denorm_mode_16_64 3
		.amdhsa_dx10_clamp 1
		.amdhsa_ieee_mode 1
		.amdhsa_fp16_overflow 0
		.amdhsa_exception_fp_ieee_invalid_op 0
		.amdhsa_exception_fp_denorm_src 0
		.amdhsa_exception_fp_ieee_div_zero 0
		.amdhsa_exception_fp_ieee_overflow 0
		.amdhsa_exception_fp_ieee_underflow 0
		.amdhsa_exception_fp_ieee_inexact 0
		.amdhsa_exception_int_div_zero 0
	.end_amdhsa_kernel
	.section	.text._ZN7rocprim17ROCPRIM_400000_NS6detail17trampoline_kernelINS0_14default_configENS1_22reduce_config_selectorIN6thrust23THRUST_200600_302600_NS5tupleIllNS6_9null_typeES8_S8_S8_S8_S8_S8_S8_EEEEZNS1_11reduce_implILb0ES3_NS6_12zip_iteratorINS7_INS6_10device_ptrIlEENS6_11hip_rocprim19counting_iterator_tIlEES8_S8_S8_S8_S8_S8_S8_S8_EEEEPS9_S9_NSF_9__extrema9arg_max_fIllNS6_4lessIlEEEEEE10hipError_tPvRmT1_T2_T3_mT4_P12ihipStream_tbEUlT_E1_NS1_11comp_targetILNS1_3genE0ELNS1_11target_archE4294967295ELNS1_3gpuE0ELNS1_3repE0EEENS1_30default_config_static_selectorELNS0_4arch9wavefront6targetE1EEEvST_,"axG",@progbits,_ZN7rocprim17ROCPRIM_400000_NS6detail17trampoline_kernelINS0_14default_configENS1_22reduce_config_selectorIN6thrust23THRUST_200600_302600_NS5tupleIllNS6_9null_typeES8_S8_S8_S8_S8_S8_S8_EEEEZNS1_11reduce_implILb0ES3_NS6_12zip_iteratorINS7_INS6_10device_ptrIlEENS6_11hip_rocprim19counting_iterator_tIlEES8_S8_S8_S8_S8_S8_S8_S8_EEEEPS9_S9_NSF_9__extrema9arg_max_fIllNS6_4lessIlEEEEEE10hipError_tPvRmT1_T2_T3_mT4_P12ihipStream_tbEUlT_E1_NS1_11comp_targetILNS1_3genE0ELNS1_11target_archE4294967295ELNS1_3gpuE0ELNS1_3repE0EEENS1_30default_config_static_selectorELNS0_4arch9wavefront6targetE1EEEvST_,comdat
.Lfunc_end430:
	.size	_ZN7rocprim17ROCPRIM_400000_NS6detail17trampoline_kernelINS0_14default_configENS1_22reduce_config_selectorIN6thrust23THRUST_200600_302600_NS5tupleIllNS6_9null_typeES8_S8_S8_S8_S8_S8_S8_EEEEZNS1_11reduce_implILb0ES3_NS6_12zip_iteratorINS7_INS6_10device_ptrIlEENS6_11hip_rocprim19counting_iterator_tIlEES8_S8_S8_S8_S8_S8_S8_S8_EEEEPS9_S9_NSF_9__extrema9arg_max_fIllNS6_4lessIlEEEEEE10hipError_tPvRmT1_T2_T3_mT4_P12ihipStream_tbEUlT_E1_NS1_11comp_targetILNS1_3genE0ELNS1_11target_archE4294967295ELNS1_3gpuE0ELNS1_3repE0EEENS1_30default_config_static_selectorELNS0_4arch9wavefront6targetE1EEEvST_, .Lfunc_end430-_ZN7rocprim17ROCPRIM_400000_NS6detail17trampoline_kernelINS0_14default_configENS1_22reduce_config_selectorIN6thrust23THRUST_200600_302600_NS5tupleIllNS6_9null_typeES8_S8_S8_S8_S8_S8_S8_EEEEZNS1_11reduce_implILb0ES3_NS6_12zip_iteratorINS7_INS6_10device_ptrIlEENS6_11hip_rocprim19counting_iterator_tIlEES8_S8_S8_S8_S8_S8_S8_S8_EEEEPS9_S9_NSF_9__extrema9arg_max_fIllNS6_4lessIlEEEEEE10hipError_tPvRmT1_T2_T3_mT4_P12ihipStream_tbEUlT_E1_NS1_11comp_targetILNS1_3genE0ELNS1_11target_archE4294967295ELNS1_3gpuE0ELNS1_3repE0EEENS1_30default_config_static_selectorELNS0_4arch9wavefront6targetE1EEEvST_
                                        ; -- End function
	.set _ZN7rocprim17ROCPRIM_400000_NS6detail17trampoline_kernelINS0_14default_configENS1_22reduce_config_selectorIN6thrust23THRUST_200600_302600_NS5tupleIllNS6_9null_typeES8_S8_S8_S8_S8_S8_S8_EEEEZNS1_11reduce_implILb0ES3_NS6_12zip_iteratorINS7_INS6_10device_ptrIlEENS6_11hip_rocprim19counting_iterator_tIlEES8_S8_S8_S8_S8_S8_S8_S8_EEEEPS9_S9_NSF_9__extrema9arg_max_fIllNS6_4lessIlEEEEEE10hipError_tPvRmT1_T2_T3_mT4_P12ihipStream_tbEUlT_E1_NS1_11comp_targetILNS1_3genE0ELNS1_11target_archE4294967295ELNS1_3gpuE0ELNS1_3repE0EEENS1_30default_config_static_selectorELNS0_4arch9wavefront6targetE1EEEvST_.num_vgpr, 0
	.set _ZN7rocprim17ROCPRIM_400000_NS6detail17trampoline_kernelINS0_14default_configENS1_22reduce_config_selectorIN6thrust23THRUST_200600_302600_NS5tupleIllNS6_9null_typeES8_S8_S8_S8_S8_S8_S8_EEEEZNS1_11reduce_implILb0ES3_NS6_12zip_iteratorINS7_INS6_10device_ptrIlEENS6_11hip_rocprim19counting_iterator_tIlEES8_S8_S8_S8_S8_S8_S8_S8_EEEEPS9_S9_NSF_9__extrema9arg_max_fIllNS6_4lessIlEEEEEE10hipError_tPvRmT1_T2_T3_mT4_P12ihipStream_tbEUlT_E1_NS1_11comp_targetILNS1_3genE0ELNS1_11target_archE4294967295ELNS1_3gpuE0ELNS1_3repE0EEENS1_30default_config_static_selectorELNS0_4arch9wavefront6targetE1EEEvST_.num_agpr, 0
	.set _ZN7rocprim17ROCPRIM_400000_NS6detail17trampoline_kernelINS0_14default_configENS1_22reduce_config_selectorIN6thrust23THRUST_200600_302600_NS5tupleIllNS6_9null_typeES8_S8_S8_S8_S8_S8_S8_EEEEZNS1_11reduce_implILb0ES3_NS6_12zip_iteratorINS7_INS6_10device_ptrIlEENS6_11hip_rocprim19counting_iterator_tIlEES8_S8_S8_S8_S8_S8_S8_S8_EEEEPS9_S9_NSF_9__extrema9arg_max_fIllNS6_4lessIlEEEEEE10hipError_tPvRmT1_T2_T3_mT4_P12ihipStream_tbEUlT_E1_NS1_11comp_targetILNS1_3genE0ELNS1_11target_archE4294967295ELNS1_3gpuE0ELNS1_3repE0EEENS1_30default_config_static_selectorELNS0_4arch9wavefront6targetE1EEEvST_.numbered_sgpr, 0
	.set _ZN7rocprim17ROCPRIM_400000_NS6detail17trampoline_kernelINS0_14default_configENS1_22reduce_config_selectorIN6thrust23THRUST_200600_302600_NS5tupleIllNS6_9null_typeES8_S8_S8_S8_S8_S8_S8_EEEEZNS1_11reduce_implILb0ES3_NS6_12zip_iteratorINS7_INS6_10device_ptrIlEENS6_11hip_rocprim19counting_iterator_tIlEES8_S8_S8_S8_S8_S8_S8_S8_EEEEPS9_S9_NSF_9__extrema9arg_max_fIllNS6_4lessIlEEEEEE10hipError_tPvRmT1_T2_T3_mT4_P12ihipStream_tbEUlT_E1_NS1_11comp_targetILNS1_3genE0ELNS1_11target_archE4294967295ELNS1_3gpuE0ELNS1_3repE0EEENS1_30default_config_static_selectorELNS0_4arch9wavefront6targetE1EEEvST_.num_named_barrier, 0
	.set _ZN7rocprim17ROCPRIM_400000_NS6detail17trampoline_kernelINS0_14default_configENS1_22reduce_config_selectorIN6thrust23THRUST_200600_302600_NS5tupleIllNS6_9null_typeES8_S8_S8_S8_S8_S8_S8_EEEEZNS1_11reduce_implILb0ES3_NS6_12zip_iteratorINS7_INS6_10device_ptrIlEENS6_11hip_rocprim19counting_iterator_tIlEES8_S8_S8_S8_S8_S8_S8_S8_EEEEPS9_S9_NSF_9__extrema9arg_max_fIllNS6_4lessIlEEEEEE10hipError_tPvRmT1_T2_T3_mT4_P12ihipStream_tbEUlT_E1_NS1_11comp_targetILNS1_3genE0ELNS1_11target_archE4294967295ELNS1_3gpuE0ELNS1_3repE0EEENS1_30default_config_static_selectorELNS0_4arch9wavefront6targetE1EEEvST_.private_seg_size, 0
	.set _ZN7rocprim17ROCPRIM_400000_NS6detail17trampoline_kernelINS0_14default_configENS1_22reduce_config_selectorIN6thrust23THRUST_200600_302600_NS5tupleIllNS6_9null_typeES8_S8_S8_S8_S8_S8_S8_EEEEZNS1_11reduce_implILb0ES3_NS6_12zip_iteratorINS7_INS6_10device_ptrIlEENS6_11hip_rocprim19counting_iterator_tIlEES8_S8_S8_S8_S8_S8_S8_S8_EEEEPS9_S9_NSF_9__extrema9arg_max_fIllNS6_4lessIlEEEEEE10hipError_tPvRmT1_T2_T3_mT4_P12ihipStream_tbEUlT_E1_NS1_11comp_targetILNS1_3genE0ELNS1_11target_archE4294967295ELNS1_3gpuE0ELNS1_3repE0EEENS1_30default_config_static_selectorELNS0_4arch9wavefront6targetE1EEEvST_.uses_vcc, 0
	.set _ZN7rocprim17ROCPRIM_400000_NS6detail17trampoline_kernelINS0_14default_configENS1_22reduce_config_selectorIN6thrust23THRUST_200600_302600_NS5tupleIllNS6_9null_typeES8_S8_S8_S8_S8_S8_S8_EEEEZNS1_11reduce_implILb0ES3_NS6_12zip_iteratorINS7_INS6_10device_ptrIlEENS6_11hip_rocprim19counting_iterator_tIlEES8_S8_S8_S8_S8_S8_S8_S8_EEEEPS9_S9_NSF_9__extrema9arg_max_fIllNS6_4lessIlEEEEEE10hipError_tPvRmT1_T2_T3_mT4_P12ihipStream_tbEUlT_E1_NS1_11comp_targetILNS1_3genE0ELNS1_11target_archE4294967295ELNS1_3gpuE0ELNS1_3repE0EEENS1_30default_config_static_selectorELNS0_4arch9wavefront6targetE1EEEvST_.uses_flat_scratch, 0
	.set _ZN7rocprim17ROCPRIM_400000_NS6detail17trampoline_kernelINS0_14default_configENS1_22reduce_config_selectorIN6thrust23THRUST_200600_302600_NS5tupleIllNS6_9null_typeES8_S8_S8_S8_S8_S8_S8_EEEEZNS1_11reduce_implILb0ES3_NS6_12zip_iteratorINS7_INS6_10device_ptrIlEENS6_11hip_rocprim19counting_iterator_tIlEES8_S8_S8_S8_S8_S8_S8_S8_EEEEPS9_S9_NSF_9__extrema9arg_max_fIllNS6_4lessIlEEEEEE10hipError_tPvRmT1_T2_T3_mT4_P12ihipStream_tbEUlT_E1_NS1_11comp_targetILNS1_3genE0ELNS1_11target_archE4294967295ELNS1_3gpuE0ELNS1_3repE0EEENS1_30default_config_static_selectorELNS0_4arch9wavefront6targetE1EEEvST_.has_dyn_sized_stack, 0
	.set _ZN7rocprim17ROCPRIM_400000_NS6detail17trampoline_kernelINS0_14default_configENS1_22reduce_config_selectorIN6thrust23THRUST_200600_302600_NS5tupleIllNS6_9null_typeES8_S8_S8_S8_S8_S8_S8_EEEEZNS1_11reduce_implILb0ES3_NS6_12zip_iteratorINS7_INS6_10device_ptrIlEENS6_11hip_rocprim19counting_iterator_tIlEES8_S8_S8_S8_S8_S8_S8_S8_EEEEPS9_S9_NSF_9__extrema9arg_max_fIllNS6_4lessIlEEEEEE10hipError_tPvRmT1_T2_T3_mT4_P12ihipStream_tbEUlT_E1_NS1_11comp_targetILNS1_3genE0ELNS1_11target_archE4294967295ELNS1_3gpuE0ELNS1_3repE0EEENS1_30default_config_static_selectorELNS0_4arch9wavefront6targetE1EEEvST_.has_recursion, 0
	.set _ZN7rocprim17ROCPRIM_400000_NS6detail17trampoline_kernelINS0_14default_configENS1_22reduce_config_selectorIN6thrust23THRUST_200600_302600_NS5tupleIllNS6_9null_typeES8_S8_S8_S8_S8_S8_S8_EEEEZNS1_11reduce_implILb0ES3_NS6_12zip_iteratorINS7_INS6_10device_ptrIlEENS6_11hip_rocprim19counting_iterator_tIlEES8_S8_S8_S8_S8_S8_S8_S8_EEEEPS9_S9_NSF_9__extrema9arg_max_fIllNS6_4lessIlEEEEEE10hipError_tPvRmT1_T2_T3_mT4_P12ihipStream_tbEUlT_E1_NS1_11comp_targetILNS1_3genE0ELNS1_11target_archE4294967295ELNS1_3gpuE0ELNS1_3repE0EEENS1_30default_config_static_selectorELNS0_4arch9wavefront6targetE1EEEvST_.has_indirect_call, 0
	.section	.AMDGPU.csdata,"",@progbits
; Kernel info:
; codeLenInByte = 0
; TotalNumSgprs: 4
; NumVgprs: 0
; ScratchSize: 0
; MemoryBound: 0
; FloatMode: 240
; IeeeMode: 1
; LDSByteSize: 0 bytes/workgroup (compile time only)
; SGPRBlocks: 0
; VGPRBlocks: 0
; NumSGPRsForWavesPerEU: 4
; NumVGPRsForWavesPerEU: 1
; Occupancy: 10
; WaveLimiterHint : 0
; COMPUTE_PGM_RSRC2:SCRATCH_EN: 0
; COMPUTE_PGM_RSRC2:USER_SGPR: 6
; COMPUTE_PGM_RSRC2:TRAP_HANDLER: 0
; COMPUTE_PGM_RSRC2:TGID_X_EN: 1
; COMPUTE_PGM_RSRC2:TGID_Y_EN: 0
; COMPUTE_PGM_RSRC2:TGID_Z_EN: 0
; COMPUTE_PGM_RSRC2:TIDIG_COMP_CNT: 0
	.section	.text._ZN7rocprim17ROCPRIM_400000_NS6detail17trampoline_kernelINS0_14default_configENS1_22reduce_config_selectorIN6thrust23THRUST_200600_302600_NS5tupleIllNS6_9null_typeES8_S8_S8_S8_S8_S8_S8_EEEEZNS1_11reduce_implILb0ES3_NS6_12zip_iteratorINS7_INS6_10device_ptrIlEENS6_11hip_rocprim19counting_iterator_tIlEES8_S8_S8_S8_S8_S8_S8_S8_EEEEPS9_S9_NSF_9__extrema9arg_max_fIllNS6_4lessIlEEEEEE10hipError_tPvRmT1_T2_T3_mT4_P12ihipStream_tbEUlT_E1_NS1_11comp_targetILNS1_3genE5ELNS1_11target_archE942ELNS1_3gpuE9ELNS1_3repE0EEENS1_30default_config_static_selectorELNS0_4arch9wavefront6targetE1EEEvST_,"axG",@progbits,_ZN7rocprim17ROCPRIM_400000_NS6detail17trampoline_kernelINS0_14default_configENS1_22reduce_config_selectorIN6thrust23THRUST_200600_302600_NS5tupleIllNS6_9null_typeES8_S8_S8_S8_S8_S8_S8_EEEEZNS1_11reduce_implILb0ES3_NS6_12zip_iteratorINS7_INS6_10device_ptrIlEENS6_11hip_rocprim19counting_iterator_tIlEES8_S8_S8_S8_S8_S8_S8_S8_EEEEPS9_S9_NSF_9__extrema9arg_max_fIllNS6_4lessIlEEEEEE10hipError_tPvRmT1_T2_T3_mT4_P12ihipStream_tbEUlT_E1_NS1_11comp_targetILNS1_3genE5ELNS1_11target_archE942ELNS1_3gpuE9ELNS1_3repE0EEENS1_30default_config_static_selectorELNS0_4arch9wavefront6targetE1EEEvST_,comdat
	.protected	_ZN7rocprim17ROCPRIM_400000_NS6detail17trampoline_kernelINS0_14default_configENS1_22reduce_config_selectorIN6thrust23THRUST_200600_302600_NS5tupleIllNS6_9null_typeES8_S8_S8_S8_S8_S8_S8_EEEEZNS1_11reduce_implILb0ES3_NS6_12zip_iteratorINS7_INS6_10device_ptrIlEENS6_11hip_rocprim19counting_iterator_tIlEES8_S8_S8_S8_S8_S8_S8_S8_EEEEPS9_S9_NSF_9__extrema9arg_max_fIllNS6_4lessIlEEEEEE10hipError_tPvRmT1_T2_T3_mT4_P12ihipStream_tbEUlT_E1_NS1_11comp_targetILNS1_3genE5ELNS1_11target_archE942ELNS1_3gpuE9ELNS1_3repE0EEENS1_30default_config_static_selectorELNS0_4arch9wavefront6targetE1EEEvST_ ; -- Begin function _ZN7rocprim17ROCPRIM_400000_NS6detail17trampoline_kernelINS0_14default_configENS1_22reduce_config_selectorIN6thrust23THRUST_200600_302600_NS5tupleIllNS6_9null_typeES8_S8_S8_S8_S8_S8_S8_EEEEZNS1_11reduce_implILb0ES3_NS6_12zip_iteratorINS7_INS6_10device_ptrIlEENS6_11hip_rocprim19counting_iterator_tIlEES8_S8_S8_S8_S8_S8_S8_S8_EEEEPS9_S9_NSF_9__extrema9arg_max_fIllNS6_4lessIlEEEEEE10hipError_tPvRmT1_T2_T3_mT4_P12ihipStream_tbEUlT_E1_NS1_11comp_targetILNS1_3genE5ELNS1_11target_archE942ELNS1_3gpuE9ELNS1_3repE0EEENS1_30default_config_static_selectorELNS0_4arch9wavefront6targetE1EEEvST_
	.globl	_ZN7rocprim17ROCPRIM_400000_NS6detail17trampoline_kernelINS0_14default_configENS1_22reduce_config_selectorIN6thrust23THRUST_200600_302600_NS5tupleIllNS6_9null_typeES8_S8_S8_S8_S8_S8_S8_EEEEZNS1_11reduce_implILb0ES3_NS6_12zip_iteratorINS7_INS6_10device_ptrIlEENS6_11hip_rocprim19counting_iterator_tIlEES8_S8_S8_S8_S8_S8_S8_S8_EEEEPS9_S9_NSF_9__extrema9arg_max_fIllNS6_4lessIlEEEEEE10hipError_tPvRmT1_T2_T3_mT4_P12ihipStream_tbEUlT_E1_NS1_11comp_targetILNS1_3genE5ELNS1_11target_archE942ELNS1_3gpuE9ELNS1_3repE0EEENS1_30default_config_static_selectorELNS0_4arch9wavefront6targetE1EEEvST_
	.p2align	8
	.type	_ZN7rocprim17ROCPRIM_400000_NS6detail17trampoline_kernelINS0_14default_configENS1_22reduce_config_selectorIN6thrust23THRUST_200600_302600_NS5tupleIllNS6_9null_typeES8_S8_S8_S8_S8_S8_S8_EEEEZNS1_11reduce_implILb0ES3_NS6_12zip_iteratorINS7_INS6_10device_ptrIlEENS6_11hip_rocprim19counting_iterator_tIlEES8_S8_S8_S8_S8_S8_S8_S8_EEEEPS9_S9_NSF_9__extrema9arg_max_fIllNS6_4lessIlEEEEEE10hipError_tPvRmT1_T2_T3_mT4_P12ihipStream_tbEUlT_E1_NS1_11comp_targetILNS1_3genE5ELNS1_11target_archE942ELNS1_3gpuE9ELNS1_3repE0EEENS1_30default_config_static_selectorELNS0_4arch9wavefront6targetE1EEEvST_,@function
_ZN7rocprim17ROCPRIM_400000_NS6detail17trampoline_kernelINS0_14default_configENS1_22reduce_config_selectorIN6thrust23THRUST_200600_302600_NS5tupleIllNS6_9null_typeES8_S8_S8_S8_S8_S8_S8_EEEEZNS1_11reduce_implILb0ES3_NS6_12zip_iteratorINS7_INS6_10device_ptrIlEENS6_11hip_rocprim19counting_iterator_tIlEES8_S8_S8_S8_S8_S8_S8_S8_EEEEPS9_S9_NSF_9__extrema9arg_max_fIllNS6_4lessIlEEEEEE10hipError_tPvRmT1_T2_T3_mT4_P12ihipStream_tbEUlT_E1_NS1_11comp_targetILNS1_3genE5ELNS1_11target_archE942ELNS1_3gpuE9ELNS1_3repE0EEENS1_30default_config_static_selectorELNS0_4arch9wavefront6targetE1EEEvST_: ; @_ZN7rocprim17ROCPRIM_400000_NS6detail17trampoline_kernelINS0_14default_configENS1_22reduce_config_selectorIN6thrust23THRUST_200600_302600_NS5tupleIllNS6_9null_typeES8_S8_S8_S8_S8_S8_S8_EEEEZNS1_11reduce_implILb0ES3_NS6_12zip_iteratorINS7_INS6_10device_ptrIlEENS6_11hip_rocprim19counting_iterator_tIlEES8_S8_S8_S8_S8_S8_S8_S8_EEEEPS9_S9_NSF_9__extrema9arg_max_fIllNS6_4lessIlEEEEEE10hipError_tPvRmT1_T2_T3_mT4_P12ihipStream_tbEUlT_E1_NS1_11comp_targetILNS1_3genE5ELNS1_11target_archE942ELNS1_3gpuE9ELNS1_3repE0EEENS1_30default_config_static_selectorELNS0_4arch9wavefront6targetE1EEEvST_
; %bb.0:
	.section	.rodata,"a",@progbits
	.p2align	6, 0x0
	.amdhsa_kernel _ZN7rocprim17ROCPRIM_400000_NS6detail17trampoline_kernelINS0_14default_configENS1_22reduce_config_selectorIN6thrust23THRUST_200600_302600_NS5tupleIllNS6_9null_typeES8_S8_S8_S8_S8_S8_S8_EEEEZNS1_11reduce_implILb0ES3_NS6_12zip_iteratorINS7_INS6_10device_ptrIlEENS6_11hip_rocprim19counting_iterator_tIlEES8_S8_S8_S8_S8_S8_S8_S8_EEEEPS9_S9_NSF_9__extrema9arg_max_fIllNS6_4lessIlEEEEEE10hipError_tPvRmT1_T2_T3_mT4_P12ihipStream_tbEUlT_E1_NS1_11comp_targetILNS1_3genE5ELNS1_11target_archE942ELNS1_3gpuE9ELNS1_3repE0EEENS1_30default_config_static_selectorELNS0_4arch9wavefront6targetE1EEEvST_
		.amdhsa_group_segment_fixed_size 0
		.amdhsa_private_segment_fixed_size 0
		.amdhsa_kernarg_size 64
		.amdhsa_user_sgpr_count 6
		.amdhsa_user_sgpr_private_segment_buffer 1
		.amdhsa_user_sgpr_dispatch_ptr 0
		.amdhsa_user_sgpr_queue_ptr 0
		.amdhsa_user_sgpr_kernarg_segment_ptr 1
		.amdhsa_user_sgpr_dispatch_id 0
		.amdhsa_user_sgpr_flat_scratch_init 0
		.amdhsa_user_sgpr_private_segment_size 0
		.amdhsa_uses_dynamic_stack 0
		.amdhsa_system_sgpr_private_segment_wavefront_offset 0
		.amdhsa_system_sgpr_workgroup_id_x 1
		.amdhsa_system_sgpr_workgroup_id_y 0
		.amdhsa_system_sgpr_workgroup_id_z 0
		.amdhsa_system_sgpr_workgroup_info 0
		.amdhsa_system_vgpr_workitem_id 0
		.amdhsa_next_free_vgpr 1
		.amdhsa_next_free_sgpr 0
		.amdhsa_reserve_vcc 0
		.amdhsa_reserve_flat_scratch 0
		.amdhsa_float_round_mode_32 0
		.amdhsa_float_round_mode_16_64 0
		.amdhsa_float_denorm_mode_32 3
		.amdhsa_float_denorm_mode_16_64 3
		.amdhsa_dx10_clamp 1
		.amdhsa_ieee_mode 1
		.amdhsa_fp16_overflow 0
		.amdhsa_exception_fp_ieee_invalid_op 0
		.amdhsa_exception_fp_denorm_src 0
		.amdhsa_exception_fp_ieee_div_zero 0
		.amdhsa_exception_fp_ieee_overflow 0
		.amdhsa_exception_fp_ieee_underflow 0
		.amdhsa_exception_fp_ieee_inexact 0
		.amdhsa_exception_int_div_zero 0
	.end_amdhsa_kernel
	.section	.text._ZN7rocprim17ROCPRIM_400000_NS6detail17trampoline_kernelINS0_14default_configENS1_22reduce_config_selectorIN6thrust23THRUST_200600_302600_NS5tupleIllNS6_9null_typeES8_S8_S8_S8_S8_S8_S8_EEEEZNS1_11reduce_implILb0ES3_NS6_12zip_iteratorINS7_INS6_10device_ptrIlEENS6_11hip_rocprim19counting_iterator_tIlEES8_S8_S8_S8_S8_S8_S8_S8_EEEEPS9_S9_NSF_9__extrema9arg_max_fIllNS6_4lessIlEEEEEE10hipError_tPvRmT1_T2_T3_mT4_P12ihipStream_tbEUlT_E1_NS1_11comp_targetILNS1_3genE5ELNS1_11target_archE942ELNS1_3gpuE9ELNS1_3repE0EEENS1_30default_config_static_selectorELNS0_4arch9wavefront6targetE1EEEvST_,"axG",@progbits,_ZN7rocprim17ROCPRIM_400000_NS6detail17trampoline_kernelINS0_14default_configENS1_22reduce_config_selectorIN6thrust23THRUST_200600_302600_NS5tupleIllNS6_9null_typeES8_S8_S8_S8_S8_S8_S8_EEEEZNS1_11reduce_implILb0ES3_NS6_12zip_iteratorINS7_INS6_10device_ptrIlEENS6_11hip_rocprim19counting_iterator_tIlEES8_S8_S8_S8_S8_S8_S8_S8_EEEEPS9_S9_NSF_9__extrema9arg_max_fIllNS6_4lessIlEEEEEE10hipError_tPvRmT1_T2_T3_mT4_P12ihipStream_tbEUlT_E1_NS1_11comp_targetILNS1_3genE5ELNS1_11target_archE942ELNS1_3gpuE9ELNS1_3repE0EEENS1_30default_config_static_selectorELNS0_4arch9wavefront6targetE1EEEvST_,comdat
.Lfunc_end431:
	.size	_ZN7rocprim17ROCPRIM_400000_NS6detail17trampoline_kernelINS0_14default_configENS1_22reduce_config_selectorIN6thrust23THRUST_200600_302600_NS5tupleIllNS6_9null_typeES8_S8_S8_S8_S8_S8_S8_EEEEZNS1_11reduce_implILb0ES3_NS6_12zip_iteratorINS7_INS6_10device_ptrIlEENS6_11hip_rocprim19counting_iterator_tIlEES8_S8_S8_S8_S8_S8_S8_S8_EEEEPS9_S9_NSF_9__extrema9arg_max_fIllNS6_4lessIlEEEEEE10hipError_tPvRmT1_T2_T3_mT4_P12ihipStream_tbEUlT_E1_NS1_11comp_targetILNS1_3genE5ELNS1_11target_archE942ELNS1_3gpuE9ELNS1_3repE0EEENS1_30default_config_static_selectorELNS0_4arch9wavefront6targetE1EEEvST_, .Lfunc_end431-_ZN7rocprim17ROCPRIM_400000_NS6detail17trampoline_kernelINS0_14default_configENS1_22reduce_config_selectorIN6thrust23THRUST_200600_302600_NS5tupleIllNS6_9null_typeES8_S8_S8_S8_S8_S8_S8_EEEEZNS1_11reduce_implILb0ES3_NS6_12zip_iteratorINS7_INS6_10device_ptrIlEENS6_11hip_rocprim19counting_iterator_tIlEES8_S8_S8_S8_S8_S8_S8_S8_EEEEPS9_S9_NSF_9__extrema9arg_max_fIllNS6_4lessIlEEEEEE10hipError_tPvRmT1_T2_T3_mT4_P12ihipStream_tbEUlT_E1_NS1_11comp_targetILNS1_3genE5ELNS1_11target_archE942ELNS1_3gpuE9ELNS1_3repE0EEENS1_30default_config_static_selectorELNS0_4arch9wavefront6targetE1EEEvST_
                                        ; -- End function
	.set _ZN7rocprim17ROCPRIM_400000_NS6detail17trampoline_kernelINS0_14default_configENS1_22reduce_config_selectorIN6thrust23THRUST_200600_302600_NS5tupleIllNS6_9null_typeES8_S8_S8_S8_S8_S8_S8_EEEEZNS1_11reduce_implILb0ES3_NS6_12zip_iteratorINS7_INS6_10device_ptrIlEENS6_11hip_rocprim19counting_iterator_tIlEES8_S8_S8_S8_S8_S8_S8_S8_EEEEPS9_S9_NSF_9__extrema9arg_max_fIllNS6_4lessIlEEEEEE10hipError_tPvRmT1_T2_T3_mT4_P12ihipStream_tbEUlT_E1_NS1_11comp_targetILNS1_3genE5ELNS1_11target_archE942ELNS1_3gpuE9ELNS1_3repE0EEENS1_30default_config_static_selectorELNS0_4arch9wavefront6targetE1EEEvST_.num_vgpr, 0
	.set _ZN7rocprim17ROCPRIM_400000_NS6detail17trampoline_kernelINS0_14default_configENS1_22reduce_config_selectorIN6thrust23THRUST_200600_302600_NS5tupleIllNS6_9null_typeES8_S8_S8_S8_S8_S8_S8_EEEEZNS1_11reduce_implILb0ES3_NS6_12zip_iteratorINS7_INS6_10device_ptrIlEENS6_11hip_rocprim19counting_iterator_tIlEES8_S8_S8_S8_S8_S8_S8_S8_EEEEPS9_S9_NSF_9__extrema9arg_max_fIllNS6_4lessIlEEEEEE10hipError_tPvRmT1_T2_T3_mT4_P12ihipStream_tbEUlT_E1_NS1_11comp_targetILNS1_3genE5ELNS1_11target_archE942ELNS1_3gpuE9ELNS1_3repE0EEENS1_30default_config_static_selectorELNS0_4arch9wavefront6targetE1EEEvST_.num_agpr, 0
	.set _ZN7rocprim17ROCPRIM_400000_NS6detail17trampoline_kernelINS0_14default_configENS1_22reduce_config_selectorIN6thrust23THRUST_200600_302600_NS5tupleIllNS6_9null_typeES8_S8_S8_S8_S8_S8_S8_EEEEZNS1_11reduce_implILb0ES3_NS6_12zip_iteratorINS7_INS6_10device_ptrIlEENS6_11hip_rocprim19counting_iterator_tIlEES8_S8_S8_S8_S8_S8_S8_S8_EEEEPS9_S9_NSF_9__extrema9arg_max_fIllNS6_4lessIlEEEEEE10hipError_tPvRmT1_T2_T3_mT4_P12ihipStream_tbEUlT_E1_NS1_11comp_targetILNS1_3genE5ELNS1_11target_archE942ELNS1_3gpuE9ELNS1_3repE0EEENS1_30default_config_static_selectorELNS0_4arch9wavefront6targetE1EEEvST_.numbered_sgpr, 0
	.set _ZN7rocprim17ROCPRIM_400000_NS6detail17trampoline_kernelINS0_14default_configENS1_22reduce_config_selectorIN6thrust23THRUST_200600_302600_NS5tupleIllNS6_9null_typeES8_S8_S8_S8_S8_S8_S8_EEEEZNS1_11reduce_implILb0ES3_NS6_12zip_iteratorINS7_INS6_10device_ptrIlEENS6_11hip_rocprim19counting_iterator_tIlEES8_S8_S8_S8_S8_S8_S8_S8_EEEEPS9_S9_NSF_9__extrema9arg_max_fIllNS6_4lessIlEEEEEE10hipError_tPvRmT1_T2_T3_mT4_P12ihipStream_tbEUlT_E1_NS1_11comp_targetILNS1_3genE5ELNS1_11target_archE942ELNS1_3gpuE9ELNS1_3repE0EEENS1_30default_config_static_selectorELNS0_4arch9wavefront6targetE1EEEvST_.num_named_barrier, 0
	.set _ZN7rocprim17ROCPRIM_400000_NS6detail17trampoline_kernelINS0_14default_configENS1_22reduce_config_selectorIN6thrust23THRUST_200600_302600_NS5tupleIllNS6_9null_typeES8_S8_S8_S8_S8_S8_S8_EEEEZNS1_11reduce_implILb0ES3_NS6_12zip_iteratorINS7_INS6_10device_ptrIlEENS6_11hip_rocprim19counting_iterator_tIlEES8_S8_S8_S8_S8_S8_S8_S8_EEEEPS9_S9_NSF_9__extrema9arg_max_fIllNS6_4lessIlEEEEEE10hipError_tPvRmT1_T2_T3_mT4_P12ihipStream_tbEUlT_E1_NS1_11comp_targetILNS1_3genE5ELNS1_11target_archE942ELNS1_3gpuE9ELNS1_3repE0EEENS1_30default_config_static_selectorELNS0_4arch9wavefront6targetE1EEEvST_.private_seg_size, 0
	.set _ZN7rocprim17ROCPRIM_400000_NS6detail17trampoline_kernelINS0_14default_configENS1_22reduce_config_selectorIN6thrust23THRUST_200600_302600_NS5tupleIllNS6_9null_typeES8_S8_S8_S8_S8_S8_S8_EEEEZNS1_11reduce_implILb0ES3_NS6_12zip_iteratorINS7_INS6_10device_ptrIlEENS6_11hip_rocprim19counting_iterator_tIlEES8_S8_S8_S8_S8_S8_S8_S8_EEEEPS9_S9_NSF_9__extrema9arg_max_fIllNS6_4lessIlEEEEEE10hipError_tPvRmT1_T2_T3_mT4_P12ihipStream_tbEUlT_E1_NS1_11comp_targetILNS1_3genE5ELNS1_11target_archE942ELNS1_3gpuE9ELNS1_3repE0EEENS1_30default_config_static_selectorELNS0_4arch9wavefront6targetE1EEEvST_.uses_vcc, 0
	.set _ZN7rocprim17ROCPRIM_400000_NS6detail17trampoline_kernelINS0_14default_configENS1_22reduce_config_selectorIN6thrust23THRUST_200600_302600_NS5tupleIllNS6_9null_typeES8_S8_S8_S8_S8_S8_S8_EEEEZNS1_11reduce_implILb0ES3_NS6_12zip_iteratorINS7_INS6_10device_ptrIlEENS6_11hip_rocprim19counting_iterator_tIlEES8_S8_S8_S8_S8_S8_S8_S8_EEEEPS9_S9_NSF_9__extrema9arg_max_fIllNS6_4lessIlEEEEEE10hipError_tPvRmT1_T2_T3_mT4_P12ihipStream_tbEUlT_E1_NS1_11comp_targetILNS1_3genE5ELNS1_11target_archE942ELNS1_3gpuE9ELNS1_3repE0EEENS1_30default_config_static_selectorELNS0_4arch9wavefront6targetE1EEEvST_.uses_flat_scratch, 0
	.set _ZN7rocprim17ROCPRIM_400000_NS6detail17trampoline_kernelINS0_14default_configENS1_22reduce_config_selectorIN6thrust23THRUST_200600_302600_NS5tupleIllNS6_9null_typeES8_S8_S8_S8_S8_S8_S8_EEEEZNS1_11reduce_implILb0ES3_NS6_12zip_iteratorINS7_INS6_10device_ptrIlEENS6_11hip_rocprim19counting_iterator_tIlEES8_S8_S8_S8_S8_S8_S8_S8_EEEEPS9_S9_NSF_9__extrema9arg_max_fIllNS6_4lessIlEEEEEE10hipError_tPvRmT1_T2_T3_mT4_P12ihipStream_tbEUlT_E1_NS1_11comp_targetILNS1_3genE5ELNS1_11target_archE942ELNS1_3gpuE9ELNS1_3repE0EEENS1_30default_config_static_selectorELNS0_4arch9wavefront6targetE1EEEvST_.has_dyn_sized_stack, 0
	.set _ZN7rocprim17ROCPRIM_400000_NS6detail17trampoline_kernelINS0_14default_configENS1_22reduce_config_selectorIN6thrust23THRUST_200600_302600_NS5tupleIllNS6_9null_typeES8_S8_S8_S8_S8_S8_S8_EEEEZNS1_11reduce_implILb0ES3_NS6_12zip_iteratorINS7_INS6_10device_ptrIlEENS6_11hip_rocprim19counting_iterator_tIlEES8_S8_S8_S8_S8_S8_S8_S8_EEEEPS9_S9_NSF_9__extrema9arg_max_fIllNS6_4lessIlEEEEEE10hipError_tPvRmT1_T2_T3_mT4_P12ihipStream_tbEUlT_E1_NS1_11comp_targetILNS1_3genE5ELNS1_11target_archE942ELNS1_3gpuE9ELNS1_3repE0EEENS1_30default_config_static_selectorELNS0_4arch9wavefront6targetE1EEEvST_.has_recursion, 0
	.set _ZN7rocprim17ROCPRIM_400000_NS6detail17trampoline_kernelINS0_14default_configENS1_22reduce_config_selectorIN6thrust23THRUST_200600_302600_NS5tupleIllNS6_9null_typeES8_S8_S8_S8_S8_S8_S8_EEEEZNS1_11reduce_implILb0ES3_NS6_12zip_iteratorINS7_INS6_10device_ptrIlEENS6_11hip_rocprim19counting_iterator_tIlEES8_S8_S8_S8_S8_S8_S8_S8_EEEEPS9_S9_NSF_9__extrema9arg_max_fIllNS6_4lessIlEEEEEE10hipError_tPvRmT1_T2_T3_mT4_P12ihipStream_tbEUlT_E1_NS1_11comp_targetILNS1_3genE5ELNS1_11target_archE942ELNS1_3gpuE9ELNS1_3repE0EEENS1_30default_config_static_selectorELNS0_4arch9wavefront6targetE1EEEvST_.has_indirect_call, 0
	.section	.AMDGPU.csdata,"",@progbits
; Kernel info:
; codeLenInByte = 0
; TotalNumSgprs: 4
; NumVgprs: 0
; ScratchSize: 0
; MemoryBound: 0
; FloatMode: 240
; IeeeMode: 1
; LDSByteSize: 0 bytes/workgroup (compile time only)
; SGPRBlocks: 0
; VGPRBlocks: 0
; NumSGPRsForWavesPerEU: 4
; NumVGPRsForWavesPerEU: 1
; Occupancy: 10
; WaveLimiterHint : 0
; COMPUTE_PGM_RSRC2:SCRATCH_EN: 0
; COMPUTE_PGM_RSRC2:USER_SGPR: 6
; COMPUTE_PGM_RSRC2:TRAP_HANDLER: 0
; COMPUTE_PGM_RSRC2:TGID_X_EN: 1
; COMPUTE_PGM_RSRC2:TGID_Y_EN: 0
; COMPUTE_PGM_RSRC2:TGID_Z_EN: 0
; COMPUTE_PGM_RSRC2:TIDIG_COMP_CNT: 0
	.section	.text._ZN7rocprim17ROCPRIM_400000_NS6detail17trampoline_kernelINS0_14default_configENS1_22reduce_config_selectorIN6thrust23THRUST_200600_302600_NS5tupleIllNS6_9null_typeES8_S8_S8_S8_S8_S8_S8_EEEEZNS1_11reduce_implILb0ES3_NS6_12zip_iteratorINS7_INS6_10device_ptrIlEENS6_11hip_rocprim19counting_iterator_tIlEES8_S8_S8_S8_S8_S8_S8_S8_EEEEPS9_S9_NSF_9__extrema9arg_max_fIllNS6_4lessIlEEEEEE10hipError_tPvRmT1_T2_T3_mT4_P12ihipStream_tbEUlT_E1_NS1_11comp_targetILNS1_3genE4ELNS1_11target_archE910ELNS1_3gpuE8ELNS1_3repE0EEENS1_30default_config_static_selectorELNS0_4arch9wavefront6targetE1EEEvST_,"axG",@progbits,_ZN7rocprim17ROCPRIM_400000_NS6detail17trampoline_kernelINS0_14default_configENS1_22reduce_config_selectorIN6thrust23THRUST_200600_302600_NS5tupleIllNS6_9null_typeES8_S8_S8_S8_S8_S8_S8_EEEEZNS1_11reduce_implILb0ES3_NS6_12zip_iteratorINS7_INS6_10device_ptrIlEENS6_11hip_rocprim19counting_iterator_tIlEES8_S8_S8_S8_S8_S8_S8_S8_EEEEPS9_S9_NSF_9__extrema9arg_max_fIllNS6_4lessIlEEEEEE10hipError_tPvRmT1_T2_T3_mT4_P12ihipStream_tbEUlT_E1_NS1_11comp_targetILNS1_3genE4ELNS1_11target_archE910ELNS1_3gpuE8ELNS1_3repE0EEENS1_30default_config_static_selectorELNS0_4arch9wavefront6targetE1EEEvST_,comdat
	.protected	_ZN7rocprim17ROCPRIM_400000_NS6detail17trampoline_kernelINS0_14default_configENS1_22reduce_config_selectorIN6thrust23THRUST_200600_302600_NS5tupleIllNS6_9null_typeES8_S8_S8_S8_S8_S8_S8_EEEEZNS1_11reduce_implILb0ES3_NS6_12zip_iteratorINS7_INS6_10device_ptrIlEENS6_11hip_rocprim19counting_iterator_tIlEES8_S8_S8_S8_S8_S8_S8_S8_EEEEPS9_S9_NSF_9__extrema9arg_max_fIllNS6_4lessIlEEEEEE10hipError_tPvRmT1_T2_T3_mT4_P12ihipStream_tbEUlT_E1_NS1_11comp_targetILNS1_3genE4ELNS1_11target_archE910ELNS1_3gpuE8ELNS1_3repE0EEENS1_30default_config_static_selectorELNS0_4arch9wavefront6targetE1EEEvST_ ; -- Begin function _ZN7rocprim17ROCPRIM_400000_NS6detail17trampoline_kernelINS0_14default_configENS1_22reduce_config_selectorIN6thrust23THRUST_200600_302600_NS5tupleIllNS6_9null_typeES8_S8_S8_S8_S8_S8_S8_EEEEZNS1_11reduce_implILb0ES3_NS6_12zip_iteratorINS7_INS6_10device_ptrIlEENS6_11hip_rocprim19counting_iterator_tIlEES8_S8_S8_S8_S8_S8_S8_S8_EEEEPS9_S9_NSF_9__extrema9arg_max_fIllNS6_4lessIlEEEEEE10hipError_tPvRmT1_T2_T3_mT4_P12ihipStream_tbEUlT_E1_NS1_11comp_targetILNS1_3genE4ELNS1_11target_archE910ELNS1_3gpuE8ELNS1_3repE0EEENS1_30default_config_static_selectorELNS0_4arch9wavefront6targetE1EEEvST_
	.globl	_ZN7rocprim17ROCPRIM_400000_NS6detail17trampoline_kernelINS0_14default_configENS1_22reduce_config_selectorIN6thrust23THRUST_200600_302600_NS5tupleIllNS6_9null_typeES8_S8_S8_S8_S8_S8_S8_EEEEZNS1_11reduce_implILb0ES3_NS6_12zip_iteratorINS7_INS6_10device_ptrIlEENS6_11hip_rocprim19counting_iterator_tIlEES8_S8_S8_S8_S8_S8_S8_S8_EEEEPS9_S9_NSF_9__extrema9arg_max_fIllNS6_4lessIlEEEEEE10hipError_tPvRmT1_T2_T3_mT4_P12ihipStream_tbEUlT_E1_NS1_11comp_targetILNS1_3genE4ELNS1_11target_archE910ELNS1_3gpuE8ELNS1_3repE0EEENS1_30default_config_static_selectorELNS0_4arch9wavefront6targetE1EEEvST_
	.p2align	8
	.type	_ZN7rocprim17ROCPRIM_400000_NS6detail17trampoline_kernelINS0_14default_configENS1_22reduce_config_selectorIN6thrust23THRUST_200600_302600_NS5tupleIllNS6_9null_typeES8_S8_S8_S8_S8_S8_S8_EEEEZNS1_11reduce_implILb0ES3_NS6_12zip_iteratorINS7_INS6_10device_ptrIlEENS6_11hip_rocprim19counting_iterator_tIlEES8_S8_S8_S8_S8_S8_S8_S8_EEEEPS9_S9_NSF_9__extrema9arg_max_fIllNS6_4lessIlEEEEEE10hipError_tPvRmT1_T2_T3_mT4_P12ihipStream_tbEUlT_E1_NS1_11comp_targetILNS1_3genE4ELNS1_11target_archE910ELNS1_3gpuE8ELNS1_3repE0EEENS1_30default_config_static_selectorELNS0_4arch9wavefront6targetE1EEEvST_,@function
_ZN7rocprim17ROCPRIM_400000_NS6detail17trampoline_kernelINS0_14default_configENS1_22reduce_config_selectorIN6thrust23THRUST_200600_302600_NS5tupleIllNS6_9null_typeES8_S8_S8_S8_S8_S8_S8_EEEEZNS1_11reduce_implILb0ES3_NS6_12zip_iteratorINS7_INS6_10device_ptrIlEENS6_11hip_rocprim19counting_iterator_tIlEES8_S8_S8_S8_S8_S8_S8_S8_EEEEPS9_S9_NSF_9__extrema9arg_max_fIllNS6_4lessIlEEEEEE10hipError_tPvRmT1_T2_T3_mT4_P12ihipStream_tbEUlT_E1_NS1_11comp_targetILNS1_3genE4ELNS1_11target_archE910ELNS1_3gpuE8ELNS1_3repE0EEENS1_30default_config_static_selectorELNS0_4arch9wavefront6targetE1EEEvST_: ; @_ZN7rocprim17ROCPRIM_400000_NS6detail17trampoline_kernelINS0_14default_configENS1_22reduce_config_selectorIN6thrust23THRUST_200600_302600_NS5tupleIllNS6_9null_typeES8_S8_S8_S8_S8_S8_S8_EEEEZNS1_11reduce_implILb0ES3_NS6_12zip_iteratorINS7_INS6_10device_ptrIlEENS6_11hip_rocprim19counting_iterator_tIlEES8_S8_S8_S8_S8_S8_S8_S8_EEEEPS9_S9_NSF_9__extrema9arg_max_fIllNS6_4lessIlEEEEEE10hipError_tPvRmT1_T2_T3_mT4_P12ihipStream_tbEUlT_E1_NS1_11comp_targetILNS1_3genE4ELNS1_11target_archE910ELNS1_3gpuE8ELNS1_3repE0EEENS1_30default_config_static_selectorELNS0_4arch9wavefront6targetE1EEEvST_
; %bb.0:
	.section	.rodata,"a",@progbits
	.p2align	6, 0x0
	.amdhsa_kernel _ZN7rocprim17ROCPRIM_400000_NS6detail17trampoline_kernelINS0_14default_configENS1_22reduce_config_selectorIN6thrust23THRUST_200600_302600_NS5tupleIllNS6_9null_typeES8_S8_S8_S8_S8_S8_S8_EEEEZNS1_11reduce_implILb0ES3_NS6_12zip_iteratorINS7_INS6_10device_ptrIlEENS6_11hip_rocprim19counting_iterator_tIlEES8_S8_S8_S8_S8_S8_S8_S8_EEEEPS9_S9_NSF_9__extrema9arg_max_fIllNS6_4lessIlEEEEEE10hipError_tPvRmT1_T2_T3_mT4_P12ihipStream_tbEUlT_E1_NS1_11comp_targetILNS1_3genE4ELNS1_11target_archE910ELNS1_3gpuE8ELNS1_3repE0EEENS1_30default_config_static_selectorELNS0_4arch9wavefront6targetE1EEEvST_
		.amdhsa_group_segment_fixed_size 0
		.amdhsa_private_segment_fixed_size 0
		.amdhsa_kernarg_size 64
		.amdhsa_user_sgpr_count 6
		.amdhsa_user_sgpr_private_segment_buffer 1
		.amdhsa_user_sgpr_dispatch_ptr 0
		.amdhsa_user_sgpr_queue_ptr 0
		.amdhsa_user_sgpr_kernarg_segment_ptr 1
		.amdhsa_user_sgpr_dispatch_id 0
		.amdhsa_user_sgpr_flat_scratch_init 0
		.amdhsa_user_sgpr_private_segment_size 0
		.amdhsa_uses_dynamic_stack 0
		.amdhsa_system_sgpr_private_segment_wavefront_offset 0
		.amdhsa_system_sgpr_workgroup_id_x 1
		.amdhsa_system_sgpr_workgroup_id_y 0
		.amdhsa_system_sgpr_workgroup_id_z 0
		.amdhsa_system_sgpr_workgroup_info 0
		.amdhsa_system_vgpr_workitem_id 0
		.amdhsa_next_free_vgpr 1
		.amdhsa_next_free_sgpr 0
		.amdhsa_reserve_vcc 0
		.amdhsa_reserve_flat_scratch 0
		.amdhsa_float_round_mode_32 0
		.amdhsa_float_round_mode_16_64 0
		.amdhsa_float_denorm_mode_32 3
		.amdhsa_float_denorm_mode_16_64 3
		.amdhsa_dx10_clamp 1
		.amdhsa_ieee_mode 1
		.amdhsa_fp16_overflow 0
		.amdhsa_exception_fp_ieee_invalid_op 0
		.amdhsa_exception_fp_denorm_src 0
		.amdhsa_exception_fp_ieee_div_zero 0
		.amdhsa_exception_fp_ieee_overflow 0
		.amdhsa_exception_fp_ieee_underflow 0
		.amdhsa_exception_fp_ieee_inexact 0
		.amdhsa_exception_int_div_zero 0
	.end_amdhsa_kernel
	.section	.text._ZN7rocprim17ROCPRIM_400000_NS6detail17trampoline_kernelINS0_14default_configENS1_22reduce_config_selectorIN6thrust23THRUST_200600_302600_NS5tupleIllNS6_9null_typeES8_S8_S8_S8_S8_S8_S8_EEEEZNS1_11reduce_implILb0ES3_NS6_12zip_iteratorINS7_INS6_10device_ptrIlEENS6_11hip_rocprim19counting_iterator_tIlEES8_S8_S8_S8_S8_S8_S8_S8_EEEEPS9_S9_NSF_9__extrema9arg_max_fIllNS6_4lessIlEEEEEE10hipError_tPvRmT1_T2_T3_mT4_P12ihipStream_tbEUlT_E1_NS1_11comp_targetILNS1_3genE4ELNS1_11target_archE910ELNS1_3gpuE8ELNS1_3repE0EEENS1_30default_config_static_selectorELNS0_4arch9wavefront6targetE1EEEvST_,"axG",@progbits,_ZN7rocprim17ROCPRIM_400000_NS6detail17trampoline_kernelINS0_14default_configENS1_22reduce_config_selectorIN6thrust23THRUST_200600_302600_NS5tupleIllNS6_9null_typeES8_S8_S8_S8_S8_S8_S8_EEEEZNS1_11reduce_implILb0ES3_NS6_12zip_iteratorINS7_INS6_10device_ptrIlEENS6_11hip_rocprim19counting_iterator_tIlEES8_S8_S8_S8_S8_S8_S8_S8_EEEEPS9_S9_NSF_9__extrema9arg_max_fIllNS6_4lessIlEEEEEE10hipError_tPvRmT1_T2_T3_mT4_P12ihipStream_tbEUlT_E1_NS1_11comp_targetILNS1_3genE4ELNS1_11target_archE910ELNS1_3gpuE8ELNS1_3repE0EEENS1_30default_config_static_selectorELNS0_4arch9wavefront6targetE1EEEvST_,comdat
.Lfunc_end432:
	.size	_ZN7rocprim17ROCPRIM_400000_NS6detail17trampoline_kernelINS0_14default_configENS1_22reduce_config_selectorIN6thrust23THRUST_200600_302600_NS5tupleIllNS6_9null_typeES8_S8_S8_S8_S8_S8_S8_EEEEZNS1_11reduce_implILb0ES3_NS6_12zip_iteratorINS7_INS6_10device_ptrIlEENS6_11hip_rocprim19counting_iterator_tIlEES8_S8_S8_S8_S8_S8_S8_S8_EEEEPS9_S9_NSF_9__extrema9arg_max_fIllNS6_4lessIlEEEEEE10hipError_tPvRmT1_T2_T3_mT4_P12ihipStream_tbEUlT_E1_NS1_11comp_targetILNS1_3genE4ELNS1_11target_archE910ELNS1_3gpuE8ELNS1_3repE0EEENS1_30default_config_static_selectorELNS0_4arch9wavefront6targetE1EEEvST_, .Lfunc_end432-_ZN7rocprim17ROCPRIM_400000_NS6detail17trampoline_kernelINS0_14default_configENS1_22reduce_config_selectorIN6thrust23THRUST_200600_302600_NS5tupleIllNS6_9null_typeES8_S8_S8_S8_S8_S8_S8_EEEEZNS1_11reduce_implILb0ES3_NS6_12zip_iteratorINS7_INS6_10device_ptrIlEENS6_11hip_rocprim19counting_iterator_tIlEES8_S8_S8_S8_S8_S8_S8_S8_EEEEPS9_S9_NSF_9__extrema9arg_max_fIllNS6_4lessIlEEEEEE10hipError_tPvRmT1_T2_T3_mT4_P12ihipStream_tbEUlT_E1_NS1_11comp_targetILNS1_3genE4ELNS1_11target_archE910ELNS1_3gpuE8ELNS1_3repE0EEENS1_30default_config_static_selectorELNS0_4arch9wavefront6targetE1EEEvST_
                                        ; -- End function
	.set _ZN7rocprim17ROCPRIM_400000_NS6detail17trampoline_kernelINS0_14default_configENS1_22reduce_config_selectorIN6thrust23THRUST_200600_302600_NS5tupleIllNS6_9null_typeES8_S8_S8_S8_S8_S8_S8_EEEEZNS1_11reduce_implILb0ES3_NS6_12zip_iteratorINS7_INS6_10device_ptrIlEENS6_11hip_rocprim19counting_iterator_tIlEES8_S8_S8_S8_S8_S8_S8_S8_EEEEPS9_S9_NSF_9__extrema9arg_max_fIllNS6_4lessIlEEEEEE10hipError_tPvRmT1_T2_T3_mT4_P12ihipStream_tbEUlT_E1_NS1_11comp_targetILNS1_3genE4ELNS1_11target_archE910ELNS1_3gpuE8ELNS1_3repE0EEENS1_30default_config_static_selectorELNS0_4arch9wavefront6targetE1EEEvST_.num_vgpr, 0
	.set _ZN7rocprim17ROCPRIM_400000_NS6detail17trampoline_kernelINS0_14default_configENS1_22reduce_config_selectorIN6thrust23THRUST_200600_302600_NS5tupleIllNS6_9null_typeES8_S8_S8_S8_S8_S8_S8_EEEEZNS1_11reduce_implILb0ES3_NS6_12zip_iteratorINS7_INS6_10device_ptrIlEENS6_11hip_rocprim19counting_iterator_tIlEES8_S8_S8_S8_S8_S8_S8_S8_EEEEPS9_S9_NSF_9__extrema9arg_max_fIllNS6_4lessIlEEEEEE10hipError_tPvRmT1_T2_T3_mT4_P12ihipStream_tbEUlT_E1_NS1_11comp_targetILNS1_3genE4ELNS1_11target_archE910ELNS1_3gpuE8ELNS1_3repE0EEENS1_30default_config_static_selectorELNS0_4arch9wavefront6targetE1EEEvST_.num_agpr, 0
	.set _ZN7rocprim17ROCPRIM_400000_NS6detail17trampoline_kernelINS0_14default_configENS1_22reduce_config_selectorIN6thrust23THRUST_200600_302600_NS5tupleIllNS6_9null_typeES8_S8_S8_S8_S8_S8_S8_EEEEZNS1_11reduce_implILb0ES3_NS6_12zip_iteratorINS7_INS6_10device_ptrIlEENS6_11hip_rocprim19counting_iterator_tIlEES8_S8_S8_S8_S8_S8_S8_S8_EEEEPS9_S9_NSF_9__extrema9arg_max_fIllNS6_4lessIlEEEEEE10hipError_tPvRmT1_T2_T3_mT4_P12ihipStream_tbEUlT_E1_NS1_11comp_targetILNS1_3genE4ELNS1_11target_archE910ELNS1_3gpuE8ELNS1_3repE0EEENS1_30default_config_static_selectorELNS0_4arch9wavefront6targetE1EEEvST_.numbered_sgpr, 0
	.set _ZN7rocprim17ROCPRIM_400000_NS6detail17trampoline_kernelINS0_14default_configENS1_22reduce_config_selectorIN6thrust23THRUST_200600_302600_NS5tupleIllNS6_9null_typeES8_S8_S8_S8_S8_S8_S8_EEEEZNS1_11reduce_implILb0ES3_NS6_12zip_iteratorINS7_INS6_10device_ptrIlEENS6_11hip_rocprim19counting_iterator_tIlEES8_S8_S8_S8_S8_S8_S8_S8_EEEEPS9_S9_NSF_9__extrema9arg_max_fIllNS6_4lessIlEEEEEE10hipError_tPvRmT1_T2_T3_mT4_P12ihipStream_tbEUlT_E1_NS1_11comp_targetILNS1_3genE4ELNS1_11target_archE910ELNS1_3gpuE8ELNS1_3repE0EEENS1_30default_config_static_selectorELNS0_4arch9wavefront6targetE1EEEvST_.num_named_barrier, 0
	.set _ZN7rocprim17ROCPRIM_400000_NS6detail17trampoline_kernelINS0_14default_configENS1_22reduce_config_selectorIN6thrust23THRUST_200600_302600_NS5tupleIllNS6_9null_typeES8_S8_S8_S8_S8_S8_S8_EEEEZNS1_11reduce_implILb0ES3_NS6_12zip_iteratorINS7_INS6_10device_ptrIlEENS6_11hip_rocprim19counting_iterator_tIlEES8_S8_S8_S8_S8_S8_S8_S8_EEEEPS9_S9_NSF_9__extrema9arg_max_fIllNS6_4lessIlEEEEEE10hipError_tPvRmT1_T2_T3_mT4_P12ihipStream_tbEUlT_E1_NS1_11comp_targetILNS1_3genE4ELNS1_11target_archE910ELNS1_3gpuE8ELNS1_3repE0EEENS1_30default_config_static_selectorELNS0_4arch9wavefront6targetE1EEEvST_.private_seg_size, 0
	.set _ZN7rocprim17ROCPRIM_400000_NS6detail17trampoline_kernelINS0_14default_configENS1_22reduce_config_selectorIN6thrust23THRUST_200600_302600_NS5tupleIllNS6_9null_typeES8_S8_S8_S8_S8_S8_S8_EEEEZNS1_11reduce_implILb0ES3_NS6_12zip_iteratorINS7_INS6_10device_ptrIlEENS6_11hip_rocprim19counting_iterator_tIlEES8_S8_S8_S8_S8_S8_S8_S8_EEEEPS9_S9_NSF_9__extrema9arg_max_fIllNS6_4lessIlEEEEEE10hipError_tPvRmT1_T2_T3_mT4_P12ihipStream_tbEUlT_E1_NS1_11comp_targetILNS1_3genE4ELNS1_11target_archE910ELNS1_3gpuE8ELNS1_3repE0EEENS1_30default_config_static_selectorELNS0_4arch9wavefront6targetE1EEEvST_.uses_vcc, 0
	.set _ZN7rocprim17ROCPRIM_400000_NS6detail17trampoline_kernelINS0_14default_configENS1_22reduce_config_selectorIN6thrust23THRUST_200600_302600_NS5tupleIllNS6_9null_typeES8_S8_S8_S8_S8_S8_S8_EEEEZNS1_11reduce_implILb0ES3_NS6_12zip_iteratorINS7_INS6_10device_ptrIlEENS6_11hip_rocprim19counting_iterator_tIlEES8_S8_S8_S8_S8_S8_S8_S8_EEEEPS9_S9_NSF_9__extrema9arg_max_fIllNS6_4lessIlEEEEEE10hipError_tPvRmT1_T2_T3_mT4_P12ihipStream_tbEUlT_E1_NS1_11comp_targetILNS1_3genE4ELNS1_11target_archE910ELNS1_3gpuE8ELNS1_3repE0EEENS1_30default_config_static_selectorELNS0_4arch9wavefront6targetE1EEEvST_.uses_flat_scratch, 0
	.set _ZN7rocprim17ROCPRIM_400000_NS6detail17trampoline_kernelINS0_14default_configENS1_22reduce_config_selectorIN6thrust23THRUST_200600_302600_NS5tupleIllNS6_9null_typeES8_S8_S8_S8_S8_S8_S8_EEEEZNS1_11reduce_implILb0ES3_NS6_12zip_iteratorINS7_INS6_10device_ptrIlEENS6_11hip_rocprim19counting_iterator_tIlEES8_S8_S8_S8_S8_S8_S8_S8_EEEEPS9_S9_NSF_9__extrema9arg_max_fIllNS6_4lessIlEEEEEE10hipError_tPvRmT1_T2_T3_mT4_P12ihipStream_tbEUlT_E1_NS1_11comp_targetILNS1_3genE4ELNS1_11target_archE910ELNS1_3gpuE8ELNS1_3repE0EEENS1_30default_config_static_selectorELNS0_4arch9wavefront6targetE1EEEvST_.has_dyn_sized_stack, 0
	.set _ZN7rocprim17ROCPRIM_400000_NS6detail17trampoline_kernelINS0_14default_configENS1_22reduce_config_selectorIN6thrust23THRUST_200600_302600_NS5tupleIllNS6_9null_typeES8_S8_S8_S8_S8_S8_S8_EEEEZNS1_11reduce_implILb0ES3_NS6_12zip_iteratorINS7_INS6_10device_ptrIlEENS6_11hip_rocprim19counting_iterator_tIlEES8_S8_S8_S8_S8_S8_S8_S8_EEEEPS9_S9_NSF_9__extrema9arg_max_fIllNS6_4lessIlEEEEEE10hipError_tPvRmT1_T2_T3_mT4_P12ihipStream_tbEUlT_E1_NS1_11comp_targetILNS1_3genE4ELNS1_11target_archE910ELNS1_3gpuE8ELNS1_3repE0EEENS1_30default_config_static_selectorELNS0_4arch9wavefront6targetE1EEEvST_.has_recursion, 0
	.set _ZN7rocprim17ROCPRIM_400000_NS6detail17trampoline_kernelINS0_14default_configENS1_22reduce_config_selectorIN6thrust23THRUST_200600_302600_NS5tupleIllNS6_9null_typeES8_S8_S8_S8_S8_S8_S8_EEEEZNS1_11reduce_implILb0ES3_NS6_12zip_iteratorINS7_INS6_10device_ptrIlEENS6_11hip_rocprim19counting_iterator_tIlEES8_S8_S8_S8_S8_S8_S8_S8_EEEEPS9_S9_NSF_9__extrema9arg_max_fIllNS6_4lessIlEEEEEE10hipError_tPvRmT1_T2_T3_mT4_P12ihipStream_tbEUlT_E1_NS1_11comp_targetILNS1_3genE4ELNS1_11target_archE910ELNS1_3gpuE8ELNS1_3repE0EEENS1_30default_config_static_selectorELNS0_4arch9wavefront6targetE1EEEvST_.has_indirect_call, 0
	.section	.AMDGPU.csdata,"",@progbits
; Kernel info:
; codeLenInByte = 0
; TotalNumSgprs: 4
; NumVgprs: 0
; ScratchSize: 0
; MemoryBound: 0
; FloatMode: 240
; IeeeMode: 1
; LDSByteSize: 0 bytes/workgroup (compile time only)
; SGPRBlocks: 0
; VGPRBlocks: 0
; NumSGPRsForWavesPerEU: 4
; NumVGPRsForWavesPerEU: 1
; Occupancy: 10
; WaveLimiterHint : 0
; COMPUTE_PGM_RSRC2:SCRATCH_EN: 0
; COMPUTE_PGM_RSRC2:USER_SGPR: 6
; COMPUTE_PGM_RSRC2:TRAP_HANDLER: 0
; COMPUTE_PGM_RSRC2:TGID_X_EN: 1
; COMPUTE_PGM_RSRC2:TGID_Y_EN: 0
; COMPUTE_PGM_RSRC2:TGID_Z_EN: 0
; COMPUTE_PGM_RSRC2:TIDIG_COMP_CNT: 0
	.section	.text._ZN7rocprim17ROCPRIM_400000_NS6detail17trampoline_kernelINS0_14default_configENS1_22reduce_config_selectorIN6thrust23THRUST_200600_302600_NS5tupleIllNS6_9null_typeES8_S8_S8_S8_S8_S8_S8_EEEEZNS1_11reduce_implILb0ES3_NS6_12zip_iteratorINS7_INS6_10device_ptrIlEENS6_11hip_rocprim19counting_iterator_tIlEES8_S8_S8_S8_S8_S8_S8_S8_EEEEPS9_S9_NSF_9__extrema9arg_max_fIllNS6_4lessIlEEEEEE10hipError_tPvRmT1_T2_T3_mT4_P12ihipStream_tbEUlT_E1_NS1_11comp_targetILNS1_3genE3ELNS1_11target_archE908ELNS1_3gpuE7ELNS1_3repE0EEENS1_30default_config_static_selectorELNS0_4arch9wavefront6targetE1EEEvST_,"axG",@progbits,_ZN7rocprim17ROCPRIM_400000_NS6detail17trampoline_kernelINS0_14default_configENS1_22reduce_config_selectorIN6thrust23THRUST_200600_302600_NS5tupleIllNS6_9null_typeES8_S8_S8_S8_S8_S8_S8_EEEEZNS1_11reduce_implILb0ES3_NS6_12zip_iteratorINS7_INS6_10device_ptrIlEENS6_11hip_rocprim19counting_iterator_tIlEES8_S8_S8_S8_S8_S8_S8_S8_EEEEPS9_S9_NSF_9__extrema9arg_max_fIllNS6_4lessIlEEEEEE10hipError_tPvRmT1_T2_T3_mT4_P12ihipStream_tbEUlT_E1_NS1_11comp_targetILNS1_3genE3ELNS1_11target_archE908ELNS1_3gpuE7ELNS1_3repE0EEENS1_30default_config_static_selectorELNS0_4arch9wavefront6targetE1EEEvST_,comdat
	.protected	_ZN7rocprim17ROCPRIM_400000_NS6detail17trampoline_kernelINS0_14default_configENS1_22reduce_config_selectorIN6thrust23THRUST_200600_302600_NS5tupleIllNS6_9null_typeES8_S8_S8_S8_S8_S8_S8_EEEEZNS1_11reduce_implILb0ES3_NS6_12zip_iteratorINS7_INS6_10device_ptrIlEENS6_11hip_rocprim19counting_iterator_tIlEES8_S8_S8_S8_S8_S8_S8_S8_EEEEPS9_S9_NSF_9__extrema9arg_max_fIllNS6_4lessIlEEEEEE10hipError_tPvRmT1_T2_T3_mT4_P12ihipStream_tbEUlT_E1_NS1_11comp_targetILNS1_3genE3ELNS1_11target_archE908ELNS1_3gpuE7ELNS1_3repE0EEENS1_30default_config_static_selectorELNS0_4arch9wavefront6targetE1EEEvST_ ; -- Begin function _ZN7rocprim17ROCPRIM_400000_NS6detail17trampoline_kernelINS0_14default_configENS1_22reduce_config_selectorIN6thrust23THRUST_200600_302600_NS5tupleIllNS6_9null_typeES8_S8_S8_S8_S8_S8_S8_EEEEZNS1_11reduce_implILb0ES3_NS6_12zip_iteratorINS7_INS6_10device_ptrIlEENS6_11hip_rocprim19counting_iterator_tIlEES8_S8_S8_S8_S8_S8_S8_S8_EEEEPS9_S9_NSF_9__extrema9arg_max_fIllNS6_4lessIlEEEEEE10hipError_tPvRmT1_T2_T3_mT4_P12ihipStream_tbEUlT_E1_NS1_11comp_targetILNS1_3genE3ELNS1_11target_archE908ELNS1_3gpuE7ELNS1_3repE0EEENS1_30default_config_static_selectorELNS0_4arch9wavefront6targetE1EEEvST_
	.globl	_ZN7rocprim17ROCPRIM_400000_NS6detail17trampoline_kernelINS0_14default_configENS1_22reduce_config_selectorIN6thrust23THRUST_200600_302600_NS5tupleIllNS6_9null_typeES8_S8_S8_S8_S8_S8_S8_EEEEZNS1_11reduce_implILb0ES3_NS6_12zip_iteratorINS7_INS6_10device_ptrIlEENS6_11hip_rocprim19counting_iterator_tIlEES8_S8_S8_S8_S8_S8_S8_S8_EEEEPS9_S9_NSF_9__extrema9arg_max_fIllNS6_4lessIlEEEEEE10hipError_tPvRmT1_T2_T3_mT4_P12ihipStream_tbEUlT_E1_NS1_11comp_targetILNS1_3genE3ELNS1_11target_archE908ELNS1_3gpuE7ELNS1_3repE0EEENS1_30default_config_static_selectorELNS0_4arch9wavefront6targetE1EEEvST_
	.p2align	8
	.type	_ZN7rocprim17ROCPRIM_400000_NS6detail17trampoline_kernelINS0_14default_configENS1_22reduce_config_selectorIN6thrust23THRUST_200600_302600_NS5tupleIllNS6_9null_typeES8_S8_S8_S8_S8_S8_S8_EEEEZNS1_11reduce_implILb0ES3_NS6_12zip_iteratorINS7_INS6_10device_ptrIlEENS6_11hip_rocprim19counting_iterator_tIlEES8_S8_S8_S8_S8_S8_S8_S8_EEEEPS9_S9_NSF_9__extrema9arg_max_fIllNS6_4lessIlEEEEEE10hipError_tPvRmT1_T2_T3_mT4_P12ihipStream_tbEUlT_E1_NS1_11comp_targetILNS1_3genE3ELNS1_11target_archE908ELNS1_3gpuE7ELNS1_3repE0EEENS1_30default_config_static_selectorELNS0_4arch9wavefront6targetE1EEEvST_,@function
_ZN7rocprim17ROCPRIM_400000_NS6detail17trampoline_kernelINS0_14default_configENS1_22reduce_config_selectorIN6thrust23THRUST_200600_302600_NS5tupleIllNS6_9null_typeES8_S8_S8_S8_S8_S8_S8_EEEEZNS1_11reduce_implILb0ES3_NS6_12zip_iteratorINS7_INS6_10device_ptrIlEENS6_11hip_rocprim19counting_iterator_tIlEES8_S8_S8_S8_S8_S8_S8_S8_EEEEPS9_S9_NSF_9__extrema9arg_max_fIllNS6_4lessIlEEEEEE10hipError_tPvRmT1_T2_T3_mT4_P12ihipStream_tbEUlT_E1_NS1_11comp_targetILNS1_3genE3ELNS1_11target_archE908ELNS1_3gpuE7ELNS1_3repE0EEENS1_30default_config_static_selectorELNS0_4arch9wavefront6targetE1EEEvST_: ; @_ZN7rocprim17ROCPRIM_400000_NS6detail17trampoline_kernelINS0_14default_configENS1_22reduce_config_selectorIN6thrust23THRUST_200600_302600_NS5tupleIllNS6_9null_typeES8_S8_S8_S8_S8_S8_S8_EEEEZNS1_11reduce_implILb0ES3_NS6_12zip_iteratorINS7_INS6_10device_ptrIlEENS6_11hip_rocprim19counting_iterator_tIlEES8_S8_S8_S8_S8_S8_S8_S8_EEEEPS9_S9_NSF_9__extrema9arg_max_fIllNS6_4lessIlEEEEEE10hipError_tPvRmT1_T2_T3_mT4_P12ihipStream_tbEUlT_E1_NS1_11comp_targetILNS1_3genE3ELNS1_11target_archE908ELNS1_3gpuE7ELNS1_3repE0EEENS1_30default_config_static_selectorELNS0_4arch9wavefront6targetE1EEEvST_
; %bb.0:
	.section	.rodata,"a",@progbits
	.p2align	6, 0x0
	.amdhsa_kernel _ZN7rocprim17ROCPRIM_400000_NS6detail17trampoline_kernelINS0_14default_configENS1_22reduce_config_selectorIN6thrust23THRUST_200600_302600_NS5tupleIllNS6_9null_typeES8_S8_S8_S8_S8_S8_S8_EEEEZNS1_11reduce_implILb0ES3_NS6_12zip_iteratorINS7_INS6_10device_ptrIlEENS6_11hip_rocprim19counting_iterator_tIlEES8_S8_S8_S8_S8_S8_S8_S8_EEEEPS9_S9_NSF_9__extrema9arg_max_fIllNS6_4lessIlEEEEEE10hipError_tPvRmT1_T2_T3_mT4_P12ihipStream_tbEUlT_E1_NS1_11comp_targetILNS1_3genE3ELNS1_11target_archE908ELNS1_3gpuE7ELNS1_3repE0EEENS1_30default_config_static_selectorELNS0_4arch9wavefront6targetE1EEEvST_
		.amdhsa_group_segment_fixed_size 0
		.amdhsa_private_segment_fixed_size 0
		.amdhsa_kernarg_size 64
		.amdhsa_user_sgpr_count 6
		.amdhsa_user_sgpr_private_segment_buffer 1
		.amdhsa_user_sgpr_dispatch_ptr 0
		.amdhsa_user_sgpr_queue_ptr 0
		.amdhsa_user_sgpr_kernarg_segment_ptr 1
		.amdhsa_user_sgpr_dispatch_id 0
		.amdhsa_user_sgpr_flat_scratch_init 0
		.amdhsa_user_sgpr_private_segment_size 0
		.amdhsa_uses_dynamic_stack 0
		.amdhsa_system_sgpr_private_segment_wavefront_offset 0
		.amdhsa_system_sgpr_workgroup_id_x 1
		.amdhsa_system_sgpr_workgroup_id_y 0
		.amdhsa_system_sgpr_workgroup_id_z 0
		.amdhsa_system_sgpr_workgroup_info 0
		.amdhsa_system_vgpr_workitem_id 0
		.amdhsa_next_free_vgpr 1
		.amdhsa_next_free_sgpr 0
		.amdhsa_reserve_vcc 0
		.amdhsa_reserve_flat_scratch 0
		.amdhsa_float_round_mode_32 0
		.amdhsa_float_round_mode_16_64 0
		.amdhsa_float_denorm_mode_32 3
		.amdhsa_float_denorm_mode_16_64 3
		.amdhsa_dx10_clamp 1
		.amdhsa_ieee_mode 1
		.amdhsa_fp16_overflow 0
		.amdhsa_exception_fp_ieee_invalid_op 0
		.amdhsa_exception_fp_denorm_src 0
		.amdhsa_exception_fp_ieee_div_zero 0
		.amdhsa_exception_fp_ieee_overflow 0
		.amdhsa_exception_fp_ieee_underflow 0
		.amdhsa_exception_fp_ieee_inexact 0
		.amdhsa_exception_int_div_zero 0
	.end_amdhsa_kernel
	.section	.text._ZN7rocprim17ROCPRIM_400000_NS6detail17trampoline_kernelINS0_14default_configENS1_22reduce_config_selectorIN6thrust23THRUST_200600_302600_NS5tupleIllNS6_9null_typeES8_S8_S8_S8_S8_S8_S8_EEEEZNS1_11reduce_implILb0ES3_NS6_12zip_iteratorINS7_INS6_10device_ptrIlEENS6_11hip_rocprim19counting_iterator_tIlEES8_S8_S8_S8_S8_S8_S8_S8_EEEEPS9_S9_NSF_9__extrema9arg_max_fIllNS6_4lessIlEEEEEE10hipError_tPvRmT1_T2_T3_mT4_P12ihipStream_tbEUlT_E1_NS1_11comp_targetILNS1_3genE3ELNS1_11target_archE908ELNS1_3gpuE7ELNS1_3repE0EEENS1_30default_config_static_selectorELNS0_4arch9wavefront6targetE1EEEvST_,"axG",@progbits,_ZN7rocprim17ROCPRIM_400000_NS6detail17trampoline_kernelINS0_14default_configENS1_22reduce_config_selectorIN6thrust23THRUST_200600_302600_NS5tupleIllNS6_9null_typeES8_S8_S8_S8_S8_S8_S8_EEEEZNS1_11reduce_implILb0ES3_NS6_12zip_iteratorINS7_INS6_10device_ptrIlEENS6_11hip_rocprim19counting_iterator_tIlEES8_S8_S8_S8_S8_S8_S8_S8_EEEEPS9_S9_NSF_9__extrema9arg_max_fIllNS6_4lessIlEEEEEE10hipError_tPvRmT1_T2_T3_mT4_P12ihipStream_tbEUlT_E1_NS1_11comp_targetILNS1_3genE3ELNS1_11target_archE908ELNS1_3gpuE7ELNS1_3repE0EEENS1_30default_config_static_selectorELNS0_4arch9wavefront6targetE1EEEvST_,comdat
.Lfunc_end433:
	.size	_ZN7rocprim17ROCPRIM_400000_NS6detail17trampoline_kernelINS0_14default_configENS1_22reduce_config_selectorIN6thrust23THRUST_200600_302600_NS5tupleIllNS6_9null_typeES8_S8_S8_S8_S8_S8_S8_EEEEZNS1_11reduce_implILb0ES3_NS6_12zip_iteratorINS7_INS6_10device_ptrIlEENS6_11hip_rocprim19counting_iterator_tIlEES8_S8_S8_S8_S8_S8_S8_S8_EEEEPS9_S9_NSF_9__extrema9arg_max_fIllNS6_4lessIlEEEEEE10hipError_tPvRmT1_T2_T3_mT4_P12ihipStream_tbEUlT_E1_NS1_11comp_targetILNS1_3genE3ELNS1_11target_archE908ELNS1_3gpuE7ELNS1_3repE0EEENS1_30default_config_static_selectorELNS0_4arch9wavefront6targetE1EEEvST_, .Lfunc_end433-_ZN7rocprim17ROCPRIM_400000_NS6detail17trampoline_kernelINS0_14default_configENS1_22reduce_config_selectorIN6thrust23THRUST_200600_302600_NS5tupleIllNS6_9null_typeES8_S8_S8_S8_S8_S8_S8_EEEEZNS1_11reduce_implILb0ES3_NS6_12zip_iteratorINS7_INS6_10device_ptrIlEENS6_11hip_rocprim19counting_iterator_tIlEES8_S8_S8_S8_S8_S8_S8_S8_EEEEPS9_S9_NSF_9__extrema9arg_max_fIllNS6_4lessIlEEEEEE10hipError_tPvRmT1_T2_T3_mT4_P12ihipStream_tbEUlT_E1_NS1_11comp_targetILNS1_3genE3ELNS1_11target_archE908ELNS1_3gpuE7ELNS1_3repE0EEENS1_30default_config_static_selectorELNS0_4arch9wavefront6targetE1EEEvST_
                                        ; -- End function
	.set _ZN7rocprim17ROCPRIM_400000_NS6detail17trampoline_kernelINS0_14default_configENS1_22reduce_config_selectorIN6thrust23THRUST_200600_302600_NS5tupleIllNS6_9null_typeES8_S8_S8_S8_S8_S8_S8_EEEEZNS1_11reduce_implILb0ES3_NS6_12zip_iteratorINS7_INS6_10device_ptrIlEENS6_11hip_rocprim19counting_iterator_tIlEES8_S8_S8_S8_S8_S8_S8_S8_EEEEPS9_S9_NSF_9__extrema9arg_max_fIllNS6_4lessIlEEEEEE10hipError_tPvRmT1_T2_T3_mT4_P12ihipStream_tbEUlT_E1_NS1_11comp_targetILNS1_3genE3ELNS1_11target_archE908ELNS1_3gpuE7ELNS1_3repE0EEENS1_30default_config_static_selectorELNS0_4arch9wavefront6targetE1EEEvST_.num_vgpr, 0
	.set _ZN7rocprim17ROCPRIM_400000_NS6detail17trampoline_kernelINS0_14default_configENS1_22reduce_config_selectorIN6thrust23THRUST_200600_302600_NS5tupleIllNS6_9null_typeES8_S8_S8_S8_S8_S8_S8_EEEEZNS1_11reduce_implILb0ES3_NS6_12zip_iteratorINS7_INS6_10device_ptrIlEENS6_11hip_rocprim19counting_iterator_tIlEES8_S8_S8_S8_S8_S8_S8_S8_EEEEPS9_S9_NSF_9__extrema9arg_max_fIllNS6_4lessIlEEEEEE10hipError_tPvRmT1_T2_T3_mT4_P12ihipStream_tbEUlT_E1_NS1_11comp_targetILNS1_3genE3ELNS1_11target_archE908ELNS1_3gpuE7ELNS1_3repE0EEENS1_30default_config_static_selectorELNS0_4arch9wavefront6targetE1EEEvST_.num_agpr, 0
	.set _ZN7rocprim17ROCPRIM_400000_NS6detail17trampoline_kernelINS0_14default_configENS1_22reduce_config_selectorIN6thrust23THRUST_200600_302600_NS5tupleIllNS6_9null_typeES8_S8_S8_S8_S8_S8_S8_EEEEZNS1_11reduce_implILb0ES3_NS6_12zip_iteratorINS7_INS6_10device_ptrIlEENS6_11hip_rocprim19counting_iterator_tIlEES8_S8_S8_S8_S8_S8_S8_S8_EEEEPS9_S9_NSF_9__extrema9arg_max_fIllNS6_4lessIlEEEEEE10hipError_tPvRmT1_T2_T3_mT4_P12ihipStream_tbEUlT_E1_NS1_11comp_targetILNS1_3genE3ELNS1_11target_archE908ELNS1_3gpuE7ELNS1_3repE0EEENS1_30default_config_static_selectorELNS0_4arch9wavefront6targetE1EEEvST_.numbered_sgpr, 0
	.set _ZN7rocprim17ROCPRIM_400000_NS6detail17trampoline_kernelINS0_14default_configENS1_22reduce_config_selectorIN6thrust23THRUST_200600_302600_NS5tupleIllNS6_9null_typeES8_S8_S8_S8_S8_S8_S8_EEEEZNS1_11reduce_implILb0ES3_NS6_12zip_iteratorINS7_INS6_10device_ptrIlEENS6_11hip_rocprim19counting_iterator_tIlEES8_S8_S8_S8_S8_S8_S8_S8_EEEEPS9_S9_NSF_9__extrema9arg_max_fIllNS6_4lessIlEEEEEE10hipError_tPvRmT1_T2_T3_mT4_P12ihipStream_tbEUlT_E1_NS1_11comp_targetILNS1_3genE3ELNS1_11target_archE908ELNS1_3gpuE7ELNS1_3repE0EEENS1_30default_config_static_selectorELNS0_4arch9wavefront6targetE1EEEvST_.num_named_barrier, 0
	.set _ZN7rocprim17ROCPRIM_400000_NS6detail17trampoline_kernelINS0_14default_configENS1_22reduce_config_selectorIN6thrust23THRUST_200600_302600_NS5tupleIllNS6_9null_typeES8_S8_S8_S8_S8_S8_S8_EEEEZNS1_11reduce_implILb0ES3_NS6_12zip_iteratorINS7_INS6_10device_ptrIlEENS6_11hip_rocprim19counting_iterator_tIlEES8_S8_S8_S8_S8_S8_S8_S8_EEEEPS9_S9_NSF_9__extrema9arg_max_fIllNS6_4lessIlEEEEEE10hipError_tPvRmT1_T2_T3_mT4_P12ihipStream_tbEUlT_E1_NS1_11comp_targetILNS1_3genE3ELNS1_11target_archE908ELNS1_3gpuE7ELNS1_3repE0EEENS1_30default_config_static_selectorELNS0_4arch9wavefront6targetE1EEEvST_.private_seg_size, 0
	.set _ZN7rocprim17ROCPRIM_400000_NS6detail17trampoline_kernelINS0_14default_configENS1_22reduce_config_selectorIN6thrust23THRUST_200600_302600_NS5tupleIllNS6_9null_typeES8_S8_S8_S8_S8_S8_S8_EEEEZNS1_11reduce_implILb0ES3_NS6_12zip_iteratorINS7_INS6_10device_ptrIlEENS6_11hip_rocprim19counting_iterator_tIlEES8_S8_S8_S8_S8_S8_S8_S8_EEEEPS9_S9_NSF_9__extrema9arg_max_fIllNS6_4lessIlEEEEEE10hipError_tPvRmT1_T2_T3_mT4_P12ihipStream_tbEUlT_E1_NS1_11comp_targetILNS1_3genE3ELNS1_11target_archE908ELNS1_3gpuE7ELNS1_3repE0EEENS1_30default_config_static_selectorELNS0_4arch9wavefront6targetE1EEEvST_.uses_vcc, 0
	.set _ZN7rocprim17ROCPRIM_400000_NS6detail17trampoline_kernelINS0_14default_configENS1_22reduce_config_selectorIN6thrust23THRUST_200600_302600_NS5tupleIllNS6_9null_typeES8_S8_S8_S8_S8_S8_S8_EEEEZNS1_11reduce_implILb0ES3_NS6_12zip_iteratorINS7_INS6_10device_ptrIlEENS6_11hip_rocprim19counting_iterator_tIlEES8_S8_S8_S8_S8_S8_S8_S8_EEEEPS9_S9_NSF_9__extrema9arg_max_fIllNS6_4lessIlEEEEEE10hipError_tPvRmT1_T2_T3_mT4_P12ihipStream_tbEUlT_E1_NS1_11comp_targetILNS1_3genE3ELNS1_11target_archE908ELNS1_3gpuE7ELNS1_3repE0EEENS1_30default_config_static_selectorELNS0_4arch9wavefront6targetE1EEEvST_.uses_flat_scratch, 0
	.set _ZN7rocprim17ROCPRIM_400000_NS6detail17trampoline_kernelINS0_14default_configENS1_22reduce_config_selectorIN6thrust23THRUST_200600_302600_NS5tupleIllNS6_9null_typeES8_S8_S8_S8_S8_S8_S8_EEEEZNS1_11reduce_implILb0ES3_NS6_12zip_iteratorINS7_INS6_10device_ptrIlEENS6_11hip_rocprim19counting_iterator_tIlEES8_S8_S8_S8_S8_S8_S8_S8_EEEEPS9_S9_NSF_9__extrema9arg_max_fIllNS6_4lessIlEEEEEE10hipError_tPvRmT1_T2_T3_mT4_P12ihipStream_tbEUlT_E1_NS1_11comp_targetILNS1_3genE3ELNS1_11target_archE908ELNS1_3gpuE7ELNS1_3repE0EEENS1_30default_config_static_selectorELNS0_4arch9wavefront6targetE1EEEvST_.has_dyn_sized_stack, 0
	.set _ZN7rocprim17ROCPRIM_400000_NS6detail17trampoline_kernelINS0_14default_configENS1_22reduce_config_selectorIN6thrust23THRUST_200600_302600_NS5tupleIllNS6_9null_typeES8_S8_S8_S8_S8_S8_S8_EEEEZNS1_11reduce_implILb0ES3_NS6_12zip_iteratorINS7_INS6_10device_ptrIlEENS6_11hip_rocprim19counting_iterator_tIlEES8_S8_S8_S8_S8_S8_S8_S8_EEEEPS9_S9_NSF_9__extrema9arg_max_fIllNS6_4lessIlEEEEEE10hipError_tPvRmT1_T2_T3_mT4_P12ihipStream_tbEUlT_E1_NS1_11comp_targetILNS1_3genE3ELNS1_11target_archE908ELNS1_3gpuE7ELNS1_3repE0EEENS1_30default_config_static_selectorELNS0_4arch9wavefront6targetE1EEEvST_.has_recursion, 0
	.set _ZN7rocprim17ROCPRIM_400000_NS6detail17trampoline_kernelINS0_14default_configENS1_22reduce_config_selectorIN6thrust23THRUST_200600_302600_NS5tupleIllNS6_9null_typeES8_S8_S8_S8_S8_S8_S8_EEEEZNS1_11reduce_implILb0ES3_NS6_12zip_iteratorINS7_INS6_10device_ptrIlEENS6_11hip_rocprim19counting_iterator_tIlEES8_S8_S8_S8_S8_S8_S8_S8_EEEEPS9_S9_NSF_9__extrema9arg_max_fIllNS6_4lessIlEEEEEE10hipError_tPvRmT1_T2_T3_mT4_P12ihipStream_tbEUlT_E1_NS1_11comp_targetILNS1_3genE3ELNS1_11target_archE908ELNS1_3gpuE7ELNS1_3repE0EEENS1_30default_config_static_selectorELNS0_4arch9wavefront6targetE1EEEvST_.has_indirect_call, 0
	.section	.AMDGPU.csdata,"",@progbits
; Kernel info:
; codeLenInByte = 0
; TotalNumSgprs: 4
; NumVgprs: 0
; ScratchSize: 0
; MemoryBound: 0
; FloatMode: 240
; IeeeMode: 1
; LDSByteSize: 0 bytes/workgroup (compile time only)
; SGPRBlocks: 0
; VGPRBlocks: 0
; NumSGPRsForWavesPerEU: 4
; NumVGPRsForWavesPerEU: 1
; Occupancy: 10
; WaveLimiterHint : 0
; COMPUTE_PGM_RSRC2:SCRATCH_EN: 0
; COMPUTE_PGM_RSRC2:USER_SGPR: 6
; COMPUTE_PGM_RSRC2:TRAP_HANDLER: 0
; COMPUTE_PGM_RSRC2:TGID_X_EN: 1
; COMPUTE_PGM_RSRC2:TGID_Y_EN: 0
; COMPUTE_PGM_RSRC2:TGID_Z_EN: 0
; COMPUTE_PGM_RSRC2:TIDIG_COMP_CNT: 0
	.section	.text._ZN7rocprim17ROCPRIM_400000_NS6detail17trampoline_kernelINS0_14default_configENS1_22reduce_config_selectorIN6thrust23THRUST_200600_302600_NS5tupleIllNS6_9null_typeES8_S8_S8_S8_S8_S8_S8_EEEEZNS1_11reduce_implILb0ES3_NS6_12zip_iteratorINS7_INS6_10device_ptrIlEENS6_11hip_rocprim19counting_iterator_tIlEES8_S8_S8_S8_S8_S8_S8_S8_EEEEPS9_S9_NSF_9__extrema9arg_max_fIllNS6_4lessIlEEEEEE10hipError_tPvRmT1_T2_T3_mT4_P12ihipStream_tbEUlT_E1_NS1_11comp_targetILNS1_3genE2ELNS1_11target_archE906ELNS1_3gpuE6ELNS1_3repE0EEENS1_30default_config_static_selectorELNS0_4arch9wavefront6targetE1EEEvST_,"axG",@progbits,_ZN7rocprim17ROCPRIM_400000_NS6detail17trampoline_kernelINS0_14default_configENS1_22reduce_config_selectorIN6thrust23THRUST_200600_302600_NS5tupleIllNS6_9null_typeES8_S8_S8_S8_S8_S8_S8_EEEEZNS1_11reduce_implILb0ES3_NS6_12zip_iteratorINS7_INS6_10device_ptrIlEENS6_11hip_rocprim19counting_iterator_tIlEES8_S8_S8_S8_S8_S8_S8_S8_EEEEPS9_S9_NSF_9__extrema9arg_max_fIllNS6_4lessIlEEEEEE10hipError_tPvRmT1_T2_T3_mT4_P12ihipStream_tbEUlT_E1_NS1_11comp_targetILNS1_3genE2ELNS1_11target_archE906ELNS1_3gpuE6ELNS1_3repE0EEENS1_30default_config_static_selectorELNS0_4arch9wavefront6targetE1EEEvST_,comdat
	.protected	_ZN7rocprim17ROCPRIM_400000_NS6detail17trampoline_kernelINS0_14default_configENS1_22reduce_config_selectorIN6thrust23THRUST_200600_302600_NS5tupleIllNS6_9null_typeES8_S8_S8_S8_S8_S8_S8_EEEEZNS1_11reduce_implILb0ES3_NS6_12zip_iteratorINS7_INS6_10device_ptrIlEENS6_11hip_rocprim19counting_iterator_tIlEES8_S8_S8_S8_S8_S8_S8_S8_EEEEPS9_S9_NSF_9__extrema9arg_max_fIllNS6_4lessIlEEEEEE10hipError_tPvRmT1_T2_T3_mT4_P12ihipStream_tbEUlT_E1_NS1_11comp_targetILNS1_3genE2ELNS1_11target_archE906ELNS1_3gpuE6ELNS1_3repE0EEENS1_30default_config_static_selectorELNS0_4arch9wavefront6targetE1EEEvST_ ; -- Begin function _ZN7rocprim17ROCPRIM_400000_NS6detail17trampoline_kernelINS0_14default_configENS1_22reduce_config_selectorIN6thrust23THRUST_200600_302600_NS5tupleIllNS6_9null_typeES8_S8_S8_S8_S8_S8_S8_EEEEZNS1_11reduce_implILb0ES3_NS6_12zip_iteratorINS7_INS6_10device_ptrIlEENS6_11hip_rocprim19counting_iterator_tIlEES8_S8_S8_S8_S8_S8_S8_S8_EEEEPS9_S9_NSF_9__extrema9arg_max_fIllNS6_4lessIlEEEEEE10hipError_tPvRmT1_T2_T3_mT4_P12ihipStream_tbEUlT_E1_NS1_11comp_targetILNS1_3genE2ELNS1_11target_archE906ELNS1_3gpuE6ELNS1_3repE0EEENS1_30default_config_static_selectorELNS0_4arch9wavefront6targetE1EEEvST_
	.globl	_ZN7rocprim17ROCPRIM_400000_NS6detail17trampoline_kernelINS0_14default_configENS1_22reduce_config_selectorIN6thrust23THRUST_200600_302600_NS5tupleIllNS6_9null_typeES8_S8_S8_S8_S8_S8_S8_EEEEZNS1_11reduce_implILb0ES3_NS6_12zip_iteratorINS7_INS6_10device_ptrIlEENS6_11hip_rocprim19counting_iterator_tIlEES8_S8_S8_S8_S8_S8_S8_S8_EEEEPS9_S9_NSF_9__extrema9arg_max_fIllNS6_4lessIlEEEEEE10hipError_tPvRmT1_T2_T3_mT4_P12ihipStream_tbEUlT_E1_NS1_11comp_targetILNS1_3genE2ELNS1_11target_archE906ELNS1_3gpuE6ELNS1_3repE0EEENS1_30default_config_static_selectorELNS0_4arch9wavefront6targetE1EEEvST_
	.p2align	8
	.type	_ZN7rocprim17ROCPRIM_400000_NS6detail17trampoline_kernelINS0_14default_configENS1_22reduce_config_selectorIN6thrust23THRUST_200600_302600_NS5tupleIllNS6_9null_typeES8_S8_S8_S8_S8_S8_S8_EEEEZNS1_11reduce_implILb0ES3_NS6_12zip_iteratorINS7_INS6_10device_ptrIlEENS6_11hip_rocprim19counting_iterator_tIlEES8_S8_S8_S8_S8_S8_S8_S8_EEEEPS9_S9_NSF_9__extrema9arg_max_fIllNS6_4lessIlEEEEEE10hipError_tPvRmT1_T2_T3_mT4_P12ihipStream_tbEUlT_E1_NS1_11comp_targetILNS1_3genE2ELNS1_11target_archE906ELNS1_3gpuE6ELNS1_3repE0EEENS1_30default_config_static_selectorELNS0_4arch9wavefront6targetE1EEEvST_,@function
_ZN7rocprim17ROCPRIM_400000_NS6detail17trampoline_kernelINS0_14default_configENS1_22reduce_config_selectorIN6thrust23THRUST_200600_302600_NS5tupleIllNS6_9null_typeES8_S8_S8_S8_S8_S8_S8_EEEEZNS1_11reduce_implILb0ES3_NS6_12zip_iteratorINS7_INS6_10device_ptrIlEENS6_11hip_rocprim19counting_iterator_tIlEES8_S8_S8_S8_S8_S8_S8_S8_EEEEPS9_S9_NSF_9__extrema9arg_max_fIllNS6_4lessIlEEEEEE10hipError_tPvRmT1_T2_T3_mT4_P12ihipStream_tbEUlT_E1_NS1_11comp_targetILNS1_3genE2ELNS1_11target_archE906ELNS1_3gpuE6ELNS1_3repE0EEENS1_30default_config_static_selectorELNS0_4arch9wavefront6targetE1EEEvST_: ; @_ZN7rocprim17ROCPRIM_400000_NS6detail17trampoline_kernelINS0_14default_configENS1_22reduce_config_selectorIN6thrust23THRUST_200600_302600_NS5tupleIllNS6_9null_typeES8_S8_S8_S8_S8_S8_S8_EEEEZNS1_11reduce_implILb0ES3_NS6_12zip_iteratorINS7_INS6_10device_ptrIlEENS6_11hip_rocprim19counting_iterator_tIlEES8_S8_S8_S8_S8_S8_S8_S8_EEEEPS9_S9_NSF_9__extrema9arg_max_fIllNS6_4lessIlEEEEEE10hipError_tPvRmT1_T2_T3_mT4_P12ihipStream_tbEUlT_E1_NS1_11comp_targetILNS1_3genE2ELNS1_11target_archE906ELNS1_3gpuE6ELNS1_3repE0EEENS1_30default_config_static_selectorELNS0_4arch9wavefront6targetE1EEEvST_
; %bb.0:
	s_load_dword s30, s[4:5], 0x4
	s_load_dwordx8 s[20:27], s[4:5], 0x8
	s_waitcnt lgkmcnt(0)
	s_cmp_lt_i32 s30, 4
	s_cbranch_scc1 .LBB434_21
; %bb.1:
	s_cmp_gt_i32 s30, 7
	s_cbranch_scc0 .LBB434_22
; %bb.2:
	s_mov_b64 s[18:19], 0
	s_cmp_eq_u32 s30, 8
	s_mov_b64 s[0:1], 0
                                        ; implicit-def: $vgpr3_vgpr4
                                        ; implicit-def: $vgpr5_vgpr6
	s_cbranch_scc0 .LBB434_23
; %bb.3:
	s_mov_b32 s7, 0
	s_lshl_b32 s12, s6, 10
	s_mov_b32 s13, s7
	s_lshr_b64 s[0:1], s[24:25], 10
	s_lshl_b64 s[2:3], s[12:13], 3
	s_add_u32 s16, s20, s2
	s_addc_u32 s17, s21, s3
	s_add_u32 s31, s22, s12
	s_addc_u32 s33, s23, 0
	s_cmp_lg_u64 s[0:1], s[6:7]
	s_cbranch_scc0 .LBB434_43
; %bb.4:
	v_mov_b32_e32 v1, 0
	v_lshlrev_b64 v[1:2], 3, v[0:1]
	v_mov_b32_e32 v3, s17
	v_add_co_u32_e32 v1, vcc, s16, v1
	v_addc_co_u32_e32 v2, vcc, v3, v2, vcc
	global_load_dwordx2 v[3:4], v[1:2], off
	global_load_dwordx2 v[5:6], v[1:2], off offset:1024
	v_mov_b32_e32 v7, s33
	v_add_co_u32_e32 v19, vcc, s31, v0
	v_addc_co_u32_e32 v20, vcc, 0, v7, vcc
	global_load_dwordx2 v[7:8], v[1:2], off offset:2048
	global_load_dwordx2 v[9:10], v[1:2], off offset:3072
	v_add_co_u32_e32 v21, vcc, 0x80, v19
	s_mov_b64 s[0:1], vcc
	v_add_co_u32_e32 v22, vcc, 0x100, v19
	s_mov_b64 s[2:3], vcc
	;; [unrolled: 2-line block ×4, first 2 shown]
	v_add_co_u32_e32 v1, vcc, 0x1000, v1
	v_addc_co_u32_e32 v2, vcc, 0, v2, vcc
	global_load_dwordx2 v[11:12], v[1:2], off
	global_load_dwordx2 v[13:14], v[1:2], off offset:1024
	global_load_dwordx2 v[15:16], v[1:2], off offset:2048
	;; [unrolled: 1-line block ×3, first 2 shown]
	v_addc_co_u32_e64 v25, vcc, 0, v20, s[0:1]
	v_addc_co_u32_e64 v26, vcc, 0, v20, s[2:3]
	;; [unrolled: 1-line block ×4, first 2 shown]
	v_add_co_u32_e32 v1, vcc, 0x280, v19
	v_addc_co_u32_e32 v2, vcc, 0, v20, vcc
	s_waitcnt vmcnt(6)
	v_cmp_gt_i64_e32 vcc, v[3:4], v[5:6]
	v_cmp_lt_i64_e64 s[0:1], v[3:4], v[5:6]
	v_cndmask_b32_e32 v4, v6, v4, vcc
	v_cndmask_b32_e32 v3, v5, v3, vcc
	v_add_co_u32_e32 v5, vcc, 0x300, v19
	v_cndmask_b32_e64 v21, v19, v21, s[0:1]
	v_cndmask_b32_e64 v25, v20, v25, s[0:1]
	s_waitcnt vmcnt(5)
	v_cmp_gt_i64_e64 s[0:1], v[3:4], v[7:8]
	v_addc_co_u32_e32 v6, vcc, 0, v20, vcc
	v_cmp_lt_i64_e32 vcc, v[3:4], v[7:8]
	v_cndmask_b32_e64 v4, v8, v4, s[0:1]
	v_cndmask_b32_e64 v3, v7, v3, s[0:1]
	s_waitcnt vmcnt(4)
	v_cmp_gt_i64_e64 s[0:1], v[3:4], v[9:10]
	v_cndmask_b32_e32 v25, v25, v26, vcc
	v_cndmask_b32_e32 v8, v21, v22, vcc
	v_cmp_lt_i64_e32 vcc, v[3:4], v[9:10]
	v_cndmask_b32_e64 v4, v10, v4, s[0:1]
	v_cndmask_b32_e64 v3, v9, v3, s[0:1]
	v_cndmask_b32_e32 v7, v8, v23, vcc
	v_cndmask_b32_e32 v8, v25, v27, vcc
	s_waitcnt vmcnt(3)
	v_cmp_lt_i64_e32 vcc, v[3:4], v[11:12]
	v_cmp_gt_i64_e64 s[0:1], v[3:4], v[11:12]
	v_cndmask_b32_e32 v8, v8, v28, vcc
	v_cndmask_b32_e64 v4, v12, v4, s[0:1]
	v_cndmask_b32_e32 v7, v7, v24, vcc
	v_cndmask_b32_e64 v3, v11, v3, s[0:1]
	s_waitcnt vmcnt(2)
	v_cmp_lt_i64_e64 s[0:1], v[13:14], v[3:4]
	v_cmp_lt_i64_e64 s[2:3], v[7:8], v[1:2]
	v_add_co_u32_e32 v9, vcc, 0x380, v19
	s_or_b64 s[0:1], s[0:1], s[2:3]
	v_cndmask_b32_e64 v10, v13, v3, s[0:1]
	v_cndmask_b32_e64 v11, v14, v4, s[0:1]
	;; [unrolled: 1-line block ×4, first 2 shown]
	v_cmp_lt_i64_e64 s[0:1], v[3:4], v[13:14]
	v_cndmask_b32_e64 v2, v8, v2, s[0:1]
	v_cndmask_b32_e64 v1, v7, v1, s[0:1]
	;; [unrolled: 1-line block ×4, first 2 shown]
	s_waitcnt vmcnt(1)
	v_cmp_lt_i64_e64 s[0:1], v[15:16], v[3:4]
	v_cmp_lt_i64_e64 s[2:3], v[1:2], v[5:6]
	v_addc_co_u32_e32 v10, vcc, 0, v20, vcc
	s_or_b64 vcc, s[0:1], s[2:3]
	v_cndmask_b32_e32 v7, v15, v3, vcc
	v_cndmask_b32_e32 v8, v16, v4, vcc
	;; [unrolled: 1-line block ×4, first 2 shown]
	v_cmp_lt_i64_e32 vcc, v[3:4], v[15:16]
	v_cndmask_b32_e32 v2, v2, v6, vcc
	v_cndmask_b32_e32 v1, v1, v5, vcc
	;; [unrolled: 1-line block ×4, first 2 shown]
	s_waitcnt vmcnt(0)
	v_cmp_lt_i64_e32 vcc, v[17:18], v[3:4]
	v_cmp_lt_i64_e64 s[0:1], v[1:2], v[9:10]
	s_or_b64 vcc, vcc, s[0:1]
	v_cndmask_b32_e32 v5, v17, v3, vcc
	v_cndmask_b32_e32 v6, v18, v4, vcc
	;; [unrolled: 1-line block ×4, first 2 shown]
	v_cmp_lt_i64_e32 vcc, v[3:4], v[17:18]
	v_cndmask_b32_e32 v4, v2, v10, vcc
	v_cndmask_b32_e32 v3, v1, v9, vcc
	;; [unrolled: 1-line block ×4, first 2 shown]
	v_mov_b32_dpp v5, v3 quad_perm:[1,0,3,2] row_mask:0xf bank_mask:0xf bound_ctrl:1
	v_mov_b32_dpp v8, v2 quad_perm:[1,0,3,2] row_mask:0xf bank_mask:0xf bound_ctrl:1
	;; [unrolled: 1-line block ×3, first 2 shown]
	v_cmp_ge_i64_e32 vcc, v[7:8], v[1:2]
	v_mov_b32_dpp v9, v4 quad_perm:[1,0,3,2] row_mask:0xf bank_mask:0xf bound_ctrl:1
	s_and_saveexec_b64 s[2:3], vcc
	s_cbranch_execz .LBB434_6
; %bb.5:
	v_mov_b32_e32 v6, v9
	v_cmp_lt_i64_e32 vcc, v[1:2], v[7:8]
	v_cmp_lt_i64_e64 s[0:1], v[5:6], v[3:4]
	s_or_b64 vcc, vcc, s[0:1]
	v_cndmask_b32_e32 v2, v2, v8, vcc
	v_cndmask_b32_e32 v1, v1, v7, vcc
	;; [unrolled: 1-line block ×4, first 2 shown]
.LBB434_6:
	s_or_b64 exec, exec, s[2:3]
	v_mov_b32_dpp v7, v1 quad_perm:[2,3,0,1] row_mask:0xf bank_mask:0xf bound_ctrl:1
	v_mov_b32_dpp v8, v2 quad_perm:[2,3,0,1] row_mask:0xf bank_mask:0xf bound_ctrl:1
	v_cmp_ge_i64_e32 vcc, v[7:8], v[1:2]
	v_mov_b32_dpp v5, v3 quad_perm:[2,3,0,1] row_mask:0xf bank_mask:0xf bound_ctrl:1
	v_mov_b32_dpp v9, v4 quad_perm:[2,3,0,1] row_mask:0xf bank_mask:0xf bound_ctrl:1
	s_and_saveexec_b64 s[2:3], vcc
	s_cbranch_execz .LBB434_8
; %bb.7:
	v_mov_b32_e32 v6, v9
	v_cmp_lt_i64_e32 vcc, v[1:2], v[7:8]
	v_cmp_lt_i64_e64 s[0:1], v[5:6], v[3:4]
	s_or_b64 vcc, vcc, s[0:1]
	v_cndmask_b32_e32 v2, v2, v8, vcc
	v_cndmask_b32_e32 v1, v1, v7, vcc
	;; [unrolled: 1-line block ×4, first 2 shown]
.LBB434_8:
	s_or_b64 exec, exec, s[2:3]
	v_mov_b32_dpp v7, v1 row_ror:4 row_mask:0xf bank_mask:0xf bound_ctrl:1
	v_mov_b32_dpp v8, v2 row_ror:4 row_mask:0xf bank_mask:0xf bound_ctrl:1
	v_cmp_ge_i64_e32 vcc, v[7:8], v[1:2]
	v_mov_b32_dpp v5, v3 row_ror:4 row_mask:0xf bank_mask:0xf bound_ctrl:1
	v_mov_b32_dpp v9, v4 row_ror:4 row_mask:0xf bank_mask:0xf bound_ctrl:1
	s_and_saveexec_b64 s[2:3], vcc
	s_cbranch_execz .LBB434_10
; %bb.9:
	v_mov_b32_e32 v6, v9
	v_cmp_lt_i64_e32 vcc, v[1:2], v[7:8]
	v_cmp_lt_i64_e64 s[0:1], v[5:6], v[3:4]
	s_or_b64 vcc, vcc, s[0:1]
	v_cndmask_b32_e32 v2, v2, v8, vcc
	v_cndmask_b32_e32 v1, v1, v7, vcc
	;; [unrolled: 1-line block ×4, first 2 shown]
.LBB434_10:
	s_or_b64 exec, exec, s[2:3]
	v_mov_b32_dpp v7, v1 row_ror:8 row_mask:0xf bank_mask:0xf bound_ctrl:1
	v_mov_b32_dpp v8, v2 row_ror:8 row_mask:0xf bank_mask:0xf bound_ctrl:1
	v_cmp_ge_i64_e32 vcc, v[7:8], v[1:2]
	v_mov_b32_dpp v5, v3 row_ror:8 row_mask:0xf bank_mask:0xf bound_ctrl:1
	v_mov_b32_dpp v9, v4 row_ror:8 row_mask:0xf bank_mask:0xf bound_ctrl:1
	s_and_saveexec_b64 s[2:3], vcc
	s_cbranch_execz .LBB434_12
; %bb.11:
	v_mov_b32_e32 v6, v9
	v_cmp_lt_i64_e32 vcc, v[1:2], v[7:8]
	v_cmp_lt_i64_e64 s[0:1], v[5:6], v[3:4]
	s_or_b64 vcc, vcc, s[0:1]
	v_cndmask_b32_e32 v2, v2, v8, vcc
	v_cndmask_b32_e32 v1, v1, v7, vcc
	;; [unrolled: 1-line block ×4, first 2 shown]
.LBB434_12:
	s_or_b64 exec, exec, s[2:3]
	v_mov_b32_dpp v7, v1 row_bcast:15 row_mask:0xf bank_mask:0xf bound_ctrl:1
	v_mov_b32_dpp v8, v2 row_bcast:15 row_mask:0xf bank_mask:0xf bound_ctrl:1
	v_cmp_ge_i64_e32 vcc, v[7:8], v[1:2]
	v_mov_b32_dpp v5, v3 row_bcast:15 row_mask:0xf bank_mask:0xf bound_ctrl:1
	v_mov_b32_dpp v9, v4 row_bcast:15 row_mask:0xf bank_mask:0xf bound_ctrl:1
	s_and_saveexec_b64 s[2:3], vcc
	s_cbranch_execz .LBB434_14
; %bb.13:
	v_mov_b32_e32 v6, v9
	v_cmp_lt_i64_e32 vcc, v[1:2], v[7:8]
	v_cmp_lt_i64_e64 s[0:1], v[5:6], v[3:4]
	s_or_b64 vcc, vcc, s[0:1]
	v_cndmask_b32_e32 v2, v2, v8, vcc
	v_cndmask_b32_e32 v1, v1, v7, vcc
	;; [unrolled: 1-line block ×4, first 2 shown]
.LBB434_14:
	s_or_b64 exec, exec, s[2:3]
	v_mov_b32_dpp v5, v1 row_bcast:31 row_mask:0xf bank_mask:0xf bound_ctrl:1
	v_mov_b32_dpp v6, v2 row_bcast:31 row_mask:0xf bank_mask:0xf bound_ctrl:1
	v_cmp_ge_i64_e32 vcc, v[5:6], v[1:2]
	v_mov_b32_dpp v7, v3 row_bcast:31 row_mask:0xf bank_mask:0xf bound_ctrl:1
	v_mov_b32_dpp v9, v4 row_bcast:31 row_mask:0xf bank_mask:0xf bound_ctrl:1
	s_and_saveexec_b64 s[2:3], vcc
	s_cbranch_execz .LBB434_16
; %bb.15:
	v_mov_b32_e32 v8, v9
	v_cmp_lt_i64_e32 vcc, v[1:2], v[5:6]
	v_cmp_lt_i64_e64 s[0:1], v[7:8], v[3:4]
	s_or_b64 vcc, vcc, s[0:1]
	v_cndmask_b32_e32 v1, v1, v5, vcc
	v_cndmask_b32_e32 v2, v2, v6, vcc
	;; [unrolled: 1-line block ×4, first 2 shown]
.LBB434_16:
	s_or_b64 exec, exec, s[2:3]
	v_mbcnt_lo_u32_b32 v5, -1, 0
	v_mbcnt_hi_u32_b32 v6, -1, v5
	v_lshlrev_b32_e32 v5, 2, v6
	v_or_b32_e32 v7, 0xfc, v5
	ds_bpermute_b32 v1, v7, v1
	ds_bpermute_b32 v2, v7, v2
	;; [unrolled: 1-line block ×4, first 2 shown]
	v_cmp_eq_u32_e32 vcc, 0, v6
	s_and_saveexec_b64 s[0:1], vcc
	s_cbranch_execz .LBB434_18
; %bb.17:
	v_lshrrev_b32_e32 v7, 2, v0
	v_and_b32_e32 v7, 16, v7
	s_waitcnt lgkmcnt(0)
	ds_write2_b64 v7, v[1:2], v[3:4] offset0:12 offset1:13
.LBB434_18:
	s_or_b64 exec, exec, s[0:1]
	v_cmp_gt_u32_e32 vcc, 64, v0
	s_waitcnt lgkmcnt(0)
	s_barrier
	s_and_saveexec_b64 s[2:3], vcc
	s_cbranch_execz .LBB434_20
; %bb.19:
	v_and_b32_e32 v1, 1, v6
	v_lshlrev_b32_e32 v1, 4, v1
	ds_read2_b64 v[1:4], v1 offset0:12 offset1:13
	v_or_b32_e32 v6, 4, v5
	s_waitcnt lgkmcnt(0)
	ds_bpermute_b32 v9, v6, v2
	ds_bpermute_b32 v10, v6, v4
	;; [unrolled: 1-line block ×4, first 2 shown]
	s_waitcnt lgkmcnt(3)
	v_mov_b32_e32 v6, v9
	s_waitcnt lgkmcnt(2)
	v_mov_b32_e32 v8, v10
	s_waitcnt lgkmcnt(1)
	v_cmp_lt_i64_e32 vcc, v[5:6], v[1:2]
	s_waitcnt lgkmcnt(0)
	v_cmp_lt_i64_e64 s[0:1], v[3:4], v[7:8]
	s_or_b64 vcc, vcc, s[0:1]
	v_cndmask_b32_e32 v8, v5, v1, vcc
	v_cndmask_b32_e32 v11, v9, v2, vcc
	;; [unrolled: 1-line block ×4, first 2 shown]
	v_cmp_lt_i64_e32 vcc, v[1:2], v[5:6]
	v_cndmask_b32_e32 v4, v4, v10, vcc
	v_cndmask_b32_e32 v3, v3, v7, vcc
	;; [unrolled: 1-line block ×4, first 2 shown]
.LBB434_20:
	s_or_b64 exec, exec, s[2:3]
	s_branch .LBB434_86
.LBB434_21:
	s_mov_b64 s[0:1], 0
                                        ; implicit-def: $vgpr3_vgpr4
                                        ; implicit-def: $vgpr5_vgpr6
	s_cbranch_execnz .LBB434_120
	s_branch .LBB434_209
.LBB434_22:
	s_mov_b64 s[18:19], -1
	s_mov_b64 s[0:1], 0
                                        ; implicit-def: $vgpr3_vgpr4
                                        ; implicit-def: $vgpr5_vgpr6
.LBB434_23:
	s_and_b64 vcc, exec, s[18:19]
	s_cbranch_vccz .LBB434_119
.LBB434_24:
	s_cmp_eq_u32 s30, 4
                                        ; implicit-def: $vgpr3_vgpr4
                                        ; implicit-def: $vgpr5_vgpr6
	s_cbranch_scc0 .LBB434_119
; %bb.25:
	s_mov_b32 s7, 0
	s_lshl_b32 s2, s6, 9
	s_mov_b32 s3, s7
	s_lshr_b64 s[0:1], s[24:25], 9
	s_lshl_b64 s[8:9], s[2:3], 3
	s_add_u32 s8, s20, s8
	s_addc_u32 s9, s21, s9
	s_add_u32 s12, s22, s2
	s_addc_u32 s13, s23, 0
	s_cmp_lg_u64 s[0:1], s[6:7]
	s_cbranch_scc0 .LBB434_87
; %bb.26:
	v_lshlrev_b32_e32 v9, 3, v0
	global_load_dwordx2 v[1:2], v9, s[8:9]
	global_load_dwordx2 v[3:4], v9, s[8:9] offset:1024
	global_load_dwordx2 v[5:6], v9, s[8:9] offset:2048
	s_waitcnt lgkmcnt(0)
	global_load_dwordx2 v[7:8], v9, s[8:9] offset:3072
	v_mov_b32_e32 v9, s13
	v_add_co_u32_e32 v11, vcc, s12, v0
	v_addc_co_u32_e32 v9, vcc, 0, v9, vcc
	v_add_co_u32_e32 v12, vcc, 0x80, v11
	v_addc_co_u32_e32 v13, vcc, 0, v9, vcc
	;; [unrolled: 2-line block ×4, first 2 shown]
	s_waitcnt vmcnt(2)
	v_cmp_gt_i64_e32 vcc, v[1:2], v[3:4]
	v_cmp_lt_i64_e64 s[0:1], v[1:2], v[3:4]
	v_cndmask_b32_e32 v10, v4, v2, vcc
	v_cndmask_b32_e64 v4, v9, v13, s[0:1]
	v_cndmask_b32_e32 v9, v3, v1, vcc
	v_cndmask_b32_e64 v1, v11, v12, s[0:1]
	s_waitcnt vmcnt(1)
	v_cmp_lt_i64_e32 vcc, v[9:10], v[5:6]
	v_cmp_gt_i64_e64 s[0:1], v[9:10], v[5:6]
	v_cndmask_b32_e32 v3, v1, v14, vcc
	v_cndmask_b32_e64 v2, v6, v10, s[0:1]
	v_cndmask_b32_e64 v1, v5, v9, s[0:1]
	s_waitcnt vmcnt(0)
	v_cmp_gt_i64_e64 s[0:1], v[1:2], v[7:8]
	v_cndmask_b32_e32 v4, v4, v15, vcc
	v_cmp_lt_i64_e32 vcc, v[1:2], v[7:8]
	v_cndmask_b32_e64 v2, v8, v2, s[0:1]
	v_cndmask_b32_e64 v1, v7, v1, s[0:1]
	v_cndmask_b32_e32 v4, v4, v17, vcc
	v_mov_b32_dpp v8, v2 quad_perm:[1,0,3,2] row_mask:0xf bank_mask:0xf bound_ctrl:1
	v_mov_b32_dpp v7, v1 quad_perm:[1,0,3,2] row_mask:0xf bank_mask:0xf bound_ctrl:1
	v_cndmask_b32_e32 v3, v3, v16, vcc
	v_cmp_ge_i64_e32 vcc, v[7:8], v[1:2]
	v_mov_b32_dpp v9, v4 quad_perm:[1,0,3,2] row_mask:0xf bank_mask:0xf bound_ctrl:1
	v_mov_b32_dpp v5, v3 quad_perm:[1,0,3,2] row_mask:0xf bank_mask:0xf bound_ctrl:1
	s_and_saveexec_b64 s[10:11], vcc
	s_cbranch_execz .LBB434_28
; %bb.27:
	v_mov_b32_e32 v6, v9
	v_cmp_lt_i64_e32 vcc, v[1:2], v[7:8]
	v_cmp_lt_i64_e64 s[0:1], v[5:6], v[3:4]
	s_or_b64 vcc, vcc, s[0:1]
	v_cndmask_b32_e32 v2, v2, v8, vcc
	v_cndmask_b32_e32 v1, v1, v7, vcc
	;; [unrolled: 1-line block ×4, first 2 shown]
.LBB434_28:
	s_or_b64 exec, exec, s[10:11]
	v_mov_b32_dpp v7, v1 quad_perm:[2,3,0,1] row_mask:0xf bank_mask:0xf bound_ctrl:1
	v_mov_b32_dpp v8, v2 quad_perm:[2,3,0,1] row_mask:0xf bank_mask:0xf bound_ctrl:1
	v_cmp_ge_i64_e32 vcc, v[7:8], v[1:2]
	v_mov_b32_dpp v5, v3 quad_perm:[2,3,0,1] row_mask:0xf bank_mask:0xf bound_ctrl:1
	v_mov_b32_dpp v9, v4 quad_perm:[2,3,0,1] row_mask:0xf bank_mask:0xf bound_ctrl:1
	s_and_saveexec_b64 s[10:11], vcc
	s_cbranch_execz .LBB434_30
; %bb.29:
	v_mov_b32_e32 v6, v9
	v_cmp_lt_i64_e32 vcc, v[1:2], v[7:8]
	v_cmp_lt_i64_e64 s[0:1], v[5:6], v[3:4]
	s_or_b64 vcc, vcc, s[0:1]
	v_cndmask_b32_e32 v2, v2, v8, vcc
	v_cndmask_b32_e32 v1, v1, v7, vcc
	;; [unrolled: 1-line block ×4, first 2 shown]
.LBB434_30:
	s_or_b64 exec, exec, s[10:11]
	v_mov_b32_dpp v7, v1 row_ror:4 row_mask:0xf bank_mask:0xf bound_ctrl:1
	v_mov_b32_dpp v8, v2 row_ror:4 row_mask:0xf bank_mask:0xf bound_ctrl:1
	v_cmp_ge_i64_e32 vcc, v[7:8], v[1:2]
	v_mov_b32_dpp v5, v3 row_ror:4 row_mask:0xf bank_mask:0xf bound_ctrl:1
	v_mov_b32_dpp v9, v4 row_ror:4 row_mask:0xf bank_mask:0xf bound_ctrl:1
	s_and_saveexec_b64 s[10:11], vcc
	s_cbranch_execz .LBB434_32
; %bb.31:
	v_mov_b32_e32 v6, v9
	v_cmp_lt_i64_e32 vcc, v[1:2], v[7:8]
	v_cmp_lt_i64_e64 s[0:1], v[5:6], v[3:4]
	s_or_b64 vcc, vcc, s[0:1]
	v_cndmask_b32_e32 v2, v2, v8, vcc
	v_cndmask_b32_e32 v1, v1, v7, vcc
	;; [unrolled: 1-line block ×4, first 2 shown]
.LBB434_32:
	s_or_b64 exec, exec, s[10:11]
	v_mov_b32_dpp v7, v1 row_ror:8 row_mask:0xf bank_mask:0xf bound_ctrl:1
	v_mov_b32_dpp v8, v2 row_ror:8 row_mask:0xf bank_mask:0xf bound_ctrl:1
	v_cmp_ge_i64_e32 vcc, v[7:8], v[1:2]
	v_mov_b32_dpp v5, v3 row_ror:8 row_mask:0xf bank_mask:0xf bound_ctrl:1
	v_mov_b32_dpp v9, v4 row_ror:8 row_mask:0xf bank_mask:0xf bound_ctrl:1
	s_and_saveexec_b64 s[10:11], vcc
	s_cbranch_execz .LBB434_34
; %bb.33:
	v_mov_b32_e32 v6, v9
	v_cmp_lt_i64_e32 vcc, v[1:2], v[7:8]
	v_cmp_lt_i64_e64 s[0:1], v[5:6], v[3:4]
	s_or_b64 vcc, vcc, s[0:1]
	v_cndmask_b32_e32 v2, v2, v8, vcc
	v_cndmask_b32_e32 v1, v1, v7, vcc
	;; [unrolled: 1-line block ×4, first 2 shown]
.LBB434_34:
	s_or_b64 exec, exec, s[10:11]
	v_mov_b32_dpp v7, v1 row_bcast:15 row_mask:0xf bank_mask:0xf bound_ctrl:1
	v_mov_b32_dpp v8, v2 row_bcast:15 row_mask:0xf bank_mask:0xf bound_ctrl:1
	v_cmp_ge_i64_e32 vcc, v[7:8], v[1:2]
	v_mov_b32_dpp v5, v3 row_bcast:15 row_mask:0xf bank_mask:0xf bound_ctrl:1
	v_mov_b32_dpp v9, v4 row_bcast:15 row_mask:0xf bank_mask:0xf bound_ctrl:1
	s_and_saveexec_b64 s[10:11], vcc
	s_cbranch_execz .LBB434_36
; %bb.35:
	v_mov_b32_e32 v6, v9
	v_cmp_lt_i64_e32 vcc, v[1:2], v[7:8]
	v_cmp_lt_i64_e64 s[0:1], v[5:6], v[3:4]
	s_or_b64 vcc, vcc, s[0:1]
	v_cndmask_b32_e32 v2, v2, v8, vcc
	v_cndmask_b32_e32 v1, v1, v7, vcc
	v_cndmask_b32_e32 v4, v4, v9, vcc
	v_cndmask_b32_e32 v3, v3, v5, vcc
.LBB434_36:
	s_or_b64 exec, exec, s[10:11]
	v_mov_b32_dpp v5, v1 row_bcast:31 row_mask:0xf bank_mask:0xf bound_ctrl:1
	v_mov_b32_dpp v6, v2 row_bcast:31 row_mask:0xf bank_mask:0xf bound_ctrl:1
	v_cmp_ge_i64_e32 vcc, v[5:6], v[1:2]
	v_mov_b32_dpp v7, v3 row_bcast:31 row_mask:0xf bank_mask:0xf bound_ctrl:1
	v_mov_b32_dpp v9, v4 row_bcast:31 row_mask:0xf bank_mask:0xf bound_ctrl:1
	s_and_saveexec_b64 s[10:11], vcc
	s_cbranch_execz .LBB434_38
; %bb.37:
	v_mov_b32_e32 v8, v9
	v_cmp_lt_i64_e32 vcc, v[1:2], v[5:6]
	v_cmp_lt_i64_e64 s[0:1], v[7:8], v[3:4]
	s_or_b64 vcc, vcc, s[0:1]
	v_cndmask_b32_e32 v1, v1, v5, vcc
	v_cndmask_b32_e32 v2, v2, v6, vcc
	;; [unrolled: 1-line block ×4, first 2 shown]
.LBB434_38:
	s_or_b64 exec, exec, s[10:11]
	v_mbcnt_lo_u32_b32 v5, -1, 0
	v_mbcnt_hi_u32_b32 v6, -1, v5
	v_lshlrev_b32_e32 v5, 2, v6
	v_or_b32_e32 v7, 0xfc, v5
	ds_bpermute_b32 v1, v7, v1
	ds_bpermute_b32 v2, v7, v2
	;; [unrolled: 1-line block ×4, first 2 shown]
	v_cmp_eq_u32_e32 vcc, 0, v6
	s_and_saveexec_b64 s[0:1], vcc
	s_cbranch_execz .LBB434_40
; %bb.39:
	v_lshrrev_b32_e32 v7, 2, v0
	v_and_b32_e32 v7, 16, v7
	s_waitcnt lgkmcnt(0)
	ds_write2_b64 v7, v[1:2], v[3:4] offset0:8 offset1:9
.LBB434_40:
	s_or_b64 exec, exec, s[0:1]
	v_cmp_gt_u32_e32 vcc, 64, v0
	s_waitcnt lgkmcnt(0)
	s_barrier
	s_and_saveexec_b64 s[10:11], vcc
	s_cbranch_execz .LBB434_42
; %bb.41:
	v_and_b32_e32 v1, 1, v6
	v_lshlrev_b32_e32 v1, 4, v1
	ds_read2_b64 v[1:4], v1 offset0:8 offset1:9
	v_or_b32_e32 v6, 4, v5
	s_waitcnt lgkmcnt(0)
	ds_bpermute_b32 v9, v6, v2
	ds_bpermute_b32 v10, v6, v4
	;; [unrolled: 1-line block ×4, first 2 shown]
	s_waitcnt lgkmcnt(3)
	v_mov_b32_e32 v6, v9
	s_waitcnt lgkmcnt(2)
	v_mov_b32_e32 v8, v10
	s_waitcnt lgkmcnt(1)
	v_cmp_lt_i64_e32 vcc, v[5:6], v[1:2]
	s_waitcnt lgkmcnt(0)
	v_cmp_lt_i64_e64 s[0:1], v[3:4], v[7:8]
	s_or_b64 vcc, vcc, s[0:1]
	v_cndmask_b32_e32 v8, v5, v1, vcc
	v_cndmask_b32_e32 v11, v9, v2, vcc
	;; [unrolled: 1-line block ×4, first 2 shown]
	v_cmp_lt_i64_e32 vcc, v[1:2], v[5:6]
	v_cndmask_b32_e32 v4, v4, v10, vcc
	v_cndmask_b32_e32 v3, v3, v7, vcc
	;; [unrolled: 1-line block ×4, first 2 shown]
.LBB434_42:
	s_or_b64 exec, exec, s[10:11]
	s_branch .LBB434_118
.LBB434_43:
                                        ; implicit-def: $vgpr1_vgpr2
	s_cbranch_execz .LBB434_86
; %bb.44:
	s_sub_i32 s34, s24, s12
	v_mov_b32_e32 v15, 0
	v_mov_b32_e32 v3, 0
	;; [unrolled: 1-line block ×6, first 2 shown]
	v_cmp_gt_u32_e32 vcc, s34, v0
	s_and_saveexec_b64 s[0:1], vcc
	s_cbranch_execz .LBB434_46
; %bb.45:
	v_lshlrev_b32_e32 v1, 3, v0
	global_load_dwordx2 v[1:2], v1, s[16:17]
	v_mov_b32_e32 v4, s33
	v_add_co_u32_e32 v3, vcc, s31, v0
	v_addc_co_u32_e32 v4, vcc, 0, v4, vcc
.LBB434_46:
	s_or_b64 exec, exec, s[0:1]
	v_or_b32_e32 v5, 0x80, v0
	v_mov_b32_e32 v29, 0
	v_mov_b32_e32 v30, 0
	v_cmp_gt_u32_e64 s[14:15], s34, v5
	s_and_saveexec_b64 s[0:1], s[14:15]
	s_cbranch_execz .LBB434_48
; %bb.47:
	v_lshlrev_b32_e32 v6, 3, v0
	global_load_dwordx2 v[29:30], v6, s[16:17] offset:1024
	v_mov_b32_e32 v6, s33
	v_add_co_u32_e32 v15, vcc, s31, v5
	v_addc_co_u32_e32 v16, vcc, 0, v6, vcc
.LBB434_48:
	s_or_b64 exec, exec, s[0:1]
	v_or_b32_e32 v5, 0x100, v0
	v_mov_b32_e32 v9, 0
	v_mov_b32_e32 v31, 0
	;; [unrolled: 1-line block ×6, first 2 shown]
	v_cmp_gt_u32_e64 s[12:13], s34, v5
	s_and_saveexec_b64 s[0:1], s[12:13]
	s_cbranch_execz .LBB434_50
; %bb.49:
	v_lshlrev_b32_e32 v6, 3, v0
	global_load_dwordx2 v[27:28], v6, s[16:17] offset:2048
	v_mov_b32_e32 v6, s33
	v_add_co_u32_e32 v31, vcc, s31, v5
	v_addc_co_u32_e32 v32, vcc, 0, v6, vcc
.LBB434_50:
	s_or_b64 exec, exec, s[0:1]
	v_or_b32_e32 v5, 0x180, v0
	v_mov_b32_e32 v23, 0
	v_mov_b32_e32 v24, 0
	v_cmp_gt_u32_e64 s[10:11], s34, v5
	s_and_saveexec_b64 s[0:1], s[10:11]
	s_cbranch_execz .LBB434_52
; %bb.51:
	v_lshlrev_b32_e32 v6, 3, v0
	global_load_dwordx2 v[23:24], v6, s[16:17] offset:3072
	v_mov_b32_e32 v6, s33
	v_add_co_u32_e32 v9, vcc, s31, v5
	v_addc_co_u32_e32 v10, vcc, 0, v6, vcc
.LBB434_52:
	s_or_b64 exec, exec, s[0:1]
	v_or_b32_e32 v5, 0x200, v0
	v_mov_b32_e32 v7, 0
	v_mov_b32_e32 v25, 0
	;; [unrolled: 1-line block ×6, first 2 shown]
	v_cmp_gt_u32_e64 s[8:9], s34, v5
	s_and_saveexec_b64 s[0:1], s[8:9]
	s_cbranch_execz .LBB434_54
; %bb.53:
	v_lshlrev_b32_e32 v6, 3, v5
	global_load_dwordx2 v[21:22], v6, s[16:17]
	v_mov_b32_e32 v6, s33
	v_add_co_u32_e32 v25, vcc, s31, v5
	v_addc_co_u32_e32 v26, vcc, 0, v6, vcc
.LBB434_54:
	s_or_b64 exec, exec, s[0:1]
	v_or_b32_e32 v5, 0x280, v0
	v_mov_b32_e32 v17, 0
	v_mov_b32_e32 v18, 0
	v_cmp_gt_u32_e64 s[2:3], s34, v5
	s_and_saveexec_b64 s[0:1], s[2:3]
	s_cbranch_execz .LBB434_56
; %bb.55:
	v_lshlrev_b32_e32 v6, 3, v5
	global_load_dwordx2 v[17:18], v6, s[16:17]
	v_mov_b32_e32 v6, s33
	v_add_co_u32_e32 v7, vcc, s31, v5
	v_addc_co_u32_e32 v8, vcc, 0, v6, vcc
.LBB434_56:
	s_or_b64 exec, exec, s[0:1]
	v_or_b32_e32 v11, 0x300, v0
	v_mov_b32_e32 v5, 0
	v_mov_b32_e32 v19, 0
	;; [unrolled: 1-line block ×6, first 2 shown]
	v_cmp_gt_u32_e64 s[0:1], s34, v11
	s_and_saveexec_b64 s[28:29], s[0:1]
	s_cbranch_execz .LBB434_58
; %bb.57:
	v_lshlrev_b32_e32 v12, 3, v11
	global_load_dwordx2 v[13:14], v12, s[16:17]
	v_mov_b32_e32 v12, s33
	v_add_co_u32_e32 v19, vcc, s31, v11
	v_addc_co_u32_e32 v20, vcc, 0, v12, vcc
.LBB434_58:
	s_or_b64 exec, exec, s[28:29]
	v_or_b32_e32 v33, 0x380, v0
	v_mov_b32_e32 v11, 0
	v_mov_b32_e32 v12, 0
	v_cmp_gt_u32_e32 vcc, s34, v33
	s_and_saveexec_b64 s[28:29], vcc
	s_cbranch_execnz .LBB434_212
; %bb.59:
	s_or_b64 exec, exec, s[28:29]
	s_and_saveexec_b64 s[28:29], s[14:15]
	s_cbranch_execnz .LBB434_213
.LBB434_60:
	s_or_b64 exec, exec, s[28:29]
	s_and_saveexec_b64 s[16:17], s[12:13]
	s_cbranch_execnz .LBB434_214
.LBB434_61:
	s_or_b64 exec, exec, s[16:17]
	s_and_saveexec_b64 s[14:15], s[10:11]
	s_cbranch_execnz .LBB434_215
.LBB434_62:
	s_or_b64 exec, exec, s[14:15]
	s_and_saveexec_b64 s[12:13], s[8:9]
	s_cbranch_execnz .LBB434_216
.LBB434_63:
	s_or_b64 exec, exec, s[12:13]
	s_and_saveexec_b64 s[10:11], s[2:3]
	s_cbranch_execnz .LBB434_217
.LBB434_64:
	s_or_b64 exec, exec, s[10:11]
	s_and_saveexec_b64 s[8:9], s[0:1]
	s_cbranch_execnz .LBB434_218
.LBB434_65:
	s_or_b64 exec, exec, s[8:9]
	s_and_saveexec_b64 s[2:3], vcc
	s_cbranch_execz .LBB434_67
.LBB434_66:
	s_waitcnt vmcnt(0)
	v_cmp_lt_i64_e32 vcc, v[11:12], v[1:2]
	v_cmp_lt_i64_e64 s[0:1], v[3:4], v[5:6]
	s_or_b64 vcc, vcc, s[0:1]
	v_cndmask_b32_e32 v7, v11, v1, vcc
	v_cndmask_b32_e32 v8, v12, v2, vcc
	;; [unrolled: 1-line block ×4, first 2 shown]
	v_cmp_lt_i64_e32 vcc, v[1:2], v[11:12]
	v_cndmask_b32_e32 v4, v4, v6, vcc
	v_cndmask_b32_e32 v3, v3, v5, vcc
	;; [unrolled: 1-line block ×4, first 2 shown]
.LBB434_67:
	s_or_b64 exec, exec, s[2:3]
	v_mbcnt_lo_u32_b32 v5, -1, 0
	v_mbcnt_hi_u32_b32 v9, -1, v5
	v_and_b32_e32 v10, 63, v9
	v_cmp_ne_u32_e32 vcc, 63, v10
	v_addc_co_u32_e32 v5, vcc, 0, v9, vcc
	v_lshlrev_b32_e32 v6, 2, v5
	s_waitcnt vmcnt(0)
	ds_bpermute_b32 v5, v6, v1
	ds_bpermute_b32 v12, v6, v2
	;; [unrolled: 1-line block ×4, first 2 shown]
	s_min_u32 s8, s34, 0x80
	v_and_b32_e32 v6, 64, v0
	v_sub_u32_e64 v11, s8, v6 clamp
	v_add_u32_e32 v6, 1, v10
	v_cmp_lt_u32_e32 vcc, v6, v11
	s_and_saveexec_b64 s[0:1], vcc
	s_xor_b64 s[2:3], exec, s[0:1]
	s_cbranch_execz .LBB434_69
; %bb.68:
	s_waitcnt lgkmcnt(0)
	v_mov_b32_e32 v8, v13
	v_mov_b32_e32 v6, v12
	v_cmp_lt_i64_e32 vcc, v[5:6], v[1:2]
	v_cmp_lt_i64_e64 s[0:1], v[3:4], v[7:8]
	s_or_b64 vcc, vcc, s[0:1]
	v_cndmask_b32_e32 v8, v5, v1, vcc
	v_cndmask_b32_e32 v14, v12, v2, vcc
	v_cndmask_b32_e32 v3, v7, v3, vcc
	v_cndmask_b32_e32 v4, v13, v4, vcc
	v_cmp_lt_i64_e32 vcc, v[1:2], v[5:6]
	v_cndmask_b32_e32 v4, v4, v13, vcc
	v_cndmask_b32_e32 v3, v3, v7, vcc
	v_cndmask_b32_e32 v2, v14, v12, vcc
	v_cndmask_b32_e32 v1, v8, v5, vcc
.LBB434_69:
	s_or_b64 exec, exec, s[2:3]
	v_cmp_gt_u32_e32 vcc, 62, v10
	s_waitcnt lgkmcnt(3)
	v_cndmask_b32_e64 v5, 0, 2, vcc
	v_add_lshl_u32 v6, v5, v9, 2
	ds_bpermute_b32 v5, v6, v1
	s_waitcnt lgkmcnt(3)
	ds_bpermute_b32 v12, v6, v2
	s_waitcnt lgkmcnt(3)
	ds_bpermute_b32 v7, v6, v3
	s_waitcnt lgkmcnt(3)
	ds_bpermute_b32 v13, v6, v4
	v_add_u32_e32 v6, 2, v10
	v_cmp_lt_u32_e32 vcc, v6, v11
	s_and_saveexec_b64 s[2:3], vcc
	s_cbranch_execz .LBB434_71
; %bb.70:
	s_waitcnt lgkmcnt(0)
	v_mov_b32_e32 v8, v13
	v_mov_b32_e32 v6, v12
	v_cmp_lt_i64_e32 vcc, v[5:6], v[1:2]
	v_cmp_lt_i64_e64 s[0:1], v[3:4], v[7:8]
	s_or_b64 vcc, vcc, s[0:1]
	v_cndmask_b32_e32 v8, v5, v1, vcc
	v_cndmask_b32_e32 v14, v12, v2, vcc
	v_cndmask_b32_e32 v3, v7, v3, vcc
	v_cndmask_b32_e32 v4, v13, v4, vcc
	v_cmp_lt_i64_e32 vcc, v[1:2], v[5:6]
	v_cndmask_b32_e32 v4, v4, v13, vcc
	v_cndmask_b32_e32 v3, v3, v7, vcc
	v_cndmask_b32_e32 v2, v14, v12, vcc
	v_cndmask_b32_e32 v1, v8, v5, vcc
.LBB434_71:
	s_or_b64 exec, exec, s[2:3]
	v_cmp_gt_u32_e32 vcc, 60, v10
	s_waitcnt lgkmcnt(3)
	v_cndmask_b32_e64 v5, 0, 4, vcc
	v_add_lshl_u32 v6, v5, v9, 2
	ds_bpermute_b32 v5, v6, v1
	s_waitcnt lgkmcnt(3)
	ds_bpermute_b32 v12, v6, v2
	s_waitcnt lgkmcnt(3)
	ds_bpermute_b32 v7, v6, v3
	s_waitcnt lgkmcnt(3)
	ds_bpermute_b32 v13, v6, v4
	v_add_u32_e32 v6, 4, v10
	v_cmp_lt_u32_e32 vcc, v6, v11
	s_and_saveexec_b64 s[2:3], vcc
	;; [unrolled: 33-line block ×4, first 2 shown]
	s_cbranch_execz .LBB434_77
; %bb.76:
	s_waitcnt lgkmcnt(0)
	v_mov_b32_e32 v8, v13
	v_mov_b32_e32 v6, v12
	v_cmp_lt_i64_e32 vcc, v[5:6], v[1:2]
	v_cmp_lt_i64_e64 s[0:1], v[3:4], v[7:8]
	s_or_b64 vcc, vcc, s[0:1]
	v_cndmask_b32_e32 v8, v5, v1, vcc
	v_cndmask_b32_e32 v14, v12, v2, vcc
	;; [unrolled: 1-line block ×4, first 2 shown]
	v_cmp_lt_i64_e32 vcc, v[1:2], v[5:6]
	v_cndmask_b32_e32 v4, v4, v13, vcc
	v_cndmask_b32_e32 v3, v3, v7, vcc
	;; [unrolled: 1-line block ×4, first 2 shown]
.LBB434_77:
	s_or_b64 exec, exec, s[2:3]
	s_waitcnt lgkmcnt(2)
	v_lshlrev_b32_e32 v12, 2, v9
	v_or_b32_e32 v6, 0x80, v12
	ds_bpermute_b32 v5, v6, v1
	s_waitcnt lgkmcnt(1)
	ds_bpermute_b32 v13, v6, v2
	ds_bpermute_b32 v7, v6, v3
	;; [unrolled: 1-line block ×3, first 2 shown]
	v_add_u32_e32 v6, 32, v10
	v_cmp_lt_u32_e32 vcc, v6, v11
	s_and_saveexec_b64 s[2:3], vcc
	s_cbranch_execz .LBB434_79
; %bb.78:
	s_waitcnt lgkmcnt(2)
	v_mov_b32_e32 v6, v13
	s_waitcnt lgkmcnt(0)
	v_cmp_lt_i64_e32 vcc, v[3:4], v[7:8]
	v_cmp_lt_i64_e64 s[0:1], v[5:6], v[1:2]
	s_or_b64 vcc, s[0:1], vcc
	v_cndmask_b32_e32 v10, v5, v1, vcc
	v_cndmask_b32_e32 v11, v13, v2, vcc
	;; [unrolled: 1-line block ×4, first 2 shown]
	v_cmp_lt_i64_e32 vcc, v[1:2], v[5:6]
	v_cndmask_b32_e32 v4, v4, v8, vcc
	v_cndmask_b32_e32 v3, v3, v7, vcc
	;; [unrolled: 1-line block ×4, first 2 shown]
.LBB434_79:
	s_or_b64 exec, exec, s[2:3]
	v_cmp_eq_u32_e32 vcc, 0, v9
	s_and_saveexec_b64 s[0:1], vcc
	s_cbranch_execz .LBB434_81
; %bb.80:
	s_waitcnt lgkmcnt(3)
	v_lshrrev_b32_e32 v5, 2, v0
	v_and_b32_e32 v5, 16, v5
	ds_write2_b64 v5, v[1:2], v[3:4] offset0:16 offset1:17
.LBB434_81:
	s_or_b64 exec, exec, s[0:1]
	v_cmp_gt_u32_e32 vcc, 2, v0
	s_waitcnt lgkmcnt(0)
	s_barrier
	s_and_saveexec_b64 s[2:3], vcc
	s_cbranch_execz .LBB434_85
; %bb.82:
	v_lshlrev_b32_e32 v1, 4, v9
	ds_read2_b64 v[1:4], v1 offset0:16 offset1:17
	v_or_b32_e32 v6, 4, v12
	s_add_i32 s8, s8, 63
	s_lshr_b32 s0, s8, 6
	s_waitcnt lgkmcnt(0)
	ds_bpermute_b32 v5, v6, v1
	ds_bpermute_b32 v10, v6, v2
	;; [unrolled: 1-line block ×4, first 2 shown]
	v_and_b32_e32 v6, 1, v9
	v_add_u32_e32 v6, 1, v6
	v_cmp_gt_u32_e32 vcc, s0, v6
	s_and_saveexec_b64 s[8:9], vcc
	s_cbranch_execz .LBB434_84
; %bb.83:
	s_waitcnt lgkmcnt(2)
	v_mov_b32_e32 v6, v10
	s_waitcnt lgkmcnt(0)
	v_cmp_lt_i64_e32 vcc, v[3:4], v[7:8]
	v_cmp_lt_i64_e64 s[0:1], v[5:6], v[1:2]
	s_or_b64 vcc, s[0:1], vcc
	v_cndmask_b32_e32 v9, v5, v1, vcc
	v_cndmask_b32_e32 v11, v10, v2, vcc
	;; [unrolled: 1-line block ×4, first 2 shown]
	v_cmp_lt_i64_e32 vcc, v[1:2], v[5:6]
	v_cndmask_b32_e32 v4, v4, v8, vcc
	v_cndmask_b32_e32 v3, v3, v7, vcc
	;; [unrolled: 1-line block ×4, first 2 shown]
.LBB434_84:
	s_or_b64 exec, exec, s[8:9]
.LBB434_85:
	s_or_b64 exec, exec, s[2:3]
.LBB434_86:
	s_waitcnt lgkmcnt(3)
	v_mov_b32_e32 v5, s6
	v_cmp_eq_u32_e64 s[0:1], 0, v0
	v_mov_b32_e32 v6, s7
	s_and_b64 vcc, exec, s[18:19]
	s_cbranch_vccnz .LBB434_24
	s_branch .LBB434_119
.LBB434_87:
                                        ; implicit-def: $vgpr1_vgpr2
	s_cbranch_execz .LBB434_118
; %bb.88:
	s_sub_i32 s14, s24, s2
	s_waitcnt lgkmcnt(0)
	v_mov_b32_e32 v7, 0
	v_mov_b32_e32 v3, 0
	;; [unrolled: 1-line block ×6, first 2 shown]
	v_cmp_gt_u32_e32 vcc, s14, v0
	s_and_saveexec_b64 s[0:1], vcc
	s_cbranch_execz .LBB434_90
; %bb.89:
	v_lshlrev_b32_e32 v1, 3, v0
	global_load_dwordx2 v[1:2], v1, s[8:9]
	v_mov_b32_e32 v4, s13
	v_add_co_u32_e32 v3, vcc, s12, v0
	v_addc_co_u32_e32 v4, vcc, 0, v4, vcc
.LBB434_90:
	s_or_b64 exec, exec, s[0:1]
	v_or_b32_e32 v5, 0x80, v0
	v_mov_b32_e32 v13, 0
	v_mov_b32_e32 v14, 0
	v_cmp_gt_u32_e64 s[2:3], s14, v5
	s_and_saveexec_b64 s[0:1], s[2:3]
	s_cbranch_execz .LBB434_92
; %bb.91:
	v_lshlrev_b32_e32 v6, 3, v0
	global_load_dwordx2 v[13:14], v6, s[8:9] offset:1024
	v_mov_b32_e32 v6, s13
	v_add_co_u32_e32 v7, vcc, s12, v5
	v_addc_co_u32_e32 v8, vcc, 0, v6, vcc
.LBB434_92:
	s_or_b64 exec, exec, s[0:1]
	v_or_b32_e32 v9, 0x100, v0
	v_mov_b32_e32 v5, 0
	v_mov_b32_e32 v15, 0
	;; [unrolled: 1-line block ×6, first 2 shown]
	v_cmp_gt_u32_e64 s[0:1], s14, v9
	s_and_saveexec_b64 s[10:11], s[0:1]
	s_cbranch_execz .LBB434_94
; %bb.93:
	v_lshlrev_b32_e32 v10, 3, v0
	global_load_dwordx2 v[11:12], v10, s[8:9] offset:2048
	v_mov_b32_e32 v10, s13
	v_add_co_u32_e32 v15, vcc, s12, v9
	v_addc_co_u32_e32 v16, vcc, 0, v10, vcc
.LBB434_94:
	s_or_b64 exec, exec, s[10:11]
	v_or_b32_e32 v17, 0x180, v0
	v_mov_b32_e32 v9, 0
	v_mov_b32_e32 v10, 0
	v_cmp_gt_u32_e32 vcc, s14, v17
	s_and_saveexec_b64 s[10:11], vcc
	s_cbranch_execnz .LBB434_219
; %bb.95:
	s_or_b64 exec, exec, s[10:11]
	s_and_saveexec_b64 s[10:11], s[2:3]
	s_cbranch_execnz .LBB434_220
.LBB434_96:
	s_or_b64 exec, exec, s[10:11]
	s_and_saveexec_b64 s[8:9], s[0:1]
	s_cbranch_execnz .LBB434_221
.LBB434_97:
	s_or_b64 exec, exec, s[8:9]
	s_and_saveexec_b64 s[2:3], vcc
	s_cbranch_execz .LBB434_99
.LBB434_98:
	s_waitcnt vmcnt(0)
	v_cmp_lt_i64_e32 vcc, v[9:10], v[1:2]
	v_cmp_lt_i64_e64 s[0:1], v[3:4], v[5:6]
	s_or_b64 vcc, vcc, s[0:1]
	v_cndmask_b32_e32 v7, v9, v1, vcc
	v_cndmask_b32_e32 v8, v10, v2, vcc
	;; [unrolled: 1-line block ×4, first 2 shown]
	v_cmp_lt_i64_e32 vcc, v[1:2], v[9:10]
	v_cndmask_b32_e32 v4, v4, v6, vcc
	v_cndmask_b32_e32 v3, v3, v5, vcc
	;; [unrolled: 1-line block ×4, first 2 shown]
.LBB434_99:
	s_or_b64 exec, exec, s[2:3]
	v_mbcnt_lo_u32_b32 v5, -1, 0
	s_waitcnt vmcnt(0)
	v_mbcnt_hi_u32_b32 v9, -1, v5
	v_and_b32_e32 v10, 63, v9
	v_cmp_ne_u32_e32 vcc, 63, v10
	v_addc_co_u32_e32 v5, vcc, 0, v9, vcc
	v_lshlrev_b32_e32 v6, 2, v5
	ds_bpermute_b32 v5, v6, v1
	ds_bpermute_b32 v12, v6, v2
	;; [unrolled: 1-line block ×4, first 2 shown]
	s_min_u32 s8, s14, 0x80
	v_and_b32_e32 v6, 64, v0
	v_sub_u32_e64 v11, s8, v6 clamp
	v_add_u32_e32 v6, 1, v10
	v_cmp_lt_u32_e32 vcc, v6, v11
	s_and_saveexec_b64 s[0:1], vcc
	s_xor_b64 s[2:3], exec, s[0:1]
	s_cbranch_execz .LBB434_101
; %bb.100:
	s_waitcnt lgkmcnt(0)
	v_mov_b32_e32 v8, v13
	v_mov_b32_e32 v6, v12
	v_cmp_lt_i64_e32 vcc, v[5:6], v[1:2]
	v_cmp_lt_i64_e64 s[0:1], v[3:4], v[7:8]
	s_or_b64 vcc, vcc, s[0:1]
	v_cndmask_b32_e32 v8, v5, v1, vcc
	v_cndmask_b32_e32 v14, v12, v2, vcc
	v_cndmask_b32_e32 v3, v7, v3, vcc
	v_cndmask_b32_e32 v4, v13, v4, vcc
	v_cmp_lt_i64_e32 vcc, v[1:2], v[5:6]
	v_cndmask_b32_e32 v4, v4, v13, vcc
	v_cndmask_b32_e32 v3, v3, v7, vcc
	v_cndmask_b32_e32 v2, v14, v12, vcc
	v_cndmask_b32_e32 v1, v8, v5, vcc
.LBB434_101:
	s_or_b64 exec, exec, s[2:3]
	v_cmp_gt_u32_e32 vcc, 62, v10
	s_waitcnt lgkmcnt(3)
	v_cndmask_b32_e64 v5, 0, 2, vcc
	v_add_lshl_u32 v6, v5, v9, 2
	ds_bpermute_b32 v5, v6, v1
	s_waitcnt lgkmcnt(3)
	ds_bpermute_b32 v12, v6, v2
	s_waitcnt lgkmcnt(3)
	ds_bpermute_b32 v7, v6, v3
	s_waitcnt lgkmcnt(3)
	ds_bpermute_b32 v13, v6, v4
	v_add_u32_e32 v6, 2, v10
	v_cmp_lt_u32_e32 vcc, v6, v11
	s_and_saveexec_b64 s[2:3], vcc
	s_cbranch_execz .LBB434_103
; %bb.102:
	s_waitcnt lgkmcnt(0)
	v_mov_b32_e32 v8, v13
	v_mov_b32_e32 v6, v12
	v_cmp_lt_i64_e32 vcc, v[5:6], v[1:2]
	v_cmp_lt_i64_e64 s[0:1], v[3:4], v[7:8]
	s_or_b64 vcc, vcc, s[0:1]
	v_cndmask_b32_e32 v8, v5, v1, vcc
	v_cndmask_b32_e32 v14, v12, v2, vcc
	v_cndmask_b32_e32 v3, v7, v3, vcc
	v_cndmask_b32_e32 v4, v13, v4, vcc
	v_cmp_lt_i64_e32 vcc, v[1:2], v[5:6]
	v_cndmask_b32_e32 v4, v4, v13, vcc
	v_cndmask_b32_e32 v3, v3, v7, vcc
	v_cndmask_b32_e32 v2, v14, v12, vcc
	v_cndmask_b32_e32 v1, v8, v5, vcc
.LBB434_103:
	s_or_b64 exec, exec, s[2:3]
	v_cmp_gt_u32_e32 vcc, 60, v10
	s_waitcnt lgkmcnt(3)
	v_cndmask_b32_e64 v5, 0, 4, vcc
	v_add_lshl_u32 v6, v5, v9, 2
	ds_bpermute_b32 v5, v6, v1
	s_waitcnt lgkmcnt(3)
	ds_bpermute_b32 v12, v6, v2
	s_waitcnt lgkmcnt(3)
	ds_bpermute_b32 v7, v6, v3
	s_waitcnt lgkmcnt(3)
	ds_bpermute_b32 v13, v6, v4
	v_add_u32_e32 v6, 4, v10
	v_cmp_lt_u32_e32 vcc, v6, v11
	s_and_saveexec_b64 s[2:3], vcc
	;; [unrolled: 33-line block ×4, first 2 shown]
	s_cbranch_execz .LBB434_109
; %bb.108:
	s_waitcnt lgkmcnt(0)
	v_mov_b32_e32 v8, v13
	v_mov_b32_e32 v6, v12
	v_cmp_lt_i64_e32 vcc, v[5:6], v[1:2]
	v_cmp_lt_i64_e64 s[0:1], v[3:4], v[7:8]
	s_or_b64 vcc, vcc, s[0:1]
	v_cndmask_b32_e32 v8, v5, v1, vcc
	v_cndmask_b32_e32 v14, v12, v2, vcc
	;; [unrolled: 1-line block ×4, first 2 shown]
	v_cmp_lt_i64_e32 vcc, v[1:2], v[5:6]
	v_cndmask_b32_e32 v4, v4, v13, vcc
	v_cndmask_b32_e32 v3, v3, v7, vcc
	;; [unrolled: 1-line block ×4, first 2 shown]
.LBB434_109:
	s_or_b64 exec, exec, s[2:3]
	s_waitcnt lgkmcnt(2)
	v_lshlrev_b32_e32 v12, 2, v9
	v_or_b32_e32 v6, 0x80, v12
	ds_bpermute_b32 v5, v6, v1
	s_waitcnt lgkmcnt(1)
	ds_bpermute_b32 v13, v6, v2
	ds_bpermute_b32 v7, v6, v3
	;; [unrolled: 1-line block ×3, first 2 shown]
	v_add_u32_e32 v6, 32, v10
	v_cmp_lt_u32_e32 vcc, v6, v11
	s_and_saveexec_b64 s[2:3], vcc
	s_cbranch_execz .LBB434_111
; %bb.110:
	s_waitcnt lgkmcnt(2)
	v_mov_b32_e32 v6, v13
	s_waitcnt lgkmcnt(0)
	v_cmp_lt_i64_e32 vcc, v[3:4], v[7:8]
	v_cmp_lt_i64_e64 s[0:1], v[5:6], v[1:2]
	s_or_b64 vcc, s[0:1], vcc
	v_cndmask_b32_e32 v10, v5, v1, vcc
	v_cndmask_b32_e32 v11, v13, v2, vcc
	;; [unrolled: 1-line block ×4, first 2 shown]
	v_cmp_lt_i64_e32 vcc, v[1:2], v[5:6]
	v_cndmask_b32_e32 v4, v4, v8, vcc
	v_cndmask_b32_e32 v3, v3, v7, vcc
	v_cndmask_b32_e32 v2, v11, v13, vcc
	v_cndmask_b32_e32 v1, v10, v5, vcc
.LBB434_111:
	s_or_b64 exec, exec, s[2:3]
	v_cmp_eq_u32_e32 vcc, 0, v9
	s_and_saveexec_b64 s[0:1], vcc
	s_cbranch_execz .LBB434_113
; %bb.112:
	s_waitcnt lgkmcnt(3)
	v_lshrrev_b32_e32 v5, 2, v0
	v_and_b32_e32 v5, 16, v5
	ds_write2_b64 v5, v[1:2], v[3:4] offset0:16 offset1:17
.LBB434_113:
	s_or_b64 exec, exec, s[0:1]
	v_cmp_gt_u32_e32 vcc, 2, v0
	s_waitcnt lgkmcnt(0)
	s_barrier
	s_and_saveexec_b64 s[2:3], vcc
	s_cbranch_execz .LBB434_117
; %bb.114:
	v_lshlrev_b32_e32 v1, 4, v9
	ds_read2_b64 v[1:4], v1 offset0:16 offset1:17
	v_or_b32_e32 v6, 4, v12
	s_add_i32 s8, s8, 63
	s_lshr_b32 s0, s8, 6
	s_waitcnt lgkmcnt(0)
	ds_bpermute_b32 v5, v6, v1
	ds_bpermute_b32 v10, v6, v2
	ds_bpermute_b32 v7, v6, v3
	ds_bpermute_b32 v8, v6, v4
	v_and_b32_e32 v6, 1, v9
	v_add_u32_e32 v6, 1, v6
	v_cmp_gt_u32_e32 vcc, s0, v6
	s_and_saveexec_b64 s[8:9], vcc
	s_cbranch_execz .LBB434_116
; %bb.115:
	s_waitcnt lgkmcnt(2)
	v_mov_b32_e32 v6, v10
	s_waitcnt lgkmcnt(0)
	v_cmp_lt_i64_e32 vcc, v[3:4], v[7:8]
	v_cmp_lt_i64_e64 s[0:1], v[5:6], v[1:2]
	s_or_b64 vcc, s[0:1], vcc
	v_cndmask_b32_e32 v9, v5, v1, vcc
	v_cndmask_b32_e32 v11, v10, v2, vcc
	;; [unrolled: 1-line block ×4, first 2 shown]
	v_cmp_lt_i64_e32 vcc, v[1:2], v[5:6]
	v_cndmask_b32_e32 v4, v4, v8, vcc
	v_cndmask_b32_e32 v3, v3, v7, vcc
	;; [unrolled: 1-line block ×4, first 2 shown]
.LBB434_116:
	s_or_b64 exec, exec, s[8:9]
.LBB434_117:
	s_or_b64 exec, exec, s[2:3]
.LBB434_118:
	s_waitcnt lgkmcnt(3)
	v_mov_b32_e32 v5, s6
	v_cmp_eq_u32_e64 s[0:1], 0, v0
	v_mov_b32_e32 v6, s7
.LBB434_119:
	s_branch .LBB434_209
.LBB434_120:
	s_cmp_gt_i32 s30, 1
	s_cbranch_scc0 .LBB434_140
; %bb.121:
	s_cmp_eq_u32 s30, 2
                                        ; implicit-def: $vgpr3_vgpr4
                                        ; implicit-def: $vgpr5_vgpr6
	s_cbranch_scc0 .LBB434_141
; %bb.122:
	s_mov_b32 s7, 0
	s_lshl_b32 s8, s6, 8
	s_mov_b32 s9, s7
	s_lshr_b64 s[0:1], s[24:25], 8
	s_lshl_b64 s[2:3], s[8:9], 3
	s_add_u32 s2, s20, s2
	s_addc_u32 s3, s21, s3
	s_add_u32 s12, s22, s8
	s_addc_u32 s13, s23, 0
	s_cmp_lg_u64 s[0:1], s[6:7]
	s_cbranch_scc0 .LBB434_142
; %bb.123:
	v_lshlrev_b32_e32 v1, 3, v0
	global_load_dwordx2 v[3:4], v1, s[2:3]
	global_load_dwordx2 v[5:6], v1, s[2:3] offset:1024
	v_mov_b32_e32 v1, s13
	s_waitcnt lgkmcnt(1)
	v_add_co_u32_e32 v7, vcc, s12, v0
	v_addc_co_u32_e32 v1, vcc, 0, v1, vcc
	v_add_co_u32_e32 v9, vcc, 0x80, v7
	s_waitcnt lgkmcnt(0)
	v_addc_co_u32_e32 v8, vcc, 0, v1, vcc
	s_waitcnt vmcnt(0)
	v_cmp_gt_i64_e32 vcc, v[3:4], v[5:6]
	v_cmp_lt_i64_e64 s[0:1], v[3:4], v[5:6]
	v_cndmask_b32_e32 v2, v6, v4, vcc
	v_cndmask_b32_e64 v4, v1, v8, s[0:1]
	v_cndmask_b32_e32 v1, v5, v3, vcc
	v_mov_b32_dpp v8, v2 quad_perm:[1,0,3,2] row_mask:0xf bank_mask:0xf bound_ctrl:1
	v_cndmask_b32_e64 v3, v7, v9, s[0:1]
	v_mov_b32_dpp v7, v1 quad_perm:[1,0,3,2] row_mask:0xf bank_mask:0xf bound_ctrl:1
	v_cmp_ge_i64_e32 vcc, v[7:8], v[1:2]
	v_mov_b32_dpp v5, v3 quad_perm:[1,0,3,2] row_mask:0xf bank_mask:0xf bound_ctrl:1
	v_mov_b32_dpp v9, v4 quad_perm:[1,0,3,2] row_mask:0xf bank_mask:0xf bound_ctrl:1
	s_and_saveexec_b64 s[10:11], vcc
	s_cbranch_execz .LBB434_125
; %bb.124:
	v_mov_b32_e32 v6, v9
	v_cmp_lt_i64_e32 vcc, v[1:2], v[7:8]
	v_cmp_lt_i64_e64 s[0:1], v[5:6], v[3:4]
	s_or_b64 vcc, vcc, s[0:1]
	v_cndmask_b32_e32 v2, v2, v8, vcc
	v_cndmask_b32_e32 v1, v1, v7, vcc
	v_cndmask_b32_e32 v4, v4, v9, vcc
	v_cndmask_b32_e32 v3, v3, v5, vcc
.LBB434_125:
	s_or_b64 exec, exec, s[10:11]
	v_mov_b32_dpp v7, v1 quad_perm:[2,3,0,1] row_mask:0xf bank_mask:0xf bound_ctrl:1
	v_mov_b32_dpp v8, v2 quad_perm:[2,3,0,1] row_mask:0xf bank_mask:0xf bound_ctrl:1
	v_cmp_ge_i64_e32 vcc, v[7:8], v[1:2]
	v_mov_b32_dpp v5, v3 quad_perm:[2,3,0,1] row_mask:0xf bank_mask:0xf bound_ctrl:1
	v_mov_b32_dpp v9, v4 quad_perm:[2,3,0,1] row_mask:0xf bank_mask:0xf bound_ctrl:1
	s_and_saveexec_b64 s[10:11], vcc
	s_cbranch_execz .LBB434_127
; %bb.126:
	v_mov_b32_e32 v6, v9
	v_cmp_lt_i64_e32 vcc, v[1:2], v[7:8]
	v_cmp_lt_i64_e64 s[0:1], v[5:6], v[3:4]
	s_or_b64 vcc, vcc, s[0:1]
	v_cndmask_b32_e32 v2, v2, v8, vcc
	v_cndmask_b32_e32 v1, v1, v7, vcc
	v_cndmask_b32_e32 v4, v4, v9, vcc
	v_cndmask_b32_e32 v3, v3, v5, vcc
.LBB434_127:
	s_or_b64 exec, exec, s[10:11]
	v_mov_b32_dpp v7, v1 row_ror:4 row_mask:0xf bank_mask:0xf bound_ctrl:1
	v_mov_b32_dpp v8, v2 row_ror:4 row_mask:0xf bank_mask:0xf bound_ctrl:1
	v_cmp_ge_i64_e32 vcc, v[7:8], v[1:2]
	v_mov_b32_dpp v5, v3 row_ror:4 row_mask:0xf bank_mask:0xf bound_ctrl:1
	v_mov_b32_dpp v9, v4 row_ror:4 row_mask:0xf bank_mask:0xf bound_ctrl:1
	s_and_saveexec_b64 s[10:11], vcc
	s_cbranch_execz .LBB434_129
; %bb.128:
	v_mov_b32_e32 v6, v9
	v_cmp_lt_i64_e32 vcc, v[1:2], v[7:8]
	v_cmp_lt_i64_e64 s[0:1], v[5:6], v[3:4]
	s_or_b64 vcc, vcc, s[0:1]
	v_cndmask_b32_e32 v2, v2, v8, vcc
	v_cndmask_b32_e32 v1, v1, v7, vcc
	v_cndmask_b32_e32 v4, v4, v9, vcc
	v_cndmask_b32_e32 v3, v3, v5, vcc
.LBB434_129:
	s_or_b64 exec, exec, s[10:11]
	v_mov_b32_dpp v7, v1 row_ror:8 row_mask:0xf bank_mask:0xf bound_ctrl:1
	v_mov_b32_dpp v8, v2 row_ror:8 row_mask:0xf bank_mask:0xf bound_ctrl:1
	v_cmp_ge_i64_e32 vcc, v[7:8], v[1:2]
	v_mov_b32_dpp v5, v3 row_ror:8 row_mask:0xf bank_mask:0xf bound_ctrl:1
	v_mov_b32_dpp v9, v4 row_ror:8 row_mask:0xf bank_mask:0xf bound_ctrl:1
	s_and_saveexec_b64 s[10:11], vcc
	s_cbranch_execz .LBB434_131
; %bb.130:
	v_mov_b32_e32 v6, v9
	v_cmp_lt_i64_e32 vcc, v[1:2], v[7:8]
	v_cmp_lt_i64_e64 s[0:1], v[5:6], v[3:4]
	s_or_b64 vcc, vcc, s[0:1]
	v_cndmask_b32_e32 v2, v2, v8, vcc
	v_cndmask_b32_e32 v1, v1, v7, vcc
	;; [unrolled: 1-line block ×4, first 2 shown]
.LBB434_131:
	s_or_b64 exec, exec, s[10:11]
	v_mov_b32_dpp v7, v1 row_bcast:15 row_mask:0xf bank_mask:0xf bound_ctrl:1
	v_mov_b32_dpp v8, v2 row_bcast:15 row_mask:0xf bank_mask:0xf bound_ctrl:1
	v_cmp_ge_i64_e32 vcc, v[7:8], v[1:2]
	v_mov_b32_dpp v5, v3 row_bcast:15 row_mask:0xf bank_mask:0xf bound_ctrl:1
	v_mov_b32_dpp v9, v4 row_bcast:15 row_mask:0xf bank_mask:0xf bound_ctrl:1
	s_and_saveexec_b64 s[10:11], vcc
	s_cbranch_execz .LBB434_133
; %bb.132:
	v_mov_b32_e32 v6, v9
	v_cmp_lt_i64_e32 vcc, v[1:2], v[7:8]
	v_cmp_lt_i64_e64 s[0:1], v[5:6], v[3:4]
	s_or_b64 vcc, vcc, s[0:1]
	v_cndmask_b32_e32 v2, v2, v8, vcc
	v_cndmask_b32_e32 v1, v1, v7, vcc
	;; [unrolled: 1-line block ×4, first 2 shown]
.LBB434_133:
	s_or_b64 exec, exec, s[10:11]
	v_mov_b32_dpp v5, v1 row_bcast:31 row_mask:0xf bank_mask:0xf bound_ctrl:1
	v_mov_b32_dpp v6, v2 row_bcast:31 row_mask:0xf bank_mask:0xf bound_ctrl:1
	v_cmp_ge_i64_e32 vcc, v[5:6], v[1:2]
	v_mov_b32_dpp v7, v3 row_bcast:31 row_mask:0xf bank_mask:0xf bound_ctrl:1
	v_mov_b32_dpp v9, v4 row_bcast:31 row_mask:0xf bank_mask:0xf bound_ctrl:1
	s_and_saveexec_b64 s[10:11], vcc
	s_cbranch_execz .LBB434_135
; %bb.134:
	v_mov_b32_e32 v8, v9
	v_cmp_lt_i64_e32 vcc, v[1:2], v[5:6]
	v_cmp_lt_i64_e64 s[0:1], v[7:8], v[3:4]
	s_or_b64 vcc, vcc, s[0:1]
	v_cndmask_b32_e32 v1, v1, v5, vcc
	v_cndmask_b32_e32 v2, v2, v6, vcc
	;; [unrolled: 1-line block ×4, first 2 shown]
.LBB434_135:
	s_or_b64 exec, exec, s[10:11]
	v_mbcnt_lo_u32_b32 v5, -1, 0
	v_mbcnt_hi_u32_b32 v6, -1, v5
	v_lshlrev_b32_e32 v5, 2, v6
	v_or_b32_e32 v7, 0xfc, v5
	ds_bpermute_b32 v1, v7, v1
	ds_bpermute_b32 v2, v7, v2
	;; [unrolled: 1-line block ×4, first 2 shown]
	v_cmp_eq_u32_e32 vcc, 0, v6
	s_and_saveexec_b64 s[0:1], vcc
	s_cbranch_execz .LBB434_137
; %bb.136:
	v_lshrrev_b32_e32 v7, 2, v0
	v_and_b32_e32 v7, 16, v7
	s_waitcnt lgkmcnt(0)
	ds_write2_b64 v7, v[1:2], v[3:4] offset0:4 offset1:5
.LBB434_137:
	s_or_b64 exec, exec, s[0:1]
	v_cmp_gt_u32_e32 vcc, 64, v0
	s_waitcnt lgkmcnt(0)
	s_barrier
	s_and_saveexec_b64 s[10:11], vcc
	s_cbranch_execz .LBB434_139
; %bb.138:
	v_and_b32_e32 v1, 1, v6
	v_lshlrev_b32_e32 v1, 4, v1
	ds_read2_b64 v[1:4], v1 offset0:4 offset1:5
	v_or_b32_e32 v6, 4, v5
	s_waitcnt lgkmcnt(0)
	ds_bpermute_b32 v9, v6, v2
	ds_bpermute_b32 v10, v6, v4
	;; [unrolled: 1-line block ×4, first 2 shown]
	s_waitcnt lgkmcnt(3)
	v_mov_b32_e32 v6, v9
	s_waitcnt lgkmcnt(2)
	v_mov_b32_e32 v8, v10
	s_waitcnt lgkmcnt(1)
	v_cmp_lt_i64_e32 vcc, v[5:6], v[1:2]
	s_waitcnt lgkmcnt(0)
	v_cmp_lt_i64_e64 s[0:1], v[3:4], v[7:8]
	s_or_b64 vcc, vcc, s[0:1]
	v_cndmask_b32_e32 v8, v5, v1, vcc
	v_cndmask_b32_e32 v11, v9, v2, vcc
	;; [unrolled: 1-line block ×4, first 2 shown]
	v_cmp_lt_i64_e32 vcc, v[1:2], v[5:6]
	v_cndmask_b32_e32 v4, v4, v10, vcc
	v_cndmask_b32_e32 v3, v3, v7, vcc
	;; [unrolled: 1-line block ×4, first 2 shown]
.LBB434_139:
	s_or_b64 exec, exec, s[10:11]
	s_branch .LBB434_166
.LBB434_140:
                                        ; implicit-def: $vgpr3_vgpr4
                                        ; implicit-def: $vgpr5_vgpr6
	s_cbranch_execnz .LBB434_167
	s_branch .LBB434_209
.LBB434_141:
	s_branch .LBB434_209
.LBB434_142:
                                        ; implicit-def: $vgpr1_vgpr2
	s_cbranch_execz .LBB434_166
; %bb.143:
	s_sub_i32 s10, s24, s8
	v_mov_b32_e32 v3, 0
	v_mov_b32_e32 v1, 0
	;; [unrolled: 1-line block ×4, first 2 shown]
	v_cmp_gt_u32_e32 vcc, s10, v0
	s_and_saveexec_b64 s[0:1], vcc
	s_cbranch_execz .LBB434_145
; %bb.144:
	v_lshlrev_b32_e32 v1, 3, v0
	global_load_dwordx2 v[1:2], v1, s[2:3]
	v_mov_b32_e32 v4, s13
	v_add_co_u32_e32 v3, vcc, s12, v0
	v_addc_co_u32_e32 v4, vcc, 0, v4, vcc
.LBB434_145:
	s_or_b64 exec, exec, s[0:1]
	v_or_b32_e32 v5, 0x80, v0
	v_cmp_gt_u32_e32 vcc, s10, v5
	s_and_saveexec_b64 s[8:9], vcc
	s_cbranch_execz .LBB434_147
; %bb.146:
	v_lshlrev_b32_e32 v6, 3, v0
	s_waitcnt lgkmcnt(1)
	global_load_dwordx2 v[6:7], v6, s[2:3] offset:1024
	v_mov_b32_e32 v9, s13
	s_waitcnt lgkmcnt(0)
	v_add_co_u32_e32 v8, vcc, s12, v5
	v_addc_co_u32_e32 v9, vcc, 0, v9, vcc
	v_cmp_lt_i64_e32 vcc, v[3:4], v[8:9]
	s_waitcnt vmcnt(0)
	v_cmp_lt_i64_e64 s[0:1], v[6:7], v[1:2]
	s_or_b64 vcc, s[0:1], vcc
	v_cndmask_b32_e32 v5, v6, v1, vcc
	v_cndmask_b32_e32 v10, v7, v2, vcc
	;; [unrolled: 1-line block ×4, first 2 shown]
	v_cmp_lt_i64_e32 vcc, v[1:2], v[6:7]
	v_cndmask_b32_e32 v4, v4, v9, vcc
	v_cndmask_b32_e32 v3, v3, v8, vcc
	v_cndmask_b32_e32 v2, v10, v7, vcc
	v_cndmask_b32_e32 v1, v5, v6, vcc
.LBB434_147:
	s_or_b64 exec, exec, s[8:9]
	v_mbcnt_lo_u32_b32 v5, -1, 0
	v_mbcnt_hi_u32_b32 v9, -1, v5
	s_waitcnt lgkmcnt(2)
	v_and_b32_e32 v10, 63, v9
	v_cmp_ne_u32_e32 vcc, 63, v10
	v_addc_co_u32_e32 v5, vcc, 0, v9, vcc
	v_lshlrev_b32_e32 v6, 2, v5
	s_waitcnt vmcnt(0)
	ds_bpermute_b32 v5, v6, v1
	ds_bpermute_b32 v12, v6, v2
	s_waitcnt lgkmcnt(3)
	ds_bpermute_b32 v7, v6, v3
	ds_bpermute_b32 v13, v6, v4
	s_min_u32 s8, s10, 0x80
	v_and_b32_e32 v6, 64, v0
	v_sub_u32_e64 v11, s8, v6 clamp
	v_add_u32_e32 v6, 1, v10
	v_cmp_lt_u32_e32 vcc, v6, v11
	s_and_saveexec_b64 s[0:1], vcc
	s_xor_b64 s[2:3], exec, s[0:1]
	s_cbranch_execz .LBB434_149
; %bb.148:
	s_waitcnt lgkmcnt(0)
	v_mov_b32_e32 v8, v13
	v_mov_b32_e32 v6, v12
	v_cmp_lt_i64_e32 vcc, v[5:6], v[1:2]
	v_cmp_lt_i64_e64 s[0:1], v[3:4], v[7:8]
	s_or_b64 vcc, vcc, s[0:1]
	v_cndmask_b32_e32 v8, v5, v1, vcc
	v_cndmask_b32_e32 v14, v12, v2, vcc
	v_cndmask_b32_e32 v3, v7, v3, vcc
	v_cndmask_b32_e32 v4, v13, v4, vcc
	v_cmp_lt_i64_e32 vcc, v[1:2], v[5:6]
	v_cndmask_b32_e32 v4, v4, v13, vcc
	v_cndmask_b32_e32 v3, v3, v7, vcc
	v_cndmask_b32_e32 v2, v14, v12, vcc
	v_cndmask_b32_e32 v1, v8, v5, vcc
.LBB434_149:
	s_or_b64 exec, exec, s[2:3]
	v_cmp_gt_u32_e32 vcc, 62, v10
	s_waitcnt lgkmcnt(3)
	v_cndmask_b32_e64 v5, 0, 2, vcc
	v_add_lshl_u32 v6, v5, v9, 2
	ds_bpermute_b32 v5, v6, v1
	s_waitcnt lgkmcnt(3)
	ds_bpermute_b32 v12, v6, v2
	s_waitcnt lgkmcnt(3)
	ds_bpermute_b32 v7, v6, v3
	s_waitcnt lgkmcnt(3)
	ds_bpermute_b32 v13, v6, v4
	v_add_u32_e32 v6, 2, v10
	v_cmp_lt_u32_e32 vcc, v6, v11
	s_and_saveexec_b64 s[2:3], vcc
	s_cbranch_execz .LBB434_151
; %bb.150:
	s_waitcnt lgkmcnt(0)
	v_mov_b32_e32 v8, v13
	v_mov_b32_e32 v6, v12
	v_cmp_lt_i64_e32 vcc, v[5:6], v[1:2]
	v_cmp_lt_i64_e64 s[0:1], v[3:4], v[7:8]
	s_or_b64 vcc, vcc, s[0:1]
	v_cndmask_b32_e32 v8, v5, v1, vcc
	v_cndmask_b32_e32 v14, v12, v2, vcc
	v_cndmask_b32_e32 v3, v7, v3, vcc
	v_cndmask_b32_e32 v4, v13, v4, vcc
	v_cmp_lt_i64_e32 vcc, v[1:2], v[5:6]
	v_cndmask_b32_e32 v4, v4, v13, vcc
	v_cndmask_b32_e32 v3, v3, v7, vcc
	v_cndmask_b32_e32 v2, v14, v12, vcc
	v_cndmask_b32_e32 v1, v8, v5, vcc
.LBB434_151:
	s_or_b64 exec, exec, s[2:3]
	v_cmp_gt_u32_e32 vcc, 60, v10
	s_waitcnt lgkmcnt(3)
	v_cndmask_b32_e64 v5, 0, 4, vcc
	v_add_lshl_u32 v6, v5, v9, 2
	ds_bpermute_b32 v5, v6, v1
	s_waitcnt lgkmcnt(3)
	ds_bpermute_b32 v12, v6, v2
	s_waitcnt lgkmcnt(3)
	ds_bpermute_b32 v7, v6, v3
	s_waitcnt lgkmcnt(3)
	ds_bpermute_b32 v13, v6, v4
	v_add_u32_e32 v6, 4, v10
	v_cmp_lt_u32_e32 vcc, v6, v11
	s_and_saveexec_b64 s[2:3], vcc
	;; [unrolled: 33-line block ×4, first 2 shown]
	s_cbranch_execz .LBB434_157
; %bb.156:
	s_waitcnt lgkmcnt(0)
	v_mov_b32_e32 v8, v13
	v_mov_b32_e32 v6, v12
	v_cmp_lt_i64_e32 vcc, v[5:6], v[1:2]
	v_cmp_lt_i64_e64 s[0:1], v[3:4], v[7:8]
	s_or_b64 vcc, vcc, s[0:1]
	v_cndmask_b32_e32 v8, v5, v1, vcc
	v_cndmask_b32_e32 v14, v12, v2, vcc
	;; [unrolled: 1-line block ×4, first 2 shown]
	v_cmp_lt_i64_e32 vcc, v[1:2], v[5:6]
	v_cndmask_b32_e32 v4, v4, v13, vcc
	v_cndmask_b32_e32 v3, v3, v7, vcc
	v_cndmask_b32_e32 v2, v14, v12, vcc
	v_cndmask_b32_e32 v1, v8, v5, vcc
.LBB434_157:
	s_or_b64 exec, exec, s[2:3]
	s_waitcnt lgkmcnt(2)
	v_lshlrev_b32_e32 v12, 2, v9
	v_or_b32_e32 v6, 0x80, v12
	ds_bpermute_b32 v5, v6, v1
	s_waitcnt lgkmcnt(1)
	ds_bpermute_b32 v13, v6, v2
	ds_bpermute_b32 v7, v6, v3
	;; [unrolled: 1-line block ×3, first 2 shown]
	v_add_u32_e32 v6, 32, v10
	v_cmp_lt_u32_e32 vcc, v6, v11
	s_and_saveexec_b64 s[2:3], vcc
	s_cbranch_execz .LBB434_159
; %bb.158:
	s_waitcnt lgkmcnt(2)
	v_mov_b32_e32 v6, v13
	s_waitcnt lgkmcnt(0)
	v_cmp_lt_i64_e32 vcc, v[3:4], v[7:8]
	v_cmp_lt_i64_e64 s[0:1], v[5:6], v[1:2]
	s_or_b64 vcc, s[0:1], vcc
	v_cndmask_b32_e32 v10, v5, v1, vcc
	v_cndmask_b32_e32 v11, v13, v2, vcc
	;; [unrolled: 1-line block ×4, first 2 shown]
	v_cmp_lt_i64_e32 vcc, v[1:2], v[5:6]
	v_cndmask_b32_e32 v4, v4, v8, vcc
	v_cndmask_b32_e32 v3, v3, v7, vcc
	;; [unrolled: 1-line block ×4, first 2 shown]
.LBB434_159:
	s_or_b64 exec, exec, s[2:3]
	v_cmp_eq_u32_e32 vcc, 0, v9
	s_and_saveexec_b64 s[0:1], vcc
	s_cbranch_execz .LBB434_161
; %bb.160:
	s_waitcnt lgkmcnt(3)
	v_lshrrev_b32_e32 v5, 2, v0
	v_and_b32_e32 v5, 16, v5
	ds_write2_b64 v5, v[1:2], v[3:4] offset0:16 offset1:17
.LBB434_161:
	s_or_b64 exec, exec, s[0:1]
	v_cmp_gt_u32_e32 vcc, 2, v0
	s_waitcnt lgkmcnt(0)
	s_barrier
	s_and_saveexec_b64 s[2:3], vcc
	s_cbranch_execz .LBB434_165
; %bb.162:
	v_lshlrev_b32_e32 v1, 4, v9
	ds_read2_b64 v[1:4], v1 offset0:16 offset1:17
	v_or_b32_e32 v6, 4, v12
	s_add_i32 s8, s8, 63
	s_lshr_b32 s0, s8, 6
	s_waitcnt lgkmcnt(0)
	ds_bpermute_b32 v5, v6, v1
	ds_bpermute_b32 v10, v6, v2
	;; [unrolled: 1-line block ×4, first 2 shown]
	v_and_b32_e32 v6, 1, v9
	v_add_u32_e32 v6, 1, v6
	v_cmp_gt_u32_e32 vcc, s0, v6
	s_and_saveexec_b64 s[8:9], vcc
	s_cbranch_execz .LBB434_164
; %bb.163:
	s_waitcnt lgkmcnt(2)
	v_mov_b32_e32 v6, v10
	s_waitcnt lgkmcnt(0)
	v_cmp_lt_i64_e32 vcc, v[3:4], v[7:8]
	v_cmp_lt_i64_e64 s[0:1], v[5:6], v[1:2]
	s_or_b64 vcc, s[0:1], vcc
	v_cndmask_b32_e32 v9, v5, v1, vcc
	v_cndmask_b32_e32 v11, v10, v2, vcc
	;; [unrolled: 1-line block ×4, first 2 shown]
	v_cmp_lt_i64_e32 vcc, v[1:2], v[5:6]
	v_cndmask_b32_e32 v4, v4, v8, vcc
	v_cndmask_b32_e32 v3, v3, v7, vcc
	;; [unrolled: 1-line block ×4, first 2 shown]
.LBB434_164:
	s_or_b64 exec, exec, s[8:9]
.LBB434_165:
	s_or_b64 exec, exec, s[2:3]
.LBB434_166:
	s_waitcnt lgkmcnt(3)
	v_mov_b32_e32 v5, s6
	v_cmp_eq_u32_e64 s[0:1], 0, v0
	v_mov_b32_e32 v6, s7
	s_branch .LBB434_209
.LBB434_167:
	s_cmp_eq_u32 s30, 1
                                        ; implicit-def: $vgpr3_vgpr4
                                        ; implicit-def: $vgpr5_vgpr6
	s_cbranch_scc0 .LBB434_209
; %bb.168:
	s_mov_b32 s3, 0
	s_lshl_b32 s2, s6, 7
	s_mov_b32 s7, s3
	s_lshr_b64 s[0:1], s[24:25], 7
	s_cmp_lg_u64 s[0:1], s[6:7]
	s_cbranch_scc0 .LBB434_186
; %bb.169:
	s_lshl_b64 s[0:1], s[2:3], 3
	s_add_u32 s0, s20, s0
	s_addc_u32 s1, s21, s1
	v_lshlrev_b32_e32 v1, 3, v0
	global_load_dwordx2 v[1:2], v1, s[0:1]
	s_add_u32 s0, s22, s2
	s_addc_u32 s1, s23, 0
	v_mov_b32_e32 v4, s1
	v_add_co_u32_e32 v3, vcc, s0, v0
	v_addc_co_u32_e32 v4, vcc, 0, v4, vcc
	s_nop 0
	v_mov_b32_dpp v5, v3 quad_perm:[1,0,3,2] row_mask:0xf bank_mask:0xf bound_ctrl:1
	v_mov_b32_dpp v9, v4 quad_perm:[1,0,3,2] row_mask:0xf bank_mask:0xf bound_ctrl:1
	s_waitcnt vmcnt(0) lgkmcnt(1)
	v_mov_b32_dpp v7, v1 quad_perm:[1,0,3,2] row_mask:0xf bank_mask:0xf bound_ctrl:1
	s_waitcnt lgkmcnt(0)
	v_mov_b32_dpp v8, v2 quad_perm:[1,0,3,2] row_mask:0xf bank_mask:0xf bound_ctrl:1
	v_cmp_ge_i64_e32 vcc, v[7:8], v[1:2]
	s_and_saveexec_b64 s[8:9], vcc
	s_cbranch_execz .LBB434_171
; %bb.170:
	v_mov_b32_e32 v6, v9
	v_cmp_lt_i64_e32 vcc, v[1:2], v[7:8]
	v_cmp_lt_i64_e64 s[0:1], v[5:6], v[3:4]
	s_or_b64 vcc, vcc, s[0:1]
	v_cndmask_b32_e32 v2, v2, v8, vcc
	v_cndmask_b32_e32 v1, v1, v7, vcc
	;; [unrolled: 1-line block ×4, first 2 shown]
.LBB434_171:
	s_or_b64 exec, exec, s[8:9]
	v_mov_b32_dpp v7, v1 quad_perm:[2,3,0,1] row_mask:0xf bank_mask:0xf bound_ctrl:1
	v_mov_b32_dpp v8, v2 quad_perm:[2,3,0,1] row_mask:0xf bank_mask:0xf bound_ctrl:1
	v_cmp_ge_i64_e32 vcc, v[7:8], v[1:2]
	v_mov_b32_dpp v5, v3 quad_perm:[2,3,0,1] row_mask:0xf bank_mask:0xf bound_ctrl:1
	v_mov_b32_dpp v9, v4 quad_perm:[2,3,0,1] row_mask:0xf bank_mask:0xf bound_ctrl:1
	s_and_saveexec_b64 s[8:9], vcc
	s_cbranch_execz .LBB434_173
; %bb.172:
	v_mov_b32_e32 v6, v9
	v_cmp_lt_i64_e32 vcc, v[1:2], v[7:8]
	v_cmp_lt_i64_e64 s[0:1], v[5:6], v[3:4]
	s_or_b64 vcc, vcc, s[0:1]
	v_cndmask_b32_e32 v2, v2, v8, vcc
	v_cndmask_b32_e32 v1, v1, v7, vcc
	;; [unrolled: 1-line block ×4, first 2 shown]
.LBB434_173:
	s_or_b64 exec, exec, s[8:9]
	v_mov_b32_dpp v7, v1 row_ror:4 row_mask:0xf bank_mask:0xf bound_ctrl:1
	v_mov_b32_dpp v8, v2 row_ror:4 row_mask:0xf bank_mask:0xf bound_ctrl:1
	v_cmp_ge_i64_e32 vcc, v[7:8], v[1:2]
	v_mov_b32_dpp v5, v3 row_ror:4 row_mask:0xf bank_mask:0xf bound_ctrl:1
	v_mov_b32_dpp v9, v4 row_ror:4 row_mask:0xf bank_mask:0xf bound_ctrl:1
	s_and_saveexec_b64 s[8:9], vcc
	s_cbranch_execz .LBB434_175
; %bb.174:
	v_mov_b32_e32 v6, v9
	v_cmp_lt_i64_e32 vcc, v[1:2], v[7:8]
	v_cmp_lt_i64_e64 s[0:1], v[5:6], v[3:4]
	s_or_b64 vcc, vcc, s[0:1]
	v_cndmask_b32_e32 v2, v2, v8, vcc
	v_cndmask_b32_e32 v1, v1, v7, vcc
	;; [unrolled: 1-line block ×4, first 2 shown]
.LBB434_175:
	s_or_b64 exec, exec, s[8:9]
	v_mov_b32_dpp v7, v1 row_ror:8 row_mask:0xf bank_mask:0xf bound_ctrl:1
	v_mov_b32_dpp v8, v2 row_ror:8 row_mask:0xf bank_mask:0xf bound_ctrl:1
	v_cmp_ge_i64_e32 vcc, v[7:8], v[1:2]
	v_mov_b32_dpp v5, v3 row_ror:8 row_mask:0xf bank_mask:0xf bound_ctrl:1
	v_mov_b32_dpp v9, v4 row_ror:8 row_mask:0xf bank_mask:0xf bound_ctrl:1
	s_and_saveexec_b64 s[8:9], vcc
	s_cbranch_execz .LBB434_177
; %bb.176:
	v_mov_b32_e32 v6, v9
	v_cmp_lt_i64_e32 vcc, v[1:2], v[7:8]
	v_cmp_lt_i64_e64 s[0:1], v[5:6], v[3:4]
	s_or_b64 vcc, vcc, s[0:1]
	v_cndmask_b32_e32 v2, v2, v8, vcc
	v_cndmask_b32_e32 v1, v1, v7, vcc
	;; [unrolled: 1-line block ×4, first 2 shown]
.LBB434_177:
	s_or_b64 exec, exec, s[8:9]
	v_mov_b32_dpp v7, v1 row_bcast:15 row_mask:0xf bank_mask:0xf bound_ctrl:1
	v_mov_b32_dpp v8, v2 row_bcast:15 row_mask:0xf bank_mask:0xf bound_ctrl:1
	v_cmp_ge_i64_e32 vcc, v[7:8], v[1:2]
	v_mov_b32_dpp v5, v3 row_bcast:15 row_mask:0xf bank_mask:0xf bound_ctrl:1
	v_mov_b32_dpp v9, v4 row_bcast:15 row_mask:0xf bank_mask:0xf bound_ctrl:1
	s_and_saveexec_b64 s[8:9], vcc
	s_cbranch_execz .LBB434_179
; %bb.178:
	v_mov_b32_e32 v6, v9
	v_cmp_lt_i64_e32 vcc, v[1:2], v[7:8]
	v_cmp_lt_i64_e64 s[0:1], v[5:6], v[3:4]
	s_or_b64 vcc, vcc, s[0:1]
	v_cndmask_b32_e32 v2, v2, v8, vcc
	v_cndmask_b32_e32 v1, v1, v7, vcc
	v_cndmask_b32_e32 v4, v4, v9, vcc
	v_cndmask_b32_e32 v3, v3, v5, vcc
.LBB434_179:
	s_or_b64 exec, exec, s[8:9]
	v_mov_b32_dpp v5, v1 row_bcast:31 row_mask:0xf bank_mask:0xf bound_ctrl:1
	v_mov_b32_dpp v6, v2 row_bcast:31 row_mask:0xf bank_mask:0xf bound_ctrl:1
	v_cmp_ge_i64_e32 vcc, v[5:6], v[1:2]
	v_mov_b32_dpp v7, v3 row_bcast:31 row_mask:0xf bank_mask:0xf bound_ctrl:1
	v_mov_b32_dpp v9, v4 row_bcast:31 row_mask:0xf bank_mask:0xf bound_ctrl:1
	s_and_saveexec_b64 s[8:9], vcc
	s_cbranch_execz .LBB434_181
; %bb.180:
	v_mov_b32_e32 v8, v9
	v_cmp_lt_i64_e32 vcc, v[1:2], v[5:6]
	v_cmp_lt_i64_e64 s[0:1], v[7:8], v[3:4]
	s_or_b64 vcc, vcc, s[0:1]
	v_cndmask_b32_e32 v1, v1, v5, vcc
	v_cndmask_b32_e32 v2, v2, v6, vcc
	;; [unrolled: 1-line block ×4, first 2 shown]
.LBB434_181:
	s_or_b64 exec, exec, s[8:9]
	v_mbcnt_lo_u32_b32 v5, -1, 0
	v_mbcnt_hi_u32_b32 v6, -1, v5
	v_lshlrev_b32_e32 v5, 2, v6
	v_or_b32_e32 v7, 0xfc, v5
	ds_bpermute_b32 v1, v7, v1
	ds_bpermute_b32 v2, v7, v2
	;; [unrolled: 1-line block ×4, first 2 shown]
	v_cmp_eq_u32_e32 vcc, 0, v6
	s_and_saveexec_b64 s[0:1], vcc
	s_cbranch_execz .LBB434_183
; %bb.182:
	v_lshrrev_b32_e32 v7, 2, v0
	v_and_b32_e32 v7, 16, v7
	s_waitcnt lgkmcnt(0)
	ds_write2_b64 v7, v[1:2], v[3:4] offset1:1
.LBB434_183:
	s_or_b64 exec, exec, s[0:1]
	v_cmp_gt_u32_e32 vcc, 64, v0
	s_waitcnt lgkmcnt(0)
	s_barrier
	s_and_saveexec_b64 s[8:9], vcc
	s_cbranch_execz .LBB434_185
; %bb.184:
	v_and_b32_e32 v1, 1, v6
	v_lshlrev_b32_e32 v1, 4, v1
	ds_read2_b64 v[1:4], v1 offset1:1
	v_or_b32_e32 v6, 4, v5
	s_waitcnt lgkmcnt(0)
	ds_bpermute_b32 v9, v6, v2
	ds_bpermute_b32 v10, v6, v4
	ds_bpermute_b32 v5, v6, v1
	ds_bpermute_b32 v7, v6, v3
	s_waitcnt lgkmcnt(3)
	v_mov_b32_e32 v6, v9
	s_waitcnt lgkmcnt(2)
	v_mov_b32_e32 v8, v10
	s_waitcnt lgkmcnt(1)
	v_cmp_lt_i64_e32 vcc, v[5:6], v[1:2]
	s_waitcnt lgkmcnt(0)
	v_cmp_lt_i64_e64 s[0:1], v[3:4], v[7:8]
	s_or_b64 vcc, vcc, s[0:1]
	v_cndmask_b32_e32 v8, v5, v1, vcc
	v_cndmask_b32_e32 v11, v9, v2, vcc
	;; [unrolled: 1-line block ×4, first 2 shown]
	v_cmp_lt_i64_e32 vcc, v[1:2], v[5:6]
	v_cndmask_b32_e32 v4, v4, v10, vcc
	v_cndmask_b32_e32 v3, v3, v7, vcc
	;; [unrolled: 1-line block ×4, first 2 shown]
.LBB434_185:
	s_or_b64 exec, exec, s[8:9]
	s_branch .LBB434_208
.LBB434_186:
                                        ; implicit-def: $vgpr3_vgpr4
	s_cbranch_execz .LBB434_208
; %bb.187:
	s_sub_i32 s8, s24, s2
	v_mov_b32_e32 v3, 0
	v_mov_b32_e32 v1, 0
	;; [unrolled: 1-line block ×4, first 2 shown]
	v_cmp_gt_u32_e32 vcc, s8, v0
	s_and_saveexec_b64 s[0:1], vcc
	s_cbranch_execz .LBB434_189
; %bb.188:
	s_lshl_b64 s[10:11], s[2:3], 3
	s_add_u32 s10, s20, s10
	s_addc_u32 s11, s21, s11
	v_lshlrev_b32_e32 v1, 3, v0
	global_load_dwordx2 v[1:2], v1, s[10:11]
	s_add_u32 s2, s22, s2
	s_addc_u32 s3, s23, 0
	v_mov_b32_e32 v4, s3
	v_add_co_u32_e32 v3, vcc, s2, v0
	v_addc_co_u32_e32 v4, vcc, 0, v4, vcc
.LBB434_189:
	s_or_b64 exec, exec, s[0:1]
	v_mbcnt_lo_u32_b32 v5, -1, 0
	v_mbcnt_hi_u32_b32 v9, -1, v5
	s_waitcnt lgkmcnt(2)
	v_and_b32_e32 v10, 63, v9
	v_cmp_ne_u32_e32 vcc, 63, v10
	v_addc_co_u32_e32 v5, vcc, 0, v9, vcc
	v_lshlrev_b32_e32 v6, 2, v5
	s_waitcnt vmcnt(0)
	ds_bpermute_b32 v5, v6, v1
	ds_bpermute_b32 v12, v6, v2
	s_waitcnt lgkmcnt(3)
	ds_bpermute_b32 v7, v6, v3
	ds_bpermute_b32 v13, v6, v4
	s_min_u32 s8, s8, 0x80
	v_and_b32_e32 v6, 64, v0
	v_sub_u32_e64 v11, s8, v6 clamp
	v_add_u32_e32 v6, 1, v10
	v_cmp_lt_u32_e32 vcc, v6, v11
	s_and_saveexec_b64 s[2:3], vcc
	s_cbranch_execz .LBB434_191
; %bb.190:
	s_waitcnt lgkmcnt(0)
	v_mov_b32_e32 v8, v13
	v_mov_b32_e32 v6, v12
	v_cmp_lt_i64_e32 vcc, v[5:6], v[1:2]
	v_cmp_lt_i64_e64 s[0:1], v[3:4], v[7:8]
	s_or_b64 vcc, vcc, s[0:1]
	v_cndmask_b32_e32 v8, v5, v1, vcc
	v_cndmask_b32_e32 v14, v12, v2, vcc
	v_cndmask_b32_e32 v3, v7, v3, vcc
	v_cndmask_b32_e32 v4, v13, v4, vcc
	v_cmp_lt_i64_e32 vcc, v[1:2], v[5:6]
	v_cndmask_b32_e32 v4, v4, v13, vcc
	v_cndmask_b32_e32 v3, v3, v7, vcc
	v_cndmask_b32_e32 v2, v14, v12, vcc
	v_cndmask_b32_e32 v1, v8, v5, vcc
.LBB434_191:
	s_or_b64 exec, exec, s[2:3]
	v_cmp_gt_u32_e32 vcc, 62, v10
	s_waitcnt lgkmcnt(3)
	v_cndmask_b32_e64 v5, 0, 2, vcc
	v_add_lshl_u32 v6, v5, v9, 2
	ds_bpermute_b32 v5, v6, v1
	s_waitcnt lgkmcnt(3)
	ds_bpermute_b32 v12, v6, v2
	s_waitcnt lgkmcnt(3)
	ds_bpermute_b32 v7, v6, v3
	s_waitcnt lgkmcnt(3)
	ds_bpermute_b32 v13, v6, v4
	v_add_u32_e32 v6, 2, v10
	v_cmp_lt_u32_e32 vcc, v6, v11
	s_and_saveexec_b64 s[2:3], vcc
	s_cbranch_execz .LBB434_193
; %bb.192:
	s_waitcnt lgkmcnt(0)
	v_mov_b32_e32 v8, v13
	v_mov_b32_e32 v6, v12
	v_cmp_lt_i64_e32 vcc, v[5:6], v[1:2]
	v_cmp_lt_i64_e64 s[0:1], v[3:4], v[7:8]
	s_or_b64 vcc, vcc, s[0:1]
	v_cndmask_b32_e32 v8, v5, v1, vcc
	v_cndmask_b32_e32 v14, v12, v2, vcc
	v_cndmask_b32_e32 v3, v7, v3, vcc
	v_cndmask_b32_e32 v4, v13, v4, vcc
	v_cmp_lt_i64_e32 vcc, v[1:2], v[5:6]
	v_cndmask_b32_e32 v4, v4, v13, vcc
	v_cndmask_b32_e32 v3, v3, v7, vcc
	v_cndmask_b32_e32 v2, v14, v12, vcc
	v_cndmask_b32_e32 v1, v8, v5, vcc
.LBB434_193:
	s_or_b64 exec, exec, s[2:3]
	v_cmp_gt_u32_e32 vcc, 60, v10
	s_waitcnt lgkmcnt(3)
	v_cndmask_b32_e64 v5, 0, 4, vcc
	v_add_lshl_u32 v6, v5, v9, 2
	ds_bpermute_b32 v5, v6, v1
	s_waitcnt lgkmcnt(3)
	ds_bpermute_b32 v12, v6, v2
	s_waitcnt lgkmcnt(3)
	ds_bpermute_b32 v7, v6, v3
	s_waitcnt lgkmcnt(3)
	ds_bpermute_b32 v13, v6, v4
	;; [unrolled: 33-line block ×4, first 2 shown]
	v_add_u32_e32 v6, 16, v10
	v_cmp_lt_u32_e32 vcc, v6, v11
	s_and_saveexec_b64 s[2:3], vcc
	s_cbranch_execz .LBB434_199
; %bb.198:
	s_waitcnt lgkmcnt(0)
	v_mov_b32_e32 v8, v13
	v_mov_b32_e32 v6, v12
	v_cmp_lt_i64_e32 vcc, v[5:6], v[1:2]
	v_cmp_lt_i64_e64 s[0:1], v[3:4], v[7:8]
	s_or_b64 vcc, vcc, s[0:1]
	v_cndmask_b32_e32 v8, v5, v1, vcc
	v_cndmask_b32_e32 v14, v12, v2, vcc
	;; [unrolled: 1-line block ×4, first 2 shown]
	v_cmp_lt_i64_e32 vcc, v[1:2], v[5:6]
	v_cndmask_b32_e32 v4, v4, v13, vcc
	v_cndmask_b32_e32 v3, v3, v7, vcc
	;; [unrolled: 1-line block ×4, first 2 shown]
.LBB434_199:
	s_or_b64 exec, exec, s[2:3]
	s_waitcnt lgkmcnt(2)
	v_lshlrev_b32_e32 v12, 2, v9
	v_or_b32_e32 v6, 0x80, v12
	ds_bpermute_b32 v5, v6, v1
	s_waitcnt lgkmcnt(1)
	ds_bpermute_b32 v13, v6, v2
	ds_bpermute_b32 v7, v6, v3
	;; [unrolled: 1-line block ×3, first 2 shown]
	v_add_u32_e32 v6, 32, v10
	v_cmp_lt_u32_e32 vcc, v6, v11
	s_and_saveexec_b64 s[2:3], vcc
	s_cbranch_execz .LBB434_201
; %bb.200:
	s_waitcnt lgkmcnt(2)
	v_mov_b32_e32 v6, v13
	s_waitcnt lgkmcnt(0)
	v_cmp_lt_i64_e32 vcc, v[3:4], v[7:8]
	v_cmp_lt_i64_e64 s[0:1], v[5:6], v[1:2]
	s_or_b64 vcc, s[0:1], vcc
	v_cndmask_b32_e32 v10, v5, v1, vcc
	v_cndmask_b32_e32 v11, v13, v2, vcc
	;; [unrolled: 1-line block ×4, first 2 shown]
	v_cmp_lt_i64_e32 vcc, v[1:2], v[5:6]
	v_cndmask_b32_e32 v4, v4, v8, vcc
	v_cndmask_b32_e32 v3, v3, v7, vcc
	v_cndmask_b32_e32 v2, v11, v13, vcc
	v_cndmask_b32_e32 v1, v10, v5, vcc
.LBB434_201:
	s_or_b64 exec, exec, s[2:3]
	v_cmp_eq_u32_e32 vcc, 0, v9
	s_and_saveexec_b64 s[0:1], vcc
	s_cbranch_execz .LBB434_203
; %bb.202:
	s_waitcnt lgkmcnt(3)
	v_lshrrev_b32_e32 v5, 2, v0
	v_and_b32_e32 v5, 16, v5
	ds_write2_b64 v5, v[1:2], v[3:4] offset0:16 offset1:17
.LBB434_203:
	s_or_b64 exec, exec, s[0:1]
	v_cmp_gt_u32_e32 vcc, 2, v0
	s_waitcnt lgkmcnt(0)
	s_barrier
	s_and_saveexec_b64 s[2:3], vcc
	s_cbranch_execz .LBB434_207
; %bb.204:
	v_lshlrev_b32_e32 v1, 4, v9
	ds_read2_b64 v[1:4], v1 offset0:16 offset1:17
	v_or_b32_e32 v6, 4, v12
	s_add_i32 s8, s8, 63
	s_lshr_b32 s0, s8, 6
	s_waitcnt lgkmcnt(0)
	ds_bpermute_b32 v5, v6, v1
	ds_bpermute_b32 v10, v6, v2
	;; [unrolled: 1-line block ×4, first 2 shown]
	v_and_b32_e32 v6, 1, v9
	v_add_u32_e32 v6, 1, v6
	v_cmp_gt_u32_e32 vcc, s0, v6
	s_and_saveexec_b64 s[8:9], vcc
	s_cbranch_execz .LBB434_206
; %bb.205:
	s_waitcnt lgkmcnt(2)
	v_mov_b32_e32 v6, v10
	s_waitcnt lgkmcnt(0)
	v_cmp_lt_i64_e32 vcc, v[3:4], v[7:8]
	v_cmp_lt_i64_e64 s[0:1], v[5:6], v[1:2]
	s_or_b64 vcc, s[0:1], vcc
	v_cndmask_b32_e32 v9, v5, v1, vcc
	v_cndmask_b32_e32 v11, v10, v2, vcc
	;; [unrolled: 1-line block ×4, first 2 shown]
	v_cmp_lt_i64_e32 vcc, v[1:2], v[5:6]
	v_cndmask_b32_e32 v4, v4, v8, vcc
	v_cndmask_b32_e32 v3, v3, v7, vcc
	;; [unrolled: 1-line block ×4, first 2 shown]
.LBB434_206:
	s_or_b64 exec, exec, s[8:9]
.LBB434_207:
	s_or_b64 exec, exec, s[2:3]
.LBB434_208:
	s_waitcnt lgkmcnt(3)
	v_mov_b32_e32 v5, s6
	v_cmp_eq_u32_e64 s[0:1], 0, v0
	v_mov_b32_e32 v6, s7
.LBB434_209:
	s_and_saveexec_b64 s[2:3], s[0:1]
	s_cbranch_execz .LBB434_211
; %bb.210:
	s_load_dwordx4 s[0:3], s[4:5], 0x28
	v_lshlrev_b64 v[5:6], 4, v[5:6]
	v_mov_b32_e32 v0, s27
	v_add_co_u32_e32 v5, vcc, s26, v5
	v_addc_co_u32_e32 v6, vcc, v0, v6, vcc
	s_cmp_eq_u64 s[24:25], 0
	s_waitcnt lgkmcnt(0)
	v_mov_b32_e32 v0, s1
	s_cselect_b64 vcc, -1, 0
	v_cndmask_b32_e32 v2, v2, v0, vcc
	v_mov_b32_e32 v0, s0
	v_cndmask_b32_e32 v1, v1, v0, vcc
	v_mov_b32_e32 v0, s3
	;; [unrolled: 2-line block ×3, first 2 shown]
	v_cndmask_b32_e32 v3, v3, v0, vcc
	global_store_dwordx4 v[5:6], v[1:4], off
.LBB434_211:
	s_endpgm
.LBB434_212:
	v_lshlrev_b32_e32 v5, 3, v33
	global_load_dwordx2 v[11:12], v5, s[16:17]
	v_mov_b32_e32 v6, s33
	v_add_co_u32_e64 v5, s[16:17], s31, v33
	v_addc_co_u32_e64 v6, s[16:17], 0, v6, s[16:17]
	s_or_b64 exec, exec, s[28:29]
	s_and_saveexec_b64 s[28:29], s[14:15]
	s_cbranch_execz .LBB434_60
.LBB434_213:
	s_waitcnt vmcnt(0)
	v_cmp_lt_i64_e64 s[14:15], v[29:30], v[1:2]
	v_cmp_lt_i64_e64 s[16:17], v[3:4], v[15:16]
	s_or_b64 s[14:15], s[14:15], s[16:17]
	v_cndmask_b32_e64 v33, v29, v1, s[14:15]
	v_cndmask_b32_e64 v34, v30, v2, s[14:15]
	;; [unrolled: 1-line block ×4, first 2 shown]
	v_cmp_lt_i64_e64 s[14:15], v[1:2], v[29:30]
	v_cndmask_b32_e64 v4, v4, v16, s[14:15]
	v_cndmask_b32_e64 v3, v3, v15, s[14:15]
	;; [unrolled: 1-line block ×4, first 2 shown]
	s_or_b64 exec, exec, s[28:29]
	s_and_saveexec_b64 s[16:17], s[12:13]
	s_cbranch_execz .LBB434_61
.LBB434_214:
	s_waitcnt vmcnt(0)
	v_cmp_lt_i64_e64 s[12:13], v[27:28], v[1:2]
	v_cmp_lt_i64_e64 s[14:15], v[3:4], v[31:32]
	s_or_b64 s[12:13], s[12:13], s[14:15]
	v_cndmask_b32_e64 v15, v27, v1, s[12:13]
	v_cndmask_b32_e64 v16, v28, v2, s[12:13]
	;; [unrolled: 1-line block ×4, first 2 shown]
	v_cmp_lt_i64_e64 s[12:13], v[1:2], v[27:28]
	v_cndmask_b32_e64 v4, v4, v32, s[12:13]
	v_cndmask_b32_e64 v3, v3, v31, s[12:13]
	;; [unrolled: 1-line block ×4, first 2 shown]
	s_or_b64 exec, exec, s[16:17]
	s_and_saveexec_b64 s[14:15], s[10:11]
	s_cbranch_execz .LBB434_62
.LBB434_215:
	s_waitcnt vmcnt(0)
	v_cmp_lt_i64_e64 s[10:11], v[23:24], v[1:2]
	v_cmp_lt_i64_e64 s[12:13], v[3:4], v[9:10]
	s_or_b64 s[10:11], s[10:11], s[12:13]
	v_cndmask_b32_e64 v15, v23, v1, s[10:11]
	v_cndmask_b32_e64 v16, v24, v2, s[10:11]
	;; [unrolled: 1-line block ×4, first 2 shown]
	v_cmp_lt_i64_e64 s[10:11], v[1:2], v[23:24]
	v_cndmask_b32_e64 v4, v4, v10, s[10:11]
	v_cndmask_b32_e64 v3, v3, v9, s[10:11]
	;; [unrolled: 1-line block ×4, first 2 shown]
	s_or_b64 exec, exec, s[14:15]
	s_and_saveexec_b64 s[12:13], s[8:9]
	s_cbranch_execz .LBB434_63
.LBB434_216:
	s_waitcnt vmcnt(0)
	v_cmp_lt_i64_e64 s[8:9], v[21:22], v[1:2]
	v_cmp_lt_i64_e64 s[10:11], v[3:4], v[25:26]
	s_or_b64 s[8:9], s[8:9], s[10:11]
	v_cndmask_b32_e64 v9, v21, v1, s[8:9]
	v_cndmask_b32_e64 v10, v22, v2, s[8:9]
	;; [unrolled: 1-line block ×4, first 2 shown]
	v_cmp_lt_i64_e64 s[8:9], v[1:2], v[21:22]
	v_cndmask_b32_e64 v4, v4, v26, s[8:9]
	v_cndmask_b32_e64 v3, v3, v25, s[8:9]
	;; [unrolled: 1-line block ×4, first 2 shown]
	s_or_b64 exec, exec, s[12:13]
	s_and_saveexec_b64 s[10:11], s[2:3]
	s_cbranch_execz .LBB434_64
.LBB434_217:
	s_waitcnt vmcnt(0)
	v_cmp_lt_i64_e64 s[2:3], v[17:18], v[1:2]
	v_cmp_lt_i64_e64 s[8:9], v[3:4], v[7:8]
	s_or_b64 s[2:3], s[2:3], s[8:9]
	v_cndmask_b32_e64 v9, v17, v1, s[2:3]
	v_cndmask_b32_e64 v10, v18, v2, s[2:3]
	;; [unrolled: 1-line block ×4, first 2 shown]
	v_cmp_lt_i64_e64 s[2:3], v[1:2], v[17:18]
	v_cndmask_b32_e64 v4, v4, v8, s[2:3]
	v_cndmask_b32_e64 v3, v3, v7, s[2:3]
	;; [unrolled: 1-line block ×4, first 2 shown]
	s_or_b64 exec, exec, s[10:11]
	s_and_saveexec_b64 s[8:9], s[0:1]
	s_cbranch_execz .LBB434_65
.LBB434_218:
	s_waitcnt vmcnt(0)
	v_cmp_lt_i64_e64 s[0:1], v[13:14], v[1:2]
	v_cmp_lt_i64_e64 s[2:3], v[3:4], v[19:20]
	s_or_b64 s[0:1], s[0:1], s[2:3]
	v_cndmask_b32_e64 v7, v13, v1, s[0:1]
	v_cndmask_b32_e64 v8, v14, v2, s[0:1]
	v_cndmask_b32_e64 v3, v19, v3, s[0:1]
	v_cndmask_b32_e64 v4, v20, v4, s[0:1]
	v_cmp_lt_i64_e64 s[0:1], v[1:2], v[13:14]
	v_cndmask_b32_e64 v4, v4, v20, s[0:1]
	v_cndmask_b32_e64 v3, v3, v19, s[0:1]
	;; [unrolled: 1-line block ×4, first 2 shown]
	s_or_b64 exec, exec, s[8:9]
	s_and_saveexec_b64 s[2:3], vcc
	s_cbranch_execnz .LBB434_66
	s_branch .LBB434_67
.LBB434_219:
	v_lshlrev_b32_e32 v5, 3, v0
	global_load_dwordx2 v[9:10], v5, s[8:9] offset:3072
	v_mov_b32_e32 v6, s13
	v_add_co_u32_e64 v5, s[8:9], s12, v17
	v_addc_co_u32_e64 v6, s[8:9], 0, v6, s[8:9]
	s_or_b64 exec, exec, s[10:11]
	s_and_saveexec_b64 s[10:11], s[2:3]
	s_cbranch_execz .LBB434_96
.LBB434_220:
	s_waitcnt vmcnt(0)
	v_cmp_lt_i64_e64 s[2:3], v[13:14], v[1:2]
	v_cmp_lt_i64_e64 s[8:9], v[3:4], v[7:8]
	s_or_b64 s[2:3], s[2:3], s[8:9]
	v_cndmask_b32_e64 v17, v13, v1, s[2:3]
	v_cndmask_b32_e64 v18, v14, v2, s[2:3]
	;; [unrolled: 1-line block ×4, first 2 shown]
	v_cmp_lt_i64_e64 s[2:3], v[1:2], v[13:14]
	v_cndmask_b32_e64 v4, v4, v8, s[2:3]
	v_cndmask_b32_e64 v3, v3, v7, s[2:3]
	;; [unrolled: 1-line block ×4, first 2 shown]
	s_or_b64 exec, exec, s[10:11]
	s_and_saveexec_b64 s[8:9], s[0:1]
	s_cbranch_execz .LBB434_97
.LBB434_221:
	s_waitcnt vmcnt(0)
	v_cmp_lt_i64_e64 s[0:1], v[11:12], v[1:2]
	v_cmp_lt_i64_e64 s[2:3], v[3:4], v[15:16]
	s_or_b64 s[0:1], s[0:1], s[2:3]
	v_cndmask_b32_e64 v7, v11, v1, s[0:1]
	v_cndmask_b32_e64 v8, v12, v2, s[0:1]
	;; [unrolled: 1-line block ×4, first 2 shown]
	v_cmp_lt_i64_e64 s[0:1], v[1:2], v[11:12]
	v_cndmask_b32_e64 v4, v4, v16, s[0:1]
	v_cndmask_b32_e64 v3, v3, v15, s[0:1]
	;; [unrolled: 1-line block ×4, first 2 shown]
	s_or_b64 exec, exec, s[8:9]
	s_and_saveexec_b64 s[2:3], vcc
	s_cbranch_execnz .LBB434_98
	s_branch .LBB434_99
	.section	.rodata,"a",@progbits
	.p2align	6, 0x0
	.amdhsa_kernel _ZN7rocprim17ROCPRIM_400000_NS6detail17trampoline_kernelINS0_14default_configENS1_22reduce_config_selectorIN6thrust23THRUST_200600_302600_NS5tupleIllNS6_9null_typeES8_S8_S8_S8_S8_S8_S8_EEEEZNS1_11reduce_implILb0ES3_NS6_12zip_iteratorINS7_INS6_10device_ptrIlEENS6_11hip_rocprim19counting_iterator_tIlEES8_S8_S8_S8_S8_S8_S8_S8_EEEEPS9_S9_NSF_9__extrema9arg_max_fIllNS6_4lessIlEEEEEE10hipError_tPvRmT1_T2_T3_mT4_P12ihipStream_tbEUlT_E1_NS1_11comp_targetILNS1_3genE2ELNS1_11target_archE906ELNS1_3gpuE6ELNS1_3repE0EEENS1_30default_config_static_selectorELNS0_4arch9wavefront6targetE1EEEvST_
		.amdhsa_group_segment_fixed_size 160
		.amdhsa_private_segment_fixed_size 0
		.amdhsa_kernarg_size 64
		.amdhsa_user_sgpr_count 6
		.amdhsa_user_sgpr_private_segment_buffer 1
		.amdhsa_user_sgpr_dispatch_ptr 0
		.amdhsa_user_sgpr_queue_ptr 0
		.amdhsa_user_sgpr_kernarg_segment_ptr 1
		.amdhsa_user_sgpr_dispatch_id 0
		.amdhsa_user_sgpr_flat_scratch_init 0
		.amdhsa_user_sgpr_private_segment_size 0
		.amdhsa_uses_dynamic_stack 0
		.amdhsa_system_sgpr_private_segment_wavefront_offset 0
		.amdhsa_system_sgpr_workgroup_id_x 1
		.amdhsa_system_sgpr_workgroup_id_y 0
		.amdhsa_system_sgpr_workgroup_id_z 0
		.amdhsa_system_sgpr_workgroup_info 0
		.amdhsa_system_vgpr_workitem_id 0
		.amdhsa_next_free_vgpr 35
		.amdhsa_next_free_sgpr 35
		.amdhsa_reserve_vcc 1
		.amdhsa_reserve_flat_scratch 0
		.amdhsa_float_round_mode_32 0
		.amdhsa_float_round_mode_16_64 0
		.amdhsa_float_denorm_mode_32 3
		.amdhsa_float_denorm_mode_16_64 3
		.amdhsa_dx10_clamp 1
		.amdhsa_ieee_mode 1
		.amdhsa_fp16_overflow 0
		.amdhsa_exception_fp_ieee_invalid_op 0
		.amdhsa_exception_fp_denorm_src 0
		.amdhsa_exception_fp_ieee_div_zero 0
		.amdhsa_exception_fp_ieee_overflow 0
		.amdhsa_exception_fp_ieee_underflow 0
		.amdhsa_exception_fp_ieee_inexact 0
		.amdhsa_exception_int_div_zero 0
	.end_amdhsa_kernel
	.section	.text._ZN7rocprim17ROCPRIM_400000_NS6detail17trampoline_kernelINS0_14default_configENS1_22reduce_config_selectorIN6thrust23THRUST_200600_302600_NS5tupleIllNS6_9null_typeES8_S8_S8_S8_S8_S8_S8_EEEEZNS1_11reduce_implILb0ES3_NS6_12zip_iteratorINS7_INS6_10device_ptrIlEENS6_11hip_rocprim19counting_iterator_tIlEES8_S8_S8_S8_S8_S8_S8_S8_EEEEPS9_S9_NSF_9__extrema9arg_max_fIllNS6_4lessIlEEEEEE10hipError_tPvRmT1_T2_T3_mT4_P12ihipStream_tbEUlT_E1_NS1_11comp_targetILNS1_3genE2ELNS1_11target_archE906ELNS1_3gpuE6ELNS1_3repE0EEENS1_30default_config_static_selectorELNS0_4arch9wavefront6targetE1EEEvST_,"axG",@progbits,_ZN7rocprim17ROCPRIM_400000_NS6detail17trampoline_kernelINS0_14default_configENS1_22reduce_config_selectorIN6thrust23THRUST_200600_302600_NS5tupleIllNS6_9null_typeES8_S8_S8_S8_S8_S8_S8_EEEEZNS1_11reduce_implILb0ES3_NS6_12zip_iteratorINS7_INS6_10device_ptrIlEENS6_11hip_rocprim19counting_iterator_tIlEES8_S8_S8_S8_S8_S8_S8_S8_EEEEPS9_S9_NSF_9__extrema9arg_max_fIllNS6_4lessIlEEEEEE10hipError_tPvRmT1_T2_T3_mT4_P12ihipStream_tbEUlT_E1_NS1_11comp_targetILNS1_3genE2ELNS1_11target_archE906ELNS1_3gpuE6ELNS1_3repE0EEENS1_30default_config_static_selectorELNS0_4arch9wavefront6targetE1EEEvST_,comdat
.Lfunc_end434:
	.size	_ZN7rocprim17ROCPRIM_400000_NS6detail17trampoline_kernelINS0_14default_configENS1_22reduce_config_selectorIN6thrust23THRUST_200600_302600_NS5tupleIllNS6_9null_typeES8_S8_S8_S8_S8_S8_S8_EEEEZNS1_11reduce_implILb0ES3_NS6_12zip_iteratorINS7_INS6_10device_ptrIlEENS6_11hip_rocprim19counting_iterator_tIlEES8_S8_S8_S8_S8_S8_S8_S8_EEEEPS9_S9_NSF_9__extrema9arg_max_fIllNS6_4lessIlEEEEEE10hipError_tPvRmT1_T2_T3_mT4_P12ihipStream_tbEUlT_E1_NS1_11comp_targetILNS1_3genE2ELNS1_11target_archE906ELNS1_3gpuE6ELNS1_3repE0EEENS1_30default_config_static_selectorELNS0_4arch9wavefront6targetE1EEEvST_, .Lfunc_end434-_ZN7rocprim17ROCPRIM_400000_NS6detail17trampoline_kernelINS0_14default_configENS1_22reduce_config_selectorIN6thrust23THRUST_200600_302600_NS5tupleIllNS6_9null_typeES8_S8_S8_S8_S8_S8_S8_EEEEZNS1_11reduce_implILb0ES3_NS6_12zip_iteratorINS7_INS6_10device_ptrIlEENS6_11hip_rocprim19counting_iterator_tIlEES8_S8_S8_S8_S8_S8_S8_S8_EEEEPS9_S9_NSF_9__extrema9arg_max_fIllNS6_4lessIlEEEEEE10hipError_tPvRmT1_T2_T3_mT4_P12ihipStream_tbEUlT_E1_NS1_11comp_targetILNS1_3genE2ELNS1_11target_archE906ELNS1_3gpuE6ELNS1_3repE0EEENS1_30default_config_static_selectorELNS0_4arch9wavefront6targetE1EEEvST_
                                        ; -- End function
	.set _ZN7rocprim17ROCPRIM_400000_NS6detail17trampoline_kernelINS0_14default_configENS1_22reduce_config_selectorIN6thrust23THRUST_200600_302600_NS5tupleIllNS6_9null_typeES8_S8_S8_S8_S8_S8_S8_EEEEZNS1_11reduce_implILb0ES3_NS6_12zip_iteratorINS7_INS6_10device_ptrIlEENS6_11hip_rocprim19counting_iterator_tIlEES8_S8_S8_S8_S8_S8_S8_S8_EEEEPS9_S9_NSF_9__extrema9arg_max_fIllNS6_4lessIlEEEEEE10hipError_tPvRmT1_T2_T3_mT4_P12ihipStream_tbEUlT_E1_NS1_11comp_targetILNS1_3genE2ELNS1_11target_archE906ELNS1_3gpuE6ELNS1_3repE0EEENS1_30default_config_static_selectorELNS0_4arch9wavefront6targetE1EEEvST_.num_vgpr, 35
	.set _ZN7rocprim17ROCPRIM_400000_NS6detail17trampoline_kernelINS0_14default_configENS1_22reduce_config_selectorIN6thrust23THRUST_200600_302600_NS5tupleIllNS6_9null_typeES8_S8_S8_S8_S8_S8_S8_EEEEZNS1_11reduce_implILb0ES3_NS6_12zip_iteratorINS7_INS6_10device_ptrIlEENS6_11hip_rocprim19counting_iterator_tIlEES8_S8_S8_S8_S8_S8_S8_S8_EEEEPS9_S9_NSF_9__extrema9arg_max_fIllNS6_4lessIlEEEEEE10hipError_tPvRmT1_T2_T3_mT4_P12ihipStream_tbEUlT_E1_NS1_11comp_targetILNS1_3genE2ELNS1_11target_archE906ELNS1_3gpuE6ELNS1_3repE0EEENS1_30default_config_static_selectorELNS0_4arch9wavefront6targetE1EEEvST_.num_agpr, 0
	.set _ZN7rocprim17ROCPRIM_400000_NS6detail17trampoline_kernelINS0_14default_configENS1_22reduce_config_selectorIN6thrust23THRUST_200600_302600_NS5tupleIllNS6_9null_typeES8_S8_S8_S8_S8_S8_S8_EEEEZNS1_11reduce_implILb0ES3_NS6_12zip_iteratorINS7_INS6_10device_ptrIlEENS6_11hip_rocprim19counting_iterator_tIlEES8_S8_S8_S8_S8_S8_S8_S8_EEEEPS9_S9_NSF_9__extrema9arg_max_fIllNS6_4lessIlEEEEEE10hipError_tPvRmT1_T2_T3_mT4_P12ihipStream_tbEUlT_E1_NS1_11comp_targetILNS1_3genE2ELNS1_11target_archE906ELNS1_3gpuE6ELNS1_3repE0EEENS1_30default_config_static_selectorELNS0_4arch9wavefront6targetE1EEEvST_.numbered_sgpr, 35
	.set _ZN7rocprim17ROCPRIM_400000_NS6detail17trampoline_kernelINS0_14default_configENS1_22reduce_config_selectorIN6thrust23THRUST_200600_302600_NS5tupleIllNS6_9null_typeES8_S8_S8_S8_S8_S8_S8_EEEEZNS1_11reduce_implILb0ES3_NS6_12zip_iteratorINS7_INS6_10device_ptrIlEENS6_11hip_rocprim19counting_iterator_tIlEES8_S8_S8_S8_S8_S8_S8_S8_EEEEPS9_S9_NSF_9__extrema9arg_max_fIllNS6_4lessIlEEEEEE10hipError_tPvRmT1_T2_T3_mT4_P12ihipStream_tbEUlT_E1_NS1_11comp_targetILNS1_3genE2ELNS1_11target_archE906ELNS1_3gpuE6ELNS1_3repE0EEENS1_30default_config_static_selectorELNS0_4arch9wavefront6targetE1EEEvST_.num_named_barrier, 0
	.set _ZN7rocprim17ROCPRIM_400000_NS6detail17trampoline_kernelINS0_14default_configENS1_22reduce_config_selectorIN6thrust23THRUST_200600_302600_NS5tupleIllNS6_9null_typeES8_S8_S8_S8_S8_S8_S8_EEEEZNS1_11reduce_implILb0ES3_NS6_12zip_iteratorINS7_INS6_10device_ptrIlEENS6_11hip_rocprim19counting_iterator_tIlEES8_S8_S8_S8_S8_S8_S8_S8_EEEEPS9_S9_NSF_9__extrema9arg_max_fIllNS6_4lessIlEEEEEE10hipError_tPvRmT1_T2_T3_mT4_P12ihipStream_tbEUlT_E1_NS1_11comp_targetILNS1_3genE2ELNS1_11target_archE906ELNS1_3gpuE6ELNS1_3repE0EEENS1_30default_config_static_selectorELNS0_4arch9wavefront6targetE1EEEvST_.private_seg_size, 0
	.set _ZN7rocprim17ROCPRIM_400000_NS6detail17trampoline_kernelINS0_14default_configENS1_22reduce_config_selectorIN6thrust23THRUST_200600_302600_NS5tupleIllNS6_9null_typeES8_S8_S8_S8_S8_S8_S8_EEEEZNS1_11reduce_implILb0ES3_NS6_12zip_iteratorINS7_INS6_10device_ptrIlEENS6_11hip_rocprim19counting_iterator_tIlEES8_S8_S8_S8_S8_S8_S8_S8_EEEEPS9_S9_NSF_9__extrema9arg_max_fIllNS6_4lessIlEEEEEE10hipError_tPvRmT1_T2_T3_mT4_P12ihipStream_tbEUlT_E1_NS1_11comp_targetILNS1_3genE2ELNS1_11target_archE906ELNS1_3gpuE6ELNS1_3repE0EEENS1_30default_config_static_selectorELNS0_4arch9wavefront6targetE1EEEvST_.uses_vcc, 1
	.set _ZN7rocprim17ROCPRIM_400000_NS6detail17trampoline_kernelINS0_14default_configENS1_22reduce_config_selectorIN6thrust23THRUST_200600_302600_NS5tupleIllNS6_9null_typeES8_S8_S8_S8_S8_S8_S8_EEEEZNS1_11reduce_implILb0ES3_NS6_12zip_iteratorINS7_INS6_10device_ptrIlEENS6_11hip_rocprim19counting_iterator_tIlEES8_S8_S8_S8_S8_S8_S8_S8_EEEEPS9_S9_NSF_9__extrema9arg_max_fIllNS6_4lessIlEEEEEE10hipError_tPvRmT1_T2_T3_mT4_P12ihipStream_tbEUlT_E1_NS1_11comp_targetILNS1_3genE2ELNS1_11target_archE906ELNS1_3gpuE6ELNS1_3repE0EEENS1_30default_config_static_selectorELNS0_4arch9wavefront6targetE1EEEvST_.uses_flat_scratch, 0
	.set _ZN7rocprim17ROCPRIM_400000_NS6detail17trampoline_kernelINS0_14default_configENS1_22reduce_config_selectorIN6thrust23THRUST_200600_302600_NS5tupleIllNS6_9null_typeES8_S8_S8_S8_S8_S8_S8_EEEEZNS1_11reduce_implILb0ES3_NS6_12zip_iteratorINS7_INS6_10device_ptrIlEENS6_11hip_rocprim19counting_iterator_tIlEES8_S8_S8_S8_S8_S8_S8_S8_EEEEPS9_S9_NSF_9__extrema9arg_max_fIllNS6_4lessIlEEEEEE10hipError_tPvRmT1_T2_T3_mT4_P12ihipStream_tbEUlT_E1_NS1_11comp_targetILNS1_3genE2ELNS1_11target_archE906ELNS1_3gpuE6ELNS1_3repE0EEENS1_30default_config_static_selectorELNS0_4arch9wavefront6targetE1EEEvST_.has_dyn_sized_stack, 0
	.set _ZN7rocprim17ROCPRIM_400000_NS6detail17trampoline_kernelINS0_14default_configENS1_22reduce_config_selectorIN6thrust23THRUST_200600_302600_NS5tupleIllNS6_9null_typeES8_S8_S8_S8_S8_S8_S8_EEEEZNS1_11reduce_implILb0ES3_NS6_12zip_iteratorINS7_INS6_10device_ptrIlEENS6_11hip_rocprim19counting_iterator_tIlEES8_S8_S8_S8_S8_S8_S8_S8_EEEEPS9_S9_NSF_9__extrema9arg_max_fIllNS6_4lessIlEEEEEE10hipError_tPvRmT1_T2_T3_mT4_P12ihipStream_tbEUlT_E1_NS1_11comp_targetILNS1_3genE2ELNS1_11target_archE906ELNS1_3gpuE6ELNS1_3repE0EEENS1_30default_config_static_selectorELNS0_4arch9wavefront6targetE1EEEvST_.has_recursion, 0
	.set _ZN7rocprim17ROCPRIM_400000_NS6detail17trampoline_kernelINS0_14default_configENS1_22reduce_config_selectorIN6thrust23THRUST_200600_302600_NS5tupleIllNS6_9null_typeES8_S8_S8_S8_S8_S8_S8_EEEEZNS1_11reduce_implILb0ES3_NS6_12zip_iteratorINS7_INS6_10device_ptrIlEENS6_11hip_rocprim19counting_iterator_tIlEES8_S8_S8_S8_S8_S8_S8_S8_EEEEPS9_S9_NSF_9__extrema9arg_max_fIllNS6_4lessIlEEEEEE10hipError_tPvRmT1_T2_T3_mT4_P12ihipStream_tbEUlT_E1_NS1_11comp_targetILNS1_3genE2ELNS1_11target_archE906ELNS1_3gpuE6ELNS1_3repE0EEENS1_30default_config_static_selectorELNS0_4arch9wavefront6targetE1EEEvST_.has_indirect_call, 0
	.section	.AMDGPU.csdata,"",@progbits
; Kernel info:
; codeLenInByte = 11200
; TotalNumSgprs: 39
; NumVgprs: 35
; ScratchSize: 0
; MemoryBound: 0
; FloatMode: 240
; IeeeMode: 1
; LDSByteSize: 160 bytes/workgroup (compile time only)
; SGPRBlocks: 4
; VGPRBlocks: 8
; NumSGPRsForWavesPerEU: 39
; NumVGPRsForWavesPerEU: 35
; Occupancy: 7
; WaveLimiterHint : 1
; COMPUTE_PGM_RSRC2:SCRATCH_EN: 0
; COMPUTE_PGM_RSRC2:USER_SGPR: 6
; COMPUTE_PGM_RSRC2:TRAP_HANDLER: 0
; COMPUTE_PGM_RSRC2:TGID_X_EN: 1
; COMPUTE_PGM_RSRC2:TGID_Y_EN: 0
; COMPUTE_PGM_RSRC2:TGID_Z_EN: 0
; COMPUTE_PGM_RSRC2:TIDIG_COMP_CNT: 0
	.section	.text._ZN7rocprim17ROCPRIM_400000_NS6detail17trampoline_kernelINS0_14default_configENS1_22reduce_config_selectorIN6thrust23THRUST_200600_302600_NS5tupleIllNS6_9null_typeES8_S8_S8_S8_S8_S8_S8_EEEEZNS1_11reduce_implILb0ES3_NS6_12zip_iteratorINS7_INS6_10device_ptrIlEENS6_11hip_rocprim19counting_iterator_tIlEES8_S8_S8_S8_S8_S8_S8_S8_EEEEPS9_S9_NSF_9__extrema9arg_max_fIllNS6_4lessIlEEEEEE10hipError_tPvRmT1_T2_T3_mT4_P12ihipStream_tbEUlT_E1_NS1_11comp_targetILNS1_3genE10ELNS1_11target_archE1201ELNS1_3gpuE5ELNS1_3repE0EEENS1_30default_config_static_selectorELNS0_4arch9wavefront6targetE1EEEvST_,"axG",@progbits,_ZN7rocprim17ROCPRIM_400000_NS6detail17trampoline_kernelINS0_14default_configENS1_22reduce_config_selectorIN6thrust23THRUST_200600_302600_NS5tupleIllNS6_9null_typeES8_S8_S8_S8_S8_S8_S8_EEEEZNS1_11reduce_implILb0ES3_NS6_12zip_iteratorINS7_INS6_10device_ptrIlEENS6_11hip_rocprim19counting_iterator_tIlEES8_S8_S8_S8_S8_S8_S8_S8_EEEEPS9_S9_NSF_9__extrema9arg_max_fIllNS6_4lessIlEEEEEE10hipError_tPvRmT1_T2_T3_mT4_P12ihipStream_tbEUlT_E1_NS1_11comp_targetILNS1_3genE10ELNS1_11target_archE1201ELNS1_3gpuE5ELNS1_3repE0EEENS1_30default_config_static_selectorELNS0_4arch9wavefront6targetE1EEEvST_,comdat
	.protected	_ZN7rocprim17ROCPRIM_400000_NS6detail17trampoline_kernelINS0_14default_configENS1_22reduce_config_selectorIN6thrust23THRUST_200600_302600_NS5tupleIllNS6_9null_typeES8_S8_S8_S8_S8_S8_S8_EEEEZNS1_11reduce_implILb0ES3_NS6_12zip_iteratorINS7_INS6_10device_ptrIlEENS6_11hip_rocprim19counting_iterator_tIlEES8_S8_S8_S8_S8_S8_S8_S8_EEEEPS9_S9_NSF_9__extrema9arg_max_fIllNS6_4lessIlEEEEEE10hipError_tPvRmT1_T2_T3_mT4_P12ihipStream_tbEUlT_E1_NS1_11comp_targetILNS1_3genE10ELNS1_11target_archE1201ELNS1_3gpuE5ELNS1_3repE0EEENS1_30default_config_static_selectorELNS0_4arch9wavefront6targetE1EEEvST_ ; -- Begin function _ZN7rocprim17ROCPRIM_400000_NS6detail17trampoline_kernelINS0_14default_configENS1_22reduce_config_selectorIN6thrust23THRUST_200600_302600_NS5tupleIllNS6_9null_typeES8_S8_S8_S8_S8_S8_S8_EEEEZNS1_11reduce_implILb0ES3_NS6_12zip_iteratorINS7_INS6_10device_ptrIlEENS6_11hip_rocprim19counting_iterator_tIlEES8_S8_S8_S8_S8_S8_S8_S8_EEEEPS9_S9_NSF_9__extrema9arg_max_fIllNS6_4lessIlEEEEEE10hipError_tPvRmT1_T2_T3_mT4_P12ihipStream_tbEUlT_E1_NS1_11comp_targetILNS1_3genE10ELNS1_11target_archE1201ELNS1_3gpuE5ELNS1_3repE0EEENS1_30default_config_static_selectorELNS0_4arch9wavefront6targetE1EEEvST_
	.globl	_ZN7rocprim17ROCPRIM_400000_NS6detail17trampoline_kernelINS0_14default_configENS1_22reduce_config_selectorIN6thrust23THRUST_200600_302600_NS5tupleIllNS6_9null_typeES8_S8_S8_S8_S8_S8_S8_EEEEZNS1_11reduce_implILb0ES3_NS6_12zip_iteratorINS7_INS6_10device_ptrIlEENS6_11hip_rocprim19counting_iterator_tIlEES8_S8_S8_S8_S8_S8_S8_S8_EEEEPS9_S9_NSF_9__extrema9arg_max_fIllNS6_4lessIlEEEEEE10hipError_tPvRmT1_T2_T3_mT4_P12ihipStream_tbEUlT_E1_NS1_11comp_targetILNS1_3genE10ELNS1_11target_archE1201ELNS1_3gpuE5ELNS1_3repE0EEENS1_30default_config_static_selectorELNS0_4arch9wavefront6targetE1EEEvST_
	.p2align	8
	.type	_ZN7rocprim17ROCPRIM_400000_NS6detail17trampoline_kernelINS0_14default_configENS1_22reduce_config_selectorIN6thrust23THRUST_200600_302600_NS5tupleIllNS6_9null_typeES8_S8_S8_S8_S8_S8_S8_EEEEZNS1_11reduce_implILb0ES3_NS6_12zip_iteratorINS7_INS6_10device_ptrIlEENS6_11hip_rocprim19counting_iterator_tIlEES8_S8_S8_S8_S8_S8_S8_S8_EEEEPS9_S9_NSF_9__extrema9arg_max_fIllNS6_4lessIlEEEEEE10hipError_tPvRmT1_T2_T3_mT4_P12ihipStream_tbEUlT_E1_NS1_11comp_targetILNS1_3genE10ELNS1_11target_archE1201ELNS1_3gpuE5ELNS1_3repE0EEENS1_30default_config_static_selectorELNS0_4arch9wavefront6targetE1EEEvST_,@function
_ZN7rocprim17ROCPRIM_400000_NS6detail17trampoline_kernelINS0_14default_configENS1_22reduce_config_selectorIN6thrust23THRUST_200600_302600_NS5tupleIllNS6_9null_typeES8_S8_S8_S8_S8_S8_S8_EEEEZNS1_11reduce_implILb0ES3_NS6_12zip_iteratorINS7_INS6_10device_ptrIlEENS6_11hip_rocprim19counting_iterator_tIlEES8_S8_S8_S8_S8_S8_S8_S8_EEEEPS9_S9_NSF_9__extrema9arg_max_fIllNS6_4lessIlEEEEEE10hipError_tPvRmT1_T2_T3_mT4_P12ihipStream_tbEUlT_E1_NS1_11comp_targetILNS1_3genE10ELNS1_11target_archE1201ELNS1_3gpuE5ELNS1_3repE0EEENS1_30default_config_static_selectorELNS0_4arch9wavefront6targetE1EEEvST_: ; @_ZN7rocprim17ROCPRIM_400000_NS6detail17trampoline_kernelINS0_14default_configENS1_22reduce_config_selectorIN6thrust23THRUST_200600_302600_NS5tupleIllNS6_9null_typeES8_S8_S8_S8_S8_S8_S8_EEEEZNS1_11reduce_implILb0ES3_NS6_12zip_iteratorINS7_INS6_10device_ptrIlEENS6_11hip_rocprim19counting_iterator_tIlEES8_S8_S8_S8_S8_S8_S8_S8_EEEEPS9_S9_NSF_9__extrema9arg_max_fIllNS6_4lessIlEEEEEE10hipError_tPvRmT1_T2_T3_mT4_P12ihipStream_tbEUlT_E1_NS1_11comp_targetILNS1_3genE10ELNS1_11target_archE1201ELNS1_3gpuE5ELNS1_3repE0EEENS1_30default_config_static_selectorELNS0_4arch9wavefront6targetE1EEEvST_
; %bb.0:
	.section	.rodata,"a",@progbits
	.p2align	6, 0x0
	.amdhsa_kernel _ZN7rocprim17ROCPRIM_400000_NS6detail17trampoline_kernelINS0_14default_configENS1_22reduce_config_selectorIN6thrust23THRUST_200600_302600_NS5tupleIllNS6_9null_typeES8_S8_S8_S8_S8_S8_S8_EEEEZNS1_11reduce_implILb0ES3_NS6_12zip_iteratorINS7_INS6_10device_ptrIlEENS6_11hip_rocprim19counting_iterator_tIlEES8_S8_S8_S8_S8_S8_S8_S8_EEEEPS9_S9_NSF_9__extrema9arg_max_fIllNS6_4lessIlEEEEEE10hipError_tPvRmT1_T2_T3_mT4_P12ihipStream_tbEUlT_E1_NS1_11comp_targetILNS1_3genE10ELNS1_11target_archE1201ELNS1_3gpuE5ELNS1_3repE0EEENS1_30default_config_static_selectorELNS0_4arch9wavefront6targetE1EEEvST_
		.amdhsa_group_segment_fixed_size 0
		.amdhsa_private_segment_fixed_size 0
		.amdhsa_kernarg_size 64
		.amdhsa_user_sgpr_count 6
		.amdhsa_user_sgpr_private_segment_buffer 1
		.amdhsa_user_sgpr_dispatch_ptr 0
		.amdhsa_user_sgpr_queue_ptr 0
		.amdhsa_user_sgpr_kernarg_segment_ptr 1
		.amdhsa_user_sgpr_dispatch_id 0
		.amdhsa_user_sgpr_flat_scratch_init 0
		.amdhsa_user_sgpr_private_segment_size 0
		.amdhsa_uses_dynamic_stack 0
		.amdhsa_system_sgpr_private_segment_wavefront_offset 0
		.amdhsa_system_sgpr_workgroup_id_x 1
		.amdhsa_system_sgpr_workgroup_id_y 0
		.amdhsa_system_sgpr_workgroup_id_z 0
		.amdhsa_system_sgpr_workgroup_info 0
		.amdhsa_system_vgpr_workitem_id 0
		.amdhsa_next_free_vgpr 1
		.amdhsa_next_free_sgpr 0
		.amdhsa_reserve_vcc 0
		.amdhsa_reserve_flat_scratch 0
		.amdhsa_float_round_mode_32 0
		.amdhsa_float_round_mode_16_64 0
		.amdhsa_float_denorm_mode_32 3
		.amdhsa_float_denorm_mode_16_64 3
		.amdhsa_dx10_clamp 1
		.amdhsa_ieee_mode 1
		.amdhsa_fp16_overflow 0
		.amdhsa_exception_fp_ieee_invalid_op 0
		.amdhsa_exception_fp_denorm_src 0
		.amdhsa_exception_fp_ieee_div_zero 0
		.amdhsa_exception_fp_ieee_overflow 0
		.amdhsa_exception_fp_ieee_underflow 0
		.amdhsa_exception_fp_ieee_inexact 0
		.amdhsa_exception_int_div_zero 0
	.end_amdhsa_kernel
	.section	.text._ZN7rocprim17ROCPRIM_400000_NS6detail17trampoline_kernelINS0_14default_configENS1_22reduce_config_selectorIN6thrust23THRUST_200600_302600_NS5tupleIllNS6_9null_typeES8_S8_S8_S8_S8_S8_S8_EEEEZNS1_11reduce_implILb0ES3_NS6_12zip_iteratorINS7_INS6_10device_ptrIlEENS6_11hip_rocprim19counting_iterator_tIlEES8_S8_S8_S8_S8_S8_S8_S8_EEEEPS9_S9_NSF_9__extrema9arg_max_fIllNS6_4lessIlEEEEEE10hipError_tPvRmT1_T2_T3_mT4_P12ihipStream_tbEUlT_E1_NS1_11comp_targetILNS1_3genE10ELNS1_11target_archE1201ELNS1_3gpuE5ELNS1_3repE0EEENS1_30default_config_static_selectorELNS0_4arch9wavefront6targetE1EEEvST_,"axG",@progbits,_ZN7rocprim17ROCPRIM_400000_NS6detail17trampoline_kernelINS0_14default_configENS1_22reduce_config_selectorIN6thrust23THRUST_200600_302600_NS5tupleIllNS6_9null_typeES8_S8_S8_S8_S8_S8_S8_EEEEZNS1_11reduce_implILb0ES3_NS6_12zip_iteratorINS7_INS6_10device_ptrIlEENS6_11hip_rocprim19counting_iterator_tIlEES8_S8_S8_S8_S8_S8_S8_S8_EEEEPS9_S9_NSF_9__extrema9arg_max_fIllNS6_4lessIlEEEEEE10hipError_tPvRmT1_T2_T3_mT4_P12ihipStream_tbEUlT_E1_NS1_11comp_targetILNS1_3genE10ELNS1_11target_archE1201ELNS1_3gpuE5ELNS1_3repE0EEENS1_30default_config_static_selectorELNS0_4arch9wavefront6targetE1EEEvST_,comdat
.Lfunc_end435:
	.size	_ZN7rocprim17ROCPRIM_400000_NS6detail17trampoline_kernelINS0_14default_configENS1_22reduce_config_selectorIN6thrust23THRUST_200600_302600_NS5tupleIllNS6_9null_typeES8_S8_S8_S8_S8_S8_S8_EEEEZNS1_11reduce_implILb0ES3_NS6_12zip_iteratorINS7_INS6_10device_ptrIlEENS6_11hip_rocprim19counting_iterator_tIlEES8_S8_S8_S8_S8_S8_S8_S8_EEEEPS9_S9_NSF_9__extrema9arg_max_fIllNS6_4lessIlEEEEEE10hipError_tPvRmT1_T2_T3_mT4_P12ihipStream_tbEUlT_E1_NS1_11comp_targetILNS1_3genE10ELNS1_11target_archE1201ELNS1_3gpuE5ELNS1_3repE0EEENS1_30default_config_static_selectorELNS0_4arch9wavefront6targetE1EEEvST_, .Lfunc_end435-_ZN7rocprim17ROCPRIM_400000_NS6detail17trampoline_kernelINS0_14default_configENS1_22reduce_config_selectorIN6thrust23THRUST_200600_302600_NS5tupleIllNS6_9null_typeES8_S8_S8_S8_S8_S8_S8_EEEEZNS1_11reduce_implILb0ES3_NS6_12zip_iteratorINS7_INS6_10device_ptrIlEENS6_11hip_rocprim19counting_iterator_tIlEES8_S8_S8_S8_S8_S8_S8_S8_EEEEPS9_S9_NSF_9__extrema9arg_max_fIllNS6_4lessIlEEEEEE10hipError_tPvRmT1_T2_T3_mT4_P12ihipStream_tbEUlT_E1_NS1_11comp_targetILNS1_3genE10ELNS1_11target_archE1201ELNS1_3gpuE5ELNS1_3repE0EEENS1_30default_config_static_selectorELNS0_4arch9wavefront6targetE1EEEvST_
                                        ; -- End function
	.set _ZN7rocprim17ROCPRIM_400000_NS6detail17trampoline_kernelINS0_14default_configENS1_22reduce_config_selectorIN6thrust23THRUST_200600_302600_NS5tupleIllNS6_9null_typeES8_S8_S8_S8_S8_S8_S8_EEEEZNS1_11reduce_implILb0ES3_NS6_12zip_iteratorINS7_INS6_10device_ptrIlEENS6_11hip_rocprim19counting_iterator_tIlEES8_S8_S8_S8_S8_S8_S8_S8_EEEEPS9_S9_NSF_9__extrema9arg_max_fIllNS6_4lessIlEEEEEE10hipError_tPvRmT1_T2_T3_mT4_P12ihipStream_tbEUlT_E1_NS1_11comp_targetILNS1_3genE10ELNS1_11target_archE1201ELNS1_3gpuE5ELNS1_3repE0EEENS1_30default_config_static_selectorELNS0_4arch9wavefront6targetE1EEEvST_.num_vgpr, 0
	.set _ZN7rocprim17ROCPRIM_400000_NS6detail17trampoline_kernelINS0_14default_configENS1_22reduce_config_selectorIN6thrust23THRUST_200600_302600_NS5tupleIllNS6_9null_typeES8_S8_S8_S8_S8_S8_S8_EEEEZNS1_11reduce_implILb0ES3_NS6_12zip_iteratorINS7_INS6_10device_ptrIlEENS6_11hip_rocprim19counting_iterator_tIlEES8_S8_S8_S8_S8_S8_S8_S8_EEEEPS9_S9_NSF_9__extrema9arg_max_fIllNS6_4lessIlEEEEEE10hipError_tPvRmT1_T2_T3_mT4_P12ihipStream_tbEUlT_E1_NS1_11comp_targetILNS1_3genE10ELNS1_11target_archE1201ELNS1_3gpuE5ELNS1_3repE0EEENS1_30default_config_static_selectorELNS0_4arch9wavefront6targetE1EEEvST_.num_agpr, 0
	.set _ZN7rocprim17ROCPRIM_400000_NS6detail17trampoline_kernelINS0_14default_configENS1_22reduce_config_selectorIN6thrust23THRUST_200600_302600_NS5tupleIllNS6_9null_typeES8_S8_S8_S8_S8_S8_S8_EEEEZNS1_11reduce_implILb0ES3_NS6_12zip_iteratorINS7_INS6_10device_ptrIlEENS6_11hip_rocprim19counting_iterator_tIlEES8_S8_S8_S8_S8_S8_S8_S8_EEEEPS9_S9_NSF_9__extrema9arg_max_fIllNS6_4lessIlEEEEEE10hipError_tPvRmT1_T2_T3_mT4_P12ihipStream_tbEUlT_E1_NS1_11comp_targetILNS1_3genE10ELNS1_11target_archE1201ELNS1_3gpuE5ELNS1_3repE0EEENS1_30default_config_static_selectorELNS0_4arch9wavefront6targetE1EEEvST_.numbered_sgpr, 0
	.set _ZN7rocprim17ROCPRIM_400000_NS6detail17trampoline_kernelINS0_14default_configENS1_22reduce_config_selectorIN6thrust23THRUST_200600_302600_NS5tupleIllNS6_9null_typeES8_S8_S8_S8_S8_S8_S8_EEEEZNS1_11reduce_implILb0ES3_NS6_12zip_iteratorINS7_INS6_10device_ptrIlEENS6_11hip_rocprim19counting_iterator_tIlEES8_S8_S8_S8_S8_S8_S8_S8_EEEEPS9_S9_NSF_9__extrema9arg_max_fIllNS6_4lessIlEEEEEE10hipError_tPvRmT1_T2_T3_mT4_P12ihipStream_tbEUlT_E1_NS1_11comp_targetILNS1_3genE10ELNS1_11target_archE1201ELNS1_3gpuE5ELNS1_3repE0EEENS1_30default_config_static_selectorELNS0_4arch9wavefront6targetE1EEEvST_.num_named_barrier, 0
	.set _ZN7rocprim17ROCPRIM_400000_NS6detail17trampoline_kernelINS0_14default_configENS1_22reduce_config_selectorIN6thrust23THRUST_200600_302600_NS5tupleIllNS6_9null_typeES8_S8_S8_S8_S8_S8_S8_EEEEZNS1_11reduce_implILb0ES3_NS6_12zip_iteratorINS7_INS6_10device_ptrIlEENS6_11hip_rocprim19counting_iterator_tIlEES8_S8_S8_S8_S8_S8_S8_S8_EEEEPS9_S9_NSF_9__extrema9arg_max_fIllNS6_4lessIlEEEEEE10hipError_tPvRmT1_T2_T3_mT4_P12ihipStream_tbEUlT_E1_NS1_11comp_targetILNS1_3genE10ELNS1_11target_archE1201ELNS1_3gpuE5ELNS1_3repE0EEENS1_30default_config_static_selectorELNS0_4arch9wavefront6targetE1EEEvST_.private_seg_size, 0
	.set _ZN7rocprim17ROCPRIM_400000_NS6detail17trampoline_kernelINS0_14default_configENS1_22reduce_config_selectorIN6thrust23THRUST_200600_302600_NS5tupleIllNS6_9null_typeES8_S8_S8_S8_S8_S8_S8_EEEEZNS1_11reduce_implILb0ES3_NS6_12zip_iteratorINS7_INS6_10device_ptrIlEENS6_11hip_rocprim19counting_iterator_tIlEES8_S8_S8_S8_S8_S8_S8_S8_EEEEPS9_S9_NSF_9__extrema9arg_max_fIllNS6_4lessIlEEEEEE10hipError_tPvRmT1_T2_T3_mT4_P12ihipStream_tbEUlT_E1_NS1_11comp_targetILNS1_3genE10ELNS1_11target_archE1201ELNS1_3gpuE5ELNS1_3repE0EEENS1_30default_config_static_selectorELNS0_4arch9wavefront6targetE1EEEvST_.uses_vcc, 0
	.set _ZN7rocprim17ROCPRIM_400000_NS6detail17trampoline_kernelINS0_14default_configENS1_22reduce_config_selectorIN6thrust23THRUST_200600_302600_NS5tupleIllNS6_9null_typeES8_S8_S8_S8_S8_S8_S8_EEEEZNS1_11reduce_implILb0ES3_NS6_12zip_iteratorINS7_INS6_10device_ptrIlEENS6_11hip_rocprim19counting_iterator_tIlEES8_S8_S8_S8_S8_S8_S8_S8_EEEEPS9_S9_NSF_9__extrema9arg_max_fIllNS6_4lessIlEEEEEE10hipError_tPvRmT1_T2_T3_mT4_P12ihipStream_tbEUlT_E1_NS1_11comp_targetILNS1_3genE10ELNS1_11target_archE1201ELNS1_3gpuE5ELNS1_3repE0EEENS1_30default_config_static_selectorELNS0_4arch9wavefront6targetE1EEEvST_.uses_flat_scratch, 0
	.set _ZN7rocprim17ROCPRIM_400000_NS6detail17trampoline_kernelINS0_14default_configENS1_22reduce_config_selectorIN6thrust23THRUST_200600_302600_NS5tupleIllNS6_9null_typeES8_S8_S8_S8_S8_S8_S8_EEEEZNS1_11reduce_implILb0ES3_NS6_12zip_iteratorINS7_INS6_10device_ptrIlEENS6_11hip_rocprim19counting_iterator_tIlEES8_S8_S8_S8_S8_S8_S8_S8_EEEEPS9_S9_NSF_9__extrema9arg_max_fIllNS6_4lessIlEEEEEE10hipError_tPvRmT1_T2_T3_mT4_P12ihipStream_tbEUlT_E1_NS1_11comp_targetILNS1_3genE10ELNS1_11target_archE1201ELNS1_3gpuE5ELNS1_3repE0EEENS1_30default_config_static_selectorELNS0_4arch9wavefront6targetE1EEEvST_.has_dyn_sized_stack, 0
	.set _ZN7rocprim17ROCPRIM_400000_NS6detail17trampoline_kernelINS0_14default_configENS1_22reduce_config_selectorIN6thrust23THRUST_200600_302600_NS5tupleIllNS6_9null_typeES8_S8_S8_S8_S8_S8_S8_EEEEZNS1_11reduce_implILb0ES3_NS6_12zip_iteratorINS7_INS6_10device_ptrIlEENS6_11hip_rocprim19counting_iterator_tIlEES8_S8_S8_S8_S8_S8_S8_S8_EEEEPS9_S9_NSF_9__extrema9arg_max_fIllNS6_4lessIlEEEEEE10hipError_tPvRmT1_T2_T3_mT4_P12ihipStream_tbEUlT_E1_NS1_11comp_targetILNS1_3genE10ELNS1_11target_archE1201ELNS1_3gpuE5ELNS1_3repE0EEENS1_30default_config_static_selectorELNS0_4arch9wavefront6targetE1EEEvST_.has_recursion, 0
	.set _ZN7rocprim17ROCPRIM_400000_NS6detail17trampoline_kernelINS0_14default_configENS1_22reduce_config_selectorIN6thrust23THRUST_200600_302600_NS5tupleIllNS6_9null_typeES8_S8_S8_S8_S8_S8_S8_EEEEZNS1_11reduce_implILb0ES3_NS6_12zip_iteratorINS7_INS6_10device_ptrIlEENS6_11hip_rocprim19counting_iterator_tIlEES8_S8_S8_S8_S8_S8_S8_S8_EEEEPS9_S9_NSF_9__extrema9arg_max_fIllNS6_4lessIlEEEEEE10hipError_tPvRmT1_T2_T3_mT4_P12ihipStream_tbEUlT_E1_NS1_11comp_targetILNS1_3genE10ELNS1_11target_archE1201ELNS1_3gpuE5ELNS1_3repE0EEENS1_30default_config_static_selectorELNS0_4arch9wavefront6targetE1EEEvST_.has_indirect_call, 0
	.section	.AMDGPU.csdata,"",@progbits
; Kernel info:
; codeLenInByte = 0
; TotalNumSgprs: 4
; NumVgprs: 0
; ScratchSize: 0
; MemoryBound: 0
; FloatMode: 240
; IeeeMode: 1
; LDSByteSize: 0 bytes/workgroup (compile time only)
; SGPRBlocks: 0
; VGPRBlocks: 0
; NumSGPRsForWavesPerEU: 4
; NumVGPRsForWavesPerEU: 1
; Occupancy: 10
; WaveLimiterHint : 0
; COMPUTE_PGM_RSRC2:SCRATCH_EN: 0
; COMPUTE_PGM_RSRC2:USER_SGPR: 6
; COMPUTE_PGM_RSRC2:TRAP_HANDLER: 0
; COMPUTE_PGM_RSRC2:TGID_X_EN: 1
; COMPUTE_PGM_RSRC2:TGID_Y_EN: 0
; COMPUTE_PGM_RSRC2:TGID_Z_EN: 0
; COMPUTE_PGM_RSRC2:TIDIG_COMP_CNT: 0
	.section	.text._ZN7rocprim17ROCPRIM_400000_NS6detail17trampoline_kernelINS0_14default_configENS1_22reduce_config_selectorIN6thrust23THRUST_200600_302600_NS5tupleIllNS6_9null_typeES8_S8_S8_S8_S8_S8_S8_EEEEZNS1_11reduce_implILb0ES3_NS6_12zip_iteratorINS7_INS6_10device_ptrIlEENS6_11hip_rocprim19counting_iterator_tIlEES8_S8_S8_S8_S8_S8_S8_S8_EEEEPS9_S9_NSF_9__extrema9arg_max_fIllNS6_4lessIlEEEEEE10hipError_tPvRmT1_T2_T3_mT4_P12ihipStream_tbEUlT_E1_NS1_11comp_targetILNS1_3genE10ELNS1_11target_archE1200ELNS1_3gpuE4ELNS1_3repE0EEENS1_30default_config_static_selectorELNS0_4arch9wavefront6targetE1EEEvST_,"axG",@progbits,_ZN7rocprim17ROCPRIM_400000_NS6detail17trampoline_kernelINS0_14default_configENS1_22reduce_config_selectorIN6thrust23THRUST_200600_302600_NS5tupleIllNS6_9null_typeES8_S8_S8_S8_S8_S8_S8_EEEEZNS1_11reduce_implILb0ES3_NS6_12zip_iteratorINS7_INS6_10device_ptrIlEENS6_11hip_rocprim19counting_iterator_tIlEES8_S8_S8_S8_S8_S8_S8_S8_EEEEPS9_S9_NSF_9__extrema9arg_max_fIllNS6_4lessIlEEEEEE10hipError_tPvRmT1_T2_T3_mT4_P12ihipStream_tbEUlT_E1_NS1_11comp_targetILNS1_3genE10ELNS1_11target_archE1200ELNS1_3gpuE4ELNS1_3repE0EEENS1_30default_config_static_selectorELNS0_4arch9wavefront6targetE1EEEvST_,comdat
	.protected	_ZN7rocprim17ROCPRIM_400000_NS6detail17trampoline_kernelINS0_14default_configENS1_22reduce_config_selectorIN6thrust23THRUST_200600_302600_NS5tupleIllNS6_9null_typeES8_S8_S8_S8_S8_S8_S8_EEEEZNS1_11reduce_implILb0ES3_NS6_12zip_iteratorINS7_INS6_10device_ptrIlEENS6_11hip_rocprim19counting_iterator_tIlEES8_S8_S8_S8_S8_S8_S8_S8_EEEEPS9_S9_NSF_9__extrema9arg_max_fIllNS6_4lessIlEEEEEE10hipError_tPvRmT1_T2_T3_mT4_P12ihipStream_tbEUlT_E1_NS1_11comp_targetILNS1_3genE10ELNS1_11target_archE1200ELNS1_3gpuE4ELNS1_3repE0EEENS1_30default_config_static_selectorELNS0_4arch9wavefront6targetE1EEEvST_ ; -- Begin function _ZN7rocprim17ROCPRIM_400000_NS6detail17trampoline_kernelINS0_14default_configENS1_22reduce_config_selectorIN6thrust23THRUST_200600_302600_NS5tupleIllNS6_9null_typeES8_S8_S8_S8_S8_S8_S8_EEEEZNS1_11reduce_implILb0ES3_NS6_12zip_iteratorINS7_INS6_10device_ptrIlEENS6_11hip_rocprim19counting_iterator_tIlEES8_S8_S8_S8_S8_S8_S8_S8_EEEEPS9_S9_NSF_9__extrema9arg_max_fIllNS6_4lessIlEEEEEE10hipError_tPvRmT1_T2_T3_mT4_P12ihipStream_tbEUlT_E1_NS1_11comp_targetILNS1_3genE10ELNS1_11target_archE1200ELNS1_3gpuE4ELNS1_3repE0EEENS1_30default_config_static_selectorELNS0_4arch9wavefront6targetE1EEEvST_
	.globl	_ZN7rocprim17ROCPRIM_400000_NS6detail17trampoline_kernelINS0_14default_configENS1_22reduce_config_selectorIN6thrust23THRUST_200600_302600_NS5tupleIllNS6_9null_typeES8_S8_S8_S8_S8_S8_S8_EEEEZNS1_11reduce_implILb0ES3_NS6_12zip_iteratorINS7_INS6_10device_ptrIlEENS6_11hip_rocprim19counting_iterator_tIlEES8_S8_S8_S8_S8_S8_S8_S8_EEEEPS9_S9_NSF_9__extrema9arg_max_fIllNS6_4lessIlEEEEEE10hipError_tPvRmT1_T2_T3_mT4_P12ihipStream_tbEUlT_E1_NS1_11comp_targetILNS1_3genE10ELNS1_11target_archE1200ELNS1_3gpuE4ELNS1_3repE0EEENS1_30default_config_static_selectorELNS0_4arch9wavefront6targetE1EEEvST_
	.p2align	8
	.type	_ZN7rocprim17ROCPRIM_400000_NS6detail17trampoline_kernelINS0_14default_configENS1_22reduce_config_selectorIN6thrust23THRUST_200600_302600_NS5tupleIllNS6_9null_typeES8_S8_S8_S8_S8_S8_S8_EEEEZNS1_11reduce_implILb0ES3_NS6_12zip_iteratorINS7_INS6_10device_ptrIlEENS6_11hip_rocprim19counting_iterator_tIlEES8_S8_S8_S8_S8_S8_S8_S8_EEEEPS9_S9_NSF_9__extrema9arg_max_fIllNS6_4lessIlEEEEEE10hipError_tPvRmT1_T2_T3_mT4_P12ihipStream_tbEUlT_E1_NS1_11comp_targetILNS1_3genE10ELNS1_11target_archE1200ELNS1_3gpuE4ELNS1_3repE0EEENS1_30default_config_static_selectorELNS0_4arch9wavefront6targetE1EEEvST_,@function
_ZN7rocprim17ROCPRIM_400000_NS6detail17trampoline_kernelINS0_14default_configENS1_22reduce_config_selectorIN6thrust23THRUST_200600_302600_NS5tupleIllNS6_9null_typeES8_S8_S8_S8_S8_S8_S8_EEEEZNS1_11reduce_implILb0ES3_NS6_12zip_iteratorINS7_INS6_10device_ptrIlEENS6_11hip_rocprim19counting_iterator_tIlEES8_S8_S8_S8_S8_S8_S8_S8_EEEEPS9_S9_NSF_9__extrema9arg_max_fIllNS6_4lessIlEEEEEE10hipError_tPvRmT1_T2_T3_mT4_P12ihipStream_tbEUlT_E1_NS1_11comp_targetILNS1_3genE10ELNS1_11target_archE1200ELNS1_3gpuE4ELNS1_3repE0EEENS1_30default_config_static_selectorELNS0_4arch9wavefront6targetE1EEEvST_: ; @_ZN7rocprim17ROCPRIM_400000_NS6detail17trampoline_kernelINS0_14default_configENS1_22reduce_config_selectorIN6thrust23THRUST_200600_302600_NS5tupleIllNS6_9null_typeES8_S8_S8_S8_S8_S8_S8_EEEEZNS1_11reduce_implILb0ES3_NS6_12zip_iteratorINS7_INS6_10device_ptrIlEENS6_11hip_rocprim19counting_iterator_tIlEES8_S8_S8_S8_S8_S8_S8_S8_EEEEPS9_S9_NSF_9__extrema9arg_max_fIllNS6_4lessIlEEEEEE10hipError_tPvRmT1_T2_T3_mT4_P12ihipStream_tbEUlT_E1_NS1_11comp_targetILNS1_3genE10ELNS1_11target_archE1200ELNS1_3gpuE4ELNS1_3repE0EEENS1_30default_config_static_selectorELNS0_4arch9wavefront6targetE1EEEvST_
; %bb.0:
	.section	.rodata,"a",@progbits
	.p2align	6, 0x0
	.amdhsa_kernel _ZN7rocprim17ROCPRIM_400000_NS6detail17trampoline_kernelINS0_14default_configENS1_22reduce_config_selectorIN6thrust23THRUST_200600_302600_NS5tupleIllNS6_9null_typeES8_S8_S8_S8_S8_S8_S8_EEEEZNS1_11reduce_implILb0ES3_NS6_12zip_iteratorINS7_INS6_10device_ptrIlEENS6_11hip_rocprim19counting_iterator_tIlEES8_S8_S8_S8_S8_S8_S8_S8_EEEEPS9_S9_NSF_9__extrema9arg_max_fIllNS6_4lessIlEEEEEE10hipError_tPvRmT1_T2_T3_mT4_P12ihipStream_tbEUlT_E1_NS1_11comp_targetILNS1_3genE10ELNS1_11target_archE1200ELNS1_3gpuE4ELNS1_3repE0EEENS1_30default_config_static_selectorELNS0_4arch9wavefront6targetE1EEEvST_
		.amdhsa_group_segment_fixed_size 0
		.amdhsa_private_segment_fixed_size 0
		.amdhsa_kernarg_size 64
		.amdhsa_user_sgpr_count 6
		.amdhsa_user_sgpr_private_segment_buffer 1
		.amdhsa_user_sgpr_dispatch_ptr 0
		.amdhsa_user_sgpr_queue_ptr 0
		.amdhsa_user_sgpr_kernarg_segment_ptr 1
		.amdhsa_user_sgpr_dispatch_id 0
		.amdhsa_user_sgpr_flat_scratch_init 0
		.amdhsa_user_sgpr_private_segment_size 0
		.amdhsa_uses_dynamic_stack 0
		.amdhsa_system_sgpr_private_segment_wavefront_offset 0
		.amdhsa_system_sgpr_workgroup_id_x 1
		.amdhsa_system_sgpr_workgroup_id_y 0
		.amdhsa_system_sgpr_workgroup_id_z 0
		.amdhsa_system_sgpr_workgroup_info 0
		.amdhsa_system_vgpr_workitem_id 0
		.amdhsa_next_free_vgpr 1
		.amdhsa_next_free_sgpr 0
		.amdhsa_reserve_vcc 0
		.amdhsa_reserve_flat_scratch 0
		.amdhsa_float_round_mode_32 0
		.amdhsa_float_round_mode_16_64 0
		.amdhsa_float_denorm_mode_32 3
		.amdhsa_float_denorm_mode_16_64 3
		.amdhsa_dx10_clamp 1
		.amdhsa_ieee_mode 1
		.amdhsa_fp16_overflow 0
		.amdhsa_exception_fp_ieee_invalid_op 0
		.amdhsa_exception_fp_denorm_src 0
		.amdhsa_exception_fp_ieee_div_zero 0
		.amdhsa_exception_fp_ieee_overflow 0
		.amdhsa_exception_fp_ieee_underflow 0
		.amdhsa_exception_fp_ieee_inexact 0
		.amdhsa_exception_int_div_zero 0
	.end_amdhsa_kernel
	.section	.text._ZN7rocprim17ROCPRIM_400000_NS6detail17trampoline_kernelINS0_14default_configENS1_22reduce_config_selectorIN6thrust23THRUST_200600_302600_NS5tupleIllNS6_9null_typeES8_S8_S8_S8_S8_S8_S8_EEEEZNS1_11reduce_implILb0ES3_NS6_12zip_iteratorINS7_INS6_10device_ptrIlEENS6_11hip_rocprim19counting_iterator_tIlEES8_S8_S8_S8_S8_S8_S8_S8_EEEEPS9_S9_NSF_9__extrema9arg_max_fIllNS6_4lessIlEEEEEE10hipError_tPvRmT1_T2_T3_mT4_P12ihipStream_tbEUlT_E1_NS1_11comp_targetILNS1_3genE10ELNS1_11target_archE1200ELNS1_3gpuE4ELNS1_3repE0EEENS1_30default_config_static_selectorELNS0_4arch9wavefront6targetE1EEEvST_,"axG",@progbits,_ZN7rocprim17ROCPRIM_400000_NS6detail17trampoline_kernelINS0_14default_configENS1_22reduce_config_selectorIN6thrust23THRUST_200600_302600_NS5tupleIllNS6_9null_typeES8_S8_S8_S8_S8_S8_S8_EEEEZNS1_11reduce_implILb0ES3_NS6_12zip_iteratorINS7_INS6_10device_ptrIlEENS6_11hip_rocprim19counting_iterator_tIlEES8_S8_S8_S8_S8_S8_S8_S8_EEEEPS9_S9_NSF_9__extrema9arg_max_fIllNS6_4lessIlEEEEEE10hipError_tPvRmT1_T2_T3_mT4_P12ihipStream_tbEUlT_E1_NS1_11comp_targetILNS1_3genE10ELNS1_11target_archE1200ELNS1_3gpuE4ELNS1_3repE0EEENS1_30default_config_static_selectorELNS0_4arch9wavefront6targetE1EEEvST_,comdat
.Lfunc_end436:
	.size	_ZN7rocprim17ROCPRIM_400000_NS6detail17trampoline_kernelINS0_14default_configENS1_22reduce_config_selectorIN6thrust23THRUST_200600_302600_NS5tupleIllNS6_9null_typeES8_S8_S8_S8_S8_S8_S8_EEEEZNS1_11reduce_implILb0ES3_NS6_12zip_iteratorINS7_INS6_10device_ptrIlEENS6_11hip_rocprim19counting_iterator_tIlEES8_S8_S8_S8_S8_S8_S8_S8_EEEEPS9_S9_NSF_9__extrema9arg_max_fIllNS6_4lessIlEEEEEE10hipError_tPvRmT1_T2_T3_mT4_P12ihipStream_tbEUlT_E1_NS1_11comp_targetILNS1_3genE10ELNS1_11target_archE1200ELNS1_3gpuE4ELNS1_3repE0EEENS1_30default_config_static_selectorELNS0_4arch9wavefront6targetE1EEEvST_, .Lfunc_end436-_ZN7rocprim17ROCPRIM_400000_NS6detail17trampoline_kernelINS0_14default_configENS1_22reduce_config_selectorIN6thrust23THRUST_200600_302600_NS5tupleIllNS6_9null_typeES8_S8_S8_S8_S8_S8_S8_EEEEZNS1_11reduce_implILb0ES3_NS6_12zip_iteratorINS7_INS6_10device_ptrIlEENS6_11hip_rocprim19counting_iterator_tIlEES8_S8_S8_S8_S8_S8_S8_S8_EEEEPS9_S9_NSF_9__extrema9arg_max_fIllNS6_4lessIlEEEEEE10hipError_tPvRmT1_T2_T3_mT4_P12ihipStream_tbEUlT_E1_NS1_11comp_targetILNS1_3genE10ELNS1_11target_archE1200ELNS1_3gpuE4ELNS1_3repE0EEENS1_30default_config_static_selectorELNS0_4arch9wavefront6targetE1EEEvST_
                                        ; -- End function
	.set _ZN7rocprim17ROCPRIM_400000_NS6detail17trampoline_kernelINS0_14default_configENS1_22reduce_config_selectorIN6thrust23THRUST_200600_302600_NS5tupleIllNS6_9null_typeES8_S8_S8_S8_S8_S8_S8_EEEEZNS1_11reduce_implILb0ES3_NS6_12zip_iteratorINS7_INS6_10device_ptrIlEENS6_11hip_rocprim19counting_iterator_tIlEES8_S8_S8_S8_S8_S8_S8_S8_EEEEPS9_S9_NSF_9__extrema9arg_max_fIllNS6_4lessIlEEEEEE10hipError_tPvRmT1_T2_T3_mT4_P12ihipStream_tbEUlT_E1_NS1_11comp_targetILNS1_3genE10ELNS1_11target_archE1200ELNS1_3gpuE4ELNS1_3repE0EEENS1_30default_config_static_selectorELNS0_4arch9wavefront6targetE1EEEvST_.num_vgpr, 0
	.set _ZN7rocprim17ROCPRIM_400000_NS6detail17trampoline_kernelINS0_14default_configENS1_22reduce_config_selectorIN6thrust23THRUST_200600_302600_NS5tupleIllNS6_9null_typeES8_S8_S8_S8_S8_S8_S8_EEEEZNS1_11reduce_implILb0ES3_NS6_12zip_iteratorINS7_INS6_10device_ptrIlEENS6_11hip_rocprim19counting_iterator_tIlEES8_S8_S8_S8_S8_S8_S8_S8_EEEEPS9_S9_NSF_9__extrema9arg_max_fIllNS6_4lessIlEEEEEE10hipError_tPvRmT1_T2_T3_mT4_P12ihipStream_tbEUlT_E1_NS1_11comp_targetILNS1_3genE10ELNS1_11target_archE1200ELNS1_3gpuE4ELNS1_3repE0EEENS1_30default_config_static_selectorELNS0_4arch9wavefront6targetE1EEEvST_.num_agpr, 0
	.set _ZN7rocprim17ROCPRIM_400000_NS6detail17trampoline_kernelINS0_14default_configENS1_22reduce_config_selectorIN6thrust23THRUST_200600_302600_NS5tupleIllNS6_9null_typeES8_S8_S8_S8_S8_S8_S8_EEEEZNS1_11reduce_implILb0ES3_NS6_12zip_iteratorINS7_INS6_10device_ptrIlEENS6_11hip_rocprim19counting_iterator_tIlEES8_S8_S8_S8_S8_S8_S8_S8_EEEEPS9_S9_NSF_9__extrema9arg_max_fIllNS6_4lessIlEEEEEE10hipError_tPvRmT1_T2_T3_mT4_P12ihipStream_tbEUlT_E1_NS1_11comp_targetILNS1_3genE10ELNS1_11target_archE1200ELNS1_3gpuE4ELNS1_3repE0EEENS1_30default_config_static_selectorELNS0_4arch9wavefront6targetE1EEEvST_.numbered_sgpr, 0
	.set _ZN7rocprim17ROCPRIM_400000_NS6detail17trampoline_kernelINS0_14default_configENS1_22reduce_config_selectorIN6thrust23THRUST_200600_302600_NS5tupleIllNS6_9null_typeES8_S8_S8_S8_S8_S8_S8_EEEEZNS1_11reduce_implILb0ES3_NS6_12zip_iteratorINS7_INS6_10device_ptrIlEENS6_11hip_rocprim19counting_iterator_tIlEES8_S8_S8_S8_S8_S8_S8_S8_EEEEPS9_S9_NSF_9__extrema9arg_max_fIllNS6_4lessIlEEEEEE10hipError_tPvRmT1_T2_T3_mT4_P12ihipStream_tbEUlT_E1_NS1_11comp_targetILNS1_3genE10ELNS1_11target_archE1200ELNS1_3gpuE4ELNS1_3repE0EEENS1_30default_config_static_selectorELNS0_4arch9wavefront6targetE1EEEvST_.num_named_barrier, 0
	.set _ZN7rocprim17ROCPRIM_400000_NS6detail17trampoline_kernelINS0_14default_configENS1_22reduce_config_selectorIN6thrust23THRUST_200600_302600_NS5tupleIllNS6_9null_typeES8_S8_S8_S8_S8_S8_S8_EEEEZNS1_11reduce_implILb0ES3_NS6_12zip_iteratorINS7_INS6_10device_ptrIlEENS6_11hip_rocprim19counting_iterator_tIlEES8_S8_S8_S8_S8_S8_S8_S8_EEEEPS9_S9_NSF_9__extrema9arg_max_fIllNS6_4lessIlEEEEEE10hipError_tPvRmT1_T2_T3_mT4_P12ihipStream_tbEUlT_E1_NS1_11comp_targetILNS1_3genE10ELNS1_11target_archE1200ELNS1_3gpuE4ELNS1_3repE0EEENS1_30default_config_static_selectorELNS0_4arch9wavefront6targetE1EEEvST_.private_seg_size, 0
	.set _ZN7rocprim17ROCPRIM_400000_NS6detail17trampoline_kernelINS0_14default_configENS1_22reduce_config_selectorIN6thrust23THRUST_200600_302600_NS5tupleIllNS6_9null_typeES8_S8_S8_S8_S8_S8_S8_EEEEZNS1_11reduce_implILb0ES3_NS6_12zip_iteratorINS7_INS6_10device_ptrIlEENS6_11hip_rocprim19counting_iterator_tIlEES8_S8_S8_S8_S8_S8_S8_S8_EEEEPS9_S9_NSF_9__extrema9arg_max_fIllNS6_4lessIlEEEEEE10hipError_tPvRmT1_T2_T3_mT4_P12ihipStream_tbEUlT_E1_NS1_11comp_targetILNS1_3genE10ELNS1_11target_archE1200ELNS1_3gpuE4ELNS1_3repE0EEENS1_30default_config_static_selectorELNS0_4arch9wavefront6targetE1EEEvST_.uses_vcc, 0
	.set _ZN7rocprim17ROCPRIM_400000_NS6detail17trampoline_kernelINS0_14default_configENS1_22reduce_config_selectorIN6thrust23THRUST_200600_302600_NS5tupleIllNS6_9null_typeES8_S8_S8_S8_S8_S8_S8_EEEEZNS1_11reduce_implILb0ES3_NS6_12zip_iteratorINS7_INS6_10device_ptrIlEENS6_11hip_rocprim19counting_iterator_tIlEES8_S8_S8_S8_S8_S8_S8_S8_EEEEPS9_S9_NSF_9__extrema9arg_max_fIllNS6_4lessIlEEEEEE10hipError_tPvRmT1_T2_T3_mT4_P12ihipStream_tbEUlT_E1_NS1_11comp_targetILNS1_3genE10ELNS1_11target_archE1200ELNS1_3gpuE4ELNS1_3repE0EEENS1_30default_config_static_selectorELNS0_4arch9wavefront6targetE1EEEvST_.uses_flat_scratch, 0
	.set _ZN7rocprim17ROCPRIM_400000_NS6detail17trampoline_kernelINS0_14default_configENS1_22reduce_config_selectorIN6thrust23THRUST_200600_302600_NS5tupleIllNS6_9null_typeES8_S8_S8_S8_S8_S8_S8_EEEEZNS1_11reduce_implILb0ES3_NS6_12zip_iteratorINS7_INS6_10device_ptrIlEENS6_11hip_rocprim19counting_iterator_tIlEES8_S8_S8_S8_S8_S8_S8_S8_EEEEPS9_S9_NSF_9__extrema9arg_max_fIllNS6_4lessIlEEEEEE10hipError_tPvRmT1_T2_T3_mT4_P12ihipStream_tbEUlT_E1_NS1_11comp_targetILNS1_3genE10ELNS1_11target_archE1200ELNS1_3gpuE4ELNS1_3repE0EEENS1_30default_config_static_selectorELNS0_4arch9wavefront6targetE1EEEvST_.has_dyn_sized_stack, 0
	.set _ZN7rocprim17ROCPRIM_400000_NS6detail17trampoline_kernelINS0_14default_configENS1_22reduce_config_selectorIN6thrust23THRUST_200600_302600_NS5tupleIllNS6_9null_typeES8_S8_S8_S8_S8_S8_S8_EEEEZNS1_11reduce_implILb0ES3_NS6_12zip_iteratorINS7_INS6_10device_ptrIlEENS6_11hip_rocprim19counting_iterator_tIlEES8_S8_S8_S8_S8_S8_S8_S8_EEEEPS9_S9_NSF_9__extrema9arg_max_fIllNS6_4lessIlEEEEEE10hipError_tPvRmT1_T2_T3_mT4_P12ihipStream_tbEUlT_E1_NS1_11comp_targetILNS1_3genE10ELNS1_11target_archE1200ELNS1_3gpuE4ELNS1_3repE0EEENS1_30default_config_static_selectorELNS0_4arch9wavefront6targetE1EEEvST_.has_recursion, 0
	.set _ZN7rocprim17ROCPRIM_400000_NS6detail17trampoline_kernelINS0_14default_configENS1_22reduce_config_selectorIN6thrust23THRUST_200600_302600_NS5tupleIllNS6_9null_typeES8_S8_S8_S8_S8_S8_S8_EEEEZNS1_11reduce_implILb0ES3_NS6_12zip_iteratorINS7_INS6_10device_ptrIlEENS6_11hip_rocprim19counting_iterator_tIlEES8_S8_S8_S8_S8_S8_S8_S8_EEEEPS9_S9_NSF_9__extrema9arg_max_fIllNS6_4lessIlEEEEEE10hipError_tPvRmT1_T2_T3_mT4_P12ihipStream_tbEUlT_E1_NS1_11comp_targetILNS1_3genE10ELNS1_11target_archE1200ELNS1_3gpuE4ELNS1_3repE0EEENS1_30default_config_static_selectorELNS0_4arch9wavefront6targetE1EEEvST_.has_indirect_call, 0
	.section	.AMDGPU.csdata,"",@progbits
; Kernel info:
; codeLenInByte = 0
; TotalNumSgprs: 4
; NumVgprs: 0
; ScratchSize: 0
; MemoryBound: 0
; FloatMode: 240
; IeeeMode: 1
; LDSByteSize: 0 bytes/workgroup (compile time only)
; SGPRBlocks: 0
; VGPRBlocks: 0
; NumSGPRsForWavesPerEU: 4
; NumVGPRsForWavesPerEU: 1
; Occupancy: 10
; WaveLimiterHint : 0
; COMPUTE_PGM_RSRC2:SCRATCH_EN: 0
; COMPUTE_PGM_RSRC2:USER_SGPR: 6
; COMPUTE_PGM_RSRC2:TRAP_HANDLER: 0
; COMPUTE_PGM_RSRC2:TGID_X_EN: 1
; COMPUTE_PGM_RSRC2:TGID_Y_EN: 0
; COMPUTE_PGM_RSRC2:TGID_Z_EN: 0
; COMPUTE_PGM_RSRC2:TIDIG_COMP_CNT: 0
	.section	.text._ZN7rocprim17ROCPRIM_400000_NS6detail17trampoline_kernelINS0_14default_configENS1_22reduce_config_selectorIN6thrust23THRUST_200600_302600_NS5tupleIllNS6_9null_typeES8_S8_S8_S8_S8_S8_S8_EEEEZNS1_11reduce_implILb0ES3_NS6_12zip_iteratorINS7_INS6_10device_ptrIlEENS6_11hip_rocprim19counting_iterator_tIlEES8_S8_S8_S8_S8_S8_S8_S8_EEEEPS9_S9_NSF_9__extrema9arg_max_fIllNS6_4lessIlEEEEEE10hipError_tPvRmT1_T2_T3_mT4_P12ihipStream_tbEUlT_E1_NS1_11comp_targetILNS1_3genE9ELNS1_11target_archE1100ELNS1_3gpuE3ELNS1_3repE0EEENS1_30default_config_static_selectorELNS0_4arch9wavefront6targetE1EEEvST_,"axG",@progbits,_ZN7rocprim17ROCPRIM_400000_NS6detail17trampoline_kernelINS0_14default_configENS1_22reduce_config_selectorIN6thrust23THRUST_200600_302600_NS5tupleIllNS6_9null_typeES8_S8_S8_S8_S8_S8_S8_EEEEZNS1_11reduce_implILb0ES3_NS6_12zip_iteratorINS7_INS6_10device_ptrIlEENS6_11hip_rocprim19counting_iterator_tIlEES8_S8_S8_S8_S8_S8_S8_S8_EEEEPS9_S9_NSF_9__extrema9arg_max_fIllNS6_4lessIlEEEEEE10hipError_tPvRmT1_T2_T3_mT4_P12ihipStream_tbEUlT_E1_NS1_11comp_targetILNS1_3genE9ELNS1_11target_archE1100ELNS1_3gpuE3ELNS1_3repE0EEENS1_30default_config_static_selectorELNS0_4arch9wavefront6targetE1EEEvST_,comdat
	.protected	_ZN7rocprim17ROCPRIM_400000_NS6detail17trampoline_kernelINS0_14default_configENS1_22reduce_config_selectorIN6thrust23THRUST_200600_302600_NS5tupleIllNS6_9null_typeES8_S8_S8_S8_S8_S8_S8_EEEEZNS1_11reduce_implILb0ES3_NS6_12zip_iteratorINS7_INS6_10device_ptrIlEENS6_11hip_rocprim19counting_iterator_tIlEES8_S8_S8_S8_S8_S8_S8_S8_EEEEPS9_S9_NSF_9__extrema9arg_max_fIllNS6_4lessIlEEEEEE10hipError_tPvRmT1_T2_T3_mT4_P12ihipStream_tbEUlT_E1_NS1_11comp_targetILNS1_3genE9ELNS1_11target_archE1100ELNS1_3gpuE3ELNS1_3repE0EEENS1_30default_config_static_selectorELNS0_4arch9wavefront6targetE1EEEvST_ ; -- Begin function _ZN7rocprim17ROCPRIM_400000_NS6detail17trampoline_kernelINS0_14default_configENS1_22reduce_config_selectorIN6thrust23THRUST_200600_302600_NS5tupleIllNS6_9null_typeES8_S8_S8_S8_S8_S8_S8_EEEEZNS1_11reduce_implILb0ES3_NS6_12zip_iteratorINS7_INS6_10device_ptrIlEENS6_11hip_rocprim19counting_iterator_tIlEES8_S8_S8_S8_S8_S8_S8_S8_EEEEPS9_S9_NSF_9__extrema9arg_max_fIllNS6_4lessIlEEEEEE10hipError_tPvRmT1_T2_T3_mT4_P12ihipStream_tbEUlT_E1_NS1_11comp_targetILNS1_3genE9ELNS1_11target_archE1100ELNS1_3gpuE3ELNS1_3repE0EEENS1_30default_config_static_selectorELNS0_4arch9wavefront6targetE1EEEvST_
	.globl	_ZN7rocprim17ROCPRIM_400000_NS6detail17trampoline_kernelINS0_14default_configENS1_22reduce_config_selectorIN6thrust23THRUST_200600_302600_NS5tupleIllNS6_9null_typeES8_S8_S8_S8_S8_S8_S8_EEEEZNS1_11reduce_implILb0ES3_NS6_12zip_iteratorINS7_INS6_10device_ptrIlEENS6_11hip_rocprim19counting_iterator_tIlEES8_S8_S8_S8_S8_S8_S8_S8_EEEEPS9_S9_NSF_9__extrema9arg_max_fIllNS6_4lessIlEEEEEE10hipError_tPvRmT1_T2_T3_mT4_P12ihipStream_tbEUlT_E1_NS1_11comp_targetILNS1_3genE9ELNS1_11target_archE1100ELNS1_3gpuE3ELNS1_3repE0EEENS1_30default_config_static_selectorELNS0_4arch9wavefront6targetE1EEEvST_
	.p2align	8
	.type	_ZN7rocprim17ROCPRIM_400000_NS6detail17trampoline_kernelINS0_14default_configENS1_22reduce_config_selectorIN6thrust23THRUST_200600_302600_NS5tupleIllNS6_9null_typeES8_S8_S8_S8_S8_S8_S8_EEEEZNS1_11reduce_implILb0ES3_NS6_12zip_iteratorINS7_INS6_10device_ptrIlEENS6_11hip_rocprim19counting_iterator_tIlEES8_S8_S8_S8_S8_S8_S8_S8_EEEEPS9_S9_NSF_9__extrema9arg_max_fIllNS6_4lessIlEEEEEE10hipError_tPvRmT1_T2_T3_mT4_P12ihipStream_tbEUlT_E1_NS1_11comp_targetILNS1_3genE9ELNS1_11target_archE1100ELNS1_3gpuE3ELNS1_3repE0EEENS1_30default_config_static_selectorELNS0_4arch9wavefront6targetE1EEEvST_,@function
_ZN7rocprim17ROCPRIM_400000_NS6detail17trampoline_kernelINS0_14default_configENS1_22reduce_config_selectorIN6thrust23THRUST_200600_302600_NS5tupleIllNS6_9null_typeES8_S8_S8_S8_S8_S8_S8_EEEEZNS1_11reduce_implILb0ES3_NS6_12zip_iteratorINS7_INS6_10device_ptrIlEENS6_11hip_rocprim19counting_iterator_tIlEES8_S8_S8_S8_S8_S8_S8_S8_EEEEPS9_S9_NSF_9__extrema9arg_max_fIllNS6_4lessIlEEEEEE10hipError_tPvRmT1_T2_T3_mT4_P12ihipStream_tbEUlT_E1_NS1_11comp_targetILNS1_3genE9ELNS1_11target_archE1100ELNS1_3gpuE3ELNS1_3repE0EEENS1_30default_config_static_selectorELNS0_4arch9wavefront6targetE1EEEvST_: ; @_ZN7rocprim17ROCPRIM_400000_NS6detail17trampoline_kernelINS0_14default_configENS1_22reduce_config_selectorIN6thrust23THRUST_200600_302600_NS5tupleIllNS6_9null_typeES8_S8_S8_S8_S8_S8_S8_EEEEZNS1_11reduce_implILb0ES3_NS6_12zip_iteratorINS7_INS6_10device_ptrIlEENS6_11hip_rocprim19counting_iterator_tIlEES8_S8_S8_S8_S8_S8_S8_S8_EEEEPS9_S9_NSF_9__extrema9arg_max_fIllNS6_4lessIlEEEEEE10hipError_tPvRmT1_T2_T3_mT4_P12ihipStream_tbEUlT_E1_NS1_11comp_targetILNS1_3genE9ELNS1_11target_archE1100ELNS1_3gpuE3ELNS1_3repE0EEENS1_30default_config_static_selectorELNS0_4arch9wavefront6targetE1EEEvST_
; %bb.0:
	.section	.rodata,"a",@progbits
	.p2align	6, 0x0
	.amdhsa_kernel _ZN7rocprim17ROCPRIM_400000_NS6detail17trampoline_kernelINS0_14default_configENS1_22reduce_config_selectorIN6thrust23THRUST_200600_302600_NS5tupleIllNS6_9null_typeES8_S8_S8_S8_S8_S8_S8_EEEEZNS1_11reduce_implILb0ES3_NS6_12zip_iteratorINS7_INS6_10device_ptrIlEENS6_11hip_rocprim19counting_iterator_tIlEES8_S8_S8_S8_S8_S8_S8_S8_EEEEPS9_S9_NSF_9__extrema9arg_max_fIllNS6_4lessIlEEEEEE10hipError_tPvRmT1_T2_T3_mT4_P12ihipStream_tbEUlT_E1_NS1_11comp_targetILNS1_3genE9ELNS1_11target_archE1100ELNS1_3gpuE3ELNS1_3repE0EEENS1_30default_config_static_selectorELNS0_4arch9wavefront6targetE1EEEvST_
		.amdhsa_group_segment_fixed_size 0
		.amdhsa_private_segment_fixed_size 0
		.amdhsa_kernarg_size 64
		.amdhsa_user_sgpr_count 6
		.amdhsa_user_sgpr_private_segment_buffer 1
		.amdhsa_user_sgpr_dispatch_ptr 0
		.amdhsa_user_sgpr_queue_ptr 0
		.amdhsa_user_sgpr_kernarg_segment_ptr 1
		.amdhsa_user_sgpr_dispatch_id 0
		.amdhsa_user_sgpr_flat_scratch_init 0
		.amdhsa_user_sgpr_private_segment_size 0
		.amdhsa_uses_dynamic_stack 0
		.amdhsa_system_sgpr_private_segment_wavefront_offset 0
		.amdhsa_system_sgpr_workgroup_id_x 1
		.amdhsa_system_sgpr_workgroup_id_y 0
		.amdhsa_system_sgpr_workgroup_id_z 0
		.amdhsa_system_sgpr_workgroup_info 0
		.amdhsa_system_vgpr_workitem_id 0
		.amdhsa_next_free_vgpr 1
		.amdhsa_next_free_sgpr 0
		.amdhsa_reserve_vcc 0
		.amdhsa_reserve_flat_scratch 0
		.amdhsa_float_round_mode_32 0
		.amdhsa_float_round_mode_16_64 0
		.amdhsa_float_denorm_mode_32 3
		.amdhsa_float_denorm_mode_16_64 3
		.amdhsa_dx10_clamp 1
		.amdhsa_ieee_mode 1
		.amdhsa_fp16_overflow 0
		.amdhsa_exception_fp_ieee_invalid_op 0
		.amdhsa_exception_fp_denorm_src 0
		.amdhsa_exception_fp_ieee_div_zero 0
		.amdhsa_exception_fp_ieee_overflow 0
		.amdhsa_exception_fp_ieee_underflow 0
		.amdhsa_exception_fp_ieee_inexact 0
		.amdhsa_exception_int_div_zero 0
	.end_amdhsa_kernel
	.section	.text._ZN7rocprim17ROCPRIM_400000_NS6detail17trampoline_kernelINS0_14default_configENS1_22reduce_config_selectorIN6thrust23THRUST_200600_302600_NS5tupleIllNS6_9null_typeES8_S8_S8_S8_S8_S8_S8_EEEEZNS1_11reduce_implILb0ES3_NS6_12zip_iteratorINS7_INS6_10device_ptrIlEENS6_11hip_rocprim19counting_iterator_tIlEES8_S8_S8_S8_S8_S8_S8_S8_EEEEPS9_S9_NSF_9__extrema9arg_max_fIllNS6_4lessIlEEEEEE10hipError_tPvRmT1_T2_T3_mT4_P12ihipStream_tbEUlT_E1_NS1_11comp_targetILNS1_3genE9ELNS1_11target_archE1100ELNS1_3gpuE3ELNS1_3repE0EEENS1_30default_config_static_selectorELNS0_4arch9wavefront6targetE1EEEvST_,"axG",@progbits,_ZN7rocprim17ROCPRIM_400000_NS6detail17trampoline_kernelINS0_14default_configENS1_22reduce_config_selectorIN6thrust23THRUST_200600_302600_NS5tupleIllNS6_9null_typeES8_S8_S8_S8_S8_S8_S8_EEEEZNS1_11reduce_implILb0ES3_NS6_12zip_iteratorINS7_INS6_10device_ptrIlEENS6_11hip_rocprim19counting_iterator_tIlEES8_S8_S8_S8_S8_S8_S8_S8_EEEEPS9_S9_NSF_9__extrema9arg_max_fIllNS6_4lessIlEEEEEE10hipError_tPvRmT1_T2_T3_mT4_P12ihipStream_tbEUlT_E1_NS1_11comp_targetILNS1_3genE9ELNS1_11target_archE1100ELNS1_3gpuE3ELNS1_3repE0EEENS1_30default_config_static_selectorELNS0_4arch9wavefront6targetE1EEEvST_,comdat
.Lfunc_end437:
	.size	_ZN7rocprim17ROCPRIM_400000_NS6detail17trampoline_kernelINS0_14default_configENS1_22reduce_config_selectorIN6thrust23THRUST_200600_302600_NS5tupleIllNS6_9null_typeES8_S8_S8_S8_S8_S8_S8_EEEEZNS1_11reduce_implILb0ES3_NS6_12zip_iteratorINS7_INS6_10device_ptrIlEENS6_11hip_rocprim19counting_iterator_tIlEES8_S8_S8_S8_S8_S8_S8_S8_EEEEPS9_S9_NSF_9__extrema9arg_max_fIllNS6_4lessIlEEEEEE10hipError_tPvRmT1_T2_T3_mT4_P12ihipStream_tbEUlT_E1_NS1_11comp_targetILNS1_3genE9ELNS1_11target_archE1100ELNS1_3gpuE3ELNS1_3repE0EEENS1_30default_config_static_selectorELNS0_4arch9wavefront6targetE1EEEvST_, .Lfunc_end437-_ZN7rocprim17ROCPRIM_400000_NS6detail17trampoline_kernelINS0_14default_configENS1_22reduce_config_selectorIN6thrust23THRUST_200600_302600_NS5tupleIllNS6_9null_typeES8_S8_S8_S8_S8_S8_S8_EEEEZNS1_11reduce_implILb0ES3_NS6_12zip_iteratorINS7_INS6_10device_ptrIlEENS6_11hip_rocprim19counting_iterator_tIlEES8_S8_S8_S8_S8_S8_S8_S8_EEEEPS9_S9_NSF_9__extrema9arg_max_fIllNS6_4lessIlEEEEEE10hipError_tPvRmT1_T2_T3_mT4_P12ihipStream_tbEUlT_E1_NS1_11comp_targetILNS1_3genE9ELNS1_11target_archE1100ELNS1_3gpuE3ELNS1_3repE0EEENS1_30default_config_static_selectorELNS0_4arch9wavefront6targetE1EEEvST_
                                        ; -- End function
	.set _ZN7rocprim17ROCPRIM_400000_NS6detail17trampoline_kernelINS0_14default_configENS1_22reduce_config_selectorIN6thrust23THRUST_200600_302600_NS5tupleIllNS6_9null_typeES8_S8_S8_S8_S8_S8_S8_EEEEZNS1_11reduce_implILb0ES3_NS6_12zip_iteratorINS7_INS6_10device_ptrIlEENS6_11hip_rocprim19counting_iterator_tIlEES8_S8_S8_S8_S8_S8_S8_S8_EEEEPS9_S9_NSF_9__extrema9arg_max_fIllNS6_4lessIlEEEEEE10hipError_tPvRmT1_T2_T3_mT4_P12ihipStream_tbEUlT_E1_NS1_11comp_targetILNS1_3genE9ELNS1_11target_archE1100ELNS1_3gpuE3ELNS1_3repE0EEENS1_30default_config_static_selectorELNS0_4arch9wavefront6targetE1EEEvST_.num_vgpr, 0
	.set _ZN7rocprim17ROCPRIM_400000_NS6detail17trampoline_kernelINS0_14default_configENS1_22reduce_config_selectorIN6thrust23THRUST_200600_302600_NS5tupleIllNS6_9null_typeES8_S8_S8_S8_S8_S8_S8_EEEEZNS1_11reduce_implILb0ES3_NS6_12zip_iteratorINS7_INS6_10device_ptrIlEENS6_11hip_rocprim19counting_iterator_tIlEES8_S8_S8_S8_S8_S8_S8_S8_EEEEPS9_S9_NSF_9__extrema9arg_max_fIllNS6_4lessIlEEEEEE10hipError_tPvRmT1_T2_T3_mT4_P12ihipStream_tbEUlT_E1_NS1_11comp_targetILNS1_3genE9ELNS1_11target_archE1100ELNS1_3gpuE3ELNS1_3repE0EEENS1_30default_config_static_selectorELNS0_4arch9wavefront6targetE1EEEvST_.num_agpr, 0
	.set _ZN7rocprim17ROCPRIM_400000_NS6detail17trampoline_kernelINS0_14default_configENS1_22reduce_config_selectorIN6thrust23THRUST_200600_302600_NS5tupleIllNS6_9null_typeES8_S8_S8_S8_S8_S8_S8_EEEEZNS1_11reduce_implILb0ES3_NS6_12zip_iteratorINS7_INS6_10device_ptrIlEENS6_11hip_rocprim19counting_iterator_tIlEES8_S8_S8_S8_S8_S8_S8_S8_EEEEPS9_S9_NSF_9__extrema9arg_max_fIllNS6_4lessIlEEEEEE10hipError_tPvRmT1_T2_T3_mT4_P12ihipStream_tbEUlT_E1_NS1_11comp_targetILNS1_3genE9ELNS1_11target_archE1100ELNS1_3gpuE3ELNS1_3repE0EEENS1_30default_config_static_selectorELNS0_4arch9wavefront6targetE1EEEvST_.numbered_sgpr, 0
	.set _ZN7rocprim17ROCPRIM_400000_NS6detail17trampoline_kernelINS0_14default_configENS1_22reduce_config_selectorIN6thrust23THRUST_200600_302600_NS5tupleIllNS6_9null_typeES8_S8_S8_S8_S8_S8_S8_EEEEZNS1_11reduce_implILb0ES3_NS6_12zip_iteratorINS7_INS6_10device_ptrIlEENS6_11hip_rocprim19counting_iterator_tIlEES8_S8_S8_S8_S8_S8_S8_S8_EEEEPS9_S9_NSF_9__extrema9arg_max_fIllNS6_4lessIlEEEEEE10hipError_tPvRmT1_T2_T3_mT4_P12ihipStream_tbEUlT_E1_NS1_11comp_targetILNS1_3genE9ELNS1_11target_archE1100ELNS1_3gpuE3ELNS1_3repE0EEENS1_30default_config_static_selectorELNS0_4arch9wavefront6targetE1EEEvST_.num_named_barrier, 0
	.set _ZN7rocprim17ROCPRIM_400000_NS6detail17trampoline_kernelINS0_14default_configENS1_22reduce_config_selectorIN6thrust23THRUST_200600_302600_NS5tupleIllNS6_9null_typeES8_S8_S8_S8_S8_S8_S8_EEEEZNS1_11reduce_implILb0ES3_NS6_12zip_iteratorINS7_INS6_10device_ptrIlEENS6_11hip_rocprim19counting_iterator_tIlEES8_S8_S8_S8_S8_S8_S8_S8_EEEEPS9_S9_NSF_9__extrema9arg_max_fIllNS6_4lessIlEEEEEE10hipError_tPvRmT1_T2_T3_mT4_P12ihipStream_tbEUlT_E1_NS1_11comp_targetILNS1_3genE9ELNS1_11target_archE1100ELNS1_3gpuE3ELNS1_3repE0EEENS1_30default_config_static_selectorELNS0_4arch9wavefront6targetE1EEEvST_.private_seg_size, 0
	.set _ZN7rocprim17ROCPRIM_400000_NS6detail17trampoline_kernelINS0_14default_configENS1_22reduce_config_selectorIN6thrust23THRUST_200600_302600_NS5tupleIllNS6_9null_typeES8_S8_S8_S8_S8_S8_S8_EEEEZNS1_11reduce_implILb0ES3_NS6_12zip_iteratorINS7_INS6_10device_ptrIlEENS6_11hip_rocprim19counting_iterator_tIlEES8_S8_S8_S8_S8_S8_S8_S8_EEEEPS9_S9_NSF_9__extrema9arg_max_fIllNS6_4lessIlEEEEEE10hipError_tPvRmT1_T2_T3_mT4_P12ihipStream_tbEUlT_E1_NS1_11comp_targetILNS1_3genE9ELNS1_11target_archE1100ELNS1_3gpuE3ELNS1_3repE0EEENS1_30default_config_static_selectorELNS0_4arch9wavefront6targetE1EEEvST_.uses_vcc, 0
	.set _ZN7rocprim17ROCPRIM_400000_NS6detail17trampoline_kernelINS0_14default_configENS1_22reduce_config_selectorIN6thrust23THRUST_200600_302600_NS5tupleIllNS6_9null_typeES8_S8_S8_S8_S8_S8_S8_EEEEZNS1_11reduce_implILb0ES3_NS6_12zip_iteratorINS7_INS6_10device_ptrIlEENS6_11hip_rocprim19counting_iterator_tIlEES8_S8_S8_S8_S8_S8_S8_S8_EEEEPS9_S9_NSF_9__extrema9arg_max_fIllNS6_4lessIlEEEEEE10hipError_tPvRmT1_T2_T3_mT4_P12ihipStream_tbEUlT_E1_NS1_11comp_targetILNS1_3genE9ELNS1_11target_archE1100ELNS1_3gpuE3ELNS1_3repE0EEENS1_30default_config_static_selectorELNS0_4arch9wavefront6targetE1EEEvST_.uses_flat_scratch, 0
	.set _ZN7rocprim17ROCPRIM_400000_NS6detail17trampoline_kernelINS0_14default_configENS1_22reduce_config_selectorIN6thrust23THRUST_200600_302600_NS5tupleIllNS6_9null_typeES8_S8_S8_S8_S8_S8_S8_EEEEZNS1_11reduce_implILb0ES3_NS6_12zip_iteratorINS7_INS6_10device_ptrIlEENS6_11hip_rocprim19counting_iterator_tIlEES8_S8_S8_S8_S8_S8_S8_S8_EEEEPS9_S9_NSF_9__extrema9arg_max_fIllNS6_4lessIlEEEEEE10hipError_tPvRmT1_T2_T3_mT4_P12ihipStream_tbEUlT_E1_NS1_11comp_targetILNS1_3genE9ELNS1_11target_archE1100ELNS1_3gpuE3ELNS1_3repE0EEENS1_30default_config_static_selectorELNS0_4arch9wavefront6targetE1EEEvST_.has_dyn_sized_stack, 0
	.set _ZN7rocprim17ROCPRIM_400000_NS6detail17trampoline_kernelINS0_14default_configENS1_22reduce_config_selectorIN6thrust23THRUST_200600_302600_NS5tupleIllNS6_9null_typeES8_S8_S8_S8_S8_S8_S8_EEEEZNS1_11reduce_implILb0ES3_NS6_12zip_iteratorINS7_INS6_10device_ptrIlEENS6_11hip_rocprim19counting_iterator_tIlEES8_S8_S8_S8_S8_S8_S8_S8_EEEEPS9_S9_NSF_9__extrema9arg_max_fIllNS6_4lessIlEEEEEE10hipError_tPvRmT1_T2_T3_mT4_P12ihipStream_tbEUlT_E1_NS1_11comp_targetILNS1_3genE9ELNS1_11target_archE1100ELNS1_3gpuE3ELNS1_3repE0EEENS1_30default_config_static_selectorELNS0_4arch9wavefront6targetE1EEEvST_.has_recursion, 0
	.set _ZN7rocprim17ROCPRIM_400000_NS6detail17trampoline_kernelINS0_14default_configENS1_22reduce_config_selectorIN6thrust23THRUST_200600_302600_NS5tupleIllNS6_9null_typeES8_S8_S8_S8_S8_S8_S8_EEEEZNS1_11reduce_implILb0ES3_NS6_12zip_iteratorINS7_INS6_10device_ptrIlEENS6_11hip_rocprim19counting_iterator_tIlEES8_S8_S8_S8_S8_S8_S8_S8_EEEEPS9_S9_NSF_9__extrema9arg_max_fIllNS6_4lessIlEEEEEE10hipError_tPvRmT1_T2_T3_mT4_P12ihipStream_tbEUlT_E1_NS1_11comp_targetILNS1_3genE9ELNS1_11target_archE1100ELNS1_3gpuE3ELNS1_3repE0EEENS1_30default_config_static_selectorELNS0_4arch9wavefront6targetE1EEEvST_.has_indirect_call, 0
	.section	.AMDGPU.csdata,"",@progbits
; Kernel info:
; codeLenInByte = 0
; TotalNumSgprs: 4
; NumVgprs: 0
; ScratchSize: 0
; MemoryBound: 0
; FloatMode: 240
; IeeeMode: 1
; LDSByteSize: 0 bytes/workgroup (compile time only)
; SGPRBlocks: 0
; VGPRBlocks: 0
; NumSGPRsForWavesPerEU: 4
; NumVGPRsForWavesPerEU: 1
; Occupancy: 10
; WaveLimiterHint : 0
; COMPUTE_PGM_RSRC2:SCRATCH_EN: 0
; COMPUTE_PGM_RSRC2:USER_SGPR: 6
; COMPUTE_PGM_RSRC2:TRAP_HANDLER: 0
; COMPUTE_PGM_RSRC2:TGID_X_EN: 1
; COMPUTE_PGM_RSRC2:TGID_Y_EN: 0
; COMPUTE_PGM_RSRC2:TGID_Z_EN: 0
; COMPUTE_PGM_RSRC2:TIDIG_COMP_CNT: 0
	.section	.text._ZN7rocprim17ROCPRIM_400000_NS6detail17trampoline_kernelINS0_14default_configENS1_22reduce_config_selectorIN6thrust23THRUST_200600_302600_NS5tupleIllNS6_9null_typeES8_S8_S8_S8_S8_S8_S8_EEEEZNS1_11reduce_implILb0ES3_NS6_12zip_iteratorINS7_INS6_10device_ptrIlEENS6_11hip_rocprim19counting_iterator_tIlEES8_S8_S8_S8_S8_S8_S8_S8_EEEEPS9_S9_NSF_9__extrema9arg_max_fIllNS6_4lessIlEEEEEE10hipError_tPvRmT1_T2_T3_mT4_P12ihipStream_tbEUlT_E1_NS1_11comp_targetILNS1_3genE8ELNS1_11target_archE1030ELNS1_3gpuE2ELNS1_3repE0EEENS1_30default_config_static_selectorELNS0_4arch9wavefront6targetE1EEEvST_,"axG",@progbits,_ZN7rocprim17ROCPRIM_400000_NS6detail17trampoline_kernelINS0_14default_configENS1_22reduce_config_selectorIN6thrust23THRUST_200600_302600_NS5tupleIllNS6_9null_typeES8_S8_S8_S8_S8_S8_S8_EEEEZNS1_11reduce_implILb0ES3_NS6_12zip_iteratorINS7_INS6_10device_ptrIlEENS6_11hip_rocprim19counting_iterator_tIlEES8_S8_S8_S8_S8_S8_S8_S8_EEEEPS9_S9_NSF_9__extrema9arg_max_fIllNS6_4lessIlEEEEEE10hipError_tPvRmT1_T2_T3_mT4_P12ihipStream_tbEUlT_E1_NS1_11comp_targetILNS1_3genE8ELNS1_11target_archE1030ELNS1_3gpuE2ELNS1_3repE0EEENS1_30default_config_static_selectorELNS0_4arch9wavefront6targetE1EEEvST_,comdat
	.protected	_ZN7rocprim17ROCPRIM_400000_NS6detail17trampoline_kernelINS0_14default_configENS1_22reduce_config_selectorIN6thrust23THRUST_200600_302600_NS5tupleIllNS6_9null_typeES8_S8_S8_S8_S8_S8_S8_EEEEZNS1_11reduce_implILb0ES3_NS6_12zip_iteratorINS7_INS6_10device_ptrIlEENS6_11hip_rocprim19counting_iterator_tIlEES8_S8_S8_S8_S8_S8_S8_S8_EEEEPS9_S9_NSF_9__extrema9arg_max_fIllNS6_4lessIlEEEEEE10hipError_tPvRmT1_T2_T3_mT4_P12ihipStream_tbEUlT_E1_NS1_11comp_targetILNS1_3genE8ELNS1_11target_archE1030ELNS1_3gpuE2ELNS1_3repE0EEENS1_30default_config_static_selectorELNS0_4arch9wavefront6targetE1EEEvST_ ; -- Begin function _ZN7rocprim17ROCPRIM_400000_NS6detail17trampoline_kernelINS0_14default_configENS1_22reduce_config_selectorIN6thrust23THRUST_200600_302600_NS5tupleIllNS6_9null_typeES8_S8_S8_S8_S8_S8_S8_EEEEZNS1_11reduce_implILb0ES3_NS6_12zip_iteratorINS7_INS6_10device_ptrIlEENS6_11hip_rocprim19counting_iterator_tIlEES8_S8_S8_S8_S8_S8_S8_S8_EEEEPS9_S9_NSF_9__extrema9arg_max_fIllNS6_4lessIlEEEEEE10hipError_tPvRmT1_T2_T3_mT4_P12ihipStream_tbEUlT_E1_NS1_11comp_targetILNS1_3genE8ELNS1_11target_archE1030ELNS1_3gpuE2ELNS1_3repE0EEENS1_30default_config_static_selectorELNS0_4arch9wavefront6targetE1EEEvST_
	.globl	_ZN7rocprim17ROCPRIM_400000_NS6detail17trampoline_kernelINS0_14default_configENS1_22reduce_config_selectorIN6thrust23THRUST_200600_302600_NS5tupleIllNS6_9null_typeES8_S8_S8_S8_S8_S8_S8_EEEEZNS1_11reduce_implILb0ES3_NS6_12zip_iteratorINS7_INS6_10device_ptrIlEENS6_11hip_rocprim19counting_iterator_tIlEES8_S8_S8_S8_S8_S8_S8_S8_EEEEPS9_S9_NSF_9__extrema9arg_max_fIllNS6_4lessIlEEEEEE10hipError_tPvRmT1_T2_T3_mT4_P12ihipStream_tbEUlT_E1_NS1_11comp_targetILNS1_3genE8ELNS1_11target_archE1030ELNS1_3gpuE2ELNS1_3repE0EEENS1_30default_config_static_selectorELNS0_4arch9wavefront6targetE1EEEvST_
	.p2align	8
	.type	_ZN7rocprim17ROCPRIM_400000_NS6detail17trampoline_kernelINS0_14default_configENS1_22reduce_config_selectorIN6thrust23THRUST_200600_302600_NS5tupleIllNS6_9null_typeES8_S8_S8_S8_S8_S8_S8_EEEEZNS1_11reduce_implILb0ES3_NS6_12zip_iteratorINS7_INS6_10device_ptrIlEENS6_11hip_rocprim19counting_iterator_tIlEES8_S8_S8_S8_S8_S8_S8_S8_EEEEPS9_S9_NSF_9__extrema9arg_max_fIllNS6_4lessIlEEEEEE10hipError_tPvRmT1_T2_T3_mT4_P12ihipStream_tbEUlT_E1_NS1_11comp_targetILNS1_3genE8ELNS1_11target_archE1030ELNS1_3gpuE2ELNS1_3repE0EEENS1_30default_config_static_selectorELNS0_4arch9wavefront6targetE1EEEvST_,@function
_ZN7rocprim17ROCPRIM_400000_NS6detail17trampoline_kernelINS0_14default_configENS1_22reduce_config_selectorIN6thrust23THRUST_200600_302600_NS5tupleIllNS6_9null_typeES8_S8_S8_S8_S8_S8_S8_EEEEZNS1_11reduce_implILb0ES3_NS6_12zip_iteratorINS7_INS6_10device_ptrIlEENS6_11hip_rocprim19counting_iterator_tIlEES8_S8_S8_S8_S8_S8_S8_S8_EEEEPS9_S9_NSF_9__extrema9arg_max_fIllNS6_4lessIlEEEEEE10hipError_tPvRmT1_T2_T3_mT4_P12ihipStream_tbEUlT_E1_NS1_11comp_targetILNS1_3genE8ELNS1_11target_archE1030ELNS1_3gpuE2ELNS1_3repE0EEENS1_30default_config_static_selectorELNS0_4arch9wavefront6targetE1EEEvST_: ; @_ZN7rocprim17ROCPRIM_400000_NS6detail17trampoline_kernelINS0_14default_configENS1_22reduce_config_selectorIN6thrust23THRUST_200600_302600_NS5tupleIllNS6_9null_typeES8_S8_S8_S8_S8_S8_S8_EEEEZNS1_11reduce_implILb0ES3_NS6_12zip_iteratorINS7_INS6_10device_ptrIlEENS6_11hip_rocprim19counting_iterator_tIlEES8_S8_S8_S8_S8_S8_S8_S8_EEEEPS9_S9_NSF_9__extrema9arg_max_fIllNS6_4lessIlEEEEEE10hipError_tPvRmT1_T2_T3_mT4_P12ihipStream_tbEUlT_E1_NS1_11comp_targetILNS1_3genE8ELNS1_11target_archE1030ELNS1_3gpuE2ELNS1_3repE0EEENS1_30default_config_static_selectorELNS0_4arch9wavefront6targetE1EEEvST_
; %bb.0:
	.section	.rodata,"a",@progbits
	.p2align	6, 0x0
	.amdhsa_kernel _ZN7rocprim17ROCPRIM_400000_NS6detail17trampoline_kernelINS0_14default_configENS1_22reduce_config_selectorIN6thrust23THRUST_200600_302600_NS5tupleIllNS6_9null_typeES8_S8_S8_S8_S8_S8_S8_EEEEZNS1_11reduce_implILb0ES3_NS6_12zip_iteratorINS7_INS6_10device_ptrIlEENS6_11hip_rocprim19counting_iterator_tIlEES8_S8_S8_S8_S8_S8_S8_S8_EEEEPS9_S9_NSF_9__extrema9arg_max_fIllNS6_4lessIlEEEEEE10hipError_tPvRmT1_T2_T3_mT4_P12ihipStream_tbEUlT_E1_NS1_11comp_targetILNS1_3genE8ELNS1_11target_archE1030ELNS1_3gpuE2ELNS1_3repE0EEENS1_30default_config_static_selectorELNS0_4arch9wavefront6targetE1EEEvST_
		.amdhsa_group_segment_fixed_size 0
		.amdhsa_private_segment_fixed_size 0
		.amdhsa_kernarg_size 64
		.amdhsa_user_sgpr_count 6
		.amdhsa_user_sgpr_private_segment_buffer 1
		.amdhsa_user_sgpr_dispatch_ptr 0
		.amdhsa_user_sgpr_queue_ptr 0
		.amdhsa_user_sgpr_kernarg_segment_ptr 1
		.amdhsa_user_sgpr_dispatch_id 0
		.amdhsa_user_sgpr_flat_scratch_init 0
		.amdhsa_user_sgpr_private_segment_size 0
		.amdhsa_uses_dynamic_stack 0
		.amdhsa_system_sgpr_private_segment_wavefront_offset 0
		.amdhsa_system_sgpr_workgroup_id_x 1
		.amdhsa_system_sgpr_workgroup_id_y 0
		.amdhsa_system_sgpr_workgroup_id_z 0
		.amdhsa_system_sgpr_workgroup_info 0
		.amdhsa_system_vgpr_workitem_id 0
		.amdhsa_next_free_vgpr 1
		.amdhsa_next_free_sgpr 0
		.amdhsa_reserve_vcc 0
		.amdhsa_reserve_flat_scratch 0
		.amdhsa_float_round_mode_32 0
		.amdhsa_float_round_mode_16_64 0
		.amdhsa_float_denorm_mode_32 3
		.amdhsa_float_denorm_mode_16_64 3
		.amdhsa_dx10_clamp 1
		.amdhsa_ieee_mode 1
		.amdhsa_fp16_overflow 0
		.amdhsa_exception_fp_ieee_invalid_op 0
		.amdhsa_exception_fp_denorm_src 0
		.amdhsa_exception_fp_ieee_div_zero 0
		.amdhsa_exception_fp_ieee_overflow 0
		.amdhsa_exception_fp_ieee_underflow 0
		.amdhsa_exception_fp_ieee_inexact 0
		.amdhsa_exception_int_div_zero 0
	.end_amdhsa_kernel
	.section	.text._ZN7rocprim17ROCPRIM_400000_NS6detail17trampoline_kernelINS0_14default_configENS1_22reduce_config_selectorIN6thrust23THRUST_200600_302600_NS5tupleIllNS6_9null_typeES8_S8_S8_S8_S8_S8_S8_EEEEZNS1_11reduce_implILb0ES3_NS6_12zip_iteratorINS7_INS6_10device_ptrIlEENS6_11hip_rocprim19counting_iterator_tIlEES8_S8_S8_S8_S8_S8_S8_S8_EEEEPS9_S9_NSF_9__extrema9arg_max_fIllNS6_4lessIlEEEEEE10hipError_tPvRmT1_T2_T3_mT4_P12ihipStream_tbEUlT_E1_NS1_11comp_targetILNS1_3genE8ELNS1_11target_archE1030ELNS1_3gpuE2ELNS1_3repE0EEENS1_30default_config_static_selectorELNS0_4arch9wavefront6targetE1EEEvST_,"axG",@progbits,_ZN7rocprim17ROCPRIM_400000_NS6detail17trampoline_kernelINS0_14default_configENS1_22reduce_config_selectorIN6thrust23THRUST_200600_302600_NS5tupleIllNS6_9null_typeES8_S8_S8_S8_S8_S8_S8_EEEEZNS1_11reduce_implILb0ES3_NS6_12zip_iteratorINS7_INS6_10device_ptrIlEENS6_11hip_rocprim19counting_iterator_tIlEES8_S8_S8_S8_S8_S8_S8_S8_EEEEPS9_S9_NSF_9__extrema9arg_max_fIllNS6_4lessIlEEEEEE10hipError_tPvRmT1_T2_T3_mT4_P12ihipStream_tbEUlT_E1_NS1_11comp_targetILNS1_3genE8ELNS1_11target_archE1030ELNS1_3gpuE2ELNS1_3repE0EEENS1_30default_config_static_selectorELNS0_4arch9wavefront6targetE1EEEvST_,comdat
.Lfunc_end438:
	.size	_ZN7rocprim17ROCPRIM_400000_NS6detail17trampoline_kernelINS0_14default_configENS1_22reduce_config_selectorIN6thrust23THRUST_200600_302600_NS5tupleIllNS6_9null_typeES8_S8_S8_S8_S8_S8_S8_EEEEZNS1_11reduce_implILb0ES3_NS6_12zip_iteratorINS7_INS6_10device_ptrIlEENS6_11hip_rocprim19counting_iterator_tIlEES8_S8_S8_S8_S8_S8_S8_S8_EEEEPS9_S9_NSF_9__extrema9arg_max_fIllNS6_4lessIlEEEEEE10hipError_tPvRmT1_T2_T3_mT4_P12ihipStream_tbEUlT_E1_NS1_11comp_targetILNS1_3genE8ELNS1_11target_archE1030ELNS1_3gpuE2ELNS1_3repE0EEENS1_30default_config_static_selectorELNS0_4arch9wavefront6targetE1EEEvST_, .Lfunc_end438-_ZN7rocprim17ROCPRIM_400000_NS6detail17trampoline_kernelINS0_14default_configENS1_22reduce_config_selectorIN6thrust23THRUST_200600_302600_NS5tupleIllNS6_9null_typeES8_S8_S8_S8_S8_S8_S8_EEEEZNS1_11reduce_implILb0ES3_NS6_12zip_iteratorINS7_INS6_10device_ptrIlEENS6_11hip_rocprim19counting_iterator_tIlEES8_S8_S8_S8_S8_S8_S8_S8_EEEEPS9_S9_NSF_9__extrema9arg_max_fIllNS6_4lessIlEEEEEE10hipError_tPvRmT1_T2_T3_mT4_P12ihipStream_tbEUlT_E1_NS1_11comp_targetILNS1_3genE8ELNS1_11target_archE1030ELNS1_3gpuE2ELNS1_3repE0EEENS1_30default_config_static_selectorELNS0_4arch9wavefront6targetE1EEEvST_
                                        ; -- End function
	.set _ZN7rocprim17ROCPRIM_400000_NS6detail17trampoline_kernelINS0_14default_configENS1_22reduce_config_selectorIN6thrust23THRUST_200600_302600_NS5tupleIllNS6_9null_typeES8_S8_S8_S8_S8_S8_S8_EEEEZNS1_11reduce_implILb0ES3_NS6_12zip_iteratorINS7_INS6_10device_ptrIlEENS6_11hip_rocprim19counting_iterator_tIlEES8_S8_S8_S8_S8_S8_S8_S8_EEEEPS9_S9_NSF_9__extrema9arg_max_fIllNS6_4lessIlEEEEEE10hipError_tPvRmT1_T2_T3_mT4_P12ihipStream_tbEUlT_E1_NS1_11comp_targetILNS1_3genE8ELNS1_11target_archE1030ELNS1_3gpuE2ELNS1_3repE0EEENS1_30default_config_static_selectorELNS0_4arch9wavefront6targetE1EEEvST_.num_vgpr, 0
	.set _ZN7rocprim17ROCPRIM_400000_NS6detail17trampoline_kernelINS0_14default_configENS1_22reduce_config_selectorIN6thrust23THRUST_200600_302600_NS5tupleIllNS6_9null_typeES8_S8_S8_S8_S8_S8_S8_EEEEZNS1_11reduce_implILb0ES3_NS6_12zip_iteratorINS7_INS6_10device_ptrIlEENS6_11hip_rocprim19counting_iterator_tIlEES8_S8_S8_S8_S8_S8_S8_S8_EEEEPS9_S9_NSF_9__extrema9arg_max_fIllNS6_4lessIlEEEEEE10hipError_tPvRmT1_T2_T3_mT4_P12ihipStream_tbEUlT_E1_NS1_11comp_targetILNS1_3genE8ELNS1_11target_archE1030ELNS1_3gpuE2ELNS1_3repE0EEENS1_30default_config_static_selectorELNS0_4arch9wavefront6targetE1EEEvST_.num_agpr, 0
	.set _ZN7rocprim17ROCPRIM_400000_NS6detail17trampoline_kernelINS0_14default_configENS1_22reduce_config_selectorIN6thrust23THRUST_200600_302600_NS5tupleIllNS6_9null_typeES8_S8_S8_S8_S8_S8_S8_EEEEZNS1_11reduce_implILb0ES3_NS6_12zip_iteratorINS7_INS6_10device_ptrIlEENS6_11hip_rocprim19counting_iterator_tIlEES8_S8_S8_S8_S8_S8_S8_S8_EEEEPS9_S9_NSF_9__extrema9arg_max_fIllNS6_4lessIlEEEEEE10hipError_tPvRmT1_T2_T3_mT4_P12ihipStream_tbEUlT_E1_NS1_11comp_targetILNS1_3genE8ELNS1_11target_archE1030ELNS1_3gpuE2ELNS1_3repE0EEENS1_30default_config_static_selectorELNS0_4arch9wavefront6targetE1EEEvST_.numbered_sgpr, 0
	.set _ZN7rocprim17ROCPRIM_400000_NS6detail17trampoline_kernelINS0_14default_configENS1_22reduce_config_selectorIN6thrust23THRUST_200600_302600_NS5tupleIllNS6_9null_typeES8_S8_S8_S8_S8_S8_S8_EEEEZNS1_11reduce_implILb0ES3_NS6_12zip_iteratorINS7_INS6_10device_ptrIlEENS6_11hip_rocprim19counting_iterator_tIlEES8_S8_S8_S8_S8_S8_S8_S8_EEEEPS9_S9_NSF_9__extrema9arg_max_fIllNS6_4lessIlEEEEEE10hipError_tPvRmT1_T2_T3_mT4_P12ihipStream_tbEUlT_E1_NS1_11comp_targetILNS1_3genE8ELNS1_11target_archE1030ELNS1_3gpuE2ELNS1_3repE0EEENS1_30default_config_static_selectorELNS0_4arch9wavefront6targetE1EEEvST_.num_named_barrier, 0
	.set _ZN7rocprim17ROCPRIM_400000_NS6detail17trampoline_kernelINS0_14default_configENS1_22reduce_config_selectorIN6thrust23THRUST_200600_302600_NS5tupleIllNS6_9null_typeES8_S8_S8_S8_S8_S8_S8_EEEEZNS1_11reduce_implILb0ES3_NS6_12zip_iteratorINS7_INS6_10device_ptrIlEENS6_11hip_rocprim19counting_iterator_tIlEES8_S8_S8_S8_S8_S8_S8_S8_EEEEPS9_S9_NSF_9__extrema9arg_max_fIllNS6_4lessIlEEEEEE10hipError_tPvRmT1_T2_T3_mT4_P12ihipStream_tbEUlT_E1_NS1_11comp_targetILNS1_3genE8ELNS1_11target_archE1030ELNS1_3gpuE2ELNS1_3repE0EEENS1_30default_config_static_selectorELNS0_4arch9wavefront6targetE1EEEvST_.private_seg_size, 0
	.set _ZN7rocprim17ROCPRIM_400000_NS6detail17trampoline_kernelINS0_14default_configENS1_22reduce_config_selectorIN6thrust23THRUST_200600_302600_NS5tupleIllNS6_9null_typeES8_S8_S8_S8_S8_S8_S8_EEEEZNS1_11reduce_implILb0ES3_NS6_12zip_iteratorINS7_INS6_10device_ptrIlEENS6_11hip_rocprim19counting_iterator_tIlEES8_S8_S8_S8_S8_S8_S8_S8_EEEEPS9_S9_NSF_9__extrema9arg_max_fIllNS6_4lessIlEEEEEE10hipError_tPvRmT1_T2_T3_mT4_P12ihipStream_tbEUlT_E1_NS1_11comp_targetILNS1_3genE8ELNS1_11target_archE1030ELNS1_3gpuE2ELNS1_3repE0EEENS1_30default_config_static_selectorELNS0_4arch9wavefront6targetE1EEEvST_.uses_vcc, 0
	.set _ZN7rocprim17ROCPRIM_400000_NS6detail17trampoline_kernelINS0_14default_configENS1_22reduce_config_selectorIN6thrust23THRUST_200600_302600_NS5tupleIllNS6_9null_typeES8_S8_S8_S8_S8_S8_S8_EEEEZNS1_11reduce_implILb0ES3_NS6_12zip_iteratorINS7_INS6_10device_ptrIlEENS6_11hip_rocprim19counting_iterator_tIlEES8_S8_S8_S8_S8_S8_S8_S8_EEEEPS9_S9_NSF_9__extrema9arg_max_fIllNS6_4lessIlEEEEEE10hipError_tPvRmT1_T2_T3_mT4_P12ihipStream_tbEUlT_E1_NS1_11comp_targetILNS1_3genE8ELNS1_11target_archE1030ELNS1_3gpuE2ELNS1_3repE0EEENS1_30default_config_static_selectorELNS0_4arch9wavefront6targetE1EEEvST_.uses_flat_scratch, 0
	.set _ZN7rocprim17ROCPRIM_400000_NS6detail17trampoline_kernelINS0_14default_configENS1_22reduce_config_selectorIN6thrust23THRUST_200600_302600_NS5tupleIllNS6_9null_typeES8_S8_S8_S8_S8_S8_S8_EEEEZNS1_11reduce_implILb0ES3_NS6_12zip_iteratorINS7_INS6_10device_ptrIlEENS6_11hip_rocprim19counting_iterator_tIlEES8_S8_S8_S8_S8_S8_S8_S8_EEEEPS9_S9_NSF_9__extrema9arg_max_fIllNS6_4lessIlEEEEEE10hipError_tPvRmT1_T2_T3_mT4_P12ihipStream_tbEUlT_E1_NS1_11comp_targetILNS1_3genE8ELNS1_11target_archE1030ELNS1_3gpuE2ELNS1_3repE0EEENS1_30default_config_static_selectorELNS0_4arch9wavefront6targetE1EEEvST_.has_dyn_sized_stack, 0
	.set _ZN7rocprim17ROCPRIM_400000_NS6detail17trampoline_kernelINS0_14default_configENS1_22reduce_config_selectorIN6thrust23THRUST_200600_302600_NS5tupleIllNS6_9null_typeES8_S8_S8_S8_S8_S8_S8_EEEEZNS1_11reduce_implILb0ES3_NS6_12zip_iteratorINS7_INS6_10device_ptrIlEENS6_11hip_rocprim19counting_iterator_tIlEES8_S8_S8_S8_S8_S8_S8_S8_EEEEPS9_S9_NSF_9__extrema9arg_max_fIllNS6_4lessIlEEEEEE10hipError_tPvRmT1_T2_T3_mT4_P12ihipStream_tbEUlT_E1_NS1_11comp_targetILNS1_3genE8ELNS1_11target_archE1030ELNS1_3gpuE2ELNS1_3repE0EEENS1_30default_config_static_selectorELNS0_4arch9wavefront6targetE1EEEvST_.has_recursion, 0
	.set _ZN7rocprim17ROCPRIM_400000_NS6detail17trampoline_kernelINS0_14default_configENS1_22reduce_config_selectorIN6thrust23THRUST_200600_302600_NS5tupleIllNS6_9null_typeES8_S8_S8_S8_S8_S8_S8_EEEEZNS1_11reduce_implILb0ES3_NS6_12zip_iteratorINS7_INS6_10device_ptrIlEENS6_11hip_rocprim19counting_iterator_tIlEES8_S8_S8_S8_S8_S8_S8_S8_EEEEPS9_S9_NSF_9__extrema9arg_max_fIllNS6_4lessIlEEEEEE10hipError_tPvRmT1_T2_T3_mT4_P12ihipStream_tbEUlT_E1_NS1_11comp_targetILNS1_3genE8ELNS1_11target_archE1030ELNS1_3gpuE2ELNS1_3repE0EEENS1_30default_config_static_selectorELNS0_4arch9wavefront6targetE1EEEvST_.has_indirect_call, 0
	.section	.AMDGPU.csdata,"",@progbits
; Kernel info:
; codeLenInByte = 0
; TotalNumSgprs: 4
; NumVgprs: 0
; ScratchSize: 0
; MemoryBound: 0
; FloatMode: 240
; IeeeMode: 1
; LDSByteSize: 0 bytes/workgroup (compile time only)
; SGPRBlocks: 0
; VGPRBlocks: 0
; NumSGPRsForWavesPerEU: 4
; NumVGPRsForWavesPerEU: 1
; Occupancy: 10
; WaveLimiterHint : 0
; COMPUTE_PGM_RSRC2:SCRATCH_EN: 0
; COMPUTE_PGM_RSRC2:USER_SGPR: 6
; COMPUTE_PGM_RSRC2:TRAP_HANDLER: 0
; COMPUTE_PGM_RSRC2:TGID_X_EN: 1
; COMPUTE_PGM_RSRC2:TGID_Y_EN: 0
; COMPUTE_PGM_RSRC2:TGID_Z_EN: 0
; COMPUTE_PGM_RSRC2:TIDIG_COMP_CNT: 0
	.section	.text._ZN6thrust23THRUST_200600_302600_NS11hip_rocprim14__parallel_for6kernelILj256ENS1_10for_each_fINS0_7pointerINS0_5tupleIllNS0_9null_typeES7_S7_S7_S7_S7_S7_S7_EENS0_6detail22execute_with_allocatorIRN2at4cuda15ThrustAllocatorENS1_22execute_on_stream_baseEEENS0_11use_defaultESH_EENS9_16wrapped_functionINS9_23allocator_traits_detail24construct1_via_allocatorINS9_18no_throw_allocatorINS9_19temporary_allocatorIS8_SG_EEEEEEvEEEEmLj1EEEvT0_T1_SU_,"axG",@progbits,_ZN6thrust23THRUST_200600_302600_NS11hip_rocprim14__parallel_for6kernelILj256ENS1_10for_each_fINS0_7pointerINS0_5tupleIllNS0_9null_typeES7_S7_S7_S7_S7_S7_S7_EENS0_6detail22execute_with_allocatorIRN2at4cuda15ThrustAllocatorENS1_22execute_on_stream_baseEEENS0_11use_defaultESH_EENS9_16wrapped_functionINS9_23allocator_traits_detail24construct1_via_allocatorINS9_18no_throw_allocatorINS9_19temporary_allocatorIS8_SG_EEEEEEvEEEEmLj1EEEvT0_T1_SU_,comdat
	.protected	_ZN6thrust23THRUST_200600_302600_NS11hip_rocprim14__parallel_for6kernelILj256ENS1_10for_each_fINS0_7pointerINS0_5tupleIllNS0_9null_typeES7_S7_S7_S7_S7_S7_S7_EENS0_6detail22execute_with_allocatorIRN2at4cuda15ThrustAllocatorENS1_22execute_on_stream_baseEEENS0_11use_defaultESH_EENS9_16wrapped_functionINS9_23allocator_traits_detail24construct1_via_allocatorINS9_18no_throw_allocatorINS9_19temporary_allocatorIS8_SG_EEEEEEvEEEEmLj1EEEvT0_T1_SU_ ; -- Begin function _ZN6thrust23THRUST_200600_302600_NS11hip_rocprim14__parallel_for6kernelILj256ENS1_10for_each_fINS0_7pointerINS0_5tupleIllNS0_9null_typeES7_S7_S7_S7_S7_S7_S7_EENS0_6detail22execute_with_allocatorIRN2at4cuda15ThrustAllocatorENS1_22execute_on_stream_baseEEENS0_11use_defaultESH_EENS9_16wrapped_functionINS9_23allocator_traits_detail24construct1_via_allocatorINS9_18no_throw_allocatorINS9_19temporary_allocatorIS8_SG_EEEEEEvEEEEmLj1EEEvT0_T1_SU_
	.globl	_ZN6thrust23THRUST_200600_302600_NS11hip_rocprim14__parallel_for6kernelILj256ENS1_10for_each_fINS0_7pointerINS0_5tupleIllNS0_9null_typeES7_S7_S7_S7_S7_S7_S7_EENS0_6detail22execute_with_allocatorIRN2at4cuda15ThrustAllocatorENS1_22execute_on_stream_baseEEENS0_11use_defaultESH_EENS9_16wrapped_functionINS9_23allocator_traits_detail24construct1_via_allocatorINS9_18no_throw_allocatorINS9_19temporary_allocatorIS8_SG_EEEEEEvEEEEmLj1EEEvT0_T1_SU_
	.p2align	8
	.type	_ZN6thrust23THRUST_200600_302600_NS11hip_rocprim14__parallel_for6kernelILj256ENS1_10for_each_fINS0_7pointerINS0_5tupleIllNS0_9null_typeES7_S7_S7_S7_S7_S7_S7_EENS0_6detail22execute_with_allocatorIRN2at4cuda15ThrustAllocatorENS1_22execute_on_stream_baseEEENS0_11use_defaultESH_EENS9_16wrapped_functionINS9_23allocator_traits_detail24construct1_via_allocatorINS9_18no_throw_allocatorINS9_19temporary_allocatorIS8_SG_EEEEEEvEEEEmLj1EEEvT0_T1_SU_,@function
_ZN6thrust23THRUST_200600_302600_NS11hip_rocprim14__parallel_for6kernelILj256ENS1_10for_each_fINS0_7pointerINS0_5tupleIllNS0_9null_typeES7_S7_S7_S7_S7_S7_S7_EENS0_6detail22execute_with_allocatorIRN2at4cuda15ThrustAllocatorENS1_22execute_on_stream_baseEEENS0_11use_defaultESH_EENS9_16wrapped_functionINS9_23allocator_traits_detail24construct1_via_allocatorINS9_18no_throw_allocatorINS9_19temporary_allocatorIS8_SG_EEEEEEvEEEEmLj1EEEvT0_T1_SU_: ; @_ZN6thrust23THRUST_200600_302600_NS11hip_rocprim14__parallel_for6kernelILj256ENS1_10for_each_fINS0_7pointerINS0_5tupleIllNS0_9null_typeES7_S7_S7_S7_S7_S7_S7_EENS0_6detail22execute_with_allocatorIRN2at4cuda15ThrustAllocatorENS1_22execute_on_stream_baseEEENS0_11use_defaultESH_EENS9_16wrapped_functionINS9_23allocator_traits_detail24construct1_via_allocatorINS9_18no_throw_allocatorINS9_19temporary_allocatorIS8_SG_EEEEEEvEEEEmLj1EEEvT0_T1_SU_
; %bb.0:
	s_load_dwordx4 s[8:11], s[4:5], 0x10
	s_load_dwordx2 s[0:1], s[4:5], 0x0
	s_lshl_b32 s2, s6, 8
	v_mov_b32_e32 v1, 0xff
	v_mov_b32_e32 v2, 0
	s_waitcnt lgkmcnt(0)
	s_add_u32 s2, s10, s2
	s_addc_u32 s3, s11, 0
	s_sub_u32 s4, s8, s2
	s_subb_u32 s5, s9, s3
	v_cmp_gt_u64_e32 vcc, s[4:5], v[1:2]
	s_mov_b64 s[6:7], -1
	s_cbranch_vccz .LBB439_3
; %bb.1:
	s_andn2_b64 vcc, exec, s[6:7]
	s_cbranch_vccz .LBB439_6
.LBB439_2:
	s_endpgm
.LBB439_3:
	v_cmp_gt_u32_e32 vcc, s4, v0
	s_and_saveexec_b64 s[4:5], vcc
	s_cbranch_execz .LBB439_5
; %bb.4:
	s_lshl_b64 s[6:7], s[2:3], 4
	s_add_u32 s6, s0, s6
	s_addc_u32 s7, s1, s7
	v_lshlrev_b32_e32 v1, 4, v0
	v_mov_b32_e32 v2, s7
	v_add_co_u32_e32 v5, vcc, s6, v1
	v_mov_b32_e32 v1, 0
	v_addc_co_u32_e32 v6, vcc, 0, v2, vcc
	v_mov_b32_e32 v2, v1
	v_mov_b32_e32 v3, v1
	v_mov_b32_e32 v4, v1
	flat_store_dwordx4 v[5:6], v[1:4]
.LBB439_5:
	s_or_b64 exec, exec, s[4:5]
	s_cbranch_execnz .LBB439_2
.LBB439_6:
	s_lshl_b64 s[2:3], s[2:3], 4
	s_add_u32 s0, s0, s2
	s_addc_u32 s1, s1, s3
	v_lshlrev_b32_e32 v0, 4, v0
	v_mov_b32_e32 v1, s1
	v_add_co_u32_e32 v4, vcc, s0, v0
	v_mov_b32_e32 v0, 0
	v_addc_co_u32_e32 v5, vcc, 0, v1, vcc
	v_mov_b32_e32 v1, v0
	v_mov_b32_e32 v2, v0
	;; [unrolled: 1-line block ×3, first 2 shown]
	flat_store_dwordx4 v[4:5], v[0:3]
	s_endpgm
	.section	.rodata,"a",@progbits
	.p2align	6, 0x0
	.amdhsa_kernel _ZN6thrust23THRUST_200600_302600_NS11hip_rocprim14__parallel_for6kernelILj256ENS1_10for_each_fINS0_7pointerINS0_5tupleIllNS0_9null_typeES7_S7_S7_S7_S7_S7_S7_EENS0_6detail22execute_with_allocatorIRN2at4cuda15ThrustAllocatorENS1_22execute_on_stream_baseEEENS0_11use_defaultESH_EENS9_16wrapped_functionINS9_23allocator_traits_detail24construct1_via_allocatorINS9_18no_throw_allocatorINS9_19temporary_allocatorIS8_SG_EEEEEEvEEEEmLj1EEEvT0_T1_SU_
		.amdhsa_group_segment_fixed_size 0
		.amdhsa_private_segment_fixed_size 0
		.amdhsa_kernarg_size 32
		.amdhsa_user_sgpr_count 6
		.amdhsa_user_sgpr_private_segment_buffer 1
		.amdhsa_user_sgpr_dispatch_ptr 0
		.amdhsa_user_sgpr_queue_ptr 0
		.amdhsa_user_sgpr_kernarg_segment_ptr 1
		.amdhsa_user_sgpr_dispatch_id 0
		.amdhsa_user_sgpr_flat_scratch_init 0
		.amdhsa_user_sgpr_private_segment_size 0
		.amdhsa_uses_dynamic_stack 0
		.amdhsa_system_sgpr_private_segment_wavefront_offset 0
		.amdhsa_system_sgpr_workgroup_id_x 1
		.amdhsa_system_sgpr_workgroup_id_y 0
		.amdhsa_system_sgpr_workgroup_id_z 0
		.amdhsa_system_sgpr_workgroup_info 0
		.amdhsa_system_vgpr_workitem_id 0
		.amdhsa_next_free_vgpr 7
		.amdhsa_next_free_sgpr 12
		.amdhsa_reserve_vcc 1
		.amdhsa_reserve_flat_scratch 0
		.amdhsa_float_round_mode_32 0
		.amdhsa_float_round_mode_16_64 0
		.amdhsa_float_denorm_mode_32 3
		.amdhsa_float_denorm_mode_16_64 3
		.amdhsa_dx10_clamp 1
		.amdhsa_ieee_mode 1
		.amdhsa_fp16_overflow 0
		.amdhsa_exception_fp_ieee_invalid_op 0
		.amdhsa_exception_fp_denorm_src 0
		.amdhsa_exception_fp_ieee_div_zero 0
		.amdhsa_exception_fp_ieee_overflow 0
		.amdhsa_exception_fp_ieee_underflow 0
		.amdhsa_exception_fp_ieee_inexact 0
		.amdhsa_exception_int_div_zero 0
	.end_amdhsa_kernel
	.section	.text._ZN6thrust23THRUST_200600_302600_NS11hip_rocprim14__parallel_for6kernelILj256ENS1_10for_each_fINS0_7pointerINS0_5tupleIllNS0_9null_typeES7_S7_S7_S7_S7_S7_S7_EENS0_6detail22execute_with_allocatorIRN2at4cuda15ThrustAllocatorENS1_22execute_on_stream_baseEEENS0_11use_defaultESH_EENS9_16wrapped_functionINS9_23allocator_traits_detail24construct1_via_allocatorINS9_18no_throw_allocatorINS9_19temporary_allocatorIS8_SG_EEEEEEvEEEEmLj1EEEvT0_T1_SU_,"axG",@progbits,_ZN6thrust23THRUST_200600_302600_NS11hip_rocprim14__parallel_for6kernelILj256ENS1_10for_each_fINS0_7pointerINS0_5tupleIllNS0_9null_typeES7_S7_S7_S7_S7_S7_S7_EENS0_6detail22execute_with_allocatorIRN2at4cuda15ThrustAllocatorENS1_22execute_on_stream_baseEEENS0_11use_defaultESH_EENS9_16wrapped_functionINS9_23allocator_traits_detail24construct1_via_allocatorINS9_18no_throw_allocatorINS9_19temporary_allocatorIS8_SG_EEEEEEvEEEEmLj1EEEvT0_T1_SU_,comdat
.Lfunc_end439:
	.size	_ZN6thrust23THRUST_200600_302600_NS11hip_rocprim14__parallel_for6kernelILj256ENS1_10for_each_fINS0_7pointerINS0_5tupleIllNS0_9null_typeES7_S7_S7_S7_S7_S7_S7_EENS0_6detail22execute_with_allocatorIRN2at4cuda15ThrustAllocatorENS1_22execute_on_stream_baseEEENS0_11use_defaultESH_EENS9_16wrapped_functionINS9_23allocator_traits_detail24construct1_via_allocatorINS9_18no_throw_allocatorINS9_19temporary_allocatorIS8_SG_EEEEEEvEEEEmLj1EEEvT0_T1_SU_, .Lfunc_end439-_ZN6thrust23THRUST_200600_302600_NS11hip_rocprim14__parallel_for6kernelILj256ENS1_10for_each_fINS0_7pointerINS0_5tupleIllNS0_9null_typeES7_S7_S7_S7_S7_S7_S7_EENS0_6detail22execute_with_allocatorIRN2at4cuda15ThrustAllocatorENS1_22execute_on_stream_baseEEENS0_11use_defaultESH_EENS9_16wrapped_functionINS9_23allocator_traits_detail24construct1_via_allocatorINS9_18no_throw_allocatorINS9_19temporary_allocatorIS8_SG_EEEEEEvEEEEmLj1EEEvT0_T1_SU_
                                        ; -- End function
	.set _ZN6thrust23THRUST_200600_302600_NS11hip_rocprim14__parallel_for6kernelILj256ENS1_10for_each_fINS0_7pointerINS0_5tupleIllNS0_9null_typeES7_S7_S7_S7_S7_S7_S7_EENS0_6detail22execute_with_allocatorIRN2at4cuda15ThrustAllocatorENS1_22execute_on_stream_baseEEENS0_11use_defaultESH_EENS9_16wrapped_functionINS9_23allocator_traits_detail24construct1_via_allocatorINS9_18no_throw_allocatorINS9_19temporary_allocatorIS8_SG_EEEEEEvEEEEmLj1EEEvT0_T1_SU_.num_vgpr, 7
	.set _ZN6thrust23THRUST_200600_302600_NS11hip_rocprim14__parallel_for6kernelILj256ENS1_10for_each_fINS0_7pointerINS0_5tupleIllNS0_9null_typeES7_S7_S7_S7_S7_S7_S7_EENS0_6detail22execute_with_allocatorIRN2at4cuda15ThrustAllocatorENS1_22execute_on_stream_baseEEENS0_11use_defaultESH_EENS9_16wrapped_functionINS9_23allocator_traits_detail24construct1_via_allocatorINS9_18no_throw_allocatorINS9_19temporary_allocatorIS8_SG_EEEEEEvEEEEmLj1EEEvT0_T1_SU_.num_agpr, 0
	.set _ZN6thrust23THRUST_200600_302600_NS11hip_rocprim14__parallel_for6kernelILj256ENS1_10for_each_fINS0_7pointerINS0_5tupleIllNS0_9null_typeES7_S7_S7_S7_S7_S7_S7_EENS0_6detail22execute_with_allocatorIRN2at4cuda15ThrustAllocatorENS1_22execute_on_stream_baseEEENS0_11use_defaultESH_EENS9_16wrapped_functionINS9_23allocator_traits_detail24construct1_via_allocatorINS9_18no_throw_allocatorINS9_19temporary_allocatorIS8_SG_EEEEEEvEEEEmLj1EEEvT0_T1_SU_.numbered_sgpr, 12
	.set _ZN6thrust23THRUST_200600_302600_NS11hip_rocprim14__parallel_for6kernelILj256ENS1_10for_each_fINS0_7pointerINS0_5tupleIllNS0_9null_typeES7_S7_S7_S7_S7_S7_S7_EENS0_6detail22execute_with_allocatorIRN2at4cuda15ThrustAllocatorENS1_22execute_on_stream_baseEEENS0_11use_defaultESH_EENS9_16wrapped_functionINS9_23allocator_traits_detail24construct1_via_allocatorINS9_18no_throw_allocatorINS9_19temporary_allocatorIS8_SG_EEEEEEvEEEEmLj1EEEvT0_T1_SU_.num_named_barrier, 0
	.set _ZN6thrust23THRUST_200600_302600_NS11hip_rocprim14__parallel_for6kernelILj256ENS1_10for_each_fINS0_7pointerINS0_5tupleIllNS0_9null_typeES7_S7_S7_S7_S7_S7_S7_EENS0_6detail22execute_with_allocatorIRN2at4cuda15ThrustAllocatorENS1_22execute_on_stream_baseEEENS0_11use_defaultESH_EENS9_16wrapped_functionINS9_23allocator_traits_detail24construct1_via_allocatorINS9_18no_throw_allocatorINS9_19temporary_allocatorIS8_SG_EEEEEEvEEEEmLj1EEEvT0_T1_SU_.private_seg_size, 0
	.set _ZN6thrust23THRUST_200600_302600_NS11hip_rocprim14__parallel_for6kernelILj256ENS1_10for_each_fINS0_7pointerINS0_5tupleIllNS0_9null_typeES7_S7_S7_S7_S7_S7_S7_EENS0_6detail22execute_with_allocatorIRN2at4cuda15ThrustAllocatorENS1_22execute_on_stream_baseEEENS0_11use_defaultESH_EENS9_16wrapped_functionINS9_23allocator_traits_detail24construct1_via_allocatorINS9_18no_throw_allocatorINS9_19temporary_allocatorIS8_SG_EEEEEEvEEEEmLj1EEEvT0_T1_SU_.uses_vcc, 1
	.set _ZN6thrust23THRUST_200600_302600_NS11hip_rocprim14__parallel_for6kernelILj256ENS1_10for_each_fINS0_7pointerINS0_5tupleIllNS0_9null_typeES7_S7_S7_S7_S7_S7_S7_EENS0_6detail22execute_with_allocatorIRN2at4cuda15ThrustAllocatorENS1_22execute_on_stream_baseEEENS0_11use_defaultESH_EENS9_16wrapped_functionINS9_23allocator_traits_detail24construct1_via_allocatorINS9_18no_throw_allocatorINS9_19temporary_allocatorIS8_SG_EEEEEEvEEEEmLj1EEEvT0_T1_SU_.uses_flat_scratch, 0
	.set _ZN6thrust23THRUST_200600_302600_NS11hip_rocprim14__parallel_for6kernelILj256ENS1_10for_each_fINS0_7pointerINS0_5tupleIllNS0_9null_typeES7_S7_S7_S7_S7_S7_S7_EENS0_6detail22execute_with_allocatorIRN2at4cuda15ThrustAllocatorENS1_22execute_on_stream_baseEEENS0_11use_defaultESH_EENS9_16wrapped_functionINS9_23allocator_traits_detail24construct1_via_allocatorINS9_18no_throw_allocatorINS9_19temporary_allocatorIS8_SG_EEEEEEvEEEEmLj1EEEvT0_T1_SU_.has_dyn_sized_stack, 0
	.set _ZN6thrust23THRUST_200600_302600_NS11hip_rocprim14__parallel_for6kernelILj256ENS1_10for_each_fINS0_7pointerINS0_5tupleIllNS0_9null_typeES7_S7_S7_S7_S7_S7_S7_EENS0_6detail22execute_with_allocatorIRN2at4cuda15ThrustAllocatorENS1_22execute_on_stream_baseEEENS0_11use_defaultESH_EENS9_16wrapped_functionINS9_23allocator_traits_detail24construct1_via_allocatorINS9_18no_throw_allocatorINS9_19temporary_allocatorIS8_SG_EEEEEEvEEEEmLj1EEEvT0_T1_SU_.has_recursion, 0
	.set _ZN6thrust23THRUST_200600_302600_NS11hip_rocprim14__parallel_for6kernelILj256ENS1_10for_each_fINS0_7pointerINS0_5tupleIllNS0_9null_typeES7_S7_S7_S7_S7_S7_S7_EENS0_6detail22execute_with_allocatorIRN2at4cuda15ThrustAllocatorENS1_22execute_on_stream_baseEEENS0_11use_defaultESH_EENS9_16wrapped_functionINS9_23allocator_traits_detail24construct1_via_allocatorINS9_18no_throw_allocatorINS9_19temporary_allocatorIS8_SG_EEEEEEvEEEEmLj1EEEvT0_T1_SU_.has_indirect_call, 0
	.section	.AMDGPU.csdata,"",@progbits
; Kernel info:
; codeLenInByte = 204
; TotalNumSgprs: 16
; NumVgprs: 7
; ScratchSize: 0
; MemoryBound: 0
; FloatMode: 240
; IeeeMode: 1
; LDSByteSize: 0 bytes/workgroup (compile time only)
; SGPRBlocks: 1
; VGPRBlocks: 1
; NumSGPRsForWavesPerEU: 16
; NumVGPRsForWavesPerEU: 7
; Occupancy: 10
; WaveLimiterHint : 0
; COMPUTE_PGM_RSRC2:SCRATCH_EN: 0
; COMPUTE_PGM_RSRC2:USER_SGPR: 6
; COMPUTE_PGM_RSRC2:TRAP_HANDLER: 0
; COMPUTE_PGM_RSRC2:TGID_X_EN: 1
; COMPUTE_PGM_RSRC2:TGID_Y_EN: 0
; COMPUTE_PGM_RSRC2:TGID_Z_EN: 0
; COMPUTE_PGM_RSRC2:TIDIG_COMP_CNT: 0
	.section	.text._ZN6thrust23THRUST_200600_302600_NS11hip_rocprim14__parallel_for6kernelILj256ENS1_10for_each_fINS0_7pointerINS0_5tupleIllNS0_9null_typeES7_S7_S7_S7_S7_S7_S7_EENS0_6detail22execute_with_allocatorIRN2at4cuda15ThrustAllocatorENS1_22execute_on_stream_baseEEENS0_11use_defaultESH_EENS9_16wrapped_functionINS9_23allocator_traits_detail5gozerEvEEEElLj1EEEvT0_T1_SP_,"axG",@progbits,_ZN6thrust23THRUST_200600_302600_NS11hip_rocprim14__parallel_for6kernelILj256ENS1_10for_each_fINS0_7pointerINS0_5tupleIllNS0_9null_typeES7_S7_S7_S7_S7_S7_S7_EENS0_6detail22execute_with_allocatorIRN2at4cuda15ThrustAllocatorENS1_22execute_on_stream_baseEEENS0_11use_defaultESH_EENS9_16wrapped_functionINS9_23allocator_traits_detail5gozerEvEEEElLj1EEEvT0_T1_SP_,comdat
	.protected	_ZN6thrust23THRUST_200600_302600_NS11hip_rocprim14__parallel_for6kernelILj256ENS1_10for_each_fINS0_7pointerINS0_5tupleIllNS0_9null_typeES7_S7_S7_S7_S7_S7_S7_EENS0_6detail22execute_with_allocatorIRN2at4cuda15ThrustAllocatorENS1_22execute_on_stream_baseEEENS0_11use_defaultESH_EENS9_16wrapped_functionINS9_23allocator_traits_detail5gozerEvEEEElLj1EEEvT0_T1_SP_ ; -- Begin function _ZN6thrust23THRUST_200600_302600_NS11hip_rocprim14__parallel_for6kernelILj256ENS1_10for_each_fINS0_7pointerINS0_5tupleIllNS0_9null_typeES7_S7_S7_S7_S7_S7_S7_EENS0_6detail22execute_with_allocatorIRN2at4cuda15ThrustAllocatorENS1_22execute_on_stream_baseEEENS0_11use_defaultESH_EENS9_16wrapped_functionINS9_23allocator_traits_detail5gozerEvEEEElLj1EEEvT0_T1_SP_
	.globl	_ZN6thrust23THRUST_200600_302600_NS11hip_rocprim14__parallel_for6kernelILj256ENS1_10for_each_fINS0_7pointerINS0_5tupleIllNS0_9null_typeES7_S7_S7_S7_S7_S7_S7_EENS0_6detail22execute_with_allocatorIRN2at4cuda15ThrustAllocatorENS1_22execute_on_stream_baseEEENS0_11use_defaultESH_EENS9_16wrapped_functionINS9_23allocator_traits_detail5gozerEvEEEElLj1EEEvT0_T1_SP_
	.p2align	8
	.type	_ZN6thrust23THRUST_200600_302600_NS11hip_rocprim14__parallel_for6kernelILj256ENS1_10for_each_fINS0_7pointerINS0_5tupleIllNS0_9null_typeES7_S7_S7_S7_S7_S7_S7_EENS0_6detail22execute_with_allocatorIRN2at4cuda15ThrustAllocatorENS1_22execute_on_stream_baseEEENS0_11use_defaultESH_EENS9_16wrapped_functionINS9_23allocator_traits_detail5gozerEvEEEElLj1EEEvT0_T1_SP_,@function
_ZN6thrust23THRUST_200600_302600_NS11hip_rocprim14__parallel_for6kernelILj256ENS1_10for_each_fINS0_7pointerINS0_5tupleIllNS0_9null_typeES7_S7_S7_S7_S7_S7_S7_EENS0_6detail22execute_with_allocatorIRN2at4cuda15ThrustAllocatorENS1_22execute_on_stream_baseEEENS0_11use_defaultESH_EENS9_16wrapped_functionINS9_23allocator_traits_detail5gozerEvEEEElLj1EEEvT0_T1_SP_: ; @_ZN6thrust23THRUST_200600_302600_NS11hip_rocprim14__parallel_for6kernelILj256ENS1_10for_each_fINS0_7pointerINS0_5tupleIllNS0_9null_typeES7_S7_S7_S7_S7_S7_S7_EENS0_6detail22execute_with_allocatorIRN2at4cuda15ThrustAllocatorENS1_22execute_on_stream_baseEEENS0_11use_defaultESH_EENS9_16wrapped_functionINS9_23allocator_traits_detail5gozerEvEEEElLj1EEEvT0_T1_SP_
; %bb.0:
	s_endpgm
	.section	.rodata,"a",@progbits
	.p2align	6, 0x0
	.amdhsa_kernel _ZN6thrust23THRUST_200600_302600_NS11hip_rocprim14__parallel_for6kernelILj256ENS1_10for_each_fINS0_7pointerINS0_5tupleIllNS0_9null_typeES7_S7_S7_S7_S7_S7_S7_EENS0_6detail22execute_with_allocatorIRN2at4cuda15ThrustAllocatorENS1_22execute_on_stream_baseEEENS0_11use_defaultESH_EENS9_16wrapped_functionINS9_23allocator_traits_detail5gozerEvEEEElLj1EEEvT0_T1_SP_
		.amdhsa_group_segment_fixed_size 0
		.amdhsa_private_segment_fixed_size 0
		.amdhsa_kernarg_size 32
		.amdhsa_user_sgpr_count 6
		.amdhsa_user_sgpr_private_segment_buffer 1
		.amdhsa_user_sgpr_dispatch_ptr 0
		.amdhsa_user_sgpr_queue_ptr 0
		.amdhsa_user_sgpr_kernarg_segment_ptr 1
		.amdhsa_user_sgpr_dispatch_id 0
		.amdhsa_user_sgpr_flat_scratch_init 0
		.amdhsa_user_sgpr_private_segment_size 0
		.amdhsa_uses_dynamic_stack 0
		.amdhsa_system_sgpr_private_segment_wavefront_offset 0
		.amdhsa_system_sgpr_workgroup_id_x 1
		.amdhsa_system_sgpr_workgroup_id_y 0
		.amdhsa_system_sgpr_workgroup_id_z 0
		.amdhsa_system_sgpr_workgroup_info 0
		.amdhsa_system_vgpr_workitem_id 0
		.amdhsa_next_free_vgpr 1
		.amdhsa_next_free_sgpr 0
		.amdhsa_reserve_vcc 0
		.amdhsa_reserve_flat_scratch 0
		.amdhsa_float_round_mode_32 0
		.amdhsa_float_round_mode_16_64 0
		.amdhsa_float_denorm_mode_32 3
		.amdhsa_float_denorm_mode_16_64 3
		.amdhsa_dx10_clamp 1
		.amdhsa_ieee_mode 1
		.amdhsa_fp16_overflow 0
		.amdhsa_exception_fp_ieee_invalid_op 0
		.amdhsa_exception_fp_denorm_src 0
		.amdhsa_exception_fp_ieee_div_zero 0
		.amdhsa_exception_fp_ieee_overflow 0
		.amdhsa_exception_fp_ieee_underflow 0
		.amdhsa_exception_fp_ieee_inexact 0
		.amdhsa_exception_int_div_zero 0
	.end_amdhsa_kernel
	.section	.text._ZN6thrust23THRUST_200600_302600_NS11hip_rocprim14__parallel_for6kernelILj256ENS1_10for_each_fINS0_7pointerINS0_5tupleIllNS0_9null_typeES7_S7_S7_S7_S7_S7_S7_EENS0_6detail22execute_with_allocatorIRN2at4cuda15ThrustAllocatorENS1_22execute_on_stream_baseEEENS0_11use_defaultESH_EENS9_16wrapped_functionINS9_23allocator_traits_detail5gozerEvEEEElLj1EEEvT0_T1_SP_,"axG",@progbits,_ZN6thrust23THRUST_200600_302600_NS11hip_rocprim14__parallel_for6kernelILj256ENS1_10for_each_fINS0_7pointerINS0_5tupleIllNS0_9null_typeES7_S7_S7_S7_S7_S7_S7_EENS0_6detail22execute_with_allocatorIRN2at4cuda15ThrustAllocatorENS1_22execute_on_stream_baseEEENS0_11use_defaultESH_EENS9_16wrapped_functionINS9_23allocator_traits_detail5gozerEvEEEElLj1EEEvT0_T1_SP_,comdat
.Lfunc_end440:
	.size	_ZN6thrust23THRUST_200600_302600_NS11hip_rocprim14__parallel_for6kernelILj256ENS1_10for_each_fINS0_7pointerINS0_5tupleIllNS0_9null_typeES7_S7_S7_S7_S7_S7_S7_EENS0_6detail22execute_with_allocatorIRN2at4cuda15ThrustAllocatorENS1_22execute_on_stream_baseEEENS0_11use_defaultESH_EENS9_16wrapped_functionINS9_23allocator_traits_detail5gozerEvEEEElLj1EEEvT0_T1_SP_, .Lfunc_end440-_ZN6thrust23THRUST_200600_302600_NS11hip_rocprim14__parallel_for6kernelILj256ENS1_10for_each_fINS0_7pointerINS0_5tupleIllNS0_9null_typeES7_S7_S7_S7_S7_S7_S7_EENS0_6detail22execute_with_allocatorIRN2at4cuda15ThrustAllocatorENS1_22execute_on_stream_baseEEENS0_11use_defaultESH_EENS9_16wrapped_functionINS9_23allocator_traits_detail5gozerEvEEEElLj1EEEvT0_T1_SP_
                                        ; -- End function
	.set _ZN6thrust23THRUST_200600_302600_NS11hip_rocprim14__parallel_for6kernelILj256ENS1_10for_each_fINS0_7pointerINS0_5tupleIllNS0_9null_typeES7_S7_S7_S7_S7_S7_S7_EENS0_6detail22execute_with_allocatorIRN2at4cuda15ThrustAllocatorENS1_22execute_on_stream_baseEEENS0_11use_defaultESH_EENS9_16wrapped_functionINS9_23allocator_traits_detail5gozerEvEEEElLj1EEEvT0_T1_SP_.num_vgpr, 0
	.set _ZN6thrust23THRUST_200600_302600_NS11hip_rocprim14__parallel_for6kernelILj256ENS1_10for_each_fINS0_7pointerINS0_5tupleIllNS0_9null_typeES7_S7_S7_S7_S7_S7_S7_EENS0_6detail22execute_with_allocatorIRN2at4cuda15ThrustAllocatorENS1_22execute_on_stream_baseEEENS0_11use_defaultESH_EENS9_16wrapped_functionINS9_23allocator_traits_detail5gozerEvEEEElLj1EEEvT0_T1_SP_.num_agpr, 0
	.set _ZN6thrust23THRUST_200600_302600_NS11hip_rocprim14__parallel_for6kernelILj256ENS1_10for_each_fINS0_7pointerINS0_5tupleIllNS0_9null_typeES7_S7_S7_S7_S7_S7_S7_EENS0_6detail22execute_with_allocatorIRN2at4cuda15ThrustAllocatorENS1_22execute_on_stream_baseEEENS0_11use_defaultESH_EENS9_16wrapped_functionINS9_23allocator_traits_detail5gozerEvEEEElLj1EEEvT0_T1_SP_.numbered_sgpr, 0
	.set _ZN6thrust23THRUST_200600_302600_NS11hip_rocprim14__parallel_for6kernelILj256ENS1_10for_each_fINS0_7pointerINS0_5tupleIllNS0_9null_typeES7_S7_S7_S7_S7_S7_S7_EENS0_6detail22execute_with_allocatorIRN2at4cuda15ThrustAllocatorENS1_22execute_on_stream_baseEEENS0_11use_defaultESH_EENS9_16wrapped_functionINS9_23allocator_traits_detail5gozerEvEEEElLj1EEEvT0_T1_SP_.num_named_barrier, 0
	.set _ZN6thrust23THRUST_200600_302600_NS11hip_rocprim14__parallel_for6kernelILj256ENS1_10for_each_fINS0_7pointerINS0_5tupleIllNS0_9null_typeES7_S7_S7_S7_S7_S7_S7_EENS0_6detail22execute_with_allocatorIRN2at4cuda15ThrustAllocatorENS1_22execute_on_stream_baseEEENS0_11use_defaultESH_EENS9_16wrapped_functionINS9_23allocator_traits_detail5gozerEvEEEElLj1EEEvT0_T1_SP_.private_seg_size, 0
	.set _ZN6thrust23THRUST_200600_302600_NS11hip_rocprim14__parallel_for6kernelILj256ENS1_10for_each_fINS0_7pointerINS0_5tupleIllNS0_9null_typeES7_S7_S7_S7_S7_S7_S7_EENS0_6detail22execute_with_allocatorIRN2at4cuda15ThrustAllocatorENS1_22execute_on_stream_baseEEENS0_11use_defaultESH_EENS9_16wrapped_functionINS9_23allocator_traits_detail5gozerEvEEEElLj1EEEvT0_T1_SP_.uses_vcc, 0
	.set _ZN6thrust23THRUST_200600_302600_NS11hip_rocprim14__parallel_for6kernelILj256ENS1_10for_each_fINS0_7pointerINS0_5tupleIllNS0_9null_typeES7_S7_S7_S7_S7_S7_S7_EENS0_6detail22execute_with_allocatorIRN2at4cuda15ThrustAllocatorENS1_22execute_on_stream_baseEEENS0_11use_defaultESH_EENS9_16wrapped_functionINS9_23allocator_traits_detail5gozerEvEEEElLj1EEEvT0_T1_SP_.uses_flat_scratch, 0
	.set _ZN6thrust23THRUST_200600_302600_NS11hip_rocprim14__parallel_for6kernelILj256ENS1_10for_each_fINS0_7pointerINS0_5tupleIllNS0_9null_typeES7_S7_S7_S7_S7_S7_S7_EENS0_6detail22execute_with_allocatorIRN2at4cuda15ThrustAllocatorENS1_22execute_on_stream_baseEEENS0_11use_defaultESH_EENS9_16wrapped_functionINS9_23allocator_traits_detail5gozerEvEEEElLj1EEEvT0_T1_SP_.has_dyn_sized_stack, 0
	.set _ZN6thrust23THRUST_200600_302600_NS11hip_rocprim14__parallel_for6kernelILj256ENS1_10for_each_fINS0_7pointerINS0_5tupleIllNS0_9null_typeES7_S7_S7_S7_S7_S7_S7_EENS0_6detail22execute_with_allocatorIRN2at4cuda15ThrustAllocatorENS1_22execute_on_stream_baseEEENS0_11use_defaultESH_EENS9_16wrapped_functionINS9_23allocator_traits_detail5gozerEvEEEElLj1EEEvT0_T1_SP_.has_recursion, 0
	.set _ZN6thrust23THRUST_200600_302600_NS11hip_rocprim14__parallel_for6kernelILj256ENS1_10for_each_fINS0_7pointerINS0_5tupleIllNS0_9null_typeES7_S7_S7_S7_S7_S7_S7_EENS0_6detail22execute_with_allocatorIRN2at4cuda15ThrustAllocatorENS1_22execute_on_stream_baseEEENS0_11use_defaultESH_EENS9_16wrapped_functionINS9_23allocator_traits_detail5gozerEvEEEElLj1EEEvT0_T1_SP_.has_indirect_call, 0
	.section	.AMDGPU.csdata,"",@progbits
; Kernel info:
; codeLenInByte = 4
; TotalNumSgprs: 4
; NumVgprs: 0
; ScratchSize: 0
; MemoryBound: 0
; FloatMode: 240
; IeeeMode: 1
; LDSByteSize: 0 bytes/workgroup (compile time only)
; SGPRBlocks: 0
; VGPRBlocks: 0
; NumSGPRsForWavesPerEU: 4
; NumVGPRsForWavesPerEU: 1
; Occupancy: 10
; WaveLimiterHint : 0
; COMPUTE_PGM_RSRC2:SCRATCH_EN: 0
; COMPUTE_PGM_RSRC2:USER_SGPR: 6
; COMPUTE_PGM_RSRC2:TRAP_HANDLER: 0
; COMPUTE_PGM_RSRC2:TGID_X_EN: 1
; COMPUTE_PGM_RSRC2:TGID_Y_EN: 0
; COMPUTE_PGM_RSRC2:TGID_Z_EN: 0
; COMPUTE_PGM_RSRC2:TIDIG_COMP_CNT: 0
	.section	.text._ZN6thrust23THRUST_200600_302600_NS11hip_rocprim14__parallel_for6kernelILj256ENS1_20__uninitialized_copy7functorIPNS0_5tupleIllNS0_9null_typeES7_S7_S7_S7_S7_S7_S7_EENS0_7pointerIS8_NS0_6detail22execute_with_allocatorIRN2at4cuda15ThrustAllocatorENS1_22execute_on_stream_baseEEENS0_11use_defaultESJ_EEEEmLj1EEEvT0_T1_SN_,"axG",@progbits,_ZN6thrust23THRUST_200600_302600_NS11hip_rocprim14__parallel_for6kernelILj256ENS1_20__uninitialized_copy7functorIPNS0_5tupleIllNS0_9null_typeES7_S7_S7_S7_S7_S7_S7_EENS0_7pointerIS8_NS0_6detail22execute_with_allocatorIRN2at4cuda15ThrustAllocatorENS1_22execute_on_stream_baseEEENS0_11use_defaultESJ_EEEEmLj1EEEvT0_T1_SN_,comdat
	.protected	_ZN6thrust23THRUST_200600_302600_NS11hip_rocprim14__parallel_for6kernelILj256ENS1_20__uninitialized_copy7functorIPNS0_5tupleIllNS0_9null_typeES7_S7_S7_S7_S7_S7_S7_EENS0_7pointerIS8_NS0_6detail22execute_with_allocatorIRN2at4cuda15ThrustAllocatorENS1_22execute_on_stream_baseEEENS0_11use_defaultESJ_EEEEmLj1EEEvT0_T1_SN_ ; -- Begin function _ZN6thrust23THRUST_200600_302600_NS11hip_rocprim14__parallel_for6kernelILj256ENS1_20__uninitialized_copy7functorIPNS0_5tupleIllNS0_9null_typeES7_S7_S7_S7_S7_S7_S7_EENS0_7pointerIS8_NS0_6detail22execute_with_allocatorIRN2at4cuda15ThrustAllocatorENS1_22execute_on_stream_baseEEENS0_11use_defaultESJ_EEEEmLj1EEEvT0_T1_SN_
	.globl	_ZN6thrust23THRUST_200600_302600_NS11hip_rocprim14__parallel_for6kernelILj256ENS1_20__uninitialized_copy7functorIPNS0_5tupleIllNS0_9null_typeES7_S7_S7_S7_S7_S7_S7_EENS0_7pointerIS8_NS0_6detail22execute_with_allocatorIRN2at4cuda15ThrustAllocatorENS1_22execute_on_stream_baseEEENS0_11use_defaultESJ_EEEEmLj1EEEvT0_T1_SN_
	.p2align	8
	.type	_ZN6thrust23THRUST_200600_302600_NS11hip_rocprim14__parallel_for6kernelILj256ENS1_20__uninitialized_copy7functorIPNS0_5tupleIllNS0_9null_typeES7_S7_S7_S7_S7_S7_S7_EENS0_7pointerIS8_NS0_6detail22execute_with_allocatorIRN2at4cuda15ThrustAllocatorENS1_22execute_on_stream_baseEEENS0_11use_defaultESJ_EEEEmLj1EEEvT0_T1_SN_,@function
_ZN6thrust23THRUST_200600_302600_NS11hip_rocprim14__parallel_for6kernelILj256ENS1_20__uninitialized_copy7functorIPNS0_5tupleIllNS0_9null_typeES7_S7_S7_S7_S7_S7_S7_EENS0_7pointerIS8_NS0_6detail22execute_with_allocatorIRN2at4cuda15ThrustAllocatorENS1_22execute_on_stream_baseEEENS0_11use_defaultESJ_EEEEmLj1EEEvT0_T1_SN_: ; @_ZN6thrust23THRUST_200600_302600_NS11hip_rocprim14__parallel_for6kernelILj256ENS1_20__uninitialized_copy7functorIPNS0_5tupleIllNS0_9null_typeES7_S7_S7_S7_S7_S7_S7_EENS0_7pointerIS8_NS0_6detail22execute_with_allocatorIRN2at4cuda15ThrustAllocatorENS1_22execute_on_stream_baseEEENS0_11use_defaultESJ_EEEEmLj1EEEvT0_T1_SN_
; %bb.0:
	s_load_dwordx8 s[8:15], s[4:5], 0x0
	s_lshl_b32 s0, s6, 8
	v_mov_b32_e32 v1, 0xff
	v_mov_b32_e32 v2, 0
	s_waitcnt lgkmcnt(0)
	s_add_u32 s4, s14, s0
	s_addc_u32 s5, s15, 0
	s_sub_u32 s0, s12, s4
	s_subb_u32 s1, s13, s5
	v_cmp_gt_u64_e32 vcc, s[0:1], v[1:2]
	s_cbranch_vccnz .LBB441_2
; %bb.1:
	v_cmp_gt_u32_e32 vcc, s0, v0
	s_and_b64 s[0:1], vcc, exec
	s_cbranch_execz .LBB441_3
	s_branch .LBB441_4
.LBB441_2:
	s_mov_b64 s[0:1], 0
.LBB441_3:
	s_or_b64 s[0:1], s[0:1], exec
.LBB441_4:
	s_and_saveexec_b64 s[2:3], s[0:1]
	s_cbranch_execnz .LBB441_6
; %bb.5:
	s_endpgm
.LBB441_6:
	v_mov_b32_e32 v1, s5
	v_add_co_u32_e32 v0, vcc, s4, v0
	v_addc_co_u32_e32 v1, vcc, 0, v1, vcc
	v_lshlrev_b64 v[4:5], 4, v[0:1]
	v_mov_b32_e32 v1, s9
	v_add_co_u32_e32 v0, vcc, s8, v4
	v_addc_co_u32_e32 v1, vcc, v1, v5, vcc
	global_load_dwordx4 v[0:3], v[0:1], off
	v_mov_b32_e32 v6, s11
	v_add_co_u32_e32 v4, vcc, s10, v4
	v_addc_co_u32_e32 v5, vcc, v6, v5, vcc
	s_waitcnt vmcnt(0)
	flat_store_dwordx4 v[4:5], v[0:3]
	s_endpgm
	.section	.rodata,"a",@progbits
	.p2align	6, 0x0
	.amdhsa_kernel _ZN6thrust23THRUST_200600_302600_NS11hip_rocprim14__parallel_for6kernelILj256ENS1_20__uninitialized_copy7functorIPNS0_5tupleIllNS0_9null_typeES7_S7_S7_S7_S7_S7_S7_EENS0_7pointerIS8_NS0_6detail22execute_with_allocatorIRN2at4cuda15ThrustAllocatorENS1_22execute_on_stream_baseEEENS0_11use_defaultESJ_EEEEmLj1EEEvT0_T1_SN_
		.amdhsa_group_segment_fixed_size 0
		.amdhsa_private_segment_fixed_size 0
		.amdhsa_kernarg_size 32
		.amdhsa_user_sgpr_count 6
		.amdhsa_user_sgpr_private_segment_buffer 1
		.amdhsa_user_sgpr_dispatch_ptr 0
		.amdhsa_user_sgpr_queue_ptr 0
		.amdhsa_user_sgpr_kernarg_segment_ptr 1
		.amdhsa_user_sgpr_dispatch_id 0
		.amdhsa_user_sgpr_flat_scratch_init 0
		.amdhsa_user_sgpr_private_segment_size 0
		.amdhsa_uses_dynamic_stack 0
		.amdhsa_system_sgpr_private_segment_wavefront_offset 0
		.amdhsa_system_sgpr_workgroup_id_x 1
		.amdhsa_system_sgpr_workgroup_id_y 0
		.amdhsa_system_sgpr_workgroup_id_z 0
		.amdhsa_system_sgpr_workgroup_info 0
		.amdhsa_system_vgpr_workitem_id 0
		.amdhsa_next_free_vgpr 7
		.amdhsa_next_free_sgpr 16
		.amdhsa_reserve_vcc 1
		.amdhsa_reserve_flat_scratch 0
		.amdhsa_float_round_mode_32 0
		.amdhsa_float_round_mode_16_64 0
		.amdhsa_float_denorm_mode_32 3
		.amdhsa_float_denorm_mode_16_64 3
		.amdhsa_dx10_clamp 1
		.amdhsa_ieee_mode 1
		.amdhsa_fp16_overflow 0
		.amdhsa_exception_fp_ieee_invalid_op 0
		.amdhsa_exception_fp_denorm_src 0
		.amdhsa_exception_fp_ieee_div_zero 0
		.amdhsa_exception_fp_ieee_overflow 0
		.amdhsa_exception_fp_ieee_underflow 0
		.amdhsa_exception_fp_ieee_inexact 0
		.amdhsa_exception_int_div_zero 0
	.end_amdhsa_kernel
	.section	.text._ZN6thrust23THRUST_200600_302600_NS11hip_rocprim14__parallel_for6kernelILj256ENS1_20__uninitialized_copy7functorIPNS0_5tupleIllNS0_9null_typeES7_S7_S7_S7_S7_S7_S7_EENS0_7pointerIS8_NS0_6detail22execute_with_allocatorIRN2at4cuda15ThrustAllocatorENS1_22execute_on_stream_baseEEENS0_11use_defaultESJ_EEEEmLj1EEEvT0_T1_SN_,"axG",@progbits,_ZN6thrust23THRUST_200600_302600_NS11hip_rocprim14__parallel_for6kernelILj256ENS1_20__uninitialized_copy7functorIPNS0_5tupleIllNS0_9null_typeES7_S7_S7_S7_S7_S7_S7_EENS0_7pointerIS8_NS0_6detail22execute_with_allocatorIRN2at4cuda15ThrustAllocatorENS1_22execute_on_stream_baseEEENS0_11use_defaultESJ_EEEEmLj1EEEvT0_T1_SN_,comdat
.Lfunc_end441:
	.size	_ZN6thrust23THRUST_200600_302600_NS11hip_rocprim14__parallel_for6kernelILj256ENS1_20__uninitialized_copy7functorIPNS0_5tupleIllNS0_9null_typeES7_S7_S7_S7_S7_S7_S7_EENS0_7pointerIS8_NS0_6detail22execute_with_allocatorIRN2at4cuda15ThrustAllocatorENS1_22execute_on_stream_baseEEENS0_11use_defaultESJ_EEEEmLj1EEEvT0_T1_SN_, .Lfunc_end441-_ZN6thrust23THRUST_200600_302600_NS11hip_rocprim14__parallel_for6kernelILj256ENS1_20__uninitialized_copy7functorIPNS0_5tupleIllNS0_9null_typeES7_S7_S7_S7_S7_S7_S7_EENS0_7pointerIS8_NS0_6detail22execute_with_allocatorIRN2at4cuda15ThrustAllocatorENS1_22execute_on_stream_baseEEENS0_11use_defaultESJ_EEEEmLj1EEEvT0_T1_SN_
                                        ; -- End function
	.set _ZN6thrust23THRUST_200600_302600_NS11hip_rocprim14__parallel_for6kernelILj256ENS1_20__uninitialized_copy7functorIPNS0_5tupleIllNS0_9null_typeES7_S7_S7_S7_S7_S7_S7_EENS0_7pointerIS8_NS0_6detail22execute_with_allocatorIRN2at4cuda15ThrustAllocatorENS1_22execute_on_stream_baseEEENS0_11use_defaultESJ_EEEEmLj1EEEvT0_T1_SN_.num_vgpr, 7
	.set _ZN6thrust23THRUST_200600_302600_NS11hip_rocprim14__parallel_for6kernelILj256ENS1_20__uninitialized_copy7functorIPNS0_5tupleIllNS0_9null_typeES7_S7_S7_S7_S7_S7_S7_EENS0_7pointerIS8_NS0_6detail22execute_with_allocatorIRN2at4cuda15ThrustAllocatorENS1_22execute_on_stream_baseEEENS0_11use_defaultESJ_EEEEmLj1EEEvT0_T1_SN_.num_agpr, 0
	.set _ZN6thrust23THRUST_200600_302600_NS11hip_rocprim14__parallel_for6kernelILj256ENS1_20__uninitialized_copy7functorIPNS0_5tupleIllNS0_9null_typeES7_S7_S7_S7_S7_S7_S7_EENS0_7pointerIS8_NS0_6detail22execute_with_allocatorIRN2at4cuda15ThrustAllocatorENS1_22execute_on_stream_baseEEENS0_11use_defaultESJ_EEEEmLj1EEEvT0_T1_SN_.numbered_sgpr, 16
	.set _ZN6thrust23THRUST_200600_302600_NS11hip_rocprim14__parallel_for6kernelILj256ENS1_20__uninitialized_copy7functorIPNS0_5tupleIllNS0_9null_typeES7_S7_S7_S7_S7_S7_S7_EENS0_7pointerIS8_NS0_6detail22execute_with_allocatorIRN2at4cuda15ThrustAllocatorENS1_22execute_on_stream_baseEEENS0_11use_defaultESJ_EEEEmLj1EEEvT0_T1_SN_.num_named_barrier, 0
	.set _ZN6thrust23THRUST_200600_302600_NS11hip_rocprim14__parallel_for6kernelILj256ENS1_20__uninitialized_copy7functorIPNS0_5tupleIllNS0_9null_typeES7_S7_S7_S7_S7_S7_S7_EENS0_7pointerIS8_NS0_6detail22execute_with_allocatorIRN2at4cuda15ThrustAllocatorENS1_22execute_on_stream_baseEEENS0_11use_defaultESJ_EEEEmLj1EEEvT0_T1_SN_.private_seg_size, 0
	.set _ZN6thrust23THRUST_200600_302600_NS11hip_rocprim14__parallel_for6kernelILj256ENS1_20__uninitialized_copy7functorIPNS0_5tupleIllNS0_9null_typeES7_S7_S7_S7_S7_S7_S7_EENS0_7pointerIS8_NS0_6detail22execute_with_allocatorIRN2at4cuda15ThrustAllocatorENS1_22execute_on_stream_baseEEENS0_11use_defaultESJ_EEEEmLj1EEEvT0_T1_SN_.uses_vcc, 1
	.set _ZN6thrust23THRUST_200600_302600_NS11hip_rocprim14__parallel_for6kernelILj256ENS1_20__uninitialized_copy7functorIPNS0_5tupleIllNS0_9null_typeES7_S7_S7_S7_S7_S7_S7_EENS0_7pointerIS8_NS0_6detail22execute_with_allocatorIRN2at4cuda15ThrustAllocatorENS1_22execute_on_stream_baseEEENS0_11use_defaultESJ_EEEEmLj1EEEvT0_T1_SN_.uses_flat_scratch, 0
	.set _ZN6thrust23THRUST_200600_302600_NS11hip_rocprim14__parallel_for6kernelILj256ENS1_20__uninitialized_copy7functorIPNS0_5tupleIllNS0_9null_typeES7_S7_S7_S7_S7_S7_S7_EENS0_7pointerIS8_NS0_6detail22execute_with_allocatorIRN2at4cuda15ThrustAllocatorENS1_22execute_on_stream_baseEEENS0_11use_defaultESJ_EEEEmLj1EEEvT0_T1_SN_.has_dyn_sized_stack, 0
	.set _ZN6thrust23THRUST_200600_302600_NS11hip_rocprim14__parallel_for6kernelILj256ENS1_20__uninitialized_copy7functorIPNS0_5tupleIllNS0_9null_typeES7_S7_S7_S7_S7_S7_S7_EENS0_7pointerIS8_NS0_6detail22execute_with_allocatorIRN2at4cuda15ThrustAllocatorENS1_22execute_on_stream_baseEEENS0_11use_defaultESJ_EEEEmLj1EEEvT0_T1_SN_.has_recursion, 0
	.set _ZN6thrust23THRUST_200600_302600_NS11hip_rocprim14__parallel_for6kernelILj256ENS1_20__uninitialized_copy7functorIPNS0_5tupleIllNS0_9null_typeES7_S7_S7_S7_S7_S7_S7_EENS0_7pointerIS8_NS0_6detail22execute_with_allocatorIRN2at4cuda15ThrustAllocatorENS1_22execute_on_stream_baseEEENS0_11use_defaultESJ_EEEEmLj1EEEvT0_T1_SN_.has_indirect_call, 0
	.section	.AMDGPU.csdata,"",@progbits
; Kernel info:
; codeLenInByte = 156
; TotalNumSgprs: 20
; NumVgprs: 7
; ScratchSize: 0
; MemoryBound: 0
; FloatMode: 240
; IeeeMode: 1
; LDSByteSize: 0 bytes/workgroup (compile time only)
; SGPRBlocks: 2
; VGPRBlocks: 1
; NumSGPRsForWavesPerEU: 20
; NumVGPRsForWavesPerEU: 7
; Occupancy: 10
; WaveLimiterHint : 0
; COMPUTE_PGM_RSRC2:SCRATCH_EN: 0
; COMPUTE_PGM_RSRC2:USER_SGPR: 6
; COMPUTE_PGM_RSRC2:TRAP_HANDLER: 0
; COMPUTE_PGM_RSRC2:TGID_X_EN: 1
; COMPUTE_PGM_RSRC2:TGID_Y_EN: 0
; COMPUTE_PGM_RSRC2:TGID_Z_EN: 0
; COMPUTE_PGM_RSRC2:TIDIG_COMP_CNT: 0
	.section	.text._ZN7rocprim17ROCPRIM_400000_NS6detail17trampoline_kernelINS0_14default_configENS1_22reduce_config_selectorIN6thrust23THRUST_200600_302600_NS5tupleIblNS6_9null_typeES8_S8_S8_S8_S8_S8_S8_EEEEZNS1_11reduce_implILb1ES3_NS6_12zip_iteratorINS7_INS6_11hip_rocprim26transform_input_iterator_tIbPhNS6_6detail10functional5actorINSH_9compositeIJNSH_27transparent_binary_operatorINS6_8equal_toIvEEEENSI_INSH_8argumentILj0EEEEENSH_5valueIhEEEEEEEEENSD_19counting_iterator_tIlEES8_S8_S8_S8_S8_S8_S8_S8_EEEEPS9_S9_NSD_9__find_if7functorIS9_EEEE10hipError_tPvRmT1_T2_T3_mT4_P12ihipStream_tbEUlT_E0_NS1_11comp_targetILNS1_3genE0ELNS1_11target_archE4294967295ELNS1_3gpuE0ELNS1_3repE0EEENS1_30default_config_static_selectorELNS0_4arch9wavefront6targetE1EEEvS17_,"axG",@progbits,_ZN7rocprim17ROCPRIM_400000_NS6detail17trampoline_kernelINS0_14default_configENS1_22reduce_config_selectorIN6thrust23THRUST_200600_302600_NS5tupleIblNS6_9null_typeES8_S8_S8_S8_S8_S8_S8_EEEEZNS1_11reduce_implILb1ES3_NS6_12zip_iteratorINS7_INS6_11hip_rocprim26transform_input_iterator_tIbPhNS6_6detail10functional5actorINSH_9compositeIJNSH_27transparent_binary_operatorINS6_8equal_toIvEEEENSI_INSH_8argumentILj0EEEEENSH_5valueIhEEEEEEEEENSD_19counting_iterator_tIlEES8_S8_S8_S8_S8_S8_S8_S8_EEEEPS9_S9_NSD_9__find_if7functorIS9_EEEE10hipError_tPvRmT1_T2_T3_mT4_P12ihipStream_tbEUlT_E0_NS1_11comp_targetILNS1_3genE0ELNS1_11target_archE4294967295ELNS1_3gpuE0ELNS1_3repE0EEENS1_30default_config_static_selectorELNS0_4arch9wavefront6targetE1EEEvS17_,comdat
	.protected	_ZN7rocprim17ROCPRIM_400000_NS6detail17trampoline_kernelINS0_14default_configENS1_22reduce_config_selectorIN6thrust23THRUST_200600_302600_NS5tupleIblNS6_9null_typeES8_S8_S8_S8_S8_S8_S8_EEEEZNS1_11reduce_implILb1ES3_NS6_12zip_iteratorINS7_INS6_11hip_rocprim26transform_input_iterator_tIbPhNS6_6detail10functional5actorINSH_9compositeIJNSH_27transparent_binary_operatorINS6_8equal_toIvEEEENSI_INSH_8argumentILj0EEEEENSH_5valueIhEEEEEEEEENSD_19counting_iterator_tIlEES8_S8_S8_S8_S8_S8_S8_S8_EEEEPS9_S9_NSD_9__find_if7functorIS9_EEEE10hipError_tPvRmT1_T2_T3_mT4_P12ihipStream_tbEUlT_E0_NS1_11comp_targetILNS1_3genE0ELNS1_11target_archE4294967295ELNS1_3gpuE0ELNS1_3repE0EEENS1_30default_config_static_selectorELNS0_4arch9wavefront6targetE1EEEvS17_ ; -- Begin function _ZN7rocprim17ROCPRIM_400000_NS6detail17trampoline_kernelINS0_14default_configENS1_22reduce_config_selectorIN6thrust23THRUST_200600_302600_NS5tupleIblNS6_9null_typeES8_S8_S8_S8_S8_S8_S8_EEEEZNS1_11reduce_implILb1ES3_NS6_12zip_iteratorINS7_INS6_11hip_rocprim26transform_input_iterator_tIbPhNS6_6detail10functional5actorINSH_9compositeIJNSH_27transparent_binary_operatorINS6_8equal_toIvEEEENSI_INSH_8argumentILj0EEEEENSH_5valueIhEEEEEEEEENSD_19counting_iterator_tIlEES8_S8_S8_S8_S8_S8_S8_S8_EEEEPS9_S9_NSD_9__find_if7functorIS9_EEEE10hipError_tPvRmT1_T2_T3_mT4_P12ihipStream_tbEUlT_E0_NS1_11comp_targetILNS1_3genE0ELNS1_11target_archE4294967295ELNS1_3gpuE0ELNS1_3repE0EEENS1_30default_config_static_selectorELNS0_4arch9wavefront6targetE1EEEvS17_
	.globl	_ZN7rocprim17ROCPRIM_400000_NS6detail17trampoline_kernelINS0_14default_configENS1_22reduce_config_selectorIN6thrust23THRUST_200600_302600_NS5tupleIblNS6_9null_typeES8_S8_S8_S8_S8_S8_S8_EEEEZNS1_11reduce_implILb1ES3_NS6_12zip_iteratorINS7_INS6_11hip_rocprim26transform_input_iterator_tIbPhNS6_6detail10functional5actorINSH_9compositeIJNSH_27transparent_binary_operatorINS6_8equal_toIvEEEENSI_INSH_8argumentILj0EEEEENSH_5valueIhEEEEEEEEENSD_19counting_iterator_tIlEES8_S8_S8_S8_S8_S8_S8_S8_EEEEPS9_S9_NSD_9__find_if7functorIS9_EEEE10hipError_tPvRmT1_T2_T3_mT4_P12ihipStream_tbEUlT_E0_NS1_11comp_targetILNS1_3genE0ELNS1_11target_archE4294967295ELNS1_3gpuE0ELNS1_3repE0EEENS1_30default_config_static_selectorELNS0_4arch9wavefront6targetE1EEEvS17_
	.p2align	8
	.type	_ZN7rocprim17ROCPRIM_400000_NS6detail17trampoline_kernelINS0_14default_configENS1_22reduce_config_selectorIN6thrust23THRUST_200600_302600_NS5tupleIblNS6_9null_typeES8_S8_S8_S8_S8_S8_S8_EEEEZNS1_11reduce_implILb1ES3_NS6_12zip_iteratorINS7_INS6_11hip_rocprim26transform_input_iterator_tIbPhNS6_6detail10functional5actorINSH_9compositeIJNSH_27transparent_binary_operatorINS6_8equal_toIvEEEENSI_INSH_8argumentILj0EEEEENSH_5valueIhEEEEEEEEENSD_19counting_iterator_tIlEES8_S8_S8_S8_S8_S8_S8_S8_EEEEPS9_S9_NSD_9__find_if7functorIS9_EEEE10hipError_tPvRmT1_T2_T3_mT4_P12ihipStream_tbEUlT_E0_NS1_11comp_targetILNS1_3genE0ELNS1_11target_archE4294967295ELNS1_3gpuE0ELNS1_3repE0EEENS1_30default_config_static_selectorELNS0_4arch9wavefront6targetE1EEEvS17_,@function
_ZN7rocprim17ROCPRIM_400000_NS6detail17trampoline_kernelINS0_14default_configENS1_22reduce_config_selectorIN6thrust23THRUST_200600_302600_NS5tupleIblNS6_9null_typeES8_S8_S8_S8_S8_S8_S8_EEEEZNS1_11reduce_implILb1ES3_NS6_12zip_iteratorINS7_INS6_11hip_rocprim26transform_input_iterator_tIbPhNS6_6detail10functional5actorINSH_9compositeIJNSH_27transparent_binary_operatorINS6_8equal_toIvEEEENSI_INSH_8argumentILj0EEEEENSH_5valueIhEEEEEEEEENSD_19counting_iterator_tIlEES8_S8_S8_S8_S8_S8_S8_S8_EEEEPS9_S9_NSD_9__find_if7functorIS9_EEEE10hipError_tPvRmT1_T2_T3_mT4_P12ihipStream_tbEUlT_E0_NS1_11comp_targetILNS1_3genE0ELNS1_11target_archE4294967295ELNS1_3gpuE0ELNS1_3repE0EEENS1_30default_config_static_selectorELNS0_4arch9wavefront6targetE1EEEvS17_: ; @_ZN7rocprim17ROCPRIM_400000_NS6detail17trampoline_kernelINS0_14default_configENS1_22reduce_config_selectorIN6thrust23THRUST_200600_302600_NS5tupleIblNS6_9null_typeES8_S8_S8_S8_S8_S8_S8_EEEEZNS1_11reduce_implILb1ES3_NS6_12zip_iteratorINS7_INS6_11hip_rocprim26transform_input_iterator_tIbPhNS6_6detail10functional5actorINSH_9compositeIJNSH_27transparent_binary_operatorINS6_8equal_toIvEEEENSI_INSH_8argumentILj0EEEEENSH_5valueIhEEEEEEEEENSD_19counting_iterator_tIlEES8_S8_S8_S8_S8_S8_S8_S8_EEEEPS9_S9_NSD_9__find_if7functorIS9_EEEE10hipError_tPvRmT1_T2_T3_mT4_P12ihipStream_tbEUlT_E0_NS1_11comp_targetILNS1_3genE0ELNS1_11target_archE4294967295ELNS1_3gpuE0ELNS1_3repE0EEENS1_30default_config_static_selectorELNS0_4arch9wavefront6targetE1EEEvS17_
; %bb.0:
	.section	.rodata,"a",@progbits
	.p2align	6, 0x0
	.amdhsa_kernel _ZN7rocprim17ROCPRIM_400000_NS6detail17trampoline_kernelINS0_14default_configENS1_22reduce_config_selectorIN6thrust23THRUST_200600_302600_NS5tupleIblNS6_9null_typeES8_S8_S8_S8_S8_S8_S8_EEEEZNS1_11reduce_implILb1ES3_NS6_12zip_iteratorINS7_INS6_11hip_rocprim26transform_input_iterator_tIbPhNS6_6detail10functional5actorINSH_9compositeIJNSH_27transparent_binary_operatorINS6_8equal_toIvEEEENSI_INSH_8argumentILj0EEEEENSH_5valueIhEEEEEEEEENSD_19counting_iterator_tIlEES8_S8_S8_S8_S8_S8_S8_S8_EEEEPS9_S9_NSD_9__find_if7functorIS9_EEEE10hipError_tPvRmT1_T2_T3_mT4_P12ihipStream_tbEUlT_E0_NS1_11comp_targetILNS1_3genE0ELNS1_11target_archE4294967295ELNS1_3gpuE0ELNS1_3repE0EEENS1_30default_config_static_selectorELNS0_4arch9wavefront6targetE1EEEvS17_
		.amdhsa_group_segment_fixed_size 0
		.amdhsa_private_segment_fixed_size 0
		.amdhsa_kernarg_size 88
		.amdhsa_user_sgpr_count 6
		.amdhsa_user_sgpr_private_segment_buffer 1
		.amdhsa_user_sgpr_dispatch_ptr 0
		.amdhsa_user_sgpr_queue_ptr 0
		.amdhsa_user_sgpr_kernarg_segment_ptr 1
		.amdhsa_user_sgpr_dispatch_id 0
		.amdhsa_user_sgpr_flat_scratch_init 0
		.amdhsa_user_sgpr_private_segment_size 0
		.amdhsa_uses_dynamic_stack 0
		.amdhsa_system_sgpr_private_segment_wavefront_offset 0
		.amdhsa_system_sgpr_workgroup_id_x 1
		.amdhsa_system_sgpr_workgroup_id_y 0
		.amdhsa_system_sgpr_workgroup_id_z 0
		.amdhsa_system_sgpr_workgroup_info 0
		.amdhsa_system_vgpr_workitem_id 0
		.amdhsa_next_free_vgpr 1
		.amdhsa_next_free_sgpr 0
		.amdhsa_reserve_vcc 0
		.amdhsa_reserve_flat_scratch 0
		.amdhsa_float_round_mode_32 0
		.amdhsa_float_round_mode_16_64 0
		.amdhsa_float_denorm_mode_32 3
		.amdhsa_float_denorm_mode_16_64 3
		.amdhsa_dx10_clamp 1
		.amdhsa_ieee_mode 1
		.amdhsa_fp16_overflow 0
		.amdhsa_exception_fp_ieee_invalid_op 0
		.amdhsa_exception_fp_denorm_src 0
		.amdhsa_exception_fp_ieee_div_zero 0
		.amdhsa_exception_fp_ieee_overflow 0
		.amdhsa_exception_fp_ieee_underflow 0
		.amdhsa_exception_fp_ieee_inexact 0
		.amdhsa_exception_int_div_zero 0
	.end_amdhsa_kernel
	.section	.text._ZN7rocprim17ROCPRIM_400000_NS6detail17trampoline_kernelINS0_14default_configENS1_22reduce_config_selectorIN6thrust23THRUST_200600_302600_NS5tupleIblNS6_9null_typeES8_S8_S8_S8_S8_S8_S8_EEEEZNS1_11reduce_implILb1ES3_NS6_12zip_iteratorINS7_INS6_11hip_rocprim26transform_input_iterator_tIbPhNS6_6detail10functional5actorINSH_9compositeIJNSH_27transparent_binary_operatorINS6_8equal_toIvEEEENSI_INSH_8argumentILj0EEEEENSH_5valueIhEEEEEEEEENSD_19counting_iterator_tIlEES8_S8_S8_S8_S8_S8_S8_S8_EEEEPS9_S9_NSD_9__find_if7functorIS9_EEEE10hipError_tPvRmT1_T2_T3_mT4_P12ihipStream_tbEUlT_E0_NS1_11comp_targetILNS1_3genE0ELNS1_11target_archE4294967295ELNS1_3gpuE0ELNS1_3repE0EEENS1_30default_config_static_selectorELNS0_4arch9wavefront6targetE1EEEvS17_,"axG",@progbits,_ZN7rocprim17ROCPRIM_400000_NS6detail17trampoline_kernelINS0_14default_configENS1_22reduce_config_selectorIN6thrust23THRUST_200600_302600_NS5tupleIblNS6_9null_typeES8_S8_S8_S8_S8_S8_S8_EEEEZNS1_11reduce_implILb1ES3_NS6_12zip_iteratorINS7_INS6_11hip_rocprim26transform_input_iterator_tIbPhNS6_6detail10functional5actorINSH_9compositeIJNSH_27transparent_binary_operatorINS6_8equal_toIvEEEENSI_INSH_8argumentILj0EEEEENSH_5valueIhEEEEEEEEENSD_19counting_iterator_tIlEES8_S8_S8_S8_S8_S8_S8_S8_EEEEPS9_S9_NSD_9__find_if7functorIS9_EEEE10hipError_tPvRmT1_T2_T3_mT4_P12ihipStream_tbEUlT_E0_NS1_11comp_targetILNS1_3genE0ELNS1_11target_archE4294967295ELNS1_3gpuE0ELNS1_3repE0EEENS1_30default_config_static_selectorELNS0_4arch9wavefront6targetE1EEEvS17_,comdat
.Lfunc_end442:
	.size	_ZN7rocprim17ROCPRIM_400000_NS6detail17trampoline_kernelINS0_14default_configENS1_22reduce_config_selectorIN6thrust23THRUST_200600_302600_NS5tupleIblNS6_9null_typeES8_S8_S8_S8_S8_S8_S8_EEEEZNS1_11reduce_implILb1ES3_NS6_12zip_iteratorINS7_INS6_11hip_rocprim26transform_input_iterator_tIbPhNS6_6detail10functional5actorINSH_9compositeIJNSH_27transparent_binary_operatorINS6_8equal_toIvEEEENSI_INSH_8argumentILj0EEEEENSH_5valueIhEEEEEEEEENSD_19counting_iterator_tIlEES8_S8_S8_S8_S8_S8_S8_S8_EEEEPS9_S9_NSD_9__find_if7functorIS9_EEEE10hipError_tPvRmT1_T2_T3_mT4_P12ihipStream_tbEUlT_E0_NS1_11comp_targetILNS1_3genE0ELNS1_11target_archE4294967295ELNS1_3gpuE0ELNS1_3repE0EEENS1_30default_config_static_selectorELNS0_4arch9wavefront6targetE1EEEvS17_, .Lfunc_end442-_ZN7rocprim17ROCPRIM_400000_NS6detail17trampoline_kernelINS0_14default_configENS1_22reduce_config_selectorIN6thrust23THRUST_200600_302600_NS5tupleIblNS6_9null_typeES8_S8_S8_S8_S8_S8_S8_EEEEZNS1_11reduce_implILb1ES3_NS6_12zip_iteratorINS7_INS6_11hip_rocprim26transform_input_iterator_tIbPhNS6_6detail10functional5actorINSH_9compositeIJNSH_27transparent_binary_operatorINS6_8equal_toIvEEEENSI_INSH_8argumentILj0EEEEENSH_5valueIhEEEEEEEEENSD_19counting_iterator_tIlEES8_S8_S8_S8_S8_S8_S8_S8_EEEEPS9_S9_NSD_9__find_if7functorIS9_EEEE10hipError_tPvRmT1_T2_T3_mT4_P12ihipStream_tbEUlT_E0_NS1_11comp_targetILNS1_3genE0ELNS1_11target_archE4294967295ELNS1_3gpuE0ELNS1_3repE0EEENS1_30default_config_static_selectorELNS0_4arch9wavefront6targetE1EEEvS17_
                                        ; -- End function
	.set _ZN7rocprim17ROCPRIM_400000_NS6detail17trampoline_kernelINS0_14default_configENS1_22reduce_config_selectorIN6thrust23THRUST_200600_302600_NS5tupleIblNS6_9null_typeES8_S8_S8_S8_S8_S8_S8_EEEEZNS1_11reduce_implILb1ES3_NS6_12zip_iteratorINS7_INS6_11hip_rocprim26transform_input_iterator_tIbPhNS6_6detail10functional5actorINSH_9compositeIJNSH_27transparent_binary_operatorINS6_8equal_toIvEEEENSI_INSH_8argumentILj0EEEEENSH_5valueIhEEEEEEEEENSD_19counting_iterator_tIlEES8_S8_S8_S8_S8_S8_S8_S8_EEEEPS9_S9_NSD_9__find_if7functorIS9_EEEE10hipError_tPvRmT1_T2_T3_mT4_P12ihipStream_tbEUlT_E0_NS1_11comp_targetILNS1_3genE0ELNS1_11target_archE4294967295ELNS1_3gpuE0ELNS1_3repE0EEENS1_30default_config_static_selectorELNS0_4arch9wavefront6targetE1EEEvS17_.num_vgpr, 0
	.set _ZN7rocprim17ROCPRIM_400000_NS6detail17trampoline_kernelINS0_14default_configENS1_22reduce_config_selectorIN6thrust23THRUST_200600_302600_NS5tupleIblNS6_9null_typeES8_S8_S8_S8_S8_S8_S8_EEEEZNS1_11reduce_implILb1ES3_NS6_12zip_iteratorINS7_INS6_11hip_rocprim26transform_input_iterator_tIbPhNS6_6detail10functional5actorINSH_9compositeIJNSH_27transparent_binary_operatorINS6_8equal_toIvEEEENSI_INSH_8argumentILj0EEEEENSH_5valueIhEEEEEEEEENSD_19counting_iterator_tIlEES8_S8_S8_S8_S8_S8_S8_S8_EEEEPS9_S9_NSD_9__find_if7functorIS9_EEEE10hipError_tPvRmT1_T2_T3_mT4_P12ihipStream_tbEUlT_E0_NS1_11comp_targetILNS1_3genE0ELNS1_11target_archE4294967295ELNS1_3gpuE0ELNS1_3repE0EEENS1_30default_config_static_selectorELNS0_4arch9wavefront6targetE1EEEvS17_.num_agpr, 0
	.set _ZN7rocprim17ROCPRIM_400000_NS6detail17trampoline_kernelINS0_14default_configENS1_22reduce_config_selectorIN6thrust23THRUST_200600_302600_NS5tupleIblNS6_9null_typeES8_S8_S8_S8_S8_S8_S8_EEEEZNS1_11reduce_implILb1ES3_NS6_12zip_iteratorINS7_INS6_11hip_rocprim26transform_input_iterator_tIbPhNS6_6detail10functional5actorINSH_9compositeIJNSH_27transparent_binary_operatorINS6_8equal_toIvEEEENSI_INSH_8argumentILj0EEEEENSH_5valueIhEEEEEEEEENSD_19counting_iterator_tIlEES8_S8_S8_S8_S8_S8_S8_S8_EEEEPS9_S9_NSD_9__find_if7functorIS9_EEEE10hipError_tPvRmT1_T2_T3_mT4_P12ihipStream_tbEUlT_E0_NS1_11comp_targetILNS1_3genE0ELNS1_11target_archE4294967295ELNS1_3gpuE0ELNS1_3repE0EEENS1_30default_config_static_selectorELNS0_4arch9wavefront6targetE1EEEvS17_.numbered_sgpr, 0
	.set _ZN7rocprim17ROCPRIM_400000_NS6detail17trampoline_kernelINS0_14default_configENS1_22reduce_config_selectorIN6thrust23THRUST_200600_302600_NS5tupleIblNS6_9null_typeES8_S8_S8_S8_S8_S8_S8_EEEEZNS1_11reduce_implILb1ES3_NS6_12zip_iteratorINS7_INS6_11hip_rocprim26transform_input_iterator_tIbPhNS6_6detail10functional5actorINSH_9compositeIJNSH_27transparent_binary_operatorINS6_8equal_toIvEEEENSI_INSH_8argumentILj0EEEEENSH_5valueIhEEEEEEEEENSD_19counting_iterator_tIlEES8_S8_S8_S8_S8_S8_S8_S8_EEEEPS9_S9_NSD_9__find_if7functorIS9_EEEE10hipError_tPvRmT1_T2_T3_mT4_P12ihipStream_tbEUlT_E0_NS1_11comp_targetILNS1_3genE0ELNS1_11target_archE4294967295ELNS1_3gpuE0ELNS1_3repE0EEENS1_30default_config_static_selectorELNS0_4arch9wavefront6targetE1EEEvS17_.num_named_barrier, 0
	.set _ZN7rocprim17ROCPRIM_400000_NS6detail17trampoline_kernelINS0_14default_configENS1_22reduce_config_selectorIN6thrust23THRUST_200600_302600_NS5tupleIblNS6_9null_typeES8_S8_S8_S8_S8_S8_S8_EEEEZNS1_11reduce_implILb1ES3_NS6_12zip_iteratorINS7_INS6_11hip_rocprim26transform_input_iterator_tIbPhNS6_6detail10functional5actorINSH_9compositeIJNSH_27transparent_binary_operatorINS6_8equal_toIvEEEENSI_INSH_8argumentILj0EEEEENSH_5valueIhEEEEEEEEENSD_19counting_iterator_tIlEES8_S8_S8_S8_S8_S8_S8_S8_EEEEPS9_S9_NSD_9__find_if7functorIS9_EEEE10hipError_tPvRmT1_T2_T3_mT4_P12ihipStream_tbEUlT_E0_NS1_11comp_targetILNS1_3genE0ELNS1_11target_archE4294967295ELNS1_3gpuE0ELNS1_3repE0EEENS1_30default_config_static_selectorELNS0_4arch9wavefront6targetE1EEEvS17_.private_seg_size, 0
	.set _ZN7rocprim17ROCPRIM_400000_NS6detail17trampoline_kernelINS0_14default_configENS1_22reduce_config_selectorIN6thrust23THRUST_200600_302600_NS5tupleIblNS6_9null_typeES8_S8_S8_S8_S8_S8_S8_EEEEZNS1_11reduce_implILb1ES3_NS6_12zip_iteratorINS7_INS6_11hip_rocprim26transform_input_iterator_tIbPhNS6_6detail10functional5actorINSH_9compositeIJNSH_27transparent_binary_operatorINS6_8equal_toIvEEEENSI_INSH_8argumentILj0EEEEENSH_5valueIhEEEEEEEEENSD_19counting_iterator_tIlEES8_S8_S8_S8_S8_S8_S8_S8_EEEEPS9_S9_NSD_9__find_if7functorIS9_EEEE10hipError_tPvRmT1_T2_T3_mT4_P12ihipStream_tbEUlT_E0_NS1_11comp_targetILNS1_3genE0ELNS1_11target_archE4294967295ELNS1_3gpuE0ELNS1_3repE0EEENS1_30default_config_static_selectorELNS0_4arch9wavefront6targetE1EEEvS17_.uses_vcc, 0
	.set _ZN7rocprim17ROCPRIM_400000_NS6detail17trampoline_kernelINS0_14default_configENS1_22reduce_config_selectorIN6thrust23THRUST_200600_302600_NS5tupleIblNS6_9null_typeES8_S8_S8_S8_S8_S8_S8_EEEEZNS1_11reduce_implILb1ES3_NS6_12zip_iteratorINS7_INS6_11hip_rocprim26transform_input_iterator_tIbPhNS6_6detail10functional5actorINSH_9compositeIJNSH_27transparent_binary_operatorINS6_8equal_toIvEEEENSI_INSH_8argumentILj0EEEEENSH_5valueIhEEEEEEEEENSD_19counting_iterator_tIlEES8_S8_S8_S8_S8_S8_S8_S8_EEEEPS9_S9_NSD_9__find_if7functorIS9_EEEE10hipError_tPvRmT1_T2_T3_mT4_P12ihipStream_tbEUlT_E0_NS1_11comp_targetILNS1_3genE0ELNS1_11target_archE4294967295ELNS1_3gpuE0ELNS1_3repE0EEENS1_30default_config_static_selectorELNS0_4arch9wavefront6targetE1EEEvS17_.uses_flat_scratch, 0
	.set _ZN7rocprim17ROCPRIM_400000_NS6detail17trampoline_kernelINS0_14default_configENS1_22reduce_config_selectorIN6thrust23THRUST_200600_302600_NS5tupleIblNS6_9null_typeES8_S8_S8_S8_S8_S8_S8_EEEEZNS1_11reduce_implILb1ES3_NS6_12zip_iteratorINS7_INS6_11hip_rocprim26transform_input_iterator_tIbPhNS6_6detail10functional5actorINSH_9compositeIJNSH_27transparent_binary_operatorINS6_8equal_toIvEEEENSI_INSH_8argumentILj0EEEEENSH_5valueIhEEEEEEEEENSD_19counting_iterator_tIlEES8_S8_S8_S8_S8_S8_S8_S8_EEEEPS9_S9_NSD_9__find_if7functorIS9_EEEE10hipError_tPvRmT1_T2_T3_mT4_P12ihipStream_tbEUlT_E0_NS1_11comp_targetILNS1_3genE0ELNS1_11target_archE4294967295ELNS1_3gpuE0ELNS1_3repE0EEENS1_30default_config_static_selectorELNS0_4arch9wavefront6targetE1EEEvS17_.has_dyn_sized_stack, 0
	.set _ZN7rocprim17ROCPRIM_400000_NS6detail17trampoline_kernelINS0_14default_configENS1_22reduce_config_selectorIN6thrust23THRUST_200600_302600_NS5tupleIblNS6_9null_typeES8_S8_S8_S8_S8_S8_S8_EEEEZNS1_11reduce_implILb1ES3_NS6_12zip_iteratorINS7_INS6_11hip_rocprim26transform_input_iterator_tIbPhNS6_6detail10functional5actorINSH_9compositeIJNSH_27transparent_binary_operatorINS6_8equal_toIvEEEENSI_INSH_8argumentILj0EEEEENSH_5valueIhEEEEEEEEENSD_19counting_iterator_tIlEES8_S8_S8_S8_S8_S8_S8_S8_EEEEPS9_S9_NSD_9__find_if7functorIS9_EEEE10hipError_tPvRmT1_T2_T3_mT4_P12ihipStream_tbEUlT_E0_NS1_11comp_targetILNS1_3genE0ELNS1_11target_archE4294967295ELNS1_3gpuE0ELNS1_3repE0EEENS1_30default_config_static_selectorELNS0_4arch9wavefront6targetE1EEEvS17_.has_recursion, 0
	.set _ZN7rocprim17ROCPRIM_400000_NS6detail17trampoline_kernelINS0_14default_configENS1_22reduce_config_selectorIN6thrust23THRUST_200600_302600_NS5tupleIblNS6_9null_typeES8_S8_S8_S8_S8_S8_S8_EEEEZNS1_11reduce_implILb1ES3_NS6_12zip_iteratorINS7_INS6_11hip_rocprim26transform_input_iterator_tIbPhNS6_6detail10functional5actorINSH_9compositeIJNSH_27transparent_binary_operatorINS6_8equal_toIvEEEENSI_INSH_8argumentILj0EEEEENSH_5valueIhEEEEEEEEENSD_19counting_iterator_tIlEES8_S8_S8_S8_S8_S8_S8_S8_EEEEPS9_S9_NSD_9__find_if7functorIS9_EEEE10hipError_tPvRmT1_T2_T3_mT4_P12ihipStream_tbEUlT_E0_NS1_11comp_targetILNS1_3genE0ELNS1_11target_archE4294967295ELNS1_3gpuE0ELNS1_3repE0EEENS1_30default_config_static_selectorELNS0_4arch9wavefront6targetE1EEEvS17_.has_indirect_call, 0
	.section	.AMDGPU.csdata,"",@progbits
; Kernel info:
; codeLenInByte = 0
; TotalNumSgprs: 4
; NumVgprs: 0
; ScratchSize: 0
; MemoryBound: 0
; FloatMode: 240
; IeeeMode: 1
; LDSByteSize: 0 bytes/workgroup (compile time only)
; SGPRBlocks: 0
; VGPRBlocks: 0
; NumSGPRsForWavesPerEU: 4
; NumVGPRsForWavesPerEU: 1
; Occupancy: 10
; WaveLimiterHint : 0
; COMPUTE_PGM_RSRC2:SCRATCH_EN: 0
; COMPUTE_PGM_RSRC2:USER_SGPR: 6
; COMPUTE_PGM_RSRC2:TRAP_HANDLER: 0
; COMPUTE_PGM_RSRC2:TGID_X_EN: 1
; COMPUTE_PGM_RSRC2:TGID_Y_EN: 0
; COMPUTE_PGM_RSRC2:TGID_Z_EN: 0
; COMPUTE_PGM_RSRC2:TIDIG_COMP_CNT: 0
	.section	.text._ZN7rocprim17ROCPRIM_400000_NS6detail17trampoline_kernelINS0_14default_configENS1_22reduce_config_selectorIN6thrust23THRUST_200600_302600_NS5tupleIblNS6_9null_typeES8_S8_S8_S8_S8_S8_S8_EEEEZNS1_11reduce_implILb1ES3_NS6_12zip_iteratorINS7_INS6_11hip_rocprim26transform_input_iterator_tIbPhNS6_6detail10functional5actorINSH_9compositeIJNSH_27transparent_binary_operatorINS6_8equal_toIvEEEENSI_INSH_8argumentILj0EEEEENSH_5valueIhEEEEEEEEENSD_19counting_iterator_tIlEES8_S8_S8_S8_S8_S8_S8_S8_EEEEPS9_S9_NSD_9__find_if7functorIS9_EEEE10hipError_tPvRmT1_T2_T3_mT4_P12ihipStream_tbEUlT_E0_NS1_11comp_targetILNS1_3genE5ELNS1_11target_archE942ELNS1_3gpuE9ELNS1_3repE0EEENS1_30default_config_static_selectorELNS0_4arch9wavefront6targetE1EEEvS17_,"axG",@progbits,_ZN7rocprim17ROCPRIM_400000_NS6detail17trampoline_kernelINS0_14default_configENS1_22reduce_config_selectorIN6thrust23THRUST_200600_302600_NS5tupleIblNS6_9null_typeES8_S8_S8_S8_S8_S8_S8_EEEEZNS1_11reduce_implILb1ES3_NS6_12zip_iteratorINS7_INS6_11hip_rocprim26transform_input_iterator_tIbPhNS6_6detail10functional5actorINSH_9compositeIJNSH_27transparent_binary_operatorINS6_8equal_toIvEEEENSI_INSH_8argumentILj0EEEEENSH_5valueIhEEEEEEEEENSD_19counting_iterator_tIlEES8_S8_S8_S8_S8_S8_S8_S8_EEEEPS9_S9_NSD_9__find_if7functorIS9_EEEE10hipError_tPvRmT1_T2_T3_mT4_P12ihipStream_tbEUlT_E0_NS1_11comp_targetILNS1_3genE5ELNS1_11target_archE942ELNS1_3gpuE9ELNS1_3repE0EEENS1_30default_config_static_selectorELNS0_4arch9wavefront6targetE1EEEvS17_,comdat
	.protected	_ZN7rocprim17ROCPRIM_400000_NS6detail17trampoline_kernelINS0_14default_configENS1_22reduce_config_selectorIN6thrust23THRUST_200600_302600_NS5tupleIblNS6_9null_typeES8_S8_S8_S8_S8_S8_S8_EEEEZNS1_11reduce_implILb1ES3_NS6_12zip_iteratorINS7_INS6_11hip_rocprim26transform_input_iterator_tIbPhNS6_6detail10functional5actorINSH_9compositeIJNSH_27transparent_binary_operatorINS6_8equal_toIvEEEENSI_INSH_8argumentILj0EEEEENSH_5valueIhEEEEEEEEENSD_19counting_iterator_tIlEES8_S8_S8_S8_S8_S8_S8_S8_EEEEPS9_S9_NSD_9__find_if7functorIS9_EEEE10hipError_tPvRmT1_T2_T3_mT4_P12ihipStream_tbEUlT_E0_NS1_11comp_targetILNS1_3genE5ELNS1_11target_archE942ELNS1_3gpuE9ELNS1_3repE0EEENS1_30default_config_static_selectorELNS0_4arch9wavefront6targetE1EEEvS17_ ; -- Begin function _ZN7rocprim17ROCPRIM_400000_NS6detail17trampoline_kernelINS0_14default_configENS1_22reduce_config_selectorIN6thrust23THRUST_200600_302600_NS5tupleIblNS6_9null_typeES8_S8_S8_S8_S8_S8_S8_EEEEZNS1_11reduce_implILb1ES3_NS6_12zip_iteratorINS7_INS6_11hip_rocprim26transform_input_iterator_tIbPhNS6_6detail10functional5actorINSH_9compositeIJNSH_27transparent_binary_operatorINS6_8equal_toIvEEEENSI_INSH_8argumentILj0EEEEENSH_5valueIhEEEEEEEEENSD_19counting_iterator_tIlEES8_S8_S8_S8_S8_S8_S8_S8_EEEEPS9_S9_NSD_9__find_if7functorIS9_EEEE10hipError_tPvRmT1_T2_T3_mT4_P12ihipStream_tbEUlT_E0_NS1_11comp_targetILNS1_3genE5ELNS1_11target_archE942ELNS1_3gpuE9ELNS1_3repE0EEENS1_30default_config_static_selectorELNS0_4arch9wavefront6targetE1EEEvS17_
	.globl	_ZN7rocprim17ROCPRIM_400000_NS6detail17trampoline_kernelINS0_14default_configENS1_22reduce_config_selectorIN6thrust23THRUST_200600_302600_NS5tupleIblNS6_9null_typeES8_S8_S8_S8_S8_S8_S8_EEEEZNS1_11reduce_implILb1ES3_NS6_12zip_iteratorINS7_INS6_11hip_rocprim26transform_input_iterator_tIbPhNS6_6detail10functional5actorINSH_9compositeIJNSH_27transparent_binary_operatorINS6_8equal_toIvEEEENSI_INSH_8argumentILj0EEEEENSH_5valueIhEEEEEEEEENSD_19counting_iterator_tIlEES8_S8_S8_S8_S8_S8_S8_S8_EEEEPS9_S9_NSD_9__find_if7functorIS9_EEEE10hipError_tPvRmT1_T2_T3_mT4_P12ihipStream_tbEUlT_E0_NS1_11comp_targetILNS1_3genE5ELNS1_11target_archE942ELNS1_3gpuE9ELNS1_3repE0EEENS1_30default_config_static_selectorELNS0_4arch9wavefront6targetE1EEEvS17_
	.p2align	8
	.type	_ZN7rocprim17ROCPRIM_400000_NS6detail17trampoline_kernelINS0_14default_configENS1_22reduce_config_selectorIN6thrust23THRUST_200600_302600_NS5tupleIblNS6_9null_typeES8_S8_S8_S8_S8_S8_S8_EEEEZNS1_11reduce_implILb1ES3_NS6_12zip_iteratorINS7_INS6_11hip_rocprim26transform_input_iterator_tIbPhNS6_6detail10functional5actorINSH_9compositeIJNSH_27transparent_binary_operatorINS6_8equal_toIvEEEENSI_INSH_8argumentILj0EEEEENSH_5valueIhEEEEEEEEENSD_19counting_iterator_tIlEES8_S8_S8_S8_S8_S8_S8_S8_EEEEPS9_S9_NSD_9__find_if7functorIS9_EEEE10hipError_tPvRmT1_T2_T3_mT4_P12ihipStream_tbEUlT_E0_NS1_11comp_targetILNS1_3genE5ELNS1_11target_archE942ELNS1_3gpuE9ELNS1_3repE0EEENS1_30default_config_static_selectorELNS0_4arch9wavefront6targetE1EEEvS17_,@function
_ZN7rocprim17ROCPRIM_400000_NS6detail17trampoline_kernelINS0_14default_configENS1_22reduce_config_selectorIN6thrust23THRUST_200600_302600_NS5tupleIblNS6_9null_typeES8_S8_S8_S8_S8_S8_S8_EEEEZNS1_11reduce_implILb1ES3_NS6_12zip_iteratorINS7_INS6_11hip_rocprim26transform_input_iterator_tIbPhNS6_6detail10functional5actorINSH_9compositeIJNSH_27transparent_binary_operatorINS6_8equal_toIvEEEENSI_INSH_8argumentILj0EEEEENSH_5valueIhEEEEEEEEENSD_19counting_iterator_tIlEES8_S8_S8_S8_S8_S8_S8_S8_EEEEPS9_S9_NSD_9__find_if7functorIS9_EEEE10hipError_tPvRmT1_T2_T3_mT4_P12ihipStream_tbEUlT_E0_NS1_11comp_targetILNS1_3genE5ELNS1_11target_archE942ELNS1_3gpuE9ELNS1_3repE0EEENS1_30default_config_static_selectorELNS0_4arch9wavefront6targetE1EEEvS17_: ; @_ZN7rocprim17ROCPRIM_400000_NS6detail17trampoline_kernelINS0_14default_configENS1_22reduce_config_selectorIN6thrust23THRUST_200600_302600_NS5tupleIblNS6_9null_typeES8_S8_S8_S8_S8_S8_S8_EEEEZNS1_11reduce_implILb1ES3_NS6_12zip_iteratorINS7_INS6_11hip_rocprim26transform_input_iterator_tIbPhNS6_6detail10functional5actorINSH_9compositeIJNSH_27transparent_binary_operatorINS6_8equal_toIvEEEENSI_INSH_8argumentILj0EEEEENSH_5valueIhEEEEEEEEENSD_19counting_iterator_tIlEES8_S8_S8_S8_S8_S8_S8_S8_EEEEPS9_S9_NSD_9__find_if7functorIS9_EEEE10hipError_tPvRmT1_T2_T3_mT4_P12ihipStream_tbEUlT_E0_NS1_11comp_targetILNS1_3genE5ELNS1_11target_archE942ELNS1_3gpuE9ELNS1_3repE0EEENS1_30default_config_static_selectorELNS0_4arch9wavefront6targetE1EEEvS17_
; %bb.0:
	.section	.rodata,"a",@progbits
	.p2align	6, 0x0
	.amdhsa_kernel _ZN7rocprim17ROCPRIM_400000_NS6detail17trampoline_kernelINS0_14default_configENS1_22reduce_config_selectorIN6thrust23THRUST_200600_302600_NS5tupleIblNS6_9null_typeES8_S8_S8_S8_S8_S8_S8_EEEEZNS1_11reduce_implILb1ES3_NS6_12zip_iteratorINS7_INS6_11hip_rocprim26transform_input_iterator_tIbPhNS6_6detail10functional5actorINSH_9compositeIJNSH_27transparent_binary_operatorINS6_8equal_toIvEEEENSI_INSH_8argumentILj0EEEEENSH_5valueIhEEEEEEEEENSD_19counting_iterator_tIlEES8_S8_S8_S8_S8_S8_S8_S8_EEEEPS9_S9_NSD_9__find_if7functorIS9_EEEE10hipError_tPvRmT1_T2_T3_mT4_P12ihipStream_tbEUlT_E0_NS1_11comp_targetILNS1_3genE5ELNS1_11target_archE942ELNS1_3gpuE9ELNS1_3repE0EEENS1_30default_config_static_selectorELNS0_4arch9wavefront6targetE1EEEvS17_
		.amdhsa_group_segment_fixed_size 0
		.amdhsa_private_segment_fixed_size 0
		.amdhsa_kernarg_size 88
		.amdhsa_user_sgpr_count 6
		.amdhsa_user_sgpr_private_segment_buffer 1
		.amdhsa_user_sgpr_dispatch_ptr 0
		.amdhsa_user_sgpr_queue_ptr 0
		.amdhsa_user_sgpr_kernarg_segment_ptr 1
		.amdhsa_user_sgpr_dispatch_id 0
		.amdhsa_user_sgpr_flat_scratch_init 0
		.amdhsa_user_sgpr_private_segment_size 0
		.amdhsa_uses_dynamic_stack 0
		.amdhsa_system_sgpr_private_segment_wavefront_offset 0
		.amdhsa_system_sgpr_workgroup_id_x 1
		.amdhsa_system_sgpr_workgroup_id_y 0
		.amdhsa_system_sgpr_workgroup_id_z 0
		.amdhsa_system_sgpr_workgroup_info 0
		.amdhsa_system_vgpr_workitem_id 0
		.amdhsa_next_free_vgpr 1
		.amdhsa_next_free_sgpr 0
		.amdhsa_reserve_vcc 0
		.amdhsa_reserve_flat_scratch 0
		.amdhsa_float_round_mode_32 0
		.amdhsa_float_round_mode_16_64 0
		.amdhsa_float_denorm_mode_32 3
		.amdhsa_float_denorm_mode_16_64 3
		.amdhsa_dx10_clamp 1
		.amdhsa_ieee_mode 1
		.amdhsa_fp16_overflow 0
		.amdhsa_exception_fp_ieee_invalid_op 0
		.amdhsa_exception_fp_denorm_src 0
		.amdhsa_exception_fp_ieee_div_zero 0
		.amdhsa_exception_fp_ieee_overflow 0
		.amdhsa_exception_fp_ieee_underflow 0
		.amdhsa_exception_fp_ieee_inexact 0
		.amdhsa_exception_int_div_zero 0
	.end_amdhsa_kernel
	.section	.text._ZN7rocprim17ROCPRIM_400000_NS6detail17trampoline_kernelINS0_14default_configENS1_22reduce_config_selectorIN6thrust23THRUST_200600_302600_NS5tupleIblNS6_9null_typeES8_S8_S8_S8_S8_S8_S8_EEEEZNS1_11reduce_implILb1ES3_NS6_12zip_iteratorINS7_INS6_11hip_rocprim26transform_input_iterator_tIbPhNS6_6detail10functional5actorINSH_9compositeIJNSH_27transparent_binary_operatorINS6_8equal_toIvEEEENSI_INSH_8argumentILj0EEEEENSH_5valueIhEEEEEEEEENSD_19counting_iterator_tIlEES8_S8_S8_S8_S8_S8_S8_S8_EEEEPS9_S9_NSD_9__find_if7functorIS9_EEEE10hipError_tPvRmT1_T2_T3_mT4_P12ihipStream_tbEUlT_E0_NS1_11comp_targetILNS1_3genE5ELNS1_11target_archE942ELNS1_3gpuE9ELNS1_3repE0EEENS1_30default_config_static_selectorELNS0_4arch9wavefront6targetE1EEEvS17_,"axG",@progbits,_ZN7rocprim17ROCPRIM_400000_NS6detail17trampoline_kernelINS0_14default_configENS1_22reduce_config_selectorIN6thrust23THRUST_200600_302600_NS5tupleIblNS6_9null_typeES8_S8_S8_S8_S8_S8_S8_EEEEZNS1_11reduce_implILb1ES3_NS6_12zip_iteratorINS7_INS6_11hip_rocprim26transform_input_iterator_tIbPhNS6_6detail10functional5actorINSH_9compositeIJNSH_27transparent_binary_operatorINS6_8equal_toIvEEEENSI_INSH_8argumentILj0EEEEENSH_5valueIhEEEEEEEEENSD_19counting_iterator_tIlEES8_S8_S8_S8_S8_S8_S8_S8_EEEEPS9_S9_NSD_9__find_if7functorIS9_EEEE10hipError_tPvRmT1_T2_T3_mT4_P12ihipStream_tbEUlT_E0_NS1_11comp_targetILNS1_3genE5ELNS1_11target_archE942ELNS1_3gpuE9ELNS1_3repE0EEENS1_30default_config_static_selectorELNS0_4arch9wavefront6targetE1EEEvS17_,comdat
.Lfunc_end443:
	.size	_ZN7rocprim17ROCPRIM_400000_NS6detail17trampoline_kernelINS0_14default_configENS1_22reduce_config_selectorIN6thrust23THRUST_200600_302600_NS5tupleIblNS6_9null_typeES8_S8_S8_S8_S8_S8_S8_EEEEZNS1_11reduce_implILb1ES3_NS6_12zip_iteratorINS7_INS6_11hip_rocprim26transform_input_iterator_tIbPhNS6_6detail10functional5actorINSH_9compositeIJNSH_27transparent_binary_operatorINS6_8equal_toIvEEEENSI_INSH_8argumentILj0EEEEENSH_5valueIhEEEEEEEEENSD_19counting_iterator_tIlEES8_S8_S8_S8_S8_S8_S8_S8_EEEEPS9_S9_NSD_9__find_if7functorIS9_EEEE10hipError_tPvRmT1_T2_T3_mT4_P12ihipStream_tbEUlT_E0_NS1_11comp_targetILNS1_3genE5ELNS1_11target_archE942ELNS1_3gpuE9ELNS1_3repE0EEENS1_30default_config_static_selectorELNS0_4arch9wavefront6targetE1EEEvS17_, .Lfunc_end443-_ZN7rocprim17ROCPRIM_400000_NS6detail17trampoline_kernelINS0_14default_configENS1_22reduce_config_selectorIN6thrust23THRUST_200600_302600_NS5tupleIblNS6_9null_typeES8_S8_S8_S8_S8_S8_S8_EEEEZNS1_11reduce_implILb1ES3_NS6_12zip_iteratorINS7_INS6_11hip_rocprim26transform_input_iterator_tIbPhNS6_6detail10functional5actorINSH_9compositeIJNSH_27transparent_binary_operatorINS6_8equal_toIvEEEENSI_INSH_8argumentILj0EEEEENSH_5valueIhEEEEEEEEENSD_19counting_iterator_tIlEES8_S8_S8_S8_S8_S8_S8_S8_EEEEPS9_S9_NSD_9__find_if7functorIS9_EEEE10hipError_tPvRmT1_T2_T3_mT4_P12ihipStream_tbEUlT_E0_NS1_11comp_targetILNS1_3genE5ELNS1_11target_archE942ELNS1_3gpuE9ELNS1_3repE0EEENS1_30default_config_static_selectorELNS0_4arch9wavefront6targetE1EEEvS17_
                                        ; -- End function
	.set _ZN7rocprim17ROCPRIM_400000_NS6detail17trampoline_kernelINS0_14default_configENS1_22reduce_config_selectorIN6thrust23THRUST_200600_302600_NS5tupleIblNS6_9null_typeES8_S8_S8_S8_S8_S8_S8_EEEEZNS1_11reduce_implILb1ES3_NS6_12zip_iteratorINS7_INS6_11hip_rocprim26transform_input_iterator_tIbPhNS6_6detail10functional5actorINSH_9compositeIJNSH_27transparent_binary_operatorINS6_8equal_toIvEEEENSI_INSH_8argumentILj0EEEEENSH_5valueIhEEEEEEEEENSD_19counting_iterator_tIlEES8_S8_S8_S8_S8_S8_S8_S8_EEEEPS9_S9_NSD_9__find_if7functorIS9_EEEE10hipError_tPvRmT1_T2_T3_mT4_P12ihipStream_tbEUlT_E0_NS1_11comp_targetILNS1_3genE5ELNS1_11target_archE942ELNS1_3gpuE9ELNS1_3repE0EEENS1_30default_config_static_selectorELNS0_4arch9wavefront6targetE1EEEvS17_.num_vgpr, 0
	.set _ZN7rocprim17ROCPRIM_400000_NS6detail17trampoline_kernelINS0_14default_configENS1_22reduce_config_selectorIN6thrust23THRUST_200600_302600_NS5tupleIblNS6_9null_typeES8_S8_S8_S8_S8_S8_S8_EEEEZNS1_11reduce_implILb1ES3_NS6_12zip_iteratorINS7_INS6_11hip_rocprim26transform_input_iterator_tIbPhNS6_6detail10functional5actorINSH_9compositeIJNSH_27transparent_binary_operatorINS6_8equal_toIvEEEENSI_INSH_8argumentILj0EEEEENSH_5valueIhEEEEEEEEENSD_19counting_iterator_tIlEES8_S8_S8_S8_S8_S8_S8_S8_EEEEPS9_S9_NSD_9__find_if7functorIS9_EEEE10hipError_tPvRmT1_T2_T3_mT4_P12ihipStream_tbEUlT_E0_NS1_11comp_targetILNS1_3genE5ELNS1_11target_archE942ELNS1_3gpuE9ELNS1_3repE0EEENS1_30default_config_static_selectorELNS0_4arch9wavefront6targetE1EEEvS17_.num_agpr, 0
	.set _ZN7rocprim17ROCPRIM_400000_NS6detail17trampoline_kernelINS0_14default_configENS1_22reduce_config_selectorIN6thrust23THRUST_200600_302600_NS5tupleIblNS6_9null_typeES8_S8_S8_S8_S8_S8_S8_EEEEZNS1_11reduce_implILb1ES3_NS6_12zip_iteratorINS7_INS6_11hip_rocprim26transform_input_iterator_tIbPhNS6_6detail10functional5actorINSH_9compositeIJNSH_27transparent_binary_operatorINS6_8equal_toIvEEEENSI_INSH_8argumentILj0EEEEENSH_5valueIhEEEEEEEEENSD_19counting_iterator_tIlEES8_S8_S8_S8_S8_S8_S8_S8_EEEEPS9_S9_NSD_9__find_if7functorIS9_EEEE10hipError_tPvRmT1_T2_T3_mT4_P12ihipStream_tbEUlT_E0_NS1_11comp_targetILNS1_3genE5ELNS1_11target_archE942ELNS1_3gpuE9ELNS1_3repE0EEENS1_30default_config_static_selectorELNS0_4arch9wavefront6targetE1EEEvS17_.numbered_sgpr, 0
	.set _ZN7rocprim17ROCPRIM_400000_NS6detail17trampoline_kernelINS0_14default_configENS1_22reduce_config_selectorIN6thrust23THRUST_200600_302600_NS5tupleIblNS6_9null_typeES8_S8_S8_S8_S8_S8_S8_EEEEZNS1_11reduce_implILb1ES3_NS6_12zip_iteratorINS7_INS6_11hip_rocprim26transform_input_iterator_tIbPhNS6_6detail10functional5actorINSH_9compositeIJNSH_27transparent_binary_operatorINS6_8equal_toIvEEEENSI_INSH_8argumentILj0EEEEENSH_5valueIhEEEEEEEEENSD_19counting_iterator_tIlEES8_S8_S8_S8_S8_S8_S8_S8_EEEEPS9_S9_NSD_9__find_if7functorIS9_EEEE10hipError_tPvRmT1_T2_T3_mT4_P12ihipStream_tbEUlT_E0_NS1_11comp_targetILNS1_3genE5ELNS1_11target_archE942ELNS1_3gpuE9ELNS1_3repE0EEENS1_30default_config_static_selectorELNS0_4arch9wavefront6targetE1EEEvS17_.num_named_barrier, 0
	.set _ZN7rocprim17ROCPRIM_400000_NS6detail17trampoline_kernelINS0_14default_configENS1_22reduce_config_selectorIN6thrust23THRUST_200600_302600_NS5tupleIblNS6_9null_typeES8_S8_S8_S8_S8_S8_S8_EEEEZNS1_11reduce_implILb1ES3_NS6_12zip_iteratorINS7_INS6_11hip_rocprim26transform_input_iterator_tIbPhNS6_6detail10functional5actorINSH_9compositeIJNSH_27transparent_binary_operatorINS6_8equal_toIvEEEENSI_INSH_8argumentILj0EEEEENSH_5valueIhEEEEEEEEENSD_19counting_iterator_tIlEES8_S8_S8_S8_S8_S8_S8_S8_EEEEPS9_S9_NSD_9__find_if7functorIS9_EEEE10hipError_tPvRmT1_T2_T3_mT4_P12ihipStream_tbEUlT_E0_NS1_11comp_targetILNS1_3genE5ELNS1_11target_archE942ELNS1_3gpuE9ELNS1_3repE0EEENS1_30default_config_static_selectorELNS0_4arch9wavefront6targetE1EEEvS17_.private_seg_size, 0
	.set _ZN7rocprim17ROCPRIM_400000_NS6detail17trampoline_kernelINS0_14default_configENS1_22reduce_config_selectorIN6thrust23THRUST_200600_302600_NS5tupleIblNS6_9null_typeES8_S8_S8_S8_S8_S8_S8_EEEEZNS1_11reduce_implILb1ES3_NS6_12zip_iteratorINS7_INS6_11hip_rocprim26transform_input_iterator_tIbPhNS6_6detail10functional5actorINSH_9compositeIJNSH_27transparent_binary_operatorINS6_8equal_toIvEEEENSI_INSH_8argumentILj0EEEEENSH_5valueIhEEEEEEEEENSD_19counting_iterator_tIlEES8_S8_S8_S8_S8_S8_S8_S8_EEEEPS9_S9_NSD_9__find_if7functorIS9_EEEE10hipError_tPvRmT1_T2_T3_mT4_P12ihipStream_tbEUlT_E0_NS1_11comp_targetILNS1_3genE5ELNS1_11target_archE942ELNS1_3gpuE9ELNS1_3repE0EEENS1_30default_config_static_selectorELNS0_4arch9wavefront6targetE1EEEvS17_.uses_vcc, 0
	.set _ZN7rocprim17ROCPRIM_400000_NS6detail17trampoline_kernelINS0_14default_configENS1_22reduce_config_selectorIN6thrust23THRUST_200600_302600_NS5tupleIblNS6_9null_typeES8_S8_S8_S8_S8_S8_S8_EEEEZNS1_11reduce_implILb1ES3_NS6_12zip_iteratorINS7_INS6_11hip_rocprim26transform_input_iterator_tIbPhNS6_6detail10functional5actorINSH_9compositeIJNSH_27transparent_binary_operatorINS6_8equal_toIvEEEENSI_INSH_8argumentILj0EEEEENSH_5valueIhEEEEEEEEENSD_19counting_iterator_tIlEES8_S8_S8_S8_S8_S8_S8_S8_EEEEPS9_S9_NSD_9__find_if7functorIS9_EEEE10hipError_tPvRmT1_T2_T3_mT4_P12ihipStream_tbEUlT_E0_NS1_11comp_targetILNS1_3genE5ELNS1_11target_archE942ELNS1_3gpuE9ELNS1_3repE0EEENS1_30default_config_static_selectorELNS0_4arch9wavefront6targetE1EEEvS17_.uses_flat_scratch, 0
	.set _ZN7rocprim17ROCPRIM_400000_NS6detail17trampoline_kernelINS0_14default_configENS1_22reduce_config_selectorIN6thrust23THRUST_200600_302600_NS5tupleIblNS6_9null_typeES8_S8_S8_S8_S8_S8_S8_EEEEZNS1_11reduce_implILb1ES3_NS6_12zip_iteratorINS7_INS6_11hip_rocprim26transform_input_iterator_tIbPhNS6_6detail10functional5actorINSH_9compositeIJNSH_27transparent_binary_operatorINS6_8equal_toIvEEEENSI_INSH_8argumentILj0EEEEENSH_5valueIhEEEEEEEEENSD_19counting_iterator_tIlEES8_S8_S8_S8_S8_S8_S8_S8_EEEEPS9_S9_NSD_9__find_if7functorIS9_EEEE10hipError_tPvRmT1_T2_T3_mT4_P12ihipStream_tbEUlT_E0_NS1_11comp_targetILNS1_3genE5ELNS1_11target_archE942ELNS1_3gpuE9ELNS1_3repE0EEENS1_30default_config_static_selectorELNS0_4arch9wavefront6targetE1EEEvS17_.has_dyn_sized_stack, 0
	.set _ZN7rocprim17ROCPRIM_400000_NS6detail17trampoline_kernelINS0_14default_configENS1_22reduce_config_selectorIN6thrust23THRUST_200600_302600_NS5tupleIblNS6_9null_typeES8_S8_S8_S8_S8_S8_S8_EEEEZNS1_11reduce_implILb1ES3_NS6_12zip_iteratorINS7_INS6_11hip_rocprim26transform_input_iterator_tIbPhNS6_6detail10functional5actorINSH_9compositeIJNSH_27transparent_binary_operatorINS6_8equal_toIvEEEENSI_INSH_8argumentILj0EEEEENSH_5valueIhEEEEEEEEENSD_19counting_iterator_tIlEES8_S8_S8_S8_S8_S8_S8_S8_EEEEPS9_S9_NSD_9__find_if7functorIS9_EEEE10hipError_tPvRmT1_T2_T3_mT4_P12ihipStream_tbEUlT_E0_NS1_11comp_targetILNS1_3genE5ELNS1_11target_archE942ELNS1_3gpuE9ELNS1_3repE0EEENS1_30default_config_static_selectorELNS0_4arch9wavefront6targetE1EEEvS17_.has_recursion, 0
	.set _ZN7rocprim17ROCPRIM_400000_NS6detail17trampoline_kernelINS0_14default_configENS1_22reduce_config_selectorIN6thrust23THRUST_200600_302600_NS5tupleIblNS6_9null_typeES8_S8_S8_S8_S8_S8_S8_EEEEZNS1_11reduce_implILb1ES3_NS6_12zip_iteratorINS7_INS6_11hip_rocprim26transform_input_iterator_tIbPhNS6_6detail10functional5actorINSH_9compositeIJNSH_27transparent_binary_operatorINS6_8equal_toIvEEEENSI_INSH_8argumentILj0EEEEENSH_5valueIhEEEEEEEEENSD_19counting_iterator_tIlEES8_S8_S8_S8_S8_S8_S8_S8_EEEEPS9_S9_NSD_9__find_if7functorIS9_EEEE10hipError_tPvRmT1_T2_T3_mT4_P12ihipStream_tbEUlT_E0_NS1_11comp_targetILNS1_3genE5ELNS1_11target_archE942ELNS1_3gpuE9ELNS1_3repE0EEENS1_30default_config_static_selectorELNS0_4arch9wavefront6targetE1EEEvS17_.has_indirect_call, 0
	.section	.AMDGPU.csdata,"",@progbits
; Kernel info:
; codeLenInByte = 0
; TotalNumSgprs: 4
; NumVgprs: 0
; ScratchSize: 0
; MemoryBound: 0
; FloatMode: 240
; IeeeMode: 1
; LDSByteSize: 0 bytes/workgroup (compile time only)
; SGPRBlocks: 0
; VGPRBlocks: 0
; NumSGPRsForWavesPerEU: 4
; NumVGPRsForWavesPerEU: 1
; Occupancy: 10
; WaveLimiterHint : 0
; COMPUTE_PGM_RSRC2:SCRATCH_EN: 0
; COMPUTE_PGM_RSRC2:USER_SGPR: 6
; COMPUTE_PGM_RSRC2:TRAP_HANDLER: 0
; COMPUTE_PGM_RSRC2:TGID_X_EN: 1
; COMPUTE_PGM_RSRC2:TGID_Y_EN: 0
; COMPUTE_PGM_RSRC2:TGID_Z_EN: 0
; COMPUTE_PGM_RSRC2:TIDIG_COMP_CNT: 0
	.section	.text._ZN7rocprim17ROCPRIM_400000_NS6detail17trampoline_kernelINS0_14default_configENS1_22reduce_config_selectorIN6thrust23THRUST_200600_302600_NS5tupleIblNS6_9null_typeES8_S8_S8_S8_S8_S8_S8_EEEEZNS1_11reduce_implILb1ES3_NS6_12zip_iteratorINS7_INS6_11hip_rocprim26transform_input_iterator_tIbPhNS6_6detail10functional5actorINSH_9compositeIJNSH_27transparent_binary_operatorINS6_8equal_toIvEEEENSI_INSH_8argumentILj0EEEEENSH_5valueIhEEEEEEEEENSD_19counting_iterator_tIlEES8_S8_S8_S8_S8_S8_S8_S8_EEEEPS9_S9_NSD_9__find_if7functorIS9_EEEE10hipError_tPvRmT1_T2_T3_mT4_P12ihipStream_tbEUlT_E0_NS1_11comp_targetILNS1_3genE4ELNS1_11target_archE910ELNS1_3gpuE8ELNS1_3repE0EEENS1_30default_config_static_selectorELNS0_4arch9wavefront6targetE1EEEvS17_,"axG",@progbits,_ZN7rocprim17ROCPRIM_400000_NS6detail17trampoline_kernelINS0_14default_configENS1_22reduce_config_selectorIN6thrust23THRUST_200600_302600_NS5tupleIblNS6_9null_typeES8_S8_S8_S8_S8_S8_S8_EEEEZNS1_11reduce_implILb1ES3_NS6_12zip_iteratorINS7_INS6_11hip_rocprim26transform_input_iterator_tIbPhNS6_6detail10functional5actorINSH_9compositeIJNSH_27transparent_binary_operatorINS6_8equal_toIvEEEENSI_INSH_8argumentILj0EEEEENSH_5valueIhEEEEEEEEENSD_19counting_iterator_tIlEES8_S8_S8_S8_S8_S8_S8_S8_EEEEPS9_S9_NSD_9__find_if7functorIS9_EEEE10hipError_tPvRmT1_T2_T3_mT4_P12ihipStream_tbEUlT_E0_NS1_11comp_targetILNS1_3genE4ELNS1_11target_archE910ELNS1_3gpuE8ELNS1_3repE0EEENS1_30default_config_static_selectorELNS0_4arch9wavefront6targetE1EEEvS17_,comdat
	.protected	_ZN7rocprim17ROCPRIM_400000_NS6detail17trampoline_kernelINS0_14default_configENS1_22reduce_config_selectorIN6thrust23THRUST_200600_302600_NS5tupleIblNS6_9null_typeES8_S8_S8_S8_S8_S8_S8_EEEEZNS1_11reduce_implILb1ES3_NS6_12zip_iteratorINS7_INS6_11hip_rocprim26transform_input_iterator_tIbPhNS6_6detail10functional5actorINSH_9compositeIJNSH_27transparent_binary_operatorINS6_8equal_toIvEEEENSI_INSH_8argumentILj0EEEEENSH_5valueIhEEEEEEEEENSD_19counting_iterator_tIlEES8_S8_S8_S8_S8_S8_S8_S8_EEEEPS9_S9_NSD_9__find_if7functorIS9_EEEE10hipError_tPvRmT1_T2_T3_mT4_P12ihipStream_tbEUlT_E0_NS1_11comp_targetILNS1_3genE4ELNS1_11target_archE910ELNS1_3gpuE8ELNS1_3repE0EEENS1_30default_config_static_selectorELNS0_4arch9wavefront6targetE1EEEvS17_ ; -- Begin function _ZN7rocprim17ROCPRIM_400000_NS6detail17trampoline_kernelINS0_14default_configENS1_22reduce_config_selectorIN6thrust23THRUST_200600_302600_NS5tupleIblNS6_9null_typeES8_S8_S8_S8_S8_S8_S8_EEEEZNS1_11reduce_implILb1ES3_NS6_12zip_iteratorINS7_INS6_11hip_rocprim26transform_input_iterator_tIbPhNS6_6detail10functional5actorINSH_9compositeIJNSH_27transparent_binary_operatorINS6_8equal_toIvEEEENSI_INSH_8argumentILj0EEEEENSH_5valueIhEEEEEEEEENSD_19counting_iterator_tIlEES8_S8_S8_S8_S8_S8_S8_S8_EEEEPS9_S9_NSD_9__find_if7functorIS9_EEEE10hipError_tPvRmT1_T2_T3_mT4_P12ihipStream_tbEUlT_E0_NS1_11comp_targetILNS1_3genE4ELNS1_11target_archE910ELNS1_3gpuE8ELNS1_3repE0EEENS1_30default_config_static_selectorELNS0_4arch9wavefront6targetE1EEEvS17_
	.globl	_ZN7rocprim17ROCPRIM_400000_NS6detail17trampoline_kernelINS0_14default_configENS1_22reduce_config_selectorIN6thrust23THRUST_200600_302600_NS5tupleIblNS6_9null_typeES8_S8_S8_S8_S8_S8_S8_EEEEZNS1_11reduce_implILb1ES3_NS6_12zip_iteratorINS7_INS6_11hip_rocprim26transform_input_iterator_tIbPhNS6_6detail10functional5actorINSH_9compositeIJNSH_27transparent_binary_operatorINS6_8equal_toIvEEEENSI_INSH_8argumentILj0EEEEENSH_5valueIhEEEEEEEEENSD_19counting_iterator_tIlEES8_S8_S8_S8_S8_S8_S8_S8_EEEEPS9_S9_NSD_9__find_if7functorIS9_EEEE10hipError_tPvRmT1_T2_T3_mT4_P12ihipStream_tbEUlT_E0_NS1_11comp_targetILNS1_3genE4ELNS1_11target_archE910ELNS1_3gpuE8ELNS1_3repE0EEENS1_30default_config_static_selectorELNS0_4arch9wavefront6targetE1EEEvS17_
	.p2align	8
	.type	_ZN7rocprim17ROCPRIM_400000_NS6detail17trampoline_kernelINS0_14default_configENS1_22reduce_config_selectorIN6thrust23THRUST_200600_302600_NS5tupleIblNS6_9null_typeES8_S8_S8_S8_S8_S8_S8_EEEEZNS1_11reduce_implILb1ES3_NS6_12zip_iteratorINS7_INS6_11hip_rocprim26transform_input_iterator_tIbPhNS6_6detail10functional5actorINSH_9compositeIJNSH_27transparent_binary_operatorINS6_8equal_toIvEEEENSI_INSH_8argumentILj0EEEEENSH_5valueIhEEEEEEEEENSD_19counting_iterator_tIlEES8_S8_S8_S8_S8_S8_S8_S8_EEEEPS9_S9_NSD_9__find_if7functorIS9_EEEE10hipError_tPvRmT1_T2_T3_mT4_P12ihipStream_tbEUlT_E0_NS1_11comp_targetILNS1_3genE4ELNS1_11target_archE910ELNS1_3gpuE8ELNS1_3repE0EEENS1_30default_config_static_selectorELNS0_4arch9wavefront6targetE1EEEvS17_,@function
_ZN7rocprim17ROCPRIM_400000_NS6detail17trampoline_kernelINS0_14default_configENS1_22reduce_config_selectorIN6thrust23THRUST_200600_302600_NS5tupleIblNS6_9null_typeES8_S8_S8_S8_S8_S8_S8_EEEEZNS1_11reduce_implILb1ES3_NS6_12zip_iteratorINS7_INS6_11hip_rocprim26transform_input_iterator_tIbPhNS6_6detail10functional5actorINSH_9compositeIJNSH_27transparent_binary_operatorINS6_8equal_toIvEEEENSI_INSH_8argumentILj0EEEEENSH_5valueIhEEEEEEEEENSD_19counting_iterator_tIlEES8_S8_S8_S8_S8_S8_S8_S8_EEEEPS9_S9_NSD_9__find_if7functorIS9_EEEE10hipError_tPvRmT1_T2_T3_mT4_P12ihipStream_tbEUlT_E0_NS1_11comp_targetILNS1_3genE4ELNS1_11target_archE910ELNS1_3gpuE8ELNS1_3repE0EEENS1_30default_config_static_selectorELNS0_4arch9wavefront6targetE1EEEvS17_: ; @_ZN7rocprim17ROCPRIM_400000_NS6detail17trampoline_kernelINS0_14default_configENS1_22reduce_config_selectorIN6thrust23THRUST_200600_302600_NS5tupleIblNS6_9null_typeES8_S8_S8_S8_S8_S8_S8_EEEEZNS1_11reduce_implILb1ES3_NS6_12zip_iteratorINS7_INS6_11hip_rocprim26transform_input_iterator_tIbPhNS6_6detail10functional5actorINSH_9compositeIJNSH_27transparent_binary_operatorINS6_8equal_toIvEEEENSI_INSH_8argumentILj0EEEEENSH_5valueIhEEEEEEEEENSD_19counting_iterator_tIlEES8_S8_S8_S8_S8_S8_S8_S8_EEEEPS9_S9_NSD_9__find_if7functorIS9_EEEE10hipError_tPvRmT1_T2_T3_mT4_P12ihipStream_tbEUlT_E0_NS1_11comp_targetILNS1_3genE4ELNS1_11target_archE910ELNS1_3gpuE8ELNS1_3repE0EEENS1_30default_config_static_selectorELNS0_4arch9wavefront6targetE1EEEvS17_
; %bb.0:
	.section	.rodata,"a",@progbits
	.p2align	6, 0x0
	.amdhsa_kernel _ZN7rocprim17ROCPRIM_400000_NS6detail17trampoline_kernelINS0_14default_configENS1_22reduce_config_selectorIN6thrust23THRUST_200600_302600_NS5tupleIblNS6_9null_typeES8_S8_S8_S8_S8_S8_S8_EEEEZNS1_11reduce_implILb1ES3_NS6_12zip_iteratorINS7_INS6_11hip_rocprim26transform_input_iterator_tIbPhNS6_6detail10functional5actorINSH_9compositeIJNSH_27transparent_binary_operatorINS6_8equal_toIvEEEENSI_INSH_8argumentILj0EEEEENSH_5valueIhEEEEEEEEENSD_19counting_iterator_tIlEES8_S8_S8_S8_S8_S8_S8_S8_EEEEPS9_S9_NSD_9__find_if7functorIS9_EEEE10hipError_tPvRmT1_T2_T3_mT4_P12ihipStream_tbEUlT_E0_NS1_11comp_targetILNS1_3genE4ELNS1_11target_archE910ELNS1_3gpuE8ELNS1_3repE0EEENS1_30default_config_static_selectorELNS0_4arch9wavefront6targetE1EEEvS17_
		.amdhsa_group_segment_fixed_size 0
		.amdhsa_private_segment_fixed_size 0
		.amdhsa_kernarg_size 88
		.amdhsa_user_sgpr_count 6
		.amdhsa_user_sgpr_private_segment_buffer 1
		.amdhsa_user_sgpr_dispatch_ptr 0
		.amdhsa_user_sgpr_queue_ptr 0
		.amdhsa_user_sgpr_kernarg_segment_ptr 1
		.amdhsa_user_sgpr_dispatch_id 0
		.amdhsa_user_sgpr_flat_scratch_init 0
		.amdhsa_user_sgpr_private_segment_size 0
		.amdhsa_uses_dynamic_stack 0
		.amdhsa_system_sgpr_private_segment_wavefront_offset 0
		.amdhsa_system_sgpr_workgroup_id_x 1
		.amdhsa_system_sgpr_workgroup_id_y 0
		.amdhsa_system_sgpr_workgroup_id_z 0
		.amdhsa_system_sgpr_workgroup_info 0
		.amdhsa_system_vgpr_workitem_id 0
		.amdhsa_next_free_vgpr 1
		.amdhsa_next_free_sgpr 0
		.amdhsa_reserve_vcc 0
		.amdhsa_reserve_flat_scratch 0
		.amdhsa_float_round_mode_32 0
		.amdhsa_float_round_mode_16_64 0
		.amdhsa_float_denorm_mode_32 3
		.amdhsa_float_denorm_mode_16_64 3
		.amdhsa_dx10_clamp 1
		.amdhsa_ieee_mode 1
		.amdhsa_fp16_overflow 0
		.amdhsa_exception_fp_ieee_invalid_op 0
		.amdhsa_exception_fp_denorm_src 0
		.amdhsa_exception_fp_ieee_div_zero 0
		.amdhsa_exception_fp_ieee_overflow 0
		.amdhsa_exception_fp_ieee_underflow 0
		.amdhsa_exception_fp_ieee_inexact 0
		.amdhsa_exception_int_div_zero 0
	.end_amdhsa_kernel
	.section	.text._ZN7rocprim17ROCPRIM_400000_NS6detail17trampoline_kernelINS0_14default_configENS1_22reduce_config_selectorIN6thrust23THRUST_200600_302600_NS5tupleIblNS6_9null_typeES8_S8_S8_S8_S8_S8_S8_EEEEZNS1_11reduce_implILb1ES3_NS6_12zip_iteratorINS7_INS6_11hip_rocprim26transform_input_iterator_tIbPhNS6_6detail10functional5actorINSH_9compositeIJNSH_27transparent_binary_operatorINS6_8equal_toIvEEEENSI_INSH_8argumentILj0EEEEENSH_5valueIhEEEEEEEEENSD_19counting_iterator_tIlEES8_S8_S8_S8_S8_S8_S8_S8_EEEEPS9_S9_NSD_9__find_if7functorIS9_EEEE10hipError_tPvRmT1_T2_T3_mT4_P12ihipStream_tbEUlT_E0_NS1_11comp_targetILNS1_3genE4ELNS1_11target_archE910ELNS1_3gpuE8ELNS1_3repE0EEENS1_30default_config_static_selectorELNS0_4arch9wavefront6targetE1EEEvS17_,"axG",@progbits,_ZN7rocprim17ROCPRIM_400000_NS6detail17trampoline_kernelINS0_14default_configENS1_22reduce_config_selectorIN6thrust23THRUST_200600_302600_NS5tupleIblNS6_9null_typeES8_S8_S8_S8_S8_S8_S8_EEEEZNS1_11reduce_implILb1ES3_NS6_12zip_iteratorINS7_INS6_11hip_rocprim26transform_input_iterator_tIbPhNS6_6detail10functional5actorINSH_9compositeIJNSH_27transparent_binary_operatorINS6_8equal_toIvEEEENSI_INSH_8argumentILj0EEEEENSH_5valueIhEEEEEEEEENSD_19counting_iterator_tIlEES8_S8_S8_S8_S8_S8_S8_S8_EEEEPS9_S9_NSD_9__find_if7functorIS9_EEEE10hipError_tPvRmT1_T2_T3_mT4_P12ihipStream_tbEUlT_E0_NS1_11comp_targetILNS1_3genE4ELNS1_11target_archE910ELNS1_3gpuE8ELNS1_3repE0EEENS1_30default_config_static_selectorELNS0_4arch9wavefront6targetE1EEEvS17_,comdat
.Lfunc_end444:
	.size	_ZN7rocprim17ROCPRIM_400000_NS6detail17trampoline_kernelINS0_14default_configENS1_22reduce_config_selectorIN6thrust23THRUST_200600_302600_NS5tupleIblNS6_9null_typeES8_S8_S8_S8_S8_S8_S8_EEEEZNS1_11reduce_implILb1ES3_NS6_12zip_iteratorINS7_INS6_11hip_rocprim26transform_input_iterator_tIbPhNS6_6detail10functional5actorINSH_9compositeIJNSH_27transparent_binary_operatorINS6_8equal_toIvEEEENSI_INSH_8argumentILj0EEEEENSH_5valueIhEEEEEEEEENSD_19counting_iterator_tIlEES8_S8_S8_S8_S8_S8_S8_S8_EEEEPS9_S9_NSD_9__find_if7functorIS9_EEEE10hipError_tPvRmT1_T2_T3_mT4_P12ihipStream_tbEUlT_E0_NS1_11comp_targetILNS1_3genE4ELNS1_11target_archE910ELNS1_3gpuE8ELNS1_3repE0EEENS1_30default_config_static_selectorELNS0_4arch9wavefront6targetE1EEEvS17_, .Lfunc_end444-_ZN7rocprim17ROCPRIM_400000_NS6detail17trampoline_kernelINS0_14default_configENS1_22reduce_config_selectorIN6thrust23THRUST_200600_302600_NS5tupleIblNS6_9null_typeES8_S8_S8_S8_S8_S8_S8_EEEEZNS1_11reduce_implILb1ES3_NS6_12zip_iteratorINS7_INS6_11hip_rocprim26transform_input_iterator_tIbPhNS6_6detail10functional5actorINSH_9compositeIJNSH_27transparent_binary_operatorINS6_8equal_toIvEEEENSI_INSH_8argumentILj0EEEEENSH_5valueIhEEEEEEEEENSD_19counting_iterator_tIlEES8_S8_S8_S8_S8_S8_S8_S8_EEEEPS9_S9_NSD_9__find_if7functorIS9_EEEE10hipError_tPvRmT1_T2_T3_mT4_P12ihipStream_tbEUlT_E0_NS1_11comp_targetILNS1_3genE4ELNS1_11target_archE910ELNS1_3gpuE8ELNS1_3repE0EEENS1_30default_config_static_selectorELNS0_4arch9wavefront6targetE1EEEvS17_
                                        ; -- End function
	.set _ZN7rocprim17ROCPRIM_400000_NS6detail17trampoline_kernelINS0_14default_configENS1_22reduce_config_selectorIN6thrust23THRUST_200600_302600_NS5tupleIblNS6_9null_typeES8_S8_S8_S8_S8_S8_S8_EEEEZNS1_11reduce_implILb1ES3_NS6_12zip_iteratorINS7_INS6_11hip_rocprim26transform_input_iterator_tIbPhNS6_6detail10functional5actorINSH_9compositeIJNSH_27transparent_binary_operatorINS6_8equal_toIvEEEENSI_INSH_8argumentILj0EEEEENSH_5valueIhEEEEEEEEENSD_19counting_iterator_tIlEES8_S8_S8_S8_S8_S8_S8_S8_EEEEPS9_S9_NSD_9__find_if7functorIS9_EEEE10hipError_tPvRmT1_T2_T3_mT4_P12ihipStream_tbEUlT_E0_NS1_11comp_targetILNS1_3genE4ELNS1_11target_archE910ELNS1_3gpuE8ELNS1_3repE0EEENS1_30default_config_static_selectorELNS0_4arch9wavefront6targetE1EEEvS17_.num_vgpr, 0
	.set _ZN7rocprim17ROCPRIM_400000_NS6detail17trampoline_kernelINS0_14default_configENS1_22reduce_config_selectorIN6thrust23THRUST_200600_302600_NS5tupleIblNS6_9null_typeES8_S8_S8_S8_S8_S8_S8_EEEEZNS1_11reduce_implILb1ES3_NS6_12zip_iteratorINS7_INS6_11hip_rocprim26transform_input_iterator_tIbPhNS6_6detail10functional5actorINSH_9compositeIJNSH_27transparent_binary_operatorINS6_8equal_toIvEEEENSI_INSH_8argumentILj0EEEEENSH_5valueIhEEEEEEEEENSD_19counting_iterator_tIlEES8_S8_S8_S8_S8_S8_S8_S8_EEEEPS9_S9_NSD_9__find_if7functorIS9_EEEE10hipError_tPvRmT1_T2_T3_mT4_P12ihipStream_tbEUlT_E0_NS1_11comp_targetILNS1_3genE4ELNS1_11target_archE910ELNS1_3gpuE8ELNS1_3repE0EEENS1_30default_config_static_selectorELNS0_4arch9wavefront6targetE1EEEvS17_.num_agpr, 0
	.set _ZN7rocprim17ROCPRIM_400000_NS6detail17trampoline_kernelINS0_14default_configENS1_22reduce_config_selectorIN6thrust23THRUST_200600_302600_NS5tupleIblNS6_9null_typeES8_S8_S8_S8_S8_S8_S8_EEEEZNS1_11reduce_implILb1ES3_NS6_12zip_iteratorINS7_INS6_11hip_rocprim26transform_input_iterator_tIbPhNS6_6detail10functional5actorINSH_9compositeIJNSH_27transparent_binary_operatorINS6_8equal_toIvEEEENSI_INSH_8argumentILj0EEEEENSH_5valueIhEEEEEEEEENSD_19counting_iterator_tIlEES8_S8_S8_S8_S8_S8_S8_S8_EEEEPS9_S9_NSD_9__find_if7functorIS9_EEEE10hipError_tPvRmT1_T2_T3_mT4_P12ihipStream_tbEUlT_E0_NS1_11comp_targetILNS1_3genE4ELNS1_11target_archE910ELNS1_3gpuE8ELNS1_3repE0EEENS1_30default_config_static_selectorELNS0_4arch9wavefront6targetE1EEEvS17_.numbered_sgpr, 0
	.set _ZN7rocprim17ROCPRIM_400000_NS6detail17trampoline_kernelINS0_14default_configENS1_22reduce_config_selectorIN6thrust23THRUST_200600_302600_NS5tupleIblNS6_9null_typeES8_S8_S8_S8_S8_S8_S8_EEEEZNS1_11reduce_implILb1ES3_NS6_12zip_iteratorINS7_INS6_11hip_rocprim26transform_input_iterator_tIbPhNS6_6detail10functional5actorINSH_9compositeIJNSH_27transparent_binary_operatorINS6_8equal_toIvEEEENSI_INSH_8argumentILj0EEEEENSH_5valueIhEEEEEEEEENSD_19counting_iterator_tIlEES8_S8_S8_S8_S8_S8_S8_S8_EEEEPS9_S9_NSD_9__find_if7functorIS9_EEEE10hipError_tPvRmT1_T2_T3_mT4_P12ihipStream_tbEUlT_E0_NS1_11comp_targetILNS1_3genE4ELNS1_11target_archE910ELNS1_3gpuE8ELNS1_3repE0EEENS1_30default_config_static_selectorELNS0_4arch9wavefront6targetE1EEEvS17_.num_named_barrier, 0
	.set _ZN7rocprim17ROCPRIM_400000_NS6detail17trampoline_kernelINS0_14default_configENS1_22reduce_config_selectorIN6thrust23THRUST_200600_302600_NS5tupleIblNS6_9null_typeES8_S8_S8_S8_S8_S8_S8_EEEEZNS1_11reduce_implILb1ES3_NS6_12zip_iteratorINS7_INS6_11hip_rocprim26transform_input_iterator_tIbPhNS6_6detail10functional5actorINSH_9compositeIJNSH_27transparent_binary_operatorINS6_8equal_toIvEEEENSI_INSH_8argumentILj0EEEEENSH_5valueIhEEEEEEEEENSD_19counting_iterator_tIlEES8_S8_S8_S8_S8_S8_S8_S8_EEEEPS9_S9_NSD_9__find_if7functorIS9_EEEE10hipError_tPvRmT1_T2_T3_mT4_P12ihipStream_tbEUlT_E0_NS1_11comp_targetILNS1_3genE4ELNS1_11target_archE910ELNS1_3gpuE8ELNS1_3repE0EEENS1_30default_config_static_selectorELNS0_4arch9wavefront6targetE1EEEvS17_.private_seg_size, 0
	.set _ZN7rocprim17ROCPRIM_400000_NS6detail17trampoline_kernelINS0_14default_configENS1_22reduce_config_selectorIN6thrust23THRUST_200600_302600_NS5tupleIblNS6_9null_typeES8_S8_S8_S8_S8_S8_S8_EEEEZNS1_11reduce_implILb1ES3_NS6_12zip_iteratorINS7_INS6_11hip_rocprim26transform_input_iterator_tIbPhNS6_6detail10functional5actorINSH_9compositeIJNSH_27transparent_binary_operatorINS6_8equal_toIvEEEENSI_INSH_8argumentILj0EEEEENSH_5valueIhEEEEEEEEENSD_19counting_iterator_tIlEES8_S8_S8_S8_S8_S8_S8_S8_EEEEPS9_S9_NSD_9__find_if7functorIS9_EEEE10hipError_tPvRmT1_T2_T3_mT4_P12ihipStream_tbEUlT_E0_NS1_11comp_targetILNS1_3genE4ELNS1_11target_archE910ELNS1_3gpuE8ELNS1_3repE0EEENS1_30default_config_static_selectorELNS0_4arch9wavefront6targetE1EEEvS17_.uses_vcc, 0
	.set _ZN7rocprim17ROCPRIM_400000_NS6detail17trampoline_kernelINS0_14default_configENS1_22reduce_config_selectorIN6thrust23THRUST_200600_302600_NS5tupleIblNS6_9null_typeES8_S8_S8_S8_S8_S8_S8_EEEEZNS1_11reduce_implILb1ES3_NS6_12zip_iteratorINS7_INS6_11hip_rocprim26transform_input_iterator_tIbPhNS6_6detail10functional5actorINSH_9compositeIJNSH_27transparent_binary_operatorINS6_8equal_toIvEEEENSI_INSH_8argumentILj0EEEEENSH_5valueIhEEEEEEEEENSD_19counting_iterator_tIlEES8_S8_S8_S8_S8_S8_S8_S8_EEEEPS9_S9_NSD_9__find_if7functorIS9_EEEE10hipError_tPvRmT1_T2_T3_mT4_P12ihipStream_tbEUlT_E0_NS1_11comp_targetILNS1_3genE4ELNS1_11target_archE910ELNS1_3gpuE8ELNS1_3repE0EEENS1_30default_config_static_selectorELNS0_4arch9wavefront6targetE1EEEvS17_.uses_flat_scratch, 0
	.set _ZN7rocprim17ROCPRIM_400000_NS6detail17trampoline_kernelINS0_14default_configENS1_22reduce_config_selectorIN6thrust23THRUST_200600_302600_NS5tupleIblNS6_9null_typeES8_S8_S8_S8_S8_S8_S8_EEEEZNS1_11reduce_implILb1ES3_NS6_12zip_iteratorINS7_INS6_11hip_rocprim26transform_input_iterator_tIbPhNS6_6detail10functional5actorINSH_9compositeIJNSH_27transparent_binary_operatorINS6_8equal_toIvEEEENSI_INSH_8argumentILj0EEEEENSH_5valueIhEEEEEEEEENSD_19counting_iterator_tIlEES8_S8_S8_S8_S8_S8_S8_S8_EEEEPS9_S9_NSD_9__find_if7functorIS9_EEEE10hipError_tPvRmT1_T2_T3_mT4_P12ihipStream_tbEUlT_E0_NS1_11comp_targetILNS1_3genE4ELNS1_11target_archE910ELNS1_3gpuE8ELNS1_3repE0EEENS1_30default_config_static_selectorELNS0_4arch9wavefront6targetE1EEEvS17_.has_dyn_sized_stack, 0
	.set _ZN7rocprim17ROCPRIM_400000_NS6detail17trampoline_kernelINS0_14default_configENS1_22reduce_config_selectorIN6thrust23THRUST_200600_302600_NS5tupleIblNS6_9null_typeES8_S8_S8_S8_S8_S8_S8_EEEEZNS1_11reduce_implILb1ES3_NS6_12zip_iteratorINS7_INS6_11hip_rocprim26transform_input_iterator_tIbPhNS6_6detail10functional5actorINSH_9compositeIJNSH_27transparent_binary_operatorINS6_8equal_toIvEEEENSI_INSH_8argumentILj0EEEEENSH_5valueIhEEEEEEEEENSD_19counting_iterator_tIlEES8_S8_S8_S8_S8_S8_S8_S8_EEEEPS9_S9_NSD_9__find_if7functorIS9_EEEE10hipError_tPvRmT1_T2_T3_mT4_P12ihipStream_tbEUlT_E0_NS1_11comp_targetILNS1_3genE4ELNS1_11target_archE910ELNS1_3gpuE8ELNS1_3repE0EEENS1_30default_config_static_selectorELNS0_4arch9wavefront6targetE1EEEvS17_.has_recursion, 0
	.set _ZN7rocprim17ROCPRIM_400000_NS6detail17trampoline_kernelINS0_14default_configENS1_22reduce_config_selectorIN6thrust23THRUST_200600_302600_NS5tupleIblNS6_9null_typeES8_S8_S8_S8_S8_S8_S8_EEEEZNS1_11reduce_implILb1ES3_NS6_12zip_iteratorINS7_INS6_11hip_rocprim26transform_input_iterator_tIbPhNS6_6detail10functional5actorINSH_9compositeIJNSH_27transparent_binary_operatorINS6_8equal_toIvEEEENSI_INSH_8argumentILj0EEEEENSH_5valueIhEEEEEEEEENSD_19counting_iterator_tIlEES8_S8_S8_S8_S8_S8_S8_S8_EEEEPS9_S9_NSD_9__find_if7functorIS9_EEEE10hipError_tPvRmT1_T2_T3_mT4_P12ihipStream_tbEUlT_E0_NS1_11comp_targetILNS1_3genE4ELNS1_11target_archE910ELNS1_3gpuE8ELNS1_3repE0EEENS1_30default_config_static_selectorELNS0_4arch9wavefront6targetE1EEEvS17_.has_indirect_call, 0
	.section	.AMDGPU.csdata,"",@progbits
; Kernel info:
; codeLenInByte = 0
; TotalNumSgprs: 4
; NumVgprs: 0
; ScratchSize: 0
; MemoryBound: 0
; FloatMode: 240
; IeeeMode: 1
; LDSByteSize: 0 bytes/workgroup (compile time only)
; SGPRBlocks: 0
; VGPRBlocks: 0
; NumSGPRsForWavesPerEU: 4
; NumVGPRsForWavesPerEU: 1
; Occupancy: 10
; WaveLimiterHint : 0
; COMPUTE_PGM_RSRC2:SCRATCH_EN: 0
; COMPUTE_PGM_RSRC2:USER_SGPR: 6
; COMPUTE_PGM_RSRC2:TRAP_HANDLER: 0
; COMPUTE_PGM_RSRC2:TGID_X_EN: 1
; COMPUTE_PGM_RSRC2:TGID_Y_EN: 0
; COMPUTE_PGM_RSRC2:TGID_Z_EN: 0
; COMPUTE_PGM_RSRC2:TIDIG_COMP_CNT: 0
	.section	.text._ZN7rocprim17ROCPRIM_400000_NS6detail17trampoline_kernelINS0_14default_configENS1_22reduce_config_selectorIN6thrust23THRUST_200600_302600_NS5tupleIblNS6_9null_typeES8_S8_S8_S8_S8_S8_S8_EEEEZNS1_11reduce_implILb1ES3_NS6_12zip_iteratorINS7_INS6_11hip_rocprim26transform_input_iterator_tIbPhNS6_6detail10functional5actorINSH_9compositeIJNSH_27transparent_binary_operatorINS6_8equal_toIvEEEENSI_INSH_8argumentILj0EEEEENSH_5valueIhEEEEEEEEENSD_19counting_iterator_tIlEES8_S8_S8_S8_S8_S8_S8_S8_EEEEPS9_S9_NSD_9__find_if7functorIS9_EEEE10hipError_tPvRmT1_T2_T3_mT4_P12ihipStream_tbEUlT_E0_NS1_11comp_targetILNS1_3genE3ELNS1_11target_archE908ELNS1_3gpuE7ELNS1_3repE0EEENS1_30default_config_static_selectorELNS0_4arch9wavefront6targetE1EEEvS17_,"axG",@progbits,_ZN7rocprim17ROCPRIM_400000_NS6detail17trampoline_kernelINS0_14default_configENS1_22reduce_config_selectorIN6thrust23THRUST_200600_302600_NS5tupleIblNS6_9null_typeES8_S8_S8_S8_S8_S8_S8_EEEEZNS1_11reduce_implILb1ES3_NS6_12zip_iteratorINS7_INS6_11hip_rocprim26transform_input_iterator_tIbPhNS6_6detail10functional5actorINSH_9compositeIJNSH_27transparent_binary_operatorINS6_8equal_toIvEEEENSI_INSH_8argumentILj0EEEEENSH_5valueIhEEEEEEEEENSD_19counting_iterator_tIlEES8_S8_S8_S8_S8_S8_S8_S8_EEEEPS9_S9_NSD_9__find_if7functorIS9_EEEE10hipError_tPvRmT1_T2_T3_mT4_P12ihipStream_tbEUlT_E0_NS1_11comp_targetILNS1_3genE3ELNS1_11target_archE908ELNS1_3gpuE7ELNS1_3repE0EEENS1_30default_config_static_selectorELNS0_4arch9wavefront6targetE1EEEvS17_,comdat
	.protected	_ZN7rocprim17ROCPRIM_400000_NS6detail17trampoline_kernelINS0_14default_configENS1_22reduce_config_selectorIN6thrust23THRUST_200600_302600_NS5tupleIblNS6_9null_typeES8_S8_S8_S8_S8_S8_S8_EEEEZNS1_11reduce_implILb1ES3_NS6_12zip_iteratorINS7_INS6_11hip_rocprim26transform_input_iterator_tIbPhNS6_6detail10functional5actorINSH_9compositeIJNSH_27transparent_binary_operatorINS6_8equal_toIvEEEENSI_INSH_8argumentILj0EEEEENSH_5valueIhEEEEEEEEENSD_19counting_iterator_tIlEES8_S8_S8_S8_S8_S8_S8_S8_EEEEPS9_S9_NSD_9__find_if7functorIS9_EEEE10hipError_tPvRmT1_T2_T3_mT4_P12ihipStream_tbEUlT_E0_NS1_11comp_targetILNS1_3genE3ELNS1_11target_archE908ELNS1_3gpuE7ELNS1_3repE0EEENS1_30default_config_static_selectorELNS0_4arch9wavefront6targetE1EEEvS17_ ; -- Begin function _ZN7rocprim17ROCPRIM_400000_NS6detail17trampoline_kernelINS0_14default_configENS1_22reduce_config_selectorIN6thrust23THRUST_200600_302600_NS5tupleIblNS6_9null_typeES8_S8_S8_S8_S8_S8_S8_EEEEZNS1_11reduce_implILb1ES3_NS6_12zip_iteratorINS7_INS6_11hip_rocprim26transform_input_iterator_tIbPhNS6_6detail10functional5actorINSH_9compositeIJNSH_27transparent_binary_operatorINS6_8equal_toIvEEEENSI_INSH_8argumentILj0EEEEENSH_5valueIhEEEEEEEEENSD_19counting_iterator_tIlEES8_S8_S8_S8_S8_S8_S8_S8_EEEEPS9_S9_NSD_9__find_if7functorIS9_EEEE10hipError_tPvRmT1_T2_T3_mT4_P12ihipStream_tbEUlT_E0_NS1_11comp_targetILNS1_3genE3ELNS1_11target_archE908ELNS1_3gpuE7ELNS1_3repE0EEENS1_30default_config_static_selectorELNS0_4arch9wavefront6targetE1EEEvS17_
	.globl	_ZN7rocprim17ROCPRIM_400000_NS6detail17trampoline_kernelINS0_14default_configENS1_22reduce_config_selectorIN6thrust23THRUST_200600_302600_NS5tupleIblNS6_9null_typeES8_S8_S8_S8_S8_S8_S8_EEEEZNS1_11reduce_implILb1ES3_NS6_12zip_iteratorINS7_INS6_11hip_rocprim26transform_input_iterator_tIbPhNS6_6detail10functional5actorINSH_9compositeIJNSH_27transparent_binary_operatorINS6_8equal_toIvEEEENSI_INSH_8argumentILj0EEEEENSH_5valueIhEEEEEEEEENSD_19counting_iterator_tIlEES8_S8_S8_S8_S8_S8_S8_S8_EEEEPS9_S9_NSD_9__find_if7functorIS9_EEEE10hipError_tPvRmT1_T2_T3_mT4_P12ihipStream_tbEUlT_E0_NS1_11comp_targetILNS1_3genE3ELNS1_11target_archE908ELNS1_3gpuE7ELNS1_3repE0EEENS1_30default_config_static_selectorELNS0_4arch9wavefront6targetE1EEEvS17_
	.p2align	8
	.type	_ZN7rocprim17ROCPRIM_400000_NS6detail17trampoline_kernelINS0_14default_configENS1_22reduce_config_selectorIN6thrust23THRUST_200600_302600_NS5tupleIblNS6_9null_typeES8_S8_S8_S8_S8_S8_S8_EEEEZNS1_11reduce_implILb1ES3_NS6_12zip_iteratorINS7_INS6_11hip_rocprim26transform_input_iterator_tIbPhNS6_6detail10functional5actorINSH_9compositeIJNSH_27transparent_binary_operatorINS6_8equal_toIvEEEENSI_INSH_8argumentILj0EEEEENSH_5valueIhEEEEEEEEENSD_19counting_iterator_tIlEES8_S8_S8_S8_S8_S8_S8_S8_EEEEPS9_S9_NSD_9__find_if7functorIS9_EEEE10hipError_tPvRmT1_T2_T3_mT4_P12ihipStream_tbEUlT_E0_NS1_11comp_targetILNS1_3genE3ELNS1_11target_archE908ELNS1_3gpuE7ELNS1_3repE0EEENS1_30default_config_static_selectorELNS0_4arch9wavefront6targetE1EEEvS17_,@function
_ZN7rocprim17ROCPRIM_400000_NS6detail17trampoline_kernelINS0_14default_configENS1_22reduce_config_selectorIN6thrust23THRUST_200600_302600_NS5tupleIblNS6_9null_typeES8_S8_S8_S8_S8_S8_S8_EEEEZNS1_11reduce_implILb1ES3_NS6_12zip_iteratorINS7_INS6_11hip_rocprim26transform_input_iterator_tIbPhNS6_6detail10functional5actorINSH_9compositeIJNSH_27transparent_binary_operatorINS6_8equal_toIvEEEENSI_INSH_8argumentILj0EEEEENSH_5valueIhEEEEEEEEENSD_19counting_iterator_tIlEES8_S8_S8_S8_S8_S8_S8_S8_EEEEPS9_S9_NSD_9__find_if7functorIS9_EEEE10hipError_tPvRmT1_T2_T3_mT4_P12ihipStream_tbEUlT_E0_NS1_11comp_targetILNS1_3genE3ELNS1_11target_archE908ELNS1_3gpuE7ELNS1_3repE0EEENS1_30default_config_static_selectorELNS0_4arch9wavefront6targetE1EEEvS17_: ; @_ZN7rocprim17ROCPRIM_400000_NS6detail17trampoline_kernelINS0_14default_configENS1_22reduce_config_selectorIN6thrust23THRUST_200600_302600_NS5tupleIblNS6_9null_typeES8_S8_S8_S8_S8_S8_S8_EEEEZNS1_11reduce_implILb1ES3_NS6_12zip_iteratorINS7_INS6_11hip_rocprim26transform_input_iterator_tIbPhNS6_6detail10functional5actorINSH_9compositeIJNSH_27transparent_binary_operatorINS6_8equal_toIvEEEENSI_INSH_8argumentILj0EEEEENSH_5valueIhEEEEEEEEENSD_19counting_iterator_tIlEES8_S8_S8_S8_S8_S8_S8_S8_EEEEPS9_S9_NSD_9__find_if7functorIS9_EEEE10hipError_tPvRmT1_T2_T3_mT4_P12ihipStream_tbEUlT_E0_NS1_11comp_targetILNS1_3genE3ELNS1_11target_archE908ELNS1_3gpuE7ELNS1_3repE0EEENS1_30default_config_static_selectorELNS0_4arch9wavefront6targetE1EEEvS17_
; %bb.0:
	.section	.rodata,"a",@progbits
	.p2align	6, 0x0
	.amdhsa_kernel _ZN7rocprim17ROCPRIM_400000_NS6detail17trampoline_kernelINS0_14default_configENS1_22reduce_config_selectorIN6thrust23THRUST_200600_302600_NS5tupleIblNS6_9null_typeES8_S8_S8_S8_S8_S8_S8_EEEEZNS1_11reduce_implILb1ES3_NS6_12zip_iteratorINS7_INS6_11hip_rocprim26transform_input_iterator_tIbPhNS6_6detail10functional5actorINSH_9compositeIJNSH_27transparent_binary_operatorINS6_8equal_toIvEEEENSI_INSH_8argumentILj0EEEEENSH_5valueIhEEEEEEEEENSD_19counting_iterator_tIlEES8_S8_S8_S8_S8_S8_S8_S8_EEEEPS9_S9_NSD_9__find_if7functorIS9_EEEE10hipError_tPvRmT1_T2_T3_mT4_P12ihipStream_tbEUlT_E0_NS1_11comp_targetILNS1_3genE3ELNS1_11target_archE908ELNS1_3gpuE7ELNS1_3repE0EEENS1_30default_config_static_selectorELNS0_4arch9wavefront6targetE1EEEvS17_
		.amdhsa_group_segment_fixed_size 0
		.amdhsa_private_segment_fixed_size 0
		.amdhsa_kernarg_size 88
		.amdhsa_user_sgpr_count 6
		.amdhsa_user_sgpr_private_segment_buffer 1
		.amdhsa_user_sgpr_dispatch_ptr 0
		.amdhsa_user_sgpr_queue_ptr 0
		.amdhsa_user_sgpr_kernarg_segment_ptr 1
		.amdhsa_user_sgpr_dispatch_id 0
		.amdhsa_user_sgpr_flat_scratch_init 0
		.amdhsa_user_sgpr_private_segment_size 0
		.amdhsa_uses_dynamic_stack 0
		.amdhsa_system_sgpr_private_segment_wavefront_offset 0
		.amdhsa_system_sgpr_workgroup_id_x 1
		.amdhsa_system_sgpr_workgroup_id_y 0
		.amdhsa_system_sgpr_workgroup_id_z 0
		.amdhsa_system_sgpr_workgroup_info 0
		.amdhsa_system_vgpr_workitem_id 0
		.amdhsa_next_free_vgpr 1
		.amdhsa_next_free_sgpr 0
		.amdhsa_reserve_vcc 0
		.amdhsa_reserve_flat_scratch 0
		.amdhsa_float_round_mode_32 0
		.amdhsa_float_round_mode_16_64 0
		.amdhsa_float_denorm_mode_32 3
		.amdhsa_float_denorm_mode_16_64 3
		.amdhsa_dx10_clamp 1
		.amdhsa_ieee_mode 1
		.amdhsa_fp16_overflow 0
		.amdhsa_exception_fp_ieee_invalid_op 0
		.amdhsa_exception_fp_denorm_src 0
		.amdhsa_exception_fp_ieee_div_zero 0
		.amdhsa_exception_fp_ieee_overflow 0
		.amdhsa_exception_fp_ieee_underflow 0
		.amdhsa_exception_fp_ieee_inexact 0
		.amdhsa_exception_int_div_zero 0
	.end_amdhsa_kernel
	.section	.text._ZN7rocprim17ROCPRIM_400000_NS6detail17trampoline_kernelINS0_14default_configENS1_22reduce_config_selectorIN6thrust23THRUST_200600_302600_NS5tupleIblNS6_9null_typeES8_S8_S8_S8_S8_S8_S8_EEEEZNS1_11reduce_implILb1ES3_NS6_12zip_iteratorINS7_INS6_11hip_rocprim26transform_input_iterator_tIbPhNS6_6detail10functional5actorINSH_9compositeIJNSH_27transparent_binary_operatorINS6_8equal_toIvEEEENSI_INSH_8argumentILj0EEEEENSH_5valueIhEEEEEEEEENSD_19counting_iterator_tIlEES8_S8_S8_S8_S8_S8_S8_S8_EEEEPS9_S9_NSD_9__find_if7functorIS9_EEEE10hipError_tPvRmT1_T2_T3_mT4_P12ihipStream_tbEUlT_E0_NS1_11comp_targetILNS1_3genE3ELNS1_11target_archE908ELNS1_3gpuE7ELNS1_3repE0EEENS1_30default_config_static_selectorELNS0_4arch9wavefront6targetE1EEEvS17_,"axG",@progbits,_ZN7rocprim17ROCPRIM_400000_NS6detail17trampoline_kernelINS0_14default_configENS1_22reduce_config_selectorIN6thrust23THRUST_200600_302600_NS5tupleIblNS6_9null_typeES8_S8_S8_S8_S8_S8_S8_EEEEZNS1_11reduce_implILb1ES3_NS6_12zip_iteratorINS7_INS6_11hip_rocprim26transform_input_iterator_tIbPhNS6_6detail10functional5actorINSH_9compositeIJNSH_27transparent_binary_operatorINS6_8equal_toIvEEEENSI_INSH_8argumentILj0EEEEENSH_5valueIhEEEEEEEEENSD_19counting_iterator_tIlEES8_S8_S8_S8_S8_S8_S8_S8_EEEEPS9_S9_NSD_9__find_if7functorIS9_EEEE10hipError_tPvRmT1_T2_T3_mT4_P12ihipStream_tbEUlT_E0_NS1_11comp_targetILNS1_3genE3ELNS1_11target_archE908ELNS1_3gpuE7ELNS1_3repE0EEENS1_30default_config_static_selectorELNS0_4arch9wavefront6targetE1EEEvS17_,comdat
.Lfunc_end445:
	.size	_ZN7rocprim17ROCPRIM_400000_NS6detail17trampoline_kernelINS0_14default_configENS1_22reduce_config_selectorIN6thrust23THRUST_200600_302600_NS5tupleIblNS6_9null_typeES8_S8_S8_S8_S8_S8_S8_EEEEZNS1_11reduce_implILb1ES3_NS6_12zip_iteratorINS7_INS6_11hip_rocprim26transform_input_iterator_tIbPhNS6_6detail10functional5actorINSH_9compositeIJNSH_27transparent_binary_operatorINS6_8equal_toIvEEEENSI_INSH_8argumentILj0EEEEENSH_5valueIhEEEEEEEEENSD_19counting_iterator_tIlEES8_S8_S8_S8_S8_S8_S8_S8_EEEEPS9_S9_NSD_9__find_if7functorIS9_EEEE10hipError_tPvRmT1_T2_T3_mT4_P12ihipStream_tbEUlT_E0_NS1_11comp_targetILNS1_3genE3ELNS1_11target_archE908ELNS1_3gpuE7ELNS1_3repE0EEENS1_30default_config_static_selectorELNS0_4arch9wavefront6targetE1EEEvS17_, .Lfunc_end445-_ZN7rocprim17ROCPRIM_400000_NS6detail17trampoline_kernelINS0_14default_configENS1_22reduce_config_selectorIN6thrust23THRUST_200600_302600_NS5tupleIblNS6_9null_typeES8_S8_S8_S8_S8_S8_S8_EEEEZNS1_11reduce_implILb1ES3_NS6_12zip_iteratorINS7_INS6_11hip_rocprim26transform_input_iterator_tIbPhNS6_6detail10functional5actorINSH_9compositeIJNSH_27transparent_binary_operatorINS6_8equal_toIvEEEENSI_INSH_8argumentILj0EEEEENSH_5valueIhEEEEEEEEENSD_19counting_iterator_tIlEES8_S8_S8_S8_S8_S8_S8_S8_EEEEPS9_S9_NSD_9__find_if7functorIS9_EEEE10hipError_tPvRmT1_T2_T3_mT4_P12ihipStream_tbEUlT_E0_NS1_11comp_targetILNS1_3genE3ELNS1_11target_archE908ELNS1_3gpuE7ELNS1_3repE0EEENS1_30default_config_static_selectorELNS0_4arch9wavefront6targetE1EEEvS17_
                                        ; -- End function
	.set _ZN7rocprim17ROCPRIM_400000_NS6detail17trampoline_kernelINS0_14default_configENS1_22reduce_config_selectorIN6thrust23THRUST_200600_302600_NS5tupleIblNS6_9null_typeES8_S8_S8_S8_S8_S8_S8_EEEEZNS1_11reduce_implILb1ES3_NS6_12zip_iteratorINS7_INS6_11hip_rocprim26transform_input_iterator_tIbPhNS6_6detail10functional5actorINSH_9compositeIJNSH_27transparent_binary_operatorINS6_8equal_toIvEEEENSI_INSH_8argumentILj0EEEEENSH_5valueIhEEEEEEEEENSD_19counting_iterator_tIlEES8_S8_S8_S8_S8_S8_S8_S8_EEEEPS9_S9_NSD_9__find_if7functorIS9_EEEE10hipError_tPvRmT1_T2_T3_mT4_P12ihipStream_tbEUlT_E0_NS1_11comp_targetILNS1_3genE3ELNS1_11target_archE908ELNS1_3gpuE7ELNS1_3repE0EEENS1_30default_config_static_selectorELNS0_4arch9wavefront6targetE1EEEvS17_.num_vgpr, 0
	.set _ZN7rocprim17ROCPRIM_400000_NS6detail17trampoline_kernelINS0_14default_configENS1_22reduce_config_selectorIN6thrust23THRUST_200600_302600_NS5tupleIblNS6_9null_typeES8_S8_S8_S8_S8_S8_S8_EEEEZNS1_11reduce_implILb1ES3_NS6_12zip_iteratorINS7_INS6_11hip_rocprim26transform_input_iterator_tIbPhNS6_6detail10functional5actorINSH_9compositeIJNSH_27transparent_binary_operatorINS6_8equal_toIvEEEENSI_INSH_8argumentILj0EEEEENSH_5valueIhEEEEEEEEENSD_19counting_iterator_tIlEES8_S8_S8_S8_S8_S8_S8_S8_EEEEPS9_S9_NSD_9__find_if7functorIS9_EEEE10hipError_tPvRmT1_T2_T3_mT4_P12ihipStream_tbEUlT_E0_NS1_11comp_targetILNS1_3genE3ELNS1_11target_archE908ELNS1_3gpuE7ELNS1_3repE0EEENS1_30default_config_static_selectorELNS0_4arch9wavefront6targetE1EEEvS17_.num_agpr, 0
	.set _ZN7rocprim17ROCPRIM_400000_NS6detail17trampoline_kernelINS0_14default_configENS1_22reduce_config_selectorIN6thrust23THRUST_200600_302600_NS5tupleIblNS6_9null_typeES8_S8_S8_S8_S8_S8_S8_EEEEZNS1_11reduce_implILb1ES3_NS6_12zip_iteratorINS7_INS6_11hip_rocprim26transform_input_iterator_tIbPhNS6_6detail10functional5actorINSH_9compositeIJNSH_27transparent_binary_operatorINS6_8equal_toIvEEEENSI_INSH_8argumentILj0EEEEENSH_5valueIhEEEEEEEEENSD_19counting_iterator_tIlEES8_S8_S8_S8_S8_S8_S8_S8_EEEEPS9_S9_NSD_9__find_if7functorIS9_EEEE10hipError_tPvRmT1_T2_T3_mT4_P12ihipStream_tbEUlT_E0_NS1_11comp_targetILNS1_3genE3ELNS1_11target_archE908ELNS1_3gpuE7ELNS1_3repE0EEENS1_30default_config_static_selectorELNS0_4arch9wavefront6targetE1EEEvS17_.numbered_sgpr, 0
	.set _ZN7rocprim17ROCPRIM_400000_NS6detail17trampoline_kernelINS0_14default_configENS1_22reduce_config_selectorIN6thrust23THRUST_200600_302600_NS5tupleIblNS6_9null_typeES8_S8_S8_S8_S8_S8_S8_EEEEZNS1_11reduce_implILb1ES3_NS6_12zip_iteratorINS7_INS6_11hip_rocprim26transform_input_iterator_tIbPhNS6_6detail10functional5actorINSH_9compositeIJNSH_27transparent_binary_operatorINS6_8equal_toIvEEEENSI_INSH_8argumentILj0EEEEENSH_5valueIhEEEEEEEEENSD_19counting_iterator_tIlEES8_S8_S8_S8_S8_S8_S8_S8_EEEEPS9_S9_NSD_9__find_if7functorIS9_EEEE10hipError_tPvRmT1_T2_T3_mT4_P12ihipStream_tbEUlT_E0_NS1_11comp_targetILNS1_3genE3ELNS1_11target_archE908ELNS1_3gpuE7ELNS1_3repE0EEENS1_30default_config_static_selectorELNS0_4arch9wavefront6targetE1EEEvS17_.num_named_barrier, 0
	.set _ZN7rocprim17ROCPRIM_400000_NS6detail17trampoline_kernelINS0_14default_configENS1_22reduce_config_selectorIN6thrust23THRUST_200600_302600_NS5tupleIblNS6_9null_typeES8_S8_S8_S8_S8_S8_S8_EEEEZNS1_11reduce_implILb1ES3_NS6_12zip_iteratorINS7_INS6_11hip_rocprim26transform_input_iterator_tIbPhNS6_6detail10functional5actorINSH_9compositeIJNSH_27transparent_binary_operatorINS6_8equal_toIvEEEENSI_INSH_8argumentILj0EEEEENSH_5valueIhEEEEEEEEENSD_19counting_iterator_tIlEES8_S8_S8_S8_S8_S8_S8_S8_EEEEPS9_S9_NSD_9__find_if7functorIS9_EEEE10hipError_tPvRmT1_T2_T3_mT4_P12ihipStream_tbEUlT_E0_NS1_11comp_targetILNS1_3genE3ELNS1_11target_archE908ELNS1_3gpuE7ELNS1_3repE0EEENS1_30default_config_static_selectorELNS0_4arch9wavefront6targetE1EEEvS17_.private_seg_size, 0
	.set _ZN7rocprim17ROCPRIM_400000_NS6detail17trampoline_kernelINS0_14default_configENS1_22reduce_config_selectorIN6thrust23THRUST_200600_302600_NS5tupleIblNS6_9null_typeES8_S8_S8_S8_S8_S8_S8_EEEEZNS1_11reduce_implILb1ES3_NS6_12zip_iteratorINS7_INS6_11hip_rocprim26transform_input_iterator_tIbPhNS6_6detail10functional5actorINSH_9compositeIJNSH_27transparent_binary_operatorINS6_8equal_toIvEEEENSI_INSH_8argumentILj0EEEEENSH_5valueIhEEEEEEEEENSD_19counting_iterator_tIlEES8_S8_S8_S8_S8_S8_S8_S8_EEEEPS9_S9_NSD_9__find_if7functorIS9_EEEE10hipError_tPvRmT1_T2_T3_mT4_P12ihipStream_tbEUlT_E0_NS1_11comp_targetILNS1_3genE3ELNS1_11target_archE908ELNS1_3gpuE7ELNS1_3repE0EEENS1_30default_config_static_selectorELNS0_4arch9wavefront6targetE1EEEvS17_.uses_vcc, 0
	.set _ZN7rocprim17ROCPRIM_400000_NS6detail17trampoline_kernelINS0_14default_configENS1_22reduce_config_selectorIN6thrust23THRUST_200600_302600_NS5tupleIblNS6_9null_typeES8_S8_S8_S8_S8_S8_S8_EEEEZNS1_11reduce_implILb1ES3_NS6_12zip_iteratorINS7_INS6_11hip_rocprim26transform_input_iterator_tIbPhNS6_6detail10functional5actorINSH_9compositeIJNSH_27transparent_binary_operatorINS6_8equal_toIvEEEENSI_INSH_8argumentILj0EEEEENSH_5valueIhEEEEEEEEENSD_19counting_iterator_tIlEES8_S8_S8_S8_S8_S8_S8_S8_EEEEPS9_S9_NSD_9__find_if7functorIS9_EEEE10hipError_tPvRmT1_T2_T3_mT4_P12ihipStream_tbEUlT_E0_NS1_11comp_targetILNS1_3genE3ELNS1_11target_archE908ELNS1_3gpuE7ELNS1_3repE0EEENS1_30default_config_static_selectorELNS0_4arch9wavefront6targetE1EEEvS17_.uses_flat_scratch, 0
	.set _ZN7rocprim17ROCPRIM_400000_NS6detail17trampoline_kernelINS0_14default_configENS1_22reduce_config_selectorIN6thrust23THRUST_200600_302600_NS5tupleIblNS6_9null_typeES8_S8_S8_S8_S8_S8_S8_EEEEZNS1_11reduce_implILb1ES3_NS6_12zip_iteratorINS7_INS6_11hip_rocprim26transform_input_iterator_tIbPhNS6_6detail10functional5actorINSH_9compositeIJNSH_27transparent_binary_operatorINS6_8equal_toIvEEEENSI_INSH_8argumentILj0EEEEENSH_5valueIhEEEEEEEEENSD_19counting_iterator_tIlEES8_S8_S8_S8_S8_S8_S8_S8_EEEEPS9_S9_NSD_9__find_if7functorIS9_EEEE10hipError_tPvRmT1_T2_T3_mT4_P12ihipStream_tbEUlT_E0_NS1_11comp_targetILNS1_3genE3ELNS1_11target_archE908ELNS1_3gpuE7ELNS1_3repE0EEENS1_30default_config_static_selectorELNS0_4arch9wavefront6targetE1EEEvS17_.has_dyn_sized_stack, 0
	.set _ZN7rocprim17ROCPRIM_400000_NS6detail17trampoline_kernelINS0_14default_configENS1_22reduce_config_selectorIN6thrust23THRUST_200600_302600_NS5tupleIblNS6_9null_typeES8_S8_S8_S8_S8_S8_S8_EEEEZNS1_11reduce_implILb1ES3_NS6_12zip_iteratorINS7_INS6_11hip_rocprim26transform_input_iterator_tIbPhNS6_6detail10functional5actorINSH_9compositeIJNSH_27transparent_binary_operatorINS6_8equal_toIvEEEENSI_INSH_8argumentILj0EEEEENSH_5valueIhEEEEEEEEENSD_19counting_iterator_tIlEES8_S8_S8_S8_S8_S8_S8_S8_EEEEPS9_S9_NSD_9__find_if7functorIS9_EEEE10hipError_tPvRmT1_T2_T3_mT4_P12ihipStream_tbEUlT_E0_NS1_11comp_targetILNS1_3genE3ELNS1_11target_archE908ELNS1_3gpuE7ELNS1_3repE0EEENS1_30default_config_static_selectorELNS0_4arch9wavefront6targetE1EEEvS17_.has_recursion, 0
	.set _ZN7rocprim17ROCPRIM_400000_NS6detail17trampoline_kernelINS0_14default_configENS1_22reduce_config_selectorIN6thrust23THRUST_200600_302600_NS5tupleIblNS6_9null_typeES8_S8_S8_S8_S8_S8_S8_EEEEZNS1_11reduce_implILb1ES3_NS6_12zip_iteratorINS7_INS6_11hip_rocprim26transform_input_iterator_tIbPhNS6_6detail10functional5actorINSH_9compositeIJNSH_27transparent_binary_operatorINS6_8equal_toIvEEEENSI_INSH_8argumentILj0EEEEENSH_5valueIhEEEEEEEEENSD_19counting_iterator_tIlEES8_S8_S8_S8_S8_S8_S8_S8_EEEEPS9_S9_NSD_9__find_if7functorIS9_EEEE10hipError_tPvRmT1_T2_T3_mT4_P12ihipStream_tbEUlT_E0_NS1_11comp_targetILNS1_3genE3ELNS1_11target_archE908ELNS1_3gpuE7ELNS1_3repE0EEENS1_30default_config_static_selectorELNS0_4arch9wavefront6targetE1EEEvS17_.has_indirect_call, 0
	.section	.AMDGPU.csdata,"",@progbits
; Kernel info:
; codeLenInByte = 0
; TotalNumSgprs: 4
; NumVgprs: 0
; ScratchSize: 0
; MemoryBound: 0
; FloatMode: 240
; IeeeMode: 1
; LDSByteSize: 0 bytes/workgroup (compile time only)
; SGPRBlocks: 0
; VGPRBlocks: 0
; NumSGPRsForWavesPerEU: 4
; NumVGPRsForWavesPerEU: 1
; Occupancy: 10
; WaveLimiterHint : 0
; COMPUTE_PGM_RSRC2:SCRATCH_EN: 0
; COMPUTE_PGM_RSRC2:USER_SGPR: 6
; COMPUTE_PGM_RSRC2:TRAP_HANDLER: 0
; COMPUTE_PGM_RSRC2:TGID_X_EN: 1
; COMPUTE_PGM_RSRC2:TGID_Y_EN: 0
; COMPUTE_PGM_RSRC2:TGID_Z_EN: 0
; COMPUTE_PGM_RSRC2:TIDIG_COMP_CNT: 0
	.section	.text._ZN7rocprim17ROCPRIM_400000_NS6detail17trampoline_kernelINS0_14default_configENS1_22reduce_config_selectorIN6thrust23THRUST_200600_302600_NS5tupleIblNS6_9null_typeES8_S8_S8_S8_S8_S8_S8_EEEEZNS1_11reduce_implILb1ES3_NS6_12zip_iteratorINS7_INS6_11hip_rocprim26transform_input_iterator_tIbPhNS6_6detail10functional5actorINSH_9compositeIJNSH_27transparent_binary_operatorINS6_8equal_toIvEEEENSI_INSH_8argumentILj0EEEEENSH_5valueIhEEEEEEEEENSD_19counting_iterator_tIlEES8_S8_S8_S8_S8_S8_S8_S8_EEEEPS9_S9_NSD_9__find_if7functorIS9_EEEE10hipError_tPvRmT1_T2_T3_mT4_P12ihipStream_tbEUlT_E0_NS1_11comp_targetILNS1_3genE2ELNS1_11target_archE906ELNS1_3gpuE6ELNS1_3repE0EEENS1_30default_config_static_selectorELNS0_4arch9wavefront6targetE1EEEvS17_,"axG",@progbits,_ZN7rocprim17ROCPRIM_400000_NS6detail17trampoline_kernelINS0_14default_configENS1_22reduce_config_selectorIN6thrust23THRUST_200600_302600_NS5tupleIblNS6_9null_typeES8_S8_S8_S8_S8_S8_S8_EEEEZNS1_11reduce_implILb1ES3_NS6_12zip_iteratorINS7_INS6_11hip_rocprim26transform_input_iterator_tIbPhNS6_6detail10functional5actorINSH_9compositeIJNSH_27transparent_binary_operatorINS6_8equal_toIvEEEENSI_INSH_8argumentILj0EEEEENSH_5valueIhEEEEEEEEENSD_19counting_iterator_tIlEES8_S8_S8_S8_S8_S8_S8_S8_EEEEPS9_S9_NSD_9__find_if7functorIS9_EEEE10hipError_tPvRmT1_T2_T3_mT4_P12ihipStream_tbEUlT_E0_NS1_11comp_targetILNS1_3genE2ELNS1_11target_archE906ELNS1_3gpuE6ELNS1_3repE0EEENS1_30default_config_static_selectorELNS0_4arch9wavefront6targetE1EEEvS17_,comdat
	.protected	_ZN7rocprim17ROCPRIM_400000_NS6detail17trampoline_kernelINS0_14default_configENS1_22reduce_config_selectorIN6thrust23THRUST_200600_302600_NS5tupleIblNS6_9null_typeES8_S8_S8_S8_S8_S8_S8_EEEEZNS1_11reduce_implILb1ES3_NS6_12zip_iteratorINS7_INS6_11hip_rocprim26transform_input_iterator_tIbPhNS6_6detail10functional5actorINSH_9compositeIJNSH_27transparent_binary_operatorINS6_8equal_toIvEEEENSI_INSH_8argumentILj0EEEEENSH_5valueIhEEEEEEEEENSD_19counting_iterator_tIlEES8_S8_S8_S8_S8_S8_S8_S8_EEEEPS9_S9_NSD_9__find_if7functorIS9_EEEE10hipError_tPvRmT1_T2_T3_mT4_P12ihipStream_tbEUlT_E0_NS1_11comp_targetILNS1_3genE2ELNS1_11target_archE906ELNS1_3gpuE6ELNS1_3repE0EEENS1_30default_config_static_selectorELNS0_4arch9wavefront6targetE1EEEvS17_ ; -- Begin function _ZN7rocprim17ROCPRIM_400000_NS6detail17trampoline_kernelINS0_14default_configENS1_22reduce_config_selectorIN6thrust23THRUST_200600_302600_NS5tupleIblNS6_9null_typeES8_S8_S8_S8_S8_S8_S8_EEEEZNS1_11reduce_implILb1ES3_NS6_12zip_iteratorINS7_INS6_11hip_rocprim26transform_input_iterator_tIbPhNS6_6detail10functional5actorINSH_9compositeIJNSH_27transparent_binary_operatorINS6_8equal_toIvEEEENSI_INSH_8argumentILj0EEEEENSH_5valueIhEEEEEEEEENSD_19counting_iterator_tIlEES8_S8_S8_S8_S8_S8_S8_S8_EEEEPS9_S9_NSD_9__find_if7functorIS9_EEEE10hipError_tPvRmT1_T2_T3_mT4_P12ihipStream_tbEUlT_E0_NS1_11comp_targetILNS1_3genE2ELNS1_11target_archE906ELNS1_3gpuE6ELNS1_3repE0EEENS1_30default_config_static_selectorELNS0_4arch9wavefront6targetE1EEEvS17_
	.globl	_ZN7rocprim17ROCPRIM_400000_NS6detail17trampoline_kernelINS0_14default_configENS1_22reduce_config_selectorIN6thrust23THRUST_200600_302600_NS5tupleIblNS6_9null_typeES8_S8_S8_S8_S8_S8_S8_EEEEZNS1_11reduce_implILb1ES3_NS6_12zip_iteratorINS7_INS6_11hip_rocprim26transform_input_iterator_tIbPhNS6_6detail10functional5actorINSH_9compositeIJNSH_27transparent_binary_operatorINS6_8equal_toIvEEEENSI_INSH_8argumentILj0EEEEENSH_5valueIhEEEEEEEEENSD_19counting_iterator_tIlEES8_S8_S8_S8_S8_S8_S8_S8_EEEEPS9_S9_NSD_9__find_if7functorIS9_EEEE10hipError_tPvRmT1_T2_T3_mT4_P12ihipStream_tbEUlT_E0_NS1_11comp_targetILNS1_3genE2ELNS1_11target_archE906ELNS1_3gpuE6ELNS1_3repE0EEENS1_30default_config_static_selectorELNS0_4arch9wavefront6targetE1EEEvS17_
	.p2align	8
	.type	_ZN7rocprim17ROCPRIM_400000_NS6detail17trampoline_kernelINS0_14default_configENS1_22reduce_config_selectorIN6thrust23THRUST_200600_302600_NS5tupleIblNS6_9null_typeES8_S8_S8_S8_S8_S8_S8_EEEEZNS1_11reduce_implILb1ES3_NS6_12zip_iteratorINS7_INS6_11hip_rocprim26transform_input_iterator_tIbPhNS6_6detail10functional5actorINSH_9compositeIJNSH_27transparent_binary_operatorINS6_8equal_toIvEEEENSI_INSH_8argumentILj0EEEEENSH_5valueIhEEEEEEEEENSD_19counting_iterator_tIlEES8_S8_S8_S8_S8_S8_S8_S8_EEEEPS9_S9_NSD_9__find_if7functorIS9_EEEE10hipError_tPvRmT1_T2_T3_mT4_P12ihipStream_tbEUlT_E0_NS1_11comp_targetILNS1_3genE2ELNS1_11target_archE906ELNS1_3gpuE6ELNS1_3repE0EEENS1_30default_config_static_selectorELNS0_4arch9wavefront6targetE1EEEvS17_,@function
_ZN7rocprim17ROCPRIM_400000_NS6detail17trampoline_kernelINS0_14default_configENS1_22reduce_config_selectorIN6thrust23THRUST_200600_302600_NS5tupleIblNS6_9null_typeES8_S8_S8_S8_S8_S8_S8_EEEEZNS1_11reduce_implILb1ES3_NS6_12zip_iteratorINS7_INS6_11hip_rocprim26transform_input_iterator_tIbPhNS6_6detail10functional5actorINSH_9compositeIJNSH_27transparent_binary_operatorINS6_8equal_toIvEEEENSI_INSH_8argumentILj0EEEEENSH_5valueIhEEEEEEEEENSD_19counting_iterator_tIlEES8_S8_S8_S8_S8_S8_S8_S8_EEEEPS9_S9_NSD_9__find_if7functorIS9_EEEE10hipError_tPvRmT1_T2_T3_mT4_P12ihipStream_tbEUlT_E0_NS1_11comp_targetILNS1_3genE2ELNS1_11target_archE906ELNS1_3gpuE6ELNS1_3repE0EEENS1_30default_config_static_selectorELNS0_4arch9wavefront6targetE1EEEvS17_: ; @_ZN7rocprim17ROCPRIM_400000_NS6detail17trampoline_kernelINS0_14default_configENS1_22reduce_config_selectorIN6thrust23THRUST_200600_302600_NS5tupleIblNS6_9null_typeES8_S8_S8_S8_S8_S8_S8_EEEEZNS1_11reduce_implILb1ES3_NS6_12zip_iteratorINS7_INS6_11hip_rocprim26transform_input_iterator_tIbPhNS6_6detail10functional5actorINSH_9compositeIJNSH_27transparent_binary_operatorINS6_8equal_toIvEEEENSI_INSH_8argumentILj0EEEEENSH_5valueIhEEEEEEEEENSD_19counting_iterator_tIlEES8_S8_S8_S8_S8_S8_S8_S8_EEEEPS9_S9_NSD_9__find_if7functorIS9_EEEE10hipError_tPvRmT1_T2_T3_mT4_P12ihipStream_tbEUlT_E0_NS1_11comp_targetILNS1_3genE2ELNS1_11target_archE906ELNS1_3gpuE6ELNS1_3repE0EEENS1_30default_config_static_selectorELNS0_4arch9wavefront6targetE1EEEvS17_
; %bb.0:
	s_load_dwordx2 s[0:1], s[4:5], 0x0
	s_load_dword s2, s[4:5], 0x8
	s_load_dwordx8 s[12:19], s[4:5], 0x10
	s_load_dwordx4 s[20:23], s[4:5], 0x30
	s_mov_b32 s7, 0
	v_mbcnt_lo_u32_b32 v8, -1, 0
	s_waitcnt lgkmcnt(0)
	s_lshr_b32 s26, s2, 16
	s_add_u32 s2, s0, s14
	s_addc_u32 s3, s1, s15
	s_lshl_b32 s27, s6, 8
	s_lshr_b64 s[0:1], s[16:17], 8
	s_add_u32 s24, s2, s27
	s_addc_u32 s25, s3, 0
	s_add_u32 s2, s12, s27
	s_addc_u32 s3, s13, 0
	s_add_u32 s14, s2, s14
	s_addc_u32 s15, s3, s15
	s_cmp_lg_u64 s[0:1], s[6:7]
	s_cbranch_scc0 .LBB446_10
; %bb.1:
	global_load_ubyte v1, v0, s[24:25] offset:128
	global_load_ubyte v2, v0, s[24:25]
	v_mov_b32_e32 v4, s15
	v_add_co_u32_e32 v6, vcc, s14, v0
	v_addc_co_u32_e32 v4, vcc, 0, v4, vcc
	v_add_co_u32_e32 v7, vcc, 0x80, v6
	s_and_b32 s2, s26, 0xff
	v_addc_co_u32_e32 v9, vcc, 0, v4, vcc
	v_mbcnt_hi_u32_b32 v3, -1, v8
	v_lshlrev_b32_e32 v5, 2, v3
	v_or_b32_e32 v11, 0xfc, v5
	s_waitcnt vmcnt(1)
	v_cmp_eq_u16_sdwa s[0:1], v1, s2 src0_sel:BYTE_0 src1_sel:DWORD
	s_waitcnt vmcnt(0)
	v_cmp_eq_u16_e32 vcc, s2, v2
	v_cndmask_b32_e32 v2, v9, v4, vcc
	v_cndmask_b32_e32 v1, v7, v6, vcc
	s_or_b64 s[0:1], vcc, s[0:1]
	v_mov_b32_dpp v7, v2 quad_perm:[1,0,3,2] row_mask:0xf bank_mask:0xf bound_ctrl:1
	v_mov_b32_dpp v6, v1 quad_perm:[1,0,3,2] row_mask:0xf bank_mask:0xf bound_ctrl:1
	v_cndmask_b32_e64 v4, 0, 1, s[0:1]
	v_cmp_lt_i64_e32 vcc, v[1:2], v[6:7]
	s_and_b64 vcc, s[0:1], vcc
	v_mov_b32_dpp v9, v4 quad_perm:[1,0,3,2] row_mask:0xf bank_mask:0xf bound_ctrl:1
	v_and_b32_e32 v9, 1, v9
	v_cndmask_b32_e32 v6, v6, v1, vcc
	v_cndmask_b32_e32 v7, v7, v2, vcc
	v_cmp_eq_u32_e32 vcc, 1, v9
	v_cndmask_b32_e32 v2, v2, v7, vcc
	v_cndmask_b32_e32 v1, v1, v6, vcc
	v_cndmask_b32_e64 v4, v4, 1, vcc
	v_mov_b32_dpp v7, v2 quad_perm:[2,3,0,1] row_mask:0xf bank_mask:0xf bound_ctrl:1
	v_mov_b32_dpp v6, v1 quad_perm:[2,3,0,1] row_mask:0xf bank_mask:0xf bound_ctrl:1
	v_and_b32_e32 v10, 1, v4
	v_cmp_lt_i64_e64 s[0:1], v[1:2], v[6:7]
	v_mov_b32_dpp v9, v4 quad_perm:[2,3,0,1] row_mask:0xf bank_mask:0xf bound_ctrl:1
	v_cmp_eq_u32_e32 vcc, 1, v10
	v_and_b32_e32 v9, 1, v9
	s_and_b64 vcc, vcc, s[0:1]
	v_cmp_eq_u32_e64 s[2:3], 1, v9
	v_cndmask_b32_e32 v6, v6, v1, vcc
	v_cndmask_b32_e32 v7, v7, v2, vcc
	v_cndmask_b32_e64 v1, v1, v6, s[2:3]
	v_cndmask_b32_e64 v2, v2, v7, s[2:3]
	;; [unrolled: 1-line block ×3, first 2 shown]
	v_mov_b32_dpp v6, v1 row_ror:4 row_mask:0xf bank_mask:0xf bound_ctrl:1
	v_mov_b32_dpp v7, v2 row_ror:4 row_mask:0xf bank_mask:0xf bound_ctrl:1
	v_and_b32_e32 v10, 1, v4
	v_cmp_lt_i64_e64 s[2:3], v[1:2], v[6:7]
	v_mov_b32_dpp v9, v4 row_ror:4 row_mask:0xf bank_mask:0xf bound_ctrl:1
	v_cmp_eq_u32_e32 vcc, 1, v10
	v_and_b32_e32 v9, 1, v9
	s_and_b64 vcc, vcc, s[2:3]
	v_cmp_eq_u32_e64 s[0:1], 1, v9
	v_cndmask_b32_e32 v6, v6, v1, vcc
	v_cndmask_b32_e32 v7, v7, v2, vcc
	v_cndmask_b32_e64 v1, v1, v6, s[0:1]
	v_cndmask_b32_e64 v2, v2, v7, s[0:1]
	;; [unrolled: 1-line block ×3, first 2 shown]
	v_mov_b32_dpp v6, v1 row_ror:8 row_mask:0xf bank_mask:0xf bound_ctrl:1
	v_mov_b32_dpp v7, v2 row_ror:8 row_mask:0xf bank_mask:0xf bound_ctrl:1
	v_and_b32_e32 v10, 1, v4
	v_cmp_lt_i64_e64 s[2:3], v[1:2], v[6:7]
	v_mov_b32_dpp v9, v4 row_ror:8 row_mask:0xf bank_mask:0xf bound_ctrl:1
	v_cmp_eq_u32_e64 s[8:9], 1, v10
	v_and_b32_e32 v9, 1, v9
	s_and_b64 s[2:3], s[8:9], s[2:3]
	v_cmp_eq_u32_e64 s[10:11], 1, v9
	v_cndmask_b32_e64 v6, v6, v1, s[2:3]
	v_cndmask_b32_e64 v7, v7, v2, s[2:3]
	;; [unrolled: 1-line block ×5, first 2 shown]
	v_mov_b32_dpp v9, v4 row_bcast:15 row_mask:0xf bank_mask:0xf bound_ctrl:1
	v_mov_b32_dpp v6, v1 row_bcast:15 row_mask:0xf bank_mask:0xf bound_ctrl:1
	;; [unrolled: 1-line block ×3, first 2 shown]
	v_and_b32_e32 v10, 1, v4
	v_and_b32_e32 v9, 1, v9
	v_cmp_lt_i64_e64 s[2:3], v[1:2], v[6:7]
	v_cmp_eq_u32_e32 vcc, 1, v10
	v_cmp_eq_u32_e64 s[0:1], 1, v9
	v_cndmask_b32_e64 v4, v4, 1, s[0:1]
	s_and_b64 vcc, vcc, s[2:3]
	v_cndmask_b32_e32 v6, v6, v1, vcc
	v_mov_b32_dpp v9, v4 row_bcast:31 row_mask:0xf bank_mask:0xf bound_ctrl:1
	v_cndmask_b32_e32 v7, v7, v2, vcc
	v_and_b32_e32 v10, 1, v4
	v_and_b32_e32 v9, 1, v9
	v_cndmask_b32_e64 v1, v1, v6, s[0:1]
	v_cndmask_b32_e64 v2, v2, v7, s[0:1]
	v_cmp_eq_u32_e64 s[12:13], 1, v10
	v_cmp_eq_u32_e64 s[8:9], 1, v9
	v_mov_b32_dpp v9, v1 row_bcast:31 row_mask:0xf bank_mask:0xf bound_ctrl:1
	v_mov_b32_dpp v10, v2 row_bcast:31 row_mask:0xf bank_mask:0xf bound_ctrl:1
	v_cmp_lt_i64_e32 vcc, v[1:2], v[9:10]
	v_cndmask_b32_e64 v4, v4, 1, s[8:9]
	s_and_b64 vcc, s[12:13], vcc
	ds_bpermute_b32 v7, v11, v4
	v_cndmask_b32_e32 v4, v9, v1, vcc
	v_cndmask_b32_e32 v6, v10, v2, vcc
	v_cndmask_b32_e64 v1, v1, v4, s[8:9]
	v_cndmask_b32_e64 v2, v2, v6, s[8:9]
	ds_bpermute_b32 v1, v11, v1
	ds_bpermute_b32 v2, v11, v2
	v_cmp_eq_u32_e32 vcc, 0, v3
	s_and_saveexec_b64 s[0:1], vcc
	s_cbranch_execz .LBB446_3
; %bb.2:
	v_lshrrev_b32_e32 v4, 2, v0
	v_and_b32_e32 v4, 16, v4
	s_waitcnt lgkmcnt(2)
	ds_write_b8 v4, v7
	s_waitcnt lgkmcnt(1)
	ds_write_b64 v4, v[1:2] offset:8
.LBB446_3:
	s_or_b64 exec, exec, s[0:1]
	v_cmp_gt_u32_e32 vcc, 64, v0
	s_waitcnt lgkmcnt(0)
	s_barrier
	s_and_saveexec_b64 s[0:1], vcc
	s_cbranch_execz .LBB446_9
; %bb.4:
	v_and_b32_e32 v1, 1, v3
	v_lshlrev_b32_e32 v1, 4, v1
	ds_read_u8 v9, v1
	ds_read_b64 v[3:4], v1 offset:8
	v_or_b32_e32 v2, 4, v5
	s_waitcnt lgkmcnt(1)
	v_and_b32_e32 v1, 0xff, v9
	ds_bpermute_b32 v10, v2, v1
	s_waitcnt lgkmcnt(1)
	ds_bpermute_b32 v5, v2, v3
	ds_bpermute_b32 v6, v2, v4
	s_waitcnt lgkmcnt(2)
	v_and_b32_e32 v1, v9, v10
	v_and_b32_e32 v1, 1, v1
	v_cmp_eq_u32_e32 vcc, 1, v1
                                        ; implicit-def: $vgpr1_vgpr2
	s_and_saveexec_b64 s[2:3], vcc
	s_xor_b64 s[2:3], exec, s[2:3]
	s_cbranch_execz .LBB446_6
; %bb.5:
	s_waitcnt lgkmcnt(0)
	v_cmp_lt_i64_e32 vcc, v[5:6], v[3:4]
                                        ; implicit-def: $vgpr9
                                        ; implicit-def: $vgpr10
	v_cndmask_b32_e32 v2, v4, v6, vcc
	v_cndmask_b32_e32 v1, v3, v5, vcc
                                        ; implicit-def: $vgpr5_vgpr6
                                        ; implicit-def: $vgpr3_vgpr4
.LBB446_6:
	s_or_saveexec_b64 s[2:3], s[2:3]
	v_mov_b32_e32 v7, 1
	s_xor_b64 exec, exec, s[2:3]
	s_cbranch_execz .LBB446_8
; %bb.7:
	v_and_b32_e32 v1, 1, v9
	v_cmp_eq_u32_e32 vcc, 1, v1
	s_waitcnt lgkmcnt(0)
	v_cndmask_b32_e32 v2, v6, v4, vcc
	v_cndmask_b32_e32 v1, v5, v3, vcc
	v_cndmask_b32_e64 v7, v10, 1, vcc
.LBB446_8:
	s_or_b64 exec, exec, s[2:3]
.LBB446_9:
	s_or_b64 exec, exec, s[0:1]
	s_load_dword s10, s[4:5], 0x40
	s_load_dwordx2 s[8:9], s[4:5], 0x48
	s_branch .LBB446_62
.LBB446_10:
                                        ; implicit-def: $vgpr1_vgpr2
                                        ; implicit-def: $vgpr7
	s_load_dword s10, s[4:5], 0x40
	s_load_dwordx2 s[8:9], s[4:5], 0x48
	s_cbranch_execz .LBB446_62
; %bb.11:
	s_sub_i32 s11, s16, s27
	v_mov_b32_e32 v3, 0
	v_mov_b32_e32 v1, 0
	v_cmp_gt_u32_e32 vcc, s11, v0
	s_waitcnt lgkmcnt(0)
	v_mov_b32_e32 v5, 0
	v_mov_b32_e32 v4, 0
	;; [unrolled: 1-line block ×4, first 2 shown]
	s_and_saveexec_b64 s[0:1], vcc
	s_cbranch_execz .LBB446_13
; %bb.12:
	global_load_ubyte v6, v0, s[24:25]
	v_mov_b32_e32 v2, s15
	v_add_co_u32_e32 v1, vcc, s14, v0
	s_and_b32 s2, s26, 0xff
	v_addc_co_u32_e32 v2, vcc, 0, v2, vcc
	s_waitcnt vmcnt(0)
	v_cmp_eq_u16_e32 vcc, s2, v6
	v_cndmask_b32_e64 v6, 0, 1, vcc
.LBB446_13:
	s_or_b64 exec, exec, s[0:1]
	v_or_b32_e32 v7, 0x80, v0
	v_cmp_gt_u32_e32 vcc, s11, v7
	s_and_saveexec_b64 s[2:3], vcc
	s_cbranch_execz .LBB446_15
; %bb.14:
	global_load_ubyte v5, v0, s[24:25] offset:128
	v_mov_b32_e32 v4, s15
	v_add_co_u32_e64 v3, s[0:1], s14, v7
	s_and_b32 s4, s26, 0xff
	v_addc_co_u32_e64 v4, s[0:1], 0, v4, s[0:1]
	s_waitcnt vmcnt(0)
	v_cmp_eq_u16_e64 s[0:1], s4, v5
	v_cndmask_b32_e64 v5, 0, 1, s[0:1]
.LBB446_15:
	s_or_b64 exec, exec, s[2:3]
	v_and_b32_e32 v9, 0xffff, v5
	v_and_b32_e32 v5, 1, v5
	v_cmp_eq_u32_e64 s[0:1], 1, v5
	v_and_b32_e32 v5, 1, v6
	v_cmp_lt_i64_e64 s[2:3], v[3:4], v[1:2]
	v_cmp_eq_u32_e64 s[4:5], 1, v5
	v_and_b32_e32 v7, 0xffff, v6
	v_cndmask_b32_e64 v5, v9, 1, s[4:5]
	s_and_b64 s[0:1], s[0:1], s[2:3]
	v_cndmask_b32_e64 v6, v2, v4, s[0:1]
	v_cndmask_b32_e64 v9, v1, v3, s[0:1]
	v_cndmask_b32_e32 v7, v7, v5, vcc
	v_mbcnt_hi_u32_b32 v5, -1, v8
	v_cndmask_b32_e64 v3, v3, v9, s[4:5]
	v_cndmask_b32_e64 v4, v4, v6, s[4:5]
	v_and_b32_e32 v6, 63, v5
	v_cndmask_b32_e32 v2, v2, v4, vcc
	v_cndmask_b32_e32 v1, v1, v3, vcc
	v_cmp_ne_u32_e32 vcc, 63, v6
	v_addc_co_u32_e32 v3, vcc, 0, v5, vcc
	v_lshlrev_b32_e32 v4, 2, v3
	ds_bpermute_b32 v9, v4, v7
	ds_bpermute_b32 v3, v4, v1
	;; [unrolled: 1-line block ×3, first 2 shown]
	s_min_u32 s4, s11, 0x80
	v_and_b32_e32 v8, 64, v0
	v_sub_u32_e64 v8, s4, v8 clamp
	v_add_u32_e32 v10, 1, v6
	v_cmp_lt_u32_e32 vcc, v10, v8
	s_and_saveexec_b64 s[0:1], vcc
	s_cbranch_execz .LBB446_21
; %bb.16:
	s_waitcnt lgkmcnt(2)
	v_and_b32_e32 v10, v9, v7
	v_cmp_ne_u32_e32 vcc, 0, v10
	s_and_saveexec_b64 s[2:3], vcc
	s_xor_b64 s[2:3], exec, s[2:3]
	s_cbranch_execz .LBB446_18
; %bb.17:
	s_waitcnt lgkmcnt(0)
	v_cmp_lt_i64_e32 vcc, v[3:4], v[1:2]
                                        ; implicit-def: $vgpr7
                                        ; implicit-def: $vgpr9
	v_cndmask_b32_e32 v2, v2, v4, vcc
	v_cndmask_b32_e32 v1, v1, v3, vcc
                                        ; implicit-def: $vgpr3_vgpr4
.LBB446_18:
	s_or_saveexec_b64 s[2:3], s[2:3]
	v_mov_b32_e32 v10, 1
	s_xor_b64 exec, exec, s[2:3]
	s_cbranch_execz .LBB446_20
; %bb.19:
	v_and_b32_e32 v7, 1, v7
	v_cmp_eq_u32_e32 vcc, 1, v7
	s_waitcnt lgkmcnt(1)
	v_cndmask_b32_e32 v1, v3, v1, vcc
	v_and_b32_e32 v3, 0xff, v9
	s_waitcnt lgkmcnt(0)
	v_cndmask_b32_e32 v2, v4, v2, vcc
	v_cndmask_b32_e64 v10, v3, 1, vcc
.LBB446_20:
	s_or_b64 exec, exec, s[2:3]
	v_mov_b32_e32 v7, v10
.LBB446_21:
	s_or_b64 exec, exec, s[0:1]
	v_cmp_gt_u32_e32 vcc, 62, v6
	s_waitcnt lgkmcnt(1)
	v_cndmask_b32_e64 v3, 0, 2, vcc
	s_waitcnt lgkmcnt(0)
	v_add_lshl_u32 v4, v3, v5, 2
	ds_bpermute_b32 v9, v4, v7
	ds_bpermute_b32 v3, v4, v1
	ds_bpermute_b32 v4, v4, v2
	v_add_u32_e32 v10, 2, v6
	v_cmp_lt_u32_e32 vcc, v10, v8
	s_and_saveexec_b64 s[0:1], vcc
	s_cbranch_execz .LBB446_27
; %bb.22:
	s_waitcnt lgkmcnt(2)
	v_and_b32_e32 v10, v7, v9
	v_and_b32_e32 v10, 1, v10
	v_cmp_eq_u32_e32 vcc, 1, v10
	s_and_saveexec_b64 s[2:3], vcc
	s_xor_b64 s[2:3], exec, s[2:3]
	s_cbranch_execz .LBB446_24
; %bb.23:
	s_waitcnt lgkmcnt(0)
	v_cmp_lt_i64_e32 vcc, v[3:4], v[1:2]
                                        ; implicit-def: $vgpr7
                                        ; implicit-def: $vgpr9
	v_cndmask_b32_e32 v2, v2, v4, vcc
	v_cndmask_b32_e32 v1, v1, v3, vcc
                                        ; implicit-def: $vgpr3_vgpr4
.LBB446_24:
	s_or_saveexec_b64 s[2:3], s[2:3]
	v_mov_b32_e32 v10, 1
	s_xor_b64 exec, exec, s[2:3]
	s_cbranch_execz .LBB446_26
; %bb.25:
	v_and_b32_e32 v7, 1, v7
	v_cmp_eq_u32_e32 vcc, 1, v7
	s_waitcnt lgkmcnt(1)
	v_cndmask_b32_e32 v1, v3, v1, vcc
	v_and_b32_e32 v3, 0xff, v9
	s_waitcnt lgkmcnt(0)
	v_cndmask_b32_e32 v2, v4, v2, vcc
	v_cndmask_b32_e64 v10, v3, 1, vcc
.LBB446_26:
	s_or_b64 exec, exec, s[2:3]
	v_mov_b32_e32 v7, v10
.LBB446_27:
	s_or_b64 exec, exec, s[0:1]
	v_cmp_gt_u32_e32 vcc, 60, v6
	s_waitcnt lgkmcnt(1)
	v_cndmask_b32_e64 v3, 0, 4, vcc
	s_waitcnt lgkmcnt(0)
	v_add_lshl_u32 v4, v3, v5, 2
	ds_bpermute_b32 v9, v4, v7
	ds_bpermute_b32 v3, v4, v1
	ds_bpermute_b32 v4, v4, v2
	v_add_u32_e32 v10, 4, v6
	v_cmp_lt_u32_e32 vcc, v10, v8
	s_and_saveexec_b64 s[0:1], vcc
	s_cbranch_execz .LBB446_33
; %bb.28:
	s_waitcnt lgkmcnt(2)
	v_and_b32_e32 v10, v7, v9
	v_and_b32_e32 v10, 1, v10
	v_cmp_eq_u32_e32 vcc, 1, v10
	s_and_saveexec_b64 s[2:3], vcc
	s_xor_b64 s[2:3], exec, s[2:3]
	s_cbranch_execz .LBB446_30
; %bb.29:
	s_waitcnt lgkmcnt(0)
	v_cmp_lt_i64_e32 vcc, v[3:4], v[1:2]
                                        ; implicit-def: $vgpr7
                                        ; implicit-def: $vgpr9
	v_cndmask_b32_e32 v2, v2, v4, vcc
	v_cndmask_b32_e32 v1, v1, v3, vcc
                                        ; implicit-def: $vgpr3_vgpr4
.LBB446_30:
	s_or_saveexec_b64 s[2:3], s[2:3]
	v_mov_b32_e32 v10, 1
	s_xor_b64 exec, exec, s[2:3]
	s_cbranch_execz .LBB446_32
; %bb.31:
	v_and_b32_e32 v7, 1, v7
	v_cmp_eq_u32_e32 vcc, 1, v7
	s_waitcnt lgkmcnt(1)
	v_cndmask_b32_e32 v1, v3, v1, vcc
	v_and_b32_e32 v3, 0xff, v9
	s_waitcnt lgkmcnt(0)
	v_cndmask_b32_e32 v2, v4, v2, vcc
	v_cndmask_b32_e64 v10, v3, 1, vcc
.LBB446_32:
	s_or_b64 exec, exec, s[2:3]
	v_mov_b32_e32 v7, v10
.LBB446_33:
	;; [unrolled: 47-line block ×4, first 2 shown]
	s_or_b64 exec, exec, s[0:1]
	s_waitcnt lgkmcnt(2)
	v_lshlrev_b32_e32 v9, 2, v5
	s_waitcnt lgkmcnt(0)
	v_or_b32_e32 v4, 0x80, v9
	ds_bpermute_b32 v10, v4, v7
	ds_bpermute_b32 v3, v4, v1
	;; [unrolled: 1-line block ×3, first 2 shown]
	v_add_u32_e32 v6, 32, v6
	v_cmp_lt_u32_e32 vcc, v6, v8
	v_mov_b32_e32 v6, v7
	s_and_saveexec_b64 s[0:1], vcc
	s_cbranch_execz .LBB446_51
; %bb.46:
	s_waitcnt lgkmcnt(2)
	v_and_b32_e32 v6, v7, v10
	v_and_b32_e32 v6, 1, v6
	v_cmp_eq_u32_e32 vcc, 1, v6
	s_and_saveexec_b64 s[2:3], vcc
	s_xor_b64 s[2:3], exec, s[2:3]
	s_cbranch_execz .LBB446_48
; %bb.47:
	s_waitcnt lgkmcnt(0)
	v_cmp_lt_i64_e32 vcc, v[3:4], v[1:2]
                                        ; implicit-def: $vgpr7
                                        ; implicit-def: $vgpr10
	v_cndmask_b32_e32 v2, v2, v4, vcc
	v_cndmask_b32_e32 v1, v1, v3, vcc
                                        ; implicit-def: $vgpr3_vgpr4
.LBB446_48:
	s_or_saveexec_b64 s[2:3], s[2:3]
	v_mov_b32_e32 v6, 1
	s_xor_b64 exec, exec, s[2:3]
	s_cbranch_execz .LBB446_50
; %bb.49:
	v_and_b32_e32 v6, 1, v7
	v_cmp_eq_u32_e32 vcc, 1, v6
	v_cndmask_b32_e64 v6, v10, 1, vcc
	s_waitcnt lgkmcnt(0)
	v_cndmask_b32_e32 v2, v4, v2, vcc
	v_cndmask_b32_e32 v1, v3, v1, vcc
.LBB446_50:
	s_or_b64 exec, exec, s[2:3]
	v_and_b32_e32 v7, 0xff, v6
.LBB446_51:
	s_or_b64 exec, exec, s[0:1]
	v_cmp_eq_u32_e32 vcc, 0, v5
	s_and_saveexec_b64 s[0:1], vcc
	s_cbranch_execz .LBB446_53
; %bb.52:
	s_waitcnt lgkmcnt(1)
	v_lshrrev_b32_e32 v3, 2, v0
	v_and_b32_e32 v3, 16, v3
	ds_write_b8 v3, v6 offset:32
	ds_write_b64 v3, v[1:2] offset:40
.LBB446_53:
	s_or_b64 exec, exec, s[0:1]
	v_cmp_gt_u32_e32 vcc, 2, v0
	s_waitcnt lgkmcnt(0)
	s_barrier
	s_and_saveexec_b64 s[0:1], vcc
	s_cbranch_execz .LBB446_61
; %bb.54:
	v_lshlrev_b32_e32 v1, 4, v5
	ds_read_u8 v6, v1 offset:32
	ds_read_b64 v[1:2], v1 offset:40
	v_or_b32_e32 v4, 4, v9
	s_add_i32 s4, s4, 63
	v_and_b32_e32 v5, 1, v5
	s_waitcnt lgkmcnt(1)
	v_and_b32_e32 v7, 0xff, v6
	s_waitcnt lgkmcnt(0)
	ds_bpermute_b32 v3, v4, v1
	ds_bpermute_b32 v8, v4, v7
	;; [unrolled: 1-line block ×3, first 2 shown]
	s_lshr_b32 s2, s4, 6
	v_add_u32_e32 v5, 1, v5
	v_cmp_gt_u32_e32 vcc, s2, v5
	s_and_saveexec_b64 s[2:3], vcc
	s_cbranch_execz .LBB446_60
; %bb.55:
	s_waitcnt lgkmcnt(1)
	v_and_b32_e32 v5, v7, v8
	v_and_b32_e32 v5, 1, v5
	v_cmp_eq_u32_e32 vcc, 1, v5
	s_and_saveexec_b64 s[4:5], vcc
	s_xor_b64 s[4:5], exec, s[4:5]
	s_cbranch_execz .LBB446_57
; %bb.56:
	s_waitcnt lgkmcnt(0)
	v_cmp_lt_i64_e32 vcc, v[3:4], v[1:2]
                                        ; implicit-def: $vgpr6
                                        ; implicit-def: $vgpr8
	v_cndmask_b32_e32 v2, v2, v4, vcc
	v_cndmask_b32_e32 v1, v1, v3, vcc
                                        ; implicit-def: $vgpr3_vgpr4
.LBB446_57:
	s_or_saveexec_b64 s[4:5], s[4:5]
	v_mov_b32_e32 v7, 1
	s_xor_b64 exec, exec, s[4:5]
	s_cbranch_execz .LBB446_59
; %bb.58:
	v_and_b32_e32 v5, 1, v6
	v_cmp_eq_u32_e32 vcc, 1, v5
	s_waitcnt lgkmcnt(0)
	v_cndmask_b32_e32 v2, v4, v2, vcc
	v_cndmask_b32_e32 v1, v3, v1, vcc
	v_cndmask_b32_e64 v7, v8, 1, vcc
.LBB446_59:
	s_or_b64 exec, exec, s[4:5]
.LBB446_60:
	s_or_b64 exec, exec, s[2:3]
.LBB446_61:
	s_or_b64 exec, exec, s[0:1]
.LBB446_62:
	v_cmp_eq_u32_e32 vcc, 0, v0
	s_and_saveexec_b64 s[0:1], vcc
	s_cbranch_execnz .LBB446_64
; %bb.63:
	s_endpgm
.LBB446_64:
	s_mul_i32 s0, s22, s21
	s_mul_hi_u32 s1, s22, s20
	s_add_i32 s0, s1, s0
	s_mul_i32 s1, s23, s20
	s_add_i32 s1, s0, s1
	s_mul_i32 s0, s22, s20
	s_lshl_b64 s[0:1], s[0:1], 4
	s_add_u32 s2, s18, s0
	s_addc_u32 s3, s19, s1
	s_cmp_eq_u64 s[16:17], 0
	s_waitcnt lgkmcnt(0)
	v_mov_b32_e32 v0, s9
	s_cselect_b64 vcc, -1, 0
	v_cndmask_b32_e32 v2, v2, v0, vcc
	v_mov_b32_e32 v0, s8
	s_lshl_b64 s[0:1], s[6:7], 4
	v_cndmask_b32_e32 v1, v1, v0, vcc
	v_mov_b32_e32 v0, s10
	s_add_u32 s0, s2, s0
	v_cndmask_b32_e32 v0, v7, v0, vcc
	s_addc_u32 s1, s3, s1
	v_mov_b32_e32 v3, 0
	global_store_byte v3, v0, s[0:1]
	global_store_dwordx2 v3, v[1:2], s[0:1] offset:8
	s_endpgm
	.section	.rodata,"a",@progbits
	.p2align	6, 0x0
	.amdhsa_kernel _ZN7rocprim17ROCPRIM_400000_NS6detail17trampoline_kernelINS0_14default_configENS1_22reduce_config_selectorIN6thrust23THRUST_200600_302600_NS5tupleIblNS6_9null_typeES8_S8_S8_S8_S8_S8_S8_EEEEZNS1_11reduce_implILb1ES3_NS6_12zip_iteratorINS7_INS6_11hip_rocprim26transform_input_iterator_tIbPhNS6_6detail10functional5actorINSH_9compositeIJNSH_27transparent_binary_operatorINS6_8equal_toIvEEEENSI_INSH_8argumentILj0EEEEENSH_5valueIhEEEEEEEEENSD_19counting_iterator_tIlEES8_S8_S8_S8_S8_S8_S8_S8_EEEEPS9_S9_NSD_9__find_if7functorIS9_EEEE10hipError_tPvRmT1_T2_T3_mT4_P12ihipStream_tbEUlT_E0_NS1_11comp_targetILNS1_3genE2ELNS1_11target_archE906ELNS1_3gpuE6ELNS1_3repE0EEENS1_30default_config_static_selectorELNS0_4arch9wavefront6targetE1EEEvS17_
		.amdhsa_group_segment_fixed_size 64
		.amdhsa_private_segment_fixed_size 0
		.amdhsa_kernarg_size 88
		.amdhsa_user_sgpr_count 6
		.amdhsa_user_sgpr_private_segment_buffer 1
		.amdhsa_user_sgpr_dispatch_ptr 0
		.amdhsa_user_sgpr_queue_ptr 0
		.amdhsa_user_sgpr_kernarg_segment_ptr 1
		.amdhsa_user_sgpr_dispatch_id 0
		.amdhsa_user_sgpr_flat_scratch_init 0
		.amdhsa_user_sgpr_private_segment_size 0
		.amdhsa_uses_dynamic_stack 0
		.amdhsa_system_sgpr_private_segment_wavefront_offset 0
		.amdhsa_system_sgpr_workgroup_id_x 1
		.amdhsa_system_sgpr_workgroup_id_y 0
		.amdhsa_system_sgpr_workgroup_id_z 0
		.amdhsa_system_sgpr_workgroup_info 0
		.amdhsa_system_vgpr_workitem_id 0
		.amdhsa_next_free_vgpr 12
		.amdhsa_next_free_sgpr 28
		.amdhsa_reserve_vcc 1
		.amdhsa_reserve_flat_scratch 0
		.amdhsa_float_round_mode_32 0
		.amdhsa_float_round_mode_16_64 0
		.amdhsa_float_denorm_mode_32 3
		.amdhsa_float_denorm_mode_16_64 3
		.amdhsa_dx10_clamp 1
		.amdhsa_ieee_mode 1
		.amdhsa_fp16_overflow 0
		.amdhsa_exception_fp_ieee_invalid_op 0
		.amdhsa_exception_fp_denorm_src 0
		.amdhsa_exception_fp_ieee_div_zero 0
		.amdhsa_exception_fp_ieee_overflow 0
		.amdhsa_exception_fp_ieee_underflow 0
		.amdhsa_exception_fp_ieee_inexact 0
		.amdhsa_exception_int_div_zero 0
	.end_amdhsa_kernel
	.section	.text._ZN7rocprim17ROCPRIM_400000_NS6detail17trampoline_kernelINS0_14default_configENS1_22reduce_config_selectorIN6thrust23THRUST_200600_302600_NS5tupleIblNS6_9null_typeES8_S8_S8_S8_S8_S8_S8_EEEEZNS1_11reduce_implILb1ES3_NS6_12zip_iteratorINS7_INS6_11hip_rocprim26transform_input_iterator_tIbPhNS6_6detail10functional5actorINSH_9compositeIJNSH_27transparent_binary_operatorINS6_8equal_toIvEEEENSI_INSH_8argumentILj0EEEEENSH_5valueIhEEEEEEEEENSD_19counting_iterator_tIlEES8_S8_S8_S8_S8_S8_S8_S8_EEEEPS9_S9_NSD_9__find_if7functorIS9_EEEE10hipError_tPvRmT1_T2_T3_mT4_P12ihipStream_tbEUlT_E0_NS1_11comp_targetILNS1_3genE2ELNS1_11target_archE906ELNS1_3gpuE6ELNS1_3repE0EEENS1_30default_config_static_selectorELNS0_4arch9wavefront6targetE1EEEvS17_,"axG",@progbits,_ZN7rocprim17ROCPRIM_400000_NS6detail17trampoline_kernelINS0_14default_configENS1_22reduce_config_selectorIN6thrust23THRUST_200600_302600_NS5tupleIblNS6_9null_typeES8_S8_S8_S8_S8_S8_S8_EEEEZNS1_11reduce_implILb1ES3_NS6_12zip_iteratorINS7_INS6_11hip_rocprim26transform_input_iterator_tIbPhNS6_6detail10functional5actorINSH_9compositeIJNSH_27transparent_binary_operatorINS6_8equal_toIvEEEENSI_INSH_8argumentILj0EEEEENSH_5valueIhEEEEEEEEENSD_19counting_iterator_tIlEES8_S8_S8_S8_S8_S8_S8_S8_EEEEPS9_S9_NSD_9__find_if7functorIS9_EEEE10hipError_tPvRmT1_T2_T3_mT4_P12ihipStream_tbEUlT_E0_NS1_11comp_targetILNS1_3genE2ELNS1_11target_archE906ELNS1_3gpuE6ELNS1_3repE0EEENS1_30default_config_static_selectorELNS0_4arch9wavefront6targetE1EEEvS17_,comdat
.Lfunc_end446:
	.size	_ZN7rocprim17ROCPRIM_400000_NS6detail17trampoline_kernelINS0_14default_configENS1_22reduce_config_selectorIN6thrust23THRUST_200600_302600_NS5tupleIblNS6_9null_typeES8_S8_S8_S8_S8_S8_S8_EEEEZNS1_11reduce_implILb1ES3_NS6_12zip_iteratorINS7_INS6_11hip_rocprim26transform_input_iterator_tIbPhNS6_6detail10functional5actorINSH_9compositeIJNSH_27transparent_binary_operatorINS6_8equal_toIvEEEENSI_INSH_8argumentILj0EEEEENSH_5valueIhEEEEEEEEENSD_19counting_iterator_tIlEES8_S8_S8_S8_S8_S8_S8_S8_EEEEPS9_S9_NSD_9__find_if7functorIS9_EEEE10hipError_tPvRmT1_T2_T3_mT4_P12ihipStream_tbEUlT_E0_NS1_11comp_targetILNS1_3genE2ELNS1_11target_archE906ELNS1_3gpuE6ELNS1_3repE0EEENS1_30default_config_static_selectorELNS0_4arch9wavefront6targetE1EEEvS17_, .Lfunc_end446-_ZN7rocprim17ROCPRIM_400000_NS6detail17trampoline_kernelINS0_14default_configENS1_22reduce_config_selectorIN6thrust23THRUST_200600_302600_NS5tupleIblNS6_9null_typeES8_S8_S8_S8_S8_S8_S8_EEEEZNS1_11reduce_implILb1ES3_NS6_12zip_iteratorINS7_INS6_11hip_rocprim26transform_input_iterator_tIbPhNS6_6detail10functional5actorINSH_9compositeIJNSH_27transparent_binary_operatorINS6_8equal_toIvEEEENSI_INSH_8argumentILj0EEEEENSH_5valueIhEEEEEEEEENSD_19counting_iterator_tIlEES8_S8_S8_S8_S8_S8_S8_S8_EEEEPS9_S9_NSD_9__find_if7functorIS9_EEEE10hipError_tPvRmT1_T2_T3_mT4_P12ihipStream_tbEUlT_E0_NS1_11comp_targetILNS1_3genE2ELNS1_11target_archE906ELNS1_3gpuE6ELNS1_3repE0EEENS1_30default_config_static_selectorELNS0_4arch9wavefront6targetE1EEEvS17_
                                        ; -- End function
	.set _ZN7rocprim17ROCPRIM_400000_NS6detail17trampoline_kernelINS0_14default_configENS1_22reduce_config_selectorIN6thrust23THRUST_200600_302600_NS5tupleIblNS6_9null_typeES8_S8_S8_S8_S8_S8_S8_EEEEZNS1_11reduce_implILb1ES3_NS6_12zip_iteratorINS7_INS6_11hip_rocprim26transform_input_iterator_tIbPhNS6_6detail10functional5actorINSH_9compositeIJNSH_27transparent_binary_operatorINS6_8equal_toIvEEEENSI_INSH_8argumentILj0EEEEENSH_5valueIhEEEEEEEEENSD_19counting_iterator_tIlEES8_S8_S8_S8_S8_S8_S8_S8_EEEEPS9_S9_NSD_9__find_if7functorIS9_EEEE10hipError_tPvRmT1_T2_T3_mT4_P12ihipStream_tbEUlT_E0_NS1_11comp_targetILNS1_3genE2ELNS1_11target_archE906ELNS1_3gpuE6ELNS1_3repE0EEENS1_30default_config_static_selectorELNS0_4arch9wavefront6targetE1EEEvS17_.num_vgpr, 12
	.set _ZN7rocprim17ROCPRIM_400000_NS6detail17trampoline_kernelINS0_14default_configENS1_22reduce_config_selectorIN6thrust23THRUST_200600_302600_NS5tupleIblNS6_9null_typeES8_S8_S8_S8_S8_S8_S8_EEEEZNS1_11reduce_implILb1ES3_NS6_12zip_iteratorINS7_INS6_11hip_rocprim26transform_input_iterator_tIbPhNS6_6detail10functional5actorINSH_9compositeIJNSH_27transparent_binary_operatorINS6_8equal_toIvEEEENSI_INSH_8argumentILj0EEEEENSH_5valueIhEEEEEEEEENSD_19counting_iterator_tIlEES8_S8_S8_S8_S8_S8_S8_S8_EEEEPS9_S9_NSD_9__find_if7functorIS9_EEEE10hipError_tPvRmT1_T2_T3_mT4_P12ihipStream_tbEUlT_E0_NS1_11comp_targetILNS1_3genE2ELNS1_11target_archE906ELNS1_3gpuE6ELNS1_3repE0EEENS1_30default_config_static_selectorELNS0_4arch9wavefront6targetE1EEEvS17_.num_agpr, 0
	.set _ZN7rocprim17ROCPRIM_400000_NS6detail17trampoline_kernelINS0_14default_configENS1_22reduce_config_selectorIN6thrust23THRUST_200600_302600_NS5tupleIblNS6_9null_typeES8_S8_S8_S8_S8_S8_S8_EEEEZNS1_11reduce_implILb1ES3_NS6_12zip_iteratorINS7_INS6_11hip_rocprim26transform_input_iterator_tIbPhNS6_6detail10functional5actorINSH_9compositeIJNSH_27transparent_binary_operatorINS6_8equal_toIvEEEENSI_INSH_8argumentILj0EEEEENSH_5valueIhEEEEEEEEENSD_19counting_iterator_tIlEES8_S8_S8_S8_S8_S8_S8_S8_EEEEPS9_S9_NSD_9__find_if7functorIS9_EEEE10hipError_tPvRmT1_T2_T3_mT4_P12ihipStream_tbEUlT_E0_NS1_11comp_targetILNS1_3genE2ELNS1_11target_archE906ELNS1_3gpuE6ELNS1_3repE0EEENS1_30default_config_static_selectorELNS0_4arch9wavefront6targetE1EEEvS17_.numbered_sgpr, 28
	.set _ZN7rocprim17ROCPRIM_400000_NS6detail17trampoline_kernelINS0_14default_configENS1_22reduce_config_selectorIN6thrust23THRUST_200600_302600_NS5tupleIblNS6_9null_typeES8_S8_S8_S8_S8_S8_S8_EEEEZNS1_11reduce_implILb1ES3_NS6_12zip_iteratorINS7_INS6_11hip_rocprim26transform_input_iterator_tIbPhNS6_6detail10functional5actorINSH_9compositeIJNSH_27transparent_binary_operatorINS6_8equal_toIvEEEENSI_INSH_8argumentILj0EEEEENSH_5valueIhEEEEEEEEENSD_19counting_iterator_tIlEES8_S8_S8_S8_S8_S8_S8_S8_EEEEPS9_S9_NSD_9__find_if7functorIS9_EEEE10hipError_tPvRmT1_T2_T3_mT4_P12ihipStream_tbEUlT_E0_NS1_11comp_targetILNS1_3genE2ELNS1_11target_archE906ELNS1_3gpuE6ELNS1_3repE0EEENS1_30default_config_static_selectorELNS0_4arch9wavefront6targetE1EEEvS17_.num_named_barrier, 0
	.set _ZN7rocprim17ROCPRIM_400000_NS6detail17trampoline_kernelINS0_14default_configENS1_22reduce_config_selectorIN6thrust23THRUST_200600_302600_NS5tupleIblNS6_9null_typeES8_S8_S8_S8_S8_S8_S8_EEEEZNS1_11reduce_implILb1ES3_NS6_12zip_iteratorINS7_INS6_11hip_rocprim26transform_input_iterator_tIbPhNS6_6detail10functional5actorINSH_9compositeIJNSH_27transparent_binary_operatorINS6_8equal_toIvEEEENSI_INSH_8argumentILj0EEEEENSH_5valueIhEEEEEEEEENSD_19counting_iterator_tIlEES8_S8_S8_S8_S8_S8_S8_S8_EEEEPS9_S9_NSD_9__find_if7functorIS9_EEEE10hipError_tPvRmT1_T2_T3_mT4_P12ihipStream_tbEUlT_E0_NS1_11comp_targetILNS1_3genE2ELNS1_11target_archE906ELNS1_3gpuE6ELNS1_3repE0EEENS1_30default_config_static_selectorELNS0_4arch9wavefront6targetE1EEEvS17_.private_seg_size, 0
	.set _ZN7rocprim17ROCPRIM_400000_NS6detail17trampoline_kernelINS0_14default_configENS1_22reduce_config_selectorIN6thrust23THRUST_200600_302600_NS5tupleIblNS6_9null_typeES8_S8_S8_S8_S8_S8_S8_EEEEZNS1_11reduce_implILb1ES3_NS6_12zip_iteratorINS7_INS6_11hip_rocprim26transform_input_iterator_tIbPhNS6_6detail10functional5actorINSH_9compositeIJNSH_27transparent_binary_operatorINS6_8equal_toIvEEEENSI_INSH_8argumentILj0EEEEENSH_5valueIhEEEEEEEEENSD_19counting_iterator_tIlEES8_S8_S8_S8_S8_S8_S8_S8_EEEEPS9_S9_NSD_9__find_if7functorIS9_EEEE10hipError_tPvRmT1_T2_T3_mT4_P12ihipStream_tbEUlT_E0_NS1_11comp_targetILNS1_3genE2ELNS1_11target_archE906ELNS1_3gpuE6ELNS1_3repE0EEENS1_30default_config_static_selectorELNS0_4arch9wavefront6targetE1EEEvS17_.uses_vcc, 1
	.set _ZN7rocprim17ROCPRIM_400000_NS6detail17trampoline_kernelINS0_14default_configENS1_22reduce_config_selectorIN6thrust23THRUST_200600_302600_NS5tupleIblNS6_9null_typeES8_S8_S8_S8_S8_S8_S8_EEEEZNS1_11reduce_implILb1ES3_NS6_12zip_iteratorINS7_INS6_11hip_rocprim26transform_input_iterator_tIbPhNS6_6detail10functional5actorINSH_9compositeIJNSH_27transparent_binary_operatorINS6_8equal_toIvEEEENSI_INSH_8argumentILj0EEEEENSH_5valueIhEEEEEEEEENSD_19counting_iterator_tIlEES8_S8_S8_S8_S8_S8_S8_S8_EEEEPS9_S9_NSD_9__find_if7functorIS9_EEEE10hipError_tPvRmT1_T2_T3_mT4_P12ihipStream_tbEUlT_E0_NS1_11comp_targetILNS1_3genE2ELNS1_11target_archE906ELNS1_3gpuE6ELNS1_3repE0EEENS1_30default_config_static_selectorELNS0_4arch9wavefront6targetE1EEEvS17_.uses_flat_scratch, 0
	.set _ZN7rocprim17ROCPRIM_400000_NS6detail17trampoline_kernelINS0_14default_configENS1_22reduce_config_selectorIN6thrust23THRUST_200600_302600_NS5tupleIblNS6_9null_typeES8_S8_S8_S8_S8_S8_S8_EEEEZNS1_11reduce_implILb1ES3_NS6_12zip_iteratorINS7_INS6_11hip_rocprim26transform_input_iterator_tIbPhNS6_6detail10functional5actorINSH_9compositeIJNSH_27transparent_binary_operatorINS6_8equal_toIvEEEENSI_INSH_8argumentILj0EEEEENSH_5valueIhEEEEEEEEENSD_19counting_iterator_tIlEES8_S8_S8_S8_S8_S8_S8_S8_EEEEPS9_S9_NSD_9__find_if7functorIS9_EEEE10hipError_tPvRmT1_T2_T3_mT4_P12ihipStream_tbEUlT_E0_NS1_11comp_targetILNS1_3genE2ELNS1_11target_archE906ELNS1_3gpuE6ELNS1_3repE0EEENS1_30default_config_static_selectorELNS0_4arch9wavefront6targetE1EEEvS17_.has_dyn_sized_stack, 0
	.set _ZN7rocprim17ROCPRIM_400000_NS6detail17trampoline_kernelINS0_14default_configENS1_22reduce_config_selectorIN6thrust23THRUST_200600_302600_NS5tupleIblNS6_9null_typeES8_S8_S8_S8_S8_S8_S8_EEEEZNS1_11reduce_implILb1ES3_NS6_12zip_iteratorINS7_INS6_11hip_rocprim26transform_input_iterator_tIbPhNS6_6detail10functional5actorINSH_9compositeIJNSH_27transparent_binary_operatorINS6_8equal_toIvEEEENSI_INSH_8argumentILj0EEEEENSH_5valueIhEEEEEEEEENSD_19counting_iterator_tIlEES8_S8_S8_S8_S8_S8_S8_S8_EEEEPS9_S9_NSD_9__find_if7functorIS9_EEEE10hipError_tPvRmT1_T2_T3_mT4_P12ihipStream_tbEUlT_E0_NS1_11comp_targetILNS1_3genE2ELNS1_11target_archE906ELNS1_3gpuE6ELNS1_3repE0EEENS1_30default_config_static_selectorELNS0_4arch9wavefront6targetE1EEEvS17_.has_recursion, 0
	.set _ZN7rocprim17ROCPRIM_400000_NS6detail17trampoline_kernelINS0_14default_configENS1_22reduce_config_selectorIN6thrust23THRUST_200600_302600_NS5tupleIblNS6_9null_typeES8_S8_S8_S8_S8_S8_S8_EEEEZNS1_11reduce_implILb1ES3_NS6_12zip_iteratorINS7_INS6_11hip_rocprim26transform_input_iterator_tIbPhNS6_6detail10functional5actorINSH_9compositeIJNSH_27transparent_binary_operatorINS6_8equal_toIvEEEENSI_INSH_8argumentILj0EEEEENSH_5valueIhEEEEEEEEENSD_19counting_iterator_tIlEES8_S8_S8_S8_S8_S8_S8_S8_EEEEPS9_S9_NSD_9__find_if7functorIS9_EEEE10hipError_tPvRmT1_T2_T3_mT4_P12ihipStream_tbEUlT_E0_NS1_11comp_targetILNS1_3genE2ELNS1_11target_archE906ELNS1_3gpuE6ELNS1_3repE0EEENS1_30default_config_static_selectorELNS0_4arch9wavefront6targetE1EEEvS17_.has_indirect_call, 0
	.section	.AMDGPU.csdata,"",@progbits
; Kernel info:
; codeLenInByte = 2756
; TotalNumSgprs: 32
; NumVgprs: 12
; ScratchSize: 0
; MemoryBound: 0
; FloatMode: 240
; IeeeMode: 1
; LDSByteSize: 64 bytes/workgroup (compile time only)
; SGPRBlocks: 3
; VGPRBlocks: 2
; NumSGPRsForWavesPerEU: 32
; NumVGPRsForWavesPerEU: 12
; Occupancy: 10
; WaveLimiterHint : 1
; COMPUTE_PGM_RSRC2:SCRATCH_EN: 0
; COMPUTE_PGM_RSRC2:USER_SGPR: 6
; COMPUTE_PGM_RSRC2:TRAP_HANDLER: 0
; COMPUTE_PGM_RSRC2:TGID_X_EN: 1
; COMPUTE_PGM_RSRC2:TGID_Y_EN: 0
; COMPUTE_PGM_RSRC2:TGID_Z_EN: 0
; COMPUTE_PGM_RSRC2:TIDIG_COMP_CNT: 0
	.section	.text._ZN7rocprim17ROCPRIM_400000_NS6detail17trampoline_kernelINS0_14default_configENS1_22reduce_config_selectorIN6thrust23THRUST_200600_302600_NS5tupleIblNS6_9null_typeES8_S8_S8_S8_S8_S8_S8_EEEEZNS1_11reduce_implILb1ES3_NS6_12zip_iteratorINS7_INS6_11hip_rocprim26transform_input_iterator_tIbPhNS6_6detail10functional5actorINSH_9compositeIJNSH_27transparent_binary_operatorINS6_8equal_toIvEEEENSI_INSH_8argumentILj0EEEEENSH_5valueIhEEEEEEEEENSD_19counting_iterator_tIlEES8_S8_S8_S8_S8_S8_S8_S8_EEEEPS9_S9_NSD_9__find_if7functorIS9_EEEE10hipError_tPvRmT1_T2_T3_mT4_P12ihipStream_tbEUlT_E0_NS1_11comp_targetILNS1_3genE10ELNS1_11target_archE1201ELNS1_3gpuE5ELNS1_3repE0EEENS1_30default_config_static_selectorELNS0_4arch9wavefront6targetE1EEEvS17_,"axG",@progbits,_ZN7rocprim17ROCPRIM_400000_NS6detail17trampoline_kernelINS0_14default_configENS1_22reduce_config_selectorIN6thrust23THRUST_200600_302600_NS5tupleIblNS6_9null_typeES8_S8_S8_S8_S8_S8_S8_EEEEZNS1_11reduce_implILb1ES3_NS6_12zip_iteratorINS7_INS6_11hip_rocprim26transform_input_iterator_tIbPhNS6_6detail10functional5actorINSH_9compositeIJNSH_27transparent_binary_operatorINS6_8equal_toIvEEEENSI_INSH_8argumentILj0EEEEENSH_5valueIhEEEEEEEEENSD_19counting_iterator_tIlEES8_S8_S8_S8_S8_S8_S8_S8_EEEEPS9_S9_NSD_9__find_if7functorIS9_EEEE10hipError_tPvRmT1_T2_T3_mT4_P12ihipStream_tbEUlT_E0_NS1_11comp_targetILNS1_3genE10ELNS1_11target_archE1201ELNS1_3gpuE5ELNS1_3repE0EEENS1_30default_config_static_selectorELNS0_4arch9wavefront6targetE1EEEvS17_,comdat
	.protected	_ZN7rocprim17ROCPRIM_400000_NS6detail17trampoline_kernelINS0_14default_configENS1_22reduce_config_selectorIN6thrust23THRUST_200600_302600_NS5tupleIblNS6_9null_typeES8_S8_S8_S8_S8_S8_S8_EEEEZNS1_11reduce_implILb1ES3_NS6_12zip_iteratorINS7_INS6_11hip_rocprim26transform_input_iterator_tIbPhNS6_6detail10functional5actorINSH_9compositeIJNSH_27transparent_binary_operatorINS6_8equal_toIvEEEENSI_INSH_8argumentILj0EEEEENSH_5valueIhEEEEEEEEENSD_19counting_iterator_tIlEES8_S8_S8_S8_S8_S8_S8_S8_EEEEPS9_S9_NSD_9__find_if7functorIS9_EEEE10hipError_tPvRmT1_T2_T3_mT4_P12ihipStream_tbEUlT_E0_NS1_11comp_targetILNS1_3genE10ELNS1_11target_archE1201ELNS1_3gpuE5ELNS1_3repE0EEENS1_30default_config_static_selectorELNS0_4arch9wavefront6targetE1EEEvS17_ ; -- Begin function _ZN7rocprim17ROCPRIM_400000_NS6detail17trampoline_kernelINS0_14default_configENS1_22reduce_config_selectorIN6thrust23THRUST_200600_302600_NS5tupleIblNS6_9null_typeES8_S8_S8_S8_S8_S8_S8_EEEEZNS1_11reduce_implILb1ES3_NS6_12zip_iteratorINS7_INS6_11hip_rocprim26transform_input_iterator_tIbPhNS6_6detail10functional5actorINSH_9compositeIJNSH_27transparent_binary_operatorINS6_8equal_toIvEEEENSI_INSH_8argumentILj0EEEEENSH_5valueIhEEEEEEEEENSD_19counting_iterator_tIlEES8_S8_S8_S8_S8_S8_S8_S8_EEEEPS9_S9_NSD_9__find_if7functorIS9_EEEE10hipError_tPvRmT1_T2_T3_mT4_P12ihipStream_tbEUlT_E0_NS1_11comp_targetILNS1_3genE10ELNS1_11target_archE1201ELNS1_3gpuE5ELNS1_3repE0EEENS1_30default_config_static_selectorELNS0_4arch9wavefront6targetE1EEEvS17_
	.globl	_ZN7rocprim17ROCPRIM_400000_NS6detail17trampoline_kernelINS0_14default_configENS1_22reduce_config_selectorIN6thrust23THRUST_200600_302600_NS5tupleIblNS6_9null_typeES8_S8_S8_S8_S8_S8_S8_EEEEZNS1_11reduce_implILb1ES3_NS6_12zip_iteratorINS7_INS6_11hip_rocprim26transform_input_iterator_tIbPhNS6_6detail10functional5actorINSH_9compositeIJNSH_27transparent_binary_operatorINS6_8equal_toIvEEEENSI_INSH_8argumentILj0EEEEENSH_5valueIhEEEEEEEEENSD_19counting_iterator_tIlEES8_S8_S8_S8_S8_S8_S8_S8_EEEEPS9_S9_NSD_9__find_if7functorIS9_EEEE10hipError_tPvRmT1_T2_T3_mT4_P12ihipStream_tbEUlT_E0_NS1_11comp_targetILNS1_3genE10ELNS1_11target_archE1201ELNS1_3gpuE5ELNS1_3repE0EEENS1_30default_config_static_selectorELNS0_4arch9wavefront6targetE1EEEvS17_
	.p2align	8
	.type	_ZN7rocprim17ROCPRIM_400000_NS6detail17trampoline_kernelINS0_14default_configENS1_22reduce_config_selectorIN6thrust23THRUST_200600_302600_NS5tupleIblNS6_9null_typeES8_S8_S8_S8_S8_S8_S8_EEEEZNS1_11reduce_implILb1ES3_NS6_12zip_iteratorINS7_INS6_11hip_rocprim26transform_input_iterator_tIbPhNS6_6detail10functional5actorINSH_9compositeIJNSH_27transparent_binary_operatorINS6_8equal_toIvEEEENSI_INSH_8argumentILj0EEEEENSH_5valueIhEEEEEEEEENSD_19counting_iterator_tIlEES8_S8_S8_S8_S8_S8_S8_S8_EEEEPS9_S9_NSD_9__find_if7functorIS9_EEEE10hipError_tPvRmT1_T2_T3_mT4_P12ihipStream_tbEUlT_E0_NS1_11comp_targetILNS1_3genE10ELNS1_11target_archE1201ELNS1_3gpuE5ELNS1_3repE0EEENS1_30default_config_static_selectorELNS0_4arch9wavefront6targetE1EEEvS17_,@function
_ZN7rocprim17ROCPRIM_400000_NS6detail17trampoline_kernelINS0_14default_configENS1_22reduce_config_selectorIN6thrust23THRUST_200600_302600_NS5tupleIblNS6_9null_typeES8_S8_S8_S8_S8_S8_S8_EEEEZNS1_11reduce_implILb1ES3_NS6_12zip_iteratorINS7_INS6_11hip_rocprim26transform_input_iterator_tIbPhNS6_6detail10functional5actorINSH_9compositeIJNSH_27transparent_binary_operatorINS6_8equal_toIvEEEENSI_INSH_8argumentILj0EEEEENSH_5valueIhEEEEEEEEENSD_19counting_iterator_tIlEES8_S8_S8_S8_S8_S8_S8_S8_EEEEPS9_S9_NSD_9__find_if7functorIS9_EEEE10hipError_tPvRmT1_T2_T3_mT4_P12ihipStream_tbEUlT_E0_NS1_11comp_targetILNS1_3genE10ELNS1_11target_archE1201ELNS1_3gpuE5ELNS1_3repE0EEENS1_30default_config_static_selectorELNS0_4arch9wavefront6targetE1EEEvS17_: ; @_ZN7rocprim17ROCPRIM_400000_NS6detail17trampoline_kernelINS0_14default_configENS1_22reduce_config_selectorIN6thrust23THRUST_200600_302600_NS5tupleIblNS6_9null_typeES8_S8_S8_S8_S8_S8_S8_EEEEZNS1_11reduce_implILb1ES3_NS6_12zip_iteratorINS7_INS6_11hip_rocprim26transform_input_iterator_tIbPhNS6_6detail10functional5actorINSH_9compositeIJNSH_27transparent_binary_operatorINS6_8equal_toIvEEEENSI_INSH_8argumentILj0EEEEENSH_5valueIhEEEEEEEEENSD_19counting_iterator_tIlEES8_S8_S8_S8_S8_S8_S8_S8_EEEEPS9_S9_NSD_9__find_if7functorIS9_EEEE10hipError_tPvRmT1_T2_T3_mT4_P12ihipStream_tbEUlT_E0_NS1_11comp_targetILNS1_3genE10ELNS1_11target_archE1201ELNS1_3gpuE5ELNS1_3repE0EEENS1_30default_config_static_selectorELNS0_4arch9wavefront6targetE1EEEvS17_
; %bb.0:
	.section	.rodata,"a",@progbits
	.p2align	6, 0x0
	.amdhsa_kernel _ZN7rocprim17ROCPRIM_400000_NS6detail17trampoline_kernelINS0_14default_configENS1_22reduce_config_selectorIN6thrust23THRUST_200600_302600_NS5tupleIblNS6_9null_typeES8_S8_S8_S8_S8_S8_S8_EEEEZNS1_11reduce_implILb1ES3_NS6_12zip_iteratorINS7_INS6_11hip_rocprim26transform_input_iterator_tIbPhNS6_6detail10functional5actorINSH_9compositeIJNSH_27transparent_binary_operatorINS6_8equal_toIvEEEENSI_INSH_8argumentILj0EEEEENSH_5valueIhEEEEEEEEENSD_19counting_iterator_tIlEES8_S8_S8_S8_S8_S8_S8_S8_EEEEPS9_S9_NSD_9__find_if7functorIS9_EEEE10hipError_tPvRmT1_T2_T3_mT4_P12ihipStream_tbEUlT_E0_NS1_11comp_targetILNS1_3genE10ELNS1_11target_archE1201ELNS1_3gpuE5ELNS1_3repE0EEENS1_30default_config_static_selectorELNS0_4arch9wavefront6targetE1EEEvS17_
		.amdhsa_group_segment_fixed_size 0
		.amdhsa_private_segment_fixed_size 0
		.amdhsa_kernarg_size 88
		.amdhsa_user_sgpr_count 6
		.amdhsa_user_sgpr_private_segment_buffer 1
		.amdhsa_user_sgpr_dispatch_ptr 0
		.amdhsa_user_sgpr_queue_ptr 0
		.amdhsa_user_sgpr_kernarg_segment_ptr 1
		.amdhsa_user_sgpr_dispatch_id 0
		.amdhsa_user_sgpr_flat_scratch_init 0
		.amdhsa_user_sgpr_private_segment_size 0
		.amdhsa_uses_dynamic_stack 0
		.amdhsa_system_sgpr_private_segment_wavefront_offset 0
		.amdhsa_system_sgpr_workgroup_id_x 1
		.amdhsa_system_sgpr_workgroup_id_y 0
		.amdhsa_system_sgpr_workgroup_id_z 0
		.amdhsa_system_sgpr_workgroup_info 0
		.amdhsa_system_vgpr_workitem_id 0
		.amdhsa_next_free_vgpr 1
		.amdhsa_next_free_sgpr 0
		.amdhsa_reserve_vcc 0
		.amdhsa_reserve_flat_scratch 0
		.amdhsa_float_round_mode_32 0
		.amdhsa_float_round_mode_16_64 0
		.amdhsa_float_denorm_mode_32 3
		.amdhsa_float_denorm_mode_16_64 3
		.amdhsa_dx10_clamp 1
		.amdhsa_ieee_mode 1
		.amdhsa_fp16_overflow 0
		.amdhsa_exception_fp_ieee_invalid_op 0
		.amdhsa_exception_fp_denorm_src 0
		.amdhsa_exception_fp_ieee_div_zero 0
		.amdhsa_exception_fp_ieee_overflow 0
		.amdhsa_exception_fp_ieee_underflow 0
		.amdhsa_exception_fp_ieee_inexact 0
		.amdhsa_exception_int_div_zero 0
	.end_amdhsa_kernel
	.section	.text._ZN7rocprim17ROCPRIM_400000_NS6detail17trampoline_kernelINS0_14default_configENS1_22reduce_config_selectorIN6thrust23THRUST_200600_302600_NS5tupleIblNS6_9null_typeES8_S8_S8_S8_S8_S8_S8_EEEEZNS1_11reduce_implILb1ES3_NS6_12zip_iteratorINS7_INS6_11hip_rocprim26transform_input_iterator_tIbPhNS6_6detail10functional5actorINSH_9compositeIJNSH_27transparent_binary_operatorINS6_8equal_toIvEEEENSI_INSH_8argumentILj0EEEEENSH_5valueIhEEEEEEEEENSD_19counting_iterator_tIlEES8_S8_S8_S8_S8_S8_S8_S8_EEEEPS9_S9_NSD_9__find_if7functorIS9_EEEE10hipError_tPvRmT1_T2_T3_mT4_P12ihipStream_tbEUlT_E0_NS1_11comp_targetILNS1_3genE10ELNS1_11target_archE1201ELNS1_3gpuE5ELNS1_3repE0EEENS1_30default_config_static_selectorELNS0_4arch9wavefront6targetE1EEEvS17_,"axG",@progbits,_ZN7rocprim17ROCPRIM_400000_NS6detail17trampoline_kernelINS0_14default_configENS1_22reduce_config_selectorIN6thrust23THRUST_200600_302600_NS5tupleIblNS6_9null_typeES8_S8_S8_S8_S8_S8_S8_EEEEZNS1_11reduce_implILb1ES3_NS6_12zip_iteratorINS7_INS6_11hip_rocprim26transform_input_iterator_tIbPhNS6_6detail10functional5actorINSH_9compositeIJNSH_27transparent_binary_operatorINS6_8equal_toIvEEEENSI_INSH_8argumentILj0EEEEENSH_5valueIhEEEEEEEEENSD_19counting_iterator_tIlEES8_S8_S8_S8_S8_S8_S8_S8_EEEEPS9_S9_NSD_9__find_if7functorIS9_EEEE10hipError_tPvRmT1_T2_T3_mT4_P12ihipStream_tbEUlT_E0_NS1_11comp_targetILNS1_3genE10ELNS1_11target_archE1201ELNS1_3gpuE5ELNS1_3repE0EEENS1_30default_config_static_selectorELNS0_4arch9wavefront6targetE1EEEvS17_,comdat
.Lfunc_end447:
	.size	_ZN7rocprim17ROCPRIM_400000_NS6detail17trampoline_kernelINS0_14default_configENS1_22reduce_config_selectorIN6thrust23THRUST_200600_302600_NS5tupleIblNS6_9null_typeES8_S8_S8_S8_S8_S8_S8_EEEEZNS1_11reduce_implILb1ES3_NS6_12zip_iteratorINS7_INS6_11hip_rocprim26transform_input_iterator_tIbPhNS6_6detail10functional5actorINSH_9compositeIJNSH_27transparent_binary_operatorINS6_8equal_toIvEEEENSI_INSH_8argumentILj0EEEEENSH_5valueIhEEEEEEEEENSD_19counting_iterator_tIlEES8_S8_S8_S8_S8_S8_S8_S8_EEEEPS9_S9_NSD_9__find_if7functorIS9_EEEE10hipError_tPvRmT1_T2_T3_mT4_P12ihipStream_tbEUlT_E0_NS1_11comp_targetILNS1_3genE10ELNS1_11target_archE1201ELNS1_3gpuE5ELNS1_3repE0EEENS1_30default_config_static_selectorELNS0_4arch9wavefront6targetE1EEEvS17_, .Lfunc_end447-_ZN7rocprim17ROCPRIM_400000_NS6detail17trampoline_kernelINS0_14default_configENS1_22reduce_config_selectorIN6thrust23THRUST_200600_302600_NS5tupleIblNS6_9null_typeES8_S8_S8_S8_S8_S8_S8_EEEEZNS1_11reduce_implILb1ES3_NS6_12zip_iteratorINS7_INS6_11hip_rocprim26transform_input_iterator_tIbPhNS6_6detail10functional5actorINSH_9compositeIJNSH_27transparent_binary_operatorINS6_8equal_toIvEEEENSI_INSH_8argumentILj0EEEEENSH_5valueIhEEEEEEEEENSD_19counting_iterator_tIlEES8_S8_S8_S8_S8_S8_S8_S8_EEEEPS9_S9_NSD_9__find_if7functorIS9_EEEE10hipError_tPvRmT1_T2_T3_mT4_P12ihipStream_tbEUlT_E0_NS1_11comp_targetILNS1_3genE10ELNS1_11target_archE1201ELNS1_3gpuE5ELNS1_3repE0EEENS1_30default_config_static_selectorELNS0_4arch9wavefront6targetE1EEEvS17_
                                        ; -- End function
	.set _ZN7rocprim17ROCPRIM_400000_NS6detail17trampoline_kernelINS0_14default_configENS1_22reduce_config_selectorIN6thrust23THRUST_200600_302600_NS5tupleIblNS6_9null_typeES8_S8_S8_S8_S8_S8_S8_EEEEZNS1_11reduce_implILb1ES3_NS6_12zip_iteratorINS7_INS6_11hip_rocprim26transform_input_iterator_tIbPhNS6_6detail10functional5actorINSH_9compositeIJNSH_27transparent_binary_operatorINS6_8equal_toIvEEEENSI_INSH_8argumentILj0EEEEENSH_5valueIhEEEEEEEEENSD_19counting_iterator_tIlEES8_S8_S8_S8_S8_S8_S8_S8_EEEEPS9_S9_NSD_9__find_if7functorIS9_EEEE10hipError_tPvRmT1_T2_T3_mT4_P12ihipStream_tbEUlT_E0_NS1_11comp_targetILNS1_3genE10ELNS1_11target_archE1201ELNS1_3gpuE5ELNS1_3repE0EEENS1_30default_config_static_selectorELNS0_4arch9wavefront6targetE1EEEvS17_.num_vgpr, 0
	.set _ZN7rocprim17ROCPRIM_400000_NS6detail17trampoline_kernelINS0_14default_configENS1_22reduce_config_selectorIN6thrust23THRUST_200600_302600_NS5tupleIblNS6_9null_typeES8_S8_S8_S8_S8_S8_S8_EEEEZNS1_11reduce_implILb1ES3_NS6_12zip_iteratorINS7_INS6_11hip_rocprim26transform_input_iterator_tIbPhNS6_6detail10functional5actorINSH_9compositeIJNSH_27transparent_binary_operatorINS6_8equal_toIvEEEENSI_INSH_8argumentILj0EEEEENSH_5valueIhEEEEEEEEENSD_19counting_iterator_tIlEES8_S8_S8_S8_S8_S8_S8_S8_EEEEPS9_S9_NSD_9__find_if7functorIS9_EEEE10hipError_tPvRmT1_T2_T3_mT4_P12ihipStream_tbEUlT_E0_NS1_11comp_targetILNS1_3genE10ELNS1_11target_archE1201ELNS1_3gpuE5ELNS1_3repE0EEENS1_30default_config_static_selectorELNS0_4arch9wavefront6targetE1EEEvS17_.num_agpr, 0
	.set _ZN7rocprim17ROCPRIM_400000_NS6detail17trampoline_kernelINS0_14default_configENS1_22reduce_config_selectorIN6thrust23THRUST_200600_302600_NS5tupleIblNS6_9null_typeES8_S8_S8_S8_S8_S8_S8_EEEEZNS1_11reduce_implILb1ES3_NS6_12zip_iteratorINS7_INS6_11hip_rocprim26transform_input_iterator_tIbPhNS6_6detail10functional5actorINSH_9compositeIJNSH_27transparent_binary_operatorINS6_8equal_toIvEEEENSI_INSH_8argumentILj0EEEEENSH_5valueIhEEEEEEEEENSD_19counting_iterator_tIlEES8_S8_S8_S8_S8_S8_S8_S8_EEEEPS9_S9_NSD_9__find_if7functorIS9_EEEE10hipError_tPvRmT1_T2_T3_mT4_P12ihipStream_tbEUlT_E0_NS1_11comp_targetILNS1_3genE10ELNS1_11target_archE1201ELNS1_3gpuE5ELNS1_3repE0EEENS1_30default_config_static_selectorELNS0_4arch9wavefront6targetE1EEEvS17_.numbered_sgpr, 0
	.set _ZN7rocprim17ROCPRIM_400000_NS6detail17trampoline_kernelINS0_14default_configENS1_22reduce_config_selectorIN6thrust23THRUST_200600_302600_NS5tupleIblNS6_9null_typeES8_S8_S8_S8_S8_S8_S8_EEEEZNS1_11reduce_implILb1ES3_NS6_12zip_iteratorINS7_INS6_11hip_rocprim26transform_input_iterator_tIbPhNS6_6detail10functional5actorINSH_9compositeIJNSH_27transparent_binary_operatorINS6_8equal_toIvEEEENSI_INSH_8argumentILj0EEEEENSH_5valueIhEEEEEEEEENSD_19counting_iterator_tIlEES8_S8_S8_S8_S8_S8_S8_S8_EEEEPS9_S9_NSD_9__find_if7functorIS9_EEEE10hipError_tPvRmT1_T2_T3_mT4_P12ihipStream_tbEUlT_E0_NS1_11comp_targetILNS1_3genE10ELNS1_11target_archE1201ELNS1_3gpuE5ELNS1_3repE0EEENS1_30default_config_static_selectorELNS0_4arch9wavefront6targetE1EEEvS17_.num_named_barrier, 0
	.set _ZN7rocprim17ROCPRIM_400000_NS6detail17trampoline_kernelINS0_14default_configENS1_22reduce_config_selectorIN6thrust23THRUST_200600_302600_NS5tupleIblNS6_9null_typeES8_S8_S8_S8_S8_S8_S8_EEEEZNS1_11reduce_implILb1ES3_NS6_12zip_iteratorINS7_INS6_11hip_rocprim26transform_input_iterator_tIbPhNS6_6detail10functional5actorINSH_9compositeIJNSH_27transparent_binary_operatorINS6_8equal_toIvEEEENSI_INSH_8argumentILj0EEEEENSH_5valueIhEEEEEEEEENSD_19counting_iterator_tIlEES8_S8_S8_S8_S8_S8_S8_S8_EEEEPS9_S9_NSD_9__find_if7functorIS9_EEEE10hipError_tPvRmT1_T2_T3_mT4_P12ihipStream_tbEUlT_E0_NS1_11comp_targetILNS1_3genE10ELNS1_11target_archE1201ELNS1_3gpuE5ELNS1_3repE0EEENS1_30default_config_static_selectorELNS0_4arch9wavefront6targetE1EEEvS17_.private_seg_size, 0
	.set _ZN7rocprim17ROCPRIM_400000_NS6detail17trampoline_kernelINS0_14default_configENS1_22reduce_config_selectorIN6thrust23THRUST_200600_302600_NS5tupleIblNS6_9null_typeES8_S8_S8_S8_S8_S8_S8_EEEEZNS1_11reduce_implILb1ES3_NS6_12zip_iteratorINS7_INS6_11hip_rocprim26transform_input_iterator_tIbPhNS6_6detail10functional5actorINSH_9compositeIJNSH_27transparent_binary_operatorINS6_8equal_toIvEEEENSI_INSH_8argumentILj0EEEEENSH_5valueIhEEEEEEEEENSD_19counting_iterator_tIlEES8_S8_S8_S8_S8_S8_S8_S8_EEEEPS9_S9_NSD_9__find_if7functorIS9_EEEE10hipError_tPvRmT1_T2_T3_mT4_P12ihipStream_tbEUlT_E0_NS1_11comp_targetILNS1_3genE10ELNS1_11target_archE1201ELNS1_3gpuE5ELNS1_3repE0EEENS1_30default_config_static_selectorELNS0_4arch9wavefront6targetE1EEEvS17_.uses_vcc, 0
	.set _ZN7rocprim17ROCPRIM_400000_NS6detail17trampoline_kernelINS0_14default_configENS1_22reduce_config_selectorIN6thrust23THRUST_200600_302600_NS5tupleIblNS6_9null_typeES8_S8_S8_S8_S8_S8_S8_EEEEZNS1_11reduce_implILb1ES3_NS6_12zip_iteratorINS7_INS6_11hip_rocprim26transform_input_iterator_tIbPhNS6_6detail10functional5actorINSH_9compositeIJNSH_27transparent_binary_operatorINS6_8equal_toIvEEEENSI_INSH_8argumentILj0EEEEENSH_5valueIhEEEEEEEEENSD_19counting_iterator_tIlEES8_S8_S8_S8_S8_S8_S8_S8_EEEEPS9_S9_NSD_9__find_if7functorIS9_EEEE10hipError_tPvRmT1_T2_T3_mT4_P12ihipStream_tbEUlT_E0_NS1_11comp_targetILNS1_3genE10ELNS1_11target_archE1201ELNS1_3gpuE5ELNS1_3repE0EEENS1_30default_config_static_selectorELNS0_4arch9wavefront6targetE1EEEvS17_.uses_flat_scratch, 0
	.set _ZN7rocprim17ROCPRIM_400000_NS6detail17trampoline_kernelINS0_14default_configENS1_22reduce_config_selectorIN6thrust23THRUST_200600_302600_NS5tupleIblNS6_9null_typeES8_S8_S8_S8_S8_S8_S8_EEEEZNS1_11reduce_implILb1ES3_NS6_12zip_iteratorINS7_INS6_11hip_rocprim26transform_input_iterator_tIbPhNS6_6detail10functional5actorINSH_9compositeIJNSH_27transparent_binary_operatorINS6_8equal_toIvEEEENSI_INSH_8argumentILj0EEEEENSH_5valueIhEEEEEEEEENSD_19counting_iterator_tIlEES8_S8_S8_S8_S8_S8_S8_S8_EEEEPS9_S9_NSD_9__find_if7functorIS9_EEEE10hipError_tPvRmT1_T2_T3_mT4_P12ihipStream_tbEUlT_E0_NS1_11comp_targetILNS1_3genE10ELNS1_11target_archE1201ELNS1_3gpuE5ELNS1_3repE0EEENS1_30default_config_static_selectorELNS0_4arch9wavefront6targetE1EEEvS17_.has_dyn_sized_stack, 0
	.set _ZN7rocprim17ROCPRIM_400000_NS6detail17trampoline_kernelINS0_14default_configENS1_22reduce_config_selectorIN6thrust23THRUST_200600_302600_NS5tupleIblNS6_9null_typeES8_S8_S8_S8_S8_S8_S8_EEEEZNS1_11reduce_implILb1ES3_NS6_12zip_iteratorINS7_INS6_11hip_rocprim26transform_input_iterator_tIbPhNS6_6detail10functional5actorINSH_9compositeIJNSH_27transparent_binary_operatorINS6_8equal_toIvEEEENSI_INSH_8argumentILj0EEEEENSH_5valueIhEEEEEEEEENSD_19counting_iterator_tIlEES8_S8_S8_S8_S8_S8_S8_S8_EEEEPS9_S9_NSD_9__find_if7functorIS9_EEEE10hipError_tPvRmT1_T2_T3_mT4_P12ihipStream_tbEUlT_E0_NS1_11comp_targetILNS1_3genE10ELNS1_11target_archE1201ELNS1_3gpuE5ELNS1_3repE0EEENS1_30default_config_static_selectorELNS0_4arch9wavefront6targetE1EEEvS17_.has_recursion, 0
	.set _ZN7rocprim17ROCPRIM_400000_NS6detail17trampoline_kernelINS0_14default_configENS1_22reduce_config_selectorIN6thrust23THRUST_200600_302600_NS5tupleIblNS6_9null_typeES8_S8_S8_S8_S8_S8_S8_EEEEZNS1_11reduce_implILb1ES3_NS6_12zip_iteratorINS7_INS6_11hip_rocprim26transform_input_iterator_tIbPhNS6_6detail10functional5actorINSH_9compositeIJNSH_27transparent_binary_operatorINS6_8equal_toIvEEEENSI_INSH_8argumentILj0EEEEENSH_5valueIhEEEEEEEEENSD_19counting_iterator_tIlEES8_S8_S8_S8_S8_S8_S8_S8_EEEEPS9_S9_NSD_9__find_if7functorIS9_EEEE10hipError_tPvRmT1_T2_T3_mT4_P12ihipStream_tbEUlT_E0_NS1_11comp_targetILNS1_3genE10ELNS1_11target_archE1201ELNS1_3gpuE5ELNS1_3repE0EEENS1_30default_config_static_selectorELNS0_4arch9wavefront6targetE1EEEvS17_.has_indirect_call, 0
	.section	.AMDGPU.csdata,"",@progbits
; Kernel info:
; codeLenInByte = 0
; TotalNumSgprs: 4
; NumVgprs: 0
; ScratchSize: 0
; MemoryBound: 0
; FloatMode: 240
; IeeeMode: 1
; LDSByteSize: 0 bytes/workgroup (compile time only)
; SGPRBlocks: 0
; VGPRBlocks: 0
; NumSGPRsForWavesPerEU: 4
; NumVGPRsForWavesPerEU: 1
; Occupancy: 10
; WaveLimiterHint : 0
; COMPUTE_PGM_RSRC2:SCRATCH_EN: 0
; COMPUTE_PGM_RSRC2:USER_SGPR: 6
; COMPUTE_PGM_RSRC2:TRAP_HANDLER: 0
; COMPUTE_PGM_RSRC2:TGID_X_EN: 1
; COMPUTE_PGM_RSRC2:TGID_Y_EN: 0
; COMPUTE_PGM_RSRC2:TGID_Z_EN: 0
; COMPUTE_PGM_RSRC2:TIDIG_COMP_CNT: 0
	.section	.text._ZN7rocprim17ROCPRIM_400000_NS6detail17trampoline_kernelINS0_14default_configENS1_22reduce_config_selectorIN6thrust23THRUST_200600_302600_NS5tupleIblNS6_9null_typeES8_S8_S8_S8_S8_S8_S8_EEEEZNS1_11reduce_implILb1ES3_NS6_12zip_iteratorINS7_INS6_11hip_rocprim26transform_input_iterator_tIbPhNS6_6detail10functional5actorINSH_9compositeIJNSH_27transparent_binary_operatorINS6_8equal_toIvEEEENSI_INSH_8argumentILj0EEEEENSH_5valueIhEEEEEEEEENSD_19counting_iterator_tIlEES8_S8_S8_S8_S8_S8_S8_S8_EEEEPS9_S9_NSD_9__find_if7functorIS9_EEEE10hipError_tPvRmT1_T2_T3_mT4_P12ihipStream_tbEUlT_E0_NS1_11comp_targetILNS1_3genE10ELNS1_11target_archE1200ELNS1_3gpuE4ELNS1_3repE0EEENS1_30default_config_static_selectorELNS0_4arch9wavefront6targetE1EEEvS17_,"axG",@progbits,_ZN7rocprim17ROCPRIM_400000_NS6detail17trampoline_kernelINS0_14default_configENS1_22reduce_config_selectorIN6thrust23THRUST_200600_302600_NS5tupleIblNS6_9null_typeES8_S8_S8_S8_S8_S8_S8_EEEEZNS1_11reduce_implILb1ES3_NS6_12zip_iteratorINS7_INS6_11hip_rocprim26transform_input_iterator_tIbPhNS6_6detail10functional5actorINSH_9compositeIJNSH_27transparent_binary_operatorINS6_8equal_toIvEEEENSI_INSH_8argumentILj0EEEEENSH_5valueIhEEEEEEEEENSD_19counting_iterator_tIlEES8_S8_S8_S8_S8_S8_S8_S8_EEEEPS9_S9_NSD_9__find_if7functorIS9_EEEE10hipError_tPvRmT1_T2_T3_mT4_P12ihipStream_tbEUlT_E0_NS1_11comp_targetILNS1_3genE10ELNS1_11target_archE1200ELNS1_3gpuE4ELNS1_3repE0EEENS1_30default_config_static_selectorELNS0_4arch9wavefront6targetE1EEEvS17_,comdat
	.protected	_ZN7rocprim17ROCPRIM_400000_NS6detail17trampoline_kernelINS0_14default_configENS1_22reduce_config_selectorIN6thrust23THRUST_200600_302600_NS5tupleIblNS6_9null_typeES8_S8_S8_S8_S8_S8_S8_EEEEZNS1_11reduce_implILb1ES3_NS6_12zip_iteratorINS7_INS6_11hip_rocprim26transform_input_iterator_tIbPhNS6_6detail10functional5actorINSH_9compositeIJNSH_27transparent_binary_operatorINS6_8equal_toIvEEEENSI_INSH_8argumentILj0EEEEENSH_5valueIhEEEEEEEEENSD_19counting_iterator_tIlEES8_S8_S8_S8_S8_S8_S8_S8_EEEEPS9_S9_NSD_9__find_if7functorIS9_EEEE10hipError_tPvRmT1_T2_T3_mT4_P12ihipStream_tbEUlT_E0_NS1_11comp_targetILNS1_3genE10ELNS1_11target_archE1200ELNS1_3gpuE4ELNS1_3repE0EEENS1_30default_config_static_selectorELNS0_4arch9wavefront6targetE1EEEvS17_ ; -- Begin function _ZN7rocprim17ROCPRIM_400000_NS6detail17trampoline_kernelINS0_14default_configENS1_22reduce_config_selectorIN6thrust23THRUST_200600_302600_NS5tupleIblNS6_9null_typeES8_S8_S8_S8_S8_S8_S8_EEEEZNS1_11reduce_implILb1ES3_NS6_12zip_iteratorINS7_INS6_11hip_rocprim26transform_input_iterator_tIbPhNS6_6detail10functional5actorINSH_9compositeIJNSH_27transparent_binary_operatorINS6_8equal_toIvEEEENSI_INSH_8argumentILj0EEEEENSH_5valueIhEEEEEEEEENSD_19counting_iterator_tIlEES8_S8_S8_S8_S8_S8_S8_S8_EEEEPS9_S9_NSD_9__find_if7functorIS9_EEEE10hipError_tPvRmT1_T2_T3_mT4_P12ihipStream_tbEUlT_E0_NS1_11comp_targetILNS1_3genE10ELNS1_11target_archE1200ELNS1_3gpuE4ELNS1_3repE0EEENS1_30default_config_static_selectorELNS0_4arch9wavefront6targetE1EEEvS17_
	.globl	_ZN7rocprim17ROCPRIM_400000_NS6detail17trampoline_kernelINS0_14default_configENS1_22reduce_config_selectorIN6thrust23THRUST_200600_302600_NS5tupleIblNS6_9null_typeES8_S8_S8_S8_S8_S8_S8_EEEEZNS1_11reduce_implILb1ES3_NS6_12zip_iteratorINS7_INS6_11hip_rocprim26transform_input_iterator_tIbPhNS6_6detail10functional5actorINSH_9compositeIJNSH_27transparent_binary_operatorINS6_8equal_toIvEEEENSI_INSH_8argumentILj0EEEEENSH_5valueIhEEEEEEEEENSD_19counting_iterator_tIlEES8_S8_S8_S8_S8_S8_S8_S8_EEEEPS9_S9_NSD_9__find_if7functorIS9_EEEE10hipError_tPvRmT1_T2_T3_mT4_P12ihipStream_tbEUlT_E0_NS1_11comp_targetILNS1_3genE10ELNS1_11target_archE1200ELNS1_3gpuE4ELNS1_3repE0EEENS1_30default_config_static_selectorELNS0_4arch9wavefront6targetE1EEEvS17_
	.p2align	8
	.type	_ZN7rocprim17ROCPRIM_400000_NS6detail17trampoline_kernelINS0_14default_configENS1_22reduce_config_selectorIN6thrust23THRUST_200600_302600_NS5tupleIblNS6_9null_typeES8_S8_S8_S8_S8_S8_S8_EEEEZNS1_11reduce_implILb1ES3_NS6_12zip_iteratorINS7_INS6_11hip_rocprim26transform_input_iterator_tIbPhNS6_6detail10functional5actorINSH_9compositeIJNSH_27transparent_binary_operatorINS6_8equal_toIvEEEENSI_INSH_8argumentILj0EEEEENSH_5valueIhEEEEEEEEENSD_19counting_iterator_tIlEES8_S8_S8_S8_S8_S8_S8_S8_EEEEPS9_S9_NSD_9__find_if7functorIS9_EEEE10hipError_tPvRmT1_T2_T3_mT4_P12ihipStream_tbEUlT_E0_NS1_11comp_targetILNS1_3genE10ELNS1_11target_archE1200ELNS1_3gpuE4ELNS1_3repE0EEENS1_30default_config_static_selectorELNS0_4arch9wavefront6targetE1EEEvS17_,@function
_ZN7rocprim17ROCPRIM_400000_NS6detail17trampoline_kernelINS0_14default_configENS1_22reduce_config_selectorIN6thrust23THRUST_200600_302600_NS5tupleIblNS6_9null_typeES8_S8_S8_S8_S8_S8_S8_EEEEZNS1_11reduce_implILb1ES3_NS6_12zip_iteratorINS7_INS6_11hip_rocprim26transform_input_iterator_tIbPhNS6_6detail10functional5actorINSH_9compositeIJNSH_27transparent_binary_operatorINS6_8equal_toIvEEEENSI_INSH_8argumentILj0EEEEENSH_5valueIhEEEEEEEEENSD_19counting_iterator_tIlEES8_S8_S8_S8_S8_S8_S8_S8_EEEEPS9_S9_NSD_9__find_if7functorIS9_EEEE10hipError_tPvRmT1_T2_T3_mT4_P12ihipStream_tbEUlT_E0_NS1_11comp_targetILNS1_3genE10ELNS1_11target_archE1200ELNS1_3gpuE4ELNS1_3repE0EEENS1_30default_config_static_selectorELNS0_4arch9wavefront6targetE1EEEvS17_: ; @_ZN7rocprim17ROCPRIM_400000_NS6detail17trampoline_kernelINS0_14default_configENS1_22reduce_config_selectorIN6thrust23THRUST_200600_302600_NS5tupleIblNS6_9null_typeES8_S8_S8_S8_S8_S8_S8_EEEEZNS1_11reduce_implILb1ES3_NS6_12zip_iteratorINS7_INS6_11hip_rocprim26transform_input_iterator_tIbPhNS6_6detail10functional5actorINSH_9compositeIJNSH_27transparent_binary_operatorINS6_8equal_toIvEEEENSI_INSH_8argumentILj0EEEEENSH_5valueIhEEEEEEEEENSD_19counting_iterator_tIlEES8_S8_S8_S8_S8_S8_S8_S8_EEEEPS9_S9_NSD_9__find_if7functorIS9_EEEE10hipError_tPvRmT1_T2_T3_mT4_P12ihipStream_tbEUlT_E0_NS1_11comp_targetILNS1_3genE10ELNS1_11target_archE1200ELNS1_3gpuE4ELNS1_3repE0EEENS1_30default_config_static_selectorELNS0_4arch9wavefront6targetE1EEEvS17_
; %bb.0:
	.section	.rodata,"a",@progbits
	.p2align	6, 0x0
	.amdhsa_kernel _ZN7rocprim17ROCPRIM_400000_NS6detail17trampoline_kernelINS0_14default_configENS1_22reduce_config_selectorIN6thrust23THRUST_200600_302600_NS5tupleIblNS6_9null_typeES8_S8_S8_S8_S8_S8_S8_EEEEZNS1_11reduce_implILb1ES3_NS6_12zip_iteratorINS7_INS6_11hip_rocprim26transform_input_iterator_tIbPhNS6_6detail10functional5actorINSH_9compositeIJNSH_27transparent_binary_operatorINS6_8equal_toIvEEEENSI_INSH_8argumentILj0EEEEENSH_5valueIhEEEEEEEEENSD_19counting_iterator_tIlEES8_S8_S8_S8_S8_S8_S8_S8_EEEEPS9_S9_NSD_9__find_if7functorIS9_EEEE10hipError_tPvRmT1_T2_T3_mT4_P12ihipStream_tbEUlT_E0_NS1_11comp_targetILNS1_3genE10ELNS1_11target_archE1200ELNS1_3gpuE4ELNS1_3repE0EEENS1_30default_config_static_selectorELNS0_4arch9wavefront6targetE1EEEvS17_
		.amdhsa_group_segment_fixed_size 0
		.amdhsa_private_segment_fixed_size 0
		.amdhsa_kernarg_size 88
		.amdhsa_user_sgpr_count 6
		.amdhsa_user_sgpr_private_segment_buffer 1
		.amdhsa_user_sgpr_dispatch_ptr 0
		.amdhsa_user_sgpr_queue_ptr 0
		.amdhsa_user_sgpr_kernarg_segment_ptr 1
		.amdhsa_user_sgpr_dispatch_id 0
		.amdhsa_user_sgpr_flat_scratch_init 0
		.amdhsa_user_sgpr_private_segment_size 0
		.amdhsa_uses_dynamic_stack 0
		.amdhsa_system_sgpr_private_segment_wavefront_offset 0
		.amdhsa_system_sgpr_workgroup_id_x 1
		.amdhsa_system_sgpr_workgroup_id_y 0
		.amdhsa_system_sgpr_workgroup_id_z 0
		.amdhsa_system_sgpr_workgroup_info 0
		.amdhsa_system_vgpr_workitem_id 0
		.amdhsa_next_free_vgpr 1
		.amdhsa_next_free_sgpr 0
		.amdhsa_reserve_vcc 0
		.amdhsa_reserve_flat_scratch 0
		.amdhsa_float_round_mode_32 0
		.amdhsa_float_round_mode_16_64 0
		.amdhsa_float_denorm_mode_32 3
		.amdhsa_float_denorm_mode_16_64 3
		.amdhsa_dx10_clamp 1
		.amdhsa_ieee_mode 1
		.amdhsa_fp16_overflow 0
		.amdhsa_exception_fp_ieee_invalid_op 0
		.amdhsa_exception_fp_denorm_src 0
		.amdhsa_exception_fp_ieee_div_zero 0
		.amdhsa_exception_fp_ieee_overflow 0
		.amdhsa_exception_fp_ieee_underflow 0
		.amdhsa_exception_fp_ieee_inexact 0
		.amdhsa_exception_int_div_zero 0
	.end_amdhsa_kernel
	.section	.text._ZN7rocprim17ROCPRIM_400000_NS6detail17trampoline_kernelINS0_14default_configENS1_22reduce_config_selectorIN6thrust23THRUST_200600_302600_NS5tupleIblNS6_9null_typeES8_S8_S8_S8_S8_S8_S8_EEEEZNS1_11reduce_implILb1ES3_NS6_12zip_iteratorINS7_INS6_11hip_rocprim26transform_input_iterator_tIbPhNS6_6detail10functional5actorINSH_9compositeIJNSH_27transparent_binary_operatorINS6_8equal_toIvEEEENSI_INSH_8argumentILj0EEEEENSH_5valueIhEEEEEEEEENSD_19counting_iterator_tIlEES8_S8_S8_S8_S8_S8_S8_S8_EEEEPS9_S9_NSD_9__find_if7functorIS9_EEEE10hipError_tPvRmT1_T2_T3_mT4_P12ihipStream_tbEUlT_E0_NS1_11comp_targetILNS1_3genE10ELNS1_11target_archE1200ELNS1_3gpuE4ELNS1_3repE0EEENS1_30default_config_static_selectorELNS0_4arch9wavefront6targetE1EEEvS17_,"axG",@progbits,_ZN7rocprim17ROCPRIM_400000_NS6detail17trampoline_kernelINS0_14default_configENS1_22reduce_config_selectorIN6thrust23THRUST_200600_302600_NS5tupleIblNS6_9null_typeES8_S8_S8_S8_S8_S8_S8_EEEEZNS1_11reduce_implILb1ES3_NS6_12zip_iteratorINS7_INS6_11hip_rocprim26transform_input_iterator_tIbPhNS6_6detail10functional5actorINSH_9compositeIJNSH_27transparent_binary_operatorINS6_8equal_toIvEEEENSI_INSH_8argumentILj0EEEEENSH_5valueIhEEEEEEEEENSD_19counting_iterator_tIlEES8_S8_S8_S8_S8_S8_S8_S8_EEEEPS9_S9_NSD_9__find_if7functorIS9_EEEE10hipError_tPvRmT1_T2_T3_mT4_P12ihipStream_tbEUlT_E0_NS1_11comp_targetILNS1_3genE10ELNS1_11target_archE1200ELNS1_3gpuE4ELNS1_3repE0EEENS1_30default_config_static_selectorELNS0_4arch9wavefront6targetE1EEEvS17_,comdat
.Lfunc_end448:
	.size	_ZN7rocprim17ROCPRIM_400000_NS6detail17trampoline_kernelINS0_14default_configENS1_22reduce_config_selectorIN6thrust23THRUST_200600_302600_NS5tupleIblNS6_9null_typeES8_S8_S8_S8_S8_S8_S8_EEEEZNS1_11reduce_implILb1ES3_NS6_12zip_iteratorINS7_INS6_11hip_rocprim26transform_input_iterator_tIbPhNS6_6detail10functional5actorINSH_9compositeIJNSH_27transparent_binary_operatorINS6_8equal_toIvEEEENSI_INSH_8argumentILj0EEEEENSH_5valueIhEEEEEEEEENSD_19counting_iterator_tIlEES8_S8_S8_S8_S8_S8_S8_S8_EEEEPS9_S9_NSD_9__find_if7functorIS9_EEEE10hipError_tPvRmT1_T2_T3_mT4_P12ihipStream_tbEUlT_E0_NS1_11comp_targetILNS1_3genE10ELNS1_11target_archE1200ELNS1_3gpuE4ELNS1_3repE0EEENS1_30default_config_static_selectorELNS0_4arch9wavefront6targetE1EEEvS17_, .Lfunc_end448-_ZN7rocprim17ROCPRIM_400000_NS6detail17trampoline_kernelINS0_14default_configENS1_22reduce_config_selectorIN6thrust23THRUST_200600_302600_NS5tupleIblNS6_9null_typeES8_S8_S8_S8_S8_S8_S8_EEEEZNS1_11reduce_implILb1ES3_NS6_12zip_iteratorINS7_INS6_11hip_rocprim26transform_input_iterator_tIbPhNS6_6detail10functional5actorINSH_9compositeIJNSH_27transparent_binary_operatorINS6_8equal_toIvEEEENSI_INSH_8argumentILj0EEEEENSH_5valueIhEEEEEEEEENSD_19counting_iterator_tIlEES8_S8_S8_S8_S8_S8_S8_S8_EEEEPS9_S9_NSD_9__find_if7functorIS9_EEEE10hipError_tPvRmT1_T2_T3_mT4_P12ihipStream_tbEUlT_E0_NS1_11comp_targetILNS1_3genE10ELNS1_11target_archE1200ELNS1_3gpuE4ELNS1_3repE0EEENS1_30default_config_static_selectorELNS0_4arch9wavefront6targetE1EEEvS17_
                                        ; -- End function
	.set _ZN7rocprim17ROCPRIM_400000_NS6detail17trampoline_kernelINS0_14default_configENS1_22reduce_config_selectorIN6thrust23THRUST_200600_302600_NS5tupleIblNS6_9null_typeES8_S8_S8_S8_S8_S8_S8_EEEEZNS1_11reduce_implILb1ES3_NS6_12zip_iteratorINS7_INS6_11hip_rocprim26transform_input_iterator_tIbPhNS6_6detail10functional5actorINSH_9compositeIJNSH_27transparent_binary_operatorINS6_8equal_toIvEEEENSI_INSH_8argumentILj0EEEEENSH_5valueIhEEEEEEEEENSD_19counting_iterator_tIlEES8_S8_S8_S8_S8_S8_S8_S8_EEEEPS9_S9_NSD_9__find_if7functorIS9_EEEE10hipError_tPvRmT1_T2_T3_mT4_P12ihipStream_tbEUlT_E0_NS1_11comp_targetILNS1_3genE10ELNS1_11target_archE1200ELNS1_3gpuE4ELNS1_3repE0EEENS1_30default_config_static_selectorELNS0_4arch9wavefront6targetE1EEEvS17_.num_vgpr, 0
	.set _ZN7rocprim17ROCPRIM_400000_NS6detail17trampoline_kernelINS0_14default_configENS1_22reduce_config_selectorIN6thrust23THRUST_200600_302600_NS5tupleIblNS6_9null_typeES8_S8_S8_S8_S8_S8_S8_EEEEZNS1_11reduce_implILb1ES3_NS6_12zip_iteratorINS7_INS6_11hip_rocprim26transform_input_iterator_tIbPhNS6_6detail10functional5actorINSH_9compositeIJNSH_27transparent_binary_operatorINS6_8equal_toIvEEEENSI_INSH_8argumentILj0EEEEENSH_5valueIhEEEEEEEEENSD_19counting_iterator_tIlEES8_S8_S8_S8_S8_S8_S8_S8_EEEEPS9_S9_NSD_9__find_if7functorIS9_EEEE10hipError_tPvRmT1_T2_T3_mT4_P12ihipStream_tbEUlT_E0_NS1_11comp_targetILNS1_3genE10ELNS1_11target_archE1200ELNS1_3gpuE4ELNS1_3repE0EEENS1_30default_config_static_selectorELNS0_4arch9wavefront6targetE1EEEvS17_.num_agpr, 0
	.set _ZN7rocprim17ROCPRIM_400000_NS6detail17trampoline_kernelINS0_14default_configENS1_22reduce_config_selectorIN6thrust23THRUST_200600_302600_NS5tupleIblNS6_9null_typeES8_S8_S8_S8_S8_S8_S8_EEEEZNS1_11reduce_implILb1ES3_NS6_12zip_iteratorINS7_INS6_11hip_rocprim26transform_input_iterator_tIbPhNS6_6detail10functional5actorINSH_9compositeIJNSH_27transparent_binary_operatorINS6_8equal_toIvEEEENSI_INSH_8argumentILj0EEEEENSH_5valueIhEEEEEEEEENSD_19counting_iterator_tIlEES8_S8_S8_S8_S8_S8_S8_S8_EEEEPS9_S9_NSD_9__find_if7functorIS9_EEEE10hipError_tPvRmT1_T2_T3_mT4_P12ihipStream_tbEUlT_E0_NS1_11comp_targetILNS1_3genE10ELNS1_11target_archE1200ELNS1_3gpuE4ELNS1_3repE0EEENS1_30default_config_static_selectorELNS0_4arch9wavefront6targetE1EEEvS17_.numbered_sgpr, 0
	.set _ZN7rocprim17ROCPRIM_400000_NS6detail17trampoline_kernelINS0_14default_configENS1_22reduce_config_selectorIN6thrust23THRUST_200600_302600_NS5tupleIblNS6_9null_typeES8_S8_S8_S8_S8_S8_S8_EEEEZNS1_11reduce_implILb1ES3_NS6_12zip_iteratorINS7_INS6_11hip_rocprim26transform_input_iterator_tIbPhNS6_6detail10functional5actorINSH_9compositeIJNSH_27transparent_binary_operatorINS6_8equal_toIvEEEENSI_INSH_8argumentILj0EEEEENSH_5valueIhEEEEEEEEENSD_19counting_iterator_tIlEES8_S8_S8_S8_S8_S8_S8_S8_EEEEPS9_S9_NSD_9__find_if7functorIS9_EEEE10hipError_tPvRmT1_T2_T3_mT4_P12ihipStream_tbEUlT_E0_NS1_11comp_targetILNS1_3genE10ELNS1_11target_archE1200ELNS1_3gpuE4ELNS1_3repE0EEENS1_30default_config_static_selectorELNS0_4arch9wavefront6targetE1EEEvS17_.num_named_barrier, 0
	.set _ZN7rocprim17ROCPRIM_400000_NS6detail17trampoline_kernelINS0_14default_configENS1_22reduce_config_selectorIN6thrust23THRUST_200600_302600_NS5tupleIblNS6_9null_typeES8_S8_S8_S8_S8_S8_S8_EEEEZNS1_11reduce_implILb1ES3_NS6_12zip_iteratorINS7_INS6_11hip_rocprim26transform_input_iterator_tIbPhNS6_6detail10functional5actorINSH_9compositeIJNSH_27transparent_binary_operatorINS6_8equal_toIvEEEENSI_INSH_8argumentILj0EEEEENSH_5valueIhEEEEEEEEENSD_19counting_iterator_tIlEES8_S8_S8_S8_S8_S8_S8_S8_EEEEPS9_S9_NSD_9__find_if7functorIS9_EEEE10hipError_tPvRmT1_T2_T3_mT4_P12ihipStream_tbEUlT_E0_NS1_11comp_targetILNS1_3genE10ELNS1_11target_archE1200ELNS1_3gpuE4ELNS1_3repE0EEENS1_30default_config_static_selectorELNS0_4arch9wavefront6targetE1EEEvS17_.private_seg_size, 0
	.set _ZN7rocprim17ROCPRIM_400000_NS6detail17trampoline_kernelINS0_14default_configENS1_22reduce_config_selectorIN6thrust23THRUST_200600_302600_NS5tupleIblNS6_9null_typeES8_S8_S8_S8_S8_S8_S8_EEEEZNS1_11reduce_implILb1ES3_NS6_12zip_iteratorINS7_INS6_11hip_rocprim26transform_input_iterator_tIbPhNS6_6detail10functional5actorINSH_9compositeIJNSH_27transparent_binary_operatorINS6_8equal_toIvEEEENSI_INSH_8argumentILj0EEEEENSH_5valueIhEEEEEEEEENSD_19counting_iterator_tIlEES8_S8_S8_S8_S8_S8_S8_S8_EEEEPS9_S9_NSD_9__find_if7functorIS9_EEEE10hipError_tPvRmT1_T2_T3_mT4_P12ihipStream_tbEUlT_E0_NS1_11comp_targetILNS1_3genE10ELNS1_11target_archE1200ELNS1_3gpuE4ELNS1_3repE0EEENS1_30default_config_static_selectorELNS0_4arch9wavefront6targetE1EEEvS17_.uses_vcc, 0
	.set _ZN7rocprim17ROCPRIM_400000_NS6detail17trampoline_kernelINS0_14default_configENS1_22reduce_config_selectorIN6thrust23THRUST_200600_302600_NS5tupleIblNS6_9null_typeES8_S8_S8_S8_S8_S8_S8_EEEEZNS1_11reduce_implILb1ES3_NS6_12zip_iteratorINS7_INS6_11hip_rocprim26transform_input_iterator_tIbPhNS6_6detail10functional5actorINSH_9compositeIJNSH_27transparent_binary_operatorINS6_8equal_toIvEEEENSI_INSH_8argumentILj0EEEEENSH_5valueIhEEEEEEEEENSD_19counting_iterator_tIlEES8_S8_S8_S8_S8_S8_S8_S8_EEEEPS9_S9_NSD_9__find_if7functorIS9_EEEE10hipError_tPvRmT1_T2_T3_mT4_P12ihipStream_tbEUlT_E0_NS1_11comp_targetILNS1_3genE10ELNS1_11target_archE1200ELNS1_3gpuE4ELNS1_3repE0EEENS1_30default_config_static_selectorELNS0_4arch9wavefront6targetE1EEEvS17_.uses_flat_scratch, 0
	.set _ZN7rocprim17ROCPRIM_400000_NS6detail17trampoline_kernelINS0_14default_configENS1_22reduce_config_selectorIN6thrust23THRUST_200600_302600_NS5tupleIblNS6_9null_typeES8_S8_S8_S8_S8_S8_S8_EEEEZNS1_11reduce_implILb1ES3_NS6_12zip_iteratorINS7_INS6_11hip_rocprim26transform_input_iterator_tIbPhNS6_6detail10functional5actorINSH_9compositeIJNSH_27transparent_binary_operatorINS6_8equal_toIvEEEENSI_INSH_8argumentILj0EEEEENSH_5valueIhEEEEEEEEENSD_19counting_iterator_tIlEES8_S8_S8_S8_S8_S8_S8_S8_EEEEPS9_S9_NSD_9__find_if7functorIS9_EEEE10hipError_tPvRmT1_T2_T3_mT4_P12ihipStream_tbEUlT_E0_NS1_11comp_targetILNS1_3genE10ELNS1_11target_archE1200ELNS1_3gpuE4ELNS1_3repE0EEENS1_30default_config_static_selectorELNS0_4arch9wavefront6targetE1EEEvS17_.has_dyn_sized_stack, 0
	.set _ZN7rocprim17ROCPRIM_400000_NS6detail17trampoline_kernelINS0_14default_configENS1_22reduce_config_selectorIN6thrust23THRUST_200600_302600_NS5tupleIblNS6_9null_typeES8_S8_S8_S8_S8_S8_S8_EEEEZNS1_11reduce_implILb1ES3_NS6_12zip_iteratorINS7_INS6_11hip_rocprim26transform_input_iterator_tIbPhNS6_6detail10functional5actorINSH_9compositeIJNSH_27transparent_binary_operatorINS6_8equal_toIvEEEENSI_INSH_8argumentILj0EEEEENSH_5valueIhEEEEEEEEENSD_19counting_iterator_tIlEES8_S8_S8_S8_S8_S8_S8_S8_EEEEPS9_S9_NSD_9__find_if7functorIS9_EEEE10hipError_tPvRmT1_T2_T3_mT4_P12ihipStream_tbEUlT_E0_NS1_11comp_targetILNS1_3genE10ELNS1_11target_archE1200ELNS1_3gpuE4ELNS1_3repE0EEENS1_30default_config_static_selectorELNS0_4arch9wavefront6targetE1EEEvS17_.has_recursion, 0
	.set _ZN7rocprim17ROCPRIM_400000_NS6detail17trampoline_kernelINS0_14default_configENS1_22reduce_config_selectorIN6thrust23THRUST_200600_302600_NS5tupleIblNS6_9null_typeES8_S8_S8_S8_S8_S8_S8_EEEEZNS1_11reduce_implILb1ES3_NS6_12zip_iteratorINS7_INS6_11hip_rocprim26transform_input_iterator_tIbPhNS6_6detail10functional5actorINSH_9compositeIJNSH_27transparent_binary_operatorINS6_8equal_toIvEEEENSI_INSH_8argumentILj0EEEEENSH_5valueIhEEEEEEEEENSD_19counting_iterator_tIlEES8_S8_S8_S8_S8_S8_S8_S8_EEEEPS9_S9_NSD_9__find_if7functorIS9_EEEE10hipError_tPvRmT1_T2_T3_mT4_P12ihipStream_tbEUlT_E0_NS1_11comp_targetILNS1_3genE10ELNS1_11target_archE1200ELNS1_3gpuE4ELNS1_3repE0EEENS1_30default_config_static_selectorELNS0_4arch9wavefront6targetE1EEEvS17_.has_indirect_call, 0
	.section	.AMDGPU.csdata,"",@progbits
; Kernel info:
; codeLenInByte = 0
; TotalNumSgprs: 4
; NumVgprs: 0
; ScratchSize: 0
; MemoryBound: 0
; FloatMode: 240
; IeeeMode: 1
; LDSByteSize: 0 bytes/workgroup (compile time only)
; SGPRBlocks: 0
; VGPRBlocks: 0
; NumSGPRsForWavesPerEU: 4
; NumVGPRsForWavesPerEU: 1
; Occupancy: 10
; WaveLimiterHint : 0
; COMPUTE_PGM_RSRC2:SCRATCH_EN: 0
; COMPUTE_PGM_RSRC2:USER_SGPR: 6
; COMPUTE_PGM_RSRC2:TRAP_HANDLER: 0
; COMPUTE_PGM_RSRC2:TGID_X_EN: 1
; COMPUTE_PGM_RSRC2:TGID_Y_EN: 0
; COMPUTE_PGM_RSRC2:TGID_Z_EN: 0
; COMPUTE_PGM_RSRC2:TIDIG_COMP_CNT: 0
	.section	.text._ZN7rocprim17ROCPRIM_400000_NS6detail17trampoline_kernelINS0_14default_configENS1_22reduce_config_selectorIN6thrust23THRUST_200600_302600_NS5tupleIblNS6_9null_typeES8_S8_S8_S8_S8_S8_S8_EEEEZNS1_11reduce_implILb1ES3_NS6_12zip_iteratorINS7_INS6_11hip_rocprim26transform_input_iterator_tIbPhNS6_6detail10functional5actorINSH_9compositeIJNSH_27transparent_binary_operatorINS6_8equal_toIvEEEENSI_INSH_8argumentILj0EEEEENSH_5valueIhEEEEEEEEENSD_19counting_iterator_tIlEES8_S8_S8_S8_S8_S8_S8_S8_EEEEPS9_S9_NSD_9__find_if7functorIS9_EEEE10hipError_tPvRmT1_T2_T3_mT4_P12ihipStream_tbEUlT_E0_NS1_11comp_targetILNS1_3genE9ELNS1_11target_archE1100ELNS1_3gpuE3ELNS1_3repE0EEENS1_30default_config_static_selectorELNS0_4arch9wavefront6targetE1EEEvS17_,"axG",@progbits,_ZN7rocprim17ROCPRIM_400000_NS6detail17trampoline_kernelINS0_14default_configENS1_22reduce_config_selectorIN6thrust23THRUST_200600_302600_NS5tupleIblNS6_9null_typeES8_S8_S8_S8_S8_S8_S8_EEEEZNS1_11reduce_implILb1ES3_NS6_12zip_iteratorINS7_INS6_11hip_rocprim26transform_input_iterator_tIbPhNS6_6detail10functional5actorINSH_9compositeIJNSH_27transparent_binary_operatorINS6_8equal_toIvEEEENSI_INSH_8argumentILj0EEEEENSH_5valueIhEEEEEEEEENSD_19counting_iterator_tIlEES8_S8_S8_S8_S8_S8_S8_S8_EEEEPS9_S9_NSD_9__find_if7functorIS9_EEEE10hipError_tPvRmT1_T2_T3_mT4_P12ihipStream_tbEUlT_E0_NS1_11comp_targetILNS1_3genE9ELNS1_11target_archE1100ELNS1_3gpuE3ELNS1_3repE0EEENS1_30default_config_static_selectorELNS0_4arch9wavefront6targetE1EEEvS17_,comdat
	.protected	_ZN7rocprim17ROCPRIM_400000_NS6detail17trampoline_kernelINS0_14default_configENS1_22reduce_config_selectorIN6thrust23THRUST_200600_302600_NS5tupleIblNS6_9null_typeES8_S8_S8_S8_S8_S8_S8_EEEEZNS1_11reduce_implILb1ES3_NS6_12zip_iteratorINS7_INS6_11hip_rocprim26transform_input_iterator_tIbPhNS6_6detail10functional5actorINSH_9compositeIJNSH_27transparent_binary_operatorINS6_8equal_toIvEEEENSI_INSH_8argumentILj0EEEEENSH_5valueIhEEEEEEEEENSD_19counting_iterator_tIlEES8_S8_S8_S8_S8_S8_S8_S8_EEEEPS9_S9_NSD_9__find_if7functorIS9_EEEE10hipError_tPvRmT1_T2_T3_mT4_P12ihipStream_tbEUlT_E0_NS1_11comp_targetILNS1_3genE9ELNS1_11target_archE1100ELNS1_3gpuE3ELNS1_3repE0EEENS1_30default_config_static_selectorELNS0_4arch9wavefront6targetE1EEEvS17_ ; -- Begin function _ZN7rocprim17ROCPRIM_400000_NS6detail17trampoline_kernelINS0_14default_configENS1_22reduce_config_selectorIN6thrust23THRUST_200600_302600_NS5tupleIblNS6_9null_typeES8_S8_S8_S8_S8_S8_S8_EEEEZNS1_11reduce_implILb1ES3_NS6_12zip_iteratorINS7_INS6_11hip_rocprim26transform_input_iterator_tIbPhNS6_6detail10functional5actorINSH_9compositeIJNSH_27transparent_binary_operatorINS6_8equal_toIvEEEENSI_INSH_8argumentILj0EEEEENSH_5valueIhEEEEEEEEENSD_19counting_iterator_tIlEES8_S8_S8_S8_S8_S8_S8_S8_EEEEPS9_S9_NSD_9__find_if7functorIS9_EEEE10hipError_tPvRmT1_T2_T3_mT4_P12ihipStream_tbEUlT_E0_NS1_11comp_targetILNS1_3genE9ELNS1_11target_archE1100ELNS1_3gpuE3ELNS1_3repE0EEENS1_30default_config_static_selectorELNS0_4arch9wavefront6targetE1EEEvS17_
	.globl	_ZN7rocprim17ROCPRIM_400000_NS6detail17trampoline_kernelINS0_14default_configENS1_22reduce_config_selectorIN6thrust23THRUST_200600_302600_NS5tupleIblNS6_9null_typeES8_S8_S8_S8_S8_S8_S8_EEEEZNS1_11reduce_implILb1ES3_NS6_12zip_iteratorINS7_INS6_11hip_rocprim26transform_input_iterator_tIbPhNS6_6detail10functional5actorINSH_9compositeIJNSH_27transparent_binary_operatorINS6_8equal_toIvEEEENSI_INSH_8argumentILj0EEEEENSH_5valueIhEEEEEEEEENSD_19counting_iterator_tIlEES8_S8_S8_S8_S8_S8_S8_S8_EEEEPS9_S9_NSD_9__find_if7functorIS9_EEEE10hipError_tPvRmT1_T2_T3_mT4_P12ihipStream_tbEUlT_E0_NS1_11comp_targetILNS1_3genE9ELNS1_11target_archE1100ELNS1_3gpuE3ELNS1_3repE0EEENS1_30default_config_static_selectorELNS0_4arch9wavefront6targetE1EEEvS17_
	.p2align	8
	.type	_ZN7rocprim17ROCPRIM_400000_NS6detail17trampoline_kernelINS0_14default_configENS1_22reduce_config_selectorIN6thrust23THRUST_200600_302600_NS5tupleIblNS6_9null_typeES8_S8_S8_S8_S8_S8_S8_EEEEZNS1_11reduce_implILb1ES3_NS6_12zip_iteratorINS7_INS6_11hip_rocprim26transform_input_iterator_tIbPhNS6_6detail10functional5actorINSH_9compositeIJNSH_27transparent_binary_operatorINS6_8equal_toIvEEEENSI_INSH_8argumentILj0EEEEENSH_5valueIhEEEEEEEEENSD_19counting_iterator_tIlEES8_S8_S8_S8_S8_S8_S8_S8_EEEEPS9_S9_NSD_9__find_if7functorIS9_EEEE10hipError_tPvRmT1_T2_T3_mT4_P12ihipStream_tbEUlT_E0_NS1_11comp_targetILNS1_3genE9ELNS1_11target_archE1100ELNS1_3gpuE3ELNS1_3repE0EEENS1_30default_config_static_selectorELNS0_4arch9wavefront6targetE1EEEvS17_,@function
_ZN7rocprim17ROCPRIM_400000_NS6detail17trampoline_kernelINS0_14default_configENS1_22reduce_config_selectorIN6thrust23THRUST_200600_302600_NS5tupleIblNS6_9null_typeES8_S8_S8_S8_S8_S8_S8_EEEEZNS1_11reduce_implILb1ES3_NS6_12zip_iteratorINS7_INS6_11hip_rocprim26transform_input_iterator_tIbPhNS6_6detail10functional5actorINSH_9compositeIJNSH_27transparent_binary_operatorINS6_8equal_toIvEEEENSI_INSH_8argumentILj0EEEEENSH_5valueIhEEEEEEEEENSD_19counting_iterator_tIlEES8_S8_S8_S8_S8_S8_S8_S8_EEEEPS9_S9_NSD_9__find_if7functorIS9_EEEE10hipError_tPvRmT1_T2_T3_mT4_P12ihipStream_tbEUlT_E0_NS1_11comp_targetILNS1_3genE9ELNS1_11target_archE1100ELNS1_3gpuE3ELNS1_3repE0EEENS1_30default_config_static_selectorELNS0_4arch9wavefront6targetE1EEEvS17_: ; @_ZN7rocprim17ROCPRIM_400000_NS6detail17trampoline_kernelINS0_14default_configENS1_22reduce_config_selectorIN6thrust23THRUST_200600_302600_NS5tupleIblNS6_9null_typeES8_S8_S8_S8_S8_S8_S8_EEEEZNS1_11reduce_implILb1ES3_NS6_12zip_iteratorINS7_INS6_11hip_rocprim26transform_input_iterator_tIbPhNS6_6detail10functional5actorINSH_9compositeIJNSH_27transparent_binary_operatorINS6_8equal_toIvEEEENSI_INSH_8argumentILj0EEEEENSH_5valueIhEEEEEEEEENSD_19counting_iterator_tIlEES8_S8_S8_S8_S8_S8_S8_S8_EEEEPS9_S9_NSD_9__find_if7functorIS9_EEEE10hipError_tPvRmT1_T2_T3_mT4_P12ihipStream_tbEUlT_E0_NS1_11comp_targetILNS1_3genE9ELNS1_11target_archE1100ELNS1_3gpuE3ELNS1_3repE0EEENS1_30default_config_static_selectorELNS0_4arch9wavefront6targetE1EEEvS17_
; %bb.0:
	.section	.rodata,"a",@progbits
	.p2align	6, 0x0
	.amdhsa_kernel _ZN7rocprim17ROCPRIM_400000_NS6detail17trampoline_kernelINS0_14default_configENS1_22reduce_config_selectorIN6thrust23THRUST_200600_302600_NS5tupleIblNS6_9null_typeES8_S8_S8_S8_S8_S8_S8_EEEEZNS1_11reduce_implILb1ES3_NS6_12zip_iteratorINS7_INS6_11hip_rocprim26transform_input_iterator_tIbPhNS6_6detail10functional5actorINSH_9compositeIJNSH_27transparent_binary_operatorINS6_8equal_toIvEEEENSI_INSH_8argumentILj0EEEEENSH_5valueIhEEEEEEEEENSD_19counting_iterator_tIlEES8_S8_S8_S8_S8_S8_S8_S8_EEEEPS9_S9_NSD_9__find_if7functorIS9_EEEE10hipError_tPvRmT1_T2_T3_mT4_P12ihipStream_tbEUlT_E0_NS1_11comp_targetILNS1_3genE9ELNS1_11target_archE1100ELNS1_3gpuE3ELNS1_3repE0EEENS1_30default_config_static_selectorELNS0_4arch9wavefront6targetE1EEEvS17_
		.amdhsa_group_segment_fixed_size 0
		.amdhsa_private_segment_fixed_size 0
		.amdhsa_kernarg_size 88
		.amdhsa_user_sgpr_count 6
		.amdhsa_user_sgpr_private_segment_buffer 1
		.amdhsa_user_sgpr_dispatch_ptr 0
		.amdhsa_user_sgpr_queue_ptr 0
		.amdhsa_user_sgpr_kernarg_segment_ptr 1
		.amdhsa_user_sgpr_dispatch_id 0
		.amdhsa_user_sgpr_flat_scratch_init 0
		.amdhsa_user_sgpr_private_segment_size 0
		.amdhsa_uses_dynamic_stack 0
		.amdhsa_system_sgpr_private_segment_wavefront_offset 0
		.amdhsa_system_sgpr_workgroup_id_x 1
		.amdhsa_system_sgpr_workgroup_id_y 0
		.amdhsa_system_sgpr_workgroup_id_z 0
		.amdhsa_system_sgpr_workgroup_info 0
		.amdhsa_system_vgpr_workitem_id 0
		.amdhsa_next_free_vgpr 1
		.amdhsa_next_free_sgpr 0
		.amdhsa_reserve_vcc 0
		.amdhsa_reserve_flat_scratch 0
		.amdhsa_float_round_mode_32 0
		.amdhsa_float_round_mode_16_64 0
		.amdhsa_float_denorm_mode_32 3
		.amdhsa_float_denorm_mode_16_64 3
		.amdhsa_dx10_clamp 1
		.amdhsa_ieee_mode 1
		.amdhsa_fp16_overflow 0
		.amdhsa_exception_fp_ieee_invalid_op 0
		.amdhsa_exception_fp_denorm_src 0
		.amdhsa_exception_fp_ieee_div_zero 0
		.amdhsa_exception_fp_ieee_overflow 0
		.amdhsa_exception_fp_ieee_underflow 0
		.amdhsa_exception_fp_ieee_inexact 0
		.amdhsa_exception_int_div_zero 0
	.end_amdhsa_kernel
	.section	.text._ZN7rocprim17ROCPRIM_400000_NS6detail17trampoline_kernelINS0_14default_configENS1_22reduce_config_selectorIN6thrust23THRUST_200600_302600_NS5tupleIblNS6_9null_typeES8_S8_S8_S8_S8_S8_S8_EEEEZNS1_11reduce_implILb1ES3_NS6_12zip_iteratorINS7_INS6_11hip_rocprim26transform_input_iterator_tIbPhNS6_6detail10functional5actorINSH_9compositeIJNSH_27transparent_binary_operatorINS6_8equal_toIvEEEENSI_INSH_8argumentILj0EEEEENSH_5valueIhEEEEEEEEENSD_19counting_iterator_tIlEES8_S8_S8_S8_S8_S8_S8_S8_EEEEPS9_S9_NSD_9__find_if7functorIS9_EEEE10hipError_tPvRmT1_T2_T3_mT4_P12ihipStream_tbEUlT_E0_NS1_11comp_targetILNS1_3genE9ELNS1_11target_archE1100ELNS1_3gpuE3ELNS1_3repE0EEENS1_30default_config_static_selectorELNS0_4arch9wavefront6targetE1EEEvS17_,"axG",@progbits,_ZN7rocprim17ROCPRIM_400000_NS6detail17trampoline_kernelINS0_14default_configENS1_22reduce_config_selectorIN6thrust23THRUST_200600_302600_NS5tupleIblNS6_9null_typeES8_S8_S8_S8_S8_S8_S8_EEEEZNS1_11reduce_implILb1ES3_NS6_12zip_iteratorINS7_INS6_11hip_rocprim26transform_input_iterator_tIbPhNS6_6detail10functional5actorINSH_9compositeIJNSH_27transparent_binary_operatorINS6_8equal_toIvEEEENSI_INSH_8argumentILj0EEEEENSH_5valueIhEEEEEEEEENSD_19counting_iterator_tIlEES8_S8_S8_S8_S8_S8_S8_S8_EEEEPS9_S9_NSD_9__find_if7functorIS9_EEEE10hipError_tPvRmT1_T2_T3_mT4_P12ihipStream_tbEUlT_E0_NS1_11comp_targetILNS1_3genE9ELNS1_11target_archE1100ELNS1_3gpuE3ELNS1_3repE0EEENS1_30default_config_static_selectorELNS0_4arch9wavefront6targetE1EEEvS17_,comdat
.Lfunc_end449:
	.size	_ZN7rocprim17ROCPRIM_400000_NS6detail17trampoline_kernelINS0_14default_configENS1_22reduce_config_selectorIN6thrust23THRUST_200600_302600_NS5tupleIblNS6_9null_typeES8_S8_S8_S8_S8_S8_S8_EEEEZNS1_11reduce_implILb1ES3_NS6_12zip_iteratorINS7_INS6_11hip_rocprim26transform_input_iterator_tIbPhNS6_6detail10functional5actorINSH_9compositeIJNSH_27transparent_binary_operatorINS6_8equal_toIvEEEENSI_INSH_8argumentILj0EEEEENSH_5valueIhEEEEEEEEENSD_19counting_iterator_tIlEES8_S8_S8_S8_S8_S8_S8_S8_EEEEPS9_S9_NSD_9__find_if7functorIS9_EEEE10hipError_tPvRmT1_T2_T3_mT4_P12ihipStream_tbEUlT_E0_NS1_11comp_targetILNS1_3genE9ELNS1_11target_archE1100ELNS1_3gpuE3ELNS1_3repE0EEENS1_30default_config_static_selectorELNS0_4arch9wavefront6targetE1EEEvS17_, .Lfunc_end449-_ZN7rocprim17ROCPRIM_400000_NS6detail17trampoline_kernelINS0_14default_configENS1_22reduce_config_selectorIN6thrust23THRUST_200600_302600_NS5tupleIblNS6_9null_typeES8_S8_S8_S8_S8_S8_S8_EEEEZNS1_11reduce_implILb1ES3_NS6_12zip_iteratorINS7_INS6_11hip_rocprim26transform_input_iterator_tIbPhNS6_6detail10functional5actorINSH_9compositeIJNSH_27transparent_binary_operatorINS6_8equal_toIvEEEENSI_INSH_8argumentILj0EEEEENSH_5valueIhEEEEEEEEENSD_19counting_iterator_tIlEES8_S8_S8_S8_S8_S8_S8_S8_EEEEPS9_S9_NSD_9__find_if7functorIS9_EEEE10hipError_tPvRmT1_T2_T3_mT4_P12ihipStream_tbEUlT_E0_NS1_11comp_targetILNS1_3genE9ELNS1_11target_archE1100ELNS1_3gpuE3ELNS1_3repE0EEENS1_30default_config_static_selectorELNS0_4arch9wavefront6targetE1EEEvS17_
                                        ; -- End function
	.set _ZN7rocprim17ROCPRIM_400000_NS6detail17trampoline_kernelINS0_14default_configENS1_22reduce_config_selectorIN6thrust23THRUST_200600_302600_NS5tupleIblNS6_9null_typeES8_S8_S8_S8_S8_S8_S8_EEEEZNS1_11reduce_implILb1ES3_NS6_12zip_iteratorINS7_INS6_11hip_rocprim26transform_input_iterator_tIbPhNS6_6detail10functional5actorINSH_9compositeIJNSH_27transparent_binary_operatorINS6_8equal_toIvEEEENSI_INSH_8argumentILj0EEEEENSH_5valueIhEEEEEEEEENSD_19counting_iterator_tIlEES8_S8_S8_S8_S8_S8_S8_S8_EEEEPS9_S9_NSD_9__find_if7functorIS9_EEEE10hipError_tPvRmT1_T2_T3_mT4_P12ihipStream_tbEUlT_E0_NS1_11comp_targetILNS1_3genE9ELNS1_11target_archE1100ELNS1_3gpuE3ELNS1_3repE0EEENS1_30default_config_static_selectorELNS0_4arch9wavefront6targetE1EEEvS17_.num_vgpr, 0
	.set _ZN7rocprim17ROCPRIM_400000_NS6detail17trampoline_kernelINS0_14default_configENS1_22reduce_config_selectorIN6thrust23THRUST_200600_302600_NS5tupleIblNS6_9null_typeES8_S8_S8_S8_S8_S8_S8_EEEEZNS1_11reduce_implILb1ES3_NS6_12zip_iteratorINS7_INS6_11hip_rocprim26transform_input_iterator_tIbPhNS6_6detail10functional5actorINSH_9compositeIJNSH_27transparent_binary_operatorINS6_8equal_toIvEEEENSI_INSH_8argumentILj0EEEEENSH_5valueIhEEEEEEEEENSD_19counting_iterator_tIlEES8_S8_S8_S8_S8_S8_S8_S8_EEEEPS9_S9_NSD_9__find_if7functorIS9_EEEE10hipError_tPvRmT1_T2_T3_mT4_P12ihipStream_tbEUlT_E0_NS1_11comp_targetILNS1_3genE9ELNS1_11target_archE1100ELNS1_3gpuE3ELNS1_3repE0EEENS1_30default_config_static_selectorELNS0_4arch9wavefront6targetE1EEEvS17_.num_agpr, 0
	.set _ZN7rocprim17ROCPRIM_400000_NS6detail17trampoline_kernelINS0_14default_configENS1_22reduce_config_selectorIN6thrust23THRUST_200600_302600_NS5tupleIblNS6_9null_typeES8_S8_S8_S8_S8_S8_S8_EEEEZNS1_11reduce_implILb1ES3_NS6_12zip_iteratorINS7_INS6_11hip_rocprim26transform_input_iterator_tIbPhNS6_6detail10functional5actorINSH_9compositeIJNSH_27transparent_binary_operatorINS6_8equal_toIvEEEENSI_INSH_8argumentILj0EEEEENSH_5valueIhEEEEEEEEENSD_19counting_iterator_tIlEES8_S8_S8_S8_S8_S8_S8_S8_EEEEPS9_S9_NSD_9__find_if7functorIS9_EEEE10hipError_tPvRmT1_T2_T3_mT4_P12ihipStream_tbEUlT_E0_NS1_11comp_targetILNS1_3genE9ELNS1_11target_archE1100ELNS1_3gpuE3ELNS1_3repE0EEENS1_30default_config_static_selectorELNS0_4arch9wavefront6targetE1EEEvS17_.numbered_sgpr, 0
	.set _ZN7rocprim17ROCPRIM_400000_NS6detail17trampoline_kernelINS0_14default_configENS1_22reduce_config_selectorIN6thrust23THRUST_200600_302600_NS5tupleIblNS6_9null_typeES8_S8_S8_S8_S8_S8_S8_EEEEZNS1_11reduce_implILb1ES3_NS6_12zip_iteratorINS7_INS6_11hip_rocprim26transform_input_iterator_tIbPhNS6_6detail10functional5actorINSH_9compositeIJNSH_27transparent_binary_operatorINS6_8equal_toIvEEEENSI_INSH_8argumentILj0EEEEENSH_5valueIhEEEEEEEEENSD_19counting_iterator_tIlEES8_S8_S8_S8_S8_S8_S8_S8_EEEEPS9_S9_NSD_9__find_if7functorIS9_EEEE10hipError_tPvRmT1_T2_T3_mT4_P12ihipStream_tbEUlT_E0_NS1_11comp_targetILNS1_3genE9ELNS1_11target_archE1100ELNS1_3gpuE3ELNS1_3repE0EEENS1_30default_config_static_selectorELNS0_4arch9wavefront6targetE1EEEvS17_.num_named_barrier, 0
	.set _ZN7rocprim17ROCPRIM_400000_NS6detail17trampoline_kernelINS0_14default_configENS1_22reduce_config_selectorIN6thrust23THRUST_200600_302600_NS5tupleIblNS6_9null_typeES8_S8_S8_S8_S8_S8_S8_EEEEZNS1_11reduce_implILb1ES3_NS6_12zip_iteratorINS7_INS6_11hip_rocprim26transform_input_iterator_tIbPhNS6_6detail10functional5actorINSH_9compositeIJNSH_27transparent_binary_operatorINS6_8equal_toIvEEEENSI_INSH_8argumentILj0EEEEENSH_5valueIhEEEEEEEEENSD_19counting_iterator_tIlEES8_S8_S8_S8_S8_S8_S8_S8_EEEEPS9_S9_NSD_9__find_if7functorIS9_EEEE10hipError_tPvRmT1_T2_T3_mT4_P12ihipStream_tbEUlT_E0_NS1_11comp_targetILNS1_3genE9ELNS1_11target_archE1100ELNS1_3gpuE3ELNS1_3repE0EEENS1_30default_config_static_selectorELNS0_4arch9wavefront6targetE1EEEvS17_.private_seg_size, 0
	.set _ZN7rocprim17ROCPRIM_400000_NS6detail17trampoline_kernelINS0_14default_configENS1_22reduce_config_selectorIN6thrust23THRUST_200600_302600_NS5tupleIblNS6_9null_typeES8_S8_S8_S8_S8_S8_S8_EEEEZNS1_11reduce_implILb1ES3_NS6_12zip_iteratorINS7_INS6_11hip_rocprim26transform_input_iterator_tIbPhNS6_6detail10functional5actorINSH_9compositeIJNSH_27transparent_binary_operatorINS6_8equal_toIvEEEENSI_INSH_8argumentILj0EEEEENSH_5valueIhEEEEEEEEENSD_19counting_iterator_tIlEES8_S8_S8_S8_S8_S8_S8_S8_EEEEPS9_S9_NSD_9__find_if7functorIS9_EEEE10hipError_tPvRmT1_T2_T3_mT4_P12ihipStream_tbEUlT_E0_NS1_11comp_targetILNS1_3genE9ELNS1_11target_archE1100ELNS1_3gpuE3ELNS1_3repE0EEENS1_30default_config_static_selectorELNS0_4arch9wavefront6targetE1EEEvS17_.uses_vcc, 0
	.set _ZN7rocprim17ROCPRIM_400000_NS6detail17trampoline_kernelINS0_14default_configENS1_22reduce_config_selectorIN6thrust23THRUST_200600_302600_NS5tupleIblNS6_9null_typeES8_S8_S8_S8_S8_S8_S8_EEEEZNS1_11reduce_implILb1ES3_NS6_12zip_iteratorINS7_INS6_11hip_rocprim26transform_input_iterator_tIbPhNS6_6detail10functional5actorINSH_9compositeIJNSH_27transparent_binary_operatorINS6_8equal_toIvEEEENSI_INSH_8argumentILj0EEEEENSH_5valueIhEEEEEEEEENSD_19counting_iterator_tIlEES8_S8_S8_S8_S8_S8_S8_S8_EEEEPS9_S9_NSD_9__find_if7functorIS9_EEEE10hipError_tPvRmT1_T2_T3_mT4_P12ihipStream_tbEUlT_E0_NS1_11comp_targetILNS1_3genE9ELNS1_11target_archE1100ELNS1_3gpuE3ELNS1_3repE0EEENS1_30default_config_static_selectorELNS0_4arch9wavefront6targetE1EEEvS17_.uses_flat_scratch, 0
	.set _ZN7rocprim17ROCPRIM_400000_NS6detail17trampoline_kernelINS0_14default_configENS1_22reduce_config_selectorIN6thrust23THRUST_200600_302600_NS5tupleIblNS6_9null_typeES8_S8_S8_S8_S8_S8_S8_EEEEZNS1_11reduce_implILb1ES3_NS6_12zip_iteratorINS7_INS6_11hip_rocprim26transform_input_iterator_tIbPhNS6_6detail10functional5actorINSH_9compositeIJNSH_27transparent_binary_operatorINS6_8equal_toIvEEEENSI_INSH_8argumentILj0EEEEENSH_5valueIhEEEEEEEEENSD_19counting_iterator_tIlEES8_S8_S8_S8_S8_S8_S8_S8_EEEEPS9_S9_NSD_9__find_if7functorIS9_EEEE10hipError_tPvRmT1_T2_T3_mT4_P12ihipStream_tbEUlT_E0_NS1_11comp_targetILNS1_3genE9ELNS1_11target_archE1100ELNS1_3gpuE3ELNS1_3repE0EEENS1_30default_config_static_selectorELNS0_4arch9wavefront6targetE1EEEvS17_.has_dyn_sized_stack, 0
	.set _ZN7rocprim17ROCPRIM_400000_NS6detail17trampoline_kernelINS0_14default_configENS1_22reduce_config_selectorIN6thrust23THRUST_200600_302600_NS5tupleIblNS6_9null_typeES8_S8_S8_S8_S8_S8_S8_EEEEZNS1_11reduce_implILb1ES3_NS6_12zip_iteratorINS7_INS6_11hip_rocprim26transform_input_iterator_tIbPhNS6_6detail10functional5actorINSH_9compositeIJNSH_27transparent_binary_operatorINS6_8equal_toIvEEEENSI_INSH_8argumentILj0EEEEENSH_5valueIhEEEEEEEEENSD_19counting_iterator_tIlEES8_S8_S8_S8_S8_S8_S8_S8_EEEEPS9_S9_NSD_9__find_if7functorIS9_EEEE10hipError_tPvRmT1_T2_T3_mT4_P12ihipStream_tbEUlT_E0_NS1_11comp_targetILNS1_3genE9ELNS1_11target_archE1100ELNS1_3gpuE3ELNS1_3repE0EEENS1_30default_config_static_selectorELNS0_4arch9wavefront6targetE1EEEvS17_.has_recursion, 0
	.set _ZN7rocprim17ROCPRIM_400000_NS6detail17trampoline_kernelINS0_14default_configENS1_22reduce_config_selectorIN6thrust23THRUST_200600_302600_NS5tupleIblNS6_9null_typeES8_S8_S8_S8_S8_S8_S8_EEEEZNS1_11reduce_implILb1ES3_NS6_12zip_iteratorINS7_INS6_11hip_rocprim26transform_input_iterator_tIbPhNS6_6detail10functional5actorINSH_9compositeIJNSH_27transparent_binary_operatorINS6_8equal_toIvEEEENSI_INSH_8argumentILj0EEEEENSH_5valueIhEEEEEEEEENSD_19counting_iterator_tIlEES8_S8_S8_S8_S8_S8_S8_S8_EEEEPS9_S9_NSD_9__find_if7functorIS9_EEEE10hipError_tPvRmT1_T2_T3_mT4_P12ihipStream_tbEUlT_E0_NS1_11comp_targetILNS1_3genE9ELNS1_11target_archE1100ELNS1_3gpuE3ELNS1_3repE0EEENS1_30default_config_static_selectorELNS0_4arch9wavefront6targetE1EEEvS17_.has_indirect_call, 0
	.section	.AMDGPU.csdata,"",@progbits
; Kernel info:
; codeLenInByte = 0
; TotalNumSgprs: 4
; NumVgprs: 0
; ScratchSize: 0
; MemoryBound: 0
; FloatMode: 240
; IeeeMode: 1
; LDSByteSize: 0 bytes/workgroup (compile time only)
; SGPRBlocks: 0
; VGPRBlocks: 0
; NumSGPRsForWavesPerEU: 4
; NumVGPRsForWavesPerEU: 1
; Occupancy: 10
; WaveLimiterHint : 0
; COMPUTE_PGM_RSRC2:SCRATCH_EN: 0
; COMPUTE_PGM_RSRC2:USER_SGPR: 6
; COMPUTE_PGM_RSRC2:TRAP_HANDLER: 0
; COMPUTE_PGM_RSRC2:TGID_X_EN: 1
; COMPUTE_PGM_RSRC2:TGID_Y_EN: 0
; COMPUTE_PGM_RSRC2:TGID_Z_EN: 0
; COMPUTE_PGM_RSRC2:TIDIG_COMP_CNT: 0
	.section	.text._ZN7rocprim17ROCPRIM_400000_NS6detail17trampoline_kernelINS0_14default_configENS1_22reduce_config_selectorIN6thrust23THRUST_200600_302600_NS5tupleIblNS6_9null_typeES8_S8_S8_S8_S8_S8_S8_EEEEZNS1_11reduce_implILb1ES3_NS6_12zip_iteratorINS7_INS6_11hip_rocprim26transform_input_iterator_tIbPhNS6_6detail10functional5actorINSH_9compositeIJNSH_27transparent_binary_operatorINS6_8equal_toIvEEEENSI_INSH_8argumentILj0EEEEENSH_5valueIhEEEEEEEEENSD_19counting_iterator_tIlEES8_S8_S8_S8_S8_S8_S8_S8_EEEEPS9_S9_NSD_9__find_if7functorIS9_EEEE10hipError_tPvRmT1_T2_T3_mT4_P12ihipStream_tbEUlT_E0_NS1_11comp_targetILNS1_3genE8ELNS1_11target_archE1030ELNS1_3gpuE2ELNS1_3repE0EEENS1_30default_config_static_selectorELNS0_4arch9wavefront6targetE1EEEvS17_,"axG",@progbits,_ZN7rocprim17ROCPRIM_400000_NS6detail17trampoline_kernelINS0_14default_configENS1_22reduce_config_selectorIN6thrust23THRUST_200600_302600_NS5tupleIblNS6_9null_typeES8_S8_S8_S8_S8_S8_S8_EEEEZNS1_11reduce_implILb1ES3_NS6_12zip_iteratorINS7_INS6_11hip_rocprim26transform_input_iterator_tIbPhNS6_6detail10functional5actorINSH_9compositeIJNSH_27transparent_binary_operatorINS6_8equal_toIvEEEENSI_INSH_8argumentILj0EEEEENSH_5valueIhEEEEEEEEENSD_19counting_iterator_tIlEES8_S8_S8_S8_S8_S8_S8_S8_EEEEPS9_S9_NSD_9__find_if7functorIS9_EEEE10hipError_tPvRmT1_T2_T3_mT4_P12ihipStream_tbEUlT_E0_NS1_11comp_targetILNS1_3genE8ELNS1_11target_archE1030ELNS1_3gpuE2ELNS1_3repE0EEENS1_30default_config_static_selectorELNS0_4arch9wavefront6targetE1EEEvS17_,comdat
	.protected	_ZN7rocprim17ROCPRIM_400000_NS6detail17trampoline_kernelINS0_14default_configENS1_22reduce_config_selectorIN6thrust23THRUST_200600_302600_NS5tupleIblNS6_9null_typeES8_S8_S8_S8_S8_S8_S8_EEEEZNS1_11reduce_implILb1ES3_NS6_12zip_iteratorINS7_INS6_11hip_rocprim26transform_input_iterator_tIbPhNS6_6detail10functional5actorINSH_9compositeIJNSH_27transparent_binary_operatorINS6_8equal_toIvEEEENSI_INSH_8argumentILj0EEEEENSH_5valueIhEEEEEEEEENSD_19counting_iterator_tIlEES8_S8_S8_S8_S8_S8_S8_S8_EEEEPS9_S9_NSD_9__find_if7functorIS9_EEEE10hipError_tPvRmT1_T2_T3_mT4_P12ihipStream_tbEUlT_E0_NS1_11comp_targetILNS1_3genE8ELNS1_11target_archE1030ELNS1_3gpuE2ELNS1_3repE0EEENS1_30default_config_static_selectorELNS0_4arch9wavefront6targetE1EEEvS17_ ; -- Begin function _ZN7rocprim17ROCPRIM_400000_NS6detail17trampoline_kernelINS0_14default_configENS1_22reduce_config_selectorIN6thrust23THRUST_200600_302600_NS5tupleIblNS6_9null_typeES8_S8_S8_S8_S8_S8_S8_EEEEZNS1_11reduce_implILb1ES3_NS6_12zip_iteratorINS7_INS6_11hip_rocprim26transform_input_iterator_tIbPhNS6_6detail10functional5actorINSH_9compositeIJNSH_27transparent_binary_operatorINS6_8equal_toIvEEEENSI_INSH_8argumentILj0EEEEENSH_5valueIhEEEEEEEEENSD_19counting_iterator_tIlEES8_S8_S8_S8_S8_S8_S8_S8_EEEEPS9_S9_NSD_9__find_if7functorIS9_EEEE10hipError_tPvRmT1_T2_T3_mT4_P12ihipStream_tbEUlT_E0_NS1_11comp_targetILNS1_3genE8ELNS1_11target_archE1030ELNS1_3gpuE2ELNS1_3repE0EEENS1_30default_config_static_selectorELNS0_4arch9wavefront6targetE1EEEvS17_
	.globl	_ZN7rocprim17ROCPRIM_400000_NS6detail17trampoline_kernelINS0_14default_configENS1_22reduce_config_selectorIN6thrust23THRUST_200600_302600_NS5tupleIblNS6_9null_typeES8_S8_S8_S8_S8_S8_S8_EEEEZNS1_11reduce_implILb1ES3_NS6_12zip_iteratorINS7_INS6_11hip_rocprim26transform_input_iterator_tIbPhNS6_6detail10functional5actorINSH_9compositeIJNSH_27transparent_binary_operatorINS6_8equal_toIvEEEENSI_INSH_8argumentILj0EEEEENSH_5valueIhEEEEEEEEENSD_19counting_iterator_tIlEES8_S8_S8_S8_S8_S8_S8_S8_EEEEPS9_S9_NSD_9__find_if7functorIS9_EEEE10hipError_tPvRmT1_T2_T3_mT4_P12ihipStream_tbEUlT_E0_NS1_11comp_targetILNS1_3genE8ELNS1_11target_archE1030ELNS1_3gpuE2ELNS1_3repE0EEENS1_30default_config_static_selectorELNS0_4arch9wavefront6targetE1EEEvS17_
	.p2align	8
	.type	_ZN7rocprim17ROCPRIM_400000_NS6detail17trampoline_kernelINS0_14default_configENS1_22reduce_config_selectorIN6thrust23THRUST_200600_302600_NS5tupleIblNS6_9null_typeES8_S8_S8_S8_S8_S8_S8_EEEEZNS1_11reduce_implILb1ES3_NS6_12zip_iteratorINS7_INS6_11hip_rocprim26transform_input_iterator_tIbPhNS6_6detail10functional5actorINSH_9compositeIJNSH_27transparent_binary_operatorINS6_8equal_toIvEEEENSI_INSH_8argumentILj0EEEEENSH_5valueIhEEEEEEEEENSD_19counting_iterator_tIlEES8_S8_S8_S8_S8_S8_S8_S8_EEEEPS9_S9_NSD_9__find_if7functorIS9_EEEE10hipError_tPvRmT1_T2_T3_mT4_P12ihipStream_tbEUlT_E0_NS1_11comp_targetILNS1_3genE8ELNS1_11target_archE1030ELNS1_3gpuE2ELNS1_3repE0EEENS1_30default_config_static_selectorELNS0_4arch9wavefront6targetE1EEEvS17_,@function
_ZN7rocprim17ROCPRIM_400000_NS6detail17trampoline_kernelINS0_14default_configENS1_22reduce_config_selectorIN6thrust23THRUST_200600_302600_NS5tupleIblNS6_9null_typeES8_S8_S8_S8_S8_S8_S8_EEEEZNS1_11reduce_implILb1ES3_NS6_12zip_iteratorINS7_INS6_11hip_rocprim26transform_input_iterator_tIbPhNS6_6detail10functional5actorINSH_9compositeIJNSH_27transparent_binary_operatorINS6_8equal_toIvEEEENSI_INSH_8argumentILj0EEEEENSH_5valueIhEEEEEEEEENSD_19counting_iterator_tIlEES8_S8_S8_S8_S8_S8_S8_S8_EEEEPS9_S9_NSD_9__find_if7functorIS9_EEEE10hipError_tPvRmT1_T2_T3_mT4_P12ihipStream_tbEUlT_E0_NS1_11comp_targetILNS1_3genE8ELNS1_11target_archE1030ELNS1_3gpuE2ELNS1_3repE0EEENS1_30default_config_static_selectorELNS0_4arch9wavefront6targetE1EEEvS17_: ; @_ZN7rocprim17ROCPRIM_400000_NS6detail17trampoline_kernelINS0_14default_configENS1_22reduce_config_selectorIN6thrust23THRUST_200600_302600_NS5tupleIblNS6_9null_typeES8_S8_S8_S8_S8_S8_S8_EEEEZNS1_11reduce_implILb1ES3_NS6_12zip_iteratorINS7_INS6_11hip_rocprim26transform_input_iterator_tIbPhNS6_6detail10functional5actorINSH_9compositeIJNSH_27transparent_binary_operatorINS6_8equal_toIvEEEENSI_INSH_8argumentILj0EEEEENSH_5valueIhEEEEEEEEENSD_19counting_iterator_tIlEES8_S8_S8_S8_S8_S8_S8_S8_EEEEPS9_S9_NSD_9__find_if7functorIS9_EEEE10hipError_tPvRmT1_T2_T3_mT4_P12ihipStream_tbEUlT_E0_NS1_11comp_targetILNS1_3genE8ELNS1_11target_archE1030ELNS1_3gpuE2ELNS1_3repE0EEENS1_30default_config_static_selectorELNS0_4arch9wavefront6targetE1EEEvS17_
; %bb.0:
	.section	.rodata,"a",@progbits
	.p2align	6, 0x0
	.amdhsa_kernel _ZN7rocprim17ROCPRIM_400000_NS6detail17trampoline_kernelINS0_14default_configENS1_22reduce_config_selectorIN6thrust23THRUST_200600_302600_NS5tupleIblNS6_9null_typeES8_S8_S8_S8_S8_S8_S8_EEEEZNS1_11reduce_implILb1ES3_NS6_12zip_iteratorINS7_INS6_11hip_rocprim26transform_input_iterator_tIbPhNS6_6detail10functional5actorINSH_9compositeIJNSH_27transparent_binary_operatorINS6_8equal_toIvEEEENSI_INSH_8argumentILj0EEEEENSH_5valueIhEEEEEEEEENSD_19counting_iterator_tIlEES8_S8_S8_S8_S8_S8_S8_S8_EEEEPS9_S9_NSD_9__find_if7functorIS9_EEEE10hipError_tPvRmT1_T2_T3_mT4_P12ihipStream_tbEUlT_E0_NS1_11comp_targetILNS1_3genE8ELNS1_11target_archE1030ELNS1_3gpuE2ELNS1_3repE0EEENS1_30default_config_static_selectorELNS0_4arch9wavefront6targetE1EEEvS17_
		.amdhsa_group_segment_fixed_size 0
		.amdhsa_private_segment_fixed_size 0
		.amdhsa_kernarg_size 88
		.amdhsa_user_sgpr_count 6
		.amdhsa_user_sgpr_private_segment_buffer 1
		.amdhsa_user_sgpr_dispatch_ptr 0
		.amdhsa_user_sgpr_queue_ptr 0
		.amdhsa_user_sgpr_kernarg_segment_ptr 1
		.amdhsa_user_sgpr_dispatch_id 0
		.amdhsa_user_sgpr_flat_scratch_init 0
		.amdhsa_user_sgpr_private_segment_size 0
		.amdhsa_uses_dynamic_stack 0
		.amdhsa_system_sgpr_private_segment_wavefront_offset 0
		.amdhsa_system_sgpr_workgroup_id_x 1
		.amdhsa_system_sgpr_workgroup_id_y 0
		.amdhsa_system_sgpr_workgroup_id_z 0
		.amdhsa_system_sgpr_workgroup_info 0
		.amdhsa_system_vgpr_workitem_id 0
		.amdhsa_next_free_vgpr 1
		.amdhsa_next_free_sgpr 0
		.amdhsa_reserve_vcc 0
		.amdhsa_reserve_flat_scratch 0
		.amdhsa_float_round_mode_32 0
		.amdhsa_float_round_mode_16_64 0
		.amdhsa_float_denorm_mode_32 3
		.amdhsa_float_denorm_mode_16_64 3
		.amdhsa_dx10_clamp 1
		.amdhsa_ieee_mode 1
		.amdhsa_fp16_overflow 0
		.amdhsa_exception_fp_ieee_invalid_op 0
		.amdhsa_exception_fp_denorm_src 0
		.amdhsa_exception_fp_ieee_div_zero 0
		.amdhsa_exception_fp_ieee_overflow 0
		.amdhsa_exception_fp_ieee_underflow 0
		.amdhsa_exception_fp_ieee_inexact 0
		.amdhsa_exception_int_div_zero 0
	.end_amdhsa_kernel
	.section	.text._ZN7rocprim17ROCPRIM_400000_NS6detail17trampoline_kernelINS0_14default_configENS1_22reduce_config_selectorIN6thrust23THRUST_200600_302600_NS5tupleIblNS6_9null_typeES8_S8_S8_S8_S8_S8_S8_EEEEZNS1_11reduce_implILb1ES3_NS6_12zip_iteratorINS7_INS6_11hip_rocprim26transform_input_iterator_tIbPhNS6_6detail10functional5actorINSH_9compositeIJNSH_27transparent_binary_operatorINS6_8equal_toIvEEEENSI_INSH_8argumentILj0EEEEENSH_5valueIhEEEEEEEEENSD_19counting_iterator_tIlEES8_S8_S8_S8_S8_S8_S8_S8_EEEEPS9_S9_NSD_9__find_if7functorIS9_EEEE10hipError_tPvRmT1_T2_T3_mT4_P12ihipStream_tbEUlT_E0_NS1_11comp_targetILNS1_3genE8ELNS1_11target_archE1030ELNS1_3gpuE2ELNS1_3repE0EEENS1_30default_config_static_selectorELNS0_4arch9wavefront6targetE1EEEvS17_,"axG",@progbits,_ZN7rocprim17ROCPRIM_400000_NS6detail17trampoline_kernelINS0_14default_configENS1_22reduce_config_selectorIN6thrust23THRUST_200600_302600_NS5tupleIblNS6_9null_typeES8_S8_S8_S8_S8_S8_S8_EEEEZNS1_11reduce_implILb1ES3_NS6_12zip_iteratorINS7_INS6_11hip_rocprim26transform_input_iterator_tIbPhNS6_6detail10functional5actorINSH_9compositeIJNSH_27transparent_binary_operatorINS6_8equal_toIvEEEENSI_INSH_8argumentILj0EEEEENSH_5valueIhEEEEEEEEENSD_19counting_iterator_tIlEES8_S8_S8_S8_S8_S8_S8_S8_EEEEPS9_S9_NSD_9__find_if7functorIS9_EEEE10hipError_tPvRmT1_T2_T3_mT4_P12ihipStream_tbEUlT_E0_NS1_11comp_targetILNS1_3genE8ELNS1_11target_archE1030ELNS1_3gpuE2ELNS1_3repE0EEENS1_30default_config_static_selectorELNS0_4arch9wavefront6targetE1EEEvS17_,comdat
.Lfunc_end450:
	.size	_ZN7rocprim17ROCPRIM_400000_NS6detail17trampoline_kernelINS0_14default_configENS1_22reduce_config_selectorIN6thrust23THRUST_200600_302600_NS5tupleIblNS6_9null_typeES8_S8_S8_S8_S8_S8_S8_EEEEZNS1_11reduce_implILb1ES3_NS6_12zip_iteratorINS7_INS6_11hip_rocprim26transform_input_iterator_tIbPhNS6_6detail10functional5actorINSH_9compositeIJNSH_27transparent_binary_operatorINS6_8equal_toIvEEEENSI_INSH_8argumentILj0EEEEENSH_5valueIhEEEEEEEEENSD_19counting_iterator_tIlEES8_S8_S8_S8_S8_S8_S8_S8_EEEEPS9_S9_NSD_9__find_if7functorIS9_EEEE10hipError_tPvRmT1_T2_T3_mT4_P12ihipStream_tbEUlT_E0_NS1_11comp_targetILNS1_3genE8ELNS1_11target_archE1030ELNS1_3gpuE2ELNS1_3repE0EEENS1_30default_config_static_selectorELNS0_4arch9wavefront6targetE1EEEvS17_, .Lfunc_end450-_ZN7rocprim17ROCPRIM_400000_NS6detail17trampoline_kernelINS0_14default_configENS1_22reduce_config_selectorIN6thrust23THRUST_200600_302600_NS5tupleIblNS6_9null_typeES8_S8_S8_S8_S8_S8_S8_EEEEZNS1_11reduce_implILb1ES3_NS6_12zip_iteratorINS7_INS6_11hip_rocprim26transform_input_iterator_tIbPhNS6_6detail10functional5actorINSH_9compositeIJNSH_27transparent_binary_operatorINS6_8equal_toIvEEEENSI_INSH_8argumentILj0EEEEENSH_5valueIhEEEEEEEEENSD_19counting_iterator_tIlEES8_S8_S8_S8_S8_S8_S8_S8_EEEEPS9_S9_NSD_9__find_if7functorIS9_EEEE10hipError_tPvRmT1_T2_T3_mT4_P12ihipStream_tbEUlT_E0_NS1_11comp_targetILNS1_3genE8ELNS1_11target_archE1030ELNS1_3gpuE2ELNS1_3repE0EEENS1_30default_config_static_selectorELNS0_4arch9wavefront6targetE1EEEvS17_
                                        ; -- End function
	.set _ZN7rocprim17ROCPRIM_400000_NS6detail17trampoline_kernelINS0_14default_configENS1_22reduce_config_selectorIN6thrust23THRUST_200600_302600_NS5tupleIblNS6_9null_typeES8_S8_S8_S8_S8_S8_S8_EEEEZNS1_11reduce_implILb1ES3_NS6_12zip_iteratorINS7_INS6_11hip_rocprim26transform_input_iterator_tIbPhNS6_6detail10functional5actorINSH_9compositeIJNSH_27transparent_binary_operatorINS6_8equal_toIvEEEENSI_INSH_8argumentILj0EEEEENSH_5valueIhEEEEEEEEENSD_19counting_iterator_tIlEES8_S8_S8_S8_S8_S8_S8_S8_EEEEPS9_S9_NSD_9__find_if7functorIS9_EEEE10hipError_tPvRmT1_T2_T3_mT4_P12ihipStream_tbEUlT_E0_NS1_11comp_targetILNS1_3genE8ELNS1_11target_archE1030ELNS1_3gpuE2ELNS1_3repE0EEENS1_30default_config_static_selectorELNS0_4arch9wavefront6targetE1EEEvS17_.num_vgpr, 0
	.set _ZN7rocprim17ROCPRIM_400000_NS6detail17trampoline_kernelINS0_14default_configENS1_22reduce_config_selectorIN6thrust23THRUST_200600_302600_NS5tupleIblNS6_9null_typeES8_S8_S8_S8_S8_S8_S8_EEEEZNS1_11reduce_implILb1ES3_NS6_12zip_iteratorINS7_INS6_11hip_rocprim26transform_input_iterator_tIbPhNS6_6detail10functional5actorINSH_9compositeIJNSH_27transparent_binary_operatorINS6_8equal_toIvEEEENSI_INSH_8argumentILj0EEEEENSH_5valueIhEEEEEEEEENSD_19counting_iterator_tIlEES8_S8_S8_S8_S8_S8_S8_S8_EEEEPS9_S9_NSD_9__find_if7functorIS9_EEEE10hipError_tPvRmT1_T2_T3_mT4_P12ihipStream_tbEUlT_E0_NS1_11comp_targetILNS1_3genE8ELNS1_11target_archE1030ELNS1_3gpuE2ELNS1_3repE0EEENS1_30default_config_static_selectorELNS0_4arch9wavefront6targetE1EEEvS17_.num_agpr, 0
	.set _ZN7rocprim17ROCPRIM_400000_NS6detail17trampoline_kernelINS0_14default_configENS1_22reduce_config_selectorIN6thrust23THRUST_200600_302600_NS5tupleIblNS6_9null_typeES8_S8_S8_S8_S8_S8_S8_EEEEZNS1_11reduce_implILb1ES3_NS6_12zip_iteratorINS7_INS6_11hip_rocprim26transform_input_iterator_tIbPhNS6_6detail10functional5actorINSH_9compositeIJNSH_27transparent_binary_operatorINS6_8equal_toIvEEEENSI_INSH_8argumentILj0EEEEENSH_5valueIhEEEEEEEEENSD_19counting_iterator_tIlEES8_S8_S8_S8_S8_S8_S8_S8_EEEEPS9_S9_NSD_9__find_if7functorIS9_EEEE10hipError_tPvRmT1_T2_T3_mT4_P12ihipStream_tbEUlT_E0_NS1_11comp_targetILNS1_3genE8ELNS1_11target_archE1030ELNS1_3gpuE2ELNS1_3repE0EEENS1_30default_config_static_selectorELNS0_4arch9wavefront6targetE1EEEvS17_.numbered_sgpr, 0
	.set _ZN7rocprim17ROCPRIM_400000_NS6detail17trampoline_kernelINS0_14default_configENS1_22reduce_config_selectorIN6thrust23THRUST_200600_302600_NS5tupleIblNS6_9null_typeES8_S8_S8_S8_S8_S8_S8_EEEEZNS1_11reduce_implILb1ES3_NS6_12zip_iteratorINS7_INS6_11hip_rocprim26transform_input_iterator_tIbPhNS6_6detail10functional5actorINSH_9compositeIJNSH_27transparent_binary_operatorINS6_8equal_toIvEEEENSI_INSH_8argumentILj0EEEEENSH_5valueIhEEEEEEEEENSD_19counting_iterator_tIlEES8_S8_S8_S8_S8_S8_S8_S8_EEEEPS9_S9_NSD_9__find_if7functorIS9_EEEE10hipError_tPvRmT1_T2_T3_mT4_P12ihipStream_tbEUlT_E0_NS1_11comp_targetILNS1_3genE8ELNS1_11target_archE1030ELNS1_3gpuE2ELNS1_3repE0EEENS1_30default_config_static_selectorELNS0_4arch9wavefront6targetE1EEEvS17_.num_named_barrier, 0
	.set _ZN7rocprim17ROCPRIM_400000_NS6detail17trampoline_kernelINS0_14default_configENS1_22reduce_config_selectorIN6thrust23THRUST_200600_302600_NS5tupleIblNS6_9null_typeES8_S8_S8_S8_S8_S8_S8_EEEEZNS1_11reduce_implILb1ES3_NS6_12zip_iteratorINS7_INS6_11hip_rocprim26transform_input_iterator_tIbPhNS6_6detail10functional5actorINSH_9compositeIJNSH_27transparent_binary_operatorINS6_8equal_toIvEEEENSI_INSH_8argumentILj0EEEEENSH_5valueIhEEEEEEEEENSD_19counting_iterator_tIlEES8_S8_S8_S8_S8_S8_S8_S8_EEEEPS9_S9_NSD_9__find_if7functorIS9_EEEE10hipError_tPvRmT1_T2_T3_mT4_P12ihipStream_tbEUlT_E0_NS1_11comp_targetILNS1_3genE8ELNS1_11target_archE1030ELNS1_3gpuE2ELNS1_3repE0EEENS1_30default_config_static_selectorELNS0_4arch9wavefront6targetE1EEEvS17_.private_seg_size, 0
	.set _ZN7rocprim17ROCPRIM_400000_NS6detail17trampoline_kernelINS0_14default_configENS1_22reduce_config_selectorIN6thrust23THRUST_200600_302600_NS5tupleIblNS6_9null_typeES8_S8_S8_S8_S8_S8_S8_EEEEZNS1_11reduce_implILb1ES3_NS6_12zip_iteratorINS7_INS6_11hip_rocprim26transform_input_iterator_tIbPhNS6_6detail10functional5actorINSH_9compositeIJNSH_27transparent_binary_operatorINS6_8equal_toIvEEEENSI_INSH_8argumentILj0EEEEENSH_5valueIhEEEEEEEEENSD_19counting_iterator_tIlEES8_S8_S8_S8_S8_S8_S8_S8_EEEEPS9_S9_NSD_9__find_if7functorIS9_EEEE10hipError_tPvRmT1_T2_T3_mT4_P12ihipStream_tbEUlT_E0_NS1_11comp_targetILNS1_3genE8ELNS1_11target_archE1030ELNS1_3gpuE2ELNS1_3repE0EEENS1_30default_config_static_selectorELNS0_4arch9wavefront6targetE1EEEvS17_.uses_vcc, 0
	.set _ZN7rocprim17ROCPRIM_400000_NS6detail17trampoline_kernelINS0_14default_configENS1_22reduce_config_selectorIN6thrust23THRUST_200600_302600_NS5tupleIblNS6_9null_typeES8_S8_S8_S8_S8_S8_S8_EEEEZNS1_11reduce_implILb1ES3_NS6_12zip_iteratorINS7_INS6_11hip_rocprim26transform_input_iterator_tIbPhNS6_6detail10functional5actorINSH_9compositeIJNSH_27transparent_binary_operatorINS6_8equal_toIvEEEENSI_INSH_8argumentILj0EEEEENSH_5valueIhEEEEEEEEENSD_19counting_iterator_tIlEES8_S8_S8_S8_S8_S8_S8_S8_EEEEPS9_S9_NSD_9__find_if7functorIS9_EEEE10hipError_tPvRmT1_T2_T3_mT4_P12ihipStream_tbEUlT_E0_NS1_11comp_targetILNS1_3genE8ELNS1_11target_archE1030ELNS1_3gpuE2ELNS1_3repE0EEENS1_30default_config_static_selectorELNS0_4arch9wavefront6targetE1EEEvS17_.uses_flat_scratch, 0
	.set _ZN7rocprim17ROCPRIM_400000_NS6detail17trampoline_kernelINS0_14default_configENS1_22reduce_config_selectorIN6thrust23THRUST_200600_302600_NS5tupleIblNS6_9null_typeES8_S8_S8_S8_S8_S8_S8_EEEEZNS1_11reduce_implILb1ES3_NS6_12zip_iteratorINS7_INS6_11hip_rocprim26transform_input_iterator_tIbPhNS6_6detail10functional5actorINSH_9compositeIJNSH_27transparent_binary_operatorINS6_8equal_toIvEEEENSI_INSH_8argumentILj0EEEEENSH_5valueIhEEEEEEEEENSD_19counting_iterator_tIlEES8_S8_S8_S8_S8_S8_S8_S8_EEEEPS9_S9_NSD_9__find_if7functorIS9_EEEE10hipError_tPvRmT1_T2_T3_mT4_P12ihipStream_tbEUlT_E0_NS1_11comp_targetILNS1_3genE8ELNS1_11target_archE1030ELNS1_3gpuE2ELNS1_3repE0EEENS1_30default_config_static_selectorELNS0_4arch9wavefront6targetE1EEEvS17_.has_dyn_sized_stack, 0
	.set _ZN7rocprim17ROCPRIM_400000_NS6detail17trampoline_kernelINS0_14default_configENS1_22reduce_config_selectorIN6thrust23THRUST_200600_302600_NS5tupleIblNS6_9null_typeES8_S8_S8_S8_S8_S8_S8_EEEEZNS1_11reduce_implILb1ES3_NS6_12zip_iteratorINS7_INS6_11hip_rocprim26transform_input_iterator_tIbPhNS6_6detail10functional5actorINSH_9compositeIJNSH_27transparent_binary_operatorINS6_8equal_toIvEEEENSI_INSH_8argumentILj0EEEEENSH_5valueIhEEEEEEEEENSD_19counting_iterator_tIlEES8_S8_S8_S8_S8_S8_S8_S8_EEEEPS9_S9_NSD_9__find_if7functorIS9_EEEE10hipError_tPvRmT1_T2_T3_mT4_P12ihipStream_tbEUlT_E0_NS1_11comp_targetILNS1_3genE8ELNS1_11target_archE1030ELNS1_3gpuE2ELNS1_3repE0EEENS1_30default_config_static_selectorELNS0_4arch9wavefront6targetE1EEEvS17_.has_recursion, 0
	.set _ZN7rocprim17ROCPRIM_400000_NS6detail17trampoline_kernelINS0_14default_configENS1_22reduce_config_selectorIN6thrust23THRUST_200600_302600_NS5tupleIblNS6_9null_typeES8_S8_S8_S8_S8_S8_S8_EEEEZNS1_11reduce_implILb1ES3_NS6_12zip_iteratorINS7_INS6_11hip_rocprim26transform_input_iterator_tIbPhNS6_6detail10functional5actorINSH_9compositeIJNSH_27transparent_binary_operatorINS6_8equal_toIvEEEENSI_INSH_8argumentILj0EEEEENSH_5valueIhEEEEEEEEENSD_19counting_iterator_tIlEES8_S8_S8_S8_S8_S8_S8_S8_EEEEPS9_S9_NSD_9__find_if7functorIS9_EEEE10hipError_tPvRmT1_T2_T3_mT4_P12ihipStream_tbEUlT_E0_NS1_11comp_targetILNS1_3genE8ELNS1_11target_archE1030ELNS1_3gpuE2ELNS1_3repE0EEENS1_30default_config_static_selectorELNS0_4arch9wavefront6targetE1EEEvS17_.has_indirect_call, 0
	.section	.AMDGPU.csdata,"",@progbits
; Kernel info:
; codeLenInByte = 0
; TotalNumSgprs: 4
; NumVgprs: 0
; ScratchSize: 0
; MemoryBound: 0
; FloatMode: 240
; IeeeMode: 1
; LDSByteSize: 0 bytes/workgroup (compile time only)
; SGPRBlocks: 0
; VGPRBlocks: 0
; NumSGPRsForWavesPerEU: 4
; NumVGPRsForWavesPerEU: 1
; Occupancy: 10
; WaveLimiterHint : 0
; COMPUTE_PGM_RSRC2:SCRATCH_EN: 0
; COMPUTE_PGM_RSRC2:USER_SGPR: 6
; COMPUTE_PGM_RSRC2:TRAP_HANDLER: 0
; COMPUTE_PGM_RSRC2:TGID_X_EN: 1
; COMPUTE_PGM_RSRC2:TGID_Y_EN: 0
; COMPUTE_PGM_RSRC2:TGID_Z_EN: 0
; COMPUTE_PGM_RSRC2:TIDIG_COMP_CNT: 0
	.section	.text._ZN7rocprim17ROCPRIM_400000_NS6detail17trampoline_kernelINS0_14default_configENS1_22reduce_config_selectorIN6thrust23THRUST_200600_302600_NS5tupleIblNS6_9null_typeES8_S8_S8_S8_S8_S8_S8_EEEEZNS1_11reduce_implILb1ES3_NS6_12zip_iteratorINS7_INS6_11hip_rocprim26transform_input_iterator_tIbPhNS6_6detail10functional5actorINSH_9compositeIJNSH_27transparent_binary_operatorINS6_8equal_toIvEEEENSI_INSH_8argumentILj0EEEEENSH_5valueIhEEEEEEEEENSD_19counting_iterator_tIlEES8_S8_S8_S8_S8_S8_S8_S8_EEEEPS9_S9_NSD_9__find_if7functorIS9_EEEE10hipError_tPvRmT1_T2_T3_mT4_P12ihipStream_tbEUlT_E1_NS1_11comp_targetILNS1_3genE0ELNS1_11target_archE4294967295ELNS1_3gpuE0ELNS1_3repE0EEENS1_30default_config_static_selectorELNS0_4arch9wavefront6targetE1EEEvS17_,"axG",@progbits,_ZN7rocprim17ROCPRIM_400000_NS6detail17trampoline_kernelINS0_14default_configENS1_22reduce_config_selectorIN6thrust23THRUST_200600_302600_NS5tupleIblNS6_9null_typeES8_S8_S8_S8_S8_S8_S8_EEEEZNS1_11reduce_implILb1ES3_NS6_12zip_iteratorINS7_INS6_11hip_rocprim26transform_input_iterator_tIbPhNS6_6detail10functional5actorINSH_9compositeIJNSH_27transparent_binary_operatorINS6_8equal_toIvEEEENSI_INSH_8argumentILj0EEEEENSH_5valueIhEEEEEEEEENSD_19counting_iterator_tIlEES8_S8_S8_S8_S8_S8_S8_S8_EEEEPS9_S9_NSD_9__find_if7functorIS9_EEEE10hipError_tPvRmT1_T2_T3_mT4_P12ihipStream_tbEUlT_E1_NS1_11comp_targetILNS1_3genE0ELNS1_11target_archE4294967295ELNS1_3gpuE0ELNS1_3repE0EEENS1_30default_config_static_selectorELNS0_4arch9wavefront6targetE1EEEvS17_,comdat
	.protected	_ZN7rocprim17ROCPRIM_400000_NS6detail17trampoline_kernelINS0_14default_configENS1_22reduce_config_selectorIN6thrust23THRUST_200600_302600_NS5tupleIblNS6_9null_typeES8_S8_S8_S8_S8_S8_S8_EEEEZNS1_11reduce_implILb1ES3_NS6_12zip_iteratorINS7_INS6_11hip_rocprim26transform_input_iterator_tIbPhNS6_6detail10functional5actorINSH_9compositeIJNSH_27transparent_binary_operatorINS6_8equal_toIvEEEENSI_INSH_8argumentILj0EEEEENSH_5valueIhEEEEEEEEENSD_19counting_iterator_tIlEES8_S8_S8_S8_S8_S8_S8_S8_EEEEPS9_S9_NSD_9__find_if7functorIS9_EEEE10hipError_tPvRmT1_T2_T3_mT4_P12ihipStream_tbEUlT_E1_NS1_11comp_targetILNS1_3genE0ELNS1_11target_archE4294967295ELNS1_3gpuE0ELNS1_3repE0EEENS1_30default_config_static_selectorELNS0_4arch9wavefront6targetE1EEEvS17_ ; -- Begin function _ZN7rocprim17ROCPRIM_400000_NS6detail17trampoline_kernelINS0_14default_configENS1_22reduce_config_selectorIN6thrust23THRUST_200600_302600_NS5tupleIblNS6_9null_typeES8_S8_S8_S8_S8_S8_S8_EEEEZNS1_11reduce_implILb1ES3_NS6_12zip_iteratorINS7_INS6_11hip_rocprim26transform_input_iterator_tIbPhNS6_6detail10functional5actorINSH_9compositeIJNSH_27transparent_binary_operatorINS6_8equal_toIvEEEENSI_INSH_8argumentILj0EEEEENSH_5valueIhEEEEEEEEENSD_19counting_iterator_tIlEES8_S8_S8_S8_S8_S8_S8_S8_EEEEPS9_S9_NSD_9__find_if7functorIS9_EEEE10hipError_tPvRmT1_T2_T3_mT4_P12ihipStream_tbEUlT_E1_NS1_11comp_targetILNS1_3genE0ELNS1_11target_archE4294967295ELNS1_3gpuE0ELNS1_3repE0EEENS1_30default_config_static_selectorELNS0_4arch9wavefront6targetE1EEEvS17_
	.globl	_ZN7rocprim17ROCPRIM_400000_NS6detail17trampoline_kernelINS0_14default_configENS1_22reduce_config_selectorIN6thrust23THRUST_200600_302600_NS5tupleIblNS6_9null_typeES8_S8_S8_S8_S8_S8_S8_EEEEZNS1_11reduce_implILb1ES3_NS6_12zip_iteratorINS7_INS6_11hip_rocprim26transform_input_iterator_tIbPhNS6_6detail10functional5actorINSH_9compositeIJNSH_27transparent_binary_operatorINS6_8equal_toIvEEEENSI_INSH_8argumentILj0EEEEENSH_5valueIhEEEEEEEEENSD_19counting_iterator_tIlEES8_S8_S8_S8_S8_S8_S8_S8_EEEEPS9_S9_NSD_9__find_if7functorIS9_EEEE10hipError_tPvRmT1_T2_T3_mT4_P12ihipStream_tbEUlT_E1_NS1_11comp_targetILNS1_3genE0ELNS1_11target_archE4294967295ELNS1_3gpuE0ELNS1_3repE0EEENS1_30default_config_static_selectorELNS0_4arch9wavefront6targetE1EEEvS17_
	.p2align	8
	.type	_ZN7rocprim17ROCPRIM_400000_NS6detail17trampoline_kernelINS0_14default_configENS1_22reduce_config_selectorIN6thrust23THRUST_200600_302600_NS5tupleIblNS6_9null_typeES8_S8_S8_S8_S8_S8_S8_EEEEZNS1_11reduce_implILb1ES3_NS6_12zip_iteratorINS7_INS6_11hip_rocprim26transform_input_iterator_tIbPhNS6_6detail10functional5actorINSH_9compositeIJNSH_27transparent_binary_operatorINS6_8equal_toIvEEEENSI_INSH_8argumentILj0EEEEENSH_5valueIhEEEEEEEEENSD_19counting_iterator_tIlEES8_S8_S8_S8_S8_S8_S8_S8_EEEEPS9_S9_NSD_9__find_if7functorIS9_EEEE10hipError_tPvRmT1_T2_T3_mT4_P12ihipStream_tbEUlT_E1_NS1_11comp_targetILNS1_3genE0ELNS1_11target_archE4294967295ELNS1_3gpuE0ELNS1_3repE0EEENS1_30default_config_static_selectorELNS0_4arch9wavefront6targetE1EEEvS17_,@function
_ZN7rocprim17ROCPRIM_400000_NS6detail17trampoline_kernelINS0_14default_configENS1_22reduce_config_selectorIN6thrust23THRUST_200600_302600_NS5tupleIblNS6_9null_typeES8_S8_S8_S8_S8_S8_S8_EEEEZNS1_11reduce_implILb1ES3_NS6_12zip_iteratorINS7_INS6_11hip_rocprim26transform_input_iterator_tIbPhNS6_6detail10functional5actorINSH_9compositeIJNSH_27transparent_binary_operatorINS6_8equal_toIvEEEENSI_INSH_8argumentILj0EEEEENSH_5valueIhEEEEEEEEENSD_19counting_iterator_tIlEES8_S8_S8_S8_S8_S8_S8_S8_EEEEPS9_S9_NSD_9__find_if7functorIS9_EEEE10hipError_tPvRmT1_T2_T3_mT4_P12ihipStream_tbEUlT_E1_NS1_11comp_targetILNS1_3genE0ELNS1_11target_archE4294967295ELNS1_3gpuE0ELNS1_3repE0EEENS1_30default_config_static_selectorELNS0_4arch9wavefront6targetE1EEEvS17_: ; @_ZN7rocprim17ROCPRIM_400000_NS6detail17trampoline_kernelINS0_14default_configENS1_22reduce_config_selectorIN6thrust23THRUST_200600_302600_NS5tupleIblNS6_9null_typeES8_S8_S8_S8_S8_S8_S8_EEEEZNS1_11reduce_implILb1ES3_NS6_12zip_iteratorINS7_INS6_11hip_rocprim26transform_input_iterator_tIbPhNS6_6detail10functional5actorINSH_9compositeIJNSH_27transparent_binary_operatorINS6_8equal_toIvEEEENSI_INSH_8argumentILj0EEEEENSH_5valueIhEEEEEEEEENSD_19counting_iterator_tIlEES8_S8_S8_S8_S8_S8_S8_S8_EEEEPS9_S9_NSD_9__find_if7functorIS9_EEEE10hipError_tPvRmT1_T2_T3_mT4_P12ihipStream_tbEUlT_E1_NS1_11comp_targetILNS1_3genE0ELNS1_11target_archE4294967295ELNS1_3gpuE0ELNS1_3repE0EEENS1_30default_config_static_selectorELNS0_4arch9wavefront6targetE1EEEvS17_
; %bb.0:
	.section	.rodata,"a",@progbits
	.p2align	6, 0x0
	.amdhsa_kernel _ZN7rocprim17ROCPRIM_400000_NS6detail17trampoline_kernelINS0_14default_configENS1_22reduce_config_selectorIN6thrust23THRUST_200600_302600_NS5tupleIblNS6_9null_typeES8_S8_S8_S8_S8_S8_S8_EEEEZNS1_11reduce_implILb1ES3_NS6_12zip_iteratorINS7_INS6_11hip_rocprim26transform_input_iterator_tIbPhNS6_6detail10functional5actorINSH_9compositeIJNSH_27transparent_binary_operatorINS6_8equal_toIvEEEENSI_INSH_8argumentILj0EEEEENSH_5valueIhEEEEEEEEENSD_19counting_iterator_tIlEES8_S8_S8_S8_S8_S8_S8_S8_EEEEPS9_S9_NSD_9__find_if7functorIS9_EEEE10hipError_tPvRmT1_T2_T3_mT4_P12ihipStream_tbEUlT_E1_NS1_11comp_targetILNS1_3genE0ELNS1_11target_archE4294967295ELNS1_3gpuE0ELNS1_3repE0EEENS1_30default_config_static_selectorELNS0_4arch9wavefront6targetE1EEEvS17_
		.amdhsa_group_segment_fixed_size 0
		.amdhsa_private_segment_fixed_size 0
		.amdhsa_kernarg_size 72
		.amdhsa_user_sgpr_count 6
		.amdhsa_user_sgpr_private_segment_buffer 1
		.amdhsa_user_sgpr_dispatch_ptr 0
		.amdhsa_user_sgpr_queue_ptr 0
		.amdhsa_user_sgpr_kernarg_segment_ptr 1
		.amdhsa_user_sgpr_dispatch_id 0
		.amdhsa_user_sgpr_flat_scratch_init 0
		.amdhsa_user_sgpr_private_segment_size 0
		.amdhsa_uses_dynamic_stack 0
		.amdhsa_system_sgpr_private_segment_wavefront_offset 0
		.amdhsa_system_sgpr_workgroup_id_x 1
		.amdhsa_system_sgpr_workgroup_id_y 0
		.amdhsa_system_sgpr_workgroup_id_z 0
		.amdhsa_system_sgpr_workgroup_info 0
		.amdhsa_system_vgpr_workitem_id 0
		.amdhsa_next_free_vgpr 1
		.amdhsa_next_free_sgpr 0
		.amdhsa_reserve_vcc 0
		.amdhsa_reserve_flat_scratch 0
		.amdhsa_float_round_mode_32 0
		.amdhsa_float_round_mode_16_64 0
		.amdhsa_float_denorm_mode_32 3
		.amdhsa_float_denorm_mode_16_64 3
		.amdhsa_dx10_clamp 1
		.amdhsa_ieee_mode 1
		.amdhsa_fp16_overflow 0
		.amdhsa_exception_fp_ieee_invalid_op 0
		.amdhsa_exception_fp_denorm_src 0
		.amdhsa_exception_fp_ieee_div_zero 0
		.amdhsa_exception_fp_ieee_overflow 0
		.amdhsa_exception_fp_ieee_underflow 0
		.amdhsa_exception_fp_ieee_inexact 0
		.amdhsa_exception_int_div_zero 0
	.end_amdhsa_kernel
	.section	.text._ZN7rocprim17ROCPRIM_400000_NS6detail17trampoline_kernelINS0_14default_configENS1_22reduce_config_selectorIN6thrust23THRUST_200600_302600_NS5tupleIblNS6_9null_typeES8_S8_S8_S8_S8_S8_S8_EEEEZNS1_11reduce_implILb1ES3_NS6_12zip_iteratorINS7_INS6_11hip_rocprim26transform_input_iterator_tIbPhNS6_6detail10functional5actorINSH_9compositeIJNSH_27transparent_binary_operatorINS6_8equal_toIvEEEENSI_INSH_8argumentILj0EEEEENSH_5valueIhEEEEEEEEENSD_19counting_iterator_tIlEES8_S8_S8_S8_S8_S8_S8_S8_EEEEPS9_S9_NSD_9__find_if7functorIS9_EEEE10hipError_tPvRmT1_T2_T3_mT4_P12ihipStream_tbEUlT_E1_NS1_11comp_targetILNS1_3genE0ELNS1_11target_archE4294967295ELNS1_3gpuE0ELNS1_3repE0EEENS1_30default_config_static_selectorELNS0_4arch9wavefront6targetE1EEEvS17_,"axG",@progbits,_ZN7rocprim17ROCPRIM_400000_NS6detail17trampoline_kernelINS0_14default_configENS1_22reduce_config_selectorIN6thrust23THRUST_200600_302600_NS5tupleIblNS6_9null_typeES8_S8_S8_S8_S8_S8_S8_EEEEZNS1_11reduce_implILb1ES3_NS6_12zip_iteratorINS7_INS6_11hip_rocprim26transform_input_iterator_tIbPhNS6_6detail10functional5actorINSH_9compositeIJNSH_27transparent_binary_operatorINS6_8equal_toIvEEEENSI_INSH_8argumentILj0EEEEENSH_5valueIhEEEEEEEEENSD_19counting_iterator_tIlEES8_S8_S8_S8_S8_S8_S8_S8_EEEEPS9_S9_NSD_9__find_if7functorIS9_EEEE10hipError_tPvRmT1_T2_T3_mT4_P12ihipStream_tbEUlT_E1_NS1_11comp_targetILNS1_3genE0ELNS1_11target_archE4294967295ELNS1_3gpuE0ELNS1_3repE0EEENS1_30default_config_static_selectorELNS0_4arch9wavefront6targetE1EEEvS17_,comdat
.Lfunc_end451:
	.size	_ZN7rocprim17ROCPRIM_400000_NS6detail17trampoline_kernelINS0_14default_configENS1_22reduce_config_selectorIN6thrust23THRUST_200600_302600_NS5tupleIblNS6_9null_typeES8_S8_S8_S8_S8_S8_S8_EEEEZNS1_11reduce_implILb1ES3_NS6_12zip_iteratorINS7_INS6_11hip_rocprim26transform_input_iterator_tIbPhNS6_6detail10functional5actorINSH_9compositeIJNSH_27transparent_binary_operatorINS6_8equal_toIvEEEENSI_INSH_8argumentILj0EEEEENSH_5valueIhEEEEEEEEENSD_19counting_iterator_tIlEES8_S8_S8_S8_S8_S8_S8_S8_EEEEPS9_S9_NSD_9__find_if7functorIS9_EEEE10hipError_tPvRmT1_T2_T3_mT4_P12ihipStream_tbEUlT_E1_NS1_11comp_targetILNS1_3genE0ELNS1_11target_archE4294967295ELNS1_3gpuE0ELNS1_3repE0EEENS1_30default_config_static_selectorELNS0_4arch9wavefront6targetE1EEEvS17_, .Lfunc_end451-_ZN7rocprim17ROCPRIM_400000_NS6detail17trampoline_kernelINS0_14default_configENS1_22reduce_config_selectorIN6thrust23THRUST_200600_302600_NS5tupleIblNS6_9null_typeES8_S8_S8_S8_S8_S8_S8_EEEEZNS1_11reduce_implILb1ES3_NS6_12zip_iteratorINS7_INS6_11hip_rocprim26transform_input_iterator_tIbPhNS6_6detail10functional5actorINSH_9compositeIJNSH_27transparent_binary_operatorINS6_8equal_toIvEEEENSI_INSH_8argumentILj0EEEEENSH_5valueIhEEEEEEEEENSD_19counting_iterator_tIlEES8_S8_S8_S8_S8_S8_S8_S8_EEEEPS9_S9_NSD_9__find_if7functorIS9_EEEE10hipError_tPvRmT1_T2_T3_mT4_P12ihipStream_tbEUlT_E1_NS1_11comp_targetILNS1_3genE0ELNS1_11target_archE4294967295ELNS1_3gpuE0ELNS1_3repE0EEENS1_30default_config_static_selectorELNS0_4arch9wavefront6targetE1EEEvS17_
                                        ; -- End function
	.set _ZN7rocprim17ROCPRIM_400000_NS6detail17trampoline_kernelINS0_14default_configENS1_22reduce_config_selectorIN6thrust23THRUST_200600_302600_NS5tupleIblNS6_9null_typeES8_S8_S8_S8_S8_S8_S8_EEEEZNS1_11reduce_implILb1ES3_NS6_12zip_iteratorINS7_INS6_11hip_rocprim26transform_input_iterator_tIbPhNS6_6detail10functional5actorINSH_9compositeIJNSH_27transparent_binary_operatorINS6_8equal_toIvEEEENSI_INSH_8argumentILj0EEEEENSH_5valueIhEEEEEEEEENSD_19counting_iterator_tIlEES8_S8_S8_S8_S8_S8_S8_S8_EEEEPS9_S9_NSD_9__find_if7functorIS9_EEEE10hipError_tPvRmT1_T2_T3_mT4_P12ihipStream_tbEUlT_E1_NS1_11comp_targetILNS1_3genE0ELNS1_11target_archE4294967295ELNS1_3gpuE0ELNS1_3repE0EEENS1_30default_config_static_selectorELNS0_4arch9wavefront6targetE1EEEvS17_.num_vgpr, 0
	.set _ZN7rocprim17ROCPRIM_400000_NS6detail17trampoline_kernelINS0_14default_configENS1_22reduce_config_selectorIN6thrust23THRUST_200600_302600_NS5tupleIblNS6_9null_typeES8_S8_S8_S8_S8_S8_S8_EEEEZNS1_11reduce_implILb1ES3_NS6_12zip_iteratorINS7_INS6_11hip_rocprim26transform_input_iterator_tIbPhNS6_6detail10functional5actorINSH_9compositeIJNSH_27transparent_binary_operatorINS6_8equal_toIvEEEENSI_INSH_8argumentILj0EEEEENSH_5valueIhEEEEEEEEENSD_19counting_iterator_tIlEES8_S8_S8_S8_S8_S8_S8_S8_EEEEPS9_S9_NSD_9__find_if7functorIS9_EEEE10hipError_tPvRmT1_T2_T3_mT4_P12ihipStream_tbEUlT_E1_NS1_11comp_targetILNS1_3genE0ELNS1_11target_archE4294967295ELNS1_3gpuE0ELNS1_3repE0EEENS1_30default_config_static_selectorELNS0_4arch9wavefront6targetE1EEEvS17_.num_agpr, 0
	.set _ZN7rocprim17ROCPRIM_400000_NS6detail17trampoline_kernelINS0_14default_configENS1_22reduce_config_selectorIN6thrust23THRUST_200600_302600_NS5tupleIblNS6_9null_typeES8_S8_S8_S8_S8_S8_S8_EEEEZNS1_11reduce_implILb1ES3_NS6_12zip_iteratorINS7_INS6_11hip_rocprim26transform_input_iterator_tIbPhNS6_6detail10functional5actorINSH_9compositeIJNSH_27transparent_binary_operatorINS6_8equal_toIvEEEENSI_INSH_8argumentILj0EEEEENSH_5valueIhEEEEEEEEENSD_19counting_iterator_tIlEES8_S8_S8_S8_S8_S8_S8_S8_EEEEPS9_S9_NSD_9__find_if7functorIS9_EEEE10hipError_tPvRmT1_T2_T3_mT4_P12ihipStream_tbEUlT_E1_NS1_11comp_targetILNS1_3genE0ELNS1_11target_archE4294967295ELNS1_3gpuE0ELNS1_3repE0EEENS1_30default_config_static_selectorELNS0_4arch9wavefront6targetE1EEEvS17_.numbered_sgpr, 0
	.set _ZN7rocprim17ROCPRIM_400000_NS6detail17trampoline_kernelINS0_14default_configENS1_22reduce_config_selectorIN6thrust23THRUST_200600_302600_NS5tupleIblNS6_9null_typeES8_S8_S8_S8_S8_S8_S8_EEEEZNS1_11reduce_implILb1ES3_NS6_12zip_iteratorINS7_INS6_11hip_rocprim26transform_input_iterator_tIbPhNS6_6detail10functional5actorINSH_9compositeIJNSH_27transparent_binary_operatorINS6_8equal_toIvEEEENSI_INSH_8argumentILj0EEEEENSH_5valueIhEEEEEEEEENSD_19counting_iterator_tIlEES8_S8_S8_S8_S8_S8_S8_S8_EEEEPS9_S9_NSD_9__find_if7functorIS9_EEEE10hipError_tPvRmT1_T2_T3_mT4_P12ihipStream_tbEUlT_E1_NS1_11comp_targetILNS1_3genE0ELNS1_11target_archE4294967295ELNS1_3gpuE0ELNS1_3repE0EEENS1_30default_config_static_selectorELNS0_4arch9wavefront6targetE1EEEvS17_.num_named_barrier, 0
	.set _ZN7rocprim17ROCPRIM_400000_NS6detail17trampoline_kernelINS0_14default_configENS1_22reduce_config_selectorIN6thrust23THRUST_200600_302600_NS5tupleIblNS6_9null_typeES8_S8_S8_S8_S8_S8_S8_EEEEZNS1_11reduce_implILb1ES3_NS6_12zip_iteratorINS7_INS6_11hip_rocprim26transform_input_iterator_tIbPhNS6_6detail10functional5actorINSH_9compositeIJNSH_27transparent_binary_operatorINS6_8equal_toIvEEEENSI_INSH_8argumentILj0EEEEENSH_5valueIhEEEEEEEEENSD_19counting_iterator_tIlEES8_S8_S8_S8_S8_S8_S8_S8_EEEEPS9_S9_NSD_9__find_if7functorIS9_EEEE10hipError_tPvRmT1_T2_T3_mT4_P12ihipStream_tbEUlT_E1_NS1_11comp_targetILNS1_3genE0ELNS1_11target_archE4294967295ELNS1_3gpuE0ELNS1_3repE0EEENS1_30default_config_static_selectorELNS0_4arch9wavefront6targetE1EEEvS17_.private_seg_size, 0
	.set _ZN7rocprim17ROCPRIM_400000_NS6detail17trampoline_kernelINS0_14default_configENS1_22reduce_config_selectorIN6thrust23THRUST_200600_302600_NS5tupleIblNS6_9null_typeES8_S8_S8_S8_S8_S8_S8_EEEEZNS1_11reduce_implILb1ES3_NS6_12zip_iteratorINS7_INS6_11hip_rocprim26transform_input_iterator_tIbPhNS6_6detail10functional5actorINSH_9compositeIJNSH_27transparent_binary_operatorINS6_8equal_toIvEEEENSI_INSH_8argumentILj0EEEEENSH_5valueIhEEEEEEEEENSD_19counting_iterator_tIlEES8_S8_S8_S8_S8_S8_S8_S8_EEEEPS9_S9_NSD_9__find_if7functorIS9_EEEE10hipError_tPvRmT1_T2_T3_mT4_P12ihipStream_tbEUlT_E1_NS1_11comp_targetILNS1_3genE0ELNS1_11target_archE4294967295ELNS1_3gpuE0ELNS1_3repE0EEENS1_30default_config_static_selectorELNS0_4arch9wavefront6targetE1EEEvS17_.uses_vcc, 0
	.set _ZN7rocprim17ROCPRIM_400000_NS6detail17trampoline_kernelINS0_14default_configENS1_22reduce_config_selectorIN6thrust23THRUST_200600_302600_NS5tupleIblNS6_9null_typeES8_S8_S8_S8_S8_S8_S8_EEEEZNS1_11reduce_implILb1ES3_NS6_12zip_iteratorINS7_INS6_11hip_rocprim26transform_input_iterator_tIbPhNS6_6detail10functional5actorINSH_9compositeIJNSH_27transparent_binary_operatorINS6_8equal_toIvEEEENSI_INSH_8argumentILj0EEEEENSH_5valueIhEEEEEEEEENSD_19counting_iterator_tIlEES8_S8_S8_S8_S8_S8_S8_S8_EEEEPS9_S9_NSD_9__find_if7functorIS9_EEEE10hipError_tPvRmT1_T2_T3_mT4_P12ihipStream_tbEUlT_E1_NS1_11comp_targetILNS1_3genE0ELNS1_11target_archE4294967295ELNS1_3gpuE0ELNS1_3repE0EEENS1_30default_config_static_selectorELNS0_4arch9wavefront6targetE1EEEvS17_.uses_flat_scratch, 0
	.set _ZN7rocprim17ROCPRIM_400000_NS6detail17trampoline_kernelINS0_14default_configENS1_22reduce_config_selectorIN6thrust23THRUST_200600_302600_NS5tupleIblNS6_9null_typeES8_S8_S8_S8_S8_S8_S8_EEEEZNS1_11reduce_implILb1ES3_NS6_12zip_iteratorINS7_INS6_11hip_rocprim26transform_input_iterator_tIbPhNS6_6detail10functional5actorINSH_9compositeIJNSH_27transparent_binary_operatorINS6_8equal_toIvEEEENSI_INSH_8argumentILj0EEEEENSH_5valueIhEEEEEEEEENSD_19counting_iterator_tIlEES8_S8_S8_S8_S8_S8_S8_S8_EEEEPS9_S9_NSD_9__find_if7functorIS9_EEEE10hipError_tPvRmT1_T2_T3_mT4_P12ihipStream_tbEUlT_E1_NS1_11comp_targetILNS1_3genE0ELNS1_11target_archE4294967295ELNS1_3gpuE0ELNS1_3repE0EEENS1_30default_config_static_selectorELNS0_4arch9wavefront6targetE1EEEvS17_.has_dyn_sized_stack, 0
	.set _ZN7rocprim17ROCPRIM_400000_NS6detail17trampoline_kernelINS0_14default_configENS1_22reduce_config_selectorIN6thrust23THRUST_200600_302600_NS5tupleIblNS6_9null_typeES8_S8_S8_S8_S8_S8_S8_EEEEZNS1_11reduce_implILb1ES3_NS6_12zip_iteratorINS7_INS6_11hip_rocprim26transform_input_iterator_tIbPhNS6_6detail10functional5actorINSH_9compositeIJNSH_27transparent_binary_operatorINS6_8equal_toIvEEEENSI_INSH_8argumentILj0EEEEENSH_5valueIhEEEEEEEEENSD_19counting_iterator_tIlEES8_S8_S8_S8_S8_S8_S8_S8_EEEEPS9_S9_NSD_9__find_if7functorIS9_EEEE10hipError_tPvRmT1_T2_T3_mT4_P12ihipStream_tbEUlT_E1_NS1_11comp_targetILNS1_3genE0ELNS1_11target_archE4294967295ELNS1_3gpuE0ELNS1_3repE0EEENS1_30default_config_static_selectorELNS0_4arch9wavefront6targetE1EEEvS17_.has_recursion, 0
	.set _ZN7rocprim17ROCPRIM_400000_NS6detail17trampoline_kernelINS0_14default_configENS1_22reduce_config_selectorIN6thrust23THRUST_200600_302600_NS5tupleIblNS6_9null_typeES8_S8_S8_S8_S8_S8_S8_EEEEZNS1_11reduce_implILb1ES3_NS6_12zip_iteratorINS7_INS6_11hip_rocprim26transform_input_iterator_tIbPhNS6_6detail10functional5actorINSH_9compositeIJNSH_27transparent_binary_operatorINS6_8equal_toIvEEEENSI_INSH_8argumentILj0EEEEENSH_5valueIhEEEEEEEEENSD_19counting_iterator_tIlEES8_S8_S8_S8_S8_S8_S8_S8_EEEEPS9_S9_NSD_9__find_if7functorIS9_EEEE10hipError_tPvRmT1_T2_T3_mT4_P12ihipStream_tbEUlT_E1_NS1_11comp_targetILNS1_3genE0ELNS1_11target_archE4294967295ELNS1_3gpuE0ELNS1_3repE0EEENS1_30default_config_static_selectorELNS0_4arch9wavefront6targetE1EEEvS17_.has_indirect_call, 0
	.section	.AMDGPU.csdata,"",@progbits
; Kernel info:
; codeLenInByte = 0
; TotalNumSgprs: 4
; NumVgprs: 0
; ScratchSize: 0
; MemoryBound: 0
; FloatMode: 240
; IeeeMode: 1
; LDSByteSize: 0 bytes/workgroup (compile time only)
; SGPRBlocks: 0
; VGPRBlocks: 0
; NumSGPRsForWavesPerEU: 4
; NumVGPRsForWavesPerEU: 1
; Occupancy: 10
; WaveLimiterHint : 0
; COMPUTE_PGM_RSRC2:SCRATCH_EN: 0
; COMPUTE_PGM_RSRC2:USER_SGPR: 6
; COMPUTE_PGM_RSRC2:TRAP_HANDLER: 0
; COMPUTE_PGM_RSRC2:TGID_X_EN: 1
; COMPUTE_PGM_RSRC2:TGID_Y_EN: 0
; COMPUTE_PGM_RSRC2:TGID_Z_EN: 0
; COMPUTE_PGM_RSRC2:TIDIG_COMP_CNT: 0
	.section	.text._ZN7rocprim17ROCPRIM_400000_NS6detail17trampoline_kernelINS0_14default_configENS1_22reduce_config_selectorIN6thrust23THRUST_200600_302600_NS5tupleIblNS6_9null_typeES8_S8_S8_S8_S8_S8_S8_EEEEZNS1_11reduce_implILb1ES3_NS6_12zip_iteratorINS7_INS6_11hip_rocprim26transform_input_iterator_tIbPhNS6_6detail10functional5actorINSH_9compositeIJNSH_27transparent_binary_operatorINS6_8equal_toIvEEEENSI_INSH_8argumentILj0EEEEENSH_5valueIhEEEEEEEEENSD_19counting_iterator_tIlEES8_S8_S8_S8_S8_S8_S8_S8_EEEEPS9_S9_NSD_9__find_if7functorIS9_EEEE10hipError_tPvRmT1_T2_T3_mT4_P12ihipStream_tbEUlT_E1_NS1_11comp_targetILNS1_3genE5ELNS1_11target_archE942ELNS1_3gpuE9ELNS1_3repE0EEENS1_30default_config_static_selectorELNS0_4arch9wavefront6targetE1EEEvS17_,"axG",@progbits,_ZN7rocprim17ROCPRIM_400000_NS6detail17trampoline_kernelINS0_14default_configENS1_22reduce_config_selectorIN6thrust23THRUST_200600_302600_NS5tupleIblNS6_9null_typeES8_S8_S8_S8_S8_S8_S8_EEEEZNS1_11reduce_implILb1ES3_NS6_12zip_iteratorINS7_INS6_11hip_rocprim26transform_input_iterator_tIbPhNS6_6detail10functional5actorINSH_9compositeIJNSH_27transparent_binary_operatorINS6_8equal_toIvEEEENSI_INSH_8argumentILj0EEEEENSH_5valueIhEEEEEEEEENSD_19counting_iterator_tIlEES8_S8_S8_S8_S8_S8_S8_S8_EEEEPS9_S9_NSD_9__find_if7functorIS9_EEEE10hipError_tPvRmT1_T2_T3_mT4_P12ihipStream_tbEUlT_E1_NS1_11comp_targetILNS1_3genE5ELNS1_11target_archE942ELNS1_3gpuE9ELNS1_3repE0EEENS1_30default_config_static_selectorELNS0_4arch9wavefront6targetE1EEEvS17_,comdat
	.protected	_ZN7rocprim17ROCPRIM_400000_NS6detail17trampoline_kernelINS0_14default_configENS1_22reduce_config_selectorIN6thrust23THRUST_200600_302600_NS5tupleIblNS6_9null_typeES8_S8_S8_S8_S8_S8_S8_EEEEZNS1_11reduce_implILb1ES3_NS6_12zip_iteratorINS7_INS6_11hip_rocprim26transform_input_iterator_tIbPhNS6_6detail10functional5actorINSH_9compositeIJNSH_27transparent_binary_operatorINS6_8equal_toIvEEEENSI_INSH_8argumentILj0EEEEENSH_5valueIhEEEEEEEEENSD_19counting_iterator_tIlEES8_S8_S8_S8_S8_S8_S8_S8_EEEEPS9_S9_NSD_9__find_if7functorIS9_EEEE10hipError_tPvRmT1_T2_T3_mT4_P12ihipStream_tbEUlT_E1_NS1_11comp_targetILNS1_3genE5ELNS1_11target_archE942ELNS1_3gpuE9ELNS1_3repE0EEENS1_30default_config_static_selectorELNS0_4arch9wavefront6targetE1EEEvS17_ ; -- Begin function _ZN7rocprim17ROCPRIM_400000_NS6detail17trampoline_kernelINS0_14default_configENS1_22reduce_config_selectorIN6thrust23THRUST_200600_302600_NS5tupleIblNS6_9null_typeES8_S8_S8_S8_S8_S8_S8_EEEEZNS1_11reduce_implILb1ES3_NS6_12zip_iteratorINS7_INS6_11hip_rocprim26transform_input_iterator_tIbPhNS6_6detail10functional5actorINSH_9compositeIJNSH_27transparent_binary_operatorINS6_8equal_toIvEEEENSI_INSH_8argumentILj0EEEEENSH_5valueIhEEEEEEEEENSD_19counting_iterator_tIlEES8_S8_S8_S8_S8_S8_S8_S8_EEEEPS9_S9_NSD_9__find_if7functorIS9_EEEE10hipError_tPvRmT1_T2_T3_mT4_P12ihipStream_tbEUlT_E1_NS1_11comp_targetILNS1_3genE5ELNS1_11target_archE942ELNS1_3gpuE9ELNS1_3repE0EEENS1_30default_config_static_selectorELNS0_4arch9wavefront6targetE1EEEvS17_
	.globl	_ZN7rocprim17ROCPRIM_400000_NS6detail17trampoline_kernelINS0_14default_configENS1_22reduce_config_selectorIN6thrust23THRUST_200600_302600_NS5tupleIblNS6_9null_typeES8_S8_S8_S8_S8_S8_S8_EEEEZNS1_11reduce_implILb1ES3_NS6_12zip_iteratorINS7_INS6_11hip_rocprim26transform_input_iterator_tIbPhNS6_6detail10functional5actorINSH_9compositeIJNSH_27transparent_binary_operatorINS6_8equal_toIvEEEENSI_INSH_8argumentILj0EEEEENSH_5valueIhEEEEEEEEENSD_19counting_iterator_tIlEES8_S8_S8_S8_S8_S8_S8_S8_EEEEPS9_S9_NSD_9__find_if7functorIS9_EEEE10hipError_tPvRmT1_T2_T3_mT4_P12ihipStream_tbEUlT_E1_NS1_11comp_targetILNS1_3genE5ELNS1_11target_archE942ELNS1_3gpuE9ELNS1_3repE0EEENS1_30default_config_static_selectorELNS0_4arch9wavefront6targetE1EEEvS17_
	.p2align	8
	.type	_ZN7rocprim17ROCPRIM_400000_NS6detail17trampoline_kernelINS0_14default_configENS1_22reduce_config_selectorIN6thrust23THRUST_200600_302600_NS5tupleIblNS6_9null_typeES8_S8_S8_S8_S8_S8_S8_EEEEZNS1_11reduce_implILb1ES3_NS6_12zip_iteratorINS7_INS6_11hip_rocprim26transform_input_iterator_tIbPhNS6_6detail10functional5actorINSH_9compositeIJNSH_27transparent_binary_operatorINS6_8equal_toIvEEEENSI_INSH_8argumentILj0EEEEENSH_5valueIhEEEEEEEEENSD_19counting_iterator_tIlEES8_S8_S8_S8_S8_S8_S8_S8_EEEEPS9_S9_NSD_9__find_if7functorIS9_EEEE10hipError_tPvRmT1_T2_T3_mT4_P12ihipStream_tbEUlT_E1_NS1_11comp_targetILNS1_3genE5ELNS1_11target_archE942ELNS1_3gpuE9ELNS1_3repE0EEENS1_30default_config_static_selectorELNS0_4arch9wavefront6targetE1EEEvS17_,@function
_ZN7rocprim17ROCPRIM_400000_NS6detail17trampoline_kernelINS0_14default_configENS1_22reduce_config_selectorIN6thrust23THRUST_200600_302600_NS5tupleIblNS6_9null_typeES8_S8_S8_S8_S8_S8_S8_EEEEZNS1_11reduce_implILb1ES3_NS6_12zip_iteratorINS7_INS6_11hip_rocprim26transform_input_iterator_tIbPhNS6_6detail10functional5actorINSH_9compositeIJNSH_27transparent_binary_operatorINS6_8equal_toIvEEEENSI_INSH_8argumentILj0EEEEENSH_5valueIhEEEEEEEEENSD_19counting_iterator_tIlEES8_S8_S8_S8_S8_S8_S8_S8_EEEEPS9_S9_NSD_9__find_if7functorIS9_EEEE10hipError_tPvRmT1_T2_T3_mT4_P12ihipStream_tbEUlT_E1_NS1_11comp_targetILNS1_3genE5ELNS1_11target_archE942ELNS1_3gpuE9ELNS1_3repE0EEENS1_30default_config_static_selectorELNS0_4arch9wavefront6targetE1EEEvS17_: ; @_ZN7rocprim17ROCPRIM_400000_NS6detail17trampoline_kernelINS0_14default_configENS1_22reduce_config_selectorIN6thrust23THRUST_200600_302600_NS5tupleIblNS6_9null_typeES8_S8_S8_S8_S8_S8_S8_EEEEZNS1_11reduce_implILb1ES3_NS6_12zip_iteratorINS7_INS6_11hip_rocprim26transform_input_iterator_tIbPhNS6_6detail10functional5actorINSH_9compositeIJNSH_27transparent_binary_operatorINS6_8equal_toIvEEEENSI_INSH_8argumentILj0EEEEENSH_5valueIhEEEEEEEEENSD_19counting_iterator_tIlEES8_S8_S8_S8_S8_S8_S8_S8_EEEEPS9_S9_NSD_9__find_if7functorIS9_EEEE10hipError_tPvRmT1_T2_T3_mT4_P12ihipStream_tbEUlT_E1_NS1_11comp_targetILNS1_3genE5ELNS1_11target_archE942ELNS1_3gpuE9ELNS1_3repE0EEENS1_30default_config_static_selectorELNS0_4arch9wavefront6targetE1EEEvS17_
; %bb.0:
	.section	.rodata,"a",@progbits
	.p2align	6, 0x0
	.amdhsa_kernel _ZN7rocprim17ROCPRIM_400000_NS6detail17trampoline_kernelINS0_14default_configENS1_22reduce_config_selectorIN6thrust23THRUST_200600_302600_NS5tupleIblNS6_9null_typeES8_S8_S8_S8_S8_S8_S8_EEEEZNS1_11reduce_implILb1ES3_NS6_12zip_iteratorINS7_INS6_11hip_rocprim26transform_input_iterator_tIbPhNS6_6detail10functional5actorINSH_9compositeIJNSH_27transparent_binary_operatorINS6_8equal_toIvEEEENSI_INSH_8argumentILj0EEEEENSH_5valueIhEEEEEEEEENSD_19counting_iterator_tIlEES8_S8_S8_S8_S8_S8_S8_S8_EEEEPS9_S9_NSD_9__find_if7functorIS9_EEEE10hipError_tPvRmT1_T2_T3_mT4_P12ihipStream_tbEUlT_E1_NS1_11comp_targetILNS1_3genE5ELNS1_11target_archE942ELNS1_3gpuE9ELNS1_3repE0EEENS1_30default_config_static_selectorELNS0_4arch9wavefront6targetE1EEEvS17_
		.amdhsa_group_segment_fixed_size 0
		.amdhsa_private_segment_fixed_size 0
		.amdhsa_kernarg_size 72
		.amdhsa_user_sgpr_count 6
		.amdhsa_user_sgpr_private_segment_buffer 1
		.amdhsa_user_sgpr_dispatch_ptr 0
		.amdhsa_user_sgpr_queue_ptr 0
		.amdhsa_user_sgpr_kernarg_segment_ptr 1
		.amdhsa_user_sgpr_dispatch_id 0
		.amdhsa_user_sgpr_flat_scratch_init 0
		.amdhsa_user_sgpr_private_segment_size 0
		.amdhsa_uses_dynamic_stack 0
		.amdhsa_system_sgpr_private_segment_wavefront_offset 0
		.amdhsa_system_sgpr_workgroup_id_x 1
		.amdhsa_system_sgpr_workgroup_id_y 0
		.amdhsa_system_sgpr_workgroup_id_z 0
		.amdhsa_system_sgpr_workgroup_info 0
		.amdhsa_system_vgpr_workitem_id 0
		.amdhsa_next_free_vgpr 1
		.amdhsa_next_free_sgpr 0
		.amdhsa_reserve_vcc 0
		.amdhsa_reserve_flat_scratch 0
		.amdhsa_float_round_mode_32 0
		.amdhsa_float_round_mode_16_64 0
		.amdhsa_float_denorm_mode_32 3
		.amdhsa_float_denorm_mode_16_64 3
		.amdhsa_dx10_clamp 1
		.amdhsa_ieee_mode 1
		.amdhsa_fp16_overflow 0
		.amdhsa_exception_fp_ieee_invalid_op 0
		.amdhsa_exception_fp_denorm_src 0
		.amdhsa_exception_fp_ieee_div_zero 0
		.amdhsa_exception_fp_ieee_overflow 0
		.amdhsa_exception_fp_ieee_underflow 0
		.amdhsa_exception_fp_ieee_inexact 0
		.amdhsa_exception_int_div_zero 0
	.end_amdhsa_kernel
	.section	.text._ZN7rocprim17ROCPRIM_400000_NS6detail17trampoline_kernelINS0_14default_configENS1_22reduce_config_selectorIN6thrust23THRUST_200600_302600_NS5tupleIblNS6_9null_typeES8_S8_S8_S8_S8_S8_S8_EEEEZNS1_11reduce_implILb1ES3_NS6_12zip_iteratorINS7_INS6_11hip_rocprim26transform_input_iterator_tIbPhNS6_6detail10functional5actorINSH_9compositeIJNSH_27transparent_binary_operatorINS6_8equal_toIvEEEENSI_INSH_8argumentILj0EEEEENSH_5valueIhEEEEEEEEENSD_19counting_iterator_tIlEES8_S8_S8_S8_S8_S8_S8_S8_EEEEPS9_S9_NSD_9__find_if7functorIS9_EEEE10hipError_tPvRmT1_T2_T3_mT4_P12ihipStream_tbEUlT_E1_NS1_11comp_targetILNS1_3genE5ELNS1_11target_archE942ELNS1_3gpuE9ELNS1_3repE0EEENS1_30default_config_static_selectorELNS0_4arch9wavefront6targetE1EEEvS17_,"axG",@progbits,_ZN7rocprim17ROCPRIM_400000_NS6detail17trampoline_kernelINS0_14default_configENS1_22reduce_config_selectorIN6thrust23THRUST_200600_302600_NS5tupleIblNS6_9null_typeES8_S8_S8_S8_S8_S8_S8_EEEEZNS1_11reduce_implILb1ES3_NS6_12zip_iteratorINS7_INS6_11hip_rocprim26transform_input_iterator_tIbPhNS6_6detail10functional5actorINSH_9compositeIJNSH_27transparent_binary_operatorINS6_8equal_toIvEEEENSI_INSH_8argumentILj0EEEEENSH_5valueIhEEEEEEEEENSD_19counting_iterator_tIlEES8_S8_S8_S8_S8_S8_S8_S8_EEEEPS9_S9_NSD_9__find_if7functorIS9_EEEE10hipError_tPvRmT1_T2_T3_mT4_P12ihipStream_tbEUlT_E1_NS1_11comp_targetILNS1_3genE5ELNS1_11target_archE942ELNS1_3gpuE9ELNS1_3repE0EEENS1_30default_config_static_selectorELNS0_4arch9wavefront6targetE1EEEvS17_,comdat
.Lfunc_end452:
	.size	_ZN7rocprim17ROCPRIM_400000_NS6detail17trampoline_kernelINS0_14default_configENS1_22reduce_config_selectorIN6thrust23THRUST_200600_302600_NS5tupleIblNS6_9null_typeES8_S8_S8_S8_S8_S8_S8_EEEEZNS1_11reduce_implILb1ES3_NS6_12zip_iteratorINS7_INS6_11hip_rocprim26transform_input_iterator_tIbPhNS6_6detail10functional5actorINSH_9compositeIJNSH_27transparent_binary_operatorINS6_8equal_toIvEEEENSI_INSH_8argumentILj0EEEEENSH_5valueIhEEEEEEEEENSD_19counting_iterator_tIlEES8_S8_S8_S8_S8_S8_S8_S8_EEEEPS9_S9_NSD_9__find_if7functorIS9_EEEE10hipError_tPvRmT1_T2_T3_mT4_P12ihipStream_tbEUlT_E1_NS1_11comp_targetILNS1_3genE5ELNS1_11target_archE942ELNS1_3gpuE9ELNS1_3repE0EEENS1_30default_config_static_selectorELNS0_4arch9wavefront6targetE1EEEvS17_, .Lfunc_end452-_ZN7rocprim17ROCPRIM_400000_NS6detail17trampoline_kernelINS0_14default_configENS1_22reduce_config_selectorIN6thrust23THRUST_200600_302600_NS5tupleIblNS6_9null_typeES8_S8_S8_S8_S8_S8_S8_EEEEZNS1_11reduce_implILb1ES3_NS6_12zip_iteratorINS7_INS6_11hip_rocprim26transform_input_iterator_tIbPhNS6_6detail10functional5actorINSH_9compositeIJNSH_27transparent_binary_operatorINS6_8equal_toIvEEEENSI_INSH_8argumentILj0EEEEENSH_5valueIhEEEEEEEEENSD_19counting_iterator_tIlEES8_S8_S8_S8_S8_S8_S8_S8_EEEEPS9_S9_NSD_9__find_if7functorIS9_EEEE10hipError_tPvRmT1_T2_T3_mT4_P12ihipStream_tbEUlT_E1_NS1_11comp_targetILNS1_3genE5ELNS1_11target_archE942ELNS1_3gpuE9ELNS1_3repE0EEENS1_30default_config_static_selectorELNS0_4arch9wavefront6targetE1EEEvS17_
                                        ; -- End function
	.set _ZN7rocprim17ROCPRIM_400000_NS6detail17trampoline_kernelINS0_14default_configENS1_22reduce_config_selectorIN6thrust23THRUST_200600_302600_NS5tupleIblNS6_9null_typeES8_S8_S8_S8_S8_S8_S8_EEEEZNS1_11reduce_implILb1ES3_NS6_12zip_iteratorINS7_INS6_11hip_rocprim26transform_input_iterator_tIbPhNS6_6detail10functional5actorINSH_9compositeIJNSH_27transparent_binary_operatorINS6_8equal_toIvEEEENSI_INSH_8argumentILj0EEEEENSH_5valueIhEEEEEEEEENSD_19counting_iterator_tIlEES8_S8_S8_S8_S8_S8_S8_S8_EEEEPS9_S9_NSD_9__find_if7functorIS9_EEEE10hipError_tPvRmT1_T2_T3_mT4_P12ihipStream_tbEUlT_E1_NS1_11comp_targetILNS1_3genE5ELNS1_11target_archE942ELNS1_3gpuE9ELNS1_3repE0EEENS1_30default_config_static_selectorELNS0_4arch9wavefront6targetE1EEEvS17_.num_vgpr, 0
	.set _ZN7rocprim17ROCPRIM_400000_NS6detail17trampoline_kernelINS0_14default_configENS1_22reduce_config_selectorIN6thrust23THRUST_200600_302600_NS5tupleIblNS6_9null_typeES8_S8_S8_S8_S8_S8_S8_EEEEZNS1_11reduce_implILb1ES3_NS6_12zip_iteratorINS7_INS6_11hip_rocprim26transform_input_iterator_tIbPhNS6_6detail10functional5actorINSH_9compositeIJNSH_27transparent_binary_operatorINS6_8equal_toIvEEEENSI_INSH_8argumentILj0EEEEENSH_5valueIhEEEEEEEEENSD_19counting_iterator_tIlEES8_S8_S8_S8_S8_S8_S8_S8_EEEEPS9_S9_NSD_9__find_if7functorIS9_EEEE10hipError_tPvRmT1_T2_T3_mT4_P12ihipStream_tbEUlT_E1_NS1_11comp_targetILNS1_3genE5ELNS1_11target_archE942ELNS1_3gpuE9ELNS1_3repE0EEENS1_30default_config_static_selectorELNS0_4arch9wavefront6targetE1EEEvS17_.num_agpr, 0
	.set _ZN7rocprim17ROCPRIM_400000_NS6detail17trampoline_kernelINS0_14default_configENS1_22reduce_config_selectorIN6thrust23THRUST_200600_302600_NS5tupleIblNS6_9null_typeES8_S8_S8_S8_S8_S8_S8_EEEEZNS1_11reduce_implILb1ES3_NS6_12zip_iteratorINS7_INS6_11hip_rocprim26transform_input_iterator_tIbPhNS6_6detail10functional5actorINSH_9compositeIJNSH_27transparent_binary_operatorINS6_8equal_toIvEEEENSI_INSH_8argumentILj0EEEEENSH_5valueIhEEEEEEEEENSD_19counting_iterator_tIlEES8_S8_S8_S8_S8_S8_S8_S8_EEEEPS9_S9_NSD_9__find_if7functorIS9_EEEE10hipError_tPvRmT1_T2_T3_mT4_P12ihipStream_tbEUlT_E1_NS1_11comp_targetILNS1_3genE5ELNS1_11target_archE942ELNS1_3gpuE9ELNS1_3repE0EEENS1_30default_config_static_selectorELNS0_4arch9wavefront6targetE1EEEvS17_.numbered_sgpr, 0
	.set _ZN7rocprim17ROCPRIM_400000_NS6detail17trampoline_kernelINS0_14default_configENS1_22reduce_config_selectorIN6thrust23THRUST_200600_302600_NS5tupleIblNS6_9null_typeES8_S8_S8_S8_S8_S8_S8_EEEEZNS1_11reduce_implILb1ES3_NS6_12zip_iteratorINS7_INS6_11hip_rocprim26transform_input_iterator_tIbPhNS6_6detail10functional5actorINSH_9compositeIJNSH_27transparent_binary_operatorINS6_8equal_toIvEEEENSI_INSH_8argumentILj0EEEEENSH_5valueIhEEEEEEEEENSD_19counting_iterator_tIlEES8_S8_S8_S8_S8_S8_S8_S8_EEEEPS9_S9_NSD_9__find_if7functorIS9_EEEE10hipError_tPvRmT1_T2_T3_mT4_P12ihipStream_tbEUlT_E1_NS1_11comp_targetILNS1_3genE5ELNS1_11target_archE942ELNS1_3gpuE9ELNS1_3repE0EEENS1_30default_config_static_selectorELNS0_4arch9wavefront6targetE1EEEvS17_.num_named_barrier, 0
	.set _ZN7rocprim17ROCPRIM_400000_NS6detail17trampoline_kernelINS0_14default_configENS1_22reduce_config_selectorIN6thrust23THRUST_200600_302600_NS5tupleIblNS6_9null_typeES8_S8_S8_S8_S8_S8_S8_EEEEZNS1_11reduce_implILb1ES3_NS6_12zip_iteratorINS7_INS6_11hip_rocprim26transform_input_iterator_tIbPhNS6_6detail10functional5actorINSH_9compositeIJNSH_27transparent_binary_operatorINS6_8equal_toIvEEEENSI_INSH_8argumentILj0EEEEENSH_5valueIhEEEEEEEEENSD_19counting_iterator_tIlEES8_S8_S8_S8_S8_S8_S8_S8_EEEEPS9_S9_NSD_9__find_if7functorIS9_EEEE10hipError_tPvRmT1_T2_T3_mT4_P12ihipStream_tbEUlT_E1_NS1_11comp_targetILNS1_3genE5ELNS1_11target_archE942ELNS1_3gpuE9ELNS1_3repE0EEENS1_30default_config_static_selectorELNS0_4arch9wavefront6targetE1EEEvS17_.private_seg_size, 0
	.set _ZN7rocprim17ROCPRIM_400000_NS6detail17trampoline_kernelINS0_14default_configENS1_22reduce_config_selectorIN6thrust23THRUST_200600_302600_NS5tupleIblNS6_9null_typeES8_S8_S8_S8_S8_S8_S8_EEEEZNS1_11reduce_implILb1ES3_NS6_12zip_iteratorINS7_INS6_11hip_rocprim26transform_input_iterator_tIbPhNS6_6detail10functional5actorINSH_9compositeIJNSH_27transparent_binary_operatorINS6_8equal_toIvEEEENSI_INSH_8argumentILj0EEEEENSH_5valueIhEEEEEEEEENSD_19counting_iterator_tIlEES8_S8_S8_S8_S8_S8_S8_S8_EEEEPS9_S9_NSD_9__find_if7functorIS9_EEEE10hipError_tPvRmT1_T2_T3_mT4_P12ihipStream_tbEUlT_E1_NS1_11comp_targetILNS1_3genE5ELNS1_11target_archE942ELNS1_3gpuE9ELNS1_3repE0EEENS1_30default_config_static_selectorELNS0_4arch9wavefront6targetE1EEEvS17_.uses_vcc, 0
	.set _ZN7rocprim17ROCPRIM_400000_NS6detail17trampoline_kernelINS0_14default_configENS1_22reduce_config_selectorIN6thrust23THRUST_200600_302600_NS5tupleIblNS6_9null_typeES8_S8_S8_S8_S8_S8_S8_EEEEZNS1_11reduce_implILb1ES3_NS6_12zip_iteratorINS7_INS6_11hip_rocprim26transform_input_iterator_tIbPhNS6_6detail10functional5actorINSH_9compositeIJNSH_27transparent_binary_operatorINS6_8equal_toIvEEEENSI_INSH_8argumentILj0EEEEENSH_5valueIhEEEEEEEEENSD_19counting_iterator_tIlEES8_S8_S8_S8_S8_S8_S8_S8_EEEEPS9_S9_NSD_9__find_if7functorIS9_EEEE10hipError_tPvRmT1_T2_T3_mT4_P12ihipStream_tbEUlT_E1_NS1_11comp_targetILNS1_3genE5ELNS1_11target_archE942ELNS1_3gpuE9ELNS1_3repE0EEENS1_30default_config_static_selectorELNS0_4arch9wavefront6targetE1EEEvS17_.uses_flat_scratch, 0
	.set _ZN7rocprim17ROCPRIM_400000_NS6detail17trampoline_kernelINS0_14default_configENS1_22reduce_config_selectorIN6thrust23THRUST_200600_302600_NS5tupleIblNS6_9null_typeES8_S8_S8_S8_S8_S8_S8_EEEEZNS1_11reduce_implILb1ES3_NS6_12zip_iteratorINS7_INS6_11hip_rocprim26transform_input_iterator_tIbPhNS6_6detail10functional5actorINSH_9compositeIJNSH_27transparent_binary_operatorINS6_8equal_toIvEEEENSI_INSH_8argumentILj0EEEEENSH_5valueIhEEEEEEEEENSD_19counting_iterator_tIlEES8_S8_S8_S8_S8_S8_S8_S8_EEEEPS9_S9_NSD_9__find_if7functorIS9_EEEE10hipError_tPvRmT1_T2_T3_mT4_P12ihipStream_tbEUlT_E1_NS1_11comp_targetILNS1_3genE5ELNS1_11target_archE942ELNS1_3gpuE9ELNS1_3repE0EEENS1_30default_config_static_selectorELNS0_4arch9wavefront6targetE1EEEvS17_.has_dyn_sized_stack, 0
	.set _ZN7rocprim17ROCPRIM_400000_NS6detail17trampoline_kernelINS0_14default_configENS1_22reduce_config_selectorIN6thrust23THRUST_200600_302600_NS5tupleIblNS6_9null_typeES8_S8_S8_S8_S8_S8_S8_EEEEZNS1_11reduce_implILb1ES3_NS6_12zip_iteratorINS7_INS6_11hip_rocprim26transform_input_iterator_tIbPhNS6_6detail10functional5actorINSH_9compositeIJNSH_27transparent_binary_operatorINS6_8equal_toIvEEEENSI_INSH_8argumentILj0EEEEENSH_5valueIhEEEEEEEEENSD_19counting_iterator_tIlEES8_S8_S8_S8_S8_S8_S8_S8_EEEEPS9_S9_NSD_9__find_if7functorIS9_EEEE10hipError_tPvRmT1_T2_T3_mT4_P12ihipStream_tbEUlT_E1_NS1_11comp_targetILNS1_3genE5ELNS1_11target_archE942ELNS1_3gpuE9ELNS1_3repE0EEENS1_30default_config_static_selectorELNS0_4arch9wavefront6targetE1EEEvS17_.has_recursion, 0
	.set _ZN7rocprim17ROCPRIM_400000_NS6detail17trampoline_kernelINS0_14default_configENS1_22reduce_config_selectorIN6thrust23THRUST_200600_302600_NS5tupleIblNS6_9null_typeES8_S8_S8_S8_S8_S8_S8_EEEEZNS1_11reduce_implILb1ES3_NS6_12zip_iteratorINS7_INS6_11hip_rocprim26transform_input_iterator_tIbPhNS6_6detail10functional5actorINSH_9compositeIJNSH_27transparent_binary_operatorINS6_8equal_toIvEEEENSI_INSH_8argumentILj0EEEEENSH_5valueIhEEEEEEEEENSD_19counting_iterator_tIlEES8_S8_S8_S8_S8_S8_S8_S8_EEEEPS9_S9_NSD_9__find_if7functorIS9_EEEE10hipError_tPvRmT1_T2_T3_mT4_P12ihipStream_tbEUlT_E1_NS1_11comp_targetILNS1_3genE5ELNS1_11target_archE942ELNS1_3gpuE9ELNS1_3repE0EEENS1_30default_config_static_selectorELNS0_4arch9wavefront6targetE1EEEvS17_.has_indirect_call, 0
	.section	.AMDGPU.csdata,"",@progbits
; Kernel info:
; codeLenInByte = 0
; TotalNumSgprs: 4
; NumVgprs: 0
; ScratchSize: 0
; MemoryBound: 0
; FloatMode: 240
; IeeeMode: 1
; LDSByteSize: 0 bytes/workgroup (compile time only)
; SGPRBlocks: 0
; VGPRBlocks: 0
; NumSGPRsForWavesPerEU: 4
; NumVGPRsForWavesPerEU: 1
; Occupancy: 10
; WaveLimiterHint : 0
; COMPUTE_PGM_RSRC2:SCRATCH_EN: 0
; COMPUTE_PGM_RSRC2:USER_SGPR: 6
; COMPUTE_PGM_RSRC2:TRAP_HANDLER: 0
; COMPUTE_PGM_RSRC2:TGID_X_EN: 1
; COMPUTE_PGM_RSRC2:TGID_Y_EN: 0
; COMPUTE_PGM_RSRC2:TGID_Z_EN: 0
; COMPUTE_PGM_RSRC2:TIDIG_COMP_CNT: 0
	.section	.text._ZN7rocprim17ROCPRIM_400000_NS6detail17trampoline_kernelINS0_14default_configENS1_22reduce_config_selectorIN6thrust23THRUST_200600_302600_NS5tupleIblNS6_9null_typeES8_S8_S8_S8_S8_S8_S8_EEEEZNS1_11reduce_implILb1ES3_NS6_12zip_iteratorINS7_INS6_11hip_rocprim26transform_input_iterator_tIbPhNS6_6detail10functional5actorINSH_9compositeIJNSH_27transparent_binary_operatorINS6_8equal_toIvEEEENSI_INSH_8argumentILj0EEEEENSH_5valueIhEEEEEEEEENSD_19counting_iterator_tIlEES8_S8_S8_S8_S8_S8_S8_S8_EEEEPS9_S9_NSD_9__find_if7functorIS9_EEEE10hipError_tPvRmT1_T2_T3_mT4_P12ihipStream_tbEUlT_E1_NS1_11comp_targetILNS1_3genE4ELNS1_11target_archE910ELNS1_3gpuE8ELNS1_3repE0EEENS1_30default_config_static_selectorELNS0_4arch9wavefront6targetE1EEEvS17_,"axG",@progbits,_ZN7rocprim17ROCPRIM_400000_NS6detail17trampoline_kernelINS0_14default_configENS1_22reduce_config_selectorIN6thrust23THRUST_200600_302600_NS5tupleIblNS6_9null_typeES8_S8_S8_S8_S8_S8_S8_EEEEZNS1_11reduce_implILb1ES3_NS6_12zip_iteratorINS7_INS6_11hip_rocprim26transform_input_iterator_tIbPhNS6_6detail10functional5actorINSH_9compositeIJNSH_27transparent_binary_operatorINS6_8equal_toIvEEEENSI_INSH_8argumentILj0EEEEENSH_5valueIhEEEEEEEEENSD_19counting_iterator_tIlEES8_S8_S8_S8_S8_S8_S8_S8_EEEEPS9_S9_NSD_9__find_if7functorIS9_EEEE10hipError_tPvRmT1_T2_T3_mT4_P12ihipStream_tbEUlT_E1_NS1_11comp_targetILNS1_3genE4ELNS1_11target_archE910ELNS1_3gpuE8ELNS1_3repE0EEENS1_30default_config_static_selectorELNS0_4arch9wavefront6targetE1EEEvS17_,comdat
	.protected	_ZN7rocprim17ROCPRIM_400000_NS6detail17trampoline_kernelINS0_14default_configENS1_22reduce_config_selectorIN6thrust23THRUST_200600_302600_NS5tupleIblNS6_9null_typeES8_S8_S8_S8_S8_S8_S8_EEEEZNS1_11reduce_implILb1ES3_NS6_12zip_iteratorINS7_INS6_11hip_rocprim26transform_input_iterator_tIbPhNS6_6detail10functional5actorINSH_9compositeIJNSH_27transparent_binary_operatorINS6_8equal_toIvEEEENSI_INSH_8argumentILj0EEEEENSH_5valueIhEEEEEEEEENSD_19counting_iterator_tIlEES8_S8_S8_S8_S8_S8_S8_S8_EEEEPS9_S9_NSD_9__find_if7functorIS9_EEEE10hipError_tPvRmT1_T2_T3_mT4_P12ihipStream_tbEUlT_E1_NS1_11comp_targetILNS1_3genE4ELNS1_11target_archE910ELNS1_3gpuE8ELNS1_3repE0EEENS1_30default_config_static_selectorELNS0_4arch9wavefront6targetE1EEEvS17_ ; -- Begin function _ZN7rocprim17ROCPRIM_400000_NS6detail17trampoline_kernelINS0_14default_configENS1_22reduce_config_selectorIN6thrust23THRUST_200600_302600_NS5tupleIblNS6_9null_typeES8_S8_S8_S8_S8_S8_S8_EEEEZNS1_11reduce_implILb1ES3_NS6_12zip_iteratorINS7_INS6_11hip_rocprim26transform_input_iterator_tIbPhNS6_6detail10functional5actorINSH_9compositeIJNSH_27transparent_binary_operatorINS6_8equal_toIvEEEENSI_INSH_8argumentILj0EEEEENSH_5valueIhEEEEEEEEENSD_19counting_iterator_tIlEES8_S8_S8_S8_S8_S8_S8_S8_EEEEPS9_S9_NSD_9__find_if7functorIS9_EEEE10hipError_tPvRmT1_T2_T3_mT4_P12ihipStream_tbEUlT_E1_NS1_11comp_targetILNS1_3genE4ELNS1_11target_archE910ELNS1_3gpuE8ELNS1_3repE0EEENS1_30default_config_static_selectorELNS0_4arch9wavefront6targetE1EEEvS17_
	.globl	_ZN7rocprim17ROCPRIM_400000_NS6detail17trampoline_kernelINS0_14default_configENS1_22reduce_config_selectorIN6thrust23THRUST_200600_302600_NS5tupleIblNS6_9null_typeES8_S8_S8_S8_S8_S8_S8_EEEEZNS1_11reduce_implILb1ES3_NS6_12zip_iteratorINS7_INS6_11hip_rocprim26transform_input_iterator_tIbPhNS6_6detail10functional5actorINSH_9compositeIJNSH_27transparent_binary_operatorINS6_8equal_toIvEEEENSI_INSH_8argumentILj0EEEEENSH_5valueIhEEEEEEEEENSD_19counting_iterator_tIlEES8_S8_S8_S8_S8_S8_S8_S8_EEEEPS9_S9_NSD_9__find_if7functorIS9_EEEE10hipError_tPvRmT1_T2_T3_mT4_P12ihipStream_tbEUlT_E1_NS1_11comp_targetILNS1_3genE4ELNS1_11target_archE910ELNS1_3gpuE8ELNS1_3repE0EEENS1_30default_config_static_selectorELNS0_4arch9wavefront6targetE1EEEvS17_
	.p2align	8
	.type	_ZN7rocprim17ROCPRIM_400000_NS6detail17trampoline_kernelINS0_14default_configENS1_22reduce_config_selectorIN6thrust23THRUST_200600_302600_NS5tupleIblNS6_9null_typeES8_S8_S8_S8_S8_S8_S8_EEEEZNS1_11reduce_implILb1ES3_NS6_12zip_iteratorINS7_INS6_11hip_rocprim26transform_input_iterator_tIbPhNS6_6detail10functional5actorINSH_9compositeIJNSH_27transparent_binary_operatorINS6_8equal_toIvEEEENSI_INSH_8argumentILj0EEEEENSH_5valueIhEEEEEEEEENSD_19counting_iterator_tIlEES8_S8_S8_S8_S8_S8_S8_S8_EEEEPS9_S9_NSD_9__find_if7functorIS9_EEEE10hipError_tPvRmT1_T2_T3_mT4_P12ihipStream_tbEUlT_E1_NS1_11comp_targetILNS1_3genE4ELNS1_11target_archE910ELNS1_3gpuE8ELNS1_3repE0EEENS1_30default_config_static_selectorELNS0_4arch9wavefront6targetE1EEEvS17_,@function
_ZN7rocprim17ROCPRIM_400000_NS6detail17trampoline_kernelINS0_14default_configENS1_22reduce_config_selectorIN6thrust23THRUST_200600_302600_NS5tupleIblNS6_9null_typeES8_S8_S8_S8_S8_S8_S8_EEEEZNS1_11reduce_implILb1ES3_NS6_12zip_iteratorINS7_INS6_11hip_rocprim26transform_input_iterator_tIbPhNS6_6detail10functional5actorINSH_9compositeIJNSH_27transparent_binary_operatorINS6_8equal_toIvEEEENSI_INSH_8argumentILj0EEEEENSH_5valueIhEEEEEEEEENSD_19counting_iterator_tIlEES8_S8_S8_S8_S8_S8_S8_S8_EEEEPS9_S9_NSD_9__find_if7functorIS9_EEEE10hipError_tPvRmT1_T2_T3_mT4_P12ihipStream_tbEUlT_E1_NS1_11comp_targetILNS1_3genE4ELNS1_11target_archE910ELNS1_3gpuE8ELNS1_3repE0EEENS1_30default_config_static_selectorELNS0_4arch9wavefront6targetE1EEEvS17_: ; @_ZN7rocprim17ROCPRIM_400000_NS6detail17trampoline_kernelINS0_14default_configENS1_22reduce_config_selectorIN6thrust23THRUST_200600_302600_NS5tupleIblNS6_9null_typeES8_S8_S8_S8_S8_S8_S8_EEEEZNS1_11reduce_implILb1ES3_NS6_12zip_iteratorINS7_INS6_11hip_rocprim26transform_input_iterator_tIbPhNS6_6detail10functional5actorINSH_9compositeIJNSH_27transparent_binary_operatorINS6_8equal_toIvEEEENSI_INSH_8argumentILj0EEEEENSH_5valueIhEEEEEEEEENSD_19counting_iterator_tIlEES8_S8_S8_S8_S8_S8_S8_S8_EEEEPS9_S9_NSD_9__find_if7functorIS9_EEEE10hipError_tPvRmT1_T2_T3_mT4_P12ihipStream_tbEUlT_E1_NS1_11comp_targetILNS1_3genE4ELNS1_11target_archE910ELNS1_3gpuE8ELNS1_3repE0EEENS1_30default_config_static_selectorELNS0_4arch9wavefront6targetE1EEEvS17_
; %bb.0:
	.section	.rodata,"a",@progbits
	.p2align	6, 0x0
	.amdhsa_kernel _ZN7rocprim17ROCPRIM_400000_NS6detail17trampoline_kernelINS0_14default_configENS1_22reduce_config_selectorIN6thrust23THRUST_200600_302600_NS5tupleIblNS6_9null_typeES8_S8_S8_S8_S8_S8_S8_EEEEZNS1_11reduce_implILb1ES3_NS6_12zip_iteratorINS7_INS6_11hip_rocprim26transform_input_iterator_tIbPhNS6_6detail10functional5actorINSH_9compositeIJNSH_27transparent_binary_operatorINS6_8equal_toIvEEEENSI_INSH_8argumentILj0EEEEENSH_5valueIhEEEEEEEEENSD_19counting_iterator_tIlEES8_S8_S8_S8_S8_S8_S8_S8_EEEEPS9_S9_NSD_9__find_if7functorIS9_EEEE10hipError_tPvRmT1_T2_T3_mT4_P12ihipStream_tbEUlT_E1_NS1_11comp_targetILNS1_3genE4ELNS1_11target_archE910ELNS1_3gpuE8ELNS1_3repE0EEENS1_30default_config_static_selectorELNS0_4arch9wavefront6targetE1EEEvS17_
		.amdhsa_group_segment_fixed_size 0
		.amdhsa_private_segment_fixed_size 0
		.amdhsa_kernarg_size 72
		.amdhsa_user_sgpr_count 6
		.amdhsa_user_sgpr_private_segment_buffer 1
		.amdhsa_user_sgpr_dispatch_ptr 0
		.amdhsa_user_sgpr_queue_ptr 0
		.amdhsa_user_sgpr_kernarg_segment_ptr 1
		.amdhsa_user_sgpr_dispatch_id 0
		.amdhsa_user_sgpr_flat_scratch_init 0
		.amdhsa_user_sgpr_private_segment_size 0
		.amdhsa_uses_dynamic_stack 0
		.amdhsa_system_sgpr_private_segment_wavefront_offset 0
		.amdhsa_system_sgpr_workgroup_id_x 1
		.amdhsa_system_sgpr_workgroup_id_y 0
		.amdhsa_system_sgpr_workgroup_id_z 0
		.amdhsa_system_sgpr_workgroup_info 0
		.amdhsa_system_vgpr_workitem_id 0
		.amdhsa_next_free_vgpr 1
		.amdhsa_next_free_sgpr 0
		.amdhsa_reserve_vcc 0
		.amdhsa_reserve_flat_scratch 0
		.amdhsa_float_round_mode_32 0
		.amdhsa_float_round_mode_16_64 0
		.amdhsa_float_denorm_mode_32 3
		.amdhsa_float_denorm_mode_16_64 3
		.amdhsa_dx10_clamp 1
		.amdhsa_ieee_mode 1
		.amdhsa_fp16_overflow 0
		.amdhsa_exception_fp_ieee_invalid_op 0
		.amdhsa_exception_fp_denorm_src 0
		.amdhsa_exception_fp_ieee_div_zero 0
		.amdhsa_exception_fp_ieee_overflow 0
		.amdhsa_exception_fp_ieee_underflow 0
		.amdhsa_exception_fp_ieee_inexact 0
		.amdhsa_exception_int_div_zero 0
	.end_amdhsa_kernel
	.section	.text._ZN7rocprim17ROCPRIM_400000_NS6detail17trampoline_kernelINS0_14default_configENS1_22reduce_config_selectorIN6thrust23THRUST_200600_302600_NS5tupleIblNS6_9null_typeES8_S8_S8_S8_S8_S8_S8_EEEEZNS1_11reduce_implILb1ES3_NS6_12zip_iteratorINS7_INS6_11hip_rocprim26transform_input_iterator_tIbPhNS6_6detail10functional5actorINSH_9compositeIJNSH_27transparent_binary_operatorINS6_8equal_toIvEEEENSI_INSH_8argumentILj0EEEEENSH_5valueIhEEEEEEEEENSD_19counting_iterator_tIlEES8_S8_S8_S8_S8_S8_S8_S8_EEEEPS9_S9_NSD_9__find_if7functorIS9_EEEE10hipError_tPvRmT1_T2_T3_mT4_P12ihipStream_tbEUlT_E1_NS1_11comp_targetILNS1_3genE4ELNS1_11target_archE910ELNS1_3gpuE8ELNS1_3repE0EEENS1_30default_config_static_selectorELNS0_4arch9wavefront6targetE1EEEvS17_,"axG",@progbits,_ZN7rocprim17ROCPRIM_400000_NS6detail17trampoline_kernelINS0_14default_configENS1_22reduce_config_selectorIN6thrust23THRUST_200600_302600_NS5tupleIblNS6_9null_typeES8_S8_S8_S8_S8_S8_S8_EEEEZNS1_11reduce_implILb1ES3_NS6_12zip_iteratorINS7_INS6_11hip_rocprim26transform_input_iterator_tIbPhNS6_6detail10functional5actorINSH_9compositeIJNSH_27transparent_binary_operatorINS6_8equal_toIvEEEENSI_INSH_8argumentILj0EEEEENSH_5valueIhEEEEEEEEENSD_19counting_iterator_tIlEES8_S8_S8_S8_S8_S8_S8_S8_EEEEPS9_S9_NSD_9__find_if7functorIS9_EEEE10hipError_tPvRmT1_T2_T3_mT4_P12ihipStream_tbEUlT_E1_NS1_11comp_targetILNS1_3genE4ELNS1_11target_archE910ELNS1_3gpuE8ELNS1_3repE0EEENS1_30default_config_static_selectorELNS0_4arch9wavefront6targetE1EEEvS17_,comdat
.Lfunc_end453:
	.size	_ZN7rocprim17ROCPRIM_400000_NS6detail17trampoline_kernelINS0_14default_configENS1_22reduce_config_selectorIN6thrust23THRUST_200600_302600_NS5tupleIblNS6_9null_typeES8_S8_S8_S8_S8_S8_S8_EEEEZNS1_11reduce_implILb1ES3_NS6_12zip_iteratorINS7_INS6_11hip_rocprim26transform_input_iterator_tIbPhNS6_6detail10functional5actorINSH_9compositeIJNSH_27transparent_binary_operatorINS6_8equal_toIvEEEENSI_INSH_8argumentILj0EEEEENSH_5valueIhEEEEEEEEENSD_19counting_iterator_tIlEES8_S8_S8_S8_S8_S8_S8_S8_EEEEPS9_S9_NSD_9__find_if7functorIS9_EEEE10hipError_tPvRmT1_T2_T3_mT4_P12ihipStream_tbEUlT_E1_NS1_11comp_targetILNS1_3genE4ELNS1_11target_archE910ELNS1_3gpuE8ELNS1_3repE0EEENS1_30default_config_static_selectorELNS0_4arch9wavefront6targetE1EEEvS17_, .Lfunc_end453-_ZN7rocprim17ROCPRIM_400000_NS6detail17trampoline_kernelINS0_14default_configENS1_22reduce_config_selectorIN6thrust23THRUST_200600_302600_NS5tupleIblNS6_9null_typeES8_S8_S8_S8_S8_S8_S8_EEEEZNS1_11reduce_implILb1ES3_NS6_12zip_iteratorINS7_INS6_11hip_rocprim26transform_input_iterator_tIbPhNS6_6detail10functional5actorINSH_9compositeIJNSH_27transparent_binary_operatorINS6_8equal_toIvEEEENSI_INSH_8argumentILj0EEEEENSH_5valueIhEEEEEEEEENSD_19counting_iterator_tIlEES8_S8_S8_S8_S8_S8_S8_S8_EEEEPS9_S9_NSD_9__find_if7functorIS9_EEEE10hipError_tPvRmT1_T2_T3_mT4_P12ihipStream_tbEUlT_E1_NS1_11comp_targetILNS1_3genE4ELNS1_11target_archE910ELNS1_3gpuE8ELNS1_3repE0EEENS1_30default_config_static_selectorELNS0_4arch9wavefront6targetE1EEEvS17_
                                        ; -- End function
	.set _ZN7rocprim17ROCPRIM_400000_NS6detail17trampoline_kernelINS0_14default_configENS1_22reduce_config_selectorIN6thrust23THRUST_200600_302600_NS5tupleIblNS6_9null_typeES8_S8_S8_S8_S8_S8_S8_EEEEZNS1_11reduce_implILb1ES3_NS6_12zip_iteratorINS7_INS6_11hip_rocprim26transform_input_iterator_tIbPhNS6_6detail10functional5actorINSH_9compositeIJNSH_27transparent_binary_operatorINS6_8equal_toIvEEEENSI_INSH_8argumentILj0EEEEENSH_5valueIhEEEEEEEEENSD_19counting_iterator_tIlEES8_S8_S8_S8_S8_S8_S8_S8_EEEEPS9_S9_NSD_9__find_if7functorIS9_EEEE10hipError_tPvRmT1_T2_T3_mT4_P12ihipStream_tbEUlT_E1_NS1_11comp_targetILNS1_3genE4ELNS1_11target_archE910ELNS1_3gpuE8ELNS1_3repE0EEENS1_30default_config_static_selectorELNS0_4arch9wavefront6targetE1EEEvS17_.num_vgpr, 0
	.set _ZN7rocprim17ROCPRIM_400000_NS6detail17trampoline_kernelINS0_14default_configENS1_22reduce_config_selectorIN6thrust23THRUST_200600_302600_NS5tupleIblNS6_9null_typeES8_S8_S8_S8_S8_S8_S8_EEEEZNS1_11reduce_implILb1ES3_NS6_12zip_iteratorINS7_INS6_11hip_rocprim26transform_input_iterator_tIbPhNS6_6detail10functional5actorINSH_9compositeIJNSH_27transparent_binary_operatorINS6_8equal_toIvEEEENSI_INSH_8argumentILj0EEEEENSH_5valueIhEEEEEEEEENSD_19counting_iterator_tIlEES8_S8_S8_S8_S8_S8_S8_S8_EEEEPS9_S9_NSD_9__find_if7functorIS9_EEEE10hipError_tPvRmT1_T2_T3_mT4_P12ihipStream_tbEUlT_E1_NS1_11comp_targetILNS1_3genE4ELNS1_11target_archE910ELNS1_3gpuE8ELNS1_3repE0EEENS1_30default_config_static_selectorELNS0_4arch9wavefront6targetE1EEEvS17_.num_agpr, 0
	.set _ZN7rocprim17ROCPRIM_400000_NS6detail17trampoline_kernelINS0_14default_configENS1_22reduce_config_selectorIN6thrust23THRUST_200600_302600_NS5tupleIblNS6_9null_typeES8_S8_S8_S8_S8_S8_S8_EEEEZNS1_11reduce_implILb1ES3_NS6_12zip_iteratorINS7_INS6_11hip_rocprim26transform_input_iterator_tIbPhNS6_6detail10functional5actorINSH_9compositeIJNSH_27transparent_binary_operatorINS6_8equal_toIvEEEENSI_INSH_8argumentILj0EEEEENSH_5valueIhEEEEEEEEENSD_19counting_iterator_tIlEES8_S8_S8_S8_S8_S8_S8_S8_EEEEPS9_S9_NSD_9__find_if7functorIS9_EEEE10hipError_tPvRmT1_T2_T3_mT4_P12ihipStream_tbEUlT_E1_NS1_11comp_targetILNS1_3genE4ELNS1_11target_archE910ELNS1_3gpuE8ELNS1_3repE0EEENS1_30default_config_static_selectorELNS0_4arch9wavefront6targetE1EEEvS17_.numbered_sgpr, 0
	.set _ZN7rocprim17ROCPRIM_400000_NS6detail17trampoline_kernelINS0_14default_configENS1_22reduce_config_selectorIN6thrust23THRUST_200600_302600_NS5tupleIblNS6_9null_typeES8_S8_S8_S8_S8_S8_S8_EEEEZNS1_11reduce_implILb1ES3_NS6_12zip_iteratorINS7_INS6_11hip_rocprim26transform_input_iterator_tIbPhNS6_6detail10functional5actorINSH_9compositeIJNSH_27transparent_binary_operatorINS6_8equal_toIvEEEENSI_INSH_8argumentILj0EEEEENSH_5valueIhEEEEEEEEENSD_19counting_iterator_tIlEES8_S8_S8_S8_S8_S8_S8_S8_EEEEPS9_S9_NSD_9__find_if7functorIS9_EEEE10hipError_tPvRmT1_T2_T3_mT4_P12ihipStream_tbEUlT_E1_NS1_11comp_targetILNS1_3genE4ELNS1_11target_archE910ELNS1_3gpuE8ELNS1_3repE0EEENS1_30default_config_static_selectorELNS0_4arch9wavefront6targetE1EEEvS17_.num_named_barrier, 0
	.set _ZN7rocprim17ROCPRIM_400000_NS6detail17trampoline_kernelINS0_14default_configENS1_22reduce_config_selectorIN6thrust23THRUST_200600_302600_NS5tupleIblNS6_9null_typeES8_S8_S8_S8_S8_S8_S8_EEEEZNS1_11reduce_implILb1ES3_NS6_12zip_iteratorINS7_INS6_11hip_rocprim26transform_input_iterator_tIbPhNS6_6detail10functional5actorINSH_9compositeIJNSH_27transparent_binary_operatorINS6_8equal_toIvEEEENSI_INSH_8argumentILj0EEEEENSH_5valueIhEEEEEEEEENSD_19counting_iterator_tIlEES8_S8_S8_S8_S8_S8_S8_S8_EEEEPS9_S9_NSD_9__find_if7functorIS9_EEEE10hipError_tPvRmT1_T2_T3_mT4_P12ihipStream_tbEUlT_E1_NS1_11comp_targetILNS1_3genE4ELNS1_11target_archE910ELNS1_3gpuE8ELNS1_3repE0EEENS1_30default_config_static_selectorELNS0_4arch9wavefront6targetE1EEEvS17_.private_seg_size, 0
	.set _ZN7rocprim17ROCPRIM_400000_NS6detail17trampoline_kernelINS0_14default_configENS1_22reduce_config_selectorIN6thrust23THRUST_200600_302600_NS5tupleIblNS6_9null_typeES8_S8_S8_S8_S8_S8_S8_EEEEZNS1_11reduce_implILb1ES3_NS6_12zip_iteratorINS7_INS6_11hip_rocprim26transform_input_iterator_tIbPhNS6_6detail10functional5actorINSH_9compositeIJNSH_27transparent_binary_operatorINS6_8equal_toIvEEEENSI_INSH_8argumentILj0EEEEENSH_5valueIhEEEEEEEEENSD_19counting_iterator_tIlEES8_S8_S8_S8_S8_S8_S8_S8_EEEEPS9_S9_NSD_9__find_if7functorIS9_EEEE10hipError_tPvRmT1_T2_T3_mT4_P12ihipStream_tbEUlT_E1_NS1_11comp_targetILNS1_3genE4ELNS1_11target_archE910ELNS1_3gpuE8ELNS1_3repE0EEENS1_30default_config_static_selectorELNS0_4arch9wavefront6targetE1EEEvS17_.uses_vcc, 0
	.set _ZN7rocprim17ROCPRIM_400000_NS6detail17trampoline_kernelINS0_14default_configENS1_22reduce_config_selectorIN6thrust23THRUST_200600_302600_NS5tupleIblNS6_9null_typeES8_S8_S8_S8_S8_S8_S8_EEEEZNS1_11reduce_implILb1ES3_NS6_12zip_iteratorINS7_INS6_11hip_rocprim26transform_input_iterator_tIbPhNS6_6detail10functional5actorINSH_9compositeIJNSH_27transparent_binary_operatorINS6_8equal_toIvEEEENSI_INSH_8argumentILj0EEEEENSH_5valueIhEEEEEEEEENSD_19counting_iterator_tIlEES8_S8_S8_S8_S8_S8_S8_S8_EEEEPS9_S9_NSD_9__find_if7functorIS9_EEEE10hipError_tPvRmT1_T2_T3_mT4_P12ihipStream_tbEUlT_E1_NS1_11comp_targetILNS1_3genE4ELNS1_11target_archE910ELNS1_3gpuE8ELNS1_3repE0EEENS1_30default_config_static_selectorELNS0_4arch9wavefront6targetE1EEEvS17_.uses_flat_scratch, 0
	.set _ZN7rocprim17ROCPRIM_400000_NS6detail17trampoline_kernelINS0_14default_configENS1_22reduce_config_selectorIN6thrust23THRUST_200600_302600_NS5tupleIblNS6_9null_typeES8_S8_S8_S8_S8_S8_S8_EEEEZNS1_11reduce_implILb1ES3_NS6_12zip_iteratorINS7_INS6_11hip_rocprim26transform_input_iterator_tIbPhNS6_6detail10functional5actorINSH_9compositeIJNSH_27transparent_binary_operatorINS6_8equal_toIvEEEENSI_INSH_8argumentILj0EEEEENSH_5valueIhEEEEEEEEENSD_19counting_iterator_tIlEES8_S8_S8_S8_S8_S8_S8_S8_EEEEPS9_S9_NSD_9__find_if7functorIS9_EEEE10hipError_tPvRmT1_T2_T3_mT4_P12ihipStream_tbEUlT_E1_NS1_11comp_targetILNS1_3genE4ELNS1_11target_archE910ELNS1_3gpuE8ELNS1_3repE0EEENS1_30default_config_static_selectorELNS0_4arch9wavefront6targetE1EEEvS17_.has_dyn_sized_stack, 0
	.set _ZN7rocprim17ROCPRIM_400000_NS6detail17trampoline_kernelINS0_14default_configENS1_22reduce_config_selectorIN6thrust23THRUST_200600_302600_NS5tupleIblNS6_9null_typeES8_S8_S8_S8_S8_S8_S8_EEEEZNS1_11reduce_implILb1ES3_NS6_12zip_iteratorINS7_INS6_11hip_rocprim26transform_input_iterator_tIbPhNS6_6detail10functional5actorINSH_9compositeIJNSH_27transparent_binary_operatorINS6_8equal_toIvEEEENSI_INSH_8argumentILj0EEEEENSH_5valueIhEEEEEEEEENSD_19counting_iterator_tIlEES8_S8_S8_S8_S8_S8_S8_S8_EEEEPS9_S9_NSD_9__find_if7functorIS9_EEEE10hipError_tPvRmT1_T2_T3_mT4_P12ihipStream_tbEUlT_E1_NS1_11comp_targetILNS1_3genE4ELNS1_11target_archE910ELNS1_3gpuE8ELNS1_3repE0EEENS1_30default_config_static_selectorELNS0_4arch9wavefront6targetE1EEEvS17_.has_recursion, 0
	.set _ZN7rocprim17ROCPRIM_400000_NS6detail17trampoline_kernelINS0_14default_configENS1_22reduce_config_selectorIN6thrust23THRUST_200600_302600_NS5tupleIblNS6_9null_typeES8_S8_S8_S8_S8_S8_S8_EEEEZNS1_11reduce_implILb1ES3_NS6_12zip_iteratorINS7_INS6_11hip_rocprim26transform_input_iterator_tIbPhNS6_6detail10functional5actorINSH_9compositeIJNSH_27transparent_binary_operatorINS6_8equal_toIvEEEENSI_INSH_8argumentILj0EEEEENSH_5valueIhEEEEEEEEENSD_19counting_iterator_tIlEES8_S8_S8_S8_S8_S8_S8_S8_EEEEPS9_S9_NSD_9__find_if7functorIS9_EEEE10hipError_tPvRmT1_T2_T3_mT4_P12ihipStream_tbEUlT_E1_NS1_11comp_targetILNS1_3genE4ELNS1_11target_archE910ELNS1_3gpuE8ELNS1_3repE0EEENS1_30default_config_static_selectorELNS0_4arch9wavefront6targetE1EEEvS17_.has_indirect_call, 0
	.section	.AMDGPU.csdata,"",@progbits
; Kernel info:
; codeLenInByte = 0
; TotalNumSgprs: 4
; NumVgprs: 0
; ScratchSize: 0
; MemoryBound: 0
; FloatMode: 240
; IeeeMode: 1
; LDSByteSize: 0 bytes/workgroup (compile time only)
; SGPRBlocks: 0
; VGPRBlocks: 0
; NumSGPRsForWavesPerEU: 4
; NumVGPRsForWavesPerEU: 1
; Occupancy: 10
; WaveLimiterHint : 0
; COMPUTE_PGM_RSRC2:SCRATCH_EN: 0
; COMPUTE_PGM_RSRC2:USER_SGPR: 6
; COMPUTE_PGM_RSRC2:TRAP_HANDLER: 0
; COMPUTE_PGM_RSRC2:TGID_X_EN: 1
; COMPUTE_PGM_RSRC2:TGID_Y_EN: 0
; COMPUTE_PGM_RSRC2:TGID_Z_EN: 0
; COMPUTE_PGM_RSRC2:TIDIG_COMP_CNT: 0
	.section	.text._ZN7rocprim17ROCPRIM_400000_NS6detail17trampoline_kernelINS0_14default_configENS1_22reduce_config_selectorIN6thrust23THRUST_200600_302600_NS5tupleIblNS6_9null_typeES8_S8_S8_S8_S8_S8_S8_EEEEZNS1_11reduce_implILb1ES3_NS6_12zip_iteratorINS7_INS6_11hip_rocprim26transform_input_iterator_tIbPhNS6_6detail10functional5actorINSH_9compositeIJNSH_27transparent_binary_operatorINS6_8equal_toIvEEEENSI_INSH_8argumentILj0EEEEENSH_5valueIhEEEEEEEEENSD_19counting_iterator_tIlEES8_S8_S8_S8_S8_S8_S8_S8_EEEEPS9_S9_NSD_9__find_if7functorIS9_EEEE10hipError_tPvRmT1_T2_T3_mT4_P12ihipStream_tbEUlT_E1_NS1_11comp_targetILNS1_3genE3ELNS1_11target_archE908ELNS1_3gpuE7ELNS1_3repE0EEENS1_30default_config_static_selectorELNS0_4arch9wavefront6targetE1EEEvS17_,"axG",@progbits,_ZN7rocprim17ROCPRIM_400000_NS6detail17trampoline_kernelINS0_14default_configENS1_22reduce_config_selectorIN6thrust23THRUST_200600_302600_NS5tupleIblNS6_9null_typeES8_S8_S8_S8_S8_S8_S8_EEEEZNS1_11reduce_implILb1ES3_NS6_12zip_iteratorINS7_INS6_11hip_rocprim26transform_input_iterator_tIbPhNS6_6detail10functional5actorINSH_9compositeIJNSH_27transparent_binary_operatorINS6_8equal_toIvEEEENSI_INSH_8argumentILj0EEEEENSH_5valueIhEEEEEEEEENSD_19counting_iterator_tIlEES8_S8_S8_S8_S8_S8_S8_S8_EEEEPS9_S9_NSD_9__find_if7functorIS9_EEEE10hipError_tPvRmT1_T2_T3_mT4_P12ihipStream_tbEUlT_E1_NS1_11comp_targetILNS1_3genE3ELNS1_11target_archE908ELNS1_3gpuE7ELNS1_3repE0EEENS1_30default_config_static_selectorELNS0_4arch9wavefront6targetE1EEEvS17_,comdat
	.protected	_ZN7rocprim17ROCPRIM_400000_NS6detail17trampoline_kernelINS0_14default_configENS1_22reduce_config_selectorIN6thrust23THRUST_200600_302600_NS5tupleIblNS6_9null_typeES8_S8_S8_S8_S8_S8_S8_EEEEZNS1_11reduce_implILb1ES3_NS6_12zip_iteratorINS7_INS6_11hip_rocprim26transform_input_iterator_tIbPhNS6_6detail10functional5actorINSH_9compositeIJNSH_27transparent_binary_operatorINS6_8equal_toIvEEEENSI_INSH_8argumentILj0EEEEENSH_5valueIhEEEEEEEEENSD_19counting_iterator_tIlEES8_S8_S8_S8_S8_S8_S8_S8_EEEEPS9_S9_NSD_9__find_if7functorIS9_EEEE10hipError_tPvRmT1_T2_T3_mT4_P12ihipStream_tbEUlT_E1_NS1_11comp_targetILNS1_3genE3ELNS1_11target_archE908ELNS1_3gpuE7ELNS1_3repE0EEENS1_30default_config_static_selectorELNS0_4arch9wavefront6targetE1EEEvS17_ ; -- Begin function _ZN7rocprim17ROCPRIM_400000_NS6detail17trampoline_kernelINS0_14default_configENS1_22reduce_config_selectorIN6thrust23THRUST_200600_302600_NS5tupleIblNS6_9null_typeES8_S8_S8_S8_S8_S8_S8_EEEEZNS1_11reduce_implILb1ES3_NS6_12zip_iteratorINS7_INS6_11hip_rocprim26transform_input_iterator_tIbPhNS6_6detail10functional5actorINSH_9compositeIJNSH_27transparent_binary_operatorINS6_8equal_toIvEEEENSI_INSH_8argumentILj0EEEEENSH_5valueIhEEEEEEEEENSD_19counting_iterator_tIlEES8_S8_S8_S8_S8_S8_S8_S8_EEEEPS9_S9_NSD_9__find_if7functorIS9_EEEE10hipError_tPvRmT1_T2_T3_mT4_P12ihipStream_tbEUlT_E1_NS1_11comp_targetILNS1_3genE3ELNS1_11target_archE908ELNS1_3gpuE7ELNS1_3repE0EEENS1_30default_config_static_selectorELNS0_4arch9wavefront6targetE1EEEvS17_
	.globl	_ZN7rocprim17ROCPRIM_400000_NS6detail17trampoline_kernelINS0_14default_configENS1_22reduce_config_selectorIN6thrust23THRUST_200600_302600_NS5tupleIblNS6_9null_typeES8_S8_S8_S8_S8_S8_S8_EEEEZNS1_11reduce_implILb1ES3_NS6_12zip_iteratorINS7_INS6_11hip_rocprim26transform_input_iterator_tIbPhNS6_6detail10functional5actorINSH_9compositeIJNSH_27transparent_binary_operatorINS6_8equal_toIvEEEENSI_INSH_8argumentILj0EEEEENSH_5valueIhEEEEEEEEENSD_19counting_iterator_tIlEES8_S8_S8_S8_S8_S8_S8_S8_EEEEPS9_S9_NSD_9__find_if7functorIS9_EEEE10hipError_tPvRmT1_T2_T3_mT4_P12ihipStream_tbEUlT_E1_NS1_11comp_targetILNS1_3genE3ELNS1_11target_archE908ELNS1_3gpuE7ELNS1_3repE0EEENS1_30default_config_static_selectorELNS0_4arch9wavefront6targetE1EEEvS17_
	.p2align	8
	.type	_ZN7rocprim17ROCPRIM_400000_NS6detail17trampoline_kernelINS0_14default_configENS1_22reduce_config_selectorIN6thrust23THRUST_200600_302600_NS5tupleIblNS6_9null_typeES8_S8_S8_S8_S8_S8_S8_EEEEZNS1_11reduce_implILb1ES3_NS6_12zip_iteratorINS7_INS6_11hip_rocprim26transform_input_iterator_tIbPhNS6_6detail10functional5actorINSH_9compositeIJNSH_27transparent_binary_operatorINS6_8equal_toIvEEEENSI_INSH_8argumentILj0EEEEENSH_5valueIhEEEEEEEEENSD_19counting_iterator_tIlEES8_S8_S8_S8_S8_S8_S8_S8_EEEEPS9_S9_NSD_9__find_if7functorIS9_EEEE10hipError_tPvRmT1_T2_T3_mT4_P12ihipStream_tbEUlT_E1_NS1_11comp_targetILNS1_3genE3ELNS1_11target_archE908ELNS1_3gpuE7ELNS1_3repE0EEENS1_30default_config_static_selectorELNS0_4arch9wavefront6targetE1EEEvS17_,@function
_ZN7rocprim17ROCPRIM_400000_NS6detail17trampoline_kernelINS0_14default_configENS1_22reduce_config_selectorIN6thrust23THRUST_200600_302600_NS5tupleIblNS6_9null_typeES8_S8_S8_S8_S8_S8_S8_EEEEZNS1_11reduce_implILb1ES3_NS6_12zip_iteratorINS7_INS6_11hip_rocprim26transform_input_iterator_tIbPhNS6_6detail10functional5actorINSH_9compositeIJNSH_27transparent_binary_operatorINS6_8equal_toIvEEEENSI_INSH_8argumentILj0EEEEENSH_5valueIhEEEEEEEEENSD_19counting_iterator_tIlEES8_S8_S8_S8_S8_S8_S8_S8_EEEEPS9_S9_NSD_9__find_if7functorIS9_EEEE10hipError_tPvRmT1_T2_T3_mT4_P12ihipStream_tbEUlT_E1_NS1_11comp_targetILNS1_3genE3ELNS1_11target_archE908ELNS1_3gpuE7ELNS1_3repE0EEENS1_30default_config_static_selectorELNS0_4arch9wavefront6targetE1EEEvS17_: ; @_ZN7rocprim17ROCPRIM_400000_NS6detail17trampoline_kernelINS0_14default_configENS1_22reduce_config_selectorIN6thrust23THRUST_200600_302600_NS5tupleIblNS6_9null_typeES8_S8_S8_S8_S8_S8_S8_EEEEZNS1_11reduce_implILb1ES3_NS6_12zip_iteratorINS7_INS6_11hip_rocprim26transform_input_iterator_tIbPhNS6_6detail10functional5actorINSH_9compositeIJNSH_27transparent_binary_operatorINS6_8equal_toIvEEEENSI_INSH_8argumentILj0EEEEENSH_5valueIhEEEEEEEEENSD_19counting_iterator_tIlEES8_S8_S8_S8_S8_S8_S8_S8_EEEEPS9_S9_NSD_9__find_if7functorIS9_EEEE10hipError_tPvRmT1_T2_T3_mT4_P12ihipStream_tbEUlT_E1_NS1_11comp_targetILNS1_3genE3ELNS1_11target_archE908ELNS1_3gpuE7ELNS1_3repE0EEENS1_30default_config_static_selectorELNS0_4arch9wavefront6targetE1EEEvS17_
; %bb.0:
	.section	.rodata,"a",@progbits
	.p2align	6, 0x0
	.amdhsa_kernel _ZN7rocprim17ROCPRIM_400000_NS6detail17trampoline_kernelINS0_14default_configENS1_22reduce_config_selectorIN6thrust23THRUST_200600_302600_NS5tupleIblNS6_9null_typeES8_S8_S8_S8_S8_S8_S8_EEEEZNS1_11reduce_implILb1ES3_NS6_12zip_iteratorINS7_INS6_11hip_rocprim26transform_input_iterator_tIbPhNS6_6detail10functional5actorINSH_9compositeIJNSH_27transparent_binary_operatorINS6_8equal_toIvEEEENSI_INSH_8argumentILj0EEEEENSH_5valueIhEEEEEEEEENSD_19counting_iterator_tIlEES8_S8_S8_S8_S8_S8_S8_S8_EEEEPS9_S9_NSD_9__find_if7functorIS9_EEEE10hipError_tPvRmT1_T2_T3_mT4_P12ihipStream_tbEUlT_E1_NS1_11comp_targetILNS1_3genE3ELNS1_11target_archE908ELNS1_3gpuE7ELNS1_3repE0EEENS1_30default_config_static_selectorELNS0_4arch9wavefront6targetE1EEEvS17_
		.amdhsa_group_segment_fixed_size 0
		.amdhsa_private_segment_fixed_size 0
		.amdhsa_kernarg_size 72
		.amdhsa_user_sgpr_count 6
		.amdhsa_user_sgpr_private_segment_buffer 1
		.amdhsa_user_sgpr_dispatch_ptr 0
		.amdhsa_user_sgpr_queue_ptr 0
		.amdhsa_user_sgpr_kernarg_segment_ptr 1
		.amdhsa_user_sgpr_dispatch_id 0
		.amdhsa_user_sgpr_flat_scratch_init 0
		.amdhsa_user_sgpr_private_segment_size 0
		.amdhsa_uses_dynamic_stack 0
		.amdhsa_system_sgpr_private_segment_wavefront_offset 0
		.amdhsa_system_sgpr_workgroup_id_x 1
		.amdhsa_system_sgpr_workgroup_id_y 0
		.amdhsa_system_sgpr_workgroup_id_z 0
		.amdhsa_system_sgpr_workgroup_info 0
		.amdhsa_system_vgpr_workitem_id 0
		.amdhsa_next_free_vgpr 1
		.amdhsa_next_free_sgpr 0
		.amdhsa_reserve_vcc 0
		.amdhsa_reserve_flat_scratch 0
		.amdhsa_float_round_mode_32 0
		.amdhsa_float_round_mode_16_64 0
		.amdhsa_float_denorm_mode_32 3
		.amdhsa_float_denorm_mode_16_64 3
		.amdhsa_dx10_clamp 1
		.amdhsa_ieee_mode 1
		.amdhsa_fp16_overflow 0
		.amdhsa_exception_fp_ieee_invalid_op 0
		.amdhsa_exception_fp_denorm_src 0
		.amdhsa_exception_fp_ieee_div_zero 0
		.amdhsa_exception_fp_ieee_overflow 0
		.amdhsa_exception_fp_ieee_underflow 0
		.amdhsa_exception_fp_ieee_inexact 0
		.amdhsa_exception_int_div_zero 0
	.end_amdhsa_kernel
	.section	.text._ZN7rocprim17ROCPRIM_400000_NS6detail17trampoline_kernelINS0_14default_configENS1_22reduce_config_selectorIN6thrust23THRUST_200600_302600_NS5tupleIblNS6_9null_typeES8_S8_S8_S8_S8_S8_S8_EEEEZNS1_11reduce_implILb1ES3_NS6_12zip_iteratorINS7_INS6_11hip_rocprim26transform_input_iterator_tIbPhNS6_6detail10functional5actorINSH_9compositeIJNSH_27transparent_binary_operatorINS6_8equal_toIvEEEENSI_INSH_8argumentILj0EEEEENSH_5valueIhEEEEEEEEENSD_19counting_iterator_tIlEES8_S8_S8_S8_S8_S8_S8_S8_EEEEPS9_S9_NSD_9__find_if7functorIS9_EEEE10hipError_tPvRmT1_T2_T3_mT4_P12ihipStream_tbEUlT_E1_NS1_11comp_targetILNS1_3genE3ELNS1_11target_archE908ELNS1_3gpuE7ELNS1_3repE0EEENS1_30default_config_static_selectorELNS0_4arch9wavefront6targetE1EEEvS17_,"axG",@progbits,_ZN7rocprim17ROCPRIM_400000_NS6detail17trampoline_kernelINS0_14default_configENS1_22reduce_config_selectorIN6thrust23THRUST_200600_302600_NS5tupleIblNS6_9null_typeES8_S8_S8_S8_S8_S8_S8_EEEEZNS1_11reduce_implILb1ES3_NS6_12zip_iteratorINS7_INS6_11hip_rocprim26transform_input_iterator_tIbPhNS6_6detail10functional5actorINSH_9compositeIJNSH_27transparent_binary_operatorINS6_8equal_toIvEEEENSI_INSH_8argumentILj0EEEEENSH_5valueIhEEEEEEEEENSD_19counting_iterator_tIlEES8_S8_S8_S8_S8_S8_S8_S8_EEEEPS9_S9_NSD_9__find_if7functorIS9_EEEE10hipError_tPvRmT1_T2_T3_mT4_P12ihipStream_tbEUlT_E1_NS1_11comp_targetILNS1_3genE3ELNS1_11target_archE908ELNS1_3gpuE7ELNS1_3repE0EEENS1_30default_config_static_selectorELNS0_4arch9wavefront6targetE1EEEvS17_,comdat
.Lfunc_end454:
	.size	_ZN7rocprim17ROCPRIM_400000_NS6detail17trampoline_kernelINS0_14default_configENS1_22reduce_config_selectorIN6thrust23THRUST_200600_302600_NS5tupleIblNS6_9null_typeES8_S8_S8_S8_S8_S8_S8_EEEEZNS1_11reduce_implILb1ES3_NS6_12zip_iteratorINS7_INS6_11hip_rocprim26transform_input_iterator_tIbPhNS6_6detail10functional5actorINSH_9compositeIJNSH_27transparent_binary_operatorINS6_8equal_toIvEEEENSI_INSH_8argumentILj0EEEEENSH_5valueIhEEEEEEEEENSD_19counting_iterator_tIlEES8_S8_S8_S8_S8_S8_S8_S8_EEEEPS9_S9_NSD_9__find_if7functorIS9_EEEE10hipError_tPvRmT1_T2_T3_mT4_P12ihipStream_tbEUlT_E1_NS1_11comp_targetILNS1_3genE3ELNS1_11target_archE908ELNS1_3gpuE7ELNS1_3repE0EEENS1_30default_config_static_selectorELNS0_4arch9wavefront6targetE1EEEvS17_, .Lfunc_end454-_ZN7rocprim17ROCPRIM_400000_NS6detail17trampoline_kernelINS0_14default_configENS1_22reduce_config_selectorIN6thrust23THRUST_200600_302600_NS5tupleIblNS6_9null_typeES8_S8_S8_S8_S8_S8_S8_EEEEZNS1_11reduce_implILb1ES3_NS6_12zip_iteratorINS7_INS6_11hip_rocprim26transform_input_iterator_tIbPhNS6_6detail10functional5actorINSH_9compositeIJNSH_27transparent_binary_operatorINS6_8equal_toIvEEEENSI_INSH_8argumentILj0EEEEENSH_5valueIhEEEEEEEEENSD_19counting_iterator_tIlEES8_S8_S8_S8_S8_S8_S8_S8_EEEEPS9_S9_NSD_9__find_if7functorIS9_EEEE10hipError_tPvRmT1_T2_T3_mT4_P12ihipStream_tbEUlT_E1_NS1_11comp_targetILNS1_3genE3ELNS1_11target_archE908ELNS1_3gpuE7ELNS1_3repE0EEENS1_30default_config_static_selectorELNS0_4arch9wavefront6targetE1EEEvS17_
                                        ; -- End function
	.set _ZN7rocprim17ROCPRIM_400000_NS6detail17trampoline_kernelINS0_14default_configENS1_22reduce_config_selectorIN6thrust23THRUST_200600_302600_NS5tupleIblNS6_9null_typeES8_S8_S8_S8_S8_S8_S8_EEEEZNS1_11reduce_implILb1ES3_NS6_12zip_iteratorINS7_INS6_11hip_rocprim26transform_input_iterator_tIbPhNS6_6detail10functional5actorINSH_9compositeIJNSH_27transparent_binary_operatorINS6_8equal_toIvEEEENSI_INSH_8argumentILj0EEEEENSH_5valueIhEEEEEEEEENSD_19counting_iterator_tIlEES8_S8_S8_S8_S8_S8_S8_S8_EEEEPS9_S9_NSD_9__find_if7functorIS9_EEEE10hipError_tPvRmT1_T2_T3_mT4_P12ihipStream_tbEUlT_E1_NS1_11comp_targetILNS1_3genE3ELNS1_11target_archE908ELNS1_3gpuE7ELNS1_3repE0EEENS1_30default_config_static_selectorELNS0_4arch9wavefront6targetE1EEEvS17_.num_vgpr, 0
	.set _ZN7rocprim17ROCPRIM_400000_NS6detail17trampoline_kernelINS0_14default_configENS1_22reduce_config_selectorIN6thrust23THRUST_200600_302600_NS5tupleIblNS6_9null_typeES8_S8_S8_S8_S8_S8_S8_EEEEZNS1_11reduce_implILb1ES3_NS6_12zip_iteratorINS7_INS6_11hip_rocprim26transform_input_iterator_tIbPhNS6_6detail10functional5actorINSH_9compositeIJNSH_27transparent_binary_operatorINS6_8equal_toIvEEEENSI_INSH_8argumentILj0EEEEENSH_5valueIhEEEEEEEEENSD_19counting_iterator_tIlEES8_S8_S8_S8_S8_S8_S8_S8_EEEEPS9_S9_NSD_9__find_if7functorIS9_EEEE10hipError_tPvRmT1_T2_T3_mT4_P12ihipStream_tbEUlT_E1_NS1_11comp_targetILNS1_3genE3ELNS1_11target_archE908ELNS1_3gpuE7ELNS1_3repE0EEENS1_30default_config_static_selectorELNS0_4arch9wavefront6targetE1EEEvS17_.num_agpr, 0
	.set _ZN7rocprim17ROCPRIM_400000_NS6detail17trampoline_kernelINS0_14default_configENS1_22reduce_config_selectorIN6thrust23THRUST_200600_302600_NS5tupleIblNS6_9null_typeES8_S8_S8_S8_S8_S8_S8_EEEEZNS1_11reduce_implILb1ES3_NS6_12zip_iteratorINS7_INS6_11hip_rocprim26transform_input_iterator_tIbPhNS6_6detail10functional5actorINSH_9compositeIJNSH_27transparent_binary_operatorINS6_8equal_toIvEEEENSI_INSH_8argumentILj0EEEEENSH_5valueIhEEEEEEEEENSD_19counting_iterator_tIlEES8_S8_S8_S8_S8_S8_S8_S8_EEEEPS9_S9_NSD_9__find_if7functorIS9_EEEE10hipError_tPvRmT1_T2_T3_mT4_P12ihipStream_tbEUlT_E1_NS1_11comp_targetILNS1_3genE3ELNS1_11target_archE908ELNS1_3gpuE7ELNS1_3repE0EEENS1_30default_config_static_selectorELNS0_4arch9wavefront6targetE1EEEvS17_.numbered_sgpr, 0
	.set _ZN7rocprim17ROCPRIM_400000_NS6detail17trampoline_kernelINS0_14default_configENS1_22reduce_config_selectorIN6thrust23THRUST_200600_302600_NS5tupleIblNS6_9null_typeES8_S8_S8_S8_S8_S8_S8_EEEEZNS1_11reduce_implILb1ES3_NS6_12zip_iteratorINS7_INS6_11hip_rocprim26transform_input_iterator_tIbPhNS6_6detail10functional5actorINSH_9compositeIJNSH_27transparent_binary_operatorINS6_8equal_toIvEEEENSI_INSH_8argumentILj0EEEEENSH_5valueIhEEEEEEEEENSD_19counting_iterator_tIlEES8_S8_S8_S8_S8_S8_S8_S8_EEEEPS9_S9_NSD_9__find_if7functorIS9_EEEE10hipError_tPvRmT1_T2_T3_mT4_P12ihipStream_tbEUlT_E1_NS1_11comp_targetILNS1_3genE3ELNS1_11target_archE908ELNS1_3gpuE7ELNS1_3repE0EEENS1_30default_config_static_selectorELNS0_4arch9wavefront6targetE1EEEvS17_.num_named_barrier, 0
	.set _ZN7rocprim17ROCPRIM_400000_NS6detail17trampoline_kernelINS0_14default_configENS1_22reduce_config_selectorIN6thrust23THRUST_200600_302600_NS5tupleIblNS6_9null_typeES8_S8_S8_S8_S8_S8_S8_EEEEZNS1_11reduce_implILb1ES3_NS6_12zip_iteratorINS7_INS6_11hip_rocprim26transform_input_iterator_tIbPhNS6_6detail10functional5actorINSH_9compositeIJNSH_27transparent_binary_operatorINS6_8equal_toIvEEEENSI_INSH_8argumentILj0EEEEENSH_5valueIhEEEEEEEEENSD_19counting_iterator_tIlEES8_S8_S8_S8_S8_S8_S8_S8_EEEEPS9_S9_NSD_9__find_if7functorIS9_EEEE10hipError_tPvRmT1_T2_T3_mT4_P12ihipStream_tbEUlT_E1_NS1_11comp_targetILNS1_3genE3ELNS1_11target_archE908ELNS1_3gpuE7ELNS1_3repE0EEENS1_30default_config_static_selectorELNS0_4arch9wavefront6targetE1EEEvS17_.private_seg_size, 0
	.set _ZN7rocprim17ROCPRIM_400000_NS6detail17trampoline_kernelINS0_14default_configENS1_22reduce_config_selectorIN6thrust23THRUST_200600_302600_NS5tupleIblNS6_9null_typeES8_S8_S8_S8_S8_S8_S8_EEEEZNS1_11reduce_implILb1ES3_NS6_12zip_iteratorINS7_INS6_11hip_rocprim26transform_input_iterator_tIbPhNS6_6detail10functional5actorINSH_9compositeIJNSH_27transparent_binary_operatorINS6_8equal_toIvEEEENSI_INSH_8argumentILj0EEEEENSH_5valueIhEEEEEEEEENSD_19counting_iterator_tIlEES8_S8_S8_S8_S8_S8_S8_S8_EEEEPS9_S9_NSD_9__find_if7functorIS9_EEEE10hipError_tPvRmT1_T2_T3_mT4_P12ihipStream_tbEUlT_E1_NS1_11comp_targetILNS1_3genE3ELNS1_11target_archE908ELNS1_3gpuE7ELNS1_3repE0EEENS1_30default_config_static_selectorELNS0_4arch9wavefront6targetE1EEEvS17_.uses_vcc, 0
	.set _ZN7rocprim17ROCPRIM_400000_NS6detail17trampoline_kernelINS0_14default_configENS1_22reduce_config_selectorIN6thrust23THRUST_200600_302600_NS5tupleIblNS6_9null_typeES8_S8_S8_S8_S8_S8_S8_EEEEZNS1_11reduce_implILb1ES3_NS6_12zip_iteratorINS7_INS6_11hip_rocprim26transform_input_iterator_tIbPhNS6_6detail10functional5actorINSH_9compositeIJNSH_27transparent_binary_operatorINS6_8equal_toIvEEEENSI_INSH_8argumentILj0EEEEENSH_5valueIhEEEEEEEEENSD_19counting_iterator_tIlEES8_S8_S8_S8_S8_S8_S8_S8_EEEEPS9_S9_NSD_9__find_if7functorIS9_EEEE10hipError_tPvRmT1_T2_T3_mT4_P12ihipStream_tbEUlT_E1_NS1_11comp_targetILNS1_3genE3ELNS1_11target_archE908ELNS1_3gpuE7ELNS1_3repE0EEENS1_30default_config_static_selectorELNS0_4arch9wavefront6targetE1EEEvS17_.uses_flat_scratch, 0
	.set _ZN7rocprim17ROCPRIM_400000_NS6detail17trampoline_kernelINS0_14default_configENS1_22reduce_config_selectorIN6thrust23THRUST_200600_302600_NS5tupleIblNS6_9null_typeES8_S8_S8_S8_S8_S8_S8_EEEEZNS1_11reduce_implILb1ES3_NS6_12zip_iteratorINS7_INS6_11hip_rocprim26transform_input_iterator_tIbPhNS6_6detail10functional5actorINSH_9compositeIJNSH_27transparent_binary_operatorINS6_8equal_toIvEEEENSI_INSH_8argumentILj0EEEEENSH_5valueIhEEEEEEEEENSD_19counting_iterator_tIlEES8_S8_S8_S8_S8_S8_S8_S8_EEEEPS9_S9_NSD_9__find_if7functorIS9_EEEE10hipError_tPvRmT1_T2_T3_mT4_P12ihipStream_tbEUlT_E1_NS1_11comp_targetILNS1_3genE3ELNS1_11target_archE908ELNS1_3gpuE7ELNS1_3repE0EEENS1_30default_config_static_selectorELNS0_4arch9wavefront6targetE1EEEvS17_.has_dyn_sized_stack, 0
	.set _ZN7rocprim17ROCPRIM_400000_NS6detail17trampoline_kernelINS0_14default_configENS1_22reduce_config_selectorIN6thrust23THRUST_200600_302600_NS5tupleIblNS6_9null_typeES8_S8_S8_S8_S8_S8_S8_EEEEZNS1_11reduce_implILb1ES3_NS6_12zip_iteratorINS7_INS6_11hip_rocprim26transform_input_iterator_tIbPhNS6_6detail10functional5actorINSH_9compositeIJNSH_27transparent_binary_operatorINS6_8equal_toIvEEEENSI_INSH_8argumentILj0EEEEENSH_5valueIhEEEEEEEEENSD_19counting_iterator_tIlEES8_S8_S8_S8_S8_S8_S8_S8_EEEEPS9_S9_NSD_9__find_if7functorIS9_EEEE10hipError_tPvRmT1_T2_T3_mT4_P12ihipStream_tbEUlT_E1_NS1_11comp_targetILNS1_3genE3ELNS1_11target_archE908ELNS1_3gpuE7ELNS1_3repE0EEENS1_30default_config_static_selectorELNS0_4arch9wavefront6targetE1EEEvS17_.has_recursion, 0
	.set _ZN7rocprim17ROCPRIM_400000_NS6detail17trampoline_kernelINS0_14default_configENS1_22reduce_config_selectorIN6thrust23THRUST_200600_302600_NS5tupleIblNS6_9null_typeES8_S8_S8_S8_S8_S8_S8_EEEEZNS1_11reduce_implILb1ES3_NS6_12zip_iteratorINS7_INS6_11hip_rocprim26transform_input_iterator_tIbPhNS6_6detail10functional5actorINSH_9compositeIJNSH_27transparent_binary_operatorINS6_8equal_toIvEEEENSI_INSH_8argumentILj0EEEEENSH_5valueIhEEEEEEEEENSD_19counting_iterator_tIlEES8_S8_S8_S8_S8_S8_S8_S8_EEEEPS9_S9_NSD_9__find_if7functorIS9_EEEE10hipError_tPvRmT1_T2_T3_mT4_P12ihipStream_tbEUlT_E1_NS1_11comp_targetILNS1_3genE3ELNS1_11target_archE908ELNS1_3gpuE7ELNS1_3repE0EEENS1_30default_config_static_selectorELNS0_4arch9wavefront6targetE1EEEvS17_.has_indirect_call, 0
	.section	.AMDGPU.csdata,"",@progbits
; Kernel info:
; codeLenInByte = 0
; TotalNumSgprs: 4
; NumVgprs: 0
; ScratchSize: 0
; MemoryBound: 0
; FloatMode: 240
; IeeeMode: 1
; LDSByteSize: 0 bytes/workgroup (compile time only)
; SGPRBlocks: 0
; VGPRBlocks: 0
; NumSGPRsForWavesPerEU: 4
; NumVGPRsForWavesPerEU: 1
; Occupancy: 10
; WaveLimiterHint : 0
; COMPUTE_PGM_RSRC2:SCRATCH_EN: 0
; COMPUTE_PGM_RSRC2:USER_SGPR: 6
; COMPUTE_PGM_RSRC2:TRAP_HANDLER: 0
; COMPUTE_PGM_RSRC2:TGID_X_EN: 1
; COMPUTE_PGM_RSRC2:TGID_Y_EN: 0
; COMPUTE_PGM_RSRC2:TGID_Z_EN: 0
; COMPUTE_PGM_RSRC2:TIDIG_COMP_CNT: 0
	.section	.text._ZN7rocprim17ROCPRIM_400000_NS6detail17trampoline_kernelINS0_14default_configENS1_22reduce_config_selectorIN6thrust23THRUST_200600_302600_NS5tupleIblNS6_9null_typeES8_S8_S8_S8_S8_S8_S8_EEEEZNS1_11reduce_implILb1ES3_NS6_12zip_iteratorINS7_INS6_11hip_rocprim26transform_input_iterator_tIbPhNS6_6detail10functional5actorINSH_9compositeIJNSH_27transparent_binary_operatorINS6_8equal_toIvEEEENSI_INSH_8argumentILj0EEEEENSH_5valueIhEEEEEEEEENSD_19counting_iterator_tIlEES8_S8_S8_S8_S8_S8_S8_S8_EEEEPS9_S9_NSD_9__find_if7functorIS9_EEEE10hipError_tPvRmT1_T2_T3_mT4_P12ihipStream_tbEUlT_E1_NS1_11comp_targetILNS1_3genE2ELNS1_11target_archE906ELNS1_3gpuE6ELNS1_3repE0EEENS1_30default_config_static_selectorELNS0_4arch9wavefront6targetE1EEEvS17_,"axG",@progbits,_ZN7rocprim17ROCPRIM_400000_NS6detail17trampoline_kernelINS0_14default_configENS1_22reduce_config_selectorIN6thrust23THRUST_200600_302600_NS5tupleIblNS6_9null_typeES8_S8_S8_S8_S8_S8_S8_EEEEZNS1_11reduce_implILb1ES3_NS6_12zip_iteratorINS7_INS6_11hip_rocprim26transform_input_iterator_tIbPhNS6_6detail10functional5actorINSH_9compositeIJNSH_27transparent_binary_operatorINS6_8equal_toIvEEEENSI_INSH_8argumentILj0EEEEENSH_5valueIhEEEEEEEEENSD_19counting_iterator_tIlEES8_S8_S8_S8_S8_S8_S8_S8_EEEEPS9_S9_NSD_9__find_if7functorIS9_EEEE10hipError_tPvRmT1_T2_T3_mT4_P12ihipStream_tbEUlT_E1_NS1_11comp_targetILNS1_3genE2ELNS1_11target_archE906ELNS1_3gpuE6ELNS1_3repE0EEENS1_30default_config_static_selectorELNS0_4arch9wavefront6targetE1EEEvS17_,comdat
	.protected	_ZN7rocprim17ROCPRIM_400000_NS6detail17trampoline_kernelINS0_14default_configENS1_22reduce_config_selectorIN6thrust23THRUST_200600_302600_NS5tupleIblNS6_9null_typeES8_S8_S8_S8_S8_S8_S8_EEEEZNS1_11reduce_implILb1ES3_NS6_12zip_iteratorINS7_INS6_11hip_rocprim26transform_input_iterator_tIbPhNS6_6detail10functional5actorINSH_9compositeIJNSH_27transparent_binary_operatorINS6_8equal_toIvEEEENSI_INSH_8argumentILj0EEEEENSH_5valueIhEEEEEEEEENSD_19counting_iterator_tIlEES8_S8_S8_S8_S8_S8_S8_S8_EEEEPS9_S9_NSD_9__find_if7functorIS9_EEEE10hipError_tPvRmT1_T2_T3_mT4_P12ihipStream_tbEUlT_E1_NS1_11comp_targetILNS1_3genE2ELNS1_11target_archE906ELNS1_3gpuE6ELNS1_3repE0EEENS1_30default_config_static_selectorELNS0_4arch9wavefront6targetE1EEEvS17_ ; -- Begin function _ZN7rocprim17ROCPRIM_400000_NS6detail17trampoline_kernelINS0_14default_configENS1_22reduce_config_selectorIN6thrust23THRUST_200600_302600_NS5tupleIblNS6_9null_typeES8_S8_S8_S8_S8_S8_S8_EEEEZNS1_11reduce_implILb1ES3_NS6_12zip_iteratorINS7_INS6_11hip_rocprim26transform_input_iterator_tIbPhNS6_6detail10functional5actorINSH_9compositeIJNSH_27transparent_binary_operatorINS6_8equal_toIvEEEENSI_INSH_8argumentILj0EEEEENSH_5valueIhEEEEEEEEENSD_19counting_iterator_tIlEES8_S8_S8_S8_S8_S8_S8_S8_EEEEPS9_S9_NSD_9__find_if7functorIS9_EEEE10hipError_tPvRmT1_T2_T3_mT4_P12ihipStream_tbEUlT_E1_NS1_11comp_targetILNS1_3genE2ELNS1_11target_archE906ELNS1_3gpuE6ELNS1_3repE0EEENS1_30default_config_static_selectorELNS0_4arch9wavefront6targetE1EEEvS17_
	.globl	_ZN7rocprim17ROCPRIM_400000_NS6detail17trampoline_kernelINS0_14default_configENS1_22reduce_config_selectorIN6thrust23THRUST_200600_302600_NS5tupleIblNS6_9null_typeES8_S8_S8_S8_S8_S8_S8_EEEEZNS1_11reduce_implILb1ES3_NS6_12zip_iteratorINS7_INS6_11hip_rocprim26transform_input_iterator_tIbPhNS6_6detail10functional5actorINSH_9compositeIJNSH_27transparent_binary_operatorINS6_8equal_toIvEEEENSI_INSH_8argumentILj0EEEEENSH_5valueIhEEEEEEEEENSD_19counting_iterator_tIlEES8_S8_S8_S8_S8_S8_S8_S8_EEEEPS9_S9_NSD_9__find_if7functorIS9_EEEE10hipError_tPvRmT1_T2_T3_mT4_P12ihipStream_tbEUlT_E1_NS1_11comp_targetILNS1_3genE2ELNS1_11target_archE906ELNS1_3gpuE6ELNS1_3repE0EEENS1_30default_config_static_selectorELNS0_4arch9wavefront6targetE1EEEvS17_
	.p2align	8
	.type	_ZN7rocprim17ROCPRIM_400000_NS6detail17trampoline_kernelINS0_14default_configENS1_22reduce_config_selectorIN6thrust23THRUST_200600_302600_NS5tupleIblNS6_9null_typeES8_S8_S8_S8_S8_S8_S8_EEEEZNS1_11reduce_implILb1ES3_NS6_12zip_iteratorINS7_INS6_11hip_rocprim26transform_input_iterator_tIbPhNS6_6detail10functional5actorINSH_9compositeIJNSH_27transparent_binary_operatorINS6_8equal_toIvEEEENSI_INSH_8argumentILj0EEEEENSH_5valueIhEEEEEEEEENSD_19counting_iterator_tIlEES8_S8_S8_S8_S8_S8_S8_S8_EEEEPS9_S9_NSD_9__find_if7functorIS9_EEEE10hipError_tPvRmT1_T2_T3_mT4_P12ihipStream_tbEUlT_E1_NS1_11comp_targetILNS1_3genE2ELNS1_11target_archE906ELNS1_3gpuE6ELNS1_3repE0EEENS1_30default_config_static_selectorELNS0_4arch9wavefront6targetE1EEEvS17_,@function
_ZN7rocprim17ROCPRIM_400000_NS6detail17trampoline_kernelINS0_14default_configENS1_22reduce_config_selectorIN6thrust23THRUST_200600_302600_NS5tupleIblNS6_9null_typeES8_S8_S8_S8_S8_S8_S8_EEEEZNS1_11reduce_implILb1ES3_NS6_12zip_iteratorINS7_INS6_11hip_rocprim26transform_input_iterator_tIbPhNS6_6detail10functional5actorINSH_9compositeIJNSH_27transparent_binary_operatorINS6_8equal_toIvEEEENSI_INSH_8argumentILj0EEEEENSH_5valueIhEEEEEEEEENSD_19counting_iterator_tIlEES8_S8_S8_S8_S8_S8_S8_S8_EEEEPS9_S9_NSD_9__find_if7functorIS9_EEEE10hipError_tPvRmT1_T2_T3_mT4_P12ihipStream_tbEUlT_E1_NS1_11comp_targetILNS1_3genE2ELNS1_11target_archE906ELNS1_3gpuE6ELNS1_3repE0EEENS1_30default_config_static_selectorELNS0_4arch9wavefront6targetE1EEEvS17_: ; @_ZN7rocprim17ROCPRIM_400000_NS6detail17trampoline_kernelINS0_14default_configENS1_22reduce_config_selectorIN6thrust23THRUST_200600_302600_NS5tupleIblNS6_9null_typeES8_S8_S8_S8_S8_S8_S8_EEEEZNS1_11reduce_implILb1ES3_NS6_12zip_iteratorINS7_INS6_11hip_rocprim26transform_input_iterator_tIbPhNS6_6detail10functional5actorINSH_9compositeIJNSH_27transparent_binary_operatorINS6_8equal_toIvEEEENSI_INSH_8argumentILj0EEEEENSH_5valueIhEEEEEEEEENSD_19counting_iterator_tIlEES8_S8_S8_S8_S8_S8_S8_S8_EEEEPS9_S9_NSD_9__find_if7functorIS9_EEEE10hipError_tPvRmT1_T2_T3_mT4_P12ihipStream_tbEUlT_E1_NS1_11comp_targetILNS1_3genE2ELNS1_11target_archE906ELNS1_3gpuE6ELNS1_3repE0EEENS1_30default_config_static_selectorELNS0_4arch9wavefront6targetE1EEEvS17_
; %bb.0:
	s_load_dword s33, s[4:5], 0x4
	s_load_dwordx2 s[24:25], s[4:5], 0x8
	s_load_dword s0, s[4:5], 0x10
	s_load_dwordx4 s[20:23], s[4:5], 0x18
	s_load_dword s30, s[4:5], 0x30
	s_load_dwordx2 s[18:19], s[4:5], 0x38
	s_waitcnt lgkmcnt(0)
	s_lshr_b32 s31, s0, 16
	s_cmp_lt_i32 s33, 4
	s_cbranch_scc1 .LBB455_13
; %bb.1:
	s_cmp_gt_i32 s33, 7
	s_cbranch_scc0 .LBB455_14
; %bb.2:
	s_cmp_eq_u32 s33, 8
	s_mov_b64 s[26:27], 0
	s_cbranch_scc0 .LBB455_15
; %bb.3:
	s_lshl_b32 s12, s6, 10
	s_lshr_b64 s[0:1], s[22:23], 10
	s_add_u32 s16, s24, s12
	s_addc_u32 s17, s25, 0
	s_add_u32 s35, s20, s12
	s_mov_b32 s7, 0
	s_addc_u32 s36, s21, 0
	s_cmp_lg_u64 s[0:1], s[6:7]
	s_cbranch_scc0 .LBB455_28
; %bb.4:
	global_load_ubyte v1, v0, s[16:17] offset:256
	global_load_ubyte v2, v0, s[16:17] offset:512
	global_load_ubyte v4, v0, s[16:17] offset:768
	global_load_ubyte v5, v0, s[16:17] offset:896
	global_load_ubyte v6, v0, s[16:17] offset:128
	global_load_ubyte v7, v0, s[16:17] offset:384
	global_load_ubyte v8, v0, s[16:17] offset:640
	global_load_ubyte v9, v0, s[16:17]
	v_mov_b32_e32 v3, s36
	v_add_co_u32_e32 v18, vcc, s35, v0
	s_and_b32 s8, s31, 0xff
	v_addc_co_u32_e32 v19, vcc, 0, v3, vcc
	v_mov_b32_e32 v10, 0x100
	v_mov_b32_e32 v11, 0x80
	;; [unrolled: 1-line block ×7, first 2 shown]
	v_mbcnt_lo_u32_b32 v17, -1, 0
	v_mbcnt_hi_u32_b32 v3, -1, v17
	s_waitcnt vmcnt(7)
	v_cmp_eq_u16_sdwa s[10:11], v1, s8 src0_sel:BYTE_0 src1_sel:DWORD
	s_waitcnt vmcnt(6)
	v_cmp_eq_u16_sdwa s[14:15], v2, s8 src0_sel:BYTE_0 src1_sel:DWORD
	;; [unrolled: 2-line block ×4, first 2 shown]
	s_waitcnt vmcnt(3)
	v_cmp_eq_u16_e32 vcc, s8, v6
	v_cndmask_b32_e32 v1, v10, v11, vcc
	s_waitcnt vmcnt(2)
	v_cmp_eq_u16_e64 s[0:1], s8, v7
	s_waitcnt vmcnt(1)
	v_cmp_eq_u16_e64 s[2:3], s8, v8
	;; [unrolled: 2-line block ×3, first 2 shown]
	v_cndmask_b32_e64 v1, v1, 0, s[8:9]
	s_or_b64 s[8:9], s[8:9], vcc
	s_or_b64 vcc, s[8:9], s[10:11]
	v_cndmask_b32_e64 v2, v12, v13, s[0:1]
	s_or_b64 s[0:1], vcc, s[0:1]
	v_cndmask_b32_e32 v1, v2, v1, vcc
	s_or_b64 vcc, s[0:1], s[14:15]
	v_cndmask_b32_e64 v4, v14, v15, s[2:3]
	s_or_b64 s[0:1], vcc, s[2:3]
	v_cndmask_b32_e32 v1, v4, v1, vcc
	s_or_b64 vcc, s[0:1], s[28:29]
	v_cndmask_b32_e32 v1, v16, v1, vcc
	v_add_co_u32_e64 v1, s[0:1], v18, v1
	v_addc_co_u32_e64 v2, s[0:1], 0, v19, s[0:1]
	s_or_b64 s[0:1], vcc, s[38:39]
	v_mov_b32_dpp v4, v1 quad_perm:[1,0,3,2] row_mask:0xf bank_mask:0xf bound_ctrl:1
	v_mov_b32_dpp v5, v2 quad_perm:[1,0,3,2] row_mask:0xf bank_mask:0xf bound_ctrl:1
	v_cndmask_b32_e64 v6, 0, 1, s[0:1]
	v_cmp_lt_i64_e32 vcc, v[1:2], v[4:5]
	s_and_b64 vcc, s[0:1], vcc
	v_mov_b32_dpp v7, v6 quad_perm:[1,0,3,2] row_mask:0xf bank_mask:0xf bound_ctrl:1
	v_and_b32_e32 v7, 1, v7
	v_cndmask_b32_e32 v4, v4, v1, vcc
	v_cndmask_b32_e32 v5, v5, v2, vcc
	v_cmp_eq_u32_e32 vcc, 1, v7
	v_cndmask_b32_e32 v2, v2, v5, vcc
	v_cndmask_b32_e32 v1, v1, v4, vcc
	v_cndmask_b32_e64 v6, v6, 1, vcc
	v_mov_b32_dpp v5, v2 quad_perm:[2,3,0,1] row_mask:0xf bank_mask:0xf bound_ctrl:1
	v_mov_b32_dpp v4, v1 quad_perm:[2,3,0,1] row_mask:0xf bank_mask:0xf bound_ctrl:1
	v_and_b32_e32 v8, 1, v6
	v_cmp_lt_i64_e64 s[0:1], v[1:2], v[4:5]
	v_mov_b32_dpp v7, v6 quad_perm:[2,3,0,1] row_mask:0xf bank_mask:0xf bound_ctrl:1
	v_cmp_eq_u32_e32 vcc, 1, v8
	v_and_b32_e32 v7, 1, v7
	s_and_b64 vcc, vcc, s[0:1]
	v_cmp_eq_u32_e64 s[2:3], 1, v7
	v_cndmask_b32_e32 v4, v4, v1, vcc
	v_cndmask_b32_e32 v5, v5, v2, vcc
	v_cndmask_b32_e64 v1, v1, v4, s[2:3]
	v_cndmask_b32_e64 v2, v2, v5, s[2:3]
	;; [unrolled: 1-line block ×3, first 2 shown]
	v_mov_b32_dpp v4, v1 row_ror:4 row_mask:0xf bank_mask:0xf bound_ctrl:1
	v_mov_b32_dpp v5, v2 row_ror:4 row_mask:0xf bank_mask:0xf bound_ctrl:1
	v_and_b32_e32 v8, 1, v6
	v_cmp_lt_i64_e64 s[2:3], v[1:2], v[4:5]
	v_mov_b32_dpp v7, v6 row_ror:4 row_mask:0xf bank_mask:0xf bound_ctrl:1
	v_cmp_eq_u32_e32 vcc, 1, v8
	v_and_b32_e32 v7, 1, v7
	s_and_b64 vcc, vcc, s[2:3]
	v_cmp_eq_u32_e64 s[0:1], 1, v7
	v_cndmask_b32_e32 v4, v4, v1, vcc
	v_cndmask_b32_e32 v5, v5, v2, vcc
	v_cndmask_b32_e64 v1, v1, v4, s[0:1]
	v_cndmask_b32_e64 v2, v2, v5, s[0:1]
	v_cndmask_b32_e64 v6, v6, 1, s[0:1]
	v_mov_b32_dpp v4, v1 row_ror:8 row_mask:0xf bank_mask:0xf bound_ctrl:1
	v_mov_b32_dpp v5, v2 row_ror:8 row_mask:0xf bank_mask:0xf bound_ctrl:1
	v_and_b32_e32 v8, 1, v6
	v_cmp_lt_i64_e32 vcc, v[1:2], v[4:5]
	v_mov_b32_dpp v7, v6 row_ror:8 row_mask:0xf bank_mask:0xf bound_ctrl:1
	v_cmp_eq_u32_e64 s[8:9], 1, v8
	v_and_b32_e32 v7, 1, v7
	s_and_b64 vcc, s[8:9], vcc
	v_cmp_eq_u32_e64 s[10:11], 1, v7
	v_cndmask_b32_e32 v4, v4, v1, vcc
	v_cndmask_b32_e32 v5, v5, v2, vcc
	v_cndmask_b32_e64 v1, v1, v4, s[10:11]
	v_cndmask_b32_e64 v2, v2, v5, s[10:11]
	v_cndmask_b32_e64 v6, v6, 1, s[10:11]
	v_mov_b32_dpp v4, v1 row_bcast:15 row_mask:0xf bank_mask:0xf bound_ctrl:1
	v_mov_b32_dpp v5, v2 row_bcast:15 row_mask:0xf bank_mask:0xf bound_ctrl:1
	v_and_b32_e32 v8, 1, v6
	v_cmp_lt_i64_e32 vcc, v[1:2], v[4:5]
	v_mov_b32_dpp v7, v6 row_bcast:15 row_mask:0xf bank_mask:0xf bound_ctrl:1
	v_cmp_eq_u32_e64 s[0:1], 1, v8
	v_and_b32_e32 v7, 1, v7
	s_and_b64 vcc, s[0:1], vcc
	v_cmp_eq_u32_e64 s[2:3], 1, v7
	v_cndmask_b32_e32 v4, v4, v1, vcc
	v_cndmask_b32_e32 v5, v5, v2, vcc
	v_cndmask_b32_e64 v1, v1, v4, s[2:3]
	v_cndmask_b32_e64 v2, v2, v5, s[2:3]
	;; [unrolled: 1-line block ×3, first 2 shown]
	v_mov_b32_dpp v4, v1 row_bcast:31 row_mask:0xf bank_mask:0xf bound_ctrl:1
	v_mov_b32_dpp v5, v2 row_bcast:31 row_mask:0xf bank_mask:0xf bound_ctrl:1
	v_and_b32_e32 v8, 1, v6
	v_cmp_lt_i64_e64 s[0:1], v[1:2], v[4:5]
	v_mov_b32_dpp v7, v6 row_bcast:31 row_mask:0xf bank_mask:0xf bound_ctrl:1
	v_cmp_eq_u32_e32 vcc, 1, v8
	v_and_b32_e32 v7, 1, v7
	s_and_b64 vcc, vcc, s[0:1]
	v_cmp_eq_u32_e64 s[2:3], 1, v7
	v_cndmask_b32_e32 v5, v5, v2, vcc
	v_cndmask_b32_e32 v4, v4, v1, vcc
	v_cndmask_b32_e64 v2, v2, v5, s[2:3]
	v_lshlrev_b32_e32 v5, 2, v3
	v_cndmask_b32_e64 v6, v6, 1, s[2:3]
	v_cndmask_b32_e64 v1, v1, v4, s[2:3]
	v_or_b32_e32 v4, 0xfc, v5
	ds_bpermute_b32 v17, v4, v6
	ds_bpermute_b32 v1, v4, v1
	ds_bpermute_b32 v2, v4, v2
	v_cmp_eq_u32_e32 vcc, 0, v3
	s_and_saveexec_b64 s[0:1], vcc
	s_cbranch_execz .LBB455_6
; %bb.5:
	v_lshrrev_b32_e32 v4, 2, v0
	v_and_b32_e32 v4, 16, v4
	s_waitcnt lgkmcnt(2)
	ds_write_b8 v4, v17 offset:96
	s_waitcnt lgkmcnt(1)
	ds_write_b64 v4, v[1:2] offset:104
.LBB455_6:
	s_or_b64 exec, exec, s[0:1]
	v_cmp_gt_u32_e32 vcc, 64, v0
	s_waitcnt lgkmcnt(0)
	s_barrier
	s_and_saveexec_b64 s[0:1], vcc
	s_cbranch_execz .LBB455_12
; %bb.7:
	v_and_b32_e32 v1, 1, v3
	v_lshlrev_b32_e32 v1, 4, v1
	ds_read_u8 v7, v1 offset:96
	ds_read_b64 v[3:4], v1 offset:104
	v_or_b32_e32 v2, 4, v5
	s_waitcnt lgkmcnt(1)
	v_and_b32_e32 v1, 0xff, v7
	ds_bpermute_b32 v8, v2, v1
	s_waitcnt lgkmcnt(1)
	ds_bpermute_b32 v5, v2, v3
	ds_bpermute_b32 v6, v2, v4
	s_waitcnt lgkmcnt(2)
	v_and_b32_e32 v1, v7, v8
	v_and_b32_e32 v1, 1, v1
	v_cmp_eq_u32_e32 vcc, 1, v1
                                        ; implicit-def: $vgpr1_vgpr2
	s_and_saveexec_b64 s[2:3], vcc
	s_xor_b64 s[2:3], exec, s[2:3]
	s_cbranch_execz .LBB455_9
; %bb.8:
	s_waitcnt lgkmcnt(0)
	v_cmp_lt_i64_e32 vcc, v[5:6], v[3:4]
                                        ; implicit-def: $vgpr7
                                        ; implicit-def: $vgpr8
	v_cndmask_b32_e32 v2, v4, v6, vcc
	v_cndmask_b32_e32 v1, v3, v5, vcc
                                        ; implicit-def: $vgpr5_vgpr6
                                        ; implicit-def: $vgpr3_vgpr4
.LBB455_9:
	s_or_saveexec_b64 s[2:3], s[2:3]
	v_mov_b32_e32 v17, 1
	s_xor_b64 exec, exec, s[2:3]
	s_cbranch_execz .LBB455_11
; %bb.10:
	v_and_b32_e32 v1, 1, v7
	v_cmp_eq_u32_e32 vcc, 1, v1
	s_waitcnt lgkmcnt(0)
	v_cndmask_b32_e32 v2, v6, v4, vcc
	v_cndmask_b32_e32 v1, v5, v3, vcc
	v_cndmask_b32_e64 v17, v8, 1, vcc
.LBB455_11:
	s_or_b64 exec, exec, s[2:3]
.LBB455_12:
	s_or_b64 exec, exec, s[0:1]
	s_branch .LBB455_145
.LBB455_13:
	s_mov_b64 s[14:15], 0
                                        ; implicit-def: $vgpr3_vgpr4
                                        ; implicit-def: $vgpr5
                                        ; implicit-def: $vgpr1_vgpr2
	s_cbranch_execnz .LBB455_219
	s_branch .LBB455_306
.LBB455_14:
	s_mov_b64 s[26:27], -1
.LBB455_15:
	s_mov_b64 s[14:15], 0
                                        ; implicit-def: $vgpr3_vgpr4
                                        ; implicit-def: $vgpr5
                                        ; implicit-def: $vgpr1_vgpr2
	s_and_b64 vcc, exec, s[26:27]
	s_cbranch_vccz .LBB455_150
.LBB455_16:
	s_cmp_eq_u32 s33, 4
	s_cbranch_scc0 .LBB455_27
; %bb.17:
	s_lshl_b32 s28, s6, 9
	s_lshr_b64 s[0:1], s[22:23], 9
	s_add_u32 s16, s24, s28
	s_addc_u32 s17, s25, 0
	s_add_u32 s26, s20, s28
	s_mov_b32 s7, 0
	s_addc_u32 s27, s21, 0
	s_cmp_lg_u64 s[0:1], s[6:7]
	s_cbranch_scc0 .LBB455_51
; %bb.18:
	global_load_ubyte v1, v0, s[16:17] offset:256
	global_load_ubyte v2, v0, s[16:17] offset:384
	s_waitcnt lgkmcnt(0)
	global_load_ubyte v4, v0, s[16:17] offset:128
	global_load_ubyte v6, v0, s[16:17]
	v_mov_b32_e32 v3, s27
	v_add_co_u32_e32 v10, vcc, s26, v0
	s_and_b32 s0, s31, 0xff
	v_addc_co_u32_e32 v11, vcc, 0, v3, vcc
	v_mov_b32_e32 v7, 0x100
	v_mov_b32_e32 v8, 0x80
	v_mov_b32_e32 v9, 0x180
	v_mbcnt_lo_u32_b32 v5, -1, 0
	v_mbcnt_hi_u32_b32 v3, -1, v5
	v_lshlrev_b32_e32 v5, 2, v3
	v_or_b32_e32 v12, 0xfc, v5
	s_waitcnt vmcnt(3)
	v_cmp_eq_u16_sdwa s[2:3], v1, s0 src0_sel:BYTE_0 src1_sel:DWORD
	s_waitcnt vmcnt(2)
	v_cmp_eq_u16_sdwa s[8:9], v2, s0 src0_sel:BYTE_0 src1_sel:DWORD
	s_waitcnt vmcnt(1)
	v_cmp_eq_u16_e32 vcc, s0, v4
	v_cndmask_b32_e32 v1, v7, v8, vcc
	s_waitcnt vmcnt(0)
	v_cmp_eq_u16_e64 s[0:1], s0, v6
	v_cndmask_b32_e64 v1, v1, 0, s[0:1]
	s_or_b64 s[0:1], s[0:1], vcc
	s_or_b64 vcc, s[0:1], s[2:3]
	v_cndmask_b32_e32 v1, v9, v1, vcc
	v_add_co_u32_e64 v1, s[0:1], v10, v1
	v_addc_co_u32_e64 v2, s[0:1], 0, v11, s[0:1]
	s_or_b64 s[0:1], vcc, s[8:9]
	v_mov_b32_dpp v6, v1 quad_perm:[1,0,3,2] row_mask:0xf bank_mask:0xf bound_ctrl:1
	v_mov_b32_dpp v7, v2 quad_perm:[1,0,3,2] row_mask:0xf bank_mask:0xf bound_ctrl:1
	v_cndmask_b32_e64 v4, 0, 1, s[0:1]
	v_cmp_lt_i64_e32 vcc, v[1:2], v[6:7]
	s_and_b64 vcc, s[0:1], vcc
	v_mov_b32_dpp v8, v4 quad_perm:[1,0,3,2] row_mask:0xf bank_mask:0xf bound_ctrl:1
	v_and_b32_e32 v8, 1, v8
	v_cndmask_b32_e32 v6, v6, v1, vcc
	v_cndmask_b32_e32 v7, v7, v2, vcc
	v_cmp_eq_u32_e32 vcc, 1, v8
	v_cndmask_b32_e32 v2, v2, v7, vcc
	v_cndmask_b32_e32 v1, v1, v6, vcc
	v_cndmask_b32_e64 v4, v4, 1, vcc
	v_mov_b32_dpp v7, v2 quad_perm:[2,3,0,1] row_mask:0xf bank_mask:0xf bound_ctrl:1
	v_mov_b32_dpp v6, v1 quad_perm:[2,3,0,1] row_mask:0xf bank_mask:0xf bound_ctrl:1
	v_and_b32_e32 v9, 1, v4
	v_cmp_lt_i64_e64 s[0:1], v[1:2], v[6:7]
	v_mov_b32_dpp v8, v4 quad_perm:[2,3,0,1] row_mask:0xf bank_mask:0xf bound_ctrl:1
	v_cmp_eq_u32_e32 vcc, 1, v9
	v_and_b32_e32 v8, 1, v8
	s_and_b64 vcc, vcc, s[0:1]
	v_cmp_eq_u32_e64 s[2:3], 1, v8
	v_cndmask_b32_e32 v6, v6, v1, vcc
	v_cndmask_b32_e32 v7, v7, v2, vcc
	v_cndmask_b32_e64 v1, v1, v6, s[2:3]
	v_cndmask_b32_e64 v2, v2, v7, s[2:3]
	;; [unrolled: 1-line block ×3, first 2 shown]
	v_mov_b32_dpp v6, v1 row_ror:4 row_mask:0xf bank_mask:0xf bound_ctrl:1
	v_mov_b32_dpp v7, v2 row_ror:4 row_mask:0xf bank_mask:0xf bound_ctrl:1
	v_and_b32_e32 v9, 1, v4
	v_cmp_lt_i64_e64 s[2:3], v[1:2], v[6:7]
	v_mov_b32_dpp v8, v4 row_ror:4 row_mask:0xf bank_mask:0xf bound_ctrl:1
	v_cmp_eq_u32_e32 vcc, 1, v9
	v_and_b32_e32 v8, 1, v8
	s_and_b64 vcc, vcc, s[2:3]
	v_cmp_eq_u32_e64 s[0:1], 1, v8
	v_cndmask_b32_e32 v6, v6, v1, vcc
	v_cndmask_b32_e32 v7, v7, v2, vcc
	v_cndmask_b32_e64 v1, v1, v6, s[0:1]
	v_cndmask_b32_e64 v2, v2, v7, s[0:1]
	;; [unrolled: 1-line block ×3, first 2 shown]
	v_mov_b32_dpp v6, v1 row_ror:8 row_mask:0xf bank_mask:0xf bound_ctrl:1
	v_mov_b32_dpp v7, v2 row_ror:8 row_mask:0xf bank_mask:0xf bound_ctrl:1
	v_and_b32_e32 v9, 1, v4
	v_cmp_lt_i64_e64 s[2:3], v[1:2], v[6:7]
	v_mov_b32_dpp v8, v4 row_ror:8 row_mask:0xf bank_mask:0xf bound_ctrl:1
	v_cmp_eq_u32_e64 s[8:9], 1, v9
	v_and_b32_e32 v8, 1, v8
	s_and_b64 s[2:3], s[8:9], s[2:3]
	v_cmp_eq_u32_e64 s[10:11], 1, v8
	v_cndmask_b32_e64 v6, v6, v1, s[2:3]
	v_cndmask_b32_e64 v7, v7, v2, s[2:3]
	;; [unrolled: 1-line block ×5, first 2 shown]
	v_mov_b32_dpp v6, v1 row_bcast:15 row_mask:0xf bank_mask:0xf bound_ctrl:1
	v_mov_b32_dpp v7, v2 row_bcast:15 row_mask:0xf bank_mask:0xf bound_ctrl:1
	v_and_b32_e32 v9, 1, v4
	v_cmp_lt_i64_e64 s[2:3], v[1:2], v[6:7]
	v_mov_b32_dpp v8, v4 row_bcast:15 row_mask:0xf bank_mask:0xf bound_ctrl:1
	v_cmp_eq_u32_e32 vcc, 1, v9
	v_and_b32_e32 v8, 1, v8
	s_and_b64 vcc, vcc, s[2:3]
	v_cmp_eq_u32_e64 s[0:1], 1, v8
	v_cndmask_b32_e32 v6, v6, v1, vcc
	v_cndmask_b32_e32 v7, v7, v2, vcc
	v_cndmask_b32_e64 v4, v4, 1, s[0:1]
	v_cndmask_b32_e64 v1, v1, v6, s[0:1]
	;; [unrolled: 1-line block ×3, first 2 shown]
	v_mov_b32_dpp v8, v4 row_bcast:31 row_mask:0xf bank_mask:0xf bound_ctrl:1
	v_mov_b32_dpp v6, v1 row_bcast:31 row_mask:0xf bank_mask:0xf bound_ctrl:1
	;; [unrolled: 1-line block ×3, first 2 shown]
	v_and_b32_e32 v9, 1, v4
	v_and_b32_e32 v8, 1, v8
	v_cmp_lt_i64_e32 vcc, v[1:2], v[6:7]
	v_cmp_eq_u32_e64 s[12:13], 1, v9
	v_cmp_eq_u32_e64 s[8:9], 1, v8
	v_cndmask_b32_e64 v4, v4, 1, s[8:9]
	s_and_b64 vcc, s[12:13], vcc
	ds_bpermute_b32 v9, v12, v4
	v_cndmask_b32_e32 v4, v6, v1, vcc
	v_cndmask_b32_e32 v6, v7, v2, vcc
	v_cndmask_b32_e64 v1, v1, v4, s[8:9]
	v_cndmask_b32_e64 v2, v2, v6, s[8:9]
	ds_bpermute_b32 v1, v12, v1
	ds_bpermute_b32 v2, v12, v2
	v_cmp_eq_u32_e32 vcc, 0, v3
	s_and_saveexec_b64 s[0:1], vcc
	s_cbranch_execz .LBB455_20
; %bb.19:
	v_lshrrev_b32_e32 v4, 2, v0
	v_and_b32_e32 v4, 16, v4
	s_waitcnt lgkmcnt(2)
	ds_write_b8 v4, v9 offset:64
	s_waitcnt lgkmcnt(1)
	ds_write_b64 v4, v[1:2] offset:72
.LBB455_20:
	s_or_b64 exec, exec, s[0:1]
	v_cmp_gt_u32_e32 vcc, 64, v0
	s_waitcnt lgkmcnt(0)
	s_barrier
	s_and_saveexec_b64 s[0:1], vcc
	s_cbranch_execz .LBB455_26
; %bb.21:
	v_and_b32_e32 v1, 1, v3
	v_lshlrev_b32_e32 v1, 4, v1
	ds_read_u8 v7, v1 offset:64
	ds_read_b64 v[3:4], v1 offset:72
	v_or_b32_e32 v2, 4, v5
	s_waitcnt lgkmcnt(1)
	v_and_b32_e32 v1, 0xff, v7
	ds_bpermute_b32 v8, v2, v1
	s_waitcnt lgkmcnt(1)
	ds_bpermute_b32 v5, v2, v3
	ds_bpermute_b32 v6, v2, v4
	s_waitcnt lgkmcnt(2)
	v_and_b32_e32 v1, v7, v8
	v_and_b32_e32 v1, 1, v1
	v_cmp_eq_u32_e32 vcc, 1, v1
                                        ; implicit-def: $vgpr1_vgpr2
	s_and_saveexec_b64 s[2:3], vcc
	s_xor_b64 s[2:3], exec, s[2:3]
	s_cbranch_execz .LBB455_23
; %bb.22:
	s_waitcnt lgkmcnt(0)
	v_cmp_lt_i64_e32 vcc, v[5:6], v[3:4]
                                        ; implicit-def: $vgpr7
                                        ; implicit-def: $vgpr8
	v_cndmask_b32_e32 v2, v4, v6, vcc
	v_cndmask_b32_e32 v1, v3, v5, vcc
                                        ; implicit-def: $vgpr5_vgpr6
                                        ; implicit-def: $vgpr3_vgpr4
.LBB455_23:
	s_or_saveexec_b64 s[2:3], s[2:3]
	v_mov_b32_e32 v9, 1
	s_xor_b64 exec, exec, s[2:3]
	s_cbranch_execz .LBB455_25
; %bb.24:
	v_and_b32_e32 v1, 1, v7
	v_cmp_eq_u32_e32 vcc, 1, v1
	s_waitcnt lgkmcnt(0)
	v_cndmask_b32_e32 v2, v6, v4, vcc
	v_cndmask_b32_e32 v1, v5, v3, vcc
	v_cndmask_b32_e64 v9, v8, 1, vcc
.LBB455_25:
	s_or_b64 exec, exec, s[2:3]
.LBB455_26:
	s_or_b64 exec, exec, s[0:1]
	s_branch .LBB455_214
.LBB455_27:
                                        ; implicit-def: $vgpr3_vgpr4
                                        ; implicit-def: $vgpr5
                                        ; implicit-def: $vgpr1_vgpr2
	s_branch .LBB455_306
.LBB455_28:
                                        ; implicit-def: $vgpr1_vgpr2
                                        ; implicit-def: $vgpr17
	s_cbranch_execz .LBB455_145
; %bb.29:
	s_sub_i32 s34, s22, s12
	v_mov_b32_e32 v15, 0
	v_mov_b32_e32 v1, 0
	v_cmp_gt_u32_e32 vcc, s34, v0
	v_mov_b32_e32 v24, 0
	v_mov_b32_e32 v16, 0
	;; [unrolled: 1-line block ×4, first 2 shown]
	s_and_saveexec_b64 s[0:1], vcc
	s_cbranch_execz .LBB455_31
; %bb.30:
	global_load_ubyte v3, v0, s[16:17]
	v_mov_b32_e32 v2, s36
	v_add_co_u32_e32 v1, vcc, s35, v0
	s_and_b32 s2, s31, 0xff
	v_addc_co_u32_e32 v2, vcc, 0, v2, vcc
	s_waitcnt vmcnt(0)
	v_cmp_eq_u16_e32 vcc, s2, v3
	v_cndmask_b32_e64 v17, 0, 1, vcc
.LBB455_31:
	s_or_b64 exec, exec, s[0:1]
	v_or_b32_e32 v3, 0x80, v0
	v_cmp_gt_u32_e64 s[14:15], s34, v3
	s_and_saveexec_b64 s[0:1], s[14:15]
	s_cbranch_execz .LBB455_33
; %bb.32:
	global_load_ubyte v4, v0, s[16:17] offset:128
	s_waitcnt lgkmcnt(1)
	v_mov_b32_e32 v5, s36
	v_add_co_u32_e32 v15, vcc, s35, v3
	s_and_b32 s2, s31, 0xff
	v_addc_co_u32_e32 v16, vcc, 0, v5, vcc
	s_waitcnt vmcnt(0)
	v_cmp_eq_u16_e32 vcc, s2, v4
	v_cndmask_b32_e64 v24, 0, 1, vcc
.LBB455_33:
	s_or_b64 exec, exec, s[0:1]
	v_or_b32_e32 v3, 0x100, v0
	v_mov_b32_e32 v11, 0
	v_mov_b32_e32 v13, 0
	v_cmp_gt_u32_e64 s[12:13], s34, v3
	v_mov_b32_e32 v22, 0
	v_mov_b32_e32 v12, 0
	;; [unrolled: 1-line block ×4, first 2 shown]
	s_and_saveexec_b64 s[0:1], s[12:13]
	s_cbranch_execz .LBB455_35
; %bb.34:
	global_load_ubyte v4, v0, s[16:17] offset:256
	s_waitcnt lgkmcnt(1)
	v_mov_b32_e32 v5, s36
	v_add_co_u32_e32 v13, vcc, s35, v3
	s_and_b32 s2, s31, 0xff
	v_addc_co_u32_e32 v14, vcc, 0, v5, vcc
	s_waitcnt vmcnt(0)
	v_cmp_eq_u16_e32 vcc, s2, v4
	v_cndmask_b32_e64 v23, 0, 1, vcc
.LBB455_35:
	s_or_b64 exec, exec, s[0:1]
	v_or_b32_e32 v3, 0x180, v0
	v_cmp_gt_u32_e64 s[10:11], s34, v3
	s_and_saveexec_b64 s[0:1], s[10:11]
	s_cbranch_execz .LBB455_37
; %bb.36:
	global_load_ubyte v4, v0, s[16:17] offset:384
	s_waitcnt lgkmcnt(1)
	v_mov_b32_e32 v5, s36
	v_add_co_u32_e32 v11, vcc, s35, v3
	s_and_b32 s2, s31, 0xff
	v_addc_co_u32_e32 v12, vcc, 0, v5, vcc
	s_waitcnt vmcnt(0)
	v_cmp_eq_u16_e32 vcc, s2, v4
	v_cndmask_b32_e64 v22, 0, 1, vcc
.LBB455_37:
	s_or_b64 exec, exec, s[0:1]
	v_or_b32_e32 v3, 0x200, v0
	v_mov_b32_e32 v7, 0
	v_mov_b32_e32 v9, 0
	v_cmp_gt_u32_e64 s[8:9], s34, v3
	v_mov_b32_e32 v20, 0
	v_mov_b32_e32 v8, 0
	;; [unrolled: 1-line block ×4, first 2 shown]
	s_and_saveexec_b64 s[0:1], s[8:9]
	s_cbranch_execz .LBB455_39
; %bb.38:
	global_load_ubyte v4, v0, s[16:17] offset:512
	s_waitcnt lgkmcnt(1)
	v_mov_b32_e32 v5, s36
	v_add_co_u32_e32 v9, vcc, s35, v3
	s_and_b32 s2, s31, 0xff
	v_addc_co_u32_e32 v10, vcc, 0, v5, vcc
	s_waitcnt vmcnt(0)
	v_cmp_eq_u16_e32 vcc, s2, v4
	v_cndmask_b32_e64 v21, 0, 1, vcc
.LBB455_39:
	s_or_b64 exec, exec, s[0:1]
	v_or_b32_e32 v3, 0x280, v0
	v_cmp_gt_u32_e64 s[2:3], s34, v3
	s_and_saveexec_b64 s[0:1], s[2:3]
	s_cbranch_execz .LBB455_41
; %bb.40:
	global_load_ubyte v4, v0, s[16:17] offset:640
	s_waitcnt lgkmcnt(1)
	v_mov_b32_e32 v5, s36
	v_add_co_u32_e32 v7, vcc, s35, v3
	s_and_b32 s28, s31, 0xff
	v_addc_co_u32_e32 v8, vcc, 0, v5, vcc
	s_waitcnt vmcnt(0)
	v_cmp_eq_u16_e32 vcc, s28, v4
	v_cndmask_b32_e64 v20, 0, 1, vcc
.LBB455_41:
	s_or_b64 exec, exec, s[0:1]
	v_or_b32_e32 v25, 0x300, v0
	v_mov_b32_e32 v3, 0
	s_waitcnt lgkmcnt(0)
	v_mov_b32_e32 v5, 0
	v_cmp_gt_u32_e64 s[0:1], s34, v25
	v_mov_b32_e32 v4, 0
	v_mov_b32_e32 v18, 0
	;; [unrolled: 1-line block ×4, first 2 shown]
	s_and_saveexec_b64 s[28:29], s[0:1]
	s_cbranch_execz .LBB455_43
; %bb.42:
	global_load_ubyte v19, v0, s[16:17] offset:768
	v_mov_b32_e32 v6, s36
	v_add_co_u32_e32 v5, vcc, s35, v25
	s_and_b32 s37, s31, 0xff
	v_addc_co_u32_e32 v6, vcc, 0, v6, vcc
	s_waitcnt vmcnt(0)
	v_cmp_eq_u16_e32 vcc, s37, v19
	v_cndmask_b32_e64 v19, 0, 1, vcc
.LBB455_43:
	s_or_b64 exec, exec, s[28:29]
	v_or_b32_e32 v25, 0x380, v0
	v_cmp_gt_u32_e32 vcc, s34, v25
	s_and_saveexec_b64 s[28:29], vcc
	s_cbranch_execnz .LBB455_62
; %bb.44:
	s_or_b64 exec, exec, s[28:29]
	s_and_saveexec_b64 s[28:29], s[14:15]
	s_cbranch_execnz .LBB455_63
.LBB455_45:
	s_or_b64 exec, exec, s[28:29]
	s_and_saveexec_b64 s[16:17], s[12:13]
	s_cbranch_execnz .LBB455_68
.LBB455_46:
	s_or_b64 exec, exec, s[16:17]
	s_and_saveexec_b64 s[14:15], s[10:11]
	s_cbranch_execnz .LBB455_73
.LBB455_47:
	s_or_b64 exec, exec, s[14:15]
	s_and_saveexec_b64 s[12:13], s[8:9]
	s_cbranch_execnz .LBB455_78
.LBB455_48:
	s_or_b64 exec, exec, s[12:13]
	s_and_saveexec_b64 s[10:11], s[2:3]
	s_cbranch_execnz .LBB455_83
.LBB455_49:
	s_or_b64 exec, exec, s[10:11]
	s_and_saveexec_b64 s[8:9], s[0:1]
	s_cbranch_execnz .LBB455_88
.LBB455_50:
	s_or_b64 exec, exec, s[8:9]
	s_and_saveexec_b64 s[2:3], vcc
	s_cbranch_execnz .LBB455_93
	s_branch .LBB455_98
.LBB455_51:
                                        ; implicit-def: $vgpr1_vgpr2
                                        ; implicit-def: $vgpr9
	s_cbranch_execz .LBB455_214
; %bb.52:
	s_sub_i32 s12, s22, s28
	s_waitcnt lgkmcnt(1)
	v_mov_b32_e32 v7, 0
	v_mov_b32_e32 v1, 0
	v_cmp_gt_u32_e32 vcc, s12, v0
	v_mov_b32_e32 v12, 0
	v_mov_b32_e32 v8, 0
	;; [unrolled: 1-line block ×4, first 2 shown]
	s_and_saveexec_b64 s[0:1], vcc
	s_cbranch_execz .LBB455_54
; %bb.53:
	global_load_ubyte v3, v0, s[16:17]
	v_mov_b32_e32 v2, s27
	v_add_co_u32_e32 v1, vcc, s26, v0
	s_and_b32 s2, s31, 0xff
	v_addc_co_u32_e32 v2, vcc, 0, v2, vcc
	s_waitcnt vmcnt(0)
	v_cmp_eq_u16_e32 vcc, s2, v3
	v_cndmask_b32_e64 v9, 0, 1, vcc
.LBB455_54:
	s_or_b64 exec, exec, s[0:1]
	v_or_b32_e32 v3, 0x80, v0
	v_cmp_gt_u32_e64 s[2:3], s12, v3
	s_and_saveexec_b64 s[0:1], s[2:3]
	s_cbranch_execz .LBB455_56
; %bb.55:
	s_waitcnt lgkmcnt(0)
	global_load_ubyte v4, v0, s[16:17] offset:128
	v_mov_b32_e32 v5, s27
	v_add_co_u32_e32 v7, vcc, s26, v3
	s_and_b32 s8, s31, 0xff
	v_addc_co_u32_e32 v8, vcc, 0, v5, vcc
	s_waitcnt vmcnt(0)
	v_cmp_eq_u16_e32 vcc, s8, v4
	v_cndmask_b32_e64 v12, 0, 1, vcc
.LBB455_56:
	s_or_b64 exec, exec, s[0:1]
	v_or_b32_e32 v13, 0x100, v0
	s_waitcnt lgkmcnt(0)
	v_mov_b32_e32 v3, 0
	v_mov_b32_e32 v5, 0
	v_cmp_gt_u32_e64 s[0:1], s12, v13
	v_mov_b32_e32 v10, 0
	v_mov_b32_e32 v4, 0
	;; [unrolled: 1-line block ×4, first 2 shown]
	s_and_saveexec_b64 s[8:9], s[0:1]
	s_cbranch_execz .LBB455_58
; %bb.57:
	global_load_ubyte v11, v0, s[16:17] offset:256
	v_mov_b32_e32 v6, s27
	v_add_co_u32_e32 v5, vcc, s26, v13
	s_and_b32 s10, s31, 0xff
	v_addc_co_u32_e32 v6, vcc, 0, v6, vcc
	s_waitcnt vmcnt(0)
	v_cmp_eq_u16_e32 vcc, s10, v11
	v_cndmask_b32_e64 v11, 0, 1, vcc
.LBB455_58:
	s_or_b64 exec, exec, s[8:9]
	v_or_b32_e32 v13, 0x180, v0
	v_cmp_gt_u32_e32 vcc, s12, v13
	s_and_saveexec_b64 s[10:11], vcc
	s_cbranch_execnz .LBB455_151
; %bb.59:
	s_or_b64 exec, exec, s[10:11]
	s_and_saveexec_b64 s[10:11], s[2:3]
	s_cbranch_execnz .LBB455_152
.LBB455_60:
	s_or_b64 exec, exec, s[10:11]
	s_and_saveexec_b64 s[8:9], s[0:1]
	s_cbranch_execnz .LBB455_157
.LBB455_61:
	s_or_b64 exec, exec, s[8:9]
	s_and_saveexec_b64 s[2:3], vcc
	s_cbranch_execnz .LBB455_162
	s_branch .LBB455_167
.LBB455_62:
	global_load_ubyte v18, v0, s[16:17] offset:896
	v_mov_b32_e32 v4, s36
	v_add_co_u32_e64 v3, s[16:17], s35, v25
	s_and_b32 s36, s31, 0xff
	v_addc_co_u32_e64 v4, s[16:17], 0, v4, s[16:17]
	s_waitcnt vmcnt(0)
	v_cmp_eq_u16_e64 s[16:17], s36, v18
	v_cndmask_b32_e64 v18, 0, 1, s[16:17]
	s_or_b64 exec, exec, s[28:29]
	s_and_saveexec_b64 s[28:29], s[14:15]
	s_cbranch_execz .LBB455_45
.LBB455_63:
	v_and_b32_e32 v17, 1, v17
	v_cmp_eq_u32_e64 s[14:15], 1, v17
	v_and_b32_e32 v17, 1, v24
	v_cmp_eq_u32_e64 s[16:17], 1, v17
	s_and_b64 s[16:17], s[14:15], s[16:17]
	s_xor_b64 s[16:17], s[16:17], -1
                                        ; implicit-def: $vgpr17
	s_and_saveexec_b64 s[36:37], s[16:17]
	s_xor_b64 s[16:17], exec, s[36:37]
; %bb.64:
	v_and_b32_e32 v17, 0xffff, v24
	v_cndmask_b32_e64 v17, v17, 1, s[14:15]
	v_cndmask_b32_e64 v2, v16, v2, s[14:15]
	;; [unrolled: 1-line block ×3, first 2 shown]
                                        ; implicit-def: $vgpr15_vgpr16
; %bb.65:
	s_andn2_saveexec_b64 s[16:17], s[16:17]
; %bb.66:
	v_cmp_lt_i64_e64 s[14:15], v[15:16], v[1:2]
	v_mov_b32_e32 v17, 1
	v_cndmask_b32_e64 v2, v2, v16, s[14:15]
	v_cndmask_b32_e64 v1, v1, v15, s[14:15]
; %bb.67:
	s_or_b64 exec, exec, s[16:17]
	s_or_b64 exec, exec, s[28:29]
	s_and_saveexec_b64 s[16:17], s[12:13]
	s_cbranch_execz .LBB455_46
.LBB455_68:
	v_and_b32_e32 v15, 1, v17
	v_cmp_eq_u32_e64 s[12:13], 1, v15
	v_and_b32_e32 v15, 1, v23
	v_cmp_eq_u32_e64 s[14:15], 1, v15
	s_and_b64 s[14:15], s[12:13], s[14:15]
	s_xor_b64 s[14:15], s[14:15], -1
                                        ; implicit-def: $vgpr17
	s_and_saveexec_b64 s[28:29], s[14:15]
	s_xor_b64 s[14:15], exec, s[28:29]
; %bb.69:
	v_and_b32_e32 v15, 0xffff, v23
	v_cndmask_b32_e64 v17, v15, 1, s[12:13]
	v_cndmask_b32_e64 v2, v14, v2, s[12:13]
	;; [unrolled: 1-line block ×3, first 2 shown]
                                        ; implicit-def: $vgpr13_vgpr14
; %bb.70:
	s_andn2_saveexec_b64 s[14:15], s[14:15]
; %bb.71:
	v_cmp_lt_i64_e64 s[12:13], v[13:14], v[1:2]
	v_mov_b32_e32 v17, 1
	v_cndmask_b32_e64 v2, v2, v14, s[12:13]
	v_cndmask_b32_e64 v1, v1, v13, s[12:13]
; %bb.72:
	s_or_b64 exec, exec, s[14:15]
	s_or_b64 exec, exec, s[16:17]
	s_and_saveexec_b64 s[14:15], s[10:11]
	s_cbranch_execz .LBB455_47
.LBB455_73:
	v_and_b32_e32 v13, 1, v17
	v_cmp_eq_u32_e64 s[10:11], 1, v13
	v_and_b32_e32 v13, 1, v22
	v_cmp_eq_u32_e64 s[12:13], 1, v13
	s_and_b64 s[12:13], s[10:11], s[12:13]
	s_xor_b64 s[12:13], s[12:13], -1
                                        ; implicit-def: $vgpr17
	s_and_saveexec_b64 s[16:17], s[12:13]
	s_xor_b64 s[12:13], exec, s[16:17]
; %bb.74:
	v_and_b32_e32 v13, 0xffff, v22
	v_cndmask_b32_e64 v17, v13, 1, s[10:11]
	v_cndmask_b32_e64 v2, v12, v2, s[10:11]
	v_cndmask_b32_e64 v1, v11, v1, s[10:11]
                                        ; implicit-def: $vgpr11_vgpr12
; %bb.75:
	s_andn2_saveexec_b64 s[12:13], s[12:13]
; %bb.76:
	v_cmp_lt_i64_e64 s[10:11], v[11:12], v[1:2]
	v_mov_b32_e32 v17, 1
	v_cndmask_b32_e64 v2, v2, v12, s[10:11]
	v_cndmask_b32_e64 v1, v1, v11, s[10:11]
; %bb.77:
	s_or_b64 exec, exec, s[12:13]
	s_or_b64 exec, exec, s[14:15]
	s_and_saveexec_b64 s[12:13], s[8:9]
	s_cbranch_execz .LBB455_48
.LBB455_78:
	v_and_b32_e32 v11, 1, v17
	v_cmp_eq_u32_e64 s[8:9], 1, v11
	v_and_b32_e32 v11, 1, v21
	v_cmp_eq_u32_e64 s[10:11], 1, v11
	s_and_b64 s[10:11], s[8:9], s[10:11]
	s_xor_b64 s[10:11], s[10:11], -1
                                        ; implicit-def: $vgpr17
	s_and_saveexec_b64 s[14:15], s[10:11]
	s_xor_b64 s[10:11], exec, s[14:15]
; %bb.79:
	v_and_b32_e32 v11, 0xffff, v21
	v_cndmask_b32_e64 v17, v11, 1, s[8:9]
	v_cndmask_b32_e64 v2, v10, v2, s[8:9]
	;; [unrolled: 1-line block ×3, first 2 shown]
                                        ; implicit-def: $vgpr9_vgpr10
; %bb.80:
	s_andn2_saveexec_b64 s[10:11], s[10:11]
; %bb.81:
	v_cmp_lt_i64_e64 s[8:9], v[9:10], v[1:2]
	v_mov_b32_e32 v17, 1
	v_cndmask_b32_e64 v2, v2, v10, s[8:9]
	v_cndmask_b32_e64 v1, v1, v9, s[8:9]
; %bb.82:
	s_or_b64 exec, exec, s[10:11]
	s_or_b64 exec, exec, s[12:13]
	s_and_saveexec_b64 s[10:11], s[2:3]
	s_cbranch_execz .LBB455_49
.LBB455_83:
	v_and_b32_e32 v9, 1, v17
	v_cmp_eq_u32_e64 s[2:3], 1, v9
	v_and_b32_e32 v9, 1, v20
	v_cmp_eq_u32_e64 s[8:9], 1, v9
	s_and_b64 s[8:9], s[2:3], s[8:9]
	s_xor_b64 s[8:9], s[8:9], -1
                                        ; implicit-def: $vgpr17
	s_and_saveexec_b64 s[12:13], s[8:9]
	s_xor_b64 s[8:9], exec, s[12:13]
; %bb.84:
	v_and_b32_e32 v9, 0xffff, v20
	v_cndmask_b32_e64 v17, v9, 1, s[2:3]
	v_cndmask_b32_e64 v2, v8, v2, s[2:3]
	;; [unrolled: 1-line block ×3, first 2 shown]
                                        ; implicit-def: $vgpr7_vgpr8
; %bb.85:
	s_andn2_saveexec_b64 s[8:9], s[8:9]
; %bb.86:
	v_cmp_lt_i64_e64 s[2:3], v[7:8], v[1:2]
	v_mov_b32_e32 v17, 1
	v_cndmask_b32_e64 v2, v2, v8, s[2:3]
	v_cndmask_b32_e64 v1, v1, v7, s[2:3]
; %bb.87:
	s_or_b64 exec, exec, s[8:9]
	s_or_b64 exec, exec, s[10:11]
	s_and_saveexec_b64 s[8:9], s[0:1]
	s_cbranch_execz .LBB455_50
.LBB455_88:
	v_and_b32_e32 v7, 1, v17
	v_cmp_eq_u32_e64 s[0:1], 1, v7
	v_and_b32_e32 v7, 1, v19
	v_cmp_eq_u32_e64 s[2:3], 1, v7
	s_and_b64 s[2:3], s[0:1], s[2:3]
	s_xor_b64 s[2:3], s[2:3], -1
                                        ; implicit-def: $vgpr17
	s_and_saveexec_b64 s[10:11], s[2:3]
	s_xor_b64 s[2:3], exec, s[10:11]
; %bb.89:
	v_and_b32_e32 v7, 0xffff, v19
	v_cndmask_b32_e64 v17, v7, 1, s[0:1]
	v_cndmask_b32_e64 v2, v6, v2, s[0:1]
	;; [unrolled: 1-line block ×3, first 2 shown]
                                        ; implicit-def: $vgpr5_vgpr6
; %bb.90:
	s_andn2_saveexec_b64 s[2:3], s[2:3]
; %bb.91:
	v_cmp_lt_i64_e64 s[0:1], v[5:6], v[1:2]
	v_mov_b32_e32 v17, 1
	v_cndmask_b32_e64 v2, v2, v6, s[0:1]
	v_cndmask_b32_e64 v1, v1, v5, s[0:1]
; %bb.92:
	s_or_b64 exec, exec, s[2:3]
	s_or_b64 exec, exec, s[8:9]
	s_and_saveexec_b64 s[2:3], vcc
	s_cbranch_execz .LBB455_98
.LBB455_93:
	v_and_b32_e32 v5, 1, v17
	v_cmp_eq_u32_e32 vcc, 1, v5
	v_and_b32_e32 v5, 1, v18
	v_cmp_eq_u32_e64 s[0:1], 1, v5
	s_and_b64 s[0:1], vcc, s[0:1]
	s_xor_b64 s[0:1], s[0:1], -1
                                        ; implicit-def: $vgpr17
	s_and_saveexec_b64 s[8:9], s[0:1]
	s_xor_b64 s[0:1], exec, s[8:9]
; %bb.94:
	v_and_b32_e32 v5, 0xffff, v18
	v_cndmask_b32_e64 v17, v5, 1, vcc
	v_cndmask_b32_e32 v2, v4, v2, vcc
	v_cndmask_b32_e32 v1, v3, v1, vcc
                                        ; implicit-def: $vgpr3_vgpr4
; %bb.95:
	s_andn2_saveexec_b64 s[0:1], s[0:1]
; %bb.96:
	v_cmp_lt_i64_e32 vcc, v[3:4], v[1:2]
	v_mov_b32_e32 v17, 1
	v_cndmask_b32_e32 v2, v2, v4, vcc
	v_cndmask_b32_e32 v1, v1, v3, vcc
; %bb.97:
	s_or_b64 exec, exec, s[0:1]
.LBB455_98:
	s_or_b64 exec, exec, s[2:3]
	v_mbcnt_lo_u32_b32 v3, -1, 0
	v_mbcnt_hi_u32_b32 v5, -1, v3
	v_and_b32_e32 v6, 63, v5
	v_cmp_ne_u32_e32 vcc, 63, v6
	v_addc_co_u32_e32 v3, vcc, 0, v5, vcc
	v_lshlrev_b32_e32 v4, 2, v3
	ds_bpermute_b32 v8, v4, v17
	ds_bpermute_b32 v3, v4, v1
	;; [unrolled: 1-line block ×3, first 2 shown]
	s_min_u32 s8, s34, 0x80
	v_and_b32_e32 v7, 64, v0
	v_sub_u32_e64 v7, s8, v7 clamp
	v_add_u32_e32 v9, 1, v6
	v_cmp_lt_u32_e32 vcc, v9, v7
	s_and_saveexec_b64 s[0:1], vcc
	s_xor_b64 s[0:1], exec, s[0:1]
	s_cbranch_execz .LBB455_104
; %bb.99:
	s_waitcnt lgkmcnt(2)
	v_and_b32_e32 v9, v8, v17
	v_cmp_ne_u32_e32 vcc, 0, v9
	s_and_saveexec_b64 s[2:3], vcc
	s_xor_b64 s[2:3], exec, s[2:3]
	s_cbranch_execz .LBB455_101
; %bb.100:
	s_waitcnt lgkmcnt(0)
	v_cmp_lt_i64_e32 vcc, v[3:4], v[1:2]
                                        ; implicit-def: $vgpr17
                                        ; implicit-def: $vgpr8
	v_cndmask_b32_e32 v2, v2, v4, vcc
	v_cndmask_b32_e32 v1, v1, v3, vcc
                                        ; implicit-def: $vgpr3_vgpr4
.LBB455_101:
	s_or_saveexec_b64 s[2:3], s[2:3]
	v_mov_b32_e32 v9, 1
	s_xor_b64 exec, exec, s[2:3]
	s_cbranch_execz .LBB455_103
; %bb.102:
	v_and_b32_e32 v9, 1, v17
	v_cmp_eq_u32_e32 vcc, 1, v9
	s_waitcnt lgkmcnt(1)
	v_cndmask_b32_e32 v1, v3, v1, vcc
	v_and_b32_e32 v3, 0xff, v8
	s_waitcnt lgkmcnt(0)
	v_cndmask_b32_e32 v2, v4, v2, vcc
	v_cndmask_b32_e64 v9, v3, 1, vcc
.LBB455_103:
	s_or_b64 exec, exec, s[2:3]
	v_mov_b32_e32 v17, v9
.LBB455_104:
	s_or_b64 exec, exec, s[0:1]
	v_cmp_gt_u32_e32 vcc, 62, v6
	s_waitcnt lgkmcnt(1)
	v_cndmask_b32_e64 v3, 0, 2, vcc
	s_waitcnt lgkmcnt(0)
	v_add_lshl_u32 v4, v3, v5, 2
	ds_bpermute_b32 v8, v4, v17
	ds_bpermute_b32 v3, v4, v1
	ds_bpermute_b32 v4, v4, v2
	v_add_u32_e32 v9, 2, v6
	v_cmp_lt_u32_e32 vcc, v9, v7
	s_and_saveexec_b64 s[0:1], vcc
	s_cbranch_execz .LBB455_110
; %bb.105:
	s_waitcnt lgkmcnt(2)
	v_and_b32_e32 v9, v17, v8
	v_and_b32_e32 v9, 1, v9
	v_cmp_eq_u32_e32 vcc, 1, v9
	s_and_saveexec_b64 s[2:3], vcc
	s_xor_b64 s[2:3], exec, s[2:3]
	s_cbranch_execz .LBB455_107
; %bb.106:
	s_waitcnt lgkmcnt(0)
	v_cmp_lt_i64_e32 vcc, v[3:4], v[1:2]
                                        ; implicit-def: $vgpr17
                                        ; implicit-def: $vgpr8
	v_cndmask_b32_e32 v2, v2, v4, vcc
	v_cndmask_b32_e32 v1, v1, v3, vcc
                                        ; implicit-def: $vgpr3_vgpr4
.LBB455_107:
	s_or_saveexec_b64 s[2:3], s[2:3]
	v_mov_b32_e32 v9, 1
	s_xor_b64 exec, exec, s[2:3]
	s_cbranch_execz .LBB455_109
; %bb.108:
	v_and_b32_e32 v9, 1, v17
	v_cmp_eq_u32_e32 vcc, 1, v9
	s_waitcnt lgkmcnt(1)
	v_cndmask_b32_e32 v1, v3, v1, vcc
	v_and_b32_e32 v3, 0xff, v8
	s_waitcnt lgkmcnt(0)
	v_cndmask_b32_e32 v2, v4, v2, vcc
	v_cndmask_b32_e64 v9, v3, 1, vcc
.LBB455_109:
	s_or_b64 exec, exec, s[2:3]
	v_mov_b32_e32 v17, v9
.LBB455_110:
	s_or_b64 exec, exec, s[0:1]
	v_cmp_gt_u32_e32 vcc, 60, v6
	s_waitcnt lgkmcnt(1)
	v_cndmask_b32_e64 v3, 0, 4, vcc
	s_waitcnt lgkmcnt(0)
	v_add_lshl_u32 v4, v3, v5, 2
	ds_bpermute_b32 v8, v4, v17
	ds_bpermute_b32 v3, v4, v1
	ds_bpermute_b32 v4, v4, v2
	v_add_u32_e32 v9, 4, v6
	v_cmp_lt_u32_e32 vcc, v9, v7
	s_and_saveexec_b64 s[0:1], vcc
	s_cbranch_execz .LBB455_116
; %bb.111:
	s_waitcnt lgkmcnt(2)
	v_and_b32_e32 v9, v17, v8
	v_and_b32_e32 v9, 1, v9
	v_cmp_eq_u32_e32 vcc, 1, v9
	s_and_saveexec_b64 s[2:3], vcc
	s_xor_b64 s[2:3], exec, s[2:3]
	s_cbranch_execz .LBB455_113
; %bb.112:
	s_waitcnt lgkmcnt(0)
	v_cmp_lt_i64_e32 vcc, v[3:4], v[1:2]
                                        ; implicit-def: $vgpr17
                                        ; implicit-def: $vgpr8
	v_cndmask_b32_e32 v2, v2, v4, vcc
	v_cndmask_b32_e32 v1, v1, v3, vcc
                                        ; implicit-def: $vgpr3_vgpr4
.LBB455_113:
	s_or_saveexec_b64 s[2:3], s[2:3]
	v_mov_b32_e32 v9, 1
	s_xor_b64 exec, exec, s[2:3]
	s_cbranch_execz .LBB455_115
; %bb.114:
	v_and_b32_e32 v9, 1, v17
	v_cmp_eq_u32_e32 vcc, 1, v9
	s_waitcnt lgkmcnt(1)
	v_cndmask_b32_e32 v1, v3, v1, vcc
	v_and_b32_e32 v3, 0xff, v8
	s_waitcnt lgkmcnt(0)
	v_cndmask_b32_e32 v2, v4, v2, vcc
	v_cndmask_b32_e64 v9, v3, 1, vcc
.LBB455_115:
	s_or_b64 exec, exec, s[2:3]
	v_mov_b32_e32 v17, v9
.LBB455_116:
	;; [unrolled: 47-line block ×4, first 2 shown]
	s_or_b64 exec, exec, s[0:1]
	s_waitcnt lgkmcnt(2)
	v_lshlrev_b32_e32 v8, 2, v5
	s_waitcnt lgkmcnt(0)
	v_or_b32_e32 v4, 0x80, v8
	ds_bpermute_b32 v9, v4, v17
	ds_bpermute_b32 v3, v4, v1
	;; [unrolled: 1-line block ×3, first 2 shown]
	v_add_u32_e32 v6, 32, v6
	v_cmp_lt_u32_e32 vcc, v6, v7
	v_mov_b32_e32 v6, v17
	s_and_saveexec_b64 s[0:1], vcc
	s_cbranch_execz .LBB455_134
; %bb.129:
	s_waitcnt lgkmcnt(2)
	v_and_b32_e32 v6, v17, v9
	v_and_b32_e32 v6, 1, v6
	v_cmp_eq_u32_e32 vcc, 1, v6
	s_and_saveexec_b64 s[2:3], vcc
	s_xor_b64 s[2:3], exec, s[2:3]
	s_cbranch_execz .LBB455_131
; %bb.130:
	s_waitcnt lgkmcnt(0)
	v_cmp_lt_i64_e32 vcc, v[3:4], v[1:2]
                                        ; implicit-def: $vgpr17
                                        ; implicit-def: $vgpr9
	v_cndmask_b32_e32 v2, v2, v4, vcc
	v_cndmask_b32_e32 v1, v1, v3, vcc
                                        ; implicit-def: $vgpr3_vgpr4
.LBB455_131:
	s_or_saveexec_b64 s[2:3], s[2:3]
	v_mov_b32_e32 v6, 1
	s_xor_b64 exec, exec, s[2:3]
	s_cbranch_execz .LBB455_133
; %bb.132:
	v_and_b32_e32 v6, 1, v17
	v_cmp_eq_u32_e32 vcc, 1, v6
	v_cndmask_b32_e64 v6, v9, 1, vcc
	s_waitcnt lgkmcnt(0)
	v_cndmask_b32_e32 v2, v4, v2, vcc
	v_cndmask_b32_e32 v1, v3, v1, vcc
.LBB455_133:
	s_or_b64 exec, exec, s[2:3]
	v_and_b32_e32 v17, 0xff, v6
.LBB455_134:
	s_or_b64 exec, exec, s[0:1]
	v_cmp_eq_u32_e32 vcc, 0, v5
	s_and_saveexec_b64 s[0:1], vcc
	s_cbranch_execz .LBB455_136
; %bb.135:
	s_waitcnt lgkmcnt(1)
	v_lshrrev_b32_e32 v3, 2, v0
	v_and_b32_e32 v3, 16, v3
	ds_write_b8 v3, v6 offset:128
	ds_write_b64 v3, v[1:2] offset:136
.LBB455_136:
	s_or_b64 exec, exec, s[0:1]
	v_cmp_gt_u32_e32 vcc, 2, v0
	s_waitcnt lgkmcnt(0)
	s_barrier
	s_and_saveexec_b64 s[0:1], vcc
	s_cbranch_execz .LBB455_144
; %bb.137:
	v_lshlrev_b32_e32 v1, 4, v5
	ds_read_u8 v6, v1 offset:128
	ds_read_b64 v[1:2], v1 offset:136
	v_or_b32_e32 v4, 4, v8
	s_add_i32 s8, s8, 63
	v_and_b32_e32 v5, 1, v5
	s_waitcnt lgkmcnt(1)
	v_and_b32_e32 v17, 0xff, v6
	s_waitcnt lgkmcnt(0)
	ds_bpermute_b32 v3, v4, v1
	ds_bpermute_b32 v7, v4, v17
	;; [unrolled: 1-line block ×3, first 2 shown]
	s_lshr_b32 s2, s8, 6
	v_add_u32_e32 v5, 1, v5
	v_cmp_gt_u32_e32 vcc, s2, v5
	s_and_saveexec_b64 s[2:3], vcc
	s_cbranch_execz .LBB455_143
; %bb.138:
	s_waitcnt lgkmcnt(1)
	v_and_b32_e32 v5, v17, v7
	v_and_b32_e32 v5, 1, v5
	v_cmp_eq_u32_e32 vcc, 1, v5
	s_and_saveexec_b64 s[8:9], vcc
	s_xor_b64 s[8:9], exec, s[8:9]
	s_cbranch_execz .LBB455_140
; %bb.139:
	s_waitcnt lgkmcnt(0)
	v_cmp_lt_i64_e32 vcc, v[3:4], v[1:2]
                                        ; implicit-def: $vgpr6
                                        ; implicit-def: $vgpr7
	v_cndmask_b32_e32 v2, v2, v4, vcc
	v_cndmask_b32_e32 v1, v1, v3, vcc
                                        ; implicit-def: $vgpr3_vgpr4
.LBB455_140:
	s_or_saveexec_b64 s[8:9], s[8:9]
	v_mov_b32_e32 v17, 1
	s_xor_b64 exec, exec, s[8:9]
	s_cbranch_execz .LBB455_142
; %bb.141:
	v_and_b32_e32 v5, 1, v6
	v_cmp_eq_u32_e32 vcc, 1, v5
	s_waitcnt lgkmcnt(0)
	v_cndmask_b32_e32 v2, v4, v2, vcc
	v_cndmask_b32_e32 v1, v3, v1, vcc
	v_cndmask_b32_e64 v17, v7, 1, vcc
.LBB455_142:
	s_or_b64 exec, exec, s[8:9]
.LBB455_143:
	s_or_b64 exec, exec, s[2:3]
.LBB455_144:
	s_or_b64 exec, exec, s[0:1]
.LBB455_145:
	v_cmp_eq_u32_e32 vcc, 0, v0
	s_mov_b64 s[14:15], 0
                                        ; implicit-def: $vgpr3_vgpr4
                                        ; implicit-def: $vgpr5
	s_and_saveexec_b64 s[0:1], vcc
	s_xor_b64 s[8:9], exec, s[0:1]
	s_cbranch_execz .LBB455_149
; %bb.146:
	s_waitcnt lgkmcnt(0)
	v_mov_b32_e32 v3, s18
	s_cmp_eq_u64 s[22:23], 0
	v_mov_b32_e32 v4, s19
	v_mov_b32_e32 v5, s30
	s_cbranch_scc1 .LBB455_148
; %bb.147:
	v_and_b32_e32 v3, 1, v17
	v_cmp_gt_i64_e64 s[0:1], s[18:19], v[1:2]
	s_bitcmp1_b32 s30, 0
	v_cmp_eq_u32_e32 vcc, 1, v3
	s_cselect_b64 s[2:3], -1, 0
	v_mov_b32_e32 v3, s18
	s_and_b64 vcc, vcc, s[0:1]
	v_mov_b32_e32 v4, s19
	v_cndmask_b32_e32 v3, v3, v1, vcc
	v_cndmask_b32_e32 v4, v4, v2, vcc
	v_cndmask_b32_e64 v5, v17, 1, s[2:3]
	v_cndmask_b32_e64 v4, v2, v4, s[2:3]
	v_cndmask_b32_e64 v3, v1, v3, s[2:3]
.LBB455_148:
	s_mov_b64 s[14:15], exec
.LBB455_149:
	s_or_b64 exec, exec, s[8:9]
	v_mov_b32_e32 v1, s6
	v_mov_b32_e32 v2, s7
	s_and_b64 vcc, exec, s[26:27]
	s_cbranch_vccnz .LBB455_16
.LBB455_150:
	s_branch .LBB455_306
.LBB455_151:
	global_load_ubyte v10, v0, s[16:17] offset:384
	v_mov_b32_e32 v4, s27
	v_add_co_u32_e64 v3, s[8:9], s26, v13
	s_and_b32 s13, s31, 0xff
	v_addc_co_u32_e64 v4, s[8:9], 0, v4, s[8:9]
	s_waitcnt vmcnt(0)
	v_cmp_eq_u16_e64 s[8:9], s13, v10
	v_cndmask_b32_e64 v10, 0, 1, s[8:9]
	s_or_b64 exec, exec, s[10:11]
	s_and_saveexec_b64 s[10:11], s[2:3]
	s_cbranch_execz .LBB455_60
.LBB455_152:
	v_and_b32_e32 v9, 1, v9
	v_cmp_eq_u32_e64 s[2:3], 1, v9
	v_and_b32_e32 v9, 1, v12
	v_cmp_eq_u32_e64 s[8:9], 1, v9
	s_and_b64 s[8:9], s[2:3], s[8:9]
	s_xor_b64 s[8:9], s[8:9], -1
                                        ; implicit-def: $vgpr9
	s_and_saveexec_b64 s[16:17], s[8:9]
	s_xor_b64 s[8:9], exec, s[16:17]
; %bb.153:
	v_and_b32_e32 v9, 0xffff, v12
	v_cndmask_b32_e64 v9, v9, 1, s[2:3]
	v_cndmask_b32_e64 v2, v8, v2, s[2:3]
	;; [unrolled: 1-line block ×3, first 2 shown]
                                        ; implicit-def: $vgpr7_vgpr8
; %bb.154:
	s_andn2_saveexec_b64 s[8:9], s[8:9]
; %bb.155:
	v_cmp_lt_i64_e64 s[2:3], v[7:8], v[1:2]
	v_mov_b32_e32 v9, 1
	v_cndmask_b32_e64 v2, v2, v8, s[2:3]
	v_cndmask_b32_e64 v1, v1, v7, s[2:3]
; %bb.156:
	s_or_b64 exec, exec, s[8:9]
	s_or_b64 exec, exec, s[10:11]
	s_and_saveexec_b64 s[8:9], s[0:1]
	s_cbranch_execz .LBB455_61
.LBB455_157:
	v_and_b32_e32 v7, 1, v9
	v_cmp_eq_u32_e64 s[0:1], 1, v7
	v_and_b32_e32 v7, 1, v11
	v_cmp_eq_u32_e64 s[2:3], 1, v7
	s_and_b64 s[2:3], s[0:1], s[2:3]
	s_xor_b64 s[2:3], s[2:3], -1
                                        ; implicit-def: $vgpr9
	s_and_saveexec_b64 s[10:11], s[2:3]
	s_xor_b64 s[2:3], exec, s[10:11]
; %bb.158:
	v_and_b32_e32 v7, 0xffff, v11
	v_cndmask_b32_e64 v9, v7, 1, s[0:1]
	v_cndmask_b32_e64 v2, v6, v2, s[0:1]
	v_cndmask_b32_e64 v1, v5, v1, s[0:1]
                                        ; implicit-def: $vgpr5_vgpr6
; %bb.159:
	s_andn2_saveexec_b64 s[2:3], s[2:3]
; %bb.160:
	v_cmp_lt_i64_e64 s[0:1], v[5:6], v[1:2]
	v_mov_b32_e32 v9, 1
	v_cndmask_b32_e64 v2, v2, v6, s[0:1]
	v_cndmask_b32_e64 v1, v1, v5, s[0:1]
; %bb.161:
	s_or_b64 exec, exec, s[2:3]
	s_or_b64 exec, exec, s[8:9]
	s_and_saveexec_b64 s[2:3], vcc
	s_cbranch_execz .LBB455_167
.LBB455_162:
	v_and_b32_e32 v5, 1, v9
	v_cmp_eq_u32_e32 vcc, 1, v5
	v_and_b32_e32 v5, 1, v10
	v_cmp_eq_u32_e64 s[0:1], 1, v5
	s_and_b64 s[0:1], vcc, s[0:1]
	s_xor_b64 s[0:1], s[0:1], -1
                                        ; implicit-def: $vgpr9
	s_and_saveexec_b64 s[8:9], s[0:1]
	s_xor_b64 s[0:1], exec, s[8:9]
; %bb.163:
	v_and_b32_e32 v5, 0xffff, v10
	v_cndmask_b32_e64 v9, v5, 1, vcc
	v_cndmask_b32_e32 v2, v4, v2, vcc
	v_cndmask_b32_e32 v1, v3, v1, vcc
                                        ; implicit-def: $vgpr3_vgpr4
; %bb.164:
	s_andn2_saveexec_b64 s[0:1], s[0:1]
; %bb.165:
	v_cmp_lt_i64_e32 vcc, v[3:4], v[1:2]
	v_mov_b32_e32 v9, 1
	v_cndmask_b32_e32 v2, v2, v4, vcc
	v_cndmask_b32_e32 v1, v1, v3, vcc
; %bb.166:
	s_or_b64 exec, exec, s[0:1]
.LBB455_167:
	s_or_b64 exec, exec, s[2:3]
	v_mbcnt_lo_u32_b32 v3, -1, 0
	v_mbcnt_hi_u32_b32 v5, -1, v3
	v_and_b32_e32 v6, 63, v5
	v_cmp_ne_u32_e32 vcc, 63, v6
	v_addc_co_u32_e32 v3, vcc, 0, v5, vcc
	v_lshlrev_b32_e32 v4, 2, v3
	ds_bpermute_b32 v8, v4, v9
	ds_bpermute_b32 v3, v4, v1
	ds_bpermute_b32 v4, v4, v2
	s_min_u32 s8, s12, 0x80
	v_and_b32_e32 v7, 64, v0
	v_sub_u32_e64 v7, s8, v7 clamp
	v_add_u32_e32 v10, 1, v6
	v_cmp_lt_u32_e32 vcc, v10, v7
	s_and_saveexec_b64 s[0:1], vcc
	s_xor_b64 s[0:1], exec, s[0:1]
	s_cbranch_execz .LBB455_173
; %bb.168:
	s_waitcnt lgkmcnt(2)
	v_and_b32_e32 v10, v8, v9
	v_cmp_ne_u32_e32 vcc, 0, v10
	s_and_saveexec_b64 s[2:3], vcc
	s_xor_b64 s[2:3], exec, s[2:3]
	s_cbranch_execz .LBB455_170
; %bb.169:
	s_waitcnt lgkmcnt(0)
	v_cmp_lt_i64_e32 vcc, v[3:4], v[1:2]
                                        ; implicit-def: $vgpr9
                                        ; implicit-def: $vgpr8
	v_cndmask_b32_e32 v2, v2, v4, vcc
	v_cndmask_b32_e32 v1, v1, v3, vcc
                                        ; implicit-def: $vgpr3_vgpr4
.LBB455_170:
	s_or_saveexec_b64 s[2:3], s[2:3]
	v_mov_b32_e32 v10, 1
	s_xor_b64 exec, exec, s[2:3]
	s_cbranch_execz .LBB455_172
; %bb.171:
	v_and_b32_e32 v9, 1, v9
	v_cmp_eq_u32_e32 vcc, 1, v9
	s_waitcnt lgkmcnt(1)
	v_cndmask_b32_e32 v1, v3, v1, vcc
	v_and_b32_e32 v3, 0xff, v8
	s_waitcnt lgkmcnt(0)
	v_cndmask_b32_e32 v2, v4, v2, vcc
	v_cndmask_b32_e64 v10, v3, 1, vcc
.LBB455_172:
	s_or_b64 exec, exec, s[2:3]
	v_mov_b32_e32 v9, v10
.LBB455_173:
	s_or_b64 exec, exec, s[0:1]
	v_cmp_gt_u32_e32 vcc, 62, v6
	s_waitcnt lgkmcnt(1)
	v_cndmask_b32_e64 v3, 0, 2, vcc
	s_waitcnt lgkmcnt(0)
	v_add_lshl_u32 v4, v3, v5, 2
	ds_bpermute_b32 v8, v4, v9
	ds_bpermute_b32 v3, v4, v1
	ds_bpermute_b32 v4, v4, v2
	v_add_u32_e32 v10, 2, v6
	v_cmp_lt_u32_e32 vcc, v10, v7
	s_and_saveexec_b64 s[0:1], vcc
	s_cbranch_execz .LBB455_179
; %bb.174:
	s_waitcnt lgkmcnt(2)
	v_and_b32_e32 v10, v9, v8
	v_and_b32_e32 v10, 1, v10
	v_cmp_eq_u32_e32 vcc, 1, v10
	s_and_saveexec_b64 s[2:3], vcc
	s_xor_b64 s[2:3], exec, s[2:3]
	s_cbranch_execz .LBB455_176
; %bb.175:
	s_waitcnt lgkmcnt(0)
	v_cmp_lt_i64_e32 vcc, v[3:4], v[1:2]
                                        ; implicit-def: $vgpr9
                                        ; implicit-def: $vgpr8
	v_cndmask_b32_e32 v2, v2, v4, vcc
	v_cndmask_b32_e32 v1, v1, v3, vcc
                                        ; implicit-def: $vgpr3_vgpr4
.LBB455_176:
	s_or_saveexec_b64 s[2:3], s[2:3]
	v_mov_b32_e32 v10, 1
	s_xor_b64 exec, exec, s[2:3]
	s_cbranch_execz .LBB455_178
; %bb.177:
	v_and_b32_e32 v9, 1, v9
	v_cmp_eq_u32_e32 vcc, 1, v9
	s_waitcnt lgkmcnt(1)
	v_cndmask_b32_e32 v1, v3, v1, vcc
	v_and_b32_e32 v3, 0xff, v8
	s_waitcnt lgkmcnt(0)
	v_cndmask_b32_e32 v2, v4, v2, vcc
	v_cndmask_b32_e64 v10, v3, 1, vcc
.LBB455_178:
	s_or_b64 exec, exec, s[2:3]
	v_mov_b32_e32 v9, v10
.LBB455_179:
	s_or_b64 exec, exec, s[0:1]
	v_cmp_gt_u32_e32 vcc, 60, v6
	s_waitcnt lgkmcnt(1)
	v_cndmask_b32_e64 v3, 0, 4, vcc
	s_waitcnt lgkmcnt(0)
	v_add_lshl_u32 v4, v3, v5, 2
	ds_bpermute_b32 v8, v4, v9
	ds_bpermute_b32 v3, v4, v1
	ds_bpermute_b32 v4, v4, v2
	v_add_u32_e32 v10, 4, v6
	v_cmp_lt_u32_e32 vcc, v10, v7
	s_and_saveexec_b64 s[0:1], vcc
	s_cbranch_execz .LBB455_185
; %bb.180:
	s_waitcnt lgkmcnt(2)
	v_and_b32_e32 v10, v9, v8
	v_and_b32_e32 v10, 1, v10
	v_cmp_eq_u32_e32 vcc, 1, v10
	s_and_saveexec_b64 s[2:3], vcc
	s_xor_b64 s[2:3], exec, s[2:3]
	s_cbranch_execz .LBB455_182
; %bb.181:
	s_waitcnt lgkmcnt(0)
	v_cmp_lt_i64_e32 vcc, v[3:4], v[1:2]
                                        ; implicit-def: $vgpr9
                                        ; implicit-def: $vgpr8
	v_cndmask_b32_e32 v2, v2, v4, vcc
	v_cndmask_b32_e32 v1, v1, v3, vcc
                                        ; implicit-def: $vgpr3_vgpr4
.LBB455_182:
	s_or_saveexec_b64 s[2:3], s[2:3]
	v_mov_b32_e32 v10, 1
	s_xor_b64 exec, exec, s[2:3]
	s_cbranch_execz .LBB455_184
; %bb.183:
	v_and_b32_e32 v9, 1, v9
	v_cmp_eq_u32_e32 vcc, 1, v9
	s_waitcnt lgkmcnt(1)
	v_cndmask_b32_e32 v1, v3, v1, vcc
	v_and_b32_e32 v3, 0xff, v8
	s_waitcnt lgkmcnt(0)
	v_cndmask_b32_e32 v2, v4, v2, vcc
	v_cndmask_b32_e64 v10, v3, 1, vcc
.LBB455_184:
	s_or_b64 exec, exec, s[2:3]
	v_mov_b32_e32 v9, v10
.LBB455_185:
	;; [unrolled: 47-line block ×4, first 2 shown]
	s_or_b64 exec, exec, s[0:1]
	s_waitcnt lgkmcnt(2)
	v_lshlrev_b32_e32 v8, 2, v5
	s_waitcnt lgkmcnt(0)
	v_or_b32_e32 v4, 0x80, v8
	ds_bpermute_b32 v10, v4, v9
	ds_bpermute_b32 v3, v4, v1
	;; [unrolled: 1-line block ×3, first 2 shown]
	v_add_u32_e32 v6, 32, v6
	v_cmp_lt_u32_e32 vcc, v6, v7
	v_mov_b32_e32 v6, v9
	s_and_saveexec_b64 s[0:1], vcc
	s_cbranch_execz .LBB455_203
; %bb.198:
	s_waitcnt lgkmcnt(2)
	v_and_b32_e32 v6, v9, v10
	v_and_b32_e32 v6, 1, v6
	v_cmp_eq_u32_e32 vcc, 1, v6
	s_and_saveexec_b64 s[2:3], vcc
	s_xor_b64 s[2:3], exec, s[2:3]
	s_cbranch_execz .LBB455_200
; %bb.199:
	s_waitcnt lgkmcnt(0)
	v_cmp_lt_i64_e32 vcc, v[3:4], v[1:2]
                                        ; implicit-def: $vgpr9
                                        ; implicit-def: $vgpr10
	v_cndmask_b32_e32 v2, v2, v4, vcc
	v_cndmask_b32_e32 v1, v1, v3, vcc
                                        ; implicit-def: $vgpr3_vgpr4
.LBB455_200:
	s_or_saveexec_b64 s[2:3], s[2:3]
	v_mov_b32_e32 v6, 1
	s_xor_b64 exec, exec, s[2:3]
	s_cbranch_execz .LBB455_202
; %bb.201:
	v_and_b32_e32 v6, 1, v9
	v_cmp_eq_u32_e32 vcc, 1, v6
	v_cndmask_b32_e64 v6, v10, 1, vcc
	s_waitcnt lgkmcnt(0)
	v_cndmask_b32_e32 v2, v4, v2, vcc
	v_cndmask_b32_e32 v1, v3, v1, vcc
.LBB455_202:
	s_or_b64 exec, exec, s[2:3]
	v_and_b32_e32 v9, 0xff, v6
.LBB455_203:
	s_or_b64 exec, exec, s[0:1]
	v_cmp_eq_u32_e32 vcc, 0, v5
	s_and_saveexec_b64 s[0:1], vcc
	s_cbranch_execz .LBB455_205
; %bb.204:
	s_waitcnt lgkmcnt(1)
	v_lshrrev_b32_e32 v3, 2, v0
	v_and_b32_e32 v3, 16, v3
	ds_write_b8 v3, v6 offset:128
	ds_write_b64 v3, v[1:2] offset:136
.LBB455_205:
	s_or_b64 exec, exec, s[0:1]
	v_cmp_gt_u32_e32 vcc, 2, v0
	s_waitcnt lgkmcnt(0)
	s_barrier
	s_and_saveexec_b64 s[0:1], vcc
	s_cbranch_execz .LBB455_213
; %bb.206:
	v_lshlrev_b32_e32 v1, 4, v5
	ds_read_u8 v6, v1 offset:128
	ds_read_b64 v[1:2], v1 offset:136
	v_or_b32_e32 v4, 4, v8
	s_add_i32 s8, s8, 63
	v_and_b32_e32 v5, 1, v5
	s_waitcnt lgkmcnt(1)
	v_and_b32_e32 v9, 0xff, v6
	s_waitcnt lgkmcnt(0)
	ds_bpermute_b32 v3, v4, v1
	ds_bpermute_b32 v7, v4, v9
	;; [unrolled: 1-line block ×3, first 2 shown]
	s_lshr_b32 s2, s8, 6
	v_add_u32_e32 v5, 1, v5
	v_cmp_gt_u32_e32 vcc, s2, v5
	s_and_saveexec_b64 s[2:3], vcc
	s_cbranch_execz .LBB455_212
; %bb.207:
	s_waitcnt lgkmcnt(1)
	v_and_b32_e32 v5, v9, v7
	v_and_b32_e32 v5, 1, v5
	v_cmp_eq_u32_e32 vcc, 1, v5
	s_and_saveexec_b64 s[8:9], vcc
	s_xor_b64 s[8:9], exec, s[8:9]
	s_cbranch_execz .LBB455_209
; %bb.208:
	s_waitcnt lgkmcnt(0)
	v_cmp_lt_i64_e32 vcc, v[3:4], v[1:2]
                                        ; implicit-def: $vgpr6
                                        ; implicit-def: $vgpr7
	v_cndmask_b32_e32 v2, v2, v4, vcc
	v_cndmask_b32_e32 v1, v1, v3, vcc
                                        ; implicit-def: $vgpr3_vgpr4
.LBB455_209:
	s_or_saveexec_b64 s[8:9], s[8:9]
	v_mov_b32_e32 v9, 1
	s_xor_b64 exec, exec, s[8:9]
	s_cbranch_execz .LBB455_211
; %bb.210:
	v_and_b32_e32 v5, 1, v6
	v_cmp_eq_u32_e32 vcc, 1, v5
	s_waitcnt lgkmcnt(0)
	v_cndmask_b32_e32 v2, v4, v2, vcc
	v_cndmask_b32_e32 v1, v3, v1, vcc
	v_cndmask_b32_e64 v9, v7, 1, vcc
.LBB455_211:
	s_or_b64 exec, exec, s[8:9]
.LBB455_212:
	s_or_b64 exec, exec, s[2:3]
.LBB455_213:
	s_or_b64 exec, exec, s[0:1]
.LBB455_214:
	v_cmp_eq_u32_e32 vcc, 0, v0
                                        ; implicit-def: $vgpr3_vgpr4
                                        ; implicit-def: $vgpr5
	s_and_saveexec_b64 s[0:1], vcc
	s_xor_b64 s[8:9], exec, s[0:1]
	s_cbranch_execz .LBB455_218
; %bb.215:
	s_waitcnt lgkmcnt(0)
	v_mov_b32_e32 v3, s18
	s_cmp_eq_u64 s[22:23], 0
	v_mov_b32_e32 v4, s19
	v_mov_b32_e32 v5, s30
	s_cbranch_scc1 .LBB455_217
; %bb.216:
	v_and_b32_e32 v3, 1, v9
	v_cmp_gt_i64_e64 s[0:1], s[18:19], v[1:2]
	s_bitcmp1_b32 s30, 0
	v_cmp_eq_u32_e32 vcc, 1, v3
	s_cselect_b64 s[2:3], -1, 0
	v_mov_b32_e32 v3, s18
	s_and_b64 vcc, vcc, s[0:1]
	v_mov_b32_e32 v4, s19
	v_cndmask_b32_e32 v3, v3, v1, vcc
	v_cndmask_b32_e32 v4, v4, v2, vcc
	v_cndmask_b32_e64 v5, v9, 1, s[2:3]
	v_cndmask_b32_e64 v4, v2, v4, s[2:3]
	;; [unrolled: 1-line block ×3, first 2 shown]
.LBB455_217:
	s_or_b64 s[14:15], s[14:15], exec
.LBB455_218:
	s_or_b64 exec, exec, s[8:9]
	v_mov_b32_e32 v1, s6
	v_mov_b32_e32 v2, s7
	s_branch .LBB455_306
.LBB455_219:
	s_cmp_gt_i32 s33, 1
	s_cbranch_scc0 .LBB455_231
; %bb.220:
	s_cmp_eq_u32 s33, 2
	s_cbranch_scc0 .LBB455_232
; %bb.221:
	s_lshl_b32 s28, s6, 8
	s_lshr_b64 s[0:1], s[22:23], 8
	s_add_u32 s16, s24, s28
	s_addc_u32 s17, s25, 0
	s_add_u32 s26, s20, s28
	s_mov_b32 s7, 0
	s_addc_u32 s27, s21, 0
	s_cmp_lg_u64 s[0:1], s[6:7]
	s_cbranch_scc0 .LBB455_233
; %bb.222:
	global_load_ubyte v1, v0, s[16:17] offset:128
	global_load_ubyte v2, v0, s[16:17]
	s_waitcnt lgkmcnt(2)
	v_mov_b32_e32 v3, s27
	s_waitcnt lgkmcnt(0)
	v_add_co_u32_e32 v6, vcc, s26, v0
	v_addc_co_u32_e32 v7, vcc, 0, v3, vcc
	v_mbcnt_lo_u32_b32 v4, -1, 0
	v_add_co_u32_e32 v8, vcc, 0x80, v6
	s_and_b32 s2, s31, 0xff
	v_mbcnt_hi_u32_b32 v3, -1, v4
	v_addc_co_u32_e32 v4, vcc, 0, v7, vcc
	v_lshlrev_b32_e32 v5, 2, v3
	v_or_b32_e32 v10, 0xfc, v5
	s_waitcnt vmcnt(1)
	v_cmp_eq_u16_sdwa s[0:1], v1, s2 src0_sel:BYTE_0 src1_sel:DWORD
	s_waitcnt vmcnt(0)
	v_cmp_eq_u16_e32 vcc, s2, v2
	v_cndmask_b32_e32 v2, v4, v7, vcc
	v_cndmask_b32_e32 v1, v8, v6, vcc
	s_or_b64 s[0:1], vcc, s[0:1]
	v_mov_b32_dpp v7, v2 quad_perm:[1,0,3,2] row_mask:0xf bank_mask:0xf bound_ctrl:1
	v_mov_b32_dpp v6, v1 quad_perm:[1,0,3,2] row_mask:0xf bank_mask:0xf bound_ctrl:1
	v_cndmask_b32_e64 v4, 0, 1, s[0:1]
	v_cmp_lt_i64_e32 vcc, v[1:2], v[6:7]
	s_and_b64 vcc, s[0:1], vcc
	v_mov_b32_dpp v8, v4 quad_perm:[1,0,3,2] row_mask:0xf bank_mask:0xf bound_ctrl:1
	v_and_b32_e32 v8, 1, v8
	v_cndmask_b32_e32 v6, v6, v1, vcc
	v_cndmask_b32_e32 v7, v7, v2, vcc
	v_cmp_eq_u32_e32 vcc, 1, v8
	v_cndmask_b32_e32 v2, v2, v7, vcc
	v_cndmask_b32_e32 v1, v1, v6, vcc
	v_cndmask_b32_e64 v4, v4, 1, vcc
	v_mov_b32_dpp v7, v2 quad_perm:[2,3,0,1] row_mask:0xf bank_mask:0xf bound_ctrl:1
	v_mov_b32_dpp v6, v1 quad_perm:[2,3,0,1] row_mask:0xf bank_mask:0xf bound_ctrl:1
	v_and_b32_e32 v9, 1, v4
	v_cmp_lt_i64_e64 s[0:1], v[1:2], v[6:7]
	v_mov_b32_dpp v8, v4 quad_perm:[2,3,0,1] row_mask:0xf bank_mask:0xf bound_ctrl:1
	v_cmp_eq_u32_e32 vcc, 1, v9
	v_and_b32_e32 v8, 1, v8
	s_and_b64 vcc, vcc, s[0:1]
	v_cmp_eq_u32_e64 s[2:3], 1, v8
	v_cndmask_b32_e32 v6, v6, v1, vcc
	v_cndmask_b32_e32 v7, v7, v2, vcc
	v_cndmask_b32_e64 v1, v1, v6, s[2:3]
	v_cndmask_b32_e64 v2, v2, v7, s[2:3]
	;; [unrolled: 1-line block ×3, first 2 shown]
	v_mov_b32_dpp v6, v1 row_ror:4 row_mask:0xf bank_mask:0xf bound_ctrl:1
	v_mov_b32_dpp v7, v2 row_ror:4 row_mask:0xf bank_mask:0xf bound_ctrl:1
	v_and_b32_e32 v9, 1, v4
	v_cmp_lt_i64_e64 s[2:3], v[1:2], v[6:7]
	v_mov_b32_dpp v8, v4 row_ror:4 row_mask:0xf bank_mask:0xf bound_ctrl:1
	v_cmp_eq_u32_e32 vcc, 1, v9
	v_and_b32_e32 v8, 1, v8
	s_and_b64 vcc, vcc, s[2:3]
	v_cmp_eq_u32_e64 s[0:1], 1, v8
	v_cndmask_b32_e32 v6, v6, v1, vcc
	v_cndmask_b32_e32 v7, v7, v2, vcc
	v_cndmask_b32_e64 v1, v1, v6, s[0:1]
	v_cndmask_b32_e64 v2, v2, v7, s[0:1]
	v_cndmask_b32_e64 v4, v4, 1, s[0:1]
	v_mov_b32_dpp v6, v1 row_ror:8 row_mask:0xf bank_mask:0xf bound_ctrl:1
	v_mov_b32_dpp v7, v2 row_ror:8 row_mask:0xf bank_mask:0xf bound_ctrl:1
	v_and_b32_e32 v9, 1, v4
	v_cmp_lt_i64_e64 s[2:3], v[1:2], v[6:7]
	v_mov_b32_dpp v8, v4 row_ror:8 row_mask:0xf bank_mask:0xf bound_ctrl:1
	v_cmp_eq_u32_e64 s[8:9], 1, v9
	v_and_b32_e32 v8, 1, v8
	s_and_b64 s[2:3], s[8:9], s[2:3]
	v_cmp_eq_u32_e64 s[10:11], 1, v8
	v_cndmask_b32_e64 v6, v6, v1, s[2:3]
	v_cndmask_b32_e64 v7, v7, v2, s[2:3]
	;; [unrolled: 1-line block ×5, first 2 shown]
	v_mov_b32_dpp v8, v4 row_bcast:15 row_mask:0xf bank_mask:0xf bound_ctrl:1
	v_mov_b32_dpp v6, v1 row_bcast:15 row_mask:0xf bank_mask:0xf bound_ctrl:1
	;; [unrolled: 1-line block ×3, first 2 shown]
	v_and_b32_e32 v9, 1, v4
	v_and_b32_e32 v8, 1, v8
	v_cmp_lt_i64_e64 s[2:3], v[1:2], v[6:7]
	v_cmp_eq_u32_e32 vcc, 1, v9
	v_cmp_eq_u32_e64 s[0:1], 1, v8
	v_cndmask_b32_e64 v4, v4, 1, s[0:1]
	s_and_b64 vcc, vcc, s[2:3]
	v_cndmask_b32_e32 v6, v6, v1, vcc
	v_mov_b32_dpp v8, v4 row_bcast:31 row_mask:0xf bank_mask:0xf bound_ctrl:1
	v_cndmask_b32_e32 v7, v7, v2, vcc
	v_and_b32_e32 v9, 1, v4
	v_and_b32_e32 v8, 1, v8
	v_cndmask_b32_e64 v1, v1, v6, s[0:1]
	v_cndmask_b32_e64 v2, v2, v7, s[0:1]
	v_cmp_eq_u32_e64 s[12:13], 1, v9
	v_cmp_eq_u32_e64 s[8:9], 1, v8
	v_mov_b32_dpp v8, v1 row_bcast:31 row_mask:0xf bank_mask:0xf bound_ctrl:1
	v_mov_b32_dpp v9, v2 row_bcast:31 row_mask:0xf bank_mask:0xf bound_ctrl:1
	v_cmp_lt_i64_e32 vcc, v[1:2], v[8:9]
	v_cndmask_b32_e64 v4, v4, 1, s[8:9]
	s_and_b64 vcc, s[12:13], vcc
	ds_bpermute_b32 v7, v10, v4
	v_cndmask_b32_e32 v4, v8, v1, vcc
	v_cndmask_b32_e32 v6, v9, v2, vcc
	v_cndmask_b32_e64 v1, v1, v4, s[8:9]
	v_cndmask_b32_e64 v2, v2, v6, s[8:9]
	ds_bpermute_b32 v1, v10, v1
	ds_bpermute_b32 v2, v10, v2
	v_cmp_eq_u32_e32 vcc, 0, v3
	s_and_saveexec_b64 s[0:1], vcc
	s_cbranch_execz .LBB455_224
; %bb.223:
	v_lshrrev_b32_e32 v4, 2, v0
	v_and_b32_e32 v4, 16, v4
	s_waitcnt lgkmcnt(2)
	ds_write_b8 v4, v7 offset:32
	s_waitcnt lgkmcnt(1)
	ds_write_b64 v4, v[1:2] offset:40
.LBB455_224:
	s_or_b64 exec, exec, s[0:1]
	v_cmp_gt_u32_e32 vcc, 64, v0
	s_waitcnt lgkmcnt(0)
	s_barrier
	s_and_saveexec_b64 s[0:1], vcc
	s_cbranch_execz .LBB455_230
; %bb.225:
	v_and_b32_e32 v1, 1, v3
	v_lshlrev_b32_e32 v1, 4, v1
	ds_read_u8 v8, v1 offset:32
	ds_read_b64 v[3:4], v1 offset:40
	v_or_b32_e32 v2, 4, v5
	s_waitcnt lgkmcnt(1)
	v_and_b32_e32 v1, 0xff, v8
	ds_bpermute_b32 v9, v2, v1
	s_waitcnt lgkmcnt(1)
	ds_bpermute_b32 v5, v2, v3
	ds_bpermute_b32 v6, v2, v4
	s_waitcnt lgkmcnt(2)
	v_and_b32_e32 v1, v8, v9
	v_and_b32_e32 v1, 1, v1
	v_cmp_eq_u32_e32 vcc, 1, v1
                                        ; implicit-def: $vgpr1_vgpr2
	s_and_saveexec_b64 s[2:3], vcc
	s_xor_b64 s[2:3], exec, s[2:3]
	s_cbranch_execz .LBB455_227
; %bb.226:
	s_waitcnt lgkmcnt(0)
	v_cmp_lt_i64_e32 vcc, v[5:6], v[3:4]
                                        ; implicit-def: $vgpr8
                                        ; implicit-def: $vgpr9
	v_cndmask_b32_e32 v2, v4, v6, vcc
	v_cndmask_b32_e32 v1, v3, v5, vcc
                                        ; implicit-def: $vgpr5_vgpr6
                                        ; implicit-def: $vgpr3_vgpr4
.LBB455_227:
	s_or_saveexec_b64 s[2:3], s[2:3]
	v_mov_b32_e32 v7, 1
	s_xor_b64 exec, exec, s[2:3]
	s_cbranch_execz .LBB455_229
; %bb.228:
	v_and_b32_e32 v1, 1, v8
	v_cmp_eq_u32_e32 vcc, 1, v1
	s_waitcnt lgkmcnt(0)
	v_cndmask_b32_e32 v2, v6, v4, vcc
	v_cndmask_b32_e32 v1, v5, v3, vcc
	v_cndmask_b32_e64 v7, v9, 1, vcc
.LBB455_229:
	s_or_b64 exec, exec, s[2:3]
.LBB455_230:
	s_or_b64 exec, exec, s[0:1]
	s_branch .LBB455_285
.LBB455_231:
                                        ; implicit-def: $vgpr3_vgpr4
                                        ; implicit-def: $vgpr5
                                        ; implicit-def: $vgpr1_vgpr2
	s_cbranch_execnz .LBB455_290
	s_branch .LBB455_306
.LBB455_232:
                                        ; implicit-def: $vgpr3_vgpr4
                                        ; implicit-def: $vgpr5
                                        ; implicit-def: $vgpr1_vgpr2
	s_branch .LBB455_306
.LBB455_233:
                                        ; implicit-def: $vgpr1_vgpr2
                                        ; implicit-def: $vgpr7
	s_cbranch_execz .LBB455_285
; %bb.234:
	s_sub_i32 s10, s22, s28
	s_waitcnt lgkmcnt(0)
	v_mov_b32_e32 v3, 0
	v_mov_b32_e32 v1, 0
	v_cmp_gt_u32_e32 vcc, s10, v0
	v_mov_b32_e32 v5, 0
	v_mov_b32_e32 v4, 0
	;; [unrolled: 1-line block ×4, first 2 shown]
	s_and_saveexec_b64 s[0:1], vcc
	s_cbranch_execz .LBB455_236
; %bb.235:
	global_load_ubyte v6, v0, s[16:17]
	v_mov_b32_e32 v2, s27
	v_add_co_u32_e32 v1, vcc, s26, v0
	s_and_b32 s2, s31, 0xff
	v_addc_co_u32_e32 v2, vcc, 0, v2, vcc
	s_waitcnt vmcnt(0)
	v_cmp_eq_u16_e32 vcc, s2, v6
	v_cndmask_b32_e64 v6, 0, 1, vcc
.LBB455_236:
	s_or_b64 exec, exec, s[0:1]
	v_or_b32_e32 v7, 0x80, v0
	v_cmp_gt_u32_e32 vcc, s10, v7
	s_and_saveexec_b64 s[2:3], vcc
	s_cbranch_execz .LBB455_238
; %bb.237:
	global_load_ubyte v5, v0, s[16:17] offset:128
	v_mov_b32_e32 v4, s27
	v_add_co_u32_e64 v3, s[0:1], s26, v7
	s_and_b32 s8, s31, 0xff
	v_addc_co_u32_e64 v4, s[0:1], 0, v4, s[0:1]
	s_waitcnt vmcnt(0)
	v_cmp_eq_u16_e64 s[0:1], s8, v5
	v_cndmask_b32_e64 v5, 0, 1, s[0:1]
.LBB455_238:
	s_or_b64 exec, exec, s[2:3]
	v_and_b32_e32 v8, 0xffff, v5
	v_and_b32_e32 v5, 1, v5
	v_cmp_lt_i64_e64 s[2:3], v[3:4], v[1:2]
	v_cmp_eq_u32_e64 s[0:1], 1, v5
	v_and_b32_e32 v5, 1, v6
	v_cmp_eq_u32_e64 s[8:9], 1, v5
	s_and_b64 s[0:1], s[0:1], s[2:3]
	v_cndmask_b32_e64 v5, v8, 1, s[8:9]
	v_cndmask_b32_e64 v8, v1, v3, s[0:1]
	;; [unrolled: 1-line block ×3, first 2 shown]
	v_and_b32_e32 v7, 0xffff, v6
	v_cndmask_b32_e32 v1, v1, v3, vcc
	v_mbcnt_lo_u32_b32 v3, -1, 0
	v_cndmask_b32_e64 v6, v2, v4, s[0:1]
	v_cndmask_b32_e32 v7, v7, v5, vcc
	v_mbcnt_hi_u32_b32 v5, -1, v3
	v_cndmask_b32_e64 v4, v4, v6, s[8:9]
	v_and_b32_e32 v6, 63, v5
	v_cndmask_b32_e32 v2, v2, v4, vcc
	v_cmp_ne_u32_e32 vcc, 63, v6
	v_addc_co_u32_e32 v3, vcc, 0, v5, vcc
	v_lshlrev_b32_e32 v4, 2, v3
	ds_bpermute_b32 v9, v4, v7
	ds_bpermute_b32 v3, v4, v1
	;; [unrolled: 1-line block ×3, first 2 shown]
	s_min_u32 s8, s10, 0x80
	v_and_b32_e32 v8, 64, v0
	v_sub_u32_e64 v8, s8, v8 clamp
	v_add_u32_e32 v10, 1, v6
	v_cmp_lt_u32_e32 vcc, v10, v8
	s_and_saveexec_b64 s[0:1], vcc
	s_cbranch_execz .LBB455_244
; %bb.239:
	s_waitcnt lgkmcnt(2)
	v_and_b32_e32 v10, v9, v7
	v_cmp_ne_u32_e32 vcc, 0, v10
	s_and_saveexec_b64 s[2:3], vcc
	s_xor_b64 s[2:3], exec, s[2:3]
	s_cbranch_execz .LBB455_241
; %bb.240:
	s_waitcnt lgkmcnt(0)
	v_cmp_lt_i64_e32 vcc, v[3:4], v[1:2]
                                        ; implicit-def: $vgpr7
                                        ; implicit-def: $vgpr9
	v_cndmask_b32_e32 v2, v2, v4, vcc
	v_cndmask_b32_e32 v1, v1, v3, vcc
                                        ; implicit-def: $vgpr3_vgpr4
.LBB455_241:
	s_or_saveexec_b64 s[2:3], s[2:3]
	v_mov_b32_e32 v10, 1
	s_xor_b64 exec, exec, s[2:3]
	s_cbranch_execz .LBB455_243
; %bb.242:
	v_and_b32_e32 v7, 1, v7
	v_cmp_eq_u32_e32 vcc, 1, v7
	s_waitcnt lgkmcnt(1)
	v_cndmask_b32_e32 v1, v3, v1, vcc
	v_and_b32_e32 v3, 0xff, v9
	s_waitcnt lgkmcnt(0)
	v_cndmask_b32_e32 v2, v4, v2, vcc
	v_cndmask_b32_e64 v10, v3, 1, vcc
.LBB455_243:
	s_or_b64 exec, exec, s[2:3]
	v_mov_b32_e32 v7, v10
.LBB455_244:
	s_or_b64 exec, exec, s[0:1]
	v_cmp_gt_u32_e32 vcc, 62, v6
	s_waitcnt lgkmcnt(1)
	v_cndmask_b32_e64 v3, 0, 2, vcc
	s_waitcnt lgkmcnt(0)
	v_add_lshl_u32 v4, v3, v5, 2
	ds_bpermute_b32 v9, v4, v7
	ds_bpermute_b32 v3, v4, v1
	ds_bpermute_b32 v4, v4, v2
	v_add_u32_e32 v10, 2, v6
	v_cmp_lt_u32_e32 vcc, v10, v8
	s_and_saveexec_b64 s[0:1], vcc
	s_cbranch_execz .LBB455_250
; %bb.245:
	s_waitcnt lgkmcnt(2)
	v_and_b32_e32 v10, v7, v9
	v_and_b32_e32 v10, 1, v10
	v_cmp_eq_u32_e32 vcc, 1, v10
	s_and_saveexec_b64 s[2:3], vcc
	s_xor_b64 s[2:3], exec, s[2:3]
	s_cbranch_execz .LBB455_247
; %bb.246:
	s_waitcnt lgkmcnt(0)
	v_cmp_lt_i64_e32 vcc, v[3:4], v[1:2]
                                        ; implicit-def: $vgpr7
                                        ; implicit-def: $vgpr9
	v_cndmask_b32_e32 v2, v2, v4, vcc
	v_cndmask_b32_e32 v1, v1, v3, vcc
                                        ; implicit-def: $vgpr3_vgpr4
.LBB455_247:
	s_or_saveexec_b64 s[2:3], s[2:3]
	v_mov_b32_e32 v10, 1
	s_xor_b64 exec, exec, s[2:3]
	s_cbranch_execz .LBB455_249
; %bb.248:
	v_and_b32_e32 v7, 1, v7
	v_cmp_eq_u32_e32 vcc, 1, v7
	s_waitcnt lgkmcnt(1)
	v_cndmask_b32_e32 v1, v3, v1, vcc
	v_and_b32_e32 v3, 0xff, v9
	s_waitcnt lgkmcnt(0)
	v_cndmask_b32_e32 v2, v4, v2, vcc
	v_cndmask_b32_e64 v10, v3, 1, vcc
.LBB455_249:
	s_or_b64 exec, exec, s[2:3]
	v_mov_b32_e32 v7, v10
.LBB455_250:
	s_or_b64 exec, exec, s[0:1]
	v_cmp_gt_u32_e32 vcc, 60, v6
	s_waitcnt lgkmcnt(1)
	v_cndmask_b32_e64 v3, 0, 4, vcc
	s_waitcnt lgkmcnt(0)
	v_add_lshl_u32 v4, v3, v5, 2
	ds_bpermute_b32 v9, v4, v7
	ds_bpermute_b32 v3, v4, v1
	ds_bpermute_b32 v4, v4, v2
	v_add_u32_e32 v10, 4, v6
	v_cmp_lt_u32_e32 vcc, v10, v8
	s_and_saveexec_b64 s[0:1], vcc
	s_cbranch_execz .LBB455_256
; %bb.251:
	s_waitcnt lgkmcnt(2)
	v_and_b32_e32 v10, v7, v9
	v_and_b32_e32 v10, 1, v10
	v_cmp_eq_u32_e32 vcc, 1, v10
	s_and_saveexec_b64 s[2:3], vcc
	s_xor_b64 s[2:3], exec, s[2:3]
	s_cbranch_execz .LBB455_253
; %bb.252:
	s_waitcnt lgkmcnt(0)
	v_cmp_lt_i64_e32 vcc, v[3:4], v[1:2]
                                        ; implicit-def: $vgpr7
                                        ; implicit-def: $vgpr9
	v_cndmask_b32_e32 v2, v2, v4, vcc
	v_cndmask_b32_e32 v1, v1, v3, vcc
                                        ; implicit-def: $vgpr3_vgpr4
.LBB455_253:
	s_or_saveexec_b64 s[2:3], s[2:3]
	v_mov_b32_e32 v10, 1
	s_xor_b64 exec, exec, s[2:3]
	s_cbranch_execz .LBB455_255
; %bb.254:
	v_and_b32_e32 v7, 1, v7
	v_cmp_eq_u32_e32 vcc, 1, v7
	s_waitcnt lgkmcnt(1)
	v_cndmask_b32_e32 v1, v3, v1, vcc
	v_and_b32_e32 v3, 0xff, v9
	s_waitcnt lgkmcnt(0)
	v_cndmask_b32_e32 v2, v4, v2, vcc
	v_cndmask_b32_e64 v10, v3, 1, vcc
.LBB455_255:
	s_or_b64 exec, exec, s[2:3]
	v_mov_b32_e32 v7, v10
.LBB455_256:
	;; [unrolled: 47-line block ×4, first 2 shown]
	s_or_b64 exec, exec, s[0:1]
	s_waitcnt lgkmcnt(2)
	v_lshlrev_b32_e32 v9, 2, v5
	s_waitcnt lgkmcnt(0)
	v_or_b32_e32 v4, 0x80, v9
	ds_bpermute_b32 v10, v4, v7
	ds_bpermute_b32 v3, v4, v1
	;; [unrolled: 1-line block ×3, first 2 shown]
	v_add_u32_e32 v6, 32, v6
	v_cmp_lt_u32_e32 vcc, v6, v8
	v_mov_b32_e32 v6, v7
	s_and_saveexec_b64 s[0:1], vcc
	s_cbranch_execz .LBB455_274
; %bb.269:
	s_waitcnt lgkmcnt(2)
	v_and_b32_e32 v6, v7, v10
	v_and_b32_e32 v6, 1, v6
	v_cmp_eq_u32_e32 vcc, 1, v6
	s_and_saveexec_b64 s[2:3], vcc
	s_xor_b64 s[2:3], exec, s[2:3]
	s_cbranch_execz .LBB455_271
; %bb.270:
	s_waitcnt lgkmcnt(0)
	v_cmp_lt_i64_e32 vcc, v[3:4], v[1:2]
                                        ; implicit-def: $vgpr7
                                        ; implicit-def: $vgpr10
	v_cndmask_b32_e32 v2, v2, v4, vcc
	v_cndmask_b32_e32 v1, v1, v3, vcc
                                        ; implicit-def: $vgpr3_vgpr4
.LBB455_271:
	s_or_saveexec_b64 s[2:3], s[2:3]
	v_mov_b32_e32 v6, 1
	s_xor_b64 exec, exec, s[2:3]
	s_cbranch_execz .LBB455_273
; %bb.272:
	v_and_b32_e32 v6, 1, v7
	v_cmp_eq_u32_e32 vcc, 1, v6
	v_cndmask_b32_e64 v6, v10, 1, vcc
	s_waitcnt lgkmcnt(0)
	v_cndmask_b32_e32 v2, v4, v2, vcc
	v_cndmask_b32_e32 v1, v3, v1, vcc
.LBB455_273:
	s_or_b64 exec, exec, s[2:3]
	v_and_b32_e32 v7, 0xff, v6
.LBB455_274:
	s_or_b64 exec, exec, s[0:1]
	v_cmp_eq_u32_e32 vcc, 0, v5
	s_and_saveexec_b64 s[0:1], vcc
	s_cbranch_execz .LBB455_276
; %bb.275:
	s_waitcnt lgkmcnt(1)
	v_lshrrev_b32_e32 v3, 2, v0
	v_and_b32_e32 v3, 16, v3
	ds_write_b8 v3, v6 offset:128
	ds_write_b64 v3, v[1:2] offset:136
.LBB455_276:
	s_or_b64 exec, exec, s[0:1]
	v_cmp_gt_u32_e32 vcc, 2, v0
	s_waitcnt lgkmcnt(0)
	s_barrier
	s_and_saveexec_b64 s[0:1], vcc
	s_cbranch_execz .LBB455_284
; %bb.277:
	v_lshlrev_b32_e32 v1, 4, v5
	ds_read_u8 v6, v1 offset:128
	ds_read_b64 v[1:2], v1 offset:136
	v_or_b32_e32 v4, 4, v9
	s_add_i32 s8, s8, 63
	v_and_b32_e32 v5, 1, v5
	s_waitcnt lgkmcnt(1)
	v_and_b32_e32 v7, 0xff, v6
	s_waitcnt lgkmcnt(0)
	ds_bpermute_b32 v3, v4, v1
	ds_bpermute_b32 v8, v4, v7
	;; [unrolled: 1-line block ×3, first 2 shown]
	s_lshr_b32 s2, s8, 6
	v_add_u32_e32 v5, 1, v5
	v_cmp_gt_u32_e32 vcc, s2, v5
	s_and_saveexec_b64 s[2:3], vcc
	s_cbranch_execz .LBB455_283
; %bb.278:
	s_waitcnt lgkmcnt(1)
	v_and_b32_e32 v5, v7, v8
	v_and_b32_e32 v5, 1, v5
	v_cmp_eq_u32_e32 vcc, 1, v5
	s_and_saveexec_b64 s[8:9], vcc
	s_xor_b64 s[8:9], exec, s[8:9]
	s_cbranch_execz .LBB455_280
; %bb.279:
	s_waitcnt lgkmcnt(0)
	v_cmp_lt_i64_e32 vcc, v[3:4], v[1:2]
                                        ; implicit-def: $vgpr6
                                        ; implicit-def: $vgpr8
	v_cndmask_b32_e32 v2, v2, v4, vcc
	v_cndmask_b32_e32 v1, v1, v3, vcc
                                        ; implicit-def: $vgpr3_vgpr4
.LBB455_280:
	s_or_saveexec_b64 s[8:9], s[8:9]
	v_mov_b32_e32 v7, 1
	s_xor_b64 exec, exec, s[8:9]
	s_cbranch_execz .LBB455_282
; %bb.281:
	v_and_b32_e32 v5, 1, v6
	v_cmp_eq_u32_e32 vcc, 1, v5
	s_waitcnt lgkmcnt(0)
	v_cndmask_b32_e32 v2, v4, v2, vcc
	v_cndmask_b32_e32 v1, v3, v1, vcc
	v_cndmask_b32_e64 v7, v8, 1, vcc
.LBB455_282:
	s_or_b64 exec, exec, s[8:9]
.LBB455_283:
	s_or_b64 exec, exec, s[2:3]
.LBB455_284:
	s_or_b64 exec, exec, s[0:1]
.LBB455_285:
	v_cmp_eq_u32_e32 vcc, 0, v0
                                        ; implicit-def: $vgpr3_vgpr4
                                        ; implicit-def: $vgpr5
	s_and_saveexec_b64 s[0:1], vcc
	s_xor_b64 s[8:9], exec, s[0:1]
	s_cbranch_execz .LBB455_289
; %bb.286:
	s_waitcnt lgkmcnt(0)
	v_mov_b32_e32 v3, s18
	s_cmp_eq_u64 s[22:23], 0
	v_mov_b32_e32 v4, s19
	v_mov_b32_e32 v5, s30
	s_cbranch_scc1 .LBB455_288
; %bb.287:
	v_and_b32_e32 v3, 1, v7
	v_cmp_gt_i64_e64 s[0:1], s[18:19], v[1:2]
	s_bitcmp1_b32 s30, 0
	v_cmp_eq_u32_e32 vcc, 1, v3
	s_cselect_b64 s[2:3], -1, 0
	v_mov_b32_e32 v3, s18
	s_and_b64 vcc, vcc, s[0:1]
	v_mov_b32_e32 v4, s19
	v_cndmask_b32_e32 v3, v3, v1, vcc
	v_cndmask_b32_e32 v4, v4, v2, vcc
	v_cndmask_b32_e64 v5, v7, 1, s[2:3]
	v_cndmask_b32_e64 v4, v2, v4, s[2:3]
	;; [unrolled: 1-line block ×3, first 2 shown]
.LBB455_288:
	s_or_b64 s[14:15], s[14:15], exec
.LBB455_289:
	s_or_b64 exec, exec, s[8:9]
	v_mov_b32_e32 v1, s6
	v_mov_b32_e32 v2, s7
	s_branch .LBB455_306
.LBB455_290:
	s_cmp_eq_u32 s33, 1
	s_cbranch_scc0 .LBB455_305
; %bb.291:
	s_lshl_b32 s8, s6, 7
	s_mov_b32 s7, 0
	s_lshr_b64 s[0:1], s[22:23], 7
	s_cmp_lg_u64 s[0:1], s[6:7]
	s_cbranch_scc0 .LBB455_309
; %bb.292:
	s_add_u32 s0, s24, s8
	s_addc_u32 s1, s25, 0
	s_waitcnt lgkmcnt(1)
	global_load_ubyte v5, v0, s[0:1]
	s_add_u32 s0, s20, s8
	s_addc_u32 s1, s21, 0
	v_mov_b32_e32 v2, s1
	v_add_co_u32_e32 v1, vcc, s0, v0
	s_and_b32 s2, s31, 0xff
	v_addc_co_u32_e32 v2, vcc, 0, v2, vcc
	v_mov_b32_dpp v3, v1 quad_perm:[1,0,3,2] row_mask:0xf bank_mask:0xf bound_ctrl:1
	s_waitcnt lgkmcnt(0)
	v_mov_b32_dpp v4, v2 quad_perm:[1,0,3,2] row_mask:0xf bank_mask:0xf bound_ctrl:1
	v_cmp_lt_i64_e32 vcc, v[1:2], v[3:4]
                                        ; implicit-def: $vgpr7
	s_waitcnt vmcnt(0)
	v_cmp_eq_u16_e64 s[0:1], s2, v5
	v_cndmask_b32_e64 v5, 0, 1, s[0:1]
	s_and_b64 vcc, s[0:1], vcc
	v_cndmask_b32_e32 v3, v3, v1, vcc
	v_mov_b32_dpp v5, v5 quad_perm:[1,0,3,2] row_mask:0xf bank_mask:0xf bound_ctrl:1
	v_and_b32_e32 v5, 1, v5
	v_cndmask_b32_e32 v4, v4, v2, vcc
	v_cmp_eq_u32_e32 vcc, 1, v5
	s_or_b64 s[0:1], vcc, s[0:1]
	v_cndmask_b32_e32 v3, v1, v3, vcc
	v_cndmask_b32_e64 v1, 0, 1, s[0:1]
	v_cndmask_b32_e32 v4, v2, v4, vcc
	v_mov_b32_dpp v5, v3 quad_perm:[2,3,0,1] row_mask:0xf bank_mask:0xf bound_ctrl:1
	v_mov_b32_dpp v1, v1 quad_perm:[2,3,0,1] row_mask:0xf bank_mask:0xf bound_ctrl:1
	v_and_b32_e32 v1, 1, v1
	v_cmp_eq_u32_e32 vcc, 1, v1
	s_and_b64 s[2:3], vcc, s[0:1]
	v_mov_b32_dpp v6, v4 quad_perm:[2,3,0,1] row_mask:0xf bank_mask:0xf bound_ctrl:1
	s_xor_b64 s[2:3], s[2:3], -1
                                        ; implicit-def: $vgpr1_vgpr2
	s_and_saveexec_b64 s[10:11], s[2:3]
	s_xor_b64 s[2:3], exec, s[10:11]
; %bb.293:
	s_or_b64 s[0:1], vcc, s[0:1]
	v_cndmask_b32_e32 v2, v4, v6, vcc
	v_cndmask_b32_e32 v1, v3, v5, vcc
	v_cndmask_b32_e64 v7, 0, 1, s[0:1]
                                        ; implicit-def: $vgpr3_vgpr4
                                        ; implicit-def: $vgpr5_vgpr6
; %bb.294:
	s_andn2_saveexec_b64 s[0:1], s[2:3]
; %bb.295:
	v_cmp_lt_i64_e32 vcc, v[3:4], v[5:6]
	v_mov_b32_e32 v7, 1
	v_cndmask_b32_e32 v2, v6, v4, vcc
	v_cndmask_b32_e32 v1, v5, v3, vcc
; %bb.296:
	s_or_b64 exec, exec, s[0:1]
	s_nop 0
	v_mov_b32_dpp v4, v1 row_ror:4 row_mask:0xf bank_mask:0xf bound_ctrl:1
	v_mov_b32_dpp v5, v2 row_ror:4 row_mask:0xf bank_mask:0xf bound_ctrl:1
	v_and_b32_e32 v8, 1, v7
	v_cmp_lt_i64_e64 s[0:1], v[1:2], v[4:5]
	v_mov_b32_dpp v6, v7 row_ror:4 row_mask:0xf bank_mask:0xf bound_ctrl:1
	v_cmp_eq_u32_e32 vcc, 1, v8
	v_and_b32_e32 v6, 1, v6
	s_and_b64 vcc, vcc, s[0:1]
	v_cmp_eq_u32_e64 s[2:3], 1, v6
	v_cndmask_b32_e32 v4, v4, v1, vcc
	v_cndmask_b32_e32 v5, v5, v2, vcc
	v_cndmask_b32_e64 v2, v2, v5, s[2:3]
	v_cndmask_b32_e64 v1, v1, v4, s[2:3]
	;; [unrolled: 1-line block ×3, first 2 shown]
	v_mov_b32_dpp v5, v2 row_ror:8 row_mask:0xf bank_mask:0xf bound_ctrl:1
	v_mov_b32_dpp v4, v1 row_ror:8 row_mask:0xf bank_mask:0xf bound_ctrl:1
	v_and_b32_e32 v8, 1, v6
	v_cmp_lt_i64_e64 s[0:1], v[1:2], v[4:5]
	v_mov_b32_dpp v7, v6 row_ror:8 row_mask:0xf bank_mask:0xf bound_ctrl:1
	v_cmp_eq_u32_e32 vcc, 1, v8
	v_and_b32_e32 v7, 1, v7
	s_and_b64 vcc, vcc, s[0:1]
	v_cmp_eq_u32_e64 s[2:3], 1, v7
	v_cndmask_b32_e32 v4, v4, v1, vcc
	v_cndmask_b32_e32 v5, v5, v2, vcc
	v_cndmask_b32_e64 v2, v2, v5, s[2:3]
	v_cndmask_b32_e64 v1, v1, v4, s[2:3]
	;; [unrolled: 1-line block ×3, first 2 shown]
	v_mov_b32_dpp v5, v2 row_bcast:15 row_mask:0xf bank_mask:0xf bound_ctrl:1
	v_mov_b32_dpp v4, v1 row_bcast:15 row_mask:0xf bank_mask:0xf bound_ctrl:1
	v_and_b32_e32 v8, 1, v6
	v_cmp_lt_i64_e64 s[0:1], v[1:2], v[4:5]
	v_mov_b32_dpp v7, v6 row_bcast:15 row_mask:0xf bank_mask:0xf bound_ctrl:1
	v_cmp_eq_u32_e32 vcc, 1, v8
	v_and_b32_e32 v7, 1, v7
	s_and_b64 vcc, vcc, s[0:1]
	v_cmp_eq_u32_e64 s[2:3], 1, v7
	v_cndmask_b32_e32 v4, v4, v1, vcc
	v_cndmask_b32_e32 v5, v5, v2, vcc
	v_cndmask_b32_e64 v2, v2, v5, s[2:3]
	v_cndmask_b32_e64 v1, v1, v4, s[2:3]
	;; [unrolled: 1-line block ×3, first 2 shown]
	v_mov_b32_dpp v5, v2 row_bcast:31 row_mask:0xf bank_mask:0xf bound_ctrl:1
	v_mov_b32_dpp v4, v1 row_bcast:31 row_mask:0xf bank_mask:0xf bound_ctrl:1
	v_and_b32_e32 v8, 1, v6
	v_cmp_lt_i64_e64 s[0:1], v[1:2], v[4:5]
	v_mov_b32_dpp v7, v6 row_bcast:31 row_mask:0xf bank_mask:0xf bound_ctrl:1
	v_cmp_eq_u32_e32 vcc, 1, v8
	v_mbcnt_lo_u32_b32 v3, -1, 0
	v_and_b32_e32 v7, 1, v7
	s_and_b64 vcc, vcc, s[0:1]
	v_mbcnt_hi_u32_b32 v3, -1, v3
	v_cmp_eq_u32_e64 s[2:3], 1, v7
	v_cndmask_b32_e32 v5, v5, v2, vcc
	v_cndmask_b32_e32 v4, v4, v1, vcc
	v_cndmask_b32_e64 v2, v2, v5, s[2:3]
	v_lshlrev_b32_e32 v5, 2, v3
	v_cndmask_b32_e64 v6, v6, 1, s[2:3]
	v_cndmask_b32_e64 v1, v1, v4, s[2:3]
	v_or_b32_e32 v4, 0xfc, v5
	ds_bpermute_b32 v7, v4, v6
	ds_bpermute_b32 v1, v4, v1
	;; [unrolled: 1-line block ×3, first 2 shown]
	v_cmp_eq_u32_e32 vcc, 0, v3
	s_and_saveexec_b64 s[0:1], vcc
	s_cbranch_execz .LBB455_298
; %bb.297:
	v_lshrrev_b32_e32 v4, 2, v0
	v_and_b32_e32 v4, 16, v4
	s_waitcnt lgkmcnt(2)
	ds_write_b8 v4, v7
	s_waitcnt lgkmcnt(1)
	ds_write_b64 v4, v[1:2] offset:8
.LBB455_298:
	s_or_b64 exec, exec, s[0:1]
	v_cmp_gt_u32_e32 vcc, 64, v0
	s_waitcnt lgkmcnt(0)
	s_barrier
	s_and_saveexec_b64 s[0:1], vcc
	s_cbranch_execz .LBB455_304
; %bb.299:
	v_and_b32_e32 v1, 1, v3
	v_lshlrev_b32_e32 v1, 4, v1
	ds_read_u8 v8, v1
	ds_read_b64 v[3:4], v1 offset:8
	v_or_b32_e32 v2, 4, v5
	s_waitcnt lgkmcnt(1)
	v_and_b32_e32 v1, 0xff, v8
	ds_bpermute_b32 v9, v2, v1
	s_waitcnt lgkmcnt(1)
	ds_bpermute_b32 v5, v2, v3
	ds_bpermute_b32 v6, v2, v4
	s_waitcnt lgkmcnt(2)
	v_and_b32_e32 v1, v8, v9
	v_and_b32_e32 v1, 1, v1
	v_cmp_eq_u32_e32 vcc, 1, v1
                                        ; implicit-def: $vgpr1_vgpr2
	s_and_saveexec_b64 s[2:3], vcc
	s_xor_b64 s[2:3], exec, s[2:3]
	s_cbranch_execz .LBB455_301
; %bb.300:
	s_waitcnt lgkmcnt(0)
	v_cmp_lt_i64_e32 vcc, v[5:6], v[3:4]
                                        ; implicit-def: $vgpr8
                                        ; implicit-def: $vgpr9
	v_cndmask_b32_e32 v2, v4, v6, vcc
	v_cndmask_b32_e32 v1, v3, v5, vcc
                                        ; implicit-def: $vgpr5_vgpr6
                                        ; implicit-def: $vgpr3_vgpr4
.LBB455_301:
	s_or_saveexec_b64 s[2:3], s[2:3]
	v_mov_b32_e32 v7, 1
	s_xor_b64 exec, exec, s[2:3]
	s_cbranch_execz .LBB455_303
; %bb.302:
	v_and_b32_e32 v1, 1, v8
	v_cmp_eq_u32_e32 vcc, 1, v1
	s_waitcnt lgkmcnt(0)
	v_cndmask_b32_e32 v2, v6, v4, vcc
	v_cndmask_b32_e32 v1, v5, v3, vcc
	v_cndmask_b32_e64 v7, v9, 1, vcc
.LBB455_303:
	s_or_b64 exec, exec, s[2:3]
.LBB455_304:
	s_or_b64 exec, exec, s[0:1]
	s_branch .LBB455_359
.LBB455_305:
                                        ; implicit-def: $vgpr3_vgpr4
                                        ; implicit-def: $vgpr5
                                        ; implicit-def: $vgpr1_vgpr2
.LBB455_306:
	s_and_saveexec_b64 s[0:1], s[14:15]
	s_cbranch_execz .LBB455_308
.LBB455_307:
	s_load_dwordx2 s[0:1], s[4:5], 0x28
	v_lshlrev_b64 v[0:1], 4, v[1:2]
	s_waitcnt lgkmcnt(0)
	v_mov_b32_e32 v2, s1
	v_add_co_u32_e32 v0, vcc, s0, v0
	v_addc_co_u32_e32 v1, vcc, v2, v1, vcc
	global_store_byte v[0:1], v5, off
	global_store_dwordx2 v[0:1], v[3:4], off offset:8
.LBB455_308:
	s_endpgm
.LBB455_309:
                                        ; implicit-def: $vgpr1_vgpr2
                                        ; implicit-def: $vgpr7
	s_cbranch_execz .LBB455_359
; %bb.310:
	s_sub_i32 s2, s22, s8
	v_mov_b32_e32 v1, 0
	v_cmp_gt_u32_e32 vcc, s2, v0
	v_mov_b32_e32 v2, 0
	v_mov_b32_e32 v9, 0
	s_and_saveexec_b64 s[0:1], vcc
	s_cbranch_execz .LBB455_312
; %bb.311:
	s_add_u32 s10, s24, s8
	s_addc_u32 s11, s25, 0
	s_waitcnt lgkmcnt(2)
	global_load_ubyte v3, v0, s[10:11]
	s_add_u32 s3, s20, s8
	s_addc_u32 s8, s21, 0
	v_mov_b32_e32 v2, s8
	v_add_co_u32_e32 v1, vcc, s3, v0
	s_and_b32 s9, s31, 0xff
	v_addc_co_u32_e32 v2, vcc, 0, v2, vcc
	s_waitcnt vmcnt(0)
	v_cmp_eq_u16_e32 vcc, s9, v3
	v_cndmask_b32_e64 v9, 0, 1, vcc
.LBB455_312:
	s_or_b64 exec, exec, s[0:1]
	s_waitcnt lgkmcnt(2)
	v_mbcnt_lo_u32_b32 v3, -1, 0
	s_waitcnt lgkmcnt(1)
	v_mbcnt_hi_u32_b32 v5, -1, v3
	s_waitcnt lgkmcnt(0)
	v_and_b32_e32 v6, 63, v5
	v_cmp_ne_u32_e32 vcc, 63, v6
	v_addc_co_u32_e32 v3, vcc, 0, v5, vcc
	v_and_b32_e32 v7, 0xffff, v9
	v_lshlrev_b32_e32 v4, 2, v3
	ds_bpermute_b32 v10, v4, v7
	ds_bpermute_b32 v3, v4, v1
	;; [unrolled: 1-line block ×3, first 2 shown]
	s_min_u32 s8, s2, 0x80
	v_and_b32_e32 v8, 64, v0
	v_sub_u32_e64 v8, s8, v8 clamp
	v_add_u32_e32 v11, 1, v6
	v_cmp_lt_u32_e32 vcc, v11, v8
	s_and_saveexec_b64 s[0:1], vcc
	s_cbranch_execz .LBB455_318
; %bb.313:
	s_waitcnt lgkmcnt(2)
	v_and_b32_e32 v7, v10, v7
	v_and_b32_e32 v7, 1, v7
	v_cmp_eq_u32_e32 vcc, 1, v7
	s_and_saveexec_b64 s[2:3], vcc
	s_xor_b64 s[2:3], exec, s[2:3]
	s_cbranch_execz .LBB455_315
; %bb.314:
	s_waitcnt lgkmcnt(0)
	v_cmp_lt_i64_e32 vcc, v[3:4], v[1:2]
                                        ; implicit-def: $vgpr9
                                        ; implicit-def: $vgpr10
	v_cndmask_b32_e32 v2, v2, v4, vcc
	v_cndmask_b32_e32 v1, v1, v3, vcc
                                        ; implicit-def: $vgpr3_vgpr4
.LBB455_315:
	s_or_saveexec_b64 s[2:3], s[2:3]
	v_mov_b32_e32 v7, 1
	s_xor_b64 exec, exec, s[2:3]
	s_cbranch_execz .LBB455_317
; %bb.316:
	v_and_b32_e32 v7, 1, v9
	v_cmp_eq_u32_e32 vcc, 1, v7
	s_waitcnt lgkmcnt(1)
	v_cndmask_b32_e32 v1, v3, v1, vcc
	v_and_b32_e32 v3, 0xff, v10
	s_waitcnt lgkmcnt(0)
	v_cndmask_b32_e32 v2, v4, v2, vcc
	v_cndmask_b32_e64 v7, v3, 1, vcc
.LBB455_317:
	s_or_b64 exec, exec, s[2:3]
.LBB455_318:
	s_or_b64 exec, exec, s[0:1]
	v_cmp_gt_u32_e32 vcc, 62, v6
	s_waitcnt lgkmcnt(1)
	v_cndmask_b32_e64 v3, 0, 2, vcc
	s_waitcnt lgkmcnt(0)
	v_add_lshl_u32 v4, v3, v5, 2
	ds_bpermute_b32 v9, v4, v7
	ds_bpermute_b32 v3, v4, v1
	ds_bpermute_b32 v4, v4, v2
	v_add_u32_e32 v10, 2, v6
	v_cmp_lt_u32_e32 vcc, v10, v8
	s_and_saveexec_b64 s[0:1], vcc
	s_cbranch_execz .LBB455_324
; %bb.319:
	s_waitcnt lgkmcnt(2)
	v_and_b32_e32 v10, v7, v9
	v_and_b32_e32 v10, 1, v10
	v_cmp_eq_u32_e32 vcc, 1, v10
	s_and_saveexec_b64 s[2:3], vcc
	s_xor_b64 s[2:3], exec, s[2:3]
	s_cbranch_execz .LBB455_321
; %bb.320:
	s_waitcnt lgkmcnt(0)
	v_cmp_lt_i64_e32 vcc, v[3:4], v[1:2]
                                        ; implicit-def: $vgpr7
                                        ; implicit-def: $vgpr9
	v_cndmask_b32_e32 v2, v2, v4, vcc
	v_cndmask_b32_e32 v1, v1, v3, vcc
                                        ; implicit-def: $vgpr3_vgpr4
.LBB455_321:
	s_or_saveexec_b64 s[2:3], s[2:3]
	v_mov_b32_e32 v10, 1
	s_xor_b64 exec, exec, s[2:3]
	s_cbranch_execz .LBB455_323
; %bb.322:
	v_and_b32_e32 v7, 1, v7
	v_cmp_eq_u32_e32 vcc, 1, v7
	s_waitcnt lgkmcnt(1)
	v_cndmask_b32_e32 v1, v3, v1, vcc
	v_and_b32_e32 v3, 0xff, v9
	s_waitcnt lgkmcnt(0)
	v_cndmask_b32_e32 v2, v4, v2, vcc
	v_cndmask_b32_e64 v10, v3, 1, vcc
.LBB455_323:
	s_or_b64 exec, exec, s[2:3]
	v_mov_b32_e32 v7, v10
.LBB455_324:
	s_or_b64 exec, exec, s[0:1]
	v_cmp_gt_u32_e32 vcc, 60, v6
	s_waitcnt lgkmcnt(1)
	v_cndmask_b32_e64 v3, 0, 4, vcc
	s_waitcnt lgkmcnt(0)
	v_add_lshl_u32 v4, v3, v5, 2
	ds_bpermute_b32 v9, v4, v7
	ds_bpermute_b32 v3, v4, v1
	ds_bpermute_b32 v4, v4, v2
	v_add_u32_e32 v10, 4, v6
	v_cmp_lt_u32_e32 vcc, v10, v8
	s_and_saveexec_b64 s[0:1], vcc
	s_cbranch_execz .LBB455_330
; %bb.325:
	s_waitcnt lgkmcnt(2)
	v_and_b32_e32 v10, v7, v9
	v_and_b32_e32 v10, 1, v10
	v_cmp_eq_u32_e32 vcc, 1, v10
	s_and_saveexec_b64 s[2:3], vcc
	s_xor_b64 s[2:3], exec, s[2:3]
	s_cbranch_execz .LBB455_327
; %bb.326:
	s_waitcnt lgkmcnt(0)
	v_cmp_lt_i64_e32 vcc, v[3:4], v[1:2]
                                        ; implicit-def: $vgpr7
                                        ; implicit-def: $vgpr9
	v_cndmask_b32_e32 v2, v2, v4, vcc
	v_cndmask_b32_e32 v1, v1, v3, vcc
                                        ; implicit-def: $vgpr3_vgpr4
.LBB455_327:
	s_or_saveexec_b64 s[2:3], s[2:3]
	v_mov_b32_e32 v10, 1
	s_xor_b64 exec, exec, s[2:3]
	s_cbranch_execz .LBB455_329
; %bb.328:
	v_and_b32_e32 v7, 1, v7
	v_cmp_eq_u32_e32 vcc, 1, v7
	s_waitcnt lgkmcnt(1)
	v_cndmask_b32_e32 v1, v3, v1, vcc
	v_and_b32_e32 v3, 0xff, v9
	s_waitcnt lgkmcnt(0)
	v_cndmask_b32_e32 v2, v4, v2, vcc
	v_cndmask_b32_e64 v10, v3, 1, vcc
.LBB455_329:
	s_or_b64 exec, exec, s[2:3]
	v_mov_b32_e32 v7, v10
.LBB455_330:
	;; [unrolled: 47-line block ×4, first 2 shown]
	s_or_b64 exec, exec, s[0:1]
	s_waitcnt lgkmcnt(2)
	v_lshlrev_b32_e32 v9, 2, v5
	s_waitcnt lgkmcnt(0)
	v_or_b32_e32 v4, 0x80, v9
	ds_bpermute_b32 v10, v4, v7
	ds_bpermute_b32 v3, v4, v1
	;; [unrolled: 1-line block ×3, first 2 shown]
	v_add_u32_e32 v6, 32, v6
	v_cmp_lt_u32_e32 vcc, v6, v8
	v_mov_b32_e32 v6, v7
	s_and_saveexec_b64 s[0:1], vcc
	s_cbranch_execz .LBB455_348
; %bb.343:
	s_waitcnt lgkmcnt(2)
	v_and_b32_e32 v6, v7, v10
	v_and_b32_e32 v6, 1, v6
	v_cmp_eq_u32_e32 vcc, 1, v6
	s_and_saveexec_b64 s[2:3], vcc
	s_xor_b64 s[2:3], exec, s[2:3]
	s_cbranch_execz .LBB455_345
; %bb.344:
	s_waitcnt lgkmcnt(0)
	v_cmp_lt_i64_e32 vcc, v[3:4], v[1:2]
                                        ; implicit-def: $vgpr7
                                        ; implicit-def: $vgpr10
	v_cndmask_b32_e32 v2, v2, v4, vcc
	v_cndmask_b32_e32 v1, v1, v3, vcc
                                        ; implicit-def: $vgpr3_vgpr4
.LBB455_345:
	s_or_saveexec_b64 s[2:3], s[2:3]
	v_mov_b32_e32 v6, 1
	s_xor_b64 exec, exec, s[2:3]
	s_cbranch_execz .LBB455_347
; %bb.346:
	v_and_b32_e32 v6, 1, v7
	v_cmp_eq_u32_e32 vcc, 1, v6
	v_cndmask_b32_e64 v6, v10, 1, vcc
	s_waitcnt lgkmcnt(0)
	v_cndmask_b32_e32 v2, v4, v2, vcc
	v_cndmask_b32_e32 v1, v3, v1, vcc
.LBB455_347:
	s_or_b64 exec, exec, s[2:3]
	v_and_b32_e32 v7, 0xff, v6
.LBB455_348:
	s_or_b64 exec, exec, s[0:1]
	v_cmp_eq_u32_e32 vcc, 0, v5
	s_and_saveexec_b64 s[0:1], vcc
	s_cbranch_execz .LBB455_350
; %bb.349:
	s_waitcnt lgkmcnt(1)
	v_lshrrev_b32_e32 v3, 2, v0
	v_and_b32_e32 v3, 16, v3
	ds_write_b8 v3, v6 offset:128
	ds_write_b64 v3, v[1:2] offset:136
.LBB455_350:
	s_or_b64 exec, exec, s[0:1]
	v_cmp_gt_u32_e32 vcc, 2, v0
	s_waitcnt lgkmcnt(0)
	s_barrier
	s_and_saveexec_b64 s[0:1], vcc
	s_cbranch_execz .LBB455_358
; %bb.351:
	v_lshlrev_b32_e32 v1, 4, v5
	ds_read_u8 v6, v1 offset:128
	ds_read_b64 v[1:2], v1 offset:136
	v_or_b32_e32 v4, 4, v9
	s_add_i32 s8, s8, 63
	v_and_b32_e32 v5, 1, v5
	s_waitcnt lgkmcnt(1)
	v_and_b32_e32 v7, 0xff, v6
	s_waitcnt lgkmcnt(0)
	ds_bpermute_b32 v3, v4, v1
	ds_bpermute_b32 v8, v4, v7
	;; [unrolled: 1-line block ×3, first 2 shown]
	s_lshr_b32 s2, s8, 6
	v_add_u32_e32 v5, 1, v5
	v_cmp_gt_u32_e32 vcc, s2, v5
	s_and_saveexec_b64 s[2:3], vcc
	s_cbranch_execz .LBB455_357
; %bb.352:
	s_waitcnt lgkmcnt(1)
	v_and_b32_e32 v5, v7, v8
	v_and_b32_e32 v5, 1, v5
	v_cmp_eq_u32_e32 vcc, 1, v5
	s_and_saveexec_b64 s[8:9], vcc
	s_xor_b64 s[8:9], exec, s[8:9]
	s_cbranch_execz .LBB455_354
; %bb.353:
	s_waitcnt lgkmcnt(0)
	v_cmp_lt_i64_e32 vcc, v[3:4], v[1:2]
                                        ; implicit-def: $vgpr6
                                        ; implicit-def: $vgpr8
	v_cndmask_b32_e32 v2, v2, v4, vcc
	v_cndmask_b32_e32 v1, v1, v3, vcc
                                        ; implicit-def: $vgpr3_vgpr4
.LBB455_354:
	s_or_saveexec_b64 s[8:9], s[8:9]
	v_mov_b32_e32 v7, 1
	s_xor_b64 exec, exec, s[8:9]
	s_cbranch_execz .LBB455_356
; %bb.355:
	v_and_b32_e32 v5, 1, v6
	v_cmp_eq_u32_e32 vcc, 1, v5
	s_waitcnt lgkmcnt(0)
	v_cndmask_b32_e32 v2, v4, v2, vcc
	v_cndmask_b32_e32 v1, v3, v1, vcc
	v_cndmask_b32_e64 v7, v8, 1, vcc
.LBB455_356:
	s_or_b64 exec, exec, s[8:9]
.LBB455_357:
	s_or_b64 exec, exec, s[2:3]
.LBB455_358:
	s_or_b64 exec, exec, s[0:1]
.LBB455_359:
	v_cmp_eq_u32_e32 vcc, 0, v0
                                        ; implicit-def: $vgpr3_vgpr4
                                        ; implicit-def: $vgpr5
	s_and_saveexec_b64 s[8:9], vcc
	s_cbranch_execz .LBB455_363
; %bb.360:
	s_waitcnt lgkmcnt(0)
	v_mov_b32_e32 v3, s18
	s_cmp_eq_u64 s[22:23], 0
	v_mov_b32_e32 v4, s19
	v_mov_b32_e32 v5, s30
	s_cbranch_scc1 .LBB455_362
; %bb.361:
	v_and_b32_e32 v0, 1, v7
	v_cmp_gt_i64_e64 s[0:1], s[18:19], v[1:2]
	s_bitcmp1_b32 s30, 0
	v_cmp_eq_u32_e32 vcc, 1, v0
	s_cselect_b64 s[2:3], -1, 0
	v_mov_b32_e32 v0, s18
	s_and_b64 vcc, vcc, s[0:1]
	v_mov_b32_e32 v3, s19
	v_cndmask_b32_e32 v0, v0, v1, vcc
	v_cndmask_b32_e32 v3, v3, v2, vcc
	v_cndmask_b32_e64 v5, v7, 1, s[2:3]
	v_cndmask_b32_e64 v4, v2, v3, s[2:3]
	;; [unrolled: 1-line block ×3, first 2 shown]
.LBB455_362:
	s_or_b64 s[14:15], s[14:15], exec
.LBB455_363:
	s_or_b64 exec, exec, s[8:9]
	v_mov_b32_e32 v1, s6
	v_mov_b32_e32 v2, s7
	s_and_saveexec_b64 s[0:1], s[14:15]
	s_cbranch_execnz .LBB455_307
	s_branch .LBB455_308
	.section	.rodata,"a",@progbits
	.p2align	6, 0x0
	.amdhsa_kernel _ZN7rocprim17ROCPRIM_400000_NS6detail17trampoline_kernelINS0_14default_configENS1_22reduce_config_selectorIN6thrust23THRUST_200600_302600_NS5tupleIblNS6_9null_typeES8_S8_S8_S8_S8_S8_S8_EEEEZNS1_11reduce_implILb1ES3_NS6_12zip_iteratorINS7_INS6_11hip_rocprim26transform_input_iterator_tIbPhNS6_6detail10functional5actorINSH_9compositeIJNSH_27transparent_binary_operatorINS6_8equal_toIvEEEENSI_INSH_8argumentILj0EEEEENSH_5valueIhEEEEEEEEENSD_19counting_iterator_tIlEES8_S8_S8_S8_S8_S8_S8_S8_EEEEPS9_S9_NSD_9__find_if7functorIS9_EEEE10hipError_tPvRmT1_T2_T3_mT4_P12ihipStream_tbEUlT_E1_NS1_11comp_targetILNS1_3genE2ELNS1_11target_archE906ELNS1_3gpuE6ELNS1_3repE0EEENS1_30default_config_static_selectorELNS0_4arch9wavefront6targetE1EEEvS17_
		.amdhsa_group_segment_fixed_size 160
		.amdhsa_private_segment_fixed_size 0
		.amdhsa_kernarg_size 72
		.amdhsa_user_sgpr_count 6
		.amdhsa_user_sgpr_private_segment_buffer 1
		.amdhsa_user_sgpr_dispatch_ptr 0
		.amdhsa_user_sgpr_queue_ptr 0
		.amdhsa_user_sgpr_kernarg_segment_ptr 1
		.amdhsa_user_sgpr_dispatch_id 0
		.amdhsa_user_sgpr_flat_scratch_init 0
		.amdhsa_user_sgpr_private_segment_size 0
		.amdhsa_uses_dynamic_stack 0
		.amdhsa_system_sgpr_private_segment_wavefront_offset 0
		.amdhsa_system_sgpr_workgroup_id_x 1
		.amdhsa_system_sgpr_workgroup_id_y 0
		.amdhsa_system_sgpr_workgroup_id_z 0
		.amdhsa_system_sgpr_workgroup_info 0
		.amdhsa_system_vgpr_workitem_id 0
		.amdhsa_next_free_vgpr 26
		.amdhsa_next_free_sgpr 40
		.amdhsa_reserve_vcc 1
		.amdhsa_reserve_flat_scratch 0
		.amdhsa_float_round_mode_32 0
		.amdhsa_float_round_mode_16_64 0
		.amdhsa_float_denorm_mode_32 3
		.amdhsa_float_denorm_mode_16_64 3
		.amdhsa_dx10_clamp 1
		.amdhsa_ieee_mode 1
		.amdhsa_fp16_overflow 0
		.amdhsa_exception_fp_ieee_invalid_op 0
		.amdhsa_exception_fp_denorm_src 0
		.amdhsa_exception_fp_ieee_div_zero 0
		.amdhsa_exception_fp_ieee_overflow 0
		.amdhsa_exception_fp_ieee_underflow 0
		.amdhsa_exception_fp_ieee_inexact 0
		.amdhsa_exception_int_div_zero 0
	.end_amdhsa_kernel
	.section	.text._ZN7rocprim17ROCPRIM_400000_NS6detail17trampoline_kernelINS0_14default_configENS1_22reduce_config_selectorIN6thrust23THRUST_200600_302600_NS5tupleIblNS6_9null_typeES8_S8_S8_S8_S8_S8_S8_EEEEZNS1_11reduce_implILb1ES3_NS6_12zip_iteratorINS7_INS6_11hip_rocprim26transform_input_iterator_tIbPhNS6_6detail10functional5actorINSH_9compositeIJNSH_27transparent_binary_operatorINS6_8equal_toIvEEEENSI_INSH_8argumentILj0EEEEENSH_5valueIhEEEEEEEEENSD_19counting_iterator_tIlEES8_S8_S8_S8_S8_S8_S8_S8_EEEEPS9_S9_NSD_9__find_if7functorIS9_EEEE10hipError_tPvRmT1_T2_T3_mT4_P12ihipStream_tbEUlT_E1_NS1_11comp_targetILNS1_3genE2ELNS1_11target_archE906ELNS1_3gpuE6ELNS1_3repE0EEENS1_30default_config_static_selectorELNS0_4arch9wavefront6targetE1EEEvS17_,"axG",@progbits,_ZN7rocprim17ROCPRIM_400000_NS6detail17trampoline_kernelINS0_14default_configENS1_22reduce_config_selectorIN6thrust23THRUST_200600_302600_NS5tupleIblNS6_9null_typeES8_S8_S8_S8_S8_S8_S8_EEEEZNS1_11reduce_implILb1ES3_NS6_12zip_iteratorINS7_INS6_11hip_rocprim26transform_input_iterator_tIbPhNS6_6detail10functional5actorINSH_9compositeIJNSH_27transparent_binary_operatorINS6_8equal_toIvEEEENSI_INSH_8argumentILj0EEEEENSH_5valueIhEEEEEEEEENSD_19counting_iterator_tIlEES8_S8_S8_S8_S8_S8_S8_S8_EEEEPS9_S9_NSD_9__find_if7functorIS9_EEEE10hipError_tPvRmT1_T2_T3_mT4_P12ihipStream_tbEUlT_E1_NS1_11comp_targetILNS1_3genE2ELNS1_11target_archE906ELNS1_3gpuE6ELNS1_3repE0EEENS1_30default_config_static_selectorELNS0_4arch9wavefront6targetE1EEEvS17_,comdat
.Lfunc_end455:
	.size	_ZN7rocprim17ROCPRIM_400000_NS6detail17trampoline_kernelINS0_14default_configENS1_22reduce_config_selectorIN6thrust23THRUST_200600_302600_NS5tupleIblNS6_9null_typeES8_S8_S8_S8_S8_S8_S8_EEEEZNS1_11reduce_implILb1ES3_NS6_12zip_iteratorINS7_INS6_11hip_rocprim26transform_input_iterator_tIbPhNS6_6detail10functional5actorINSH_9compositeIJNSH_27transparent_binary_operatorINS6_8equal_toIvEEEENSI_INSH_8argumentILj0EEEEENSH_5valueIhEEEEEEEEENSD_19counting_iterator_tIlEES8_S8_S8_S8_S8_S8_S8_S8_EEEEPS9_S9_NSD_9__find_if7functorIS9_EEEE10hipError_tPvRmT1_T2_T3_mT4_P12ihipStream_tbEUlT_E1_NS1_11comp_targetILNS1_3genE2ELNS1_11target_archE906ELNS1_3gpuE6ELNS1_3repE0EEENS1_30default_config_static_selectorELNS0_4arch9wavefront6targetE1EEEvS17_, .Lfunc_end455-_ZN7rocprim17ROCPRIM_400000_NS6detail17trampoline_kernelINS0_14default_configENS1_22reduce_config_selectorIN6thrust23THRUST_200600_302600_NS5tupleIblNS6_9null_typeES8_S8_S8_S8_S8_S8_S8_EEEEZNS1_11reduce_implILb1ES3_NS6_12zip_iteratorINS7_INS6_11hip_rocprim26transform_input_iterator_tIbPhNS6_6detail10functional5actorINSH_9compositeIJNSH_27transparent_binary_operatorINS6_8equal_toIvEEEENSI_INSH_8argumentILj0EEEEENSH_5valueIhEEEEEEEEENSD_19counting_iterator_tIlEES8_S8_S8_S8_S8_S8_S8_S8_EEEEPS9_S9_NSD_9__find_if7functorIS9_EEEE10hipError_tPvRmT1_T2_T3_mT4_P12ihipStream_tbEUlT_E1_NS1_11comp_targetILNS1_3genE2ELNS1_11target_archE906ELNS1_3gpuE6ELNS1_3repE0EEENS1_30default_config_static_selectorELNS0_4arch9wavefront6targetE1EEEvS17_
                                        ; -- End function
	.set _ZN7rocprim17ROCPRIM_400000_NS6detail17trampoline_kernelINS0_14default_configENS1_22reduce_config_selectorIN6thrust23THRUST_200600_302600_NS5tupleIblNS6_9null_typeES8_S8_S8_S8_S8_S8_S8_EEEEZNS1_11reduce_implILb1ES3_NS6_12zip_iteratorINS7_INS6_11hip_rocprim26transform_input_iterator_tIbPhNS6_6detail10functional5actorINSH_9compositeIJNSH_27transparent_binary_operatorINS6_8equal_toIvEEEENSI_INSH_8argumentILj0EEEEENSH_5valueIhEEEEEEEEENSD_19counting_iterator_tIlEES8_S8_S8_S8_S8_S8_S8_S8_EEEEPS9_S9_NSD_9__find_if7functorIS9_EEEE10hipError_tPvRmT1_T2_T3_mT4_P12ihipStream_tbEUlT_E1_NS1_11comp_targetILNS1_3genE2ELNS1_11target_archE906ELNS1_3gpuE6ELNS1_3repE0EEENS1_30default_config_static_selectorELNS0_4arch9wavefront6targetE1EEEvS17_.num_vgpr, 26
	.set _ZN7rocprim17ROCPRIM_400000_NS6detail17trampoline_kernelINS0_14default_configENS1_22reduce_config_selectorIN6thrust23THRUST_200600_302600_NS5tupleIblNS6_9null_typeES8_S8_S8_S8_S8_S8_S8_EEEEZNS1_11reduce_implILb1ES3_NS6_12zip_iteratorINS7_INS6_11hip_rocprim26transform_input_iterator_tIbPhNS6_6detail10functional5actorINSH_9compositeIJNSH_27transparent_binary_operatorINS6_8equal_toIvEEEENSI_INSH_8argumentILj0EEEEENSH_5valueIhEEEEEEEEENSD_19counting_iterator_tIlEES8_S8_S8_S8_S8_S8_S8_S8_EEEEPS9_S9_NSD_9__find_if7functorIS9_EEEE10hipError_tPvRmT1_T2_T3_mT4_P12ihipStream_tbEUlT_E1_NS1_11comp_targetILNS1_3genE2ELNS1_11target_archE906ELNS1_3gpuE6ELNS1_3repE0EEENS1_30default_config_static_selectorELNS0_4arch9wavefront6targetE1EEEvS17_.num_agpr, 0
	.set _ZN7rocprim17ROCPRIM_400000_NS6detail17trampoline_kernelINS0_14default_configENS1_22reduce_config_selectorIN6thrust23THRUST_200600_302600_NS5tupleIblNS6_9null_typeES8_S8_S8_S8_S8_S8_S8_EEEEZNS1_11reduce_implILb1ES3_NS6_12zip_iteratorINS7_INS6_11hip_rocprim26transform_input_iterator_tIbPhNS6_6detail10functional5actorINSH_9compositeIJNSH_27transparent_binary_operatorINS6_8equal_toIvEEEENSI_INSH_8argumentILj0EEEEENSH_5valueIhEEEEEEEEENSD_19counting_iterator_tIlEES8_S8_S8_S8_S8_S8_S8_S8_EEEEPS9_S9_NSD_9__find_if7functorIS9_EEEE10hipError_tPvRmT1_T2_T3_mT4_P12ihipStream_tbEUlT_E1_NS1_11comp_targetILNS1_3genE2ELNS1_11target_archE906ELNS1_3gpuE6ELNS1_3repE0EEENS1_30default_config_static_selectorELNS0_4arch9wavefront6targetE1EEEvS17_.numbered_sgpr, 40
	.set _ZN7rocprim17ROCPRIM_400000_NS6detail17trampoline_kernelINS0_14default_configENS1_22reduce_config_selectorIN6thrust23THRUST_200600_302600_NS5tupleIblNS6_9null_typeES8_S8_S8_S8_S8_S8_S8_EEEEZNS1_11reduce_implILb1ES3_NS6_12zip_iteratorINS7_INS6_11hip_rocprim26transform_input_iterator_tIbPhNS6_6detail10functional5actorINSH_9compositeIJNSH_27transparent_binary_operatorINS6_8equal_toIvEEEENSI_INSH_8argumentILj0EEEEENSH_5valueIhEEEEEEEEENSD_19counting_iterator_tIlEES8_S8_S8_S8_S8_S8_S8_S8_EEEEPS9_S9_NSD_9__find_if7functorIS9_EEEE10hipError_tPvRmT1_T2_T3_mT4_P12ihipStream_tbEUlT_E1_NS1_11comp_targetILNS1_3genE2ELNS1_11target_archE906ELNS1_3gpuE6ELNS1_3repE0EEENS1_30default_config_static_selectorELNS0_4arch9wavefront6targetE1EEEvS17_.num_named_barrier, 0
	.set _ZN7rocprim17ROCPRIM_400000_NS6detail17trampoline_kernelINS0_14default_configENS1_22reduce_config_selectorIN6thrust23THRUST_200600_302600_NS5tupleIblNS6_9null_typeES8_S8_S8_S8_S8_S8_S8_EEEEZNS1_11reduce_implILb1ES3_NS6_12zip_iteratorINS7_INS6_11hip_rocprim26transform_input_iterator_tIbPhNS6_6detail10functional5actorINSH_9compositeIJNSH_27transparent_binary_operatorINS6_8equal_toIvEEEENSI_INSH_8argumentILj0EEEEENSH_5valueIhEEEEEEEEENSD_19counting_iterator_tIlEES8_S8_S8_S8_S8_S8_S8_S8_EEEEPS9_S9_NSD_9__find_if7functorIS9_EEEE10hipError_tPvRmT1_T2_T3_mT4_P12ihipStream_tbEUlT_E1_NS1_11comp_targetILNS1_3genE2ELNS1_11target_archE906ELNS1_3gpuE6ELNS1_3repE0EEENS1_30default_config_static_selectorELNS0_4arch9wavefront6targetE1EEEvS17_.private_seg_size, 0
	.set _ZN7rocprim17ROCPRIM_400000_NS6detail17trampoline_kernelINS0_14default_configENS1_22reduce_config_selectorIN6thrust23THRUST_200600_302600_NS5tupleIblNS6_9null_typeES8_S8_S8_S8_S8_S8_S8_EEEEZNS1_11reduce_implILb1ES3_NS6_12zip_iteratorINS7_INS6_11hip_rocprim26transform_input_iterator_tIbPhNS6_6detail10functional5actorINSH_9compositeIJNSH_27transparent_binary_operatorINS6_8equal_toIvEEEENSI_INSH_8argumentILj0EEEEENSH_5valueIhEEEEEEEEENSD_19counting_iterator_tIlEES8_S8_S8_S8_S8_S8_S8_S8_EEEEPS9_S9_NSD_9__find_if7functorIS9_EEEE10hipError_tPvRmT1_T2_T3_mT4_P12ihipStream_tbEUlT_E1_NS1_11comp_targetILNS1_3genE2ELNS1_11target_archE906ELNS1_3gpuE6ELNS1_3repE0EEENS1_30default_config_static_selectorELNS0_4arch9wavefront6targetE1EEEvS17_.uses_vcc, 1
	.set _ZN7rocprim17ROCPRIM_400000_NS6detail17trampoline_kernelINS0_14default_configENS1_22reduce_config_selectorIN6thrust23THRUST_200600_302600_NS5tupleIblNS6_9null_typeES8_S8_S8_S8_S8_S8_S8_EEEEZNS1_11reduce_implILb1ES3_NS6_12zip_iteratorINS7_INS6_11hip_rocprim26transform_input_iterator_tIbPhNS6_6detail10functional5actorINSH_9compositeIJNSH_27transparent_binary_operatorINS6_8equal_toIvEEEENSI_INSH_8argumentILj0EEEEENSH_5valueIhEEEEEEEEENSD_19counting_iterator_tIlEES8_S8_S8_S8_S8_S8_S8_S8_EEEEPS9_S9_NSD_9__find_if7functorIS9_EEEE10hipError_tPvRmT1_T2_T3_mT4_P12ihipStream_tbEUlT_E1_NS1_11comp_targetILNS1_3genE2ELNS1_11target_archE906ELNS1_3gpuE6ELNS1_3repE0EEENS1_30default_config_static_selectorELNS0_4arch9wavefront6targetE1EEEvS17_.uses_flat_scratch, 0
	.set _ZN7rocprim17ROCPRIM_400000_NS6detail17trampoline_kernelINS0_14default_configENS1_22reduce_config_selectorIN6thrust23THRUST_200600_302600_NS5tupleIblNS6_9null_typeES8_S8_S8_S8_S8_S8_S8_EEEEZNS1_11reduce_implILb1ES3_NS6_12zip_iteratorINS7_INS6_11hip_rocprim26transform_input_iterator_tIbPhNS6_6detail10functional5actorINSH_9compositeIJNSH_27transparent_binary_operatorINS6_8equal_toIvEEEENSI_INSH_8argumentILj0EEEEENSH_5valueIhEEEEEEEEENSD_19counting_iterator_tIlEES8_S8_S8_S8_S8_S8_S8_S8_EEEEPS9_S9_NSD_9__find_if7functorIS9_EEEE10hipError_tPvRmT1_T2_T3_mT4_P12ihipStream_tbEUlT_E1_NS1_11comp_targetILNS1_3genE2ELNS1_11target_archE906ELNS1_3gpuE6ELNS1_3repE0EEENS1_30default_config_static_selectorELNS0_4arch9wavefront6targetE1EEEvS17_.has_dyn_sized_stack, 0
	.set _ZN7rocprim17ROCPRIM_400000_NS6detail17trampoline_kernelINS0_14default_configENS1_22reduce_config_selectorIN6thrust23THRUST_200600_302600_NS5tupleIblNS6_9null_typeES8_S8_S8_S8_S8_S8_S8_EEEEZNS1_11reduce_implILb1ES3_NS6_12zip_iteratorINS7_INS6_11hip_rocprim26transform_input_iterator_tIbPhNS6_6detail10functional5actorINSH_9compositeIJNSH_27transparent_binary_operatorINS6_8equal_toIvEEEENSI_INSH_8argumentILj0EEEEENSH_5valueIhEEEEEEEEENSD_19counting_iterator_tIlEES8_S8_S8_S8_S8_S8_S8_S8_EEEEPS9_S9_NSD_9__find_if7functorIS9_EEEE10hipError_tPvRmT1_T2_T3_mT4_P12ihipStream_tbEUlT_E1_NS1_11comp_targetILNS1_3genE2ELNS1_11target_archE906ELNS1_3gpuE6ELNS1_3repE0EEENS1_30default_config_static_selectorELNS0_4arch9wavefront6targetE1EEEvS17_.has_recursion, 0
	.set _ZN7rocprim17ROCPRIM_400000_NS6detail17trampoline_kernelINS0_14default_configENS1_22reduce_config_selectorIN6thrust23THRUST_200600_302600_NS5tupleIblNS6_9null_typeES8_S8_S8_S8_S8_S8_S8_EEEEZNS1_11reduce_implILb1ES3_NS6_12zip_iteratorINS7_INS6_11hip_rocprim26transform_input_iterator_tIbPhNS6_6detail10functional5actorINSH_9compositeIJNSH_27transparent_binary_operatorINS6_8equal_toIvEEEENSI_INSH_8argumentILj0EEEEENSH_5valueIhEEEEEEEEENSD_19counting_iterator_tIlEES8_S8_S8_S8_S8_S8_S8_S8_EEEEPS9_S9_NSD_9__find_if7functorIS9_EEEE10hipError_tPvRmT1_T2_T3_mT4_P12ihipStream_tbEUlT_E1_NS1_11comp_targetILNS1_3genE2ELNS1_11target_archE906ELNS1_3gpuE6ELNS1_3repE0EEENS1_30default_config_static_selectorELNS0_4arch9wavefront6targetE1EEEvS17_.has_indirect_call, 0
	.section	.AMDGPU.csdata,"",@progbits
; Kernel info:
; codeLenInByte = 12864
; TotalNumSgprs: 44
; NumVgprs: 26
; ScratchSize: 0
; MemoryBound: 0
; FloatMode: 240
; IeeeMode: 1
; LDSByteSize: 160 bytes/workgroup (compile time only)
; SGPRBlocks: 5
; VGPRBlocks: 6
; NumSGPRsForWavesPerEU: 44
; NumVGPRsForWavesPerEU: 26
; Occupancy: 9
; WaveLimiterHint : 1
; COMPUTE_PGM_RSRC2:SCRATCH_EN: 0
; COMPUTE_PGM_RSRC2:USER_SGPR: 6
; COMPUTE_PGM_RSRC2:TRAP_HANDLER: 0
; COMPUTE_PGM_RSRC2:TGID_X_EN: 1
; COMPUTE_PGM_RSRC2:TGID_Y_EN: 0
; COMPUTE_PGM_RSRC2:TGID_Z_EN: 0
; COMPUTE_PGM_RSRC2:TIDIG_COMP_CNT: 0
	.section	.text._ZN7rocprim17ROCPRIM_400000_NS6detail17trampoline_kernelINS0_14default_configENS1_22reduce_config_selectorIN6thrust23THRUST_200600_302600_NS5tupleIblNS6_9null_typeES8_S8_S8_S8_S8_S8_S8_EEEEZNS1_11reduce_implILb1ES3_NS6_12zip_iteratorINS7_INS6_11hip_rocprim26transform_input_iterator_tIbPhNS6_6detail10functional5actorINSH_9compositeIJNSH_27transparent_binary_operatorINS6_8equal_toIvEEEENSI_INSH_8argumentILj0EEEEENSH_5valueIhEEEEEEEEENSD_19counting_iterator_tIlEES8_S8_S8_S8_S8_S8_S8_S8_EEEEPS9_S9_NSD_9__find_if7functorIS9_EEEE10hipError_tPvRmT1_T2_T3_mT4_P12ihipStream_tbEUlT_E1_NS1_11comp_targetILNS1_3genE10ELNS1_11target_archE1201ELNS1_3gpuE5ELNS1_3repE0EEENS1_30default_config_static_selectorELNS0_4arch9wavefront6targetE1EEEvS17_,"axG",@progbits,_ZN7rocprim17ROCPRIM_400000_NS6detail17trampoline_kernelINS0_14default_configENS1_22reduce_config_selectorIN6thrust23THRUST_200600_302600_NS5tupleIblNS6_9null_typeES8_S8_S8_S8_S8_S8_S8_EEEEZNS1_11reduce_implILb1ES3_NS6_12zip_iteratorINS7_INS6_11hip_rocprim26transform_input_iterator_tIbPhNS6_6detail10functional5actorINSH_9compositeIJNSH_27transparent_binary_operatorINS6_8equal_toIvEEEENSI_INSH_8argumentILj0EEEEENSH_5valueIhEEEEEEEEENSD_19counting_iterator_tIlEES8_S8_S8_S8_S8_S8_S8_S8_EEEEPS9_S9_NSD_9__find_if7functorIS9_EEEE10hipError_tPvRmT1_T2_T3_mT4_P12ihipStream_tbEUlT_E1_NS1_11comp_targetILNS1_3genE10ELNS1_11target_archE1201ELNS1_3gpuE5ELNS1_3repE0EEENS1_30default_config_static_selectorELNS0_4arch9wavefront6targetE1EEEvS17_,comdat
	.protected	_ZN7rocprim17ROCPRIM_400000_NS6detail17trampoline_kernelINS0_14default_configENS1_22reduce_config_selectorIN6thrust23THRUST_200600_302600_NS5tupleIblNS6_9null_typeES8_S8_S8_S8_S8_S8_S8_EEEEZNS1_11reduce_implILb1ES3_NS6_12zip_iteratorINS7_INS6_11hip_rocprim26transform_input_iterator_tIbPhNS6_6detail10functional5actorINSH_9compositeIJNSH_27transparent_binary_operatorINS6_8equal_toIvEEEENSI_INSH_8argumentILj0EEEEENSH_5valueIhEEEEEEEEENSD_19counting_iterator_tIlEES8_S8_S8_S8_S8_S8_S8_S8_EEEEPS9_S9_NSD_9__find_if7functorIS9_EEEE10hipError_tPvRmT1_T2_T3_mT4_P12ihipStream_tbEUlT_E1_NS1_11comp_targetILNS1_3genE10ELNS1_11target_archE1201ELNS1_3gpuE5ELNS1_3repE0EEENS1_30default_config_static_selectorELNS0_4arch9wavefront6targetE1EEEvS17_ ; -- Begin function _ZN7rocprim17ROCPRIM_400000_NS6detail17trampoline_kernelINS0_14default_configENS1_22reduce_config_selectorIN6thrust23THRUST_200600_302600_NS5tupleIblNS6_9null_typeES8_S8_S8_S8_S8_S8_S8_EEEEZNS1_11reduce_implILb1ES3_NS6_12zip_iteratorINS7_INS6_11hip_rocprim26transform_input_iterator_tIbPhNS6_6detail10functional5actorINSH_9compositeIJNSH_27transparent_binary_operatorINS6_8equal_toIvEEEENSI_INSH_8argumentILj0EEEEENSH_5valueIhEEEEEEEEENSD_19counting_iterator_tIlEES8_S8_S8_S8_S8_S8_S8_S8_EEEEPS9_S9_NSD_9__find_if7functorIS9_EEEE10hipError_tPvRmT1_T2_T3_mT4_P12ihipStream_tbEUlT_E1_NS1_11comp_targetILNS1_3genE10ELNS1_11target_archE1201ELNS1_3gpuE5ELNS1_3repE0EEENS1_30default_config_static_selectorELNS0_4arch9wavefront6targetE1EEEvS17_
	.globl	_ZN7rocprim17ROCPRIM_400000_NS6detail17trampoline_kernelINS0_14default_configENS1_22reduce_config_selectorIN6thrust23THRUST_200600_302600_NS5tupleIblNS6_9null_typeES8_S8_S8_S8_S8_S8_S8_EEEEZNS1_11reduce_implILb1ES3_NS6_12zip_iteratorINS7_INS6_11hip_rocprim26transform_input_iterator_tIbPhNS6_6detail10functional5actorINSH_9compositeIJNSH_27transparent_binary_operatorINS6_8equal_toIvEEEENSI_INSH_8argumentILj0EEEEENSH_5valueIhEEEEEEEEENSD_19counting_iterator_tIlEES8_S8_S8_S8_S8_S8_S8_S8_EEEEPS9_S9_NSD_9__find_if7functorIS9_EEEE10hipError_tPvRmT1_T2_T3_mT4_P12ihipStream_tbEUlT_E1_NS1_11comp_targetILNS1_3genE10ELNS1_11target_archE1201ELNS1_3gpuE5ELNS1_3repE0EEENS1_30default_config_static_selectorELNS0_4arch9wavefront6targetE1EEEvS17_
	.p2align	8
	.type	_ZN7rocprim17ROCPRIM_400000_NS6detail17trampoline_kernelINS0_14default_configENS1_22reduce_config_selectorIN6thrust23THRUST_200600_302600_NS5tupleIblNS6_9null_typeES8_S8_S8_S8_S8_S8_S8_EEEEZNS1_11reduce_implILb1ES3_NS6_12zip_iteratorINS7_INS6_11hip_rocprim26transform_input_iterator_tIbPhNS6_6detail10functional5actorINSH_9compositeIJNSH_27transparent_binary_operatorINS6_8equal_toIvEEEENSI_INSH_8argumentILj0EEEEENSH_5valueIhEEEEEEEEENSD_19counting_iterator_tIlEES8_S8_S8_S8_S8_S8_S8_S8_EEEEPS9_S9_NSD_9__find_if7functorIS9_EEEE10hipError_tPvRmT1_T2_T3_mT4_P12ihipStream_tbEUlT_E1_NS1_11comp_targetILNS1_3genE10ELNS1_11target_archE1201ELNS1_3gpuE5ELNS1_3repE0EEENS1_30default_config_static_selectorELNS0_4arch9wavefront6targetE1EEEvS17_,@function
_ZN7rocprim17ROCPRIM_400000_NS6detail17trampoline_kernelINS0_14default_configENS1_22reduce_config_selectorIN6thrust23THRUST_200600_302600_NS5tupleIblNS6_9null_typeES8_S8_S8_S8_S8_S8_S8_EEEEZNS1_11reduce_implILb1ES3_NS6_12zip_iteratorINS7_INS6_11hip_rocprim26transform_input_iterator_tIbPhNS6_6detail10functional5actorINSH_9compositeIJNSH_27transparent_binary_operatorINS6_8equal_toIvEEEENSI_INSH_8argumentILj0EEEEENSH_5valueIhEEEEEEEEENSD_19counting_iterator_tIlEES8_S8_S8_S8_S8_S8_S8_S8_EEEEPS9_S9_NSD_9__find_if7functorIS9_EEEE10hipError_tPvRmT1_T2_T3_mT4_P12ihipStream_tbEUlT_E1_NS1_11comp_targetILNS1_3genE10ELNS1_11target_archE1201ELNS1_3gpuE5ELNS1_3repE0EEENS1_30default_config_static_selectorELNS0_4arch9wavefront6targetE1EEEvS17_: ; @_ZN7rocprim17ROCPRIM_400000_NS6detail17trampoline_kernelINS0_14default_configENS1_22reduce_config_selectorIN6thrust23THRUST_200600_302600_NS5tupleIblNS6_9null_typeES8_S8_S8_S8_S8_S8_S8_EEEEZNS1_11reduce_implILb1ES3_NS6_12zip_iteratorINS7_INS6_11hip_rocprim26transform_input_iterator_tIbPhNS6_6detail10functional5actorINSH_9compositeIJNSH_27transparent_binary_operatorINS6_8equal_toIvEEEENSI_INSH_8argumentILj0EEEEENSH_5valueIhEEEEEEEEENSD_19counting_iterator_tIlEES8_S8_S8_S8_S8_S8_S8_S8_EEEEPS9_S9_NSD_9__find_if7functorIS9_EEEE10hipError_tPvRmT1_T2_T3_mT4_P12ihipStream_tbEUlT_E1_NS1_11comp_targetILNS1_3genE10ELNS1_11target_archE1201ELNS1_3gpuE5ELNS1_3repE0EEENS1_30default_config_static_selectorELNS0_4arch9wavefront6targetE1EEEvS17_
; %bb.0:
	.section	.rodata,"a",@progbits
	.p2align	6, 0x0
	.amdhsa_kernel _ZN7rocprim17ROCPRIM_400000_NS6detail17trampoline_kernelINS0_14default_configENS1_22reduce_config_selectorIN6thrust23THRUST_200600_302600_NS5tupleIblNS6_9null_typeES8_S8_S8_S8_S8_S8_S8_EEEEZNS1_11reduce_implILb1ES3_NS6_12zip_iteratorINS7_INS6_11hip_rocprim26transform_input_iterator_tIbPhNS6_6detail10functional5actorINSH_9compositeIJNSH_27transparent_binary_operatorINS6_8equal_toIvEEEENSI_INSH_8argumentILj0EEEEENSH_5valueIhEEEEEEEEENSD_19counting_iterator_tIlEES8_S8_S8_S8_S8_S8_S8_S8_EEEEPS9_S9_NSD_9__find_if7functorIS9_EEEE10hipError_tPvRmT1_T2_T3_mT4_P12ihipStream_tbEUlT_E1_NS1_11comp_targetILNS1_3genE10ELNS1_11target_archE1201ELNS1_3gpuE5ELNS1_3repE0EEENS1_30default_config_static_selectorELNS0_4arch9wavefront6targetE1EEEvS17_
		.amdhsa_group_segment_fixed_size 0
		.amdhsa_private_segment_fixed_size 0
		.amdhsa_kernarg_size 72
		.amdhsa_user_sgpr_count 6
		.amdhsa_user_sgpr_private_segment_buffer 1
		.amdhsa_user_sgpr_dispatch_ptr 0
		.amdhsa_user_sgpr_queue_ptr 0
		.amdhsa_user_sgpr_kernarg_segment_ptr 1
		.amdhsa_user_sgpr_dispatch_id 0
		.amdhsa_user_sgpr_flat_scratch_init 0
		.amdhsa_user_sgpr_private_segment_size 0
		.amdhsa_uses_dynamic_stack 0
		.amdhsa_system_sgpr_private_segment_wavefront_offset 0
		.amdhsa_system_sgpr_workgroup_id_x 1
		.amdhsa_system_sgpr_workgroup_id_y 0
		.amdhsa_system_sgpr_workgroup_id_z 0
		.amdhsa_system_sgpr_workgroup_info 0
		.amdhsa_system_vgpr_workitem_id 0
		.amdhsa_next_free_vgpr 1
		.amdhsa_next_free_sgpr 0
		.amdhsa_reserve_vcc 0
		.amdhsa_reserve_flat_scratch 0
		.amdhsa_float_round_mode_32 0
		.amdhsa_float_round_mode_16_64 0
		.amdhsa_float_denorm_mode_32 3
		.amdhsa_float_denorm_mode_16_64 3
		.amdhsa_dx10_clamp 1
		.amdhsa_ieee_mode 1
		.amdhsa_fp16_overflow 0
		.amdhsa_exception_fp_ieee_invalid_op 0
		.amdhsa_exception_fp_denorm_src 0
		.amdhsa_exception_fp_ieee_div_zero 0
		.amdhsa_exception_fp_ieee_overflow 0
		.amdhsa_exception_fp_ieee_underflow 0
		.amdhsa_exception_fp_ieee_inexact 0
		.amdhsa_exception_int_div_zero 0
	.end_amdhsa_kernel
	.section	.text._ZN7rocprim17ROCPRIM_400000_NS6detail17trampoline_kernelINS0_14default_configENS1_22reduce_config_selectorIN6thrust23THRUST_200600_302600_NS5tupleIblNS6_9null_typeES8_S8_S8_S8_S8_S8_S8_EEEEZNS1_11reduce_implILb1ES3_NS6_12zip_iteratorINS7_INS6_11hip_rocprim26transform_input_iterator_tIbPhNS6_6detail10functional5actorINSH_9compositeIJNSH_27transparent_binary_operatorINS6_8equal_toIvEEEENSI_INSH_8argumentILj0EEEEENSH_5valueIhEEEEEEEEENSD_19counting_iterator_tIlEES8_S8_S8_S8_S8_S8_S8_S8_EEEEPS9_S9_NSD_9__find_if7functorIS9_EEEE10hipError_tPvRmT1_T2_T3_mT4_P12ihipStream_tbEUlT_E1_NS1_11comp_targetILNS1_3genE10ELNS1_11target_archE1201ELNS1_3gpuE5ELNS1_3repE0EEENS1_30default_config_static_selectorELNS0_4arch9wavefront6targetE1EEEvS17_,"axG",@progbits,_ZN7rocprim17ROCPRIM_400000_NS6detail17trampoline_kernelINS0_14default_configENS1_22reduce_config_selectorIN6thrust23THRUST_200600_302600_NS5tupleIblNS6_9null_typeES8_S8_S8_S8_S8_S8_S8_EEEEZNS1_11reduce_implILb1ES3_NS6_12zip_iteratorINS7_INS6_11hip_rocprim26transform_input_iterator_tIbPhNS6_6detail10functional5actorINSH_9compositeIJNSH_27transparent_binary_operatorINS6_8equal_toIvEEEENSI_INSH_8argumentILj0EEEEENSH_5valueIhEEEEEEEEENSD_19counting_iterator_tIlEES8_S8_S8_S8_S8_S8_S8_S8_EEEEPS9_S9_NSD_9__find_if7functorIS9_EEEE10hipError_tPvRmT1_T2_T3_mT4_P12ihipStream_tbEUlT_E1_NS1_11comp_targetILNS1_3genE10ELNS1_11target_archE1201ELNS1_3gpuE5ELNS1_3repE0EEENS1_30default_config_static_selectorELNS0_4arch9wavefront6targetE1EEEvS17_,comdat
.Lfunc_end456:
	.size	_ZN7rocprim17ROCPRIM_400000_NS6detail17trampoline_kernelINS0_14default_configENS1_22reduce_config_selectorIN6thrust23THRUST_200600_302600_NS5tupleIblNS6_9null_typeES8_S8_S8_S8_S8_S8_S8_EEEEZNS1_11reduce_implILb1ES3_NS6_12zip_iteratorINS7_INS6_11hip_rocprim26transform_input_iterator_tIbPhNS6_6detail10functional5actorINSH_9compositeIJNSH_27transparent_binary_operatorINS6_8equal_toIvEEEENSI_INSH_8argumentILj0EEEEENSH_5valueIhEEEEEEEEENSD_19counting_iterator_tIlEES8_S8_S8_S8_S8_S8_S8_S8_EEEEPS9_S9_NSD_9__find_if7functorIS9_EEEE10hipError_tPvRmT1_T2_T3_mT4_P12ihipStream_tbEUlT_E1_NS1_11comp_targetILNS1_3genE10ELNS1_11target_archE1201ELNS1_3gpuE5ELNS1_3repE0EEENS1_30default_config_static_selectorELNS0_4arch9wavefront6targetE1EEEvS17_, .Lfunc_end456-_ZN7rocprim17ROCPRIM_400000_NS6detail17trampoline_kernelINS0_14default_configENS1_22reduce_config_selectorIN6thrust23THRUST_200600_302600_NS5tupleIblNS6_9null_typeES8_S8_S8_S8_S8_S8_S8_EEEEZNS1_11reduce_implILb1ES3_NS6_12zip_iteratorINS7_INS6_11hip_rocprim26transform_input_iterator_tIbPhNS6_6detail10functional5actorINSH_9compositeIJNSH_27transparent_binary_operatorINS6_8equal_toIvEEEENSI_INSH_8argumentILj0EEEEENSH_5valueIhEEEEEEEEENSD_19counting_iterator_tIlEES8_S8_S8_S8_S8_S8_S8_S8_EEEEPS9_S9_NSD_9__find_if7functorIS9_EEEE10hipError_tPvRmT1_T2_T3_mT4_P12ihipStream_tbEUlT_E1_NS1_11comp_targetILNS1_3genE10ELNS1_11target_archE1201ELNS1_3gpuE5ELNS1_3repE0EEENS1_30default_config_static_selectorELNS0_4arch9wavefront6targetE1EEEvS17_
                                        ; -- End function
	.set _ZN7rocprim17ROCPRIM_400000_NS6detail17trampoline_kernelINS0_14default_configENS1_22reduce_config_selectorIN6thrust23THRUST_200600_302600_NS5tupleIblNS6_9null_typeES8_S8_S8_S8_S8_S8_S8_EEEEZNS1_11reduce_implILb1ES3_NS6_12zip_iteratorINS7_INS6_11hip_rocprim26transform_input_iterator_tIbPhNS6_6detail10functional5actorINSH_9compositeIJNSH_27transparent_binary_operatorINS6_8equal_toIvEEEENSI_INSH_8argumentILj0EEEEENSH_5valueIhEEEEEEEEENSD_19counting_iterator_tIlEES8_S8_S8_S8_S8_S8_S8_S8_EEEEPS9_S9_NSD_9__find_if7functorIS9_EEEE10hipError_tPvRmT1_T2_T3_mT4_P12ihipStream_tbEUlT_E1_NS1_11comp_targetILNS1_3genE10ELNS1_11target_archE1201ELNS1_3gpuE5ELNS1_3repE0EEENS1_30default_config_static_selectorELNS0_4arch9wavefront6targetE1EEEvS17_.num_vgpr, 0
	.set _ZN7rocprim17ROCPRIM_400000_NS6detail17trampoline_kernelINS0_14default_configENS1_22reduce_config_selectorIN6thrust23THRUST_200600_302600_NS5tupleIblNS6_9null_typeES8_S8_S8_S8_S8_S8_S8_EEEEZNS1_11reduce_implILb1ES3_NS6_12zip_iteratorINS7_INS6_11hip_rocprim26transform_input_iterator_tIbPhNS6_6detail10functional5actorINSH_9compositeIJNSH_27transparent_binary_operatorINS6_8equal_toIvEEEENSI_INSH_8argumentILj0EEEEENSH_5valueIhEEEEEEEEENSD_19counting_iterator_tIlEES8_S8_S8_S8_S8_S8_S8_S8_EEEEPS9_S9_NSD_9__find_if7functorIS9_EEEE10hipError_tPvRmT1_T2_T3_mT4_P12ihipStream_tbEUlT_E1_NS1_11comp_targetILNS1_3genE10ELNS1_11target_archE1201ELNS1_3gpuE5ELNS1_3repE0EEENS1_30default_config_static_selectorELNS0_4arch9wavefront6targetE1EEEvS17_.num_agpr, 0
	.set _ZN7rocprim17ROCPRIM_400000_NS6detail17trampoline_kernelINS0_14default_configENS1_22reduce_config_selectorIN6thrust23THRUST_200600_302600_NS5tupleIblNS6_9null_typeES8_S8_S8_S8_S8_S8_S8_EEEEZNS1_11reduce_implILb1ES3_NS6_12zip_iteratorINS7_INS6_11hip_rocprim26transform_input_iterator_tIbPhNS6_6detail10functional5actorINSH_9compositeIJNSH_27transparent_binary_operatorINS6_8equal_toIvEEEENSI_INSH_8argumentILj0EEEEENSH_5valueIhEEEEEEEEENSD_19counting_iterator_tIlEES8_S8_S8_S8_S8_S8_S8_S8_EEEEPS9_S9_NSD_9__find_if7functorIS9_EEEE10hipError_tPvRmT1_T2_T3_mT4_P12ihipStream_tbEUlT_E1_NS1_11comp_targetILNS1_3genE10ELNS1_11target_archE1201ELNS1_3gpuE5ELNS1_3repE0EEENS1_30default_config_static_selectorELNS0_4arch9wavefront6targetE1EEEvS17_.numbered_sgpr, 0
	.set _ZN7rocprim17ROCPRIM_400000_NS6detail17trampoline_kernelINS0_14default_configENS1_22reduce_config_selectorIN6thrust23THRUST_200600_302600_NS5tupleIblNS6_9null_typeES8_S8_S8_S8_S8_S8_S8_EEEEZNS1_11reduce_implILb1ES3_NS6_12zip_iteratorINS7_INS6_11hip_rocprim26transform_input_iterator_tIbPhNS6_6detail10functional5actorINSH_9compositeIJNSH_27transparent_binary_operatorINS6_8equal_toIvEEEENSI_INSH_8argumentILj0EEEEENSH_5valueIhEEEEEEEEENSD_19counting_iterator_tIlEES8_S8_S8_S8_S8_S8_S8_S8_EEEEPS9_S9_NSD_9__find_if7functorIS9_EEEE10hipError_tPvRmT1_T2_T3_mT4_P12ihipStream_tbEUlT_E1_NS1_11comp_targetILNS1_3genE10ELNS1_11target_archE1201ELNS1_3gpuE5ELNS1_3repE0EEENS1_30default_config_static_selectorELNS0_4arch9wavefront6targetE1EEEvS17_.num_named_barrier, 0
	.set _ZN7rocprim17ROCPRIM_400000_NS6detail17trampoline_kernelINS0_14default_configENS1_22reduce_config_selectorIN6thrust23THRUST_200600_302600_NS5tupleIblNS6_9null_typeES8_S8_S8_S8_S8_S8_S8_EEEEZNS1_11reduce_implILb1ES3_NS6_12zip_iteratorINS7_INS6_11hip_rocprim26transform_input_iterator_tIbPhNS6_6detail10functional5actorINSH_9compositeIJNSH_27transparent_binary_operatorINS6_8equal_toIvEEEENSI_INSH_8argumentILj0EEEEENSH_5valueIhEEEEEEEEENSD_19counting_iterator_tIlEES8_S8_S8_S8_S8_S8_S8_S8_EEEEPS9_S9_NSD_9__find_if7functorIS9_EEEE10hipError_tPvRmT1_T2_T3_mT4_P12ihipStream_tbEUlT_E1_NS1_11comp_targetILNS1_3genE10ELNS1_11target_archE1201ELNS1_3gpuE5ELNS1_3repE0EEENS1_30default_config_static_selectorELNS0_4arch9wavefront6targetE1EEEvS17_.private_seg_size, 0
	.set _ZN7rocprim17ROCPRIM_400000_NS6detail17trampoline_kernelINS0_14default_configENS1_22reduce_config_selectorIN6thrust23THRUST_200600_302600_NS5tupleIblNS6_9null_typeES8_S8_S8_S8_S8_S8_S8_EEEEZNS1_11reduce_implILb1ES3_NS6_12zip_iteratorINS7_INS6_11hip_rocprim26transform_input_iterator_tIbPhNS6_6detail10functional5actorINSH_9compositeIJNSH_27transparent_binary_operatorINS6_8equal_toIvEEEENSI_INSH_8argumentILj0EEEEENSH_5valueIhEEEEEEEEENSD_19counting_iterator_tIlEES8_S8_S8_S8_S8_S8_S8_S8_EEEEPS9_S9_NSD_9__find_if7functorIS9_EEEE10hipError_tPvRmT1_T2_T3_mT4_P12ihipStream_tbEUlT_E1_NS1_11comp_targetILNS1_3genE10ELNS1_11target_archE1201ELNS1_3gpuE5ELNS1_3repE0EEENS1_30default_config_static_selectorELNS0_4arch9wavefront6targetE1EEEvS17_.uses_vcc, 0
	.set _ZN7rocprim17ROCPRIM_400000_NS6detail17trampoline_kernelINS0_14default_configENS1_22reduce_config_selectorIN6thrust23THRUST_200600_302600_NS5tupleIblNS6_9null_typeES8_S8_S8_S8_S8_S8_S8_EEEEZNS1_11reduce_implILb1ES3_NS6_12zip_iteratorINS7_INS6_11hip_rocprim26transform_input_iterator_tIbPhNS6_6detail10functional5actorINSH_9compositeIJNSH_27transparent_binary_operatorINS6_8equal_toIvEEEENSI_INSH_8argumentILj0EEEEENSH_5valueIhEEEEEEEEENSD_19counting_iterator_tIlEES8_S8_S8_S8_S8_S8_S8_S8_EEEEPS9_S9_NSD_9__find_if7functorIS9_EEEE10hipError_tPvRmT1_T2_T3_mT4_P12ihipStream_tbEUlT_E1_NS1_11comp_targetILNS1_3genE10ELNS1_11target_archE1201ELNS1_3gpuE5ELNS1_3repE0EEENS1_30default_config_static_selectorELNS0_4arch9wavefront6targetE1EEEvS17_.uses_flat_scratch, 0
	.set _ZN7rocprim17ROCPRIM_400000_NS6detail17trampoline_kernelINS0_14default_configENS1_22reduce_config_selectorIN6thrust23THRUST_200600_302600_NS5tupleIblNS6_9null_typeES8_S8_S8_S8_S8_S8_S8_EEEEZNS1_11reduce_implILb1ES3_NS6_12zip_iteratorINS7_INS6_11hip_rocprim26transform_input_iterator_tIbPhNS6_6detail10functional5actorINSH_9compositeIJNSH_27transparent_binary_operatorINS6_8equal_toIvEEEENSI_INSH_8argumentILj0EEEEENSH_5valueIhEEEEEEEEENSD_19counting_iterator_tIlEES8_S8_S8_S8_S8_S8_S8_S8_EEEEPS9_S9_NSD_9__find_if7functorIS9_EEEE10hipError_tPvRmT1_T2_T3_mT4_P12ihipStream_tbEUlT_E1_NS1_11comp_targetILNS1_3genE10ELNS1_11target_archE1201ELNS1_3gpuE5ELNS1_3repE0EEENS1_30default_config_static_selectorELNS0_4arch9wavefront6targetE1EEEvS17_.has_dyn_sized_stack, 0
	.set _ZN7rocprim17ROCPRIM_400000_NS6detail17trampoline_kernelINS0_14default_configENS1_22reduce_config_selectorIN6thrust23THRUST_200600_302600_NS5tupleIblNS6_9null_typeES8_S8_S8_S8_S8_S8_S8_EEEEZNS1_11reduce_implILb1ES3_NS6_12zip_iteratorINS7_INS6_11hip_rocprim26transform_input_iterator_tIbPhNS6_6detail10functional5actorINSH_9compositeIJNSH_27transparent_binary_operatorINS6_8equal_toIvEEEENSI_INSH_8argumentILj0EEEEENSH_5valueIhEEEEEEEEENSD_19counting_iterator_tIlEES8_S8_S8_S8_S8_S8_S8_S8_EEEEPS9_S9_NSD_9__find_if7functorIS9_EEEE10hipError_tPvRmT1_T2_T3_mT4_P12ihipStream_tbEUlT_E1_NS1_11comp_targetILNS1_3genE10ELNS1_11target_archE1201ELNS1_3gpuE5ELNS1_3repE0EEENS1_30default_config_static_selectorELNS0_4arch9wavefront6targetE1EEEvS17_.has_recursion, 0
	.set _ZN7rocprim17ROCPRIM_400000_NS6detail17trampoline_kernelINS0_14default_configENS1_22reduce_config_selectorIN6thrust23THRUST_200600_302600_NS5tupleIblNS6_9null_typeES8_S8_S8_S8_S8_S8_S8_EEEEZNS1_11reduce_implILb1ES3_NS6_12zip_iteratorINS7_INS6_11hip_rocprim26transform_input_iterator_tIbPhNS6_6detail10functional5actorINSH_9compositeIJNSH_27transparent_binary_operatorINS6_8equal_toIvEEEENSI_INSH_8argumentILj0EEEEENSH_5valueIhEEEEEEEEENSD_19counting_iterator_tIlEES8_S8_S8_S8_S8_S8_S8_S8_EEEEPS9_S9_NSD_9__find_if7functorIS9_EEEE10hipError_tPvRmT1_T2_T3_mT4_P12ihipStream_tbEUlT_E1_NS1_11comp_targetILNS1_3genE10ELNS1_11target_archE1201ELNS1_3gpuE5ELNS1_3repE0EEENS1_30default_config_static_selectorELNS0_4arch9wavefront6targetE1EEEvS17_.has_indirect_call, 0
	.section	.AMDGPU.csdata,"",@progbits
; Kernel info:
; codeLenInByte = 0
; TotalNumSgprs: 4
; NumVgprs: 0
; ScratchSize: 0
; MemoryBound: 0
; FloatMode: 240
; IeeeMode: 1
; LDSByteSize: 0 bytes/workgroup (compile time only)
; SGPRBlocks: 0
; VGPRBlocks: 0
; NumSGPRsForWavesPerEU: 4
; NumVGPRsForWavesPerEU: 1
; Occupancy: 10
; WaveLimiterHint : 0
; COMPUTE_PGM_RSRC2:SCRATCH_EN: 0
; COMPUTE_PGM_RSRC2:USER_SGPR: 6
; COMPUTE_PGM_RSRC2:TRAP_HANDLER: 0
; COMPUTE_PGM_RSRC2:TGID_X_EN: 1
; COMPUTE_PGM_RSRC2:TGID_Y_EN: 0
; COMPUTE_PGM_RSRC2:TGID_Z_EN: 0
; COMPUTE_PGM_RSRC2:TIDIG_COMP_CNT: 0
	.section	.text._ZN7rocprim17ROCPRIM_400000_NS6detail17trampoline_kernelINS0_14default_configENS1_22reduce_config_selectorIN6thrust23THRUST_200600_302600_NS5tupleIblNS6_9null_typeES8_S8_S8_S8_S8_S8_S8_EEEEZNS1_11reduce_implILb1ES3_NS6_12zip_iteratorINS7_INS6_11hip_rocprim26transform_input_iterator_tIbPhNS6_6detail10functional5actorINSH_9compositeIJNSH_27transparent_binary_operatorINS6_8equal_toIvEEEENSI_INSH_8argumentILj0EEEEENSH_5valueIhEEEEEEEEENSD_19counting_iterator_tIlEES8_S8_S8_S8_S8_S8_S8_S8_EEEEPS9_S9_NSD_9__find_if7functorIS9_EEEE10hipError_tPvRmT1_T2_T3_mT4_P12ihipStream_tbEUlT_E1_NS1_11comp_targetILNS1_3genE10ELNS1_11target_archE1200ELNS1_3gpuE4ELNS1_3repE0EEENS1_30default_config_static_selectorELNS0_4arch9wavefront6targetE1EEEvS17_,"axG",@progbits,_ZN7rocprim17ROCPRIM_400000_NS6detail17trampoline_kernelINS0_14default_configENS1_22reduce_config_selectorIN6thrust23THRUST_200600_302600_NS5tupleIblNS6_9null_typeES8_S8_S8_S8_S8_S8_S8_EEEEZNS1_11reduce_implILb1ES3_NS6_12zip_iteratorINS7_INS6_11hip_rocprim26transform_input_iterator_tIbPhNS6_6detail10functional5actorINSH_9compositeIJNSH_27transparent_binary_operatorINS6_8equal_toIvEEEENSI_INSH_8argumentILj0EEEEENSH_5valueIhEEEEEEEEENSD_19counting_iterator_tIlEES8_S8_S8_S8_S8_S8_S8_S8_EEEEPS9_S9_NSD_9__find_if7functorIS9_EEEE10hipError_tPvRmT1_T2_T3_mT4_P12ihipStream_tbEUlT_E1_NS1_11comp_targetILNS1_3genE10ELNS1_11target_archE1200ELNS1_3gpuE4ELNS1_3repE0EEENS1_30default_config_static_selectorELNS0_4arch9wavefront6targetE1EEEvS17_,comdat
	.protected	_ZN7rocprim17ROCPRIM_400000_NS6detail17trampoline_kernelINS0_14default_configENS1_22reduce_config_selectorIN6thrust23THRUST_200600_302600_NS5tupleIblNS6_9null_typeES8_S8_S8_S8_S8_S8_S8_EEEEZNS1_11reduce_implILb1ES3_NS6_12zip_iteratorINS7_INS6_11hip_rocprim26transform_input_iterator_tIbPhNS6_6detail10functional5actorINSH_9compositeIJNSH_27transparent_binary_operatorINS6_8equal_toIvEEEENSI_INSH_8argumentILj0EEEEENSH_5valueIhEEEEEEEEENSD_19counting_iterator_tIlEES8_S8_S8_S8_S8_S8_S8_S8_EEEEPS9_S9_NSD_9__find_if7functorIS9_EEEE10hipError_tPvRmT1_T2_T3_mT4_P12ihipStream_tbEUlT_E1_NS1_11comp_targetILNS1_3genE10ELNS1_11target_archE1200ELNS1_3gpuE4ELNS1_3repE0EEENS1_30default_config_static_selectorELNS0_4arch9wavefront6targetE1EEEvS17_ ; -- Begin function _ZN7rocprim17ROCPRIM_400000_NS6detail17trampoline_kernelINS0_14default_configENS1_22reduce_config_selectorIN6thrust23THRUST_200600_302600_NS5tupleIblNS6_9null_typeES8_S8_S8_S8_S8_S8_S8_EEEEZNS1_11reduce_implILb1ES3_NS6_12zip_iteratorINS7_INS6_11hip_rocprim26transform_input_iterator_tIbPhNS6_6detail10functional5actorINSH_9compositeIJNSH_27transparent_binary_operatorINS6_8equal_toIvEEEENSI_INSH_8argumentILj0EEEEENSH_5valueIhEEEEEEEEENSD_19counting_iterator_tIlEES8_S8_S8_S8_S8_S8_S8_S8_EEEEPS9_S9_NSD_9__find_if7functorIS9_EEEE10hipError_tPvRmT1_T2_T3_mT4_P12ihipStream_tbEUlT_E1_NS1_11comp_targetILNS1_3genE10ELNS1_11target_archE1200ELNS1_3gpuE4ELNS1_3repE0EEENS1_30default_config_static_selectorELNS0_4arch9wavefront6targetE1EEEvS17_
	.globl	_ZN7rocprim17ROCPRIM_400000_NS6detail17trampoline_kernelINS0_14default_configENS1_22reduce_config_selectorIN6thrust23THRUST_200600_302600_NS5tupleIblNS6_9null_typeES8_S8_S8_S8_S8_S8_S8_EEEEZNS1_11reduce_implILb1ES3_NS6_12zip_iteratorINS7_INS6_11hip_rocprim26transform_input_iterator_tIbPhNS6_6detail10functional5actorINSH_9compositeIJNSH_27transparent_binary_operatorINS6_8equal_toIvEEEENSI_INSH_8argumentILj0EEEEENSH_5valueIhEEEEEEEEENSD_19counting_iterator_tIlEES8_S8_S8_S8_S8_S8_S8_S8_EEEEPS9_S9_NSD_9__find_if7functorIS9_EEEE10hipError_tPvRmT1_T2_T3_mT4_P12ihipStream_tbEUlT_E1_NS1_11comp_targetILNS1_3genE10ELNS1_11target_archE1200ELNS1_3gpuE4ELNS1_3repE0EEENS1_30default_config_static_selectorELNS0_4arch9wavefront6targetE1EEEvS17_
	.p2align	8
	.type	_ZN7rocprim17ROCPRIM_400000_NS6detail17trampoline_kernelINS0_14default_configENS1_22reduce_config_selectorIN6thrust23THRUST_200600_302600_NS5tupleIblNS6_9null_typeES8_S8_S8_S8_S8_S8_S8_EEEEZNS1_11reduce_implILb1ES3_NS6_12zip_iteratorINS7_INS6_11hip_rocprim26transform_input_iterator_tIbPhNS6_6detail10functional5actorINSH_9compositeIJNSH_27transparent_binary_operatorINS6_8equal_toIvEEEENSI_INSH_8argumentILj0EEEEENSH_5valueIhEEEEEEEEENSD_19counting_iterator_tIlEES8_S8_S8_S8_S8_S8_S8_S8_EEEEPS9_S9_NSD_9__find_if7functorIS9_EEEE10hipError_tPvRmT1_T2_T3_mT4_P12ihipStream_tbEUlT_E1_NS1_11comp_targetILNS1_3genE10ELNS1_11target_archE1200ELNS1_3gpuE4ELNS1_3repE0EEENS1_30default_config_static_selectorELNS0_4arch9wavefront6targetE1EEEvS17_,@function
_ZN7rocprim17ROCPRIM_400000_NS6detail17trampoline_kernelINS0_14default_configENS1_22reduce_config_selectorIN6thrust23THRUST_200600_302600_NS5tupleIblNS6_9null_typeES8_S8_S8_S8_S8_S8_S8_EEEEZNS1_11reduce_implILb1ES3_NS6_12zip_iteratorINS7_INS6_11hip_rocprim26transform_input_iterator_tIbPhNS6_6detail10functional5actorINSH_9compositeIJNSH_27transparent_binary_operatorINS6_8equal_toIvEEEENSI_INSH_8argumentILj0EEEEENSH_5valueIhEEEEEEEEENSD_19counting_iterator_tIlEES8_S8_S8_S8_S8_S8_S8_S8_EEEEPS9_S9_NSD_9__find_if7functorIS9_EEEE10hipError_tPvRmT1_T2_T3_mT4_P12ihipStream_tbEUlT_E1_NS1_11comp_targetILNS1_3genE10ELNS1_11target_archE1200ELNS1_3gpuE4ELNS1_3repE0EEENS1_30default_config_static_selectorELNS0_4arch9wavefront6targetE1EEEvS17_: ; @_ZN7rocprim17ROCPRIM_400000_NS6detail17trampoline_kernelINS0_14default_configENS1_22reduce_config_selectorIN6thrust23THRUST_200600_302600_NS5tupleIblNS6_9null_typeES8_S8_S8_S8_S8_S8_S8_EEEEZNS1_11reduce_implILb1ES3_NS6_12zip_iteratorINS7_INS6_11hip_rocprim26transform_input_iterator_tIbPhNS6_6detail10functional5actorINSH_9compositeIJNSH_27transparent_binary_operatorINS6_8equal_toIvEEEENSI_INSH_8argumentILj0EEEEENSH_5valueIhEEEEEEEEENSD_19counting_iterator_tIlEES8_S8_S8_S8_S8_S8_S8_S8_EEEEPS9_S9_NSD_9__find_if7functorIS9_EEEE10hipError_tPvRmT1_T2_T3_mT4_P12ihipStream_tbEUlT_E1_NS1_11comp_targetILNS1_3genE10ELNS1_11target_archE1200ELNS1_3gpuE4ELNS1_3repE0EEENS1_30default_config_static_selectorELNS0_4arch9wavefront6targetE1EEEvS17_
; %bb.0:
	.section	.rodata,"a",@progbits
	.p2align	6, 0x0
	.amdhsa_kernel _ZN7rocprim17ROCPRIM_400000_NS6detail17trampoline_kernelINS0_14default_configENS1_22reduce_config_selectorIN6thrust23THRUST_200600_302600_NS5tupleIblNS6_9null_typeES8_S8_S8_S8_S8_S8_S8_EEEEZNS1_11reduce_implILb1ES3_NS6_12zip_iteratorINS7_INS6_11hip_rocprim26transform_input_iterator_tIbPhNS6_6detail10functional5actorINSH_9compositeIJNSH_27transparent_binary_operatorINS6_8equal_toIvEEEENSI_INSH_8argumentILj0EEEEENSH_5valueIhEEEEEEEEENSD_19counting_iterator_tIlEES8_S8_S8_S8_S8_S8_S8_S8_EEEEPS9_S9_NSD_9__find_if7functorIS9_EEEE10hipError_tPvRmT1_T2_T3_mT4_P12ihipStream_tbEUlT_E1_NS1_11comp_targetILNS1_3genE10ELNS1_11target_archE1200ELNS1_3gpuE4ELNS1_3repE0EEENS1_30default_config_static_selectorELNS0_4arch9wavefront6targetE1EEEvS17_
		.amdhsa_group_segment_fixed_size 0
		.amdhsa_private_segment_fixed_size 0
		.amdhsa_kernarg_size 72
		.amdhsa_user_sgpr_count 6
		.amdhsa_user_sgpr_private_segment_buffer 1
		.amdhsa_user_sgpr_dispatch_ptr 0
		.amdhsa_user_sgpr_queue_ptr 0
		.amdhsa_user_sgpr_kernarg_segment_ptr 1
		.amdhsa_user_sgpr_dispatch_id 0
		.amdhsa_user_sgpr_flat_scratch_init 0
		.amdhsa_user_sgpr_private_segment_size 0
		.amdhsa_uses_dynamic_stack 0
		.amdhsa_system_sgpr_private_segment_wavefront_offset 0
		.amdhsa_system_sgpr_workgroup_id_x 1
		.amdhsa_system_sgpr_workgroup_id_y 0
		.amdhsa_system_sgpr_workgroup_id_z 0
		.amdhsa_system_sgpr_workgroup_info 0
		.amdhsa_system_vgpr_workitem_id 0
		.amdhsa_next_free_vgpr 1
		.amdhsa_next_free_sgpr 0
		.amdhsa_reserve_vcc 0
		.amdhsa_reserve_flat_scratch 0
		.amdhsa_float_round_mode_32 0
		.amdhsa_float_round_mode_16_64 0
		.amdhsa_float_denorm_mode_32 3
		.amdhsa_float_denorm_mode_16_64 3
		.amdhsa_dx10_clamp 1
		.amdhsa_ieee_mode 1
		.amdhsa_fp16_overflow 0
		.amdhsa_exception_fp_ieee_invalid_op 0
		.amdhsa_exception_fp_denorm_src 0
		.amdhsa_exception_fp_ieee_div_zero 0
		.amdhsa_exception_fp_ieee_overflow 0
		.amdhsa_exception_fp_ieee_underflow 0
		.amdhsa_exception_fp_ieee_inexact 0
		.amdhsa_exception_int_div_zero 0
	.end_amdhsa_kernel
	.section	.text._ZN7rocprim17ROCPRIM_400000_NS6detail17trampoline_kernelINS0_14default_configENS1_22reduce_config_selectorIN6thrust23THRUST_200600_302600_NS5tupleIblNS6_9null_typeES8_S8_S8_S8_S8_S8_S8_EEEEZNS1_11reduce_implILb1ES3_NS6_12zip_iteratorINS7_INS6_11hip_rocprim26transform_input_iterator_tIbPhNS6_6detail10functional5actorINSH_9compositeIJNSH_27transparent_binary_operatorINS6_8equal_toIvEEEENSI_INSH_8argumentILj0EEEEENSH_5valueIhEEEEEEEEENSD_19counting_iterator_tIlEES8_S8_S8_S8_S8_S8_S8_S8_EEEEPS9_S9_NSD_9__find_if7functorIS9_EEEE10hipError_tPvRmT1_T2_T3_mT4_P12ihipStream_tbEUlT_E1_NS1_11comp_targetILNS1_3genE10ELNS1_11target_archE1200ELNS1_3gpuE4ELNS1_3repE0EEENS1_30default_config_static_selectorELNS0_4arch9wavefront6targetE1EEEvS17_,"axG",@progbits,_ZN7rocprim17ROCPRIM_400000_NS6detail17trampoline_kernelINS0_14default_configENS1_22reduce_config_selectorIN6thrust23THRUST_200600_302600_NS5tupleIblNS6_9null_typeES8_S8_S8_S8_S8_S8_S8_EEEEZNS1_11reduce_implILb1ES3_NS6_12zip_iteratorINS7_INS6_11hip_rocprim26transform_input_iterator_tIbPhNS6_6detail10functional5actorINSH_9compositeIJNSH_27transparent_binary_operatorINS6_8equal_toIvEEEENSI_INSH_8argumentILj0EEEEENSH_5valueIhEEEEEEEEENSD_19counting_iterator_tIlEES8_S8_S8_S8_S8_S8_S8_S8_EEEEPS9_S9_NSD_9__find_if7functorIS9_EEEE10hipError_tPvRmT1_T2_T3_mT4_P12ihipStream_tbEUlT_E1_NS1_11comp_targetILNS1_3genE10ELNS1_11target_archE1200ELNS1_3gpuE4ELNS1_3repE0EEENS1_30default_config_static_selectorELNS0_4arch9wavefront6targetE1EEEvS17_,comdat
.Lfunc_end457:
	.size	_ZN7rocprim17ROCPRIM_400000_NS6detail17trampoline_kernelINS0_14default_configENS1_22reduce_config_selectorIN6thrust23THRUST_200600_302600_NS5tupleIblNS6_9null_typeES8_S8_S8_S8_S8_S8_S8_EEEEZNS1_11reduce_implILb1ES3_NS6_12zip_iteratorINS7_INS6_11hip_rocprim26transform_input_iterator_tIbPhNS6_6detail10functional5actorINSH_9compositeIJNSH_27transparent_binary_operatorINS6_8equal_toIvEEEENSI_INSH_8argumentILj0EEEEENSH_5valueIhEEEEEEEEENSD_19counting_iterator_tIlEES8_S8_S8_S8_S8_S8_S8_S8_EEEEPS9_S9_NSD_9__find_if7functorIS9_EEEE10hipError_tPvRmT1_T2_T3_mT4_P12ihipStream_tbEUlT_E1_NS1_11comp_targetILNS1_3genE10ELNS1_11target_archE1200ELNS1_3gpuE4ELNS1_3repE0EEENS1_30default_config_static_selectorELNS0_4arch9wavefront6targetE1EEEvS17_, .Lfunc_end457-_ZN7rocprim17ROCPRIM_400000_NS6detail17trampoline_kernelINS0_14default_configENS1_22reduce_config_selectorIN6thrust23THRUST_200600_302600_NS5tupleIblNS6_9null_typeES8_S8_S8_S8_S8_S8_S8_EEEEZNS1_11reduce_implILb1ES3_NS6_12zip_iteratorINS7_INS6_11hip_rocprim26transform_input_iterator_tIbPhNS6_6detail10functional5actorINSH_9compositeIJNSH_27transparent_binary_operatorINS6_8equal_toIvEEEENSI_INSH_8argumentILj0EEEEENSH_5valueIhEEEEEEEEENSD_19counting_iterator_tIlEES8_S8_S8_S8_S8_S8_S8_S8_EEEEPS9_S9_NSD_9__find_if7functorIS9_EEEE10hipError_tPvRmT1_T2_T3_mT4_P12ihipStream_tbEUlT_E1_NS1_11comp_targetILNS1_3genE10ELNS1_11target_archE1200ELNS1_3gpuE4ELNS1_3repE0EEENS1_30default_config_static_selectorELNS0_4arch9wavefront6targetE1EEEvS17_
                                        ; -- End function
	.set _ZN7rocprim17ROCPRIM_400000_NS6detail17trampoline_kernelINS0_14default_configENS1_22reduce_config_selectorIN6thrust23THRUST_200600_302600_NS5tupleIblNS6_9null_typeES8_S8_S8_S8_S8_S8_S8_EEEEZNS1_11reduce_implILb1ES3_NS6_12zip_iteratorINS7_INS6_11hip_rocprim26transform_input_iterator_tIbPhNS6_6detail10functional5actorINSH_9compositeIJNSH_27transparent_binary_operatorINS6_8equal_toIvEEEENSI_INSH_8argumentILj0EEEEENSH_5valueIhEEEEEEEEENSD_19counting_iterator_tIlEES8_S8_S8_S8_S8_S8_S8_S8_EEEEPS9_S9_NSD_9__find_if7functorIS9_EEEE10hipError_tPvRmT1_T2_T3_mT4_P12ihipStream_tbEUlT_E1_NS1_11comp_targetILNS1_3genE10ELNS1_11target_archE1200ELNS1_3gpuE4ELNS1_3repE0EEENS1_30default_config_static_selectorELNS0_4arch9wavefront6targetE1EEEvS17_.num_vgpr, 0
	.set _ZN7rocprim17ROCPRIM_400000_NS6detail17trampoline_kernelINS0_14default_configENS1_22reduce_config_selectorIN6thrust23THRUST_200600_302600_NS5tupleIblNS6_9null_typeES8_S8_S8_S8_S8_S8_S8_EEEEZNS1_11reduce_implILb1ES3_NS6_12zip_iteratorINS7_INS6_11hip_rocprim26transform_input_iterator_tIbPhNS6_6detail10functional5actorINSH_9compositeIJNSH_27transparent_binary_operatorINS6_8equal_toIvEEEENSI_INSH_8argumentILj0EEEEENSH_5valueIhEEEEEEEEENSD_19counting_iterator_tIlEES8_S8_S8_S8_S8_S8_S8_S8_EEEEPS9_S9_NSD_9__find_if7functorIS9_EEEE10hipError_tPvRmT1_T2_T3_mT4_P12ihipStream_tbEUlT_E1_NS1_11comp_targetILNS1_3genE10ELNS1_11target_archE1200ELNS1_3gpuE4ELNS1_3repE0EEENS1_30default_config_static_selectorELNS0_4arch9wavefront6targetE1EEEvS17_.num_agpr, 0
	.set _ZN7rocprim17ROCPRIM_400000_NS6detail17trampoline_kernelINS0_14default_configENS1_22reduce_config_selectorIN6thrust23THRUST_200600_302600_NS5tupleIblNS6_9null_typeES8_S8_S8_S8_S8_S8_S8_EEEEZNS1_11reduce_implILb1ES3_NS6_12zip_iteratorINS7_INS6_11hip_rocprim26transform_input_iterator_tIbPhNS6_6detail10functional5actorINSH_9compositeIJNSH_27transparent_binary_operatorINS6_8equal_toIvEEEENSI_INSH_8argumentILj0EEEEENSH_5valueIhEEEEEEEEENSD_19counting_iterator_tIlEES8_S8_S8_S8_S8_S8_S8_S8_EEEEPS9_S9_NSD_9__find_if7functorIS9_EEEE10hipError_tPvRmT1_T2_T3_mT4_P12ihipStream_tbEUlT_E1_NS1_11comp_targetILNS1_3genE10ELNS1_11target_archE1200ELNS1_3gpuE4ELNS1_3repE0EEENS1_30default_config_static_selectorELNS0_4arch9wavefront6targetE1EEEvS17_.numbered_sgpr, 0
	.set _ZN7rocprim17ROCPRIM_400000_NS6detail17trampoline_kernelINS0_14default_configENS1_22reduce_config_selectorIN6thrust23THRUST_200600_302600_NS5tupleIblNS6_9null_typeES8_S8_S8_S8_S8_S8_S8_EEEEZNS1_11reduce_implILb1ES3_NS6_12zip_iteratorINS7_INS6_11hip_rocprim26transform_input_iterator_tIbPhNS6_6detail10functional5actorINSH_9compositeIJNSH_27transparent_binary_operatorINS6_8equal_toIvEEEENSI_INSH_8argumentILj0EEEEENSH_5valueIhEEEEEEEEENSD_19counting_iterator_tIlEES8_S8_S8_S8_S8_S8_S8_S8_EEEEPS9_S9_NSD_9__find_if7functorIS9_EEEE10hipError_tPvRmT1_T2_T3_mT4_P12ihipStream_tbEUlT_E1_NS1_11comp_targetILNS1_3genE10ELNS1_11target_archE1200ELNS1_3gpuE4ELNS1_3repE0EEENS1_30default_config_static_selectorELNS0_4arch9wavefront6targetE1EEEvS17_.num_named_barrier, 0
	.set _ZN7rocprim17ROCPRIM_400000_NS6detail17trampoline_kernelINS0_14default_configENS1_22reduce_config_selectorIN6thrust23THRUST_200600_302600_NS5tupleIblNS6_9null_typeES8_S8_S8_S8_S8_S8_S8_EEEEZNS1_11reduce_implILb1ES3_NS6_12zip_iteratorINS7_INS6_11hip_rocprim26transform_input_iterator_tIbPhNS6_6detail10functional5actorINSH_9compositeIJNSH_27transparent_binary_operatorINS6_8equal_toIvEEEENSI_INSH_8argumentILj0EEEEENSH_5valueIhEEEEEEEEENSD_19counting_iterator_tIlEES8_S8_S8_S8_S8_S8_S8_S8_EEEEPS9_S9_NSD_9__find_if7functorIS9_EEEE10hipError_tPvRmT1_T2_T3_mT4_P12ihipStream_tbEUlT_E1_NS1_11comp_targetILNS1_3genE10ELNS1_11target_archE1200ELNS1_3gpuE4ELNS1_3repE0EEENS1_30default_config_static_selectorELNS0_4arch9wavefront6targetE1EEEvS17_.private_seg_size, 0
	.set _ZN7rocprim17ROCPRIM_400000_NS6detail17trampoline_kernelINS0_14default_configENS1_22reduce_config_selectorIN6thrust23THRUST_200600_302600_NS5tupleIblNS6_9null_typeES8_S8_S8_S8_S8_S8_S8_EEEEZNS1_11reduce_implILb1ES3_NS6_12zip_iteratorINS7_INS6_11hip_rocprim26transform_input_iterator_tIbPhNS6_6detail10functional5actorINSH_9compositeIJNSH_27transparent_binary_operatorINS6_8equal_toIvEEEENSI_INSH_8argumentILj0EEEEENSH_5valueIhEEEEEEEEENSD_19counting_iterator_tIlEES8_S8_S8_S8_S8_S8_S8_S8_EEEEPS9_S9_NSD_9__find_if7functorIS9_EEEE10hipError_tPvRmT1_T2_T3_mT4_P12ihipStream_tbEUlT_E1_NS1_11comp_targetILNS1_3genE10ELNS1_11target_archE1200ELNS1_3gpuE4ELNS1_3repE0EEENS1_30default_config_static_selectorELNS0_4arch9wavefront6targetE1EEEvS17_.uses_vcc, 0
	.set _ZN7rocprim17ROCPRIM_400000_NS6detail17trampoline_kernelINS0_14default_configENS1_22reduce_config_selectorIN6thrust23THRUST_200600_302600_NS5tupleIblNS6_9null_typeES8_S8_S8_S8_S8_S8_S8_EEEEZNS1_11reduce_implILb1ES3_NS6_12zip_iteratorINS7_INS6_11hip_rocprim26transform_input_iterator_tIbPhNS6_6detail10functional5actorINSH_9compositeIJNSH_27transparent_binary_operatorINS6_8equal_toIvEEEENSI_INSH_8argumentILj0EEEEENSH_5valueIhEEEEEEEEENSD_19counting_iterator_tIlEES8_S8_S8_S8_S8_S8_S8_S8_EEEEPS9_S9_NSD_9__find_if7functorIS9_EEEE10hipError_tPvRmT1_T2_T3_mT4_P12ihipStream_tbEUlT_E1_NS1_11comp_targetILNS1_3genE10ELNS1_11target_archE1200ELNS1_3gpuE4ELNS1_3repE0EEENS1_30default_config_static_selectorELNS0_4arch9wavefront6targetE1EEEvS17_.uses_flat_scratch, 0
	.set _ZN7rocprim17ROCPRIM_400000_NS6detail17trampoline_kernelINS0_14default_configENS1_22reduce_config_selectorIN6thrust23THRUST_200600_302600_NS5tupleIblNS6_9null_typeES8_S8_S8_S8_S8_S8_S8_EEEEZNS1_11reduce_implILb1ES3_NS6_12zip_iteratorINS7_INS6_11hip_rocprim26transform_input_iterator_tIbPhNS6_6detail10functional5actorINSH_9compositeIJNSH_27transparent_binary_operatorINS6_8equal_toIvEEEENSI_INSH_8argumentILj0EEEEENSH_5valueIhEEEEEEEEENSD_19counting_iterator_tIlEES8_S8_S8_S8_S8_S8_S8_S8_EEEEPS9_S9_NSD_9__find_if7functorIS9_EEEE10hipError_tPvRmT1_T2_T3_mT4_P12ihipStream_tbEUlT_E1_NS1_11comp_targetILNS1_3genE10ELNS1_11target_archE1200ELNS1_3gpuE4ELNS1_3repE0EEENS1_30default_config_static_selectorELNS0_4arch9wavefront6targetE1EEEvS17_.has_dyn_sized_stack, 0
	.set _ZN7rocprim17ROCPRIM_400000_NS6detail17trampoline_kernelINS0_14default_configENS1_22reduce_config_selectorIN6thrust23THRUST_200600_302600_NS5tupleIblNS6_9null_typeES8_S8_S8_S8_S8_S8_S8_EEEEZNS1_11reduce_implILb1ES3_NS6_12zip_iteratorINS7_INS6_11hip_rocprim26transform_input_iterator_tIbPhNS6_6detail10functional5actorINSH_9compositeIJNSH_27transparent_binary_operatorINS6_8equal_toIvEEEENSI_INSH_8argumentILj0EEEEENSH_5valueIhEEEEEEEEENSD_19counting_iterator_tIlEES8_S8_S8_S8_S8_S8_S8_S8_EEEEPS9_S9_NSD_9__find_if7functorIS9_EEEE10hipError_tPvRmT1_T2_T3_mT4_P12ihipStream_tbEUlT_E1_NS1_11comp_targetILNS1_3genE10ELNS1_11target_archE1200ELNS1_3gpuE4ELNS1_3repE0EEENS1_30default_config_static_selectorELNS0_4arch9wavefront6targetE1EEEvS17_.has_recursion, 0
	.set _ZN7rocprim17ROCPRIM_400000_NS6detail17trampoline_kernelINS0_14default_configENS1_22reduce_config_selectorIN6thrust23THRUST_200600_302600_NS5tupleIblNS6_9null_typeES8_S8_S8_S8_S8_S8_S8_EEEEZNS1_11reduce_implILb1ES3_NS6_12zip_iteratorINS7_INS6_11hip_rocprim26transform_input_iterator_tIbPhNS6_6detail10functional5actorINSH_9compositeIJNSH_27transparent_binary_operatorINS6_8equal_toIvEEEENSI_INSH_8argumentILj0EEEEENSH_5valueIhEEEEEEEEENSD_19counting_iterator_tIlEES8_S8_S8_S8_S8_S8_S8_S8_EEEEPS9_S9_NSD_9__find_if7functorIS9_EEEE10hipError_tPvRmT1_T2_T3_mT4_P12ihipStream_tbEUlT_E1_NS1_11comp_targetILNS1_3genE10ELNS1_11target_archE1200ELNS1_3gpuE4ELNS1_3repE0EEENS1_30default_config_static_selectorELNS0_4arch9wavefront6targetE1EEEvS17_.has_indirect_call, 0
	.section	.AMDGPU.csdata,"",@progbits
; Kernel info:
; codeLenInByte = 0
; TotalNumSgprs: 4
; NumVgprs: 0
; ScratchSize: 0
; MemoryBound: 0
; FloatMode: 240
; IeeeMode: 1
; LDSByteSize: 0 bytes/workgroup (compile time only)
; SGPRBlocks: 0
; VGPRBlocks: 0
; NumSGPRsForWavesPerEU: 4
; NumVGPRsForWavesPerEU: 1
; Occupancy: 10
; WaveLimiterHint : 0
; COMPUTE_PGM_RSRC2:SCRATCH_EN: 0
; COMPUTE_PGM_RSRC2:USER_SGPR: 6
; COMPUTE_PGM_RSRC2:TRAP_HANDLER: 0
; COMPUTE_PGM_RSRC2:TGID_X_EN: 1
; COMPUTE_PGM_RSRC2:TGID_Y_EN: 0
; COMPUTE_PGM_RSRC2:TGID_Z_EN: 0
; COMPUTE_PGM_RSRC2:TIDIG_COMP_CNT: 0
	.section	.text._ZN7rocprim17ROCPRIM_400000_NS6detail17trampoline_kernelINS0_14default_configENS1_22reduce_config_selectorIN6thrust23THRUST_200600_302600_NS5tupleIblNS6_9null_typeES8_S8_S8_S8_S8_S8_S8_EEEEZNS1_11reduce_implILb1ES3_NS6_12zip_iteratorINS7_INS6_11hip_rocprim26transform_input_iterator_tIbPhNS6_6detail10functional5actorINSH_9compositeIJNSH_27transparent_binary_operatorINS6_8equal_toIvEEEENSI_INSH_8argumentILj0EEEEENSH_5valueIhEEEEEEEEENSD_19counting_iterator_tIlEES8_S8_S8_S8_S8_S8_S8_S8_EEEEPS9_S9_NSD_9__find_if7functorIS9_EEEE10hipError_tPvRmT1_T2_T3_mT4_P12ihipStream_tbEUlT_E1_NS1_11comp_targetILNS1_3genE9ELNS1_11target_archE1100ELNS1_3gpuE3ELNS1_3repE0EEENS1_30default_config_static_selectorELNS0_4arch9wavefront6targetE1EEEvS17_,"axG",@progbits,_ZN7rocprim17ROCPRIM_400000_NS6detail17trampoline_kernelINS0_14default_configENS1_22reduce_config_selectorIN6thrust23THRUST_200600_302600_NS5tupleIblNS6_9null_typeES8_S8_S8_S8_S8_S8_S8_EEEEZNS1_11reduce_implILb1ES3_NS6_12zip_iteratorINS7_INS6_11hip_rocprim26transform_input_iterator_tIbPhNS6_6detail10functional5actorINSH_9compositeIJNSH_27transparent_binary_operatorINS6_8equal_toIvEEEENSI_INSH_8argumentILj0EEEEENSH_5valueIhEEEEEEEEENSD_19counting_iterator_tIlEES8_S8_S8_S8_S8_S8_S8_S8_EEEEPS9_S9_NSD_9__find_if7functorIS9_EEEE10hipError_tPvRmT1_T2_T3_mT4_P12ihipStream_tbEUlT_E1_NS1_11comp_targetILNS1_3genE9ELNS1_11target_archE1100ELNS1_3gpuE3ELNS1_3repE0EEENS1_30default_config_static_selectorELNS0_4arch9wavefront6targetE1EEEvS17_,comdat
	.protected	_ZN7rocprim17ROCPRIM_400000_NS6detail17trampoline_kernelINS0_14default_configENS1_22reduce_config_selectorIN6thrust23THRUST_200600_302600_NS5tupleIblNS6_9null_typeES8_S8_S8_S8_S8_S8_S8_EEEEZNS1_11reduce_implILb1ES3_NS6_12zip_iteratorINS7_INS6_11hip_rocprim26transform_input_iterator_tIbPhNS6_6detail10functional5actorINSH_9compositeIJNSH_27transparent_binary_operatorINS6_8equal_toIvEEEENSI_INSH_8argumentILj0EEEEENSH_5valueIhEEEEEEEEENSD_19counting_iterator_tIlEES8_S8_S8_S8_S8_S8_S8_S8_EEEEPS9_S9_NSD_9__find_if7functorIS9_EEEE10hipError_tPvRmT1_T2_T3_mT4_P12ihipStream_tbEUlT_E1_NS1_11comp_targetILNS1_3genE9ELNS1_11target_archE1100ELNS1_3gpuE3ELNS1_3repE0EEENS1_30default_config_static_selectorELNS0_4arch9wavefront6targetE1EEEvS17_ ; -- Begin function _ZN7rocprim17ROCPRIM_400000_NS6detail17trampoline_kernelINS0_14default_configENS1_22reduce_config_selectorIN6thrust23THRUST_200600_302600_NS5tupleIblNS6_9null_typeES8_S8_S8_S8_S8_S8_S8_EEEEZNS1_11reduce_implILb1ES3_NS6_12zip_iteratorINS7_INS6_11hip_rocprim26transform_input_iterator_tIbPhNS6_6detail10functional5actorINSH_9compositeIJNSH_27transparent_binary_operatorINS6_8equal_toIvEEEENSI_INSH_8argumentILj0EEEEENSH_5valueIhEEEEEEEEENSD_19counting_iterator_tIlEES8_S8_S8_S8_S8_S8_S8_S8_EEEEPS9_S9_NSD_9__find_if7functorIS9_EEEE10hipError_tPvRmT1_T2_T3_mT4_P12ihipStream_tbEUlT_E1_NS1_11comp_targetILNS1_3genE9ELNS1_11target_archE1100ELNS1_3gpuE3ELNS1_3repE0EEENS1_30default_config_static_selectorELNS0_4arch9wavefront6targetE1EEEvS17_
	.globl	_ZN7rocprim17ROCPRIM_400000_NS6detail17trampoline_kernelINS0_14default_configENS1_22reduce_config_selectorIN6thrust23THRUST_200600_302600_NS5tupleIblNS6_9null_typeES8_S8_S8_S8_S8_S8_S8_EEEEZNS1_11reduce_implILb1ES3_NS6_12zip_iteratorINS7_INS6_11hip_rocprim26transform_input_iterator_tIbPhNS6_6detail10functional5actorINSH_9compositeIJNSH_27transparent_binary_operatorINS6_8equal_toIvEEEENSI_INSH_8argumentILj0EEEEENSH_5valueIhEEEEEEEEENSD_19counting_iterator_tIlEES8_S8_S8_S8_S8_S8_S8_S8_EEEEPS9_S9_NSD_9__find_if7functorIS9_EEEE10hipError_tPvRmT1_T2_T3_mT4_P12ihipStream_tbEUlT_E1_NS1_11comp_targetILNS1_3genE9ELNS1_11target_archE1100ELNS1_3gpuE3ELNS1_3repE0EEENS1_30default_config_static_selectorELNS0_4arch9wavefront6targetE1EEEvS17_
	.p2align	8
	.type	_ZN7rocprim17ROCPRIM_400000_NS6detail17trampoline_kernelINS0_14default_configENS1_22reduce_config_selectorIN6thrust23THRUST_200600_302600_NS5tupleIblNS6_9null_typeES8_S8_S8_S8_S8_S8_S8_EEEEZNS1_11reduce_implILb1ES3_NS6_12zip_iteratorINS7_INS6_11hip_rocprim26transform_input_iterator_tIbPhNS6_6detail10functional5actorINSH_9compositeIJNSH_27transparent_binary_operatorINS6_8equal_toIvEEEENSI_INSH_8argumentILj0EEEEENSH_5valueIhEEEEEEEEENSD_19counting_iterator_tIlEES8_S8_S8_S8_S8_S8_S8_S8_EEEEPS9_S9_NSD_9__find_if7functorIS9_EEEE10hipError_tPvRmT1_T2_T3_mT4_P12ihipStream_tbEUlT_E1_NS1_11comp_targetILNS1_3genE9ELNS1_11target_archE1100ELNS1_3gpuE3ELNS1_3repE0EEENS1_30default_config_static_selectorELNS0_4arch9wavefront6targetE1EEEvS17_,@function
_ZN7rocprim17ROCPRIM_400000_NS6detail17trampoline_kernelINS0_14default_configENS1_22reduce_config_selectorIN6thrust23THRUST_200600_302600_NS5tupleIblNS6_9null_typeES8_S8_S8_S8_S8_S8_S8_EEEEZNS1_11reduce_implILb1ES3_NS6_12zip_iteratorINS7_INS6_11hip_rocprim26transform_input_iterator_tIbPhNS6_6detail10functional5actorINSH_9compositeIJNSH_27transparent_binary_operatorINS6_8equal_toIvEEEENSI_INSH_8argumentILj0EEEEENSH_5valueIhEEEEEEEEENSD_19counting_iterator_tIlEES8_S8_S8_S8_S8_S8_S8_S8_EEEEPS9_S9_NSD_9__find_if7functorIS9_EEEE10hipError_tPvRmT1_T2_T3_mT4_P12ihipStream_tbEUlT_E1_NS1_11comp_targetILNS1_3genE9ELNS1_11target_archE1100ELNS1_3gpuE3ELNS1_3repE0EEENS1_30default_config_static_selectorELNS0_4arch9wavefront6targetE1EEEvS17_: ; @_ZN7rocprim17ROCPRIM_400000_NS6detail17trampoline_kernelINS0_14default_configENS1_22reduce_config_selectorIN6thrust23THRUST_200600_302600_NS5tupleIblNS6_9null_typeES8_S8_S8_S8_S8_S8_S8_EEEEZNS1_11reduce_implILb1ES3_NS6_12zip_iteratorINS7_INS6_11hip_rocprim26transform_input_iterator_tIbPhNS6_6detail10functional5actorINSH_9compositeIJNSH_27transparent_binary_operatorINS6_8equal_toIvEEEENSI_INSH_8argumentILj0EEEEENSH_5valueIhEEEEEEEEENSD_19counting_iterator_tIlEES8_S8_S8_S8_S8_S8_S8_S8_EEEEPS9_S9_NSD_9__find_if7functorIS9_EEEE10hipError_tPvRmT1_T2_T3_mT4_P12ihipStream_tbEUlT_E1_NS1_11comp_targetILNS1_3genE9ELNS1_11target_archE1100ELNS1_3gpuE3ELNS1_3repE0EEENS1_30default_config_static_selectorELNS0_4arch9wavefront6targetE1EEEvS17_
; %bb.0:
	.section	.rodata,"a",@progbits
	.p2align	6, 0x0
	.amdhsa_kernel _ZN7rocprim17ROCPRIM_400000_NS6detail17trampoline_kernelINS0_14default_configENS1_22reduce_config_selectorIN6thrust23THRUST_200600_302600_NS5tupleIblNS6_9null_typeES8_S8_S8_S8_S8_S8_S8_EEEEZNS1_11reduce_implILb1ES3_NS6_12zip_iteratorINS7_INS6_11hip_rocprim26transform_input_iterator_tIbPhNS6_6detail10functional5actorINSH_9compositeIJNSH_27transparent_binary_operatorINS6_8equal_toIvEEEENSI_INSH_8argumentILj0EEEEENSH_5valueIhEEEEEEEEENSD_19counting_iterator_tIlEES8_S8_S8_S8_S8_S8_S8_S8_EEEEPS9_S9_NSD_9__find_if7functorIS9_EEEE10hipError_tPvRmT1_T2_T3_mT4_P12ihipStream_tbEUlT_E1_NS1_11comp_targetILNS1_3genE9ELNS1_11target_archE1100ELNS1_3gpuE3ELNS1_3repE0EEENS1_30default_config_static_selectorELNS0_4arch9wavefront6targetE1EEEvS17_
		.amdhsa_group_segment_fixed_size 0
		.amdhsa_private_segment_fixed_size 0
		.amdhsa_kernarg_size 72
		.amdhsa_user_sgpr_count 6
		.amdhsa_user_sgpr_private_segment_buffer 1
		.amdhsa_user_sgpr_dispatch_ptr 0
		.amdhsa_user_sgpr_queue_ptr 0
		.amdhsa_user_sgpr_kernarg_segment_ptr 1
		.amdhsa_user_sgpr_dispatch_id 0
		.amdhsa_user_sgpr_flat_scratch_init 0
		.amdhsa_user_sgpr_private_segment_size 0
		.amdhsa_uses_dynamic_stack 0
		.amdhsa_system_sgpr_private_segment_wavefront_offset 0
		.amdhsa_system_sgpr_workgroup_id_x 1
		.amdhsa_system_sgpr_workgroup_id_y 0
		.amdhsa_system_sgpr_workgroup_id_z 0
		.amdhsa_system_sgpr_workgroup_info 0
		.amdhsa_system_vgpr_workitem_id 0
		.amdhsa_next_free_vgpr 1
		.amdhsa_next_free_sgpr 0
		.amdhsa_reserve_vcc 0
		.amdhsa_reserve_flat_scratch 0
		.amdhsa_float_round_mode_32 0
		.amdhsa_float_round_mode_16_64 0
		.amdhsa_float_denorm_mode_32 3
		.amdhsa_float_denorm_mode_16_64 3
		.amdhsa_dx10_clamp 1
		.amdhsa_ieee_mode 1
		.amdhsa_fp16_overflow 0
		.amdhsa_exception_fp_ieee_invalid_op 0
		.amdhsa_exception_fp_denorm_src 0
		.amdhsa_exception_fp_ieee_div_zero 0
		.amdhsa_exception_fp_ieee_overflow 0
		.amdhsa_exception_fp_ieee_underflow 0
		.amdhsa_exception_fp_ieee_inexact 0
		.amdhsa_exception_int_div_zero 0
	.end_amdhsa_kernel
	.section	.text._ZN7rocprim17ROCPRIM_400000_NS6detail17trampoline_kernelINS0_14default_configENS1_22reduce_config_selectorIN6thrust23THRUST_200600_302600_NS5tupleIblNS6_9null_typeES8_S8_S8_S8_S8_S8_S8_EEEEZNS1_11reduce_implILb1ES3_NS6_12zip_iteratorINS7_INS6_11hip_rocprim26transform_input_iterator_tIbPhNS6_6detail10functional5actorINSH_9compositeIJNSH_27transparent_binary_operatorINS6_8equal_toIvEEEENSI_INSH_8argumentILj0EEEEENSH_5valueIhEEEEEEEEENSD_19counting_iterator_tIlEES8_S8_S8_S8_S8_S8_S8_S8_EEEEPS9_S9_NSD_9__find_if7functorIS9_EEEE10hipError_tPvRmT1_T2_T3_mT4_P12ihipStream_tbEUlT_E1_NS1_11comp_targetILNS1_3genE9ELNS1_11target_archE1100ELNS1_3gpuE3ELNS1_3repE0EEENS1_30default_config_static_selectorELNS0_4arch9wavefront6targetE1EEEvS17_,"axG",@progbits,_ZN7rocprim17ROCPRIM_400000_NS6detail17trampoline_kernelINS0_14default_configENS1_22reduce_config_selectorIN6thrust23THRUST_200600_302600_NS5tupleIblNS6_9null_typeES8_S8_S8_S8_S8_S8_S8_EEEEZNS1_11reduce_implILb1ES3_NS6_12zip_iteratorINS7_INS6_11hip_rocprim26transform_input_iterator_tIbPhNS6_6detail10functional5actorINSH_9compositeIJNSH_27transparent_binary_operatorINS6_8equal_toIvEEEENSI_INSH_8argumentILj0EEEEENSH_5valueIhEEEEEEEEENSD_19counting_iterator_tIlEES8_S8_S8_S8_S8_S8_S8_S8_EEEEPS9_S9_NSD_9__find_if7functorIS9_EEEE10hipError_tPvRmT1_T2_T3_mT4_P12ihipStream_tbEUlT_E1_NS1_11comp_targetILNS1_3genE9ELNS1_11target_archE1100ELNS1_3gpuE3ELNS1_3repE0EEENS1_30default_config_static_selectorELNS0_4arch9wavefront6targetE1EEEvS17_,comdat
.Lfunc_end458:
	.size	_ZN7rocprim17ROCPRIM_400000_NS6detail17trampoline_kernelINS0_14default_configENS1_22reduce_config_selectorIN6thrust23THRUST_200600_302600_NS5tupleIblNS6_9null_typeES8_S8_S8_S8_S8_S8_S8_EEEEZNS1_11reduce_implILb1ES3_NS6_12zip_iteratorINS7_INS6_11hip_rocprim26transform_input_iterator_tIbPhNS6_6detail10functional5actorINSH_9compositeIJNSH_27transparent_binary_operatorINS6_8equal_toIvEEEENSI_INSH_8argumentILj0EEEEENSH_5valueIhEEEEEEEEENSD_19counting_iterator_tIlEES8_S8_S8_S8_S8_S8_S8_S8_EEEEPS9_S9_NSD_9__find_if7functorIS9_EEEE10hipError_tPvRmT1_T2_T3_mT4_P12ihipStream_tbEUlT_E1_NS1_11comp_targetILNS1_3genE9ELNS1_11target_archE1100ELNS1_3gpuE3ELNS1_3repE0EEENS1_30default_config_static_selectorELNS0_4arch9wavefront6targetE1EEEvS17_, .Lfunc_end458-_ZN7rocprim17ROCPRIM_400000_NS6detail17trampoline_kernelINS0_14default_configENS1_22reduce_config_selectorIN6thrust23THRUST_200600_302600_NS5tupleIblNS6_9null_typeES8_S8_S8_S8_S8_S8_S8_EEEEZNS1_11reduce_implILb1ES3_NS6_12zip_iteratorINS7_INS6_11hip_rocprim26transform_input_iterator_tIbPhNS6_6detail10functional5actorINSH_9compositeIJNSH_27transparent_binary_operatorINS6_8equal_toIvEEEENSI_INSH_8argumentILj0EEEEENSH_5valueIhEEEEEEEEENSD_19counting_iterator_tIlEES8_S8_S8_S8_S8_S8_S8_S8_EEEEPS9_S9_NSD_9__find_if7functorIS9_EEEE10hipError_tPvRmT1_T2_T3_mT4_P12ihipStream_tbEUlT_E1_NS1_11comp_targetILNS1_3genE9ELNS1_11target_archE1100ELNS1_3gpuE3ELNS1_3repE0EEENS1_30default_config_static_selectorELNS0_4arch9wavefront6targetE1EEEvS17_
                                        ; -- End function
	.set _ZN7rocprim17ROCPRIM_400000_NS6detail17trampoline_kernelINS0_14default_configENS1_22reduce_config_selectorIN6thrust23THRUST_200600_302600_NS5tupleIblNS6_9null_typeES8_S8_S8_S8_S8_S8_S8_EEEEZNS1_11reduce_implILb1ES3_NS6_12zip_iteratorINS7_INS6_11hip_rocprim26transform_input_iterator_tIbPhNS6_6detail10functional5actorINSH_9compositeIJNSH_27transparent_binary_operatorINS6_8equal_toIvEEEENSI_INSH_8argumentILj0EEEEENSH_5valueIhEEEEEEEEENSD_19counting_iterator_tIlEES8_S8_S8_S8_S8_S8_S8_S8_EEEEPS9_S9_NSD_9__find_if7functorIS9_EEEE10hipError_tPvRmT1_T2_T3_mT4_P12ihipStream_tbEUlT_E1_NS1_11comp_targetILNS1_3genE9ELNS1_11target_archE1100ELNS1_3gpuE3ELNS1_3repE0EEENS1_30default_config_static_selectorELNS0_4arch9wavefront6targetE1EEEvS17_.num_vgpr, 0
	.set _ZN7rocprim17ROCPRIM_400000_NS6detail17trampoline_kernelINS0_14default_configENS1_22reduce_config_selectorIN6thrust23THRUST_200600_302600_NS5tupleIblNS6_9null_typeES8_S8_S8_S8_S8_S8_S8_EEEEZNS1_11reduce_implILb1ES3_NS6_12zip_iteratorINS7_INS6_11hip_rocprim26transform_input_iterator_tIbPhNS6_6detail10functional5actorINSH_9compositeIJNSH_27transparent_binary_operatorINS6_8equal_toIvEEEENSI_INSH_8argumentILj0EEEEENSH_5valueIhEEEEEEEEENSD_19counting_iterator_tIlEES8_S8_S8_S8_S8_S8_S8_S8_EEEEPS9_S9_NSD_9__find_if7functorIS9_EEEE10hipError_tPvRmT1_T2_T3_mT4_P12ihipStream_tbEUlT_E1_NS1_11comp_targetILNS1_3genE9ELNS1_11target_archE1100ELNS1_3gpuE3ELNS1_3repE0EEENS1_30default_config_static_selectorELNS0_4arch9wavefront6targetE1EEEvS17_.num_agpr, 0
	.set _ZN7rocprim17ROCPRIM_400000_NS6detail17trampoline_kernelINS0_14default_configENS1_22reduce_config_selectorIN6thrust23THRUST_200600_302600_NS5tupleIblNS6_9null_typeES8_S8_S8_S8_S8_S8_S8_EEEEZNS1_11reduce_implILb1ES3_NS6_12zip_iteratorINS7_INS6_11hip_rocprim26transform_input_iterator_tIbPhNS6_6detail10functional5actorINSH_9compositeIJNSH_27transparent_binary_operatorINS6_8equal_toIvEEEENSI_INSH_8argumentILj0EEEEENSH_5valueIhEEEEEEEEENSD_19counting_iterator_tIlEES8_S8_S8_S8_S8_S8_S8_S8_EEEEPS9_S9_NSD_9__find_if7functorIS9_EEEE10hipError_tPvRmT1_T2_T3_mT4_P12ihipStream_tbEUlT_E1_NS1_11comp_targetILNS1_3genE9ELNS1_11target_archE1100ELNS1_3gpuE3ELNS1_3repE0EEENS1_30default_config_static_selectorELNS0_4arch9wavefront6targetE1EEEvS17_.numbered_sgpr, 0
	.set _ZN7rocprim17ROCPRIM_400000_NS6detail17trampoline_kernelINS0_14default_configENS1_22reduce_config_selectorIN6thrust23THRUST_200600_302600_NS5tupleIblNS6_9null_typeES8_S8_S8_S8_S8_S8_S8_EEEEZNS1_11reduce_implILb1ES3_NS6_12zip_iteratorINS7_INS6_11hip_rocprim26transform_input_iterator_tIbPhNS6_6detail10functional5actorINSH_9compositeIJNSH_27transparent_binary_operatorINS6_8equal_toIvEEEENSI_INSH_8argumentILj0EEEEENSH_5valueIhEEEEEEEEENSD_19counting_iterator_tIlEES8_S8_S8_S8_S8_S8_S8_S8_EEEEPS9_S9_NSD_9__find_if7functorIS9_EEEE10hipError_tPvRmT1_T2_T3_mT4_P12ihipStream_tbEUlT_E1_NS1_11comp_targetILNS1_3genE9ELNS1_11target_archE1100ELNS1_3gpuE3ELNS1_3repE0EEENS1_30default_config_static_selectorELNS0_4arch9wavefront6targetE1EEEvS17_.num_named_barrier, 0
	.set _ZN7rocprim17ROCPRIM_400000_NS6detail17trampoline_kernelINS0_14default_configENS1_22reduce_config_selectorIN6thrust23THRUST_200600_302600_NS5tupleIblNS6_9null_typeES8_S8_S8_S8_S8_S8_S8_EEEEZNS1_11reduce_implILb1ES3_NS6_12zip_iteratorINS7_INS6_11hip_rocprim26transform_input_iterator_tIbPhNS6_6detail10functional5actorINSH_9compositeIJNSH_27transparent_binary_operatorINS6_8equal_toIvEEEENSI_INSH_8argumentILj0EEEEENSH_5valueIhEEEEEEEEENSD_19counting_iterator_tIlEES8_S8_S8_S8_S8_S8_S8_S8_EEEEPS9_S9_NSD_9__find_if7functorIS9_EEEE10hipError_tPvRmT1_T2_T3_mT4_P12ihipStream_tbEUlT_E1_NS1_11comp_targetILNS1_3genE9ELNS1_11target_archE1100ELNS1_3gpuE3ELNS1_3repE0EEENS1_30default_config_static_selectorELNS0_4arch9wavefront6targetE1EEEvS17_.private_seg_size, 0
	.set _ZN7rocprim17ROCPRIM_400000_NS6detail17trampoline_kernelINS0_14default_configENS1_22reduce_config_selectorIN6thrust23THRUST_200600_302600_NS5tupleIblNS6_9null_typeES8_S8_S8_S8_S8_S8_S8_EEEEZNS1_11reduce_implILb1ES3_NS6_12zip_iteratorINS7_INS6_11hip_rocprim26transform_input_iterator_tIbPhNS6_6detail10functional5actorINSH_9compositeIJNSH_27transparent_binary_operatorINS6_8equal_toIvEEEENSI_INSH_8argumentILj0EEEEENSH_5valueIhEEEEEEEEENSD_19counting_iterator_tIlEES8_S8_S8_S8_S8_S8_S8_S8_EEEEPS9_S9_NSD_9__find_if7functorIS9_EEEE10hipError_tPvRmT1_T2_T3_mT4_P12ihipStream_tbEUlT_E1_NS1_11comp_targetILNS1_3genE9ELNS1_11target_archE1100ELNS1_3gpuE3ELNS1_3repE0EEENS1_30default_config_static_selectorELNS0_4arch9wavefront6targetE1EEEvS17_.uses_vcc, 0
	.set _ZN7rocprim17ROCPRIM_400000_NS6detail17trampoline_kernelINS0_14default_configENS1_22reduce_config_selectorIN6thrust23THRUST_200600_302600_NS5tupleIblNS6_9null_typeES8_S8_S8_S8_S8_S8_S8_EEEEZNS1_11reduce_implILb1ES3_NS6_12zip_iteratorINS7_INS6_11hip_rocprim26transform_input_iterator_tIbPhNS6_6detail10functional5actorINSH_9compositeIJNSH_27transparent_binary_operatorINS6_8equal_toIvEEEENSI_INSH_8argumentILj0EEEEENSH_5valueIhEEEEEEEEENSD_19counting_iterator_tIlEES8_S8_S8_S8_S8_S8_S8_S8_EEEEPS9_S9_NSD_9__find_if7functorIS9_EEEE10hipError_tPvRmT1_T2_T3_mT4_P12ihipStream_tbEUlT_E1_NS1_11comp_targetILNS1_3genE9ELNS1_11target_archE1100ELNS1_3gpuE3ELNS1_3repE0EEENS1_30default_config_static_selectorELNS0_4arch9wavefront6targetE1EEEvS17_.uses_flat_scratch, 0
	.set _ZN7rocprim17ROCPRIM_400000_NS6detail17trampoline_kernelINS0_14default_configENS1_22reduce_config_selectorIN6thrust23THRUST_200600_302600_NS5tupleIblNS6_9null_typeES8_S8_S8_S8_S8_S8_S8_EEEEZNS1_11reduce_implILb1ES3_NS6_12zip_iteratorINS7_INS6_11hip_rocprim26transform_input_iterator_tIbPhNS6_6detail10functional5actorINSH_9compositeIJNSH_27transparent_binary_operatorINS6_8equal_toIvEEEENSI_INSH_8argumentILj0EEEEENSH_5valueIhEEEEEEEEENSD_19counting_iterator_tIlEES8_S8_S8_S8_S8_S8_S8_S8_EEEEPS9_S9_NSD_9__find_if7functorIS9_EEEE10hipError_tPvRmT1_T2_T3_mT4_P12ihipStream_tbEUlT_E1_NS1_11comp_targetILNS1_3genE9ELNS1_11target_archE1100ELNS1_3gpuE3ELNS1_3repE0EEENS1_30default_config_static_selectorELNS0_4arch9wavefront6targetE1EEEvS17_.has_dyn_sized_stack, 0
	.set _ZN7rocprim17ROCPRIM_400000_NS6detail17trampoline_kernelINS0_14default_configENS1_22reduce_config_selectorIN6thrust23THRUST_200600_302600_NS5tupleIblNS6_9null_typeES8_S8_S8_S8_S8_S8_S8_EEEEZNS1_11reduce_implILb1ES3_NS6_12zip_iteratorINS7_INS6_11hip_rocprim26transform_input_iterator_tIbPhNS6_6detail10functional5actorINSH_9compositeIJNSH_27transparent_binary_operatorINS6_8equal_toIvEEEENSI_INSH_8argumentILj0EEEEENSH_5valueIhEEEEEEEEENSD_19counting_iterator_tIlEES8_S8_S8_S8_S8_S8_S8_S8_EEEEPS9_S9_NSD_9__find_if7functorIS9_EEEE10hipError_tPvRmT1_T2_T3_mT4_P12ihipStream_tbEUlT_E1_NS1_11comp_targetILNS1_3genE9ELNS1_11target_archE1100ELNS1_3gpuE3ELNS1_3repE0EEENS1_30default_config_static_selectorELNS0_4arch9wavefront6targetE1EEEvS17_.has_recursion, 0
	.set _ZN7rocprim17ROCPRIM_400000_NS6detail17trampoline_kernelINS0_14default_configENS1_22reduce_config_selectorIN6thrust23THRUST_200600_302600_NS5tupleIblNS6_9null_typeES8_S8_S8_S8_S8_S8_S8_EEEEZNS1_11reduce_implILb1ES3_NS6_12zip_iteratorINS7_INS6_11hip_rocprim26transform_input_iterator_tIbPhNS6_6detail10functional5actorINSH_9compositeIJNSH_27transparent_binary_operatorINS6_8equal_toIvEEEENSI_INSH_8argumentILj0EEEEENSH_5valueIhEEEEEEEEENSD_19counting_iterator_tIlEES8_S8_S8_S8_S8_S8_S8_S8_EEEEPS9_S9_NSD_9__find_if7functorIS9_EEEE10hipError_tPvRmT1_T2_T3_mT4_P12ihipStream_tbEUlT_E1_NS1_11comp_targetILNS1_3genE9ELNS1_11target_archE1100ELNS1_3gpuE3ELNS1_3repE0EEENS1_30default_config_static_selectorELNS0_4arch9wavefront6targetE1EEEvS17_.has_indirect_call, 0
	.section	.AMDGPU.csdata,"",@progbits
; Kernel info:
; codeLenInByte = 0
; TotalNumSgprs: 4
; NumVgprs: 0
; ScratchSize: 0
; MemoryBound: 0
; FloatMode: 240
; IeeeMode: 1
; LDSByteSize: 0 bytes/workgroup (compile time only)
; SGPRBlocks: 0
; VGPRBlocks: 0
; NumSGPRsForWavesPerEU: 4
; NumVGPRsForWavesPerEU: 1
; Occupancy: 10
; WaveLimiterHint : 0
; COMPUTE_PGM_RSRC2:SCRATCH_EN: 0
; COMPUTE_PGM_RSRC2:USER_SGPR: 6
; COMPUTE_PGM_RSRC2:TRAP_HANDLER: 0
; COMPUTE_PGM_RSRC2:TGID_X_EN: 1
; COMPUTE_PGM_RSRC2:TGID_Y_EN: 0
; COMPUTE_PGM_RSRC2:TGID_Z_EN: 0
; COMPUTE_PGM_RSRC2:TIDIG_COMP_CNT: 0
	.section	.text._ZN7rocprim17ROCPRIM_400000_NS6detail17trampoline_kernelINS0_14default_configENS1_22reduce_config_selectorIN6thrust23THRUST_200600_302600_NS5tupleIblNS6_9null_typeES8_S8_S8_S8_S8_S8_S8_EEEEZNS1_11reduce_implILb1ES3_NS6_12zip_iteratorINS7_INS6_11hip_rocprim26transform_input_iterator_tIbPhNS6_6detail10functional5actorINSH_9compositeIJNSH_27transparent_binary_operatorINS6_8equal_toIvEEEENSI_INSH_8argumentILj0EEEEENSH_5valueIhEEEEEEEEENSD_19counting_iterator_tIlEES8_S8_S8_S8_S8_S8_S8_S8_EEEEPS9_S9_NSD_9__find_if7functorIS9_EEEE10hipError_tPvRmT1_T2_T3_mT4_P12ihipStream_tbEUlT_E1_NS1_11comp_targetILNS1_3genE8ELNS1_11target_archE1030ELNS1_3gpuE2ELNS1_3repE0EEENS1_30default_config_static_selectorELNS0_4arch9wavefront6targetE1EEEvS17_,"axG",@progbits,_ZN7rocprim17ROCPRIM_400000_NS6detail17trampoline_kernelINS0_14default_configENS1_22reduce_config_selectorIN6thrust23THRUST_200600_302600_NS5tupleIblNS6_9null_typeES8_S8_S8_S8_S8_S8_S8_EEEEZNS1_11reduce_implILb1ES3_NS6_12zip_iteratorINS7_INS6_11hip_rocprim26transform_input_iterator_tIbPhNS6_6detail10functional5actorINSH_9compositeIJNSH_27transparent_binary_operatorINS6_8equal_toIvEEEENSI_INSH_8argumentILj0EEEEENSH_5valueIhEEEEEEEEENSD_19counting_iterator_tIlEES8_S8_S8_S8_S8_S8_S8_S8_EEEEPS9_S9_NSD_9__find_if7functorIS9_EEEE10hipError_tPvRmT1_T2_T3_mT4_P12ihipStream_tbEUlT_E1_NS1_11comp_targetILNS1_3genE8ELNS1_11target_archE1030ELNS1_3gpuE2ELNS1_3repE0EEENS1_30default_config_static_selectorELNS0_4arch9wavefront6targetE1EEEvS17_,comdat
	.protected	_ZN7rocprim17ROCPRIM_400000_NS6detail17trampoline_kernelINS0_14default_configENS1_22reduce_config_selectorIN6thrust23THRUST_200600_302600_NS5tupleIblNS6_9null_typeES8_S8_S8_S8_S8_S8_S8_EEEEZNS1_11reduce_implILb1ES3_NS6_12zip_iteratorINS7_INS6_11hip_rocprim26transform_input_iterator_tIbPhNS6_6detail10functional5actorINSH_9compositeIJNSH_27transparent_binary_operatorINS6_8equal_toIvEEEENSI_INSH_8argumentILj0EEEEENSH_5valueIhEEEEEEEEENSD_19counting_iterator_tIlEES8_S8_S8_S8_S8_S8_S8_S8_EEEEPS9_S9_NSD_9__find_if7functorIS9_EEEE10hipError_tPvRmT1_T2_T3_mT4_P12ihipStream_tbEUlT_E1_NS1_11comp_targetILNS1_3genE8ELNS1_11target_archE1030ELNS1_3gpuE2ELNS1_3repE0EEENS1_30default_config_static_selectorELNS0_4arch9wavefront6targetE1EEEvS17_ ; -- Begin function _ZN7rocprim17ROCPRIM_400000_NS6detail17trampoline_kernelINS0_14default_configENS1_22reduce_config_selectorIN6thrust23THRUST_200600_302600_NS5tupleIblNS6_9null_typeES8_S8_S8_S8_S8_S8_S8_EEEEZNS1_11reduce_implILb1ES3_NS6_12zip_iteratorINS7_INS6_11hip_rocprim26transform_input_iterator_tIbPhNS6_6detail10functional5actorINSH_9compositeIJNSH_27transparent_binary_operatorINS6_8equal_toIvEEEENSI_INSH_8argumentILj0EEEEENSH_5valueIhEEEEEEEEENSD_19counting_iterator_tIlEES8_S8_S8_S8_S8_S8_S8_S8_EEEEPS9_S9_NSD_9__find_if7functorIS9_EEEE10hipError_tPvRmT1_T2_T3_mT4_P12ihipStream_tbEUlT_E1_NS1_11comp_targetILNS1_3genE8ELNS1_11target_archE1030ELNS1_3gpuE2ELNS1_3repE0EEENS1_30default_config_static_selectorELNS0_4arch9wavefront6targetE1EEEvS17_
	.globl	_ZN7rocprim17ROCPRIM_400000_NS6detail17trampoline_kernelINS0_14default_configENS1_22reduce_config_selectorIN6thrust23THRUST_200600_302600_NS5tupleIblNS6_9null_typeES8_S8_S8_S8_S8_S8_S8_EEEEZNS1_11reduce_implILb1ES3_NS6_12zip_iteratorINS7_INS6_11hip_rocprim26transform_input_iterator_tIbPhNS6_6detail10functional5actorINSH_9compositeIJNSH_27transparent_binary_operatorINS6_8equal_toIvEEEENSI_INSH_8argumentILj0EEEEENSH_5valueIhEEEEEEEEENSD_19counting_iterator_tIlEES8_S8_S8_S8_S8_S8_S8_S8_EEEEPS9_S9_NSD_9__find_if7functorIS9_EEEE10hipError_tPvRmT1_T2_T3_mT4_P12ihipStream_tbEUlT_E1_NS1_11comp_targetILNS1_3genE8ELNS1_11target_archE1030ELNS1_3gpuE2ELNS1_3repE0EEENS1_30default_config_static_selectorELNS0_4arch9wavefront6targetE1EEEvS17_
	.p2align	8
	.type	_ZN7rocprim17ROCPRIM_400000_NS6detail17trampoline_kernelINS0_14default_configENS1_22reduce_config_selectorIN6thrust23THRUST_200600_302600_NS5tupleIblNS6_9null_typeES8_S8_S8_S8_S8_S8_S8_EEEEZNS1_11reduce_implILb1ES3_NS6_12zip_iteratorINS7_INS6_11hip_rocprim26transform_input_iterator_tIbPhNS6_6detail10functional5actorINSH_9compositeIJNSH_27transparent_binary_operatorINS6_8equal_toIvEEEENSI_INSH_8argumentILj0EEEEENSH_5valueIhEEEEEEEEENSD_19counting_iterator_tIlEES8_S8_S8_S8_S8_S8_S8_S8_EEEEPS9_S9_NSD_9__find_if7functorIS9_EEEE10hipError_tPvRmT1_T2_T3_mT4_P12ihipStream_tbEUlT_E1_NS1_11comp_targetILNS1_3genE8ELNS1_11target_archE1030ELNS1_3gpuE2ELNS1_3repE0EEENS1_30default_config_static_selectorELNS0_4arch9wavefront6targetE1EEEvS17_,@function
_ZN7rocprim17ROCPRIM_400000_NS6detail17trampoline_kernelINS0_14default_configENS1_22reduce_config_selectorIN6thrust23THRUST_200600_302600_NS5tupleIblNS6_9null_typeES8_S8_S8_S8_S8_S8_S8_EEEEZNS1_11reduce_implILb1ES3_NS6_12zip_iteratorINS7_INS6_11hip_rocprim26transform_input_iterator_tIbPhNS6_6detail10functional5actorINSH_9compositeIJNSH_27transparent_binary_operatorINS6_8equal_toIvEEEENSI_INSH_8argumentILj0EEEEENSH_5valueIhEEEEEEEEENSD_19counting_iterator_tIlEES8_S8_S8_S8_S8_S8_S8_S8_EEEEPS9_S9_NSD_9__find_if7functorIS9_EEEE10hipError_tPvRmT1_T2_T3_mT4_P12ihipStream_tbEUlT_E1_NS1_11comp_targetILNS1_3genE8ELNS1_11target_archE1030ELNS1_3gpuE2ELNS1_3repE0EEENS1_30default_config_static_selectorELNS0_4arch9wavefront6targetE1EEEvS17_: ; @_ZN7rocprim17ROCPRIM_400000_NS6detail17trampoline_kernelINS0_14default_configENS1_22reduce_config_selectorIN6thrust23THRUST_200600_302600_NS5tupleIblNS6_9null_typeES8_S8_S8_S8_S8_S8_S8_EEEEZNS1_11reduce_implILb1ES3_NS6_12zip_iteratorINS7_INS6_11hip_rocprim26transform_input_iterator_tIbPhNS6_6detail10functional5actorINSH_9compositeIJNSH_27transparent_binary_operatorINS6_8equal_toIvEEEENSI_INSH_8argumentILj0EEEEENSH_5valueIhEEEEEEEEENSD_19counting_iterator_tIlEES8_S8_S8_S8_S8_S8_S8_S8_EEEEPS9_S9_NSD_9__find_if7functorIS9_EEEE10hipError_tPvRmT1_T2_T3_mT4_P12ihipStream_tbEUlT_E1_NS1_11comp_targetILNS1_3genE8ELNS1_11target_archE1030ELNS1_3gpuE2ELNS1_3repE0EEENS1_30default_config_static_selectorELNS0_4arch9wavefront6targetE1EEEvS17_
; %bb.0:
	.section	.rodata,"a",@progbits
	.p2align	6, 0x0
	.amdhsa_kernel _ZN7rocprim17ROCPRIM_400000_NS6detail17trampoline_kernelINS0_14default_configENS1_22reduce_config_selectorIN6thrust23THRUST_200600_302600_NS5tupleIblNS6_9null_typeES8_S8_S8_S8_S8_S8_S8_EEEEZNS1_11reduce_implILb1ES3_NS6_12zip_iteratorINS7_INS6_11hip_rocprim26transform_input_iterator_tIbPhNS6_6detail10functional5actorINSH_9compositeIJNSH_27transparent_binary_operatorINS6_8equal_toIvEEEENSI_INSH_8argumentILj0EEEEENSH_5valueIhEEEEEEEEENSD_19counting_iterator_tIlEES8_S8_S8_S8_S8_S8_S8_S8_EEEEPS9_S9_NSD_9__find_if7functorIS9_EEEE10hipError_tPvRmT1_T2_T3_mT4_P12ihipStream_tbEUlT_E1_NS1_11comp_targetILNS1_3genE8ELNS1_11target_archE1030ELNS1_3gpuE2ELNS1_3repE0EEENS1_30default_config_static_selectorELNS0_4arch9wavefront6targetE1EEEvS17_
		.amdhsa_group_segment_fixed_size 0
		.amdhsa_private_segment_fixed_size 0
		.amdhsa_kernarg_size 72
		.amdhsa_user_sgpr_count 6
		.amdhsa_user_sgpr_private_segment_buffer 1
		.amdhsa_user_sgpr_dispatch_ptr 0
		.amdhsa_user_sgpr_queue_ptr 0
		.amdhsa_user_sgpr_kernarg_segment_ptr 1
		.amdhsa_user_sgpr_dispatch_id 0
		.amdhsa_user_sgpr_flat_scratch_init 0
		.amdhsa_user_sgpr_private_segment_size 0
		.amdhsa_uses_dynamic_stack 0
		.amdhsa_system_sgpr_private_segment_wavefront_offset 0
		.amdhsa_system_sgpr_workgroup_id_x 1
		.amdhsa_system_sgpr_workgroup_id_y 0
		.amdhsa_system_sgpr_workgroup_id_z 0
		.amdhsa_system_sgpr_workgroup_info 0
		.amdhsa_system_vgpr_workitem_id 0
		.amdhsa_next_free_vgpr 1
		.amdhsa_next_free_sgpr 0
		.amdhsa_reserve_vcc 0
		.amdhsa_reserve_flat_scratch 0
		.amdhsa_float_round_mode_32 0
		.amdhsa_float_round_mode_16_64 0
		.amdhsa_float_denorm_mode_32 3
		.amdhsa_float_denorm_mode_16_64 3
		.amdhsa_dx10_clamp 1
		.amdhsa_ieee_mode 1
		.amdhsa_fp16_overflow 0
		.amdhsa_exception_fp_ieee_invalid_op 0
		.amdhsa_exception_fp_denorm_src 0
		.amdhsa_exception_fp_ieee_div_zero 0
		.amdhsa_exception_fp_ieee_overflow 0
		.amdhsa_exception_fp_ieee_underflow 0
		.amdhsa_exception_fp_ieee_inexact 0
		.amdhsa_exception_int_div_zero 0
	.end_amdhsa_kernel
	.section	.text._ZN7rocprim17ROCPRIM_400000_NS6detail17trampoline_kernelINS0_14default_configENS1_22reduce_config_selectorIN6thrust23THRUST_200600_302600_NS5tupleIblNS6_9null_typeES8_S8_S8_S8_S8_S8_S8_EEEEZNS1_11reduce_implILb1ES3_NS6_12zip_iteratorINS7_INS6_11hip_rocprim26transform_input_iterator_tIbPhNS6_6detail10functional5actorINSH_9compositeIJNSH_27transparent_binary_operatorINS6_8equal_toIvEEEENSI_INSH_8argumentILj0EEEEENSH_5valueIhEEEEEEEEENSD_19counting_iterator_tIlEES8_S8_S8_S8_S8_S8_S8_S8_EEEEPS9_S9_NSD_9__find_if7functorIS9_EEEE10hipError_tPvRmT1_T2_T3_mT4_P12ihipStream_tbEUlT_E1_NS1_11comp_targetILNS1_3genE8ELNS1_11target_archE1030ELNS1_3gpuE2ELNS1_3repE0EEENS1_30default_config_static_selectorELNS0_4arch9wavefront6targetE1EEEvS17_,"axG",@progbits,_ZN7rocprim17ROCPRIM_400000_NS6detail17trampoline_kernelINS0_14default_configENS1_22reduce_config_selectorIN6thrust23THRUST_200600_302600_NS5tupleIblNS6_9null_typeES8_S8_S8_S8_S8_S8_S8_EEEEZNS1_11reduce_implILb1ES3_NS6_12zip_iteratorINS7_INS6_11hip_rocprim26transform_input_iterator_tIbPhNS6_6detail10functional5actorINSH_9compositeIJNSH_27transparent_binary_operatorINS6_8equal_toIvEEEENSI_INSH_8argumentILj0EEEEENSH_5valueIhEEEEEEEEENSD_19counting_iterator_tIlEES8_S8_S8_S8_S8_S8_S8_S8_EEEEPS9_S9_NSD_9__find_if7functorIS9_EEEE10hipError_tPvRmT1_T2_T3_mT4_P12ihipStream_tbEUlT_E1_NS1_11comp_targetILNS1_3genE8ELNS1_11target_archE1030ELNS1_3gpuE2ELNS1_3repE0EEENS1_30default_config_static_selectorELNS0_4arch9wavefront6targetE1EEEvS17_,comdat
.Lfunc_end459:
	.size	_ZN7rocprim17ROCPRIM_400000_NS6detail17trampoline_kernelINS0_14default_configENS1_22reduce_config_selectorIN6thrust23THRUST_200600_302600_NS5tupleIblNS6_9null_typeES8_S8_S8_S8_S8_S8_S8_EEEEZNS1_11reduce_implILb1ES3_NS6_12zip_iteratorINS7_INS6_11hip_rocprim26transform_input_iterator_tIbPhNS6_6detail10functional5actorINSH_9compositeIJNSH_27transparent_binary_operatorINS6_8equal_toIvEEEENSI_INSH_8argumentILj0EEEEENSH_5valueIhEEEEEEEEENSD_19counting_iterator_tIlEES8_S8_S8_S8_S8_S8_S8_S8_EEEEPS9_S9_NSD_9__find_if7functorIS9_EEEE10hipError_tPvRmT1_T2_T3_mT4_P12ihipStream_tbEUlT_E1_NS1_11comp_targetILNS1_3genE8ELNS1_11target_archE1030ELNS1_3gpuE2ELNS1_3repE0EEENS1_30default_config_static_selectorELNS0_4arch9wavefront6targetE1EEEvS17_, .Lfunc_end459-_ZN7rocprim17ROCPRIM_400000_NS6detail17trampoline_kernelINS0_14default_configENS1_22reduce_config_selectorIN6thrust23THRUST_200600_302600_NS5tupleIblNS6_9null_typeES8_S8_S8_S8_S8_S8_S8_EEEEZNS1_11reduce_implILb1ES3_NS6_12zip_iteratorINS7_INS6_11hip_rocprim26transform_input_iterator_tIbPhNS6_6detail10functional5actorINSH_9compositeIJNSH_27transparent_binary_operatorINS6_8equal_toIvEEEENSI_INSH_8argumentILj0EEEEENSH_5valueIhEEEEEEEEENSD_19counting_iterator_tIlEES8_S8_S8_S8_S8_S8_S8_S8_EEEEPS9_S9_NSD_9__find_if7functorIS9_EEEE10hipError_tPvRmT1_T2_T3_mT4_P12ihipStream_tbEUlT_E1_NS1_11comp_targetILNS1_3genE8ELNS1_11target_archE1030ELNS1_3gpuE2ELNS1_3repE0EEENS1_30default_config_static_selectorELNS0_4arch9wavefront6targetE1EEEvS17_
                                        ; -- End function
	.set _ZN7rocprim17ROCPRIM_400000_NS6detail17trampoline_kernelINS0_14default_configENS1_22reduce_config_selectorIN6thrust23THRUST_200600_302600_NS5tupleIblNS6_9null_typeES8_S8_S8_S8_S8_S8_S8_EEEEZNS1_11reduce_implILb1ES3_NS6_12zip_iteratorINS7_INS6_11hip_rocprim26transform_input_iterator_tIbPhNS6_6detail10functional5actorINSH_9compositeIJNSH_27transparent_binary_operatorINS6_8equal_toIvEEEENSI_INSH_8argumentILj0EEEEENSH_5valueIhEEEEEEEEENSD_19counting_iterator_tIlEES8_S8_S8_S8_S8_S8_S8_S8_EEEEPS9_S9_NSD_9__find_if7functorIS9_EEEE10hipError_tPvRmT1_T2_T3_mT4_P12ihipStream_tbEUlT_E1_NS1_11comp_targetILNS1_3genE8ELNS1_11target_archE1030ELNS1_3gpuE2ELNS1_3repE0EEENS1_30default_config_static_selectorELNS0_4arch9wavefront6targetE1EEEvS17_.num_vgpr, 0
	.set _ZN7rocprim17ROCPRIM_400000_NS6detail17trampoline_kernelINS0_14default_configENS1_22reduce_config_selectorIN6thrust23THRUST_200600_302600_NS5tupleIblNS6_9null_typeES8_S8_S8_S8_S8_S8_S8_EEEEZNS1_11reduce_implILb1ES3_NS6_12zip_iteratorINS7_INS6_11hip_rocprim26transform_input_iterator_tIbPhNS6_6detail10functional5actorINSH_9compositeIJNSH_27transparent_binary_operatorINS6_8equal_toIvEEEENSI_INSH_8argumentILj0EEEEENSH_5valueIhEEEEEEEEENSD_19counting_iterator_tIlEES8_S8_S8_S8_S8_S8_S8_S8_EEEEPS9_S9_NSD_9__find_if7functorIS9_EEEE10hipError_tPvRmT1_T2_T3_mT4_P12ihipStream_tbEUlT_E1_NS1_11comp_targetILNS1_3genE8ELNS1_11target_archE1030ELNS1_3gpuE2ELNS1_3repE0EEENS1_30default_config_static_selectorELNS0_4arch9wavefront6targetE1EEEvS17_.num_agpr, 0
	.set _ZN7rocprim17ROCPRIM_400000_NS6detail17trampoline_kernelINS0_14default_configENS1_22reduce_config_selectorIN6thrust23THRUST_200600_302600_NS5tupleIblNS6_9null_typeES8_S8_S8_S8_S8_S8_S8_EEEEZNS1_11reduce_implILb1ES3_NS6_12zip_iteratorINS7_INS6_11hip_rocprim26transform_input_iterator_tIbPhNS6_6detail10functional5actorINSH_9compositeIJNSH_27transparent_binary_operatorINS6_8equal_toIvEEEENSI_INSH_8argumentILj0EEEEENSH_5valueIhEEEEEEEEENSD_19counting_iterator_tIlEES8_S8_S8_S8_S8_S8_S8_S8_EEEEPS9_S9_NSD_9__find_if7functorIS9_EEEE10hipError_tPvRmT1_T2_T3_mT4_P12ihipStream_tbEUlT_E1_NS1_11comp_targetILNS1_3genE8ELNS1_11target_archE1030ELNS1_3gpuE2ELNS1_3repE0EEENS1_30default_config_static_selectorELNS0_4arch9wavefront6targetE1EEEvS17_.numbered_sgpr, 0
	.set _ZN7rocprim17ROCPRIM_400000_NS6detail17trampoline_kernelINS0_14default_configENS1_22reduce_config_selectorIN6thrust23THRUST_200600_302600_NS5tupleIblNS6_9null_typeES8_S8_S8_S8_S8_S8_S8_EEEEZNS1_11reduce_implILb1ES3_NS6_12zip_iteratorINS7_INS6_11hip_rocprim26transform_input_iterator_tIbPhNS6_6detail10functional5actorINSH_9compositeIJNSH_27transparent_binary_operatorINS6_8equal_toIvEEEENSI_INSH_8argumentILj0EEEEENSH_5valueIhEEEEEEEEENSD_19counting_iterator_tIlEES8_S8_S8_S8_S8_S8_S8_S8_EEEEPS9_S9_NSD_9__find_if7functorIS9_EEEE10hipError_tPvRmT1_T2_T3_mT4_P12ihipStream_tbEUlT_E1_NS1_11comp_targetILNS1_3genE8ELNS1_11target_archE1030ELNS1_3gpuE2ELNS1_3repE0EEENS1_30default_config_static_selectorELNS0_4arch9wavefront6targetE1EEEvS17_.num_named_barrier, 0
	.set _ZN7rocprim17ROCPRIM_400000_NS6detail17trampoline_kernelINS0_14default_configENS1_22reduce_config_selectorIN6thrust23THRUST_200600_302600_NS5tupleIblNS6_9null_typeES8_S8_S8_S8_S8_S8_S8_EEEEZNS1_11reduce_implILb1ES3_NS6_12zip_iteratorINS7_INS6_11hip_rocprim26transform_input_iterator_tIbPhNS6_6detail10functional5actorINSH_9compositeIJNSH_27transparent_binary_operatorINS6_8equal_toIvEEEENSI_INSH_8argumentILj0EEEEENSH_5valueIhEEEEEEEEENSD_19counting_iterator_tIlEES8_S8_S8_S8_S8_S8_S8_S8_EEEEPS9_S9_NSD_9__find_if7functorIS9_EEEE10hipError_tPvRmT1_T2_T3_mT4_P12ihipStream_tbEUlT_E1_NS1_11comp_targetILNS1_3genE8ELNS1_11target_archE1030ELNS1_3gpuE2ELNS1_3repE0EEENS1_30default_config_static_selectorELNS0_4arch9wavefront6targetE1EEEvS17_.private_seg_size, 0
	.set _ZN7rocprim17ROCPRIM_400000_NS6detail17trampoline_kernelINS0_14default_configENS1_22reduce_config_selectorIN6thrust23THRUST_200600_302600_NS5tupleIblNS6_9null_typeES8_S8_S8_S8_S8_S8_S8_EEEEZNS1_11reduce_implILb1ES3_NS6_12zip_iteratorINS7_INS6_11hip_rocprim26transform_input_iterator_tIbPhNS6_6detail10functional5actorINSH_9compositeIJNSH_27transparent_binary_operatorINS6_8equal_toIvEEEENSI_INSH_8argumentILj0EEEEENSH_5valueIhEEEEEEEEENSD_19counting_iterator_tIlEES8_S8_S8_S8_S8_S8_S8_S8_EEEEPS9_S9_NSD_9__find_if7functorIS9_EEEE10hipError_tPvRmT1_T2_T3_mT4_P12ihipStream_tbEUlT_E1_NS1_11comp_targetILNS1_3genE8ELNS1_11target_archE1030ELNS1_3gpuE2ELNS1_3repE0EEENS1_30default_config_static_selectorELNS0_4arch9wavefront6targetE1EEEvS17_.uses_vcc, 0
	.set _ZN7rocprim17ROCPRIM_400000_NS6detail17trampoline_kernelINS0_14default_configENS1_22reduce_config_selectorIN6thrust23THRUST_200600_302600_NS5tupleIblNS6_9null_typeES8_S8_S8_S8_S8_S8_S8_EEEEZNS1_11reduce_implILb1ES3_NS6_12zip_iteratorINS7_INS6_11hip_rocprim26transform_input_iterator_tIbPhNS6_6detail10functional5actorINSH_9compositeIJNSH_27transparent_binary_operatorINS6_8equal_toIvEEEENSI_INSH_8argumentILj0EEEEENSH_5valueIhEEEEEEEEENSD_19counting_iterator_tIlEES8_S8_S8_S8_S8_S8_S8_S8_EEEEPS9_S9_NSD_9__find_if7functorIS9_EEEE10hipError_tPvRmT1_T2_T3_mT4_P12ihipStream_tbEUlT_E1_NS1_11comp_targetILNS1_3genE8ELNS1_11target_archE1030ELNS1_3gpuE2ELNS1_3repE0EEENS1_30default_config_static_selectorELNS0_4arch9wavefront6targetE1EEEvS17_.uses_flat_scratch, 0
	.set _ZN7rocprim17ROCPRIM_400000_NS6detail17trampoline_kernelINS0_14default_configENS1_22reduce_config_selectorIN6thrust23THRUST_200600_302600_NS5tupleIblNS6_9null_typeES8_S8_S8_S8_S8_S8_S8_EEEEZNS1_11reduce_implILb1ES3_NS6_12zip_iteratorINS7_INS6_11hip_rocprim26transform_input_iterator_tIbPhNS6_6detail10functional5actorINSH_9compositeIJNSH_27transparent_binary_operatorINS6_8equal_toIvEEEENSI_INSH_8argumentILj0EEEEENSH_5valueIhEEEEEEEEENSD_19counting_iterator_tIlEES8_S8_S8_S8_S8_S8_S8_S8_EEEEPS9_S9_NSD_9__find_if7functorIS9_EEEE10hipError_tPvRmT1_T2_T3_mT4_P12ihipStream_tbEUlT_E1_NS1_11comp_targetILNS1_3genE8ELNS1_11target_archE1030ELNS1_3gpuE2ELNS1_3repE0EEENS1_30default_config_static_selectorELNS0_4arch9wavefront6targetE1EEEvS17_.has_dyn_sized_stack, 0
	.set _ZN7rocprim17ROCPRIM_400000_NS6detail17trampoline_kernelINS0_14default_configENS1_22reduce_config_selectorIN6thrust23THRUST_200600_302600_NS5tupleIblNS6_9null_typeES8_S8_S8_S8_S8_S8_S8_EEEEZNS1_11reduce_implILb1ES3_NS6_12zip_iteratorINS7_INS6_11hip_rocprim26transform_input_iterator_tIbPhNS6_6detail10functional5actorINSH_9compositeIJNSH_27transparent_binary_operatorINS6_8equal_toIvEEEENSI_INSH_8argumentILj0EEEEENSH_5valueIhEEEEEEEEENSD_19counting_iterator_tIlEES8_S8_S8_S8_S8_S8_S8_S8_EEEEPS9_S9_NSD_9__find_if7functorIS9_EEEE10hipError_tPvRmT1_T2_T3_mT4_P12ihipStream_tbEUlT_E1_NS1_11comp_targetILNS1_3genE8ELNS1_11target_archE1030ELNS1_3gpuE2ELNS1_3repE0EEENS1_30default_config_static_selectorELNS0_4arch9wavefront6targetE1EEEvS17_.has_recursion, 0
	.set _ZN7rocprim17ROCPRIM_400000_NS6detail17trampoline_kernelINS0_14default_configENS1_22reduce_config_selectorIN6thrust23THRUST_200600_302600_NS5tupleIblNS6_9null_typeES8_S8_S8_S8_S8_S8_S8_EEEEZNS1_11reduce_implILb1ES3_NS6_12zip_iteratorINS7_INS6_11hip_rocprim26transform_input_iterator_tIbPhNS6_6detail10functional5actorINSH_9compositeIJNSH_27transparent_binary_operatorINS6_8equal_toIvEEEENSI_INSH_8argumentILj0EEEEENSH_5valueIhEEEEEEEEENSD_19counting_iterator_tIlEES8_S8_S8_S8_S8_S8_S8_S8_EEEEPS9_S9_NSD_9__find_if7functorIS9_EEEE10hipError_tPvRmT1_T2_T3_mT4_P12ihipStream_tbEUlT_E1_NS1_11comp_targetILNS1_3genE8ELNS1_11target_archE1030ELNS1_3gpuE2ELNS1_3repE0EEENS1_30default_config_static_selectorELNS0_4arch9wavefront6targetE1EEEvS17_.has_indirect_call, 0
	.section	.AMDGPU.csdata,"",@progbits
; Kernel info:
; codeLenInByte = 0
; TotalNumSgprs: 4
; NumVgprs: 0
; ScratchSize: 0
; MemoryBound: 0
; FloatMode: 240
; IeeeMode: 1
; LDSByteSize: 0 bytes/workgroup (compile time only)
; SGPRBlocks: 0
; VGPRBlocks: 0
; NumSGPRsForWavesPerEU: 4
; NumVGPRsForWavesPerEU: 1
; Occupancy: 10
; WaveLimiterHint : 0
; COMPUTE_PGM_RSRC2:SCRATCH_EN: 0
; COMPUTE_PGM_RSRC2:USER_SGPR: 6
; COMPUTE_PGM_RSRC2:TRAP_HANDLER: 0
; COMPUTE_PGM_RSRC2:TGID_X_EN: 1
; COMPUTE_PGM_RSRC2:TGID_Y_EN: 0
; COMPUTE_PGM_RSRC2:TGID_Z_EN: 0
; COMPUTE_PGM_RSRC2:TIDIG_COMP_CNT: 0
	.section	.text._ZN7rocprim17ROCPRIM_400000_NS6detail17trampoline_kernelINS0_13kernel_configILj256ELj4ELj4294967295EEENS1_37radix_sort_block_sort_config_selectorIalEEZNS1_21radix_sort_block_sortIS4_Lb0EPaS8_N6thrust23THRUST_200600_302600_NS10device_ptrIlEESC_NS0_19identity_decomposerEEE10hipError_tT1_T2_T3_T4_jRjT5_jjP12ihipStream_tbEUlT_E_NS1_11comp_targetILNS1_3genE0ELNS1_11target_archE4294967295ELNS1_3gpuE0ELNS1_3repE0EEENS1_44radix_sort_block_sort_config_static_selectorELNS0_4arch9wavefront6targetE1EEEvSF_,"axG",@progbits,_ZN7rocprim17ROCPRIM_400000_NS6detail17trampoline_kernelINS0_13kernel_configILj256ELj4ELj4294967295EEENS1_37radix_sort_block_sort_config_selectorIalEEZNS1_21radix_sort_block_sortIS4_Lb0EPaS8_N6thrust23THRUST_200600_302600_NS10device_ptrIlEESC_NS0_19identity_decomposerEEE10hipError_tT1_T2_T3_T4_jRjT5_jjP12ihipStream_tbEUlT_E_NS1_11comp_targetILNS1_3genE0ELNS1_11target_archE4294967295ELNS1_3gpuE0ELNS1_3repE0EEENS1_44radix_sort_block_sort_config_static_selectorELNS0_4arch9wavefront6targetE1EEEvSF_,comdat
	.protected	_ZN7rocprim17ROCPRIM_400000_NS6detail17trampoline_kernelINS0_13kernel_configILj256ELj4ELj4294967295EEENS1_37radix_sort_block_sort_config_selectorIalEEZNS1_21radix_sort_block_sortIS4_Lb0EPaS8_N6thrust23THRUST_200600_302600_NS10device_ptrIlEESC_NS0_19identity_decomposerEEE10hipError_tT1_T2_T3_T4_jRjT5_jjP12ihipStream_tbEUlT_E_NS1_11comp_targetILNS1_3genE0ELNS1_11target_archE4294967295ELNS1_3gpuE0ELNS1_3repE0EEENS1_44radix_sort_block_sort_config_static_selectorELNS0_4arch9wavefront6targetE1EEEvSF_ ; -- Begin function _ZN7rocprim17ROCPRIM_400000_NS6detail17trampoline_kernelINS0_13kernel_configILj256ELj4ELj4294967295EEENS1_37radix_sort_block_sort_config_selectorIalEEZNS1_21radix_sort_block_sortIS4_Lb0EPaS8_N6thrust23THRUST_200600_302600_NS10device_ptrIlEESC_NS0_19identity_decomposerEEE10hipError_tT1_T2_T3_T4_jRjT5_jjP12ihipStream_tbEUlT_E_NS1_11comp_targetILNS1_3genE0ELNS1_11target_archE4294967295ELNS1_3gpuE0ELNS1_3repE0EEENS1_44radix_sort_block_sort_config_static_selectorELNS0_4arch9wavefront6targetE1EEEvSF_
	.globl	_ZN7rocprim17ROCPRIM_400000_NS6detail17trampoline_kernelINS0_13kernel_configILj256ELj4ELj4294967295EEENS1_37radix_sort_block_sort_config_selectorIalEEZNS1_21radix_sort_block_sortIS4_Lb0EPaS8_N6thrust23THRUST_200600_302600_NS10device_ptrIlEESC_NS0_19identity_decomposerEEE10hipError_tT1_T2_T3_T4_jRjT5_jjP12ihipStream_tbEUlT_E_NS1_11comp_targetILNS1_3genE0ELNS1_11target_archE4294967295ELNS1_3gpuE0ELNS1_3repE0EEENS1_44radix_sort_block_sort_config_static_selectorELNS0_4arch9wavefront6targetE1EEEvSF_
	.p2align	8
	.type	_ZN7rocprim17ROCPRIM_400000_NS6detail17trampoline_kernelINS0_13kernel_configILj256ELj4ELj4294967295EEENS1_37radix_sort_block_sort_config_selectorIalEEZNS1_21radix_sort_block_sortIS4_Lb0EPaS8_N6thrust23THRUST_200600_302600_NS10device_ptrIlEESC_NS0_19identity_decomposerEEE10hipError_tT1_T2_T3_T4_jRjT5_jjP12ihipStream_tbEUlT_E_NS1_11comp_targetILNS1_3genE0ELNS1_11target_archE4294967295ELNS1_3gpuE0ELNS1_3repE0EEENS1_44radix_sort_block_sort_config_static_selectorELNS0_4arch9wavefront6targetE1EEEvSF_,@function
_ZN7rocprim17ROCPRIM_400000_NS6detail17trampoline_kernelINS0_13kernel_configILj256ELj4ELj4294967295EEENS1_37radix_sort_block_sort_config_selectorIalEEZNS1_21radix_sort_block_sortIS4_Lb0EPaS8_N6thrust23THRUST_200600_302600_NS10device_ptrIlEESC_NS0_19identity_decomposerEEE10hipError_tT1_T2_T3_T4_jRjT5_jjP12ihipStream_tbEUlT_E_NS1_11comp_targetILNS1_3genE0ELNS1_11target_archE4294967295ELNS1_3gpuE0ELNS1_3repE0EEENS1_44radix_sort_block_sort_config_static_selectorELNS0_4arch9wavefront6targetE1EEEvSF_: ; @_ZN7rocprim17ROCPRIM_400000_NS6detail17trampoline_kernelINS0_13kernel_configILj256ELj4ELj4294967295EEENS1_37radix_sort_block_sort_config_selectorIalEEZNS1_21radix_sort_block_sortIS4_Lb0EPaS8_N6thrust23THRUST_200600_302600_NS10device_ptrIlEESC_NS0_19identity_decomposerEEE10hipError_tT1_T2_T3_T4_jRjT5_jjP12ihipStream_tbEUlT_E_NS1_11comp_targetILNS1_3genE0ELNS1_11target_archE4294967295ELNS1_3gpuE0ELNS1_3repE0EEENS1_44radix_sort_block_sort_config_static_selectorELNS0_4arch9wavefront6targetE1EEEvSF_
; %bb.0:
	.section	.rodata,"a",@progbits
	.p2align	6, 0x0
	.amdhsa_kernel _ZN7rocprim17ROCPRIM_400000_NS6detail17trampoline_kernelINS0_13kernel_configILj256ELj4ELj4294967295EEENS1_37radix_sort_block_sort_config_selectorIalEEZNS1_21radix_sort_block_sortIS4_Lb0EPaS8_N6thrust23THRUST_200600_302600_NS10device_ptrIlEESC_NS0_19identity_decomposerEEE10hipError_tT1_T2_T3_T4_jRjT5_jjP12ihipStream_tbEUlT_E_NS1_11comp_targetILNS1_3genE0ELNS1_11target_archE4294967295ELNS1_3gpuE0ELNS1_3repE0EEENS1_44radix_sort_block_sort_config_static_selectorELNS0_4arch9wavefront6targetE1EEEvSF_
		.amdhsa_group_segment_fixed_size 0
		.amdhsa_private_segment_fixed_size 0
		.amdhsa_kernarg_size 48
		.amdhsa_user_sgpr_count 6
		.amdhsa_user_sgpr_private_segment_buffer 1
		.amdhsa_user_sgpr_dispatch_ptr 0
		.amdhsa_user_sgpr_queue_ptr 0
		.amdhsa_user_sgpr_kernarg_segment_ptr 1
		.amdhsa_user_sgpr_dispatch_id 0
		.amdhsa_user_sgpr_flat_scratch_init 0
		.amdhsa_user_sgpr_private_segment_size 0
		.amdhsa_uses_dynamic_stack 0
		.amdhsa_system_sgpr_private_segment_wavefront_offset 0
		.amdhsa_system_sgpr_workgroup_id_x 1
		.amdhsa_system_sgpr_workgroup_id_y 0
		.amdhsa_system_sgpr_workgroup_id_z 0
		.amdhsa_system_sgpr_workgroup_info 0
		.amdhsa_system_vgpr_workitem_id 0
		.amdhsa_next_free_vgpr 1
		.amdhsa_next_free_sgpr 0
		.amdhsa_reserve_vcc 0
		.amdhsa_reserve_flat_scratch 0
		.amdhsa_float_round_mode_32 0
		.amdhsa_float_round_mode_16_64 0
		.amdhsa_float_denorm_mode_32 3
		.amdhsa_float_denorm_mode_16_64 3
		.amdhsa_dx10_clamp 1
		.amdhsa_ieee_mode 1
		.amdhsa_fp16_overflow 0
		.amdhsa_exception_fp_ieee_invalid_op 0
		.amdhsa_exception_fp_denorm_src 0
		.amdhsa_exception_fp_ieee_div_zero 0
		.amdhsa_exception_fp_ieee_overflow 0
		.amdhsa_exception_fp_ieee_underflow 0
		.amdhsa_exception_fp_ieee_inexact 0
		.amdhsa_exception_int_div_zero 0
	.end_amdhsa_kernel
	.section	.text._ZN7rocprim17ROCPRIM_400000_NS6detail17trampoline_kernelINS0_13kernel_configILj256ELj4ELj4294967295EEENS1_37radix_sort_block_sort_config_selectorIalEEZNS1_21radix_sort_block_sortIS4_Lb0EPaS8_N6thrust23THRUST_200600_302600_NS10device_ptrIlEESC_NS0_19identity_decomposerEEE10hipError_tT1_T2_T3_T4_jRjT5_jjP12ihipStream_tbEUlT_E_NS1_11comp_targetILNS1_3genE0ELNS1_11target_archE4294967295ELNS1_3gpuE0ELNS1_3repE0EEENS1_44radix_sort_block_sort_config_static_selectorELNS0_4arch9wavefront6targetE1EEEvSF_,"axG",@progbits,_ZN7rocprim17ROCPRIM_400000_NS6detail17trampoline_kernelINS0_13kernel_configILj256ELj4ELj4294967295EEENS1_37radix_sort_block_sort_config_selectorIalEEZNS1_21radix_sort_block_sortIS4_Lb0EPaS8_N6thrust23THRUST_200600_302600_NS10device_ptrIlEESC_NS0_19identity_decomposerEEE10hipError_tT1_T2_T3_T4_jRjT5_jjP12ihipStream_tbEUlT_E_NS1_11comp_targetILNS1_3genE0ELNS1_11target_archE4294967295ELNS1_3gpuE0ELNS1_3repE0EEENS1_44radix_sort_block_sort_config_static_selectorELNS0_4arch9wavefront6targetE1EEEvSF_,comdat
.Lfunc_end460:
	.size	_ZN7rocprim17ROCPRIM_400000_NS6detail17trampoline_kernelINS0_13kernel_configILj256ELj4ELj4294967295EEENS1_37radix_sort_block_sort_config_selectorIalEEZNS1_21radix_sort_block_sortIS4_Lb0EPaS8_N6thrust23THRUST_200600_302600_NS10device_ptrIlEESC_NS0_19identity_decomposerEEE10hipError_tT1_T2_T3_T4_jRjT5_jjP12ihipStream_tbEUlT_E_NS1_11comp_targetILNS1_3genE0ELNS1_11target_archE4294967295ELNS1_3gpuE0ELNS1_3repE0EEENS1_44radix_sort_block_sort_config_static_selectorELNS0_4arch9wavefront6targetE1EEEvSF_, .Lfunc_end460-_ZN7rocprim17ROCPRIM_400000_NS6detail17trampoline_kernelINS0_13kernel_configILj256ELj4ELj4294967295EEENS1_37radix_sort_block_sort_config_selectorIalEEZNS1_21radix_sort_block_sortIS4_Lb0EPaS8_N6thrust23THRUST_200600_302600_NS10device_ptrIlEESC_NS0_19identity_decomposerEEE10hipError_tT1_T2_T3_T4_jRjT5_jjP12ihipStream_tbEUlT_E_NS1_11comp_targetILNS1_3genE0ELNS1_11target_archE4294967295ELNS1_3gpuE0ELNS1_3repE0EEENS1_44radix_sort_block_sort_config_static_selectorELNS0_4arch9wavefront6targetE1EEEvSF_
                                        ; -- End function
	.set _ZN7rocprim17ROCPRIM_400000_NS6detail17trampoline_kernelINS0_13kernel_configILj256ELj4ELj4294967295EEENS1_37radix_sort_block_sort_config_selectorIalEEZNS1_21radix_sort_block_sortIS4_Lb0EPaS8_N6thrust23THRUST_200600_302600_NS10device_ptrIlEESC_NS0_19identity_decomposerEEE10hipError_tT1_T2_T3_T4_jRjT5_jjP12ihipStream_tbEUlT_E_NS1_11comp_targetILNS1_3genE0ELNS1_11target_archE4294967295ELNS1_3gpuE0ELNS1_3repE0EEENS1_44radix_sort_block_sort_config_static_selectorELNS0_4arch9wavefront6targetE1EEEvSF_.num_vgpr, 0
	.set _ZN7rocprim17ROCPRIM_400000_NS6detail17trampoline_kernelINS0_13kernel_configILj256ELj4ELj4294967295EEENS1_37radix_sort_block_sort_config_selectorIalEEZNS1_21radix_sort_block_sortIS4_Lb0EPaS8_N6thrust23THRUST_200600_302600_NS10device_ptrIlEESC_NS0_19identity_decomposerEEE10hipError_tT1_T2_T3_T4_jRjT5_jjP12ihipStream_tbEUlT_E_NS1_11comp_targetILNS1_3genE0ELNS1_11target_archE4294967295ELNS1_3gpuE0ELNS1_3repE0EEENS1_44radix_sort_block_sort_config_static_selectorELNS0_4arch9wavefront6targetE1EEEvSF_.num_agpr, 0
	.set _ZN7rocprim17ROCPRIM_400000_NS6detail17trampoline_kernelINS0_13kernel_configILj256ELj4ELj4294967295EEENS1_37radix_sort_block_sort_config_selectorIalEEZNS1_21radix_sort_block_sortIS4_Lb0EPaS8_N6thrust23THRUST_200600_302600_NS10device_ptrIlEESC_NS0_19identity_decomposerEEE10hipError_tT1_T2_T3_T4_jRjT5_jjP12ihipStream_tbEUlT_E_NS1_11comp_targetILNS1_3genE0ELNS1_11target_archE4294967295ELNS1_3gpuE0ELNS1_3repE0EEENS1_44radix_sort_block_sort_config_static_selectorELNS0_4arch9wavefront6targetE1EEEvSF_.numbered_sgpr, 0
	.set _ZN7rocprim17ROCPRIM_400000_NS6detail17trampoline_kernelINS0_13kernel_configILj256ELj4ELj4294967295EEENS1_37radix_sort_block_sort_config_selectorIalEEZNS1_21radix_sort_block_sortIS4_Lb0EPaS8_N6thrust23THRUST_200600_302600_NS10device_ptrIlEESC_NS0_19identity_decomposerEEE10hipError_tT1_T2_T3_T4_jRjT5_jjP12ihipStream_tbEUlT_E_NS1_11comp_targetILNS1_3genE0ELNS1_11target_archE4294967295ELNS1_3gpuE0ELNS1_3repE0EEENS1_44radix_sort_block_sort_config_static_selectorELNS0_4arch9wavefront6targetE1EEEvSF_.num_named_barrier, 0
	.set _ZN7rocprim17ROCPRIM_400000_NS6detail17trampoline_kernelINS0_13kernel_configILj256ELj4ELj4294967295EEENS1_37radix_sort_block_sort_config_selectorIalEEZNS1_21radix_sort_block_sortIS4_Lb0EPaS8_N6thrust23THRUST_200600_302600_NS10device_ptrIlEESC_NS0_19identity_decomposerEEE10hipError_tT1_T2_T3_T4_jRjT5_jjP12ihipStream_tbEUlT_E_NS1_11comp_targetILNS1_3genE0ELNS1_11target_archE4294967295ELNS1_3gpuE0ELNS1_3repE0EEENS1_44radix_sort_block_sort_config_static_selectorELNS0_4arch9wavefront6targetE1EEEvSF_.private_seg_size, 0
	.set _ZN7rocprim17ROCPRIM_400000_NS6detail17trampoline_kernelINS0_13kernel_configILj256ELj4ELj4294967295EEENS1_37radix_sort_block_sort_config_selectorIalEEZNS1_21radix_sort_block_sortIS4_Lb0EPaS8_N6thrust23THRUST_200600_302600_NS10device_ptrIlEESC_NS0_19identity_decomposerEEE10hipError_tT1_T2_T3_T4_jRjT5_jjP12ihipStream_tbEUlT_E_NS1_11comp_targetILNS1_3genE0ELNS1_11target_archE4294967295ELNS1_3gpuE0ELNS1_3repE0EEENS1_44radix_sort_block_sort_config_static_selectorELNS0_4arch9wavefront6targetE1EEEvSF_.uses_vcc, 0
	.set _ZN7rocprim17ROCPRIM_400000_NS6detail17trampoline_kernelINS0_13kernel_configILj256ELj4ELj4294967295EEENS1_37radix_sort_block_sort_config_selectorIalEEZNS1_21radix_sort_block_sortIS4_Lb0EPaS8_N6thrust23THRUST_200600_302600_NS10device_ptrIlEESC_NS0_19identity_decomposerEEE10hipError_tT1_T2_T3_T4_jRjT5_jjP12ihipStream_tbEUlT_E_NS1_11comp_targetILNS1_3genE0ELNS1_11target_archE4294967295ELNS1_3gpuE0ELNS1_3repE0EEENS1_44radix_sort_block_sort_config_static_selectorELNS0_4arch9wavefront6targetE1EEEvSF_.uses_flat_scratch, 0
	.set _ZN7rocprim17ROCPRIM_400000_NS6detail17trampoline_kernelINS0_13kernel_configILj256ELj4ELj4294967295EEENS1_37radix_sort_block_sort_config_selectorIalEEZNS1_21radix_sort_block_sortIS4_Lb0EPaS8_N6thrust23THRUST_200600_302600_NS10device_ptrIlEESC_NS0_19identity_decomposerEEE10hipError_tT1_T2_T3_T4_jRjT5_jjP12ihipStream_tbEUlT_E_NS1_11comp_targetILNS1_3genE0ELNS1_11target_archE4294967295ELNS1_3gpuE0ELNS1_3repE0EEENS1_44radix_sort_block_sort_config_static_selectorELNS0_4arch9wavefront6targetE1EEEvSF_.has_dyn_sized_stack, 0
	.set _ZN7rocprim17ROCPRIM_400000_NS6detail17trampoline_kernelINS0_13kernel_configILj256ELj4ELj4294967295EEENS1_37radix_sort_block_sort_config_selectorIalEEZNS1_21radix_sort_block_sortIS4_Lb0EPaS8_N6thrust23THRUST_200600_302600_NS10device_ptrIlEESC_NS0_19identity_decomposerEEE10hipError_tT1_T2_T3_T4_jRjT5_jjP12ihipStream_tbEUlT_E_NS1_11comp_targetILNS1_3genE0ELNS1_11target_archE4294967295ELNS1_3gpuE0ELNS1_3repE0EEENS1_44radix_sort_block_sort_config_static_selectorELNS0_4arch9wavefront6targetE1EEEvSF_.has_recursion, 0
	.set _ZN7rocprim17ROCPRIM_400000_NS6detail17trampoline_kernelINS0_13kernel_configILj256ELj4ELj4294967295EEENS1_37radix_sort_block_sort_config_selectorIalEEZNS1_21radix_sort_block_sortIS4_Lb0EPaS8_N6thrust23THRUST_200600_302600_NS10device_ptrIlEESC_NS0_19identity_decomposerEEE10hipError_tT1_T2_T3_T4_jRjT5_jjP12ihipStream_tbEUlT_E_NS1_11comp_targetILNS1_3genE0ELNS1_11target_archE4294967295ELNS1_3gpuE0ELNS1_3repE0EEENS1_44radix_sort_block_sort_config_static_selectorELNS0_4arch9wavefront6targetE1EEEvSF_.has_indirect_call, 0
	.section	.AMDGPU.csdata,"",@progbits
; Kernel info:
; codeLenInByte = 0
; TotalNumSgprs: 4
; NumVgprs: 0
; ScratchSize: 0
; MemoryBound: 0
; FloatMode: 240
; IeeeMode: 1
; LDSByteSize: 0 bytes/workgroup (compile time only)
; SGPRBlocks: 0
; VGPRBlocks: 0
; NumSGPRsForWavesPerEU: 4
; NumVGPRsForWavesPerEU: 1
; Occupancy: 10
; WaveLimiterHint : 0
; COMPUTE_PGM_RSRC2:SCRATCH_EN: 0
; COMPUTE_PGM_RSRC2:USER_SGPR: 6
; COMPUTE_PGM_RSRC2:TRAP_HANDLER: 0
; COMPUTE_PGM_RSRC2:TGID_X_EN: 1
; COMPUTE_PGM_RSRC2:TGID_Y_EN: 0
; COMPUTE_PGM_RSRC2:TGID_Z_EN: 0
; COMPUTE_PGM_RSRC2:TIDIG_COMP_CNT: 0
	.section	.text._ZN7rocprim17ROCPRIM_400000_NS6detail17trampoline_kernelINS0_13kernel_configILj256ELj4ELj4294967295EEENS1_37radix_sort_block_sort_config_selectorIalEEZNS1_21radix_sort_block_sortIS4_Lb0EPaS8_N6thrust23THRUST_200600_302600_NS10device_ptrIlEESC_NS0_19identity_decomposerEEE10hipError_tT1_T2_T3_T4_jRjT5_jjP12ihipStream_tbEUlT_E_NS1_11comp_targetILNS1_3genE5ELNS1_11target_archE942ELNS1_3gpuE9ELNS1_3repE0EEENS1_44radix_sort_block_sort_config_static_selectorELNS0_4arch9wavefront6targetE1EEEvSF_,"axG",@progbits,_ZN7rocprim17ROCPRIM_400000_NS6detail17trampoline_kernelINS0_13kernel_configILj256ELj4ELj4294967295EEENS1_37radix_sort_block_sort_config_selectorIalEEZNS1_21radix_sort_block_sortIS4_Lb0EPaS8_N6thrust23THRUST_200600_302600_NS10device_ptrIlEESC_NS0_19identity_decomposerEEE10hipError_tT1_T2_T3_T4_jRjT5_jjP12ihipStream_tbEUlT_E_NS1_11comp_targetILNS1_3genE5ELNS1_11target_archE942ELNS1_3gpuE9ELNS1_3repE0EEENS1_44radix_sort_block_sort_config_static_selectorELNS0_4arch9wavefront6targetE1EEEvSF_,comdat
	.protected	_ZN7rocprim17ROCPRIM_400000_NS6detail17trampoline_kernelINS0_13kernel_configILj256ELj4ELj4294967295EEENS1_37radix_sort_block_sort_config_selectorIalEEZNS1_21radix_sort_block_sortIS4_Lb0EPaS8_N6thrust23THRUST_200600_302600_NS10device_ptrIlEESC_NS0_19identity_decomposerEEE10hipError_tT1_T2_T3_T4_jRjT5_jjP12ihipStream_tbEUlT_E_NS1_11comp_targetILNS1_3genE5ELNS1_11target_archE942ELNS1_3gpuE9ELNS1_3repE0EEENS1_44radix_sort_block_sort_config_static_selectorELNS0_4arch9wavefront6targetE1EEEvSF_ ; -- Begin function _ZN7rocprim17ROCPRIM_400000_NS6detail17trampoline_kernelINS0_13kernel_configILj256ELj4ELj4294967295EEENS1_37radix_sort_block_sort_config_selectorIalEEZNS1_21radix_sort_block_sortIS4_Lb0EPaS8_N6thrust23THRUST_200600_302600_NS10device_ptrIlEESC_NS0_19identity_decomposerEEE10hipError_tT1_T2_T3_T4_jRjT5_jjP12ihipStream_tbEUlT_E_NS1_11comp_targetILNS1_3genE5ELNS1_11target_archE942ELNS1_3gpuE9ELNS1_3repE0EEENS1_44radix_sort_block_sort_config_static_selectorELNS0_4arch9wavefront6targetE1EEEvSF_
	.globl	_ZN7rocprim17ROCPRIM_400000_NS6detail17trampoline_kernelINS0_13kernel_configILj256ELj4ELj4294967295EEENS1_37radix_sort_block_sort_config_selectorIalEEZNS1_21radix_sort_block_sortIS4_Lb0EPaS8_N6thrust23THRUST_200600_302600_NS10device_ptrIlEESC_NS0_19identity_decomposerEEE10hipError_tT1_T2_T3_T4_jRjT5_jjP12ihipStream_tbEUlT_E_NS1_11comp_targetILNS1_3genE5ELNS1_11target_archE942ELNS1_3gpuE9ELNS1_3repE0EEENS1_44radix_sort_block_sort_config_static_selectorELNS0_4arch9wavefront6targetE1EEEvSF_
	.p2align	8
	.type	_ZN7rocprim17ROCPRIM_400000_NS6detail17trampoline_kernelINS0_13kernel_configILj256ELj4ELj4294967295EEENS1_37radix_sort_block_sort_config_selectorIalEEZNS1_21radix_sort_block_sortIS4_Lb0EPaS8_N6thrust23THRUST_200600_302600_NS10device_ptrIlEESC_NS0_19identity_decomposerEEE10hipError_tT1_T2_T3_T4_jRjT5_jjP12ihipStream_tbEUlT_E_NS1_11comp_targetILNS1_3genE5ELNS1_11target_archE942ELNS1_3gpuE9ELNS1_3repE0EEENS1_44radix_sort_block_sort_config_static_selectorELNS0_4arch9wavefront6targetE1EEEvSF_,@function
_ZN7rocprim17ROCPRIM_400000_NS6detail17trampoline_kernelINS0_13kernel_configILj256ELj4ELj4294967295EEENS1_37radix_sort_block_sort_config_selectorIalEEZNS1_21radix_sort_block_sortIS4_Lb0EPaS8_N6thrust23THRUST_200600_302600_NS10device_ptrIlEESC_NS0_19identity_decomposerEEE10hipError_tT1_T2_T3_T4_jRjT5_jjP12ihipStream_tbEUlT_E_NS1_11comp_targetILNS1_3genE5ELNS1_11target_archE942ELNS1_3gpuE9ELNS1_3repE0EEENS1_44radix_sort_block_sort_config_static_selectorELNS0_4arch9wavefront6targetE1EEEvSF_: ; @_ZN7rocprim17ROCPRIM_400000_NS6detail17trampoline_kernelINS0_13kernel_configILj256ELj4ELj4294967295EEENS1_37radix_sort_block_sort_config_selectorIalEEZNS1_21radix_sort_block_sortIS4_Lb0EPaS8_N6thrust23THRUST_200600_302600_NS10device_ptrIlEESC_NS0_19identity_decomposerEEE10hipError_tT1_T2_T3_T4_jRjT5_jjP12ihipStream_tbEUlT_E_NS1_11comp_targetILNS1_3genE5ELNS1_11target_archE942ELNS1_3gpuE9ELNS1_3repE0EEENS1_44radix_sort_block_sort_config_static_selectorELNS0_4arch9wavefront6targetE1EEEvSF_
; %bb.0:
	.section	.rodata,"a",@progbits
	.p2align	6, 0x0
	.amdhsa_kernel _ZN7rocprim17ROCPRIM_400000_NS6detail17trampoline_kernelINS0_13kernel_configILj256ELj4ELj4294967295EEENS1_37radix_sort_block_sort_config_selectorIalEEZNS1_21radix_sort_block_sortIS4_Lb0EPaS8_N6thrust23THRUST_200600_302600_NS10device_ptrIlEESC_NS0_19identity_decomposerEEE10hipError_tT1_T2_T3_T4_jRjT5_jjP12ihipStream_tbEUlT_E_NS1_11comp_targetILNS1_3genE5ELNS1_11target_archE942ELNS1_3gpuE9ELNS1_3repE0EEENS1_44radix_sort_block_sort_config_static_selectorELNS0_4arch9wavefront6targetE1EEEvSF_
		.amdhsa_group_segment_fixed_size 0
		.amdhsa_private_segment_fixed_size 0
		.amdhsa_kernarg_size 48
		.amdhsa_user_sgpr_count 6
		.amdhsa_user_sgpr_private_segment_buffer 1
		.amdhsa_user_sgpr_dispatch_ptr 0
		.amdhsa_user_sgpr_queue_ptr 0
		.amdhsa_user_sgpr_kernarg_segment_ptr 1
		.amdhsa_user_sgpr_dispatch_id 0
		.amdhsa_user_sgpr_flat_scratch_init 0
		.amdhsa_user_sgpr_private_segment_size 0
		.amdhsa_uses_dynamic_stack 0
		.amdhsa_system_sgpr_private_segment_wavefront_offset 0
		.amdhsa_system_sgpr_workgroup_id_x 1
		.amdhsa_system_sgpr_workgroup_id_y 0
		.amdhsa_system_sgpr_workgroup_id_z 0
		.amdhsa_system_sgpr_workgroup_info 0
		.amdhsa_system_vgpr_workitem_id 0
		.amdhsa_next_free_vgpr 1
		.amdhsa_next_free_sgpr 0
		.amdhsa_reserve_vcc 0
		.amdhsa_reserve_flat_scratch 0
		.amdhsa_float_round_mode_32 0
		.amdhsa_float_round_mode_16_64 0
		.amdhsa_float_denorm_mode_32 3
		.amdhsa_float_denorm_mode_16_64 3
		.amdhsa_dx10_clamp 1
		.amdhsa_ieee_mode 1
		.amdhsa_fp16_overflow 0
		.amdhsa_exception_fp_ieee_invalid_op 0
		.amdhsa_exception_fp_denorm_src 0
		.amdhsa_exception_fp_ieee_div_zero 0
		.amdhsa_exception_fp_ieee_overflow 0
		.amdhsa_exception_fp_ieee_underflow 0
		.amdhsa_exception_fp_ieee_inexact 0
		.amdhsa_exception_int_div_zero 0
	.end_amdhsa_kernel
	.section	.text._ZN7rocprim17ROCPRIM_400000_NS6detail17trampoline_kernelINS0_13kernel_configILj256ELj4ELj4294967295EEENS1_37radix_sort_block_sort_config_selectorIalEEZNS1_21radix_sort_block_sortIS4_Lb0EPaS8_N6thrust23THRUST_200600_302600_NS10device_ptrIlEESC_NS0_19identity_decomposerEEE10hipError_tT1_T2_T3_T4_jRjT5_jjP12ihipStream_tbEUlT_E_NS1_11comp_targetILNS1_3genE5ELNS1_11target_archE942ELNS1_3gpuE9ELNS1_3repE0EEENS1_44radix_sort_block_sort_config_static_selectorELNS0_4arch9wavefront6targetE1EEEvSF_,"axG",@progbits,_ZN7rocprim17ROCPRIM_400000_NS6detail17trampoline_kernelINS0_13kernel_configILj256ELj4ELj4294967295EEENS1_37radix_sort_block_sort_config_selectorIalEEZNS1_21radix_sort_block_sortIS4_Lb0EPaS8_N6thrust23THRUST_200600_302600_NS10device_ptrIlEESC_NS0_19identity_decomposerEEE10hipError_tT1_T2_T3_T4_jRjT5_jjP12ihipStream_tbEUlT_E_NS1_11comp_targetILNS1_3genE5ELNS1_11target_archE942ELNS1_3gpuE9ELNS1_3repE0EEENS1_44radix_sort_block_sort_config_static_selectorELNS0_4arch9wavefront6targetE1EEEvSF_,comdat
.Lfunc_end461:
	.size	_ZN7rocprim17ROCPRIM_400000_NS6detail17trampoline_kernelINS0_13kernel_configILj256ELj4ELj4294967295EEENS1_37radix_sort_block_sort_config_selectorIalEEZNS1_21radix_sort_block_sortIS4_Lb0EPaS8_N6thrust23THRUST_200600_302600_NS10device_ptrIlEESC_NS0_19identity_decomposerEEE10hipError_tT1_T2_T3_T4_jRjT5_jjP12ihipStream_tbEUlT_E_NS1_11comp_targetILNS1_3genE5ELNS1_11target_archE942ELNS1_3gpuE9ELNS1_3repE0EEENS1_44radix_sort_block_sort_config_static_selectorELNS0_4arch9wavefront6targetE1EEEvSF_, .Lfunc_end461-_ZN7rocprim17ROCPRIM_400000_NS6detail17trampoline_kernelINS0_13kernel_configILj256ELj4ELj4294967295EEENS1_37radix_sort_block_sort_config_selectorIalEEZNS1_21radix_sort_block_sortIS4_Lb0EPaS8_N6thrust23THRUST_200600_302600_NS10device_ptrIlEESC_NS0_19identity_decomposerEEE10hipError_tT1_T2_T3_T4_jRjT5_jjP12ihipStream_tbEUlT_E_NS1_11comp_targetILNS1_3genE5ELNS1_11target_archE942ELNS1_3gpuE9ELNS1_3repE0EEENS1_44radix_sort_block_sort_config_static_selectorELNS0_4arch9wavefront6targetE1EEEvSF_
                                        ; -- End function
	.set _ZN7rocprim17ROCPRIM_400000_NS6detail17trampoline_kernelINS0_13kernel_configILj256ELj4ELj4294967295EEENS1_37radix_sort_block_sort_config_selectorIalEEZNS1_21radix_sort_block_sortIS4_Lb0EPaS8_N6thrust23THRUST_200600_302600_NS10device_ptrIlEESC_NS0_19identity_decomposerEEE10hipError_tT1_T2_T3_T4_jRjT5_jjP12ihipStream_tbEUlT_E_NS1_11comp_targetILNS1_3genE5ELNS1_11target_archE942ELNS1_3gpuE9ELNS1_3repE0EEENS1_44radix_sort_block_sort_config_static_selectorELNS0_4arch9wavefront6targetE1EEEvSF_.num_vgpr, 0
	.set _ZN7rocprim17ROCPRIM_400000_NS6detail17trampoline_kernelINS0_13kernel_configILj256ELj4ELj4294967295EEENS1_37radix_sort_block_sort_config_selectorIalEEZNS1_21radix_sort_block_sortIS4_Lb0EPaS8_N6thrust23THRUST_200600_302600_NS10device_ptrIlEESC_NS0_19identity_decomposerEEE10hipError_tT1_T2_T3_T4_jRjT5_jjP12ihipStream_tbEUlT_E_NS1_11comp_targetILNS1_3genE5ELNS1_11target_archE942ELNS1_3gpuE9ELNS1_3repE0EEENS1_44radix_sort_block_sort_config_static_selectorELNS0_4arch9wavefront6targetE1EEEvSF_.num_agpr, 0
	.set _ZN7rocprim17ROCPRIM_400000_NS6detail17trampoline_kernelINS0_13kernel_configILj256ELj4ELj4294967295EEENS1_37radix_sort_block_sort_config_selectorIalEEZNS1_21radix_sort_block_sortIS4_Lb0EPaS8_N6thrust23THRUST_200600_302600_NS10device_ptrIlEESC_NS0_19identity_decomposerEEE10hipError_tT1_T2_T3_T4_jRjT5_jjP12ihipStream_tbEUlT_E_NS1_11comp_targetILNS1_3genE5ELNS1_11target_archE942ELNS1_3gpuE9ELNS1_3repE0EEENS1_44radix_sort_block_sort_config_static_selectorELNS0_4arch9wavefront6targetE1EEEvSF_.numbered_sgpr, 0
	.set _ZN7rocprim17ROCPRIM_400000_NS6detail17trampoline_kernelINS0_13kernel_configILj256ELj4ELj4294967295EEENS1_37radix_sort_block_sort_config_selectorIalEEZNS1_21radix_sort_block_sortIS4_Lb0EPaS8_N6thrust23THRUST_200600_302600_NS10device_ptrIlEESC_NS0_19identity_decomposerEEE10hipError_tT1_T2_T3_T4_jRjT5_jjP12ihipStream_tbEUlT_E_NS1_11comp_targetILNS1_3genE5ELNS1_11target_archE942ELNS1_3gpuE9ELNS1_3repE0EEENS1_44radix_sort_block_sort_config_static_selectorELNS0_4arch9wavefront6targetE1EEEvSF_.num_named_barrier, 0
	.set _ZN7rocprim17ROCPRIM_400000_NS6detail17trampoline_kernelINS0_13kernel_configILj256ELj4ELj4294967295EEENS1_37radix_sort_block_sort_config_selectorIalEEZNS1_21radix_sort_block_sortIS4_Lb0EPaS8_N6thrust23THRUST_200600_302600_NS10device_ptrIlEESC_NS0_19identity_decomposerEEE10hipError_tT1_T2_T3_T4_jRjT5_jjP12ihipStream_tbEUlT_E_NS1_11comp_targetILNS1_3genE5ELNS1_11target_archE942ELNS1_3gpuE9ELNS1_3repE0EEENS1_44radix_sort_block_sort_config_static_selectorELNS0_4arch9wavefront6targetE1EEEvSF_.private_seg_size, 0
	.set _ZN7rocprim17ROCPRIM_400000_NS6detail17trampoline_kernelINS0_13kernel_configILj256ELj4ELj4294967295EEENS1_37radix_sort_block_sort_config_selectorIalEEZNS1_21radix_sort_block_sortIS4_Lb0EPaS8_N6thrust23THRUST_200600_302600_NS10device_ptrIlEESC_NS0_19identity_decomposerEEE10hipError_tT1_T2_T3_T4_jRjT5_jjP12ihipStream_tbEUlT_E_NS1_11comp_targetILNS1_3genE5ELNS1_11target_archE942ELNS1_3gpuE9ELNS1_3repE0EEENS1_44radix_sort_block_sort_config_static_selectorELNS0_4arch9wavefront6targetE1EEEvSF_.uses_vcc, 0
	.set _ZN7rocprim17ROCPRIM_400000_NS6detail17trampoline_kernelINS0_13kernel_configILj256ELj4ELj4294967295EEENS1_37radix_sort_block_sort_config_selectorIalEEZNS1_21radix_sort_block_sortIS4_Lb0EPaS8_N6thrust23THRUST_200600_302600_NS10device_ptrIlEESC_NS0_19identity_decomposerEEE10hipError_tT1_T2_T3_T4_jRjT5_jjP12ihipStream_tbEUlT_E_NS1_11comp_targetILNS1_3genE5ELNS1_11target_archE942ELNS1_3gpuE9ELNS1_3repE0EEENS1_44radix_sort_block_sort_config_static_selectorELNS0_4arch9wavefront6targetE1EEEvSF_.uses_flat_scratch, 0
	.set _ZN7rocprim17ROCPRIM_400000_NS6detail17trampoline_kernelINS0_13kernel_configILj256ELj4ELj4294967295EEENS1_37radix_sort_block_sort_config_selectorIalEEZNS1_21radix_sort_block_sortIS4_Lb0EPaS8_N6thrust23THRUST_200600_302600_NS10device_ptrIlEESC_NS0_19identity_decomposerEEE10hipError_tT1_T2_T3_T4_jRjT5_jjP12ihipStream_tbEUlT_E_NS1_11comp_targetILNS1_3genE5ELNS1_11target_archE942ELNS1_3gpuE9ELNS1_3repE0EEENS1_44radix_sort_block_sort_config_static_selectorELNS0_4arch9wavefront6targetE1EEEvSF_.has_dyn_sized_stack, 0
	.set _ZN7rocprim17ROCPRIM_400000_NS6detail17trampoline_kernelINS0_13kernel_configILj256ELj4ELj4294967295EEENS1_37radix_sort_block_sort_config_selectorIalEEZNS1_21radix_sort_block_sortIS4_Lb0EPaS8_N6thrust23THRUST_200600_302600_NS10device_ptrIlEESC_NS0_19identity_decomposerEEE10hipError_tT1_T2_T3_T4_jRjT5_jjP12ihipStream_tbEUlT_E_NS1_11comp_targetILNS1_3genE5ELNS1_11target_archE942ELNS1_3gpuE9ELNS1_3repE0EEENS1_44radix_sort_block_sort_config_static_selectorELNS0_4arch9wavefront6targetE1EEEvSF_.has_recursion, 0
	.set _ZN7rocprim17ROCPRIM_400000_NS6detail17trampoline_kernelINS0_13kernel_configILj256ELj4ELj4294967295EEENS1_37radix_sort_block_sort_config_selectorIalEEZNS1_21radix_sort_block_sortIS4_Lb0EPaS8_N6thrust23THRUST_200600_302600_NS10device_ptrIlEESC_NS0_19identity_decomposerEEE10hipError_tT1_T2_T3_T4_jRjT5_jjP12ihipStream_tbEUlT_E_NS1_11comp_targetILNS1_3genE5ELNS1_11target_archE942ELNS1_3gpuE9ELNS1_3repE0EEENS1_44radix_sort_block_sort_config_static_selectorELNS0_4arch9wavefront6targetE1EEEvSF_.has_indirect_call, 0
	.section	.AMDGPU.csdata,"",@progbits
; Kernel info:
; codeLenInByte = 0
; TotalNumSgprs: 4
; NumVgprs: 0
; ScratchSize: 0
; MemoryBound: 0
; FloatMode: 240
; IeeeMode: 1
; LDSByteSize: 0 bytes/workgroup (compile time only)
; SGPRBlocks: 0
; VGPRBlocks: 0
; NumSGPRsForWavesPerEU: 4
; NumVGPRsForWavesPerEU: 1
; Occupancy: 10
; WaveLimiterHint : 0
; COMPUTE_PGM_RSRC2:SCRATCH_EN: 0
; COMPUTE_PGM_RSRC2:USER_SGPR: 6
; COMPUTE_PGM_RSRC2:TRAP_HANDLER: 0
; COMPUTE_PGM_RSRC2:TGID_X_EN: 1
; COMPUTE_PGM_RSRC2:TGID_Y_EN: 0
; COMPUTE_PGM_RSRC2:TGID_Z_EN: 0
; COMPUTE_PGM_RSRC2:TIDIG_COMP_CNT: 0
	.section	.text._ZN7rocprim17ROCPRIM_400000_NS6detail17trampoline_kernelINS0_13kernel_configILj256ELj4ELj4294967295EEENS1_37radix_sort_block_sort_config_selectorIalEEZNS1_21radix_sort_block_sortIS4_Lb0EPaS8_N6thrust23THRUST_200600_302600_NS10device_ptrIlEESC_NS0_19identity_decomposerEEE10hipError_tT1_T2_T3_T4_jRjT5_jjP12ihipStream_tbEUlT_E_NS1_11comp_targetILNS1_3genE4ELNS1_11target_archE910ELNS1_3gpuE8ELNS1_3repE0EEENS1_44radix_sort_block_sort_config_static_selectorELNS0_4arch9wavefront6targetE1EEEvSF_,"axG",@progbits,_ZN7rocprim17ROCPRIM_400000_NS6detail17trampoline_kernelINS0_13kernel_configILj256ELj4ELj4294967295EEENS1_37radix_sort_block_sort_config_selectorIalEEZNS1_21radix_sort_block_sortIS4_Lb0EPaS8_N6thrust23THRUST_200600_302600_NS10device_ptrIlEESC_NS0_19identity_decomposerEEE10hipError_tT1_T2_T3_T4_jRjT5_jjP12ihipStream_tbEUlT_E_NS1_11comp_targetILNS1_3genE4ELNS1_11target_archE910ELNS1_3gpuE8ELNS1_3repE0EEENS1_44radix_sort_block_sort_config_static_selectorELNS0_4arch9wavefront6targetE1EEEvSF_,comdat
	.protected	_ZN7rocprim17ROCPRIM_400000_NS6detail17trampoline_kernelINS0_13kernel_configILj256ELj4ELj4294967295EEENS1_37radix_sort_block_sort_config_selectorIalEEZNS1_21radix_sort_block_sortIS4_Lb0EPaS8_N6thrust23THRUST_200600_302600_NS10device_ptrIlEESC_NS0_19identity_decomposerEEE10hipError_tT1_T2_T3_T4_jRjT5_jjP12ihipStream_tbEUlT_E_NS1_11comp_targetILNS1_3genE4ELNS1_11target_archE910ELNS1_3gpuE8ELNS1_3repE0EEENS1_44radix_sort_block_sort_config_static_selectorELNS0_4arch9wavefront6targetE1EEEvSF_ ; -- Begin function _ZN7rocprim17ROCPRIM_400000_NS6detail17trampoline_kernelINS0_13kernel_configILj256ELj4ELj4294967295EEENS1_37radix_sort_block_sort_config_selectorIalEEZNS1_21radix_sort_block_sortIS4_Lb0EPaS8_N6thrust23THRUST_200600_302600_NS10device_ptrIlEESC_NS0_19identity_decomposerEEE10hipError_tT1_T2_T3_T4_jRjT5_jjP12ihipStream_tbEUlT_E_NS1_11comp_targetILNS1_3genE4ELNS1_11target_archE910ELNS1_3gpuE8ELNS1_3repE0EEENS1_44radix_sort_block_sort_config_static_selectorELNS0_4arch9wavefront6targetE1EEEvSF_
	.globl	_ZN7rocprim17ROCPRIM_400000_NS6detail17trampoline_kernelINS0_13kernel_configILj256ELj4ELj4294967295EEENS1_37radix_sort_block_sort_config_selectorIalEEZNS1_21radix_sort_block_sortIS4_Lb0EPaS8_N6thrust23THRUST_200600_302600_NS10device_ptrIlEESC_NS0_19identity_decomposerEEE10hipError_tT1_T2_T3_T4_jRjT5_jjP12ihipStream_tbEUlT_E_NS1_11comp_targetILNS1_3genE4ELNS1_11target_archE910ELNS1_3gpuE8ELNS1_3repE0EEENS1_44radix_sort_block_sort_config_static_selectorELNS0_4arch9wavefront6targetE1EEEvSF_
	.p2align	8
	.type	_ZN7rocprim17ROCPRIM_400000_NS6detail17trampoline_kernelINS0_13kernel_configILj256ELj4ELj4294967295EEENS1_37radix_sort_block_sort_config_selectorIalEEZNS1_21radix_sort_block_sortIS4_Lb0EPaS8_N6thrust23THRUST_200600_302600_NS10device_ptrIlEESC_NS0_19identity_decomposerEEE10hipError_tT1_T2_T3_T4_jRjT5_jjP12ihipStream_tbEUlT_E_NS1_11comp_targetILNS1_3genE4ELNS1_11target_archE910ELNS1_3gpuE8ELNS1_3repE0EEENS1_44radix_sort_block_sort_config_static_selectorELNS0_4arch9wavefront6targetE1EEEvSF_,@function
_ZN7rocprim17ROCPRIM_400000_NS6detail17trampoline_kernelINS0_13kernel_configILj256ELj4ELj4294967295EEENS1_37radix_sort_block_sort_config_selectorIalEEZNS1_21radix_sort_block_sortIS4_Lb0EPaS8_N6thrust23THRUST_200600_302600_NS10device_ptrIlEESC_NS0_19identity_decomposerEEE10hipError_tT1_T2_T3_T4_jRjT5_jjP12ihipStream_tbEUlT_E_NS1_11comp_targetILNS1_3genE4ELNS1_11target_archE910ELNS1_3gpuE8ELNS1_3repE0EEENS1_44radix_sort_block_sort_config_static_selectorELNS0_4arch9wavefront6targetE1EEEvSF_: ; @_ZN7rocprim17ROCPRIM_400000_NS6detail17trampoline_kernelINS0_13kernel_configILj256ELj4ELj4294967295EEENS1_37radix_sort_block_sort_config_selectorIalEEZNS1_21radix_sort_block_sortIS4_Lb0EPaS8_N6thrust23THRUST_200600_302600_NS10device_ptrIlEESC_NS0_19identity_decomposerEEE10hipError_tT1_T2_T3_T4_jRjT5_jjP12ihipStream_tbEUlT_E_NS1_11comp_targetILNS1_3genE4ELNS1_11target_archE910ELNS1_3gpuE8ELNS1_3repE0EEENS1_44radix_sort_block_sort_config_static_selectorELNS0_4arch9wavefront6targetE1EEEvSF_
; %bb.0:
	.section	.rodata,"a",@progbits
	.p2align	6, 0x0
	.amdhsa_kernel _ZN7rocprim17ROCPRIM_400000_NS6detail17trampoline_kernelINS0_13kernel_configILj256ELj4ELj4294967295EEENS1_37radix_sort_block_sort_config_selectorIalEEZNS1_21radix_sort_block_sortIS4_Lb0EPaS8_N6thrust23THRUST_200600_302600_NS10device_ptrIlEESC_NS0_19identity_decomposerEEE10hipError_tT1_T2_T3_T4_jRjT5_jjP12ihipStream_tbEUlT_E_NS1_11comp_targetILNS1_3genE4ELNS1_11target_archE910ELNS1_3gpuE8ELNS1_3repE0EEENS1_44radix_sort_block_sort_config_static_selectorELNS0_4arch9wavefront6targetE1EEEvSF_
		.amdhsa_group_segment_fixed_size 0
		.amdhsa_private_segment_fixed_size 0
		.amdhsa_kernarg_size 48
		.amdhsa_user_sgpr_count 6
		.amdhsa_user_sgpr_private_segment_buffer 1
		.amdhsa_user_sgpr_dispatch_ptr 0
		.amdhsa_user_sgpr_queue_ptr 0
		.amdhsa_user_sgpr_kernarg_segment_ptr 1
		.amdhsa_user_sgpr_dispatch_id 0
		.amdhsa_user_sgpr_flat_scratch_init 0
		.amdhsa_user_sgpr_private_segment_size 0
		.amdhsa_uses_dynamic_stack 0
		.amdhsa_system_sgpr_private_segment_wavefront_offset 0
		.amdhsa_system_sgpr_workgroup_id_x 1
		.amdhsa_system_sgpr_workgroup_id_y 0
		.amdhsa_system_sgpr_workgroup_id_z 0
		.amdhsa_system_sgpr_workgroup_info 0
		.amdhsa_system_vgpr_workitem_id 0
		.amdhsa_next_free_vgpr 1
		.amdhsa_next_free_sgpr 0
		.amdhsa_reserve_vcc 0
		.amdhsa_reserve_flat_scratch 0
		.amdhsa_float_round_mode_32 0
		.amdhsa_float_round_mode_16_64 0
		.amdhsa_float_denorm_mode_32 3
		.amdhsa_float_denorm_mode_16_64 3
		.amdhsa_dx10_clamp 1
		.amdhsa_ieee_mode 1
		.amdhsa_fp16_overflow 0
		.amdhsa_exception_fp_ieee_invalid_op 0
		.amdhsa_exception_fp_denorm_src 0
		.amdhsa_exception_fp_ieee_div_zero 0
		.amdhsa_exception_fp_ieee_overflow 0
		.amdhsa_exception_fp_ieee_underflow 0
		.amdhsa_exception_fp_ieee_inexact 0
		.amdhsa_exception_int_div_zero 0
	.end_amdhsa_kernel
	.section	.text._ZN7rocprim17ROCPRIM_400000_NS6detail17trampoline_kernelINS0_13kernel_configILj256ELj4ELj4294967295EEENS1_37radix_sort_block_sort_config_selectorIalEEZNS1_21radix_sort_block_sortIS4_Lb0EPaS8_N6thrust23THRUST_200600_302600_NS10device_ptrIlEESC_NS0_19identity_decomposerEEE10hipError_tT1_T2_T3_T4_jRjT5_jjP12ihipStream_tbEUlT_E_NS1_11comp_targetILNS1_3genE4ELNS1_11target_archE910ELNS1_3gpuE8ELNS1_3repE0EEENS1_44radix_sort_block_sort_config_static_selectorELNS0_4arch9wavefront6targetE1EEEvSF_,"axG",@progbits,_ZN7rocprim17ROCPRIM_400000_NS6detail17trampoline_kernelINS0_13kernel_configILj256ELj4ELj4294967295EEENS1_37radix_sort_block_sort_config_selectorIalEEZNS1_21radix_sort_block_sortIS4_Lb0EPaS8_N6thrust23THRUST_200600_302600_NS10device_ptrIlEESC_NS0_19identity_decomposerEEE10hipError_tT1_T2_T3_T4_jRjT5_jjP12ihipStream_tbEUlT_E_NS1_11comp_targetILNS1_3genE4ELNS1_11target_archE910ELNS1_3gpuE8ELNS1_3repE0EEENS1_44radix_sort_block_sort_config_static_selectorELNS0_4arch9wavefront6targetE1EEEvSF_,comdat
.Lfunc_end462:
	.size	_ZN7rocprim17ROCPRIM_400000_NS6detail17trampoline_kernelINS0_13kernel_configILj256ELj4ELj4294967295EEENS1_37radix_sort_block_sort_config_selectorIalEEZNS1_21radix_sort_block_sortIS4_Lb0EPaS8_N6thrust23THRUST_200600_302600_NS10device_ptrIlEESC_NS0_19identity_decomposerEEE10hipError_tT1_T2_T3_T4_jRjT5_jjP12ihipStream_tbEUlT_E_NS1_11comp_targetILNS1_3genE4ELNS1_11target_archE910ELNS1_3gpuE8ELNS1_3repE0EEENS1_44radix_sort_block_sort_config_static_selectorELNS0_4arch9wavefront6targetE1EEEvSF_, .Lfunc_end462-_ZN7rocprim17ROCPRIM_400000_NS6detail17trampoline_kernelINS0_13kernel_configILj256ELj4ELj4294967295EEENS1_37radix_sort_block_sort_config_selectorIalEEZNS1_21radix_sort_block_sortIS4_Lb0EPaS8_N6thrust23THRUST_200600_302600_NS10device_ptrIlEESC_NS0_19identity_decomposerEEE10hipError_tT1_T2_T3_T4_jRjT5_jjP12ihipStream_tbEUlT_E_NS1_11comp_targetILNS1_3genE4ELNS1_11target_archE910ELNS1_3gpuE8ELNS1_3repE0EEENS1_44radix_sort_block_sort_config_static_selectorELNS0_4arch9wavefront6targetE1EEEvSF_
                                        ; -- End function
	.set _ZN7rocprim17ROCPRIM_400000_NS6detail17trampoline_kernelINS0_13kernel_configILj256ELj4ELj4294967295EEENS1_37radix_sort_block_sort_config_selectorIalEEZNS1_21radix_sort_block_sortIS4_Lb0EPaS8_N6thrust23THRUST_200600_302600_NS10device_ptrIlEESC_NS0_19identity_decomposerEEE10hipError_tT1_T2_T3_T4_jRjT5_jjP12ihipStream_tbEUlT_E_NS1_11comp_targetILNS1_3genE4ELNS1_11target_archE910ELNS1_3gpuE8ELNS1_3repE0EEENS1_44radix_sort_block_sort_config_static_selectorELNS0_4arch9wavefront6targetE1EEEvSF_.num_vgpr, 0
	.set _ZN7rocprim17ROCPRIM_400000_NS6detail17trampoline_kernelINS0_13kernel_configILj256ELj4ELj4294967295EEENS1_37radix_sort_block_sort_config_selectorIalEEZNS1_21radix_sort_block_sortIS4_Lb0EPaS8_N6thrust23THRUST_200600_302600_NS10device_ptrIlEESC_NS0_19identity_decomposerEEE10hipError_tT1_T2_T3_T4_jRjT5_jjP12ihipStream_tbEUlT_E_NS1_11comp_targetILNS1_3genE4ELNS1_11target_archE910ELNS1_3gpuE8ELNS1_3repE0EEENS1_44radix_sort_block_sort_config_static_selectorELNS0_4arch9wavefront6targetE1EEEvSF_.num_agpr, 0
	.set _ZN7rocprim17ROCPRIM_400000_NS6detail17trampoline_kernelINS0_13kernel_configILj256ELj4ELj4294967295EEENS1_37radix_sort_block_sort_config_selectorIalEEZNS1_21radix_sort_block_sortIS4_Lb0EPaS8_N6thrust23THRUST_200600_302600_NS10device_ptrIlEESC_NS0_19identity_decomposerEEE10hipError_tT1_T2_T3_T4_jRjT5_jjP12ihipStream_tbEUlT_E_NS1_11comp_targetILNS1_3genE4ELNS1_11target_archE910ELNS1_3gpuE8ELNS1_3repE0EEENS1_44radix_sort_block_sort_config_static_selectorELNS0_4arch9wavefront6targetE1EEEvSF_.numbered_sgpr, 0
	.set _ZN7rocprim17ROCPRIM_400000_NS6detail17trampoline_kernelINS0_13kernel_configILj256ELj4ELj4294967295EEENS1_37radix_sort_block_sort_config_selectorIalEEZNS1_21radix_sort_block_sortIS4_Lb0EPaS8_N6thrust23THRUST_200600_302600_NS10device_ptrIlEESC_NS0_19identity_decomposerEEE10hipError_tT1_T2_T3_T4_jRjT5_jjP12ihipStream_tbEUlT_E_NS1_11comp_targetILNS1_3genE4ELNS1_11target_archE910ELNS1_3gpuE8ELNS1_3repE0EEENS1_44radix_sort_block_sort_config_static_selectorELNS0_4arch9wavefront6targetE1EEEvSF_.num_named_barrier, 0
	.set _ZN7rocprim17ROCPRIM_400000_NS6detail17trampoline_kernelINS0_13kernel_configILj256ELj4ELj4294967295EEENS1_37radix_sort_block_sort_config_selectorIalEEZNS1_21radix_sort_block_sortIS4_Lb0EPaS8_N6thrust23THRUST_200600_302600_NS10device_ptrIlEESC_NS0_19identity_decomposerEEE10hipError_tT1_T2_T3_T4_jRjT5_jjP12ihipStream_tbEUlT_E_NS1_11comp_targetILNS1_3genE4ELNS1_11target_archE910ELNS1_3gpuE8ELNS1_3repE0EEENS1_44radix_sort_block_sort_config_static_selectorELNS0_4arch9wavefront6targetE1EEEvSF_.private_seg_size, 0
	.set _ZN7rocprim17ROCPRIM_400000_NS6detail17trampoline_kernelINS0_13kernel_configILj256ELj4ELj4294967295EEENS1_37radix_sort_block_sort_config_selectorIalEEZNS1_21radix_sort_block_sortIS4_Lb0EPaS8_N6thrust23THRUST_200600_302600_NS10device_ptrIlEESC_NS0_19identity_decomposerEEE10hipError_tT1_T2_T3_T4_jRjT5_jjP12ihipStream_tbEUlT_E_NS1_11comp_targetILNS1_3genE4ELNS1_11target_archE910ELNS1_3gpuE8ELNS1_3repE0EEENS1_44radix_sort_block_sort_config_static_selectorELNS0_4arch9wavefront6targetE1EEEvSF_.uses_vcc, 0
	.set _ZN7rocprim17ROCPRIM_400000_NS6detail17trampoline_kernelINS0_13kernel_configILj256ELj4ELj4294967295EEENS1_37radix_sort_block_sort_config_selectorIalEEZNS1_21radix_sort_block_sortIS4_Lb0EPaS8_N6thrust23THRUST_200600_302600_NS10device_ptrIlEESC_NS0_19identity_decomposerEEE10hipError_tT1_T2_T3_T4_jRjT5_jjP12ihipStream_tbEUlT_E_NS1_11comp_targetILNS1_3genE4ELNS1_11target_archE910ELNS1_3gpuE8ELNS1_3repE0EEENS1_44radix_sort_block_sort_config_static_selectorELNS0_4arch9wavefront6targetE1EEEvSF_.uses_flat_scratch, 0
	.set _ZN7rocprim17ROCPRIM_400000_NS6detail17trampoline_kernelINS0_13kernel_configILj256ELj4ELj4294967295EEENS1_37radix_sort_block_sort_config_selectorIalEEZNS1_21radix_sort_block_sortIS4_Lb0EPaS8_N6thrust23THRUST_200600_302600_NS10device_ptrIlEESC_NS0_19identity_decomposerEEE10hipError_tT1_T2_T3_T4_jRjT5_jjP12ihipStream_tbEUlT_E_NS1_11comp_targetILNS1_3genE4ELNS1_11target_archE910ELNS1_3gpuE8ELNS1_3repE0EEENS1_44radix_sort_block_sort_config_static_selectorELNS0_4arch9wavefront6targetE1EEEvSF_.has_dyn_sized_stack, 0
	.set _ZN7rocprim17ROCPRIM_400000_NS6detail17trampoline_kernelINS0_13kernel_configILj256ELj4ELj4294967295EEENS1_37radix_sort_block_sort_config_selectorIalEEZNS1_21radix_sort_block_sortIS4_Lb0EPaS8_N6thrust23THRUST_200600_302600_NS10device_ptrIlEESC_NS0_19identity_decomposerEEE10hipError_tT1_T2_T3_T4_jRjT5_jjP12ihipStream_tbEUlT_E_NS1_11comp_targetILNS1_3genE4ELNS1_11target_archE910ELNS1_3gpuE8ELNS1_3repE0EEENS1_44radix_sort_block_sort_config_static_selectorELNS0_4arch9wavefront6targetE1EEEvSF_.has_recursion, 0
	.set _ZN7rocprim17ROCPRIM_400000_NS6detail17trampoline_kernelINS0_13kernel_configILj256ELj4ELj4294967295EEENS1_37radix_sort_block_sort_config_selectorIalEEZNS1_21radix_sort_block_sortIS4_Lb0EPaS8_N6thrust23THRUST_200600_302600_NS10device_ptrIlEESC_NS0_19identity_decomposerEEE10hipError_tT1_T2_T3_T4_jRjT5_jjP12ihipStream_tbEUlT_E_NS1_11comp_targetILNS1_3genE4ELNS1_11target_archE910ELNS1_3gpuE8ELNS1_3repE0EEENS1_44radix_sort_block_sort_config_static_selectorELNS0_4arch9wavefront6targetE1EEEvSF_.has_indirect_call, 0
	.section	.AMDGPU.csdata,"",@progbits
; Kernel info:
; codeLenInByte = 0
; TotalNumSgprs: 4
; NumVgprs: 0
; ScratchSize: 0
; MemoryBound: 0
; FloatMode: 240
; IeeeMode: 1
; LDSByteSize: 0 bytes/workgroup (compile time only)
; SGPRBlocks: 0
; VGPRBlocks: 0
; NumSGPRsForWavesPerEU: 4
; NumVGPRsForWavesPerEU: 1
; Occupancy: 10
; WaveLimiterHint : 0
; COMPUTE_PGM_RSRC2:SCRATCH_EN: 0
; COMPUTE_PGM_RSRC2:USER_SGPR: 6
; COMPUTE_PGM_RSRC2:TRAP_HANDLER: 0
; COMPUTE_PGM_RSRC2:TGID_X_EN: 1
; COMPUTE_PGM_RSRC2:TGID_Y_EN: 0
; COMPUTE_PGM_RSRC2:TGID_Z_EN: 0
; COMPUTE_PGM_RSRC2:TIDIG_COMP_CNT: 0
	.section	.text._ZN7rocprim17ROCPRIM_400000_NS6detail17trampoline_kernelINS0_13kernel_configILj256ELj4ELj4294967295EEENS1_37radix_sort_block_sort_config_selectorIalEEZNS1_21radix_sort_block_sortIS4_Lb0EPaS8_N6thrust23THRUST_200600_302600_NS10device_ptrIlEESC_NS0_19identity_decomposerEEE10hipError_tT1_T2_T3_T4_jRjT5_jjP12ihipStream_tbEUlT_E_NS1_11comp_targetILNS1_3genE3ELNS1_11target_archE908ELNS1_3gpuE7ELNS1_3repE0EEENS1_44radix_sort_block_sort_config_static_selectorELNS0_4arch9wavefront6targetE1EEEvSF_,"axG",@progbits,_ZN7rocprim17ROCPRIM_400000_NS6detail17trampoline_kernelINS0_13kernel_configILj256ELj4ELj4294967295EEENS1_37radix_sort_block_sort_config_selectorIalEEZNS1_21radix_sort_block_sortIS4_Lb0EPaS8_N6thrust23THRUST_200600_302600_NS10device_ptrIlEESC_NS0_19identity_decomposerEEE10hipError_tT1_T2_T3_T4_jRjT5_jjP12ihipStream_tbEUlT_E_NS1_11comp_targetILNS1_3genE3ELNS1_11target_archE908ELNS1_3gpuE7ELNS1_3repE0EEENS1_44radix_sort_block_sort_config_static_selectorELNS0_4arch9wavefront6targetE1EEEvSF_,comdat
	.protected	_ZN7rocprim17ROCPRIM_400000_NS6detail17trampoline_kernelINS0_13kernel_configILj256ELj4ELj4294967295EEENS1_37radix_sort_block_sort_config_selectorIalEEZNS1_21radix_sort_block_sortIS4_Lb0EPaS8_N6thrust23THRUST_200600_302600_NS10device_ptrIlEESC_NS0_19identity_decomposerEEE10hipError_tT1_T2_T3_T4_jRjT5_jjP12ihipStream_tbEUlT_E_NS1_11comp_targetILNS1_3genE3ELNS1_11target_archE908ELNS1_3gpuE7ELNS1_3repE0EEENS1_44radix_sort_block_sort_config_static_selectorELNS0_4arch9wavefront6targetE1EEEvSF_ ; -- Begin function _ZN7rocprim17ROCPRIM_400000_NS6detail17trampoline_kernelINS0_13kernel_configILj256ELj4ELj4294967295EEENS1_37radix_sort_block_sort_config_selectorIalEEZNS1_21radix_sort_block_sortIS4_Lb0EPaS8_N6thrust23THRUST_200600_302600_NS10device_ptrIlEESC_NS0_19identity_decomposerEEE10hipError_tT1_T2_T3_T4_jRjT5_jjP12ihipStream_tbEUlT_E_NS1_11comp_targetILNS1_3genE3ELNS1_11target_archE908ELNS1_3gpuE7ELNS1_3repE0EEENS1_44radix_sort_block_sort_config_static_selectorELNS0_4arch9wavefront6targetE1EEEvSF_
	.globl	_ZN7rocprim17ROCPRIM_400000_NS6detail17trampoline_kernelINS0_13kernel_configILj256ELj4ELj4294967295EEENS1_37radix_sort_block_sort_config_selectorIalEEZNS1_21radix_sort_block_sortIS4_Lb0EPaS8_N6thrust23THRUST_200600_302600_NS10device_ptrIlEESC_NS0_19identity_decomposerEEE10hipError_tT1_T2_T3_T4_jRjT5_jjP12ihipStream_tbEUlT_E_NS1_11comp_targetILNS1_3genE3ELNS1_11target_archE908ELNS1_3gpuE7ELNS1_3repE0EEENS1_44radix_sort_block_sort_config_static_selectorELNS0_4arch9wavefront6targetE1EEEvSF_
	.p2align	8
	.type	_ZN7rocprim17ROCPRIM_400000_NS6detail17trampoline_kernelINS0_13kernel_configILj256ELj4ELj4294967295EEENS1_37radix_sort_block_sort_config_selectorIalEEZNS1_21radix_sort_block_sortIS4_Lb0EPaS8_N6thrust23THRUST_200600_302600_NS10device_ptrIlEESC_NS0_19identity_decomposerEEE10hipError_tT1_T2_T3_T4_jRjT5_jjP12ihipStream_tbEUlT_E_NS1_11comp_targetILNS1_3genE3ELNS1_11target_archE908ELNS1_3gpuE7ELNS1_3repE0EEENS1_44radix_sort_block_sort_config_static_selectorELNS0_4arch9wavefront6targetE1EEEvSF_,@function
_ZN7rocprim17ROCPRIM_400000_NS6detail17trampoline_kernelINS0_13kernel_configILj256ELj4ELj4294967295EEENS1_37radix_sort_block_sort_config_selectorIalEEZNS1_21radix_sort_block_sortIS4_Lb0EPaS8_N6thrust23THRUST_200600_302600_NS10device_ptrIlEESC_NS0_19identity_decomposerEEE10hipError_tT1_T2_T3_T4_jRjT5_jjP12ihipStream_tbEUlT_E_NS1_11comp_targetILNS1_3genE3ELNS1_11target_archE908ELNS1_3gpuE7ELNS1_3repE0EEENS1_44radix_sort_block_sort_config_static_selectorELNS0_4arch9wavefront6targetE1EEEvSF_: ; @_ZN7rocprim17ROCPRIM_400000_NS6detail17trampoline_kernelINS0_13kernel_configILj256ELj4ELj4294967295EEENS1_37radix_sort_block_sort_config_selectorIalEEZNS1_21radix_sort_block_sortIS4_Lb0EPaS8_N6thrust23THRUST_200600_302600_NS10device_ptrIlEESC_NS0_19identity_decomposerEEE10hipError_tT1_T2_T3_T4_jRjT5_jjP12ihipStream_tbEUlT_E_NS1_11comp_targetILNS1_3genE3ELNS1_11target_archE908ELNS1_3gpuE7ELNS1_3repE0EEENS1_44radix_sort_block_sort_config_static_selectorELNS0_4arch9wavefront6targetE1EEEvSF_
; %bb.0:
	.section	.rodata,"a",@progbits
	.p2align	6, 0x0
	.amdhsa_kernel _ZN7rocprim17ROCPRIM_400000_NS6detail17trampoline_kernelINS0_13kernel_configILj256ELj4ELj4294967295EEENS1_37radix_sort_block_sort_config_selectorIalEEZNS1_21radix_sort_block_sortIS4_Lb0EPaS8_N6thrust23THRUST_200600_302600_NS10device_ptrIlEESC_NS0_19identity_decomposerEEE10hipError_tT1_T2_T3_T4_jRjT5_jjP12ihipStream_tbEUlT_E_NS1_11comp_targetILNS1_3genE3ELNS1_11target_archE908ELNS1_3gpuE7ELNS1_3repE0EEENS1_44radix_sort_block_sort_config_static_selectorELNS0_4arch9wavefront6targetE1EEEvSF_
		.amdhsa_group_segment_fixed_size 0
		.amdhsa_private_segment_fixed_size 0
		.amdhsa_kernarg_size 48
		.amdhsa_user_sgpr_count 6
		.amdhsa_user_sgpr_private_segment_buffer 1
		.amdhsa_user_sgpr_dispatch_ptr 0
		.amdhsa_user_sgpr_queue_ptr 0
		.amdhsa_user_sgpr_kernarg_segment_ptr 1
		.amdhsa_user_sgpr_dispatch_id 0
		.amdhsa_user_sgpr_flat_scratch_init 0
		.amdhsa_user_sgpr_private_segment_size 0
		.amdhsa_uses_dynamic_stack 0
		.amdhsa_system_sgpr_private_segment_wavefront_offset 0
		.amdhsa_system_sgpr_workgroup_id_x 1
		.amdhsa_system_sgpr_workgroup_id_y 0
		.amdhsa_system_sgpr_workgroup_id_z 0
		.amdhsa_system_sgpr_workgroup_info 0
		.amdhsa_system_vgpr_workitem_id 0
		.amdhsa_next_free_vgpr 1
		.amdhsa_next_free_sgpr 0
		.amdhsa_reserve_vcc 0
		.amdhsa_reserve_flat_scratch 0
		.amdhsa_float_round_mode_32 0
		.amdhsa_float_round_mode_16_64 0
		.amdhsa_float_denorm_mode_32 3
		.amdhsa_float_denorm_mode_16_64 3
		.amdhsa_dx10_clamp 1
		.amdhsa_ieee_mode 1
		.amdhsa_fp16_overflow 0
		.amdhsa_exception_fp_ieee_invalid_op 0
		.amdhsa_exception_fp_denorm_src 0
		.amdhsa_exception_fp_ieee_div_zero 0
		.amdhsa_exception_fp_ieee_overflow 0
		.amdhsa_exception_fp_ieee_underflow 0
		.amdhsa_exception_fp_ieee_inexact 0
		.amdhsa_exception_int_div_zero 0
	.end_amdhsa_kernel
	.section	.text._ZN7rocprim17ROCPRIM_400000_NS6detail17trampoline_kernelINS0_13kernel_configILj256ELj4ELj4294967295EEENS1_37radix_sort_block_sort_config_selectorIalEEZNS1_21radix_sort_block_sortIS4_Lb0EPaS8_N6thrust23THRUST_200600_302600_NS10device_ptrIlEESC_NS0_19identity_decomposerEEE10hipError_tT1_T2_T3_T4_jRjT5_jjP12ihipStream_tbEUlT_E_NS1_11comp_targetILNS1_3genE3ELNS1_11target_archE908ELNS1_3gpuE7ELNS1_3repE0EEENS1_44radix_sort_block_sort_config_static_selectorELNS0_4arch9wavefront6targetE1EEEvSF_,"axG",@progbits,_ZN7rocprim17ROCPRIM_400000_NS6detail17trampoline_kernelINS0_13kernel_configILj256ELj4ELj4294967295EEENS1_37radix_sort_block_sort_config_selectorIalEEZNS1_21radix_sort_block_sortIS4_Lb0EPaS8_N6thrust23THRUST_200600_302600_NS10device_ptrIlEESC_NS0_19identity_decomposerEEE10hipError_tT1_T2_T3_T4_jRjT5_jjP12ihipStream_tbEUlT_E_NS1_11comp_targetILNS1_3genE3ELNS1_11target_archE908ELNS1_3gpuE7ELNS1_3repE0EEENS1_44radix_sort_block_sort_config_static_selectorELNS0_4arch9wavefront6targetE1EEEvSF_,comdat
.Lfunc_end463:
	.size	_ZN7rocprim17ROCPRIM_400000_NS6detail17trampoline_kernelINS0_13kernel_configILj256ELj4ELj4294967295EEENS1_37radix_sort_block_sort_config_selectorIalEEZNS1_21radix_sort_block_sortIS4_Lb0EPaS8_N6thrust23THRUST_200600_302600_NS10device_ptrIlEESC_NS0_19identity_decomposerEEE10hipError_tT1_T2_T3_T4_jRjT5_jjP12ihipStream_tbEUlT_E_NS1_11comp_targetILNS1_3genE3ELNS1_11target_archE908ELNS1_3gpuE7ELNS1_3repE0EEENS1_44radix_sort_block_sort_config_static_selectorELNS0_4arch9wavefront6targetE1EEEvSF_, .Lfunc_end463-_ZN7rocprim17ROCPRIM_400000_NS6detail17trampoline_kernelINS0_13kernel_configILj256ELj4ELj4294967295EEENS1_37radix_sort_block_sort_config_selectorIalEEZNS1_21radix_sort_block_sortIS4_Lb0EPaS8_N6thrust23THRUST_200600_302600_NS10device_ptrIlEESC_NS0_19identity_decomposerEEE10hipError_tT1_T2_T3_T4_jRjT5_jjP12ihipStream_tbEUlT_E_NS1_11comp_targetILNS1_3genE3ELNS1_11target_archE908ELNS1_3gpuE7ELNS1_3repE0EEENS1_44radix_sort_block_sort_config_static_selectorELNS0_4arch9wavefront6targetE1EEEvSF_
                                        ; -- End function
	.set _ZN7rocprim17ROCPRIM_400000_NS6detail17trampoline_kernelINS0_13kernel_configILj256ELj4ELj4294967295EEENS1_37radix_sort_block_sort_config_selectorIalEEZNS1_21radix_sort_block_sortIS4_Lb0EPaS8_N6thrust23THRUST_200600_302600_NS10device_ptrIlEESC_NS0_19identity_decomposerEEE10hipError_tT1_T2_T3_T4_jRjT5_jjP12ihipStream_tbEUlT_E_NS1_11comp_targetILNS1_3genE3ELNS1_11target_archE908ELNS1_3gpuE7ELNS1_3repE0EEENS1_44radix_sort_block_sort_config_static_selectorELNS0_4arch9wavefront6targetE1EEEvSF_.num_vgpr, 0
	.set _ZN7rocprim17ROCPRIM_400000_NS6detail17trampoline_kernelINS0_13kernel_configILj256ELj4ELj4294967295EEENS1_37radix_sort_block_sort_config_selectorIalEEZNS1_21radix_sort_block_sortIS4_Lb0EPaS8_N6thrust23THRUST_200600_302600_NS10device_ptrIlEESC_NS0_19identity_decomposerEEE10hipError_tT1_T2_T3_T4_jRjT5_jjP12ihipStream_tbEUlT_E_NS1_11comp_targetILNS1_3genE3ELNS1_11target_archE908ELNS1_3gpuE7ELNS1_3repE0EEENS1_44radix_sort_block_sort_config_static_selectorELNS0_4arch9wavefront6targetE1EEEvSF_.num_agpr, 0
	.set _ZN7rocprim17ROCPRIM_400000_NS6detail17trampoline_kernelINS0_13kernel_configILj256ELj4ELj4294967295EEENS1_37radix_sort_block_sort_config_selectorIalEEZNS1_21radix_sort_block_sortIS4_Lb0EPaS8_N6thrust23THRUST_200600_302600_NS10device_ptrIlEESC_NS0_19identity_decomposerEEE10hipError_tT1_T2_T3_T4_jRjT5_jjP12ihipStream_tbEUlT_E_NS1_11comp_targetILNS1_3genE3ELNS1_11target_archE908ELNS1_3gpuE7ELNS1_3repE0EEENS1_44radix_sort_block_sort_config_static_selectorELNS0_4arch9wavefront6targetE1EEEvSF_.numbered_sgpr, 0
	.set _ZN7rocprim17ROCPRIM_400000_NS6detail17trampoline_kernelINS0_13kernel_configILj256ELj4ELj4294967295EEENS1_37radix_sort_block_sort_config_selectorIalEEZNS1_21radix_sort_block_sortIS4_Lb0EPaS8_N6thrust23THRUST_200600_302600_NS10device_ptrIlEESC_NS0_19identity_decomposerEEE10hipError_tT1_T2_T3_T4_jRjT5_jjP12ihipStream_tbEUlT_E_NS1_11comp_targetILNS1_3genE3ELNS1_11target_archE908ELNS1_3gpuE7ELNS1_3repE0EEENS1_44radix_sort_block_sort_config_static_selectorELNS0_4arch9wavefront6targetE1EEEvSF_.num_named_barrier, 0
	.set _ZN7rocprim17ROCPRIM_400000_NS6detail17trampoline_kernelINS0_13kernel_configILj256ELj4ELj4294967295EEENS1_37radix_sort_block_sort_config_selectorIalEEZNS1_21radix_sort_block_sortIS4_Lb0EPaS8_N6thrust23THRUST_200600_302600_NS10device_ptrIlEESC_NS0_19identity_decomposerEEE10hipError_tT1_T2_T3_T4_jRjT5_jjP12ihipStream_tbEUlT_E_NS1_11comp_targetILNS1_3genE3ELNS1_11target_archE908ELNS1_3gpuE7ELNS1_3repE0EEENS1_44radix_sort_block_sort_config_static_selectorELNS0_4arch9wavefront6targetE1EEEvSF_.private_seg_size, 0
	.set _ZN7rocprim17ROCPRIM_400000_NS6detail17trampoline_kernelINS0_13kernel_configILj256ELj4ELj4294967295EEENS1_37radix_sort_block_sort_config_selectorIalEEZNS1_21radix_sort_block_sortIS4_Lb0EPaS8_N6thrust23THRUST_200600_302600_NS10device_ptrIlEESC_NS0_19identity_decomposerEEE10hipError_tT1_T2_T3_T4_jRjT5_jjP12ihipStream_tbEUlT_E_NS1_11comp_targetILNS1_3genE3ELNS1_11target_archE908ELNS1_3gpuE7ELNS1_3repE0EEENS1_44radix_sort_block_sort_config_static_selectorELNS0_4arch9wavefront6targetE1EEEvSF_.uses_vcc, 0
	.set _ZN7rocprim17ROCPRIM_400000_NS6detail17trampoline_kernelINS0_13kernel_configILj256ELj4ELj4294967295EEENS1_37radix_sort_block_sort_config_selectorIalEEZNS1_21radix_sort_block_sortIS4_Lb0EPaS8_N6thrust23THRUST_200600_302600_NS10device_ptrIlEESC_NS0_19identity_decomposerEEE10hipError_tT1_T2_T3_T4_jRjT5_jjP12ihipStream_tbEUlT_E_NS1_11comp_targetILNS1_3genE3ELNS1_11target_archE908ELNS1_3gpuE7ELNS1_3repE0EEENS1_44radix_sort_block_sort_config_static_selectorELNS0_4arch9wavefront6targetE1EEEvSF_.uses_flat_scratch, 0
	.set _ZN7rocprim17ROCPRIM_400000_NS6detail17trampoline_kernelINS0_13kernel_configILj256ELj4ELj4294967295EEENS1_37radix_sort_block_sort_config_selectorIalEEZNS1_21radix_sort_block_sortIS4_Lb0EPaS8_N6thrust23THRUST_200600_302600_NS10device_ptrIlEESC_NS0_19identity_decomposerEEE10hipError_tT1_T2_T3_T4_jRjT5_jjP12ihipStream_tbEUlT_E_NS1_11comp_targetILNS1_3genE3ELNS1_11target_archE908ELNS1_3gpuE7ELNS1_3repE0EEENS1_44radix_sort_block_sort_config_static_selectorELNS0_4arch9wavefront6targetE1EEEvSF_.has_dyn_sized_stack, 0
	.set _ZN7rocprim17ROCPRIM_400000_NS6detail17trampoline_kernelINS0_13kernel_configILj256ELj4ELj4294967295EEENS1_37radix_sort_block_sort_config_selectorIalEEZNS1_21radix_sort_block_sortIS4_Lb0EPaS8_N6thrust23THRUST_200600_302600_NS10device_ptrIlEESC_NS0_19identity_decomposerEEE10hipError_tT1_T2_T3_T4_jRjT5_jjP12ihipStream_tbEUlT_E_NS1_11comp_targetILNS1_3genE3ELNS1_11target_archE908ELNS1_3gpuE7ELNS1_3repE0EEENS1_44radix_sort_block_sort_config_static_selectorELNS0_4arch9wavefront6targetE1EEEvSF_.has_recursion, 0
	.set _ZN7rocprim17ROCPRIM_400000_NS6detail17trampoline_kernelINS0_13kernel_configILj256ELj4ELj4294967295EEENS1_37radix_sort_block_sort_config_selectorIalEEZNS1_21radix_sort_block_sortIS4_Lb0EPaS8_N6thrust23THRUST_200600_302600_NS10device_ptrIlEESC_NS0_19identity_decomposerEEE10hipError_tT1_T2_T3_T4_jRjT5_jjP12ihipStream_tbEUlT_E_NS1_11comp_targetILNS1_3genE3ELNS1_11target_archE908ELNS1_3gpuE7ELNS1_3repE0EEENS1_44radix_sort_block_sort_config_static_selectorELNS0_4arch9wavefront6targetE1EEEvSF_.has_indirect_call, 0
	.section	.AMDGPU.csdata,"",@progbits
; Kernel info:
; codeLenInByte = 0
; TotalNumSgprs: 4
; NumVgprs: 0
; ScratchSize: 0
; MemoryBound: 0
; FloatMode: 240
; IeeeMode: 1
; LDSByteSize: 0 bytes/workgroup (compile time only)
; SGPRBlocks: 0
; VGPRBlocks: 0
; NumSGPRsForWavesPerEU: 4
; NumVGPRsForWavesPerEU: 1
; Occupancy: 10
; WaveLimiterHint : 0
; COMPUTE_PGM_RSRC2:SCRATCH_EN: 0
; COMPUTE_PGM_RSRC2:USER_SGPR: 6
; COMPUTE_PGM_RSRC2:TRAP_HANDLER: 0
; COMPUTE_PGM_RSRC2:TGID_X_EN: 1
; COMPUTE_PGM_RSRC2:TGID_Y_EN: 0
; COMPUTE_PGM_RSRC2:TGID_Z_EN: 0
; COMPUTE_PGM_RSRC2:TIDIG_COMP_CNT: 0
	.section	.text._ZN7rocprim17ROCPRIM_400000_NS6detail17trampoline_kernelINS0_13kernel_configILj256ELj4ELj4294967295EEENS1_37radix_sort_block_sort_config_selectorIalEEZNS1_21radix_sort_block_sortIS4_Lb0EPaS8_N6thrust23THRUST_200600_302600_NS10device_ptrIlEESC_NS0_19identity_decomposerEEE10hipError_tT1_T2_T3_T4_jRjT5_jjP12ihipStream_tbEUlT_E_NS1_11comp_targetILNS1_3genE2ELNS1_11target_archE906ELNS1_3gpuE6ELNS1_3repE0EEENS1_44radix_sort_block_sort_config_static_selectorELNS0_4arch9wavefront6targetE1EEEvSF_,"axG",@progbits,_ZN7rocprim17ROCPRIM_400000_NS6detail17trampoline_kernelINS0_13kernel_configILj256ELj4ELj4294967295EEENS1_37radix_sort_block_sort_config_selectorIalEEZNS1_21radix_sort_block_sortIS4_Lb0EPaS8_N6thrust23THRUST_200600_302600_NS10device_ptrIlEESC_NS0_19identity_decomposerEEE10hipError_tT1_T2_T3_T4_jRjT5_jjP12ihipStream_tbEUlT_E_NS1_11comp_targetILNS1_3genE2ELNS1_11target_archE906ELNS1_3gpuE6ELNS1_3repE0EEENS1_44radix_sort_block_sort_config_static_selectorELNS0_4arch9wavefront6targetE1EEEvSF_,comdat
	.protected	_ZN7rocprim17ROCPRIM_400000_NS6detail17trampoline_kernelINS0_13kernel_configILj256ELj4ELj4294967295EEENS1_37radix_sort_block_sort_config_selectorIalEEZNS1_21radix_sort_block_sortIS4_Lb0EPaS8_N6thrust23THRUST_200600_302600_NS10device_ptrIlEESC_NS0_19identity_decomposerEEE10hipError_tT1_T2_T3_T4_jRjT5_jjP12ihipStream_tbEUlT_E_NS1_11comp_targetILNS1_3genE2ELNS1_11target_archE906ELNS1_3gpuE6ELNS1_3repE0EEENS1_44radix_sort_block_sort_config_static_selectorELNS0_4arch9wavefront6targetE1EEEvSF_ ; -- Begin function _ZN7rocprim17ROCPRIM_400000_NS6detail17trampoline_kernelINS0_13kernel_configILj256ELj4ELj4294967295EEENS1_37radix_sort_block_sort_config_selectorIalEEZNS1_21radix_sort_block_sortIS4_Lb0EPaS8_N6thrust23THRUST_200600_302600_NS10device_ptrIlEESC_NS0_19identity_decomposerEEE10hipError_tT1_T2_T3_T4_jRjT5_jjP12ihipStream_tbEUlT_E_NS1_11comp_targetILNS1_3genE2ELNS1_11target_archE906ELNS1_3gpuE6ELNS1_3repE0EEENS1_44radix_sort_block_sort_config_static_selectorELNS0_4arch9wavefront6targetE1EEEvSF_
	.globl	_ZN7rocprim17ROCPRIM_400000_NS6detail17trampoline_kernelINS0_13kernel_configILj256ELj4ELj4294967295EEENS1_37radix_sort_block_sort_config_selectorIalEEZNS1_21radix_sort_block_sortIS4_Lb0EPaS8_N6thrust23THRUST_200600_302600_NS10device_ptrIlEESC_NS0_19identity_decomposerEEE10hipError_tT1_T2_T3_T4_jRjT5_jjP12ihipStream_tbEUlT_E_NS1_11comp_targetILNS1_3genE2ELNS1_11target_archE906ELNS1_3gpuE6ELNS1_3repE0EEENS1_44radix_sort_block_sort_config_static_selectorELNS0_4arch9wavefront6targetE1EEEvSF_
	.p2align	8
	.type	_ZN7rocprim17ROCPRIM_400000_NS6detail17trampoline_kernelINS0_13kernel_configILj256ELj4ELj4294967295EEENS1_37radix_sort_block_sort_config_selectorIalEEZNS1_21radix_sort_block_sortIS4_Lb0EPaS8_N6thrust23THRUST_200600_302600_NS10device_ptrIlEESC_NS0_19identity_decomposerEEE10hipError_tT1_T2_T3_T4_jRjT5_jjP12ihipStream_tbEUlT_E_NS1_11comp_targetILNS1_3genE2ELNS1_11target_archE906ELNS1_3gpuE6ELNS1_3repE0EEENS1_44radix_sort_block_sort_config_static_selectorELNS0_4arch9wavefront6targetE1EEEvSF_,@function
_ZN7rocprim17ROCPRIM_400000_NS6detail17trampoline_kernelINS0_13kernel_configILj256ELj4ELj4294967295EEENS1_37radix_sort_block_sort_config_selectorIalEEZNS1_21radix_sort_block_sortIS4_Lb0EPaS8_N6thrust23THRUST_200600_302600_NS10device_ptrIlEESC_NS0_19identity_decomposerEEE10hipError_tT1_T2_T3_T4_jRjT5_jjP12ihipStream_tbEUlT_E_NS1_11comp_targetILNS1_3genE2ELNS1_11target_archE906ELNS1_3gpuE6ELNS1_3repE0EEENS1_44radix_sort_block_sort_config_static_selectorELNS0_4arch9wavefront6targetE1EEEvSF_: ; @_ZN7rocprim17ROCPRIM_400000_NS6detail17trampoline_kernelINS0_13kernel_configILj256ELj4ELj4294967295EEENS1_37radix_sort_block_sort_config_selectorIalEEZNS1_21radix_sort_block_sortIS4_Lb0EPaS8_N6thrust23THRUST_200600_302600_NS10device_ptrIlEESC_NS0_19identity_decomposerEEE10hipError_tT1_T2_T3_T4_jRjT5_jjP12ihipStream_tbEUlT_E_NS1_11comp_targetILNS1_3genE2ELNS1_11target_archE906ELNS1_3gpuE6ELNS1_3repE0EEENS1_44radix_sort_block_sort_config_static_selectorELNS0_4arch9wavefront6targetE1EEEvSF_
; %bb.0:
	s_load_dword s2, s[4:5], 0x20
	s_load_dwordx8 s[36:43], s[4:5], 0x0
	s_lshl_b32 s28, s6, 10
	v_mbcnt_lo_u32_b32 v3, -1, 0
	v_mbcnt_hi_u32_b32 v11, -1, v3
	s_waitcnt lgkmcnt(0)
	s_lshr_b32 s0, s2, 10
	s_cmp_lg_u32 s6, s0
	s_cselect_b64 s[30:31], -1, 0
	s_add_u32 s1, s36, s28
	s_addc_u32 s3, s37, 0
	v_and_b32_e32 v25, 63, v11
	v_lshlrev_b32_e32 v3, 2, v0
	v_and_b32_e32 v26, 0x300, v3
	v_mov_b32_e32 v3, s3
	v_add_co_u32_e32 v4, vcc, s1, v25
	v_addc_co_u32_e32 v3, vcc, 0, v3, vcc
	v_add_co_u32_e32 v9, vcc, v4, v26
	s_mov_b32 s29, 0
	s_cmp_eq_u32 s6, s0
	v_addc_co_u32_e32 v10, vcc, 0, v3, vcc
	v_lshlrev_b32_e32 v12, 3, v25
	v_lshlrev_b32_e32 v14, 3, v26
	s_cbranch_scc1 .LBB464_2
; %bb.1:
	s_lshl_b64 s[0:1], s[28:29], 3
	s_add_u32 s0, s40, s0
	s_addc_u32 s1, s41, s1
	v_mov_b32_e32 v3, s1
	v_add_co_u32_e32 v4, vcc, s0, v12
	v_addc_co_u32_e32 v3, vcc, 0, v3, vcc
	v_add_co_u32_e32 v18, vcc, v4, v14
	global_load_ubyte v13, v[9:10], off offset:192
	global_load_ubyte v15, v[9:10], off offset:128
	;; [unrolled: 1-line block ×3, first 2 shown]
	global_load_ubyte v16, v[9:10], off
	v_addc_co_u32_e32 v19, vcc, 0, v3, vcc
	global_load_dwordx2 v[3:4], v[18:19], off
	global_load_dwordx2 v[5:6], v[18:19], off offset:512
	global_load_dwordx2 v[7:8], v[18:19], off offset:1024
	s_mov_b64 s[8:9], -1
	s_load_dwordx2 s[34:35], s[4:5], 0x28
	s_sub_i32 s33, s2, s28
	s_cbranch_execz .LBB464_3
	s_branch .LBB464_16
.LBB464_2:
	s_mov_b64 s[8:9], 0
                                        ; implicit-def: $vgpr16
                                        ; implicit-def: $vgpr17
                                        ; implicit-def: $vgpr15
                                        ; implicit-def: $vgpr13
                                        ; implicit-def: $vgpr3_vgpr4
                                        ; implicit-def: $vgpr7_vgpr8
	s_load_dwordx2 s[34:35], s[4:5], 0x28
	s_sub_i32 s33, s2, s28
.LBB464_3:
	s_waitcnt vmcnt(2)
	v_or_b32_e32 v3, v25, v26
	v_cmp_gt_u32_e32 vcc, s33, v3
	v_mov_b32_e32 v13, 0x7f
	v_mov_b32_e32 v16, 0x7f
	;; [unrolled: 1-line block ×4, first 2 shown]
	s_and_saveexec_b64 s[0:1], vcc
	s_cbranch_execz .LBB464_5
; %bb.4:
	global_load_ubyte v16, v[9:10], off
	v_mov_b32_e32 v13, 0x7f
	v_mov_b32_e32 v17, 0x7f
	;; [unrolled: 1-line block ×3, first 2 shown]
.LBB464_5:
	s_or_b64 exec, exec, s[0:1]
	v_or_b32_e32 v4, 64, v3
	v_cmp_gt_u32_e64 s[0:1], s33, v4
	s_and_saveexec_b64 s[2:3], s[0:1]
	s_cbranch_execz .LBB464_7
; %bb.6:
	global_load_ubyte v17, v[9:10], off offset:64
.LBB464_7:
	s_or_b64 exec, exec, s[2:3]
	v_or_b32_e32 v4, 0x80, v3
	v_cmp_gt_u32_e64 s[2:3], s33, v4
	s_and_saveexec_b64 s[6:7], s[2:3]
	s_cbranch_execz .LBB464_9
; %bb.8:
	global_load_ubyte v15, v[9:10], off offset:128
.LBB464_9:
	;; [unrolled: 8-line block ×3, first 2 shown]
	s_or_b64 exec, exec, s[6:7]
	s_lshl_b64 s[6:7], s[28:29], 3
	s_add_u32 s6, s40, s6
	s_addc_u32 s7, s41, s7
	v_mov_b32_e32 v3, s7
	v_add_co_u32_e64 v4, s[6:7], s6, v12
	v_addc_co_u32_e64 v3, s[6:7], 0, v3, s[6:7]
	v_add_co_u32_e64 v9, s[6:7], v4, v14
	v_addc_co_u32_e64 v10, s[6:7], 0, v3, s[6:7]
                                        ; implicit-def: $vgpr3_vgpr4
	s_and_saveexec_b64 s[6:7], vcc
	s_cbranch_execnz .LBB464_55
; %bb.12:
	s_or_b64 exec, exec, s[6:7]
	s_and_saveexec_b64 s[6:7], s[0:1]
	s_cbranch_execnz .LBB464_56
.LBB464_13:
	s_or_b64 exec, exec, s[6:7]
                                        ; implicit-def: $vgpr7_vgpr8
	s_and_saveexec_b64 s[0:1], s[2:3]
	s_cbranch_execz .LBB464_15
.LBB464_14:
	global_load_dwordx2 v[7:8], v[9:10], off offset:1024
.LBB464_15:
	s_or_b64 exec, exec, s[0:1]
.LBB464_16:
	s_and_saveexec_b64 s[0:1], s[8:9]
	s_cbranch_execz .LBB464_18
; %bb.17:
	s_lshl_b64 s[2:3], s[28:29], 3
	s_add_u32 s2, s40, s2
	s_addc_u32 s3, s41, s3
	v_mov_b32_e32 v9, s3
	v_add_co_u32_e32 v10, vcc, s2, v12
	v_addc_co_u32_e32 v18, vcc, 0, v9, vcc
	v_add_co_u32_e32 v9, vcc, v10, v14
	v_addc_co_u32_e32 v10, vcc, 0, v18, vcc
	global_load_dwordx2 v[9:10], v[9:10], off offset:1536
.LBB464_18:
	s_or_b64 exec, exec, s[0:1]
	s_load_dword s1, s[4:5], 0x3c
	s_movk_i32 s0, 0x80
	s_waitcnt vmcnt(0)
	v_xor_b32_e32 v14, 0x80, v16
	v_xor_b32_sdwa v16, v17, s0 dst_sel:BYTE_1 dst_unused:UNUSED_PAD src0_sel:DWORD src1_sel:DWORD
	v_xor_b32_sdwa v13, v13, s0 dst_sel:BYTE_1 dst_unused:UNUSED_PAD src0_sel:DWORD src1_sel:DWORD
	s_waitcnt lgkmcnt(0)
	s_lshr_b32 s0, s1, 16
	s_and_b32 s1, s1, 0xffff
	v_mad_u32_u24 v1, v2, s0, v1
	v_mad_u64_u32 v[1:2], s[0:1], v1, s1, v[0:1]
	s_add_i32 s36, s35, s34
	s_getpc_b64 s[0:1]
	s_add_u32 s0, s0, _ZN7rocprim17ROCPRIM_400000_NS16block_radix_sortIaLj256ELj4ElLj1ELj1ELj0ELNS0_26block_radix_rank_algorithmE1ELNS0_18block_padding_hintE2ELNS0_4arch9wavefront6targetE1EE19radix_bits_per_passE@rel32@lo+4
	s_addc_u32 s1, s1, _ZN7rocprim17ROCPRIM_400000_NS16block_radix_sortIaLj256ELj4ElLj1ELj1ELj0ELNS0_26block_radix_rank_algorithmE1ELNS0_18block_padding_hintE2ELNS0_4arch9wavefront6targetE1EE19radix_bits_per_passE@rel32@hi+12
	v_lshrrev_b32_e32 v1, 4, v1
	v_and_b32_e32 v28, 0xffffffc, v1
	v_and_b32_e32 v1, 15, v11
	s_load_dword s37, s[0:1], 0x0
	v_cmp_eq_u32_e64 s[0:1], 0, v1
	v_cmp_lt_u32_e64 s[2:3], 1, v1
	v_cmp_lt_u32_e64 s[4:5], 3, v1
	;; [unrolled: 1-line block ×3, first 2 shown]
	v_and_b32_e32 v1, 16, v11
	v_cmp_eq_u32_e64 s[8:9], 0, v1
	v_or_b32_e32 v1, 63, v0
	v_cmp_eq_u32_e64 s[12:13], v0, v1
	v_subrev_co_u32_e64 v1, s[18:19], 1, v11
	v_and_b32_e32 v2, 64, v11
	v_cmp_lt_i32_e32 vcc, v1, v2
	s_mov_b32 s26, 0
	v_cndmask_b32_e32 v1, v1, v11, vcc
	v_xor_b32_e32 v15, 0x80, v15
	v_lshlrev_b32_e32 v30, 2, v1
	v_lshrrev_b32_e32 v1, 4, v0
	s_mov_b32 s40, s26
	v_or_b32_sdwa v14, v14, v16 dst_sel:DWORD dst_unused:UNUSED_PAD src0_sel:BYTE_0 src1_sel:DWORD
	v_or_b32_sdwa v13, v15, v13 dst_sel:WORD_1 dst_unused:UNUSED_PAD src0_sel:BYTE_0 src1_sel:DWORD
	v_lshlrev_b32_e32 v27, 4, v0
	v_and_b32_e32 v31, 12, v1
	v_mul_i32_i24_e32 v1, -12, v0
	v_and_b32_e32 v2, 3, v11
	s_mov_b32 s27, s26
	s_mov_b32 s41, s26
	v_mov_b32_e32 v19, s26
	v_mov_b32_e32 v21, s40
	v_or_b32_sdwa v29, v14, v13 dst_sel:DWORD dst_unused:UNUSED_PAD src0_sel:WORD_0 src1_sel:DWORD
	v_cmp_lt_u32_e64 s[10:11], 31, v11
	v_cmp_gt_u32_e64 s[14:15], 4, v0
	v_cmp_lt_u32_e64 s[16:17], 63, v0
	v_cmp_eq_u32_e64 s[20:21], 0, v0
	v_cmp_eq_u32_e64 s[22:23], 0, v2
	v_cmp_lt_u32_e64 s[24:25], 1, v2
	v_add_u32_e32 v32, -4, v31
	v_lshl_add_u32 v33, v26, 3, v12
	v_mov_b32_e32 v20, s27
	v_mov_b32_e32 v22, s41
	;; [unrolled: 1-line block ×3, first 2 shown]
	v_add_u32_e32 v34, v27, v1
	s_mov_b32 s40, 0xc0c0004
	s_branch .LBB464_20
.LBB464_19:                             ;   in Loop: Header=BB464_20 Depth=1
	s_andn2_b64 vcc, exec, s[26:27]
	s_mov_b32 s35, s41
	s_cbranch_vccz .LBB464_36
.LBB464_20:                             ; =>This Inner Loop Header: Depth=1
	s_waitcnt lgkmcnt(0)
	s_min_u32 s26, s37, s35
	s_lshl_b32 s26, -1, s26
	s_not_b32 s41, s26
	v_lshrrev_b32_sdwa v1, s34, v29 dst_sel:DWORD dst_unused:UNUSED_PAD src0_sel:DWORD src1_sel:BYTE_0
	v_and_b32_e32 v1, s41, v1
	v_mov_b32_e32 v18, v4
	v_and_b32_e32 v2, 1, v1
	v_mov_b32_e32 v17, v3
	v_mov_b32_e32 v16, v6
	v_add_co_u32_e32 v4, vcc, -1, v2
	v_mov_b32_e32 v15, v5
	v_addc_co_u32_e64 v5, s[26:27], 0, -1, vcc
	v_cmp_ne_u32_e32 vcc, 0, v2
	v_lshlrev_b32_e32 v24, 30, v1
	v_xor_b32_e32 v2, vcc_hi, v5
	v_xor_b32_e32 v4, vcc_lo, v4
	v_cmp_gt_i64_e32 vcc, 0, v[23:24]
	v_not_b32_e32 v5, v24
	v_ashrrev_i32_e32 v5, 31, v5
	v_and_b32_e32 v4, exec_lo, v4
	v_xor_b32_e32 v6, vcc_hi, v5
	v_xor_b32_e32 v5, vcc_lo, v5
	v_lshlrev_b32_e32 v24, 29, v1
	v_and_b32_e32 v4, v4, v5
	v_cmp_gt_i64_e32 vcc, 0, v[23:24]
	v_not_b32_e32 v5, v24
	v_and_b32_e32 v2, exec_hi, v2
	v_ashrrev_i32_e32 v5, 31, v5
	v_and_b32_e32 v2, v2, v6
	v_xor_b32_e32 v6, vcc_hi, v5
	v_xor_b32_e32 v5, vcc_lo, v5
	v_lshlrev_b32_e32 v24, 28, v1
	v_and_b32_e32 v4, v4, v5
	v_cmp_gt_i64_e32 vcc, 0, v[23:24]
	v_not_b32_e32 v5, v24
	v_ashrrev_i32_e32 v5, 31, v5
	v_and_b32_e32 v2, v2, v6
	v_xor_b32_e32 v6, vcc_hi, v5
	v_xor_b32_e32 v5, vcc_lo, v5
	v_lshlrev_b32_e32 v24, 27, v1
	v_and_b32_e32 v4, v4, v5
	v_cmp_gt_i64_e32 vcc, 0, v[23:24]
	v_not_b32_e32 v5, v24
	v_ashrrev_i32_e32 v5, 31, v5
	v_and_b32_e32 v2, v2, v6
	v_xor_b32_e32 v6, vcc_hi, v5
	v_xor_b32_e32 v5, vcc_lo, v5
	v_lshlrev_b32_e32 v24, 26, v1
	v_and_b32_e32 v4, v4, v5
	v_cmp_gt_i64_e32 vcc, 0, v[23:24]
	v_not_b32_e32 v5, v24
	v_ashrrev_i32_e32 v5, 31, v5
	v_and_b32_e32 v2, v2, v6
	v_xor_b32_e32 v6, vcc_hi, v5
	v_xor_b32_e32 v5, vcc_lo, v5
	v_lshlrev_b32_e32 v24, 25, v1
	v_and_b32_e32 v4, v4, v5
	v_cmp_gt_i64_e32 vcc, 0, v[23:24]
	v_not_b32_e32 v5, v24
	v_ashrrev_i32_e32 v5, 31, v5
	v_lshlrev_b32_e32 v24, 24, v1
	v_lshlrev_b32_e32 v3, 4, v1
	v_and_b32_e32 v2, v2, v6
	v_xor_b32_e32 v6, vcc_hi, v5
	v_xor_b32_e32 v5, vcc_lo, v5
	v_cmp_gt_i64_e32 vcc, 0, v[23:24]
	v_not_b32_e32 v1, v24
	v_ashrrev_i32_e32 v1, 31, v1
	v_and_b32_e32 v4, v4, v5
	v_xor_b32_e32 v5, vcc_hi, v1
	v_xor_b32_e32 v1, vcc_lo, v1
	v_and_b32_e32 v2, v2, v6
	v_and_b32_e32 v1, v4, v1
	;; [unrolled: 1-line block ×3, first 2 shown]
	v_mbcnt_lo_u32_b32 v4, v1, 0
	v_mbcnt_hi_u32_b32 v5, v2, v4
	v_cmp_ne_u64_e32 vcc, 0, v[1:2]
	v_mov_b32_e32 v14, v8
	v_mov_b32_e32 v12, v10
	v_cmp_eq_u32_e64 s[26:27], 0, v5
	v_mov_b32_e32 v13, v7
	v_mov_b32_e32 v11, v9
	s_and_b64 s[44:45], vcc, s[26:27]
	v_add_u32_e32 v6, v28, v3
	ds_write2_b64 v27, v[19:20], v[21:22] offset0:2 offset1:3
	s_waitcnt lgkmcnt(0)
	s_barrier
	; wave barrier
	s_and_saveexec_b64 s[26:27], s[44:45]
; %bb.21:                               ;   in Loop: Header=BB464_20 Depth=1
	v_bcnt_u32_b32 v1, v1, 0
	v_bcnt_u32_b32 v1, v2, v1
	ds_write_b32 v6, v1 offset:16
; %bb.22:                               ;   in Loop: Header=BB464_20 Depth=1
	s_or_b64 exec, exec, s[26:27]
	v_lshrrev_b32_sdwa v1, s34, v29 dst_sel:DWORD dst_unused:UNUSED_PAD src0_sel:DWORD src1_sel:BYTE_1
	v_and_b32_e32 v1, s41, v1
	v_lshlrev_b32_e32 v2, 4, v1
	v_add_u32_e32 v8, v28, v2
	v_and_b32_e32 v2, 1, v1
	v_add_co_u32_e32 v3, vcc, -1, v2
	v_addc_co_u32_e64 v4, s[26:27], 0, -1, vcc
	v_cmp_ne_u32_e32 vcc, 0, v2
	v_lshlrev_b32_e32 v24, 30, v1
	v_xor_b32_e32 v2, vcc_hi, v4
	v_xor_b32_e32 v3, vcc_lo, v3
	v_cmp_gt_i64_e32 vcc, 0, v[23:24]
	v_not_b32_e32 v4, v24
	v_ashrrev_i32_e32 v4, 31, v4
	v_and_b32_e32 v3, exec_lo, v3
	v_xor_b32_e32 v9, vcc_hi, v4
	v_xor_b32_e32 v4, vcc_lo, v4
	v_lshlrev_b32_e32 v24, 29, v1
	v_and_b32_e32 v3, v3, v4
	v_cmp_gt_i64_e32 vcc, 0, v[23:24]
	v_not_b32_e32 v4, v24
	v_and_b32_e32 v2, exec_hi, v2
	v_ashrrev_i32_e32 v4, 31, v4
	v_and_b32_e32 v2, v2, v9
	v_xor_b32_e32 v9, vcc_hi, v4
	v_xor_b32_e32 v4, vcc_lo, v4
	v_lshlrev_b32_e32 v24, 28, v1
	v_and_b32_e32 v3, v3, v4
	v_cmp_gt_i64_e32 vcc, 0, v[23:24]
	v_not_b32_e32 v4, v24
	v_ashrrev_i32_e32 v4, 31, v4
	v_and_b32_e32 v2, v2, v9
	v_xor_b32_e32 v9, vcc_hi, v4
	v_xor_b32_e32 v4, vcc_lo, v4
	v_lshlrev_b32_e32 v24, 27, v1
	v_and_b32_e32 v3, v3, v4
	v_cmp_gt_i64_e32 vcc, 0, v[23:24]
	v_not_b32_e32 v4, v24
	;; [unrolled: 8-line block ×4, first 2 shown]
	v_ashrrev_i32_e32 v4, 31, v4
	v_lshlrev_b32_e32 v24, 24, v1
	v_and_b32_e32 v2, v2, v9
	v_xor_b32_e32 v9, vcc_hi, v4
	v_xor_b32_e32 v4, vcc_lo, v4
	v_cmp_gt_i64_e32 vcc, 0, v[23:24]
	v_not_b32_e32 v1, v24
	v_ashrrev_i32_e32 v1, 31, v1
	v_and_b32_e32 v3, v3, v4
	v_xor_b32_e32 v4, vcc_hi, v1
	v_xor_b32_e32 v1, vcc_lo, v1
	; wave barrier
	ds_read_b32 v7, v8 offset:16
	v_and_b32_e32 v2, v2, v9
	v_and_b32_e32 v1, v3, v1
	;; [unrolled: 1-line block ×3, first 2 shown]
	v_mbcnt_lo_u32_b32 v3, v1, 0
	v_mbcnt_hi_u32_b32 v9, v2, v3
	v_cmp_ne_u64_e32 vcc, 0, v[1:2]
	v_cmp_eq_u32_e64 s[26:27], 0, v9
	s_and_b64 s[44:45], vcc, s[26:27]
	; wave barrier
	s_and_saveexec_b64 s[26:27], s[44:45]
	s_cbranch_execz .LBB464_24
; %bb.23:                               ;   in Loop: Header=BB464_20 Depth=1
	v_bcnt_u32_b32 v1, v1, 0
	v_bcnt_u32_b32 v1, v2, v1
	s_waitcnt lgkmcnt(0)
	v_add_u32_e32 v1, v7, v1
	ds_write_b32 v8, v1 offset:16
.LBB464_24:                             ;   in Loop: Header=BB464_20 Depth=1
	s_or_b64 exec, exec, s[26:27]
	v_lshrrev_b32_sdwa v1, s34, v29 dst_sel:DWORD dst_unused:UNUSED_PAD src0_sel:DWORD src1_sel:BYTE_2
	v_and_b32_e32 v1, s41, v1
	v_lshlrev_b32_e32 v2, 4, v1
	v_add_u32_e32 v36, v28, v2
	v_and_b32_e32 v2, 1, v1
	v_add_co_u32_e32 v3, vcc, -1, v2
	v_addc_co_u32_e64 v4, s[26:27], 0, -1, vcc
	v_cmp_ne_u32_e32 vcc, 0, v2
	v_lshlrev_b32_e32 v24, 30, v1
	v_xor_b32_e32 v2, vcc_hi, v4
	v_xor_b32_e32 v3, vcc_lo, v3
	v_cmp_gt_i64_e32 vcc, 0, v[23:24]
	v_not_b32_e32 v4, v24
	v_ashrrev_i32_e32 v4, 31, v4
	v_and_b32_e32 v2, exec_hi, v2
	v_xor_b32_e32 v24, vcc_hi, v4
	v_and_b32_e32 v3, exec_lo, v3
	v_xor_b32_e32 v4, vcc_lo, v4
	v_and_b32_e32 v2, v2, v24
	v_lshlrev_b32_e32 v24, 29, v1
	v_and_b32_e32 v3, v3, v4
	v_cmp_gt_i64_e32 vcc, 0, v[23:24]
	v_not_b32_e32 v4, v24
	v_ashrrev_i32_e32 v4, 31, v4
	v_xor_b32_e32 v24, vcc_hi, v4
	v_xor_b32_e32 v4, vcc_lo, v4
	v_and_b32_e32 v2, v2, v24
	v_lshlrev_b32_e32 v24, 28, v1
	v_and_b32_e32 v3, v3, v4
	v_cmp_gt_i64_e32 vcc, 0, v[23:24]
	v_not_b32_e32 v4, v24
	v_ashrrev_i32_e32 v4, 31, v4
	v_xor_b32_e32 v24, vcc_hi, v4
	;; [unrolled: 8-line block ×5, first 2 shown]
	v_and_b32_e32 v2, v2, v24
	v_lshlrev_b32_e32 v24, 24, v1
	v_xor_b32_e32 v4, vcc_lo, v4
	v_cmp_gt_i64_e32 vcc, 0, v[23:24]
	v_not_b32_e32 v1, v24
	v_ashrrev_i32_e32 v1, 31, v1
	v_and_b32_e32 v3, v3, v4
	v_xor_b32_e32 v4, vcc_hi, v1
	v_xor_b32_e32 v1, vcc_lo, v1
	; wave barrier
	ds_read_b32 v10, v36 offset:16
	v_and_b32_e32 v1, v3, v1
	v_and_b32_e32 v2, v2, v4
	v_mbcnt_lo_u32_b32 v3, v1, 0
	v_mbcnt_hi_u32_b32 v37, v2, v3
	v_cmp_ne_u64_e32 vcc, 0, v[1:2]
	v_cmp_eq_u32_e64 s[26:27], 0, v37
	s_and_b64 s[44:45], vcc, s[26:27]
	; wave barrier
	s_and_saveexec_b64 s[26:27], s[44:45]
	s_cbranch_execz .LBB464_26
; %bb.25:                               ;   in Loop: Header=BB464_20 Depth=1
	v_bcnt_u32_b32 v1, v1, 0
	v_bcnt_u32_b32 v1, v2, v1
	s_waitcnt lgkmcnt(0)
	v_add_u32_e32 v1, v10, v1
	ds_write_b32 v36, v1 offset:16
.LBB464_26:                             ;   in Loop: Header=BB464_20 Depth=1
	s_or_b64 exec, exec, s[26:27]
	v_lshrrev_b32_e32 v35, 24, v29
	v_lshrrev_b32_e32 v1, s34, v35
	v_and_b32_e32 v1, s41, v1
	v_lshlrev_b32_e32 v2, 4, v1
	v_add_u32_e32 v39, v28, v2
	v_and_b32_e32 v2, 1, v1
	v_add_co_u32_e32 v3, vcc, -1, v2
	v_addc_co_u32_e64 v4, s[26:27], 0, -1, vcc
	v_cmp_ne_u32_e32 vcc, 0, v2
	v_lshlrev_b32_e32 v24, 30, v1
	v_xor_b32_e32 v2, vcc_hi, v4
	v_xor_b32_e32 v3, vcc_lo, v3
	v_cmp_gt_i64_e32 vcc, 0, v[23:24]
	v_not_b32_e32 v4, v24
	v_ashrrev_i32_e32 v4, 31, v4
	v_and_b32_e32 v2, exec_hi, v2
	v_xor_b32_e32 v24, vcc_hi, v4
	v_and_b32_e32 v3, exec_lo, v3
	v_xor_b32_e32 v4, vcc_lo, v4
	v_and_b32_e32 v2, v2, v24
	v_lshlrev_b32_e32 v24, 29, v1
	v_and_b32_e32 v3, v3, v4
	v_cmp_gt_i64_e32 vcc, 0, v[23:24]
	v_not_b32_e32 v4, v24
	v_ashrrev_i32_e32 v4, 31, v4
	v_xor_b32_e32 v24, vcc_hi, v4
	v_xor_b32_e32 v4, vcc_lo, v4
	v_and_b32_e32 v2, v2, v24
	v_lshlrev_b32_e32 v24, 28, v1
	v_and_b32_e32 v3, v3, v4
	v_cmp_gt_i64_e32 vcc, 0, v[23:24]
	v_not_b32_e32 v4, v24
	v_ashrrev_i32_e32 v4, 31, v4
	v_xor_b32_e32 v24, vcc_hi, v4
	;; [unrolled: 8-line block ×5, first 2 shown]
	v_and_b32_e32 v2, v2, v24
	v_lshlrev_b32_e32 v24, 24, v1
	v_xor_b32_e32 v4, vcc_lo, v4
	v_cmp_gt_i64_e32 vcc, 0, v[23:24]
	v_not_b32_e32 v1, v24
	v_ashrrev_i32_e32 v1, 31, v1
	v_and_b32_e32 v3, v3, v4
	v_xor_b32_e32 v4, vcc_hi, v1
	v_xor_b32_e32 v1, vcc_lo, v1
	; wave barrier
	ds_read_b32 v38, v39 offset:16
	v_and_b32_e32 v1, v3, v1
	v_and_b32_e32 v2, v2, v4
	v_mbcnt_lo_u32_b32 v3, v1, 0
	v_mbcnt_hi_u32_b32 v42, v2, v3
	v_cmp_ne_u64_e32 vcc, 0, v[1:2]
	v_cmp_eq_u32_e64 s[26:27], 0, v42
	s_and_b64 s[44:45], vcc, s[26:27]
	; wave barrier
	s_and_saveexec_b64 s[26:27], s[44:45]
	s_cbranch_execz .LBB464_28
; %bb.27:                               ;   in Loop: Header=BB464_20 Depth=1
	v_bcnt_u32_b32 v1, v1, 0
	v_bcnt_u32_b32 v1, v2, v1
	s_waitcnt lgkmcnt(0)
	v_add_u32_e32 v1, v38, v1
	ds_write_b32 v39, v1 offset:16
.LBB464_28:                             ;   in Loop: Header=BB464_20 Depth=1
	s_or_b64 exec, exec, s[26:27]
	; wave barrier
	s_waitcnt lgkmcnt(0)
	s_barrier
	ds_read2_b64 v[1:4], v27 offset0:2 offset1:3
	s_waitcnt lgkmcnt(0)
	v_add_u32_e32 v24, v2, v1
	v_add3_u32 v4, v24, v3, v4
	s_nop 1
	v_mov_b32_dpp v24, v4 row_shr:1 row_mask:0xf bank_mask:0xf
	v_cndmask_b32_e64 v24, v24, 0, s[0:1]
	v_add_u32_e32 v4, v24, v4
	s_nop 1
	v_mov_b32_dpp v24, v4 row_shr:2 row_mask:0xf bank_mask:0xf
	v_cndmask_b32_e64 v24, 0, v24, s[2:3]
	v_add_u32_e32 v4, v4, v24
	;; [unrolled: 4-line block ×4, first 2 shown]
	s_nop 1
	v_mov_b32_dpp v24, v4 row_bcast:15 row_mask:0xf bank_mask:0xf
	v_cndmask_b32_e64 v24, v24, 0, s[8:9]
	v_add_u32_e32 v4, v4, v24
	s_nop 1
	v_mov_b32_dpp v24, v4 row_bcast:31 row_mask:0xf bank_mask:0xf
	v_cndmask_b32_e64 v24, 0, v24, s[10:11]
	v_add_u32_e32 v4, v4, v24
	s_and_saveexec_b64 s[26:27], s[12:13]
; %bb.29:                               ;   in Loop: Header=BB464_20 Depth=1
	ds_write_b32 v31, v4
; %bb.30:                               ;   in Loop: Header=BB464_20 Depth=1
	s_or_b64 exec, exec, s[26:27]
	s_waitcnt lgkmcnt(0)
	s_barrier
	s_and_saveexec_b64 s[26:27], s[14:15]
	s_cbranch_execz .LBB464_32
; %bb.31:                               ;   in Loop: Header=BB464_20 Depth=1
	ds_read_b32 v24, v34
	s_waitcnt lgkmcnt(0)
	s_nop 0
	v_mov_b32_dpp v40, v24 row_shr:1 row_mask:0xf bank_mask:0xf
	v_cndmask_b32_e64 v40, v40, 0, s[22:23]
	v_add_u32_e32 v24, v40, v24
	s_nop 1
	v_mov_b32_dpp v40, v24 row_shr:2 row_mask:0xf bank_mask:0xf
	v_cndmask_b32_e64 v40, 0, v40, s[24:25]
	v_add_u32_e32 v24, v24, v40
	ds_write_b32 v34, v24
.LBB464_32:                             ;   in Loop: Header=BB464_20 Depth=1
	s_or_b64 exec, exec, s[26:27]
	v_mov_b32_e32 v24, 0
	s_waitcnt lgkmcnt(0)
	s_barrier
	s_and_saveexec_b64 s[26:27], s[16:17]
; %bb.33:                               ;   in Loop: Header=BB464_20 Depth=1
	ds_read_b32 v24, v32
; %bb.34:                               ;   in Loop: Header=BB464_20 Depth=1
	s_or_b64 exec, exec, s[26:27]
	s_waitcnt lgkmcnt(0)
	v_add_u32_e32 v4, v24, v4
	ds_bpermute_b32 v4, v30, v4
	s_add_i32 s34, s34, 8
	v_mov_b32_e32 v40, v29
	v_lshrrev_b32_e32 v41, 8, v29
	s_cmp_ge_u32 s34, s36
	s_waitcnt lgkmcnt(0)
	v_cndmask_b32_e64 v4, v4, v24, s[18:19]
	v_cndmask_b32_e64 v43, v4, 0, s[20:21]
	v_add_u32_e32 v44, v43, v1
	v_add_u32_e32 v1, v44, v2
	;; [unrolled: 1-line block ×3, first 2 shown]
	ds_write2_b64 v27, v[43:44], v[1:2] offset0:2 offset1:3
	s_waitcnt lgkmcnt(0)
	s_barrier
	ds_read_b32 v1, v6 offset:16
	ds_read_b32 v2, v8 offset:16
	;; [unrolled: 1-line block ×4, first 2 shown]
	v_lshrrev_b32_e32 v39, 16, v29
	s_waitcnt lgkmcnt(3)
	v_add_u32_e32 v36, v1, v5
	s_waitcnt lgkmcnt(2)
	v_add3_u32 v24, v9, v7, v2
	s_waitcnt lgkmcnt(1)
	v_add3_u32 v2, v37, v10, v3
	v_mul_lo_u32 v37, v36, 7
	s_waitcnt lgkmcnt(0)
	v_add3_u32 v1, v42, v38, v4
	s_mov_b64 s[26:27], -1
	v_readfirstlane_b32 s41, v0
                                        ; implicit-def: $vgpr3_vgpr4
                                        ; implicit-def: $vgpr7_vgpr8
	s_cbranch_scc1 .LBB464_19
; %bb.35:                               ;   in Loop: Header=BB464_20 Depth=1
	v_add_u32_e32 v3, v25, v26
	s_barrier
	ds_write_b8 v36, v29
	ds_write_b8 v24, v41
	;; [unrolled: 1-line block ×4, first 2 shown]
	s_waitcnt lgkmcnt(0)
	s_barrier
	ds_read_u8 v4, v3 offset:64
	ds_read_u8 v5, v3 offset:128
	ds_read_u8 v6, v3
	ds_read_u8 v3, v3 offset:192
	v_add_u32_e32 v7, v36, v37
	s_waitcnt lgkmcnt(0)
	s_barrier
	v_perm_b32 v4, v6, v4, s40
	v_perm_b32 v3, v5, v3, s40
	v_lshl_or_b32 v29, v3, 16, v4
	v_mad_u64_u32 v[3:4], s[26:27], v24, 7, v[24:25]
	s_add_i32 s41, s35, -8
	v_mad_u64_u32 v[4:5], s[26:27], v2, 7, v[2:3]
	v_mad_u64_u32 v[5:6], s[26:27], v1, 7, v[1:2]
	ds_write_b64 v7, v[17:18]
	ds_write_b64 v3, v[15:16]
	;; [unrolled: 1-line block ×4, first 2 shown]
	s_waitcnt lgkmcnt(0)
	s_barrier
	ds_read2st64_b64 v[3:6], v33 offset1:1
	ds_read2st64_b64 v[7:10], v33 offset0:2 offset1:3
	s_mov_b64 s[26:27], 0
	s_waitcnt lgkmcnt(0)
	s_barrier
	s_branch .LBB464_19
.LBB464_36:
	v_mad_u64_u32 v[3:4], s[0:1], v24, 7, v[24:25]
	s_barrier
	v_mad_u64_u32 v[4:5], s[0:1], v2, 7, v[2:3]
	ds_write_b8 v36, v40
	ds_write_b8 v24, v41
	;; [unrolled: 1-line block ×4, first 2 shown]
	v_add_u32_e32 v6, v36, v37
	v_mad_u64_u32 v[1:2], s[0:1], v1, 7, v[1:2]
	s_waitcnt lgkmcnt(0)
	s_barrier
	ds_read_u8 v9, v0
	ds_read_u8 v10, v0 offset:256
	ds_read_u8 v19, v0 offset:512
	;; [unrolled: 1-line block ×3, first 2 shown]
	s_waitcnt lgkmcnt(0)
	s_barrier
	ds_write_b64 v6, v[17:18]
	ds_write_b64 v3, v[15:16]
	;; [unrolled: 1-line block ×4, first 2 shown]
	v_mad_u32_u24 v1, v0, 7, v0
	s_waitcnt lgkmcnt(0)
	s_barrier
	ds_read2st64_b64 v[5:8], v1 offset1:4
	ds_read2st64_b64 v[1:4], v1 offset0:8 offset1:12
	s_add_u32 s0, s38, s28
	s_addc_u32 s1, s39, 0
	v_xor_b32_e32 v15, 0xffffff80, v9
	v_xor_b32_e32 v14, 0xffffff80, v10
	v_mov_b32_e32 v10, s1
	v_add_co_u32_e32 v9, vcc, s0, v0
	v_addc_co_u32_e32 v10, vcc, 0, v10, vcc
	v_xor_b32_e32 v13, 0xffffff80, v19
	v_xor_b32_e32 v12, 0xffffff80, v20
	s_andn2_b64 vcc, exec, s[30:31]
	v_lshlrev_b32_e32 v11, 3, v0
	s_cbranch_vccnz .LBB464_38
; %bb.37:
	s_lshl_b64 s[0:1], s[28:29], 3
	s_add_u32 s0, s42, s0
	s_addc_u32 s1, s43, s1
	v_mov_b32_e32 v16, s1
	v_add_co_u32_e32 v17, vcc, s0, v11
	v_addc_co_u32_e32 v18, vcc, 0, v16, vcc
	v_add_co_u32_e32 v16, vcc, 0x1000, v17
	global_store_byte v[9:10], v15, off
	global_store_byte v[9:10], v14, off offset:256
	global_store_byte v[9:10], v13, off offset:512
	global_store_byte v[9:10], v12, off offset:768
	s_waitcnt lgkmcnt(1)
	global_store_dwordx2 v11, v[5:6], s[0:1]
	global_store_dwordx2 v11, v[7:8], s[0:1] offset:2048
	v_addc_co_u32_e32 v17, vcc, 0, v18, vcc
	s_mov_b64 s[6:7], -1
	s_waitcnt lgkmcnt(0)
	global_store_dwordx2 v[16:17], v[1:2], off
	s_cbranch_execz .LBB464_39
	s_branch .LBB464_52
.LBB464_38:
	s_mov_b64 s[6:7], 0
.LBB464_39:
	v_cmp_gt_u32_e32 vcc, s33, v0
	s_and_saveexec_b64 s[0:1], vcc
	s_cbranch_execz .LBB464_41
; %bb.40:
	global_store_byte v[9:10], v15, off
.LBB464_41:
	s_or_b64 exec, exec, s[0:1]
	v_or_b32_e32 v15, 0x100, v0
	v_cmp_gt_u32_e64 s[0:1], s33, v15
	s_and_saveexec_b64 s[2:3], s[0:1]
	s_cbranch_execz .LBB464_43
; %bb.42:
	global_store_byte v[9:10], v14, off offset:256
.LBB464_43:
	s_or_b64 exec, exec, s[2:3]
	v_or_b32_e32 v14, 0x200, v0
	v_cmp_gt_u32_e64 s[2:3], s33, v14
	s_and_saveexec_b64 s[4:5], s[2:3]
	s_cbranch_execz .LBB464_45
; %bb.44:
	global_store_byte v[9:10], v13, off offset:512
.LBB464_45:
	;; [unrolled: 8-line block ×3, first 2 shown]
	s_or_b64 exec, exec, s[4:5]
	s_lshl_b64 s[4:5], s[28:29], 3
	s_add_u32 s4, s42, s4
	s_addc_u32 s5, s43, s5
	v_mov_b32_e32 v0, s5
	v_add_co_u32_e64 v9, s[4:5], s4, v11
	v_addc_co_u32_e64 v10, s[4:5], 0, v0, s[4:5]
	s_and_saveexec_b64 s[4:5], vcc
	s_cbranch_execnz .LBB464_57
; %bb.48:
	s_or_b64 exec, exec, s[4:5]
	s_and_saveexec_b64 s[4:5], s[0:1]
	s_cbranch_execnz .LBB464_58
.LBB464_49:
	s_or_b64 exec, exec, s[4:5]
	s_and_saveexec_b64 s[0:1], s[2:3]
	s_cbranch_execz .LBB464_51
.LBB464_50:
	s_waitcnt lgkmcnt(1)
	v_add_co_u32_e32 v5, vcc, 0x1000, v9
	v_addc_co_u32_e32 v6, vcc, 0, v10, vcc
	s_waitcnt lgkmcnt(0)
	global_store_dwordx2 v[5:6], v[1:2], off
.LBB464_51:
	s_or_b64 exec, exec, s[0:1]
.LBB464_52:
	s_and_saveexec_b64 s[0:1], s[6:7]
	s_cbranch_execnz .LBB464_54
; %bb.53:
	s_endpgm
.LBB464_54:
	s_lshl_b64 s[0:1], s[28:29], 3
	s_add_u32 s0, s42, s0
	s_addc_u32 s1, s43, s1
	v_mov_b32_e32 v0, s1
	s_waitcnt lgkmcnt(0)
	v_add_co_u32_e32 v1, vcc, s0, v11
	v_addc_co_u32_e32 v2, vcc, 0, v0, vcc
	v_add_co_u32_e32 v0, vcc, 0x1000, v1
	v_addc_co_u32_e32 v1, vcc, 0, v2, vcc
	global_store_dwordx2 v[0:1], v[3:4], off offset:2048
	s_endpgm
.LBB464_55:
	global_load_dwordx2 v[3:4], v[9:10], off
	s_or_b64 exec, exec, s[6:7]
	s_and_saveexec_b64 s[6:7], s[0:1]
	s_cbranch_execz .LBB464_13
.LBB464_56:
	global_load_dwordx2 v[5:6], v[9:10], off offset:512
	s_or_b64 exec, exec, s[6:7]
                                        ; implicit-def: $vgpr7_vgpr8
	s_and_saveexec_b64 s[0:1], s[2:3]
	s_cbranch_execnz .LBB464_14
	s_branch .LBB464_15
.LBB464_57:
	s_waitcnt lgkmcnt(1)
	global_store_dwordx2 v[9:10], v[5:6], off
	s_or_b64 exec, exec, s[4:5]
	s_and_saveexec_b64 s[4:5], s[0:1]
	s_cbranch_execz .LBB464_49
.LBB464_58:
	s_waitcnt lgkmcnt(1)
	global_store_dwordx2 v[9:10], v[7:8], off offset:2048
	s_or_b64 exec, exec, s[4:5]
	s_and_saveexec_b64 s[0:1], s[2:3]
	s_cbranch_execnz .LBB464_50
	s_branch .LBB464_51
	.section	.rodata,"a",@progbits
	.p2align	6, 0x0
	.amdhsa_kernel _ZN7rocprim17ROCPRIM_400000_NS6detail17trampoline_kernelINS0_13kernel_configILj256ELj4ELj4294967295EEENS1_37radix_sort_block_sort_config_selectorIalEEZNS1_21radix_sort_block_sortIS4_Lb0EPaS8_N6thrust23THRUST_200600_302600_NS10device_ptrIlEESC_NS0_19identity_decomposerEEE10hipError_tT1_T2_T3_T4_jRjT5_jjP12ihipStream_tbEUlT_E_NS1_11comp_targetILNS1_3genE2ELNS1_11target_archE906ELNS1_3gpuE6ELNS1_3repE0EEENS1_44radix_sort_block_sort_config_static_selectorELNS0_4arch9wavefront6targetE1EEEvSF_
		.amdhsa_group_segment_fixed_size 8192
		.amdhsa_private_segment_fixed_size 0
		.amdhsa_kernarg_size 304
		.amdhsa_user_sgpr_count 6
		.amdhsa_user_sgpr_private_segment_buffer 1
		.amdhsa_user_sgpr_dispatch_ptr 0
		.amdhsa_user_sgpr_queue_ptr 0
		.amdhsa_user_sgpr_kernarg_segment_ptr 1
		.amdhsa_user_sgpr_dispatch_id 0
		.amdhsa_user_sgpr_flat_scratch_init 0
		.amdhsa_user_sgpr_private_segment_size 0
		.amdhsa_uses_dynamic_stack 0
		.amdhsa_system_sgpr_private_segment_wavefront_offset 0
		.amdhsa_system_sgpr_workgroup_id_x 1
		.amdhsa_system_sgpr_workgroup_id_y 0
		.amdhsa_system_sgpr_workgroup_id_z 0
		.amdhsa_system_sgpr_workgroup_info 0
		.amdhsa_system_vgpr_workitem_id 2
		.amdhsa_next_free_vgpr 45
		.amdhsa_next_free_sgpr 61
		.amdhsa_reserve_vcc 1
		.amdhsa_reserve_flat_scratch 0
		.amdhsa_float_round_mode_32 0
		.amdhsa_float_round_mode_16_64 0
		.amdhsa_float_denorm_mode_32 3
		.amdhsa_float_denorm_mode_16_64 3
		.amdhsa_dx10_clamp 1
		.amdhsa_ieee_mode 1
		.amdhsa_fp16_overflow 0
		.amdhsa_exception_fp_ieee_invalid_op 0
		.amdhsa_exception_fp_denorm_src 0
		.amdhsa_exception_fp_ieee_div_zero 0
		.amdhsa_exception_fp_ieee_overflow 0
		.amdhsa_exception_fp_ieee_underflow 0
		.amdhsa_exception_fp_ieee_inexact 0
		.amdhsa_exception_int_div_zero 0
	.end_amdhsa_kernel
	.section	.text._ZN7rocprim17ROCPRIM_400000_NS6detail17trampoline_kernelINS0_13kernel_configILj256ELj4ELj4294967295EEENS1_37radix_sort_block_sort_config_selectorIalEEZNS1_21radix_sort_block_sortIS4_Lb0EPaS8_N6thrust23THRUST_200600_302600_NS10device_ptrIlEESC_NS0_19identity_decomposerEEE10hipError_tT1_T2_T3_T4_jRjT5_jjP12ihipStream_tbEUlT_E_NS1_11comp_targetILNS1_3genE2ELNS1_11target_archE906ELNS1_3gpuE6ELNS1_3repE0EEENS1_44radix_sort_block_sort_config_static_selectorELNS0_4arch9wavefront6targetE1EEEvSF_,"axG",@progbits,_ZN7rocprim17ROCPRIM_400000_NS6detail17trampoline_kernelINS0_13kernel_configILj256ELj4ELj4294967295EEENS1_37radix_sort_block_sort_config_selectorIalEEZNS1_21radix_sort_block_sortIS4_Lb0EPaS8_N6thrust23THRUST_200600_302600_NS10device_ptrIlEESC_NS0_19identity_decomposerEEE10hipError_tT1_T2_T3_T4_jRjT5_jjP12ihipStream_tbEUlT_E_NS1_11comp_targetILNS1_3genE2ELNS1_11target_archE906ELNS1_3gpuE6ELNS1_3repE0EEENS1_44radix_sort_block_sort_config_static_selectorELNS0_4arch9wavefront6targetE1EEEvSF_,comdat
.Lfunc_end464:
	.size	_ZN7rocprim17ROCPRIM_400000_NS6detail17trampoline_kernelINS0_13kernel_configILj256ELj4ELj4294967295EEENS1_37radix_sort_block_sort_config_selectorIalEEZNS1_21radix_sort_block_sortIS4_Lb0EPaS8_N6thrust23THRUST_200600_302600_NS10device_ptrIlEESC_NS0_19identity_decomposerEEE10hipError_tT1_T2_T3_T4_jRjT5_jjP12ihipStream_tbEUlT_E_NS1_11comp_targetILNS1_3genE2ELNS1_11target_archE906ELNS1_3gpuE6ELNS1_3repE0EEENS1_44radix_sort_block_sort_config_static_selectorELNS0_4arch9wavefront6targetE1EEEvSF_, .Lfunc_end464-_ZN7rocprim17ROCPRIM_400000_NS6detail17trampoline_kernelINS0_13kernel_configILj256ELj4ELj4294967295EEENS1_37radix_sort_block_sort_config_selectorIalEEZNS1_21radix_sort_block_sortIS4_Lb0EPaS8_N6thrust23THRUST_200600_302600_NS10device_ptrIlEESC_NS0_19identity_decomposerEEE10hipError_tT1_T2_T3_T4_jRjT5_jjP12ihipStream_tbEUlT_E_NS1_11comp_targetILNS1_3genE2ELNS1_11target_archE906ELNS1_3gpuE6ELNS1_3repE0EEENS1_44radix_sort_block_sort_config_static_selectorELNS0_4arch9wavefront6targetE1EEEvSF_
                                        ; -- End function
	.set _ZN7rocprim17ROCPRIM_400000_NS6detail17trampoline_kernelINS0_13kernel_configILj256ELj4ELj4294967295EEENS1_37radix_sort_block_sort_config_selectorIalEEZNS1_21radix_sort_block_sortIS4_Lb0EPaS8_N6thrust23THRUST_200600_302600_NS10device_ptrIlEESC_NS0_19identity_decomposerEEE10hipError_tT1_T2_T3_T4_jRjT5_jjP12ihipStream_tbEUlT_E_NS1_11comp_targetILNS1_3genE2ELNS1_11target_archE906ELNS1_3gpuE6ELNS1_3repE0EEENS1_44radix_sort_block_sort_config_static_selectorELNS0_4arch9wavefront6targetE1EEEvSF_.num_vgpr, 45
	.set _ZN7rocprim17ROCPRIM_400000_NS6detail17trampoline_kernelINS0_13kernel_configILj256ELj4ELj4294967295EEENS1_37radix_sort_block_sort_config_selectorIalEEZNS1_21radix_sort_block_sortIS4_Lb0EPaS8_N6thrust23THRUST_200600_302600_NS10device_ptrIlEESC_NS0_19identity_decomposerEEE10hipError_tT1_T2_T3_T4_jRjT5_jjP12ihipStream_tbEUlT_E_NS1_11comp_targetILNS1_3genE2ELNS1_11target_archE906ELNS1_3gpuE6ELNS1_3repE0EEENS1_44radix_sort_block_sort_config_static_selectorELNS0_4arch9wavefront6targetE1EEEvSF_.num_agpr, 0
	.set _ZN7rocprim17ROCPRIM_400000_NS6detail17trampoline_kernelINS0_13kernel_configILj256ELj4ELj4294967295EEENS1_37radix_sort_block_sort_config_selectorIalEEZNS1_21radix_sort_block_sortIS4_Lb0EPaS8_N6thrust23THRUST_200600_302600_NS10device_ptrIlEESC_NS0_19identity_decomposerEEE10hipError_tT1_T2_T3_T4_jRjT5_jjP12ihipStream_tbEUlT_E_NS1_11comp_targetILNS1_3genE2ELNS1_11target_archE906ELNS1_3gpuE6ELNS1_3repE0EEENS1_44radix_sort_block_sort_config_static_selectorELNS0_4arch9wavefront6targetE1EEEvSF_.numbered_sgpr, 46
	.set _ZN7rocprim17ROCPRIM_400000_NS6detail17trampoline_kernelINS0_13kernel_configILj256ELj4ELj4294967295EEENS1_37radix_sort_block_sort_config_selectorIalEEZNS1_21radix_sort_block_sortIS4_Lb0EPaS8_N6thrust23THRUST_200600_302600_NS10device_ptrIlEESC_NS0_19identity_decomposerEEE10hipError_tT1_T2_T3_T4_jRjT5_jjP12ihipStream_tbEUlT_E_NS1_11comp_targetILNS1_3genE2ELNS1_11target_archE906ELNS1_3gpuE6ELNS1_3repE0EEENS1_44radix_sort_block_sort_config_static_selectorELNS0_4arch9wavefront6targetE1EEEvSF_.num_named_barrier, 0
	.set _ZN7rocprim17ROCPRIM_400000_NS6detail17trampoline_kernelINS0_13kernel_configILj256ELj4ELj4294967295EEENS1_37radix_sort_block_sort_config_selectorIalEEZNS1_21radix_sort_block_sortIS4_Lb0EPaS8_N6thrust23THRUST_200600_302600_NS10device_ptrIlEESC_NS0_19identity_decomposerEEE10hipError_tT1_T2_T3_T4_jRjT5_jjP12ihipStream_tbEUlT_E_NS1_11comp_targetILNS1_3genE2ELNS1_11target_archE906ELNS1_3gpuE6ELNS1_3repE0EEENS1_44radix_sort_block_sort_config_static_selectorELNS0_4arch9wavefront6targetE1EEEvSF_.private_seg_size, 0
	.set _ZN7rocprim17ROCPRIM_400000_NS6detail17trampoline_kernelINS0_13kernel_configILj256ELj4ELj4294967295EEENS1_37radix_sort_block_sort_config_selectorIalEEZNS1_21radix_sort_block_sortIS4_Lb0EPaS8_N6thrust23THRUST_200600_302600_NS10device_ptrIlEESC_NS0_19identity_decomposerEEE10hipError_tT1_T2_T3_T4_jRjT5_jjP12ihipStream_tbEUlT_E_NS1_11comp_targetILNS1_3genE2ELNS1_11target_archE906ELNS1_3gpuE6ELNS1_3repE0EEENS1_44radix_sort_block_sort_config_static_selectorELNS0_4arch9wavefront6targetE1EEEvSF_.uses_vcc, 1
	.set _ZN7rocprim17ROCPRIM_400000_NS6detail17trampoline_kernelINS0_13kernel_configILj256ELj4ELj4294967295EEENS1_37radix_sort_block_sort_config_selectorIalEEZNS1_21radix_sort_block_sortIS4_Lb0EPaS8_N6thrust23THRUST_200600_302600_NS10device_ptrIlEESC_NS0_19identity_decomposerEEE10hipError_tT1_T2_T3_T4_jRjT5_jjP12ihipStream_tbEUlT_E_NS1_11comp_targetILNS1_3genE2ELNS1_11target_archE906ELNS1_3gpuE6ELNS1_3repE0EEENS1_44radix_sort_block_sort_config_static_selectorELNS0_4arch9wavefront6targetE1EEEvSF_.uses_flat_scratch, 0
	.set _ZN7rocprim17ROCPRIM_400000_NS6detail17trampoline_kernelINS0_13kernel_configILj256ELj4ELj4294967295EEENS1_37radix_sort_block_sort_config_selectorIalEEZNS1_21radix_sort_block_sortIS4_Lb0EPaS8_N6thrust23THRUST_200600_302600_NS10device_ptrIlEESC_NS0_19identity_decomposerEEE10hipError_tT1_T2_T3_T4_jRjT5_jjP12ihipStream_tbEUlT_E_NS1_11comp_targetILNS1_3genE2ELNS1_11target_archE906ELNS1_3gpuE6ELNS1_3repE0EEENS1_44radix_sort_block_sort_config_static_selectorELNS0_4arch9wavefront6targetE1EEEvSF_.has_dyn_sized_stack, 0
	.set _ZN7rocprim17ROCPRIM_400000_NS6detail17trampoline_kernelINS0_13kernel_configILj256ELj4ELj4294967295EEENS1_37radix_sort_block_sort_config_selectorIalEEZNS1_21radix_sort_block_sortIS4_Lb0EPaS8_N6thrust23THRUST_200600_302600_NS10device_ptrIlEESC_NS0_19identity_decomposerEEE10hipError_tT1_T2_T3_T4_jRjT5_jjP12ihipStream_tbEUlT_E_NS1_11comp_targetILNS1_3genE2ELNS1_11target_archE906ELNS1_3gpuE6ELNS1_3repE0EEENS1_44radix_sort_block_sort_config_static_selectorELNS0_4arch9wavefront6targetE1EEEvSF_.has_recursion, 0
	.set _ZN7rocprim17ROCPRIM_400000_NS6detail17trampoline_kernelINS0_13kernel_configILj256ELj4ELj4294967295EEENS1_37radix_sort_block_sort_config_selectorIalEEZNS1_21radix_sort_block_sortIS4_Lb0EPaS8_N6thrust23THRUST_200600_302600_NS10device_ptrIlEESC_NS0_19identity_decomposerEEE10hipError_tT1_T2_T3_T4_jRjT5_jjP12ihipStream_tbEUlT_E_NS1_11comp_targetILNS1_3genE2ELNS1_11target_archE906ELNS1_3gpuE6ELNS1_3repE0EEENS1_44radix_sort_block_sort_config_static_selectorELNS0_4arch9wavefront6targetE1EEEvSF_.has_indirect_call, 0
	.section	.AMDGPU.csdata,"",@progbits
; Kernel info:
; codeLenInByte = 3904
; TotalNumSgprs: 50
; NumVgprs: 45
; ScratchSize: 0
; MemoryBound: 0
; FloatMode: 240
; IeeeMode: 1
; LDSByteSize: 8192 bytes/workgroup (compile time only)
; SGPRBlocks: 8
; VGPRBlocks: 11
; NumSGPRsForWavesPerEU: 65
; NumVGPRsForWavesPerEU: 45
; Occupancy: 5
; WaveLimiterHint : 1
; COMPUTE_PGM_RSRC2:SCRATCH_EN: 0
; COMPUTE_PGM_RSRC2:USER_SGPR: 6
; COMPUTE_PGM_RSRC2:TRAP_HANDLER: 0
; COMPUTE_PGM_RSRC2:TGID_X_EN: 1
; COMPUTE_PGM_RSRC2:TGID_Y_EN: 0
; COMPUTE_PGM_RSRC2:TGID_Z_EN: 0
; COMPUTE_PGM_RSRC2:TIDIG_COMP_CNT: 2
	.section	.text._ZN7rocprim17ROCPRIM_400000_NS6detail17trampoline_kernelINS0_13kernel_configILj256ELj4ELj4294967295EEENS1_37radix_sort_block_sort_config_selectorIalEEZNS1_21radix_sort_block_sortIS4_Lb0EPaS8_N6thrust23THRUST_200600_302600_NS10device_ptrIlEESC_NS0_19identity_decomposerEEE10hipError_tT1_T2_T3_T4_jRjT5_jjP12ihipStream_tbEUlT_E_NS1_11comp_targetILNS1_3genE10ELNS1_11target_archE1201ELNS1_3gpuE5ELNS1_3repE0EEENS1_44radix_sort_block_sort_config_static_selectorELNS0_4arch9wavefront6targetE1EEEvSF_,"axG",@progbits,_ZN7rocprim17ROCPRIM_400000_NS6detail17trampoline_kernelINS0_13kernel_configILj256ELj4ELj4294967295EEENS1_37radix_sort_block_sort_config_selectorIalEEZNS1_21radix_sort_block_sortIS4_Lb0EPaS8_N6thrust23THRUST_200600_302600_NS10device_ptrIlEESC_NS0_19identity_decomposerEEE10hipError_tT1_T2_T3_T4_jRjT5_jjP12ihipStream_tbEUlT_E_NS1_11comp_targetILNS1_3genE10ELNS1_11target_archE1201ELNS1_3gpuE5ELNS1_3repE0EEENS1_44radix_sort_block_sort_config_static_selectorELNS0_4arch9wavefront6targetE1EEEvSF_,comdat
	.protected	_ZN7rocprim17ROCPRIM_400000_NS6detail17trampoline_kernelINS0_13kernel_configILj256ELj4ELj4294967295EEENS1_37radix_sort_block_sort_config_selectorIalEEZNS1_21radix_sort_block_sortIS4_Lb0EPaS8_N6thrust23THRUST_200600_302600_NS10device_ptrIlEESC_NS0_19identity_decomposerEEE10hipError_tT1_T2_T3_T4_jRjT5_jjP12ihipStream_tbEUlT_E_NS1_11comp_targetILNS1_3genE10ELNS1_11target_archE1201ELNS1_3gpuE5ELNS1_3repE0EEENS1_44radix_sort_block_sort_config_static_selectorELNS0_4arch9wavefront6targetE1EEEvSF_ ; -- Begin function _ZN7rocprim17ROCPRIM_400000_NS6detail17trampoline_kernelINS0_13kernel_configILj256ELj4ELj4294967295EEENS1_37radix_sort_block_sort_config_selectorIalEEZNS1_21radix_sort_block_sortIS4_Lb0EPaS8_N6thrust23THRUST_200600_302600_NS10device_ptrIlEESC_NS0_19identity_decomposerEEE10hipError_tT1_T2_T3_T4_jRjT5_jjP12ihipStream_tbEUlT_E_NS1_11comp_targetILNS1_3genE10ELNS1_11target_archE1201ELNS1_3gpuE5ELNS1_3repE0EEENS1_44radix_sort_block_sort_config_static_selectorELNS0_4arch9wavefront6targetE1EEEvSF_
	.globl	_ZN7rocprim17ROCPRIM_400000_NS6detail17trampoline_kernelINS0_13kernel_configILj256ELj4ELj4294967295EEENS1_37radix_sort_block_sort_config_selectorIalEEZNS1_21radix_sort_block_sortIS4_Lb0EPaS8_N6thrust23THRUST_200600_302600_NS10device_ptrIlEESC_NS0_19identity_decomposerEEE10hipError_tT1_T2_T3_T4_jRjT5_jjP12ihipStream_tbEUlT_E_NS1_11comp_targetILNS1_3genE10ELNS1_11target_archE1201ELNS1_3gpuE5ELNS1_3repE0EEENS1_44radix_sort_block_sort_config_static_selectorELNS0_4arch9wavefront6targetE1EEEvSF_
	.p2align	8
	.type	_ZN7rocprim17ROCPRIM_400000_NS6detail17trampoline_kernelINS0_13kernel_configILj256ELj4ELj4294967295EEENS1_37radix_sort_block_sort_config_selectorIalEEZNS1_21radix_sort_block_sortIS4_Lb0EPaS8_N6thrust23THRUST_200600_302600_NS10device_ptrIlEESC_NS0_19identity_decomposerEEE10hipError_tT1_T2_T3_T4_jRjT5_jjP12ihipStream_tbEUlT_E_NS1_11comp_targetILNS1_3genE10ELNS1_11target_archE1201ELNS1_3gpuE5ELNS1_3repE0EEENS1_44radix_sort_block_sort_config_static_selectorELNS0_4arch9wavefront6targetE1EEEvSF_,@function
_ZN7rocprim17ROCPRIM_400000_NS6detail17trampoline_kernelINS0_13kernel_configILj256ELj4ELj4294967295EEENS1_37radix_sort_block_sort_config_selectorIalEEZNS1_21radix_sort_block_sortIS4_Lb0EPaS8_N6thrust23THRUST_200600_302600_NS10device_ptrIlEESC_NS0_19identity_decomposerEEE10hipError_tT1_T2_T3_T4_jRjT5_jjP12ihipStream_tbEUlT_E_NS1_11comp_targetILNS1_3genE10ELNS1_11target_archE1201ELNS1_3gpuE5ELNS1_3repE0EEENS1_44radix_sort_block_sort_config_static_selectorELNS0_4arch9wavefront6targetE1EEEvSF_: ; @_ZN7rocprim17ROCPRIM_400000_NS6detail17trampoline_kernelINS0_13kernel_configILj256ELj4ELj4294967295EEENS1_37radix_sort_block_sort_config_selectorIalEEZNS1_21radix_sort_block_sortIS4_Lb0EPaS8_N6thrust23THRUST_200600_302600_NS10device_ptrIlEESC_NS0_19identity_decomposerEEE10hipError_tT1_T2_T3_T4_jRjT5_jjP12ihipStream_tbEUlT_E_NS1_11comp_targetILNS1_3genE10ELNS1_11target_archE1201ELNS1_3gpuE5ELNS1_3repE0EEENS1_44radix_sort_block_sort_config_static_selectorELNS0_4arch9wavefront6targetE1EEEvSF_
; %bb.0:
	.section	.rodata,"a",@progbits
	.p2align	6, 0x0
	.amdhsa_kernel _ZN7rocprim17ROCPRIM_400000_NS6detail17trampoline_kernelINS0_13kernel_configILj256ELj4ELj4294967295EEENS1_37radix_sort_block_sort_config_selectorIalEEZNS1_21radix_sort_block_sortIS4_Lb0EPaS8_N6thrust23THRUST_200600_302600_NS10device_ptrIlEESC_NS0_19identity_decomposerEEE10hipError_tT1_T2_T3_T4_jRjT5_jjP12ihipStream_tbEUlT_E_NS1_11comp_targetILNS1_3genE10ELNS1_11target_archE1201ELNS1_3gpuE5ELNS1_3repE0EEENS1_44radix_sort_block_sort_config_static_selectorELNS0_4arch9wavefront6targetE1EEEvSF_
		.amdhsa_group_segment_fixed_size 0
		.amdhsa_private_segment_fixed_size 0
		.amdhsa_kernarg_size 48
		.amdhsa_user_sgpr_count 6
		.amdhsa_user_sgpr_private_segment_buffer 1
		.amdhsa_user_sgpr_dispatch_ptr 0
		.amdhsa_user_sgpr_queue_ptr 0
		.amdhsa_user_sgpr_kernarg_segment_ptr 1
		.amdhsa_user_sgpr_dispatch_id 0
		.amdhsa_user_sgpr_flat_scratch_init 0
		.amdhsa_user_sgpr_private_segment_size 0
		.amdhsa_uses_dynamic_stack 0
		.amdhsa_system_sgpr_private_segment_wavefront_offset 0
		.amdhsa_system_sgpr_workgroup_id_x 1
		.amdhsa_system_sgpr_workgroup_id_y 0
		.amdhsa_system_sgpr_workgroup_id_z 0
		.amdhsa_system_sgpr_workgroup_info 0
		.amdhsa_system_vgpr_workitem_id 0
		.amdhsa_next_free_vgpr 1
		.amdhsa_next_free_sgpr 0
		.amdhsa_reserve_vcc 0
		.amdhsa_reserve_flat_scratch 0
		.amdhsa_float_round_mode_32 0
		.amdhsa_float_round_mode_16_64 0
		.amdhsa_float_denorm_mode_32 3
		.amdhsa_float_denorm_mode_16_64 3
		.amdhsa_dx10_clamp 1
		.amdhsa_ieee_mode 1
		.amdhsa_fp16_overflow 0
		.amdhsa_exception_fp_ieee_invalid_op 0
		.amdhsa_exception_fp_denorm_src 0
		.amdhsa_exception_fp_ieee_div_zero 0
		.amdhsa_exception_fp_ieee_overflow 0
		.amdhsa_exception_fp_ieee_underflow 0
		.amdhsa_exception_fp_ieee_inexact 0
		.amdhsa_exception_int_div_zero 0
	.end_amdhsa_kernel
	.section	.text._ZN7rocprim17ROCPRIM_400000_NS6detail17trampoline_kernelINS0_13kernel_configILj256ELj4ELj4294967295EEENS1_37radix_sort_block_sort_config_selectorIalEEZNS1_21radix_sort_block_sortIS4_Lb0EPaS8_N6thrust23THRUST_200600_302600_NS10device_ptrIlEESC_NS0_19identity_decomposerEEE10hipError_tT1_T2_T3_T4_jRjT5_jjP12ihipStream_tbEUlT_E_NS1_11comp_targetILNS1_3genE10ELNS1_11target_archE1201ELNS1_3gpuE5ELNS1_3repE0EEENS1_44radix_sort_block_sort_config_static_selectorELNS0_4arch9wavefront6targetE1EEEvSF_,"axG",@progbits,_ZN7rocprim17ROCPRIM_400000_NS6detail17trampoline_kernelINS0_13kernel_configILj256ELj4ELj4294967295EEENS1_37radix_sort_block_sort_config_selectorIalEEZNS1_21radix_sort_block_sortIS4_Lb0EPaS8_N6thrust23THRUST_200600_302600_NS10device_ptrIlEESC_NS0_19identity_decomposerEEE10hipError_tT1_T2_T3_T4_jRjT5_jjP12ihipStream_tbEUlT_E_NS1_11comp_targetILNS1_3genE10ELNS1_11target_archE1201ELNS1_3gpuE5ELNS1_3repE0EEENS1_44radix_sort_block_sort_config_static_selectorELNS0_4arch9wavefront6targetE1EEEvSF_,comdat
.Lfunc_end465:
	.size	_ZN7rocprim17ROCPRIM_400000_NS6detail17trampoline_kernelINS0_13kernel_configILj256ELj4ELj4294967295EEENS1_37radix_sort_block_sort_config_selectorIalEEZNS1_21radix_sort_block_sortIS4_Lb0EPaS8_N6thrust23THRUST_200600_302600_NS10device_ptrIlEESC_NS0_19identity_decomposerEEE10hipError_tT1_T2_T3_T4_jRjT5_jjP12ihipStream_tbEUlT_E_NS1_11comp_targetILNS1_3genE10ELNS1_11target_archE1201ELNS1_3gpuE5ELNS1_3repE0EEENS1_44radix_sort_block_sort_config_static_selectorELNS0_4arch9wavefront6targetE1EEEvSF_, .Lfunc_end465-_ZN7rocprim17ROCPRIM_400000_NS6detail17trampoline_kernelINS0_13kernel_configILj256ELj4ELj4294967295EEENS1_37radix_sort_block_sort_config_selectorIalEEZNS1_21radix_sort_block_sortIS4_Lb0EPaS8_N6thrust23THRUST_200600_302600_NS10device_ptrIlEESC_NS0_19identity_decomposerEEE10hipError_tT1_T2_T3_T4_jRjT5_jjP12ihipStream_tbEUlT_E_NS1_11comp_targetILNS1_3genE10ELNS1_11target_archE1201ELNS1_3gpuE5ELNS1_3repE0EEENS1_44radix_sort_block_sort_config_static_selectorELNS0_4arch9wavefront6targetE1EEEvSF_
                                        ; -- End function
	.set _ZN7rocprim17ROCPRIM_400000_NS6detail17trampoline_kernelINS0_13kernel_configILj256ELj4ELj4294967295EEENS1_37radix_sort_block_sort_config_selectorIalEEZNS1_21radix_sort_block_sortIS4_Lb0EPaS8_N6thrust23THRUST_200600_302600_NS10device_ptrIlEESC_NS0_19identity_decomposerEEE10hipError_tT1_T2_T3_T4_jRjT5_jjP12ihipStream_tbEUlT_E_NS1_11comp_targetILNS1_3genE10ELNS1_11target_archE1201ELNS1_3gpuE5ELNS1_3repE0EEENS1_44radix_sort_block_sort_config_static_selectorELNS0_4arch9wavefront6targetE1EEEvSF_.num_vgpr, 0
	.set _ZN7rocprim17ROCPRIM_400000_NS6detail17trampoline_kernelINS0_13kernel_configILj256ELj4ELj4294967295EEENS1_37radix_sort_block_sort_config_selectorIalEEZNS1_21radix_sort_block_sortIS4_Lb0EPaS8_N6thrust23THRUST_200600_302600_NS10device_ptrIlEESC_NS0_19identity_decomposerEEE10hipError_tT1_T2_T3_T4_jRjT5_jjP12ihipStream_tbEUlT_E_NS1_11comp_targetILNS1_3genE10ELNS1_11target_archE1201ELNS1_3gpuE5ELNS1_3repE0EEENS1_44radix_sort_block_sort_config_static_selectorELNS0_4arch9wavefront6targetE1EEEvSF_.num_agpr, 0
	.set _ZN7rocprim17ROCPRIM_400000_NS6detail17trampoline_kernelINS0_13kernel_configILj256ELj4ELj4294967295EEENS1_37radix_sort_block_sort_config_selectorIalEEZNS1_21radix_sort_block_sortIS4_Lb0EPaS8_N6thrust23THRUST_200600_302600_NS10device_ptrIlEESC_NS0_19identity_decomposerEEE10hipError_tT1_T2_T3_T4_jRjT5_jjP12ihipStream_tbEUlT_E_NS1_11comp_targetILNS1_3genE10ELNS1_11target_archE1201ELNS1_3gpuE5ELNS1_3repE0EEENS1_44radix_sort_block_sort_config_static_selectorELNS0_4arch9wavefront6targetE1EEEvSF_.numbered_sgpr, 0
	.set _ZN7rocprim17ROCPRIM_400000_NS6detail17trampoline_kernelINS0_13kernel_configILj256ELj4ELj4294967295EEENS1_37radix_sort_block_sort_config_selectorIalEEZNS1_21radix_sort_block_sortIS4_Lb0EPaS8_N6thrust23THRUST_200600_302600_NS10device_ptrIlEESC_NS0_19identity_decomposerEEE10hipError_tT1_T2_T3_T4_jRjT5_jjP12ihipStream_tbEUlT_E_NS1_11comp_targetILNS1_3genE10ELNS1_11target_archE1201ELNS1_3gpuE5ELNS1_3repE0EEENS1_44radix_sort_block_sort_config_static_selectorELNS0_4arch9wavefront6targetE1EEEvSF_.num_named_barrier, 0
	.set _ZN7rocprim17ROCPRIM_400000_NS6detail17trampoline_kernelINS0_13kernel_configILj256ELj4ELj4294967295EEENS1_37radix_sort_block_sort_config_selectorIalEEZNS1_21radix_sort_block_sortIS4_Lb0EPaS8_N6thrust23THRUST_200600_302600_NS10device_ptrIlEESC_NS0_19identity_decomposerEEE10hipError_tT1_T2_T3_T4_jRjT5_jjP12ihipStream_tbEUlT_E_NS1_11comp_targetILNS1_3genE10ELNS1_11target_archE1201ELNS1_3gpuE5ELNS1_3repE0EEENS1_44radix_sort_block_sort_config_static_selectorELNS0_4arch9wavefront6targetE1EEEvSF_.private_seg_size, 0
	.set _ZN7rocprim17ROCPRIM_400000_NS6detail17trampoline_kernelINS0_13kernel_configILj256ELj4ELj4294967295EEENS1_37radix_sort_block_sort_config_selectorIalEEZNS1_21radix_sort_block_sortIS4_Lb0EPaS8_N6thrust23THRUST_200600_302600_NS10device_ptrIlEESC_NS0_19identity_decomposerEEE10hipError_tT1_T2_T3_T4_jRjT5_jjP12ihipStream_tbEUlT_E_NS1_11comp_targetILNS1_3genE10ELNS1_11target_archE1201ELNS1_3gpuE5ELNS1_3repE0EEENS1_44radix_sort_block_sort_config_static_selectorELNS0_4arch9wavefront6targetE1EEEvSF_.uses_vcc, 0
	.set _ZN7rocprim17ROCPRIM_400000_NS6detail17trampoline_kernelINS0_13kernel_configILj256ELj4ELj4294967295EEENS1_37radix_sort_block_sort_config_selectorIalEEZNS1_21radix_sort_block_sortIS4_Lb0EPaS8_N6thrust23THRUST_200600_302600_NS10device_ptrIlEESC_NS0_19identity_decomposerEEE10hipError_tT1_T2_T3_T4_jRjT5_jjP12ihipStream_tbEUlT_E_NS1_11comp_targetILNS1_3genE10ELNS1_11target_archE1201ELNS1_3gpuE5ELNS1_3repE0EEENS1_44radix_sort_block_sort_config_static_selectorELNS0_4arch9wavefront6targetE1EEEvSF_.uses_flat_scratch, 0
	.set _ZN7rocprim17ROCPRIM_400000_NS6detail17trampoline_kernelINS0_13kernel_configILj256ELj4ELj4294967295EEENS1_37radix_sort_block_sort_config_selectorIalEEZNS1_21radix_sort_block_sortIS4_Lb0EPaS8_N6thrust23THRUST_200600_302600_NS10device_ptrIlEESC_NS0_19identity_decomposerEEE10hipError_tT1_T2_T3_T4_jRjT5_jjP12ihipStream_tbEUlT_E_NS1_11comp_targetILNS1_3genE10ELNS1_11target_archE1201ELNS1_3gpuE5ELNS1_3repE0EEENS1_44radix_sort_block_sort_config_static_selectorELNS0_4arch9wavefront6targetE1EEEvSF_.has_dyn_sized_stack, 0
	.set _ZN7rocprim17ROCPRIM_400000_NS6detail17trampoline_kernelINS0_13kernel_configILj256ELj4ELj4294967295EEENS1_37radix_sort_block_sort_config_selectorIalEEZNS1_21radix_sort_block_sortIS4_Lb0EPaS8_N6thrust23THRUST_200600_302600_NS10device_ptrIlEESC_NS0_19identity_decomposerEEE10hipError_tT1_T2_T3_T4_jRjT5_jjP12ihipStream_tbEUlT_E_NS1_11comp_targetILNS1_3genE10ELNS1_11target_archE1201ELNS1_3gpuE5ELNS1_3repE0EEENS1_44radix_sort_block_sort_config_static_selectorELNS0_4arch9wavefront6targetE1EEEvSF_.has_recursion, 0
	.set _ZN7rocprim17ROCPRIM_400000_NS6detail17trampoline_kernelINS0_13kernel_configILj256ELj4ELj4294967295EEENS1_37radix_sort_block_sort_config_selectorIalEEZNS1_21radix_sort_block_sortIS4_Lb0EPaS8_N6thrust23THRUST_200600_302600_NS10device_ptrIlEESC_NS0_19identity_decomposerEEE10hipError_tT1_T2_T3_T4_jRjT5_jjP12ihipStream_tbEUlT_E_NS1_11comp_targetILNS1_3genE10ELNS1_11target_archE1201ELNS1_3gpuE5ELNS1_3repE0EEENS1_44radix_sort_block_sort_config_static_selectorELNS0_4arch9wavefront6targetE1EEEvSF_.has_indirect_call, 0
	.section	.AMDGPU.csdata,"",@progbits
; Kernel info:
; codeLenInByte = 0
; TotalNumSgprs: 4
; NumVgprs: 0
; ScratchSize: 0
; MemoryBound: 0
; FloatMode: 240
; IeeeMode: 1
; LDSByteSize: 0 bytes/workgroup (compile time only)
; SGPRBlocks: 0
; VGPRBlocks: 0
; NumSGPRsForWavesPerEU: 4
; NumVGPRsForWavesPerEU: 1
; Occupancy: 10
; WaveLimiterHint : 0
; COMPUTE_PGM_RSRC2:SCRATCH_EN: 0
; COMPUTE_PGM_RSRC2:USER_SGPR: 6
; COMPUTE_PGM_RSRC2:TRAP_HANDLER: 0
; COMPUTE_PGM_RSRC2:TGID_X_EN: 1
; COMPUTE_PGM_RSRC2:TGID_Y_EN: 0
; COMPUTE_PGM_RSRC2:TGID_Z_EN: 0
; COMPUTE_PGM_RSRC2:TIDIG_COMP_CNT: 0
	.section	.text._ZN7rocprim17ROCPRIM_400000_NS6detail17trampoline_kernelINS0_13kernel_configILj256ELj4ELj4294967295EEENS1_37radix_sort_block_sort_config_selectorIalEEZNS1_21radix_sort_block_sortIS4_Lb0EPaS8_N6thrust23THRUST_200600_302600_NS10device_ptrIlEESC_NS0_19identity_decomposerEEE10hipError_tT1_T2_T3_T4_jRjT5_jjP12ihipStream_tbEUlT_E_NS1_11comp_targetILNS1_3genE10ELNS1_11target_archE1200ELNS1_3gpuE4ELNS1_3repE0EEENS1_44radix_sort_block_sort_config_static_selectorELNS0_4arch9wavefront6targetE1EEEvSF_,"axG",@progbits,_ZN7rocprim17ROCPRIM_400000_NS6detail17trampoline_kernelINS0_13kernel_configILj256ELj4ELj4294967295EEENS1_37radix_sort_block_sort_config_selectorIalEEZNS1_21radix_sort_block_sortIS4_Lb0EPaS8_N6thrust23THRUST_200600_302600_NS10device_ptrIlEESC_NS0_19identity_decomposerEEE10hipError_tT1_T2_T3_T4_jRjT5_jjP12ihipStream_tbEUlT_E_NS1_11comp_targetILNS1_3genE10ELNS1_11target_archE1200ELNS1_3gpuE4ELNS1_3repE0EEENS1_44radix_sort_block_sort_config_static_selectorELNS0_4arch9wavefront6targetE1EEEvSF_,comdat
	.protected	_ZN7rocprim17ROCPRIM_400000_NS6detail17trampoline_kernelINS0_13kernel_configILj256ELj4ELj4294967295EEENS1_37radix_sort_block_sort_config_selectorIalEEZNS1_21radix_sort_block_sortIS4_Lb0EPaS8_N6thrust23THRUST_200600_302600_NS10device_ptrIlEESC_NS0_19identity_decomposerEEE10hipError_tT1_T2_T3_T4_jRjT5_jjP12ihipStream_tbEUlT_E_NS1_11comp_targetILNS1_3genE10ELNS1_11target_archE1200ELNS1_3gpuE4ELNS1_3repE0EEENS1_44radix_sort_block_sort_config_static_selectorELNS0_4arch9wavefront6targetE1EEEvSF_ ; -- Begin function _ZN7rocprim17ROCPRIM_400000_NS6detail17trampoline_kernelINS0_13kernel_configILj256ELj4ELj4294967295EEENS1_37radix_sort_block_sort_config_selectorIalEEZNS1_21radix_sort_block_sortIS4_Lb0EPaS8_N6thrust23THRUST_200600_302600_NS10device_ptrIlEESC_NS0_19identity_decomposerEEE10hipError_tT1_T2_T3_T4_jRjT5_jjP12ihipStream_tbEUlT_E_NS1_11comp_targetILNS1_3genE10ELNS1_11target_archE1200ELNS1_3gpuE4ELNS1_3repE0EEENS1_44radix_sort_block_sort_config_static_selectorELNS0_4arch9wavefront6targetE1EEEvSF_
	.globl	_ZN7rocprim17ROCPRIM_400000_NS6detail17trampoline_kernelINS0_13kernel_configILj256ELj4ELj4294967295EEENS1_37radix_sort_block_sort_config_selectorIalEEZNS1_21radix_sort_block_sortIS4_Lb0EPaS8_N6thrust23THRUST_200600_302600_NS10device_ptrIlEESC_NS0_19identity_decomposerEEE10hipError_tT1_T2_T3_T4_jRjT5_jjP12ihipStream_tbEUlT_E_NS1_11comp_targetILNS1_3genE10ELNS1_11target_archE1200ELNS1_3gpuE4ELNS1_3repE0EEENS1_44radix_sort_block_sort_config_static_selectorELNS0_4arch9wavefront6targetE1EEEvSF_
	.p2align	8
	.type	_ZN7rocprim17ROCPRIM_400000_NS6detail17trampoline_kernelINS0_13kernel_configILj256ELj4ELj4294967295EEENS1_37radix_sort_block_sort_config_selectorIalEEZNS1_21radix_sort_block_sortIS4_Lb0EPaS8_N6thrust23THRUST_200600_302600_NS10device_ptrIlEESC_NS0_19identity_decomposerEEE10hipError_tT1_T2_T3_T4_jRjT5_jjP12ihipStream_tbEUlT_E_NS1_11comp_targetILNS1_3genE10ELNS1_11target_archE1200ELNS1_3gpuE4ELNS1_3repE0EEENS1_44radix_sort_block_sort_config_static_selectorELNS0_4arch9wavefront6targetE1EEEvSF_,@function
_ZN7rocprim17ROCPRIM_400000_NS6detail17trampoline_kernelINS0_13kernel_configILj256ELj4ELj4294967295EEENS1_37radix_sort_block_sort_config_selectorIalEEZNS1_21radix_sort_block_sortIS4_Lb0EPaS8_N6thrust23THRUST_200600_302600_NS10device_ptrIlEESC_NS0_19identity_decomposerEEE10hipError_tT1_T2_T3_T4_jRjT5_jjP12ihipStream_tbEUlT_E_NS1_11comp_targetILNS1_3genE10ELNS1_11target_archE1200ELNS1_3gpuE4ELNS1_3repE0EEENS1_44radix_sort_block_sort_config_static_selectorELNS0_4arch9wavefront6targetE1EEEvSF_: ; @_ZN7rocprim17ROCPRIM_400000_NS6detail17trampoline_kernelINS0_13kernel_configILj256ELj4ELj4294967295EEENS1_37radix_sort_block_sort_config_selectorIalEEZNS1_21radix_sort_block_sortIS4_Lb0EPaS8_N6thrust23THRUST_200600_302600_NS10device_ptrIlEESC_NS0_19identity_decomposerEEE10hipError_tT1_T2_T3_T4_jRjT5_jjP12ihipStream_tbEUlT_E_NS1_11comp_targetILNS1_3genE10ELNS1_11target_archE1200ELNS1_3gpuE4ELNS1_3repE0EEENS1_44radix_sort_block_sort_config_static_selectorELNS0_4arch9wavefront6targetE1EEEvSF_
; %bb.0:
	.section	.rodata,"a",@progbits
	.p2align	6, 0x0
	.amdhsa_kernel _ZN7rocprim17ROCPRIM_400000_NS6detail17trampoline_kernelINS0_13kernel_configILj256ELj4ELj4294967295EEENS1_37radix_sort_block_sort_config_selectorIalEEZNS1_21radix_sort_block_sortIS4_Lb0EPaS8_N6thrust23THRUST_200600_302600_NS10device_ptrIlEESC_NS0_19identity_decomposerEEE10hipError_tT1_T2_T3_T4_jRjT5_jjP12ihipStream_tbEUlT_E_NS1_11comp_targetILNS1_3genE10ELNS1_11target_archE1200ELNS1_3gpuE4ELNS1_3repE0EEENS1_44radix_sort_block_sort_config_static_selectorELNS0_4arch9wavefront6targetE1EEEvSF_
		.amdhsa_group_segment_fixed_size 0
		.amdhsa_private_segment_fixed_size 0
		.amdhsa_kernarg_size 48
		.amdhsa_user_sgpr_count 6
		.amdhsa_user_sgpr_private_segment_buffer 1
		.amdhsa_user_sgpr_dispatch_ptr 0
		.amdhsa_user_sgpr_queue_ptr 0
		.amdhsa_user_sgpr_kernarg_segment_ptr 1
		.amdhsa_user_sgpr_dispatch_id 0
		.amdhsa_user_sgpr_flat_scratch_init 0
		.amdhsa_user_sgpr_private_segment_size 0
		.amdhsa_uses_dynamic_stack 0
		.amdhsa_system_sgpr_private_segment_wavefront_offset 0
		.amdhsa_system_sgpr_workgroup_id_x 1
		.amdhsa_system_sgpr_workgroup_id_y 0
		.amdhsa_system_sgpr_workgroup_id_z 0
		.amdhsa_system_sgpr_workgroup_info 0
		.amdhsa_system_vgpr_workitem_id 0
		.amdhsa_next_free_vgpr 1
		.amdhsa_next_free_sgpr 0
		.amdhsa_reserve_vcc 0
		.amdhsa_reserve_flat_scratch 0
		.amdhsa_float_round_mode_32 0
		.amdhsa_float_round_mode_16_64 0
		.amdhsa_float_denorm_mode_32 3
		.amdhsa_float_denorm_mode_16_64 3
		.amdhsa_dx10_clamp 1
		.amdhsa_ieee_mode 1
		.amdhsa_fp16_overflow 0
		.amdhsa_exception_fp_ieee_invalid_op 0
		.amdhsa_exception_fp_denorm_src 0
		.amdhsa_exception_fp_ieee_div_zero 0
		.amdhsa_exception_fp_ieee_overflow 0
		.amdhsa_exception_fp_ieee_underflow 0
		.amdhsa_exception_fp_ieee_inexact 0
		.amdhsa_exception_int_div_zero 0
	.end_amdhsa_kernel
	.section	.text._ZN7rocprim17ROCPRIM_400000_NS6detail17trampoline_kernelINS0_13kernel_configILj256ELj4ELj4294967295EEENS1_37radix_sort_block_sort_config_selectorIalEEZNS1_21radix_sort_block_sortIS4_Lb0EPaS8_N6thrust23THRUST_200600_302600_NS10device_ptrIlEESC_NS0_19identity_decomposerEEE10hipError_tT1_T2_T3_T4_jRjT5_jjP12ihipStream_tbEUlT_E_NS1_11comp_targetILNS1_3genE10ELNS1_11target_archE1200ELNS1_3gpuE4ELNS1_3repE0EEENS1_44radix_sort_block_sort_config_static_selectorELNS0_4arch9wavefront6targetE1EEEvSF_,"axG",@progbits,_ZN7rocprim17ROCPRIM_400000_NS6detail17trampoline_kernelINS0_13kernel_configILj256ELj4ELj4294967295EEENS1_37radix_sort_block_sort_config_selectorIalEEZNS1_21radix_sort_block_sortIS4_Lb0EPaS8_N6thrust23THRUST_200600_302600_NS10device_ptrIlEESC_NS0_19identity_decomposerEEE10hipError_tT1_T2_T3_T4_jRjT5_jjP12ihipStream_tbEUlT_E_NS1_11comp_targetILNS1_3genE10ELNS1_11target_archE1200ELNS1_3gpuE4ELNS1_3repE0EEENS1_44radix_sort_block_sort_config_static_selectorELNS0_4arch9wavefront6targetE1EEEvSF_,comdat
.Lfunc_end466:
	.size	_ZN7rocprim17ROCPRIM_400000_NS6detail17trampoline_kernelINS0_13kernel_configILj256ELj4ELj4294967295EEENS1_37radix_sort_block_sort_config_selectorIalEEZNS1_21radix_sort_block_sortIS4_Lb0EPaS8_N6thrust23THRUST_200600_302600_NS10device_ptrIlEESC_NS0_19identity_decomposerEEE10hipError_tT1_T2_T3_T4_jRjT5_jjP12ihipStream_tbEUlT_E_NS1_11comp_targetILNS1_3genE10ELNS1_11target_archE1200ELNS1_3gpuE4ELNS1_3repE0EEENS1_44radix_sort_block_sort_config_static_selectorELNS0_4arch9wavefront6targetE1EEEvSF_, .Lfunc_end466-_ZN7rocprim17ROCPRIM_400000_NS6detail17trampoline_kernelINS0_13kernel_configILj256ELj4ELj4294967295EEENS1_37radix_sort_block_sort_config_selectorIalEEZNS1_21radix_sort_block_sortIS4_Lb0EPaS8_N6thrust23THRUST_200600_302600_NS10device_ptrIlEESC_NS0_19identity_decomposerEEE10hipError_tT1_T2_T3_T4_jRjT5_jjP12ihipStream_tbEUlT_E_NS1_11comp_targetILNS1_3genE10ELNS1_11target_archE1200ELNS1_3gpuE4ELNS1_3repE0EEENS1_44radix_sort_block_sort_config_static_selectorELNS0_4arch9wavefront6targetE1EEEvSF_
                                        ; -- End function
	.set _ZN7rocprim17ROCPRIM_400000_NS6detail17trampoline_kernelINS0_13kernel_configILj256ELj4ELj4294967295EEENS1_37radix_sort_block_sort_config_selectorIalEEZNS1_21radix_sort_block_sortIS4_Lb0EPaS8_N6thrust23THRUST_200600_302600_NS10device_ptrIlEESC_NS0_19identity_decomposerEEE10hipError_tT1_T2_T3_T4_jRjT5_jjP12ihipStream_tbEUlT_E_NS1_11comp_targetILNS1_3genE10ELNS1_11target_archE1200ELNS1_3gpuE4ELNS1_3repE0EEENS1_44radix_sort_block_sort_config_static_selectorELNS0_4arch9wavefront6targetE1EEEvSF_.num_vgpr, 0
	.set _ZN7rocprim17ROCPRIM_400000_NS6detail17trampoline_kernelINS0_13kernel_configILj256ELj4ELj4294967295EEENS1_37radix_sort_block_sort_config_selectorIalEEZNS1_21radix_sort_block_sortIS4_Lb0EPaS8_N6thrust23THRUST_200600_302600_NS10device_ptrIlEESC_NS0_19identity_decomposerEEE10hipError_tT1_T2_T3_T4_jRjT5_jjP12ihipStream_tbEUlT_E_NS1_11comp_targetILNS1_3genE10ELNS1_11target_archE1200ELNS1_3gpuE4ELNS1_3repE0EEENS1_44radix_sort_block_sort_config_static_selectorELNS0_4arch9wavefront6targetE1EEEvSF_.num_agpr, 0
	.set _ZN7rocprim17ROCPRIM_400000_NS6detail17trampoline_kernelINS0_13kernel_configILj256ELj4ELj4294967295EEENS1_37radix_sort_block_sort_config_selectorIalEEZNS1_21radix_sort_block_sortIS4_Lb0EPaS8_N6thrust23THRUST_200600_302600_NS10device_ptrIlEESC_NS0_19identity_decomposerEEE10hipError_tT1_T2_T3_T4_jRjT5_jjP12ihipStream_tbEUlT_E_NS1_11comp_targetILNS1_3genE10ELNS1_11target_archE1200ELNS1_3gpuE4ELNS1_3repE0EEENS1_44radix_sort_block_sort_config_static_selectorELNS0_4arch9wavefront6targetE1EEEvSF_.numbered_sgpr, 0
	.set _ZN7rocprim17ROCPRIM_400000_NS6detail17trampoline_kernelINS0_13kernel_configILj256ELj4ELj4294967295EEENS1_37radix_sort_block_sort_config_selectorIalEEZNS1_21radix_sort_block_sortIS4_Lb0EPaS8_N6thrust23THRUST_200600_302600_NS10device_ptrIlEESC_NS0_19identity_decomposerEEE10hipError_tT1_T2_T3_T4_jRjT5_jjP12ihipStream_tbEUlT_E_NS1_11comp_targetILNS1_3genE10ELNS1_11target_archE1200ELNS1_3gpuE4ELNS1_3repE0EEENS1_44radix_sort_block_sort_config_static_selectorELNS0_4arch9wavefront6targetE1EEEvSF_.num_named_barrier, 0
	.set _ZN7rocprim17ROCPRIM_400000_NS6detail17trampoline_kernelINS0_13kernel_configILj256ELj4ELj4294967295EEENS1_37radix_sort_block_sort_config_selectorIalEEZNS1_21radix_sort_block_sortIS4_Lb0EPaS8_N6thrust23THRUST_200600_302600_NS10device_ptrIlEESC_NS0_19identity_decomposerEEE10hipError_tT1_T2_T3_T4_jRjT5_jjP12ihipStream_tbEUlT_E_NS1_11comp_targetILNS1_3genE10ELNS1_11target_archE1200ELNS1_3gpuE4ELNS1_3repE0EEENS1_44radix_sort_block_sort_config_static_selectorELNS0_4arch9wavefront6targetE1EEEvSF_.private_seg_size, 0
	.set _ZN7rocprim17ROCPRIM_400000_NS6detail17trampoline_kernelINS0_13kernel_configILj256ELj4ELj4294967295EEENS1_37radix_sort_block_sort_config_selectorIalEEZNS1_21radix_sort_block_sortIS4_Lb0EPaS8_N6thrust23THRUST_200600_302600_NS10device_ptrIlEESC_NS0_19identity_decomposerEEE10hipError_tT1_T2_T3_T4_jRjT5_jjP12ihipStream_tbEUlT_E_NS1_11comp_targetILNS1_3genE10ELNS1_11target_archE1200ELNS1_3gpuE4ELNS1_3repE0EEENS1_44radix_sort_block_sort_config_static_selectorELNS0_4arch9wavefront6targetE1EEEvSF_.uses_vcc, 0
	.set _ZN7rocprim17ROCPRIM_400000_NS6detail17trampoline_kernelINS0_13kernel_configILj256ELj4ELj4294967295EEENS1_37radix_sort_block_sort_config_selectorIalEEZNS1_21radix_sort_block_sortIS4_Lb0EPaS8_N6thrust23THRUST_200600_302600_NS10device_ptrIlEESC_NS0_19identity_decomposerEEE10hipError_tT1_T2_T3_T4_jRjT5_jjP12ihipStream_tbEUlT_E_NS1_11comp_targetILNS1_3genE10ELNS1_11target_archE1200ELNS1_3gpuE4ELNS1_3repE0EEENS1_44radix_sort_block_sort_config_static_selectorELNS0_4arch9wavefront6targetE1EEEvSF_.uses_flat_scratch, 0
	.set _ZN7rocprim17ROCPRIM_400000_NS6detail17trampoline_kernelINS0_13kernel_configILj256ELj4ELj4294967295EEENS1_37radix_sort_block_sort_config_selectorIalEEZNS1_21radix_sort_block_sortIS4_Lb0EPaS8_N6thrust23THRUST_200600_302600_NS10device_ptrIlEESC_NS0_19identity_decomposerEEE10hipError_tT1_T2_T3_T4_jRjT5_jjP12ihipStream_tbEUlT_E_NS1_11comp_targetILNS1_3genE10ELNS1_11target_archE1200ELNS1_3gpuE4ELNS1_3repE0EEENS1_44radix_sort_block_sort_config_static_selectorELNS0_4arch9wavefront6targetE1EEEvSF_.has_dyn_sized_stack, 0
	.set _ZN7rocprim17ROCPRIM_400000_NS6detail17trampoline_kernelINS0_13kernel_configILj256ELj4ELj4294967295EEENS1_37radix_sort_block_sort_config_selectorIalEEZNS1_21radix_sort_block_sortIS4_Lb0EPaS8_N6thrust23THRUST_200600_302600_NS10device_ptrIlEESC_NS0_19identity_decomposerEEE10hipError_tT1_T2_T3_T4_jRjT5_jjP12ihipStream_tbEUlT_E_NS1_11comp_targetILNS1_3genE10ELNS1_11target_archE1200ELNS1_3gpuE4ELNS1_3repE0EEENS1_44radix_sort_block_sort_config_static_selectorELNS0_4arch9wavefront6targetE1EEEvSF_.has_recursion, 0
	.set _ZN7rocprim17ROCPRIM_400000_NS6detail17trampoline_kernelINS0_13kernel_configILj256ELj4ELj4294967295EEENS1_37radix_sort_block_sort_config_selectorIalEEZNS1_21radix_sort_block_sortIS4_Lb0EPaS8_N6thrust23THRUST_200600_302600_NS10device_ptrIlEESC_NS0_19identity_decomposerEEE10hipError_tT1_T2_T3_T4_jRjT5_jjP12ihipStream_tbEUlT_E_NS1_11comp_targetILNS1_3genE10ELNS1_11target_archE1200ELNS1_3gpuE4ELNS1_3repE0EEENS1_44radix_sort_block_sort_config_static_selectorELNS0_4arch9wavefront6targetE1EEEvSF_.has_indirect_call, 0
	.section	.AMDGPU.csdata,"",@progbits
; Kernel info:
; codeLenInByte = 0
; TotalNumSgprs: 4
; NumVgprs: 0
; ScratchSize: 0
; MemoryBound: 0
; FloatMode: 240
; IeeeMode: 1
; LDSByteSize: 0 bytes/workgroup (compile time only)
; SGPRBlocks: 0
; VGPRBlocks: 0
; NumSGPRsForWavesPerEU: 4
; NumVGPRsForWavesPerEU: 1
; Occupancy: 10
; WaveLimiterHint : 0
; COMPUTE_PGM_RSRC2:SCRATCH_EN: 0
; COMPUTE_PGM_RSRC2:USER_SGPR: 6
; COMPUTE_PGM_RSRC2:TRAP_HANDLER: 0
; COMPUTE_PGM_RSRC2:TGID_X_EN: 1
; COMPUTE_PGM_RSRC2:TGID_Y_EN: 0
; COMPUTE_PGM_RSRC2:TGID_Z_EN: 0
; COMPUTE_PGM_RSRC2:TIDIG_COMP_CNT: 0
	.section	.text._ZN7rocprim17ROCPRIM_400000_NS6detail17trampoline_kernelINS0_13kernel_configILj256ELj4ELj4294967295EEENS1_37radix_sort_block_sort_config_selectorIalEEZNS1_21radix_sort_block_sortIS4_Lb0EPaS8_N6thrust23THRUST_200600_302600_NS10device_ptrIlEESC_NS0_19identity_decomposerEEE10hipError_tT1_T2_T3_T4_jRjT5_jjP12ihipStream_tbEUlT_E_NS1_11comp_targetILNS1_3genE9ELNS1_11target_archE1100ELNS1_3gpuE3ELNS1_3repE0EEENS1_44radix_sort_block_sort_config_static_selectorELNS0_4arch9wavefront6targetE1EEEvSF_,"axG",@progbits,_ZN7rocprim17ROCPRIM_400000_NS6detail17trampoline_kernelINS0_13kernel_configILj256ELj4ELj4294967295EEENS1_37radix_sort_block_sort_config_selectorIalEEZNS1_21radix_sort_block_sortIS4_Lb0EPaS8_N6thrust23THRUST_200600_302600_NS10device_ptrIlEESC_NS0_19identity_decomposerEEE10hipError_tT1_T2_T3_T4_jRjT5_jjP12ihipStream_tbEUlT_E_NS1_11comp_targetILNS1_3genE9ELNS1_11target_archE1100ELNS1_3gpuE3ELNS1_3repE0EEENS1_44radix_sort_block_sort_config_static_selectorELNS0_4arch9wavefront6targetE1EEEvSF_,comdat
	.protected	_ZN7rocprim17ROCPRIM_400000_NS6detail17trampoline_kernelINS0_13kernel_configILj256ELj4ELj4294967295EEENS1_37radix_sort_block_sort_config_selectorIalEEZNS1_21radix_sort_block_sortIS4_Lb0EPaS8_N6thrust23THRUST_200600_302600_NS10device_ptrIlEESC_NS0_19identity_decomposerEEE10hipError_tT1_T2_T3_T4_jRjT5_jjP12ihipStream_tbEUlT_E_NS1_11comp_targetILNS1_3genE9ELNS1_11target_archE1100ELNS1_3gpuE3ELNS1_3repE0EEENS1_44radix_sort_block_sort_config_static_selectorELNS0_4arch9wavefront6targetE1EEEvSF_ ; -- Begin function _ZN7rocprim17ROCPRIM_400000_NS6detail17trampoline_kernelINS0_13kernel_configILj256ELj4ELj4294967295EEENS1_37radix_sort_block_sort_config_selectorIalEEZNS1_21radix_sort_block_sortIS4_Lb0EPaS8_N6thrust23THRUST_200600_302600_NS10device_ptrIlEESC_NS0_19identity_decomposerEEE10hipError_tT1_T2_T3_T4_jRjT5_jjP12ihipStream_tbEUlT_E_NS1_11comp_targetILNS1_3genE9ELNS1_11target_archE1100ELNS1_3gpuE3ELNS1_3repE0EEENS1_44radix_sort_block_sort_config_static_selectorELNS0_4arch9wavefront6targetE1EEEvSF_
	.globl	_ZN7rocprim17ROCPRIM_400000_NS6detail17trampoline_kernelINS0_13kernel_configILj256ELj4ELj4294967295EEENS1_37radix_sort_block_sort_config_selectorIalEEZNS1_21radix_sort_block_sortIS4_Lb0EPaS8_N6thrust23THRUST_200600_302600_NS10device_ptrIlEESC_NS0_19identity_decomposerEEE10hipError_tT1_T2_T3_T4_jRjT5_jjP12ihipStream_tbEUlT_E_NS1_11comp_targetILNS1_3genE9ELNS1_11target_archE1100ELNS1_3gpuE3ELNS1_3repE0EEENS1_44radix_sort_block_sort_config_static_selectorELNS0_4arch9wavefront6targetE1EEEvSF_
	.p2align	8
	.type	_ZN7rocprim17ROCPRIM_400000_NS6detail17trampoline_kernelINS0_13kernel_configILj256ELj4ELj4294967295EEENS1_37radix_sort_block_sort_config_selectorIalEEZNS1_21radix_sort_block_sortIS4_Lb0EPaS8_N6thrust23THRUST_200600_302600_NS10device_ptrIlEESC_NS0_19identity_decomposerEEE10hipError_tT1_T2_T3_T4_jRjT5_jjP12ihipStream_tbEUlT_E_NS1_11comp_targetILNS1_3genE9ELNS1_11target_archE1100ELNS1_3gpuE3ELNS1_3repE0EEENS1_44radix_sort_block_sort_config_static_selectorELNS0_4arch9wavefront6targetE1EEEvSF_,@function
_ZN7rocprim17ROCPRIM_400000_NS6detail17trampoline_kernelINS0_13kernel_configILj256ELj4ELj4294967295EEENS1_37radix_sort_block_sort_config_selectorIalEEZNS1_21radix_sort_block_sortIS4_Lb0EPaS8_N6thrust23THRUST_200600_302600_NS10device_ptrIlEESC_NS0_19identity_decomposerEEE10hipError_tT1_T2_T3_T4_jRjT5_jjP12ihipStream_tbEUlT_E_NS1_11comp_targetILNS1_3genE9ELNS1_11target_archE1100ELNS1_3gpuE3ELNS1_3repE0EEENS1_44radix_sort_block_sort_config_static_selectorELNS0_4arch9wavefront6targetE1EEEvSF_: ; @_ZN7rocprim17ROCPRIM_400000_NS6detail17trampoline_kernelINS0_13kernel_configILj256ELj4ELj4294967295EEENS1_37radix_sort_block_sort_config_selectorIalEEZNS1_21radix_sort_block_sortIS4_Lb0EPaS8_N6thrust23THRUST_200600_302600_NS10device_ptrIlEESC_NS0_19identity_decomposerEEE10hipError_tT1_T2_T3_T4_jRjT5_jjP12ihipStream_tbEUlT_E_NS1_11comp_targetILNS1_3genE9ELNS1_11target_archE1100ELNS1_3gpuE3ELNS1_3repE0EEENS1_44radix_sort_block_sort_config_static_selectorELNS0_4arch9wavefront6targetE1EEEvSF_
; %bb.0:
	.section	.rodata,"a",@progbits
	.p2align	6, 0x0
	.amdhsa_kernel _ZN7rocprim17ROCPRIM_400000_NS6detail17trampoline_kernelINS0_13kernel_configILj256ELj4ELj4294967295EEENS1_37radix_sort_block_sort_config_selectorIalEEZNS1_21radix_sort_block_sortIS4_Lb0EPaS8_N6thrust23THRUST_200600_302600_NS10device_ptrIlEESC_NS0_19identity_decomposerEEE10hipError_tT1_T2_T3_T4_jRjT5_jjP12ihipStream_tbEUlT_E_NS1_11comp_targetILNS1_3genE9ELNS1_11target_archE1100ELNS1_3gpuE3ELNS1_3repE0EEENS1_44radix_sort_block_sort_config_static_selectorELNS0_4arch9wavefront6targetE1EEEvSF_
		.amdhsa_group_segment_fixed_size 0
		.amdhsa_private_segment_fixed_size 0
		.amdhsa_kernarg_size 48
		.amdhsa_user_sgpr_count 6
		.amdhsa_user_sgpr_private_segment_buffer 1
		.amdhsa_user_sgpr_dispatch_ptr 0
		.amdhsa_user_sgpr_queue_ptr 0
		.amdhsa_user_sgpr_kernarg_segment_ptr 1
		.amdhsa_user_sgpr_dispatch_id 0
		.amdhsa_user_sgpr_flat_scratch_init 0
		.amdhsa_user_sgpr_private_segment_size 0
		.amdhsa_uses_dynamic_stack 0
		.amdhsa_system_sgpr_private_segment_wavefront_offset 0
		.amdhsa_system_sgpr_workgroup_id_x 1
		.amdhsa_system_sgpr_workgroup_id_y 0
		.amdhsa_system_sgpr_workgroup_id_z 0
		.amdhsa_system_sgpr_workgroup_info 0
		.amdhsa_system_vgpr_workitem_id 0
		.amdhsa_next_free_vgpr 1
		.amdhsa_next_free_sgpr 0
		.amdhsa_reserve_vcc 0
		.amdhsa_reserve_flat_scratch 0
		.amdhsa_float_round_mode_32 0
		.amdhsa_float_round_mode_16_64 0
		.amdhsa_float_denorm_mode_32 3
		.amdhsa_float_denorm_mode_16_64 3
		.amdhsa_dx10_clamp 1
		.amdhsa_ieee_mode 1
		.amdhsa_fp16_overflow 0
		.amdhsa_exception_fp_ieee_invalid_op 0
		.amdhsa_exception_fp_denorm_src 0
		.amdhsa_exception_fp_ieee_div_zero 0
		.amdhsa_exception_fp_ieee_overflow 0
		.amdhsa_exception_fp_ieee_underflow 0
		.amdhsa_exception_fp_ieee_inexact 0
		.amdhsa_exception_int_div_zero 0
	.end_amdhsa_kernel
	.section	.text._ZN7rocprim17ROCPRIM_400000_NS6detail17trampoline_kernelINS0_13kernel_configILj256ELj4ELj4294967295EEENS1_37radix_sort_block_sort_config_selectorIalEEZNS1_21radix_sort_block_sortIS4_Lb0EPaS8_N6thrust23THRUST_200600_302600_NS10device_ptrIlEESC_NS0_19identity_decomposerEEE10hipError_tT1_T2_T3_T4_jRjT5_jjP12ihipStream_tbEUlT_E_NS1_11comp_targetILNS1_3genE9ELNS1_11target_archE1100ELNS1_3gpuE3ELNS1_3repE0EEENS1_44radix_sort_block_sort_config_static_selectorELNS0_4arch9wavefront6targetE1EEEvSF_,"axG",@progbits,_ZN7rocprim17ROCPRIM_400000_NS6detail17trampoline_kernelINS0_13kernel_configILj256ELj4ELj4294967295EEENS1_37radix_sort_block_sort_config_selectorIalEEZNS1_21radix_sort_block_sortIS4_Lb0EPaS8_N6thrust23THRUST_200600_302600_NS10device_ptrIlEESC_NS0_19identity_decomposerEEE10hipError_tT1_T2_T3_T4_jRjT5_jjP12ihipStream_tbEUlT_E_NS1_11comp_targetILNS1_3genE9ELNS1_11target_archE1100ELNS1_3gpuE3ELNS1_3repE0EEENS1_44radix_sort_block_sort_config_static_selectorELNS0_4arch9wavefront6targetE1EEEvSF_,comdat
.Lfunc_end467:
	.size	_ZN7rocprim17ROCPRIM_400000_NS6detail17trampoline_kernelINS0_13kernel_configILj256ELj4ELj4294967295EEENS1_37radix_sort_block_sort_config_selectorIalEEZNS1_21radix_sort_block_sortIS4_Lb0EPaS8_N6thrust23THRUST_200600_302600_NS10device_ptrIlEESC_NS0_19identity_decomposerEEE10hipError_tT1_T2_T3_T4_jRjT5_jjP12ihipStream_tbEUlT_E_NS1_11comp_targetILNS1_3genE9ELNS1_11target_archE1100ELNS1_3gpuE3ELNS1_3repE0EEENS1_44radix_sort_block_sort_config_static_selectorELNS0_4arch9wavefront6targetE1EEEvSF_, .Lfunc_end467-_ZN7rocprim17ROCPRIM_400000_NS6detail17trampoline_kernelINS0_13kernel_configILj256ELj4ELj4294967295EEENS1_37radix_sort_block_sort_config_selectorIalEEZNS1_21radix_sort_block_sortIS4_Lb0EPaS8_N6thrust23THRUST_200600_302600_NS10device_ptrIlEESC_NS0_19identity_decomposerEEE10hipError_tT1_T2_T3_T4_jRjT5_jjP12ihipStream_tbEUlT_E_NS1_11comp_targetILNS1_3genE9ELNS1_11target_archE1100ELNS1_3gpuE3ELNS1_3repE0EEENS1_44radix_sort_block_sort_config_static_selectorELNS0_4arch9wavefront6targetE1EEEvSF_
                                        ; -- End function
	.set _ZN7rocprim17ROCPRIM_400000_NS6detail17trampoline_kernelINS0_13kernel_configILj256ELj4ELj4294967295EEENS1_37radix_sort_block_sort_config_selectorIalEEZNS1_21radix_sort_block_sortIS4_Lb0EPaS8_N6thrust23THRUST_200600_302600_NS10device_ptrIlEESC_NS0_19identity_decomposerEEE10hipError_tT1_T2_T3_T4_jRjT5_jjP12ihipStream_tbEUlT_E_NS1_11comp_targetILNS1_3genE9ELNS1_11target_archE1100ELNS1_3gpuE3ELNS1_3repE0EEENS1_44radix_sort_block_sort_config_static_selectorELNS0_4arch9wavefront6targetE1EEEvSF_.num_vgpr, 0
	.set _ZN7rocprim17ROCPRIM_400000_NS6detail17trampoline_kernelINS0_13kernel_configILj256ELj4ELj4294967295EEENS1_37radix_sort_block_sort_config_selectorIalEEZNS1_21radix_sort_block_sortIS4_Lb0EPaS8_N6thrust23THRUST_200600_302600_NS10device_ptrIlEESC_NS0_19identity_decomposerEEE10hipError_tT1_T2_T3_T4_jRjT5_jjP12ihipStream_tbEUlT_E_NS1_11comp_targetILNS1_3genE9ELNS1_11target_archE1100ELNS1_3gpuE3ELNS1_3repE0EEENS1_44radix_sort_block_sort_config_static_selectorELNS0_4arch9wavefront6targetE1EEEvSF_.num_agpr, 0
	.set _ZN7rocprim17ROCPRIM_400000_NS6detail17trampoline_kernelINS0_13kernel_configILj256ELj4ELj4294967295EEENS1_37radix_sort_block_sort_config_selectorIalEEZNS1_21radix_sort_block_sortIS4_Lb0EPaS8_N6thrust23THRUST_200600_302600_NS10device_ptrIlEESC_NS0_19identity_decomposerEEE10hipError_tT1_T2_T3_T4_jRjT5_jjP12ihipStream_tbEUlT_E_NS1_11comp_targetILNS1_3genE9ELNS1_11target_archE1100ELNS1_3gpuE3ELNS1_3repE0EEENS1_44radix_sort_block_sort_config_static_selectorELNS0_4arch9wavefront6targetE1EEEvSF_.numbered_sgpr, 0
	.set _ZN7rocprim17ROCPRIM_400000_NS6detail17trampoline_kernelINS0_13kernel_configILj256ELj4ELj4294967295EEENS1_37radix_sort_block_sort_config_selectorIalEEZNS1_21radix_sort_block_sortIS4_Lb0EPaS8_N6thrust23THRUST_200600_302600_NS10device_ptrIlEESC_NS0_19identity_decomposerEEE10hipError_tT1_T2_T3_T4_jRjT5_jjP12ihipStream_tbEUlT_E_NS1_11comp_targetILNS1_3genE9ELNS1_11target_archE1100ELNS1_3gpuE3ELNS1_3repE0EEENS1_44radix_sort_block_sort_config_static_selectorELNS0_4arch9wavefront6targetE1EEEvSF_.num_named_barrier, 0
	.set _ZN7rocprim17ROCPRIM_400000_NS6detail17trampoline_kernelINS0_13kernel_configILj256ELj4ELj4294967295EEENS1_37radix_sort_block_sort_config_selectorIalEEZNS1_21radix_sort_block_sortIS4_Lb0EPaS8_N6thrust23THRUST_200600_302600_NS10device_ptrIlEESC_NS0_19identity_decomposerEEE10hipError_tT1_T2_T3_T4_jRjT5_jjP12ihipStream_tbEUlT_E_NS1_11comp_targetILNS1_3genE9ELNS1_11target_archE1100ELNS1_3gpuE3ELNS1_3repE0EEENS1_44radix_sort_block_sort_config_static_selectorELNS0_4arch9wavefront6targetE1EEEvSF_.private_seg_size, 0
	.set _ZN7rocprim17ROCPRIM_400000_NS6detail17trampoline_kernelINS0_13kernel_configILj256ELj4ELj4294967295EEENS1_37radix_sort_block_sort_config_selectorIalEEZNS1_21radix_sort_block_sortIS4_Lb0EPaS8_N6thrust23THRUST_200600_302600_NS10device_ptrIlEESC_NS0_19identity_decomposerEEE10hipError_tT1_T2_T3_T4_jRjT5_jjP12ihipStream_tbEUlT_E_NS1_11comp_targetILNS1_3genE9ELNS1_11target_archE1100ELNS1_3gpuE3ELNS1_3repE0EEENS1_44radix_sort_block_sort_config_static_selectorELNS0_4arch9wavefront6targetE1EEEvSF_.uses_vcc, 0
	.set _ZN7rocprim17ROCPRIM_400000_NS6detail17trampoline_kernelINS0_13kernel_configILj256ELj4ELj4294967295EEENS1_37radix_sort_block_sort_config_selectorIalEEZNS1_21radix_sort_block_sortIS4_Lb0EPaS8_N6thrust23THRUST_200600_302600_NS10device_ptrIlEESC_NS0_19identity_decomposerEEE10hipError_tT1_T2_T3_T4_jRjT5_jjP12ihipStream_tbEUlT_E_NS1_11comp_targetILNS1_3genE9ELNS1_11target_archE1100ELNS1_3gpuE3ELNS1_3repE0EEENS1_44radix_sort_block_sort_config_static_selectorELNS0_4arch9wavefront6targetE1EEEvSF_.uses_flat_scratch, 0
	.set _ZN7rocprim17ROCPRIM_400000_NS6detail17trampoline_kernelINS0_13kernel_configILj256ELj4ELj4294967295EEENS1_37radix_sort_block_sort_config_selectorIalEEZNS1_21radix_sort_block_sortIS4_Lb0EPaS8_N6thrust23THRUST_200600_302600_NS10device_ptrIlEESC_NS0_19identity_decomposerEEE10hipError_tT1_T2_T3_T4_jRjT5_jjP12ihipStream_tbEUlT_E_NS1_11comp_targetILNS1_3genE9ELNS1_11target_archE1100ELNS1_3gpuE3ELNS1_3repE0EEENS1_44radix_sort_block_sort_config_static_selectorELNS0_4arch9wavefront6targetE1EEEvSF_.has_dyn_sized_stack, 0
	.set _ZN7rocprim17ROCPRIM_400000_NS6detail17trampoline_kernelINS0_13kernel_configILj256ELj4ELj4294967295EEENS1_37radix_sort_block_sort_config_selectorIalEEZNS1_21radix_sort_block_sortIS4_Lb0EPaS8_N6thrust23THRUST_200600_302600_NS10device_ptrIlEESC_NS0_19identity_decomposerEEE10hipError_tT1_T2_T3_T4_jRjT5_jjP12ihipStream_tbEUlT_E_NS1_11comp_targetILNS1_3genE9ELNS1_11target_archE1100ELNS1_3gpuE3ELNS1_3repE0EEENS1_44radix_sort_block_sort_config_static_selectorELNS0_4arch9wavefront6targetE1EEEvSF_.has_recursion, 0
	.set _ZN7rocprim17ROCPRIM_400000_NS6detail17trampoline_kernelINS0_13kernel_configILj256ELj4ELj4294967295EEENS1_37radix_sort_block_sort_config_selectorIalEEZNS1_21radix_sort_block_sortIS4_Lb0EPaS8_N6thrust23THRUST_200600_302600_NS10device_ptrIlEESC_NS0_19identity_decomposerEEE10hipError_tT1_T2_T3_T4_jRjT5_jjP12ihipStream_tbEUlT_E_NS1_11comp_targetILNS1_3genE9ELNS1_11target_archE1100ELNS1_3gpuE3ELNS1_3repE0EEENS1_44radix_sort_block_sort_config_static_selectorELNS0_4arch9wavefront6targetE1EEEvSF_.has_indirect_call, 0
	.section	.AMDGPU.csdata,"",@progbits
; Kernel info:
; codeLenInByte = 0
; TotalNumSgprs: 4
; NumVgprs: 0
; ScratchSize: 0
; MemoryBound: 0
; FloatMode: 240
; IeeeMode: 1
; LDSByteSize: 0 bytes/workgroup (compile time only)
; SGPRBlocks: 0
; VGPRBlocks: 0
; NumSGPRsForWavesPerEU: 4
; NumVGPRsForWavesPerEU: 1
; Occupancy: 10
; WaveLimiterHint : 0
; COMPUTE_PGM_RSRC2:SCRATCH_EN: 0
; COMPUTE_PGM_RSRC2:USER_SGPR: 6
; COMPUTE_PGM_RSRC2:TRAP_HANDLER: 0
; COMPUTE_PGM_RSRC2:TGID_X_EN: 1
; COMPUTE_PGM_RSRC2:TGID_Y_EN: 0
; COMPUTE_PGM_RSRC2:TGID_Z_EN: 0
; COMPUTE_PGM_RSRC2:TIDIG_COMP_CNT: 0
	.section	.text._ZN7rocprim17ROCPRIM_400000_NS6detail17trampoline_kernelINS0_13kernel_configILj256ELj4ELj4294967295EEENS1_37radix_sort_block_sort_config_selectorIalEEZNS1_21radix_sort_block_sortIS4_Lb0EPaS8_N6thrust23THRUST_200600_302600_NS10device_ptrIlEESC_NS0_19identity_decomposerEEE10hipError_tT1_T2_T3_T4_jRjT5_jjP12ihipStream_tbEUlT_E_NS1_11comp_targetILNS1_3genE8ELNS1_11target_archE1030ELNS1_3gpuE2ELNS1_3repE0EEENS1_44radix_sort_block_sort_config_static_selectorELNS0_4arch9wavefront6targetE1EEEvSF_,"axG",@progbits,_ZN7rocprim17ROCPRIM_400000_NS6detail17trampoline_kernelINS0_13kernel_configILj256ELj4ELj4294967295EEENS1_37radix_sort_block_sort_config_selectorIalEEZNS1_21radix_sort_block_sortIS4_Lb0EPaS8_N6thrust23THRUST_200600_302600_NS10device_ptrIlEESC_NS0_19identity_decomposerEEE10hipError_tT1_T2_T3_T4_jRjT5_jjP12ihipStream_tbEUlT_E_NS1_11comp_targetILNS1_3genE8ELNS1_11target_archE1030ELNS1_3gpuE2ELNS1_3repE0EEENS1_44radix_sort_block_sort_config_static_selectorELNS0_4arch9wavefront6targetE1EEEvSF_,comdat
	.protected	_ZN7rocprim17ROCPRIM_400000_NS6detail17trampoline_kernelINS0_13kernel_configILj256ELj4ELj4294967295EEENS1_37radix_sort_block_sort_config_selectorIalEEZNS1_21radix_sort_block_sortIS4_Lb0EPaS8_N6thrust23THRUST_200600_302600_NS10device_ptrIlEESC_NS0_19identity_decomposerEEE10hipError_tT1_T2_T3_T4_jRjT5_jjP12ihipStream_tbEUlT_E_NS1_11comp_targetILNS1_3genE8ELNS1_11target_archE1030ELNS1_3gpuE2ELNS1_3repE0EEENS1_44radix_sort_block_sort_config_static_selectorELNS0_4arch9wavefront6targetE1EEEvSF_ ; -- Begin function _ZN7rocprim17ROCPRIM_400000_NS6detail17trampoline_kernelINS0_13kernel_configILj256ELj4ELj4294967295EEENS1_37radix_sort_block_sort_config_selectorIalEEZNS1_21radix_sort_block_sortIS4_Lb0EPaS8_N6thrust23THRUST_200600_302600_NS10device_ptrIlEESC_NS0_19identity_decomposerEEE10hipError_tT1_T2_T3_T4_jRjT5_jjP12ihipStream_tbEUlT_E_NS1_11comp_targetILNS1_3genE8ELNS1_11target_archE1030ELNS1_3gpuE2ELNS1_3repE0EEENS1_44radix_sort_block_sort_config_static_selectorELNS0_4arch9wavefront6targetE1EEEvSF_
	.globl	_ZN7rocprim17ROCPRIM_400000_NS6detail17trampoline_kernelINS0_13kernel_configILj256ELj4ELj4294967295EEENS1_37radix_sort_block_sort_config_selectorIalEEZNS1_21radix_sort_block_sortIS4_Lb0EPaS8_N6thrust23THRUST_200600_302600_NS10device_ptrIlEESC_NS0_19identity_decomposerEEE10hipError_tT1_T2_T3_T4_jRjT5_jjP12ihipStream_tbEUlT_E_NS1_11comp_targetILNS1_3genE8ELNS1_11target_archE1030ELNS1_3gpuE2ELNS1_3repE0EEENS1_44radix_sort_block_sort_config_static_selectorELNS0_4arch9wavefront6targetE1EEEvSF_
	.p2align	8
	.type	_ZN7rocprim17ROCPRIM_400000_NS6detail17trampoline_kernelINS0_13kernel_configILj256ELj4ELj4294967295EEENS1_37radix_sort_block_sort_config_selectorIalEEZNS1_21radix_sort_block_sortIS4_Lb0EPaS8_N6thrust23THRUST_200600_302600_NS10device_ptrIlEESC_NS0_19identity_decomposerEEE10hipError_tT1_T2_T3_T4_jRjT5_jjP12ihipStream_tbEUlT_E_NS1_11comp_targetILNS1_3genE8ELNS1_11target_archE1030ELNS1_3gpuE2ELNS1_3repE0EEENS1_44radix_sort_block_sort_config_static_selectorELNS0_4arch9wavefront6targetE1EEEvSF_,@function
_ZN7rocprim17ROCPRIM_400000_NS6detail17trampoline_kernelINS0_13kernel_configILj256ELj4ELj4294967295EEENS1_37radix_sort_block_sort_config_selectorIalEEZNS1_21radix_sort_block_sortIS4_Lb0EPaS8_N6thrust23THRUST_200600_302600_NS10device_ptrIlEESC_NS0_19identity_decomposerEEE10hipError_tT1_T2_T3_T4_jRjT5_jjP12ihipStream_tbEUlT_E_NS1_11comp_targetILNS1_3genE8ELNS1_11target_archE1030ELNS1_3gpuE2ELNS1_3repE0EEENS1_44radix_sort_block_sort_config_static_selectorELNS0_4arch9wavefront6targetE1EEEvSF_: ; @_ZN7rocprim17ROCPRIM_400000_NS6detail17trampoline_kernelINS0_13kernel_configILj256ELj4ELj4294967295EEENS1_37radix_sort_block_sort_config_selectorIalEEZNS1_21radix_sort_block_sortIS4_Lb0EPaS8_N6thrust23THRUST_200600_302600_NS10device_ptrIlEESC_NS0_19identity_decomposerEEE10hipError_tT1_T2_T3_T4_jRjT5_jjP12ihipStream_tbEUlT_E_NS1_11comp_targetILNS1_3genE8ELNS1_11target_archE1030ELNS1_3gpuE2ELNS1_3repE0EEENS1_44radix_sort_block_sort_config_static_selectorELNS0_4arch9wavefront6targetE1EEEvSF_
; %bb.0:
	.section	.rodata,"a",@progbits
	.p2align	6, 0x0
	.amdhsa_kernel _ZN7rocprim17ROCPRIM_400000_NS6detail17trampoline_kernelINS0_13kernel_configILj256ELj4ELj4294967295EEENS1_37radix_sort_block_sort_config_selectorIalEEZNS1_21radix_sort_block_sortIS4_Lb0EPaS8_N6thrust23THRUST_200600_302600_NS10device_ptrIlEESC_NS0_19identity_decomposerEEE10hipError_tT1_T2_T3_T4_jRjT5_jjP12ihipStream_tbEUlT_E_NS1_11comp_targetILNS1_3genE8ELNS1_11target_archE1030ELNS1_3gpuE2ELNS1_3repE0EEENS1_44radix_sort_block_sort_config_static_selectorELNS0_4arch9wavefront6targetE1EEEvSF_
		.amdhsa_group_segment_fixed_size 0
		.amdhsa_private_segment_fixed_size 0
		.amdhsa_kernarg_size 48
		.amdhsa_user_sgpr_count 6
		.amdhsa_user_sgpr_private_segment_buffer 1
		.amdhsa_user_sgpr_dispatch_ptr 0
		.amdhsa_user_sgpr_queue_ptr 0
		.amdhsa_user_sgpr_kernarg_segment_ptr 1
		.amdhsa_user_sgpr_dispatch_id 0
		.amdhsa_user_sgpr_flat_scratch_init 0
		.amdhsa_user_sgpr_private_segment_size 0
		.amdhsa_uses_dynamic_stack 0
		.amdhsa_system_sgpr_private_segment_wavefront_offset 0
		.amdhsa_system_sgpr_workgroup_id_x 1
		.amdhsa_system_sgpr_workgroup_id_y 0
		.amdhsa_system_sgpr_workgroup_id_z 0
		.amdhsa_system_sgpr_workgroup_info 0
		.amdhsa_system_vgpr_workitem_id 0
		.amdhsa_next_free_vgpr 1
		.amdhsa_next_free_sgpr 0
		.amdhsa_reserve_vcc 0
		.amdhsa_reserve_flat_scratch 0
		.amdhsa_float_round_mode_32 0
		.amdhsa_float_round_mode_16_64 0
		.amdhsa_float_denorm_mode_32 3
		.amdhsa_float_denorm_mode_16_64 3
		.amdhsa_dx10_clamp 1
		.amdhsa_ieee_mode 1
		.amdhsa_fp16_overflow 0
		.amdhsa_exception_fp_ieee_invalid_op 0
		.amdhsa_exception_fp_denorm_src 0
		.amdhsa_exception_fp_ieee_div_zero 0
		.amdhsa_exception_fp_ieee_overflow 0
		.amdhsa_exception_fp_ieee_underflow 0
		.amdhsa_exception_fp_ieee_inexact 0
		.amdhsa_exception_int_div_zero 0
	.end_amdhsa_kernel
	.section	.text._ZN7rocprim17ROCPRIM_400000_NS6detail17trampoline_kernelINS0_13kernel_configILj256ELj4ELj4294967295EEENS1_37radix_sort_block_sort_config_selectorIalEEZNS1_21radix_sort_block_sortIS4_Lb0EPaS8_N6thrust23THRUST_200600_302600_NS10device_ptrIlEESC_NS0_19identity_decomposerEEE10hipError_tT1_T2_T3_T4_jRjT5_jjP12ihipStream_tbEUlT_E_NS1_11comp_targetILNS1_3genE8ELNS1_11target_archE1030ELNS1_3gpuE2ELNS1_3repE0EEENS1_44radix_sort_block_sort_config_static_selectorELNS0_4arch9wavefront6targetE1EEEvSF_,"axG",@progbits,_ZN7rocprim17ROCPRIM_400000_NS6detail17trampoline_kernelINS0_13kernel_configILj256ELj4ELj4294967295EEENS1_37radix_sort_block_sort_config_selectorIalEEZNS1_21radix_sort_block_sortIS4_Lb0EPaS8_N6thrust23THRUST_200600_302600_NS10device_ptrIlEESC_NS0_19identity_decomposerEEE10hipError_tT1_T2_T3_T4_jRjT5_jjP12ihipStream_tbEUlT_E_NS1_11comp_targetILNS1_3genE8ELNS1_11target_archE1030ELNS1_3gpuE2ELNS1_3repE0EEENS1_44radix_sort_block_sort_config_static_selectorELNS0_4arch9wavefront6targetE1EEEvSF_,comdat
.Lfunc_end468:
	.size	_ZN7rocprim17ROCPRIM_400000_NS6detail17trampoline_kernelINS0_13kernel_configILj256ELj4ELj4294967295EEENS1_37radix_sort_block_sort_config_selectorIalEEZNS1_21radix_sort_block_sortIS4_Lb0EPaS8_N6thrust23THRUST_200600_302600_NS10device_ptrIlEESC_NS0_19identity_decomposerEEE10hipError_tT1_T2_T3_T4_jRjT5_jjP12ihipStream_tbEUlT_E_NS1_11comp_targetILNS1_3genE8ELNS1_11target_archE1030ELNS1_3gpuE2ELNS1_3repE0EEENS1_44radix_sort_block_sort_config_static_selectorELNS0_4arch9wavefront6targetE1EEEvSF_, .Lfunc_end468-_ZN7rocprim17ROCPRIM_400000_NS6detail17trampoline_kernelINS0_13kernel_configILj256ELj4ELj4294967295EEENS1_37radix_sort_block_sort_config_selectorIalEEZNS1_21radix_sort_block_sortIS4_Lb0EPaS8_N6thrust23THRUST_200600_302600_NS10device_ptrIlEESC_NS0_19identity_decomposerEEE10hipError_tT1_T2_T3_T4_jRjT5_jjP12ihipStream_tbEUlT_E_NS1_11comp_targetILNS1_3genE8ELNS1_11target_archE1030ELNS1_3gpuE2ELNS1_3repE0EEENS1_44radix_sort_block_sort_config_static_selectorELNS0_4arch9wavefront6targetE1EEEvSF_
                                        ; -- End function
	.set _ZN7rocprim17ROCPRIM_400000_NS6detail17trampoline_kernelINS0_13kernel_configILj256ELj4ELj4294967295EEENS1_37radix_sort_block_sort_config_selectorIalEEZNS1_21radix_sort_block_sortIS4_Lb0EPaS8_N6thrust23THRUST_200600_302600_NS10device_ptrIlEESC_NS0_19identity_decomposerEEE10hipError_tT1_T2_T3_T4_jRjT5_jjP12ihipStream_tbEUlT_E_NS1_11comp_targetILNS1_3genE8ELNS1_11target_archE1030ELNS1_3gpuE2ELNS1_3repE0EEENS1_44radix_sort_block_sort_config_static_selectorELNS0_4arch9wavefront6targetE1EEEvSF_.num_vgpr, 0
	.set _ZN7rocprim17ROCPRIM_400000_NS6detail17trampoline_kernelINS0_13kernel_configILj256ELj4ELj4294967295EEENS1_37radix_sort_block_sort_config_selectorIalEEZNS1_21radix_sort_block_sortIS4_Lb0EPaS8_N6thrust23THRUST_200600_302600_NS10device_ptrIlEESC_NS0_19identity_decomposerEEE10hipError_tT1_T2_T3_T4_jRjT5_jjP12ihipStream_tbEUlT_E_NS1_11comp_targetILNS1_3genE8ELNS1_11target_archE1030ELNS1_3gpuE2ELNS1_3repE0EEENS1_44radix_sort_block_sort_config_static_selectorELNS0_4arch9wavefront6targetE1EEEvSF_.num_agpr, 0
	.set _ZN7rocprim17ROCPRIM_400000_NS6detail17trampoline_kernelINS0_13kernel_configILj256ELj4ELj4294967295EEENS1_37radix_sort_block_sort_config_selectorIalEEZNS1_21radix_sort_block_sortIS4_Lb0EPaS8_N6thrust23THRUST_200600_302600_NS10device_ptrIlEESC_NS0_19identity_decomposerEEE10hipError_tT1_T2_T3_T4_jRjT5_jjP12ihipStream_tbEUlT_E_NS1_11comp_targetILNS1_3genE8ELNS1_11target_archE1030ELNS1_3gpuE2ELNS1_3repE0EEENS1_44radix_sort_block_sort_config_static_selectorELNS0_4arch9wavefront6targetE1EEEvSF_.numbered_sgpr, 0
	.set _ZN7rocprim17ROCPRIM_400000_NS6detail17trampoline_kernelINS0_13kernel_configILj256ELj4ELj4294967295EEENS1_37radix_sort_block_sort_config_selectorIalEEZNS1_21radix_sort_block_sortIS4_Lb0EPaS8_N6thrust23THRUST_200600_302600_NS10device_ptrIlEESC_NS0_19identity_decomposerEEE10hipError_tT1_T2_T3_T4_jRjT5_jjP12ihipStream_tbEUlT_E_NS1_11comp_targetILNS1_3genE8ELNS1_11target_archE1030ELNS1_3gpuE2ELNS1_3repE0EEENS1_44radix_sort_block_sort_config_static_selectorELNS0_4arch9wavefront6targetE1EEEvSF_.num_named_barrier, 0
	.set _ZN7rocprim17ROCPRIM_400000_NS6detail17trampoline_kernelINS0_13kernel_configILj256ELj4ELj4294967295EEENS1_37radix_sort_block_sort_config_selectorIalEEZNS1_21radix_sort_block_sortIS4_Lb0EPaS8_N6thrust23THRUST_200600_302600_NS10device_ptrIlEESC_NS0_19identity_decomposerEEE10hipError_tT1_T2_T3_T4_jRjT5_jjP12ihipStream_tbEUlT_E_NS1_11comp_targetILNS1_3genE8ELNS1_11target_archE1030ELNS1_3gpuE2ELNS1_3repE0EEENS1_44radix_sort_block_sort_config_static_selectorELNS0_4arch9wavefront6targetE1EEEvSF_.private_seg_size, 0
	.set _ZN7rocprim17ROCPRIM_400000_NS6detail17trampoline_kernelINS0_13kernel_configILj256ELj4ELj4294967295EEENS1_37radix_sort_block_sort_config_selectorIalEEZNS1_21radix_sort_block_sortIS4_Lb0EPaS8_N6thrust23THRUST_200600_302600_NS10device_ptrIlEESC_NS0_19identity_decomposerEEE10hipError_tT1_T2_T3_T4_jRjT5_jjP12ihipStream_tbEUlT_E_NS1_11comp_targetILNS1_3genE8ELNS1_11target_archE1030ELNS1_3gpuE2ELNS1_3repE0EEENS1_44radix_sort_block_sort_config_static_selectorELNS0_4arch9wavefront6targetE1EEEvSF_.uses_vcc, 0
	.set _ZN7rocprim17ROCPRIM_400000_NS6detail17trampoline_kernelINS0_13kernel_configILj256ELj4ELj4294967295EEENS1_37radix_sort_block_sort_config_selectorIalEEZNS1_21radix_sort_block_sortIS4_Lb0EPaS8_N6thrust23THRUST_200600_302600_NS10device_ptrIlEESC_NS0_19identity_decomposerEEE10hipError_tT1_T2_T3_T4_jRjT5_jjP12ihipStream_tbEUlT_E_NS1_11comp_targetILNS1_3genE8ELNS1_11target_archE1030ELNS1_3gpuE2ELNS1_3repE0EEENS1_44radix_sort_block_sort_config_static_selectorELNS0_4arch9wavefront6targetE1EEEvSF_.uses_flat_scratch, 0
	.set _ZN7rocprim17ROCPRIM_400000_NS6detail17trampoline_kernelINS0_13kernel_configILj256ELj4ELj4294967295EEENS1_37radix_sort_block_sort_config_selectorIalEEZNS1_21radix_sort_block_sortIS4_Lb0EPaS8_N6thrust23THRUST_200600_302600_NS10device_ptrIlEESC_NS0_19identity_decomposerEEE10hipError_tT1_T2_T3_T4_jRjT5_jjP12ihipStream_tbEUlT_E_NS1_11comp_targetILNS1_3genE8ELNS1_11target_archE1030ELNS1_3gpuE2ELNS1_3repE0EEENS1_44radix_sort_block_sort_config_static_selectorELNS0_4arch9wavefront6targetE1EEEvSF_.has_dyn_sized_stack, 0
	.set _ZN7rocprim17ROCPRIM_400000_NS6detail17trampoline_kernelINS0_13kernel_configILj256ELj4ELj4294967295EEENS1_37radix_sort_block_sort_config_selectorIalEEZNS1_21radix_sort_block_sortIS4_Lb0EPaS8_N6thrust23THRUST_200600_302600_NS10device_ptrIlEESC_NS0_19identity_decomposerEEE10hipError_tT1_T2_T3_T4_jRjT5_jjP12ihipStream_tbEUlT_E_NS1_11comp_targetILNS1_3genE8ELNS1_11target_archE1030ELNS1_3gpuE2ELNS1_3repE0EEENS1_44radix_sort_block_sort_config_static_selectorELNS0_4arch9wavefront6targetE1EEEvSF_.has_recursion, 0
	.set _ZN7rocprim17ROCPRIM_400000_NS6detail17trampoline_kernelINS0_13kernel_configILj256ELj4ELj4294967295EEENS1_37radix_sort_block_sort_config_selectorIalEEZNS1_21radix_sort_block_sortIS4_Lb0EPaS8_N6thrust23THRUST_200600_302600_NS10device_ptrIlEESC_NS0_19identity_decomposerEEE10hipError_tT1_T2_T3_T4_jRjT5_jjP12ihipStream_tbEUlT_E_NS1_11comp_targetILNS1_3genE8ELNS1_11target_archE1030ELNS1_3gpuE2ELNS1_3repE0EEENS1_44radix_sort_block_sort_config_static_selectorELNS0_4arch9wavefront6targetE1EEEvSF_.has_indirect_call, 0
	.section	.AMDGPU.csdata,"",@progbits
; Kernel info:
; codeLenInByte = 0
; TotalNumSgprs: 4
; NumVgprs: 0
; ScratchSize: 0
; MemoryBound: 0
; FloatMode: 240
; IeeeMode: 1
; LDSByteSize: 0 bytes/workgroup (compile time only)
; SGPRBlocks: 0
; VGPRBlocks: 0
; NumSGPRsForWavesPerEU: 4
; NumVGPRsForWavesPerEU: 1
; Occupancy: 10
; WaveLimiterHint : 0
; COMPUTE_PGM_RSRC2:SCRATCH_EN: 0
; COMPUTE_PGM_RSRC2:USER_SGPR: 6
; COMPUTE_PGM_RSRC2:TRAP_HANDLER: 0
; COMPUTE_PGM_RSRC2:TGID_X_EN: 1
; COMPUTE_PGM_RSRC2:TGID_Y_EN: 0
; COMPUTE_PGM_RSRC2:TGID_Z_EN: 0
; COMPUTE_PGM_RSRC2:TIDIG_COMP_CNT: 0
	.section	.text._ZN7rocprim17ROCPRIM_400000_NS6detail44device_merge_sort_compile_time_verifier_archINS1_11comp_targetILNS1_3genE0ELNS1_11target_archE4294967295ELNS1_3gpuE0ELNS1_3repE0EEES8_NS1_28merge_sort_block_sort_configILj256ELj4ELNS0_20block_sort_algorithmE0EEENS0_14default_configENS1_37merge_sort_block_sort_config_selectorIalEENS1_38merge_sort_block_merge_config_selectorIalEEEEvv,"axG",@progbits,_ZN7rocprim17ROCPRIM_400000_NS6detail44device_merge_sort_compile_time_verifier_archINS1_11comp_targetILNS1_3genE0ELNS1_11target_archE4294967295ELNS1_3gpuE0ELNS1_3repE0EEES8_NS1_28merge_sort_block_sort_configILj256ELj4ELNS0_20block_sort_algorithmE0EEENS0_14default_configENS1_37merge_sort_block_sort_config_selectorIalEENS1_38merge_sort_block_merge_config_selectorIalEEEEvv,comdat
	.protected	_ZN7rocprim17ROCPRIM_400000_NS6detail44device_merge_sort_compile_time_verifier_archINS1_11comp_targetILNS1_3genE0ELNS1_11target_archE4294967295ELNS1_3gpuE0ELNS1_3repE0EEES8_NS1_28merge_sort_block_sort_configILj256ELj4ELNS0_20block_sort_algorithmE0EEENS0_14default_configENS1_37merge_sort_block_sort_config_selectorIalEENS1_38merge_sort_block_merge_config_selectorIalEEEEvv ; -- Begin function _ZN7rocprim17ROCPRIM_400000_NS6detail44device_merge_sort_compile_time_verifier_archINS1_11comp_targetILNS1_3genE0ELNS1_11target_archE4294967295ELNS1_3gpuE0ELNS1_3repE0EEES8_NS1_28merge_sort_block_sort_configILj256ELj4ELNS0_20block_sort_algorithmE0EEENS0_14default_configENS1_37merge_sort_block_sort_config_selectorIalEENS1_38merge_sort_block_merge_config_selectorIalEEEEvv
	.globl	_ZN7rocprim17ROCPRIM_400000_NS6detail44device_merge_sort_compile_time_verifier_archINS1_11comp_targetILNS1_3genE0ELNS1_11target_archE4294967295ELNS1_3gpuE0ELNS1_3repE0EEES8_NS1_28merge_sort_block_sort_configILj256ELj4ELNS0_20block_sort_algorithmE0EEENS0_14default_configENS1_37merge_sort_block_sort_config_selectorIalEENS1_38merge_sort_block_merge_config_selectorIalEEEEvv
	.p2align	8
	.type	_ZN7rocprim17ROCPRIM_400000_NS6detail44device_merge_sort_compile_time_verifier_archINS1_11comp_targetILNS1_3genE0ELNS1_11target_archE4294967295ELNS1_3gpuE0ELNS1_3repE0EEES8_NS1_28merge_sort_block_sort_configILj256ELj4ELNS0_20block_sort_algorithmE0EEENS0_14default_configENS1_37merge_sort_block_sort_config_selectorIalEENS1_38merge_sort_block_merge_config_selectorIalEEEEvv,@function
_ZN7rocprim17ROCPRIM_400000_NS6detail44device_merge_sort_compile_time_verifier_archINS1_11comp_targetILNS1_3genE0ELNS1_11target_archE4294967295ELNS1_3gpuE0ELNS1_3repE0EEES8_NS1_28merge_sort_block_sort_configILj256ELj4ELNS0_20block_sort_algorithmE0EEENS0_14default_configENS1_37merge_sort_block_sort_config_selectorIalEENS1_38merge_sort_block_merge_config_selectorIalEEEEvv: ; @_ZN7rocprim17ROCPRIM_400000_NS6detail44device_merge_sort_compile_time_verifier_archINS1_11comp_targetILNS1_3genE0ELNS1_11target_archE4294967295ELNS1_3gpuE0ELNS1_3repE0EEES8_NS1_28merge_sort_block_sort_configILj256ELj4ELNS0_20block_sort_algorithmE0EEENS0_14default_configENS1_37merge_sort_block_sort_config_selectorIalEENS1_38merge_sort_block_merge_config_selectorIalEEEEvv
; %bb.0:
	s_endpgm
	.section	.rodata,"a",@progbits
	.p2align	6, 0x0
	.amdhsa_kernel _ZN7rocprim17ROCPRIM_400000_NS6detail44device_merge_sort_compile_time_verifier_archINS1_11comp_targetILNS1_3genE0ELNS1_11target_archE4294967295ELNS1_3gpuE0ELNS1_3repE0EEES8_NS1_28merge_sort_block_sort_configILj256ELj4ELNS0_20block_sort_algorithmE0EEENS0_14default_configENS1_37merge_sort_block_sort_config_selectorIalEENS1_38merge_sort_block_merge_config_selectorIalEEEEvv
		.amdhsa_group_segment_fixed_size 0
		.amdhsa_private_segment_fixed_size 0
		.amdhsa_kernarg_size 0
		.amdhsa_user_sgpr_count 4
		.amdhsa_user_sgpr_private_segment_buffer 1
		.amdhsa_user_sgpr_dispatch_ptr 0
		.amdhsa_user_sgpr_queue_ptr 0
		.amdhsa_user_sgpr_kernarg_segment_ptr 0
		.amdhsa_user_sgpr_dispatch_id 0
		.amdhsa_user_sgpr_flat_scratch_init 0
		.amdhsa_user_sgpr_private_segment_size 0
		.amdhsa_uses_dynamic_stack 0
		.amdhsa_system_sgpr_private_segment_wavefront_offset 0
		.amdhsa_system_sgpr_workgroup_id_x 1
		.amdhsa_system_sgpr_workgroup_id_y 0
		.amdhsa_system_sgpr_workgroup_id_z 0
		.amdhsa_system_sgpr_workgroup_info 0
		.amdhsa_system_vgpr_workitem_id 0
		.amdhsa_next_free_vgpr 1
		.amdhsa_next_free_sgpr 0
		.amdhsa_reserve_vcc 0
		.amdhsa_reserve_flat_scratch 0
		.amdhsa_float_round_mode_32 0
		.amdhsa_float_round_mode_16_64 0
		.amdhsa_float_denorm_mode_32 3
		.amdhsa_float_denorm_mode_16_64 3
		.amdhsa_dx10_clamp 1
		.amdhsa_ieee_mode 1
		.amdhsa_fp16_overflow 0
		.amdhsa_exception_fp_ieee_invalid_op 0
		.amdhsa_exception_fp_denorm_src 0
		.amdhsa_exception_fp_ieee_div_zero 0
		.amdhsa_exception_fp_ieee_overflow 0
		.amdhsa_exception_fp_ieee_underflow 0
		.amdhsa_exception_fp_ieee_inexact 0
		.amdhsa_exception_int_div_zero 0
	.end_amdhsa_kernel
	.section	.text._ZN7rocprim17ROCPRIM_400000_NS6detail44device_merge_sort_compile_time_verifier_archINS1_11comp_targetILNS1_3genE0ELNS1_11target_archE4294967295ELNS1_3gpuE0ELNS1_3repE0EEES8_NS1_28merge_sort_block_sort_configILj256ELj4ELNS0_20block_sort_algorithmE0EEENS0_14default_configENS1_37merge_sort_block_sort_config_selectorIalEENS1_38merge_sort_block_merge_config_selectorIalEEEEvv,"axG",@progbits,_ZN7rocprim17ROCPRIM_400000_NS6detail44device_merge_sort_compile_time_verifier_archINS1_11comp_targetILNS1_3genE0ELNS1_11target_archE4294967295ELNS1_3gpuE0ELNS1_3repE0EEES8_NS1_28merge_sort_block_sort_configILj256ELj4ELNS0_20block_sort_algorithmE0EEENS0_14default_configENS1_37merge_sort_block_sort_config_selectorIalEENS1_38merge_sort_block_merge_config_selectorIalEEEEvv,comdat
.Lfunc_end469:
	.size	_ZN7rocprim17ROCPRIM_400000_NS6detail44device_merge_sort_compile_time_verifier_archINS1_11comp_targetILNS1_3genE0ELNS1_11target_archE4294967295ELNS1_3gpuE0ELNS1_3repE0EEES8_NS1_28merge_sort_block_sort_configILj256ELj4ELNS0_20block_sort_algorithmE0EEENS0_14default_configENS1_37merge_sort_block_sort_config_selectorIalEENS1_38merge_sort_block_merge_config_selectorIalEEEEvv, .Lfunc_end469-_ZN7rocprim17ROCPRIM_400000_NS6detail44device_merge_sort_compile_time_verifier_archINS1_11comp_targetILNS1_3genE0ELNS1_11target_archE4294967295ELNS1_3gpuE0ELNS1_3repE0EEES8_NS1_28merge_sort_block_sort_configILj256ELj4ELNS0_20block_sort_algorithmE0EEENS0_14default_configENS1_37merge_sort_block_sort_config_selectorIalEENS1_38merge_sort_block_merge_config_selectorIalEEEEvv
                                        ; -- End function
	.set _ZN7rocprim17ROCPRIM_400000_NS6detail44device_merge_sort_compile_time_verifier_archINS1_11comp_targetILNS1_3genE0ELNS1_11target_archE4294967295ELNS1_3gpuE0ELNS1_3repE0EEES8_NS1_28merge_sort_block_sort_configILj256ELj4ELNS0_20block_sort_algorithmE0EEENS0_14default_configENS1_37merge_sort_block_sort_config_selectorIalEENS1_38merge_sort_block_merge_config_selectorIalEEEEvv.num_vgpr, 0
	.set _ZN7rocprim17ROCPRIM_400000_NS6detail44device_merge_sort_compile_time_verifier_archINS1_11comp_targetILNS1_3genE0ELNS1_11target_archE4294967295ELNS1_3gpuE0ELNS1_3repE0EEES8_NS1_28merge_sort_block_sort_configILj256ELj4ELNS0_20block_sort_algorithmE0EEENS0_14default_configENS1_37merge_sort_block_sort_config_selectorIalEENS1_38merge_sort_block_merge_config_selectorIalEEEEvv.num_agpr, 0
	.set _ZN7rocprim17ROCPRIM_400000_NS6detail44device_merge_sort_compile_time_verifier_archINS1_11comp_targetILNS1_3genE0ELNS1_11target_archE4294967295ELNS1_3gpuE0ELNS1_3repE0EEES8_NS1_28merge_sort_block_sort_configILj256ELj4ELNS0_20block_sort_algorithmE0EEENS0_14default_configENS1_37merge_sort_block_sort_config_selectorIalEENS1_38merge_sort_block_merge_config_selectorIalEEEEvv.numbered_sgpr, 0
	.set _ZN7rocprim17ROCPRIM_400000_NS6detail44device_merge_sort_compile_time_verifier_archINS1_11comp_targetILNS1_3genE0ELNS1_11target_archE4294967295ELNS1_3gpuE0ELNS1_3repE0EEES8_NS1_28merge_sort_block_sort_configILj256ELj4ELNS0_20block_sort_algorithmE0EEENS0_14default_configENS1_37merge_sort_block_sort_config_selectorIalEENS1_38merge_sort_block_merge_config_selectorIalEEEEvv.num_named_barrier, 0
	.set _ZN7rocprim17ROCPRIM_400000_NS6detail44device_merge_sort_compile_time_verifier_archINS1_11comp_targetILNS1_3genE0ELNS1_11target_archE4294967295ELNS1_3gpuE0ELNS1_3repE0EEES8_NS1_28merge_sort_block_sort_configILj256ELj4ELNS0_20block_sort_algorithmE0EEENS0_14default_configENS1_37merge_sort_block_sort_config_selectorIalEENS1_38merge_sort_block_merge_config_selectorIalEEEEvv.private_seg_size, 0
	.set _ZN7rocprim17ROCPRIM_400000_NS6detail44device_merge_sort_compile_time_verifier_archINS1_11comp_targetILNS1_3genE0ELNS1_11target_archE4294967295ELNS1_3gpuE0ELNS1_3repE0EEES8_NS1_28merge_sort_block_sort_configILj256ELj4ELNS0_20block_sort_algorithmE0EEENS0_14default_configENS1_37merge_sort_block_sort_config_selectorIalEENS1_38merge_sort_block_merge_config_selectorIalEEEEvv.uses_vcc, 0
	.set _ZN7rocprim17ROCPRIM_400000_NS6detail44device_merge_sort_compile_time_verifier_archINS1_11comp_targetILNS1_3genE0ELNS1_11target_archE4294967295ELNS1_3gpuE0ELNS1_3repE0EEES8_NS1_28merge_sort_block_sort_configILj256ELj4ELNS0_20block_sort_algorithmE0EEENS0_14default_configENS1_37merge_sort_block_sort_config_selectorIalEENS1_38merge_sort_block_merge_config_selectorIalEEEEvv.uses_flat_scratch, 0
	.set _ZN7rocprim17ROCPRIM_400000_NS6detail44device_merge_sort_compile_time_verifier_archINS1_11comp_targetILNS1_3genE0ELNS1_11target_archE4294967295ELNS1_3gpuE0ELNS1_3repE0EEES8_NS1_28merge_sort_block_sort_configILj256ELj4ELNS0_20block_sort_algorithmE0EEENS0_14default_configENS1_37merge_sort_block_sort_config_selectorIalEENS1_38merge_sort_block_merge_config_selectorIalEEEEvv.has_dyn_sized_stack, 0
	.set _ZN7rocprim17ROCPRIM_400000_NS6detail44device_merge_sort_compile_time_verifier_archINS1_11comp_targetILNS1_3genE0ELNS1_11target_archE4294967295ELNS1_3gpuE0ELNS1_3repE0EEES8_NS1_28merge_sort_block_sort_configILj256ELj4ELNS0_20block_sort_algorithmE0EEENS0_14default_configENS1_37merge_sort_block_sort_config_selectorIalEENS1_38merge_sort_block_merge_config_selectorIalEEEEvv.has_recursion, 0
	.set _ZN7rocprim17ROCPRIM_400000_NS6detail44device_merge_sort_compile_time_verifier_archINS1_11comp_targetILNS1_3genE0ELNS1_11target_archE4294967295ELNS1_3gpuE0ELNS1_3repE0EEES8_NS1_28merge_sort_block_sort_configILj256ELj4ELNS0_20block_sort_algorithmE0EEENS0_14default_configENS1_37merge_sort_block_sort_config_selectorIalEENS1_38merge_sort_block_merge_config_selectorIalEEEEvv.has_indirect_call, 0
	.section	.AMDGPU.csdata,"",@progbits
; Kernel info:
; codeLenInByte = 4
; TotalNumSgprs: 4
; NumVgprs: 0
; ScratchSize: 0
; MemoryBound: 0
; FloatMode: 240
; IeeeMode: 1
; LDSByteSize: 0 bytes/workgroup (compile time only)
; SGPRBlocks: 0
; VGPRBlocks: 0
; NumSGPRsForWavesPerEU: 4
; NumVGPRsForWavesPerEU: 1
; Occupancy: 10
; WaveLimiterHint : 0
; COMPUTE_PGM_RSRC2:SCRATCH_EN: 0
; COMPUTE_PGM_RSRC2:USER_SGPR: 4
; COMPUTE_PGM_RSRC2:TRAP_HANDLER: 0
; COMPUTE_PGM_RSRC2:TGID_X_EN: 1
; COMPUTE_PGM_RSRC2:TGID_Y_EN: 0
; COMPUTE_PGM_RSRC2:TGID_Z_EN: 0
; COMPUTE_PGM_RSRC2:TIDIG_COMP_CNT: 0
	.section	.text._ZN7rocprim17ROCPRIM_400000_NS6detail44device_merge_sort_compile_time_verifier_archINS1_11comp_targetILNS1_3genE5ELNS1_11target_archE942ELNS1_3gpuE9ELNS1_3repE0EEES8_NS1_28merge_sort_block_sort_configILj256ELj4ELNS0_20block_sort_algorithmE0EEENS0_14default_configENS1_37merge_sort_block_sort_config_selectorIalEENS1_38merge_sort_block_merge_config_selectorIalEEEEvv,"axG",@progbits,_ZN7rocprim17ROCPRIM_400000_NS6detail44device_merge_sort_compile_time_verifier_archINS1_11comp_targetILNS1_3genE5ELNS1_11target_archE942ELNS1_3gpuE9ELNS1_3repE0EEES8_NS1_28merge_sort_block_sort_configILj256ELj4ELNS0_20block_sort_algorithmE0EEENS0_14default_configENS1_37merge_sort_block_sort_config_selectorIalEENS1_38merge_sort_block_merge_config_selectorIalEEEEvv,comdat
	.protected	_ZN7rocprim17ROCPRIM_400000_NS6detail44device_merge_sort_compile_time_verifier_archINS1_11comp_targetILNS1_3genE5ELNS1_11target_archE942ELNS1_3gpuE9ELNS1_3repE0EEES8_NS1_28merge_sort_block_sort_configILj256ELj4ELNS0_20block_sort_algorithmE0EEENS0_14default_configENS1_37merge_sort_block_sort_config_selectorIalEENS1_38merge_sort_block_merge_config_selectorIalEEEEvv ; -- Begin function _ZN7rocprim17ROCPRIM_400000_NS6detail44device_merge_sort_compile_time_verifier_archINS1_11comp_targetILNS1_3genE5ELNS1_11target_archE942ELNS1_3gpuE9ELNS1_3repE0EEES8_NS1_28merge_sort_block_sort_configILj256ELj4ELNS0_20block_sort_algorithmE0EEENS0_14default_configENS1_37merge_sort_block_sort_config_selectorIalEENS1_38merge_sort_block_merge_config_selectorIalEEEEvv
	.globl	_ZN7rocprim17ROCPRIM_400000_NS6detail44device_merge_sort_compile_time_verifier_archINS1_11comp_targetILNS1_3genE5ELNS1_11target_archE942ELNS1_3gpuE9ELNS1_3repE0EEES8_NS1_28merge_sort_block_sort_configILj256ELj4ELNS0_20block_sort_algorithmE0EEENS0_14default_configENS1_37merge_sort_block_sort_config_selectorIalEENS1_38merge_sort_block_merge_config_selectorIalEEEEvv
	.p2align	8
	.type	_ZN7rocprim17ROCPRIM_400000_NS6detail44device_merge_sort_compile_time_verifier_archINS1_11comp_targetILNS1_3genE5ELNS1_11target_archE942ELNS1_3gpuE9ELNS1_3repE0EEES8_NS1_28merge_sort_block_sort_configILj256ELj4ELNS0_20block_sort_algorithmE0EEENS0_14default_configENS1_37merge_sort_block_sort_config_selectorIalEENS1_38merge_sort_block_merge_config_selectorIalEEEEvv,@function
_ZN7rocprim17ROCPRIM_400000_NS6detail44device_merge_sort_compile_time_verifier_archINS1_11comp_targetILNS1_3genE5ELNS1_11target_archE942ELNS1_3gpuE9ELNS1_3repE0EEES8_NS1_28merge_sort_block_sort_configILj256ELj4ELNS0_20block_sort_algorithmE0EEENS0_14default_configENS1_37merge_sort_block_sort_config_selectorIalEENS1_38merge_sort_block_merge_config_selectorIalEEEEvv: ; @_ZN7rocprim17ROCPRIM_400000_NS6detail44device_merge_sort_compile_time_verifier_archINS1_11comp_targetILNS1_3genE5ELNS1_11target_archE942ELNS1_3gpuE9ELNS1_3repE0EEES8_NS1_28merge_sort_block_sort_configILj256ELj4ELNS0_20block_sort_algorithmE0EEENS0_14default_configENS1_37merge_sort_block_sort_config_selectorIalEENS1_38merge_sort_block_merge_config_selectorIalEEEEvv
; %bb.0:
	s_endpgm
	.section	.rodata,"a",@progbits
	.p2align	6, 0x0
	.amdhsa_kernel _ZN7rocprim17ROCPRIM_400000_NS6detail44device_merge_sort_compile_time_verifier_archINS1_11comp_targetILNS1_3genE5ELNS1_11target_archE942ELNS1_3gpuE9ELNS1_3repE0EEES8_NS1_28merge_sort_block_sort_configILj256ELj4ELNS0_20block_sort_algorithmE0EEENS0_14default_configENS1_37merge_sort_block_sort_config_selectorIalEENS1_38merge_sort_block_merge_config_selectorIalEEEEvv
		.amdhsa_group_segment_fixed_size 0
		.amdhsa_private_segment_fixed_size 0
		.amdhsa_kernarg_size 0
		.amdhsa_user_sgpr_count 4
		.amdhsa_user_sgpr_private_segment_buffer 1
		.amdhsa_user_sgpr_dispatch_ptr 0
		.amdhsa_user_sgpr_queue_ptr 0
		.amdhsa_user_sgpr_kernarg_segment_ptr 0
		.amdhsa_user_sgpr_dispatch_id 0
		.amdhsa_user_sgpr_flat_scratch_init 0
		.amdhsa_user_sgpr_private_segment_size 0
		.amdhsa_uses_dynamic_stack 0
		.amdhsa_system_sgpr_private_segment_wavefront_offset 0
		.amdhsa_system_sgpr_workgroup_id_x 1
		.amdhsa_system_sgpr_workgroup_id_y 0
		.amdhsa_system_sgpr_workgroup_id_z 0
		.amdhsa_system_sgpr_workgroup_info 0
		.amdhsa_system_vgpr_workitem_id 0
		.amdhsa_next_free_vgpr 1
		.amdhsa_next_free_sgpr 0
		.amdhsa_reserve_vcc 0
		.amdhsa_reserve_flat_scratch 0
		.amdhsa_float_round_mode_32 0
		.amdhsa_float_round_mode_16_64 0
		.amdhsa_float_denorm_mode_32 3
		.amdhsa_float_denorm_mode_16_64 3
		.amdhsa_dx10_clamp 1
		.amdhsa_ieee_mode 1
		.amdhsa_fp16_overflow 0
		.amdhsa_exception_fp_ieee_invalid_op 0
		.amdhsa_exception_fp_denorm_src 0
		.amdhsa_exception_fp_ieee_div_zero 0
		.amdhsa_exception_fp_ieee_overflow 0
		.amdhsa_exception_fp_ieee_underflow 0
		.amdhsa_exception_fp_ieee_inexact 0
		.amdhsa_exception_int_div_zero 0
	.end_amdhsa_kernel
	.section	.text._ZN7rocprim17ROCPRIM_400000_NS6detail44device_merge_sort_compile_time_verifier_archINS1_11comp_targetILNS1_3genE5ELNS1_11target_archE942ELNS1_3gpuE9ELNS1_3repE0EEES8_NS1_28merge_sort_block_sort_configILj256ELj4ELNS0_20block_sort_algorithmE0EEENS0_14default_configENS1_37merge_sort_block_sort_config_selectorIalEENS1_38merge_sort_block_merge_config_selectorIalEEEEvv,"axG",@progbits,_ZN7rocprim17ROCPRIM_400000_NS6detail44device_merge_sort_compile_time_verifier_archINS1_11comp_targetILNS1_3genE5ELNS1_11target_archE942ELNS1_3gpuE9ELNS1_3repE0EEES8_NS1_28merge_sort_block_sort_configILj256ELj4ELNS0_20block_sort_algorithmE0EEENS0_14default_configENS1_37merge_sort_block_sort_config_selectorIalEENS1_38merge_sort_block_merge_config_selectorIalEEEEvv,comdat
.Lfunc_end470:
	.size	_ZN7rocprim17ROCPRIM_400000_NS6detail44device_merge_sort_compile_time_verifier_archINS1_11comp_targetILNS1_3genE5ELNS1_11target_archE942ELNS1_3gpuE9ELNS1_3repE0EEES8_NS1_28merge_sort_block_sort_configILj256ELj4ELNS0_20block_sort_algorithmE0EEENS0_14default_configENS1_37merge_sort_block_sort_config_selectorIalEENS1_38merge_sort_block_merge_config_selectorIalEEEEvv, .Lfunc_end470-_ZN7rocprim17ROCPRIM_400000_NS6detail44device_merge_sort_compile_time_verifier_archINS1_11comp_targetILNS1_3genE5ELNS1_11target_archE942ELNS1_3gpuE9ELNS1_3repE0EEES8_NS1_28merge_sort_block_sort_configILj256ELj4ELNS0_20block_sort_algorithmE0EEENS0_14default_configENS1_37merge_sort_block_sort_config_selectorIalEENS1_38merge_sort_block_merge_config_selectorIalEEEEvv
                                        ; -- End function
	.set _ZN7rocprim17ROCPRIM_400000_NS6detail44device_merge_sort_compile_time_verifier_archINS1_11comp_targetILNS1_3genE5ELNS1_11target_archE942ELNS1_3gpuE9ELNS1_3repE0EEES8_NS1_28merge_sort_block_sort_configILj256ELj4ELNS0_20block_sort_algorithmE0EEENS0_14default_configENS1_37merge_sort_block_sort_config_selectorIalEENS1_38merge_sort_block_merge_config_selectorIalEEEEvv.num_vgpr, 0
	.set _ZN7rocprim17ROCPRIM_400000_NS6detail44device_merge_sort_compile_time_verifier_archINS1_11comp_targetILNS1_3genE5ELNS1_11target_archE942ELNS1_3gpuE9ELNS1_3repE0EEES8_NS1_28merge_sort_block_sort_configILj256ELj4ELNS0_20block_sort_algorithmE0EEENS0_14default_configENS1_37merge_sort_block_sort_config_selectorIalEENS1_38merge_sort_block_merge_config_selectorIalEEEEvv.num_agpr, 0
	.set _ZN7rocprim17ROCPRIM_400000_NS6detail44device_merge_sort_compile_time_verifier_archINS1_11comp_targetILNS1_3genE5ELNS1_11target_archE942ELNS1_3gpuE9ELNS1_3repE0EEES8_NS1_28merge_sort_block_sort_configILj256ELj4ELNS0_20block_sort_algorithmE0EEENS0_14default_configENS1_37merge_sort_block_sort_config_selectorIalEENS1_38merge_sort_block_merge_config_selectorIalEEEEvv.numbered_sgpr, 0
	.set _ZN7rocprim17ROCPRIM_400000_NS6detail44device_merge_sort_compile_time_verifier_archINS1_11comp_targetILNS1_3genE5ELNS1_11target_archE942ELNS1_3gpuE9ELNS1_3repE0EEES8_NS1_28merge_sort_block_sort_configILj256ELj4ELNS0_20block_sort_algorithmE0EEENS0_14default_configENS1_37merge_sort_block_sort_config_selectorIalEENS1_38merge_sort_block_merge_config_selectorIalEEEEvv.num_named_barrier, 0
	.set _ZN7rocprim17ROCPRIM_400000_NS6detail44device_merge_sort_compile_time_verifier_archINS1_11comp_targetILNS1_3genE5ELNS1_11target_archE942ELNS1_3gpuE9ELNS1_3repE0EEES8_NS1_28merge_sort_block_sort_configILj256ELj4ELNS0_20block_sort_algorithmE0EEENS0_14default_configENS1_37merge_sort_block_sort_config_selectorIalEENS1_38merge_sort_block_merge_config_selectorIalEEEEvv.private_seg_size, 0
	.set _ZN7rocprim17ROCPRIM_400000_NS6detail44device_merge_sort_compile_time_verifier_archINS1_11comp_targetILNS1_3genE5ELNS1_11target_archE942ELNS1_3gpuE9ELNS1_3repE0EEES8_NS1_28merge_sort_block_sort_configILj256ELj4ELNS0_20block_sort_algorithmE0EEENS0_14default_configENS1_37merge_sort_block_sort_config_selectorIalEENS1_38merge_sort_block_merge_config_selectorIalEEEEvv.uses_vcc, 0
	.set _ZN7rocprim17ROCPRIM_400000_NS6detail44device_merge_sort_compile_time_verifier_archINS1_11comp_targetILNS1_3genE5ELNS1_11target_archE942ELNS1_3gpuE9ELNS1_3repE0EEES8_NS1_28merge_sort_block_sort_configILj256ELj4ELNS0_20block_sort_algorithmE0EEENS0_14default_configENS1_37merge_sort_block_sort_config_selectorIalEENS1_38merge_sort_block_merge_config_selectorIalEEEEvv.uses_flat_scratch, 0
	.set _ZN7rocprim17ROCPRIM_400000_NS6detail44device_merge_sort_compile_time_verifier_archINS1_11comp_targetILNS1_3genE5ELNS1_11target_archE942ELNS1_3gpuE9ELNS1_3repE0EEES8_NS1_28merge_sort_block_sort_configILj256ELj4ELNS0_20block_sort_algorithmE0EEENS0_14default_configENS1_37merge_sort_block_sort_config_selectorIalEENS1_38merge_sort_block_merge_config_selectorIalEEEEvv.has_dyn_sized_stack, 0
	.set _ZN7rocprim17ROCPRIM_400000_NS6detail44device_merge_sort_compile_time_verifier_archINS1_11comp_targetILNS1_3genE5ELNS1_11target_archE942ELNS1_3gpuE9ELNS1_3repE0EEES8_NS1_28merge_sort_block_sort_configILj256ELj4ELNS0_20block_sort_algorithmE0EEENS0_14default_configENS1_37merge_sort_block_sort_config_selectorIalEENS1_38merge_sort_block_merge_config_selectorIalEEEEvv.has_recursion, 0
	.set _ZN7rocprim17ROCPRIM_400000_NS6detail44device_merge_sort_compile_time_verifier_archINS1_11comp_targetILNS1_3genE5ELNS1_11target_archE942ELNS1_3gpuE9ELNS1_3repE0EEES8_NS1_28merge_sort_block_sort_configILj256ELj4ELNS0_20block_sort_algorithmE0EEENS0_14default_configENS1_37merge_sort_block_sort_config_selectorIalEENS1_38merge_sort_block_merge_config_selectorIalEEEEvv.has_indirect_call, 0
	.section	.AMDGPU.csdata,"",@progbits
; Kernel info:
; codeLenInByte = 4
; TotalNumSgprs: 4
; NumVgprs: 0
; ScratchSize: 0
; MemoryBound: 0
; FloatMode: 240
; IeeeMode: 1
; LDSByteSize: 0 bytes/workgroup (compile time only)
; SGPRBlocks: 0
; VGPRBlocks: 0
; NumSGPRsForWavesPerEU: 4
; NumVGPRsForWavesPerEU: 1
; Occupancy: 10
; WaveLimiterHint : 0
; COMPUTE_PGM_RSRC2:SCRATCH_EN: 0
; COMPUTE_PGM_RSRC2:USER_SGPR: 4
; COMPUTE_PGM_RSRC2:TRAP_HANDLER: 0
; COMPUTE_PGM_RSRC2:TGID_X_EN: 1
; COMPUTE_PGM_RSRC2:TGID_Y_EN: 0
; COMPUTE_PGM_RSRC2:TGID_Z_EN: 0
; COMPUTE_PGM_RSRC2:TIDIG_COMP_CNT: 0
	.section	.text._ZN7rocprim17ROCPRIM_400000_NS6detail44device_merge_sort_compile_time_verifier_archINS1_11comp_targetILNS1_3genE4ELNS1_11target_archE910ELNS1_3gpuE8ELNS1_3repE0EEES8_NS1_28merge_sort_block_sort_configILj256ELj4ELNS0_20block_sort_algorithmE0EEENS0_14default_configENS1_37merge_sort_block_sort_config_selectorIalEENS1_38merge_sort_block_merge_config_selectorIalEEEEvv,"axG",@progbits,_ZN7rocprim17ROCPRIM_400000_NS6detail44device_merge_sort_compile_time_verifier_archINS1_11comp_targetILNS1_3genE4ELNS1_11target_archE910ELNS1_3gpuE8ELNS1_3repE0EEES8_NS1_28merge_sort_block_sort_configILj256ELj4ELNS0_20block_sort_algorithmE0EEENS0_14default_configENS1_37merge_sort_block_sort_config_selectorIalEENS1_38merge_sort_block_merge_config_selectorIalEEEEvv,comdat
	.protected	_ZN7rocprim17ROCPRIM_400000_NS6detail44device_merge_sort_compile_time_verifier_archINS1_11comp_targetILNS1_3genE4ELNS1_11target_archE910ELNS1_3gpuE8ELNS1_3repE0EEES8_NS1_28merge_sort_block_sort_configILj256ELj4ELNS0_20block_sort_algorithmE0EEENS0_14default_configENS1_37merge_sort_block_sort_config_selectorIalEENS1_38merge_sort_block_merge_config_selectorIalEEEEvv ; -- Begin function _ZN7rocprim17ROCPRIM_400000_NS6detail44device_merge_sort_compile_time_verifier_archINS1_11comp_targetILNS1_3genE4ELNS1_11target_archE910ELNS1_3gpuE8ELNS1_3repE0EEES8_NS1_28merge_sort_block_sort_configILj256ELj4ELNS0_20block_sort_algorithmE0EEENS0_14default_configENS1_37merge_sort_block_sort_config_selectorIalEENS1_38merge_sort_block_merge_config_selectorIalEEEEvv
	.globl	_ZN7rocprim17ROCPRIM_400000_NS6detail44device_merge_sort_compile_time_verifier_archINS1_11comp_targetILNS1_3genE4ELNS1_11target_archE910ELNS1_3gpuE8ELNS1_3repE0EEES8_NS1_28merge_sort_block_sort_configILj256ELj4ELNS0_20block_sort_algorithmE0EEENS0_14default_configENS1_37merge_sort_block_sort_config_selectorIalEENS1_38merge_sort_block_merge_config_selectorIalEEEEvv
	.p2align	8
	.type	_ZN7rocprim17ROCPRIM_400000_NS6detail44device_merge_sort_compile_time_verifier_archINS1_11comp_targetILNS1_3genE4ELNS1_11target_archE910ELNS1_3gpuE8ELNS1_3repE0EEES8_NS1_28merge_sort_block_sort_configILj256ELj4ELNS0_20block_sort_algorithmE0EEENS0_14default_configENS1_37merge_sort_block_sort_config_selectorIalEENS1_38merge_sort_block_merge_config_selectorIalEEEEvv,@function
_ZN7rocprim17ROCPRIM_400000_NS6detail44device_merge_sort_compile_time_verifier_archINS1_11comp_targetILNS1_3genE4ELNS1_11target_archE910ELNS1_3gpuE8ELNS1_3repE0EEES8_NS1_28merge_sort_block_sort_configILj256ELj4ELNS0_20block_sort_algorithmE0EEENS0_14default_configENS1_37merge_sort_block_sort_config_selectorIalEENS1_38merge_sort_block_merge_config_selectorIalEEEEvv: ; @_ZN7rocprim17ROCPRIM_400000_NS6detail44device_merge_sort_compile_time_verifier_archINS1_11comp_targetILNS1_3genE4ELNS1_11target_archE910ELNS1_3gpuE8ELNS1_3repE0EEES8_NS1_28merge_sort_block_sort_configILj256ELj4ELNS0_20block_sort_algorithmE0EEENS0_14default_configENS1_37merge_sort_block_sort_config_selectorIalEENS1_38merge_sort_block_merge_config_selectorIalEEEEvv
; %bb.0:
	s_endpgm
	.section	.rodata,"a",@progbits
	.p2align	6, 0x0
	.amdhsa_kernel _ZN7rocprim17ROCPRIM_400000_NS6detail44device_merge_sort_compile_time_verifier_archINS1_11comp_targetILNS1_3genE4ELNS1_11target_archE910ELNS1_3gpuE8ELNS1_3repE0EEES8_NS1_28merge_sort_block_sort_configILj256ELj4ELNS0_20block_sort_algorithmE0EEENS0_14default_configENS1_37merge_sort_block_sort_config_selectorIalEENS1_38merge_sort_block_merge_config_selectorIalEEEEvv
		.amdhsa_group_segment_fixed_size 0
		.amdhsa_private_segment_fixed_size 0
		.amdhsa_kernarg_size 0
		.amdhsa_user_sgpr_count 4
		.amdhsa_user_sgpr_private_segment_buffer 1
		.amdhsa_user_sgpr_dispatch_ptr 0
		.amdhsa_user_sgpr_queue_ptr 0
		.amdhsa_user_sgpr_kernarg_segment_ptr 0
		.amdhsa_user_sgpr_dispatch_id 0
		.amdhsa_user_sgpr_flat_scratch_init 0
		.amdhsa_user_sgpr_private_segment_size 0
		.amdhsa_uses_dynamic_stack 0
		.amdhsa_system_sgpr_private_segment_wavefront_offset 0
		.amdhsa_system_sgpr_workgroup_id_x 1
		.amdhsa_system_sgpr_workgroup_id_y 0
		.amdhsa_system_sgpr_workgroup_id_z 0
		.amdhsa_system_sgpr_workgroup_info 0
		.amdhsa_system_vgpr_workitem_id 0
		.amdhsa_next_free_vgpr 1
		.amdhsa_next_free_sgpr 0
		.amdhsa_reserve_vcc 0
		.amdhsa_reserve_flat_scratch 0
		.amdhsa_float_round_mode_32 0
		.amdhsa_float_round_mode_16_64 0
		.amdhsa_float_denorm_mode_32 3
		.amdhsa_float_denorm_mode_16_64 3
		.amdhsa_dx10_clamp 1
		.amdhsa_ieee_mode 1
		.amdhsa_fp16_overflow 0
		.amdhsa_exception_fp_ieee_invalid_op 0
		.amdhsa_exception_fp_denorm_src 0
		.amdhsa_exception_fp_ieee_div_zero 0
		.amdhsa_exception_fp_ieee_overflow 0
		.amdhsa_exception_fp_ieee_underflow 0
		.amdhsa_exception_fp_ieee_inexact 0
		.amdhsa_exception_int_div_zero 0
	.end_amdhsa_kernel
	.section	.text._ZN7rocprim17ROCPRIM_400000_NS6detail44device_merge_sort_compile_time_verifier_archINS1_11comp_targetILNS1_3genE4ELNS1_11target_archE910ELNS1_3gpuE8ELNS1_3repE0EEES8_NS1_28merge_sort_block_sort_configILj256ELj4ELNS0_20block_sort_algorithmE0EEENS0_14default_configENS1_37merge_sort_block_sort_config_selectorIalEENS1_38merge_sort_block_merge_config_selectorIalEEEEvv,"axG",@progbits,_ZN7rocprim17ROCPRIM_400000_NS6detail44device_merge_sort_compile_time_verifier_archINS1_11comp_targetILNS1_3genE4ELNS1_11target_archE910ELNS1_3gpuE8ELNS1_3repE0EEES8_NS1_28merge_sort_block_sort_configILj256ELj4ELNS0_20block_sort_algorithmE0EEENS0_14default_configENS1_37merge_sort_block_sort_config_selectorIalEENS1_38merge_sort_block_merge_config_selectorIalEEEEvv,comdat
.Lfunc_end471:
	.size	_ZN7rocprim17ROCPRIM_400000_NS6detail44device_merge_sort_compile_time_verifier_archINS1_11comp_targetILNS1_3genE4ELNS1_11target_archE910ELNS1_3gpuE8ELNS1_3repE0EEES8_NS1_28merge_sort_block_sort_configILj256ELj4ELNS0_20block_sort_algorithmE0EEENS0_14default_configENS1_37merge_sort_block_sort_config_selectorIalEENS1_38merge_sort_block_merge_config_selectorIalEEEEvv, .Lfunc_end471-_ZN7rocprim17ROCPRIM_400000_NS6detail44device_merge_sort_compile_time_verifier_archINS1_11comp_targetILNS1_3genE4ELNS1_11target_archE910ELNS1_3gpuE8ELNS1_3repE0EEES8_NS1_28merge_sort_block_sort_configILj256ELj4ELNS0_20block_sort_algorithmE0EEENS0_14default_configENS1_37merge_sort_block_sort_config_selectorIalEENS1_38merge_sort_block_merge_config_selectorIalEEEEvv
                                        ; -- End function
	.set _ZN7rocprim17ROCPRIM_400000_NS6detail44device_merge_sort_compile_time_verifier_archINS1_11comp_targetILNS1_3genE4ELNS1_11target_archE910ELNS1_3gpuE8ELNS1_3repE0EEES8_NS1_28merge_sort_block_sort_configILj256ELj4ELNS0_20block_sort_algorithmE0EEENS0_14default_configENS1_37merge_sort_block_sort_config_selectorIalEENS1_38merge_sort_block_merge_config_selectorIalEEEEvv.num_vgpr, 0
	.set _ZN7rocprim17ROCPRIM_400000_NS6detail44device_merge_sort_compile_time_verifier_archINS1_11comp_targetILNS1_3genE4ELNS1_11target_archE910ELNS1_3gpuE8ELNS1_3repE0EEES8_NS1_28merge_sort_block_sort_configILj256ELj4ELNS0_20block_sort_algorithmE0EEENS0_14default_configENS1_37merge_sort_block_sort_config_selectorIalEENS1_38merge_sort_block_merge_config_selectorIalEEEEvv.num_agpr, 0
	.set _ZN7rocprim17ROCPRIM_400000_NS6detail44device_merge_sort_compile_time_verifier_archINS1_11comp_targetILNS1_3genE4ELNS1_11target_archE910ELNS1_3gpuE8ELNS1_3repE0EEES8_NS1_28merge_sort_block_sort_configILj256ELj4ELNS0_20block_sort_algorithmE0EEENS0_14default_configENS1_37merge_sort_block_sort_config_selectorIalEENS1_38merge_sort_block_merge_config_selectorIalEEEEvv.numbered_sgpr, 0
	.set _ZN7rocprim17ROCPRIM_400000_NS6detail44device_merge_sort_compile_time_verifier_archINS1_11comp_targetILNS1_3genE4ELNS1_11target_archE910ELNS1_3gpuE8ELNS1_3repE0EEES8_NS1_28merge_sort_block_sort_configILj256ELj4ELNS0_20block_sort_algorithmE0EEENS0_14default_configENS1_37merge_sort_block_sort_config_selectorIalEENS1_38merge_sort_block_merge_config_selectorIalEEEEvv.num_named_barrier, 0
	.set _ZN7rocprim17ROCPRIM_400000_NS6detail44device_merge_sort_compile_time_verifier_archINS1_11comp_targetILNS1_3genE4ELNS1_11target_archE910ELNS1_3gpuE8ELNS1_3repE0EEES8_NS1_28merge_sort_block_sort_configILj256ELj4ELNS0_20block_sort_algorithmE0EEENS0_14default_configENS1_37merge_sort_block_sort_config_selectorIalEENS1_38merge_sort_block_merge_config_selectorIalEEEEvv.private_seg_size, 0
	.set _ZN7rocprim17ROCPRIM_400000_NS6detail44device_merge_sort_compile_time_verifier_archINS1_11comp_targetILNS1_3genE4ELNS1_11target_archE910ELNS1_3gpuE8ELNS1_3repE0EEES8_NS1_28merge_sort_block_sort_configILj256ELj4ELNS0_20block_sort_algorithmE0EEENS0_14default_configENS1_37merge_sort_block_sort_config_selectorIalEENS1_38merge_sort_block_merge_config_selectorIalEEEEvv.uses_vcc, 0
	.set _ZN7rocprim17ROCPRIM_400000_NS6detail44device_merge_sort_compile_time_verifier_archINS1_11comp_targetILNS1_3genE4ELNS1_11target_archE910ELNS1_3gpuE8ELNS1_3repE0EEES8_NS1_28merge_sort_block_sort_configILj256ELj4ELNS0_20block_sort_algorithmE0EEENS0_14default_configENS1_37merge_sort_block_sort_config_selectorIalEENS1_38merge_sort_block_merge_config_selectorIalEEEEvv.uses_flat_scratch, 0
	.set _ZN7rocprim17ROCPRIM_400000_NS6detail44device_merge_sort_compile_time_verifier_archINS1_11comp_targetILNS1_3genE4ELNS1_11target_archE910ELNS1_3gpuE8ELNS1_3repE0EEES8_NS1_28merge_sort_block_sort_configILj256ELj4ELNS0_20block_sort_algorithmE0EEENS0_14default_configENS1_37merge_sort_block_sort_config_selectorIalEENS1_38merge_sort_block_merge_config_selectorIalEEEEvv.has_dyn_sized_stack, 0
	.set _ZN7rocprim17ROCPRIM_400000_NS6detail44device_merge_sort_compile_time_verifier_archINS1_11comp_targetILNS1_3genE4ELNS1_11target_archE910ELNS1_3gpuE8ELNS1_3repE0EEES8_NS1_28merge_sort_block_sort_configILj256ELj4ELNS0_20block_sort_algorithmE0EEENS0_14default_configENS1_37merge_sort_block_sort_config_selectorIalEENS1_38merge_sort_block_merge_config_selectorIalEEEEvv.has_recursion, 0
	.set _ZN7rocprim17ROCPRIM_400000_NS6detail44device_merge_sort_compile_time_verifier_archINS1_11comp_targetILNS1_3genE4ELNS1_11target_archE910ELNS1_3gpuE8ELNS1_3repE0EEES8_NS1_28merge_sort_block_sort_configILj256ELj4ELNS0_20block_sort_algorithmE0EEENS0_14default_configENS1_37merge_sort_block_sort_config_selectorIalEENS1_38merge_sort_block_merge_config_selectorIalEEEEvv.has_indirect_call, 0
	.section	.AMDGPU.csdata,"",@progbits
; Kernel info:
; codeLenInByte = 4
; TotalNumSgprs: 4
; NumVgprs: 0
; ScratchSize: 0
; MemoryBound: 0
; FloatMode: 240
; IeeeMode: 1
; LDSByteSize: 0 bytes/workgroup (compile time only)
; SGPRBlocks: 0
; VGPRBlocks: 0
; NumSGPRsForWavesPerEU: 4
; NumVGPRsForWavesPerEU: 1
; Occupancy: 10
; WaveLimiterHint : 0
; COMPUTE_PGM_RSRC2:SCRATCH_EN: 0
; COMPUTE_PGM_RSRC2:USER_SGPR: 4
; COMPUTE_PGM_RSRC2:TRAP_HANDLER: 0
; COMPUTE_PGM_RSRC2:TGID_X_EN: 1
; COMPUTE_PGM_RSRC2:TGID_Y_EN: 0
; COMPUTE_PGM_RSRC2:TGID_Z_EN: 0
; COMPUTE_PGM_RSRC2:TIDIG_COMP_CNT: 0
	.section	.text._ZN7rocprim17ROCPRIM_400000_NS6detail44device_merge_sort_compile_time_verifier_archINS1_11comp_targetILNS1_3genE3ELNS1_11target_archE908ELNS1_3gpuE7ELNS1_3repE0EEES8_NS1_28merge_sort_block_sort_configILj256ELj4ELNS0_20block_sort_algorithmE0EEENS0_14default_configENS1_37merge_sort_block_sort_config_selectorIalEENS1_38merge_sort_block_merge_config_selectorIalEEEEvv,"axG",@progbits,_ZN7rocprim17ROCPRIM_400000_NS6detail44device_merge_sort_compile_time_verifier_archINS1_11comp_targetILNS1_3genE3ELNS1_11target_archE908ELNS1_3gpuE7ELNS1_3repE0EEES8_NS1_28merge_sort_block_sort_configILj256ELj4ELNS0_20block_sort_algorithmE0EEENS0_14default_configENS1_37merge_sort_block_sort_config_selectorIalEENS1_38merge_sort_block_merge_config_selectorIalEEEEvv,comdat
	.protected	_ZN7rocprim17ROCPRIM_400000_NS6detail44device_merge_sort_compile_time_verifier_archINS1_11comp_targetILNS1_3genE3ELNS1_11target_archE908ELNS1_3gpuE7ELNS1_3repE0EEES8_NS1_28merge_sort_block_sort_configILj256ELj4ELNS0_20block_sort_algorithmE0EEENS0_14default_configENS1_37merge_sort_block_sort_config_selectorIalEENS1_38merge_sort_block_merge_config_selectorIalEEEEvv ; -- Begin function _ZN7rocprim17ROCPRIM_400000_NS6detail44device_merge_sort_compile_time_verifier_archINS1_11comp_targetILNS1_3genE3ELNS1_11target_archE908ELNS1_3gpuE7ELNS1_3repE0EEES8_NS1_28merge_sort_block_sort_configILj256ELj4ELNS0_20block_sort_algorithmE0EEENS0_14default_configENS1_37merge_sort_block_sort_config_selectorIalEENS1_38merge_sort_block_merge_config_selectorIalEEEEvv
	.globl	_ZN7rocprim17ROCPRIM_400000_NS6detail44device_merge_sort_compile_time_verifier_archINS1_11comp_targetILNS1_3genE3ELNS1_11target_archE908ELNS1_3gpuE7ELNS1_3repE0EEES8_NS1_28merge_sort_block_sort_configILj256ELj4ELNS0_20block_sort_algorithmE0EEENS0_14default_configENS1_37merge_sort_block_sort_config_selectorIalEENS1_38merge_sort_block_merge_config_selectorIalEEEEvv
	.p2align	8
	.type	_ZN7rocprim17ROCPRIM_400000_NS6detail44device_merge_sort_compile_time_verifier_archINS1_11comp_targetILNS1_3genE3ELNS1_11target_archE908ELNS1_3gpuE7ELNS1_3repE0EEES8_NS1_28merge_sort_block_sort_configILj256ELj4ELNS0_20block_sort_algorithmE0EEENS0_14default_configENS1_37merge_sort_block_sort_config_selectorIalEENS1_38merge_sort_block_merge_config_selectorIalEEEEvv,@function
_ZN7rocprim17ROCPRIM_400000_NS6detail44device_merge_sort_compile_time_verifier_archINS1_11comp_targetILNS1_3genE3ELNS1_11target_archE908ELNS1_3gpuE7ELNS1_3repE0EEES8_NS1_28merge_sort_block_sort_configILj256ELj4ELNS0_20block_sort_algorithmE0EEENS0_14default_configENS1_37merge_sort_block_sort_config_selectorIalEENS1_38merge_sort_block_merge_config_selectorIalEEEEvv: ; @_ZN7rocprim17ROCPRIM_400000_NS6detail44device_merge_sort_compile_time_verifier_archINS1_11comp_targetILNS1_3genE3ELNS1_11target_archE908ELNS1_3gpuE7ELNS1_3repE0EEES8_NS1_28merge_sort_block_sort_configILj256ELj4ELNS0_20block_sort_algorithmE0EEENS0_14default_configENS1_37merge_sort_block_sort_config_selectorIalEENS1_38merge_sort_block_merge_config_selectorIalEEEEvv
; %bb.0:
	s_endpgm
	.section	.rodata,"a",@progbits
	.p2align	6, 0x0
	.amdhsa_kernel _ZN7rocprim17ROCPRIM_400000_NS6detail44device_merge_sort_compile_time_verifier_archINS1_11comp_targetILNS1_3genE3ELNS1_11target_archE908ELNS1_3gpuE7ELNS1_3repE0EEES8_NS1_28merge_sort_block_sort_configILj256ELj4ELNS0_20block_sort_algorithmE0EEENS0_14default_configENS1_37merge_sort_block_sort_config_selectorIalEENS1_38merge_sort_block_merge_config_selectorIalEEEEvv
		.amdhsa_group_segment_fixed_size 0
		.amdhsa_private_segment_fixed_size 0
		.amdhsa_kernarg_size 0
		.amdhsa_user_sgpr_count 4
		.amdhsa_user_sgpr_private_segment_buffer 1
		.amdhsa_user_sgpr_dispatch_ptr 0
		.amdhsa_user_sgpr_queue_ptr 0
		.amdhsa_user_sgpr_kernarg_segment_ptr 0
		.amdhsa_user_sgpr_dispatch_id 0
		.amdhsa_user_sgpr_flat_scratch_init 0
		.amdhsa_user_sgpr_private_segment_size 0
		.amdhsa_uses_dynamic_stack 0
		.amdhsa_system_sgpr_private_segment_wavefront_offset 0
		.amdhsa_system_sgpr_workgroup_id_x 1
		.amdhsa_system_sgpr_workgroup_id_y 0
		.amdhsa_system_sgpr_workgroup_id_z 0
		.amdhsa_system_sgpr_workgroup_info 0
		.amdhsa_system_vgpr_workitem_id 0
		.amdhsa_next_free_vgpr 1
		.amdhsa_next_free_sgpr 0
		.amdhsa_reserve_vcc 0
		.amdhsa_reserve_flat_scratch 0
		.amdhsa_float_round_mode_32 0
		.amdhsa_float_round_mode_16_64 0
		.amdhsa_float_denorm_mode_32 3
		.amdhsa_float_denorm_mode_16_64 3
		.amdhsa_dx10_clamp 1
		.amdhsa_ieee_mode 1
		.amdhsa_fp16_overflow 0
		.amdhsa_exception_fp_ieee_invalid_op 0
		.amdhsa_exception_fp_denorm_src 0
		.amdhsa_exception_fp_ieee_div_zero 0
		.amdhsa_exception_fp_ieee_overflow 0
		.amdhsa_exception_fp_ieee_underflow 0
		.amdhsa_exception_fp_ieee_inexact 0
		.amdhsa_exception_int_div_zero 0
	.end_amdhsa_kernel
	.section	.text._ZN7rocprim17ROCPRIM_400000_NS6detail44device_merge_sort_compile_time_verifier_archINS1_11comp_targetILNS1_3genE3ELNS1_11target_archE908ELNS1_3gpuE7ELNS1_3repE0EEES8_NS1_28merge_sort_block_sort_configILj256ELj4ELNS0_20block_sort_algorithmE0EEENS0_14default_configENS1_37merge_sort_block_sort_config_selectorIalEENS1_38merge_sort_block_merge_config_selectorIalEEEEvv,"axG",@progbits,_ZN7rocprim17ROCPRIM_400000_NS6detail44device_merge_sort_compile_time_verifier_archINS1_11comp_targetILNS1_3genE3ELNS1_11target_archE908ELNS1_3gpuE7ELNS1_3repE0EEES8_NS1_28merge_sort_block_sort_configILj256ELj4ELNS0_20block_sort_algorithmE0EEENS0_14default_configENS1_37merge_sort_block_sort_config_selectorIalEENS1_38merge_sort_block_merge_config_selectorIalEEEEvv,comdat
.Lfunc_end472:
	.size	_ZN7rocprim17ROCPRIM_400000_NS6detail44device_merge_sort_compile_time_verifier_archINS1_11comp_targetILNS1_3genE3ELNS1_11target_archE908ELNS1_3gpuE7ELNS1_3repE0EEES8_NS1_28merge_sort_block_sort_configILj256ELj4ELNS0_20block_sort_algorithmE0EEENS0_14default_configENS1_37merge_sort_block_sort_config_selectorIalEENS1_38merge_sort_block_merge_config_selectorIalEEEEvv, .Lfunc_end472-_ZN7rocprim17ROCPRIM_400000_NS6detail44device_merge_sort_compile_time_verifier_archINS1_11comp_targetILNS1_3genE3ELNS1_11target_archE908ELNS1_3gpuE7ELNS1_3repE0EEES8_NS1_28merge_sort_block_sort_configILj256ELj4ELNS0_20block_sort_algorithmE0EEENS0_14default_configENS1_37merge_sort_block_sort_config_selectorIalEENS1_38merge_sort_block_merge_config_selectorIalEEEEvv
                                        ; -- End function
	.set _ZN7rocprim17ROCPRIM_400000_NS6detail44device_merge_sort_compile_time_verifier_archINS1_11comp_targetILNS1_3genE3ELNS1_11target_archE908ELNS1_3gpuE7ELNS1_3repE0EEES8_NS1_28merge_sort_block_sort_configILj256ELj4ELNS0_20block_sort_algorithmE0EEENS0_14default_configENS1_37merge_sort_block_sort_config_selectorIalEENS1_38merge_sort_block_merge_config_selectorIalEEEEvv.num_vgpr, 0
	.set _ZN7rocprim17ROCPRIM_400000_NS6detail44device_merge_sort_compile_time_verifier_archINS1_11comp_targetILNS1_3genE3ELNS1_11target_archE908ELNS1_3gpuE7ELNS1_3repE0EEES8_NS1_28merge_sort_block_sort_configILj256ELj4ELNS0_20block_sort_algorithmE0EEENS0_14default_configENS1_37merge_sort_block_sort_config_selectorIalEENS1_38merge_sort_block_merge_config_selectorIalEEEEvv.num_agpr, 0
	.set _ZN7rocprim17ROCPRIM_400000_NS6detail44device_merge_sort_compile_time_verifier_archINS1_11comp_targetILNS1_3genE3ELNS1_11target_archE908ELNS1_3gpuE7ELNS1_3repE0EEES8_NS1_28merge_sort_block_sort_configILj256ELj4ELNS0_20block_sort_algorithmE0EEENS0_14default_configENS1_37merge_sort_block_sort_config_selectorIalEENS1_38merge_sort_block_merge_config_selectorIalEEEEvv.numbered_sgpr, 0
	.set _ZN7rocprim17ROCPRIM_400000_NS6detail44device_merge_sort_compile_time_verifier_archINS1_11comp_targetILNS1_3genE3ELNS1_11target_archE908ELNS1_3gpuE7ELNS1_3repE0EEES8_NS1_28merge_sort_block_sort_configILj256ELj4ELNS0_20block_sort_algorithmE0EEENS0_14default_configENS1_37merge_sort_block_sort_config_selectorIalEENS1_38merge_sort_block_merge_config_selectorIalEEEEvv.num_named_barrier, 0
	.set _ZN7rocprim17ROCPRIM_400000_NS6detail44device_merge_sort_compile_time_verifier_archINS1_11comp_targetILNS1_3genE3ELNS1_11target_archE908ELNS1_3gpuE7ELNS1_3repE0EEES8_NS1_28merge_sort_block_sort_configILj256ELj4ELNS0_20block_sort_algorithmE0EEENS0_14default_configENS1_37merge_sort_block_sort_config_selectorIalEENS1_38merge_sort_block_merge_config_selectorIalEEEEvv.private_seg_size, 0
	.set _ZN7rocprim17ROCPRIM_400000_NS6detail44device_merge_sort_compile_time_verifier_archINS1_11comp_targetILNS1_3genE3ELNS1_11target_archE908ELNS1_3gpuE7ELNS1_3repE0EEES8_NS1_28merge_sort_block_sort_configILj256ELj4ELNS0_20block_sort_algorithmE0EEENS0_14default_configENS1_37merge_sort_block_sort_config_selectorIalEENS1_38merge_sort_block_merge_config_selectorIalEEEEvv.uses_vcc, 0
	.set _ZN7rocprim17ROCPRIM_400000_NS6detail44device_merge_sort_compile_time_verifier_archINS1_11comp_targetILNS1_3genE3ELNS1_11target_archE908ELNS1_3gpuE7ELNS1_3repE0EEES8_NS1_28merge_sort_block_sort_configILj256ELj4ELNS0_20block_sort_algorithmE0EEENS0_14default_configENS1_37merge_sort_block_sort_config_selectorIalEENS1_38merge_sort_block_merge_config_selectorIalEEEEvv.uses_flat_scratch, 0
	.set _ZN7rocprim17ROCPRIM_400000_NS6detail44device_merge_sort_compile_time_verifier_archINS1_11comp_targetILNS1_3genE3ELNS1_11target_archE908ELNS1_3gpuE7ELNS1_3repE0EEES8_NS1_28merge_sort_block_sort_configILj256ELj4ELNS0_20block_sort_algorithmE0EEENS0_14default_configENS1_37merge_sort_block_sort_config_selectorIalEENS1_38merge_sort_block_merge_config_selectorIalEEEEvv.has_dyn_sized_stack, 0
	.set _ZN7rocprim17ROCPRIM_400000_NS6detail44device_merge_sort_compile_time_verifier_archINS1_11comp_targetILNS1_3genE3ELNS1_11target_archE908ELNS1_3gpuE7ELNS1_3repE0EEES8_NS1_28merge_sort_block_sort_configILj256ELj4ELNS0_20block_sort_algorithmE0EEENS0_14default_configENS1_37merge_sort_block_sort_config_selectorIalEENS1_38merge_sort_block_merge_config_selectorIalEEEEvv.has_recursion, 0
	.set _ZN7rocprim17ROCPRIM_400000_NS6detail44device_merge_sort_compile_time_verifier_archINS1_11comp_targetILNS1_3genE3ELNS1_11target_archE908ELNS1_3gpuE7ELNS1_3repE0EEES8_NS1_28merge_sort_block_sort_configILj256ELj4ELNS0_20block_sort_algorithmE0EEENS0_14default_configENS1_37merge_sort_block_sort_config_selectorIalEENS1_38merge_sort_block_merge_config_selectorIalEEEEvv.has_indirect_call, 0
	.section	.AMDGPU.csdata,"",@progbits
; Kernel info:
; codeLenInByte = 4
; TotalNumSgprs: 4
; NumVgprs: 0
; ScratchSize: 0
; MemoryBound: 0
; FloatMode: 240
; IeeeMode: 1
; LDSByteSize: 0 bytes/workgroup (compile time only)
; SGPRBlocks: 0
; VGPRBlocks: 0
; NumSGPRsForWavesPerEU: 4
; NumVGPRsForWavesPerEU: 1
; Occupancy: 10
; WaveLimiterHint : 0
; COMPUTE_PGM_RSRC2:SCRATCH_EN: 0
; COMPUTE_PGM_RSRC2:USER_SGPR: 4
; COMPUTE_PGM_RSRC2:TRAP_HANDLER: 0
; COMPUTE_PGM_RSRC2:TGID_X_EN: 1
; COMPUTE_PGM_RSRC2:TGID_Y_EN: 0
; COMPUTE_PGM_RSRC2:TGID_Z_EN: 0
; COMPUTE_PGM_RSRC2:TIDIG_COMP_CNT: 0
	.section	.text._ZN7rocprim17ROCPRIM_400000_NS6detail44device_merge_sort_compile_time_verifier_archINS1_11comp_targetILNS1_3genE2ELNS1_11target_archE906ELNS1_3gpuE6ELNS1_3repE0EEES8_NS1_28merge_sort_block_sort_configILj256ELj4ELNS0_20block_sort_algorithmE0EEENS0_14default_configENS1_37merge_sort_block_sort_config_selectorIalEENS1_38merge_sort_block_merge_config_selectorIalEEEEvv,"axG",@progbits,_ZN7rocprim17ROCPRIM_400000_NS6detail44device_merge_sort_compile_time_verifier_archINS1_11comp_targetILNS1_3genE2ELNS1_11target_archE906ELNS1_3gpuE6ELNS1_3repE0EEES8_NS1_28merge_sort_block_sort_configILj256ELj4ELNS0_20block_sort_algorithmE0EEENS0_14default_configENS1_37merge_sort_block_sort_config_selectorIalEENS1_38merge_sort_block_merge_config_selectorIalEEEEvv,comdat
	.protected	_ZN7rocprim17ROCPRIM_400000_NS6detail44device_merge_sort_compile_time_verifier_archINS1_11comp_targetILNS1_3genE2ELNS1_11target_archE906ELNS1_3gpuE6ELNS1_3repE0EEES8_NS1_28merge_sort_block_sort_configILj256ELj4ELNS0_20block_sort_algorithmE0EEENS0_14default_configENS1_37merge_sort_block_sort_config_selectorIalEENS1_38merge_sort_block_merge_config_selectorIalEEEEvv ; -- Begin function _ZN7rocprim17ROCPRIM_400000_NS6detail44device_merge_sort_compile_time_verifier_archINS1_11comp_targetILNS1_3genE2ELNS1_11target_archE906ELNS1_3gpuE6ELNS1_3repE0EEES8_NS1_28merge_sort_block_sort_configILj256ELj4ELNS0_20block_sort_algorithmE0EEENS0_14default_configENS1_37merge_sort_block_sort_config_selectorIalEENS1_38merge_sort_block_merge_config_selectorIalEEEEvv
	.globl	_ZN7rocprim17ROCPRIM_400000_NS6detail44device_merge_sort_compile_time_verifier_archINS1_11comp_targetILNS1_3genE2ELNS1_11target_archE906ELNS1_3gpuE6ELNS1_3repE0EEES8_NS1_28merge_sort_block_sort_configILj256ELj4ELNS0_20block_sort_algorithmE0EEENS0_14default_configENS1_37merge_sort_block_sort_config_selectorIalEENS1_38merge_sort_block_merge_config_selectorIalEEEEvv
	.p2align	8
	.type	_ZN7rocprim17ROCPRIM_400000_NS6detail44device_merge_sort_compile_time_verifier_archINS1_11comp_targetILNS1_3genE2ELNS1_11target_archE906ELNS1_3gpuE6ELNS1_3repE0EEES8_NS1_28merge_sort_block_sort_configILj256ELj4ELNS0_20block_sort_algorithmE0EEENS0_14default_configENS1_37merge_sort_block_sort_config_selectorIalEENS1_38merge_sort_block_merge_config_selectorIalEEEEvv,@function
_ZN7rocprim17ROCPRIM_400000_NS6detail44device_merge_sort_compile_time_verifier_archINS1_11comp_targetILNS1_3genE2ELNS1_11target_archE906ELNS1_3gpuE6ELNS1_3repE0EEES8_NS1_28merge_sort_block_sort_configILj256ELj4ELNS0_20block_sort_algorithmE0EEENS0_14default_configENS1_37merge_sort_block_sort_config_selectorIalEENS1_38merge_sort_block_merge_config_selectorIalEEEEvv: ; @_ZN7rocprim17ROCPRIM_400000_NS6detail44device_merge_sort_compile_time_verifier_archINS1_11comp_targetILNS1_3genE2ELNS1_11target_archE906ELNS1_3gpuE6ELNS1_3repE0EEES8_NS1_28merge_sort_block_sort_configILj256ELj4ELNS0_20block_sort_algorithmE0EEENS0_14default_configENS1_37merge_sort_block_sort_config_selectorIalEENS1_38merge_sort_block_merge_config_selectorIalEEEEvv
; %bb.0:
	s_endpgm
	.section	.rodata,"a",@progbits
	.p2align	6, 0x0
	.amdhsa_kernel _ZN7rocprim17ROCPRIM_400000_NS6detail44device_merge_sort_compile_time_verifier_archINS1_11comp_targetILNS1_3genE2ELNS1_11target_archE906ELNS1_3gpuE6ELNS1_3repE0EEES8_NS1_28merge_sort_block_sort_configILj256ELj4ELNS0_20block_sort_algorithmE0EEENS0_14default_configENS1_37merge_sort_block_sort_config_selectorIalEENS1_38merge_sort_block_merge_config_selectorIalEEEEvv
		.amdhsa_group_segment_fixed_size 0
		.amdhsa_private_segment_fixed_size 0
		.amdhsa_kernarg_size 0
		.amdhsa_user_sgpr_count 4
		.amdhsa_user_sgpr_private_segment_buffer 1
		.amdhsa_user_sgpr_dispatch_ptr 0
		.amdhsa_user_sgpr_queue_ptr 0
		.amdhsa_user_sgpr_kernarg_segment_ptr 0
		.amdhsa_user_sgpr_dispatch_id 0
		.amdhsa_user_sgpr_flat_scratch_init 0
		.amdhsa_user_sgpr_private_segment_size 0
		.amdhsa_uses_dynamic_stack 0
		.amdhsa_system_sgpr_private_segment_wavefront_offset 0
		.amdhsa_system_sgpr_workgroup_id_x 1
		.amdhsa_system_sgpr_workgroup_id_y 0
		.amdhsa_system_sgpr_workgroup_id_z 0
		.amdhsa_system_sgpr_workgroup_info 0
		.amdhsa_system_vgpr_workitem_id 0
		.amdhsa_next_free_vgpr 1
		.amdhsa_next_free_sgpr 0
		.amdhsa_reserve_vcc 0
		.amdhsa_reserve_flat_scratch 0
		.amdhsa_float_round_mode_32 0
		.amdhsa_float_round_mode_16_64 0
		.amdhsa_float_denorm_mode_32 3
		.amdhsa_float_denorm_mode_16_64 3
		.amdhsa_dx10_clamp 1
		.amdhsa_ieee_mode 1
		.amdhsa_fp16_overflow 0
		.amdhsa_exception_fp_ieee_invalid_op 0
		.amdhsa_exception_fp_denorm_src 0
		.amdhsa_exception_fp_ieee_div_zero 0
		.amdhsa_exception_fp_ieee_overflow 0
		.amdhsa_exception_fp_ieee_underflow 0
		.amdhsa_exception_fp_ieee_inexact 0
		.amdhsa_exception_int_div_zero 0
	.end_amdhsa_kernel
	.section	.text._ZN7rocprim17ROCPRIM_400000_NS6detail44device_merge_sort_compile_time_verifier_archINS1_11comp_targetILNS1_3genE2ELNS1_11target_archE906ELNS1_3gpuE6ELNS1_3repE0EEES8_NS1_28merge_sort_block_sort_configILj256ELj4ELNS0_20block_sort_algorithmE0EEENS0_14default_configENS1_37merge_sort_block_sort_config_selectorIalEENS1_38merge_sort_block_merge_config_selectorIalEEEEvv,"axG",@progbits,_ZN7rocprim17ROCPRIM_400000_NS6detail44device_merge_sort_compile_time_verifier_archINS1_11comp_targetILNS1_3genE2ELNS1_11target_archE906ELNS1_3gpuE6ELNS1_3repE0EEES8_NS1_28merge_sort_block_sort_configILj256ELj4ELNS0_20block_sort_algorithmE0EEENS0_14default_configENS1_37merge_sort_block_sort_config_selectorIalEENS1_38merge_sort_block_merge_config_selectorIalEEEEvv,comdat
.Lfunc_end473:
	.size	_ZN7rocprim17ROCPRIM_400000_NS6detail44device_merge_sort_compile_time_verifier_archINS1_11comp_targetILNS1_3genE2ELNS1_11target_archE906ELNS1_3gpuE6ELNS1_3repE0EEES8_NS1_28merge_sort_block_sort_configILj256ELj4ELNS0_20block_sort_algorithmE0EEENS0_14default_configENS1_37merge_sort_block_sort_config_selectorIalEENS1_38merge_sort_block_merge_config_selectorIalEEEEvv, .Lfunc_end473-_ZN7rocprim17ROCPRIM_400000_NS6detail44device_merge_sort_compile_time_verifier_archINS1_11comp_targetILNS1_3genE2ELNS1_11target_archE906ELNS1_3gpuE6ELNS1_3repE0EEES8_NS1_28merge_sort_block_sort_configILj256ELj4ELNS0_20block_sort_algorithmE0EEENS0_14default_configENS1_37merge_sort_block_sort_config_selectorIalEENS1_38merge_sort_block_merge_config_selectorIalEEEEvv
                                        ; -- End function
	.set _ZN7rocprim17ROCPRIM_400000_NS6detail44device_merge_sort_compile_time_verifier_archINS1_11comp_targetILNS1_3genE2ELNS1_11target_archE906ELNS1_3gpuE6ELNS1_3repE0EEES8_NS1_28merge_sort_block_sort_configILj256ELj4ELNS0_20block_sort_algorithmE0EEENS0_14default_configENS1_37merge_sort_block_sort_config_selectorIalEENS1_38merge_sort_block_merge_config_selectorIalEEEEvv.num_vgpr, 0
	.set _ZN7rocprim17ROCPRIM_400000_NS6detail44device_merge_sort_compile_time_verifier_archINS1_11comp_targetILNS1_3genE2ELNS1_11target_archE906ELNS1_3gpuE6ELNS1_3repE0EEES8_NS1_28merge_sort_block_sort_configILj256ELj4ELNS0_20block_sort_algorithmE0EEENS0_14default_configENS1_37merge_sort_block_sort_config_selectorIalEENS1_38merge_sort_block_merge_config_selectorIalEEEEvv.num_agpr, 0
	.set _ZN7rocprim17ROCPRIM_400000_NS6detail44device_merge_sort_compile_time_verifier_archINS1_11comp_targetILNS1_3genE2ELNS1_11target_archE906ELNS1_3gpuE6ELNS1_3repE0EEES8_NS1_28merge_sort_block_sort_configILj256ELj4ELNS0_20block_sort_algorithmE0EEENS0_14default_configENS1_37merge_sort_block_sort_config_selectorIalEENS1_38merge_sort_block_merge_config_selectorIalEEEEvv.numbered_sgpr, 0
	.set _ZN7rocprim17ROCPRIM_400000_NS6detail44device_merge_sort_compile_time_verifier_archINS1_11comp_targetILNS1_3genE2ELNS1_11target_archE906ELNS1_3gpuE6ELNS1_3repE0EEES8_NS1_28merge_sort_block_sort_configILj256ELj4ELNS0_20block_sort_algorithmE0EEENS0_14default_configENS1_37merge_sort_block_sort_config_selectorIalEENS1_38merge_sort_block_merge_config_selectorIalEEEEvv.num_named_barrier, 0
	.set _ZN7rocprim17ROCPRIM_400000_NS6detail44device_merge_sort_compile_time_verifier_archINS1_11comp_targetILNS1_3genE2ELNS1_11target_archE906ELNS1_3gpuE6ELNS1_3repE0EEES8_NS1_28merge_sort_block_sort_configILj256ELj4ELNS0_20block_sort_algorithmE0EEENS0_14default_configENS1_37merge_sort_block_sort_config_selectorIalEENS1_38merge_sort_block_merge_config_selectorIalEEEEvv.private_seg_size, 0
	.set _ZN7rocprim17ROCPRIM_400000_NS6detail44device_merge_sort_compile_time_verifier_archINS1_11comp_targetILNS1_3genE2ELNS1_11target_archE906ELNS1_3gpuE6ELNS1_3repE0EEES8_NS1_28merge_sort_block_sort_configILj256ELj4ELNS0_20block_sort_algorithmE0EEENS0_14default_configENS1_37merge_sort_block_sort_config_selectorIalEENS1_38merge_sort_block_merge_config_selectorIalEEEEvv.uses_vcc, 0
	.set _ZN7rocprim17ROCPRIM_400000_NS6detail44device_merge_sort_compile_time_verifier_archINS1_11comp_targetILNS1_3genE2ELNS1_11target_archE906ELNS1_3gpuE6ELNS1_3repE0EEES8_NS1_28merge_sort_block_sort_configILj256ELj4ELNS0_20block_sort_algorithmE0EEENS0_14default_configENS1_37merge_sort_block_sort_config_selectorIalEENS1_38merge_sort_block_merge_config_selectorIalEEEEvv.uses_flat_scratch, 0
	.set _ZN7rocprim17ROCPRIM_400000_NS6detail44device_merge_sort_compile_time_verifier_archINS1_11comp_targetILNS1_3genE2ELNS1_11target_archE906ELNS1_3gpuE6ELNS1_3repE0EEES8_NS1_28merge_sort_block_sort_configILj256ELj4ELNS0_20block_sort_algorithmE0EEENS0_14default_configENS1_37merge_sort_block_sort_config_selectorIalEENS1_38merge_sort_block_merge_config_selectorIalEEEEvv.has_dyn_sized_stack, 0
	.set _ZN7rocprim17ROCPRIM_400000_NS6detail44device_merge_sort_compile_time_verifier_archINS1_11comp_targetILNS1_3genE2ELNS1_11target_archE906ELNS1_3gpuE6ELNS1_3repE0EEES8_NS1_28merge_sort_block_sort_configILj256ELj4ELNS0_20block_sort_algorithmE0EEENS0_14default_configENS1_37merge_sort_block_sort_config_selectorIalEENS1_38merge_sort_block_merge_config_selectorIalEEEEvv.has_recursion, 0
	.set _ZN7rocprim17ROCPRIM_400000_NS6detail44device_merge_sort_compile_time_verifier_archINS1_11comp_targetILNS1_3genE2ELNS1_11target_archE906ELNS1_3gpuE6ELNS1_3repE0EEES8_NS1_28merge_sort_block_sort_configILj256ELj4ELNS0_20block_sort_algorithmE0EEENS0_14default_configENS1_37merge_sort_block_sort_config_selectorIalEENS1_38merge_sort_block_merge_config_selectorIalEEEEvv.has_indirect_call, 0
	.section	.AMDGPU.csdata,"",@progbits
; Kernel info:
; codeLenInByte = 4
; TotalNumSgprs: 4
; NumVgprs: 0
; ScratchSize: 0
; MemoryBound: 0
; FloatMode: 240
; IeeeMode: 1
; LDSByteSize: 0 bytes/workgroup (compile time only)
; SGPRBlocks: 0
; VGPRBlocks: 0
; NumSGPRsForWavesPerEU: 4
; NumVGPRsForWavesPerEU: 1
; Occupancy: 10
; WaveLimiterHint : 0
; COMPUTE_PGM_RSRC2:SCRATCH_EN: 0
; COMPUTE_PGM_RSRC2:USER_SGPR: 4
; COMPUTE_PGM_RSRC2:TRAP_HANDLER: 0
; COMPUTE_PGM_RSRC2:TGID_X_EN: 1
; COMPUTE_PGM_RSRC2:TGID_Y_EN: 0
; COMPUTE_PGM_RSRC2:TGID_Z_EN: 0
; COMPUTE_PGM_RSRC2:TIDIG_COMP_CNT: 0
	.section	.text._ZN7rocprim17ROCPRIM_400000_NS6detail44device_merge_sort_compile_time_verifier_archINS1_11comp_targetILNS1_3genE10ELNS1_11target_archE1201ELNS1_3gpuE5ELNS1_3repE0EEES8_NS1_28merge_sort_block_sort_configILj256ELj4ELNS0_20block_sort_algorithmE0EEENS0_14default_configENS1_37merge_sort_block_sort_config_selectorIalEENS1_38merge_sort_block_merge_config_selectorIalEEEEvv,"axG",@progbits,_ZN7rocprim17ROCPRIM_400000_NS6detail44device_merge_sort_compile_time_verifier_archINS1_11comp_targetILNS1_3genE10ELNS1_11target_archE1201ELNS1_3gpuE5ELNS1_3repE0EEES8_NS1_28merge_sort_block_sort_configILj256ELj4ELNS0_20block_sort_algorithmE0EEENS0_14default_configENS1_37merge_sort_block_sort_config_selectorIalEENS1_38merge_sort_block_merge_config_selectorIalEEEEvv,comdat
	.protected	_ZN7rocprim17ROCPRIM_400000_NS6detail44device_merge_sort_compile_time_verifier_archINS1_11comp_targetILNS1_3genE10ELNS1_11target_archE1201ELNS1_3gpuE5ELNS1_3repE0EEES8_NS1_28merge_sort_block_sort_configILj256ELj4ELNS0_20block_sort_algorithmE0EEENS0_14default_configENS1_37merge_sort_block_sort_config_selectorIalEENS1_38merge_sort_block_merge_config_selectorIalEEEEvv ; -- Begin function _ZN7rocprim17ROCPRIM_400000_NS6detail44device_merge_sort_compile_time_verifier_archINS1_11comp_targetILNS1_3genE10ELNS1_11target_archE1201ELNS1_3gpuE5ELNS1_3repE0EEES8_NS1_28merge_sort_block_sort_configILj256ELj4ELNS0_20block_sort_algorithmE0EEENS0_14default_configENS1_37merge_sort_block_sort_config_selectorIalEENS1_38merge_sort_block_merge_config_selectorIalEEEEvv
	.globl	_ZN7rocprim17ROCPRIM_400000_NS6detail44device_merge_sort_compile_time_verifier_archINS1_11comp_targetILNS1_3genE10ELNS1_11target_archE1201ELNS1_3gpuE5ELNS1_3repE0EEES8_NS1_28merge_sort_block_sort_configILj256ELj4ELNS0_20block_sort_algorithmE0EEENS0_14default_configENS1_37merge_sort_block_sort_config_selectorIalEENS1_38merge_sort_block_merge_config_selectorIalEEEEvv
	.p2align	8
	.type	_ZN7rocprim17ROCPRIM_400000_NS6detail44device_merge_sort_compile_time_verifier_archINS1_11comp_targetILNS1_3genE10ELNS1_11target_archE1201ELNS1_3gpuE5ELNS1_3repE0EEES8_NS1_28merge_sort_block_sort_configILj256ELj4ELNS0_20block_sort_algorithmE0EEENS0_14default_configENS1_37merge_sort_block_sort_config_selectorIalEENS1_38merge_sort_block_merge_config_selectorIalEEEEvv,@function
_ZN7rocprim17ROCPRIM_400000_NS6detail44device_merge_sort_compile_time_verifier_archINS1_11comp_targetILNS1_3genE10ELNS1_11target_archE1201ELNS1_3gpuE5ELNS1_3repE0EEES8_NS1_28merge_sort_block_sort_configILj256ELj4ELNS0_20block_sort_algorithmE0EEENS0_14default_configENS1_37merge_sort_block_sort_config_selectorIalEENS1_38merge_sort_block_merge_config_selectorIalEEEEvv: ; @_ZN7rocprim17ROCPRIM_400000_NS6detail44device_merge_sort_compile_time_verifier_archINS1_11comp_targetILNS1_3genE10ELNS1_11target_archE1201ELNS1_3gpuE5ELNS1_3repE0EEES8_NS1_28merge_sort_block_sort_configILj256ELj4ELNS0_20block_sort_algorithmE0EEENS0_14default_configENS1_37merge_sort_block_sort_config_selectorIalEENS1_38merge_sort_block_merge_config_selectorIalEEEEvv
; %bb.0:
	s_endpgm
	.section	.rodata,"a",@progbits
	.p2align	6, 0x0
	.amdhsa_kernel _ZN7rocprim17ROCPRIM_400000_NS6detail44device_merge_sort_compile_time_verifier_archINS1_11comp_targetILNS1_3genE10ELNS1_11target_archE1201ELNS1_3gpuE5ELNS1_3repE0EEES8_NS1_28merge_sort_block_sort_configILj256ELj4ELNS0_20block_sort_algorithmE0EEENS0_14default_configENS1_37merge_sort_block_sort_config_selectorIalEENS1_38merge_sort_block_merge_config_selectorIalEEEEvv
		.amdhsa_group_segment_fixed_size 0
		.amdhsa_private_segment_fixed_size 0
		.amdhsa_kernarg_size 0
		.amdhsa_user_sgpr_count 4
		.amdhsa_user_sgpr_private_segment_buffer 1
		.amdhsa_user_sgpr_dispatch_ptr 0
		.amdhsa_user_sgpr_queue_ptr 0
		.amdhsa_user_sgpr_kernarg_segment_ptr 0
		.amdhsa_user_sgpr_dispatch_id 0
		.amdhsa_user_sgpr_flat_scratch_init 0
		.amdhsa_user_sgpr_private_segment_size 0
		.amdhsa_uses_dynamic_stack 0
		.amdhsa_system_sgpr_private_segment_wavefront_offset 0
		.amdhsa_system_sgpr_workgroup_id_x 1
		.amdhsa_system_sgpr_workgroup_id_y 0
		.amdhsa_system_sgpr_workgroup_id_z 0
		.amdhsa_system_sgpr_workgroup_info 0
		.amdhsa_system_vgpr_workitem_id 0
		.amdhsa_next_free_vgpr 1
		.amdhsa_next_free_sgpr 0
		.amdhsa_reserve_vcc 0
		.amdhsa_reserve_flat_scratch 0
		.amdhsa_float_round_mode_32 0
		.amdhsa_float_round_mode_16_64 0
		.amdhsa_float_denorm_mode_32 3
		.amdhsa_float_denorm_mode_16_64 3
		.amdhsa_dx10_clamp 1
		.amdhsa_ieee_mode 1
		.amdhsa_fp16_overflow 0
		.amdhsa_exception_fp_ieee_invalid_op 0
		.amdhsa_exception_fp_denorm_src 0
		.amdhsa_exception_fp_ieee_div_zero 0
		.amdhsa_exception_fp_ieee_overflow 0
		.amdhsa_exception_fp_ieee_underflow 0
		.amdhsa_exception_fp_ieee_inexact 0
		.amdhsa_exception_int_div_zero 0
	.end_amdhsa_kernel
	.section	.text._ZN7rocprim17ROCPRIM_400000_NS6detail44device_merge_sort_compile_time_verifier_archINS1_11comp_targetILNS1_3genE10ELNS1_11target_archE1201ELNS1_3gpuE5ELNS1_3repE0EEES8_NS1_28merge_sort_block_sort_configILj256ELj4ELNS0_20block_sort_algorithmE0EEENS0_14default_configENS1_37merge_sort_block_sort_config_selectorIalEENS1_38merge_sort_block_merge_config_selectorIalEEEEvv,"axG",@progbits,_ZN7rocprim17ROCPRIM_400000_NS6detail44device_merge_sort_compile_time_verifier_archINS1_11comp_targetILNS1_3genE10ELNS1_11target_archE1201ELNS1_3gpuE5ELNS1_3repE0EEES8_NS1_28merge_sort_block_sort_configILj256ELj4ELNS0_20block_sort_algorithmE0EEENS0_14default_configENS1_37merge_sort_block_sort_config_selectorIalEENS1_38merge_sort_block_merge_config_selectorIalEEEEvv,comdat
.Lfunc_end474:
	.size	_ZN7rocprim17ROCPRIM_400000_NS6detail44device_merge_sort_compile_time_verifier_archINS1_11comp_targetILNS1_3genE10ELNS1_11target_archE1201ELNS1_3gpuE5ELNS1_3repE0EEES8_NS1_28merge_sort_block_sort_configILj256ELj4ELNS0_20block_sort_algorithmE0EEENS0_14default_configENS1_37merge_sort_block_sort_config_selectorIalEENS1_38merge_sort_block_merge_config_selectorIalEEEEvv, .Lfunc_end474-_ZN7rocprim17ROCPRIM_400000_NS6detail44device_merge_sort_compile_time_verifier_archINS1_11comp_targetILNS1_3genE10ELNS1_11target_archE1201ELNS1_3gpuE5ELNS1_3repE0EEES8_NS1_28merge_sort_block_sort_configILj256ELj4ELNS0_20block_sort_algorithmE0EEENS0_14default_configENS1_37merge_sort_block_sort_config_selectorIalEENS1_38merge_sort_block_merge_config_selectorIalEEEEvv
                                        ; -- End function
	.set _ZN7rocprim17ROCPRIM_400000_NS6detail44device_merge_sort_compile_time_verifier_archINS1_11comp_targetILNS1_3genE10ELNS1_11target_archE1201ELNS1_3gpuE5ELNS1_3repE0EEES8_NS1_28merge_sort_block_sort_configILj256ELj4ELNS0_20block_sort_algorithmE0EEENS0_14default_configENS1_37merge_sort_block_sort_config_selectorIalEENS1_38merge_sort_block_merge_config_selectorIalEEEEvv.num_vgpr, 0
	.set _ZN7rocprim17ROCPRIM_400000_NS6detail44device_merge_sort_compile_time_verifier_archINS1_11comp_targetILNS1_3genE10ELNS1_11target_archE1201ELNS1_3gpuE5ELNS1_3repE0EEES8_NS1_28merge_sort_block_sort_configILj256ELj4ELNS0_20block_sort_algorithmE0EEENS0_14default_configENS1_37merge_sort_block_sort_config_selectorIalEENS1_38merge_sort_block_merge_config_selectorIalEEEEvv.num_agpr, 0
	.set _ZN7rocprim17ROCPRIM_400000_NS6detail44device_merge_sort_compile_time_verifier_archINS1_11comp_targetILNS1_3genE10ELNS1_11target_archE1201ELNS1_3gpuE5ELNS1_3repE0EEES8_NS1_28merge_sort_block_sort_configILj256ELj4ELNS0_20block_sort_algorithmE0EEENS0_14default_configENS1_37merge_sort_block_sort_config_selectorIalEENS1_38merge_sort_block_merge_config_selectorIalEEEEvv.numbered_sgpr, 0
	.set _ZN7rocprim17ROCPRIM_400000_NS6detail44device_merge_sort_compile_time_verifier_archINS1_11comp_targetILNS1_3genE10ELNS1_11target_archE1201ELNS1_3gpuE5ELNS1_3repE0EEES8_NS1_28merge_sort_block_sort_configILj256ELj4ELNS0_20block_sort_algorithmE0EEENS0_14default_configENS1_37merge_sort_block_sort_config_selectorIalEENS1_38merge_sort_block_merge_config_selectorIalEEEEvv.num_named_barrier, 0
	.set _ZN7rocprim17ROCPRIM_400000_NS6detail44device_merge_sort_compile_time_verifier_archINS1_11comp_targetILNS1_3genE10ELNS1_11target_archE1201ELNS1_3gpuE5ELNS1_3repE0EEES8_NS1_28merge_sort_block_sort_configILj256ELj4ELNS0_20block_sort_algorithmE0EEENS0_14default_configENS1_37merge_sort_block_sort_config_selectorIalEENS1_38merge_sort_block_merge_config_selectorIalEEEEvv.private_seg_size, 0
	.set _ZN7rocprim17ROCPRIM_400000_NS6detail44device_merge_sort_compile_time_verifier_archINS1_11comp_targetILNS1_3genE10ELNS1_11target_archE1201ELNS1_3gpuE5ELNS1_3repE0EEES8_NS1_28merge_sort_block_sort_configILj256ELj4ELNS0_20block_sort_algorithmE0EEENS0_14default_configENS1_37merge_sort_block_sort_config_selectorIalEENS1_38merge_sort_block_merge_config_selectorIalEEEEvv.uses_vcc, 0
	.set _ZN7rocprim17ROCPRIM_400000_NS6detail44device_merge_sort_compile_time_verifier_archINS1_11comp_targetILNS1_3genE10ELNS1_11target_archE1201ELNS1_3gpuE5ELNS1_3repE0EEES8_NS1_28merge_sort_block_sort_configILj256ELj4ELNS0_20block_sort_algorithmE0EEENS0_14default_configENS1_37merge_sort_block_sort_config_selectorIalEENS1_38merge_sort_block_merge_config_selectorIalEEEEvv.uses_flat_scratch, 0
	.set _ZN7rocprim17ROCPRIM_400000_NS6detail44device_merge_sort_compile_time_verifier_archINS1_11comp_targetILNS1_3genE10ELNS1_11target_archE1201ELNS1_3gpuE5ELNS1_3repE0EEES8_NS1_28merge_sort_block_sort_configILj256ELj4ELNS0_20block_sort_algorithmE0EEENS0_14default_configENS1_37merge_sort_block_sort_config_selectorIalEENS1_38merge_sort_block_merge_config_selectorIalEEEEvv.has_dyn_sized_stack, 0
	.set _ZN7rocprim17ROCPRIM_400000_NS6detail44device_merge_sort_compile_time_verifier_archINS1_11comp_targetILNS1_3genE10ELNS1_11target_archE1201ELNS1_3gpuE5ELNS1_3repE0EEES8_NS1_28merge_sort_block_sort_configILj256ELj4ELNS0_20block_sort_algorithmE0EEENS0_14default_configENS1_37merge_sort_block_sort_config_selectorIalEENS1_38merge_sort_block_merge_config_selectorIalEEEEvv.has_recursion, 0
	.set _ZN7rocprim17ROCPRIM_400000_NS6detail44device_merge_sort_compile_time_verifier_archINS1_11comp_targetILNS1_3genE10ELNS1_11target_archE1201ELNS1_3gpuE5ELNS1_3repE0EEES8_NS1_28merge_sort_block_sort_configILj256ELj4ELNS0_20block_sort_algorithmE0EEENS0_14default_configENS1_37merge_sort_block_sort_config_selectorIalEENS1_38merge_sort_block_merge_config_selectorIalEEEEvv.has_indirect_call, 0
	.section	.AMDGPU.csdata,"",@progbits
; Kernel info:
; codeLenInByte = 4
; TotalNumSgprs: 4
; NumVgprs: 0
; ScratchSize: 0
; MemoryBound: 0
; FloatMode: 240
; IeeeMode: 1
; LDSByteSize: 0 bytes/workgroup (compile time only)
; SGPRBlocks: 0
; VGPRBlocks: 0
; NumSGPRsForWavesPerEU: 4
; NumVGPRsForWavesPerEU: 1
; Occupancy: 10
; WaveLimiterHint : 0
; COMPUTE_PGM_RSRC2:SCRATCH_EN: 0
; COMPUTE_PGM_RSRC2:USER_SGPR: 4
; COMPUTE_PGM_RSRC2:TRAP_HANDLER: 0
; COMPUTE_PGM_RSRC2:TGID_X_EN: 1
; COMPUTE_PGM_RSRC2:TGID_Y_EN: 0
; COMPUTE_PGM_RSRC2:TGID_Z_EN: 0
; COMPUTE_PGM_RSRC2:TIDIG_COMP_CNT: 0
	.section	.text._ZN7rocprim17ROCPRIM_400000_NS6detail44device_merge_sort_compile_time_verifier_archINS1_11comp_targetILNS1_3genE10ELNS1_11target_archE1200ELNS1_3gpuE4ELNS1_3repE0EEENS3_ILS4_10ELS5_1201ELS6_5ELS7_0EEENS1_28merge_sort_block_sort_configILj256ELj4ELNS0_20block_sort_algorithmE0EEENS0_14default_configENS1_37merge_sort_block_sort_config_selectorIalEENS1_38merge_sort_block_merge_config_selectorIalEEEEvv,"axG",@progbits,_ZN7rocprim17ROCPRIM_400000_NS6detail44device_merge_sort_compile_time_verifier_archINS1_11comp_targetILNS1_3genE10ELNS1_11target_archE1200ELNS1_3gpuE4ELNS1_3repE0EEENS3_ILS4_10ELS5_1201ELS6_5ELS7_0EEENS1_28merge_sort_block_sort_configILj256ELj4ELNS0_20block_sort_algorithmE0EEENS0_14default_configENS1_37merge_sort_block_sort_config_selectorIalEENS1_38merge_sort_block_merge_config_selectorIalEEEEvv,comdat
	.protected	_ZN7rocprim17ROCPRIM_400000_NS6detail44device_merge_sort_compile_time_verifier_archINS1_11comp_targetILNS1_3genE10ELNS1_11target_archE1200ELNS1_3gpuE4ELNS1_3repE0EEENS3_ILS4_10ELS5_1201ELS6_5ELS7_0EEENS1_28merge_sort_block_sort_configILj256ELj4ELNS0_20block_sort_algorithmE0EEENS0_14default_configENS1_37merge_sort_block_sort_config_selectorIalEENS1_38merge_sort_block_merge_config_selectorIalEEEEvv ; -- Begin function _ZN7rocprim17ROCPRIM_400000_NS6detail44device_merge_sort_compile_time_verifier_archINS1_11comp_targetILNS1_3genE10ELNS1_11target_archE1200ELNS1_3gpuE4ELNS1_3repE0EEENS3_ILS4_10ELS5_1201ELS6_5ELS7_0EEENS1_28merge_sort_block_sort_configILj256ELj4ELNS0_20block_sort_algorithmE0EEENS0_14default_configENS1_37merge_sort_block_sort_config_selectorIalEENS1_38merge_sort_block_merge_config_selectorIalEEEEvv
	.globl	_ZN7rocprim17ROCPRIM_400000_NS6detail44device_merge_sort_compile_time_verifier_archINS1_11comp_targetILNS1_3genE10ELNS1_11target_archE1200ELNS1_3gpuE4ELNS1_3repE0EEENS3_ILS4_10ELS5_1201ELS6_5ELS7_0EEENS1_28merge_sort_block_sort_configILj256ELj4ELNS0_20block_sort_algorithmE0EEENS0_14default_configENS1_37merge_sort_block_sort_config_selectorIalEENS1_38merge_sort_block_merge_config_selectorIalEEEEvv
	.p2align	8
	.type	_ZN7rocprim17ROCPRIM_400000_NS6detail44device_merge_sort_compile_time_verifier_archINS1_11comp_targetILNS1_3genE10ELNS1_11target_archE1200ELNS1_3gpuE4ELNS1_3repE0EEENS3_ILS4_10ELS5_1201ELS6_5ELS7_0EEENS1_28merge_sort_block_sort_configILj256ELj4ELNS0_20block_sort_algorithmE0EEENS0_14default_configENS1_37merge_sort_block_sort_config_selectorIalEENS1_38merge_sort_block_merge_config_selectorIalEEEEvv,@function
_ZN7rocprim17ROCPRIM_400000_NS6detail44device_merge_sort_compile_time_verifier_archINS1_11comp_targetILNS1_3genE10ELNS1_11target_archE1200ELNS1_3gpuE4ELNS1_3repE0EEENS3_ILS4_10ELS5_1201ELS6_5ELS7_0EEENS1_28merge_sort_block_sort_configILj256ELj4ELNS0_20block_sort_algorithmE0EEENS0_14default_configENS1_37merge_sort_block_sort_config_selectorIalEENS1_38merge_sort_block_merge_config_selectorIalEEEEvv: ; @_ZN7rocprim17ROCPRIM_400000_NS6detail44device_merge_sort_compile_time_verifier_archINS1_11comp_targetILNS1_3genE10ELNS1_11target_archE1200ELNS1_3gpuE4ELNS1_3repE0EEENS3_ILS4_10ELS5_1201ELS6_5ELS7_0EEENS1_28merge_sort_block_sort_configILj256ELj4ELNS0_20block_sort_algorithmE0EEENS0_14default_configENS1_37merge_sort_block_sort_config_selectorIalEENS1_38merge_sort_block_merge_config_selectorIalEEEEvv
; %bb.0:
	s_endpgm
	.section	.rodata,"a",@progbits
	.p2align	6, 0x0
	.amdhsa_kernel _ZN7rocprim17ROCPRIM_400000_NS6detail44device_merge_sort_compile_time_verifier_archINS1_11comp_targetILNS1_3genE10ELNS1_11target_archE1200ELNS1_3gpuE4ELNS1_3repE0EEENS3_ILS4_10ELS5_1201ELS6_5ELS7_0EEENS1_28merge_sort_block_sort_configILj256ELj4ELNS0_20block_sort_algorithmE0EEENS0_14default_configENS1_37merge_sort_block_sort_config_selectorIalEENS1_38merge_sort_block_merge_config_selectorIalEEEEvv
		.amdhsa_group_segment_fixed_size 0
		.amdhsa_private_segment_fixed_size 0
		.amdhsa_kernarg_size 0
		.amdhsa_user_sgpr_count 4
		.amdhsa_user_sgpr_private_segment_buffer 1
		.amdhsa_user_sgpr_dispatch_ptr 0
		.amdhsa_user_sgpr_queue_ptr 0
		.amdhsa_user_sgpr_kernarg_segment_ptr 0
		.amdhsa_user_sgpr_dispatch_id 0
		.amdhsa_user_sgpr_flat_scratch_init 0
		.amdhsa_user_sgpr_private_segment_size 0
		.amdhsa_uses_dynamic_stack 0
		.amdhsa_system_sgpr_private_segment_wavefront_offset 0
		.amdhsa_system_sgpr_workgroup_id_x 1
		.amdhsa_system_sgpr_workgroup_id_y 0
		.amdhsa_system_sgpr_workgroup_id_z 0
		.amdhsa_system_sgpr_workgroup_info 0
		.amdhsa_system_vgpr_workitem_id 0
		.amdhsa_next_free_vgpr 1
		.amdhsa_next_free_sgpr 0
		.amdhsa_reserve_vcc 0
		.amdhsa_reserve_flat_scratch 0
		.amdhsa_float_round_mode_32 0
		.amdhsa_float_round_mode_16_64 0
		.amdhsa_float_denorm_mode_32 3
		.amdhsa_float_denorm_mode_16_64 3
		.amdhsa_dx10_clamp 1
		.amdhsa_ieee_mode 1
		.amdhsa_fp16_overflow 0
		.amdhsa_exception_fp_ieee_invalid_op 0
		.amdhsa_exception_fp_denorm_src 0
		.amdhsa_exception_fp_ieee_div_zero 0
		.amdhsa_exception_fp_ieee_overflow 0
		.amdhsa_exception_fp_ieee_underflow 0
		.amdhsa_exception_fp_ieee_inexact 0
		.amdhsa_exception_int_div_zero 0
	.end_amdhsa_kernel
	.section	.text._ZN7rocprim17ROCPRIM_400000_NS6detail44device_merge_sort_compile_time_verifier_archINS1_11comp_targetILNS1_3genE10ELNS1_11target_archE1200ELNS1_3gpuE4ELNS1_3repE0EEENS3_ILS4_10ELS5_1201ELS6_5ELS7_0EEENS1_28merge_sort_block_sort_configILj256ELj4ELNS0_20block_sort_algorithmE0EEENS0_14default_configENS1_37merge_sort_block_sort_config_selectorIalEENS1_38merge_sort_block_merge_config_selectorIalEEEEvv,"axG",@progbits,_ZN7rocprim17ROCPRIM_400000_NS6detail44device_merge_sort_compile_time_verifier_archINS1_11comp_targetILNS1_3genE10ELNS1_11target_archE1200ELNS1_3gpuE4ELNS1_3repE0EEENS3_ILS4_10ELS5_1201ELS6_5ELS7_0EEENS1_28merge_sort_block_sort_configILj256ELj4ELNS0_20block_sort_algorithmE0EEENS0_14default_configENS1_37merge_sort_block_sort_config_selectorIalEENS1_38merge_sort_block_merge_config_selectorIalEEEEvv,comdat
.Lfunc_end475:
	.size	_ZN7rocprim17ROCPRIM_400000_NS6detail44device_merge_sort_compile_time_verifier_archINS1_11comp_targetILNS1_3genE10ELNS1_11target_archE1200ELNS1_3gpuE4ELNS1_3repE0EEENS3_ILS4_10ELS5_1201ELS6_5ELS7_0EEENS1_28merge_sort_block_sort_configILj256ELj4ELNS0_20block_sort_algorithmE0EEENS0_14default_configENS1_37merge_sort_block_sort_config_selectorIalEENS1_38merge_sort_block_merge_config_selectorIalEEEEvv, .Lfunc_end475-_ZN7rocprim17ROCPRIM_400000_NS6detail44device_merge_sort_compile_time_verifier_archINS1_11comp_targetILNS1_3genE10ELNS1_11target_archE1200ELNS1_3gpuE4ELNS1_3repE0EEENS3_ILS4_10ELS5_1201ELS6_5ELS7_0EEENS1_28merge_sort_block_sort_configILj256ELj4ELNS0_20block_sort_algorithmE0EEENS0_14default_configENS1_37merge_sort_block_sort_config_selectorIalEENS1_38merge_sort_block_merge_config_selectorIalEEEEvv
                                        ; -- End function
	.set _ZN7rocprim17ROCPRIM_400000_NS6detail44device_merge_sort_compile_time_verifier_archINS1_11comp_targetILNS1_3genE10ELNS1_11target_archE1200ELNS1_3gpuE4ELNS1_3repE0EEENS3_ILS4_10ELS5_1201ELS6_5ELS7_0EEENS1_28merge_sort_block_sort_configILj256ELj4ELNS0_20block_sort_algorithmE0EEENS0_14default_configENS1_37merge_sort_block_sort_config_selectorIalEENS1_38merge_sort_block_merge_config_selectorIalEEEEvv.num_vgpr, 0
	.set _ZN7rocprim17ROCPRIM_400000_NS6detail44device_merge_sort_compile_time_verifier_archINS1_11comp_targetILNS1_3genE10ELNS1_11target_archE1200ELNS1_3gpuE4ELNS1_3repE0EEENS3_ILS4_10ELS5_1201ELS6_5ELS7_0EEENS1_28merge_sort_block_sort_configILj256ELj4ELNS0_20block_sort_algorithmE0EEENS0_14default_configENS1_37merge_sort_block_sort_config_selectorIalEENS1_38merge_sort_block_merge_config_selectorIalEEEEvv.num_agpr, 0
	.set _ZN7rocprim17ROCPRIM_400000_NS6detail44device_merge_sort_compile_time_verifier_archINS1_11comp_targetILNS1_3genE10ELNS1_11target_archE1200ELNS1_3gpuE4ELNS1_3repE0EEENS3_ILS4_10ELS5_1201ELS6_5ELS7_0EEENS1_28merge_sort_block_sort_configILj256ELj4ELNS0_20block_sort_algorithmE0EEENS0_14default_configENS1_37merge_sort_block_sort_config_selectorIalEENS1_38merge_sort_block_merge_config_selectorIalEEEEvv.numbered_sgpr, 0
	.set _ZN7rocprim17ROCPRIM_400000_NS6detail44device_merge_sort_compile_time_verifier_archINS1_11comp_targetILNS1_3genE10ELNS1_11target_archE1200ELNS1_3gpuE4ELNS1_3repE0EEENS3_ILS4_10ELS5_1201ELS6_5ELS7_0EEENS1_28merge_sort_block_sort_configILj256ELj4ELNS0_20block_sort_algorithmE0EEENS0_14default_configENS1_37merge_sort_block_sort_config_selectorIalEENS1_38merge_sort_block_merge_config_selectorIalEEEEvv.num_named_barrier, 0
	.set _ZN7rocprim17ROCPRIM_400000_NS6detail44device_merge_sort_compile_time_verifier_archINS1_11comp_targetILNS1_3genE10ELNS1_11target_archE1200ELNS1_3gpuE4ELNS1_3repE0EEENS3_ILS4_10ELS5_1201ELS6_5ELS7_0EEENS1_28merge_sort_block_sort_configILj256ELj4ELNS0_20block_sort_algorithmE0EEENS0_14default_configENS1_37merge_sort_block_sort_config_selectorIalEENS1_38merge_sort_block_merge_config_selectorIalEEEEvv.private_seg_size, 0
	.set _ZN7rocprim17ROCPRIM_400000_NS6detail44device_merge_sort_compile_time_verifier_archINS1_11comp_targetILNS1_3genE10ELNS1_11target_archE1200ELNS1_3gpuE4ELNS1_3repE0EEENS3_ILS4_10ELS5_1201ELS6_5ELS7_0EEENS1_28merge_sort_block_sort_configILj256ELj4ELNS0_20block_sort_algorithmE0EEENS0_14default_configENS1_37merge_sort_block_sort_config_selectorIalEENS1_38merge_sort_block_merge_config_selectorIalEEEEvv.uses_vcc, 0
	.set _ZN7rocprim17ROCPRIM_400000_NS6detail44device_merge_sort_compile_time_verifier_archINS1_11comp_targetILNS1_3genE10ELNS1_11target_archE1200ELNS1_3gpuE4ELNS1_3repE0EEENS3_ILS4_10ELS5_1201ELS6_5ELS7_0EEENS1_28merge_sort_block_sort_configILj256ELj4ELNS0_20block_sort_algorithmE0EEENS0_14default_configENS1_37merge_sort_block_sort_config_selectorIalEENS1_38merge_sort_block_merge_config_selectorIalEEEEvv.uses_flat_scratch, 0
	.set _ZN7rocprim17ROCPRIM_400000_NS6detail44device_merge_sort_compile_time_verifier_archINS1_11comp_targetILNS1_3genE10ELNS1_11target_archE1200ELNS1_3gpuE4ELNS1_3repE0EEENS3_ILS4_10ELS5_1201ELS6_5ELS7_0EEENS1_28merge_sort_block_sort_configILj256ELj4ELNS0_20block_sort_algorithmE0EEENS0_14default_configENS1_37merge_sort_block_sort_config_selectorIalEENS1_38merge_sort_block_merge_config_selectorIalEEEEvv.has_dyn_sized_stack, 0
	.set _ZN7rocprim17ROCPRIM_400000_NS6detail44device_merge_sort_compile_time_verifier_archINS1_11comp_targetILNS1_3genE10ELNS1_11target_archE1200ELNS1_3gpuE4ELNS1_3repE0EEENS3_ILS4_10ELS5_1201ELS6_5ELS7_0EEENS1_28merge_sort_block_sort_configILj256ELj4ELNS0_20block_sort_algorithmE0EEENS0_14default_configENS1_37merge_sort_block_sort_config_selectorIalEENS1_38merge_sort_block_merge_config_selectorIalEEEEvv.has_recursion, 0
	.set _ZN7rocprim17ROCPRIM_400000_NS6detail44device_merge_sort_compile_time_verifier_archINS1_11comp_targetILNS1_3genE10ELNS1_11target_archE1200ELNS1_3gpuE4ELNS1_3repE0EEENS3_ILS4_10ELS5_1201ELS6_5ELS7_0EEENS1_28merge_sort_block_sort_configILj256ELj4ELNS0_20block_sort_algorithmE0EEENS0_14default_configENS1_37merge_sort_block_sort_config_selectorIalEENS1_38merge_sort_block_merge_config_selectorIalEEEEvv.has_indirect_call, 0
	.section	.AMDGPU.csdata,"",@progbits
; Kernel info:
; codeLenInByte = 4
; TotalNumSgprs: 4
; NumVgprs: 0
; ScratchSize: 0
; MemoryBound: 0
; FloatMode: 240
; IeeeMode: 1
; LDSByteSize: 0 bytes/workgroup (compile time only)
; SGPRBlocks: 0
; VGPRBlocks: 0
; NumSGPRsForWavesPerEU: 4
; NumVGPRsForWavesPerEU: 1
; Occupancy: 10
; WaveLimiterHint : 0
; COMPUTE_PGM_RSRC2:SCRATCH_EN: 0
; COMPUTE_PGM_RSRC2:USER_SGPR: 4
; COMPUTE_PGM_RSRC2:TRAP_HANDLER: 0
; COMPUTE_PGM_RSRC2:TGID_X_EN: 1
; COMPUTE_PGM_RSRC2:TGID_Y_EN: 0
; COMPUTE_PGM_RSRC2:TGID_Z_EN: 0
; COMPUTE_PGM_RSRC2:TIDIG_COMP_CNT: 0
	.section	.text._ZN7rocprim17ROCPRIM_400000_NS6detail44device_merge_sort_compile_time_verifier_archINS1_11comp_targetILNS1_3genE9ELNS1_11target_archE1100ELNS1_3gpuE3ELNS1_3repE0EEES8_NS1_28merge_sort_block_sort_configILj256ELj4ELNS0_20block_sort_algorithmE0EEENS0_14default_configENS1_37merge_sort_block_sort_config_selectorIalEENS1_38merge_sort_block_merge_config_selectorIalEEEEvv,"axG",@progbits,_ZN7rocprim17ROCPRIM_400000_NS6detail44device_merge_sort_compile_time_verifier_archINS1_11comp_targetILNS1_3genE9ELNS1_11target_archE1100ELNS1_3gpuE3ELNS1_3repE0EEES8_NS1_28merge_sort_block_sort_configILj256ELj4ELNS0_20block_sort_algorithmE0EEENS0_14default_configENS1_37merge_sort_block_sort_config_selectorIalEENS1_38merge_sort_block_merge_config_selectorIalEEEEvv,comdat
	.protected	_ZN7rocprim17ROCPRIM_400000_NS6detail44device_merge_sort_compile_time_verifier_archINS1_11comp_targetILNS1_3genE9ELNS1_11target_archE1100ELNS1_3gpuE3ELNS1_3repE0EEES8_NS1_28merge_sort_block_sort_configILj256ELj4ELNS0_20block_sort_algorithmE0EEENS0_14default_configENS1_37merge_sort_block_sort_config_selectorIalEENS1_38merge_sort_block_merge_config_selectorIalEEEEvv ; -- Begin function _ZN7rocprim17ROCPRIM_400000_NS6detail44device_merge_sort_compile_time_verifier_archINS1_11comp_targetILNS1_3genE9ELNS1_11target_archE1100ELNS1_3gpuE3ELNS1_3repE0EEES8_NS1_28merge_sort_block_sort_configILj256ELj4ELNS0_20block_sort_algorithmE0EEENS0_14default_configENS1_37merge_sort_block_sort_config_selectorIalEENS1_38merge_sort_block_merge_config_selectorIalEEEEvv
	.globl	_ZN7rocprim17ROCPRIM_400000_NS6detail44device_merge_sort_compile_time_verifier_archINS1_11comp_targetILNS1_3genE9ELNS1_11target_archE1100ELNS1_3gpuE3ELNS1_3repE0EEES8_NS1_28merge_sort_block_sort_configILj256ELj4ELNS0_20block_sort_algorithmE0EEENS0_14default_configENS1_37merge_sort_block_sort_config_selectorIalEENS1_38merge_sort_block_merge_config_selectorIalEEEEvv
	.p2align	8
	.type	_ZN7rocprim17ROCPRIM_400000_NS6detail44device_merge_sort_compile_time_verifier_archINS1_11comp_targetILNS1_3genE9ELNS1_11target_archE1100ELNS1_3gpuE3ELNS1_3repE0EEES8_NS1_28merge_sort_block_sort_configILj256ELj4ELNS0_20block_sort_algorithmE0EEENS0_14default_configENS1_37merge_sort_block_sort_config_selectorIalEENS1_38merge_sort_block_merge_config_selectorIalEEEEvv,@function
_ZN7rocprim17ROCPRIM_400000_NS6detail44device_merge_sort_compile_time_verifier_archINS1_11comp_targetILNS1_3genE9ELNS1_11target_archE1100ELNS1_3gpuE3ELNS1_3repE0EEES8_NS1_28merge_sort_block_sort_configILj256ELj4ELNS0_20block_sort_algorithmE0EEENS0_14default_configENS1_37merge_sort_block_sort_config_selectorIalEENS1_38merge_sort_block_merge_config_selectorIalEEEEvv: ; @_ZN7rocprim17ROCPRIM_400000_NS6detail44device_merge_sort_compile_time_verifier_archINS1_11comp_targetILNS1_3genE9ELNS1_11target_archE1100ELNS1_3gpuE3ELNS1_3repE0EEES8_NS1_28merge_sort_block_sort_configILj256ELj4ELNS0_20block_sort_algorithmE0EEENS0_14default_configENS1_37merge_sort_block_sort_config_selectorIalEENS1_38merge_sort_block_merge_config_selectorIalEEEEvv
; %bb.0:
	s_endpgm
	.section	.rodata,"a",@progbits
	.p2align	6, 0x0
	.amdhsa_kernel _ZN7rocprim17ROCPRIM_400000_NS6detail44device_merge_sort_compile_time_verifier_archINS1_11comp_targetILNS1_3genE9ELNS1_11target_archE1100ELNS1_3gpuE3ELNS1_3repE0EEES8_NS1_28merge_sort_block_sort_configILj256ELj4ELNS0_20block_sort_algorithmE0EEENS0_14default_configENS1_37merge_sort_block_sort_config_selectorIalEENS1_38merge_sort_block_merge_config_selectorIalEEEEvv
		.amdhsa_group_segment_fixed_size 0
		.amdhsa_private_segment_fixed_size 0
		.amdhsa_kernarg_size 0
		.amdhsa_user_sgpr_count 4
		.amdhsa_user_sgpr_private_segment_buffer 1
		.amdhsa_user_sgpr_dispatch_ptr 0
		.amdhsa_user_sgpr_queue_ptr 0
		.amdhsa_user_sgpr_kernarg_segment_ptr 0
		.amdhsa_user_sgpr_dispatch_id 0
		.amdhsa_user_sgpr_flat_scratch_init 0
		.amdhsa_user_sgpr_private_segment_size 0
		.amdhsa_uses_dynamic_stack 0
		.amdhsa_system_sgpr_private_segment_wavefront_offset 0
		.amdhsa_system_sgpr_workgroup_id_x 1
		.amdhsa_system_sgpr_workgroup_id_y 0
		.amdhsa_system_sgpr_workgroup_id_z 0
		.amdhsa_system_sgpr_workgroup_info 0
		.amdhsa_system_vgpr_workitem_id 0
		.amdhsa_next_free_vgpr 1
		.amdhsa_next_free_sgpr 0
		.amdhsa_reserve_vcc 0
		.amdhsa_reserve_flat_scratch 0
		.amdhsa_float_round_mode_32 0
		.amdhsa_float_round_mode_16_64 0
		.amdhsa_float_denorm_mode_32 3
		.amdhsa_float_denorm_mode_16_64 3
		.amdhsa_dx10_clamp 1
		.amdhsa_ieee_mode 1
		.amdhsa_fp16_overflow 0
		.amdhsa_exception_fp_ieee_invalid_op 0
		.amdhsa_exception_fp_denorm_src 0
		.amdhsa_exception_fp_ieee_div_zero 0
		.amdhsa_exception_fp_ieee_overflow 0
		.amdhsa_exception_fp_ieee_underflow 0
		.amdhsa_exception_fp_ieee_inexact 0
		.amdhsa_exception_int_div_zero 0
	.end_amdhsa_kernel
	.section	.text._ZN7rocprim17ROCPRIM_400000_NS6detail44device_merge_sort_compile_time_verifier_archINS1_11comp_targetILNS1_3genE9ELNS1_11target_archE1100ELNS1_3gpuE3ELNS1_3repE0EEES8_NS1_28merge_sort_block_sort_configILj256ELj4ELNS0_20block_sort_algorithmE0EEENS0_14default_configENS1_37merge_sort_block_sort_config_selectorIalEENS1_38merge_sort_block_merge_config_selectorIalEEEEvv,"axG",@progbits,_ZN7rocprim17ROCPRIM_400000_NS6detail44device_merge_sort_compile_time_verifier_archINS1_11comp_targetILNS1_3genE9ELNS1_11target_archE1100ELNS1_3gpuE3ELNS1_3repE0EEES8_NS1_28merge_sort_block_sort_configILj256ELj4ELNS0_20block_sort_algorithmE0EEENS0_14default_configENS1_37merge_sort_block_sort_config_selectorIalEENS1_38merge_sort_block_merge_config_selectorIalEEEEvv,comdat
.Lfunc_end476:
	.size	_ZN7rocprim17ROCPRIM_400000_NS6detail44device_merge_sort_compile_time_verifier_archINS1_11comp_targetILNS1_3genE9ELNS1_11target_archE1100ELNS1_3gpuE3ELNS1_3repE0EEES8_NS1_28merge_sort_block_sort_configILj256ELj4ELNS0_20block_sort_algorithmE0EEENS0_14default_configENS1_37merge_sort_block_sort_config_selectorIalEENS1_38merge_sort_block_merge_config_selectorIalEEEEvv, .Lfunc_end476-_ZN7rocprim17ROCPRIM_400000_NS6detail44device_merge_sort_compile_time_verifier_archINS1_11comp_targetILNS1_3genE9ELNS1_11target_archE1100ELNS1_3gpuE3ELNS1_3repE0EEES8_NS1_28merge_sort_block_sort_configILj256ELj4ELNS0_20block_sort_algorithmE0EEENS0_14default_configENS1_37merge_sort_block_sort_config_selectorIalEENS1_38merge_sort_block_merge_config_selectorIalEEEEvv
                                        ; -- End function
	.set _ZN7rocprim17ROCPRIM_400000_NS6detail44device_merge_sort_compile_time_verifier_archINS1_11comp_targetILNS1_3genE9ELNS1_11target_archE1100ELNS1_3gpuE3ELNS1_3repE0EEES8_NS1_28merge_sort_block_sort_configILj256ELj4ELNS0_20block_sort_algorithmE0EEENS0_14default_configENS1_37merge_sort_block_sort_config_selectorIalEENS1_38merge_sort_block_merge_config_selectorIalEEEEvv.num_vgpr, 0
	.set _ZN7rocprim17ROCPRIM_400000_NS6detail44device_merge_sort_compile_time_verifier_archINS1_11comp_targetILNS1_3genE9ELNS1_11target_archE1100ELNS1_3gpuE3ELNS1_3repE0EEES8_NS1_28merge_sort_block_sort_configILj256ELj4ELNS0_20block_sort_algorithmE0EEENS0_14default_configENS1_37merge_sort_block_sort_config_selectorIalEENS1_38merge_sort_block_merge_config_selectorIalEEEEvv.num_agpr, 0
	.set _ZN7rocprim17ROCPRIM_400000_NS6detail44device_merge_sort_compile_time_verifier_archINS1_11comp_targetILNS1_3genE9ELNS1_11target_archE1100ELNS1_3gpuE3ELNS1_3repE0EEES8_NS1_28merge_sort_block_sort_configILj256ELj4ELNS0_20block_sort_algorithmE0EEENS0_14default_configENS1_37merge_sort_block_sort_config_selectorIalEENS1_38merge_sort_block_merge_config_selectorIalEEEEvv.numbered_sgpr, 0
	.set _ZN7rocprim17ROCPRIM_400000_NS6detail44device_merge_sort_compile_time_verifier_archINS1_11comp_targetILNS1_3genE9ELNS1_11target_archE1100ELNS1_3gpuE3ELNS1_3repE0EEES8_NS1_28merge_sort_block_sort_configILj256ELj4ELNS0_20block_sort_algorithmE0EEENS0_14default_configENS1_37merge_sort_block_sort_config_selectorIalEENS1_38merge_sort_block_merge_config_selectorIalEEEEvv.num_named_barrier, 0
	.set _ZN7rocprim17ROCPRIM_400000_NS6detail44device_merge_sort_compile_time_verifier_archINS1_11comp_targetILNS1_3genE9ELNS1_11target_archE1100ELNS1_3gpuE3ELNS1_3repE0EEES8_NS1_28merge_sort_block_sort_configILj256ELj4ELNS0_20block_sort_algorithmE0EEENS0_14default_configENS1_37merge_sort_block_sort_config_selectorIalEENS1_38merge_sort_block_merge_config_selectorIalEEEEvv.private_seg_size, 0
	.set _ZN7rocprim17ROCPRIM_400000_NS6detail44device_merge_sort_compile_time_verifier_archINS1_11comp_targetILNS1_3genE9ELNS1_11target_archE1100ELNS1_3gpuE3ELNS1_3repE0EEES8_NS1_28merge_sort_block_sort_configILj256ELj4ELNS0_20block_sort_algorithmE0EEENS0_14default_configENS1_37merge_sort_block_sort_config_selectorIalEENS1_38merge_sort_block_merge_config_selectorIalEEEEvv.uses_vcc, 0
	.set _ZN7rocprim17ROCPRIM_400000_NS6detail44device_merge_sort_compile_time_verifier_archINS1_11comp_targetILNS1_3genE9ELNS1_11target_archE1100ELNS1_3gpuE3ELNS1_3repE0EEES8_NS1_28merge_sort_block_sort_configILj256ELj4ELNS0_20block_sort_algorithmE0EEENS0_14default_configENS1_37merge_sort_block_sort_config_selectorIalEENS1_38merge_sort_block_merge_config_selectorIalEEEEvv.uses_flat_scratch, 0
	.set _ZN7rocprim17ROCPRIM_400000_NS6detail44device_merge_sort_compile_time_verifier_archINS1_11comp_targetILNS1_3genE9ELNS1_11target_archE1100ELNS1_3gpuE3ELNS1_3repE0EEES8_NS1_28merge_sort_block_sort_configILj256ELj4ELNS0_20block_sort_algorithmE0EEENS0_14default_configENS1_37merge_sort_block_sort_config_selectorIalEENS1_38merge_sort_block_merge_config_selectorIalEEEEvv.has_dyn_sized_stack, 0
	.set _ZN7rocprim17ROCPRIM_400000_NS6detail44device_merge_sort_compile_time_verifier_archINS1_11comp_targetILNS1_3genE9ELNS1_11target_archE1100ELNS1_3gpuE3ELNS1_3repE0EEES8_NS1_28merge_sort_block_sort_configILj256ELj4ELNS0_20block_sort_algorithmE0EEENS0_14default_configENS1_37merge_sort_block_sort_config_selectorIalEENS1_38merge_sort_block_merge_config_selectorIalEEEEvv.has_recursion, 0
	.set _ZN7rocprim17ROCPRIM_400000_NS6detail44device_merge_sort_compile_time_verifier_archINS1_11comp_targetILNS1_3genE9ELNS1_11target_archE1100ELNS1_3gpuE3ELNS1_3repE0EEES8_NS1_28merge_sort_block_sort_configILj256ELj4ELNS0_20block_sort_algorithmE0EEENS0_14default_configENS1_37merge_sort_block_sort_config_selectorIalEENS1_38merge_sort_block_merge_config_selectorIalEEEEvv.has_indirect_call, 0
	.section	.AMDGPU.csdata,"",@progbits
; Kernel info:
; codeLenInByte = 4
; TotalNumSgprs: 4
; NumVgprs: 0
; ScratchSize: 0
; MemoryBound: 0
; FloatMode: 240
; IeeeMode: 1
; LDSByteSize: 0 bytes/workgroup (compile time only)
; SGPRBlocks: 0
; VGPRBlocks: 0
; NumSGPRsForWavesPerEU: 4
; NumVGPRsForWavesPerEU: 1
; Occupancy: 10
; WaveLimiterHint : 0
; COMPUTE_PGM_RSRC2:SCRATCH_EN: 0
; COMPUTE_PGM_RSRC2:USER_SGPR: 4
; COMPUTE_PGM_RSRC2:TRAP_HANDLER: 0
; COMPUTE_PGM_RSRC2:TGID_X_EN: 1
; COMPUTE_PGM_RSRC2:TGID_Y_EN: 0
; COMPUTE_PGM_RSRC2:TGID_Z_EN: 0
; COMPUTE_PGM_RSRC2:TIDIG_COMP_CNT: 0
	.section	.text._ZN7rocprim17ROCPRIM_400000_NS6detail44device_merge_sort_compile_time_verifier_archINS1_11comp_targetILNS1_3genE8ELNS1_11target_archE1030ELNS1_3gpuE2ELNS1_3repE0EEES8_NS1_28merge_sort_block_sort_configILj256ELj4ELNS0_20block_sort_algorithmE0EEENS0_14default_configENS1_37merge_sort_block_sort_config_selectorIalEENS1_38merge_sort_block_merge_config_selectorIalEEEEvv,"axG",@progbits,_ZN7rocprim17ROCPRIM_400000_NS6detail44device_merge_sort_compile_time_verifier_archINS1_11comp_targetILNS1_3genE8ELNS1_11target_archE1030ELNS1_3gpuE2ELNS1_3repE0EEES8_NS1_28merge_sort_block_sort_configILj256ELj4ELNS0_20block_sort_algorithmE0EEENS0_14default_configENS1_37merge_sort_block_sort_config_selectorIalEENS1_38merge_sort_block_merge_config_selectorIalEEEEvv,comdat
	.protected	_ZN7rocprim17ROCPRIM_400000_NS6detail44device_merge_sort_compile_time_verifier_archINS1_11comp_targetILNS1_3genE8ELNS1_11target_archE1030ELNS1_3gpuE2ELNS1_3repE0EEES8_NS1_28merge_sort_block_sort_configILj256ELj4ELNS0_20block_sort_algorithmE0EEENS0_14default_configENS1_37merge_sort_block_sort_config_selectorIalEENS1_38merge_sort_block_merge_config_selectorIalEEEEvv ; -- Begin function _ZN7rocprim17ROCPRIM_400000_NS6detail44device_merge_sort_compile_time_verifier_archINS1_11comp_targetILNS1_3genE8ELNS1_11target_archE1030ELNS1_3gpuE2ELNS1_3repE0EEES8_NS1_28merge_sort_block_sort_configILj256ELj4ELNS0_20block_sort_algorithmE0EEENS0_14default_configENS1_37merge_sort_block_sort_config_selectorIalEENS1_38merge_sort_block_merge_config_selectorIalEEEEvv
	.globl	_ZN7rocprim17ROCPRIM_400000_NS6detail44device_merge_sort_compile_time_verifier_archINS1_11comp_targetILNS1_3genE8ELNS1_11target_archE1030ELNS1_3gpuE2ELNS1_3repE0EEES8_NS1_28merge_sort_block_sort_configILj256ELj4ELNS0_20block_sort_algorithmE0EEENS0_14default_configENS1_37merge_sort_block_sort_config_selectorIalEENS1_38merge_sort_block_merge_config_selectorIalEEEEvv
	.p2align	8
	.type	_ZN7rocprim17ROCPRIM_400000_NS6detail44device_merge_sort_compile_time_verifier_archINS1_11comp_targetILNS1_3genE8ELNS1_11target_archE1030ELNS1_3gpuE2ELNS1_3repE0EEES8_NS1_28merge_sort_block_sort_configILj256ELj4ELNS0_20block_sort_algorithmE0EEENS0_14default_configENS1_37merge_sort_block_sort_config_selectorIalEENS1_38merge_sort_block_merge_config_selectorIalEEEEvv,@function
_ZN7rocprim17ROCPRIM_400000_NS6detail44device_merge_sort_compile_time_verifier_archINS1_11comp_targetILNS1_3genE8ELNS1_11target_archE1030ELNS1_3gpuE2ELNS1_3repE0EEES8_NS1_28merge_sort_block_sort_configILj256ELj4ELNS0_20block_sort_algorithmE0EEENS0_14default_configENS1_37merge_sort_block_sort_config_selectorIalEENS1_38merge_sort_block_merge_config_selectorIalEEEEvv: ; @_ZN7rocprim17ROCPRIM_400000_NS6detail44device_merge_sort_compile_time_verifier_archINS1_11comp_targetILNS1_3genE8ELNS1_11target_archE1030ELNS1_3gpuE2ELNS1_3repE0EEES8_NS1_28merge_sort_block_sort_configILj256ELj4ELNS0_20block_sort_algorithmE0EEENS0_14default_configENS1_37merge_sort_block_sort_config_selectorIalEENS1_38merge_sort_block_merge_config_selectorIalEEEEvv
; %bb.0:
	s_endpgm
	.section	.rodata,"a",@progbits
	.p2align	6, 0x0
	.amdhsa_kernel _ZN7rocprim17ROCPRIM_400000_NS6detail44device_merge_sort_compile_time_verifier_archINS1_11comp_targetILNS1_3genE8ELNS1_11target_archE1030ELNS1_3gpuE2ELNS1_3repE0EEES8_NS1_28merge_sort_block_sort_configILj256ELj4ELNS0_20block_sort_algorithmE0EEENS0_14default_configENS1_37merge_sort_block_sort_config_selectorIalEENS1_38merge_sort_block_merge_config_selectorIalEEEEvv
		.amdhsa_group_segment_fixed_size 0
		.amdhsa_private_segment_fixed_size 0
		.amdhsa_kernarg_size 0
		.amdhsa_user_sgpr_count 4
		.amdhsa_user_sgpr_private_segment_buffer 1
		.amdhsa_user_sgpr_dispatch_ptr 0
		.amdhsa_user_sgpr_queue_ptr 0
		.amdhsa_user_sgpr_kernarg_segment_ptr 0
		.amdhsa_user_sgpr_dispatch_id 0
		.amdhsa_user_sgpr_flat_scratch_init 0
		.amdhsa_user_sgpr_private_segment_size 0
		.amdhsa_uses_dynamic_stack 0
		.amdhsa_system_sgpr_private_segment_wavefront_offset 0
		.amdhsa_system_sgpr_workgroup_id_x 1
		.amdhsa_system_sgpr_workgroup_id_y 0
		.amdhsa_system_sgpr_workgroup_id_z 0
		.amdhsa_system_sgpr_workgroup_info 0
		.amdhsa_system_vgpr_workitem_id 0
		.amdhsa_next_free_vgpr 1
		.amdhsa_next_free_sgpr 0
		.amdhsa_reserve_vcc 0
		.amdhsa_reserve_flat_scratch 0
		.amdhsa_float_round_mode_32 0
		.amdhsa_float_round_mode_16_64 0
		.amdhsa_float_denorm_mode_32 3
		.amdhsa_float_denorm_mode_16_64 3
		.amdhsa_dx10_clamp 1
		.amdhsa_ieee_mode 1
		.amdhsa_fp16_overflow 0
		.amdhsa_exception_fp_ieee_invalid_op 0
		.amdhsa_exception_fp_denorm_src 0
		.amdhsa_exception_fp_ieee_div_zero 0
		.amdhsa_exception_fp_ieee_overflow 0
		.amdhsa_exception_fp_ieee_underflow 0
		.amdhsa_exception_fp_ieee_inexact 0
		.amdhsa_exception_int_div_zero 0
	.end_amdhsa_kernel
	.section	.text._ZN7rocprim17ROCPRIM_400000_NS6detail44device_merge_sort_compile_time_verifier_archINS1_11comp_targetILNS1_3genE8ELNS1_11target_archE1030ELNS1_3gpuE2ELNS1_3repE0EEES8_NS1_28merge_sort_block_sort_configILj256ELj4ELNS0_20block_sort_algorithmE0EEENS0_14default_configENS1_37merge_sort_block_sort_config_selectorIalEENS1_38merge_sort_block_merge_config_selectorIalEEEEvv,"axG",@progbits,_ZN7rocprim17ROCPRIM_400000_NS6detail44device_merge_sort_compile_time_verifier_archINS1_11comp_targetILNS1_3genE8ELNS1_11target_archE1030ELNS1_3gpuE2ELNS1_3repE0EEES8_NS1_28merge_sort_block_sort_configILj256ELj4ELNS0_20block_sort_algorithmE0EEENS0_14default_configENS1_37merge_sort_block_sort_config_selectorIalEENS1_38merge_sort_block_merge_config_selectorIalEEEEvv,comdat
.Lfunc_end477:
	.size	_ZN7rocprim17ROCPRIM_400000_NS6detail44device_merge_sort_compile_time_verifier_archINS1_11comp_targetILNS1_3genE8ELNS1_11target_archE1030ELNS1_3gpuE2ELNS1_3repE0EEES8_NS1_28merge_sort_block_sort_configILj256ELj4ELNS0_20block_sort_algorithmE0EEENS0_14default_configENS1_37merge_sort_block_sort_config_selectorIalEENS1_38merge_sort_block_merge_config_selectorIalEEEEvv, .Lfunc_end477-_ZN7rocprim17ROCPRIM_400000_NS6detail44device_merge_sort_compile_time_verifier_archINS1_11comp_targetILNS1_3genE8ELNS1_11target_archE1030ELNS1_3gpuE2ELNS1_3repE0EEES8_NS1_28merge_sort_block_sort_configILj256ELj4ELNS0_20block_sort_algorithmE0EEENS0_14default_configENS1_37merge_sort_block_sort_config_selectorIalEENS1_38merge_sort_block_merge_config_selectorIalEEEEvv
                                        ; -- End function
	.set _ZN7rocprim17ROCPRIM_400000_NS6detail44device_merge_sort_compile_time_verifier_archINS1_11comp_targetILNS1_3genE8ELNS1_11target_archE1030ELNS1_3gpuE2ELNS1_3repE0EEES8_NS1_28merge_sort_block_sort_configILj256ELj4ELNS0_20block_sort_algorithmE0EEENS0_14default_configENS1_37merge_sort_block_sort_config_selectorIalEENS1_38merge_sort_block_merge_config_selectorIalEEEEvv.num_vgpr, 0
	.set _ZN7rocprim17ROCPRIM_400000_NS6detail44device_merge_sort_compile_time_verifier_archINS1_11comp_targetILNS1_3genE8ELNS1_11target_archE1030ELNS1_3gpuE2ELNS1_3repE0EEES8_NS1_28merge_sort_block_sort_configILj256ELj4ELNS0_20block_sort_algorithmE0EEENS0_14default_configENS1_37merge_sort_block_sort_config_selectorIalEENS1_38merge_sort_block_merge_config_selectorIalEEEEvv.num_agpr, 0
	.set _ZN7rocprim17ROCPRIM_400000_NS6detail44device_merge_sort_compile_time_verifier_archINS1_11comp_targetILNS1_3genE8ELNS1_11target_archE1030ELNS1_3gpuE2ELNS1_3repE0EEES8_NS1_28merge_sort_block_sort_configILj256ELj4ELNS0_20block_sort_algorithmE0EEENS0_14default_configENS1_37merge_sort_block_sort_config_selectorIalEENS1_38merge_sort_block_merge_config_selectorIalEEEEvv.numbered_sgpr, 0
	.set _ZN7rocprim17ROCPRIM_400000_NS6detail44device_merge_sort_compile_time_verifier_archINS1_11comp_targetILNS1_3genE8ELNS1_11target_archE1030ELNS1_3gpuE2ELNS1_3repE0EEES8_NS1_28merge_sort_block_sort_configILj256ELj4ELNS0_20block_sort_algorithmE0EEENS0_14default_configENS1_37merge_sort_block_sort_config_selectorIalEENS1_38merge_sort_block_merge_config_selectorIalEEEEvv.num_named_barrier, 0
	.set _ZN7rocprim17ROCPRIM_400000_NS6detail44device_merge_sort_compile_time_verifier_archINS1_11comp_targetILNS1_3genE8ELNS1_11target_archE1030ELNS1_3gpuE2ELNS1_3repE0EEES8_NS1_28merge_sort_block_sort_configILj256ELj4ELNS0_20block_sort_algorithmE0EEENS0_14default_configENS1_37merge_sort_block_sort_config_selectorIalEENS1_38merge_sort_block_merge_config_selectorIalEEEEvv.private_seg_size, 0
	.set _ZN7rocprim17ROCPRIM_400000_NS6detail44device_merge_sort_compile_time_verifier_archINS1_11comp_targetILNS1_3genE8ELNS1_11target_archE1030ELNS1_3gpuE2ELNS1_3repE0EEES8_NS1_28merge_sort_block_sort_configILj256ELj4ELNS0_20block_sort_algorithmE0EEENS0_14default_configENS1_37merge_sort_block_sort_config_selectorIalEENS1_38merge_sort_block_merge_config_selectorIalEEEEvv.uses_vcc, 0
	.set _ZN7rocprim17ROCPRIM_400000_NS6detail44device_merge_sort_compile_time_verifier_archINS1_11comp_targetILNS1_3genE8ELNS1_11target_archE1030ELNS1_3gpuE2ELNS1_3repE0EEES8_NS1_28merge_sort_block_sort_configILj256ELj4ELNS0_20block_sort_algorithmE0EEENS0_14default_configENS1_37merge_sort_block_sort_config_selectorIalEENS1_38merge_sort_block_merge_config_selectorIalEEEEvv.uses_flat_scratch, 0
	.set _ZN7rocprim17ROCPRIM_400000_NS6detail44device_merge_sort_compile_time_verifier_archINS1_11comp_targetILNS1_3genE8ELNS1_11target_archE1030ELNS1_3gpuE2ELNS1_3repE0EEES8_NS1_28merge_sort_block_sort_configILj256ELj4ELNS0_20block_sort_algorithmE0EEENS0_14default_configENS1_37merge_sort_block_sort_config_selectorIalEENS1_38merge_sort_block_merge_config_selectorIalEEEEvv.has_dyn_sized_stack, 0
	.set _ZN7rocprim17ROCPRIM_400000_NS6detail44device_merge_sort_compile_time_verifier_archINS1_11comp_targetILNS1_3genE8ELNS1_11target_archE1030ELNS1_3gpuE2ELNS1_3repE0EEES8_NS1_28merge_sort_block_sort_configILj256ELj4ELNS0_20block_sort_algorithmE0EEENS0_14default_configENS1_37merge_sort_block_sort_config_selectorIalEENS1_38merge_sort_block_merge_config_selectorIalEEEEvv.has_recursion, 0
	.set _ZN7rocprim17ROCPRIM_400000_NS6detail44device_merge_sort_compile_time_verifier_archINS1_11comp_targetILNS1_3genE8ELNS1_11target_archE1030ELNS1_3gpuE2ELNS1_3repE0EEES8_NS1_28merge_sort_block_sort_configILj256ELj4ELNS0_20block_sort_algorithmE0EEENS0_14default_configENS1_37merge_sort_block_sort_config_selectorIalEENS1_38merge_sort_block_merge_config_selectorIalEEEEvv.has_indirect_call, 0
	.section	.AMDGPU.csdata,"",@progbits
; Kernel info:
; codeLenInByte = 4
; TotalNumSgprs: 4
; NumVgprs: 0
; ScratchSize: 0
; MemoryBound: 0
; FloatMode: 240
; IeeeMode: 1
; LDSByteSize: 0 bytes/workgroup (compile time only)
; SGPRBlocks: 0
; VGPRBlocks: 0
; NumSGPRsForWavesPerEU: 4
; NumVGPRsForWavesPerEU: 1
; Occupancy: 10
; WaveLimiterHint : 0
; COMPUTE_PGM_RSRC2:SCRATCH_EN: 0
; COMPUTE_PGM_RSRC2:USER_SGPR: 4
; COMPUTE_PGM_RSRC2:TRAP_HANDLER: 0
; COMPUTE_PGM_RSRC2:TGID_X_EN: 1
; COMPUTE_PGM_RSRC2:TGID_Y_EN: 0
; COMPUTE_PGM_RSRC2:TGID_Z_EN: 0
; COMPUTE_PGM_RSRC2:TIDIG_COMP_CNT: 0
	.section	.text._ZN7rocprim17ROCPRIM_400000_NS6detail17trampoline_kernelINS0_14default_configENS1_38merge_sort_block_merge_config_selectorIalEEZZNS1_27merge_sort_block_merge_implIS3_PaN6thrust23THRUST_200600_302600_NS10device_ptrIlEEjNS1_19radix_merge_compareILb0ELb0EaNS0_19identity_decomposerEEEEE10hipError_tT0_T1_T2_jT3_P12ihipStream_tbPNSt15iterator_traitsISG_E10value_typeEPNSM_ISH_E10value_typeEPSI_NS1_7vsmem_tEENKUlT_SG_SH_SI_E_clIS7_S7_PlSB_EESF_SV_SG_SH_SI_EUlSV_E_NS1_11comp_targetILNS1_3genE0ELNS1_11target_archE4294967295ELNS1_3gpuE0ELNS1_3repE0EEENS1_48merge_mergepath_partition_config_static_selectorELNS0_4arch9wavefront6targetE1EEEvSH_,"axG",@progbits,_ZN7rocprim17ROCPRIM_400000_NS6detail17trampoline_kernelINS0_14default_configENS1_38merge_sort_block_merge_config_selectorIalEEZZNS1_27merge_sort_block_merge_implIS3_PaN6thrust23THRUST_200600_302600_NS10device_ptrIlEEjNS1_19radix_merge_compareILb0ELb0EaNS0_19identity_decomposerEEEEE10hipError_tT0_T1_T2_jT3_P12ihipStream_tbPNSt15iterator_traitsISG_E10value_typeEPNSM_ISH_E10value_typeEPSI_NS1_7vsmem_tEENKUlT_SG_SH_SI_E_clIS7_S7_PlSB_EESF_SV_SG_SH_SI_EUlSV_E_NS1_11comp_targetILNS1_3genE0ELNS1_11target_archE4294967295ELNS1_3gpuE0ELNS1_3repE0EEENS1_48merge_mergepath_partition_config_static_selectorELNS0_4arch9wavefront6targetE1EEEvSH_,comdat
	.protected	_ZN7rocprim17ROCPRIM_400000_NS6detail17trampoline_kernelINS0_14default_configENS1_38merge_sort_block_merge_config_selectorIalEEZZNS1_27merge_sort_block_merge_implIS3_PaN6thrust23THRUST_200600_302600_NS10device_ptrIlEEjNS1_19radix_merge_compareILb0ELb0EaNS0_19identity_decomposerEEEEE10hipError_tT0_T1_T2_jT3_P12ihipStream_tbPNSt15iterator_traitsISG_E10value_typeEPNSM_ISH_E10value_typeEPSI_NS1_7vsmem_tEENKUlT_SG_SH_SI_E_clIS7_S7_PlSB_EESF_SV_SG_SH_SI_EUlSV_E_NS1_11comp_targetILNS1_3genE0ELNS1_11target_archE4294967295ELNS1_3gpuE0ELNS1_3repE0EEENS1_48merge_mergepath_partition_config_static_selectorELNS0_4arch9wavefront6targetE1EEEvSH_ ; -- Begin function _ZN7rocprim17ROCPRIM_400000_NS6detail17trampoline_kernelINS0_14default_configENS1_38merge_sort_block_merge_config_selectorIalEEZZNS1_27merge_sort_block_merge_implIS3_PaN6thrust23THRUST_200600_302600_NS10device_ptrIlEEjNS1_19radix_merge_compareILb0ELb0EaNS0_19identity_decomposerEEEEE10hipError_tT0_T1_T2_jT3_P12ihipStream_tbPNSt15iterator_traitsISG_E10value_typeEPNSM_ISH_E10value_typeEPSI_NS1_7vsmem_tEENKUlT_SG_SH_SI_E_clIS7_S7_PlSB_EESF_SV_SG_SH_SI_EUlSV_E_NS1_11comp_targetILNS1_3genE0ELNS1_11target_archE4294967295ELNS1_3gpuE0ELNS1_3repE0EEENS1_48merge_mergepath_partition_config_static_selectorELNS0_4arch9wavefront6targetE1EEEvSH_
	.globl	_ZN7rocprim17ROCPRIM_400000_NS6detail17trampoline_kernelINS0_14default_configENS1_38merge_sort_block_merge_config_selectorIalEEZZNS1_27merge_sort_block_merge_implIS3_PaN6thrust23THRUST_200600_302600_NS10device_ptrIlEEjNS1_19radix_merge_compareILb0ELb0EaNS0_19identity_decomposerEEEEE10hipError_tT0_T1_T2_jT3_P12ihipStream_tbPNSt15iterator_traitsISG_E10value_typeEPNSM_ISH_E10value_typeEPSI_NS1_7vsmem_tEENKUlT_SG_SH_SI_E_clIS7_S7_PlSB_EESF_SV_SG_SH_SI_EUlSV_E_NS1_11comp_targetILNS1_3genE0ELNS1_11target_archE4294967295ELNS1_3gpuE0ELNS1_3repE0EEENS1_48merge_mergepath_partition_config_static_selectorELNS0_4arch9wavefront6targetE1EEEvSH_
	.p2align	8
	.type	_ZN7rocprim17ROCPRIM_400000_NS6detail17trampoline_kernelINS0_14default_configENS1_38merge_sort_block_merge_config_selectorIalEEZZNS1_27merge_sort_block_merge_implIS3_PaN6thrust23THRUST_200600_302600_NS10device_ptrIlEEjNS1_19radix_merge_compareILb0ELb0EaNS0_19identity_decomposerEEEEE10hipError_tT0_T1_T2_jT3_P12ihipStream_tbPNSt15iterator_traitsISG_E10value_typeEPNSM_ISH_E10value_typeEPSI_NS1_7vsmem_tEENKUlT_SG_SH_SI_E_clIS7_S7_PlSB_EESF_SV_SG_SH_SI_EUlSV_E_NS1_11comp_targetILNS1_3genE0ELNS1_11target_archE4294967295ELNS1_3gpuE0ELNS1_3repE0EEENS1_48merge_mergepath_partition_config_static_selectorELNS0_4arch9wavefront6targetE1EEEvSH_,@function
_ZN7rocprim17ROCPRIM_400000_NS6detail17trampoline_kernelINS0_14default_configENS1_38merge_sort_block_merge_config_selectorIalEEZZNS1_27merge_sort_block_merge_implIS3_PaN6thrust23THRUST_200600_302600_NS10device_ptrIlEEjNS1_19radix_merge_compareILb0ELb0EaNS0_19identity_decomposerEEEEE10hipError_tT0_T1_T2_jT3_P12ihipStream_tbPNSt15iterator_traitsISG_E10value_typeEPNSM_ISH_E10value_typeEPSI_NS1_7vsmem_tEENKUlT_SG_SH_SI_E_clIS7_S7_PlSB_EESF_SV_SG_SH_SI_EUlSV_E_NS1_11comp_targetILNS1_3genE0ELNS1_11target_archE4294967295ELNS1_3gpuE0ELNS1_3repE0EEENS1_48merge_mergepath_partition_config_static_selectorELNS0_4arch9wavefront6targetE1EEEvSH_: ; @_ZN7rocprim17ROCPRIM_400000_NS6detail17trampoline_kernelINS0_14default_configENS1_38merge_sort_block_merge_config_selectorIalEEZZNS1_27merge_sort_block_merge_implIS3_PaN6thrust23THRUST_200600_302600_NS10device_ptrIlEEjNS1_19radix_merge_compareILb0ELb0EaNS0_19identity_decomposerEEEEE10hipError_tT0_T1_T2_jT3_P12ihipStream_tbPNSt15iterator_traitsISG_E10value_typeEPNSM_ISH_E10value_typeEPSI_NS1_7vsmem_tEENKUlT_SG_SH_SI_E_clIS7_S7_PlSB_EESF_SV_SG_SH_SI_EUlSV_E_NS1_11comp_targetILNS1_3genE0ELNS1_11target_archE4294967295ELNS1_3gpuE0ELNS1_3repE0EEENS1_48merge_mergepath_partition_config_static_selectorELNS0_4arch9wavefront6targetE1EEEvSH_
; %bb.0:
	.section	.rodata,"a",@progbits
	.p2align	6, 0x0
	.amdhsa_kernel _ZN7rocprim17ROCPRIM_400000_NS6detail17trampoline_kernelINS0_14default_configENS1_38merge_sort_block_merge_config_selectorIalEEZZNS1_27merge_sort_block_merge_implIS3_PaN6thrust23THRUST_200600_302600_NS10device_ptrIlEEjNS1_19radix_merge_compareILb0ELb0EaNS0_19identity_decomposerEEEEE10hipError_tT0_T1_T2_jT3_P12ihipStream_tbPNSt15iterator_traitsISG_E10value_typeEPNSM_ISH_E10value_typeEPSI_NS1_7vsmem_tEENKUlT_SG_SH_SI_E_clIS7_S7_PlSB_EESF_SV_SG_SH_SI_EUlSV_E_NS1_11comp_targetILNS1_3genE0ELNS1_11target_archE4294967295ELNS1_3gpuE0ELNS1_3repE0EEENS1_48merge_mergepath_partition_config_static_selectorELNS0_4arch9wavefront6targetE1EEEvSH_
		.amdhsa_group_segment_fixed_size 0
		.amdhsa_private_segment_fixed_size 0
		.amdhsa_kernarg_size 40
		.amdhsa_user_sgpr_count 6
		.amdhsa_user_sgpr_private_segment_buffer 1
		.amdhsa_user_sgpr_dispatch_ptr 0
		.amdhsa_user_sgpr_queue_ptr 0
		.amdhsa_user_sgpr_kernarg_segment_ptr 1
		.amdhsa_user_sgpr_dispatch_id 0
		.amdhsa_user_sgpr_flat_scratch_init 0
		.amdhsa_user_sgpr_private_segment_size 0
		.amdhsa_uses_dynamic_stack 0
		.amdhsa_system_sgpr_private_segment_wavefront_offset 0
		.amdhsa_system_sgpr_workgroup_id_x 1
		.amdhsa_system_sgpr_workgroup_id_y 0
		.amdhsa_system_sgpr_workgroup_id_z 0
		.amdhsa_system_sgpr_workgroup_info 0
		.amdhsa_system_vgpr_workitem_id 0
		.amdhsa_next_free_vgpr 1
		.amdhsa_next_free_sgpr 0
		.amdhsa_reserve_vcc 0
		.amdhsa_reserve_flat_scratch 0
		.amdhsa_float_round_mode_32 0
		.amdhsa_float_round_mode_16_64 0
		.amdhsa_float_denorm_mode_32 3
		.amdhsa_float_denorm_mode_16_64 3
		.amdhsa_dx10_clamp 1
		.amdhsa_ieee_mode 1
		.amdhsa_fp16_overflow 0
		.amdhsa_exception_fp_ieee_invalid_op 0
		.amdhsa_exception_fp_denorm_src 0
		.amdhsa_exception_fp_ieee_div_zero 0
		.amdhsa_exception_fp_ieee_overflow 0
		.amdhsa_exception_fp_ieee_underflow 0
		.amdhsa_exception_fp_ieee_inexact 0
		.amdhsa_exception_int_div_zero 0
	.end_amdhsa_kernel
	.section	.text._ZN7rocprim17ROCPRIM_400000_NS6detail17trampoline_kernelINS0_14default_configENS1_38merge_sort_block_merge_config_selectorIalEEZZNS1_27merge_sort_block_merge_implIS3_PaN6thrust23THRUST_200600_302600_NS10device_ptrIlEEjNS1_19radix_merge_compareILb0ELb0EaNS0_19identity_decomposerEEEEE10hipError_tT0_T1_T2_jT3_P12ihipStream_tbPNSt15iterator_traitsISG_E10value_typeEPNSM_ISH_E10value_typeEPSI_NS1_7vsmem_tEENKUlT_SG_SH_SI_E_clIS7_S7_PlSB_EESF_SV_SG_SH_SI_EUlSV_E_NS1_11comp_targetILNS1_3genE0ELNS1_11target_archE4294967295ELNS1_3gpuE0ELNS1_3repE0EEENS1_48merge_mergepath_partition_config_static_selectorELNS0_4arch9wavefront6targetE1EEEvSH_,"axG",@progbits,_ZN7rocprim17ROCPRIM_400000_NS6detail17trampoline_kernelINS0_14default_configENS1_38merge_sort_block_merge_config_selectorIalEEZZNS1_27merge_sort_block_merge_implIS3_PaN6thrust23THRUST_200600_302600_NS10device_ptrIlEEjNS1_19radix_merge_compareILb0ELb0EaNS0_19identity_decomposerEEEEE10hipError_tT0_T1_T2_jT3_P12ihipStream_tbPNSt15iterator_traitsISG_E10value_typeEPNSM_ISH_E10value_typeEPSI_NS1_7vsmem_tEENKUlT_SG_SH_SI_E_clIS7_S7_PlSB_EESF_SV_SG_SH_SI_EUlSV_E_NS1_11comp_targetILNS1_3genE0ELNS1_11target_archE4294967295ELNS1_3gpuE0ELNS1_3repE0EEENS1_48merge_mergepath_partition_config_static_selectorELNS0_4arch9wavefront6targetE1EEEvSH_,comdat
.Lfunc_end478:
	.size	_ZN7rocprim17ROCPRIM_400000_NS6detail17trampoline_kernelINS0_14default_configENS1_38merge_sort_block_merge_config_selectorIalEEZZNS1_27merge_sort_block_merge_implIS3_PaN6thrust23THRUST_200600_302600_NS10device_ptrIlEEjNS1_19radix_merge_compareILb0ELb0EaNS0_19identity_decomposerEEEEE10hipError_tT0_T1_T2_jT3_P12ihipStream_tbPNSt15iterator_traitsISG_E10value_typeEPNSM_ISH_E10value_typeEPSI_NS1_7vsmem_tEENKUlT_SG_SH_SI_E_clIS7_S7_PlSB_EESF_SV_SG_SH_SI_EUlSV_E_NS1_11comp_targetILNS1_3genE0ELNS1_11target_archE4294967295ELNS1_3gpuE0ELNS1_3repE0EEENS1_48merge_mergepath_partition_config_static_selectorELNS0_4arch9wavefront6targetE1EEEvSH_, .Lfunc_end478-_ZN7rocprim17ROCPRIM_400000_NS6detail17trampoline_kernelINS0_14default_configENS1_38merge_sort_block_merge_config_selectorIalEEZZNS1_27merge_sort_block_merge_implIS3_PaN6thrust23THRUST_200600_302600_NS10device_ptrIlEEjNS1_19radix_merge_compareILb0ELb0EaNS0_19identity_decomposerEEEEE10hipError_tT0_T1_T2_jT3_P12ihipStream_tbPNSt15iterator_traitsISG_E10value_typeEPNSM_ISH_E10value_typeEPSI_NS1_7vsmem_tEENKUlT_SG_SH_SI_E_clIS7_S7_PlSB_EESF_SV_SG_SH_SI_EUlSV_E_NS1_11comp_targetILNS1_3genE0ELNS1_11target_archE4294967295ELNS1_3gpuE0ELNS1_3repE0EEENS1_48merge_mergepath_partition_config_static_selectorELNS0_4arch9wavefront6targetE1EEEvSH_
                                        ; -- End function
	.set _ZN7rocprim17ROCPRIM_400000_NS6detail17trampoline_kernelINS0_14default_configENS1_38merge_sort_block_merge_config_selectorIalEEZZNS1_27merge_sort_block_merge_implIS3_PaN6thrust23THRUST_200600_302600_NS10device_ptrIlEEjNS1_19radix_merge_compareILb0ELb0EaNS0_19identity_decomposerEEEEE10hipError_tT0_T1_T2_jT3_P12ihipStream_tbPNSt15iterator_traitsISG_E10value_typeEPNSM_ISH_E10value_typeEPSI_NS1_7vsmem_tEENKUlT_SG_SH_SI_E_clIS7_S7_PlSB_EESF_SV_SG_SH_SI_EUlSV_E_NS1_11comp_targetILNS1_3genE0ELNS1_11target_archE4294967295ELNS1_3gpuE0ELNS1_3repE0EEENS1_48merge_mergepath_partition_config_static_selectorELNS0_4arch9wavefront6targetE1EEEvSH_.num_vgpr, 0
	.set _ZN7rocprim17ROCPRIM_400000_NS6detail17trampoline_kernelINS0_14default_configENS1_38merge_sort_block_merge_config_selectorIalEEZZNS1_27merge_sort_block_merge_implIS3_PaN6thrust23THRUST_200600_302600_NS10device_ptrIlEEjNS1_19radix_merge_compareILb0ELb0EaNS0_19identity_decomposerEEEEE10hipError_tT0_T1_T2_jT3_P12ihipStream_tbPNSt15iterator_traitsISG_E10value_typeEPNSM_ISH_E10value_typeEPSI_NS1_7vsmem_tEENKUlT_SG_SH_SI_E_clIS7_S7_PlSB_EESF_SV_SG_SH_SI_EUlSV_E_NS1_11comp_targetILNS1_3genE0ELNS1_11target_archE4294967295ELNS1_3gpuE0ELNS1_3repE0EEENS1_48merge_mergepath_partition_config_static_selectorELNS0_4arch9wavefront6targetE1EEEvSH_.num_agpr, 0
	.set _ZN7rocprim17ROCPRIM_400000_NS6detail17trampoline_kernelINS0_14default_configENS1_38merge_sort_block_merge_config_selectorIalEEZZNS1_27merge_sort_block_merge_implIS3_PaN6thrust23THRUST_200600_302600_NS10device_ptrIlEEjNS1_19radix_merge_compareILb0ELb0EaNS0_19identity_decomposerEEEEE10hipError_tT0_T1_T2_jT3_P12ihipStream_tbPNSt15iterator_traitsISG_E10value_typeEPNSM_ISH_E10value_typeEPSI_NS1_7vsmem_tEENKUlT_SG_SH_SI_E_clIS7_S7_PlSB_EESF_SV_SG_SH_SI_EUlSV_E_NS1_11comp_targetILNS1_3genE0ELNS1_11target_archE4294967295ELNS1_3gpuE0ELNS1_3repE0EEENS1_48merge_mergepath_partition_config_static_selectorELNS0_4arch9wavefront6targetE1EEEvSH_.numbered_sgpr, 0
	.set _ZN7rocprim17ROCPRIM_400000_NS6detail17trampoline_kernelINS0_14default_configENS1_38merge_sort_block_merge_config_selectorIalEEZZNS1_27merge_sort_block_merge_implIS3_PaN6thrust23THRUST_200600_302600_NS10device_ptrIlEEjNS1_19radix_merge_compareILb0ELb0EaNS0_19identity_decomposerEEEEE10hipError_tT0_T1_T2_jT3_P12ihipStream_tbPNSt15iterator_traitsISG_E10value_typeEPNSM_ISH_E10value_typeEPSI_NS1_7vsmem_tEENKUlT_SG_SH_SI_E_clIS7_S7_PlSB_EESF_SV_SG_SH_SI_EUlSV_E_NS1_11comp_targetILNS1_3genE0ELNS1_11target_archE4294967295ELNS1_3gpuE0ELNS1_3repE0EEENS1_48merge_mergepath_partition_config_static_selectorELNS0_4arch9wavefront6targetE1EEEvSH_.num_named_barrier, 0
	.set _ZN7rocprim17ROCPRIM_400000_NS6detail17trampoline_kernelINS0_14default_configENS1_38merge_sort_block_merge_config_selectorIalEEZZNS1_27merge_sort_block_merge_implIS3_PaN6thrust23THRUST_200600_302600_NS10device_ptrIlEEjNS1_19radix_merge_compareILb0ELb0EaNS0_19identity_decomposerEEEEE10hipError_tT0_T1_T2_jT3_P12ihipStream_tbPNSt15iterator_traitsISG_E10value_typeEPNSM_ISH_E10value_typeEPSI_NS1_7vsmem_tEENKUlT_SG_SH_SI_E_clIS7_S7_PlSB_EESF_SV_SG_SH_SI_EUlSV_E_NS1_11comp_targetILNS1_3genE0ELNS1_11target_archE4294967295ELNS1_3gpuE0ELNS1_3repE0EEENS1_48merge_mergepath_partition_config_static_selectorELNS0_4arch9wavefront6targetE1EEEvSH_.private_seg_size, 0
	.set _ZN7rocprim17ROCPRIM_400000_NS6detail17trampoline_kernelINS0_14default_configENS1_38merge_sort_block_merge_config_selectorIalEEZZNS1_27merge_sort_block_merge_implIS3_PaN6thrust23THRUST_200600_302600_NS10device_ptrIlEEjNS1_19radix_merge_compareILb0ELb0EaNS0_19identity_decomposerEEEEE10hipError_tT0_T1_T2_jT3_P12ihipStream_tbPNSt15iterator_traitsISG_E10value_typeEPNSM_ISH_E10value_typeEPSI_NS1_7vsmem_tEENKUlT_SG_SH_SI_E_clIS7_S7_PlSB_EESF_SV_SG_SH_SI_EUlSV_E_NS1_11comp_targetILNS1_3genE0ELNS1_11target_archE4294967295ELNS1_3gpuE0ELNS1_3repE0EEENS1_48merge_mergepath_partition_config_static_selectorELNS0_4arch9wavefront6targetE1EEEvSH_.uses_vcc, 0
	.set _ZN7rocprim17ROCPRIM_400000_NS6detail17trampoline_kernelINS0_14default_configENS1_38merge_sort_block_merge_config_selectorIalEEZZNS1_27merge_sort_block_merge_implIS3_PaN6thrust23THRUST_200600_302600_NS10device_ptrIlEEjNS1_19radix_merge_compareILb0ELb0EaNS0_19identity_decomposerEEEEE10hipError_tT0_T1_T2_jT3_P12ihipStream_tbPNSt15iterator_traitsISG_E10value_typeEPNSM_ISH_E10value_typeEPSI_NS1_7vsmem_tEENKUlT_SG_SH_SI_E_clIS7_S7_PlSB_EESF_SV_SG_SH_SI_EUlSV_E_NS1_11comp_targetILNS1_3genE0ELNS1_11target_archE4294967295ELNS1_3gpuE0ELNS1_3repE0EEENS1_48merge_mergepath_partition_config_static_selectorELNS0_4arch9wavefront6targetE1EEEvSH_.uses_flat_scratch, 0
	.set _ZN7rocprim17ROCPRIM_400000_NS6detail17trampoline_kernelINS0_14default_configENS1_38merge_sort_block_merge_config_selectorIalEEZZNS1_27merge_sort_block_merge_implIS3_PaN6thrust23THRUST_200600_302600_NS10device_ptrIlEEjNS1_19radix_merge_compareILb0ELb0EaNS0_19identity_decomposerEEEEE10hipError_tT0_T1_T2_jT3_P12ihipStream_tbPNSt15iterator_traitsISG_E10value_typeEPNSM_ISH_E10value_typeEPSI_NS1_7vsmem_tEENKUlT_SG_SH_SI_E_clIS7_S7_PlSB_EESF_SV_SG_SH_SI_EUlSV_E_NS1_11comp_targetILNS1_3genE0ELNS1_11target_archE4294967295ELNS1_3gpuE0ELNS1_3repE0EEENS1_48merge_mergepath_partition_config_static_selectorELNS0_4arch9wavefront6targetE1EEEvSH_.has_dyn_sized_stack, 0
	.set _ZN7rocprim17ROCPRIM_400000_NS6detail17trampoline_kernelINS0_14default_configENS1_38merge_sort_block_merge_config_selectorIalEEZZNS1_27merge_sort_block_merge_implIS3_PaN6thrust23THRUST_200600_302600_NS10device_ptrIlEEjNS1_19radix_merge_compareILb0ELb0EaNS0_19identity_decomposerEEEEE10hipError_tT0_T1_T2_jT3_P12ihipStream_tbPNSt15iterator_traitsISG_E10value_typeEPNSM_ISH_E10value_typeEPSI_NS1_7vsmem_tEENKUlT_SG_SH_SI_E_clIS7_S7_PlSB_EESF_SV_SG_SH_SI_EUlSV_E_NS1_11comp_targetILNS1_3genE0ELNS1_11target_archE4294967295ELNS1_3gpuE0ELNS1_3repE0EEENS1_48merge_mergepath_partition_config_static_selectorELNS0_4arch9wavefront6targetE1EEEvSH_.has_recursion, 0
	.set _ZN7rocprim17ROCPRIM_400000_NS6detail17trampoline_kernelINS0_14default_configENS1_38merge_sort_block_merge_config_selectorIalEEZZNS1_27merge_sort_block_merge_implIS3_PaN6thrust23THRUST_200600_302600_NS10device_ptrIlEEjNS1_19radix_merge_compareILb0ELb0EaNS0_19identity_decomposerEEEEE10hipError_tT0_T1_T2_jT3_P12ihipStream_tbPNSt15iterator_traitsISG_E10value_typeEPNSM_ISH_E10value_typeEPSI_NS1_7vsmem_tEENKUlT_SG_SH_SI_E_clIS7_S7_PlSB_EESF_SV_SG_SH_SI_EUlSV_E_NS1_11comp_targetILNS1_3genE0ELNS1_11target_archE4294967295ELNS1_3gpuE0ELNS1_3repE0EEENS1_48merge_mergepath_partition_config_static_selectorELNS0_4arch9wavefront6targetE1EEEvSH_.has_indirect_call, 0
	.section	.AMDGPU.csdata,"",@progbits
; Kernel info:
; codeLenInByte = 0
; TotalNumSgprs: 4
; NumVgprs: 0
; ScratchSize: 0
; MemoryBound: 0
; FloatMode: 240
; IeeeMode: 1
; LDSByteSize: 0 bytes/workgroup (compile time only)
; SGPRBlocks: 0
; VGPRBlocks: 0
; NumSGPRsForWavesPerEU: 4
; NumVGPRsForWavesPerEU: 1
; Occupancy: 10
; WaveLimiterHint : 0
; COMPUTE_PGM_RSRC2:SCRATCH_EN: 0
; COMPUTE_PGM_RSRC2:USER_SGPR: 6
; COMPUTE_PGM_RSRC2:TRAP_HANDLER: 0
; COMPUTE_PGM_RSRC2:TGID_X_EN: 1
; COMPUTE_PGM_RSRC2:TGID_Y_EN: 0
; COMPUTE_PGM_RSRC2:TGID_Z_EN: 0
; COMPUTE_PGM_RSRC2:TIDIG_COMP_CNT: 0
	.section	.text._ZN7rocprim17ROCPRIM_400000_NS6detail17trampoline_kernelINS0_14default_configENS1_38merge_sort_block_merge_config_selectorIalEEZZNS1_27merge_sort_block_merge_implIS3_PaN6thrust23THRUST_200600_302600_NS10device_ptrIlEEjNS1_19radix_merge_compareILb0ELb0EaNS0_19identity_decomposerEEEEE10hipError_tT0_T1_T2_jT3_P12ihipStream_tbPNSt15iterator_traitsISG_E10value_typeEPNSM_ISH_E10value_typeEPSI_NS1_7vsmem_tEENKUlT_SG_SH_SI_E_clIS7_S7_PlSB_EESF_SV_SG_SH_SI_EUlSV_E_NS1_11comp_targetILNS1_3genE10ELNS1_11target_archE1201ELNS1_3gpuE5ELNS1_3repE0EEENS1_48merge_mergepath_partition_config_static_selectorELNS0_4arch9wavefront6targetE1EEEvSH_,"axG",@progbits,_ZN7rocprim17ROCPRIM_400000_NS6detail17trampoline_kernelINS0_14default_configENS1_38merge_sort_block_merge_config_selectorIalEEZZNS1_27merge_sort_block_merge_implIS3_PaN6thrust23THRUST_200600_302600_NS10device_ptrIlEEjNS1_19radix_merge_compareILb0ELb0EaNS0_19identity_decomposerEEEEE10hipError_tT0_T1_T2_jT3_P12ihipStream_tbPNSt15iterator_traitsISG_E10value_typeEPNSM_ISH_E10value_typeEPSI_NS1_7vsmem_tEENKUlT_SG_SH_SI_E_clIS7_S7_PlSB_EESF_SV_SG_SH_SI_EUlSV_E_NS1_11comp_targetILNS1_3genE10ELNS1_11target_archE1201ELNS1_3gpuE5ELNS1_3repE0EEENS1_48merge_mergepath_partition_config_static_selectorELNS0_4arch9wavefront6targetE1EEEvSH_,comdat
	.protected	_ZN7rocprim17ROCPRIM_400000_NS6detail17trampoline_kernelINS0_14default_configENS1_38merge_sort_block_merge_config_selectorIalEEZZNS1_27merge_sort_block_merge_implIS3_PaN6thrust23THRUST_200600_302600_NS10device_ptrIlEEjNS1_19radix_merge_compareILb0ELb0EaNS0_19identity_decomposerEEEEE10hipError_tT0_T1_T2_jT3_P12ihipStream_tbPNSt15iterator_traitsISG_E10value_typeEPNSM_ISH_E10value_typeEPSI_NS1_7vsmem_tEENKUlT_SG_SH_SI_E_clIS7_S7_PlSB_EESF_SV_SG_SH_SI_EUlSV_E_NS1_11comp_targetILNS1_3genE10ELNS1_11target_archE1201ELNS1_3gpuE5ELNS1_3repE0EEENS1_48merge_mergepath_partition_config_static_selectorELNS0_4arch9wavefront6targetE1EEEvSH_ ; -- Begin function _ZN7rocprim17ROCPRIM_400000_NS6detail17trampoline_kernelINS0_14default_configENS1_38merge_sort_block_merge_config_selectorIalEEZZNS1_27merge_sort_block_merge_implIS3_PaN6thrust23THRUST_200600_302600_NS10device_ptrIlEEjNS1_19radix_merge_compareILb0ELb0EaNS0_19identity_decomposerEEEEE10hipError_tT0_T1_T2_jT3_P12ihipStream_tbPNSt15iterator_traitsISG_E10value_typeEPNSM_ISH_E10value_typeEPSI_NS1_7vsmem_tEENKUlT_SG_SH_SI_E_clIS7_S7_PlSB_EESF_SV_SG_SH_SI_EUlSV_E_NS1_11comp_targetILNS1_3genE10ELNS1_11target_archE1201ELNS1_3gpuE5ELNS1_3repE0EEENS1_48merge_mergepath_partition_config_static_selectorELNS0_4arch9wavefront6targetE1EEEvSH_
	.globl	_ZN7rocprim17ROCPRIM_400000_NS6detail17trampoline_kernelINS0_14default_configENS1_38merge_sort_block_merge_config_selectorIalEEZZNS1_27merge_sort_block_merge_implIS3_PaN6thrust23THRUST_200600_302600_NS10device_ptrIlEEjNS1_19radix_merge_compareILb0ELb0EaNS0_19identity_decomposerEEEEE10hipError_tT0_T1_T2_jT3_P12ihipStream_tbPNSt15iterator_traitsISG_E10value_typeEPNSM_ISH_E10value_typeEPSI_NS1_7vsmem_tEENKUlT_SG_SH_SI_E_clIS7_S7_PlSB_EESF_SV_SG_SH_SI_EUlSV_E_NS1_11comp_targetILNS1_3genE10ELNS1_11target_archE1201ELNS1_3gpuE5ELNS1_3repE0EEENS1_48merge_mergepath_partition_config_static_selectorELNS0_4arch9wavefront6targetE1EEEvSH_
	.p2align	8
	.type	_ZN7rocprim17ROCPRIM_400000_NS6detail17trampoline_kernelINS0_14default_configENS1_38merge_sort_block_merge_config_selectorIalEEZZNS1_27merge_sort_block_merge_implIS3_PaN6thrust23THRUST_200600_302600_NS10device_ptrIlEEjNS1_19radix_merge_compareILb0ELb0EaNS0_19identity_decomposerEEEEE10hipError_tT0_T1_T2_jT3_P12ihipStream_tbPNSt15iterator_traitsISG_E10value_typeEPNSM_ISH_E10value_typeEPSI_NS1_7vsmem_tEENKUlT_SG_SH_SI_E_clIS7_S7_PlSB_EESF_SV_SG_SH_SI_EUlSV_E_NS1_11comp_targetILNS1_3genE10ELNS1_11target_archE1201ELNS1_3gpuE5ELNS1_3repE0EEENS1_48merge_mergepath_partition_config_static_selectorELNS0_4arch9wavefront6targetE1EEEvSH_,@function
_ZN7rocprim17ROCPRIM_400000_NS6detail17trampoline_kernelINS0_14default_configENS1_38merge_sort_block_merge_config_selectorIalEEZZNS1_27merge_sort_block_merge_implIS3_PaN6thrust23THRUST_200600_302600_NS10device_ptrIlEEjNS1_19radix_merge_compareILb0ELb0EaNS0_19identity_decomposerEEEEE10hipError_tT0_T1_T2_jT3_P12ihipStream_tbPNSt15iterator_traitsISG_E10value_typeEPNSM_ISH_E10value_typeEPSI_NS1_7vsmem_tEENKUlT_SG_SH_SI_E_clIS7_S7_PlSB_EESF_SV_SG_SH_SI_EUlSV_E_NS1_11comp_targetILNS1_3genE10ELNS1_11target_archE1201ELNS1_3gpuE5ELNS1_3repE0EEENS1_48merge_mergepath_partition_config_static_selectorELNS0_4arch9wavefront6targetE1EEEvSH_: ; @_ZN7rocprim17ROCPRIM_400000_NS6detail17trampoline_kernelINS0_14default_configENS1_38merge_sort_block_merge_config_selectorIalEEZZNS1_27merge_sort_block_merge_implIS3_PaN6thrust23THRUST_200600_302600_NS10device_ptrIlEEjNS1_19radix_merge_compareILb0ELb0EaNS0_19identity_decomposerEEEEE10hipError_tT0_T1_T2_jT3_P12ihipStream_tbPNSt15iterator_traitsISG_E10value_typeEPNSM_ISH_E10value_typeEPSI_NS1_7vsmem_tEENKUlT_SG_SH_SI_E_clIS7_S7_PlSB_EESF_SV_SG_SH_SI_EUlSV_E_NS1_11comp_targetILNS1_3genE10ELNS1_11target_archE1201ELNS1_3gpuE5ELNS1_3repE0EEENS1_48merge_mergepath_partition_config_static_selectorELNS0_4arch9wavefront6targetE1EEEvSH_
; %bb.0:
	.section	.rodata,"a",@progbits
	.p2align	6, 0x0
	.amdhsa_kernel _ZN7rocprim17ROCPRIM_400000_NS6detail17trampoline_kernelINS0_14default_configENS1_38merge_sort_block_merge_config_selectorIalEEZZNS1_27merge_sort_block_merge_implIS3_PaN6thrust23THRUST_200600_302600_NS10device_ptrIlEEjNS1_19radix_merge_compareILb0ELb0EaNS0_19identity_decomposerEEEEE10hipError_tT0_T1_T2_jT3_P12ihipStream_tbPNSt15iterator_traitsISG_E10value_typeEPNSM_ISH_E10value_typeEPSI_NS1_7vsmem_tEENKUlT_SG_SH_SI_E_clIS7_S7_PlSB_EESF_SV_SG_SH_SI_EUlSV_E_NS1_11comp_targetILNS1_3genE10ELNS1_11target_archE1201ELNS1_3gpuE5ELNS1_3repE0EEENS1_48merge_mergepath_partition_config_static_selectorELNS0_4arch9wavefront6targetE1EEEvSH_
		.amdhsa_group_segment_fixed_size 0
		.amdhsa_private_segment_fixed_size 0
		.amdhsa_kernarg_size 40
		.amdhsa_user_sgpr_count 6
		.amdhsa_user_sgpr_private_segment_buffer 1
		.amdhsa_user_sgpr_dispatch_ptr 0
		.amdhsa_user_sgpr_queue_ptr 0
		.amdhsa_user_sgpr_kernarg_segment_ptr 1
		.amdhsa_user_sgpr_dispatch_id 0
		.amdhsa_user_sgpr_flat_scratch_init 0
		.amdhsa_user_sgpr_private_segment_size 0
		.amdhsa_uses_dynamic_stack 0
		.amdhsa_system_sgpr_private_segment_wavefront_offset 0
		.amdhsa_system_sgpr_workgroup_id_x 1
		.amdhsa_system_sgpr_workgroup_id_y 0
		.amdhsa_system_sgpr_workgroup_id_z 0
		.amdhsa_system_sgpr_workgroup_info 0
		.amdhsa_system_vgpr_workitem_id 0
		.amdhsa_next_free_vgpr 1
		.amdhsa_next_free_sgpr 0
		.amdhsa_reserve_vcc 0
		.amdhsa_reserve_flat_scratch 0
		.amdhsa_float_round_mode_32 0
		.amdhsa_float_round_mode_16_64 0
		.amdhsa_float_denorm_mode_32 3
		.amdhsa_float_denorm_mode_16_64 3
		.amdhsa_dx10_clamp 1
		.amdhsa_ieee_mode 1
		.amdhsa_fp16_overflow 0
		.amdhsa_exception_fp_ieee_invalid_op 0
		.amdhsa_exception_fp_denorm_src 0
		.amdhsa_exception_fp_ieee_div_zero 0
		.amdhsa_exception_fp_ieee_overflow 0
		.amdhsa_exception_fp_ieee_underflow 0
		.amdhsa_exception_fp_ieee_inexact 0
		.amdhsa_exception_int_div_zero 0
	.end_amdhsa_kernel
	.section	.text._ZN7rocprim17ROCPRIM_400000_NS6detail17trampoline_kernelINS0_14default_configENS1_38merge_sort_block_merge_config_selectorIalEEZZNS1_27merge_sort_block_merge_implIS3_PaN6thrust23THRUST_200600_302600_NS10device_ptrIlEEjNS1_19radix_merge_compareILb0ELb0EaNS0_19identity_decomposerEEEEE10hipError_tT0_T1_T2_jT3_P12ihipStream_tbPNSt15iterator_traitsISG_E10value_typeEPNSM_ISH_E10value_typeEPSI_NS1_7vsmem_tEENKUlT_SG_SH_SI_E_clIS7_S7_PlSB_EESF_SV_SG_SH_SI_EUlSV_E_NS1_11comp_targetILNS1_3genE10ELNS1_11target_archE1201ELNS1_3gpuE5ELNS1_3repE0EEENS1_48merge_mergepath_partition_config_static_selectorELNS0_4arch9wavefront6targetE1EEEvSH_,"axG",@progbits,_ZN7rocprim17ROCPRIM_400000_NS6detail17trampoline_kernelINS0_14default_configENS1_38merge_sort_block_merge_config_selectorIalEEZZNS1_27merge_sort_block_merge_implIS3_PaN6thrust23THRUST_200600_302600_NS10device_ptrIlEEjNS1_19radix_merge_compareILb0ELb0EaNS0_19identity_decomposerEEEEE10hipError_tT0_T1_T2_jT3_P12ihipStream_tbPNSt15iterator_traitsISG_E10value_typeEPNSM_ISH_E10value_typeEPSI_NS1_7vsmem_tEENKUlT_SG_SH_SI_E_clIS7_S7_PlSB_EESF_SV_SG_SH_SI_EUlSV_E_NS1_11comp_targetILNS1_3genE10ELNS1_11target_archE1201ELNS1_3gpuE5ELNS1_3repE0EEENS1_48merge_mergepath_partition_config_static_selectorELNS0_4arch9wavefront6targetE1EEEvSH_,comdat
.Lfunc_end479:
	.size	_ZN7rocprim17ROCPRIM_400000_NS6detail17trampoline_kernelINS0_14default_configENS1_38merge_sort_block_merge_config_selectorIalEEZZNS1_27merge_sort_block_merge_implIS3_PaN6thrust23THRUST_200600_302600_NS10device_ptrIlEEjNS1_19radix_merge_compareILb0ELb0EaNS0_19identity_decomposerEEEEE10hipError_tT0_T1_T2_jT3_P12ihipStream_tbPNSt15iterator_traitsISG_E10value_typeEPNSM_ISH_E10value_typeEPSI_NS1_7vsmem_tEENKUlT_SG_SH_SI_E_clIS7_S7_PlSB_EESF_SV_SG_SH_SI_EUlSV_E_NS1_11comp_targetILNS1_3genE10ELNS1_11target_archE1201ELNS1_3gpuE5ELNS1_3repE0EEENS1_48merge_mergepath_partition_config_static_selectorELNS0_4arch9wavefront6targetE1EEEvSH_, .Lfunc_end479-_ZN7rocprim17ROCPRIM_400000_NS6detail17trampoline_kernelINS0_14default_configENS1_38merge_sort_block_merge_config_selectorIalEEZZNS1_27merge_sort_block_merge_implIS3_PaN6thrust23THRUST_200600_302600_NS10device_ptrIlEEjNS1_19radix_merge_compareILb0ELb0EaNS0_19identity_decomposerEEEEE10hipError_tT0_T1_T2_jT3_P12ihipStream_tbPNSt15iterator_traitsISG_E10value_typeEPNSM_ISH_E10value_typeEPSI_NS1_7vsmem_tEENKUlT_SG_SH_SI_E_clIS7_S7_PlSB_EESF_SV_SG_SH_SI_EUlSV_E_NS1_11comp_targetILNS1_3genE10ELNS1_11target_archE1201ELNS1_3gpuE5ELNS1_3repE0EEENS1_48merge_mergepath_partition_config_static_selectorELNS0_4arch9wavefront6targetE1EEEvSH_
                                        ; -- End function
	.set _ZN7rocprim17ROCPRIM_400000_NS6detail17trampoline_kernelINS0_14default_configENS1_38merge_sort_block_merge_config_selectorIalEEZZNS1_27merge_sort_block_merge_implIS3_PaN6thrust23THRUST_200600_302600_NS10device_ptrIlEEjNS1_19radix_merge_compareILb0ELb0EaNS0_19identity_decomposerEEEEE10hipError_tT0_T1_T2_jT3_P12ihipStream_tbPNSt15iterator_traitsISG_E10value_typeEPNSM_ISH_E10value_typeEPSI_NS1_7vsmem_tEENKUlT_SG_SH_SI_E_clIS7_S7_PlSB_EESF_SV_SG_SH_SI_EUlSV_E_NS1_11comp_targetILNS1_3genE10ELNS1_11target_archE1201ELNS1_3gpuE5ELNS1_3repE0EEENS1_48merge_mergepath_partition_config_static_selectorELNS0_4arch9wavefront6targetE1EEEvSH_.num_vgpr, 0
	.set _ZN7rocprim17ROCPRIM_400000_NS6detail17trampoline_kernelINS0_14default_configENS1_38merge_sort_block_merge_config_selectorIalEEZZNS1_27merge_sort_block_merge_implIS3_PaN6thrust23THRUST_200600_302600_NS10device_ptrIlEEjNS1_19radix_merge_compareILb0ELb0EaNS0_19identity_decomposerEEEEE10hipError_tT0_T1_T2_jT3_P12ihipStream_tbPNSt15iterator_traitsISG_E10value_typeEPNSM_ISH_E10value_typeEPSI_NS1_7vsmem_tEENKUlT_SG_SH_SI_E_clIS7_S7_PlSB_EESF_SV_SG_SH_SI_EUlSV_E_NS1_11comp_targetILNS1_3genE10ELNS1_11target_archE1201ELNS1_3gpuE5ELNS1_3repE0EEENS1_48merge_mergepath_partition_config_static_selectorELNS0_4arch9wavefront6targetE1EEEvSH_.num_agpr, 0
	.set _ZN7rocprim17ROCPRIM_400000_NS6detail17trampoline_kernelINS0_14default_configENS1_38merge_sort_block_merge_config_selectorIalEEZZNS1_27merge_sort_block_merge_implIS3_PaN6thrust23THRUST_200600_302600_NS10device_ptrIlEEjNS1_19radix_merge_compareILb0ELb0EaNS0_19identity_decomposerEEEEE10hipError_tT0_T1_T2_jT3_P12ihipStream_tbPNSt15iterator_traitsISG_E10value_typeEPNSM_ISH_E10value_typeEPSI_NS1_7vsmem_tEENKUlT_SG_SH_SI_E_clIS7_S7_PlSB_EESF_SV_SG_SH_SI_EUlSV_E_NS1_11comp_targetILNS1_3genE10ELNS1_11target_archE1201ELNS1_3gpuE5ELNS1_3repE0EEENS1_48merge_mergepath_partition_config_static_selectorELNS0_4arch9wavefront6targetE1EEEvSH_.numbered_sgpr, 0
	.set _ZN7rocprim17ROCPRIM_400000_NS6detail17trampoline_kernelINS0_14default_configENS1_38merge_sort_block_merge_config_selectorIalEEZZNS1_27merge_sort_block_merge_implIS3_PaN6thrust23THRUST_200600_302600_NS10device_ptrIlEEjNS1_19radix_merge_compareILb0ELb0EaNS0_19identity_decomposerEEEEE10hipError_tT0_T1_T2_jT3_P12ihipStream_tbPNSt15iterator_traitsISG_E10value_typeEPNSM_ISH_E10value_typeEPSI_NS1_7vsmem_tEENKUlT_SG_SH_SI_E_clIS7_S7_PlSB_EESF_SV_SG_SH_SI_EUlSV_E_NS1_11comp_targetILNS1_3genE10ELNS1_11target_archE1201ELNS1_3gpuE5ELNS1_3repE0EEENS1_48merge_mergepath_partition_config_static_selectorELNS0_4arch9wavefront6targetE1EEEvSH_.num_named_barrier, 0
	.set _ZN7rocprim17ROCPRIM_400000_NS6detail17trampoline_kernelINS0_14default_configENS1_38merge_sort_block_merge_config_selectorIalEEZZNS1_27merge_sort_block_merge_implIS3_PaN6thrust23THRUST_200600_302600_NS10device_ptrIlEEjNS1_19radix_merge_compareILb0ELb0EaNS0_19identity_decomposerEEEEE10hipError_tT0_T1_T2_jT3_P12ihipStream_tbPNSt15iterator_traitsISG_E10value_typeEPNSM_ISH_E10value_typeEPSI_NS1_7vsmem_tEENKUlT_SG_SH_SI_E_clIS7_S7_PlSB_EESF_SV_SG_SH_SI_EUlSV_E_NS1_11comp_targetILNS1_3genE10ELNS1_11target_archE1201ELNS1_3gpuE5ELNS1_3repE0EEENS1_48merge_mergepath_partition_config_static_selectorELNS0_4arch9wavefront6targetE1EEEvSH_.private_seg_size, 0
	.set _ZN7rocprim17ROCPRIM_400000_NS6detail17trampoline_kernelINS0_14default_configENS1_38merge_sort_block_merge_config_selectorIalEEZZNS1_27merge_sort_block_merge_implIS3_PaN6thrust23THRUST_200600_302600_NS10device_ptrIlEEjNS1_19radix_merge_compareILb0ELb0EaNS0_19identity_decomposerEEEEE10hipError_tT0_T1_T2_jT3_P12ihipStream_tbPNSt15iterator_traitsISG_E10value_typeEPNSM_ISH_E10value_typeEPSI_NS1_7vsmem_tEENKUlT_SG_SH_SI_E_clIS7_S7_PlSB_EESF_SV_SG_SH_SI_EUlSV_E_NS1_11comp_targetILNS1_3genE10ELNS1_11target_archE1201ELNS1_3gpuE5ELNS1_3repE0EEENS1_48merge_mergepath_partition_config_static_selectorELNS0_4arch9wavefront6targetE1EEEvSH_.uses_vcc, 0
	.set _ZN7rocprim17ROCPRIM_400000_NS6detail17trampoline_kernelINS0_14default_configENS1_38merge_sort_block_merge_config_selectorIalEEZZNS1_27merge_sort_block_merge_implIS3_PaN6thrust23THRUST_200600_302600_NS10device_ptrIlEEjNS1_19radix_merge_compareILb0ELb0EaNS0_19identity_decomposerEEEEE10hipError_tT0_T1_T2_jT3_P12ihipStream_tbPNSt15iterator_traitsISG_E10value_typeEPNSM_ISH_E10value_typeEPSI_NS1_7vsmem_tEENKUlT_SG_SH_SI_E_clIS7_S7_PlSB_EESF_SV_SG_SH_SI_EUlSV_E_NS1_11comp_targetILNS1_3genE10ELNS1_11target_archE1201ELNS1_3gpuE5ELNS1_3repE0EEENS1_48merge_mergepath_partition_config_static_selectorELNS0_4arch9wavefront6targetE1EEEvSH_.uses_flat_scratch, 0
	.set _ZN7rocprim17ROCPRIM_400000_NS6detail17trampoline_kernelINS0_14default_configENS1_38merge_sort_block_merge_config_selectorIalEEZZNS1_27merge_sort_block_merge_implIS3_PaN6thrust23THRUST_200600_302600_NS10device_ptrIlEEjNS1_19radix_merge_compareILb0ELb0EaNS0_19identity_decomposerEEEEE10hipError_tT0_T1_T2_jT3_P12ihipStream_tbPNSt15iterator_traitsISG_E10value_typeEPNSM_ISH_E10value_typeEPSI_NS1_7vsmem_tEENKUlT_SG_SH_SI_E_clIS7_S7_PlSB_EESF_SV_SG_SH_SI_EUlSV_E_NS1_11comp_targetILNS1_3genE10ELNS1_11target_archE1201ELNS1_3gpuE5ELNS1_3repE0EEENS1_48merge_mergepath_partition_config_static_selectorELNS0_4arch9wavefront6targetE1EEEvSH_.has_dyn_sized_stack, 0
	.set _ZN7rocprim17ROCPRIM_400000_NS6detail17trampoline_kernelINS0_14default_configENS1_38merge_sort_block_merge_config_selectorIalEEZZNS1_27merge_sort_block_merge_implIS3_PaN6thrust23THRUST_200600_302600_NS10device_ptrIlEEjNS1_19radix_merge_compareILb0ELb0EaNS0_19identity_decomposerEEEEE10hipError_tT0_T1_T2_jT3_P12ihipStream_tbPNSt15iterator_traitsISG_E10value_typeEPNSM_ISH_E10value_typeEPSI_NS1_7vsmem_tEENKUlT_SG_SH_SI_E_clIS7_S7_PlSB_EESF_SV_SG_SH_SI_EUlSV_E_NS1_11comp_targetILNS1_3genE10ELNS1_11target_archE1201ELNS1_3gpuE5ELNS1_3repE0EEENS1_48merge_mergepath_partition_config_static_selectorELNS0_4arch9wavefront6targetE1EEEvSH_.has_recursion, 0
	.set _ZN7rocprim17ROCPRIM_400000_NS6detail17trampoline_kernelINS0_14default_configENS1_38merge_sort_block_merge_config_selectorIalEEZZNS1_27merge_sort_block_merge_implIS3_PaN6thrust23THRUST_200600_302600_NS10device_ptrIlEEjNS1_19radix_merge_compareILb0ELb0EaNS0_19identity_decomposerEEEEE10hipError_tT0_T1_T2_jT3_P12ihipStream_tbPNSt15iterator_traitsISG_E10value_typeEPNSM_ISH_E10value_typeEPSI_NS1_7vsmem_tEENKUlT_SG_SH_SI_E_clIS7_S7_PlSB_EESF_SV_SG_SH_SI_EUlSV_E_NS1_11comp_targetILNS1_3genE10ELNS1_11target_archE1201ELNS1_3gpuE5ELNS1_3repE0EEENS1_48merge_mergepath_partition_config_static_selectorELNS0_4arch9wavefront6targetE1EEEvSH_.has_indirect_call, 0
	.section	.AMDGPU.csdata,"",@progbits
; Kernel info:
; codeLenInByte = 0
; TotalNumSgprs: 4
; NumVgprs: 0
; ScratchSize: 0
; MemoryBound: 0
; FloatMode: 240
; IeeeMode: 1
; LDSByteSize: 0 bytes/workgroup (compile time only)
; SGPRBlocks: 0
; VGPRBlocks: 0
; NumSGPRsForWavesPerEU: 4
; NumVGPRsForWavesPerEU: 1
; Occupancy: 10
; WaveLimiterHint : 0
; COMPUTE_PGM_RSRC2:SCRATCH_EN: 0
; COMPUTE_PGM_RSRC2:USER_SGPR: 6
; COMPUTE_PGM_RSRC2:TRAP_HANDLER: 0
; COMPUTE_PGM_RSRC2:TGID_X_EN: 1
; COMPUTE_PGM_RSRC2:TGID_Y_EN: 0
; COMPUTE_PGM_RSRC2:TGID_Z_EN: 0
; COMPUTE_PGM_RSRC2:TIDIG_COMP_CNT: 0
	.section	.text._ZN7rocprim17ROCPRIM_400000_NS6detail17trampoline_kernelINS0_14default_configENS1_38merge_sort_block_merge_config_selectorIalEEZZNS1_27merge_sort_block_merge_implIS3_PaN6thrust23THRUST_200600_302600_NS10device_ptrIlEEjNS1_19radix_merge_compareILb0ELb0EaNS0_19identity_decomposerEEEEE10hipError_tT0_T1_T2_jT3_P12ihipStream_tbPNSt15iterator_traitsISG_E10value_typeEPNSM_ISH_E10value_typeEPSI_NS1_7vsmem_tEENKUlT_SG_SH_SI_E_clIS7_S7_PlSB_EESF_SV_SG_SH_SI_EUlSV_E_NS1_11comp_targetILNS1_3genE5ELNS1_11target_archE942ELNS1_3gpuE9ELNS1_3repE0EEENS1_48merge_mergepath_partition_config_static_selectorELNS0_4arch9wavefront6targetE1EEEvSH_,"axG",@progbits,_ZN7rocprim17ROCPRIM_400000_NS6detail17trampoline_kernelINS0_14default_configENS1_38merge_sort_block_merge_config_selectorIalEEZZNS1_27merge_sort_block_merge_implIS3_PaN6thrust23THRUST_200600_302600_NS10device_ptrIlEEjNS1_19radix_merge_compareILb0ELb0EaNS0_19identity_decomposerEEEEE10hipError_tT0_T1_T2_jT3_P12ihipStream_tbPNSt15iterator_traitsISG_E10value_typeEPNSM_ISH_E10value_typeEPSI_NS1_7vsmem_tEENKUlT_SG_SH_SI_E_clIS7_S7_PlSB_EESF_SV_SG_SH_SI_EUlSV_E_NS1_11comp_targetILNS1_3genE5ELNS1_11target_archE942ELNS1_3gpuE9ELNS1_3repE0EEENS1_48merge_mergepath_partition_config_static_selectorELNS0_4arch9wavefront6targetE1EEEvSH_,comdat
	.protected	_ZN7rocprim17ROCPRIM_400000_NS6detail17trampoline_kernelINS0_14default_configENS1_38merge_sort_block_merge_config_selectorIalEEZZNS1_27merge_sort_block_merge_implIS3_PaN6thrust23THRUST_200600_302600_NS10device_ptrIlEEjNS1_19radix_merge_compareILb0ELb0EaNS0_19identity_decomposerEEEEE10hipError_tT0_T1_T2_jT3_P12ihipStream_tbPNSt15iterator_traitsISG_E10value_typeEPNSM_ISH_E10value_typeEPSI_NS1_7vsmem_tEENKUlT_SG_SH_SI_E_clIS7_S7_PlSB_EESF_SV_SG_SH_SI_EUlSV_E_NS1_11comp_targetILNS1_3genE5ELNS1_11target_archE942ELNS1_3gpuE9ELNS1_3repE0EEENS1_48merge_mergepath_partition_config_static_selectorELNS0_4arch9wavefront6targetE1EEEvSH_ ; -- Begin function _ZN7rocprim17ROCPRIM_400000_NS6detail17trampoline_kernelINS0_14default_configENS1_38merge_sort_block_merge_config_selectorIalEEZZNS1_27merge_sort_block_merge_implIS3_PaN6thrust23THRUST_200600_302600_NS10device_ptrIlEEjNS1_19radix_merge_compareILb0ELb0EaNS0_19identity_decomposerEEEEE10hipError_tT0_T1_T2_jT3_P12ihipStream_tbPNSt15iterator_traitsISG_E10value_typeEPNSM_ISH_E10value_typeEPSI_NS1_7vsmem_tEENKUlT_SG_SH_SI_E_clIS7_S7_PlSB_EESF_SV_SG_SH_SI_EUlSV_E_NS1_11comp_targetILNS1_3genE5ELNS1_11target_archE942ELNS1_3gpuE9ELNS1_3repE0EEENS1_48merge_mergepath_partition_config_static_selectorELNS0_4arch9wavefront6targetE1EEEvSH_
	.globl	_ZN7rocprim17ROCPRIM_400000_NS6detail17trampoline_kernelINS0_14default_configENS1_38merge_sort_block_merge_config_selectorIalEEZZNS1_27merge_sort_block_merge_implIS3_PaN6thrust23THRUST_200600_302600_NS10device_ptrIlEEjNS1_19radix_merge_compareILb0ELb0EaNS0_19identity_decomposerEEEEE10hipError_tT0_T1_T2_jT3_P12ihipStream_tbPNSt15iterator_traitsISG_E10value_typeEPNSM_ISH_E10value_typeEPSI_NS1_7vsmem_tEENKUlT_SG_SH_SI_E_clIS7_S7_PlSB_EESF_SV_SG_SH_SI_EUlSV_E_NS1_11comp_targetILNS1_3genE5ELNS1_11target_archE942ELNS1_3gpuE9ELNS1_3repE0EEENS1_48merge_mergepath_partition_config_static_selectorELNS0_4arch9wavefront6targetE1EEEvSH_
	.p2align	8
	.type	_ZN7rocprim17ROCPRIM_400000_NS6detail17trampoline_kernelINS0_14default_configENS1_38merge_sort_block_merge_config_selectorIalEEZZNS1_27merge_sort_block_merge_implIS3_PaN6thrust23THRUST_200600_302600_NS10device_ptrIlEEjNS1_19radix_merge_compareILb0ELb0EaNS0_19identity_decomposerEEEEE10hipError_tT0_T1_T2_jT3_P12ihipStream_tbPNSt15iterator_traitsISG_E10value_typeEPNSM_ISH_E10value_typeEPSI_NS1_7vsmem_tEENKUlT_SG_SH_SI_E_clIS7_S7_PlSB_EESF_SV_SG_SH_SI_EUlSV_E_NS1_11comp_targetILNS1_3genE5ELNS1_11target_archE942ELNS1_3gpuE9ELNS1_3repE0EEENS1_48merge_mergepath_partition_config_static_selectorELNS0_4arch9wavefront6targetE1EEEvSH_,@function
_ZN7rocprim17ROCPRIM_400000_NS6detail17trampoline_kernelINS0_14default_configENS1_38merge_sort_block_merge_config_selectorIalEEZZNS1_27merge_sort_block_merge_implIS3_PaN6thrust23THRUST_200600_302600_NS10device_ptrIlEEjNS1_19radix_merge_compareILb0ELb0EaNS0_19identity_decomposerEEEEE10hipError_tT0_T1_T2_jT3_P12ihipStream_tbPNSt15iterator_traitsISG_E10value_typeEPNSM_ISH_E10value_typeEPSI_NS1_7vsmem_tEENKUlT_SG_SH_SI_E_clIS7_S7_PlSB_EESF_SV_SG_SH_SI_EUlSV_E_NS1_11comp_targetILNS1_3genE5ELNS1_11target_archE942ELNS1_3gpuE9ELNS1_3repE0EEENS1_48merge_mergepath_partition_config_static_selectorELNS0_4arch9wavefront6targetE1EEEvSH_: ; @_ZN7rocprim17ROCPRIM_400000_NS6detail17trampoline_kernelINS0_14default_configENS1_38merge_sort_block_merge_config_selectorIalEEZZNS1_27merge_sort_block_merge_implIS3_PaN6thrust23THRUST_200600_302600_NS10device_ptrIlEEjNS1_19radix_merge_compareILb0ELb0EaNS0_19identity_decomposerEEEEE10hipError_tT0_T1_T2_jT3_P12ihipStream_tbPNSt15iterator_traitsISG_E10value_typeEPNSM_ISH_E10value_typeEPSI_NS1_7vsmem_tEENKUlT_SG_SH_SI_E_clIS7_S7_PlSB_EESF_SV_SG_SH_SI_EUlSV_E_NS1_11comp_targetILNS1_3genE5ELNS1_11target_archE942ELNS1_3gpuE9ELNS1_3repE0EEENS1_48merge_mergepath_partition_config_static_selectorELNS0_4arch9wavefront6targetE1EEEvSH_
; %bb.0:
	.section	.rodata,"a",@progbits
	.p2align	6, 0x0
	.amdhsa_kernel _ZN7rocprim17ROCPRIM_400000_NS6detail17trampoline_kernelINS0_14default_configENS1_38merge_sort_block_merge_config_selectorIalEEZZNS1_27merge_sort_block_merge_implIS3_PaN6thrust23THRUST_200600_302600_NS10device_ptrIlEEjNS1_19radix_merge_compareILb0ELb0EaNS0_19identity_decomposerEEEEE10hipError_tT0_T1_T2_jT3_P12ihipStream_tbPNSt15iterator_traitsISG_E10value_typeEPNSM_ISH_E10value_typeEPSI_NS1_7vsmem_tEENKUlT_SG_SH_SI_E_clIS7_S7_PlSB_EESF_SV_SG_SH_SI_EUlSV_E_NS1_11comp_targetILNS1_3genE5ELNS1_11target_archE942ELNS1_3gpuE9ELNS1_3repE0EEENS1_48merge_mergepath_partition_config_static_selectorELNS0_4arch9wavefront6targetE1EEEvSH_
		.amdhsa_group_segment_fixed_size 0
		.amdhsa_private_segment_fixed_size 0
		.amdhsa_kernarg_size 40
		.amdhsa_user_sgpr_count 6
		.amdhsa_user_sgpr_private_segment_buffer 1
		.amdhsa_user_sgpr_dispatch_ptr 0
		.amdhsa_user_sgpr_queue_ptr 0
		.amdhsa_user_sgpr_kernarg_segment_ptr 1
		.amdhsa_user_sgpr_dispatch_id 0
		.amdhsa_user_sgpr_flat_scratch_init 0
		.amdhsa_user_sgpr_private_segment_size 0
		.amdhsa_uses_dynamic_stack 0
		.amdhsa_system_sgpr_private_segment_wavefront_offset 0
		.amdhsa_system_sgpr_workgroup_id_x 1
		.amdhsa_system_sgpr_workgroup_id_y 0
		.amdhsa_system_sgpr_workgroup_id_z 0
		.amdhsa_system_sgpr_workgroup_info 0
		.amdhsa_system_vgpr_workitem_id 0
		.amdhsa_next_free_vgpr 1
		.amdhsa_next_free_sgpr 0
		.amdhsa_reserve_vcc 0
		.amdhsa_reserve_flat_scratch 0
		.amdhsa_float_round_mode_32 0
		.amdhsa_float_round_mode_16_64 0
		.amdhsa_float_denorm_mode_32 3
		.amdhsa_float_denorm_mode_16_64 3
		.amdhsa_dx10_clamp 1
		.amdhsa_ieee_mode 1
		.amdhsa_fp16_overflow 0
		.amdhsa_exception_fp_ieee_invalid_op 0
		.amdhsa_exception_fp_denorm_src 0
		.amdhsa_exception_fp_ieee_div_zero 0
		.amdhsa_exception_fp_ieee_overflow 0
		.amdhsa_exception_fp_ieee_underflow 0
		.amdhsa_exception_fp_ieee_inexact 0
		.amdhsa_exception_int_div_zero 0
	.end_amdhsa_kernel
	.section	.text._ZN7rocprim17ROCPRIM_400000_NS6detail17trampoline_kernelINS0_14default_configENS1_38merge_sort_block_merge_config_selectorIalEEZZNS1_27merge_sort_block_merge_implIS3_PaN6thrust23THRUST_200600_302600_NS10device_ptrIlEEjNS1_19radix_merge_compareILb0ELb0EaNS0_19identity_decomposerEEEEE10hipError_tT0_T1_T2_jT3_P12ihipStream_tbPNSt15iterator_traitsISG_E10value_typeEPNSM_ISH_E10value_typeEPSI_NS1_7vsmem_tEENKUlT_SG_SH_SI_E_clIS7_S7_PlSB_EESF_SV_SG_SH_SI_EUlSV_E_NS1_11comp_targetILNS1_3genE5ELNS1_11target_archE942ELNS1_3gpuE9ELNS1_3repE0EEENS1_48merge_mergepath_partition_config_static_selectorELNS0_4arch9wavefront6targetE1EEEvSH_,"axG",@progbits,_ZN7rocprim17ROCPRIM_400000_NS6detail17trampoline_kernelINS0_14default_configENS1_38merge_sort_block_merge_config_selectorIalEEZZNS1_27merge_sort_block_merge_implIS3_PaN6thrust23THRUST_200600_302600_NS10device_ptrIlEEjNS1_19radix_merge_compareILb0ELb0EaNS0_19identity_decomposerEEEEE10hipError_tT0_T1_T2_jT3_P12ihipStream_tbPNSt15iterator_traitsISG_E10value_typeEPNSM_ISH_E10value_typeEPSI_NS1_7vsmem_tEENKUlT_SG_SH_SI_E_clIS7_S7_PlSB_EESF_SV_SG_SH_SI_EUlSV_E_NS1_11comp_targetILNS1_3genE5ELNS1_11target_archE942ELNS1_3gpuE9ELNS1_3repE0EEENS1_48merge_mergepath_partition_config_static_selectorELNS0_4arch9wavefront6targetE1EEEvSH_,comdat
.Lfunc_end480:
	.size	_ZN7rocprim17ROCPRIM_400000_NS6detail17trampoline_kernelINS0_14default_configENS1_38merge_sort_block_merge_config_selectorIalEEZZNS1_27merge_sort_block_merge_implIS3_PaN6thrust23THRUST_200600_302600_NS10device_ptrIlEEjNS1_19radix_merge_compareILb0ELb0EaNS0_19identity_decomposerEEEEE10hipError_tT0_T1_T2_jT3_P12ihipStream_tbPNSt15iterator_traitsISG_E10value_typeEPNSM_ISH_E10value_typeEPSI_NS1_7vsmem_tEENKUlT_SG_SH_SI_E_clIS7_S7_PlSB_EESF_SV_SG_SH_SI_EUlSV_E_NS1_11comp_targetILNS1_3genE5ELNS1_11target_archE942ELNS1_3gpuE9ELNS1_3repE0EEENS1_48merge_mergepath_partition_config_static_selectorELNS0_4arch9wavefront6targetE1EEEvSH_, .Lfunc_end480-_ZN7rocprim17ROCPRIM_400000_NS6detail17trampoline_kernelINS0_14default_configENS1_38merge_sort_block_merge_config_selectorIalEEZZNS1_27merge_sort_block_merge_implIS3_PaN6thrust23THRUST_200600_302600_NS10device_ptrIlEEjNS1_19radix_merge_compareILb0ELb0EaNS0_19identity_decomposerEEEEE10hipError_tT0_T1_T2_jT3_P12ihipStream_tbPNSt15iterator_traitsISG_E10value_typeEPNSM_ISH_E10value_typeEPSI_NS1_7vsmem_tEENKUlT_SG_SH_SI_E_clIS7_S7_PlSB_EESF_SV_SG_SH_SI_EUlSV_E_NS1_11comp_targetILNS1_3genE5ELNS1_11target_archE942ELNS1_3gpuE9ELNS1_3repE0EEENS1_48merge_mergepath_partition_config_static_selectorELNS0_4arch9wavefront6targetE1EEEvSH_
                                        ; -- End function
	.set _ZN7rocprim17ROCPRIM_400000_NS6detail17trampoline_kernelINS0_14default_configENS1_38merge_sort_block_merge_config_selectorIalEEZZNS1_27merge_sort_block_merge_implIS3_PaN6thrust23THRUST_200600_302600_NS10device_ptrIlEEjNS1_19radix_merge_compareILb0ELb0EaNS0_19identity_decomposerEEEEE10hipError_tT0_T1_T2_jT3_P12ihipStream_tbPNSt15iterator_traitsISG_E10value_typeEPNSM_ISH_E10value_typeEPSI_NS1_7vsmem_tEENKUlT_SG_SH_SI_E_clIS7_S7_PlSB_EESF_SV_SG_SH_SI_EUlSV_E_NS1_11comp_targetILNS1_3genE5ELNS1_11target_archE942ELNS1_3gpuE9ELNS1_3repE0EEENS1_48merge_mergepath_partition_config_static_selectorELNS0_4arch9wavefront6targetE1EEEvSH_.num_vgpr, 0
	.set _ZN7rocprim17ROCPRIM_400000_NS6detail17trampoline_kernelINS0_14default_configENS1_38merge_sort_block_merge_config_selectorIalEEZZNS1_27merge_sort_block_merge_implIS3_PaN6thrust23THRUST_200600_302600_NS10device_ptrIlEEjNS1_19radix_merge_compareILb0ELb0EaNS0_19identity_decomposerEEEEE10hipError_tT0_T1_T2_jT3_P12ihipStream_tbPNSt15iterator_traitsISG_E10value_typeEPNSM_ISH_E10value_typeEPSI_NS1_7vsmem_tEENKUlT_SG_SH_SI_E_clIS7_S7_PlSB_EESF_SV_SG_SH_SI_EUlSV_E_NS1_11comp_targetILNS1_3genE5ELNS1_11target_archE942ELNS1_3gpuE9ELNS1_3repE0EEENS1_48merge_mergepath_partition_config_static_selectorELNS0_4arch9wavefront6targetE1EEEvSH_.num_agpr, 0
	.set _ZN7rocprim17ROCPRIM_400000_NS6detail17trampoline_kernelINS0_14default_configENS1_38merge_sort_block_merge_config_selectorIalEEZZNS1_27merge_sort_block_merge_implIS3_PaN6thrust23THRUST_200600_302600_NS10device_ptrIlEEjNS1_19radix_merge_compareILb0ELb0EaNS0_19identity_decomposerEEEEE10hipError_tT0_T1_T2_jT3_P12ihipStream_tbPNSt15iterator_traitsISG_E10value_typeEPNSM_ISH_E10value_typeEPSI_NS1_7vsmem_tEENKUlT_SG_SH_SI_E_clIS7_S7_PlSB_EESF_SV_SG_SH_SI_EUlSV_E_NS1_11comp_targetILNS1_3genE5ELNS1_11target_archE942ELNS1_3gpuE9ELNS1_3repE0EEENS1_48merge_mergepath_partition_config_static_selectorELNS0_4arch9wavefront6targetE1EEEvSH_.numbered_sgpr, 0
	.set _ZN7rocprim17ROCPRIM_400000_NS6detail17trampoline_kernelINS0_14default_configENS1_38merge_sort_block_merge_config_selectorIalEEZZNS1_27merge_sort_block_merge_implIS3_PaN6thrust23THRUST_200600_302600_NS10device_ptrIlEEjNS1_19radix_merge_compareILb0ELb0EaNS0_19identity_decomposerEEEEE10hipError_tT0_T1_T2_jT3_P12ihipStream_tbPNSt15iterator_traitsISG_E10value_typeEPNSM_ISH_E10value_typeEPSI_NS1_7vsmem_tEENKUlT_SG_SH_SI_E_clIS7_S7_PlSB_EESF_SV_SG_SH_SI_EUlSV_E_NS1_11comp_targetILNS1_3genE5ELNS1_11target_archE942ELNS1_3gpuE9ELNS1_3repE0EEENS1_48merge_mergepath_partition_config_static_selectorELNS0_4arch9wavefront6targetE1EEEvSH_.num_named_barrier, 0
	.set _ZN7rocprim17ROCPRIM_400000_NS6detail17trampoline_kernelINS0_14default_configENS1_38merge_sort_block_merge_config_selectorIalEEZZNS1_27merge_sort_block_merge_implIS3_PaN6thrust23THRUST_200600_302600_NS10device_ptrIlEEjNS1_19radix_merge_compareILb0ELb0EaNS0_19identity_decomposerEEEEE10hipError_tT0_T1_T2_jT3_P12ihipStream_tbPNSt15iterator_traitsISG_E10value_typeEPNSM_ISH_E10value_typeEPSI_NS1_7vsmem_tEENKUlT_SG_SH_SI_E_clIS7_S7_PlSB_EESF_SV_SG_SH_SI_EUlSV_E_NS1_11comp_targetILNS1_3genE5ELNS1_11target_archE942ELNS1_3gpuE9ELNS1_3repE0EEENS1_48merge_mergepath_partition_config_static_selectorELNS0_4arch9wavefront6targetE1EEEvSH_.private_seg_size, 0
	.set _ZN7rocprim17ROCPRIM_400000_NS6detail17trampoline_kernelINS0_14default_configENS1_38merge_sort_block_merge_config_selectorIalEEZZNS1_27merge_sort_block_merge_implIS3_PaN6thrust23THRUST_200600_302600_NS10device_ptrIlEEjNS1_19radix_merge_compareILb0ELb0EaNS0_19identity_decomposerEEEEE10hipError_tT0_T1_T2_jT3_P12ihipStream_tbPNSt15iterator_traitsISG_E10value_typeEPNSM_ISH_E10value_typeEPSI_NS1_7vsmem_tEENKUlT_SG_SH_SI_E_clIS7_S7_PlSB_EESF_SV_SG_SH_SI_EUlSV_E_NS1_11comp_targetILNS1_3genE5ELNS1_11target_archE942ELNS1_3gpuE9ELNS1_3repE0EEENS1_48merge_mergepath_partition_config_static_selectorELNS0_4arch9wavefront6targetE1EEEvSH_.uses_vcc, 0
	.set _ZN7rocprim17ROCPRIM_400000_NS6detail17trampoline_kernelINS0_14default_configENS1_38merge_sort_block_merge_config_selectorIalEEZZNS1_27merge_sort_block_merge_implIS3_PaN6thrust23THRUST_200600_302600_NS10device_ptrIlEEjNS1_19radix_merge_compareILb0ELb0EaNS0_19identity_decomposerEEEEE10hipError_tT0_T1_T2_jT3_P12ihipStream_tbPNSt15iterator_traitsISG_E10value_typeEPNSM_ISH_E10value_typeEPSI_NS1_7vsmem_tEENKUlT_SG_SH_SI_E_clIS7_S7_PlSB_EESF_SV_SG_SH_SI_EUlSV_E_NS1_11comp_targetILNS1_3genE5ELNS1_11target_archE942ELNS1_3gpuE9ELNS1_3repE0EEENS1_48merge_mergepath_partition_config_static_selectorELNS0_4arch9wavefront6targetE1EEEvSH_.uses_flat_scratch, 0
	.set _ZN7rocprim17ROCPRIM_400000_NS6detail17trampoline_kernelINS0_14default_configENS1_38merge_sort_block_merge_config_selectorIalEEZZNS1_27merge_sort_block_merge_implIS3_PaN6thrust23THRUST_200600_302600_NS10device_ptrIlEEjNS1_19radix_merge_compareILb0ELb0EaNS0_19identity_decomposerEEEEE10hipError_tT0_T1_T2_jT3_P12ihipStream_tbPNSt15iterator_traitsISG_E10value_typeEPNSM_ISH_E10value_typeEPSI_NS1_7vsmem_tEENKUlT_SG_SH_SI_E_clIS7_S7_PlSB_EESF_SV_SG_SH_SI_EUlSV_E_NS1_11comp_targetILNS1_3genE5ELNS1_11target_archE942ELNS1_3gpuE9ELNS1_3repE0EEENS1_48merge_mergepath_partition_config_static_selectorELNS0_4arch9wavefront6targetE1EEEvSH_.has_dyn_sized_stack, 0
	.set _ZN7rocprim17ROCPRIM_400000_NS6detail17trampoline_kernelINS0_14default_configENS1_38merge_sort_block_merge_config_selectorIalEEZZNS1_27merge_sort_block_merge_implIS3_PaN6thrust23THRUST_200600_302600_NS10device_ptrIlEEjNS1_19radix_merge_compareILb0ELb0EaNS0_19identity_decomposerEEEEE10hipError_tT0_T1_T2_jT3_P12ihipStream_tbPNSt15iterator_traitsISG_E10value_typeEPNSM_ISH_E10value_typeEPSI_NS1_7vsmem_tEENKUlT_SG_SH_SI_E_clIS7_S7_PlSB_EESF_SV_SG_SH_SI_EUlSV_E_NS1_11comp_targetILNS1_3genE5ELNS1_11target_archE942ELNS1_3gpuE9ELNS1_3repE0EEENS1_48merge_mergepath_partition_config_static_selectorELNS0_4arch9wavefront6targetE1EEEvSH_.has_recursion, 0
	.set _ZN7rocprim17ROCPRIM_400000_NS6detail17trampoline_kernelINS0_14default_configENS1_38merge_sort_block_merge_config_selectorIalEEZZNS1_27merge_sort_block_merge_implIS3_PaN6thrust23THRUST_200600_302600_NS10device_ptrIlEEjNS1_19radix_merge_compareILb0ELb0EaNS0_19identity_decomposerEEEEE10hipError_tT0_T1_T2_jT3_P12ihipStream_tbPNSt15iterator_traitsISG_E10value_typeEPNSM_ISH_E10value_typeEPSI_NS1_7vsmem_tEENKUlT_SG_SH_SI_E_clIS7_S7_PlSB_EESF_SV_SG_SH_SI_EUlSV_E_NS1_11comp_targetILNS1_3genE5ELNS1_11target_archE942ELNS1_3gpuE9ELNS1_3repE0EEENS1_48merge_mergepath_partition_config_static_selectorELNS0_4arch9wavefront6targetE1EEEvSH_.has_indirect_call, 0
	.section	.AMDGPU.csdata,"",@progbits
; Kernel info:
; codeLenInByte = 0
; TotalNumSgprs: 4
; NumVgprs: 0
; ScratchSize: 0
; MemoryBound: 0
; FloatMode: 240
; IeeeMode: 1
; LDSByteSize: 0 bytes/workgroup (compile time only)
; SGPRBlocks: 0
; VGPRBlocks: 0
; NumSGPRsForWavesPerEU: 4
; NumVGPRsForWavesPerEU: 1
; Occupancy: 10
; WaveLimiterHint : 0
; COMPUTE_PGM_RSRC2:SCRATCH_EN: 0
; COMPUTE_PGM_RSRC2:USER_SGPR: 6
; COMPUTE_PGM_RSRC2:TRAP_HANDLER: 0
; COMPUTE_PGM_RSRC2:TGID_X_EN: 1
; COMPUTE_PGM_RSRC2:TGID_Y_EN: 0
; COMPUTE_PGM_RSRC2:TGID_Z_EN: 0
; COMPUTE_PGM_RSRC2:TIDIG_COMP_CNT: 0
	.section	.text._ZN7rocprim17ROCPRIM_400000_NS6detail17trampoline_kernelINS0_14default_configENS1_38merge_sort_block_merge_config_selectorIalEEZZNS1_27merge_sort_block_merge_implIS3_PaN6thrust23THRUST_200600_302600_NS10device_ptrIlEEjNS1_19radix_merge_compareILb0ELb0EaNS0_19identity_decomposerEEEEE10hipError_tT0_T1_T2_jT3_P12ihipStream_tbPNSt15iterator_traitsISG_E10value_typeEPNSM_ISH_E10value_typeEPSI_NS1_7vsmem_tEENKUlT_SG_SH_SI_E_clIS7_S7_PlSB_EESF_SV_SG_SH_SI_EUlSV_E_NS1_11comp_targetILNS1_3genE4ELNS1_11target_archE910ELNS1_3gpuE8ELNS1_3repE0EEENS1_48merge_mergepath_partition_config_static_selectorELNS0_4arch9wavefront6targetE1EEEvSH_,"axG",@progbits,_ZN7rocprim17ROCPRIM_400000_NS6detail17trampoline_kernelINS0_14default_configENS1_38merge_sort_block_merge_config_selectorIalEEZZNS1_27merge_sort_block_merge_implIS3_PaN6thrust23THRUST_200600_302600_NS10device_ptrIlEEjNS1_19radix_merge_compareILb0ELb0EaNS0_19identity_decomposerEEEEE10hipError_tT0_T1_T2_jT3_P12ihipStream_tbPNSt15iterator_traitsISG_E10value_typeEPNSM_ISH_E10value_typeEPSI_NS1_7vsmem_tEENKUlT_SG_SH_SI_E_clIS7_S7_PlSB_EESF_SV_SG_SH_SI_EUlSV_E_NS1_11comp_targetILNS1_3genE4ELNS1_11target_archE910ELNS1_3gpuE8ELNS1_3repE0EEENS1_48merge_mergepath_partition_config_static_selectorELNS0_4arch9wavefront6targetE1EEEvSH_,comdat
	.protected	_ZN7rocprim17ROCPRIM_400000_NS6detail17trampoline_kernelINS0_14default_configENS1_38merge_sort_block_merge_config_selectorIalEEZZNS1_27merge_sort_block_merge_implIS3_PaN6thrust23THRUST_200600_302600_NS10device_ptrIlEEjNS1_19radix_merge_compareILb0ELb0EaNS0_19identity_decomposerEEEEE10hipError_tT0_T1_T2_jT3_P12ihipStream_tbPNSt15iterator_traitsISG_E10value_typeEPNSM_ISH_E10value_typeEPSI_NS1_7vsmem_tEENKUlT_SG_SH_SI_E_clIS7_S7_PlSB_EESF_SV_SG_SH_SI_EUlSV_E_NS1_11comp_targetILNS1_3genE4ELNS1_11target_archE910ELNS1_3gpuE8ELNS1_3repE0EEENS1_48merge_mergepath_partition_config_static_selectorELNS0_4arch9wavefront6targetE1EEEvSH_ ; -- Begin function _ZN7rocprim17ROCPRIM_400000_NS6detail17trampoline_kernelINS0_14default_configENS1_38merge_sort_block_merge_config_selectorIalEEZZNS1_27merge_sort_block_merge_implIS3_PaN6thrust23THRUST_200600_302600_NS10device_ptrIlEEjNS1_19radix_merge_compareILb0ELb0EaNS0_19identity_decomposerEEEEE10hipError_tT0_T1_T2_jT3_P12ihipStream_tbPNSt15iterator_traitsISG_E10value_typeEPNSM_ISH_E10value_typeEPSI_NS1_7vsmem_tEENKUlT_SG_SH_SI_E_clIS7_S7_PlSB_EESF_SV_SG_SH_SI_EUlSV_E_NS1_11comp_targetILNS1_3genE4ELNS1_11target_archE910ELNS1_3gpuE8ELNS1_3repE0EEENS1_48merge_mergepath_partition_config_static_selectorELNS0_4arch9wavefront6targetE1EEEvSH_
	.globl	_ZN7rocprim17ROCPRIM_400000_NS6detail17trampoline_kernelINS0_14default_configENS1_38merge_sort_block_merge_config_selectorIalEEZZNS1_27merge_sort_block_merge_implIS3_PaN6thrust23THRUST_200600_302600_NS10device_ptrIlEEjNS1_19radix_merge_compareILb0ELb0EaNS0_19identity_decomposerEEEEE10hipError_tT0_T1_T2_jT3_P12ihipStream_tbPNSt15iterator_traitsISG_E10value_typeEPNSM_ISH_E10value_typeEPSI_NS1_7vsmem_tEENKUlT_SG_SH_SI_E_clIS7_S7_PlSB_EESF_SV_SG_SH_SI_EUlSV_E_NS1_11comp_targetILNS1_3genE4ELNS1_11target_archE910ELNS1_3gpuE8ELNS1_3repE0EEENS1_48merge_mergepath_partition_config_static_selectorELNS0_4arch9wavefront6targetE1EEEvSH_
	.p2align	8
	.type	_ZN7rocprim17ROCPRIM_400000_NS6detail17trampoline_kernelINS0_14default_configENS1_38merge_sort_block_merge_config_selectorIalEEZZNS1_27merge_sort_block_merge_implIS3_PaN6thrust23THRUST_200600_302600_NS10device_ptrIlEEjNS1_19radix_merge_compareILb0ELb0EaNS0_19identity_decomposerEEEEE10hipError_tT0_T1_T2_jT3_P12ihipStream_tbPNSt15iterator_traitsISG_E10value_typeEPNSM_ISH_E10value_typeEPSI_NS1_7vsmem_tEENKUlT_SG_SH_SI_E_clIS7_S7_PlSB_EESF_SV_SG_SH_SI_EUlSV_E_NS1_11comp_targetILNS1_3genE4ELNS1_11target_archE910ELNS1_3gpuE8ELNS1_3repE0EEENS1_48merge_mergepath_partition_config_static_selectorELNS0_4arch9wavefront6targetE1EEEvSH_,@function
_ZN7rocprim17ROCPRIM_400000_NS6detail17trampoline_kernelINS0_14default_configENS1_38merge_sort_block_merge_config_selectorIalEEZZNS1_27merge_sort_block_merge_implIS3_PaN6thrust23THRUST_200600_302600_NS10device_ptrIlEEjNS1_19radix_merge_compareILb0ELb0EaNS0_19identity_decomposerEEEEE10hipError_tT0_T1_T2_jT3_P12ihipStream_tbPNSt15iterator_traitsISG_E10value_typeEPNSM_ISH_E10value_typeEPSI_NS1_7vsmem_tEENKUlT_SG_SH_SI_E_clIS7_S7_PlSB_EESF_SV_SG_SH_SI_EUlSV_E_NS1_11comp_targetILNS1_3genE4ELNS1_11target_archE910ELNS1_3gpuE8ELNS1_3repE0EEENS1_48merge_mergepath_partition_config_static_selectorELNS0_4arch9wavefront6targetE1EEEvSH_: ; @_ZN7rocprim17ROCPRIM_400000_NS6detail17trampoline_kernelINS0_14default_configENS1_38merge_sort_block_merge_config_selectorIalEEZZNS1_27merge_sort_block_merge_implIS3_PaN6thrust23THRUST_200600_302600_NS10device_ptrIlEEjNS1_19radix_merge_compareILb0ELb0EaNS0_19identity_decomposerEEEEE10hipError_tT0_T1_T2_jT3_P12ihipStream_tbPNSt15iterator_traitsISG_E10value_typeEPNSM_ISH_E10value_typeEPSI_NS1_7vsmem_tEENKUlT_SG_SH_SI_E_clIS7_S7_PlSB_EESF_SV_SG_SH_SI_EUlSV_E_NS1_11comp_targetILNS1_3genE4ELNS1_11target_archE910ELNS1_3gpuE8ELNS1_3repE0EEENS1_48merge_mergepath_partition_config_static_selectorELNS0_4arch9wavefront6targetE1EEEvSH_
; %bb.0:
	.section	.rodata,"a",@progbits
	.p2align	6, 0x0
	.amdhsa_kernel _ZN7rocprim17ROCPRIM_400000_NS6detail17trampoline_kernelINS0_14default_configENS1_38merge_sort_block_merge_config_selectorIalEEZZNS1_27merge_sort_block_merge_implIS3_PaN6thrust23THRUST_200600_302600_NS10device_ptrIlEEjNS1_19radix_merge_compareILb0ELb0EaNS0_19identity_decomposerEEEEE10hipError_tT0_T1_T2_jT3_P12ihipStream_tbPNSt15iterator_traitsISG_E10value_typeEPNSM_ISH_E10value_typeEPSI_NS1_7vsmem_tEENKUlT_SG_SH_SI_E_clIS7_S7_PlSB_EESF_SV_SG_SH_SI_EUlSV_E_NS1_11comp_targetILNS1_3genE4ELNS1_11target_archE910ELNS1_3gpuE8ELNS1_3repE0EEENS1_48merge_mergepath_partition_config_static_selectorELNS0_4arch9wavefront6targetE1EEEvSH_
		.amdhsa_group_segment_fixed_size 0
		.amdhsa_private_segment_fixed_size 0
		.amdhsa_kernarg_size 40
		.amdhsa_user_sgpr_count 6
		.amdhsa_user_sgpr_private_segment_buffer 1
		.amdhsa_user_sgpr_dispatch_ptr 0
		.amdhsa_user_sgpr_queue_ptr 0
		.amdhsa_user_sgpr_kernarg_segment_ptr 1
		.amdhsa_user_sgpr_dispatch_id 0
		.amdhsa_user_sgpr_flat_scratch_init 0
		.amdhsa_user_sgpr_private_segment_size 0
		.amdhsa_uses_dynamic_stack 0
		.amdhsa_system_sgpr_private_segment_wavefront_offset 0
		.amdhsa_system_sgpr_workgroup_id_x 1
		.amdhsa_system_sgpr_workgroup_id_y 0
		.amdhsa_system_sgpr_workgroup_id_z 0
		.amdhsa_system_sgpr_workgroup_info 0
		.amdhsa_system_vgpr_workitem_id 0
		.amdhsa_next_free_vgpr 1
		.amdhsa_next_free_sgpr 0
		.amdhsa_reserve_vcc 0
		.amdhsa_reserve_flat_scratch 0
		.amdhsa_float_round_mode_32 0
		.amdhsa_float_round_mode_16_64 0
		.amdhsa_float_denorm_mode_32 3
		.amdhsa_float_denorm_mode_16_64 3
		.amdhsa_dx10_clamp 1
		.amdhsa_ieee_mode 1
		.amdhsa_fp16_overflow 0
		.amdhsa_exception_fp_ieee_invalid_op 0
		.amdhsa_exception_fp_denorm_src 0
		.amdhsa_exception_fp_ieee_div_zero 0
		.amdhsa_exception_fp_ieee_overflow 0
		.amdhsa_exception_fp_ieee_underflow 0
		.amdhsa_exception_fp_ieee_inexact 0
		.amdhsa_exception_int_div_zero 0
	.end_amdhsa_kernel
	.section	.text._ZN7rocprim17ROCPRIM_400000_NS6detail17trampoline_kernelINS0_14default_configENS1_38merge_sort_block_merge_config_selectorIalEEZZNS1_27merge_sort_block_merge_implIS3_PaN6thrust23THRUST_200600_302600_NS10device_ptrIlEEjNS1_19radix_merge_compareILb0ELb0EaNS0_19identity_decomposerEEEEE10hipError_tT0_T1_T2_jT3_P12ihipStream_tbPNSt15iterator_traitsISG_E10value_typeEPNSM_ISH_E10value_typeEPSI_NS1_7vsmem_tEENKUlT_SG_SH_SI_E_clIS7_S7_PlSB_EESF_SV_SG_SH_SI_EUlSV_E_NS1_11comp_targetILNS1_3genE4ELNS1_11target_archE910ELNS1_3gpuE8ELNS1_3repE0EEENS1_48merge_mergepath_partition_config_static_selectorELNS0_4arch9wavefront6targetE1EEEvSH_,"axG",@progbits,_ZN7rocprim17ROCPRIM_400000_NS6detail17trampoline_kernelINS0_14default_configENS1_38merge_sort_block_merge_config_selectorIalEEZZNS1_27merge_sort_block_merge_implIS3_PaN6thrust23THRUST_200600_302600_NS10device_ptrIlEEjNS1_19radix_merge_compareILb0ELb0EaNS0_19identity_decomposerEEEEE10hipError_tT0_T1_T2_jT3_P12ihipStream_tbPNSt15iterator_traitsISG_E10value_typeEPNSM_ISH_E10value_typeEPSI_NS1_7vsmem_tEENKUlT_SG_SH_SI_E_clIS7_S7_PlSB_EESF_SV_SG_SH_SI_EUlSV_E_NS1_11comp_targetILNS1_3genE4ELNS1_11target_archE910ELNS1_3gpuE8ELNS1_3repE0EEENS1_48merge_mergepath_partition_config_static_selectorELNS0_4arch9wavefront6targetE1EEEvSH_,comdat
.Lfunc_end481:
	.size	_ZN7rocprim17ROCPRIM_400000_NS6detail17trampoline_kernelINS0_14default_configENS1_38merge_sort_block_merge_config_selectorIalEEZZNS1_27merge_sort_block_merge_implIS3_PaN6thrust23THRUST_200600_302600_NS10device_ptrIlEEjNS1_19radix_merge_compareILb0ELb0EaNS0_19identity_decomposerEEEEE10hipError_tT0_T1_T2_jT3_P12ihipStream_tbPNSt15iterator_traitsISG_E10value_typeEPNSM_ISH_E10value_typeEPSI_NS1_7vsmem_tEENKUlT_SG_SH_SI_E_clIS7_S7_PlSB_EESF_SV_SG_SH_SI_EUlSV_E_NS1_11comp_targetILNS1_3genE4ELNS1_11target_archE910ELNS1_3gpuE8ELNS1_3repE0EEENS1_48merge_mergepath_partition_config_static_selectorELNS0_4arch9wavefront6targetE1EEEvSH_, .Lfunc_end481-_ZN7rocprim17ROCPRIM_400000_NS6detail17trampoline_kernelINS0_14default_configENS1_38merge_sort_block_merge_config_selectorIalEEZZNS1_27merge_sort_block_merge_implIS3_PaN6thrust23THRUST_200600_302600_NS10device_ptrIlEEjNS1_19radix_merge_compareILb0ELb0EaNS0_19identity_decomposerEEEEE10hipError_tT0_T1_T2_jT3_P12ihipStream_tbPNSt15iterator_traitsISG_E10value_typeEPNSM_ISH_E10value_typeEPSI_NS1_7vsmem_tEENKUlT_SG_SH_SI_E_clIS7_S7_PlSB_EESF_SV_SG_SH_SI_EUlSV_E_NS1_11comp_targetILNS1_3genE4ELNS1_11target_archE910ELNS1_3gpuE8ELNS1_3repE0EEENS1_48merge_mergepath_partition_config_static_selectorELNS0_4arch9wavefront6targetE1EEEvSH_
                                        ; -- End function
	.set _ZN7rocprim17ROCPRIM_400000_NS6detail17trampoline_kernelINS0_14default_configENS1_38merge_sort_block_merge_config_selectorIalEEZZNS1_27merge_sort_block_merge_implIS3_PaN6thrust23THRUST_200600_302600_NS10device_ptrIlEEjNS1_19radix_merge_compareILb0ELb0EaNS0_19identity_decomposerEEEEE10hipError_tT0_T1_T2_jT3_P12ihipStream_tbPNSt15iterator_traitsISG_E10value_typeEPNSM_ISH_E10value_typeEPSI_NS1_7vsmem_tEENKUlT_SG_SH_SI_E_clIS7_S7_PlSB_EESF_SV_SG_SH_SI_EUlSV_E_NS1_11comp_targetILNS1_3genE4ELNS1_11target_archE910ELNS1_3gpuE8ELNS1_3repE0EEENS1_48merge_mergepath_partition_config_static_selectorELNS0_4arch9wavefront6targetE1EEEvSH_.num_vgpr, 0
	.set _ZN7rocprim17ROCPRIM_400000_NS6detail17trampoline_kernelINS0_14default_configENS1_38merge_sort_block_merge_config_selectorIalEEZZNS1_27merge_sort_block_merge_implIS3_PaN6thrust23THRUST_200600_302600_NS10device_ptrIlEEjNS1_19radix_merge_compareILb0ELb0EaNS0_19identity_decomposerEEEEE10hipError_tT0_T1_T2_jT3_P12ihipStream_tbPNSt15iterator_traitsISG_E10value_typeEPNSM_ISH_E10value_typeEPSI_NS1_7vsmem_tEENKUlT_SG_SH_SI_E_clIS7_S7_PlSB_EESF_SV_SG_SH_SI_EUlSV_E_NS1_11comp_targetILNS1_3genE4ELNS1_11target_archE910ELNS1_3gpuE8ELNS1_3repE0EEENS1_48merge_mergepath_partition_config_static_selectorELNS0_4arch9wavefront6targetE1EEEvSH_.num_agpr, 0
	.set _ZN7rocprim17ROCPRIM_400000_NS6detail17trampoline_kernelINS0_14default_configENS1_38merge_sort_block_merge_config_selectorIalEEZZNS1_27merge_sort_block_merge_implIS3_PaN6thrust23THRUST_200600_302600_NS10device_ptrIlEEjNS1_19radix_merge_compareILb0ELb0EaNS0_19identity_decomposerEEEEE10hipError_tT0_T1_T2_jT3_P12ihipStream_tbPNSt15iterator_traitsISG_E10value_typeEPNSM_ISH_E10value_typeEPSI_NS1_7vsmem_tEENKUlT_SG_SH_SI_E_clIS7_S7_PlSB_EESF_SV_SG_SH_SI_EUlSV_E_NS1_11comp_targetILNS1_3genE4ELNS1_11target_archE910ELNS1_3gpuE8ELNS1_3repE0EEENS1_48merge_mergepath_partition_config_static_selectorELNS0_4arch9wavefront6targetE1EEEvSH_.numbered_sgpr, 0
	.set _ZN7rocprim17ROCPRIM_400000_NS6detail17trampoline_kernelINS0_14default_configENS1_38merge_sort_block_merge_config_selectorIalEEZZNS1_27merge_sort_block_merge_implIS3_PaN6thrust23THRUST_200600_302600_NS10device_ptrIlEEjNS1_19radix_merge_compareILb0ELb0EaNS0_19identity_decomposerEEEEE10hipError_tT0_T1_T2_jT3_P12ihipStream_tbPNSt15iterator_traitsISG_E10value_typeEPNSM_ISH_E10value_typeEPSI_NS1_7vsmem_tEENKUlT_SG_SH_SI_E_clIS7_S7_PlSB_EESF_SV_SG_SH_SI_EUlSV_E_NS1_11comp_targetILNS1_3genE4ELNS1_11target_archE910ELNS1_3gpuE8ELNS1_3repE0EEENS1_48merge_mergepath_partition_config_static_selectorELNS0_4arch9wavefront6targetE1EEEvSH_.num_named_barrier, 0
	.set _ZN7rocprim17ROCPRIM_400000_NS6detail17trampoline_kernelINS0_14default_configENS1_38merge_sort_block_merge_config_selectorIalEEZZNS1_27merge_sort_block_merge_implIS3_PaN6thrust23THRUST_200600_302600_NS10device_ptrIlEEjNS1_19radix_merge_compareILb0ELb0EaNS0_19identity_decomposerEEEEE10hipError_tT0_T1_T2_jT3_P12ihipStream_tbPNSt15iterator_traitsISG_E10value_typeEPNSM_ISH_E10value_typeEPSI_NS1_7vsmem_tEENKUlT_SG_SH_SI_E_clIS7_S7_PlSB_EESF_SV_SG_SH_SI_EUlSV_E_NS1_11comp_targetILNS1_3genE4ELNS1_11target_archE910ELNS1_3gpuE8ELNS1_3repE0EEENS1_48merge_mergepath_partition_config_static_selectorELNS0_4arch9wavefront6targetE1EEEvSH_.private_seg_size, 0
	.set _ZN7rocprim17ROCPRIM_400000_NS6detail17trampoline_kernelINS0_14default_configENS1_38merge_sort_block_merge_config_selectorIalEEZZNS1_27merge_sort_block_merge_implIS3_PaN6thrust23THRUST_200600_302600_NS10device_ptrIlEEjNS1_19radix_merge_compareILb0ELb0EaNS0_19identity_decomposerEEEEE10hipError_tT0_T1_T2_jT3_P12ihipStream_tbPNSt15iterator_traitsISG_E10value_typeEPNSM_ISH_E10value_typeEPSI_NS1_7vsmem_tEENKUlT_SG_SH_SI_E_clIS7_S7_PlSB_EESF_SV_SG_SH_SI_EUlSV_E_NS1_11comp_targetILNS1_3genE4ELNS1_11target_archE910ELNS1_3gpuE8ELNS1_3repE0EEENS1_48merge_mergepath_partition_config_static_selectorELNS0_4arch9wavefront6targetE1EEEvSH_.uses_vcc, 0
	.set _ZN7rocprim17ROCPRIM_400000_NS6detail17trampoline_kernelINS0_14default_configENS1_38merge_sort_block_merge_config_selectorIalEEZZNS1_27merge_sort_block_merge_implIS3_PaN6thrust23THRUST_200600_302600_NS10device_ptrIlEEjNS1_19radix_merge_compareILb0ELb0EaNS0_19identity_decomposerEEEEE10hipError_tT0_T1_T2_jT3_P12ihipStream_tbPNSt15iterator_traitsISG_E10value_typeEPNSM_ISH_E10value_typeEPSI_NS1_7vsmem_tEENKUlT_SG_SH_SI_E_clIS7_S7_PlSB_EESF_SV_SG_SH_SI_EUlSV_E_NS1_11comp_targetILNS1_3genE4ELNS1_11target_archE910ELNS1_3gpuE8ELNS1_3repE0EEENS1_48merge_mergepath_partition_config_static_selectorELNS0_4arch9wavefront6targetE1EEEvSH_.uses_flat_scratch, 0
	.set _ZN7rocprim17ROCPRIM_400000_NS6detail17trampoline_kernelINS0_14default_configENS1_38merge_sort_block_merge_config_selectorIalEEZZNS1_27merge_sort_block_merge_implIS3_PaN6thrust23THRUST_200600_302600_NS10device_ptrIlEEjNS1_19radix_merge_compareILb0ELb0EaNS0_19identity_decomposerEEEEE10hipError_tT0_T1_T2_jT3_P12ihipStream_tbPNSt15iterator_traitsISG_E10value_typeEPNSM_ISH_E10value_typeEPSI_NS1_7vsmem_tEENKUlT_SG_SH_SI_E_clIS7_S7_PlSB_EESF_SV_SG_SH_SI_EUlSV_E_NS1_11comp_targetILNS1_3genE4ELNS1_11target_archE910ELNS1_3gpuE8ELNS1_3repE0EEENS1_48merge_mergepath_partition_config_static_selectorELNS0_4arch9wavefront6targetE1EEEvSH_.has_dyn_sized_stack, 0
	.set _ZN7rocprim17ROCPRIM_400000_NS6detail17trampoline_kernelINS0_14default_configENS1_38merge_sort_block_merge_config_selectorIalEEZZNS1_27merge_sort_block_merge_implIS3_PaN6thrust23THRUST_200600_302600_NS10device_ptrIlEEjNS1_19radix_merge_compareILb0ELb0EaNS0_19identity_decomposerEEEEE10hipError_tT0_T1_T2_jT3_P12ihipStream_tbPNSt15iterator_traitsISG_E10value_typeEPNSM_ISH_E10value_typeEPSI_NS1_7vsmem_tEENKUlT_SG_SH_SI_E_clIS7_S7_PlSB_EESF_SV_SG_SH_SI_EUlSV_E_NS1_11comp_targetILNS1_3genE4ELNS1_11target_archE910ELNS1_3gpuE8ELNS1_3repE0EEENS1_48merge_mergepath_partition_config_static_selectorELNS0_4arch9wavefront6targetE1EEEvSH_.has_recursion, 0
	.set _ZN7rocprim17ROCPRIM_400000_NS6detail17trampoline_kernelINS0_14default_configENS1_38merge_sort_block_merge_config_selectorIalEEZZNS1_27merge_sort_block_merge_implIS3_PaN6thrust23THRUST_200600_302600_NS10device_ptrIlEEjNS1_19radix_merge_compareILb0ELb0EaNS0_19identity_decomposerEEEEE10hipError_tT0_T1_T2_jT3_P12ihipStream_tbPNSt15iterator_traitsISG_E10value_typeEPNSM_ISH_E10value_typeEPSI_NS1_7vsmem_tEENKUlT_SG_SH_SI_E_clIS7_S7_PlSB_EESF_SV_SG_SH_SI_EUlSV_E_NS1_11comp_targetILNS1_3genE4ELNS1_11target_archE910ELNS1_3gpuE8ELNS1_3repE0EEENS1_48merge_mergepath_partition_config_static_selectorELNS0_4arch9wavefront6targetE1EEEvSH_.has_indirect_call, 0
	.section	.AMDGPU.csdata,"",@progbits
; Kernel info:
; codeLenInByte = 0
; TotalNumSgprs: 4
; NumVgprs: 0
; ScratchSize: 0
; MemoryBound: 0
; FloatMode: 240
; IeeeMode: 1
; LDSByteSize: 0 bytes/workgroup (compile time only)
; SGPRBlocks: 0
; VGPRBlocks: 0
; NumSGPRsForWavesPerEU: 4
; NumVGPRsForWavesPerEU: 1
; Occupancy: 10
; WaveLimiterHint : 0
; COMPUTE_PGM_RSRC2:SCRATCH_EN: 0
; COMPUTE_PGM_RSRC2:USER_SGPR: 6
; COMPUTE_PGM_RSRC2:TRAP_HANDLER: 0
; COMPUTE_PGM_RSRC2:TGID_X_EN: 1
; COMPUTE_PGM_RSRC2:TGID_Y_EN: 0
; COMPUTE_PGM_RSRC2:TGID_Z_EN: 0
; COMPUTE_PGM_RSRC2:TIDIG_COMP_CNT: 0
	.section	.text._ZN7rocprim17ROCPRIM_400000_NS6detail17trampoline_kernelINS0_14default_configENS1_38merge_sort_block_merge_config_selectorIalEEZZNS1_27merge_sort_block_merge_implIS3_PaN6thrust23THRUST_200600_302600_NS10device_ptrIlEEjNS1_19radix_merge_compareILb0ELb0EaNS0_19identity_decomposerEEEEE10hipError_tT0_T1_T2_jT3_P12ihipStream_tbPNSt15iterator_traitsISG_E10value_typeEPNSM_ISH_E10value_typeEPSI_NS1_7vsmem_tEENKUlT_SG_SH_SI_E_clIS7_S7_PlSB_EESF_SV_SG_SH_SI_EUlSV_E_NS1_11comp_targetILNS1_3genE3ELNS1_11target_archE908ELNS1_3gpuE7ELNS1_3repE0EEENS1_48merge_mergepath_partition_config_static_selectorELNS0_4arch9wavefront6targetE1EEEvSH_,"axG",@progbits,_ZN7rocprim17ROCPRIM_400000_NS6detail17trampoline_kernelINS0_14default_configENS1_38merge_sort_block_merge_config_selectorIalEEZZNS1_27merge_sort_block_merge_implIS3_PaN6thrust23THRUST_200600_302600_NS10device_ptrIlEEjNS1_19radix_merge_compareILb0ELb0EaNS0_19identity_decomposerEEEEE10hipError_tT0_T1_T2_jT3_P12ihipStream_tbPNSt15iterator_traitsISG_E10value_typeEPNSM_ISH_E10value_typeEPSI_NS1_7vsmem_tEENKUlT_SG_SH_SI_E_clIS7_S7_PlSB_EESF_SV_SG_SH_SI_EUlSV_E_NS1_11comp_targetILNS1_3genE3ELNS1_11target_archE908ELNS1_3gpuE7ELNS1_3repE0EEENS1_48merge_mergepath_partition_config_static_selectorELNS0_4arch9wavefront6targetE1EEEvSH_,comdat
	.protected	_ZN7rocprim17ROCPRIM_400000_NS6detail17trampoline_kernelINS0_14default_configENS1_38merge_sort_block_merge_config_selectorIalEEZZNS1_27merge_sort_block_merge_implIS3_PaN6thrust23THRUST_200600_302600_NS10device_ptrIlEEjNS1_19radix_merge_compareILb0ELb0EaNS0_19identity_decomposerEEEEE10hipError_tT0_T1_T2_jT3_P12ihipStream_tbPNSt15iterator_traitsISG_E10value_typeEPNSM_ISH_E10value_typeEPSI_NS1_7vsmem_tEENKUlT_SG_SH_SI_E_clIS7_S7_PlSB_EESF_SV_SG_SH_SI_EUlSV_E_NS1_11comp_targetILNS1_3genE3ELNS1_11target_archE908ELNS1_3gpuE7ELNS1_3repE0EEENS1_48merge_mergepath_partition_config_static_selectorELNS0_4arch9wavefront6targetE1EEEvSH_ ; -- Begin function _ZN7rocprim17ROCPRIM_400000_NS6detail17trampoline_kernelINS0_14default_configENS1_38merge_sort_block_merge_config_selectorIalEEZZNS1_27merge_sort_block_merge_implIS3_PaN6thrust23THRUST_200600_302600_NS10device_ptrIlEEjNS1_19radix_merge_compareILb0ELb0EaNS0_19identity_decomposerEEEEE10hipError_tT0_T1_T2_jT3_P12ihipStream_tbPNSt15iterator_traitsISG_E10value_typeEPNSM_ISH_E10value_typeEPSI_NS1_7vsmem_tEENKUlT_SG_SH_SI_E_clIS7_S7_PlSB_EESF_SV_SG_SH_SI_EUlSV_E_NS1_11comp_targetILNS1_3genE3ELNS1_11target_archE908ELNS1_3gpuE7ELNS1_3repE0EEENS1_48merge_mergepath_partition_config_static_selectorELNS0_4arch9wavefront6targetE1EEEvSH_
	.globl	_ZN7rocprim17ROCPRIM_400000_NS6detail17trampoline_kernelINS0_14default_configENS1_38merge_sort_block_merge_config_selectorIalEEZZNS1_27merge_sort_block_merge_implIS3_PaN6thrust23THRUST_200600_302600_NS10device_ptrIlEEjNS1_19radix_merge_compareILb0ELb0EaNS0_19identity_decomposerEEEEE10hipError_tT0_T1_T2_jT3_P12ihipStream_tbPNSt15iterator_traitsISG_E10value_typeEPNSM_ISH_E10value_typeEPSI_NS1_7vsmem_tEENKUlT_SG_SH_SI_E_clIS7_S7_PlSB_EESF_SV_SG_SH_SI_EUlSV_E_NS1_11comp_targetILNS1_3genE3ELNS1_11target_archE908ELNS1_3gpuE7ELNS1_3repE0EEENS1_48merge_mergepath_partition_config_static_selectorELNS0_4arch9wavefront6targetE1EEEvSH_
	.p2align	8
	.type	_ZN7rocprim17ROCPRIM_400000_NS6detail17trampoline_kernelINS0_14default_configENS1_38merge_sort_block_merge_config_selectorIalEEZZNS1_27merge_sort_block_merge_implIS3_PaN6thrust23THRUST_200600_302600_NS10device_ptrIlEEjNS1_19radix_merge_compareILb0ELb0EaNS0_19identity_decomposerEEEEE10hipError_tT0_T1_T2_jT3_P12ihipStream_tbPNSt15iterator_traitsISG_E10value_typeEPNSM_ISH_E10value_typeEPSI_NS1_7vsmem_tEENKUlT_SG_SH_SI_E_clIS7_S7_PlSB_EESF_SV_SG_SH_SI_EUlSV_E_NS1_11comp_targetILNS1_3genE3ELNS1_11target_archE908ELNS1_3gpuE7ELNS1_3repE0EEENS1_48merge_mergepath_partition_config_static_selectorELNS0_4arch9wavefront6targetE1EEEvSH_,@function
_ZN7rocprim17ROCPRIM_400000_NS6detail17trampoline_kernelINS0_14default_configENS1_38merge_sort_block_merge_config_selectorIalEEZZNS1_27merge_sort_block_merge_implIS3_PaN6thrust23THRUST_200600_302600_NS10device_ptrIlEEjNS1_19radix_merge_compareILb0ELb0EaNS0_19identity_decomposerEEEEE10hipError_tT0_T1_T2_jT3_P12ihipStream_tbPNSt15iterator_traitsISG_E10value_typeEPNSM_ISH_E10value_typeEPSI_NS1_7vsmem_tEENKUlT_SG_SH_SI_E_clIS7_S7_PlSB_EESF_SV_SG_SH_SI_EUlSV_E_NS1_11comp_targetILNS1_3genE3ELNS1_11target_archE908ELNS1_3gpuE7ELNS1_3repE0EEENS1_48merge_mergepath_partition_config_static_selectorELNS0_4arch9wavefront6targetE1EEEvSH_: ; @_ZN7rocprim17ROCPRIM_400000_NS6detail17trampoline_kernelINS0_14default_configENS1_38merge_sort_block_merge_config_selectorIalEEZZNS1_27merge_sort_block_merge_implIS3_PaN6thrust23THRUST_200600_302600_NS10device_ptrIlEEjNS1_19radix_merge_compareILb0ELb0EaNS0_19identity_decomposerEEEEE10hipError_tT0_T1_T2_jT3_P12ihipStream_tbPNSt15iterator_traitsISG_E10value_typeEPNSM_ISH_E10value_typeEPSI_NS1_7vsmem_tEENKUlT_SG_SH_SI_E_clIS7_S7_PlSB_EESF_SV_SG_SH_SI_EUlSV_E_NS1_11comp_targetILNS1_3genE3ELNS1_11target_archE908ELNS1_3gpuE7ELNS1_3repE0EEENS1_48merge_mergepath_partition_config_static_selectorELNS0_4arch9wavefront6targetE1EEEvSH_
; %bb.0:
	.section	.rodata,"a",@progbits
	.p2align	6, 0x0
	.amdhsa_kernel _ZN7rocprim17ROCPRIM_400000_NS6detail17trampoline_kernelINS0_14default_configENS1_38merge_sort_block_merge_config_selectorIalEEZZNS1_27merge_sort_block_merge_implIS3_PaN6thrust23THRUST_200600_302600_NS10device_ptrIlEEjNS1_19radix_merge_compareILb0ELb0EaNS0_19identity_decomposerEEEEE10hipError_tT0_T1_T2_jT3_P12ihipStream_tbPNSt15iterator_traitsISG_E10value_typeEPNSM_ISH_E10value_typeEPSI_NS1_7vsmem_tEENKUlT_SG_SH_SI_E_clIS7_S7_PlSB_EESF_SV_SG_SH_SI_EUlSV_E_NS1_11comp_targetILNS1_3genE3ELNS1_11target_archE908ELNS1_3gpuE7ELNS1_3repE0EEENS1_48merge_mergepath_partition_config_static_selectorELNS0_4arch9wavefront6targetE1EEEvSH_
		.amdhsa_group_segment_fixed_size 0
		.amdhsa_private_segment_fixed_size 0
		.amdhsa_kernarg_size 40
		.amdhsa_user_sgpr_count 6
		.amdhsa_user_sgpr_private_segment_buffer 1
		.amdhsa_user_sgpr_dispatch_ptr 0
		.amdhsa_user_sgpr_queue_ptr 0
		.amdhsa_user_sgpr_kernarg_segment_ptr 1
		.amdhsa_user_sgpr_dispatch_id 0
		.amdhsa_user_sgpr_flat_scratch_init 0
		.amdhsa_user_sgpr_private_segment_size 0
		.amdhsa_uses_dynamic_stack 0
		.amdhsa_system_sgpr_private_segment_wavefront_offset 0
		.amdhsa_system_sgpr_workgroup_id_x 1
		.amdhsa_system_sgpr_workgroup_id_y 0
		.amdhsa_system_sgpr_workgroup_id_z 0
		.amdhsa_system_sgpr_workgroup_info 0
		.amdhsa_system_vgpr_workitem_id 0
		.amdhsa_next_free_vgpr 1
		.amdhsa_next_free_sgpr 0
		.amdhsa_reserve_vcc 0
		.amdhsa_reserve_flat_scratch 0
		.amdhsa_float_round_mode_32 0
		.amdhsa_float_round_mode_16_64 0
		.amdhsa_float_denorm_mode_32 3
		.amdhsa_float_denorm_mode_16_64 3
		.amdhsa_dx10_clamp 1
		.amdhsa_ieee_mode 1
		.amdhsa_fp16_overflow 0
		.amdhsa_exception_fp_ieee_invalid_op 0
		.amdhsa_exception_fp_denorm_src 0
		.amdhsa_exception_fp_ieee_div_zero 0
		.amdhsa_exception_fp_ieee_overflow 0
		.amdhsa_exception_fp_ieee_underflow 0
		.amdhsa_exception_fp_ieee_inexact 0
		.amdhsa_exception_int_div_zero 0
	.end_amdhsa_kernel
	.section	.text._ZN7rocprim17ROCPRIM_400000_NS6detail17trampoline_kernelINS0_14default_configENS1_38merge_sort_block_merge_config_selectorIalEEZZNS1_27merge_sort_block_merge_implIS3_PaN6thrust23THRUST_200600_302600_NS10device_ptrIlEEjNS1_19radix_merge_compareILb0ELb0EaNS0_19identity_decomposerEEEEE10hipError_tT0_T1_T2_jT3_P12ihipStream_tbPNSt15iterator_traitsISG_E10value_typeEPNSM_ISH_E10value_typeEPSI_NS1_7vsmem_tEENKUlT_SG_SH_SI_E_clIS7_S7_PlSB_EESF_SV_SG_SH_SI_EUlSV_E_NS1_11comp_targetILNS1_3genE3ELNS1_11target_archE908ELNS1_3gpuE7ELNS1_3repE0EEENS1_48merge_mergepath_partition_config_static_selectorELNS0_4arch9wavefront6targetE1EEEvSH_,"axG",@progbits,_ZN7rocprim17ROCPRIM_400000_NS6detail17trampoline_kernelINS0_14default_configENS1_38merge_sort_block_merge_config_selectorIalEEZZNS1_27merge_sort_block_merge_implIS3_PaN6thrust23THRUST_200600_302600_NS10device_ptrIlEEjNS1_19radix_merge_compareILb0ELb0EaNS0_19identity_decomposerEEEEE10hipError_tT0_T1_T2_jT3_P12ihipStream_tbPNSt15iterator_traitsISG_E10value_typeEPNSM_ISH_E10value_typeEPSI_NS1_7vsmem_tEENKUlT_SG_SH_SI_E_clIS7_S7_PlSB_EESF_SV_SG_SH_SI_EUlSV_E_NS1_11comp_targetILNS1_3genE3ELNS1_11target_archE908ELNS1_3gpuE7ELNS1_3repE0EEENS1_48merge_mergepath_partition_config_static_selectorELNS0_4arch9wavefront6targetE1EEEvSH_,comdat
.Lfunc_end482:
	.size	_ZN7rocprim17ROCPRIM_400000_NS6detail17trampoline_kernelINS0_14default_configENS1_38merge_sort_block_merge_config_selectorIalEEZZNS1_27merge_sort_block_merge_implIS3_PaN6thrust23THRUST_200600_302600_NS10device_ptrIlEEjNS1_19radix_merge_compareILb0ELb0EaNS0_19identity_decomposerEEEEE10hipError_tT0_T1_T2_jT3_P12ihipStream_tbPNSt15iterator_traitsISG_E10value_typeEPNSM_ISH_E10value_typeEPSI_NS1_7vsmem_tEENKUlT_SG_SH_SI_E_clIS7_S7_PlSB_EESF_SV_SG_SH_SI_EUlSV_E_NS1_11comp_targetILNS1_3genE3ELNS1_11target_archE908ELNS1_3gpuE7ELNS1_3repE0EEENS1_48merge_mergepath_partition_config_static_selectorELNS0_4arch9wavefront6targetE1EEEvSH_, .Lfunc_end482-_ZN7rocprim17ROCPRIM_400000_NS6detail17trampoline_kernelINS0_14default_configENS1_38merge_sort_block_merge_config_selectorIalEEZZNS1_27merge_sort_block_merge_implIS3_PaN6thrust23THRUST_200600_302600_NS10device_ptrIlEEjNS1_19radix_merge_compareILb0ELb0EaNS0_19identity_decomposerEEEEE10hipError_tT0_T1_T2_jT3_P12ihipStream_tbPNSt15iterator_traitsISG_E10value_typeEPNSM_ISH_E10value_typeEPSI_NS1_7vsmem_tEENKUlT_SG_SH_SI_E_clIS7_S7_PlSB_EESF_SV_SG_SH_SI_EUlSV_E_NS1_11comp_targetILNS1_3genE3ELNS1_11target_archE908ELNS1_3gpuE7ELNS1_3repE0EEENS1_48merge_mergepath_partition_config_static_selectorELNS0_4arch9wavefront6targetE1EEEvSH_
                                        ; -- End function
	.set _ZN7rocprim17ROCPRIM_400000_NS6detail17trampoline_kernelINS0_14default_configENS1_38merge_sort_block_merge_config_selectorIalEEZZNS1_27merge_sort_block_merge_implIS3_PaN6thrust23THRUST_200600_302600_NS10device_ptrIlEEjNS1_19radix_merge_compareILb0ELb0EaNS0_19identity_decomposerEEEEE10hipError_tT0_T1_T2_jT3_P12ihipStream_tbPNSt15iterator_traitsISG_E10value_typeEPNSM_ISH_E10value_typeEPSI_NS1_7vsmem_tEENKUlT_SG_SH_SI_E_clIS7_S7_PlSB_EESF_SV_SG_SH_SI_EUlSV_E_NS1_11comp_targetILNS1_3genE3ELNS1_11target_archE908ELNS1_3gpuE7ELNS1_3repE0EEENS1_48merge_mergepath_partition_config_static_selectorELNS0_4arch9wavefront6targetE1EEEvSH_.num_vgpr, 0
	.set _ZN7rocprim17ROCPRIM_400000_NS6detail17trampoline_kernelINS0_14default_configENS1_38merge_sort_block_merge_config_selectorIalEEZZNS1_27merge_sort_block_merge_implIS3_PaN6thrust23THRUST_200600_302600_NS10device_ptrIlEEjNS1_19radix_merge_compareILb0ELb0EaNS0_19identity_decomposerEEEEE10hipError_tT0_T1_T2_jT3_P12ihipStream_tbPNSt15iterator_traitsISG_E10value_typeEPNSM_ISH_E10value_typeEPSI_NS1_7vsmem_tEENKUlT_SG_SH_SI_E_clIS7_S7_PlSB_EESF_SV_SG_SH_SI_EUlSV_E_NS1_11comp_targetILNS1_3genE3ELNS1_11target_archE908ELNS1_3gpuE7ELNS1_3repE0EEENS1_48merge_mergepath_partition_config_static_selectorELNS0_4arch9wavefront6targetE1EEEvSH_.num_agpr, 0
	.set _ZN7rocprim17ROCPRIM_400000_NS6detail17trampoline_kernelINS0_14default_configENS1_38merge_sort_block_merge_config_selectorIalEEZZNS1_27merge_sort_block_merge_implIS3_PaN6thrust23THRUST_200600_302600_NS10device_ptrIlEEjNS1_19radix_merge_compareILb0ELb0EaNS0_19identity_decomposerEEEEE10hipError_tT0_T1_T2_jT3_P12ihipStream_tbPNSt15iterator_traitsISG_E10value_typeEPNSM_ISH_E10value_typeEPSI_NS1_7vsmem_tEENKUlT_SG_SH_SI_E_clIS7_S7_PlSB_EESF_SV_SG_SH_SI_EUlSV_E_NS1_11comp_targetILNS1_3genE3ELNS1_11target_archE908ELNS1_3gpuE7ELNS1_3repE0EEENS1_48merge_mergepath_partition_config_static_selectorELNS0_4arch9wavefront6targetE1EEEvSH_.numbered_sgpr, 0
	.set _ZN7rocprim17ROCPRIM_400000_NS6detail17trampoline_kernelINS0_14default_configENS1_38merge_sort_block_merge_config_selectorIalEEZZNS1_27merge_sort_block_merge_implIS3_PaN6thrust23THRUST_200600_302600_NS10device_ptrIlEEjNS1_19radix_merge_compareILb0ELb0EaNS0_19identity_decomposerEEEEE10hipError_tT0_T1_T2_jT3_P12ihipStream_tbPNSt15iterator_traitsISG_E10value_typeEPNSM_ISH_E10value_typeEPSI_NS1_7vsmem_tEENKUlT_SG_SH_SI_E_clIS7_S7_PlSB_EESF_SV_SG_SH_SI_EUlSV_E_NS1_11comp_targetILNS1_3genE3ELNS1_11target_archE908ELNS1_3gpuE7ELNS1_3repE0EEENS1_48merge_mergepath_partition_config_static_selectorELNS0_4arch9wavefront6targetE1EEEvSH_.num_named_barrier, 0
	.set _ZN7rocprim17ROCPRIM_400000_NS6detail17trampoline_kernelINS0_14default_configENS1_38merge_sort_block_merge_config_selectorIalEEZZNS1_27merge_sort_block_merge_implIS3_PaN6thrust23THRUST_200600_302600_NS10device_ptrIlEEjNS1_19radix_merge_compareILb0ELb0EaNS0_19identity_decomposerEEEEE10hipError_tT0_T1_T2_jT3_P12ihipStream_tbPNSt15iterator_traitsISG_E10value_typeEPNSM_ISH_E10value_typeEPSI_NS1_7vsmem_tEENKUlT_SG_SH_SI_E_clIS7_S7_PlSB_EESF_SV_SG_SH_SI_EUlSV_E_NS1_11comp_targetILNS1_3genE3ELNS1_11target_archE908ELNS1_3gpuE7ELNS1_3repE0EEENS1_48merge_mergepath_partition_config_static_selectorELNS0_4arch9wavefront6targetE1EEEvSH_.private_seg_size, 0
	.set _ZN7rocprim17ROCPRIM_400000_NS6detail17trampoline_kernelINS0_14default_configENS1_38merge_sort_block_merge_config_selectorIalEEZZNS1_27merge_sort_block_merge_implIS3_PaN6thrust23THRUST_200600_302600_NS10device_ptrIlEEjNS1_19radix_merge_compareILb0ELb0EaNS0_19identity_decomposerEEEEE10hipError_tT0_T1_T2_jT3_P12ihipStream_tbPNSt15iterator_traitsISG_E10value_typeEPNSM_ISH_E10value_typeEPSI_NS1_7vsmem_tEENKUlT_SG_SH_SI_E_clIS7_S7_PlSB_EESF_SV_SG_SH_SI_EUlSV_E_NS1_11comp_targetILNS1_3genE3ELNS1_11target_archE908ELNS1_3gpuE7ELNS1_3repE0EEENS1_48merge_mergepath_partition_config_static_selectorELNS0_4arch9wavefront6targetE1EEEvSH_.uses_vcc, 0
	.set _ZN7rocprim17ROCPRIM_400000_NS6detail17trampoline_kernelINS0_14default_configENS1_38merge_sort_block_merge_config_selectorIalEEZZNS1_27merge_sort_block_merge_implIS3_PaN6thrust23THRUST_200600_302600_NS10device_ptrIlEEjNS1_19radix_merge_compareILb0ELb0EaNS0_19identity_decomposerEEEEE10hipError_tT0_T1_T2_jT3_P12ihipStream_tbPNSt15iterator_traitsISG_E10value_typeEPNSM_ISH_E10value_typeEPSI_NS1_7vsmem_tEENKUlT_SG_SH_SI_E_clIS7_S7_PlSB_EESF_SV_SG_SH_SI_EUlSV_E_NS1_11comp_targetILNS1_3genE3ELNS1_11target_archE908ELNS1_3gpuE7ELNS1_3repE0EEENS1_48merge_mergepath_partition_config_static_selectorELNS0_4arch9wavefront6targetE1EEEvSH_.uses_flat_scratch, 0
	.set _ZN7rocprim17ROCPRIM_400000_NS6detail17trampoline_kernelINS0_14default_configENS1_38merge_sort_block_merge_config_selectorIalEEZZNS1_27merge_sort_block_merge_implIS3_PaN6thrust23THRUST_200600_302600_NS10device_ptrIlEEjNS1_19radix_merge_compareILb0ELb0EaNS0_19identity_decomposerEEEEE10hipError_tT0_T1_T2_jT3_P12ihipStream_tbPNSt15iterator_traitsISG_E10value_typeEPNSM_ISH_E10value_typeEPSI_NS1_7vsmem_tEENKUlT_SG_SH_SI_E_clIS7_S7_PlSB_EESF_SV_SG_SH_SI_EUlSV_E_NS1_11comp_targetILNS1_3genE3ELNS1_11target_archE908ELNS1_3gpuE7ELNS1_3repE0EEENS1_48merge_mergepath_partition_config_static_selectorELNS0_4arch9wavefront6targetE1EEEvSH_.has_dyn_sized_stack, 0
	.set _ZN7rocprim17ROCPRIM_400000_NS6detail17trampoline_kernelINS0_14default_configENS1_38merge_sort_block_merge_config_selectorIalEEZZNS1_27merge_sort_block_merge_implIS3_PaN6thrust23THRUST_200600_302600_NS10device_ptrIlEEjNS1_19radix_merge_compareILb0ELb0EaNS0_19identity_decomposerEEEEE10hipError_tT0_T1_T2_jT3_P12ihipStream_tbPNSt15iterator_traitsISG_E10value_typeEPNSM_ISH_E10value_typeEPSI_NS1_7vsmem_tEENKUlT_SG_SH_SI_E_clIS7_S7_PlSB_EESF_SV_SG_SH_SI_EUlSV_E_NS1_11comp_targetILNS1_3genE3ELNS1_11target_archE908ELNS1_3gpuE7ELNS1_3repE0EEENS1_48merge_mergepath_partition_config_static_selectorELNS0_4arch9wavefront6targetE1EEEvSH_.has_recursion, 0
	.set _ZN7rocprim17ROCPRIM_400000_NS6detail17trampoline_kernelINS0_14default_configENS1_38merge_sort_block_merge_config_selectorIalEEZZNS1_27merge_sort_block_merge_implIS3_PaN6thrust23THRUST_200600_302600_NS10device_ptrIlEEjNS1_19radix_merge_compareILb0ELb0EaNS0_19identity_decomposerEEEEE10hipError_tT0_T1_T2_jT3_P12ihipStream_tbPNSt15iterator_traitsISG_E10value_typeEPNSM_ISH_E10value_typeEPSI_NS1_7vsmem_tEENKUlT_SG_SH_SI_E_clIS7_S7_PlSB_EESF_SV_SG_SH_SI_EUlSV_E_NS1_11comp_targetILNS1_3genE3ELNS1_11target_archE908ELNS1_3gpuE7ELNS1_3repE0EEENS1_48merge_mergepath_partition_config_static_selectorELNS0_4arch9wavefront6targetE1EEEvSH_.has_indirect_call, 0
	.section	.AMDGPU.csdata,"",@progbits
; Kernel info:
; codeLenInByte = 0
; TotalNumSgprs: 4
; NumVgprs: 0
; ScratchSize: 0
; MemoryBound: 0
; FloatMode: 240
; IeeeMode: 1
; LDSByteSize: 0 bytes/workgroup (compile time only)
; SGPRBlocks: 0
; VGPRBlocks: 0
; NumSGPRsForWavesPerEU: 4
; NumVGPRsForWavesPerEU: 1
; Occupancy: 10
; WaveLimiterHint : 0
; COMPUTE_PGM_RSRC2:SCRATCH_EN: 0
; COMPUTE_PGM_RSRC2:USER_SGPR: 6
; COMPUTE_PGM_RSRC2:TRAP_HANDLER: 0
; COMPUTE_PGM_RSRC2:TGID_X_EN: 1
; COMPUTE_PGM_RSRC2:TGID_Y_EN: 0
; COMPUTE_PGM_RSRC2:TGID_Z_EN: 0
; COMPUTE_PGM_RSRC2:TIDIG_COMP_CNT: 0
	.section	.text._ZN7rocprim17ROCPRIM_400000_NS6detail17trampoline_kernelINS0_14default_configENS1_38merge_sort_block_merge_config_selectorIalEEZZNS1_27merge_sort_block_merge_implIS3_PaN6thrust23THRUST_200600_302600_NS10device_ptrIlEEjNS1_19radix_merge_compareILb0ELb0EaNS0_19identity_decomposerEEEEE10hipError_tT0_T1_T2_jT3_P12ihipStream_tbPNSt15iterator_traitsISG_E10value_typeEPNSM_ISH_E10value_typeEPSI_NS1_7vsmem_tEENKUlT_SG_SH_SI_E_clIS7_S7_PlSB_EESF_SV_SG_SH_SI_EUlSV_E_NS1_11comp_targetILNS1_3genE2ELNS1_11target_archE906ELNS1_3gpuE6ELNS1_3repE0EEENS1_48merge_mergepath_partition_config_static_selectorELNS0_4arch9wavefront6targetE1EEEvSH_,"axG",@progbits,_ZN7rocprim17ROCPRIM_400000_NS6detail17trampoline_kernelINS0_14default_configENS1_38merge_sort_block_merge_config_selectorIalEEZZNS1_27merge_sort_block_merge_implIS3_PaN6thrust23THRUST_200600_302600_NS10device_ptrIlEEjNS1_19radix_merge_compareILb0ELb0EaNS0_19identity_decomposerEEEEE10hipError_tT0_T1_T2_jT3_P12ihipStream_tbPNSt15iterator_traitsISG_E10value_typeEPNSM_ISH_E10value_typeEPSI_NS1_7vsmem_tEENKUlT_SG_SH_SI_E_clIS7_S7_PlSB_EESF_SV_SG_SH_SI_EUlSV_E_NS1_11comp_targetILNS1_3genE2ELNS1_11target_archE906ELNS1_3gpuE6ELNS1_3repE0EEENS1_48merge_mergepath_partition_config_static_selectorELNS0_4arch9wavefront6targetE1EEEvSH_,comdat
	.protected	_ZN7rocprim17ROCPRIM_400000_NS6detail17trampoline_kernelINS0_14default_configENS1_38merge_sort_block_merge_config_selectorIalEEZZNS1_27merge_sort_block_merge_implIS3_PaN6thrust23THRUST_200600_302600_NS10device_ptrIlEEjNS1_19radix_merge_compareILb0ELb0EaNS0_19identity_decomposerEEEEE10hipError_tT0_T1_T2_jT3_P12ihipStream_tbPNSt15iterator_traitsISG_E10value_typeEPNSM_ISH_E10value_typeEPSI_NS1_7vsmem_tEENKUlT_SG_SH_SI_E_clIS7_S7_PlSB_EESF_SV_SG_SH_SI_EUlSV_E_NS1_11comp_targetILNS1_3genE2ELNS1_11target_archE906ELNS1_3gpuE6ELNS1_3repE0EEENS1_48merge_mergepath_partition_config_static_selectorELNS0_4arch9wavefront6targetE1EEEvSH_ ; -- Begin function _ZN7rocprim17ROCPRIM_400000_NS6detail17trampoline_kernelINS0_14default_configENS1_38merge_sort_block_merge_config_selectorIalEEZZNS1_27merge_sort_block_merge_implIS3_PaN6thrust23THRUST_200600_302600_NS10device_ptrIlEEjNS1_19radix_merge_compareILb0ELb0EaNS0_19identity_decomposerEEEEE10hipError_tT0_T1_T2_jT3_P12ihipStream_tbPNSt15iterator_traitsISG_E10value_typeEPNSM_ISH_E10value_typeEPSI_NS1_7vsmem_tEENKUlT_SG_SH_SI_E_clIS7_S7_PlSB_EESF_SV_SG_SH_SI_EUlSV_E_NS1_11comp_targetILNS1_3genE2ELNS1_11target_archE906ELNS1_3gpuE6ELNS1_3repE0EEENS1_48merge_mergepath_partition_config_static_selectorELNS0_4arch9wavefront6targetE1EEEvSH_
	.globl	_ZN7rocprim17ROCPRIM_400000_NS6detail17trampoline_kernelINS0_14default_configENS1_38merge_sort_block_merge_config_selectorIalEEZZNS1_27merge_sort_block_merge_implIS3_PaN6thrust23THRUST_200600_302600_NS10device_ptrIlEEjNS1_19radix_merge_compareILb0ELb0EaNS0_19identity_decomposerEEEEE10hipError_tT0_T1_T2_jT3_P12ihipStream_tbPNSt15iterator_traitsISG_E10value_typeEPNSM_ISH_E10value_typeEPSI_NS1_7vsmem_tEENKUlT_SG_SH_SI_E_clIS7_S7_PlSB_EESF_SV_SG_SH_SI_EUlSV_E_NS1_11comp_targetILNS1_3genE2ELNS1_11target_archE906ELNS1_3gpuE6ELNS1_3repE0EEENS1_48merge_mergepath_partition_config_static_selectorELNS0_4arch9wavefront6targetE1EEEvSH_
	.p2align	8
	.type	_ZN7rocprim17ROCPRIM_400000_NS6detail17trampoline_kernelINS0_14default_configENS1_38merge_sort_block_merge_config_selectorIalEEZZNS1_27merge_sort_block_merge_implIS3_PaN6thrust23THRUST_200600_302600_NS10device_ptrIlEEjNS1_19radix_merge_compareILb0ELb0EaNS0_19identity_decomposerEEEEE10hipError_tT0_T1_T2_jT3_P12ihipStream_tbPNSt15iterator_traitsISG_E10value_typeEPNSM_ISH_E10value_typeEPSI_NS1_7vsmem_tEENKUlT_SG_SH_SI_E_clIS7_S7_PlSB_EESF_SV_SG_SH_SI_EUlSV_E_NS1_11comp_targetILNS1_3genE2ELNS1_11target_archE906ELNS1_3gpuE6ELNS1_3repE0EEENS1_48merge_mergepath_partition_config_static_selectorELNS0_4arch9wavefront6targetE1EEEvSH_,@function
_ZN7rocprim17ROCPRIM_400000_NS6detail17trampoline_kernelINS0_14default_configENS1_38merge_sort_block_merge_config_selectorIalEEZZNS1_27merge_sort_block_merge_implIS3_PaN6thrust23THRUST_200600_302600_NS10device_ptrIlEEjNS1_19radix_merge_compareILb0ELb0EaNS0_19identity_decomposerEEEEE10hipError_tT0_T1_T2_jT3_P12ihipStream_tbPNSt15iterator_traitsISG_E10value_typeEPNSM_ISH_E10value_typeEPSI_NS1_7vsmem_tEENKUlT_SG_SH_SI_E_clIS7_S7_PlSB_EESF_SV_SG_SH_SI_EUlSV_E_NS1_11comp_targetILNS1_3genE2ELNS1_11target_archE906ELNS1_3gpuE6ELNS1_3repE0EEENS1_48merge_mergepath_partition_config_static_selectorELNS0_4arch9wavefront6targetE1EEEvSH_: ; @_ZN7rocprim17ROCPRIM_400000_NS6detail17trampoline_kernelINS0_14default_configENS1_38merge_sort_block_merge_config_selectorIalEEZZNS1_27merge_sort_block_merge_implIS3_PaN6thrust23THRUST_200600_302600_NS10device_ptrIlEEjNS1_19radix_merge_compareILb0ELb0EaNS0_19identity_decomposerEEEEE10hipError_tT0_T1_T2_jT3_P12ihipStream_tbPNSt15iterator_traitsISG_E10value_typeEPNSM_ISH_E10value_typeEPSI_NS1_7vsmem_tEENKUlT_SG_SH_SI_E_clIS7_S7_PlSB_EESF_SV_SG_SH_SI_EUlSV_E_NS1_11comp_targetILNS1_3genE2ELNS1_11target_archE906ELNS1_3gpuE6ELNS1_3repE0EEENS1_48merge_mergepath_partition_config_static_selectorELNS0_4arch9wavefront6targetE1EEEvSH_
; %bb.0:
	s_load_dword s0, s[4:5], 0x0
	v_lshl_or_b32 v0, s6, 7, v0
	s_waitcnt lgkmcnt(0)
	v_cmp_gt_u32_e32 vcc, s0, v0
	s_and_saveexec_b64 s[0:1], vcc
	s_cbranch_execz .LBB483_6
; %bb.1:
	s_load_dwordx2 s[2:3], s[4:5], 0x4
	s_load_dwordx2 s[0:1], s[4:5], 0x20
	s_waitcnt lgkmcnt(0)
	s_lshr_b32 s6, s2, 9
	s_and_b32 s6, s6, 0x7ffffe
	s_add_i32 s7, s6, -1
	s_sub_i32 s6, 0, s6
	v_and_b32_e32 v1, s6, v0
	v_lshlrev_b32_e32 v3, 10, v1
	v_min_u32_e32 v1, s3, v3
	v_add_u32_e32 v3, s2, v3
	v_min_u32_e32 v7, s3, v3
	v_add_u32_e32 v3, s2, v7
	v_and_b32_e32 v2, s7, v0
	v_min_u32_e32 v4, s3, v3
	v_sub_u32_e32 v3, v4, v1
	v_lshlrev_b32_e32 v2, 10, v2
	v_min_u32_e32 v3, v3, v2
	v_sub_u32_e32 v5, v7, v1
	v_sub_u32_e32 v2, v4, v7
	v_sub_u32_e64 v2, v3, v2 clamp
	v_min_u32_e32 v4, v3, v5
	v_cmp_lt_u32_e32 vcc, v2, v4
	s_and_saveexec_b64 s[2:3], vcc
	s_cbranch_execz .LBB483_5
; %bb.2:
	s_load_dwordx2 s[4:5], s[4:5], 0x10
	s_waitcnt lgkmcnt(0)
	v_mov_b32_e32 v8, s5
	v_add_co_u32_e32 v5, vcc, s4, v1
	v_addc_co_u32_e32 v6, vcc, 0, v8, vcc
	v_add_co_u32_e32 v7, vcc, s4, v7
	v_addc_co_u32_e32 v8, vcc, 0, v8, vcc
	s_mov_b64 s[4:5], 0
.LBB483_3:                              ; =>This Inner Loop Header: Depth=1
	v_add_u32_e32 v9, v4, v2
	v_lshrrev_b32_e32 v13, 1, v9
	v_add_co_u32_e32 v9, vcc, v5, v13
	v_xad_u32 v11, v13, -1, v3
	v_addc_co_u32_e32 v10, vcc, 0, v6, vcc
	v_add_co_u32_e32 v11, vcc, v7, v11
	v_addc_co_u32_e32 v12, vcc, 0, v8, vcc
	global_load_sbyte v14, v[9:10], off
	global_load_sbyte v15, v[11:12], off
	v_add_u32_e32 v9, 1, v13
	s_waitcnt vmcnt(0)
	v_cmp_gt_i16_e32 vcc, v14, v15
	v_cndmask_b32_e32 v4, v4, v13, vcc
	v_cndmask_b32_e32 v2, v9, v2, vcc
	v_cmp_ge_u32_e32 vcc, v2, v4
	s_or_b64 s[4:5], vcc, s[4:5]
	s_andn2_b64 exec, exec, s[4:5]
	s_cbranch_execnz .LBB483_3
; %bb.4:
	s_or_b64 exec, exec, s[4:5]
.LBB483_5:
	s_or_b64 exec, exec, s[2:3]
	v_add_u32_e32 v2, v2, v1
	v_mov_b32_e32 v1, 0
	v_lshlrev_b64 v[0:1], 2, v[0:1]
	v_mov_b32_e32 v3, s1
	v_add_co_u32_e32 v0, vcc, s0, v0
	v_addc_co_u32_e32 v1, vcc, v3, v1, vcc
	global_store_dword v[0:1], v2, off
.LBB483_6:
	s_endpgm
	.section	.rodata,"a",@progbits
	.p2align	6, 0x0
	.amdhsa_kernel _ZN7rocprim17ROCPRIM_400000_NS6detail17trampoline_kernelINS0_14default_configENS1_38merge_sort_block_merge_config_selectorIalEEZZNS1_27merge_sort_block_merge_implIS3_PaN6thrust23THRUST_200600_302600_NS10device_ptrIlEEjNS1_19radix_merge_compareILb0ELb0EaNS0_19identity_decomposerEEEEE10hipError_tT0_T1_T2_jT3_P12ihipStream_tbPNSt15iterator_traitsISG_E10value_typeEPNSM_ISH_E10value_typeEPSI_NS1_7vsmem_tEENKUlT_SG_SH_SI_E_clIS7_S7_PlSB_EESF_SV_SG_SH_SI_EUlSV_E_NS1_11comp_targetILNS1_3genE2ELNS1_11target_archE906ELNS1_3gpuE6ELNS1_3repE0EEENS1_48merge_mergepath_partition_config_static_selectorELNS0_4arch9wavefront6targetE1EEEvSH_
		.amdhsa_group_segment_fixed_size 0
		.amdhsa_private_segment_fixed_size 0
		.amdhsa_kernarg_size 40
		.amdhsa_user_sgpr_count 6
		.amdhsa_user_sgpr_private_segment_buffer 1
		.amdhsa_user_sgpr_dispatch_ptr 0
		.amdhsa_user_sgpr_queue_ptr 0
		.amdhsa_user_sgpr_kernarg_segment_ptr 1
		.amdhsa_user_sgpr_dispatch_id 0
		.amdhsa_user_sgpr_flat_scratch_init 0
		.amdhsa_user_sgpr_private_segment_size 0
		.amdhsa_uses_dynamic_stack 0
		.amdhsa_system_sgpr_private_segment_wavefront_offset 0
		.amdhsa_system_sgpr_workgroup_id_x 1
		.amdhsa_system_sgpr_workgroup_id_y 0
		.amdhsa_system_sgpr_workgroup_id_z 0
		.amdhsa_system_sgpr_workgroup_info 0
		.amdhsa_system_vgpr_workitem_id 0
		.amdhsa_next_free_vgpr 16
		.amdhsa_next_free_sgpr 8
		.amdhsa_reserve_vcc 1
		.amdhsa_reserve_flat_scratch 0
		.amdhsa_float_round_mode_32 0
		.amdhsa_float_round_mode_16_64 0
		.amdhsa_float_denorm_mode_32 3
		.amdhsa_float_denorm_mode_16_64 3
		.amdhsa_dx10_clamp 1
		.amdhsa_ieee_mode 1
		.amdhsa_fp16_overflow 0
		.amdhsa_exception_fp_ieee_invalid_op 0
		.amdhsa_exception_fp_denorm_src 0
		.amdhsa_exception_fp_ieee_div_zero 0
		.amdhsa_exception_fp_ieee_overflow 0
		.amdhsa_exception_fp_ieee_underflow 0
		.amdhsa_exception_fp_ieee_inexact 0
		.amdhsa_exception_int_div_zero 0
	.end_amdhsa_kernel
	.section	.text._ZN7rocprim17ROCPRIM_400000_NS6detail17trampoline_kernelINS0_14default_configENS1_38merge_sort_block_merge_config_selectorIalEEZZNS1_27merge_sort_block_merge_implIS3_PaN6thrust23THRUST_200600_302600_NS10device_ptrIlEEjNS1_19radix_merge_compareILb0ELb0EaNS0_19identity_decomposerEEEEE10hipError_tT0_T1_T2_jT3_P12ihipStream_tbPNSt15iterator_traitsISG_E10value_typeEPNSM_ISH_E10value_typeEPSI_NS1_7vsmem_tEENKUlT_SG_SH_SI_E_clIS7_S7_PlSB_EESF_SV_SG_SH_SI_EUlSV_E_NS1_11comp_targetILNS1_3genE2ELNS1_11target_archE906ELNS1_3gpuE6ELNS1_3repE0EEENS1_48merge_mergepath_partition_config_static_selectorELNS0_4arch9wavefront6targetE1EEEvSH_,"axG",@progbits,_ZN7rocprim17ROCPRIM_400000_NS6detail17trampoline_kernelINS0_14default_configENS1_38merge_sort_block_merge_config_selectorIalEEZZNS1_27merge_sort_block_merge_implIS3_PaN6thrust23THRUST_200600_302600_NS10device_ptrIlEEjNS1_19radix_merge_compareILb0ELb0EaNS0_19identity_decomposerEEEEE10hipError_tT0_T1_T2_jT3_P12ihipStream_tbPNSt15iterator_traitsISG_E10value_typeEPNSM_ISH_E10value_typeEPSI_NS1_7vsmem_tEENKUlT_SG_SH_SI_E_clIS7_S7_PlSB_EESF_SV_SG_SH_SI_EUlSV_E_NS1_11comp_targetILNS1_3genE2ELNS1_11target_archE906ELNS1_3gpuE6ELNS1_3repE0EEENS1_48merge_mergepath_partition_config_static_selectorELNS0_4arch9wavefront6targetE1EEEvSH_,comdat
.Lfunc_end483:
	.size	_ZN7rocprim17ROCPRIM_400000_NS6detail17trampoline_kernelINS0_14default_configENS1_38merge_sort_block_merge_config_selectorIalEEZZNS1_27merge_sort_block_merge_implIS3_PaN6thrust23THRUST_200600_302600_NS10device_ptrIlEEjNS1_19radix_merge_compareILb0ELb0EaNS0_19identity_decomposerEEEEE10hipError_tT0_T1_T2_jT3_P12ihipStream_tbPNSt15iterator_traitsISG_E10value_typeEPNSM_ISH_E10value_typeEPSI_NS1_7vsmem_tEENKUlT_SG_SH_SI_E_clIS7_S7_PlSB_EESF_SV_SG_SH_SI_EUlSV_E_NS1_11comp_targetILNS1_3genE2ELNS1_11target_archE906ELNS1_3gpuE6ELNS1_3repE0EEENS1_48merge_mergepath_partition_config_static_selectorELNS0_4arch9wavefront6targetE1EEEvSH_, .Lfunc_end483-_ZN7rocprim17ROCPRIM_400000_NS6detail17trampoline_kernelINS0_14default_configENS1_38merge_sort_block_merge_config_selectorIalEEZZNS1_27merge_sort_block_merge_implIS3_PaN6thrust23THRUST_200600_302600_NS10device_ptrIlEEjNS1_19radix_merge_compareILb0ELb0EaNS0_19identity_decomposerEEEEE10hipError_tT0_T1_T2_jT3_P12ihipStream_tbPNSt15iterator_traitsISG_E10value_typeEPNSM_ISH_E10value_typeEPSI_NS1_7vsmem_tEENKUlT_SG_SH_SI_E_clIS7_S7_PlSB_EESF_SV_SG_SH_SI_EUlSV_E_NS1_11comp_targetILNS1_3genE2ELNS1_11target_archE906ELNS1_3gpuE6ELNS1_3repE0EEENS1_48merge_mergepath_partition_config_static_selectorELNS0_4arch9wavefront6targetE1EEEvSH_
                                        ; -- End function
	.set _ZN7rocprim17ROCPRIM_400000_NS6detail17trampoline_kernelINS0_14default_configENS1_38merge_sort_block_merge_config_selectorIalEEZZNS1_27merge_sort_block_merge_implIS3_PaN6thrust23THRUST_200600_302600_NS10device_ptrIlEEjNS1_19radix_merge_compareILb0ELb0EaNS0_19identity_decomposerEEEEE10hipError_tT0_T1_T2_jT3_P12ihipStream_tbPNSt15iterator_traitsISG_E10value_typeEPNSM_ISH_E10value_typeEPSI_NS1_7vsmem_tEENKUlT_SG_SH_SI_E_clIS7_S7_PlSB_EESF_SV_SG_SH_SI_EUlSV_E_NS1_11comp_targetILNS1_3genE2ELNS1_11target_archE906ELNS1_3gpuE6ELNS1_3repE0EEENS1_48merge_mergepath_partition_config_static_selectorELNS0_4arch9wavefront6targetE1EEEvSH_.num_vgpr, 16
	.set _ZN7rocprim17ROCPRIM_400000_NS6detail17trampoline_kernelINS0_14default_configENS1_38merge_sort_block_merge_config_selectorIalEEZZNS1_27merge_sort_block_merge_implIS3_PaN6thrust23THRUST_200600_302600_NS10device_ptrIlEEjNS1_19radix_merge_compareILb0ELb0EaNS0_19identity_decomposerEEEEE10hipError_tT0_T1_T2_jT3_P12ihipStream_tbPNSt15iterator_traitsISG_E10value_typeEPNSM_ISH_E10value_typeEPSI_NS1_7vsmem_tEENKUlT_SG_SH_SI_E_clIS7_S7_PlSB_EESF_SV_SG_SH_SI_EUlSV_E_NS1_11comp_targetILNS1_3genE2ELNS1_11target_archE906ELNS1_3gpuE6ELNS1_3repE0EEENS1_48merge_mergepath_partition_config_static_selectorELNS0_4arch9wavefront6targetE1EEEvSH_.num_agpr, 0
	.set _ZN7rocprim17ROCPRIM_400000_NS6detail17trampoline_kernelINS0_14default_configENS1_38merge_sort_block_merge_config_selectorIalEEZZNS1_27merge_sort_block_merge_implIS3_PaN6thrust23THRUST_200600_302600_NS10device_ptrIlEEjNS1_19radix_merge_compareILb0ELb0EaNS0_19identity_decomposerEEEEE10hipError_tT0_T1_T2_jT3_P12ihipStream_tbPNSt15iterator_traitsISG_E10value_typeEPNSM_ISH_E10value_typeEPSI_NS1_7vsmem_tEENKUlT_SG_SH_SI_E_clIS7_S7_PlSB_EESF_SV_SG_SH_SI_EUlSV_E_NS1_11comp_targetILNS1_3genE2ELNS1_11target_archE906ELNS1_3gpuE6ELNS1_3repE0EEENS1_48merge_mergepath_partition_config_static_selectorELNS0_4arch9wavefront6targetE1EEEvSH_.numbered_sgpr, 8
	.set _ZN7rocprim17ROCPRIM_400000_NS6detail17trampoline_kernelINS0_14default_configENS1_38merge_sort_block_merge_config_selectorIalEEZZNS1_27merge_sort_block_merge_implIS3_PaN6thrust23THRUST_200600_302600_NS10device_ptrIlEEjNS1_19radix_merge_compareILb0ELb0EaNS0_19identity_decomposerEEEEE10hipError_tT0_T1_T2_jT3_P12ihipStream_tbPNSt15iterator_traitsISG_E10value_typeEPNSM_ISH_E10value_typeEPSI_NS1_7vsmem_tEENKUlT_SG_SH_SI_E_clIS7_S7_PlSB_EESF_SV_SG_SH_SI_EUlSV_E_NS1_11comp_targetILNS1_3genE2ELNS1_11target_archE906ELNS1_3gpuE6ELNS1_3repE0EEENS1_48merge_mergepath_partition_config_static_selectorELNS0_4arch9wavefront6targetE1EEEvSH_.num_named_barrier, 0
	.set _ZN7rocprim17ROCPRIM_400000_NS6detail17trampoline_kernelINS0_14default_configENS1_38merge_sort_block_merge_config_selectorIalEEZZNS1_27merge_sort_block_merge_implIS3_PaN6thrust23THRUST_200600_302600_NS10device_ptrIlEEjNS1_19radix_merge_compareILb0ELb0EaNS0_19identity_decomposerEEEEE10hipError_tT0_T1_T2_jT3_P12ihipStream_tbPNSt15iterator_traitsISG_E10value_typeEPNSM_ISH_E10value_typeEPSI_NS1_7vsmem_tEENKUlT_SG_SH_SI_E_clIS7_S7_PlSB_EESF_SV_SG_SH_SI_EUlSV_E_NS1_11comp_targetILNS1_3genE2ELNS1_11target_archE906ELNS1_3gpuE6ELNS1_3repE0EEENS1_48merge_mergepath_partition_config_static_selectorELNS0_4arch9wavefront6targetE1EEEvSH_.private_seg_size, 0
	.set _ZN7rocprim17ROCPRIM_400000_NS6detail17trampoline_kernelINS0_14default_configENS1_38merge_sort_block_merge_config_selectorIalEEZZNS1_27merge_sort_block_merge_implIS3_PaN6thrust23THRUST_200600_302600_NS10device_ptrIlEEjNS1_19radix_merge_compareILb0ELb0EaNS0_19identity_decomposerEEEEE10hipError_tT0_T1_T2_jT3_P12ihipStream_tbPNSt15iterator_traitsISG_E10value_typeEPNSM_ISH_E10value_typeEPSI_NS1_7vsmem_tEENKUlT_SG_SH_SI_E_clIS7_S7_PlSB_EESF_SV_SG_SH_SI_EUlSV_E_NS1_11comp_targetILNS1_3genE2ELNS1_11target_archE906ELNS1_3gpuE6ELNS1_3repE0EEENS1_48merge_mergepath_partition_config_static_selectorELNS0_4arch9wavefront6targetE1EEEvSH_.uses_vcc, 1
	.set _ZN7rocprim17ROCPRIM_400000_NS6detail17trampoline_kernelINS0_14default_configENS1_38merge_sort_block_merge_config_selectorIalEEZZNS1_27merge_sort_block_merge_implIS3_PaN6thrust23THRUST_200600_302600_NS10device_ptrIlEEjNS1_19radix_merge_compareILb0ELb0EaNS0_19identity_decomposerEEEEE10hipError_tT0_T1_T2_jT3_P12ihipStream_tbPNSt15iterator_traitsISG_E10value_typeEPNSM_ISH_E10value_typeEPSI_NS1_7vsmem_tEENKUlT_SG_SH_SI_E_clIS7_S7_PlSB_EESF_SV_SG_SH_SI_EUlSV_E_NS1_11comp_targetILNS1_3genE2ELNS1_11target_archE906ELNS1_3gpuE6ELNS1_3repE0EEENS1_48merge_mergepath_partition_config_static_selectorELNS0_4arch9wavefront6targetE1EEEvSH_.uses_flat_scratch, 0
	.set _ZN7rocprim17ROCPRIM_400000_NS6detail17trampoline_kernelINS0_14default_configENS1_38merge_sort_block_merge_config_selectorIalEEZZNS1_27merge_sort_block_merge_implIS3_PaN6thrust23THRUST_200600_302600_NS10device_ptrIlEEjNS1_19radix_merge_compareILb0ELb0EaNS0_19identity_decomposerEEEEE10hipError_tT0_T1_T2_jT3_P12ihipStream_tbPNSt15iterator_traitsISG_E10value_typeEPNSM_ISH_E10value_typeEPSI_NS1_7vsmem_tEENKUlT_SG_SH_SI_E_clIS7_S7_PlSB_EESF_SV_SG_SH_SI_EUlSV_E_NS1_11comp_targetILNS1_3genE2ELNS1_11target_archE906ELNS1_3gpuE6ELNS1_3repE0EEENS1_48merge_mergepath_partition_config_static_selectorELNS0_4arch9wavefront6targetE1EEEvSH_.has_dyn_sized_stack, 0
	.set _ZN7rocprim17ROCPRIM_400000_NS6detail17trampoline_kernelINS0_14default_configENS1_38merge_sort_block_merge_config_selectorIalEEZZNS1_27merge_sort_block_merge_implIS3_PaN6thrust23THRUST_200600_302600_NS10device_ptrIlEEjNS1_19radix_merge_compareILb0ELb0EaNS0_19identity_decomposerEEEEE10hipError_tT0_T1_T2_jT3_P12ihipStream_tbPNSt15iterator_traitsISG_E10value_typeEPNSM_ISH_E10value_typeEPSI_NS1_7vsmem_tEENKUlT_SG_SH_SI_E_clIS7_S7_PlSB_EESF_SV_SG_SH_SI_EUlSV_E_NS1_11comp_targetILNS1_3genE2ELNS1_11target_archE906ELNS1_3gpuE6ELNS1_3repE0EEENS1_48merge_mergepath_partition_config_static_selectorELNS0_4arch9wavefront6targetE1EEEvSH_.has_recursion, 0
	.set _ZN7rocprim17ROCPRIM_400000_NS6detail17trampoline_kernelINS0_14default_configENS1_38merge_sort_block_merge_config_selectorIalEEZZNS1_27merge_sort_block_merge_implIS3_PaN6thrust23THRUST_200600_302600_NS10device_ptrIlEEjNS1_19radix_merge_compareILb0ELb0EaNS0_19identity_decomposerEEEEE10hipError_tT0_T1_T2_jT3_P12ihipStream_tbPNSt15iterator_traitsISG_E10value_typeEPNSM_ISH_E10value_typeEPSI_NS1_7vsmem_tEENKUlT_SG_SH_SI_E_clIS7_S7_PlSB_EESF_SV_SG_SH_SI_EUlSV_E_NS1_11comp_targetILNS1_3genE2ELNS1_11target_archE906ELNS1_3gpuE6ELNS1_3repE0EEENS1_48merge_mergepath_partition_config_static_selectorELNS0_4arch9wavefront6targetE1EEEvSH_.has_indirect_call, 0
	.section	.AMDGPU.csdata,"",@progbits
; Kernel info:
; codeLenInByte = 316
; TotalNumSgprs: 12
; NumVgprs: 16
; ScratchSize: 0
; MemoryBound: 0
; FloatMode: 240
; IeeeMode: 1
; LDSByteSize: 0 bytes/workgroup (compile time only)
; SGPRBlocks: 1
; VGPRBlocks: 3
; NumSGPRsForWavesPerEU: 12
; NumVGPRsForWavesPerEU: 16
; Occupancy: 10
; WaveLimiterHint : 0
; COMPUTE_PGM_RSRC2:SCRATCH_EN: 0
; COMPUTE_PGM_RSRC2:USER_SGPR: 6
; COMPUTE_PGM_RSRC2:TRAP_HANDLER: 0
; COMPUTE_PGM_RSRC2:TGID_X_EN: 1
; COMPUTE_PGM_RSRC2:TGID_Y_EN: 0
; COMPUTE_PGM_RSRC2:TGID_Z_EN: 0
; COMPUTE_PGM_RSRC2:TIDIG_COMP_CNT: 0
	.section	.text._ZN7rocprim17ROCPRIM_400000_NS6detail17trampoline_kernelINS0_14default_configENS1_38merge_sort_block_merge_config_selectorIalEEZZNS1_27merge_sort_block_merge_implIS3_PaN6thrust23THRUST_200600_302600_NS10device_ptrIlEEjNS1_19radix_merge_compareILb0ELb0EaNS0_19identity_decomposerEEEEE10hipError_tT0_T1_T2_jT3_P12ihipStream_tbPNSt15iterator_traitsISG_E10value_typeEPNSM_ISH_E10value_typeEPSI_NS1_7vsmem_tEENKUlT_SG_SH_SI_E_clIS7_S7_PlSB_EESF_SV_SG_SH_SI_EUlSV_E_NS1_11comp_targetILNS1_3genE9ELNS1_11target_archE1100ELNS1_3gpuE3ELNS1_3repE0EEENS1_48merge_mergepath_partition_config_static_selectorELNS0_4arch9wavefront6targetE1EEEvSH_,"axG",@progbits,_ZN7rocprim17ROCPRIM_400000_NS6detail17trampoline_kernelINS0_14default_configENS1_38merge_sort_block_merge_config_selectorIalEEZZNS1_27merge_sort_block_merge_implIS3_PaN6thrust23THRUST_200600_302600_NS10device_ptrIlEEjNS1_19radix_merge_compareILb0ELb0EaNS0_19identity_decomposerEEEEE10hipError_tT0_T1_T2_jT3_P12ihipStream_tbPNSt15iterator_traitsISG_E10value_typeEPNSM_ISH_E10value_typeEPSI_NS1_7vsmem_tEENKUlT_SG_SH_SI_E_clIS7_S7_PlSB_EESF_SV_SG_SH_SI_EUlSV_E_NS1_11comp_targetILNS1_3genE9ELNS1_11target_archE1100ELNS1_3gpuE3ELNS1_3repE0EEENS1_48merge_mergepath_partition_config_static_selectorELNS0_4arch9wavefront6targetE1EEEvSH_,comdat
	.protected	_ZN7rocprim17ROCPRIM_400000_NS6detail17trampoline_kernelINS0_14default_configENS1_38merge_sort_block_merge_config_selectorIalEEZZNS1_27merge_sort_block_merge_implIS3_PaN6thrust23THRUST_200600_302600_NS10device_ptrIlEEjNS1_19radix_merge_compareILb0ELb0EaNS0_19identity_decomposerEEEEE10hipError_tT0_T1_T2_jT3_P12ihipStream_tbPNSt15iterator_traitsISG_E10value_typeEPNSM_ISH_E10value_typeEPSI_NS1_7vsmem_tEENKUlT_SG_SH_SI_E_clIS7_S7_PlSB_EESF_SV_SG_SH_SI_EUlSV_E_NS1_11comp_targetILNS1_3genE9ELNS1_11target_archE1100ELNS1_3gpuE3ELNS1_3repE0EEENS1_48merge_mergepath_partition_config_static_selectorELNS0_4arch9wavefront6targetE1EEEvSH_ ; -- Begin function _ZN7rocprim17ROCPRIM_400000_NS6detail17trampoline_kernelINS0_14default_configENS1_38merge_sort_block_merge_config_selectorIalEEZZNS1_27merge_sort_block_merge_implIS3_PaN6thrust23THRUST_200600_302600_NS10device_ptrIlEEjNS1_19radix_merge_compareILb0ELb0EaNS0_19identity_decomposerEEEEE10hipError_tT0_T1_T2_jT3_P12ihipStream_tbPNSt15iterator_traitsISG_E10value_typeEPNSM_ISH_E10value_typeEPSI_NS1_7vsmem_tEENKUlT_SG_SH_SI_E_clIS7_S7_PlSB_EESF_SV_SG_SH_SI_EUlSV_E_NS1_11comp_targetILNS1_3genE9ELNS1_11target_archE1100ELNS1_3gpuE3ELNS1_3repE0EEENS1_48merge_mergepath_partition_config_static_selectorELNS0_4arch9wavefront6targetE1EEEvSH_
	.globl	_ZN7rocprim17ROCPRIM_400000_NS6detail17trampoline_kernelINS0_14default_configENS1_38merge_sort_block_merge_config_selectorIalEEZZNS1_27merge_sort_block_merge_implIS3_PaN6thrust23THRUST_200600_302600_NS10device_ptrIlEEjNS1_19radix_merge_compareILb0ELb0EaNS0_19identity_decomposerEEEEE10hipError_tT0_T1_T2_jT3_P12ihipStream_tbPNSt15iterator_traitsISG_E10value_typeEPNSM_ISH_E10value_typeEPSI_NS1_7vsmem_tEENKUlT_SG_SH_SI_E_clIS7_S7_PlSB_EESF_SV_SG_SH_SI_EUlSV_E_NS1_11comp_targetILNS1_3genE9ELNS1_11target_archE1100ELNS1_3gpuE3ELNS1_3repE0EEENS1_48merge_mergepath_partition_config_static_selectorELNS0_4arch9wavefront6targetE1EEEvSH_
	.p2align	8
	.type	_ZN7rocprim17ROCPRIM_400000_NS6detail17trampoline_kernelINS0_14default_configENS1_38merge_sort_block_merge_config_selectorIalEEZZNS1_27merge_sort_block_merge_implIS3_PaN6thrust23THRUST_200600_302600_NS10device_ptrIlEEjNS1_19radix_merge_compareILb0ELb0EaNS0_19identity_decomposerEEEEE10hipError_tT0_T1_T2_jT3_P12ihipStream_tbPNSt15iterator_traitsISG_E10value_typeEPNSM_ISH_E10value_typeEPSI_NS1_7vsmem_tEENKUlT_SG_SH_SI_E_clIS7_S7_PlSB_EESF_SV_SG_SH_SI_EUlSV_E_NS1_11comp_targetILNS1_3genE9ELNS1_11target_archE1100ELNS1_3gpuE3ELNS1_3repE0EEENS1_48merge_mergepath_partition_config_static_selectorELNS0_4arch9wavefront6targetE1EEEvSH_,@function
_ZN7rocprim17ROCPRIM_400000_NS6detail17trampoline_kernelINS0_14default_configENS1_38merge_sort_block_merge_config_selectorIalEEZZNS1_27merge_sort_block_merge_implIS3_PaN6thrust23THRUST_200600_302600_NS10device_ptrIlEEjNS1_19radix_merge_compareILb0ELb0EaNS0_19identity_decomposerEEEEE10hipError_tT0_T1_T2_jT3_P12ihipStream_tbPNSt15iterator_traitsISG_E10value_typeEPNSM_ISH_E10value_typeEPSI_NS1_7vsmem_tEENKUlT_SG_SH_SI_E_clIS7_S7_PlSB_EESF_SV_SG_SH_SI_EUlSV_E_NS1_11comp_targetILNS1_3genE9ELNS1_11target_archE1100ELNS1_3gpuE3ELNS1_3repE0EEENS1_48merge_mergepath_partition_config_static_selectorELNS0_4arch9wavefront6targetE1EEEvSH_: ; @_ZN7rocprim17ROCPRIM_400000_NS6detail17trampoline_kernelINS0_14default_configENS1_38merge_sort_block_merge_config_selectorIalEEZZNS1_27merge_sort_block_merge_implIS3_PaN6thrust23THRUST_200600_302600_NS10device_ptrIlEEjNS1_19radix_merge_compareILb0ELb0EaNS0_19identity_decomposerEEEEE10hipError_tT0_T1_T2_jT3_P12ihipStream_tbPNSt15iterator_traitsISG_E10value_typeEPNSM_ISH_E10value_typeEPSI_NS1_7vsmem_tEENKUlT_SG_SH_SI_E_clIS7_S7_PlSB_EESF_SV_SG_SH_SI_EUlSV_E_NS1_11comp_targetILNS1_3genE9ELNS1_11target_archE1100ELNS1_3gpuE3ELNS1_3repE0EEENS1_48merge_mergepath_partition_config_static_selectorELNS0_4arch9wavefront6targetE1EEEvSH_
; %bb.0:
	.section	.rodata,"a",@progbits
	.p2align	6, 0x0
	.amdhsa_kernel _ZN7rocprim17ROCPRIM_400000_NS6detail17trampoline_kernelINS0_14default_configENS1_38merge_sort_block_merge_config_selectorIalEEZZNS1_27merge_sort_block_merge_implIS3_PaN6thrust23THRUST_200600_302600_NS10device_ptrIlEEjNS1_19radix_merge_compareILb0ELb0EaNS0_19identity_decomposerEEEEE10hipError_tT0_T1_T2_jT3_P12ihipStream_tbPNSt15iterator_traitsISG_E10value_typeEPNSM_ISH_E10value_typeEPSI_NS1_7vsmem_tEENKUlT_SG_SH_SI_E_clIS7_S7_PlSB_EESF_SV_SG_SH_SI_EUlSV_E_NS1_11comp_targetILNS1_3genE9ELNS1_11target_archE1100ELNS1_3gpuE3ELNS1_3repE0EEENS1_48merge_mergepath_partition_config_static_selectorELNS0_4arch9wavefront6targetE1EEEvSH_
		.amdhsa_group_segment_fixed_size 0
		.amdhsa_private_segment_fixed_size 0
		.amdhsa_kernarg_size 40
		.amdhsa_user_sgpr_count 6
		.amdhsa_user_sgpr_private_segment_buffer 1
		.amdhsa_user_sgpr_dispatch_ptr 0
		.amdhsa_user_sgpr_queue_ptr 0
		.amdhsa_user_sgpr_kernarg_segment_ptr 1
		.amdhsa_user_sgpr_dispatch_id 0
		.amdhsa_user_sgpr_flat_scratch_init 0
		.amdhsa_user_sgpr_private_segment_size 0
		.amdhsa_uses_dynamic_stack 0
		.amdhsa_system_sgpr_private_segment_wavefront_offset 0
		.amdhsa_system_sgpr_workgroup_id_x 1
		.amdhsa_system_sgpr_workgroup_id_y 0
		.amdhsa_system_sgpr_workgroup_id_z 0
		.amdhsa_system_sgpr_workgroup_info 0
		.amdhsa_system_vgpr_workitem_id 0
		.amdhsa_next_free_vgpr 1
		.amdhsa_next_free_sgpr 0
		.amdhsa_reserve_vcc 0
		.amdhsa_reserve_flat_scratch 0
		.amdhsa_float_round_mode_32 0
		.amdhsa_float_round_mode_16_64 0
		.amdhsa_float_denorm_mode_32 3
		.amdhsa_float_denorm_mode_16_64 3
		.amdhsa_dx10_clamp 1
		.amdhsa_ieee_mode 1
		.amdhsa_fp16_overflow 0
		.amdhsa_exception_fp_ieee_invalid_op 0
		.amdhsa_exception_fp_denorm_src 0
		.amdhsa_exception_fp_ieee_div_zero 0
		.amdhsa_exception_fp_ieee_overflow 0
		.amdhsa_exception_fp_ieee_underflow 0
		.amdhsa_exception_fp_ieee_inexact 0
		.amdhsa_exception_int_div_zero 0
	.end_amdhsa_kernel
	.section	.text._ZN7rocprim17ROCPRIM_400000_NS6detail17trampoline_kernelINS0_14default_configENS1_38merge_sort_block_merge_config_selectorIalEEZZNS1_27merge_sort_block_merge_implIS3_PaN6thrust23THRUST_200600_302600_NS10device_ptrIlEEjNS1_19radix_merge_compareILb0ELb0EaNS0_19identity_decomposerEEEEE10hipError_tT0_T1_T2_jT3_P12ihipStream_tbPNSt15iterator_traitsISG_E10value_typeEPNSM_ISH_E10value_typeEPSI_NS1_7vsmem_tEENKUlT_SG_SH_SI_E_clIS7_S7_PlSB_EESF_SV_SG_SH_SI_EUlSV_E_NS1_11comp_targetILNS1_3genE9ELNS1_11target_archE1100ELNS1_3gpuE3ELNS1_3repE0EEENS1_48merge_mergepath_partition_config_static_selectorELNS0_4arch9wavefront6targetE1EEEvSH_,"axG",@progbits,_ZN7rocprim17ROCPRIM_400000_NS6detail17trampoline_kernelINS0_14default_configENS1_38merge_sort_block_merge_config_selectorIalEEZZNS1_27merge_sort_block_merge_implIS3_PaN6thrust23THRUST_200600_302600_NS10device_ptrIlEEjNS1_19radix_merge_compareILb0ELb0EaNS0_19identity_decomposerEEEEE10hipError_tT0_T1_T2_jT3_P12ihipStream_tbPNSt15iterator_traitsISG_E10value_typeEPNSM_ISH_E10value_typeEPSI_NS1_7vsmem_tEENKUlT_SG_SH_SI_E_clIS7_S7_PlSB_EESF_SV_SG_SH_SI_EUlSV_E_NS1_11comp_targetILNS1_3genE9ELNS1_11target_archE1100ELNS1_3gpuE3ELNS1_3repE0EEENS1_48merge_mergepath_partition_config_static_selectorELNS0_4arch9wavefront6targetE1EEEvSH_,comdat
.Lfunc_end484:
	.size	_ZN7rocprim17ROCPRIM_400000_NS6detail17trampoline_kernelINS0_14default_configENS1_38merge_sort_block_merge_config_selectorIalEEZZNS1_27merge_sort_block_merge_implIS3_PaN6thrust23THRUST_200600_302600_NS10device_ptrIlEEjNS1_19radix_merge_compareILb0ELb0EaNS0_19identity_decomposerEEEEE10hipError_tT0_T1_T2_jT3_P12ihipStream_tbPNSt15iterator_traitsISG_E10value_typeEPNSM_ISH_E10value_typeEPSI_NS1_7vsmem_tEENKUlT_SG_SH_SI_E_clIS7_S7_PlSB_EESF_SV_SG_SH_SI_EUlSV_E_NS1_11comp_targetILNS1_3genE9ELNS1_11target_archE1100ELNS1_3gpuE3ELNS1_3repE0EEENS1_48merge_mergepath_partition_config_static_selectorELNS0_4arch9wavefront6targetE1EEEvSH_, .Lfunc_end484-_ZN7rocprim17ROCPRIM_400000_NS6detail17trampoline_kernelINS0_14default_configENS1_38merge_sort_block_merge_config_selectorIalEEZZNS1_27merge_sort_block_merge_implIS3_PaN6thrust23THRUST_200600_302600_NS10device_ptrIlEEjNS1_19radix_merge_compareILb0ELb0EaNS0_19identity_decomposerEEEEE10hipError_tT0_T1_T2_jT3_P12ihipStream_tbPNSt15iterator_traitsISG_E10value_typeEPNSM_ISH_E10value_typeEPSI_NS1_7vsmem_tEENKUlT_SG_SH_SI_E_clIS7_S7_PlSB_EESF_SV_SG_SH_SI_EUlSV_E_NS1_11comp_targetILNS1_3genE9ELNS1_11target_archE1100ELNS1_3gpuE3ELNS1_3repE0EEENS1_48merge_mergepath_partition_config_static_selectorELNS0_4arch9wavefront6targetE1EEEvSH_
                                        ; -- End function
	.set _ZN7rocprim17ROCPRIM_400000_NS6detail17trampoline_kernelINS0_14default_configENS1_38merge_sort_block_merge_config_selectorIalEEZZNS1_27merge_sort_block_merge_implIS3_PaN6thrust23THRUST_200600_302600_NS10device_ptrIlEEjNS1_19radix_merge_compareILb0ELb0EaNS0_19identity_decomposerEEEEE10hipError_tT0_T1_T2_jT3_P12ihipStream_tbPNSt15iterator_traitsISG_E10value_typeEPNSM_ISH_E10value_typeEPSI_NS1_7vsmem_tEENKUlT_SG_SH_SI_E_clIS7_S7_PlSB_EESF_SV_SG_SH_SI_EUlSV_E_NS1_11comp_targetILNS1_3genE9ELNS1_11target_archE1100ELNS1_3gpuE3ELNS1_3repE0EEENS1_48merge_mergepath_partition_config_static_selectorELNS0_4arch9wavefront6targetE1EEEvSH_.num_vgpr, 0
	.set _ZN7rocprim17ROCPRIM_400000_NS6detail17trampoline_kernelINS0_14default_configENS1_38merge_sort_block_merge_config_selectorIalEEZZNS1_27merge_sort_block_merge_implIS3_PaN6thrust23THRUST_200600_302600_NS10device_ptrIlEEjNS1_19radix_merge_compareILb0ELb0EaNS0_19identity_decomposerEEEEE10hipError_tT0_T1_T2_jT3_P12ihipStream_tbPNSt15iterator_traitsISG_E10value_typeEPNSM_ISH_E10value_typeEPSI_NS1_7vsmem_tEENKUlT_SG_SH_SI_E_clIS7_S7_PlSB_EESF_SV_SG_SH_SI_EUlSV_E_NS1_11comp_targetILNS1_3genE9ELNS1_11target_archE1100ELNS1_3gpuE3ELNS1_3repE0EEENS1_48merge_mergepath_partition_config_static_selectorELNS0_4arch9wavefront6targetE1EEEvSH_.num_agpr, 0
	.set _ZN7rocprim17ROCPRIM_400000_NS6detail17trampoline_kernelINS0_14default_configENS1_38merge_sort_block_merge_config_selectorIalEEZZNS1_27merge_sort_block_merge_implIS3_PaN6thrust23THRUST_200600_302600_NS10device_ptrIlEEjNS1_19radix_merge_compareILb0ELb0EaNS0_19identity_decomposerEEEEE10hipError_tT0_T1_T2_jT3_P12ihipStream_tbPNSt15iterator_traitsISG_E10value_typeEPNSM_ISH_E10value_typeEPSI_NS1_7vsmem_tEENKUlT_SG_SH_SI_E_clIS7_S7_PlSB_EESF_SV_SG_SH_SI_EUlSV_E_NS1_11comp_targetILNS1_3genE9ELNS1_11target_archE1100ELNS1_3gpuE3ELNS1_3repE0EEENS1_48merge_mergepath_partition_config_static_selectorELNS0_4arch9wavefront6targetE1EEEvSH_.numbered_sgpr, 0
	.set _ZN7rocprim17ROCPRIM_400000_NS6detail17trampoline_kernelINS0_14default_configENS1_38merge_sort_block_merge_config_selectorIalEEZZNS1_27merge_sort_block_merge_implIS3_PaN6thrust23THRUST_200600_302600_NS10device_ptrIlEEjNS1_19radix_merge_compareILb0ELb0EaNS0_19identity_decomposerEEEEE10hipError_tT0_T1_T2_jT3_P12ihipStream_tbPNSt15iterator_traitsISG_E10value_typeEPNSM_ISH_E10value_typeEPSI_NS1_7vsmem_tEENKUlT_SG_SH_SI_E_clIS7_S7_PlSB_EESF_SV_SG_SH_SI_EUlSV_E_NS1_11comp_targetILNS1_3genE9ELNS1_11target_archE1100ELNS1_3gpuE3ELNS1_3repE0EEENS1_48merge_mergepath_partition_config_static_selectorELNS0_4arch9wavefront6targetE1EEEvSH_.num_named_barrier, 0
	.set _ZN7rocprim17ROCPRIM_400000_NS6detail17trampoline_kernelINS0_14default_configENS1_38merge_sort_block_merge_config_selectorIalEEZZNS1_27merge_sort_block_merge_implIS3_PaN6thrust23THRUST_200600_302600_NS10device_ptrIlEEjNS1_19radix_merge_compareILb0ELb0EaNS0_19identity_decomposerEEEEE10hipError_tT0_T1_T2_jT3_P12ihipStream_tbPNSt15iterator_traitsISG_E10value_typeEPNSM_ISH_E10value_typeEPSI_NS1_7vsmem_tEENKUlT_SG_SH_SI_E_clIS7_S7_PlSB_EESF_SV_SG_SH_SI_EUlSV_E_NS1_11comp_targetILNS1_3genE9ELNS1_11target_archE1100ELNS1_3gpuE3ELNS1_3repE0EEENS1_48merge_mergepath_partition_config_static_selectorELNS0_4arch9wavefront6targetE1EEEvSH_.private_seg_size, 0
	.set _ZN7rocprim17ROCPRIM_400000_NS6detail17trampoline_kernelINS0_14default_configENS1_38merge_sort_block_merge_config_selectorIalEEZZNS1_27merge_sort_block_merge_implIS3_PaN6thrust23THRUST_200600_302600_NS10device_ptrIlEEjNS1_19radix_merge_compareILb0ELb0EaNS0_19identity_decomposerEEEEE10hipError_tT0_T1_T2_jT3_P12ihipStream_tbPNSt15iterator_traitsISG_E10value_typeEPNSM_ISH_E10value_typeEPSI_NS1_7vsmem_tEENKUlT_SG_SH_SI_E_clIS7_S7_PlSB_EESF_SV_SG_SH_SI_EUlSV_E_NS1_11comp_targetILNS1_3genE9ELNS1_11target_archE1100ELNS1_3gpuE3ELNS1_3repE0EEENS1_48merge_mergepath_partition_config_static_selectorELNS0_4arch9wavefront6targetE1EEEvSH_.uses_vcc, 0
	.set _ZN7rocprim17ROCPRIM_400000_NS6detail17trampoline_kernelINS0_14default_configENS1_38merge_sort_block_merge_config_selectorIalEEZZNS1_27merge_sort_block_merge_implIS3_PaN6thrust23THRUST_200600_302600_NS10device_ptrIlEEjNS1_19radix_merge_compareILb0ELb0EaNS0_19identity_decomposerEEEEE10hipError_tT0_T1_T2_jT3_P12ihipStream_tbPNSt15iterator_traitsISG_E10value_typeEPNSM_ISH_E10value_typeEPSI_NS1_7vsmem_tEENKUlT_SG_SH_SI_E_clIS7_S7_PlSB_EESF_SV_SG_SH_SI_EUlSV_E_NS1_11comp_targetILNS1_3genE9ELNS1_11target_archE1100ELNS1_3gpuE3ELNS1_3repE0EEENS1_48merge_mergepath_partition_config_static_selectorELNS0_4arch9wavefront6targetE1EEEvSH_.uses_flat_scratch, 0
	.set _ZN7rocprim17ROCPRIM_400000_NS6detail17trampoline_kernelINS0_14default_configENS1_38merge_sort_block_merge_config_selectorIalEEZZNS1_27merge_sort_block_merge_implIS3_PaN6thrust23THRUST_200600_302600_NS10device_ptrIlEEjNS1_19radix_merge_compareILb0ELb0EaNS0_19identity_decomposerEEEEE10hipError_tT0_T1_T2_jT3_P12ihipStream_tbPNSt15iterator_traitsISG_E10value_typeEPNSM_ISH_E10value_typeEPSI_NS1_7vsmem_tEENKUlT_SG_SH_SI_E_clIS7_S7_PlSB_EESF_SV_SG_SH_SI_EUlSV_E_NS1_11comp_targetILNS1_3genE9ELNS1_11target_archE1100ELNS1_3gpuE3ELNS1_3repE0EEENS1_48merge_mergepath_partition_config_static_selectorELNS0_4arch9wavefront6targetE1EEEvSH_.has_dyn_sized_stack, 0
	.set _ZN7rocprim17ROCPRIM_400000_NS6detail17trampoline_kernelINS0_14default_configENS1_38merge_sort_block_merge_config_selectorIalEEZZNS1_27merge_sort_block_merge_implIS3_PaN6thrust23THRUST_200600_302600_NS10device_ptrIlEEjNS1_19radix_merge_compareILb0ELb0EaNS0_19identity_decomposerEEEEE10hipError_tT0_T1_T2_jT3_P12ihipStream_tbPNSt15iterator_traitsISG_E10value_typeEPNSM_ISH_E10value_typeEPSI_NS1_7vsmem_tEENKUlT_SG_SH_SI_E_clIS7_S7_PlSB_EESF_SV_SG_SH_SI_EUlSV_E_NS1_11comp_targetILNS1_3genE9ELNS1_11target_archE1100ELNS1_3gpuE3ELNS1_3repE0EEENS1_48merge_mergepath_partition_config_static_selectorELNS0_4arch9wavefront6targetE1EEEvSH_.has_recursion, 0
	.set _ZN7rocprim17ROCPRIM_400000_NS6detail17trampoline_kernelINS0_14default_configENS1_38merge_sort_block_merge_config_selectorIalEEZZNS1_27merge_sort_block_merge_implIS3_PaN6thrust23THRUST_200600_302600_NS10device_ptrIlEEjNS1_19radix_merge_compareILb0ELb0EaNS0_19identity_decomposerEEEEE10hipError_tT0_T1_T2_jT3_P12ihipStream_tbPNSt15iterator_traitsISG_E10value_typeEPNSM_ISH_E10value_typeEPSI_NS1_7vsmem_tEENKUlT_SG_SH_SI_E_clIS7_S7_PlSB_EESF_SV_SG_SH_SI_EUlSV_E_NS1_11comp_targetILNS1_3genE9ELNS1_11target_archE1100ELNS1_3gpuE3ELNS1_3repE0EEENS1_48merge_mergepath_partition_config_static_selectorELNS0_4arch9wavefront6targetE1EEEvSH_.has_indirect_call, 0
	.section	.AMDGPU.csdata,"",@progbits
; Kernel info:
; codeLenInByte = 0
; TotalNumSgprs: 4
; NumVgprs: 0
; ScratchSize: 0
; MemoryBound: 0
; FloatMode: 240
; IeeeMode: 1
; LDSByteSize: 0 bytes/workgroup (compile time only)
; SGPRBlocks: 0
; VGPRBlocks: 0
; NumSGPRsForWavesPerEU: 4
; NumVGPRsForWavesPerEU: 1
; Occupancy: 10
; WaveLimiterHint : 0
; COMPUTE_PGM_RSRC2:SCRATCH_EN: 0
; COMPUTE_PGM_RSRC2:USER_SGPR: 6
; COMPUTE_PGM_RSRC2:TRAP_HANDLER: 0
; COMPUTE_PGM_RSRC2:TGID_X_EN: 1
; COMPUTE_PGM_RSRC2:TGID_Y_EN: 0
; COMPUTE_PGM_RSRC2:TGID_Z_EN: 0
; COMPUTE_PGM_RSRC2:TIDIG_COMP_CNT: 0
	.section	.text._ZN7rocprim17ROCPRIM_400000_NS6detail17trampoline_kernelINS0_14default_configENS1_38merge_sort_block_merge_config_selectorIalEEZZNS1_27merge_sort_block_merge_implIS3_PaN6thrust23THRUST_200600_302600_NS10device_ptrIlEEjNS1_19radix_merge_compareILb0ELb0EaNS0_19identity_decomposerEEEEE10hipError_tT0_T1_T2_jT3_P12ihipStream_tbPNSt15iterator_traitsISG_E10value_typeEPNSM_ISH_E10value_typeEPSI_NS1_7vsmem_tEENKUlT_SG_SH_SI_E_clIS7_S7_PlSB_EESF_SV_SG_SH_SI_EUlSV_E_NS1_11comp_targetILNS1_3genE8ELNS1_11target_archE1030ELNS1_3gpuE2ELNS1_3repE0EEENS1_48merge_mergepath_partition_config_static_selectorELNS0_4arch9wavefront6targetE1EEEvSH_,"axG",@progbits,_ZN7rocprim17ROCPRIM_400000_NS6detail17trampoline_kernelINS0_14default_configENS1_38merge_sort_block_merge_config_selectorIalEEZZNS1_27merge_sort_block_merge_implIS3_PaN6thrust23THRUST_200600_302600_NS10device_ptrIlEEjNS1_19radix_merge_compareILb0ELb0EaNS0_19identity_decomposerEEEEE10hipError_tT0_T1_T2_jT3_P12ihipStream_tbPNSt15iterator_traitsISG_E10value_typeEPNSM_ISH_E10value_typeEPSI_NS1_7vsmem_tEENKUlT_SG_SH_SI_E_clIS7_S7_PlSB_EESF_SV_SG_SH_SI_EUlSV_E_NS1_11comp_targetILNS1_3genE8ELNS1_11target_archE1030ELNS1_3gpuE2ELNS1_3repE0EEENS1_48merge_mergepath_partition_config_static_selectorELNS0_4arch9wavefront6targetE1EEEvSH_,comdat
	.protected	_ZN7rocprim17ROCPRIM_400000_NS6detail17trampoline_kernelINS0_14default_configENS1_38merge_sort_block_merge_config_selectorIalEEZZNS1_27merge_sort_block_merge_implIS3_PaN6thrust23THRUST_200600_302600_NS10device_ptrIlEEjNS1_19radix_merge_compareILb0ELb0EaNS0_19identity_decomposerEEEEE10hipError_tT0_T1_T2_jT3_P12ihipStream_tbPNSt15iterator_traitsISG_E10value_typeEPNSM_ISH_E10value_typeEPSI_NS1_7vsmem_tEENKUlT_SG_SH_SI_E_clIS7_S7_PlSB_EESF_SV_SG_SH_SI_EUlSV_E_NS1_11comp_targetILNS1_3genE8ELNS1_11target_archE1030ELNS1_3gpuE2ELNS1_3repE0EEENS1_48merge_mergepath_partition_config_static_selectorELNS0_4arch9wavefront6targetE1EEEvSH_ ; -- Begin function _ZN7rocprim17ROCPRIM_400000_NS6detail17trampoline_kernelINS0_14default_configENS1_38merge_sort_block_merge_config_selectorIalEEZZNS1_27merge_sort_block_merge_implIS3_PaN6thrust23THRUST_200600_302600_NS10device_ptrIlEEjNS1_19radix_merge_compareILb0ELb0EaNS0_19identity_decomposerEEEEE10hipError_tT0_T1_T2_jT3_P12ihipStream_tbPNSt15iterator_traitsISG_E10value_typeEPNSM_ISH_E10value_typeEPSI_NS1_7vsmem_tEENKUlT_SG_SH_SI_E_clIS7_S7_PlSB_EESF_SV_SG_SH_SI_EUlSV_E_NS1_11comp_targetILNS1_3genE8ELNS1_11target_archE1030ELNS1_3gpuE2ELNS1_3repE0EEENS1_48merge_mergepath_partition_config_static_selectorELNS0_4arch9wavefront6targetE1EEEvSH_
	.globl	_ZN7rocprim17ROCPRIM_400000_NS6detail17trampoline_kernelINS0_14default_configENS1_38merge_sort_block_merge_config_selectorIalEEZZNS1_27merge_sort_block_merge_implIS3_PaN6thrust23THRUST_200600_302600_NS10device_ptrIlEEjNS1_19radix_merge_compareILb0ELb0EaNS0_19identity_decomposerEEEEE10hipError_tT0_T1_T2_jT3_P12ihipStream_tbPNSt15iterator_traitsISG_E10value_typeEPNSM_ISH_E10value_typeEPSI_NS1_7vsmem_tEENKUlT_SG_SH_SI_E_clIS7_S7_PlSB_EESF_SV_SG_SH_SI_EUlSV_E_NS1_11comp_targetILNS1_3genE8ELNS1_11target_archE1030ELNS1_3gpuE2ELNS1_3repE0EEENS1_48merge_mergepath_partition_config_static_selectorELNS0_4arch9wavefront6targetE1EEEvSH_
	.p2align	8
	.type	_ZN7rocprim17ROCPRIM_400000_NS6detail17trampoline_kernelINS0_14default_configENS1_38merge_sort_block_merge_config_selectorIalEEZZNS1_27merge_sort_block_merge_implIS3_PaN6thrust23THRUST_200600_302600_NS10device_ptrIlEEjNS1_19radix_merge_compareILb0ELb0EaNS0_19identity_decomposerEEEEE10hipError_tT0_T1_T2_jT3_P12ihipStream_tbPNSt15iterator_traitsISG_E10value_typeEPNSM_ISH_E10value_typeEPSI_NS1_7vsmem_tEENKUlT_SG_SH_SI_E_clIS7_S7_PlSB_EESF_SV_SG_SH_SI_EUlSV_E_NS1_11comp_targetILNS1_3genE8ELNS1_11target_archE1030ELNS1_3gpuE2ELNS1_3repE0EEENS1_48merge_mergepath_partition_config_static_selectorELNS0_4arch9wavefront6targetE1EEEvSH_,@function
_ZN7rocprim17ROCPRIM_400000_NS6detail17trampoline_kernelINS0_14default_configENS1_38merge_sort_block_merge_config_selectorIalEEZZNS1_27merge_sort_block_merge_implIS3_PaN6thrust23THRUST_200600_302600_NS10device_ptrIlEEjNS1_19radix_merge_compareILb0ELb0EaNS0_19identity_decomposerEEEEE10hipError_tT0_T1_T2_jT3_P12ihipStream_tbPNSt15iterator_traitsISG_E10value_typeEPNSM_ISH_E10value_typeEPSI_NS1_7vsmem_tEENKUlT_SG_SH_SI_E_clIS7_S7_PlSB_EESF_SV_SG_SH_SI_EUlSV_E_NS1_11comp_targetILNS1_3genE8ELNS1_11target_archE1030ELNS1_3gpuE2ELNS1_3repE0EEENS1_48merge_mergepath_partition_config_static_selectorELNS0_4arch9wavefront6targetE1EEEvSH_: ; @_ZN7rocprim17ROCPRIM_400000_NS6detail17trampoline_kernelINS0_14default_configENS1_38merge_sort_block_merge_config_selectorIalEEZZNS1_27merge_sort_block_merge_implIS3_PaN6thrust23THRUST_200600_302600_NS10device_ptrIlEEjNS1_19radix_merge_compareILb0ELb0EaNS0_19identity_decomposerEEEEE10hipError_tT0_T1_T2_jT3_P12ihipStream_tbPNSt15iterator_traitsISG_E10value_typeEPNSM_ISH_E10value_typeEPSI_NS1_7vsmem_tEENKUlT_SG_SH_SI_E_clIS7_S7_PlSB_EESF_SV_SG_SH_SI_EUlSV_E_NS1_11comp_targetILNS1_3genE8ELNS1_11target_archE1030ELNS1_3gpuE2ELNS1_3repE0EEENS1_48merge_mergepath_partition_config_static_selectorELNS0_4arch9wavefront6targetE1EEEvSH_
; %bb.0:
	.section	.rodata,"a",@progbits
	.p2align	6, 0x0
	.amdhsa_kernel _ZN7rocprim17ROCPRIM_400000_NS6detail17trampoline_kernelINS0_14default_configENS1_38merge_sort_block_merge_config_selectorIalEEZZNS1_27merge_sort_block_merge_implIS3_PaN6thrust23THRUST_200600_302600_NS10device_ptrIlEEjNS1_19radix_merge_compareILb0ELb0EaNS0_19identity_decomposerEEEEE10hipError_tT0_T1_T2_jT3_P12ihipStream_tbPNSt15iterator_traitsISG_E10value_typeEPNSM_ISH_E10value_typeEPSI_NS1_7vsmem_tEENKUlT_SG_SH_SI_E_clIS7_S7_PlSB_EESF_SV_SG_SH_SI_EUlSV_E_NS1_11comp_targetILNS1_3genE8ELNS1_11target_archE1030ELNS1_3gpuE2ELNS1_3repE0EEENS1_48merge_mergepath_partition_config_static_selectorELNS0_4arch9wavefront6targetE1EEEvSH_
		.amdhsa_group_segment_fixed_size 0
		.amdhsa_private_segment_fixed_size 0
		.amdhsa_kernarg_size 40
		.amdhsa_user_sgpr_count 6
		.amdhsa_user_sgpr_private_segment_buffer 1
		.amdhsa_user_sgpr_dispatch_ptr 0
		.amdhsa_user_sgpr_queue_ptr 0
		.amdhsa_user_sgpr_kernarg_segment_ptr 1
		.amdhsa_user_sgpr_dispatch_id 0
		.amdhsa_user_sgpr_flat_scratch_init 0
		.amdhsa_user_sgpr_private_segment_size 0
		.amdhsa_uses_dynamic_stack 0
		.amdhsa_system_sgpr_private_segment_wavefront_offset 0
		.amdhsa_system_sgpr_workgroup_id_x 1
		.amdhsa_system_sgpr_workgroup_id_y 0
		.amdhsa_system_sgpr_workgroup_id_z 0
		.amdhsa_system_sgpr_workgroup_info 0
		.amdhsa_system_vgpr_workitem_id 0
		.amdhsa_next_free_vgpr 1
		.amdhsa_next_free_sgpr 0
		.amdhsa_reserve_vcc 0
		.amdhsa_reserve_flat_scratch 0
		.amdhsa_float_round_mode_32 0
		.amdhsa_float_round_mode_16_64 0
		.amdhsa_float_denorm_mode_32 3
		.amdhsa_float_denorm_mode_16_64 3
		.amdhsa_dx10_clamp 1
		.amdhsa_ieee_mode 1
		.amdhsa_fp16_overflow 0
		.amdhsa_exception_fp_ieee_invalid_op 0
		.amdhsa_exception_fp_denorm_src 0
		.amdhsa_exception_fp_ieee_div_zero 0
		.amdhsa_exception_fp_ieee_overflow 0
		.amdhsa_exception_fp_ieee_underflow 0
		.amdhsa_exception_fp_ieee_inexact 0
		.amdhsa_exception_int_div_zero 0
	.end_amdhsa_kernel
	.section	.text._ZN7rocprim17ROCPRIM_400000_NS6detail17trampoline_kernelINS0_14default_configENS1_38merge_sort_block_merge_config_selectorIalEEZZNS1_27merge_sort_block_merge_implIS3_PaN6thrust23THRUST_200600_302600_NS10device_ptrIlEEjNS1_19radix_merge_compareILb0ELb0EaNS0_19identity_decomposerEEEEE10hipError_tT0_T1_T2_jT3_P12ihipStream_tbPNSt15iterator_traitsISG_E10value_typeEPNSM_ISH_E10value_typeEPSI_NS1_7vsmem_tEENKUlT_SG_SH_SI_E_clIS7_S7_PlSB_EESF_SV_SG_SH_SI_EUlSV_E_NS1_11comp_targetILNS1_3genE8ELNS1_11target_archE1030ELNS1_3gpuE2ELNS1_3repE0EEENS1_48merge_mergepath_partition_config_static_selectorELNS0_4arch9wavefront6targetE1EEEvSH_,"axG",@progbits,_ZN7rocprim17ROCPRIM_400000_NS6detail17trampoline_kernelINS0_14default_configENS1_38merge_sort_block_merge_config_selectorIalEEZZNS1_27merge_sort_block_merge_implIS3_PaN6thrust23THRUST_200600_302600_NS10device_ptrIlEEjNS1_19radix_merge_compareILb0ELb0EaNS0_19identity_decomposerEEEEE10hipError_tT0_T1_T2_jT3_P12ihipStream_tbPNSt15iterator_traitsISG_E10value_typeEPNSM_ISH_E10value_typeEPSI_NS1_7vsmem_tEENKUlT_SG_SH_SI_E_clIS7_S7_PlSB_EESF_SV_SG_SH_SI_EUlSV_E_NS1_11comp_targetILNS1_3genE8ELNS1_11target_archE1030ELNS1_3gpuE2ELNS1_3repE0EEENS1_48merge_mergepath_partition_config_static_selectorELNS0_4arch9wavefront6targetE1EEEvSH_,comdat
.Lfunc_end485:
	.size	_ZN7rocprim17ROCPRIM_400000_NS6detail17trampoline_kernelINS0_14default_configENS1_38merge_sort_block_merge_config_selectorIalEEZZNS1_27merge_sort_block_merge_implIS3_PaN6thrust23THRUST_200600_302600_NS10device_ptrIlEEjNS1_19radix_merge_compareILb0ELb0EaNS0_19identity_decomposerEEEEE10hipError_tT0_T1_T2_jT3_P12ihipStream_tbPNSt15iterator_traitsISG_E10value_typeEPNSM_ISH_E10value_typeEPSI_NS1_7vsmem_tEENKUlT_SG_SH_SI_E_clIS7_S7_PlSB_EESF_SV_SG_SH_SI_EUlSV_E_NS1_11comp_targetILNS1_3genE8ELNS1_11target_archE1030ELNS1_3gpuE2ELNS1_3repE0EEENS1_48merge_mergepath_partition_config_static_selectorELNS0_4arch9wavefront6targetE1EEEvSH_, .Lfunc_end485-_ZN7rocprim17ROCPRIM_400000_NS6detail17trampoline_kernelINS0_14default_configENS1_38merge_sort_block_merge_config_selectorIalEEZZNS1_27merge_sort_block_merge_implIS3_PaN6thrust23THRUST_200600_302600_NS10device_ptrIlEEjNS1_19radix_merge_compareILb0ELb0EaNS0_19identity_decomposerEEEEE10hipError_tT0_T1_T2_jT3_P12ihipStream_tbPNSt15iterator_traitsISG_E10value_typeEPNSM_ISH_E10value_typeEPSI_NS1_7vsmem_tEENKUlT_SG_SH_SI_E_clIS7_S7_PlSB_EESF_SV_SG_SH_SI_EUlSV_E_NS1_11comp_targetILNS1_3genE8ELNS1_11target_archE1030ELNS1_3gpuE2ELNS1_3repE0EEENS1_48merge_mergepath_partition_config_static_selectorELNS0_4arch9wavefront6targetE1EEEvSH_
                                        ; -- End function
	.set _ZN7rocprim17ROCPRIM_400000_NS6detail17trampoline_kernelINS0_14default_configENS1_38merge_sort_block_merge_config_selectorIalEEZZNS1_27merge_sort_block_merge_implIS3_PaN6thrust23THRUST_200600_302600_NS10device_ptrIlEEjNS1_19radix_merge_compareILb0ELb0EaNS0_19identity_decomposerEEEEE10hipError_tT0_T1_T2_jT3_P12ihipStream_tbPNSt15iterator_traitsISG_E10value_typeEPNSM_ISH_E10value_typeEPSI_NS1_7vsmem_tEENKUlT_SG_SH_SI_E_clIS7_S7_PlSB_EESF_SV_SG_SH_SI_EUlSV_E_NS1_11comp_targetILNS1_3genE8ELNS1_11target_archE1030ELNS1_3gpuE2ELNS1_3repE0EEENS1_48merge_mergepath_partition_config_static_selectorELNS0_4arch9wavefront6targetE1EEEvSH_.num_vgpr, 0
	.set _ZN7rocprim17ROCPRIM_400000_NS6detail17trampoline_kernelINS0_14default_configENS1_38merge_sort_block_merge_config_selectorIalEEZZNS1_27merge_sort_block_merge_implIS3_PaN6thrust23THRUST_200600_302600_NS10device_ptrIlEEjNS1_19radix_merge_compareILb0ELb0EaNS0_19identity_decomposerEEEEE10hipError_tT0_T1_T2_jT3_P12ihipStream_tbPNSt15iterator_traitsISG_E10value_typeEPNSM_ISH_E10value_typeEPSI_NS1_7vsmem_tEENKUlT_SG_SH_SI_E_clIS7_S7_PlSB_EESF_SV_SG_SH_SI_EUlSV_E_NS1_11comp_targetILNS1_3genE8ELNS1_11target_archE1030ELNS1_3gpuE2ELNS1_3repE0EEENS1_48merge_mergepath_partition_config_static_selectorELNS0_4arch9wavefront6targetE1EEEvSH_.num_agpr, 0
	.set _ZN7rocprim17ROCPRIM_400000_NS6detail17trampoline_kernelINS0_14default_configENS1_38merge_sort_block_merge_config_selectorIalEEZZNS1_27merge_sort_block_merge_implIS3_PaN6thrust23THRUST_200600_302600_NS10device_ptrIlEEjNS1_19radix_merge_compareILb0ELb0EaNS0_19identity_decomposerEEEEE10hipError_tT0_T1_T2_jT3_P12ihipStream_tbPNSt15iterator_traitsISG_E10value_typeEPNSM_ISH_E10value_typeEPSI_NS1_7vsmem_tEENKUlT_SG_SH_SI_E_clIS7_S7_PlSB_EESF_SV_SG_SH_SI_EUlSV_E_NS1_11comp_targetILNS1_3genE8ELNS1_11target_archE1030ELNS1_3gpuE2ELNS1_3repE0EEENS1_48merge_mergepath_partition_config_static_selectorELNS0_4arch9wavefront6targetE1EEEvSH_.numbered_sgpr, 0
	.set _ZN7rocprim17ROCPRIM_400000_NS6detail17trampoline_kernelINS0_14default_configENS1_38merge_sort_block_merge_config_selectorIalEEZZNS1_27merge_sort_block_merge_implIS3_PaN6thrust23THRUST_200600_302600_NS10device_ptrIlEEjNS1_19radix_merge_compareILb0ELb0EaNS0_19identity_decomposerEEEEE10hipError_tT0_T1_T2_jT3_P12ihipStream_tbPNSt15iterator_traitsISG_E10value_typeEPNSM_ISH_E10value_typeEPSI_NS1_7vsmem_tEENKUlT_SG_SH_SI_E_clIS7_S7_PlSB_EESF_SV_SG_SH_SI_EUlSV_E_NS1_11comp_targetILNS1_3genE8ELNS1_11target_archE1030ELNS1_3gpuE2ELNS1_3repE0EEENS1_48merge_mergepath_partition_config_static_selectorELNS0_4arch9wavefront6targetE1EEEvSH_.num_named_barrier, 0
	.set _ZN7rocprim17ROCPRIM_400000_NS6detail17trampoline_kernelINS0_14default_configENS1_38merge_sort_block_merge_config_selectorIalEEZZNS1_27merge_sort_block_merge_implIS3_PaN6thrust23THRUST_200600_302600_NS10device_ptrIlEEjNS1_19radix_merge_compareILb0ELb0EaNS0_19identity_decomposerEEEEE10hipError_tT0_T1_T2_jT3_P12ihipStream_tbPNSt15iterator_traitsISG_E10value_typeEPNSM_ISH_E10value_typeEPSI_NS1_7vsmem_tEENKUlT_SG_SH_SI_E_clIS7_S7_PlSB_EESF_SV_SG_SH_SI_EUlSV_E_NS1_11comp_targetILNS1_3genE8ELNS1_11target_archE1030ELNS1_3gpuE2ELNS1_3repE0EEENS1_48merge_mergepath_partition_config_static_selectorELNS0_4arch9wavefront6targetE1EEEvSH_.private_seg_size, 0
	.set _ZN7rocprim17ROCPRIM_400000_NS6detail17trampoline_kernelINS0_14default_configENS1_38merge_sort_block_merge_config_selectorIalEEZZNS1_27merge_sort_block_merge_implIS3_PaN6thrust23THRUST_200600_302600_NS10device_ptrIlEEjNS1_19radix_merge_compareILb0ELb0EaNS0_19identity_decomposerEEEEE10hipError_tT0_T1_T2_jT3_P12ihipStream_tbPNSt15iterator_traitsISG_E10value_typeEPNSM_ISH_E10value_typeEPSI_NS1_7vsmem_tEENKUlT_SG_SH_SI_E_clIS7_S7_PlSB_EESF_SV_SG_SH_SI_EUlSV_E_NS1_11comp_targetILNS1_3genE8ELNS1_11target_archE1030ELNS1_3gpuE2ELNS1_3repE0EEENS1_48merge_mergepath_partition_config_static_selectorELNS0_4arch9wavefront6targetE1EEEvSH_.uses_vcc, 0
	.set _ZN7rocprim17ROCPRIM_400000_NS6detail17trampoline_kernelINS0_14default_configENS1_38merge_sort_block_merge_config_selectorIalEEZZNS1_27merge_sort_block_merge_implIS3_PaN6thrust23THRUST_200600_302600_NS10device_ptrIlEEjNS1_19radix_merge_compareILb0ELb0EaNS0_19identity_decomposerEEEEE10hipError_tT0_T1_T2_jT3_P12ihipStream_tbPNSt15iterator_traitsISG_E10value_typeEPNSM_ISH_E10value_typeEPSI_NS1_7vsmem_tEENKUlT_SG_SH_SI_E_clIS7_S7_PlSB_EESF_SV_SG_SH_SI_EUlSV_E_NS1_11comp_targetILNS1_3genE8ELNS1_11target_archE1030ELNS1_3gpuE2ELNS1_3repE0EEENS1_48merge_mergepath_partition_config_static_selectorELNS0_4arch9wavefront6targetE1EEEvSH_.uses_flat_scratch, 0
	.set _ZN7rocprim17ROCPRIM_400000_NS6detail17trampoline_kernelINS0_14default_configENS1_38merge_sort_block_merge_config_selectorIalEEZZNS1_27merge_sort_block_merge_implIS3_PaN6thrust23THRUST_200600_302600_NS10device_ptrIlEEjNS1_19radix_merge_compareILb0ELb0EaNS0_19identity_decomposerEEEEE10hipError_tT0_T1_T2_jT3_P12ihipStream_tbPNSt15iterator_traitsISG_E10value_typeEPNSM_ISH_E10value_typeEPSI_NS1_7vsmem_tEENKUlT_SG_SH_SI_E_clIS7_S7_PlSB_EESF_SV_SG_SH_SI_EUlSV_E_NS1_11comp_targetILNS1_3genE8ELNS1_11target_archE1030ELNS1_3gpuE2ELNS1_3repE0EEENS1_48merge_mergepath_partition_config_static_selectorELNS0_4arch9wavefront6targetE1EEEvSH_.has_dyn_sized_stack, 0
	.set _ZN7rocprim17ROCPRIM_400000_NS6detail17trampoline_kernelINS0_14default_configENS1_38merge_sort_block_merge_config_selectorIalEEZZNS1_27merge_sort_block_merge_implIS3_PaN6thrust23THRUST_200600_302600_NS10device_ptrIlEEjNS1_19radix_merge_compareILb0ELb0EaNS0_19identity_decomposerEEEEE10hipError_tT0_T1_T2_jT3_P12ihipStream_tbPNSt15iterator_traitsISG_E10value_typeEPNSM_ISH_E10value_typeEPSI_NS1_7vsmem_tEENKUlT_SG_SH_SI_E_clIS7_S7_PlSB_EESF_SV_SG_SH_SI_EUlSV_E_NS1_11comp_targetILNS1_3genE8ELNS1_11target_archE1030ELNS1_3gpuE2ELNS1_3repE0EEENS1_48merge_mergepath_partition_config_static_selectorELNS0_4arch9wavefront6targetE1EEEvSH_.has_recursion, 0
	.set _ZN7rocprim17ROCPRIM_400000_NS6detail17trampoline_kernelINS0_14default_configENS1_38merge_sort_block_merge_config_selectorIalEEZZNS1_27merge_sort_block_merge_implIS3_PaN6thrust23THRUST_200600_302600_NS10device_ptrIlEEjNS1_19radix_merge_compareILb0ELb0EaNS0_19identity_decomposerEEEEE10hipError_tT0_T1_T2_jT3_P12ihipStream_tbPNSt15iterator_traitsISG_E10value_typeEPNSM_ISH_E10value_typeEPSI_NS1_7vsmem_tEENKUlT_SG_SH_SI_E_clIS7_S7_PlSB_EESF_SV_SG_SH_SI_EUlSV_E_NS1_11comp_targetILNS1_3genE8ELNS1_11target_archE1030ELNS1_3gpuE2ELNS1_3repE0EEENS1_48merge_mergepath_partition_config_static_selectorELNS0_4arch9wavefront6targetE1EEEvSH_.has_indirect_call, 0
	.section	.AMDGPU.csdata,"",@progbits
; Kernel info:
; codeLenInByte = 0
; TotalNumSgprs: 4
; NumVgprs: 0
; ScratchSize: 0
; MemoryBound: 0
; FloatMode: 240
; IeeeMode: 1
; LDSByteSize: 0 bytes/workgroup (compile time only)
; SGPRBlocks: 0
; VGPRBlocks: 0
; NumSGPRsForWavesPerEU: 4
; NumVGPRsForWavesPerEU: 1
; Occupancy: 10
; WaveLimiterHint : 0
; COMPUTE_PGM_RSRC2:SCRATCH_EN: 0
; COMPUTE_PGM_RSRC2:USER_SGPR: 6
; COMPUTE_PGM_RSRC2:TRAP_HANDLER: 0
; COMPUTE_PGM_RSRC2:TGID_X_EN: 1
; COMPUTE_PGM_RSRC2:TGID_Y_EN: 0
; COMPUTE_PGM_RSRC2:TGID_Z_EN: 0
; COMPUTE_PGM_RSRC2:TIDIG_COMP_CNT: 0
	.section	.text._ZN7rocprim17ROCPRIM_400000_NS6detail17trampoline_kernelINS0_14default_configENS1_38merge_sort_block_merge_config_selectorIalEEZZNS1_27merge_sort_block_merge_implIS3_PaN6thrust23THRUST_200600_302600_NS10device_ptrIlEEjNS1_19radix_merge_compareILb0ELb0EaNS0_19identity_decomposerEEEEE10hipError_tT0_T1_T2_jT3_P12ihipStream_tbPNSt15iterator_traitsISG_E10value_typeEPNSM_ISH_E10value_typeEPSI_NS1_7vsmem_tEENKUlT_SG_SH_SI_E_clIS7_S7_PlSB_EESF_SV_SG_SH_SI_EUlSV_E0_NS1_11comp_targetILNS1_3genE0ELNS1_11target_archE4294967295ELNS1_3gpuE0ELNS1_3repE0EEENS1_38merge_mergepath_config_static_selectorELNS0_4arch9wavefront6targetE1EEEvSH_,"axG",@progbits,_ZN7rocprim17ROCPRIM_400000_NS6detail17trampoline_kernelINS0_14default_configENS1_38merge_sort_block_merge_config_selectorIalEEZZNS1_27merge_sort_block_merge_implIS3_PaN6thrust23THRUST_200600_302600_NS10device_ptrIlEEjNS1_19radix_merge_compareILb0ELb0EaNS0_19identity_decomposerEEEEE10hipError_tT0_T1_T2_jT3_P12ihipStream_tbPNSt15iterator_traitsISG_E10value_typeEPNSM_ISH_E10value_typeEPSI_NS1_7vsmem_tEENKUlT_SG_SH_SI_E_clIS7_S7_PlSB_EESF_SV_SG_SH_SI_EUlSV_E0_NS1_11comp_targetILNS1_3genE0ELNS1_11target_archE4294967295ELNS1_3gpuE0ELNS1_3repE0EEENS1_38merge_mergepath_config_static_selectorELNS0_4arch9wavefront6targetE1EEEvSH_,comdat
	.protected	_ZN7rocprim17ROCPRIM_400000_NS6detail17trampoline_kernelINS0_14default_configENS1_38merge_sort_block_merge_config_selectorIalEEZZNS1_27merge_sort_block_merge_implIS3_PaN6thrust23THRUST_200600_302600_NS10device_ptrIlEEjNS1_19radix_merge_compareILb0ELb0EaNS0_19identity_decomposerEEEEE10hipError_tT0_T1_T2_jT3_P12ihipStream_tbPNSt15iterator_traitsISG_E10value_typeEPNSM_ISH_E10value_typeEPSI_NS1_7vsmem_tEENKUlT_SG_SH_SI_E_clIS7_S7_PlSB_EESF_SV_SG_SH_SI_EUlSV_E0_NS1_11comp_targetILNS1_3genE0ELNS1_11target_archE4294967295ELNS1_3gpuE0ELNS1_3repE0EEENS1_38merge_mergepath_config_static_selectorELNS0_4arch9wavefront6targetE1EEEvSH_ ; -- Begin function _ZN7rocprim17ROCPRIM_400000_NS6detail17trampoline_kernelINS0_14default_configENS1_38merge_sort_block_merge_config_selectorIalEEZZNS1_27merge_sort_block_merge_implIS3_PaN6thrust23THRUST_200600_302600_NS10device_ptrIlEEjNS1_19radix_merge_compareILb0ELb0EaNS0_19identity_decomposerEEEEE10hipError_tT0_T1_T2_jT3_P12ihipStream_tbPNSt15iterator_traitsISG_E10value_typeEPNSM_ISH_E10value_typeEPSI_NS1_7vsmem_tEENKUlT_SG_SH_SI_E_clIS7_S7_PlSB_EESF_SV_SG_SH_SI_EUlSV_E0_NS1_11comp_targetILNS1_3genE0ELNS1_11target_archE4294967295ELNS1_3gpuE0ELNS1_3repE0EEENS1_38merge_mergepath_config_static_selectorELNS0_4arch9wavefront6targetE1EEEvSH_
	.globl	_ZN7rocprim17ROCPRIM_400000_NS6detail17trampoline_kernelINS0_14default_configENS1_38merge_sort_block_merge_config_selectorIalEEZZNS1_27merge_sort_block_merge_implIS3_PaN6thrust23THRUST_200600_302600_NS10device_ptrIlEEjNS1_19radix_merge_compareILb0ELb0EaNS0_19identity_decomposerEEEEE10hipError_tT0_T1_T2_jT3_P12ihipStream_tbPNSt15iterator_traitsISG_E10value_typeEPNSM_ISH_E10value_typeEPSI_NS1_7vsmem_tEENKUlT_SG_SH_SI_E_clIS7_S7_PlSB_EESF_SV_SG_SH_SI_EUlSV_E0_NS1_11comp_targetILNS1_3genE0ELNS1_11target_archE4294967295ELNS1_3gpuE0ELNS1_3repE0EEENS1_38merge_mergepath_config_static_selectorELNS0_4arch9wavefront6targetE1EEEvSH_
	.p2align	8
	.type	_ZN7rocprim17ROCPRIM_400000_NS6detail17trampoline_kernelINS0_14default_configENS1_38merge_sort_block_merge_config_selectorIalEEZZNS1_27merge_sort_block_merge_implIS3_PaN6thrust23THRUST_200600_302600_NS10device_ptrIlEEjNS1_19radix_merge_compareILb0ELb0EaNS0_19identity_decomposerEEEEE10hipError_tT0_T1_T2_jT3_P12ihipStream_tbPNSt15iterator_traitsISG_E10value_typeEPNSM_ISH_E10value_typeEPSI_NS1_7vsmem_tEENKUlT_SG_SH_SI_E_clIS7_S7_PlSB_EESF_SV_SG_SH_SI_EUlSV_E0_NS1_11comp_targetILNS1_3genE0ELNS1_11target_archE4294967295ELNS1_3gpuE0ELNS1_3repE0EEENS1_38merge_mergepath_config_static_selectorELNS0_4arch9wavefront6targetE1EEEvSH_,@function
_ZN7rocprim17ROCPRIM_400000_NS6detail17trampoline_kernelINS0_14default_configENS1_38merge_sort_block_merge_config_selectorIalEEZZNS1_27merge_sort_block_merge_implIS3_PaN6thrust23THRUST_200600_302600_NS10device_ptrIlEEjNS1_19radix_merge_compareILb0ELb0EaNS0_19identity_decomposerEEEEE10hipError_tT0_T1_T2_jT3_P12ihipStream_tbPNSt15iterator_traitsISG_E10value_typeEPNSM_ISH_E10value_typeEPSI_NS1_7vsmem_tEENKUlT_SG_SH_SI_E_clIS7_S7_PlSB_EESF_SV_SG_SH_SI_EUlSV_E0_NS1_11comp_targetILNS1_3genE0ELNS1_11target_archE4294967295ELNS1_3gpuE0ELNS1_3repE0EEENS1_38merge_mergepath_config_static_selectorELNS0_4arch9wavefront6targetE1EEEvSH_: ; @_ZN7rocprim17ROCPRIM_400000_NS6detail17trampoline_kernelINS0_14default_configENS1_38merge_sort_block_merge_config_selectorIalEEZZNS1_27merge_sort_block_merge_implIS3_PaN6thrust23THRUST_200600_302600_NS10device_ptrIlEEjNS1_19radix_merge_compareILb0ELb0EaNS0_19identity_decomposerEEEEE10hipError_tT0_T1_T2_jT3_P12ihipStream_tbPNSt15iterator_traitsISG_E10value_typeEPNSM_ISH_E10value_typeEPSI_NS1_7vsmem_tEENKUlT_SG_SH_SI_E_clIS7_S7_PlSB_EESF_SV_SG_SH_SI_EUlSV_E0_NS1_11comp_targetILNS1_3genE0ELNS1_11target_archE4294967295ELNS1_3gpuE0ELNS1_3repE0EEENS1_38merge_mergepath_config_static_selectorELNS0_4arch9wavefront6targetE1EEEvSH_
; %bb.0:
	.section	.rodata,"a",@progbits
	.p2align	6, 0x0
	.amdhsa_kernel _ZN7rocprim17ROCPRIM_400000_NS6detail17trampoline_kernelINS0_14default_configENS1_38merge_sort_block_merge_config_selectorIalEEZZNS1_27merge_sort_block_merge_implIS3_PaN6thrust23THRUST_200600_302600_NS10device_ptrIlEEjNS1_19radix_merge_compareILb0ELb0EaNS0_19identity_decomposerEEEEE10hipError_tT0_T1_T2_jT3_P12ihipStream_tbPNSt15iterator_traitsISG_E10value_typeEPNSM_ISH_E10value_typeEPSI_NS1_7vsmem_tEENKUlT_SG_SH_SI_E_clIS7_S7_PlSB_EESF_SV_SG_SH_SI_EUlSV_E0_NS1_11comp_targetILNS1_3genE0ELNS1_11target_archE4294967295ELNS1_3gpuE0ELNS1_3repE0EEENS1_38merge_mergepath_config_static_selectorELNS0_4arch9wavefront6targetE1EEEvSH_
		.amdhsa_group_segment_fixed_size 0
		.amdhsa_private_segment_fixed_size 0
		.amdhsa_kernarg_size 64
		.amdhsa_user_sgpr_count 6
		.amdhsa_user_sgpr_private_segment_buffer 1
		.amdhsa_user_sgpr_dispatch_ptr 0
		.amdhsa_user_sgpr_queue_ptr 0
		.amdhsa_user_sgpr_kernarg_segment_ptr 1
		.amdhsa_user_sgpr_dispatch_id 0
		.amdhsa_user_sgpr_flat_scratch_init 0
		.amdhsa_user_sgpr_private_segment_size 0
		.amdhsa_uses_dynamic_stack 0
		.amdhsa_system_sgpr_private_segment_wavefront_offset 0
		.amdhsa_system_sgpr_workgroup_id_x 1
		.amdhsa_system_sgpr_workgroup_id_y 0
		.amdhsa_system_sgpr_workgroup_id_z 0
		.amdhsa_system_sgpr_workgroup_info 0
		.amdhsa_system_vgpr_workitem_id 0
		.amdhsa_next_free_vgpr 1
		.amdhsa_next_free_sgpr 0
		.amdhsa_reserve_vcc 0
		.amdhsa_reserve_flat_scratch 0
		.amdhsa_float_round_mode_32 0
		.amdhsa_float_round_mode_16_64 0
		.amdhsa_float_denorm_mode_32 3
		.amdhsa_float_denorm_mode_16_64 3
		.amdhsa_dx10_clamp 1
		.amdhsa_ieee_mode 1
		.amdhsa_fp16_overflow 0
		.amdhsa_exception_fp_ieee_invalid_op 0
		.amdhsa_exception_fp_denorm_src 0
		.amdhsa_exception_fp_ieee_div_zero 0
		.amdhsa_exception_fp_ieee_overflow 0
		.amdhsa_exception_fp_ieee_underflow 0
		.amdhsa_exception_fp_ieee_inexact 0
		.amdhsa_exception_int_div_zero 0
	.end_amdhsa_kernel
	.section	.text._ZN7rocprim17ROCPRIM_400000_NS6detail17trampoline_kernelINS0_14default_configENS1_38merge_sort_block_merge_config_selectorIalEEZZNS1_27merge_sort_block_merge_implIS3_PaN6thrust23THRUST_200600_302600_NS10device_ptrIlEEjNS1_19radix_merge_compareILb0ELb0EaNS0_19identity_decomposerEEEEE10hipError_tT0_T1_T2_jT3_P12ihipStream_tbPNSt15iterator_traitsISG_E10value_typeEPNSM_ISH_E10value_typeEPSI_NS1_7vsmem_tEENKUlT_SG_SH_SI_E_clIS7_S7_PlSB_EESF_SV_SG_SH_SI_EUlSV_E0_NS1_11comp_targetILNS1_3genE0ELNS1_11target_archE4294967295ELNS1_3gpuE0ELNS1_3repE0EEENS1_38merge_mergepath_config_static_selectorELNS0_4arch9wavefront6targetE1EEEvSH_,"axG",@progbits,_ZN7rocprim17ROCPRIM_400000_NS6detail17trampoline_kernelINS0_14default_configENS1_38merge_sort_block_merge_config_selectorIalEEZZNS1_27merge_sort_block_merge_implIS3_PaN6thrust23THRUST_200600_302600_NS10device_ptrIlEEjNS1_19radix_merge_compareILb0ELb0EaNS0_19identity_decomposerEEEEE10hipError_tT0_T1_T2_jT3_P12ihipStream_tbPNSt15iterator_traitsISG_E10value_typeEPNSM_ISH_E10value_typeEPSI_NS1_7vsmem_tEENKUlT_SG_SH_SI_E_clIS7_S7_PlSB_EESF_SV_SG_SH_SI_EUlSV_E0_NS1_11comp_targetILNS1_3genE0ELNS1_11target_archE4294967295ELNS1_3gpuE0ELNS1_3repE0EEENS1_38merge_mergepath_config_static_selectorELNS0_4arch9wavefront6targetE1EEEvSH_,comdat
.Lfunc_end486:
	.size	_ZN7rocprim17ROCPRIM_400000_NS6detail17trampoline_kernelINS0_14default_configENS1_38merge_sort_block_merge_config_selectorIalEEZZNS1_27merge_sort_block_merge_implIS3_PaN6thrust23THRUST_200600_302600_NS10device_ptrIlEEjNS1_19radix_merge_compareILb0ELb0EaNS0_19identity_decomposerEEEEE10hipError_tT0_T1_T2_jT3_P12ihipStream_tbPNSt15iterator_traitsISG_E10value_typeEPNSM_ISH_E10value_typeEPSI_NS1_7vsmem_tEENKUlT_SG_SH_SI_E_clIS7_S7_PlSB_EESF_SV_SG_SH_SI_EUlSV_E0_NS1_11comp_targetILNS1_3genE0ELNS1_11target_archE4294967295ELNS1_3gpuE0ELNS1_3repE0EEENS1_38merge_mergepath_config_static_selectorELNS0_4arch9wavefront6targetE1EEEvSH_, .Lfunc_end486-_ZN7rocprim17ROCPRIM_400000_NS6detail17trampoline_kernelINS0_14default_configENS1_38merge_sort_block_merge_config_selectorIalEEZZNS1_27merge_sort_block_merge_implIS3_PaN6thrust23THRUST_200600_302600_NS10device_ptrIlEEjNS1_19radix_merge_compareILb0ELb0EaNS0_19identity_decomposerEEEEE10hipError_tT0_T1_T2_jT3_P12ihipStream_tbPNSt15iterator_traitsISG_E10value_typeEPNSM_ISH_E10value_typeEPSI_NS1_7vsmem_tEENKUlT_SG_SH_SI_E_clIS7_S7_PlSB_EESF_SV_SG_SH_SI_EUlSV_E0_NS1_11comp_targetILNS1_3genE0ELNS1_11target_archE4294967295ELNS1_3gpuE0ELNS1_3repE0EEENS1_38merge_mergepath_config_static_selectorELNS0_4arch9wavefront6targetE1EEEvSH_
                                        ; -- End function
	.set _ZN7rocprim17ROCPRIM_400000_NS6detail17trampoline_kernelINS0_14default_configENS1_38merge_sort_block_merge_config_selectorIalEEZZNS1_27merge_sort_block_merge_implIS3_PaN6thrust23THRUST_200600_302600_NS10device_ptrIlEEjNS1_19radix_merge_compareILb0ELb0EaNS0_19identity_decomposerEEEEE10hipError_tT0_T1_T2_jT3_P12ihipStream_tbPNSt15iterator_traitsISG_E10value_typeEPNSM_ISH_E10value_typeEPSI_NS1_7vsmem_tEENKUlT_SG_SH_SI_E_clIS7_S7_PlSB_EESF_SV_SG_SH_SI_EUlSV_E0_NS1_11comp_targetILNS1_3genE0ELNS1_11target_archE4294967295ELNS1_3gpuE0ELNS1_3repE0EEENS1_38merge_mergepath_config_static_selectorELNS0_4arch9wavefront6targetE1EEEvSH_.num_vgpr, 0
	.set _ZN7rocprim17ROCPRIM_400000_NS6detail17trampoline_kernelINS0_14default_configENS1_38merge_sort_block_merge_config_selectorIalEEZZNS1_27merge_sort_block_merge_implIS3_PaN6thrust23THRUST_200600_302600_NS10device_ptrIlEEjNS1_19radix_merge_compareILb0ELb0EaNS0_19identity_decomposerEEEEE10hipError_tT0_T1_T2_jT3_P12ihipStream_tbPNSt15iterator_traitsISG_E10value_typeEPNSM_ISH_E10value_typeEPSI_NS1_7vsmem_tEENKUlT_SG_SH_SI_E_clIS7_S7_PlSB_EESF_SV_SG_SH_SI_EUlSV_E0_NS1_11comp_targetILNS1_3genE0ELNS1_11target_archE4294967295ELNS1_3gpuE0ELNS1_3repE0EEENS1_38merge_mergepath_config_static_selectorELNS0_4arch9wavefront6targetE1EEEvSH_.num_agpr, 0
	.set _ZN7rocprim17ROCPRIM_400000_NS6detail17trampoline_kernelINS0_14default_configENS1_38merge_sort_block_merge_config_selectorIalEEZZNS1_27merge_sort_block_merge_implIS3_PaN6thrust23THRUST_200600_302600_NS10device_ptrIlEEjNS1_19radix_merge_compareILb0ELb0EaNS0_19identity_decomposerEEEEE10hipError_tT0_T1_T2_jT3_P12ihipStream_tbPNSt15iterator_traitsISG_E10value_typeEPNSM_ISH_E10value_typeEPSI_NS1_7vsmem_tEENKUlT_SG_SH_SI_E_clIS7_S7_PlSB_EESF_SV_SG_SH_SI_EUlSV_E0_NS1_11comp_targetILNS1_3genE0ELNS1_11target_archE4294967295ELNS1_3gpuE0ELNS1_3repE0EEENS1_38merge_mergepath_config_static_selectorELNS0_4arch9wavefront6targetE1EEEvSH_.numbered_sgpr, 0
	.set _ZN7rocprim17ROCPRIM_400000_NS6detail17trampoline_kernelINS0_14default_configENS1_38merge_sort_block_merge_config_selectorIalEEZZNS1_27merge_sort_block_merge_implIS3_PaN6thrust23THRUST_200600_302600_NS10device_ptrIlEEjNS1_19radix_merge_compareILb0ELb0EaNS0_19identity_decomposerEEEEE10hipError_tT0_T1_T2_jT3_P12ihipStream_tbPNSt15iterator_traitsISG_E10value_typeEPNSM_ISH_E10value_typeEPSI_NS1_7vsmem_tEENKUlT_SG_SH_SI_E_clIS7_S7_PlSB_EESF_SV_SG_SH_SI_EUlSV_E0_NS1_11comp_targetILNS1_3genE0ELNS1_11target_archE4294967295ELNS1_3gpuE0ELNS1_3repE0EEENS1_38merge_mergepath_config_static_selectorELNS0_4arch9wavefront6targetE1EEEvSH_.num_named_barrier, 0
	.set _ZN7rocprim17ROCPRIM_400000_NS6detail17trampoline_kernelINS0_14default_configENS1_38merge_sort_block_merge_config_selectorIalEEZZNS1_27merge_sort_block_merge_implIS3_PaN6thrust23THRUST_200600_302600_NS10device_ptrIlEEjNS1_19radix_merge_compareILb0ELb0EaNS0_19identity_decomposerEEEEE10hipError_tT0_T1_T2_jT3_P12ihipStream_tbPNSt15iterator_traitsISG_E10value_typeEPNSM_ISH_E10value_typeEPSI_NS1_7vsmem_tEENKUlT_SG_SH_SI_E_clIS7_S7_PlSB_EESF_SV_SG_SH_SI_EUlSV_E0_NS1_11comp_targetILNS1_3genE0ELNS1_11target_archE4294967295ELNS1_3gpuE0ELNS1_3repE0EEENS1_38merge_mergepath_config_static_selectorELNS0_4arch9wavefront6targetE1EEEvSH_.private_seg_size, 0
	.set _ZN7rocprim17ROCPRIM_400000_NS6detail17trampoline_kernelINS0_14default_configENS1_38merge_sort_block_merge_config_selectorIalEEZZNS1_27merge_sort_block_merge_implIS3_PaN6thrust23THRUST_200600_302600_NS10device_ptrIlEEjNS1_19radix_merge_compareILb0ELb0EaNS0_19identity_decomposerEEEEE10hipError_tT0_T1_T2_jT3_P12ihipStream_tbPNSt15iterator_traitsISG_E10value_typeEPNSM_ISH_E10value_typeEPSI_NS1_7vsmem_tEENKUlT_SG_SH_SI_E_clIS7_S7_PlSB_EESF_SV_SG_SH_SI_EUlSV_E0_NS1_11comp_targetILNS1_3genE0ELNS1_11target_archE4294967295ELNS1_3gpuE0ELNS1_3repE0EEENS1_38merge_mergepath_config_static_selectorELNS0_4arch9wavefront6targetE1EEEvSH_.uses_vcc, 0
	.set _ZN7rocprim17ROCPRIM_400000_NS6detail17trampoline_kernelINS0_14default_configENS1_38merge_sort_block_merge_config_selectorIalEEZZNS1_27merge_sort_block_merge_implIS3_PaN6thrust23THRUST_200600_302600_NS10device_ptrIlEEjNS1_19radix_merge_compareILb0ELb0EaNS0_19identity_decomposerEEEEE10hipError_tT0_T1_T2_jT3_P12ihipStream_tbPNSt15iterator_traitsISG_E10value_typeEPNSM_ISH_E10value_typeEPSI_NS1_7vsmem_tEENKUlT_SG_SH_SI_E_clIS7_S7_PlSB_EESF_SV_SG_SH_SI_EUlSV_E0_NS1_11comp_targetILNS1_3genE0ELNS1_11target_archE4294967295ELNS1_3gpuE0ELNS1_3repE0EEENS1_38merge_mergepath_config_static_selectorELNS0_4arch9wavefront6targetE1EEEvSH_.uses_flat_scratch, 0
	.set _ZN7rocprim17ROCPRIM_400000_NS6detail17trampoline_kernelINS0_14default_configENS1_38merge_sort_block_merge_config_selectorIalEEZZNS1_27merge_sort_block_merge_implIS3_PaN6thrust23THRUST_200600_302600_NS10device_ptrIlEEjNS1_19radix_merge_compareILb0ELb0EaNS0_19identity_decomposerEEEEE10hipError_tT0_T1_T2_jT3_P12ihipStream_tbPNSt15iterator_traitsISG_E10value_typeEPNSM_ISH_E10value_typeEPSI_NS1_7vsmem_tEENKUlT_SG_SH_SI_E_clIS7_S7_PlSB_EESF_SV_SG_SH_SI_EUlSV_E0_NS1_11comp_targetILNS1_3genE0ELNS1_11target_archE4294967295ELNS1_3gpuE0ELNS1_3repE0EEENS1_38merge_mergepath_config_static_selectorELNS0_4arch9wavefront6targetE1EEEvSH_.has_dyn_sized_stack, 0
	.set _ZN7rocprim17ROCPRIM_400000_NS6detail17trampoline_kernelINS0_14default_configENS1_38merge_sort_block_merge_config_selectorIalEEZZNS1_27merge_sort_block_merge_implIS3_PaN6thrust23THRUST_200600_302600_NS10device_ptrIlEEjNS1_19radix_merge_compareILb0ELb0EaNS0_19identity_decomposerEEEEE10hipError_tT0_T1_T2_jT3_P12ihipStream_tbPNSt15iterator_traitsISG_E10value_typeEPNSM_ISH_E10value_typeEPSI_NS1_7vsmem_tEENKUlT_SG_SH_SI_E_clIS7_S7_PlSB_EESF_SV_SG_SH_SI_EUlSV_E0_NS1_11comp_targetILNS1_3genE0ELNS1_11target_archE4294967295ELNS1_3gpuE0ELNS1_3repE0EEENS1_38merge_mergepath_config_static_selectorELNS0_4arch9wavefront6targetE1EEEvSH_.has_recursion, 0
	.set _ZN7rocprim17ROCPRIM_400000_NS6detail17trampoline_kernelINS0_14default_configENS1_38merge_sort_block_merge_config_selectorIalEEZZNS1_27merge_sort_block_merge_implIS3_PaN6thrust23THRUST_200600_302600_NS10device_ptrIlEEjNS1_19radix_merge_compareILb0ELb0EaNS0_19identity_decomposerEEEEE10hipError_tT0_T1_T2_jT3_P12ihipStream_tbPNSt15iterator_traitsISG_E10value_typeEPNSM_ISH_E10value_typeEPSI_NS1_7vsmem_tEENKUlT_SG_SH_SI_E_clIS7_S7_PlSB_EESF_SV_SG_SH_SI_EUlSV_E0_NS1_11comp_targetILNS1_3genE0ELNS1_11target_archE4294967295ELNS1_3gpuE0ELNS1_3repE0EEENS1_38merge_mergepath_config_static_selectorELNS0_4arch9wavefront6targetE1EEEvSH_.has_indirect_call, 0
	.section	.AMDGPU.csdata,"",@progbits
; Kernel info:
; codeLenInByte = 0
; TotalNumSgprs: 4
; NumVgprs: 0
; ScratchSize: 0
; MemoryBound: 0
; FloatMode: 240
; IeeeMode: 1
; LDSByteSize: 0 bytes/workgroup (compile time only)
; SGPRBlocks: 0
; VGPRBlocks: 0
; NumSGPRsForWavesPerEU: 4
; NumVGPRsForWavesPerEU: 1
; Occupancy: 10
; WaveLimiterHint : 0
; COMPUTE_PGM_RSRC2:SCRATCH_EN: 0
; COMPUTE_PGM_RSRC2:USER_SGPR: 6
; COMPUTE_PGM_RSRC2:TRAP_HANDLER: 0
; COMPUTE_PGM_RSRC2:TGID_X_EN: 1
; COMPUTE_PGM_RSRC2:TGID_Y_EN: 0
; COMPUTE_PGM_RSRC2:TGID_Z_EN: 0
; COMPUTE_PGM_RSRC2:TIDIG_COMP_CNT: 0
	.section	.text._ZN7rocprim17ROCPRIM_400000_NS6detail17trampoline_kernelINS0_14default_configENS1_38merge_sort_block_merge_config_selectorIalEEZZNS1_27merge_sort_block_merge_implIS3_PaN6thrust23THRUST_200600_302600_NS10device_ptrIlEEjNS1_19radix_merge_compareILb0ELb0EaNS0_19identity_decomposerEEEEE10hipError_tT0_T1_T2_jT3_P12ihipStream_tbPNSt15iterator_traitsISG_E10value_typeEPNSM_ISH_E10value_typeEPSI_NS1_7vsmem_tEENKUlT_SG_SH_SI_E_clIS7_S7_PlSB_EESF_SV_SG_SH_SI_EUlSV_E0_NS1_11comp_targetILNS1_3genE10ELNS1_11target_archE1201ELNS1_3gpuE5ELNS1_3repE0EEENS1_38merge_mergepath_config_static_selectorELNS0_4arch9wavefront6targetE1EEEvSH_,"axG",@progbits,_ZN7rocprim17ROCPRIM_400000_NS6detail17trampoline_kernelINS0_14default_configENS1_38merge_sort_block_merge_config_selectorIalEEZZNS1_27merge_sort_block_merge_implIS3_PaN6thrust23THRUST_200600_302600_NS10device_ptrIlEEjNS1_19radix_merge_compareILb0ELb0EaNS0_19identity_decomposerEEEEE10hipError_tT0_T1_T2_jT3_P12ihipStream_tbPNSt15iterator_traitsISG_E10value_typeEPNSM_ISH_E10value_typeEPSI_NS1_7vsmem_tEENKUlT_SG_SH_SI_E_clIS7_S7_PlSB_EESF_SV_SG_SH_SI_EUlSV_E0_NS1_11comp_targetILNS1_3genE10ELNS1_11target_archE1201ELNS1_3gpuE5ELNS1_3repE0EEENS1_38merge_mergepath_config_static_selectorELNS0_4arch9wavefront6targetE1EEEvSH_,comdat
	.protected	_ZN7rocprim17ROCPRIM_400000_NS6detail17trampoline_kernelINS0_14default_configENS1_38merge_sort_block_merge_config_selectorIalEEZZNS1_27merge_sort_block_merge_implIS3_PaN6thrust23THRUST_200600_302600_NS10device_ptrIlEEjNS1_19radix_merge_compareILb0ELb0EaNS0_19identity_decomposerEEEEE10hipError_tT0_T1_T2_jT3_P12ihipStream_tbPNSt15iterator_traitsISG_E10value_typeEPNSM_ISH_E10value_typeEPSI_NS1_7vsmem_tEENKUlT_SG_SH_SI_E_clIS7_S7_PlSB_EESF_SV_SG_SH_SI_EUlSV_E0_NS1_11comp_targetILNS1_3genE10ELNS1_11target_archE1201ELNS1_3gpuE5ELNS1_3repE0EEENS1_38merge_mergepath_config_static_selectorELNS0_4arch9wavefront6targetE1EEEvSH_ ; -- Begin function _ZN7rocprim17ROCPRIM_400000_NS6detail17trampoline_kernelINS0_14default_configENS1_38merge_sort_block_merge_config_selectorIalEEZZNS1_27merge_sort_block_merge_implIS3_PaN6thrust23THRUST_200600_302600_NS10device_ptrIlEEjNS1_19radix_merge_compareILb0ELb0EaNS0_19identity_decomposerEEEEE10hipError_tT0_T1_T2_jT3_P12ihipStream_tbPNSt15iterator_traitsISG_E10value_typeEPNSM_ISH_E10value_typeEPSI_NS1_7vsmem_tEENKUlT_SG_SH_SI_E_clIS7_S7_PlSB_EESF_SV_SG_SH_SI_EUlSV_E0_NS1_11comp_targetILNS1_3genE10ELNS1_11target_archE1201ELNS1_3gpuE5ELNS1_3repE0EEENS1_38merge_mergepath_config_static_selectorELNS0_4arch9wavefront6targetE1EEEvSH_
	.globl	_ZN7rocprim17ROCPRIM_400000_NS6detail17trampoline_kernelINS0_14default_configENS1_38merge_sort_block_merge_config_selectorIalEEZZNS1_27merge_sort_block_merge_implIS3_PaN6thrust23THRUST_200600_302600_NS10device_ptrIlEEjNS1_19radix_merge_compareILb0ELb0EaNS0_19identity_decomposerEEEEE10hipError_tT0_T1_T2_jT3_P12ihipStream_tbPNSt15iterator_traitsISG_E10value_typeEPNSM_ISH_E10value_typeEPSI_NS1_7vsmem_tEENKUlT_SG_SH_SI_E_clIS7_S7_PlSB_EESF_SV_SG_SH_SI_EUlSV_E0_NS1_11comp_targetILNS1_3genE10ELNS1_11target_archE1201ELNS1_3gpuE5ELNS1_3repE0EEENS1_38merge_mergepath_config_static_selectorELNS0_4arch9wavefront6targetE1EEEvSH_
	.p2align	8
	.type	_ZN7rocprim17ROCPRIM_400000_NS6detail17trampoline_kernelINS0_14default_configENS1_38merge_sort_block_merge_config_selectorIalEEZZNS1_27merge_sort_block_merge_implIS3_PaN6thrust23THRUST_200600_302600_NS10device_ptrIlEEjNS1_19radix_merge_compareILb0ELb0EaNS0_19identity_decomposerEEEEE10hipError_tT0_T1_T2_jT3_P12ihipStream_tbPNSt15iterator_traitsISG_E10value_typeEPNSM_ISH_E10value_typeEPSI_NS1_7vsmem_tEENKUlT_SG_SH_SI_E_clIS7_S7_PlSB_EESF_SV_SG_SH_SI_EUlSV_E0_NS1_11comp_targetILNS1_3genE10ELNS1_11target_archE1201ELNS1_3gpuE5ELNS1_3repE0EEENS1_38merge_mergepath_config_static_selectorELNS0_4arch9wavefront6targetE1EEEvSH_,@function
_ZN7rocprim17ROCPRIM_400000_NS6detail17trampoline_kernelINS0_14default_configENS1_38merge_sort_block_merge_config_selectorIalEEZZNS1_27merge_sort_block_merge_implIS3_PaN6thrust23THRUST_200600_302600_NS10device_ptrIlEEjNS1_19radix_merge_compareILb0ELb0EaNS0_19identity_decomposerEEEEE10hipError_tT0_T1_T2_jT3_P12ihipStream_tbPNSt15iterator_traitsISG_E10value_typeEPNSM_ISH_E10value_typeEPSI_NS1_7vsmem_tEENKUlT_SG_SH_SI_E_clIS7_S7_PlSB_EESF_SV_SG_SH_SI_EUlSV_E0_NS1_11comp_targetILNS1_3genE10ELNS1_11target_archE1201ELNS1_3gpuE5ELNS1_3repE0EEENS1_38merge_mergepath_config_static_selectorELNS0_4arch9wavefront6targetE1EEEvSH_: ; @_ZN7rocprim17ROCPRIM_400000_NS6detail17trampoline_kernelINS0_14default_configENS1_38merge_sort_block_merge_config_selectorIalEEZZNS1_27merge_sort_block_merge_implIS3_PaN6thrust23THRUST_200600_302600_NS10device_ptrIlEEjNS1_19radix_merge_compareILb0ELb0EaNS0_19identity_decomposerEEEEE10hipError_tT0_T1_T2_jT3_P12ihipStream_tbPNSt15iterator_traitsISG_E10value_typeEPNSM_ISH_E10value_typeEPSI_NS1_7vsmem_tEENKUlT_SG_SH_SI_E_clIS7_S7_PlSB_EESF_SV_SG_SH_SI_EUlSV_E0_NS1_11comp_targetILNS1_3genE10ELNS1_11target_archE1201ELNS1_3gpuE5ELNS1_3repE0EEENS1_38merge_mergepath_config_static_selectorELNS0_4arch9wavefront6targetE1EEEvSH_
; %bb.0:
	.section	.rodata,"a",@progbits
	.p2align	6, 0x0
	.amdhsa_kernel _ZN7rocprim17ROCPRIM_400000_NS6detail17trampoline_kernelINS0_14default_configENS1_38merge_sort_block_merge_config_selectorIalEEZZNS1_27merge_sort_block_merge_implIS3_PaN6thrust23THRUST_200600_302600_NS10device_ptrIlEEjNS1_19radix_merge_compareILb0ELb0EaNS0_19identity_decomposerEEEEE10hipError_tT0_T1_T2_jT3_P12ihipStream_tbPNSt15iterator_traitsISG_E10value_typeEPNSM_ISH_E10value_typeEPSI_NS1_7vsmem_tEENKUlT_SG_SH_SI_E_clIS7_S7_PlSB_EESF_SV_SG_SH_SI_EUlSV_E0_NS1_11comp_targetILNS1_3genE10ELNS1_11target_archE1201ELNS1_3gpuE5ELNS1_3repE0EEENS1_38merge_mergepath_config_static_selectorELNS0_4arch9wavefront6targetE1EEEvSH_
		.amdhsa_group_segment_fixed_size 0
		.amdhsa_private_segment_fixed_size 0
		.amdhsa_kernarg_size 64
		.amdhsa_user_sgpr_count 6
		.amdhsa_user_sgpr_private_segment_buffer 1
		.amdhsa_user_sgpr_dispatch_ptr 0
		.amdhsa_user_sgpr_queue_ptr 0
		.amdhsa_user_sgpr_kernarg_segment_ptr 1
		.amdhsa_user_sgpr_dispatch_id 0
		.amdhsa_user_sgpr_flat_scratch_init 0
		.amdhsa_user_sgpr_private_segment_size 0
		.amdhsa_uses_dynamic_stack 0
		.amdhsa_system_sgpr_private_segment_wavefront_offset 0
		.amdhsa_system_sgpr_workgroup_id_x 1
		.amdhsa_system_sgpr_workgroup_id_y 0
		.amdhsa_system_sgpr_workgroup_id_z 0
		.amdhsa_system_sgpr_workgroup_info 0
		.amdhsa_system_vgpr_workitem_id 0
		.amdhsa_next_free_vgpr 1
		.amdhsa_next_free_sgpr 0
		.amdhsa_reserve_vcc 0
		.amdhsa_reserve_flat_scratch 0
		.amdhsa_float_round_mode_32 0
		.amdhsa_float_round_mode_16_64 0
		.amdhsa_float_denorm_mode_32 3
		.amdhsa_float_denorm_mode_16_64 3
		.amdhsa_dx10_clamp 1
		.amdhsa_ieee_mode 1
		.amdhsa_fp16_overflow 0
		.amdhsa_exception_fp_ieee_invalid_op 0
		.amdhsa_exception_fp_denorm_src 0
		.amdhsa_exception_fp_ieee_div_zero 0
		.amdhsa_exception_fp_ieee_overflow 0
		.amdhsa_exception_fp_ieee_underflow 0
		.amdhsa_exception_fp_ieee_inexact 0
		.amdhsa_exception_int_div_zero 0
	.end_amdhsa_kernel
	.section	.text._ZN7rocprim17ROCPRIM_400000_NS6detail17trampoline_kernelINS0_14default_configENS1_38merge_sort_block_merge_config_selectorIalEEZZNS1_27merge_sort_block_merge_implIS3_PaN6thrust23THRUST_200600_302600_NS10device_ptrIlEEjNS1_19radix_merge_compareILb0ELb0EaNS0_19identity_decomposerEEEEE10hipError_tT0_T1_T2_jT3_P12ihipStream_tbPNSt15iterator_traitsISG_E10value_typeEPNSM_ISH_E10value_typeEPSI_NS1_7vsmem_tEENKUlT_SG_SH_SI_E_clIS7_S7_PlSB_EESF_SV_SG_SH_SI_EUlSV_E0_NS1_11comp_targetILNS1_3genE10ELNS1_11target_archE1201ELNS1_3gpuE5ELNS1_3repE0EEENS1_38merge_mergepath_config_static_selectorELNS0_4arch9wavefront6targetE1EEEvSH_,"axG",@progbits,_ZN7rocprim17ROCPRIM_400000_NS6detail17trampoline_kernelINS0_14default_configENS1_38merge_sort_block_merge_config_selectorIalEEZZNS1_27merge_sort_block_merge_implIS3_PaN6thrust23THRUST_200600_302600_NS10device_ptrIlEEjNS1_19radix_merge_compareILb0ELb0EaNS0_19identity_decomposerEEEEE10hipError_tT0_T1_T2_jT3_P12ihipStream_tbPNSt15iterator_traitsISG_E10value_typeEPNSM_ISH_E10value_typeEPSI_NS1_7vsmem_tEENKUlT_SG_SH_SI_E_clIS7_S7_PlSB_EESF_SV_SG_SH_SI_EUlSV_E0_NS1_11comp_targetILNS1_3genE10ELNS1_11target_archE1201ELNS1_3gpuE5ELNS1_3repE0EEENS1_38merge_mergepath_config_static_selectorELNS0_4arch9wavefront6targetE1EEEvSH_,comdat
.Lfunc_end487:
	.size	_ZN7rocprim17ROCPRIM_400000_NS6detail17trampoline_kernelINS0_14default_configENS1_38merge_sort_block_merge_config_selectorIalEEZZNS1_27merge_sort_block_merge_implIS3_PaN6thrust23THRUST_200600_302600_NS10device_ptrIlEEjNS1_19radix_merge_compareILb0ELb0EaNS0_19identity_decomposerEEEEE10hipError_tT0_T1_T2_jT3_P12ihipStream_tbPNSt15iterator_traitsISG_E10value_typeEPNSM_ISH_E10value_typeEPSI_NS1_7vsmem_tEENKUlT_SG_SH_SI_E_clIS7_S7_PlSB_EESF_SV_SG_SH_SI_EUlSV_E0_NS1_11comp_targetILNS1_3genE10ELNS1_11target_archE1201ELNS1_3gpuE5ELNS1_3repE0EEENS1_38merge_mergepath_config_static_selectorELNS0_4arch9wavefront6targetE1EEEvSH_, .Lfunc_end487-_ZN7rocprim17ROCPRIM_400000_NS6detail17trampoline_kernelINS0_14default_configENS1_38merge_sort_block_merge_config_selectorIalEEZZNS1_27merge_sort_block_merge_implIS3_PaN6thrust23THRUST_200600_302600_NS10device_ptrIlEEjNS1_19radix_merge_compareILb0ELb0EaNS0_19identity_decomposerEEEEE10hipError_tT0_T1_T2_jT3_P12ihipStream_tbPNSt15iterator_traitsISG_E10value_typeEPNSM_ISH_E10value_typeEPSI_NS1_7vsmem_tEENKUlT_SG_SH_SI_E_clIS7_S7_PlSB_EESF_SV_SG_SH_SI_EUlSV_E0_NS1_11comp_targetILNS1_3genE10ELNS1_11target_archE1201ELNS1_3gpuE5ELNS1_3repE0EEENS1_38merge_mergepath_config_static_selectorELNS0_4arch9wavefront6targetE1EEEvSH_
                                        ; -- End function
	.set _ZN7rocprim17ROCPRIM_400000_NS6detail17trampoline_kernelINS0_14default_configENS1_38merge_sort_block_merge_config_selectorIalEEZZNS1_27merge_sort_block_merge_implIS3_PaN6thrust23THRUST_200600_302600_NS10device_ptrIlEEjNS1_19radix_merge_compareILb0ELb0EaNS0_19identity_decomposerEEEEE10hipError_tT0_T1_T2_jT3_P12ihipStream_tbPNSt15iterator_traitsISG_E10value_typeEPNSM_ISH_E10value_typeEPSI_NS1_7vsmem_tEENKUlT_SG_SH_SI_E_clIS7_S7_PlSB_EESF_SV_SG_SH_SI_EUlSV_E0_NS1_11comp_targetILNS1_3genE10ELNS1_11target_archE1201ELNS1_3gpuE5ELNS1_3repE0EEENS1_38merge_mergepath_config_static_selectorELNS0_4arch9wavefront6targetE1EEEvSH_.num_vgpr, 0
	.set _ZN7rocprim17ROCPRIM_400000_NS6detail17trampoline_kernelINS0_14default_configENS1_38merge_sort_block_merge_config_selectorIalEEZZNS1_27merge_sort_block_merge_implIS3_PaN6thrust23THRUST_200600_302600_NS10device_ptrIlEEjNS1_19radix_merge_compareILb0ELb0EaNS0_19identity_decomposerEEEEE10hipError_tT0_T1_T2_jT3_P12ihipStream_tbPNSt15iterator_traitsISG_E10value_typeEPNSM_ISH_E10value_typeEPSI_NS1_7vsmem_tEENKUlT_SG_SH_SI_E_clIS7_S7_PlSB_EESF_SV_SG_SH_SI_EUlSV_E0_NS1_11comp_targetILNS1_3genE10ELNS1_11target_archE1201ELNS1_3gpuE5ELNS1_3repE0EEENS1_38merge_mergepath_config_static_selectorELNS0_4arch9wavefront6targetE1EEEvSH_.num_agpr, 0
	.set _ZN7rocprim17ROCPRIM_400000_NS6detail17trampoline_kernelINS0_14default_configENS1_38merge_sort_block_merge_config_selectorIalEEZZNS1_27merge_sort_block_merge_implIS3_PaN6thrust23THRUST_200600_302600_NS10device_ptrIlEEjNS1_19radix_merge_compareILb0ELb0EaNS0_19identity_decomposerEEEEE10hipError_tT0_T1_T2_jT3_P12ihipStream_tbPNSt15iterator_traitsISG_E10value_typeEPNSM_ISH_E10value_typeEPSI_NS1_7vsmem_tEENKUlT_SG_SH_SI_E_clIS7_S7_PlSB_EESF_SV_SG_SH_SI_EUlSV_E0_NS1_11comp_targetILNS1_3genE10ELNS1_11target_archE1201ELNS1_3gpuE5ELNS1_3repE0EEENS1_38merge_mergepath_config_static_selectorELNS0_4arch9wavefront6targetE1EEEvSH_.numbered_sgpr, 0
	.set _ZN7rocprim17ROCPRIM_400000_NS6detail17trampoline_kernelINS0_14default_configENS1_38merge_sort_block_merge_config_selectorIalEEZZNS1_27merge_sort_block_merge_implIS3_PaN6thrust23THRUST_200600_302600_NS10device_ptrIlEEjNS1_19radix_merge_compareILb0ELb0EaNS0_19identity_decomposerEEEEE10hipError_tT0_T1_T2_jT3_P12ihipStream_tbPNSt15iterator_traitsISG_E10value_typeEPNSM_ISH_E10value_typeEPSI_NS1_7vsmem_tEENKUlT_SG_SH_SI_E_clIS7_S7_PlSB_EESF_SV_SG_SH_SI_EUlSV_E0_NS1_11comp_targetILNS1_3genE10ELNS1_11target_archE1201ELNS1_3gpuE5ELNS1_3repE0EEENS1_38merge_mergepath_config_static_selectorELNS0_4arch9wavefront6targetE1EEEvSH_.num_named_barrier, 0
	.set _ZN7rocprim17ROCPRIM_400000_NS6detail17trampoline_kernelINS0_14default_configENS1_38merge_sort_block_merge_config_selectorIalEEZZNS1_27merge_sort_block_merge_implIS3_PaN6thrust23THRUST_200600_302600_NS10device_ptrIlEEjNS1_19radix_merge_compareILb0ELb0EaNS0_19identity_decomposerEEEEE10hipError_tT0_T1_T2_jT3_P12ihipStream_tbPNSt15iterator_traitsISG_E10value_typeEPNSM_ISH_E10value_typeEPSI_NS1_7vsmem_tEENKUlT_SG_SH_SI_E_clIS7_S7_PlSB_EESF_SV_SG_SH_SI_EUlSV_E0_NS1_11comp_targetILNS1_3genE10ELNS1_11target_archE1201ELNS1_3gpuE5ELNS1_3repE0EEENS1_38merge_mergepath_config_static_selectorELNS0_4arch9wavefront6targetE1EEEvSH_.private_seg_size, 0
	.set _ZN7rocprim17ROCPRIM_400000_NS6detail17trampoline_kernelINS0_14default_configENS1_38merge_sort_block_merge_config_selectorIalEEZZNS1_27merge_sort_block_merge_implIS3_PaN6thrust23THRUST_200600_302600_NS10device_ptrIlEEjNS1_19radix_merge_compareILb0ELb0EaNS0_19identity_decomposerEEEEE10hipError_tT0_T1_T2_jT3_P12ihipStream_tbPNSt15iterator_traitsISG_E10value_typeEPNSM_ISH_E10value_typeEPSI_NS1_7vsmem_tEENKUlT_SG_SH_SI_E_clIS7_S7_PlSB_EESF_SV_SG_SH_SI_EUlSV_E0_NS1_11comp_targetILNS1_3genE10ELNS1_11target_archE1201ELNS1_3gpuE5ELNS1_3repE0EEENS1_38merge_mergepath_config_static_selectorELNS0_4arch9wavefront6targetE1EEEvSH_.uses_vcc, 0
	.set _ZN7rocprim17ROCPRIM_400000_NS6detail17trampoline_kernelINS0_14default_configENS1_38merge_sort_block_merge_config_selectorIalEEZZNS1_27merge_sort_block_merge_implIS3_PaN6thrust23THRUST_200600_302600_NS10device_ptrIlEEjNS1_19radix_merge_compareILb0ELb0EaNS0_19identity_decomposerEEEEE10hipError_tT0_T1_T2_jT3_P12ihipStream_tbPNSt15iterator_traitsISG_E10value_typeEPNSM_ISH_E10value_typeEPSI_NS1_7vsmem_tEENKUlT_SG_SH_SI_E_clIS7_S7_PlSB_EESF_SV_SG_SH_SI_EUlSV_E0_NS1_11comp_targetILNS1_3genE10ELNS1_11target_archE1201ELNS1_3gpuE5ELNS1_3repE0EEENS1_38merge_mergepath_config_static_selectorELNS0_4arch9wavefront6targetE1EEEvSH_.uses_flat_scratch, 0
	.set _ZN7rocprim17ROCPRIM_400000_NS6detail17trampoline_kernelINS0_14default_configENS1_38merge_sort_block_merge_config_selectorIalEEZZNS1_27merge_sort_block_merge_implIS3_PaN6thrust23THRUST_200600_302600_NS10device_ptrIlEEjNS1_19radix_merge_compareILb0ELb0EaNS0_19identity_decomposerEEEEE10hipError_tT0_T1_T2_jT3_P12ihipStream_tbPNSt15iterator_traitsISG_E10value_typeEPNSM_ISH_E10value_typeEPSI_NS1_7vsmem_tEENKUlT_SG_SH_SI_E_clIS7_S7_PlSB_EESF_SV_SG_SH_SI_EUlSV_E0_NS1_11comp_targetILNS1_3genE10ELNS1_11target_archE1201ELNS1_3gpuE5ELNS1_3repE0EEENS1_38merge_mergepath_config_static_selectorELNS0_4arch9wavefront6targetE1EEEvSH_.has_dyn_sized_stack, 0
	.set _ZN7rocprim17ROCPRIM_400000_NS6detail17trampoline_kernelINS0_14default_configENS1_38merge_sort_block_merge_config_selectorIalEEZZNS1_27merge_sort_block_merge_implIS3_PaN6thrust23THRUST_200600_302600_NS10device_ptrIlEEjNS1_19radix_merge_compareILb0ELb0EaNS0_19identity_decomposerEEEEE10hipError_tT0_T1_T2_jT3_P12ihipStream_tbPNSt15iterator_traitsISG_E10value_typeEPNSM_ISH_E10value_typeEPSI_NS1_7vsmem_tEENKUlT_SG_SH_SI_E_clIS7_S7_PlSB_EESF_SV_SG_SH_SI_EUlSV_E0_NS1_11comp_targetILNS1_3genE10ELNS1_11target_archE1201ELNS1_3gpuE5ELNS1_3repE0EEENS1_38merge_mergepath_config_static_selectorELNS0_4arch9wavefront6targetE1EEEvSH_.has_recursion, 0
	.set _ZN7rocprim17ROCPRIM_400000_NS6detail17trampoline_kernelINS0_14default_configENS1_38merge_sort_block_merge_config_selectorIalEEZZNS1_27merge_sort_block_merge_implIS3_PaN6thrust23THRUST_200600_302600_NS10device_ptrIlEEjNS1_19radix_merge_compareILb0ELb0EaNS0_19identity_decomposerEEEEE10hipError_tT0_T1_T2_jT3_P12ihipStream_tbPNSt15iterator_traitsISG_E10value_typeEPNSM_ISH_E10value_typeEPSI_NS1_7vsmem_tEENKUlT_SG_SH_SI_E_clIS7_S7_PlSB_EESF_SV_SG_SH_SI_EUlSV_E0_NS1_11comp_targetILNS1_3genE10ELNS1_11target_archE1201ELNS1_3gpuE5ELNS1_3repE0EEENS1_38merge_mergepath_config_static_selectorELNS0_4arch9wavefront6targetE1EEEvSH_.has_indirect_call, 0
	.section	.AMDGPU.csdata,"",@progbits
; Kernel info:
; codeLenInByte = 0
; TotalNumSgprs: 4
; NumVgprs: 0
; ScratchSize: 0
; MemoryBound: 0
; FloatMode: 240
; IeeeMode: 1
; LDSByteSize: 0 bytes/workgroup (compile time only)
; SGPRBlocks: 0
; VGPRBlocks: 0
; NumSGPRsForWavesPerEU: 4
; NumVGPRsForWavesPerEU: 1
; Occupancy: 10
; WaveLimiterHint : 0
; COMPUTE_PGM_RSRC2:SCRATCH_EN: 0
; COMPUTE_PGM_RSRC2:USER_SGPR: 6
; COMPUTE_PGM_RSRC2:TRAP_HANDLER: 0
; COMPUTE_PGM_RSRC2:TGID_X_EN: 1
; COMPUTE_PGM_RSRC2:TGID_Y_EN: 0
; COMPUTE_PGM_RSRC2:TGID_Z_EN: 0
; COMPUTE_PGM_RSRC2:TIDIG_COMP_CNT: 0
	.section	.text._ZN7rocprim17ROCPRIM_400000_NS6detail17trampoline_kernelINS0_14default_configENS1_38merge_sort_block_merge_config_selectorIalEEZZNS1_27merge_sort_block_merge_implIS3_PaN6thrust23THRUST_200600_302600_NS10device_ptrIlEEjNS1_19radix_merge_compareILb0ELb0EaNS0_19identity_decomposerEEEEE10hipError_tT0_T1_T2_jT3_P12ihipStream_tbPNSt15iterator_traitsISG_E10value_typeEPNSM_ISH_E10value_typeEPSI_NS1_7vsmem_tEENKUlT_SG_SH_SI_E_clIS7_S7_PlSB_EESF_SV_SG_SH_SI_EUlSV_E0_NS1_11comp_targetILNS1_3genE5ELNS1_11target_archE942ELNS1_3gpuE9ELNS1_3repE0EEENS1_38merge_mergepath_config_static_selectorELNS0_4arch9wavefront6targetE1EEEvSH_,"axG",@progbits,_ZN7rocprim17ROCPRIM_400000_NS6detail17trampoline_kernelINS0_14default_configENS1_38merge_sort_block_merge_config_selectorIalEEZZNS1_27merge_sort_block_merge_implIS3_PaN6thrust23THRUST_200600_302600_NS10device_ptrIlEEjNS1_19radix_merge_compareILb0ELb0EaNS0_19identity_decomposerEEEEE10hipError_tT0_T1_T2_jT3_P12ihipStream_tbPNSt15iterator_traitsISG_E10value_typeEPNSM_ISH_E10value_typeEPSI_NS1_7vsmem_tEENKUlT_SG_SH_SI_E_clIS7_S7_PlSB_EESF_SV_SG_SH_SI_EUlSV_E0_NS1_11comp_targetILNS1_3genE5ELNS1_11target_archE942ELNS1_3gpuE9ELNS1_3repE0EEENS1_38merge_mergepath_config_static_selectorELNS0_4arch9wavefront6targetE1EEEvSH_,comdat
	.protected	_ZN7rocprim17ROCPRIM_400000_NS6detail17trampoline_kernelINS0_14default_configENS1_38merge_sort_block_merge_config_selectorIalEEZZNS1_27merge_sort_block_merge_implIS3_PaN6thrust23THRUST_200600_302600_NS10device_ptrIlEEjNS1_19radix_merge_compareILb0ELb0EaNS0_19identity_decomposerEEEEE10hipError_tT0_T1_T2_jT3_P12ihipStream_tbPNSt15iterator_traitsISG_E10value_typeEPNSM_ISH_E10value_typeEPSI_NS1_7vsmem_tEENKUlT_SG_SH_SI_E_clIS7_S7_PlSB_EESF_SV_SG_SH_SI_EUlSV_E0_NS1_11comp_targetILNS1_3genE5ELNS1_11target_archE942ELNS1_3gpuE9ELNS1_3repE0EEENS1_38merge_mergepath_config_static_selectorELNS0_4arch9wavefront6targetE1EEEvSH_ ; -- Begin function _ZN7rocprim17ROCPRIM_400000_NS6detail17trampoline_kernelINS0_14default_configENS1_38merge_sort_block_merge_config_selectorIalEEZZNS1_27merge_sort_block_merge_implIS3_PaN6thrust23THRUST_200600_302600_NS10device_ptrIlEEjNS1_19radix_merge_compareILb0ELb0EaNS0_19identity_decomposerEEEEE10hipError_tT0_T1_T2_jT3_P12ihipStream_tbPNSt15iterator_traitsISG_E10value_typeEPNSM_ISH_E10value_typeEPSI_NS1_7vsmem_tEENKUlT_SG_SH_SI_E_clIS7_S7_PlSB_EESF_SV_SG_SH_SI_EUlSV_E0_NS1_11comp_targetILNS1_3genE5ELNS1_11target_archE942ELNS1_3gpuE9ELNS1_3repE0EEENS1_38merge_mergepath_config_static_selectorELNS0_4arch9wavefront6targetE1EEEvSH_
	.globl	_ZN7rocprim17ROCPRIM_400000_NS6detail17trampoline_kernelINS0_14default_configENS1_38merge_sort_block_merge_config_selectorIalEEZZNS1_27merge_sort_block_merge_implIS3_PaN6thrust23THRUST_200600_302600_NS10device_ptrIlEEjNS1_19radix_merge_compareILb0ELb0EaNS0_19identity_decomposerEEEEE10hipError_tT0_T1_T2_jT3_P12ihipStream_tbPNSt15iterator_traitsISG_E10value_typeEPNSM_ISH_E10value_typeEPSI_NS1_7vsmem_tEENKUlT_SG_SH_SI_E_clIS7_S7_PlSB_EESF_SV_SG_SH_SI_EUlSV_E0_NS1_11comp_targetILNS1_3genE5ELNS1_11target_archE942ELNS1_3gpuE9ELNS1_3repE0EEENS1_38merge_mergepath_config_static_selectorELNS0_4arch9wavefront6targetE1EEEvSH_
	.p2align	8
	.type	_ZN7rocprim17ROCPRIM_400000_NS6detail17trampoline_kernelINS0_14default_configENS1_38merge_sort_block_merge_config_selectorIalEEZZNS1_27merge_sort_block_merge_implIS3_PaN6thrust23THRUST_200600_302600_NS10device_ptrIlEEjNS1_19radix_merge_compareILb0ELb0EaNS0_19identity_decomposerEEEEE10hipError_tT0_T1_T2_jT3_P12ihipStream_tbPNSt15iterator_traitsISG_E10value_typeEPNSM_ISH_E10value_typeEPSI_NS1_7vsmem_tEENKUlT_SG_SH_SI_E_clIS7_S7_PlSB_EESF_SV_SG_SH_SI_EUlSV_E0_NS1_11comp_targetILNS1_3genE5ELNS1_11target_archE942ELNS1_3gpuE9ELNS1_3repE0EEENS1_38merge_mergepath_config_static_selectorELNS0_4arch9wavefront6targetE1EEEvSH_,@function
_ZN7rocprim17ROCPRIM_400000_NS6detail17trampoline_kernelINS0_14default_configENS1_38merge_sort_block_merge_config_selectorIalEEZZNS1_27merge_sort_block_merge_implIS3_PaN6thrust23THRUST_200600_302600_NS10device_ptrIlEEjNS1_19radix_merge_compareILb0ELb0EaNS0_19identity_decomposerEEEEE10hipError_tT0_T1_T2_jT3_P12ihipStream_tbPNSt15iterator_traitsISG_E10value_typeEPNSM_ISH_E10value_typeEPSI_NS1_7vsmem_tEENKUlT_SG_SH_SI_E_clIS7_S7_PlSB_EESF_SV_SG_SH_SI_EUlSV_E0_NS1_11comp_targetILNS1_3genE5ELNS1_11target_archE942ELNS1_3gpuE9ELNS1_3repE0EEENS1_38merge_mergepath_config_static_selectorELNS0_4arch9wavefront6targetE1EEEvSH_: ; @_ZN7rocprim17ROCPRIM_400000_NS6detail17trampoline_kernelINS0_14default_configENS1_38merge_sort_block_merge_config_selectorIalEEZZNS1_27merge_sort_block_merge_implIS3_PaN6thrust23THRUST_200600_302600_NS10device_ptrIlEEjNS1_19radix_merge_compareILb0ELb0EaNS0_19identity_decomposerEEEEE10hipError_tT0_T1_T2_jT3_P12ihipStream_tbPNSt15iterator_traitsISG_E10value_typeEPNSM_ISH_E10value_typeEPSI_NS1_7vsmem_tEENKUlT_SG_SH_SI_E_clIS7_S7_PlSB_EESF_SV_SG_SH_SI_EUlSV_E0_NS1_11comp_targetILNS1_3genE5ELNS1_11target_archE942ELNS1_3gpuE9ELNS1_3repE0EEENS1_38merge_mergepath_config_static_selectorELNS0_4arch9wavefront6targetE1EEEvSH_
; %bb.0:
	.section	.rodata,"a",@progbits
	.p2align	6, 0x0
	.amdhsa_kernel _ZN7rocprim17ROCPRIM_400000_NS6detail17trampoline_kernelINS0_14default_configENS1_38merge_sort_block_merge_config_selectorIalEEZZNS1_27merge_sort_block_merge_implIS3_PaN6thrust23THRUST_200600_302600_NS10device_ptrIlEEjNS1_19radix_merge_compareILb0ELb0EaNS0_19identity_decomposerEEEEE10hipError_tT0_T1_T2_jT3_P12ihipStream_tbPNSt15iterator_traitsISG_E10value_typeEPNSM_ISH_E10value_typeEPSI_NS1_7vsmem_tEENKUlT_SG_SH_SI_E_clIS7_S7_PlSB_EESF_SV_SG_SH_SI_EUlSV_E0_NS1_11comp_targetILNS1_3genE5ELNS1_11target_archE942ELNS1_3gpuE9ELNS1_3repE0EEENS1_38merge_mergepath_config_static_selectorELNS0_4arch9wavefront6targetE1EEEvSH_
		.amdhsa_group_segment_fixed_size 0
		.amdhsa_private_segment_fixed_size 0
		.amdhsa_kernarg_size 64
		.amdhsa_user_sgpr_count 6
		.amdhsa_user_sgpr_private_segment_buffer 1
		.amdhsa_user_sgpr_dispatch_ptr 0
		.amdhsa_user_sgpr_queue_ptr 0
		.amdhsa_user_sgpr_kernarg_segment_ptr 1
		.amdhsa_user_sgpr_dispatch_id 0
		.amdhsa_user_sgpr_flat_scratch_init 0
		.amdhsa_user_sgpr_private_segment_size 0
		.amdhsa_uses_dynamic_stack 0
		.amdhsa_system_sgpr_private_segment_wavefront_offset 0
		.amdhsa_system_sgpr_workgroup_id_x 1
		.amdhsa_system_sgpr_workgroup_id_y 0
		.amdhsa_system_sgpr_workgroup_id_z 0
		.amdhsa_system_sgpr_workgroup_info 0
		.amdhsa_system_vgpr_workitem_id 0
		.amdhsa_next_free_vgpr 1
		.amdhsa_next_free_sgpr 0
		.amdhsa_reserve_vcc 0
		.amdhsa_reserve_flat_scratch 0
		.amdhsa_float_round_mode_32 0
		.amdhsa_float_round_mode_16_64 0
		.amdhsa_float_denorm_mode_32 3
		.amdhsa_float_denorm_mode_16_64 3
		.amdhsa_dx10_clamp 1
		.amdhsa_ieee_mode 1
		.amdhsa_fp16_overflow 0
		.amdhsa_exception_fp_ieee_invalid_op 0
		.amdhsa_exception_fp_denorm_src 0
		.amdhsa_exception_fp_ieee_div_zero 0
		.amdhsa_exception_fp_ieee_overflow 0
		.amdhsa_exception_fp_ieee_underflow 0
		.amdhsa_exception_fp_ieee_inexact 0
		.amdhsa_exception_int_div_zero 0
	.end_amdhsa_kernel
	.section	.text._ZN7rocprim17ROCPRIM_400000_NS6detail17trampoline_kernelINS0_14default_configENS1_38merge_sort_block_merge_config_selectorIalEEZZNS1_27merge_sort_block_merge_implIS3_PaN6thrust23THRUST_200600_302600_NS10device_ptrIlEEjNS1_19radix_merge_compareILb0ELb0EaNS0_19identity_decomposerEEEEE10hipError_tT0_T1_T2_jT3_P12ihipStream_tbPNSt15iterator_traitsISG_E10value_typeEPNSM_ISH_E10value_typeEPSI_NS1_7vsmem_tEENKUlT_SG_SH_SI_E_clIS7_S7_PlSB_EESF_SV_SG_SH_SI_EUlSV_E0_NS1_11comp_targetILNS1_3genE5ELNS1_11target_archE942ELNS1_3gpuE9ELNS1_3repE0EEENS1_38merge_mergepath_config_static_selectorELNS0_4arch9wavefront6targetE1EEEvSH_,"axG",@progbits,_ZN7rocprim17ROCPRIM_400000_NS6detail17trampoline_kernelINS0_14default_configENS1_38merge_sort_block_merge_config_selectorIalEEZZNS1_27merge_sort_block_merge_implIS3_PaN6thrust23THRUST_200600_302600_NS10device_ptrIlEEjNS1_19radix_merge_compareILb0ELb0EaNS0_19identity_decomposerEEEEE10hipError_tT0_T1_T2_jT3_P12ihipStream_tbPNSt15iterator_traitsISG_E10value_typeEPNSM_ISH_E10value_typeEPSI_NS1_7vsmem_tEENKUlT_SG_SH_SI_E_clIS7_S7_PlSB_EESF_SV_SG_SH_SI_EUlSV_E0_NS1_11comp_targetILNS1_3genE5ELNS1_11target_archE942ELNS1_3gpuE9ELNS1_3repE0EEENS1_38merge_mergepath_config_static_selectorELNS0_4arch9wavefront6targetE1EEEvSH_,comdat
.Lfunc_end488:
	.size	_ZN7rocprim17ROCPRIM_400000_NS6detail17trampoline_kernelINS0_14default_configENS1_38merge_sort_block_merge_config_selectorIalEEZZNS1_27merge_sort_block_merge_implIS3_PaN6thrust23THRUST_200600_302600_NS10device_ptrIlEEjNS1_19radix_merge_compareILb0ELb0EaNS0_19identity_decomposerEEEEE10hipError_tT0_T1_T2_jT3_P12ihipStream_tbPNSt15iterator_traitsISG_E10value_typeEPNSM_ISH_E10value_typeEPSI_NS1_7vsmem_tEENKUlT_SG_SH_SI_E_clIS7_S7_PlSB_EESF_SV_SG_SH_SI_EUlSV_E0_NS1_11comp_targetILNS1_3genE5ELNS1_11target_archE942ELNS1_3gpuE9ELNS1_3repE0EEENS1_38merge_mergepath_config_static_selectorELNS0_4arch9wavefront6targetE1EEEvSH_, .Lfunc_end488-_ZN7rocprim17ROCPRIM_400000_NS6detail17trampoline_kernelINS0_14default_configENS1_38merge_sort_block_merge_config_selectorIalEEZZNS1_27merge_sort_block_merge_implIS3_PaN6thrust23THRUST_200600_302600_NS10device_ptrIlEEjNS1_19radix_merge_compareILb0ELb0EaNS0_19identity_decomposerEEEEE10hipError_tT0_T1_T2_jT3_P12ihipStream_tbPNSt15iterator_traitsISG_E10value_typeEPNSM_ISH_E10value_typeEPSI_NS1_7vsmem_tEENKUlT_SG_SH_SI_E_clIS7_S7_PlSB_EESF_SV_SG_SH_SI_EUlSV_E0_NS1_11comp_targetILNS1_3genE5ELNS1_11target_archE942ELNS1_3gpuE9ELNS1_3repE0EEENS1_38merge_mergepath_config_static_selectorELNS0_4arch9wavefront6targetE1EEEvSH_
                                        ; -- End function
	.set _ZN7rocprim17ROCPRIM_400000_NS6detail17trampoline_kernelINS0_14default_configENS1_38merge_sort_block_merge_config_selectorIalEEZZNS1_27merge_sort_block_merge_implIS3_PaN6thrust23THRUST_200600_302600_NS10device_ptrIlEEjNS1_19radix_merge_compareILb0ELb0EaNS0_19identity_decomposerEEEEE10hipError_tT0_T1_T2_jT3_P12ihipStream_tbPNSt15iterator_traitsISG_E10value_typeEPNSM_ISH_E10value_typeEPSI_NS1_7vsmem_tEENKUlT_SG_SH_SI_E_clIS7_S7_PlSB_EESF_SV_SG_SH_SI_EUlSV_E0_NS1_11comp_targetILNS1_3genE5ELNS1_11target_archE942ELNS1_3gpuE9ELNS1_3repE0EEENS1_38merge_mergepath_config_static_selectorELNS0_4arch9wavefront6targetE1EEEvSH_.num_vgpr, 0
	.set _ZN7rocprim17ROCPRIM_400000_NS6detail17trampoline_kernelINS0_14default_configENS1_38merge_sort_block_merge_config_selectorIalEEZZNS1_27merge_sort_block_merge_implIS3_PaN6thrust23THRUST_200600_302600_NS10device_ptrIlEEjNS1_19radix_merge_compareILb0ELb0EaNS0_19identity_decomposerEEEEE10hipError_tT0_T1_T2_jT3_P12ihipStream_tbPNSt15iterator_traitsISG_E10value_typeEPNSM_ISH_E10value_typeEPSI_NS1_7vsmem_tEENKUlT_SG_SH_SI_E_clIS7_S7_PlSB_EESF_SV_SG_SH_SI_EUlSV_E0_NS1_11comp_targetILNS1_3genE5ELNS1_11target_archE942ELNS1_3gpuE9ELNS1_3repE0EEENS1_38merge_mergepath_config_static_selectorELNS0_4arch9wavefront6targetE1EEEvSH_.num_agpr, 0
	.set _ZN7rocprim17ROCPRIM_400000_NS6detail17trampoline_kernelINS0_14default_configENS1_38merge_sort_block_merge_config_selectorIalEEZZNS1_27merge_sort_block_merge_implIS3_PaN6thrust23THRUST_200600_302600_NS10device_ptrIlEEjNS1_19radix_merge_compareILb0ELb0EaNS0_19identity_decomposerEEEEE10hipError_tT0_T1_T2_jT3_P12ihipStream_tbPNSt15iterator_traitsISG_E10value_typeEPNSM_ISH_E10value_typeEPSI_NS1_7vsmem_tEENKUlT_SG_SH_SI_E_clIS7_S7_PlSB_EESF_SV_SG_SH_SI_EUlSV_E0_NS1_11comp_targetILNS1_3genE5ELNS1_11target_archE942ELNS1_3gpuE9ELNS1_3repE0EEENS1_38merge_mergepath_config_static_selectorELNS0_4arch9wavefront6targetE1EEEvSH_.numbered_sgpr, 0
	.set _ZN7rocprim17ROCPRIM_400000_NS6detail17trampoline_kernelINS0_14default_configENS1_38merge_sort_block_merge_config_selectorIalEEZZNS1_27merge_sort_block_merge_implIS3_PaN6thrust23THRUST_200600_302600_NS10device_ptrIlEEjNS1_19radix_merge_compareILb0ELb0EaNS0_19identity_decomposerEEEEE10hipError_tT0_T1_T2_jT3_P12ihipStream_tbPNSt15iterator_traitsISG_E10value_typeEPNSM_ISH_E10value_typeEPSI_NS1_7vsmem_tEENKUlT_SG_SH_SI_E_clIS7_S7_PlSB_EESF_SV_SG_SH_SI_EUlSV_E0_NS1_11comp_targetILNS1_3genE5ELNS1_11target_archE942ELNS1_3gpuE9ELNS1_3repE0EEENS1_38merge_mergepath_config_static_selectorELNS0_4arch9wavefront6targetE1EEEvSH_.num_named_barrier, 0
	.set _ZN7rocprim17ROCPRIM_400000_NS6detail17trampoline_kernelINS0_14default_configENS1_38merge_sort_block_merge_config_selectorIalEEZZNS1_27merge_sort_block_merge_implIS3_PaN6thrust23THRUST_200600_302600_NS10device_ptrIlEEjNS1_19radix_merge_compareILb0ELb0EaNS0_19identity_decomposerEEEEE10hipError_tT0_T1_T2_jT3_P12ihipStream_tbPNSt15iterator_traitsISG_E10value_typeEPNSM_ISH_E10value_typeEPSI_NS1_7vsmem_tEENKUlT_SG_SH_SI_E_clIS7_S7_PlSB_EESF_SV_SG_SH_SI_EUlSV_E0_NS1_11comp_targetILNS1_3genE5ELNS1_11target_archE942ELNS1_3gpuE9ELNS1_3repE0EEENS1_38merge_mergepath_config_static_selectorELNS0_4arch9wavefront6targetE1EEEvSH_.private_seg_size, 0
	.set _ZN7rocprim17ROCPRIM_400000_NS6detail17trampoline_kernelINS0_14default_configENS1_38merge_sort_block_merge_config_selectorIalEEZZNS1_27merge_sort_block_merge_implIS3_PaN6thrust23THRUST_200600_302600_NS10device_ptrIlEEjNS1_19radix_merge_compareILb0ELb0EaNS0_19identity_decomposerEEEEE10hipError_tT0_T1_T2_jT3_P12ihipStream_tbPNSt15iterator_traitsISG_E10value_typeEPNSM_ISH_E10value_typeEPSI_NS1_7vsmem_tEENKUlT_SG_SH_SI_E_clIS7_S7_PlSB_EESF_SV_SG_SH_SI_EUlSV_E0_NS1_11comp_targetILNS1_3genE5ELNS1_11target_archE942ELNS1_3gpuE9ELNS1_3repE0EEENS1_38merge_mergepath_config_static_selectorELNS0_4arch9wavefront6targetE1EEEvSH_.uses_vcc, 0
	.set _ZN7rocprim17ROCPRIM_400000_NS6detail17trampoline_kernelINS0_14default_configENS1_38merge_sort_block_merge_config_selectorIalEEZZNS1_27merge_sort_block_merge_implIS3_PaN6thrust23THRUST_200600_302600_NS10device_ptrIlEEjNS1_19radix_merge_compareILb0ELb0EaNS0_19identity_decomposerEEEEE10hipError_tT0_T1_T2_jT3_P12ihipStream_tbPNSt15iterator_traitsISG_E10value_typeEPNSM_ISH_E10value_typeEPSI_NS1_7vsmem_tEENKUlT_SG_SH_SI_E_clIS7_S7_PlSB_EESF_SV_SG_SH_SI_EUlSV_E0_NS1_11comp_targetILNS1_3genE5ELNS1_11target_archE942ELNS1_3gpuE9ELNS1_3repE0EEENS1_38merge_mergepath_config_static_selectorELNS0_4arch9wavefront6targetE1EEEvSH_.uses_flat_scratch, 0
	.set _ZN7rocprim17ROCPRIM_400000_NS6detail17trampoline_kernelINS0_14default_configENS1_38merge_sort_block_merge_config_selectorIalEEZZNS1_27merge_sort_block_merge_implIS3_PaN6thrust23THRUST_200600_302600_NS10device_ptrIlEEjNS1_19radix_merge_compareILb0ELb0EaNS0_19identity_decomposerEEEEE10hipError_tT0_T1_T2_jT3_P12ihipStream_tbPNSt15iterator_traitsISG_E10value_typeEPNSM_ISH_E10value_typeEPSI_NS1_7vsmem_tEENKUlT_SG_SH_SI_E_clIS7_S7_PlSB_EESF_SV_SG_SH_SI_EUlSV_E0_NS1_11comp_targetILNS1_3genE5ELNS1_11target_archE942ELNS1_3gpuE9ELNS1_3repE0EEENS1_38merge_mergepath_config_static_selectorELNS0_4arch9wavefront6targetE1EEEvSH_.has_dyn_sized_stack, 0
	.set _ZN7rocprim17ROCPRIM_400000_NS6detail17trampoline_kernelINS0_14default_configENS1_38merge_sort_block_merge_config_selectorIalEEZZNS1_27merge_sort_block_merge_implIS3_PaN6thrust23THRUST_200600_302600_NS10device_ptrIlEEjNS1_19radix_merge_compareILb0ELb0EaNS0_19identity_decomposerEEEEE10hipError_tT0_T1_T2_jT3_P12ihipStream_tbPNSt15iterator_traitsISG_E10value_typeEPNSM_ISH_E10value_typeEPSI_NS1_7vsmem_tEENKUlT_SG_SH_SI_E_clIS7_S7_PlSB_EESF_SV_SG_SH_SI_EUlSV_E0_NS1_11comp_targetILNS1_3genE5ELNS1_11target_archE942ELNS1_3gpuE9ELNS1_3repE0EEENS1_38merge_mergepath_config_static_selectorELNS0_4arch9wavefront6targetE1EEEvSH_.has_recursion, 0
	.set _ZN7rocprim17ROCPRIM_400000_NS6detail17trampoline_kernelINS0_14default_configENS1_38merge_sort_block_merge_config_selectorIalEEZZNS1_27merge_sort_block_merge_implIS3_PaN6thrust23THRUST_200600_302600_NS10device_ptrIlEEjNS1_19radix_merge_compareILb0ELb0EaNS0_19identity_decomposerEEEEE10hipError_tT0_T1_T2_jT3_P12ihipStream_tbPNSt15iterator_traitsISG_E10value_typeEPNSM_ISH_E10value_typeEPSI_NS1_7vsmem_tEENKUlT_SG_SH_SI_E_clIS7_S7_PlSB_EESF_SV_SG_SH_SI_EUlSV_E0_NS1_11comp_targetILNS1_3genE5ELNS1_11target_archE942ELNS1_3gpuE9ELNS1_3repE0EEENS1_38merge_mergepath_config_static_selectorELNS0_4arch9wavefront6targetE1EEEvSH_.has_indirect_call, 0
	.section	.AMDGPU.csdata,"",@progbits
; Kernel info:
; codeLenInByte = 0
; TotalNumSgprs: 4
; NumVgprs: 0
; ScratchSize: 0
; MemoryBound: 0
; FloatMode: 240
; IeeeMode: 1
; LDSByteSize: 0 bytes/workgroup (compile time only)
; SGPRBlocks: 0
; VGPRBlocks: 0
; NumSGPRsForWavesPerEU: 4
; NumVGPRsForWavesPerEU: 1
; Occupancy: 10
; WaveLimiterHint : 0
; COMPUTE_PGM_RSRC2:SCRATCH_EN: 0
; COMPUTE_PGM_RSRC2:USER_SGPR: 6
; COMPUTE_PGM_RSRC2:TRAP_HANDLER: 0
; COMPUTE_PGM_RSRC2:TGID_X_EN: 1
; COMPUTE_PGM_RSRC2:TGID_Y_EN: 0
; COMPUTE_PGM_RSRC2:TGID_Z_EN: 0
; COMPUTE_PGM_RSRC2:TIDIG_COMP_CNT: 0
	.section	.text._ZN7rocprim17ROCPRIM_400000_NS6detail17trampoline_kernelINS0_14default_configENS1_38merge_sort_block_merge_config_selectorIalEEZZNS1_27merge_sort_block_merge_implIS3_PaN6thrust23THRUST_200600_302600_NS10device_ptrIlEEjNS1_19radix_merge_compareILb0ELb0EaNS0_19identity_decomposerEEEEE10hipError_tT0_T1_T2_jT3_P12ihipStream_tbPNSt15iterator_traitsISG_E10value_typeEPNSM_ISH_E10value_typeEPSI_NS1_7vsmem_tEENKUlT_SG_SH_SI_E_clIS7_S7_PlSB_EESF_SV_SG_SH_SI_EUlSV_E0_NS1_11comp_targetILNS1_3genE4ELNS1_11target_archE910ELNS1_3gpuE8ELNS1_3repE0EEENS1_38merge_mergepath_config_static_selectorELNS0_4arch9wavefront6targetE1EEEvSH_,"axG",@progbits,_ZN7rocprim17ROCPRIM_400000_NS6detail17trampoline_kernelINS0_14default_configENS1_38merge_sort_block_merge_config_selectorIalEEZZNS1_27merge_sort_block_merge_implIS3_PaN6thrust23THRUST_200600_302600_NS10device_ptrIlEEjNS1_19radix_merge_compareILb0ELb0EaNS0_19identity_decomposerEEEEE10hipError_tT0_T1_T2_jT3_P12ihipStream_tbPNSt15iterator_traitsISG_E10value_typeEPNSM_ISH_E10value_typeEPSI_NS1_7vsmem_tEENKUlT_SG_SH_SI_E_clIS7_S7_PlSB_EESF_SV_SG_SH_SI_EUlSV_E0_NS1_11comp_targetILNS1_3genE4ELNS1_11target_archE910ELNS1_3gpuE8ELNS1_3repE0EEENS1_38merge_mergepath_config_static_selectorELNS0_4arch9wavefront6targetE1EEEvSH_,comdat
	.protected	_ZN7rocprim17ROCPRIM_400000_NS6detail17trampoline_kernelINS0_14default_configENS1_38merge_sort_block_merge_config_selectorIalEEZZNS1_27merge_sort_block_merge_implIS3_PaN6thrust23THRUST_200600_302600_NS10device_ptrIlEEjNS1_19radix_merge_compareILb0ELb0EaNS0_19identity_decomposerEEEEE10hipError_tT0_T1_T2_jT3_P12ihipStream_tbPNSt15iterator_traitsISG_E10value_typeEPNSM_ISH_E10value_typeEPSI_NS1_7vsmem_tEENKUlT_SG_SH_SI_E_clIS7_S7_PlSB_EESF_SV_SG_SH_SI_EUlSV_E0_NS1_11comp_targetILNS1_3genE4ELNS1_11target_archE910ELNS1_3gpuE8ELNS1_3repE0EEENS1_38merge_mergepath_config_static_selectorELNS0_4arch9wavefront6targetE1EEEvSH_ ; -- Begin function _ZN7rocprim17ROCPRIM_400000_NS6detail17trampoline_kernelINS0_14default_configENS1_38merge_sort_block_merge_config_selectorIalEEZZNS1_27merge_sort_block_merge_implIS3_PaN6thrust23THRUST_200600_302600_NS10device_ptrIlEEjNS1_19radix_merge_compareILb0ELb0EaNS0_19identity_decomposerEEEEE10hipError_tT0_T1_T2_jT3_P12ihipStream_tbPNSt15iterator_traitsISG_E10value_typeEPNSM_ISH_E10value_typeEPSI_NS1_7vsmem_tEENKUlT_SG_SH_SI_E_clIS7_S7_PlSB_EESF_SV_SG_SH_SI_EUlSV_E0_NS1_11comp_targetILNS1_3genE4ELNS1_11target_archE910ELNS1_3gpuE8ELNS1_3repE0EEENS1_38merge_mergepath_config_static_selectorELNS0_4arch9wavefront6targetE1EEEvSH_
	.globl	_ZN7rocprim17ROCPRIM_400000_NS6detail17trampoline_kernelINS0_14default_configENS1_38merge_sort_block_merge_config_selectorIalEEZZNS1_27merge_sort_block_merge_implIS3_PaN6thrust23THRUST_200600_302600_NS10device_ptrIlEEjNS1_19radix_merge_compareILb0ELb0EaNS0_19identity_decomposerEEEEE10hipError_tT0_T1_T2_jT3_P12ihipStream_tbPNSt15iterator_traitsISG_E10value_typeEPNSM_ISH_E10value_typeEPSI_NS1_7vsmem_tEENKUlT_SG_SH_SI_E_clIS7_S7_PlSB_EESF_SV_SG_SH_SI_EUlSV_E0_NS1_11comp_targetILNS1_3genE4ELNS1_11target_archE910ELNS1_3gpuE8ELNS1_3repE0EEENS1_38merge_mergepath_config_static_selectorELNS0_4arch9wavefront6targetE1EEEvSH_
	.p2align	8
	.type	_ZN7rocprim17ROCPRIM_400000_NS6detail17trampoline_kernelINS0_14default_configENS1_38merge_sort_block_merge_config_selectorIalEEZZNS1_27merge_sort_block_merge_implIS3_PaN6thrust23THRUST_200600_302600_NS10device_ptrIlEEjNS1_19radix_merge_compareILb0ELb0EaNS0_19identity_decomposerEEEEE10hipError_tT0_T1_T2_jT3_P12ihipStream_tbPNSt15iterator_traitsISG_E10value_typeEPNSM_ISH_E10value_typeEPSI_NS1_7vsmem_tEENKUlT_SG_SH_SI_E_clIS7_S7_PlSB_EESF_SV_SG_SH_SI_EUlSV_E0_NS1_11comp_targetILNS1_3genE4ELNS1_11target_archE910ELNS1_3gpuE8ELNS1_3repE0EEENS1_38merge_mergepath_config_static_selectorELNS0_4arch9wavefront6targetE1EEEvSH_,@function
_ZN7rocprim17ROCPRIM_400000_NS6detail17trampoline_kernelINS0_14default_configENS1_38merge_sort_block_merge_config_selectorIalEEZZNS1_27merge_sort_block_merge_implIS3_PaN6thrust23THRUST_200600_302600_NS10device_ptrIlEEjNS1_19radix_merge_compareILb0ELb0EaNS0_19identity_decomposerEEEEE10hipError_tT0_T1_T2_jT3_P12ihipStream_tbPNSt15iterator_traitsISG_E10value_typeEPNSM_ISH_E10value_typeEPSI_NS1_7vsmem_tEENKUlT_SG_SH_SI_E_clIS7_S7_PlSB_EESF_SV_SG_SH_SI_EUlSV_E0_NS1_11comp_targetILNS1_3genE4ELNS1_11target_archE910ELNS1_3gpuE8ELNS1_3repE0EEENS1_38merge_mergepath_config_static_selectorELNS0_4arch9wavefront6targetE1EEEvSH_: ; @_ZN7rocprim17ROCPRIM_400000_NS6detail17trampoline_kernelINS0_14default_configENS1_38merge_sort_block_merge_config_selectorIalEEZZNS1_27merge_sort_block_merge_implIS3_PaN6thrust23THRUST_200600_302600_NS10device_ptrIlEEjNS1_19radix_merge_compareILb0ELb0EaNS0_19identity_decomposerEEEEE10hipError_tT0_T1_T2_jT3_P12ihipStream_tbPNSt15iterator_traitsISG_E10value_typeEPNSM_ISH_E10value_typeEPSI_NS1_7vsmem_tEENKUlT_SG_SH_SI_E_clIS7_S7_PlSB_EESF_SV_SG_SH_SI_EUlSV_E0_NS1_11comp_targetILNS1_3genE4ELNS1_11target_archE910ELNS1_3gpuE8ELNS1_3repE0EEENS1_38merge_mergepath_config_static_selectorELNS0_4arch9wavefront6targetE1EEEvSH_
; %bb.0:
	.section	.rodata,"a",@progbits
	.p2align	6, 0x0
	.amdhsa_kernel _ZN7rocprim17ROCPRIM_400000_NS6detail17trampoline_kernelINS0_14default_configENS1_38merge_sort_block_merge_config_selectorIalEEZZNS1_27merge_sort_block_merge_implIS3_PaN6thrust23THRUST_200600_302600_NS10device_ptrIlEEjNS1_19radix_merge_compareILb0ELb0EaNS0_19identity_decomposerEEEEE10hipError_tT0_T1_T2_jT3_P12ihipStream_tbPNSt15iterator_traitsISG_E10value_typeEPNSM_ISH_E10value_typeEPSI_NS1_7vsmem_tEENKUlT_SG_SH_SI_E_clIS7_S7_PlSB_EESF_SV_SG_SH_SI_EUlSV_E0_NS1_11comp_targetILNS1_3genE4ELNS1_11target_archE910ELNS1_3gpuE8ELNS1_3repE0EEENS1_38merge_mergepath_config_static_selectorELNS0_4arch9wavefront6targetE1EEEvSH_
		.amdhsa_group_segment_fixed_size 0
		.amdhsa_private_segment_fixed_size 0
		.amdhsa_kernarg_size 64
		.amdhsa_user_sgpr_count 6
		.amdhsa_user_sgpr_private_segment_buffer 1
		.amdhsa_user_sgpr_dispatch_ptr 0
		.amdhsa_user_sgpr_queue_ptr 0
		.amdhsa_user_sgpr_kernarg_segment_ptr 1
		.amdhsa_user_sgpr_dispatch_id 0
		.amdhsa_user_sgpr_flat_scratch_init 0
		.amdhsa_user_sgpr_private_segment_size 0
		.amdhsa_uses_dynamic_stack 0
		.amdhsa_system_sgpr_private_segment_wavefront_offset 0
		.amdhsa_system_sgpr_workgroup_id_x 1
		.amdhsa_system_sgpr_workgroup_id_y 0
		.amdhsa_system_sgpr_workgroup_id_z 0
		.amdhsa_system_sgpr_workgroup_info 0
		.amdhsa_system_vgpr_workitem_id 0
		.amdhsa_next_free_vgpr 1
		.amdhsa_next_free_sgpr 0
		.amdhsa_reserve_vcc 0
		.amdhsa_reserve_flat_scratch 0
		.amdhsa_float_round_mode_32 0
		.amdhsa_float_round_mode_16_64 0
		.amdhsa_float_denorm_mode_32 3
		.amdhsa_float_denorm_mode_16_64 3
		.amdhsa_dx10_clamp 1
		.amdhsa_ieee_mode 1
		.amdhsa_fp16_overflow 0
		.amdhsa_exception_fp_ieee_invalid_op 0
		.amdhsa_exception_fp_denorm_src 0
		.amdhsa_exception_fp_ieee_div_zero 0
		.amdhsa_exception_fp_ieee_overflow 0
		.amdhsa_exception_fp_ieee_underflow 0
		.amdhsa_exception_fp_ieee_inexact 0
		.amdhsa_exception_int_div_zero 0
	.end_amdhsa_kernel
	.section	.text._ZN7rocprim17ROCPRIM_400000_NS6detail17trampoline_kernelINS0_14default_configENS1_38merge_sort_block_merge_config_selectorIalEEZZNS1_27merge_sort_block_merge_implIS3_PaN6thrust23THRUST_200600_302600_NS10device_ptrIlEEjNS1_19radix_merge_compareILb0ELb0EaNS0_19identity_decomposerEEEEE10hipError_tT0_T1_T2_jT3_P12ihipStream_tbPNSt15iterator_traitsISG_E10value_typeEPNSM_ISH_E10value_typeEPSI_NS1_7vsmem_tEENKUlT_SG_SH_SI_E_clIS7_S7_PlSB_EESF_SV_SG_SH_SI_EUlSV_E0_NS1_11comp_targetILNS1_3genE4ELNS1_11target_archE910ELNS1_3gpuE8ELNS1_3repE0EEENS1_38merge_mergepath_config_static_selectorELNS0_4arch9wavefront6targetE1EEEvSH_,"axG",@progbits,_ZN7rocprim17ROCPRIM_400000_NS6detail17trampoline_kernelINS0_14default_configENS1_38merge_sort_block_merge_config_selectorIalEEZZNS1_27merge_sort_block_merge_implIS3_PaN6thrust23THRUST_200600_302600_NS10device_ptrIlEEjNS1_19radix_merge_compareILb0ELb0EaNS0_19identity_decomposerEEEEE10hipError_tT0_T1_T2_jT3_P12ihipStream_tbPNSt15iterator_traitsISG_E10value_typeEPNSM_ISH_E10value_typeEPSI_NS1_7vsmem_tEENKUlT_SG_SH_SI_E_clIS7_S7_PlSB_EESF_SV_SG_SH_SI_EUlSV_E0_NS1_11comp_targetILNS1_3genE4ELNS1_11target_archE910ELNS1_3gpuE8ELNS1_3repE0EEENS1_38merge_mergepath_config_static_selectorELNS0_4arch9wavefront6targetE1EEEvSH_,comdat
.Lfunc_end489:
	.size	_ZN7rocprim17ROCPRIM_400000_NS6detail17trampoline_kernelINS0_14default_configENS1_38merge_sort_block_merge_config_selectorIalEEZZNS1_27merge_sort_block_merge_implIS3_PaN6thrust23THRUST_200600_302600_NS10device_ptrIlEEjNS1_19radix_merge_compareILb0ELb0EaNS0_19identity_decomposerEEEEE10hipError_tT0_T1_T2_jT3_P12ihipStream_tbPNSt15iterator_traitsISG_E10value_typeEPNSM_ISH_E10value_typeEPSI_NS1_7vsmem_tEENKUlT_SG_SH_SI_E_clIS7_S7_PlSB_EESF_SV_SG_SH_SI_EUlSV_E0_NS1_11comp_targetILNS1_3genE4ELNS1_11target_archE910ELNS1_3gpuE8ELNS1_3repE0EEENS1_38merge_mergepath_config_static_selectorELNS0_4arch9wavefront6targetE1EEEvSH_, .Lfunc_end489-_ZN7rocprim17ROCPRIM_400000_NS6detail17trampoline_kernelINS0_14default_configENS1_38merge_sort_block_merge_config_selectorIalEEZZNS1_27merge_sort_block_merge_implIS3_PaN6thrust23THRUST_200600_302600_NS10device_ptrIlEEjNS1_19radix_merge_compareILb0ELb0EaNS0_19identity_decomposerEEEEE10hipError_tT0_T1_T2_jT3_P12ihipStream_tbPNSt15iterator_traitsISG_E10value_typeEPNSM_ISH_E10value_typeEPSI_NS1_7vsmem_tEENKUlT_SG_SH_SI_E_clIS7_S7_PlSB_EESF_SV_SG_SH_SI_EUlSV_E0_NS1_11comp_targetILNS1_3genE4ELNS1_11target_archE910ELNS1_3gpuE8ELNS1_3repE0EEENS1_38merge_mergepath_config_static_selectorELNS0_4arch9wavefront6targetE1EEEvSH_
                                        ; -- End function
	.set _ZN7rocprim17ROCPRIM_400000_NS6detail17trampoline_kernelINS0_14default_configENS1_38merge_sort_block_merge_config_selectorIalEEZZNS1_27merge_sort_block_merge_implIS3_PaN6thrust23THRUST_200600_302600_NS10device_ptrIlEEjNS1_19radix_merge_compareILb0ELb0EaNS0_19identity_decomposerEEEEE10hipError_tT0_T1_T2_jT3_P12ihipStream_tbPNSt15iterator_traitsISG_E10value_typeEPNSM_ISH_E10value_typeEPSI_NS1_7vsmem_tEENKUlT_SG_SH_SI_E_clIS7_S7_PlSB_EESF_SV_SG_SH_SI_EUlSV_E0_NS1_11comp_targetILNS1_3genE4ELNS1_11target_archE910ELNS1_3gpuE8ELNS1_3repE0EEENS1_38merge_mergepath_config_static_selectorELNS0_4arch9wavefront6targetE1EEEvSH_.num_vgpr, 0
	.set _ZN7rocprim17ROCPRIM_400000_NS6detail17trampoline_kernelINS0_14default_configENS1_38merge_sort_block_merge_config_selectorIalEEZZNS1_27merge_sort_block_merge_implIS3_PaN6thrust23THRUST_200600_302600_NS10device_ptrIlEEjNS1_19radix_merge_compareILb0ELb0EaNS0_19identity_decomposerEEEEE10hipError_tT0_T1_T2_jT3_P12ihipStream_tbPNSt15iterator_traitsISG_E10value_typeEPNSM_ISH_E10value_typeEPSI_NS1_7vsmem_tEENKUlT_SG_SH_SI_E_clIS7_S7_PlSB_EESF_SV_SG_SH_SI_EUlSV_E0_NS1_11comp_targetILNS1_3genE4ELNS1_11target_archE910ELNS1_3gpuE8ELNS1_3repE0EEENS1_38merge_mergepath_config_static_selectorELNS0_4arch9wavefront6targetE1EEEvSH_.num_agpr, 0
	.set _ZN7rocprim17ROCPRIM_400000_NS6detail17trampoline_kernelINS0_14default_configENS1_38merge_sort_block_merge_config_selectorIalEEZZNS1_27merge_sort_block_merge_implIS3_PaN6thrust23THRUST_200600_302600_NS10device_ptrIlEEjNS1_19radix_merge_compareILb0ELb0EaNS0_19identity_decomposerEEEEE10hipError_tT0_T1_T2_jT3_P12ihipStream_tbPNSt15iterator_traitsISG_E10value_typeEPNSM_ISH_E10value_typeEPSI_NS1_7vsmem_tEENKUlT_SG_SH_SI_E_clIS7_S7_PlSB_EESF_SV_SG_SH_SI_EUlSV_E0_NS1_11comp_targetILNS1_3genE4ELNS1_11target_archE910ELNS1_3gpuE8ELNS1_3repE0EEENS1_38merge_mergepath_config_static_selectorELNS0_4arch9wavefront6targetE1EEEvSH_.numbered_sgpr, 0
	.set _ZN7rocprim17ROCPRIM_400000_NS6detail17trampoline_kernelINS0_14default_configENS1_38merge_sort_block_merge_config_selectorIalEEZZNS1_27merge_sort_block_merge_implIS3_PaN6thrust23THRUST_200600_302600_NS10device_ptrIlEEjNS1_19radix_merge_compareILb0ELb0EaNS0_19identity_decomposerEEEEE10hipError_tT0_T1_T2_jT3_P12ihipStream_tbPNSt15iterator_traitsISG_E10value_typeEPNSM_ISH_E10value_typeEPSI_NS1_7vsmem_tEENKUlT_SG_SH_SI_E_clIS7_S7_PlSB_EESF_SV_SG_SH_SI_EUlSV_E0_NS1_11comp_targetILNS1_3genE4ELNS1_11target_archE910ELNS1_3gpuE8ELNS1_3repE0EEENS1_38merge_mergepath_config_static_selectorELNS0_4arch9wavefront6targetE1EEEvSH_.num_named_barrier, 0
	.set _ZN7rocprim17ROCPRIM_400000_NS6detail17trampoline_kernelINS0_14default_configENS1_38merge_sort_block_merge_config_selectorIalEEZZNS1_27merge_sort_block_merge_implIS3_PaN6thrust23THRUST_200600_302600_NS10device_ptrIlEEjNS1_19radix_merge_compareILb0ELb0EaNS0_19identity_decomposerEEEEE10hipError_tT0_T1_T2_jT3_P12ihipStream_tbPNSt15iterator_traitsISG_E10value_typeEPNSM_ISH_E10value_typeEPSI_NS1_7vsmem_tEENKUlT_SG_SH_SI_E_clIS7_S7_PlSB_EESF_SV_SG_SH_SI_EUlSV_E0_NS1_11comp_targetILNS1_3genE4ELNS1_11target_archE910ELNS1_3gpuE8ELNS1_3repE0EEENS1_38merge_mergepath_config_static_selectorELNS0_4arch9wavefront6targetE1EEEvSH_.private_seg_size, 0
	.set _ZN7rocprim17ROCPRIM_400000_NS6detail17trampoline_kernelINS0_14default_configENS1_38merge_sort_block_merge_config_selectorIalEEZZNS1_27merge_sort_block_merge_implIS3_PaN6thrust23THRUST_200600_302600_NS10device_ptrIlEEjNS1_19radix_merge_compareILb0ELb0EaNS0_19identity_decomposerEEEEE10hipError_tT0_T1_T2_jT3_P12ihipStream_tbPNSt15iterator_traitsISG_E10value_typeEPNSM_ISH_E10value_typeEPSI_NS1_7vsmem_tEENKUlT_SG_SH_SI_E_clIS7_S7_PlSB_EESF_SV_SG_SH_SI_EUlSV_E0_NS1_11comp_targetILNS1_3genE4ELNS1_11target_archE910ELNS1_3gpuE8ELNS1_3repE0EEENS1_38merge_mergepath_config_static_selectorELNS0_4arch9wavefront6targetE1EEEvSH_.uses_vcc, 0
	.set _ZN7rocprim17ROCPRIM_400000_NS6detail17trampoline_kernelINS0_14default_configENS1_38merge_sort_block_merge_config_selectorIalEEZZNS1_27merge_sort_block_merge_implIS3_PaN6thrust23THRUST_200600_302600_NS10device_ptrIlEEjNS1_19radix_merge_compareILb0ELb0EaNS0_19identity_decomposerEEEEE10hipError_tT0_T1_T2_jT3_P12ihipStream_tbPNSt15iterator_traitsISG_E10value_typeEPNSM_ISH_E10value_typeEPSI_NS1_7vsmem_tEENKUlT_SG_SH_SI_E_clIS7_S7_PlSB_EESF_SV_SG_SH_SI_EUlSV_E0_NS1_11comp_targetILNS1_3genE4ELNS1_11target_archE910ELNS1_3gpuE8ELNS1_3repE0EEENS1_38merge_mergepath_config_static_selectorELNS0_4arch9wavefront6targetE1EEEvSH_.uses_flat_scratch, 0
	.set _ZN7rocprim17ROCPRIM_400000_NS6detail17trampoline_kernelINS0_14default_configENS1_38merge_sort_block_merge_config_selectorIalEEZZNS1_27merge_sort_block_merge_implIS3_PaN6thrust23THRUST_200600_302600_NS10device_ptrIlEEjNS1_19radix_merge_compareILb0ELb0EaNS0_19identity_decomposerEEEEE10hipError_tT0_T1_T2_jT3_P12ihipStream_tbPNSt15iterator_traitsISG_E10value_typeEPNSM_ISH_E10value_typeEPSI_NS1_7vsmem_tEENKUlT_SG_SH_SI_E_clIS7_S7_PlSB_EESF_SV_SG_SH_SI_EUlSV_E0_NS1_11comp_targetILNS1_3genE4ELNS1_11target_archE910ELNS1_3gpuE8ELNS1_3repE0EEENS1_38merge_mergepath_config_static_selectorELNS0_4arch9wavefront6targetE1EEEvSH_.has_dyn_sized_stack, 0
	.set _ZN7rocprim17ROCPRIM_400000_NS6detail17trampoline_kernelINS0_14default_configENS1_38merge_sort_block_merge_config_selectorIalEEZZNS1_27merge_sort_block_merge_implIS3_PaN6thrust23THRUST_200600_302600_NS10device_ptrIlEEjNS1_19radix_merge_compareILb0ELb0EaNS0_19identity_decomposerEEEEE10hipError_tT0_T1_T2_jT3_P12ihipStream_tbPNSt15iterator_traitsISG_E10value_typeEPNSM_ISH_E10value_typeEPSI_NS1_7vsmem_tEENKUlT_SG_SH_SI_E_clIS7_S7_PlSB_EESF_SV_SG_SH_SI_EUlSV_E0_NS1_11comp_targetILNS1_3genE4ELNS1_11target_archE910ELNS1_3gpuE8ELNS1_3repE0EEENS1_38merge_mergepath_config_static_selectorELNS0_4arch9wavefront6targetE1EEEvSH_.has_recursion, 0
	.set _ZN7rocprim17ROCPRIM_400000_NS6detail17trampoline_kernelINS0_14default_configENS1_38merge_sort_block_merge_config_selectorIalEEZZNS1_27merge_sort_block_merge_implIS3_PaN6thrust23THRUST_200600_302600_NS10device_ptrIlEEjNS1_19radix_merge_compareILb0ELb0EaNS0_19identity_decomposerEEEEE10hipError_tT0_T1_T2_jT3_P12ihipStream_tbPNSt15iterator_traitsISG_E10value_typeEPNSM_ISH_E10value_typeEPSI_NS1_7vsmem_tEENKUlT_SG_SH_SI_E_clIS7_S7_PlSB_EESF_SV_SG_SH_SI_EUlSV_E0_NS1_11comp_targetILNS1_3genE4ELNS1_11target_archE910ELNS1_3gpuE8ELNS1_3repE0EEENS1_38merge_mergepath_config_static_selectorELNS0_4arch9wavefront6targetE1EEEvSH_.has_indirect_call, 0
	.section	.AMDGPU.csdata,"",@progbits
; Kernel info:
; codeLenInByte = 0
; TotalNumSgprs: 4
; NumVgprs: 0
; ScratchSize: 0
; MemoryBound: 0
; FloatMode: 240
; IeeeMode: 1
; LDSByteSize: 0 bytes/workgroup (compile time only)
; SGPRBlocks: 0
; VGPRBlocks: 0
; NumSGPRsForWavesPerEU: 4
; NumVGPRsForWavesPerEU: 1
; Occupancy: 10
; WaveLimiterHint : 0
; COMPUTE_PGM_RSRC2:SCRATCH_EN: 0
; COMPUTE_PGM_RSRC2:USER_SGPR: 6
; COMPUTE_PGM_RSRC2:TRAP_HANDLER: 0
; COMPUTE_PGM_RSRC2:TGID_X_EN: 1
; COMPUTE_PGM_RSRC2:TGID_Y_EN: 0
; COMPUTE_PGM_RSRC2:TGID_Z_EN: 0
; COMPUTE_PGM_RSRC2:TIDIG_COMP_CNT: 0
	.section	.text._ZN7rocprim17ROCPRIM_400000_NS6detail17trampoline_kernelINS0_14default_configENS1_38merge_sort_block_merge_config_selectorIalEEZZNS1_27merge_sort_block_merge_implIS3_PaN6thrust23THRUST_200600_302600_NS10device_ptrIlEEjNS1_19radix_merge_compareILb0ELb0EaNS0_19identity_decomposerEEEEE10hipError_tT0_T1_T2_jT3_P12ihipStream_tbPNSt15iterator_traitsISG_E10value_typeEPNSM_ISH_E10value_typeEPSI_NS1_7vsmem_tEENKUlT_SG_SH_SI_E_clIS7_S7_PlSB_EESF_SV_SG_SH_SI_EUlSV_E0_NS1_11comp_targetILNS1_3genE3ELNS1_11target_archE908ELNS1_3gpuE7ELNS1_3repE0EEENS1_38merge_mergepath_config_static_selectorELNS0_4arch9wavefront6targetE1EEEvSH_,"axG",@progbits,_ZN7rocprim17ROCPRIM_400000_NS6detail17trampoline_kernelINS0_14default_configENS1_38merge_sort_block_merge_config_selectorIalEEZZNS1_27merge_sort_block_merge_implIS3_PaN6thrust23THRUST_200600_302600_NS10device_ptrIlEEjNS1_19radix_merge_compareILb0ELb0EaNS0_19identity_decomposerEEEEE10hipError_tT0_T1_T2_jT3_P12ihipStream_tbPNSt15iterator_traitsISG_E10value_typeEPNSM_ISH_E10value_typeEPSI_NS1_7vsmem_tEENKUlT_SG_SH_SI_E_clIS7_S7_PlSB_EESF_SV_SG_SH_SI_EUlSV_E0_NS1_11comp_targetILNS1_3genE3ELNS1_11target_archE908ELNS1_3gpuE7ELNS1_3repE0EEENS1_38merge_mergepath_config_static_selectorELNS0_4arch9wavefront6targetE1EEEvSH_,comdat
	.protected	_ZN7rocprim17ROCPRIM_400000_NS6detail17trampoline_kernelINS0_14default_configENS1_38merge_sort_block_merge_config_selectorIalEEZZNS1_27merge_sort_block_merge_implIS3_PaN6thrust23THRUST_200600_302600_NS10device_ptrIlEEjNS1_19radix_merge_compareILb0ELb0EaNS0_19identity_decomposerEEEEE10hipError_tT0_T1_T2_jT3_P12ihipStream_tbPNSt15iterator_traitsISG_E10value_typeEPNSM_ISH_E10value_typeEPSI_NS1_7vsmem_tEENKUlT_SG_SH_SI_E_clIS7_S7_PlSB_EESF_SV_SG_SH_SI_EUlSV_E0_NS1_11comp_targetILNS1_3genE3ELNS1_11target_archE908ELNS1_3gpuE7ELNS1_3repE0EEENS1_38merge_mergepath_config_static_selectorELNS0_4arch9wavefront6targetE1EEEvSH_ ; -- Begin function _ZN7rocprim17ROCPRIM_400000_NS6detail17trampoline_kernelINS0_14default_configENS1_38merge_sort_block_merge_config_selectorIalEEZZNS1_27merge_sort_block_merge_implIS3_PaN6thrust23THRUST_200600_302600_NS10device_ptrIlEEjNS1_19radix_merge_compareILb0ELb0EaNS0_19identity_decomposerEEEEE10hipError_tT0_T1_T2_jT3_P12ihipStream_tbPNSt15iterator_traitsISG_E10value_typeEPNSM_ISH_E10value_typeEPSI_NS1_7vsmem_tEENKUlT_SG_SH_SI_E_clIS7_S7_PlSB_EESF_SV_SG_SH_SI_EUlSV_E0_NS1_11comp_targetILNS1_3genE3ELNS1_11target_archE908ELNS1_3gpuE7ELNS1_3repE0EEENS1_38merge_mergepath_config_static_selectorELNS0_4arch9wavefront6targetE1EEEvSH_
	.globl	_ZN7rocprim17ROCPRIM_400000_NS6detail17trampoline_kernelINS0_14default_configENS1_38merge_sort_block_merge_config_selectorIalEEZZNS1_27merge_sort_block_merge_implIS3_PaN6thrust23THRUST_200600_302600_NS10device_ptrIlEEjNS1_19radix_merge_compareILb0ELb0EaNS0_19identity_decomposerEEEEE10hipError_tT0_T1_T2_jT3_P12ihipStream_tbPNSt15iterator_traitsISG_E10value_typeEPNSM_ISH_E10value_typeEPSI_NS1_7vsmem_tEENKUlT_SG_SH_SI_E_clIS7_S7_PlSB_EESF_SV_SG_SH_SI_EUlSV_E0_NS1_11comp_targetILNS1_3genE3ELNS1_11target_archE908ELNS1_3gpuE7ELNS1_3repE0EEENS1_38merge_mergepath_config_static_selectorELNS0_4arch9wavefront6targetE1EEEvSH_
	.p2align	8
	.type	_ZN7rocprim17ROCPRIM_400000_NS6detail17trampoline_kernelINS0_14default_configENS1_38merge_sort_block_merge_config_selectorIalEEZZNS1_27merge_sort_block_merge_implIS3_PaN6thrust23THRUST_200600_302600_NS10device_ptrIlEEjNS1_19radix_merge_compareILb0ELb0EaNS0_19identity_decomposerEEEEE10hipError_tT0_T1_T2_jT3_P12ihipStream_tbPNSt15iterator_traitsISG_E10value_typeEPNSM_ISH_E10value_typeEPSI_NS1_7vsmem_tEENKUlT_SG_SH_SI_E_clIS7_S7_PlSB_EESF_SV_SG_SH_SI_EUlSV_E0_NS1_11comp_targetILNS1_3genE3ELNS1_11target_archE908ELNS1_3gpuE7ELNS1_3repE0EEENS1_38merge_mergepath_config_static_selectorELNS0_4arch9wavefront6targetE1EEEvSH_,@function
_ZN7rocprim17ROCPRIM_400000_NS6detail17trampoline_kernelINS0_14default_configENS1_38merge_sort_block_merge_config_selectorIalEEZZNS1_27merge_sort_block_merge_implIS3_PaN6thrust23THRUST_200600_302600_NS10device_ptrIlEEjNS1_19radix_merge_compareILb0ELb0EaNS0_19identity_decomposerEEEEE10hipError_tT0_T1_T2_jT3_P12ihipStream_tbPNSt15iterator_traitsISG_E10value_typeEPNSM_ISH_E10value_typeEPSI_NS1_7vsmem_tEENKUlT_SG_SH_SI_E_clIS7_S7_PlSB_EESF_SV_SG_SH_SI_EUlSV_E0_NS1_11comp_targetILNS1_3genE3ELNS1_11target_archE908ELNS1_3gpuE7ELNS1_3repE0EEENS1_38merge_mergepath_config_static_selectorELNS0_4arch9wavefront6targetE1EEEvSH_: ; @_ZN7rocprim17ROCPRIM_400000_NS6detail17trampoline_kernelINS0_14default_configENS1_38merge_sort_block_merge_config_selectorIalEEZZNS1_27merge_sort_block_merge_implIS3_PaN6thrust23THRUST_200600_302600_NS10device_ptrIlEEjNS1_19radix_merge_compareILb0ELb0EaNS0_19identity_decomposerEEEEE10hipError_tT0_T1_T2_jT3_P12ihipStream_tbPNSt15iterator_traitsISG_E10value_typeEPNSM_ISH_E10value_typeEPSI_NS1_7vsmem_tEENKUlT_SG_SH_SI_E_clIS7_S7_PlSB_EESF_SV_SG_SH_SI_EUlSV_E0_NS1_11comp_targetILNS1_3genE3ELNS1_11target_archE908ELNS1_3gpuE7ELNS1_3repE0EEENS1_38merge_mergepath_config_static_selectorELNS0_4arch9wavefront6targetE1EEEvSH_
; %bb.0:
	.section	.rodata,"a",@progbits
	.p2align	6, 0x0
	.amdhsa_kernel _ZN7rocprim17ROCPRIM_400000_NS6detail17trampoline_kernelINS0_14default_configENS1_38merge_sort_block_merge_config_selectorIalEEZZNS1_27merge_sort_block_merge_implIS3_PaN6thrust23THRUST_200600_302600_NS10device_ptrIlEEjNS1_19radix_merge_compareILb0ELb0EaNS0_19identity_decomposerEEEEE10hipError_tT0_T1_T2_jT3_P12ihipStream_tbPNSt15iterator_traitsISG_E10value_typeEPNSM_ISH_E10value_typeEPSI_NS1_7vsmem_tEENKUlT_SG_SH_SI_E_clIS7_S7_PlSB_EESF_SV_SG_SH_SI_EUlSV_E0_NS1_11comp_targetILNS1_3genE3ELNS1_11target_archE908ELNS1_3gpuE7ELNS1_3repE0EEENS1_38merge_mergepath_config_static_selectorELNS0_4arch9wavefront6targetE1EEEvSH_
		.amdhsa_group_segment_fixed_size 0
		.amdhsa_private_segment_fixed_size 0
		.amdhsa_kernarg_size 64
		.amdhsa_user_sgpr_count 6
		.amdhsa_user_sgpr_private_segment_buffer 1
		.amdhsa_user_sgpr_dispatch_ptr 0
		.amdhsa_user_sgpr_queue_ptr 0
		.amdhsa_user_sgpr_kernarg_segment_ptr 1
		.amdhsa_user_sgpr_dispatch_id 0
		.amdhsa_user_sgpr_flat_scratch_init 0
		.amdhsa_user_sgpr_private_segment_size 0
		.amdhsa_uses_dynamic_stack 0
		.amdhsa_system_sgpr_private_segment_wavefront_offset 0
		.amdhsa_system_sgpr_workgroup_id_x 1
		.amdhsa_system_sgpr_workgroup_id_y 0
		.amdhsa_system_sgpr_workgroup_id_z 0
		.amdhsa_system_sgpr_workgroup_info 0
		.amdhsa_system_vgpr_workitem_id 0
		.amdhsa_next_free_vgpr 1
		.amdhsa_next_free_sgpr 0
		.amdhsa_reserve_vcc 0
		.amdhsa_reserve_flat_scratch 0
		.amdhsa_float_round_mode_32 0
		.amdhsa_float_round_mode_16_64 0
		.amdhsa_float_denorm_mode_32 3
		.amdhsa_float_denorm_mode_16_64 3
		.amdhsa_dx10_clamp 1
		.amdhsa_ieee_mode 1
		.amdhsa_fp16_overflow 0
		.amdhsa_exception_fp_ieee_invalid_op 0
		.amdhsa_exception_fp_denorm_src 0
		.amdhsa_exception_fp_ieee_div_zero 0
		.amdhsa_exception_fp_ieee_overflow 0
		.amdhsa_exception_fp_ieee_underflow 0
		.amdhsa_exception_fp_ieee_inexact 0
		.amdhsa_exception_int_div_zero 0
	.end_amdhsa_kernel
	.section	.text._ZN7rocprim17ROCPRIM_400000_NS6detail17trampoline_kernelINS0_14default_configENS1_38merge_sort_block_merge_config_selectorIalEEZZNS1_27merge_sort_block_merge_implIS3_PaN6thrust23THRUST_200600_302600_NS10device_ptrIlEEjNS1_19radix_merge_compareILb0ELb0EaNS0_19identity_decomposerEEEEE10hipError_tT0_T1_T2_jT3_P12ihipStream_tbPNSt15iterator_traitsISG_E10value_typeEPNSM_ISH_E10value_typeEPSI_NS1_7vsmem_tEENKUlT_SG_SH_SI_E_clIS7_S7_PlSB_EESF_SV_SG_SH_SI_EUlSV_E0_NS1_11comp_targetILNS1_3genE3ELNS1_11target_archE908ELNS1_3gpuE7ELNS1_3repE0EEENS1_38merge_mergepath_config_static_selectorELNS0_4arch9wavefront6targetE1EEEvSH_,"axG",@progbits,_ZN7rocprim17ROCPRIM_400000_NS6detail17trampoline_kernelINS0_14default_configENS1_38merge_sort_block_merge_config_selectorIalEEZZNS1_27merge_sort_block_merge_implIS3_PaN6thrust23THRUST_200600_302600_NS10device_ptrIlEEjNS1_19radix_merge_compareILb0ELb0EaNS0_19identity_decomposerEEEEE10hipError_tT0_T1_T2_jT3_P12ihipStream_tbPNSt15iterator_traitsISG_E10value_typeEPNSM_ISH_E10value_typeEPSI_NS1_7vsmem_tEENKUlT_SG_SH_SI_E_clIS7_S7_PlSB_EESF_SV_SG_SH_SI_EUlSV_E0_NS1_11comp_targetILNS1_3genE3ELNS1_11target_archE908ELNS1_3gpuE7ELNS1_3repE0EEENS1_38merge_mergepath_config_static_selectorELNS0_4arch9wavefront6targetE1EEEvSH_,comdat
.Lfunc_end490:
	.size	_ZN7rocprim17ROCPRIM_400000_NS6detail17trampoline_kernelINS0_14default_configENS1_38merge_sort_block_merge_config_selectorIalEEZZNS1_27merge_sort_block_merge_implIS3_PaN6thrust23THRUST_200600_302600_NS10device_ptrIlEEjNS1_19radix_merge_compareILb0ELb0EaNS0_19identity_decomposerEEEEE10hipError_tT0_T1_T2_jT3_P12ihipStream_tbPNSt15iterator_traitsISG_E10value_typeEPNSM_ISH_E10value_typeEPSI_NS1_7vsmem_tEENKUlT_SG_SH_SI_E_clIS7_S7_PlSB_EESF_SV_SG_SH_SI_EUlSV_E0_NS1_11comp_targetILNS1_3genE3ELNS1_11target_archE908ELNS1_3gpuE7ELNS1_3repE0EEENS1_38merge_mergepath_config_static_selectorELNS0_4arch9wavefront6targetE1EEEvSH_, .Lfunc_end490-_ZN7rocprim17ROCPRIM_400000_NS6detail17trampoline_kernelINS0_14default_configENS1_38merge_sort_block_merge_config_selectorIalEEZZNS1_27merge_sort_block_merge_implIS3_PaN6thrust23THRUST_200600_302600_NS10device_ptrIlEEjNS1_19radix_merge_compareILb0ELb0EaNS0_19identity_decomposerEEEEE10hipError_tT0_T1_T2_jT3_P12ihipStream_tbPNSt15iterator_traitsISG_E10value_typeEPNSM_ISH_E10value_typeEPSI_NS1_7vsmem_tEENKUlT_SG_SH_SI_E_clIS7_S7_PlSB_EESF_SV_SG_SH_SI_EUlSV_E0_NS1_11comp_targetILNS1_3genE3ELNS1_11target_archE908ELNS1_3gpuE7ELNS1_3repE0EEENS1_38merge_mergepath_config_static_selectorELNS0_4arch9wavefront6targetE1EEEvSH_
                                        ; -- End function
	.set _ZN7rocprim17ROCPRIM_400000_NS6detail17trampoline_kernelINS0_14default_configENS1_38merge_sort_block_merge_config_selectorIalEEZZNS1_27merge_sort_block_merge_implIS3_PaN6thrust23THRUST_200600_302600_NS10device_ptrIlEEjNS1_19radix_merge_compareILb0ELb0EaNS0_19identity_decomposerEEEEE10hipError_tT0_T1_T2_jT3_P12ihipStream_tbPNSt15iterator_traitsISG_E10value_typeEPNSM_ISH_E10value_typeEPSI_NS1_7vsmem_tEENKUlT_SG_SH_SI_E_clIS7_S7_PlSB_EESF_SV_SG_SH_SI_EUlSV_E0_NS1_11comp_targetILNS1_3genE3ELNS1_11target_archE908ELNS1_3gpuE7ELNS1_3repE0EEENS1_38merge_mergepath_config_static_selectorELNS0_4arch9wavefront6targetE1EEEvSH_.num_vgpr, 0
	.set _ZN7rocprim17ROCPRIM_400000_NS6detail17trampoline_kernelINS0_14default_configENS1_38merge_sort_block_merge_config_selectorIalEEZZNS1_27merge_sort_block_merge_implIS3_PaN6thrust23THRUST_200600_302600_NS10device_ptrIlEEjNS1_19radix_merge_compareILb0ELb0EaNS0_19identity_decomposerEEEEE10hipError_tT0_T1_T2_jT3_P12ihipStream_tbPNSt15iterator_traitsISG_E10value_typeEPNSM_ISH_E10value_typeEPSI_NS1_7vsmem_tEENKUlT_SG_SH_SI_E_clIS7_S7_PlSB_EESF_SV_SG_SH_SI_EUlSV_E0_NS1_11comp_targetILNS1_3genE3ELNS1_11target_archE908ELNS1_3gpuE7ELNS1_3repE0EEENS1_38merge_mergepath_config_static_selectorELNS0_4arch9wavefront6targetE1EEEvSH_.num_agpr, 0
	.set _ZN7rocprim17ROCPRIM_400000_NS6detail17trampoline_kernelINS0_14default_configENS1_38merge_sort_block_merge_config_selectorIalEEZZNS1_27merge_sort_block_merge_implIS3_PaN6thrust23THRUST_200600_302600_NS10device_ptrIlEEjNS1_19radix_merge_compareILb0ELb0EaNS0_19identity_decomposerEEEEE10hipError_tT0_T1_T2_jT3_P12ihipStream_tbPNSt15iterator_traitsISG_E10value_typeEPNSM_ISH_E10value_typeEPSI_NS1_7vsmem_tEENKUlT_SG_SH_SI_E_clIS7_S7_PlSB_EESF_SV_SG_SH_SI_EUlSV_E0_NS1_11comp_targetILNS1_3genE3ELNS1_11target_archE908ELNS1_3gpuE7ELNS1_3repE0EEENS1_38merge_mergepath_config_static_selectorELNS0_4arch9wavefront6targetE1EEEvSH_.numbered_sgpr, 0
	.set _ZN7rocprim17ROCPRIM_400000_NS6detail17trampoline_kernelINS0_14default_configENS1_38merge_sort_block_merge_config_selectorIalEEZZNS1_27merge_sort_block_merge_implIS3_PaN6thrust23THRUST_200600_302600_NS10device_ptrIlEEjNS1_19radix_merge_compareILb0ELb0EaNS0_19identity_decomposerEEEEE10hipError_tT0_T1_T2_jT3_P12ihipStream_tbPNSt15iterator_traitsISG_E10value_typeEPNSM_ISH_E10value_typeEPSI_NS1_7vsmem_tEENKUlT_SG_SH_SI_E_clIS7_S7_PlSB_EESF_SV_SG_SH_SI_EUlSV_E0_NS1_11comp_targetILNS1_3genE3ELNS1_11target_archE908ELNS1_3gpuE7ELNS1_3repE0EEENS1_38merge_mergepath_config_static_selectorELNS0_4arch9wavefront6targetE1EEEvSH_.num_named_barrier, 0
	.set _ZN7rocprim17ROCPRIM_400000_NS6detail17trampoline_kernelINS0_14default_configENS1_38merge_sort_block_merge_config_selectorIalEEZZNS1_27merge_sort_block_merge_implIS3_PaN6thrust23THRUST_200600_302600_NS10device_ptrIlEEjNS1_19radix_merge_compareILb0ELb0EaNS0_19identity_decomposerEEEEE10hipError_tT0_T1_T2_jT3_P12ihipStream_tbPNSt15iterator_traitsISG_E10value_typeEPNSM_ISH_E10value_typeEPSI_NS1_7vsmem_tEENKUlT_SG_SH_SI_E_clIS7_S7_PlSB_EESF_SV_SG_SH_SI_EUlSV_E0_NS1_11comp_targetILNS1_3genE3ELNS1_11target_archE908ELNS1_3gpuE7ELNS1_3repE0EEENS1_38merge_mergepath_config_static_selectorELNS0_4arch9wavefront6targetE1EEEvSH_.private_seg_size, 0
	.set _ZN7rocprim17ROCPRIM_400000_NS6detail17trampoline_kernelINS0_14default_configENS1_38merge_sort_block_merge_config_selectorIalEEZZNS1_27merge_sort_block_merge_implIS3_PaN6thrust23THRUST_200600_302600_NS10device_ptrIlEEjNS1_19radix_merge_compareILb0ELb0EaNS0_19identity_decomposerEEEEE10hipError_tT0_T1_T2_jT3_P12ihipStream_tbPNSt15iterator_traitsISG_E10value_typeEPNSM_ISH_E10value_typeEPSI_NS1_7vsmem_tEENKUlT_SG_SH_SI_E_clIS7_S7_PlSB_EESF_SV_SG_SH_SI_EUlSV_E0_NS1_11comp_targetILNS1_3genE3ELNS1_11target_archE908ELNS1_3gpuE7ELNS1_3repE0EEENS1_38merge_mergepath_config_static_selectorELNS0_4arch9wavefront6targetE1EEEvSH_.uses_vcc, 0
	.set _ZN7rocprim17ROCPRIM_400000_NS6detail17trampoline_kernelINS0_14default_configENS1_38merge_sort_block_merge_config_selectorIalEEZZNS1_27merge_sort_block_merge_implIS3_PaN6thrust23THRUST_200600_302600_NS10device_ptrIlEEjNS1_19radix_merge_compareILb0ELb0EaNS0_19identity_decomposerEEEEE10hipError_tT0_T1_T2_jT3_P12ihipStream_tbPNSt15iterator_traitsISG_E10value_typeEPNSM_ISH_E10value_typeEPSI_NS1_7vsmem_tEENKUlT_SG_SH_SI_E_clIS7_S7_PlSB_EESF_SV_SG_SH_SI_EUlSV_E0_NS1_11comp_targetILNS1_3genE3ELNS1_11target_archE908ELNS1_3gpuE7ELNS1_3repE0EEENS1_38merge_mergepath_config_static_selectorELNS0_4arch9wavefront6targetE1EEEvSH_.uses_flat_scratch, 0
	.set _ZN7rocprim17ROCPRIM_400000_NS6detail17trampoline_kernelINS0_14default_configENS1_38merge_sort_block_merge_config_selectorIalEEZZNS1_27merge_sort_block_merge_implIS3_PaN6thrust23THRUST_200600_302600_NS10device_ptrIlEEjNS1_19radix_merge_compareILb0ELb0EaNS0_19identity_decomposerEEEEE10hipError_tT0_T1_T2_jT3_P12ihipStream_tbPNSt15iterator_traitsISG_E10value_typeEPNSM_ISH_E10value_typeEPSI_NS1_7vsmem_tEENKUlT_SG_SH_SI_E_clIS7_S7_PlSB_EESF_SV_SG_SH_SI_EUlSV_E0_NS1_11comp_targetILNS1_3genE3ELNS1_11target_archE908ELNS1_3gpuE7ELNS1_3repE0EEENS1_38merge_mergepath_config_static_selectorELNS0_4arch9wavefront6targetE1EEEvSH_.has_dyn_sized_stack, 0
	.set _ZN7rocprim17ROCPRIM_400000_NS6detail17trampoline_kernelINS0_14default_configENS1_38merge_sort_block_merge_config_selectorIalEEZZNS1_27merge_sort_block_merge_implIS3_PaN6thrust23THRUST_200600_302600_NS10device_ptrIlEEjNS1_19radix_merge_compareILb0ELb0EaNS0_19identity_decomposerEEEEE10hipError_tT0_T1_T2_jT3_P12ihipStream_tbPNSt15iterator_traitsISG_E10value_typeEPNSM_ISH_E10value_typeEPSI_NS1_7vsmem_tEENKUlT_SG_SH_SI_E_clIS7_S7_PlSB_EESF_SV_SG_SH_SI_EUlSV_E0_NS1_11comp_targetILNS1_3genE3ELNS1_11target_archE908ELNS1_3gpuE7ELNS1_3repE0EEENS1_38merge_mergepath_config_static_selectorELNS0_4arch9wavefront6targetE1EEEvSH_.has_recursion, 0
	.set _ZN7rocprim17ROCPRIM_400000_NS6detail17trampoline_kernelINS0_14default_configENS1_38merge_sort_block_merge_config_selectorIalEEZZNS1_27merge_sort_block_merge_implIS3_PaN6thrust23THRUST_200600_302600_NS10device_ptrIlEEjNS1_19radix_merge_compareILb0ELb0EaNS0_19identity_decomposerEEEEE10hipError_tT0_T1_T2_jT3_P12ihipStream_tbPNSt15iterator_traitsISG_E10value_typeEPNSM_ISH_E10value_typeEPSI_NS1_7vsmem_tEENKUlT_SG_SH_SI_E_clIS7_S7_PlSB_EESF_SV_SG_SH_SI_EUlSV_E0_NS1_11comp_targetILNS1_3genE3ELNS1_11target_archE908ELNS1_3gpuE7ELNS1_3repE0EEENS1_38merge_mergepath_config_static_selectorELNS0_4arch9wavefront6targetE1EEEvSH_.has_indirect_call, 0
	.section	.AMDGPU.csdata,"",@progbits
; Kernel info:
; codeLenInByte = 0
; TotalNumSgprs: 4
; NumVgprs: 0
; ScratchSize: 0
; MemoryBound: 0
; FloatMode: 240
; IeeeMode: 1
; LDSByteSize: 0 bytes/workgroup (compile time only)
; SGPRBlocks: 0
; VGPRBlocks: 0
; NumSGPRsForWavesPerEU: 4
; NumVGPRsForWavesPerEU: 1
; Occupancy: 10
; WaveLimiterHint : 0
; COMPUTE_PGM_RSRC2:SCRATCH_EN: 0
; COMPUTE_PGM_RSRC2:USER_SGPR: 6
; COMPUTE_PGM_RSRC2:TRAP_HANDLER: 0
; COMPUTE_PGM_RSRC2:TGID_X_EN: 1
; COMPUTE_PGM_RSRC2:TGID_Y_EN: 0
; COMPUTE_PGM_RSRC2:TGID_Z_EN: 0
; COMPUTE_PGM_RSRC2:TIDIG_COMP_CNT: 0
	.section	.text._ZN7rocprim17ROCPRIM_400000_NS6detail17trampoline_kernelINS0_14default_configENS1_38merge_sort_block_merge_config_selectorIalEEZZNS1_27merge_sort_block_merge_implIS3_PaN6thrust23THRUST_200600_302600_NS10device_ptrIlEEjNS1_19radix_merge_compareILb0ELb0EaNS0_19identity_decomposerEEEEE10hipError_tT0_T1_T2_jT3_P12ihipStream_tbPNSt15iterator_traitsISG_E10value_typeEPNSM_ISH_E10value_typeEPSI_NS1_7vsmem_tEENKUlT_SG_SH_SI_E_clIS7_S7_PlSB_EESF_SV_SG_SH_SI_EUlSV_E0_NS1_11comp_targetILNS1_3genE2ELNS1_11target_archE906ELNS1_3gpuE6ELNS1_3repE0EEENS1_38merge_mergepath_config_static_selectorELNS0_4arch9wavefront6targetE1EEEvSH_,"axG",@progbits,_ZN7rocprim17ROCPRIM_400000_NS6detail17trampoline_kernelINS0_14default_configENS1_38merge_sort_block_merge_config_selectorIalEEZZNS1_27merge_sort_block_merge_implIS3_PaN6thrust23THRUST_200600_302600_NS10device_ptrIlEEjNS1_19radix_merge_compareILb0ELb0EaNS0_19identity_decomposerEEEEE10hipError_tT0_T1_T2_jT3_P12ihipStream_tbPNSt15iterator_traitsISG_E10value_typeEPNSM_ISH_E10value_typeEPSI_NS1_7vsmem_tEENKUlT_SG_SH_SI_E_clIS7_S7_PlSB_EESF_SV_SG_SH_SI_EUlSV_E0_NS1_11comp_targetILNS1_3genE2ELNS1_11target_archE906ELNS1_3gpuE6ELNS1_3repE0EEENS1_38merge_mergepath_config_static_selectorELNS0_4arch9wavefront6targetE1EEEvSH_,comdat
	.protected	_ZN7rocprim17ROCPRIM_400000_NS6detail17trampoline_kernelINS0_14default_configENS1_38merge_sort_block_merge_config_selectorIalEEZZNS1_27merge_sort_block_merge_implIS3_PaN6thrust23THRUST_200600_302600_NS10device_ptrIlEEjNS1_19radix_merge_compareILb0ELb0EaNS0_19identity_decomposerEEEEE10hipError_tT0_T1_T2_jT3_P12ihipStream_tbPNSt15iterator_traitsISG_E10value_typeEPNSM_ISH_E10value_typeEPSI_NS1_7vsmem_tEENKUlT_SG_SH_SI_E_clIS7_S7_PlSB_EESF_SV_SG_SH_SI_EUlSV_E0_NS1_11comp_targetILNS1_3genE2ELNS1_11target_archE906ELNS1_3gpuE6ELNS1_3repE0EEENS1_38merge_mergepath_config_static_selectorELNS0_4arch9wavefront6targetE1EEEvSH_ ; -- Begin function _ZN7rocprim17ROCPRIM_400000_NS6detail17trampoline_kernelINS0_14default_configENS1_38merge_sort_block_merge_config_selectorIalEEZZNS1_27merge_sort_block_merge_implIS3_PaN6thrust23THRUST_200600_302600_NS10device_ptrIlEEjNS1_19radix_merge_compareILb0ELb0EaNS0_19identity_decomposerEEEEE10hipError_tT0_T1_T2_jT3_P12ihipStream_tbPNSt15iterator_traitsISG_E10value_typeEPNSM_ISH_E10value_typeEPSI_NS1_7vsmem_tEENKUlT_SG_SH_SI_E_clIS7_S7_PlSB_EESF_SV_SG_SH_SI_EUlSV_E0_NS1_11comp_targetILNS1_3genE2ELNS1_11target_archE906ELNS1_3gpuE6ELNS1_3repE0EEENS1_38merge_mergepath_config_static_selectorELNS0_4arch9wavefront6targetE1EEEvSH_
	.globl	_ZN7rocprim17ROCPRIM_400000_NS6detail17trampoline_kernelINS0_14default_configENS1_38merge_sort_block_merge_config_selectorIalEEZZNS1_27merge_sort_block_merge_implIS3_PaN6thrust23THRUST_200600_302600_NS10device_ptrIlEEjNS1_19radix_merge_compareILb0ELb0EaNS0_19identity_decomposerEEEEE10hipError_tT0_T1_T2_jT3_P12ihipStream_tbPNSt15iterator_traitsISG_E10value_typeEPNSM_ISH_E10value_typeEPSI_NS1_7vsmem_tEENKUlT_SG_SH_SI_E_clIS7_S7_PlSB_EESF_SV_SG_SH_SI_EUlSV_E0_NS1_11comp_targetILNS1_3genE2ELNS1_11target_archE906ELNS1_3gpuE6ELNS1_3repE0EEENS1_38merge_mergepath_config_static_selectorELNS0_4arch9wavefront6targetE1EEEvSH_
	.p2align	8
	.type	_ZN7rocprim17ROCPRIM_400000_NS6detail17trampoline_kernelINS0_14default_configENS1_38merge_sort_block_merge_config_selectorIalEEZZNS1_27merge_sort_block_merge_implIS3_PaN6thrust23THRUST_200600_302600_NS10device_ptrIlEEjNS1_19radix_merge_compareILb0ELb0EaNS0_19identity_decomposerEEEEE10hipError_tT0_T1_T2_jT3_P12ihipStream_tbPNSt15iterator_traitsISG_E10value_typeEPNSM_ISH_E10value_typeEPSI_NS1_7vsmem_tEENKUlT_SG_SH_SI_E_clIS7_S7_PlSB_EESF_SV_SG_SH_SI_EUlSV_E0_NS1_11comp_targetILNS1_3genE2ELNS1_11target_archE906ELNS1_3gpuE6ELNS1_3repE0EEENS1_38merge_mergepath_config_static_selectorELNS0_4arch9wavefront6targetE1EEEvSH_,@function
_ZN7rocprim17ROCPRIM_400000_NS6detail17trampoline_kernelINS0_14default_configENS1_38merge_sort_block_merge_config_selectorIalEEZZNS1_27merge_sort_block_merge_implIS3_PaN6thrust23THRUST_200600_302600_NS10device_ptrIlEEjNS1_19radix_merge_compareILb0ELb0EaNS0_19identity_decomposerEEEEE10hipError_tT0_T1_T2_jT3_P12ihipStream_tbPNSt15iterator_traitsISG_E10value_typeEPNSM_ISH_E10value_typeEPSI_NS1_7vsmem_tEENKUlT_SG_SH_SI_E_clIS7_S7_PlSB_EESF_SV_SG_SH_SI_EUlSV_E0_NS1_11comp_targetILNS1_3genE2ELNS1_11target_archE906ELNS1_3gpuE6ELNS1_3repE0EEENS1_38merge_mergepath_config_static_selectorELNS0_4arch9wavefront6targetE1EEEvSH_: ; @_ZN7rocprim17ROCPRIM_400000_NS6detail17trampoline_kernelINS0_14default_configENS1_38merge_sort_block_merge_config_selectorIalEEZZNS1_27merge_sort_block_merge_implIS3_PaN6thrust23THRUST_200600_302600_NS10device_ptrIlEEjNS1_19radix_merge_compareILb0ELb0EaNS0_19identity_decomposerEEEEE10hipError_tT0_T1_T2_jT3_P12ihipStream_tbPNSt15iterator_traitsISG_E10value_typeEPNSM_ISH_E10value_typeEPSI_NS1_7vsmem_tEENKUlT_SG_SH_SI_E_clIS7_S7_PlSB_EESF_SV_SG_SH_SI_EUlSV_E0_NS1_11comp_targetILNS1_3genE2ELNS1_11target_archE906ELNS1_3gpuE6ELNS1_3repE0EEENS1_38merge_mergepath_config_static_selectorELNS0_4arch9wavefront6targetE1EEEvSH_
; %bb.0:
	s_load_dwordx2 s[22:23], s[4:5], 0x40
	s_load_dword s1, s[4:5], 0x30
	s_add_u32 s20, s4, 64
	s_addc_u32 s21, s5, 0
	s_waitcnt lgkmcnt(0)
	s_mul_i32 s0, s23, s8
	s_add_i32 s0, s0, s7
	s_mul_i32 s0, s0, s22
	s_add_i32 s0, s0, s6
	s_cmp_ge_u32 s0, s1
	s_cbranch_scc1 .LBB491_46
; %bb.1:
	s_load_dwordx8 s[8:15], s[4:5], 0x10
	s_load_dwordx2 s[26:27], s[4:5], 0x8
	s_load_dwordx2 s[2:3], s[4:5], 0x38
	s_mov_b32 s1, 0
	v_mov_b32_e32 v1, 0
	s_waitcnt lgkmcnt(0)
	s_lshr_b32 s28, s14, 10
	s_cmp_lg_u32 s0, s28
	s_cselect_b64 s[18:19], -1, 0
	s_lshl_b64 s[4:5], s[0:1], 2
	s_add_u32 s4, s2, s4
	s_addc_u32 s5, s3, s5
	s_load_dwordx2 s[2:3], s[4:5], 0x0
	s_lshr_b32 s4, s15, 9
	s_and_b32 s4, s4, 0x7ffffe
	s_sub_i32 s5, 0, s4
	s_and_b32 s4, s0, s5
	s_lshl_b32 s7, s4, 10
	s_lshl_b32 s16, s0, 10
	;; [unrolled: 1-line block ×3, first 2 shown]
	s_sub_i32 s17, s16, s7
	s_add_i32 s23, s4, s15
	s_add_i32 s17, s23, s17
	s_waitcnt lgkmcnt(0)
	s_sub_i32 s4, s17, s2
	s_sub_i32 s17, s17, s3
	;; [unrolled: 1-line block ×3, first 2 shown]
	s_min_u32 s4, s14, s4
	s_addk_i32 s17, 0x400
	s_or_b32 s5, s0, s5
	s_min_u32 s23, s14, s7
	s_add_i32 s7, s7, s15
	s_cmp_eq_u32 s5, -1
	s_cselect_b32 s5, s7, s17
	s_cselect_b32 s3, s23, s3
	s_min_u32 s17, s5, s14
	s_sub_i32 s15, s3, s2
	s_add_u32 s24, s26, s2
	s_addc_u32 s25, s27, 0
	s_add_u32 s23, s26, s4
	global_load_dword v2, v1, s[20:21] offset:14
	s_addc_u32 s26, s27, 0
	s_cmp_lt_u32 s6, s22
	s_cselect_b32 s3, 12, 18
	s_add_u32 s6, s20, s3
	s_addc_u32 s7, s21, 0
	global_load_ushort v1, v1, s[6:7]
	s_mov_b32 s3, s1
	s_mov_b32 s5, s1
	s_cmp_eq_u32 s0, s28
	s_waitcnt vmcnt(1)
	v_lshrrev_b32_e32 v3, 16, v2
	v_and_b32_e32 v2, 0xffff, v2
	v_mul_lo_u32 v2, v2, v3
	s_waitcnt vmcnt(0)
	v_mul_lo_u32 v15, v2, v1
	v_add_u32_e32 v11, v15, v0
	v_add_u32_e32 v9, v11, v15
	s_cbranch_scc1 .LBB491_3
; %bb.2:
	v_mov_b32_e32 v1, s25
	v_add_co_u32_e32 v3, vcc, s24, v0
	v_addc_co_u32_e32 v1, vcc, 0, v1, vcc
	v_subrev_co_u32_e32 v2, vcc, s15, v0
	v_mov_b32_e32 v4, s26
	v_add_co_u32_e64 v5, s[0:1], s23, v2
	v_addc_co_u32_e64 v2, s[0:1], 0, v4, s[0:1]
	v_cndmask_b32_e32 v2, v2, v1, vcc
	v_cndmask_b32_e32 v1, v5, v3, vcc
	v_mov_b32_e32 v3, s25
	v_add_co_u32_e32 v5, vcc, s24, v11
	v_addc_co_u32_e32 v3, vcc, 0, v3, vcc
	v_subrev_co_u32_e32 v4, vcc, s15, v11
	v_mov_b32_e32 v6, s26
	v_add_co_u32_e64 v7, s[0:1], s23, v4
	v_addc_co_u32_e64 v4, s[0:1], 0, v6, s[0:1]
	v_cndmask_b32_e32 v4, v4, v3, vcc
	v_cndmask_b32_e32 v3, v7, v5, vcc
	v_mov_b32_e32 v5, s25
	v_add_co_u32_e32 v7, vcc, s24, v9
	v_addc_co_u32_e32 v5, vcc, 0, v5, vcc
	v_subrev_co_u32_e32 v6, vcc, s15, v9
	v_mov_b32_e32 v8, s26
	v_add_co_u32_e64 v10, s[0:1], s23, v6
	v_addc_co_u32_e64 v6, s[0:1], 0, v8, s[0:1]
	v_cndmask_b32_e32 v6, v6, v5, vcc
	v_cndmask_b32_e32 v5, v10, v7, vcc
	global_load_ubyte v7, v[1:2], off
	global_load_ubyte v8, v[3:4], off
	global_load_ubyte v10, v[5:6], off
	s_mov_b32 s0, 0xc0c0004
	v_add_u32_e32 v1, v9, v15
	s_waitcnt vmcnt(1)
	v_perm_b32 v2, v7, v8, s0
	s_waitcnt vmcnt(0)
	v_lshl_or_b32 v14, v10, 16, v2
	s_mov_b64 s[0:1], -1
	s_sub_i32 s17, s17, s4
	s_cbranch_execz .LBB491_4
	s_branch .LBB491_9
.LBB491_3:
	s_mov_b64 s[0:1], 0
                                        ; implicit-def: $vgpr1
                                        ; implicit-def: $vgpr14
	s_sub_i32 s17, s17, s4
.LBB491_4:
	s_add_i32 s20, s17, s15
	v_cmp_gt_u32_e32 vcc, s20, v0
	v_mov_b32_e32 v14, 0
	s_and_saveexec_b64 s[6:7], vcc
	s_cbranch_execnz .LBB491_47
; %bb.5:
	s_or_b64 exec, exec, s[6:7]
	v_cmp_gt_u32_e32 vcc, s20, v11
	s_and_saveexec_b64 s[6:7], vcc
	s_cbranch_execnz .LBB491_48
.LBB491_6:
	s_or_b64 exec, exec, s[6:7]
	v_cmp_gt_u32_e32 vcc, s20, v9
	s_and_saveexec_b64 s[6:7], vcc
	s_cbranch_execz .LBB491_8
.LBB491_7:
	v_mov_b32_e32 v1, s25
	v_add_co_u32_e32 v3, vcc, s24, v9
	v_addc_co_u32_e32 v1, vcc, 0, v1, vcc
	v_subrev_co_u32_e32 v2, vcc, s15, v9
	v_mov_b32_e32 v4, s26
	v_add_co_u32_e64 v5, s[0:1], s23, v2
	v_addc_co_u32_e64 v2, s[0:1], 0, v4, s[0:1]
	v_cndmask_b32_e32 v2, v2, v1, vcc
	v_cndmask_b32_e32 v1, v5, v3, vcc
	global_load_ubyte v1, v[1:2], off
	s_waitcnt vmcnt(0)
	v_lshl_or_b32 v14, v1, 16, v14
.LBB491_8:
	s_or_b64 exec, exec, s[6:7]
	v_add_u32_e32 v1, v9, v15
	v_cmp_gt_u32_e64 s[0:1], s20, v1
.LBB491_9:
	s_and_saveexec_b64 s[6:7], s[0:1]
	s_cbranch_execz .LBB491_11
; %bb.10:
	v_mov_b32_e32 v2, s25
	v_add_co_u32_e32 v3, vcc, s24, v1
	v_addc_co_u32_e32 v2, vcc, 0, v2, vcc
	v_subrev_co_u32_e32 v1, vcc, s15, v1
	v_mov_b32_e32 v4, s26
	v_add_co_u32_e64 v1, s[0:1], s23, v1
	v_addc_co_u32_e64 v4, s[0:1], 0, v4, s[0:1]
	v_cndmask_b32_e32 v2, v4, v2, vcc
	v_cndmask_b32_e32 v1, v1, v3, vcc
	global_load_ubyte v1, v[1:2], off
	s_mov_b32 s0, 0x60504
	s_waitcnt vmcnt(0)
	v_perm_b32 v14, v14, v1, s0
.LBB491_11:
	s_or_b64 exec, exec, s[6:7]
	s_lshl_b64 s[0:1], s[2:3], 3
	s_add_u32 s6, s10, s0
	s_addc_u32 s7, s11, s1
	s_lshl_b64 s[0:1], s[4:5], 3
	s_add_u32 s4, s10, s0
	s_waitcnt vmcnt(0)
	v_lshrrev_b32_e32 v16, 16, v14
	v_mov_b32_e32 v8, 0
	v_lshrrev_b32_e32 v17, 8, v14
	v_lshrrev_b32_e32 v18, 24, v14
	s_addc_u32 s5, s11, s1
	s_andn2_b64 vcc, exec, s[18:19]
	v_lshlrev_b32_e32 v13, 3, v0
	ds_write_b8 v0, v14
	ds_write_b8 v0, v17 offset:256
	ds_write_b8 v0, v16 offset:512
	;; [unrolled: 1-line block ×3, first 2 shown]
	s_cbranch_vccnz .LBB491_13
; %bb.12:
	v_mov_b32_e32 v1, s7
	v_add_co_u32_e32 v3, vcc, s6, v13
	v_addc_co_u32_e32 v4, vcc, 0, v1, vcc
	v_subrev_co_u32_e32 v7, vcc, s15, v0
	v_lshlrev_b64 v[1:2], 3, v[7:8]
	v_mov_b32_e32 v5, s5
	v_add_co_u32_e64 v1, s[0:1], s4, v1
	v_addc_co_u32_e64 v2, s[0:1], v5, v2, s[0:1]
	v_mov_b32_e32 v12, v8
	v_cndmask_b32_e32 v2, v2, v4, vcc
	v_cndmask_b32_e32 v1, v1, v3, vcc
	v_lshlrev_b64 v[3:4], 3, v[11:12]
	v_mov_b32_e32 v5, s7
	v_add_co_u32_e32 v6, vcc, s6, v3
	v_addc_co_u32_e32 v5, vcc, v5, v4, vcc
	v_subrev_co_u32_e32 v7, vcc, s15, v11
	v_lshlrev_b64 v[3:4], 3, v[7:8]
	v_mov_b32_e32 v7, s5
	v_add_co_u32_e64 v3, s[0:1], s4, v3
	v_addc_co_u32_e64 v4, s[0:1], v7, v4, s[0:1]
	v_mov_b32_e32 v10, v8
	v_cndmask_b32_e32 v4, v4, v5, vcc
	v_cndmask_b32_e32 v3, v3, v6, vcc
	v_lshlrev_b64 v[5:6], 3, v[9:10]
	v_mov_b32_e32 v7, s7
	v_add_co_u32_e32 v10, vcc, s6, v5
	v_addc_co_u32_e32 v12, vcc, v7, v6, vcc
	v_subrev_co_u32_e32 v7, vcc, s15, v9
	v_lshlrev_b64 v[5:6], 3, v[7:8]
	v_mov_b32_e32 v7, s5
	v_add_co_u32_e64 v5, s[0:1], s4, v5
	v_addc_co_u32_e64 v6, s[0:1], v7, v6, s[0:1]
	v_add_u32_e32 v7, v9, v15
	v_lshlrev_b64 v[19:20], 3, v[7:8]
	v_cndmask_b32_e32 v6, v6, v12, vcc
	v_cndmask_b32_e32 v5, v5, v10, vcc
	v_mov_b32_e32 v10, s7
	v_add_co_u32_e32 v12, vcc, s6, v19
	v_addc_co_u32_e32 v10, vcc, v10, v20, vcc
	v_subrev_co_u32_e32 v7, vcc, s15, v7
	v_lshlrev_b64 v[7:8], 3, v[7:8]
	v_mov_b32_e32 v19, s5
	v_add_co_u32_e64 v7, s[0:1], s4, v7
	v_addc_co_u32_e64 v8, s[0:1], v19, v8, s[0:1]
	v_cndmask_b32_e32 v8, v8, v10, vcc
	v_cndmask_b32_e32 v7, v7, v12, vcc
	global_load_dwordx2 v[1:2], v[1:2], off
	s_add_i32 s10, s17, s15
	global_load_dwordx2 v[3:4], v[3:4], off
	s_nop 0
	global_load_dwordx2 v[5:6], v[5:6], off
	s_nop 0
	global_load_dwordx2 v[7:8], v[7:8], off
	s_cbranch_execz .LBB491_14
	s_branch .LBB491_21
.LBB491_13:
                                        ; implicit-def: $vgpr1_vgpr2_vgpr3_vgpr4_vgpr5_vgpr6_vgpr7_vgpr8
                                        ; implicit-def: $sgpr10
.LBB491_14:
	s_add_i32 s10, s17, s15
	s_waitcnt vmcnt(3)
	v_mov_b32_e32 v1, 0
	v_cmp_gt_u32_e32 vcc, s10, v0
	v_mov_b32_e32 v2, v1
	s_waitcnt vmcnt(2)
	v_mov_b32_e32 v3, v1
	v_mov_b32_e32 v4, v1
	s_waitcnt vmcnt(1)
	v_mov_b32_e32 v5, v1
	;; [unrolled: 3-line block ×3, first 2 shown]
	v_mov_b32_e32 v8, v1
	s_and_saveexec_b64 s[2:3], vcc
	s_cbranch_execnz .LBB491_49
; %bb.15:
	s_or_b64 exec, exec, s[2:3]
	v_cmp_gt_u32_e32 vcc, s10, v11
	s_and_saveexec_b64 s[2:3], vcc
	s_cbranch_execnz .LBB491_50
.LBB491_16:
	s_or_b64 exec, exec, s[2:3]
	v_cmp_gt_u32_e32 vcc, s10, v9
	s_and_saveexec_b64 s[2:3], vcc
	s_cbranch_execz .LBB491_18
.LBB491_17:
	v_mov_b32_e32 v10, 0
	v_lshlrev_b64 v[5:6], 3, v[9:10]
	v_mov_b32_e32 v11, s7
	v_add_co_u32_e32 v12, vcc, s6, v5
	v_addc_co_u32_e32 v11, vcc, v11, v6, vcc
	v_subrev_co_u32_e32 v5, vcc, s15, v9
	v_mov_b32_e32 v6, v10
	v_lshlrev_b64 v[5:6], 3, v[5:6]
	v_mov_b32_e32 v10, s5
	v_add_co_u32_e64 v5, s[0:1], s4, v5
	v_addc_co_u32_e64 v6, s[0:1], v10, v6, s[0:1]
	v_cndmask_b32_e32 v6, v6, v11, vcc
	v_cndmask_b32_e32 v5, v5, v12, vcc
	global_load_dwordx2 v[5:6], v[5:6], off
.LBB491_18:
	s_or_b64 exec, exec, s[2:3]
	v_add_u32_e32 v9, v9, v15
	v_cmp_gt_u32_e32 vcc, s10, v9
	s_and_saveexec_b64 s[2:3], vcc
	s_cbranch_execz .LBB491_20
; %bb.19:
	v_mov_b32_e32 v10, 0
	v_lshlrev_b64 v[7:8], 3, v[9:10]
	v_mov_b32_e32 v11, s7
	v_add_co_u32_e32 v12, vcc, s6, v7
	v_addc_co_u32_e32 v11, vcc, v11, v8, vcc
	v_subrev_co_u32_e32 v9, vcc, s15, v9
	v_lshlrev_b64 v[7:8], 3, v[9:10]
	v_mov_b32_e32 v9, s5
	v_add_co_u32_e64 v7, s[0:1], s4, v7
	v_addc_co_u32_e64 v8, s[0:1], v9, v8, s[0:1]
	v_cndmask_b32_e32 v8, v8, v11, vcc
	v_cndmask_b32_e32 v7, v7, v12, vcc
	global_load_dwordx2 v[7:8], v[7:8], off
.LBB491_20:
	s_or_b64 exec, exec, s[2:3]
.LBB491_21:
	v_lshlrev_b32_e32 v11, 2, v0
	v_min_u32_e32 v10, s10, v11
	v_sub_u32_e64 v9, v10, s17 clamp
	v_min_u32_e32 v12, s15, v10
	v_cmp_lt_u32_e32 vcc, v9, v12
	s_waitcnt vmcnt(0) lgkmcnt(0)
	s_barrier
	s_and_saveexec_b64 s[0:1], vcc
	s_cbranch_execz .LBB491_25
; %bb.22:
	v_add_u32_e32 v15, s15, v10
	s_mov_b64 s[2:3], 0
.LBB491_23:                             ; =>This Inner Loop Header: Depth=1
	v_add_u32_e32 v19, v12, v9
	v_lshrrev_b32_e32 v19, 1, v19
	v_xad_u32 v20, v19, -1, v15
	ds_read_i8 v21, v19
	ds_read_i8 v20, v20
	v_add_u32_e32 v22, 1, v19
	s_waitcnt lgkmcnt(0)
	v_cmp_gt_i16_e32 vcc, v21, v20
	v_cndmask_b32_e32 v12, v12, v19, vcc
	v_cndmask_b32_e32 v9, v22, v9, vcc
	v_cmp_ge_u32_e32 vcc, v9, v12
	s_or_b64 s[2:3], vcc, s[2:3]
	s_andn2_b64 exec, exec, s[2:3]
	s_cbranch_execnz .LBB491_23
; %bb.24:
	s_or_b64 exec, exec, s[2:3]
.LBB491_25:
	s_or_b64 exec, exec, s[0:1]
	v_sub_u32_e32 v10, v10, v9
	v_add_u32_e32 v19, s15, v10
	v_cmp_ge_u32_e32 vcc, s15, v9
	v_cmp_ge_u32_e64 s[0:1], s10, v19
	s_or_b64 s[0:1], vcc, s[0:1]
	v_mov_b32_e32 v20, 0
	v_mov_b32_e32 v15, 0
	v_mov_b32_e32 v12, 0
	v_mov_b32_e32 v10, 0
	s_and_saveexec_b64 s[6:7], s[0:1]
	s_cbranch_execz .LBB491_31
; %bb.26:
	v_cmp_gt_u32_e32 vcc, s15, v9
                                        ; implicit-def: $vgpr14
	s_and_saveexec_b64 s[0:1], vcc
; %bb.27:
	ds_read_u8 v14, v9
; %bb.28:
	s_or_b64 exec, exec, s[0:1]
	v_cmp_le_u32_e64 s[0:1], s10, v19
	v_cmp_gt_u32_e64 s[2:3], s10, v19
                                        ; implicit-def: $vgpr16
	s_and_saveexec_b64 s[4:5], s[2:3]
; %bb.29:
	ds_read_u8 v16, v19
; %bb.30:
	s_or_b64 exec, exec, s[4:5]
	s_waitcnt lgkmcnt(0)
	v_cmp_le_i16_sdwa s[2:3], sext(v14), sext(v16) src0_sel:BYTE_0 src1_sel:BYTE_0
	s_and_b64 s[2:3], vcc, s[2:3]
	s_or_b64 vcc, s[0:1], s[2:3]
	v_mov_b32_e32 v17, s10
	v_mov_b32_e32 v18, s15
	v_cndmask_b32_e32 v10, v19, v9, vcc
	v_cndmask_b32_e32 v12, v17, v18, vcc
	v_add_u32_e32 v15, 1, v10
	v_add_u32_e32 v12, -1, v12
	v_min_u32_e32 v12, v15, v12
	ds_read_u8 v12, v12
	v_cndmask_b32_e32 v9, v9, v15, vcc
	v_cndmask_b32_e32 v19, v15, v19, vcc
	v_cmp_gt_u32_e64 s[2:3], s15, v9
	v_cmp_le_u32_e64 s[0:1], s10, v19
	s_waitcnt lgkmcnt(0)
	v_cndmask_b32_e32 v20, v12, v16, vcc
	v_cndmask_b32_e32 v21, v14, v12, vcc
	v_cmp_le_i16_sdwa s[4:5], sext(v21), sext(v20) src0_sel:BYTE_0 src1_sel:BYTE_0
	s_and_b64 s[2:3], s[2:3], s[4:5]
	s_or_b64 s[0:1], s[0:1], s[2:3]
	v_cndmask_b32_e64 v12, v19, v9, s[0:1]
	v_cndmask_b32_e64 v15, v17, v18, s[0:1]
	v_add_u32_e32 v22, 1, v12
	v_add_u32_e32 v15, -1, v15
	v_min_u32_e32 v15, v22, v15
	ds_read_u8 v15, v15
	v_cndmask_b32_e64 v9, v9, v22, s[0:1]
	v_cndmask_b32_e64 v19, v22, v19, s[0:1]
	v_cmp_gt_u32_e64 s[4:5], s15, v9
	v_cmp_le_u32_e64 s[2:3], s10, v19
	s_waitcnt lgkmcnt(0)
	v_cndmask_b32_e64 v23, v15, v20, s[0:1]
	v_cndmask_b32_e64 v24, v21, v15, s[0:1]
	v_cmp_le_i16_sdwa s[20:21], sext(v24), sext(v23) src0_sel:BYTE_0 src1_sel:BYTE_0
	s_and_b64 s[4:5], s[4:5], s[20:21]
	s_or_b64 s[2:3], s[2:3], s[4:5]
	v_cndmask_b32_e64 v15, v19, v9, s[2:3]
	v_cndmask_b32_e64 v17, v17, v18, s[2:3]
	v_add_u32_e32 v18, 1, v15
	v_add_u32_e32 v17, -1, v17
	v_min_u32_e32 v17, v18, v17
	ds_read_u8 v22, v17
	v_cndmask_b32_e64 v17, v20, v21, s[0:1]
	v_cndmask_b32_e64 v9, v9, v18, s[2:3]
	v_cndmask_b32_e32 v14, v16, v14, vcc
	v_cndmask_b32_e64 v16, v23, v24, s[2:3]
	s_waitcnt lgkmcnt(0)
	v_cndmask_b32_e64 v21, v22, v23, s[2:3]
	v_cndmask_b32_e64 v22, v24, v22, s[2:3]
	;; [unrolled: 1-line block ×3, first 2 shown]
	v_cmp_gt_u32_e64 s[0:1], s15, v9
	v_cmp_le_i16_sdwa s[2:3], sext(v22), sext(v21) src0_sel:BYTE_0 src1_sel:BYTE_0
	v_cmp_le_u32_e32 vcc, s10, v19
	s_and_b64 s[0:1], s[0:1], s[2:3]
	s_or_b64 vcc, vcc, s[0:1]
	v_cndmask_b32_e32 v20, v19, v9, vcc
	v_cndmask_b32_e32 v18, v21, v22, vcc
.LBB491_31:
	s_or_b64 exec, exec, s[6:7]
	v_mad_u32_u24 v9, v0, 7, v0
	s_barrier
	ds_write2st64_b64 v9, v[1:2], v[3:4] offset1:4
	ds_write2st64_b64 v9, v[5:6], v[7:8] offset0:8 offset1:12
	v_lshlrev_b32_e32 v1, 3, v10
	v_lshlrev_b32_e32 v2, 3, v12
	;; [unrolled: 1-line block ×4, first 2 shown]
	s_waitcnt lgkmcnt(0)
	s_barrier
	ds_read_b64 v[5:6], v1
	ds_read_b64 v[7:8], v2
	;; [unrolled: 1-line block ×4, first 2 shown]
	v_lshrrev_b32_e32 v19, 3, v0
	s_mov_b32 s2, 0xc0c0004
	s_add_u32 s0, s8, s16
	v_and_b32_e32 v9, 28, v19
	v_perm_b32 v10, v14, v17, s2
	v_perm_b32 v12, v16, v18, s2
	s_addc_u32 s1, s9, 0
	v_add_u32_e32 v9, v9, v11
	v_lshl_or_b32 v10, v12, 16, v10
	v_or_b32_e32 v22, 0x100, v0
	v_or_b32_e32 v21, 0x200, v0
	;; [unrolled: 1-line block ×3, first 2 shown]
	s_waitcnt lgkmcnt(0)
	s_barrier
	s_barrier
	ds_write_b32 v9, v10
	v_lshrrev_b32_e32 v15, 5, v22
	v_lshrrev_b32_e32 v16, 5, v21
	;; [unrolled: 1-line block ×3, first 2 shown]
	v_mov_b32_e32 v10, s1
	v_add_co_u32_e32 v9, vcc, s0, v0
	v_lshrrev_b32_e32 v14, 5, v0
	v_and_b32_e32 v12, 12, v15
	v_and_b32_e32 v18, 20, v16
	;; [unrolled: 1-line block ×3, first 2 shown]
	v_addc_co_u32_e32 v10, vcc, 0, v10, vcc
	s_mov_b32 s17, 0
	v_and_b32_e32 v23, 4, v14
	s_and_b64 vcc, exec, s[18:19]
	v_add_u32_e32 v24, v12, v0
	v_add_u32_e32 v25, v18, v0
	;; [unrolled: 1-line block ×3, first 2 shown]
	v_lshlrev_b32_e32 v18, 3, v11
	s_waitcnt lgkmcnt(0)
	s_cbranch_vccz .LBB491_33
; %bb.32:
	v_add_u32_e32 v11, v23, v0
	s_barrier
	ds_read_u8 v11, v11
	ds_read_u8 v12, v24 offset:256
	ds_read_u8 v27, v25 offset:512
	;; [unrolled: 1-line block ×3, first 2 shown]
	s_lshl_b64 s[0:1], s[16:17], 3
	s_add_u32 s0, s12, s0
	s_waitcnt lgkmcnt(3)
	global_store_byte v[9:10], v11, off
	s_waitcnt lgkmcnt(2)
	global_store_byte v[9:10], v12, off offset:256
	s_waitcnt lgkmcnt(1)
	global_store_byte v[9:10], v27, off offset:512
	;; [unrolled: 2-line block ×3, first 2 shown]
	v_lshl_add_u32 v11, v19, 3, v18
	s_waitcnt vmcnt(0)
	s_barrier
	ds_write2_b64 v11, v[5:6], v[7:8] offset1:1
	ds_write2_b64 v11, v[1:2], v[3:4] offset0:2 offset1:3
	v_lshl_add_u32 v11, v14, 3, v13
	v_lshl_add_u32 v12, v15, 3, v13
	;; [unrolled: 1-line block ×3, first 2 shown]
	s_addc_u32 s1, s13, s1
	s_waitcnt lgkmcnt(0)
	s_barrier
	v_lshl_add_u32 v33, v17, 3, v13
	ds_read_b64 v[27:28], v11
	ds_read_b64 v[29:30], v12 offset:2048
	ds_read_b64 v[31:32], v31 offset:4096
	;; [unrolled: 1-line block ×3, first 2 shown]
	v_mov_b32_e32 v33, s1
	v_add_co_u32_e32 v34, vcc, s0, v13
	v_addc_co_u32_e32 v33, vcc, 0, v33, vcc
	s_waitcnt lgkmcnt(3)
	global_store_dwordx2 v13, v[27:28], s[0:1]
	s_waitcnt lgkmcnt(2)
	global_store_dwordx2 v13, v[29:30], s[0:1] offset:2048
	v_add_co_u32_e32 v27, vcc, 0x1000, v34
	v_addc_co_u32_e32 v28, vcc, 0, v33, vcc
	s_waitcnt lgkmcnt(1)
	global_store_dwordx2 v[27:28], v[31:32], off
	s_mov_b64 s[6:7], -1
	s_cbranch_execz .LBB491_34
	s_branch .LBB491_44
.LBB491_33:
	s_mov_b64 s[6:7], 0
                                        ; implicit-def: $vgpr11_vgpr12
.LBB491_34:
	s_waitcnt vmcnt(0) lgkmcnt(0)
	s_barrier
	ds_read_u8 v24, v24 offset:256
	ds_read_u8 v12, v25 offset:512
	;; [unrolled: 1-line block ×3, first 2 shown]
	s_sub_i32 s6, s14, s16
	v_cmp_gt_u32_e32 vcc, s6, v0
	s_and_saveexec_b64 s[0:1], vcc
	s_cbranch_execnz .LBB491_51
; %bb.35:
	s_or_b64 exec, exec, s[0:1]
	v_cmp_gt_u32_e64 s[0:1], s6, v22
	s_and_saveexec_b64 s[2:3], s[0:1]
	s_cbranch_execnz .LBB491_52
.LBB491_36:
	s_or_b64 exec, exec, s[2:3]
	v_cmp_gt_u32_e64 s[2:3], s6, v21
	s_and_saveexec_b64 s[4:5], s[2:3]
	s_cbranch_execnz .LBB491_53
.LBB491_37:
	s_or_b64 exec, exec, s[4:5]
	v_cmp_gt_u32_e64 s[6:7], s6, v20
	s_and_saveexec_b64 s[4:5], s[6:7]
	s_cbranch_execz .LBB491_39
.LBB491_38:
	s_waitcnt lgkmcnt(0)
	global_store_byte v[9:10], v11, off offset:768
.LBB491_39:
	s_or_b64 exec, exec, s[4:5]
	v_lshl_add_u32 v0, v19, 3, v18
	s_waitcnt vmcnt(0) lgkmcnt(0)
	s_barrier
	ds_write2_b64 v0, v[5:6], v[7:8] offset1:1
	ds_write2_b64 v0, v[1:2], v[3:4] offset0:2 offset1:3
	v_lshl_add_u32 v0, v15, 3, v13
	v_lshl_add_u32 v1, v16, 3, v13
	s_waitcnt lgkmcnt(0)
	s_barrier
	v_lshl_add_u32 v2, v17, 3, v13
	ds_read_b64 v[4:5], v0 offset:2048
	ds_read_b64 v[0:1], v1 offset:4096
	;; [unrolled: 1-line block ×3, first 2 shown]
	s_lshl_b64 s[4:5], s[16:17], 3
	s_add_u32 s4, s12, s4
	s_addc_u32 s5, s13, s5
	v_mov_b32_e32 v3, s5
	v_add_co_u32_e64 v2, s[4:5], s4, v13
	v_addc_co_u32_e64 v3, s[4:5], 0, v3, s[4:5]
	s_and_saveexec_b64 s[4:5], vcc
	s_cbranch_execnz .LBB491_54
; %bb.40:
	s_or_b64 exec, exec, s[4:5]
	s_and_saveexec_b64 s[4:5], s[0:1]
	s_cbranch_execnz .LBB491_55
.LBB491_41:
	s_or_b64 exec, exec, s[4:5]
	s_and_saveexec_b64 s[0:1], s[2:3]
	s_cbranch_execz .LBB491_43
.LBB491_42:
	v_add_co_u32_e32 v2, vcc, 0x1000, v2
	v_addc_co_u32_e32 v3, vcc, 0, v3, vcc
	s_waitcnt lgkmcnt(1)
	global_store_dwordx2 v[2:3], v[0:1], off
.LBB491_43:
	s_or_b64 exec, exec, s[0:1]
.LBB491_44:
	s_and_saveexec_b64 s[0:1], s[6:7]
	s_cbranch_execz .LBB491_46
; %bb.45:
	s_lshl_b64 s[0:1], s[16:17], 3
	s_add_u32 s0, s12, s0
	s_addc_u32 s1, s13, s1
	s_waitcnt lgkmcnt(1)
	v_mov_b32_e32 v0, s1
	v_add_co_u32_e32 v1, vcc, s0, v13
	v_addc_co_u32_e32 v2, vcc, 0, v0, vcc
	v_add_co_u32_e32 v0, vcc, 0x1000, v1
	v_addc_co_u32_e32 v1, vcc, 0, v2, vcc
	s_waitcnt lgkmcnt(0)
	global_store_dwordx2 v[0:1], v[11:12], off offset:2048
.LBB491_46:
	s_endpgm
.LBB491_47:
	v_mov_b32_e32 v1, s25
	v_add_co_u32_e32 v3, vcc, s24, v0
	v_addc_co_u32_e32 v1, vcc, 0, v1, vcc
	v_subrev_co_u32_e32 v2, vcc, s15, v0
	v_mov_b32_e32 v4, s26
	v_add_co_u32_e64 v5, s[0:1], s23, v2
	v_addc_co_u32_e64 v2, s[0:1], 0, v4, s[0:1]
	v_cndmask_b32_e32 v2, v2, v1, vcc
	v_cndmask_b32_e32 v1, v5, v3, vcc
	global_load_ubyte v14, v[1:2], off
	s_or_b64 exec, exec, s[6:7]
	v_cmp_gt_u32_e32 vcc, s20, v11
	s_and_saveexec_b64 s[6:7], vcc
	s_cbranch_execz .LBB491_6
.LBB491_48:
	v_mov_b32_e32 v1, s25
	v_add_co_u32_e32 v3, vcc, s24, v11
	v_addc_co_u32_e32 v1, vcc, 0, v1, vcc
	v_subrev_co_u32_e32 v2, vcc, s15, v11
	v_mov_b32_e32 v4, s26
	v_add_co_u32_e64 v5, s[0:1], s23, v2
	v_addc_co_u32_e64 v2, s[0:1], 0, v4, s[0:1]
	v_cndmask_b32_e32 v2, v2, v1, vcc
	v_cndmask_b32_e32 v1, v5, v3, vcc
	global_load_ubyte v1, v[1:2], off
	s_waitcnt vmcnt(0)
	v_lshlrev_b16_e32 v1, 8, v1
	v_or_b32_e32 v1, v14, v1
	v_and_b32_e32 v14, 0xffff, v1
	s_or_b64 exec, exec, s[6:7]
	v_cmp_gt_u32_e32 vcc, s20, v9
	s_and_saveexec_b64 s[6:7], vcc
	s_cbranch_execnz .LBB491_7
	s_branch .LBB491_8
.LBB491_49:
	v_mov_b32_e32 v2, s7
	v_add_co_u32_e32 v4, vcc, s6, v13
	v_addc_co_u32_e32 v5, vcc, 0, v2, vcc
	v_subrev_co_u32_e32 v2, vcc, s15, v0
	v_mov_b32_e32 v3, v1
	v_lshlrev_b64 v[2:3], 3, v[2:3]
	v_mov_b32_e32 v6, s5
	v_add_co_u32_e64 v2, s[0:1], s4, v2
	v_addc_co_u32_e64 v3, s[0:1], v6, v3, s[0:1]
	v_cndmask_b32_e32 v3, v3, v5, vcc
	v_cndmask_b32_e32 v2, v2, v4, vcc
	global_load_dwordx2 v[19:20], v[2:3], off
	v_mov_b32_e32 v21, v1
	v_mov_b32_e32 v22, v1
	;; [unrolled: 1-line block ×6, first 2 shown]
	s_waitcnt vmcnt(0)
	v_mov_b32_e32 v1, v19
	v_mov_b32_e32 v2, v20
	;; [unrolled: 1-line block ×8, first 2 shown]
	s_or_b64 exec, exec, s[2:3]
	v_cmp_gt_u32_e32 vcc, s10, v11
	s_and_saveexec_b64 s[2:3], vcc
	s_cbranch_execz .LBB491_16
.LBB491_50:
	v_mov_b32_e32 v12, 0
	v_lshlrev_b64 v[3:4], 3, v[11:12]
	v_mov_b32_e32 v10, s7
	v_add_co_u32_e32 v19, vcc, s6, v3
	v_addc_co_u32_e32 v10, vcc, v10, v4, vcc
	v_subrev_co_u32_e32 v11, vcc, s15, v11
	v_lshlrev_b64 v[3:4], 3, v[11:12]
	v_mov_b32_e32 v11, s5
	v_add_co_u32_e64 v3, s[0:1], s4, v3
	v_addc_co_u32_e64 v4, s[0:1], v11, v4, s[0:1]
	v_cndmask_b32_e32 v4, v4, v10, vcc
	v_cndmask_b32_e32 v3, v3, v19, vcc
	global_load_dwordx2 v[3:4], v[3:4], off
	s_or_b64 exec, exec, s[2:3]
	v_cmp_gt_u32_e32 vcc, s10, v9
	s_and_saveexec_b64 s[2:3], vcc
	s_cbranch_execnz .LBB491_17
	s_branch .LBB491_18
.LBB491_51:
	v_add_u32_e32 v0, v23, v0
	ds_read_u8 v0, v0
	s_waitcnt lgkmcnt(0)
	global_store_byte v[9:10], v0, off
	s_or_b64 exec, exec, s[0:1]
	v_cmp_gt_u32_e64 s[0:1], s6, v22
	s_and_saveexec_b64 s[2:3], s[0:1]
	s_cbranch_execz .LBB491_36
.LBB491_52:
	s_waitcnt lgkmcnt(2)
	global_store_byte v[9:10], v24, off offset:256
	s_or_b64 exec, exec, s[2:3]
	v_cmp_gt_u32_e64 s[2:3], s6, v21
	s_and_saveexec_b64 s[4:5], s[2:3]
	s_cbranch_execz .LBB491_37
.LBB491_53:
	s_waitcnt lgkmcnt(1)
	global_store_byte v[9:10], v12, off offset:512
	s_or_b64 exec, exec, s[4:5]
	v_cmp_gt_u32_e64 s[6:7], s6, v20
	s_and_saveexec_b64 s[4:5], s[6:7]
	s_cbranch_execnz .LBB491_38
	s_branch .LBB491_39
.LBB491_54:
	v_lshl_add_u32 v6, v14, 3, v13
	ds_read_b64 v[6:7], v6
	s_waitcnt lgkmcnt(0)
	global_store_dwordx2 v[2:3], v[6:7], off
	s_or_b64 exec, exec, s[4:5]
	s_and_saveexec_b64 s[4:5], s[0:1]
	s_cbranch_execz .LBB491_41
.LBB491_55:
	s_waitcnt lgkmcnt(2)
	global_store_dwordx2 v[2:3], v[4:5], off offset:2048
	s_or_b64 exec, exec, s[4:5]
	s_and_saveexec_b64 s[0:1], s[2:3]
	s_cbranch_execnz .LBB491_42
	s_branch .LBB491_43
	.section	.rodata,"a",@progbits
	.p2align	6, 0x0
	.amdhsa_kernel _ZN7rocprim17ROCPRIM_400000_NS6detail17trampoline_kernelINS0_14default_configENS1_38merge_sort_block_merge_config_selectorIalEEZZNS1_27merge_sort_block_merge_implIS3_PaN6thrust23THRUST_200600_302600_NS10device_ptrIlEEjNS1_19radix_merge_compareILb0ELb0EaNS0_19identity_decomposerEEEEE10hipError_tT0_T1_T2_jT3_P12ihipStream_tbPNSt15iterator_traitsISG_E10value_typeEPNSM_ISH_E10value_typeEPSI_NS1_7vsmem_tEENKUlT_SG_SH_SI_E_clIS7_S7_PlSB_EESF_SV_SG_SH_SI_EUlSV_E0_NS1_11comp_targetILNS1_3genE2ELNS1_11target_archE906ELNS1_3gpuE6ELNS1_3repE0EEENS1_38merge_mergepath_config_static_selectorELNS0_4arch9wavefront6targetE1EEEvSH_
		.amdhsa_group_segment_fixed_size 8448
		.amdhsa_private_segment_fixed_size 0
		.amdhsa_kernarg_size 320
		.amdhsa_user_sgpr_count 6
		.amdhsa_user_sgpr_private_segment_buffer 1
		.amdhsa_user_sgpr_dispatch_ptr 0
		.amdhsa_user_sgpr_queue_ptr 0
		.amdhsa_user_sgpr_kernarg_segment_ptr 1
		.amdhsa_user_sgpr_dispatch_id 0
		.amdhsa_user_sgpr_flat_scratch_init 0
		.amdhsa_user_sgpr_private_segment_size 0
		.amdhsa_uses_dynamic_stack 0
		.amdhsa_system_sgpr_private_segment_wavefront_offset 0
		.amdhsa_system_sgpr_workgroup_id_x 1
		.amdhsa_system_sgpr_workgroup_id_y 1
		.amdhsa_system_sgpr_workgroup_id_z 1
		.amdhsa_system_sgpr_workgroup_info 0
		.amdhsa_system_vgpr_workitem_id 0
		.amdhsa_next_free_vgpr 35
		.amdhsa_next_free_sgpr 77
		.amdhsa_reserve_vcc 1
		.amdhsa_reserve_flat_scratch 0
		.amdhsa_float_round_mode_32 0
		.amdhsa_float_round_mode_16_64 0
		.amdhsa_float_denorm_mode_32 3
		.amdhsa_float_denorm_mode_16_64 3
		.amdhsa_dx10_clamp 1
		.amdhsa_ieee_mode 1
		.amdhsa_fp16_overflow 0
		.amdhsa_exception_fp_ieee_invalid_op 0
		.amdhsa_exception_fp_denorm_src 0
		.amdhsa_exception_fp_ieee_div_zero 0
		.amdhsa_exception_fp_ieee_overflow 0
		.amdhsa_exception_fp_ieee_underflow 0
		.amdhsa_exception_fp_ieee_inexact 0
		.amdhsa_exception_int_div_zero 0
	.end_amdhsa_kernel
	.section	.text._ZN7rocprim17ROCPRIM_400000_NS6detail17trampoline_kernelINS0_14default_configENS1_38merge_sort_block_merge_config_selectorIalEEZZNS1_27merge_sort_block_merge_implIS3_PaN6thrust23THRUST_200600_302600_NS10device_ptrIlEEjNS1_19radix_merge_compareILb0ELb0EaNS0_19identity_decomposerEEEEE10hipError_tT0_T1_T2_jT3_P12ihipStream_tbPNSt15iterator_traitsISG_E10value_typeEPNSM_ISH_E10value_typeEPSI_NS1_7vsmem_tEENKUlT_SG_SH_SI_E_clIS7_S7_PlSB_EESF_SV_SG_SH_SI_EUlSV_E0_NS1_11comp_targetILNS1_3genE2ELNS1_11target_archE906ELNS1_3gpuE6ELNS1_3repE0EEENS1_38merge_mergepath_config_static_selectorELNS0_4arch9wavefront6targetE1EEEvSH_,"axG",@progbits,_ZN7rocprim17ROCPRIM_400000_NS6detail17trampoline_kernelINS0_14default_configENS1_38merge_sort_block_merge_config_selectorIalEEZZNS1_27merge_sort_block_merge_implIS3_PaN6thrust23THRUST_200600_302600_NS10device_ptrIlEEjNS1_19radix_merge_compareILb0ELb0EaNS0_19identity_decomposerEEEEE10hipError_tT0_T1_T2_jT3_P12ihipStream_tbPNSt15iterator_traitsISG_E10value_typeEPNSM_ISH_E10value_typeEPSI_NS1_7vsmem_tEENKUlT_SG_SH_SI_E_clIS7_S7_PlSB_EESF_SV_SG_SH_SI_EUlSV_E0_NS1_11comp_targetILNS1_3genE2ELNS1_11target_archE906ELNS1_3gpuE6ELNS1_3repE0EEENS1_38merge_mergepath_config_static_selectorELNS0_4arch9wavefront6targetE1EEEvSH_,comdat
.Lfunc_end491:
	.size	_ZN7rocprim17ROCPRIM_400000_NS6detail17trampoline_kernelINS0_14default_configENS1_38merge_sort_block_merge_config_selectorIalEEZZNS1_27merge_sort_block_merge_implIS3_PaN6thrust23THRUST_200600_302600_NS10device_ptrIlEEjNS1_19radix_merge_compareILb0ELb0EaNS0_19identity_decomposerEEEEE10hipError_tT0_T1_T2_jT3_P12ihipStream_tbPNSt15iterator_traitsISG_E10value_typeEPNSM_ISH_E10value_typeEPSI_NS1_7vsmem_tEENKUlT_SG_SH_SI_E_clIS7_S7_PlSB_EESF_SV_SG_SH_SI_EUlSV_E0_NS1_11comp_targetILNS1_3genE2ELNS1_11target_archE906ELNS1_3gpuE6ELNS1_3repE0EEENS1_38merge_mergepath_config_static_selectorELNS0_4arch9wavefront6targetE1EEEvSH_, .Lfunc_end491-_ZN7rocprim17ROCPRIM_400000_NS6detail17trampoline_kernelINS0_14default_configENS1_38merge_sort_block_merge_config_selectorIalEEZZNS1_27merge_sort_block_merge_implIS3_PaN6thrust23THRUST_200600_302600_NS10device_ptrIlEEjNS1_19radix_merge_compareILb0ELb0EaNS0_19identity_decomposerEEEEE10hipError_tT0_T1_T2_jT3_P12ihipStream_tbPNSt15iterator_traitsISG_E10value_typeEPNSM_ISH_E10value_typeEPSI_NS1_7vsmem_tEENKUlT_SG_SH_SI_E_clIS7_S7_PlSB_EESF_SV_SG_SH_SI_EUlSV_E0_NS1_11comp_targetILNS1_3genE2ELNS1_11target_archE906ELNS1_3gpuE6ELNS1_3repE0EEENS1_38merge_mergepath_config_static_selectorELNS0_4arch9wavefront6targetE1EEEvSH_
                                        ; -- End function
	.set _ZN7rocprim17ROCPRIM_400000_NS6detail17trampoline_kernelINS0_14default_configENS1_38merge_sort_block_merge_config_selectorIalEEZZNS1_27merge_sort_block_merge_implIS3_PaN6thrust23THRUST_200600_302600_NS10device_ptrIlEEjNS1_19radix_merge_compareILb0ELb0EaNS0_19identity_decomposerEEEEE10hipError_tT0_T1_T2_jT3_P12ihipStream_tbPNSt15iterator_traitsISG_E10value_typeEPNSM_ISH_E10value_typeEPSI_NS1_7vsmem_tEENKUlT_SG_SH_SI_E_clIS7_S7_PlSB_EESF_SV_SG_SH_SI_EUlSV_E0_NS1_11comp_targetILNS1_3genE2ELNS1_11target_archE906ELNS1_3gpuE6ELNS1_3repE0EEENS1_38merge_mergepath_config_static_selectorELNS0_4arch9wavefront6targetE1EEEvSH_.num_vgpr, 35
	.set _ZN7rocprim17ROCPRIM_400000_NS6detail17trampoline_kernelINS0_14default_configENS1_38merge_sort_block_merge_config_selectorIalEEZZNS1_27merge_sort_block_merge_implIS3_PaN6thrust23THRUST_200600_302600_NS10device_ptrIlEEjNS1_19radix_merge_compareILb0ELb0EaNS0_19identity_decomposerEEEEE10hipError_tT0_T1_T2_jT3_P12ihipStream_tbPNSt15iterator_traitsISG_E10value_typeEPNSM_ISH_E10value_typeEPSI_NS1_7vsmem_tEENKUlT_SG_SH_SI_E_clIS7_S7_PlSB_EESF_SV_SG_SH_SI_EUlSV_E0_NS1_11comp_targetILNS1_3genE2ELNS1_11target_archE906ELNS1_3gpuE6ELNS1_3repE0EEENS1_38merge_mergepath_config_static_selectorELNS0_4arch9wavefront6targetE1EEEvSH_.num_agpr, 0
	.set _ZN7rocprim17ROCPRIM_400000_NS6detail17trampoline_kernelINS0_14default_configENS1_38merge_sort_block_merge_config_selectorIalEEZZNS1_27merge_sort_block_merge_implIS3_PaN6thrust23THRUST_200600_302600_NS10device_ptrIlEEjNS1_19radix_merge_compareILb0ELb0EaNS0_19identity_decomposerEEEEE10hipError_tT0_T1_T2_jT3_P12ihipStream_tbPNSt15iterator_traitsISG_E10value_typeEPNSM_ISH_E10value_typeEPSI_NS1_7vsmem_tEENKUlT_SG_SH_SI_E_clIS7_S7_PlSB_EESF_SV_SG_SH_SI_EUlSV_E0_NS1_11comp_targetILNS1_3genE2ELNS1_11target_archE906ELNS1_3gpuE6ELNS1_3repE0EEENS1_38merge_mergepath_config_static_selectorELNS0_4arch9wavefront6targetE1EEEvSH_.numbered_sgpr, 29
	.set _ZN7rocprim17ROCPRIM_400000_NS6detail17trampoline_kernelINS0_14default_configENS1_38merge_sort_block_merge_config_selectorIalEEZZNS1_27merge_sort_block_merge_implIS3_PaN6thrust23THRUST_200600_302600_NS10device_ptrIlEEjNS1_19radix_merge_compareILb0ELb0EaNS0_19identity_decomposerEEEEE10hipError_tT0_T1_T2_jT3_P12ihipStream_tbPNSt15iterator_traitsISG_E10value_typeEPNSM_ISH_E10value_typeEPSI_NS1_7vsmem_tEENKUlT_SG_SH_SI_E_clIS7_S7_PlSB_EESF_SV_SG_SH_SI_EUlSV_E0_NS1_11comp_targetILNS1_3genE2ELNS1_11target_archE906ELNS1_3gpuE6ELNS1_3repE0EEENS1_38merge_mergepath_config_static_selectorELNS0_4arch9wavefront6targetE1EEEvSH_.num_named_barrier, 0
	.set _ZN7rocprim17ROCPRIM_400000_NS6detail17trampoline_kernelINS0_14default_configENS1_38merge_sort_block_merge_config_selectorIalEEZZNS1_27merge_sort_block_merge_implIS3_PaN6thrust23THRUST_200600_302600_NS10device_ptrIlEEjNS1_19radix_merge_compareILb0ELb0EaNS0_19identity_decomposerEEEEE10hipError_tT0_T1_T2_jT3_P12ihipStream_tbPNSt15iterator_traitsISG_E10value_typeEPNSM_ISH_E10value_typeEPSI_NS1_7vsmem_tEENKUlT_SG_SH_SI_E_clIS7_S7_PlSB_EESF_SV_SG_SH_SI_EUlSV_E0_NS1_11comp_targetILNS1_3genE2ELNS1_11target_archE906ELNS1_3gpuE6ELNS1_3repE0EEENS1_38merge_mergepath_config_static_selectorELNS0_4arch9wavefront6targetE1EEEvSH_.private_seg_size, 0
	.set _ZN7rocprim17ROCPRIM_400000_NS6detail17trampoline_kernelINS0_14default_configENS1_38merge_sort_block_merge_config_selectorIalEEZZNS1_27merge_sort_block_merge_implIS3_PaN6thrust23THRUST_200600_302600_NS10device_ptrIlEEjNS1_19radix_merge_compareILb0ELb0EaNS0_19identity_decomposerEEEEE10hipError_tT0_T1_T2_jT3_P12ihipStream_tbPNSt15iterator_traitsISG_E10value_typeEPNSM_ISH_E10value_typeEPSI_NS1_7vsmem_tEENKUlT_SG_SH_SI_E_clIS7_S7_PlSB_EESF_SV_SG_SH_SI_EUlSV_E0_NS1_11comp_targetILNS1_3genE2ELNS1_11target_archE906ELNS1_3gpuE6ELNS1_3repE0EEENS1_38merge_mergepath_config_static_selectorELNS0_4arch9wavefront6targetE1EEEvSH_.uses_vcc, 1
	.set _ZN7rocprim17ROCPRIM_400000_NS6detail17trampoline_kernelINS0_14default_configENS1_38merge_sort_block_merge_config_selectorIalEEZZNS1_27merge_sort_block_merge_implIS3_PaN6thrust23THRUST_200600_302600_NS10device_ptrIlEEjNS1_19radix_merge_compareILb0ELb0EaNS0_19identity_decomposerEEEEE10hipError_tT0_T1_T2_jT3_P12ihipStream_tbPNSt15iterator_traitsISG_E10value_typeEPNSM_ISH_E10value_typeEPSI_NS1_7vsmem_tEENKUlT_SG_SH_SI_E_clIS7_S7_PlSB_EESF_SV_SG_SH_SI_EUlSV_E0_NS1_11comp_targetILNS1_3genE2ELNS1_11target_archE906ELNS1_3gpuE6ELNS1_3repE0EEENS1_38merge_mergepath_config_static_selectorELNS0_4arch9wavefront6targetE1EEEvSH_.uses_flat_scratch, 0
	.set _ZN7rocprim17ROCPRIM_400000_NS6detail17trampoline_kernelINS0_14default_configENS1_38merge_sort_block_merge_config_selectorIalEEZZNS1_27merge_sort_block_merge_implIS3_PaN6thrust23THRUST_200600_302600_NS10device_ptrIlEEjNS1_19radix_merge_compareILb0ELb0EaNS0_19identity_decomposerEEEEE10hipError_tT0_T1_T2_jT3_P12ihipStream_tbPNSt15iterator_traitsISG_E10value_typeEPNSM_ISH_E10value_typeEPSI_NS1_7vsmem_tEENKUlT_SG_SH_SI_E_clIS7_S7_PlSB_EESF_SV_SG_SH_SI_EUlSV_E0_NS1_11comp_targetILNS1_3genE2ELNS1_11target_archE906ELNS1_3gpuE6ELNS1_3repE0EEENS1_38merge_mergepath_config_static_selectorELNS0_4arch9wavefront6targetE1EEEvSH_.has_dyn_sized_stack, 0
	.set _ZN7rocprim17ROCPRIM_400000_NS6detail17trampoline_kernelINS0_14default_configENS1_38merge_sort_block_merge_config_selectorIalEEZZNS1_27merge_sort_block_merge_implIS3_PaN6thrust23THRUST_200600_302600_NS10device_ptrIlEEjNS1_19radix_merge_compareILb0ELb0EaNS0_19identity_decomposerEEEEE10hipError_tT0_T1_T2_jT3_P12ihipStream_tbPNSt15iterator_traitsISG_E10value_typeEPNSM_ISH_E10value_typeEPSI_NS1_7vsmem_tEENKUlT_SG_SH_SI_E_clIS7_S7_PlSB_EESF_SV_SG_SH_SI_EUlSV_E0_NS1_11comp_targetILNS1_3genE2ELNS1_11target_archE906ELNS1_3gpuE6ELNS1_3repE0EEENS1_38merge_mergepath_config_static_selectorELNS0_4arch9wavefront6targetE1EEEvSH_.has_recursion, 0
	.set _ZN7rocprim17ROCPRIM_400000_NS6detail17trampoline_kernelINS0_14default_configENS1_38merge_sort_block_merge_config_selectorIalEEZZNS1_27merge_sort_block_merge_implIS3_PaN6thrust23THRUST_200600_302600_NS10device_ptrIlEEjNS1_19radix_merge_compareILb0ELb0EaNS0_19identity_decomposerEEEEE10hipError_tT0_T1_T2_jT3_P12ihipStream_tbPNSt15iterator_traitsISG_E10value_typeEPNSM_ISH_E10value_typeEPSI_NS1_7vsmem_tEENKUlT_SG_SH_SI_E_clIS7_S7_PlSB_EESF_SV_SG_SH_SI_EUlSV_E0_NS1_11comp_targetILNS1_3genE2ELNS1_11target_archE906ELNS1_3gpuE6ELNS1_3repE0EEENS1_38merge_mergepath_config_static_selectorELNS0_4arch9wavefront6targetE1EEEvSH_.has_indirect_call, 0
	.section	.AMDGPU.csdata,"",@progbits
; Kernel info:
; codeLenInByte = 3456
; TotalNumSgprs: 33
; NumVgprs: 35
; ScratchSize: 0
; MemoryBound: 0
; FloatMode: 240
; IeeeMode: 1
; LDSByteSize: 8448 bytes/workgroup (compile time only)
; SGPRBlocks: 10
; VGPRBlocks: 8
; NumSGPRsForWavesPerEU: 81
; NumVGPRsForWavesPerEU: 35
; Occupancy: 7
; WaveLimiterHint : 1
; COMPUTE_PGM_RSRC2:SCRATCH_EN: 0
; COMPUTE_PGM_RSRC2:USER_SGPR: 6
; COMPUTE_PGM_RSRC2:TRAP_HANDLER: 0
; COMPUTE_PGM_RSRC2:TGID_X_EN: 1
; COMPUTE_PGM_RSRC2:TGID_Y_EN: 1
; COMPUTE_PGM_RSRC2:TGID_Z_EN: 1
; COMPUTE_PGM_RSRC2:TIDIG_COMP_CNT: 0
	.section	.text._ZN7rocprim17ROCPRIM_400000_NS6detail17trampoline_kernelINS0_14default_configENS1_38merge_sort_block_merge_config_selectorIalEEZZNS1_27merge_sort_block_merge_implIS3_PaN6thrust23THRUST_200600_302600_NS10device_ptrIlEEjNS1_19radix_merge_compareILb0ELb0EaNS0_19identity_decomposerEEEEE10hipError_tT0_T1_T2_jT3_P12ihipStream_tbPNSt15iterator_traitsISG_E10value_typeEPNSM_ISH_E10value_typeEPSI_NS1_7vsmem_tEENKUlT_SG_SH_SI_E_clIS7_S7_PlSB_EESF_SV_SG_SH_SI_EUlSV_E0_NS1_11comp_targetILNS1_3genE9ELNS1_11target_archE1100ELNS1_3gpuE3ELNS1_3repE0EEENS1_38merge_mergepath_config_static_selectorELNS0_4arch9wavefront6targetE1EEEvSH_,"axG",@progbits,_ZN7rocprim17ROCPRIM_400000_NS6detail17trampoline_kernelINS0_14default_configENS1_38merge_sort_block_merge_config_selectorIalEEZZNS1_27merge_sort_block_merge_implIS3_PaN6thrust23THRUST_200600_302600_NS10device_ptrIlEEjNS1_19radix_merge_compareILb0ELb0EaNS0_19identity_decomposerEEEEE10hipError_tT0_T1_T2_jT3_P12ihipStream_tbPNSt15iterator_traitsISG_E10value_typeEPNSM_ISH_E10value_typeEPSI_NS1_7vsmem_tEENKUlT_SG_SH_SI_E_clIS7_S7_PlSB_EESF_SV_SG_SH_SI_EUlSV_E0_NS1_11comp_targetILNS1_3genE9ELNS1_11target_archE1100ELNS1_3gpuE3ELNS1_3repE0EEENS1_38merge_mergepath_config_static_selectorELNS0_4arch9wavefront6targetE1EEEvSH_,comdat
	.protected	_ZN7rocprim17ROCPRIM_400000_NS6detail17trampoline_kernelINS0_14default_configENS1_38merge_sort_block_merge_config_selectorIalEEZZNS1_27merge_sort_block_merge_implIS3_PaN6thrust23THRUST_200600_302600_NS10device_ptrIlEEjNS1_19radix_merge_compareILb0ELb0EaNS0_19identity_decomposerEEEEE10hipError_tT0_T1_T2_jT3_P12ihipStream_tbPNSt15iterator_traitsISG_E10value_typeEPNSM_ISH_E10value_typeEPSI_NS1_7vsmem_tEENKUlT_SG_SH_SI_E_clIS7_S7_PlSB_EESF_SV_SG_SH_SI_EUlSV_E0_NS1_11comp_targetILNS1_3genE9ELNS1_11target_archE1100ELNS1_3gpuE3ELNS1_3repE0EEENS1_38merge_mergepath_config_static_selectorELNS0_4arch9wavefront6targetE1EEEvSH_ ; -- Begin function _ZN7rocprim17ROCPRIM_400000_NS6detail17trampoline_kernelINS0_14default_configENS1_38merge_sort_block_merge_config_selectorIalEEZZNS1_27merge_sort_block_merge_implIS3_PaN6thrust23THRUST_200600_302600_NS10device_ptrIlEEjNS1_19radix_merge_compareILb0ELb0EaNS0_19identity_decomposerEEEEE10hipError_tT0_T1_T2_jT3_P12ihipStream_tbPNSt15iterator_traitsISG_E10value_typeEPNSM_ISH_E10value_typeEPSI_NS1_7vsmem_tEENKUlT_SG_SH_SI_E_clIS7_S7_PlSB_EESF_SV_SG_SH_SI_EUlSV_E0_NS1_11comp_targetILNS1_3genE9ELNS1_11target_archE1100ELNS1_3gpuE3ELNS1_3repE0EEENS1_38merge_mergepath_config_static_selectorELNS0_4arch9wavefront6targetE1EEEvSH_
	.globl	_ZN7rocprim17ROCPRIM_400000_NS6detail17trampoline_kernelINS0_14default_configENS1_38merge_sort_block_merge_config_selectorIalEEZZNS1_27merge_sort_block_merge_implIS3_PaN6thrust23THRUST_200600_302600_NS10device_ptrIlEEjNS1_19radix_merge_compareILb0ELb0EaNS0_19identity_decomposerEEEEE10hipError_tT0_T1_T2_jT3_P12ihipStream_tbPNSt15iterator_traitsISG_E10value_typeEPNSM_ISH_E10value_typeEPSI_NS1_7vsmem_tEENKUlT_SG_SH_SI_E_clIS7_S7_PlSB_EESF_SV_SG_SH_SI_EUlSV_E0_NS1_11comp_targetILNS1_3genE9ELNS1_11target_archE1100ELNS1_3gpuE3ELNS1_3repE0EEENS1_38merge_mergepath_config_static_selectorELNS0_4arch9wavefront6targetE1EEEvSH_
	.p2align	8
	.type	_ZN7rocprim17ROCPRIM_400000_NS6detail17trampoline_kernelINS0_14default_configENS1_38merge_sort_block_merge_config_selectorIalEEZZNS1_27merge_sort_block_merge_implIS3_PaN6thrust23THRUST_200600_302600_NS10device_ptrIlEEjNS1_19radix_merge_compareILb0ELb0EaNS0_19identity_decomposerEEEEE10hipError_tT0_T1_T2_jT3_P12ihipStream_tbPNSt15iterator_traitsISG_E10value_typeEPNSM_ISH_E10value_typeEPSI_NS1_7vsmem_tEENKUlT_SG_SH_SI_E_clIS7_S7_PlSB_EESF_SV_SG_SH_SI_EUlSV_E0_NS1_11comp_targetILNS1_3genE9ELNS1_11target_archE1100ELNS1_3gpuE3ELNS1_3repE0EEENS1_38merge_mergepath_config_static_selectorELNS0_4arch9wavefront6targetE1EEEvSH_,@function
_ZN7rocprim17ROCPRIM_400000_NS6detail17trampoline_kernelINS0_14default_configENS1_38merge_sort_block_merge_config_selectorIalEEZZNS1_27merge_sort_block_merge_implIS3_PaN6thrust23THRUST_200600_302600_NS10device_ptrIlEEjNS1_19radix_merge_compareILb0ELb0EaNS0_19identity_decomposerEEEEE10hipError_tT0_T1_T2_jT3_P12ihipStream_tbPNSt15iterator_traitsISG_E10value_typeEPNSM_ISH_E10value_typeEPSI_NS1_7vsmem_tEENKUlT_SG_SH_SI_E_clIS7_S7_PlSB_EESF_SV_SG_SH_SI_EUlSV_E0_NS1_11comp_targetILNS1_3genE9ELNS1_11target_archE1100ELNS1_3gpuE3ELNS1_3repE0EEENS1_38merge_mergepath_config_static_selectorELNS0_4arch9wavefront6targetE1EEEvSH_: ; @_ZN7rocprim17ROCPRIM_400000_NS6detail17trampoline_kernelINS0_14default_configENS1_38merge_sort_block_merge_config_selectorIalEEZZNS1_27merge_sort_block_merge_implIS3_PaN6thrust23THRUST_200600_302600_NS10device_ptrIlEEjNS1_19radix_merge_compareILb0ELb0EaNS0_19identity_decomposerEEEEE10hipError_tT0_T1_T2_jT3_P12ihipStream_tbPNSt15iterator_traitsISG_E10value_typeEPNSM_ISH_E10value_typeEPSI_NS1_7vsmem_tEENKUlT_SG_SH_SI_E_clIS7_S7_PlSB_EESF_SV_SG_SH_SI_EUlSV_E0_NS1_11comp_targetILNS1_3genE9ELNS1_11target_archE1100ELNS1_3gpuE3ELNS1_3repE0EEENS1_38merge_mergepath_config_static_selectorELNS0_4arch9wavefront6targetE1EEEvSH_
; %bb.0:
	.section	.rodata,"a",@progbits
	.p2align	6, 0x0
	.amdhsa_kernel _ZN7rocprim17ROCPRIM_400000_NS6detail17trampoline_kernelINS0_14default_configENS1_38merge_sort_block_merge_config_selectorIalEEZZNS1_27merge_sort_block_merge_implIS3_PaN6thrust23THRUST_200600_302600_NS10device_ptrIlEEjNS1_19radix_merge_compareILb0ELb0EaNS0_19identity_decomposerEEEEE10hipError_tT0_T1_T2_jT3_P12ihipStream_tbPNSt15iterator_traitsISG_E10value_typeEPNSM_ISH_E10value_typeEPSI_NS1_7vsmem_tEENKUlT_SG_SH_SI_E_clIS7_S7_PlSB_EESF_SV_SG_SH_SI_EUlSV_E0_NS1_11comp_targetILNS1_3genE9ELNS1_11target_archE1100ELNS1_3gpuE3ELNS1_3repE0EEENS1_38merge_mergepath_config_static_selectorELNS0_4arch9wavefront6targetE1EEEvSH_
		.amdhsa_group_segment_fixed_size 0
		.amdhsa_private_segment_fixed_size 0
		.amdhsa_kernarg_size 64
		.amdhsa_user_sgpr_count 6
		.amdhsa_user_sgpr_private_segment_buffer 1
		.amdhsa_user_sgpr_dispatch_ptr 0
		.amdhsa_user_sgpr_queue_ptr 0
		.amdhsa_user_sgpr_kernarg_segment_ptr 1
		.amdhsa_user_sgpr_dispatch_id 0
		.amdhsa_user_sgpr_flat_scratch_init 0
		.amdhsa_user_sgpr_private_segment_size 0
		.amdhsa_uses_dynamic_stack 0
		.amdhsa_system_sgpr_private_segment_wavefront_offset 0
		.amdhsa_system_sgpr_workgroup_id_x 1
		.amdhsa_system_sgpr_workgroup_id_y 0
		.amdhsa_system_sgpr_workgroup_id_z 0
		.amdhsa_system_sgpr_workgroup_info 0
		.amdhsa_system_vgpr_workitem_id 0
		.amdhsa_next_free_vgpr 1
		.amdhsa_next_free_sgpr 0
		.amdhsa_reserve_vcc 0
		.amdhsa_reserve_flat_scratch 0
		.amdhsa_float_round_mode_32 0
		.amdhsa_float_round_mode_16_64 0
		.amdhsa_float_denorm_mode_32 3
		.amdhsa_float_denorm_mode_16_64 3
		.amdhsa_dx10_clamp 1
		.amdhsa_ieee_mode 1
		.amdhsa_fp16_overflow 0
		.amdhsa_exception_fp_ieee_invalid_op 0
		.amdhsa_exception_fp_denorm_src 0
		.amdhsa_exception_fp_ieee_div_zero 0
		.amdhsa_exception_fp_ieee_overflow 0
		.amdhsa_exception_fp_ieee_underflow 0
		.amdhsa_exception_fp_ieee_inexact 0
		.amdhsa_exception_int_div_zero 0
	.end_amdhsa_kernel
	.section	.text._ZN7rocprim17ROCPRIM_400000_NS6detail17trampoline_kernelINS0_14default_configENS1_38merge_sort_block_merge_config_selectorIalEEZZNS1_27merge_sort_block_merge_implIS3_PaN6thrust23THRUST_200600_302600_NS10device_ptrIlEEjNS1_19radix_merge_compareILb0ELb0EaNS0_19identity_decomposerEEEEE10hipError_tT0_T1_T2_jT3_P12ihipStream_tbPNSt15iterator_traitsISG_E10value_typeEPNSM_ISH_E10value_typeEPSI_NS1_7vsmem_tEENKUlT_SG_SH_SI_E_clIS7_S7_PlSB_EESF_SV_SG_SH_SI_EUlSV_E0_NS1_11comp_targetILNS1_3genE9ELNS1_11target_archE1100ELNS1_3gpuE3ELNS1_3repE0EEENS1_38merge_mergepath_config_static_selectorELNS0_4arch9wavefront6targetE1EEEvSH_,"axG",@progbits,_ZN7rocprim17ROCPRIM_400000_NS6detail17trampoline_kernelINS0_14default_configENS1_38merge_sort_block_merge_config_selectorIalEEZZNS1_27merge_sort_block_merge_implIS3_PaN6thrust23THRUST_200600_302600_NS10device_ptrIlEEjNS1_19radix_merge_compareILb0ELb0EaNS0_19identity_decomposerEEEEE10hipError_tT0_T1_T2_jT3_P12ihipStream_tbPNSt15iterator_traitsISG_E10value_typeEPNSM_ISH_E10value_typeEPSI_NS1_7vsmem_tEENKUlT_SG_SH_SI_E_clIS7_S7_PlSB_EESF_SV_SG_SH_SI_EUlSV_E0_NS1_11comp_targetILNS1_3genE9ELNS1_11target_archE1100ELNS1_3gpuE3ELNS1_3repE0EEENS1_38merge_mergepath_config_static_selectorELNS0_4arch9wavefront6targetE1EEEvSH_,comdat
.Lfunc_end492:
	.size	_ZN7rocprim17ROCPRIM_400000_NS6detail17trampoline_kernelINS0_14default_configENS1_38merge_sort_block_merge_config_selectorIalEEZZNS1_27merge_sort_block_merge_implIS3_PaN6thrust23THRUST_200600_302600_NS10device_ptrIlEEjNS1_19radix_merge_compareILb0ELb0EaNS0_19identity_decomposerEEEEE10hipError_tT0_T1_T2_jT3_P12ihipStream_tbPNSt15iterator_traitsISG_E10value_typeEPNSM_ISH_E10value_typeEPSI_NS1_7vsmem_tEENKUlT_SG_SH_SI_E_clIS7_S7_PlSB_EESF_SV_SG_SH_SI_EUlSV_E0_NS1_11comp_targetILNS1_3genE9ELNS1_11target_archE1100ELNS1_3gpuE3ELNS1_3repE0EEENS1_38merge_mergepath_config_static_selectorELNS0_4arch9wavefront6targetE1EEEvSH_, .Lfunc_end492-_ZN7rocprim17ROCPRIM_400000_NS6detail17trampoline_kernelINS0_14default_configENS1_38merge_sort_block_merge_config_selectorIalEEZZNS1_27merge_sort_block_merge_implIS3_PaN6thrust23THRUST_200600_302600_NS10device_ptrIlEEjNS1_19radix_merge_compareILb0ELb0EaNS0_19identity_decomposerEEEEE10hipError_tT0_T1_T2_jT3_P12ihipStream_tbPNSt15iterator_traitsISG_E10value_typeEPNSM_ISH_E10value_typeEPSI_NS1_7vsmem_tEENKUlT_SG_SH_SI_E_clIS7_S7_PlSB_EESF_SV_SG_SH_SI_EUlSV_E0_NS1_11comp_targetILNS1_3genE9ELNS1_11target_archE1100ELNS1_3gpuE3ELNS1_3repE0EEENS1_38merge_mergepath_config_static_selectorELNS0_4arch9wavefront6targetE1EEEvSH_
                                        ; -- End function
	.set _ZN7rocprim17ROCPRIM_400000_NS6detail17trampoline_kernelINS0_14default_configENS1_38merge_sort_block_merge_config_selectorIalEEZZNS1_27merge_sort_block_merge_implIS3_PaN6thrust23THRUST_200600_302600_NS10device_ptrIlEEjNS1_19radix_merge_compareILb0ELb0EaNS0_19identity_decomposerEEEEE10hipError_tT0_T1_T2_jT3_P12ihipStream_tbPNSt15iterator_traitsISG_E10value_typeEPNSM_ISH_E10value_typeEPSI_NS1_7vsmem_tEENKUlT_SG_SH_SI_E_clIS7_S7_PlSB_EESF_SV_SG_SH_SI_EUlSV_E0_NS1_11comp_targetILNS1_3genE9ELNS1_11target_archE1100ELNS1_3gpuE3ELNS1_3repE0EEENS1_38merge_mergepath_config_static_selectorELNS0_4arch9wavefront6targetE1EEEvSH_.num_vgpr, 0
	.set _ZN7rocprim17ROCPRIM_400000_NS6detail17trampoline_kernelINS0_14default_configENS1_38merge_sort_block_merge_config_selectorIalEEZZNS1_27merge_sort_block_merge_implIS3_PaN6thrust23THRUST_200600_302600_NS10device_ptrIlEEjNS1_19radix_merge_compareILb0ELb0EaNS0_19identity_decomposerEEEEE10hipError_tT0_T1_T2_jT3_P12ihipStream_tbPNSt15iterator_traitsISG_E10value_typeEPNSM_ISH_E10value_typeEPSI_NS1_7vsmem_tEENKUlT_SG_SH_SI_E_clIS7_S7_PlSB_EESF_SV_SG_SH_SI_EUlSV_E0_NS1_11comp_targetILNS1_3genE9ELNS1_11target_archE1100ELNS1_3gpuE3ELNS1_3repE0EEENS1_38merge_mergepath_config_static_selectorELNS0_4arch9wavefront6targetE1EEEvSH_.num_agpr, 0
	.set _ZN7rocprim17ROCPRIM_400000_NS6detail17trampoline_kernelINS0_14default_configENS1_38merge_sort_block_merge_config_selectorIalEEZZNS1_27merge_sort_block_merge_implIS3_PaN6thrust23THRUST_200600_302600_NS10device_ptrIlEEjNS1_19radix_merge_compareILb0ELb0EaNS0_19identity_decomposerEEEEE10hipError_tT0_T1_T2_jT3_P12ihipStream_tbPNSt15iterator_traitsISG_E10value_typeEPNSM_ISH_E10value_typeEPSI_NS1_7vsmem_tEENKUlT_SG_SH_SI_E_clIS7_S7_PlSB_EESF_SV_SG_SH_SI_EUlSV_E0_NS1_11comp_targetILNS1_3genE9ELNS1_11target_archE1100ELNS1_3gpuE3ELNS1_3repE0EEENS1_38merge_mergepath_config_static_selectorELNS0_4arch9wavefront6targetE1EEEvSH_.numbered_sgpr, 0
	.set _ZN7rocprim17ROCPRIM_400000_NS6detail17trampoline_kernelINS0_14default_configENS1_38merge_sort_block_merge_config_selectorIalEEZZNS1_27merge_sort_block_merge_implIS3_PaN6thrust23THRUST_200600_302600_NS10device_ptrIlEEjNS1_19radix_merge_compareILb0ELb0EaNS0_19identity_decomposerEEEEE10hipError_tT0_T1_T2_jT3_P12ihipStream_tbPNSt15iterator_traitsISG_E10value_typeEPNSM_ISH_E10value_typeEPSI_NS1_7vsmem_tEENKUlT_SG_SH_SI_E_clIS7_S7_PlSB_EESF_SV_SG_SH_SI_EUlSV_E0_NS1_11comp_targetILNS1_3genE9ELNS1_11target_archE1100ELNS1_3gpuE3ELNS1_3repE0EEENS1_38merge_mergepath_config_static_selectorELNS0_4arch9wavefront6targetE1EEEvSH_.num_named_barrier, 0
	.set _ZN7rocprim17ROCPRIM_400000_NS6detail17trampoline_kernelINS0_14default_configENS1_38merge_sort_block_merge_config_selectorIalEEZZNS1_27merge_sort_block_merge_implIS3_PaN6thrust23THRUST_200600_302600_NS10device_ptrIlEEjNS1_19radix_merge_compareILb0ELb0EaNS0_19identity_decomposerEEEEE10hipError_tT0_T1_T2_jT3_P12ihipStream_tbPNSt15iterator_traitsISG_E10value_typeEPNSM_ISH_E10value_typeEPSI_NS1_7vsmem_tEENKUlT_SG_SH_SI_E_clIS7_S7_PlSB_EESF_SV_SG_SH_SI_EUlSV_E0_NS1_11comp_targetILNS1_3genE9ELNS1_11target_archE1100ELNS1_3gpuE3ELNS1_3repE0EEENS1_38merge_mergepath_config_static_selectorELNS0_4arch9wavefront6targetE1EEEvSH_.private_seg_size, 0
	.set _ZN7rocprim17ROCPRIM_400000_NS6detail17trampoline_kernelINS0_14default_configENS1_38merge_sort_block_merge_config_selectorIalEEZZNS1_27merge_sort_block_merge_implIS3_PaN6thrust23THRUST_200600_302600_NS10device_ptrIlEEjNS1_19radix_merge_compareILb0ELb0EaNS0_19identity_decomposerEEEEE10hipError_tT0_T1_T2_jT3_P12ihipStream_tbPNSt15iterator_traitsISG_E10value_typeEPNSM_ISH_E10value_typeEPSI_NS1_7vsmem_tEENKUlT_SG_SH_SI_E_clIS7_S7_PlSB_EESF_SV_SG_SH_SI_EUlSV_E0_NS1_11comp_targetILNS1_3genE9ELNS1_11target_archE1100ELNS1_3gpuE3ELNS1_3repE0EEENS1_38merge_mergepath_config_static_selectorELNS0_4arch9wavefront6targetE1EEEvSH_.uses_vcc, 0
	.set _ZN7rocprim17ROCPRIM_400000_NS6detail17trampoline_kernelINS0_14default_configENS1_38merge_sort_block_merge_config_selectorIalEEZZNS1_27merge_sort_block_merge_implIS3_PaN6thrust23THRUST_200600_302600_NS10device_ptrIlEEjNS1_19radix_merge_compareILb0ELb0EaNS0_19identity_decomposerEEEEE10hipError_tT0_T1_T2_jT3_P12ihipStream_tbPNSt15iterator_traitsISG_E10value_typeEPNSM_ISH_E10value_typeEPSI_NS1_7vsmem_tEENKUlT_SG_SH_SI_E_clIS7_S7_PlSB_EESF_SV_SG_SH_SI_EUlSV_E0_NS1_11comp_targetILNS1_3genE9ELNS1_11target_archE1100ELNS1_3gpuE3ELNS1_3repE0EEENS1_38merge_mergepath_config_static_selectorELNS0_4arch9wavefront6targetE1EEEvSH_.uses_flat_scratch, 0
	.set _ZN7rocprim17ROCPRIM_400000_NS6detail17trampoline_kernelINS0_14default_configENS1_38merge_sort_block_merge_config_selectorIalEEZZNS1_27merge_sort_block_merge_implIS3_PaN6thrust23THRUST_200600_302600_NS10device_ptrIlEEjNS1_19radix_merge_compareILb0ELb0EaNS0_19identity_decomposerEEEEE10hipError_tT0_T1_T2_jT3_P12ihipStream_tbPNSt15iterator_traitsISG_E10value_typeEPNSM_ISH_E10value_typeEPSI_NS1_7vsmem_tEENKUlT_SG_SH_SI_E_clIS7_S7_PlSB_EESF_SV_SG_SH_SI_EUlSV_E0_NS1_11comp_targetILNS1_3genE9ELNS1_11target_archE1100ELNS1_3gpuE3ELNS1_3repE0EEENS1_38merge_mergepath_config_static_selectorELNS0_4arch9wavefront6targetE1EEEvSH_.has_dyn_sized_stack, 0
	.set _ZN7rocprim17ROCPRIM_400000_NS6detail17trampoline_kernelINS0_14default_configENS1_38merge_sort_block_merge_config_selectorIalEEZZNS1_27merge_sort_block_merge_implIS3_PaN6thrust23THRUST_200600_302600_NS10device_ptrIlEEjNS1_19radix_merge_compareILb0ELb0EaNS0_19identity_decomposerEEEEE10hipError_tT0_T1_T2_jT3_P12ihipStream_tbPNSt15iterator_traitsISG_E10value_typeEPNSM_ISH_E10value_typeEPSI_NS1_7vsmem_tEENKUlT_SG_SH_SI_E_clIS7_S7_PlSB_EESF_SV_SG_SH_SI_EUlSV_E0_NS1_11comp_targetILNS1_3genE9ELNS1_11target_archE1100ELNS1_3gpuE3ELNS1_3repE0EEENS1_38merge_mergepath_config_static_selectorELNS0_4arch9wavefront6targetE1EEEvSH_.has_recursion, 0
	.set _ZN7rocprim17ROCPRIM_400000_NS6detail17trampoline_kernelINS0_14default_configENS1_38merge_sort_block_merge_config_selectorIalEEZZNS1_27merge_sort_block_merge_implIS3_PaN6thrust23THRUST_200600_302600_NS10device_ptrIlEEjNS1_19radix_merge_compareILb0ELb0EaNS0_19identity_decomposerEEEEE10hipError_tT0_T1_T2_jT3_P12ihipStream_tbPNSt15iterator_traitsISG_E10value_typeEPNSM_ISH_E10value_typeEPSI_NS1_7vsmem_tEENKUlT_SG_SH_SI_E_clIS7_S7_PlSB_EESF_SV_SG_SH_SI_EUlSV_E0_NS1_11comp_targetILNS1_3genE9ELNS1_11target_archE1100ELNS1_3gpuE3ELNS1_3repE0EEENS1_38merge_mergepath_config_static_selectorELNS0_4arch9wavefront6targetE1EEEvSH_.has_indirect_call, 0
	.section	.AMDGPU.csdata,"",@progbits
; Kernel info:
; codeLenInByte = 0
; TotalNumSgprs: 4
; NumVgprs: 0
; ScratchSize: 0
; MemoryBound: 0
; FloatMode: 240
; IeeeMode: 1
; LDSByteSize: 0 bytes/workgroup (compile time only)
; SGPRBlocks: 0
; VGPRBlocks: 0
; NumSGPRsForWavesPerEU: 4
; NumVGPRsForWavesPerEU: 1
; Occupancy: 10
; WaveLimiterHint : 0
; COMPUTE_PGM_RSRC2:SCRATCH_EN: 0
; COMPUTE_PGM_RSRC2:USER_SGPR: 6
; COMPUTE_PGM_RSRC2:TRAP_HANDLER: 0
; COMPUTE_PGM_RSRC2:TGID_X_EN: 1
; COMPUTE_PGM_RSRC2:TGID_Y_EN: 0
; COMPUTE_PGM_RSRC2:TGID_Z_EN: 0
; COMPUTE_PGM_RSRC2:TIDIG_COMP_CNT: 0
	.section	.text._ZN7rocprim17ROCPRIM_400000_NS6detail17trampoline_kernelINS0_14default_configENS1_38merge_sort_block_merge_config_selectorIalEEZZNS1_27merge_sort_block_merge_implIS3_PaN6thrust23THRUST_200600_302600_NS10device_ptrIlEEjNS1_19radix_merge_compareILb0ELb0EaNS0_19identity_decomposerEEEEE10hipError_tT0_T1_T2_jT3_P12ihipStream_tbPNSt15iterator_traitsISG_E10value_typeEPNSM_ISH_E10value_typeEPSI_NS1_7vsmem_tEENKUlT_SG_SH_SI_E_clIS7_S7_PlSB_EESF_SV_SG_SH_SI_EUlSV_E0_NS1_11comp_targetILNS1_3genE8ELNS1_11target_archE1030ELNS1_3gpuE2ELNS1_3repE0EEENS1_38merge_mergepath_config_static_selectorELNS0_4arch9wavefront6targetE1EEEvSH_,"axG",@progbits,_ZN7rocprim17ROCPRIM_400000_NS6detail17trampoline_kernelINS0_14default_configENS1_38merge_sort_block_merge_config_selectorIalEEZZNS1_27merge_sort_block_merge_implIS3_PaN6thrust23THRUST_200600_302600_NS10device_ptrIlEEjNS1_19radix_merge_compareILb0ELb0EaNS0_19identity_decomposerEEEEE10hipError_tT0_T1_T2_jT3_P12ihipStream_tbPNSt15iterator_traitsISG_E10value_typeEPNSM_ISH_E10value_typeEPSI_NS1_7vsmem_tEENKUlT_SG_SH_SI_E_clIS7_S7_PlSB_EESF_SV_SG_SH_SI_EUlSV_E0_NS1_11comp_targetILNS1_3genE8ELNS1_11target_archE1030ELNS1_3gpuE2ELNS1_3repE0EEENS1_38merge_mergepath_config_static_selectorELNS0_4arch9wavefront6targetE1EEEvSH_,comdat
	.protected	_ZN7rocprim17ROCPRIM_400000_NS6detail17trampoline_kernelINS0_14default_configENS1_38merge_sort_block_merge_config_selectorIalEEZZNS1_27merge_sort_block_merge_implIS3_PaN6thrust23THRUST_200600_302600_NS10device_ptrIlEEjNS1_19radix_merge_compareILb0ELb0EaNS0_19identity_decomposerEEEEE10hipError_tT0_T1_T2_jT3_P12ihipStream_tbPNSt15iterator_traitsISG_E10value_typeEPNSM_ISH_E10value_typeEPSI_NS1_7vsmem_tEENKUlT_SG_SH_SI_E_clIS7_S7_PlSB_EESF_SV_SG_SH_SI_EUlSV_E0_NS1_11comp_targetILNS1_3genE8ELNS1_11target_archE1030ELNS1_3gpuE2ELNS1_3repE0EEENS1_38merge_mergepath_config_static_selectorELNS0_4arch9wavefront6targetE1EEEvSH_ ; -- Begin function _ZN7rocprim17ROCPRIM_400000_NS6detail17trampoline_kernelINS0_14default_configENS1_38merge_sort_block_merge_config_selectorIalEEZZNS1_27merge_sort_block_merge_implIS3_PaN6thrust23THRUST_200600_302600_NS10device_ptrIlEEjNS1_19radix_merge_compareILb0ELb0EaNS0_19identity_decomposerEEEEE10hipError_tT0_T1_T2_jT3_P12ihipStream_tbPNSt15iterator_traitsISG_E10value_typeEPNSM_ISH_E10value_typeEPSI_NS1_7vsmem_tEENKUlT_SG_SH_SI_E_clIS7_S7_PlSB_EESF_SV_SG_SH_SI_EUlSV_E0_NS1_11comp_targetILNS1_3genE8ELNS1_11target_archE1030ELNS1_3gpuE2ELNS1_3repE0EEENS1_38merge_mergepath_config_static_selectorELNS0_4arch9wavefront6targetE1EEEvSH_
	.globl	_ZN7rocprim17ROCPRIM_400000_NS6detail17trampoline_kernelINS0_14default_configENS1_38merge_sort_block_merge_config_selectorIalEEZZNS1_27merge_sort_block_merge_implIS3_PaN6thrust23THRUST_200600_302600_NS10device_ptrIlEEjNS1_19radix_merge_compareILb0ELb0EaNS0_19identity_decomposerEEEEE10hipError_tT0_T1_T2_jT3_P12ihipStream_tbPNSt15iterator_traitsISG_E10value_typeEPNSM_ISH_E10value_typeEPSI_NS1_7vsmem_tEENKUlT_SG_SH_SI_E_clIS7_S7_PlSB_EESF_SV_SG_SH_SI_EUlSV_E0_NS1_11comp_targetILNS1_3genE8ELNS1_11target_archE1030ELNS1_3gpuE2ELNS1_3repE0EEENS1_38merge_mergepath_config_static_selectorELNS0_4arch9wavefront6targetE1EEEvSH_
	.p2align	8
	.type	_ZN7rocprim17ROCPRIM_400000_NS6detail17trampoline_kernelINS0_14default_configENS1_38merge_sort_block_merge_config_selectorIalEEZZNS1_27merge_sort_block_merge_implIS3_PaN6thrust23THRUST_200600_302600_NS10device_ptrIlEEjNS1_19radix_merge_compareILb0ELb0EaNS0_19identity_decomposerEEEEE10hipError_tT0_T1_T2_jT3_P12ihipStream_tbPNSt15iterator_traitsISG_E10value_typeEPNSM_ISH_E10value_typeEPSI_NS1_7vsmem_tEENKUlT_SG_SH_SI_E_clIS7_S7_PlSB_EESF_SV_SG_SH_SI_EUlSV_E0_NS1_11comp_targetILNS1_3genE8ELNS1_11target_archE1030ELNS1_3gpuE2ELNS1_3repE0EEENS1_38merge_mergepath_config_static_selectorELNS0_4arch9wavefront6targetE1EEEvSH_,@function
_ZN7rocprim17ROCPRIM_400000_NS6detail17trampoline_kernelINS0_14default_configENS1_38merge_sort_block_merge_config_selectorIalEEZZNS1_27merge_sort_block_merge_implIS3_PaN6thrust23THRUST_200600_302600_NS10device_ptrIlEEjNS1_19radix_merge_compareILb0ELb0EaNS0_19identity_decomposerEEEEE10hipError_tT0_T1_T2_jT3_P12ihipStream_tbPNSt15iterator_traitsISG_E10value_typeEPNSM_ISH_E10value_typeEPSI_NS1_7vsmem_tEENKUlT_SG_SH_SI_E_clIS7_S7_PlSB_EESF_SV_SG_SH_SI_EUlSV_E0_NS1_11comp_targetILNS1_3genE8ELNS1_11target_archE1030ELNS1_3gpuE2ELNS1_3repE0EEENS1_38merge_mergepath_config_static_selectorELNS0_4arch9wavefront6targetE1EEEvSH_: ; @_ZN7rocprim17ROCPRIM_400000_NS6detail17trampoline_kernelINS0_14default_configENS1_38merge_sort_block_merge_config_selectorIalEEZZNS1_27merge_sort_block_merge_implIS3_PaN6thrust23THRUST_200600_302600_NS10device_ptrIlEEjNS1_19radix_merge_compareILb0ELb0EaNS0_19identity_decomposerEEEEE10hipError_tT0_T1_T2_jT3_P12ihipStream_tbPNSt15iterator_traitsISG_E10value_typeEPNSM_ISH_E10value_typeEPSI_NS1_7vsmem_tEENKUlT_SG_SH_SI_E_clIS7_S7_PlSB_EESF_SV_SG_SH_SI_EUlSV_E0_NS1_11comp_targetILNS1_3genE8ELNS1_11target_archE1030ELNS1_3gpuE2ELNS1_3repE0EEENS1_38merge_mergepath_config_static_selectorELNS0_4arch9wavefront6targetE1EEEvSH_
; %bb.0:
	.section	.rodata,"a",@progbits
	.p2align	6, 0x0
	.amdhsa_kernel _ZN7rocprim17ROCPRIM_400000_NS6detail17trampoline_kernelINS0_14default_configENS1_38merge_sort_block_merge_config_selectorIalEEZZNS1_27merge_sort_block_merge_implIS3_PaN6thrust23THRUST_200600_302600_NS10device_ptrIlEEjNS1_19radix_merge_compareILb0ELb0EaNS0_19identity_decomposerEEEEE10hipError_tT0_T1_T2_jT3_P12ihipStream_tbPNSt15iterator_traitsISG_E10value_typeEPNSM_ISH_E10value_typeEPSI_NS1_7vsmem_tEENKUlT_SG_SH_SI_E_clIS7_S7_PlSB_EESF_SV_SG_SH_SI_EUlSV_E0_NS1_11comp_targetILNS1_3genE8ELNS1_11target_archE1030ELNS1_3gpuE2ELNS1_3repE0EEENS1_38merge_mergepath_config_static_selectorELNS0_4arch9wavefront6targetE1EEEvSH_
		.amdhsa_group_segment_fixed_size 0
		.amdhsa_private_segment_fixed_size 0
		.amdhsa_kernarg_size 64
		.amdhsa_user_sgpr_count 6
		.amdhsa_user_sgpr_private_segment_buffer 1
		.amdhsa_user_sgpr_dispatch_ptr 0
		.amdhsa_user_sgpr_queue_ptr 0
		.amdhsa_user_sgpr_kernarg_segment_ptr 1
		.amdhsa_user_sgpr_dispatch_id 0
		.amdhsa_user_sgpr_flat_scratch_init 0
		.amdhsa_user_sgpr_private_segment_size 0
		.amdhsa_uses_dynamic_stack 0
		.amdhsa_system_sgpr_private_segment_wavefront_offset 0
		.amdhsa_system_sgpr_workgroup_id_x 1
		.amdhsa_system_sgpr_workgroup_id_y 0
		.amdhsa_system_sgpr_workgroup_id_z 0
		.amdhsa_system_sgpr_workgroup_info 0
		.amdhsa_system_vgpr_workitem_id 0
		.amdhsa_next_free_vgpr 1
		.amdhsa_next_free_sgpr 0
		.amdhsa_reserve_vcc 0
		.amdhsa_reserve_flat_scratch 0
		.amdhsa_float_round_mode_32 0
		.amdhsa_float_round_mode_16_64 0
		.amdhsa_float_denorm_mode_32 3
		.amdhsa_float_denorm_mode_16_64 3
		.amdhsa_dx10_clamp 1
		.amdhsa_ieee_mode 1
		.amdhsa_fp16_overflow 0
		.amdhsa_exception_fp_ieee_invalid_op 0
		.amdhsa_exception_fp_denorm_src 0
		.amdhsa_exception_fp_ieee_div_zero 0
		.amdhsa_exception_fp_ieee_overflow 0
		.amdhsa_exception_fp_ieee_underflow 0
		.amdhsa_exception_fp_ieee_inexact 0
		.amdhsa_exception_int_div_zero 0
	.end_amdhsa_kernel
	.section	.text._ZN7rocprim17ROCPRIM_400000_NS6detail17trampoline_kernelINS0_14default_configENS1_38merge_sort_block_merge_config_selectorIalEEZZNS1_27merge_sort_block_merge_implIS3_PaN6thrust23THRUST_200600_302600_NS10device_ptrIlEEjNS1_19radix_merge_compareILb0ELb0EaNS0_19identity_decomposerEEEEE10hipError_tT0_T1_T2_jT3_P12ihipStream_tbPNSt15iterator_traitsISG_E10value_typeEPNSM_ISH_E10value_typeEPSI_NS1_7vsmem_tEENKUlT_SG_SH_SI_E_clIS7_S7_PlSB_EESF_SV_SG_SH_SI_EUlSV_E0_NS1_11comp_targetILNS1_3genE8ELNS1_11target_archE1030ELNS1_3gpuE2ELNS1_3repE0EEENS1_38merge_mergepath_config_static_selectorELNS0_4arch9wavefront6targetE1EEEvSH_,"axG",@progbits,_ZN7rocprim17ROCPRIM_400000_NS6detail17trampoline_kernelINS0_14default_configENS1_38merge_sort_block_merge_config_selectorIalEEZZNS1_27merge_sort_block_merge_implIS3_PaN6thrust23THRUST_200600_302600_NS10device_ptrIlEEjNS1_19radix_merge_compareILb0ELb0EaNS0_19identity_decomposerEEEEE10hipError_tT0_T1_T2_jT3_P12ihipStream_tbPNSt15iterator_traitsISG_E10value_typeEPNSM_ISH_E10value_typeEPSI_NS1_7vsmem_tEENKUlT_SG_SH_SI_E_clIS7_S7_PlSB_EESF_SV_SG_SH_SI_EUlSV_E0_NS1_11comp_targetILNS1_3genE8ELNS1_11target_archE1030ELNS1_3gpuE2ELNS1_3repE0EEENS1_38merge_mergepath_config_static_selectorELNS0_4arch9wavefront6targetE1EEEvSH_,comdat
.Lfunc_end493:
	.size	_ZN7rocprim17ROCPRIM_400000_NS6detail17trampoline_kernelINS0_14default_configENS1_38merge_sort_block_merge_config_selectorIalEEZZNS1_27merge_sort_block_merge_implIS3_PaN6thrust23THRUST_200600_302600_NS10device_ptrIlEEjNS1_19radix_merge_compareILb0ELb0EaNS0_19identity_decomposerEEEEE10hipError_tT0_T1_T2_jT3_P12ihipStream_tbPNSt15iterator_traitsISG_E10value_typeEPNSM_ISH_E10value_typeEPSI_NS1_7vsmem_tEENKUlT_SG_SH_SI_E_clIS7_S7_PlSB_EESF_SV_SG_SH_SI_EUlSV_E0_NS1_11comp_targetILNS1_3genE8ELNS1_11target_archE1030ELNS1_3gpuE2ELNS1_3repE0EEENS1_38merge_mergepath_config_static_selectorELNS0_4arch9wavefront6targetE1EEEvSH_, .Lfunc_end493-_ZN7rocprim17ROCPRIM_400000_NS6detail17trampoline_kernelINS0_14default_configENS1_38merge_sort_block_merge_config_selectorIalEEZZNS1_27merge_sort_block_merge_implIS3_PaN6thrust23THRUST_200600_302600_NS10device_ptrIlEEjNS1_19radix_merge_compareILb0ELb0EaNS0_19identity_decomposerEEEEE10hipError_tT0_T1_T2_jT3_P12ihipStream_tbPNSt15iterator_traitsISG_E10value_typeEPNSM_ISH_E10value_typeEPSI_NS1_7vsmem_tEENKUlT_SG_SH_SI_E_clIS7_S7_PlSB_EESF_SV_SG_SH_SI_EUlSV_E0_NS1_11comp_targetILNS1_3genE8ELNS1_11target_archE1030ELNS1_3gpuE2ELNS1_3repE0EEENS1_38merge_mergepath_config_static_selectorELNS0_4arch9wavefront6targetE1EEEvSH_
                                        ; -- End function
	.set _ZN7rocprim17ROCPRIM_400000_NS6detail17trampoline_kernelINS0_14default_configENS1_38merge_sort_block_merge_config_selectorIalEEZZNS1_27merge_sort_block_merge_implIS3_PaN6thrust23THRUST_200600_302600_NS10device_ptrIlEEjNS1_19radix_merge_compareILb0ELb0EaNS0_19identity_decomposerEEEEE10hipError_tT0_T1_T2_jT3_P12ihipStream_tbPNSt15iterator_traitsISG_E10value_typeEPNSM_ISH_E10value_typeEPSI_NS1_7vsmem_tEENKUlT_SG_SH_SI_E_clIS7_S7_PlSB_EESF_SV_SG_SH_SI_EUlSV_E0_NS1_11comp_targetILNS1_3genE8ELNS1_11target_archE1030ELNS1_3gpuE2ELNS1_3repE0EEENS1_38merge_mergepath_config_static_selectorELNS0_4arch9wavefront6targetE1EEEvSH_.num_vgpr, 0
	.set _ZN7rocprim17ROCPRIM_400000_NS6detail17trampoline_kernelINS0_14default_configENS1_38merge_sort_block_merge_config_selectorIalEEZZNS1_27merge_sort_block_merge_implIS3_PaN6thrust23THRUST_200600_302600_NS10device_ptrIlEEjNS1_19radix_merge_compareILb0ELb0EaNS0_19identity_decomposerEEEEE10hipError_tT0_T1_T2_jT3_P12ihipStream_tbPNSt15iterator_traitsISG_E10value_typeEPNSM_ISH_E10value_typeEPSI_NS1_7vsmem_tEENKUlT_SG_SH_SI_E_clIS7_S7_PlSB_EESF_SV_SG_SH_SI_EUlSV_E0_NS1_11comp_targetILNS1_3genE8ELNS1_11target_archE1030ELNS1_3gpuE2ELNS1_3repE0EEENS1_38merge_mergepath_config_static_selectorELNS0_4arch9wavefront6targetE1EEEvSH_.num_agpr, 0
	.set _ZN7rocprim17ROCPRIM_400000_NS6detail17trampoline_kernelINS0_14default_configENS1_38merge_sort_block_merge_config_selectorIalEEZZNS1_27merge_sort_block_merge_implIS3_PaN6thrust23THRUST_200600_302600_NS10device_ptrIlEEjNS1_19radix_merge_compareILb0ELb0EaNS0_19identity_decomposerEEEEE10hipError_tT0_T1_T2_jT3_P12ihipStream_tbPNSt15iterator_traitsISG_E10value_typeEPNSM_ISH_E10value_typeEPSI_NS1_7vsmem_tEENKUlT_SG_SH_SI_E_clIS7_S7_PlSB_EESF_SV_SG_SH_SI_EUlSV_E0_NS1_11comp_targetILNS1_3genE8ELNS1_11target_archE1030ELNS1_3gpuE2ELNS1_3repE0EEENS1_38merge_mergepath_config_static_selectorELNS0_4arch9wavefront6targetE1EEEvSH_.numbered_sgpr, 0
	.set _ZN7rocprim17ROCPRIM_400000_NS6detail17trampoline_kernelINS0_14default_configENS1_38merge_sort_block_merge_config_selectorIalEEZZNS1_27merge_sort_block_merge_implIS3_PaN6thrust23THRUST_200600_302600_NS10device_ptrIlEEjNS1_19radix_merge_compareILb0ELb0EaNS0_19identity_decomposerEEEEE10hipError_tT0_T1_T2_jT3_P12ihipStream_tbPNSt15iterator_traitsISG_E10value_typeEPNSM_ISH_E10value_typeEPSI_NS1_7vsmem_tEENKUlT_SG_SH_SI_E_clIS7_S7_PlSB_EESF_SV_SG_SH_SI_EUlSV_E0_NS1_11comp_targetILNS1_3genE8ELNS1_11target_archE1030ELNS1_3gpuE2ELNS1_3repE0EEENS1_38merge_mergepath_config_static_selectorELNS0_4arch9wavefront6targetE1EEEvSH_.num_named_barrier, 0
	.set _ZN7rocprim17ROCPRIM_400000_NS6detail17trampoline_kernelINS0_14default_configENS1_38merge_sort_block_merge_config_selectorIalEEZZNS1_27merge_sort_block_merge_implIS3_PaN6thrust23THRUST_200600_302600_NS10device_ptrIlEEjNS1_19radix_merge_compareILb0ELb0EaNS0_19identity_decomposerEEEEE10hipError_tT0_T1_T2_jT3_P12ihipStream_tbPNSt15iterator_traitsISG_E10value_typeEPNSM_ISH_E10value_typeEPSI_NS1_7vsmem_tEENKUlT_SG_SH_SI_E_clIS7_S7_PlSB_EESF_SV_SG_SH_SI_EUlSV_E0_NS1_11comp_targetILNS1_3genE8ELNS1_11target_archE1030ELNS1_3gpuE2ELNS1_3repE0EEENS1_38merge_mergepath_config_static_selectorELNS0_4arch9wavefront6targetE1EEEvSH_.private_seg_size, 0
	.set _ZN7rocprim17ROCPRIM_400000_NS6detail17trampoline_kernelINS0_14default_configENS1_38merge_sort_block_merge_config_selectorIalEEZZNS1_27merge_sort_block_merge_implIS3_PaN6thrust23THRUST_200600_302600_NS10device_ptrIlEEjNS1_19radix_merge_compareILb0ELb0EaNS0_19identity_decomposerEEEEE10hipError_tT0_T1_T2_jT3_P12ihipStream_tbPNSt15iterator_traitsISG_E10value_typeEPNSM_ISH_E10value_typeEPSI_NS1_7vsmem_tEENKUlT_SG_SH_SI_E_clIS7_S7_PlSB_EESF_SV_SG_SH_SI_EUlSV_E0_NS1_11comp_targetILNS1_3genE8ELNS1_11target_archE1030ELNS1_3gpuE2ELNS1_3repE0EEENS1_38merge_mergepath_config_static_selectorELNS0_4arch9wavefront6targetE1EEEvSH_.uses_vcc, 0
	.set _ZN7rocprim17ROCPRIM_400000_NS6detail17trampoline_kernelINS0_14default_configENS1_38merge_sort_block_merge_config_selectorIalEEZZNS1_27merge_sort_block_merge_implIS3_PaN6thrust23THRUST_200600_302600_NS10device_ptrIlEEjNS1_19radix_merge_compareILb0ELb0EaNS0_19identity_decomposerEEEEE10hipError_tT0_T1_T2_jT3_P12ihipStream_tbPNSt15iterator_traitsISG_E10value_typeEPNSM_ISH_E10value_typeEPSI_NS1_7vsmem_tEENKUlT_SG_SH_SI_E_clIS7_S7_PlSB_EESF_SV_SG_SH_SI_EUlSV_E0_NS1_11comp_targetILNS1_3genE8ELNS1_11target_archE1030ELNS1_3gpuE2ELNS1_3repE0EEENS1_38merge_mergepath_config_static_selectorELNS0_4arch9wavefront6targetE1EEEvSH_.uses_flat_scratch, 0
	.set _ZN7rocprim17ROCPRIM_400000_NS6detail17trampoline_kernelINS0_14default_configENS1_38merge_sort_block_merge_config_selectorIalEEZZNS1_27merge_sort_block_merge_implIS3_PaN6thrust23THRUST_200600_302600_NS10device_ptrIlEEjNS1_19radix_merge_compareILb0ELb0EaNS0_19identity_decomposerEEEEE10hipError_tT0_T1_T2_jT3_P12ihipStream_tbPNSt15iterator_traitsISG_E10value_typeEPNSM_ISH_E10value_typeEPSI_NS1_7vsmem_tEENKUlT_SG_SH_SI_E_clIS7_S7_PlSB_EESF_SV_SG_SH_SI_EUlSV_E0_NS1_11comp_targetILNS1_3genE8ELNS1_11target_archE1030ELNS1_3gpuE2ELNS1_3repE0EEENS1_38merge_mergepath_config_static_selectorELNS0_4arch9wavefront6targetE1EEEvSH_.has_dyn_sized_stack, 0
	.set _ZN7rocprim17ROCPRIM_400000_NS6detail17trampoline_kernelINS0_14default_configENS1_38merge_sort_block_merge_config_selectorIalEEZZNS1_27merge_sort_block_merge_implIS3_PaN6thrust23THRUST_200600_302600_NS10device_ptrIlEEjNS1_19radix_merge_compareILb0ELb0EaNS0_19identity_decomposerEEEEE10hipError_tT0_T1_T2_jT3_P12ihipStream_tbPNSt15iterator_traitsISG_E10value_typeEPNSM_ISH_E10value_typeEPSI_NS1_7vsmem_tEENKUlT_SG_SH_SI_E_clIS7_S7_PlSB_EESF_SV_SG_SH_SI_EUlSV_E0_NS1_11comp_targetILNS1_3genE8ELNS1_11target_archE1030ELNS1_3gpuE2ELNS1_3repE0EEENS1_38merge_mergepath_config_static_selectorELNS0_4arch9wavefront6targetE1EEEvSH_.has_recursion, 0
	.set _ZN7rocprim17ROCPRIM_400000_NS6detail17trampoline_kernelINS0_14default_configENS1_38merge_sort_block_merge_config_selectorIalEEZZNS1_27merge_sort_block_merge_implIS3_PaN6thrust23THRUST_200600_302600_NS10device_ptrIlEEjNS1_19radix_merge_compareILb0ELb0EaNS0_19identity_decomposerEEEEE10hipError_tT0_T1_T2_jT3_P12ihipStream_tbPNSt15iterator_traitsISG_E10value_typeEPNSM_ISH_E10value_typeEPSI_NS1_7vsmem_tEENKUlT_SG_SH_SI_E_clIS7_S7_PlSB_EESF_SV_SG_SH_SI_EUlSV_E0_NS1_11comp_targetILNS1_3genE8ELNS1_11target_archE1030ELNS1_3gpuE2ELNS1_3repE0EEENS1_38merge_mergepath_config_static_selectorELNS0_4arch9wavefront6targetE1EEEvSH_.has_indirect_call, 0
	.section	.AMDGPU.csdata,"",@progbits
; Kernel info:
; codeLenInByte = 0
; TotalNumSgprs: 4
; NumVgprs: 0
; ScratchSize: 0
; MemoryBound: 0
; FloatMode: 240
; IeeeMode: 1
; LDSByteSize: 0 bytes/workgroup (compile time only)
; SGPRBlocks: 0
; VGPRBlocks: 0
; NumSGPRsForWavesPerEU: 4
; NumVGPRsForWavesPerEU: 1
; Occupancy: 10
; WaveLimiterHint : 0
; COMPUTE_PGM_RSRC2:SCRATCH_EN: 0
; COMPUTE_PGM_RSRC2:USER_SGPR: 6
; COMPUTE_PGM_RSRC2:TRAP_HANDLER: 0
; COMPUTE_PGM_RSRC2:TGID_X_EN: 1
; COMPUTE_PGM_RSRC2:TGID_Y_EN: 0
; COMPUTE_PGM_RSRC2:TGID_Z_EN: 0
; COMPUTE_PGM_RSRC2:TIDIG_COMP_CNT: 0
	.section	.text._ZN7rocprim17ROCPRIM_400000_NS6detail17trampoline_kernelINS0_14default_configENS1_38merge_sort_block_merge_config_selectorIalEEZZNS1_27merge_sort_block_merge_implIS3_PaN6thrust23THRUST_200600_302600_NS10device_ptrIlEEjNS1_19radix_merge_compareILb0ELb0EaNS0_19identity_decomposerEEEEE10hipError_tT0_T1_T2_jT3_P12ihipStream_tbPNSt15iterator_traitsISG_E10value_typeEPNSM_ISH_E10value_typeEPSI_NS1_7vsmem_tEENKUlT_SG_SH_SI_E_clIS7_S7_PlSB_EESF_SV_SG_SH_SI_EUlSV_E1_NS1_11comp_targetILNS1_3genE0ELNS1_11target_archE4294967295ELNS1_3gpuE0ELNS1_3repE0EEENS1_36merge_oddeven_config_static_selectorELNS0_4arch9wavefront6targetE1EEEvSH_,"axG",@progbits,_ZN7rocprim17ROCPRIM_400000_NS6detail17trampoline_kernelINS0_14default_configENS1_38merge_sort_block_merge_config_selectorIalEEZZNS1_27merge_sort_block_merge_implIS3_PaN6thrust23THRUST_200600_302600_NS10device_ptrIlEEjNS1_19radix_merge_compareILb0ELb0EaNS0_19identity_decomposerEEEEE10hipError_tT0_T1_T2_jT3_P12ihipStream_tbPNSt15iterator_traitsISG_E10value_typeEPNSM_ISH_E10value_typeEPSI_NS1_7vsmem_tEENKUlT_SG_SH_SI_E_clIS7_S7_PlSB_EESF_SV_SG_SH_SI_EUlSV_E1_NS1_11comp_targetILNS1_3genE0ELNS1_11target_archE4294967295ELNS1_3gpuE0ELNS1_3repE0EEENS1_36merge_oddeven_config_static_selectorELNS0_4arch9wavefront6targetE1EEEvSH_,comdat
	.protected	_ZN7rocprim17ROCPRIM_400000_NS6detail17trampoline_kernelINS0_14default_configENS1_38merge_sort_block_merge_config_selectorIalEEZZNS1_27merge_sort_block_merge_implIS3_PaN6thrust23THRUST_200600_302600_NS10device_ptrIlEEjNS1_19radix_merge_compareILb0ELb0EaNS0_19identity_decomposerEEEEE10hipError_tT0_T1_T2_jT3_P12ihipStream_tbPNSt15iterator_traitsISG_E10value_typeEPNSM_ISH_E10value_typeEPSI_NS1_7vsmem_tEENKUlT_SG_SH_SI_E_clIS7_S7_PlSB_EESF_SV_SG_SH_SI_EUlSV_E1_NS1_11comp_targetILNS1_3genE0ELNS1_11target_archE4294967295ELNS1_3gpuE0ELNS1_3repE0EEENS1_36merge_oddeven_config_static_selectorELNS0_4arch9wavefront6targetE1EEEvSH_ ; -- Begin function _ZN7rocprim17ROCPRIM_400000_NS6detail17trampoline_kernelINS0_14default_configENS1_38merge_sort_block_merge_config_selectorIalEEZZNS1_27merge_sort_block_merge_implIS3_PaN6thrust23THRUST_200600_302600_NS10device_ptrIlEEjNS1_19radix_merge_compareILb0ELb0EaNS0_19identity_decomposerEEEEE10hipError_tT0_T1_T2_jT3_P12ihipStream_tbPNSt15iterator_traitsISG_E10value_typeEPNSM_ISH_E10value_typeEPSI_NS1_7vsmem_tEENKUlT_SG_SH_SI_E_clIS7_S7_PlSB_EESF_SV_SG_SH_SI_EUlSV_E1_NS1_11comp_targetILNS1_3genE0ELNS1_11target_archE4294967295ELNS1_3gpuE0ELNS1_3repE0EEENS1_36merge_oddeven_config_static_selectorELNS0_4arch9wavefront6targetE1EEEvSH_
	.globl	_ZN7rocprim17ROCPRIM_400000_NS6detail17trampoline_kernelINS0_14default_configENS1_38merge_sort_block_merge_config_selectorIalEEZZNS1_27merge_sort_block_merge_implIS3_PaN6thrust23THRUST_200600_302600_NS10device_ptrIlEEjNS1_19radix_merge_compareILb0ELb0EaNS0_19identity_decomposerEEEEE10hipError_tT0_T1_T2_jT3_P12ihipStream_tbPNSt15iterator_traitsISG_E10value_typeEPNSM_ISH_E10value_typeEPSI_NS1_7vsmem_tEENKUlT_SG_SH_SI_E_clIS7_S7_PlSB_EESF_SV_SG_SH_SI_EUlSV_E1_NS1_11comp_targetILNS1_3genE0ELNS1_11target_archE4294967295ELNS1_3gpuE0ELNS1_3repE0EEENS1_36merge_oddeven_config_static_selectorELNS0_4arch9wavefront6targetE1EEEvSH_
	.p2align	8
	.type	_ZN7rocprim17ROCPRIM_400000_NS6detail17trampoline_kernelINS0_14default_configENS1_38merge_sort_block_merge_config_selectorIalEEZZNS1_27merge_sort_block_merge_implIS3_PaN6thrust23THRUST_200600_302600_NS10device_ptrIlEEjNS1_19radix_merge_compareILb0ELb0EaNS0_19identity_decomposerEEEEE10hipError_tT0_T1_T2_jT3_P12ihipStream_tbPNSt15iterator_traitsISG_E10value_typeEPNSM_ISH_E10value_typeEPSI_NS1_7vsmem_tEENKUlT_SG_SH_SI_E_clIS7_S7_PlSB_EESF_SV_SG_SH_SI_EUlSV_E1_NS1_11comp_targetILNS1_3genE0ELNS1_11target_archE4294967295ELNS1_3gpuE0ELNS1_3repE0EEENS1_36merge_oddeven_config_static_selectorELNS0_4arch9wavefront6targetE1EEEvSH_,@function
_ZN7rocprim17ROCPRIM_400000_NS6detail17trampoline_kernelINS0_14default_configENS1_38merge_sort_block_merge_config_selectorIalEEZZNS1_27merge_sort_block_merge_implIS3_PaN6thrust23THRUST_200600_302600_NS10device_ptrIlEEjNS1_19radix_merge_compareILb0ELb0EaNS0_19identity_decomposerEEEEE10hipError_tT0_T1_T2_jT3_P12ihipStream_tbPNSt15iterator_traitsISG_E10value_typeEPNSM_ISH_E10value_typeEPSI_NS1_7vsmem_tEENKUlT_SG_SH_SI_E_clIS7_S7_PlSB_EESF_SV_SG_SH_SI_EUlSV_E1_NS1_11comp_targetILNS1_3genE0ELNS1_11target_archE4294967295ELNS1_3gpuE0ELNS1_3repE0EEENS1_36merge_oddeven_config_static_selectorELNS0_4arch9wavefront6targetE1EEEvSH_: ; @_ZN7rocprim17ROCPRIM_400000_NS6detail17trampoline_kernelINS0_14default_configENS1_38merge_sort_block_merge_config_selectorIalEEZZNS1_27merge_sort_block_merge_implIS3_PaN6thrust23THRUST_200600_302600_NS10device_ptrIlEEjNS1_19radix_merge_compareILb0ELb0EaNS0_19identity_decomposerEEEEE10hipError_tT0_T1_T2_jT3_P12ihipStream_tbPNSt15iterator_traitsISG_E10value_typeEPNSM_ISH_E10value_typeEPSI_NS1_7vsmem_tEENKUlT_SG_SH_SI_E_clIS7_S7_PlSB_EESF_SV_SG_SH_SI_EUlSV_E1_NS1_11comp_targetILNS1_3genE0ELNS1_11target_archE4294967295ELNS1_3gpuE0ELNS1_3repE0EEENS1_36merge_oddeven_config_static_selectorELNS0_4arch9wavefront6targetE1EEEvSH_
; %bb.0:
	.section	.rodata,"a",@progbits
	.p2align	6, 0x0
	.amdhsa_kernel _ZN7rocprim17ROCPRIM_400000_NS6detail17trampoline_kernelINS0_14default_configENS1_38merge_sort_block_merge_config_selectorIalEEZZNS1_27merge_sort_block_merge_implIS3_PaN6thrust23THRUST_200600_302600_NS10device_ptrIlEEjNS1_19radix_merge_compareILb0ELb0EaNS0_19identity_decomposerEEEEE10hipError_tT0_T1_T2_jT3_P12ihipStream_tbPNSt15iterator_traitsISG_E10value_typeEPNSM_ISH_E10value_typeEPSI_NS1_7vsmem_tEENKUlT_SG_SH_SI_E_clIS7_S7_PlSB_EESF_SV_SG_SH_SI_EUlSV_E1_NS1_11comp_targetILNS1_3genE0ELNS1_11target_archE4294967295ELNS1_3gpuE0ELNS1_3repE0EEENS1_36merge_oddeven_config_static_selectorELNS0_4arch9wavefront6targetE1EEEvSH_
		.amdhsa_group_segment_fixed_size 0
		.amdhsa_private_segment_fixed_size 0
		.amdhsa_kernarg_size 48
		.amdhsa_user_sgpr_count 6
		.amdhsa_user_sgpr_private_segment_buffer 1
		.amdhsa_user_sgpr_dispatch_ptr 0
		.amdhsa_user_sgpr_queue_ptr 0
		.amdhsa_user_sgpr_kernarg_segment_ptr 1
		.amdhsa_user_sgpr_dispatch_id 0
		.amdhsa_user_sgpr_flat_scratch_init 0
		.amdhsa_user_sgpr_private_segment_size 0
		.amdhsa_uses_dynamic_stack 0
		.amdhsa_system_sgpr_private_segment_wavefront_offset 0
		.amdhsa_system_sgpr_workgroup_id_x 1
		.amdhsa_system_sgpr_workgroup_id_y 0
		.amdhsa_system_sgpr_workgroup_id_z 0
		.amdhsa_system_sgpr_workgroup_info 0
		.amdhsa_system_vgpr_workitem_id 0
		.amdhsa_next_free_vgpr 1
		.amdhsa_next_free_sgpr 0
		.amdhsa_reserve_vcc 0
		.amdhsa_reserve_flat_scratch 0
		.amdhsa_float_round_mode_32 0
		.amdhsa_float_round_mode_16_64 0
		.amdhsa_float_denorm_mode_32 3
		.amdhsa_float_denorm_mode_16_64 3
		.amdhsa_dx10_clamp 1
		.amdhsa_ieee_mode 1
		.amdhsa_fp16_overflow 0
		.amdhsa_exception_fp_ieee_invalid_op 0
		.amdhsa_exception_fp_denorm_src 0
		.amdhsa_exception_fp_ieee_div_zero 0
		.amdhsa_exception_fp_ieee_overflow 0
		.amdhsa_exception_fp_ieee_underflow 0
		.amdhsa_exception_fp_ieee_inexact 0
		.amdhsa_exception_int_div_zero 0
	.end_amdhsa_kernel
	.section	.text._ZN7rocprim17ROCPRIM_400000_NS6detail17trampoline_kernelINS0_14default_configENS1_38merge_sort_block_merge_config_selectorIalEEZZNS1_27merge_sort_block_merge_implIS3_PaN6thrust23THRUST_200600_302600_NS10device_ptrIlEEjNS1_19radix_merge_compareILb0ELb0EaNS0_19identity_decomposerEEEEE10hipError_tT0_T1_T2_jT3_P12ihipStream_tbPNSt15iterator_traitsISG_E10value_typeEPNSM_ISH_E10value_typeEPSI_NS1_7vsmem_tEENKUlT_SG_SH_SI_E_clIS7_S7_PlSB_EESF_SV_SG_SH_SI_EUlSV_E1_NS1_11comp_targetILNS1_3genE0ELNS1_11target_archE4294967295ELNS1_3gpuE0ELNS1_3repE0EEENS1_36merge_oddeven_config_static_selectorELNS0_4arch9wavefront6targetE1EEEvSH_,"axG",@progbits,_ZN7rocprim17ROCPRIM_400000_NS6detail17trampoline_kernelINS0_14default_configENS1_38merge_sort_block_merge_config_selectorIalEEZZNS1_27merge_sort_block_merge_implIS3_PaN6thrust23THRUST_200600_302600_NS10device_ptrIlEEjNS1_19radix_merge_compareILb0ELb0EaNS0_19identity_decomposerEEEEE10hipError_tT0_T1_T2_jT3_P12ihipStream_tbPNSt15iterator_traitsISG_E10value_typeEPNSM_ISH_E10value_typeEPSI_NS1_7vsmem_tEENKUlT_SG_SH_SI_E_clIS7_S7_PlSB_EESF_SV_SG_SH_SI_EUlSV_E1_NS1_11comp_targetILNS1_3genE0ELNS1_11target_archE4294967295ELNS1_3gpuE0ELNS1_3repE0EEENS1_36merge_oddeven_config_static_selectorELNS0_4arch9wavefront6targetE1EEEvSH_,comdat
.Lfunc_end494:
	.size	_ZN7rocprim17ROCPRIM_400000_NS6detail17trampoline_kernelINS0_14default_configENS1_38merge_sort_block_merge_config_selectorIalEEZZNS1_27merge_sort_block_merge_implIS3_PaN6thrust23THRUST_200600_302600_NS10device_ptrIlEEjNS1_19radix_merge_compareILb0ELb0EaNS0_19identity_decomposerEEEEE10hipError_tT0_T1_T2_jT3_P12ihipStream_tbPNSt15iterator_traitsISG_E10value_typeEPNSM_ISH_E10value_typeEPSI_NS1_7vsmem_tEENKUlT_SG_SH_SI_E_clIS7_S7_PlSB_EESF_SV_SG_SH_SI_EUlSV_E1_NS1_11comp_targetILNS1_3genE0ELNS1_11target_archE4294967295ELNS1_3gpuE0ELNS1_3repE0EEENS1_36merge_oddeven_config_static_selectorELNS0_4arch9wavefront6targetE1EEEvSH_, .Lfunc_end494-_ZN7rocprim17ROCPRIM_400000_NS6detail17trampoline_kernelINS0_14default_configENS1_38merge_sort_block_merge_config_selectorIalEEZZNS1_27merge_sort_block_merge_implIS3_PaN6thrust23THRUST_200600_302600_NS10device_ptrIlEEjNS1_19radix_merge_compareILb0ELb0EaNS0_19identity_decomposerEEEEE10hipError_tT0_T1_T2_jT3_P12ihipStream_tbPNSt15iterator_traitsISG_E10value_typeEPNSM_ISH_E10value_typeEPSI_NS1_7vsmem_tEENKUlT_SG_SH_SI_E_clIS7_S7_PlSB_EESF_SV_SG_SH_SI_EUlSV_E1_NS1_11comp_targetILNS1_3genE0ELNS1_11target_archE4294967295ELNS1_3gpuE0ELNS1_3repE0EEENS1_36merge_oddeven_config_static_selectorELNS0_4arch9wavefront6targetE1EEEvSH_
                                        ; -- End function
	.set _ZN7rocprim17ROCPRIM_400000_NS6detail17trampoline_kernelINS0_14default_configENS1_38merge_sort_block_merge_config_selectorIalEEZZNS1_27merge_sort_block_merge_implIS3_PaN6thrust23THRUST_200600_302600_NS10device_ptrIlEEjNS1_19radix_merge_compareILb0ELb0EaNS0_19identity_decomposerEEEEE10hipError_tT0_T1_T2_jT3_P12ihipStream_tbPNSt15iterator_traitsISG_E10value_typeEPNSM_ISH_E10value_typeEPSI_NS1_7vsmem_tEENKUlT_SG_SH_SI_E_clIS7_S7_PlSB_EESF_SV_SG_SH_SI_EUlSV_E1_NS1_11comp_targetILNS1_3genE0ELNS1_11target_archE4294967295ELNS1_3gpuE0ELNS1_3repE0EEENS1_36merge_oddeven_config_static_selectorELNS0_4arch9wavefront6targetE1EEEvSH_.num_vgpr, 0
	.set _ZN7rocprim17ROCPRIM_400000_NS6detail17trampoline_kernelINS0_14default_configENS1_38merge_sort_block_merge_config_selectorIalEEZZNS1_27merge_sort_block_merge_implIS3_PaN6thrust23THRUST_200600_302600_NS10device_ptrIlEEjNS1_19radix_merge_compareILb0ELb0EaNS0_19identity_decomposerEEEEE10hipError_tT0_T1_T2_jT3_P12ihipStream_tbPNSt15iterator_traitsISG_E10value_typeEPNSM_ISH_E10value_typeEPSI_NS1_7vsmem_tEENKUlT_SG_SH_SI_E_clIS7_S7_PlSB_EESF_SV_SG_SH_SI_EUlSV_E1_NS1_11comp_targetILNS1_3genE0ELNS1_11target_archE4294967295ELNS1_3gpuE0ELNS1_3repE0EEENS1_36merge_oddeven_config_static_selectorELNS0_4arch9wavefront6targetE1EEEvSH_.num_agpr, 0
	.set _ZN7rocprim17ROCPRIM_400000_NS6detail17trampoline_kernelINS0_14default_configENS1_38merge_sort_block_merge_config_selectorIalEEZZNS1_27merge_sort_block_merge_implIS3_PaN6thrust23THRUST_200600_302600_NS10device_ptrIlEEjNS1_19radix_merge_compareILb0ELb0EaNS0_19identity_decomposerEEEEE10hipError_tT0_T1_T2_jT3_P12ihipStream_tbPNSt15iterator_traitsISG_E10value_typeEPNSM_ISH_E10value_typeEPSI_NS1_7vsmem_tEENKUlT_SG_SH_SI_E_clIS7_S7_PlSB_EESF_SV_SG_SH_SI_EUlSV_E1_NS1_11comp_targetILNS1_3genE0ELNS1_11target_archE4294967295ELNS1_3gpuE0ELNS1_3repE0EEENS1_36merge_oddeven_config_static_selectorELNS0_4arch9wavefront6targetE1EEEvSH_.numbered_sgpr, 0
	.set _ZN7rocprim17ROCPRIM_400000_NS6detail17trampoline_kernelINS0_14default_configENS1_38merge_sort_block_merge_config_selectorIalEEZZNS1_27merge_sort_block_merge_implIS3_PaN6thrust23THRUST_200600_302600_NS10device_ptrIlEEjNS1_19radix_merge_compareILb0ELb0EaNS0_19identity_decomposerEEEEE10hipError_tT0_T1_T2_jT3_P12ihipStream_tbPNSt15iterator_traitsISG_E10value_typeEPNSM_ISH_E10value_typeEPSI_NS1_7vsmem_tEENKUlT_SG_SH_SI_E_clIS7_S7_PlSB_EESF_SV_SG_SH_SI_EUlSV_E1_NS1_11comp_targetILNS1_3genE0ELNS1_11target_archE4294967295ELNS1_3gpuE0ELNS1_3repE0EEENS1_36merge_oddeven_config_static_selectorELNS0_4arch9wavefront6targetE1EEEvSH_.num_named_barrier, 0
	.set _ZN7rocprim17ROCPRIM_400000_NS6detail17trampoline_kernelINS0_14default_configENS1_38merge_sort_block_merge_config_selectorIalEEZZNS1_27merge_sort_block_merge_implIS3_PaN6thrust23THRUST_200600_302600_NS10device_ptrIlEEjNS1_19radix_merge_compareILb0ELb0EaNS0_19identity_decomposerEEEEE10hipError_tT0_T1_T2_jT3_P12ihipStream_tbPNSt15iterator_traitsISG_E10value_typeEPNSM_ISH_E10value_typeEPSI_NS1_7vsmem_tEENKUlT_SG_SH_SI_E_clIS7_S7_PlSB_EESF_SV_SG_SH_SI_EUlSV_E1_NS1_11comp_targetILNS1_3genE0ELNS1_11target_archE4294967295ELNS1_3gpuE0ELNS1_3repE0EEENS1_36merge_oddeven_config_static_selectorELNS0_4arch9wavefront6targetE1EEEvSH_.private_seg_size, 0
	.set _ZN7rocprim17ROCPRIM_400000_NS6detail17trampoline_kernelINS0_14default_configENS1_38merge_sort_block_merge_config_selectorIalEEZZNS1_27merge_sort_block_merge_implIS3_PaN6thrust23THRUST_200600_302600_NS10device_ptrIlEEjNS1_19radix_merge_compareILb0ELb0EaNS0_19identity_decomposerEEEEE10hipError_tT0_T1_T2_jT3_P12ihipStream_tbPNSt15iterator_traitsISG_E10value_typeEPNSM_ISH_E10value_typeEPSI_NS1_7vsmem_tEENKUlT_SG_SH_SI_E_clIS7_S7_PlSB_EESF_SV_SG_SH_SI_EUlSV_E1_NS1_11comp_targetILNS1_3genE0ELNS1_11target_archE4294967295ELNS1_3gpuE0ELNS1_3repE0EEENS1_36merge_oddeven_config_static_selectorELNS0_4arch9wavefront6targetE1EEEvSH_.uses_vcc, 0
	.set _ZN7rocprim17ROCPRIM_400000_NS6detail17trampoline_kernelINS0_14default_configENS1_38merge_sort_block_merge_config_selectorIalEEZZNS1_27merge_sort_block_merge_implIS3_PaN6thrust23THRUST_200600_302600_NS10device_ptrIlEEjNS1_19radix_merge_compareILb0ELb0EaNS0_19identity_decomposerEEEEE10hipError_tT0_T1_T2_jT3_P12ihipStream_tbPNSt15iterator_traitsISG_E10value_typeEPNSM_ISH_E10value_typeEPSI_NS1_7vsmem_tEENKUlT_SG_SH_SI_E_clIS7_S7_PlSB_EESF_SV_SG_SH_SI_EUlSV_E1_NS1_11comp_targetILNS1_3genE0ELNS1_11target_archE4294967295ELNS1_3gpuE0ELNS1_3repE0EEENS1_36merge_oddeven_config_static_selectorELNS0_4arch9wavefront6targetE1EEEvSH_.uses_flat_scratch, 0
	.set _ZN7rocprim17ROCPRIM_400000_NS6detail17trampoline_kernelINS0_14default_configENS1_38merge_sort_block_merge_config_selectorIalEEZZNS1_27merge_sort_block_merge_implIS3_PaN6thrust23THRUST_200600_302600_NS10device_ptrIlEEjNS1_19radix_merge_compareILb0ELb0EaNS0_19identity_decomposerEEEEE10hipError_tT0_T1_T2_jT3_P12ihipStream_tbPNSt15iterator_traitsISG_E10value_typeEPNSM_ISH_E10value_typeEPSI_NS1_7vsmem_tEENKUlT_SG_SH_SI_E_clIS7_S7_PlSB_EESF_SV_SG_SH_SI_EUlSV_E1_NS1_11comp_targetILNS1_3genE0ELNS1_11target_archE4294967295ELNS1_3gpuE0ELNS1_3repE0EEENS1_36merge_oddeven_config_static_selectorELNS0_4arch9wavefront6targetE1EEEvSH_.has_dyn_sized_stack, 0
	.set _ZN7rocprim17ROCPRIM_400000_NS6detail17trampoline_kernelINS0_14default_configENS1_38merge_sort_block_merge_config_selectorIalEEZZNS1_27merge_sort_block_merge_implIS3_PaN6thrust23THRUST_200600_302600_NS10device_ptrIlEEjNS1_19radix_merge_compareILb0ELb0EaNS0_19identity_decomposerEEEEE10hipError_tT0_T1_T2_jT3_P12ihipStream_tbPNSt15iterator_traitsISG_E10value_typeEPNSM_ISH_E10value_typeEPSI_NS1_7vsmem_tEENKUlT_SG_SH_SI_E_clIS7_S7_PlSB_EESF_SV_SG_SH_SI_EUlSV_E1_NS1_11comp_targetILNS1_3genE0ELNS1_11target_archE4294967295ELNS1_3gpuE0ELNS1_3repE0EEENS1_36merge_oddeven_config_static_selectorELNS0_4arch9wavefront6targetE1EEEvSH_.has_recursion, 0
	.set _ZN7rocprim17ROCPRIM_400000_NS6detail17trampoline_kernelINS0_14default_configENS1_38merge_sort_block_merge_config_selectorIalEEZZNS1_27merge_sort_block_merge_implIS3_PaN6thrust23THRUST_200600_302600_NS10device_ptrIlEEjNS1_19radix_merge_compareILb0ELb0EaNS0_19identity_decomposerEEEEE10hipError_tT0_T1_T2_jT3_P12ihipStream_tbPNSt15iterator_traitsISG_E10value_typeEPNSM_ISH_E10value_typeEPSI_NS1_7vsmem_tEENKUlT_SG_SH_SI_E_clIS7_S7_PlSB_EESF_SV_SG_SH_SI_EUlSV_E1_NS1_11comp_targetILNS1_3genE0ELNS1_11target_archE4294967295ELNS1_3gpuE0ELNS1_3repE0EEENS1_36merge_oddeven_config_static_selectorELNS0_4arch9wavefront6targetE1EEEvSH_.has_indirect_call, 0
	.section	.AMDGPU.csdata,"",@progbits
; Kernel info:
; codeLenInByte = 0
; TotalNumSgprs: 4
; NumVgprs: 0
; ScratchSize: 0
; MemoryBound: 0
; FloatMode: 240
; IeeeMode: 1
; LDSByteSize: 0 bytes/workgroup (compile time only)
; SGPRBlocks: 0
; VGPRBlocks: 0
; NumSGPRsForWavesPerEU: 4
; NumVGPRsForWavesPerEU: 1
; Occupancy: 10
; WaveLimiterHint : 0
; COMPUTE_PGM_RSRC2:SCRATCH_EN: 0
; COMPUTE_PGM_RSRC2:USER_SGPR: 6
; COMPUTE_PGM_RSRC2:TRAP_HANDLER: 0
; COMPUTE_PGM_RSRC2:TGID_X_EN: 1
; COMPUTE_PGM_RSRC2:TGID_Y_EN: 0
; COMPUTE_PGM_RSRC2:TGID_Z_EN: 0
; COMPUTE_PGM_RSRC2:TIDIG_COMP_CNT: 0
	.section	.text._ZN7rocprim17ROCPRIM_400000_NS6detail17trampoline_kernelINS0_14default_configENS1_38merge_sort_block_merge_config_selectorIalEEZZNS1_27merge_sort_block_merge_implIS3_PaN6thrust23THRUST_200600_302600_NS10device_ptrIlEEjNS1_19radix_merge_compareILb0ELb0EaNS0_19identity_decomposerEEEEE10hipError_tT0_T1_T2_jT3_P12ihipStream_tbPNSt15iterator_traitsISG_E10value_typeEPNSM_ISH_E10value_typeEPSI_NS1_7vsmem_tEENKUlT_SG_SH_SI_E_clIS7_S7_PlSB_EESF_SV_SG_SH_SI_EUlSV_E1_NS1_11comp_targetILNS1_3genE10ELNS1_11target_archE1201ELNS1_3gpuE5ELNS1_3repE0EEENS1_36merge_oddeven_config_static_selectorELNS0_4arch9wavefront6targetE1EEEvSH_,"axG",@progbits,_ZN7rocprim17ROCPRIM_400000_NS6detail17trampoline_kernelINS0_14default_configENS1_38merge_sort_block_merge_config_selectorIalEEZZNS1_27merge_sort_block_merge_implIS3_PaN6thrust23THRUST_200600_302600_NS10device_ptrIlEEjNS1_19radix_merge_compareILb0ELb0EaNS0_19identity_decomposerEEEEE10hipError_tT0_T1_T2_jT3_P12ihipStream_tbPNSt15iterator_traitsISG_E10value_typeEPNSM_ISH_E10value_typeEPSI_NS1_7vsmem_tEENKUlT_SG_SH_SI_E_clIS7_S7_PlSB_EESF_SV_SG_SH_SI_EUlSV_E1_NS1_11comp_targetILNS1_3genE10ELNS1_11target_archE1201ELNS1_3gpuE5ELNS1_3repE0EEENS1_36merge_oddeven_config_static_selectorELNS0_4arch9wavefront6targetE1EEEvSH_,comdat
	.protected	_ZN7rocprim17ROCPRIM_400000_NS6detail17trampoline_kernelINS0_14default_configENS1_38merge_sort_block_merge_config_selectorIalEEZZNS1_27merge_sort_block_merge_implIS3_PaN6thrust23THRUST_200600_302600_NS10device_ptrIlEEjNS1_19radix_merge_compareILb0ELb0EaNS0_19identity_decomposerEEEEE10hipError_tT0_T1_T2_jT3_P12ihipStream_tbPNSt15iterator_traitsISG_E10value_typeEPNSM_ISH_E10value_typeEPSI_NS1_7vsmem_tEENKUlT_SG_SH_SI_E_clIS7_S7_PlSB_EESF_SV_SG_SH_SI_EUlSV_E1_NS1_11comp_targetILNS1_3genE10ELNS1_11target_archE1201ELNS1_3gpuE5ELNS1_3repE0EEENS1_36merge_oddeven_config_static_selectorELNS0_4arch9wavefront6targetE1EEEvSH_ ; -- Begin function _ZN7rocprim17ROCPRIM_400000_NS6detail17trampoline_kernelINS0_14default_configENS1_38merge_sort_block_merge_config_selectorIalEEZZNS1_27merge_sort_block_merge_implIS3_PaN6thrust23THRUST_200600_302600_NS10device_ptrIlEEjNS1_19radix_merge_compareILb0ELb0EaNS0_19identity_decomposerEEEEE10hipError_tT0_T1_T2_jT3_P12ihipStream_tbPNSt15iterator_traitsISG_E10value_typeEPNSM_ISH_E10value_typeEPSI_NS1_7vsmem_tEENKUlT_SG_SH_SI_E_clIS7_S7_PlSB_EESF_SV_SG_SH_SI_EUlSV_E1_NS1_11comp_targetILNS1_3genE10ELNS1_11target_archE1201ELNS1_3gpuE5ELNS1_3repE0EEENS1_36merge_oddeven_config_static_selectorELNS0_4arch9wavefront6targetE1EEEvSH_
	.globl	_ZN7rocprim17ROCPRIM_400000_NS6detail17trampoline_kernelINS0_14default_configENS1_38merge_sort_block_merge_config_selectorIalEEZZNS1_27merge_sort_block_merge_implIS3_PaN6thrust23THRUST_200600_302600_NS10device_ptrIlEEjNS1_19radix_merge_compareILb0ELb0EaNS0_19identity_decomposerEEEEE10hipError_tT0_T1_T2_jT3_P12ihipStream_tbPNSt15iterator_traitsISG_E10value_typeEPNSM_ISH_E10value_typeEPSI_NS1_7vsmem_tEENKUlT_SG_SH_SI_E_clIS7_S7_PlSB_EESF_SV_SG_SH_SI_EUlSV_E1_NS1_11comp_targetILNS1_3genE10ELNS1_11target_archE1201ELNS1_3gpuE5ELNS1_3repE0EEENS1_36merge_oddeven_config_static_selectorELNS0_4arch9wavefront6targetE1EEEvSH_
	.p2align	8
	.type	_ZN7rocprim17ROCPRIM_400000_NS6detail17trampoline_kernelINS0_14default_configENS1_38merge_sort_block_merge_config_selectorIalEEZZNS1_27merge_sort_block_merge_implIS3_PaN6thrust23THRUST_200600_302600_NS10device_ptrIlEEjNS1_19radix_merge_compareILb0ELb0EaNS0_19identity_decomposerEEEEE10hipError_tT0_T1_T2_jT3_P12ihipStream_tbPNSt15iterator_traitsISG_E10value_typeEPNSM_ISH_E10value_typeEPSI_NS1_7vsmem_tEENKUlT_SG_SH_SI_E_clIS7_S7_PlSB_EESF_SV_SG_SH_SI_EUlSV_E1_NS1_11comp_targetILNS1_3genE10ELNS1_11target_archE1201ELNS1_3gpuE5ELNS1_3repE0EEENS1_36merge_oddeven_config_static_selectorELNS0_4arch9wavefront6targetE1EEEvSH_,@function
_ZN7rocprim17ROCPRIM_400000_NS6detail17trampoline_kernelINS0_14default_configENS1_38merge_sort_block_merge_config_selectorIalEEZZNS1_27merge_sort_block_merge_implIS3_PaN6thrust23THRUST_200600_302600_NS10device_ptrIlEEjNS1_19radix_merge_compareILb0ELb0EaNS0_19identity_decomposerEEEEE10hipError_tT0_T1_T2_jT3_P12ihipStream_tbPNSt15iterator_traitsISG_E10value_typeEPNSM_ISH_E10value_typeEPSI_NS1_7vsmem_tEENKUlT_SG_SH_SI_E_clIS7_S7_PlSB_EESF_SV_SG_SH_SI_EUlSV_E1_NS1_11comp_targetILNS1_3genE10ELNS1_11target_archE1201ELNS1_3gpuE5ELNS1_3repE0EEENS1_36merge_oddeven_config_static_selectorELNS0_4arch9wavefront6targetE1EEEvSH_: ; @_ZN7rocprim17ROCPRIM_400000_NS6detail17trampoline_kernelINS0_14default_configENS1_38merge_sort_block_merge_config_selectorIalEEZZNS1_27merge_sort_block_merge_implIS3_PaN6thrust23THRUST_200600_302600_NS10device_ptrIlEEjNS1_19radix_merge_compareILb0ELb0EaNS0_19identity_decomposerEEEEE10hipError_tT0_T1_T2_jT3_P12ihipStream_tbPNSt15iterator_traitsISG_E10value_typeEPNSM_ISH_E10value_typeEPSI_NS1_7vsmem_tEENKUlT_SG_SH_SI_E_clIS7_S7_PlSB_EESF_SV_SG_SH_SI_EUlSV_E1_NS1_11comp_targetILNS1_3genE10ELNS1_11target_archE1201ELNS1_3gpuE5ELNS1_3repE0EEENS1_36merge_oddeven_config_static_selectorELNS0_4arch9wavefront6targetE1EEEvSH_
; %bb.0:
	.section	.rodata,"a",@progbits
	.p2align	6, 0x0
	.amdhsa_kernel _ZN7rocprim17ROCPRIM_400000_NS6detail17trampoline_kernelINS0_14default_configENS1_38merge_sort_block_merge_config_selectorIalEEZZNS1_27merge_sort_block_merge_implIS3_PaN6thrust23THRUST_200600_302600_NS10device_ptrIlEEjNS1_19radix_merge_compareILb0ELb0EaNS0_19identity_decomposerEEEEE10hipError_tT0_T1_T2_jT3_P12ihipStream_tbPNSt15iterator_traitsISG_E10value_typeEPNSM_ISH_E10value_typeEPSI_NS1_7vsmem_tEENKUlT_SG_SH_SI_E_clIS7_S7_PlSB_EESF_SV_SG_SH_SI_EUlSV_E1_NS1_11comp_targetILNS1_3genE10ELNS1_11target_archE1201ELNS1_3gpuE5ELNS1_3repE0EEENS1_36merge_oddeven_config_static_selectorELNS0_4arch9wavefront6targetE1EEEvSH_
		.amdhsa_group_segment_fixed_size 0
		.amdhsa_private_segment_fixed_size 0
		.amdhsa_kernarg_size 48
		.amdhsa_user_sgpr_count 6
		.amdhsa_user_sgpr_private_segment_buffer 1
		.amdhsa_user_sgpr_dispatch_ptr 0
		.amdhsa_user_sgpr_queue_ptr 0
		.amdhsa_user_sgpr_kernarg_segment_ptr 1
		.amdhsa_user_sgpr_dispatch_id 0
		.amdhsa_user_sgpr_flat_scratch_init 0
		.amdhsa_user_sgpr_private_segment_size 0
		.amdhsa_uses_dynamic_stack 0
		.amdhsa_system_sgpr_private_segment_wavefront_offset 0
		.amdhsa_system_sgpr_workgroup_id_x 1
		.amdhsa_system_sgpr_workgroup_id_y 0
		.amdhsa_system_sgpr_workgroup_id_z 0
		.amdhsa_system_sgpr_workgroup_info 0
		.amdhsa_system_vgpr_workitem_id 0
		.amdhsa_next_free_vgpr 1
		.amdhsa_next_free_sgpr 0
		.amdhsa_reserve_vcc 0
		.amdhsa_reserve_flat_scratch 0
		.amdhsa_float_round_mode_32 0
		.amdhsa_float_round_mode_16_64 0
		.amdhsa_float_denorm_mode_32 3
		.amdhsa_float_denorm_mode_16_64 3
		.amdhsa_dx10_clamp 1
		.amdhsa_ieee_mode 1
		.amdhsa_fp16_overflow 0
		.amdhsa_exception_fp_ieee_invalid_op 0
		.amdhsa_exception_fp_denorm_src 0
		.amdhsa_exception_fp_ieee_div_zero 0
		.amdhsa_exception_fp_ieee_overflow 0
		.amdhsa_exception_fp_ieee_underflow 0
		.amdhsa_exception_fp_ieee_inexact 0
		.amdhsa_exception_int_div_zero 0
	.end_amdhsa_kernel
	.section	.text._ZN7rocprim17ROCPRIM_400000_NS6detail17trampoline_kernelINS0_14default_configENS1_38merge_sort_block_merge_config_selectorIalEEZZNS1_27merge_sort_block_merge_implIS3_PaN6thrust23THRUST_200600_302600_NS10device_ptrIlEEjNS1_19radix_merge_compareILb0ELb0EaNS0_19identity_decomposerEEEEE10hipError_tT0_T1_T2_jT3_P12ihipStream_tbPNSt15iterator_traitsISG_E10value_typeEPNSM_ISH_E10value_typeEPSI_NS1_7vsmem_tEENKUlT_SG_SH_SI_E_clIS7_S7_PlSB_EESF_SV_SG_SH_SI_EUlSV_E1_NS1_11comp_targetILNS1_3genE10ELNS1_11target_archE1201ELNS1_3gpuE5ELNS1_3repE0EEENS1_36merge_oddeven_config_static_selectorELNS0_4arch9wavefront6targetE1EEEvSH_,"axG",@progbits,_ZN7rocprim17ROCPRIM_400000_NS6detail17trampoline_kernelINS0_14default_configENS1_38merge_sort_block_merge_config_selectorIalEEZZNS1_27merge_sort_block_merge_implIS3_PaN6thrust23THRUST_200600_302600_NS10device_ptrIlEEjNS1_19radix_merge_compareILb0ELb0EaNS0_19identity_decomposerEEEEE10hipError_tT0_T1_T2_jT3_P12ihipStream_tbPNSt15iterator_traitsISG_E10value_typeEPNSM_ISH_E10value_typeEPSI_NS1_7vsmem_tEENKUlT_SG_SH_SI_E_clIS7_S7_PlSB_EESF_SV_SG_SH_SI_EUlSV_E1_NS1_11comp_targetILNS1_3genE10ELNS1_11target_archE1201ELNS1_3gpuE5ELNS1_3repE0EEENS1_36merge_oddeven_config_static_selectorELNS0_4arch9wavefront6targetE1EEEvSH_,comdat
.Lfunc_end495:
	.size	_ZN7rocprim17ROCPRIM_400000_NS6detail17trampoline_kernelINS0_14default_configENS1_38merge_sort_block_merge_config_selectorIalEEZZNS1_27merge_sort_block_merge_implIS3_PaN6thrust23THRUST_200600_302600_NS10device_ptrIlEEjNS1_19radix_merge_compareILb0ELb0EaNS0_19identity_decomposerEEEEE10hipError_tT0_T1_T2_jT3_P12ihipStream_tbPNSt15iterator_traitsISG_E10value_typeEPNSM_ISH_E10value_typeEPSI_NS1_7vsmem_tEENKUlT_SG_SH_SI_E_clIS7_S7_PlSB_EESF_SV_SG_SH_SI_EUlSV_E1_NS1_11comp_targetILNS1_3genE10ELNS1_11target_archE1201ELNS1_3gpuE5ELNS1_3repE0EEENS1_36merge_oddeven_config_static_selectorELNS0_4arch9wavefront6targetE1EEEvSH_, .Lfunc_end495-_ZN7rocprim17ROCPRIM_400000_NS6detail17trampoline_kernelINS0_14default_configENS1_38merge_sort_block_merge_config_selectorIalEEZZNS1_27merge_sort_block_merge_implIS3_PaN6thrust23THRUST_200600_302600_NS10device_ptrIlEEjNS1_19radix_merge_compareILb0ELb0EaNS0_19identity_decomposerEEEEE10hipError_tT0_T1_T2_jT3_P12ihipStream_tbPNSt15iterator_traitsISG_E10value_typeEPNSM_ISH_E10value_typeEPSI_NS1_7vsmem_tEENKUlT_SG_SH_SI_E_clIS7_S7_PlSB_EESF_SV_SG_SH_SI_EUlSV_E1_NS1_11comp_targetILNS1_3genE10ELNS1_11target_archE1201ELNS1_3gpuE5ELNS1_3repE0EEENS1_36merge_oddeven_config_static_selectorELNS0_4arch9wavefront6targetE1EEEvSH_
                                        ; -- End function
	.set _ZN7rocprim17ROCPRIM_400000_NS6detail17trampoline_kernelINS0_14default_configENS1_38merge_sort_block_merge_config_selectorIalEEZZNS1_27merge_sort_block_merge_implIS3_PaN6thrust23THRUST_200600_302600_NS10device_ptrIlEEjNS1_19radix_merge_compareILb0ELb0EaNS0_19identity_decomposerEEEEE10hipError_tT0_T1_T2_jT3_P12ihipStream_tbPNSt15iterator_traitsISG_E10value_typeEPNSM_ISH_E10value_typeEPSI_NS1_7vsmem_tEENKUlT_SG_SH_SI_E_clIS7_S7_PlSB_EESF_SV_SG_SH_SI_EUlSV_E1_NS1_11comp_targetILNS1_3genE10ELNS1_11target_archE1201ELNS1_3gpuE5ELNS1_3repE0EEENS1_36merge_oddeven_config_static_selectorELNS0_4arch9wavefront6targetE1EEEvSH_.num_vgpr, 0
	.set _ZN7rocprim17ROCPRIM_400000_NS6detail17trampoline_kernelINS0_14default_configENS1_38merge_sort_block_merge_config_selectorIalEEZZNS1_27merge_sort_block_merge_implIS3_PaN6thrust23THRUST_200600_302600_NS10device_ptrIlEEjNS1_19radix_merge_compareILb0ELb0EaNS0_19identity_decomposerEEEEE10hipError_tT0_T1_T2_jT3_P12ihipStream_tbPNSt15iterator_traitsISG_E10value_typeEPNSM_ISH_E10value_typeEPSI_NS1_7vsmem_tEENKUlT_SG_SH_SI_E_clIS7_S7_PlSB_EESF_SV_SG_SH_SI_EUlSV_E1_NS1_11comp_targetILNS1_3genE10ELNS1_11target_archE1201ELNS1_3gpuE5ELNS1_3repE0EEENS1_36merge_oddeven_config_static_selectorELNS0_4arch9wavefront6targetE1EEEvSH_.num_agpr, 0
	.set _ZN7rocprim17ROCPRIM_400000_NS6detail17trampoline_kernelINS0_14default_configENS1_38merge_sort_block_merge_config_selectorIalEEZZNS1_27merge_sort_block_merge_implIS3_PaN6thrust23THRUST_200600_302600_NS10device_ptrIlEEjNS1_19radix_merge_compareILb0ELb0EaNS0_19identity_decomposerEEEEE10hipError_tT0_T1_T2_jT3_P12ihipStream_tbPNSt15iterator_traitsISG_E10value_typeEPNSM_ISH_E10value_typeEPSI_NS1_7vsmem_tEENKUlT_SG_SH_SI_E_clIS7_S7_PlSB_EESF_SV_SG_SH_SI_EUlSV_E1_NS1_11comp_targetILNS1_3genE10ELNS1_11target_archE1201ELNS1_3gpuE5ELNS1_3repE0EEENS1_36merge_oddeven_config_static_selectorELNS0_4arch9wavefront6targetE1EEEvSH_.numbered_sgpr, 0
	.set _ZN7rocprim17ROCPRIM_400000_NS6detail17trampoline_kernelINS0_14default_configENS1_38merge_sort_block_merge_config_selectorIalEEZZNS1_27merge_sort_block_merge_implIS3_PaN6thrust23THRUST_200600_302600_NS10device_ptrIlEEjNS1_19radix_merge_compareILb0ELb0EaNS0_19identity_decomposerEEEEE10hipError_tT0_T1_T2_jT3_P12ihipStream_tbPNSt15iterator_traitsISG_E10value_typeEPNSM_ISH_E10value_typeEPSI_NS1_7vsmem_tEENKUlT_SG_SH_SI_E_clIS7_S7_PlSB_EESF_SV_SG_SH_SI_EUlSV_E1_NS1_11comp_targetILNS1_3genE10ELNS1_11target_archE1201ELNS1_3gpuE5ELNS1_3repE0EEENS1_36merge_oddeven_config_static_selectorELNS0_4arch9wavefront6targetE1EEEvSH_.num_named_barrier, 0
	.set _ZN7rocprim17ROCPRIM_400000_NS6detail17trampoline_kernelINS0_14default_configENS1_38merge_sort_block_merge_config_selectorIalEEZZNS1_27merge_sort_block_merge_implIS3_PaN6thrust23THRUST_200600_302600_NS10device_ptrIlEEjNS1_19radix_merge_compareILb0ELb0EaNS0_19identity_decomposerEEEEE10hipError_tT0_T1_T2_jT3_P12ihipStream_tbPNSt15iterator_traitsISG_E10value_typeEPNSM_ISH_E10value_typeEPSI_NS1_7vsmem_tEENKUlT_SG_SH_SI_E_clIS7_S7_PlSB_EESF_SV_SG_SH_SI_EUlSV_E1_NS1_11comp_targetILNS1_3genE10ELNS1_11target_archE1201ELNS1_3gpuE5ELNS1_3repE0EEENS1_36merge_oddeven_config_static_selectorELNS0_4arch9wavefront6targetE1EEEvSH_.private_seg_size, 0
	.set _ZN7rocprim17ROCPRIM_400000_NS6detail17trampoline_kernelINS0_14default_configENS1_38merge_sort_block_merge_config_selectorIalEEZZNS1_27merge_sort_block_merge_implIS3_PaN6thrust23THRUST_200600_302600_NS10device_ptrIlEEjNS1_19radix_merge_compareILb0ELb0EaNS0_19identity_decomposerEEEEE10hipError_tT0_T1_T2_jT3_P12ihipStream_tbPNSt15iterator_traitsISG_E10value_typeEPNSM_ISH_E10value_typeEPSI_NS1_7vsmem_tEENKUlT_SG_SH_SI_E_clIS7_S7_PlSB_EESF_SV_SG_SH_SI_EUlSV_E1_NS1_11comp_targetILNS1_3genE10ELNS1_11target_archE1201ELNS1_3gpuE5ELNS1_3repE0EEENS1_36merge_oddeven_config_static_selectorELNS0_4arch9wavefront6targetE1EEEvSH_.uses_vcc, 0
	.set _ZN7rocprim17ROCPRIM_400000_NS6detail17trampoline_kernelINS0_14default_configENS1_38merge_sort_block_merge_config_selectorIalEEZZNS1_27merge_sort_block_merge_implIS3_PaN6thrust23THRUST_200600_302600_NS10device_ptrIlEEjNS1_19radix_merge_compareILb0ELb0EaNS0_19identity_decomposerEEEEE10hipError_tT0_T1_T2_jT3_P12ihipStream_tbPNSt15iterator_traitsISG_E10value_typeEPNSM_ISH_E10value_typeEPSI_NS1_7vsmem_tEENKUlT_SG_SH_SI_E_clIS7_S7_PlSB_EESF_SV_SG_SH_SI_EUlSV_E1_NS1_11comp_targetILNS1_3genE10ELNS1_11target_archE1201ELNS1_3gpuE5ELNS1_3repE0EEENS1_36merge_oddeven_config_static_selectorELNS0_4arch9wavefront6targetE1EEEvSH_.uses_flat_scratch, 0
	.set _ZN7rocprim17ROCPRIM_400000_NS6detail17trampoline_kernelINS0_14default_configENS1_38merge_sort_block_merge_config_selectorIalEEZZNS1_27merge_sort_block_merge_implIS3_PaN6thrust23THRUST_200600_302600_NS10device_ptrIlEEjNS1_19radix_merge_compareILb0ELb0EaNS0_19identity_decomposerEEEEE10hipError_tT0_T1_T2_jT3_P12ihipStream_tbPNSt15iterator_traitsISG_E10value_typeEPNSM_ISH_E10value_typeEPSI_NS1_7vsmem_tEENKUlT_SG_SH_SI_E_clIS7_S7_PlSB_EESF_SV_SG_SH_SI_EUlSV_E1_NS1_11comp_targetILNS1_3genE10ELNS1_11target_archE1201ELNS1_3gpuE5ELNS1_3repE0EEENS1_36merge_oddeven_config_static_selectorELNS0_4arch9wavefront6targetE1EEEvSH_.has_dyn_sized_stack, 0
	.set _ZN7rocprim17ROCPRIM_400000_NS6detail17trampoline_kernelINS0_14default_configENS1_38merge_sort_block_merge_config_selectorIalEEZZNS1_27merge_sort_block_merge_implIS3_PaN6thrust23THRUST_200600_302600_NS10device_ptrIlEEjNS1_19radix_merge_compareILb0ELb0EaNS0_19identity_decomposerEEEEE10hipError_tT0_T1_T2_jT3_P12ihipStream_tbPNSt15iterator_traitsISG_E10value_typeEPNSM_ISH_E10value_typeEPSI_NS1_7vsmem_tEENKUlT_SG_SH_SI_E_clIS7_S7_PlSB_EESF_SV_SG_SH_SI_EUlSV_E1_NS1_11comp_targetILNS1_3genE10ELNS1_11target_archE1201ELNS1_3gpuE5ELNS1_3repE0EEENS1_36merge_oddeven_config_static_selectorELNS0_4arch9wavefront6targetE1EEEvSH_.has_recursion, 0
	.set _ZN7rocprim17ROCPRIM_400000_NS6detail17trampoline_kernelINS0_14default_configENS1_38merge_sort_block_merge_config_selectorIalEEZZNS1_27merge_sort_block_merge_implIS3_PaN6thrust23THRUST_200600_302600_NS10device_ptrIlEEjNS1_19radix_merge_compareILb0ELb0EaNS0_19identity_decomposerEEEEE10hipError_tT0_T1_T2_jT3_P12ihipStream_tbPNSt15iterator_traitsISG_E10value_typeEPNSM_ISH_E10value_typeEPSI_NS1_7vsmem_tEENKUlT_SG_SH_SI_E_clIS7_S7_PlSB_EESF_SV_SG_SH_SI_EUlSV_E1_NS1_11comp_targetILNS1_3genE10ELNS1_11target_archE1201ELNS1_3gpuE5ELNS1_3repE0EEENS1_36merge_oddeven_config_static_selectorELNS0_4arch9wavefront6targetE1EEEvSH_.has_indirect_call, 0
	.section	.AMDGPU.csdata,"",@progbits
; Kernel info:
; codeLenInByte = 0
; TotalNumSgprs: 4
; NumVgprs: 0
; ScratchSize: 0
; MemoryBound: 0
; FloatMode: 240
; IeeeMode: 1
; LDSByteSize: 0 bytes/workgroup (compile time only)
; SGPRBlocks: 0
; VGPRBlocks: 0
; NumSGPRsForWavesPerEU: 4
; NumVGPRsForWavesPerEU: 1
; Occupancy: 10
; WaveLimiterHint : 0
; COMPUTE_PGM_RSRC2:SCRATCH_EN: 0
; COMPUTE_PGM_RSRC2:USER_SGPR: 6
; COMPUTE_PGM_RSRC2:TRAP_HANDLER: 0
; COMPUTE_PGM_RSRC2:TGID_X_EN: 1
; COMPUTE_PGM_RSRC2:TGID_Y_EN: 0
; COMPUTE_PGM_RSRC2:TGID_Z_EN: 0
; COMPUTE_PGM_RSRC2:TIDIG_COMP_CNT: 0
	.section	.text._ZN7rocprim17ROCPRIM_400000_NS6detail17trampoline_kernelINS0_14default_configENS1_38merge_sort_block_merge_config_selectorIalEEZZNS1_27merge_sort_block_merge_implIS3_PaN6thrust23THRUST_200600_302600_NS10device_ptrIlEEjNS1_19radix_merge_compareILb0ELb0EaNS0_19identity_decomposerEEEEE10hipError_tT0_T1_T2_jT3_P12ihipStream_tbPNSt15iterator_traitsISG_E10value_typeEPNSM_ISH_E10value_typeEPSI_NS1_7vsmem_tEENKUlT_SG_SH_SI_E_clIS7_S7_PlSB_EESF_SV_SG_SH_SI_EUlSV_E1_NS1_11comp_targetILNS1_3genE5ELNS1_11target_archE942ELNS1_3gpuE9ELNS1_3repE0EEENS1_36merge_oddeven_config_static_selectorELNS0_4arch9wavefront6targetE1EEEvSH_,"axG",@progbits,_ZN7rocprim17ROCPRIM_400000_NS6detail17trampoline_kernelINS0_14default_configENS1_38merge_sort_block_merge_config_selectorIalEEZZNS1_27merge_sort_block_merge_implIS3_PaN6thrust23THRUST_200600_302600_NS10device_ptrIlEEjNS1_19radix_merge_compareILb0ELb0EaNS0_19identity_decomposerEEEEE10hipError_tT0_T1_T2_jT3_P12ihipStream_tbPNSt15iterator_traitsISG_E10value_typeEPNSM_ISH_E10value_typeEPSI_NS1_7vsmem_tEENKUlT_SG_SH_SI_E_clIS7_S7_PlSB_EESF_SV_SG_SH_SI_EUlSV_E1_NS1_11comp_targetILNS1_3genE5ELNS1_11target_archE942ELNS1_3gpuE9ELNS1_3repE0EEENS1_36merge_oddeven_config_static_selectorELNS0_4arch9wavefront6targetE1EEEvSH_,comdat
	.protected	_ZN7rocprim17ROCPRIM_400000_NS6detail17trampoline_kernelINS0_14default_configENS1_38merge_sort_block_merge_config_selectorIalEEZZNS1_27merge_sort_block_merge_implIS3_PaN6thrust23THRUST_200600_302600_NS10device_ptrIlEEjNS1_19radix_merge_compareILb0ELb0EaNS0_19identity_decomposerEEEEE10hipError_tT0_T1_T2_jT3_P12ihipStream_tbPNSt15iterator_traitsISG_E10value_typeEPNSM_ISH_E10value_typeEPSI_NS1_7vsmem_tEENKUlT_SG_SH_SI_E_clIS7_S7_PlSB_EESF_SV_SG_SH_SI_EUlSV_E1_NS1_11comp_targetILNS1_3genE5ELNS1_11target_archE942ELNS1_3gpuE9ELNS1_3repE0EEENS1_36merge_oddeven_config_static_selectorELNS0_4arch9wavefront6targetE1EEEvSH_ ; -- Begin function _ZN7rocprim17ROCPRIM_400000_NS6detail17trampoline_kernelINS0_14default_configENS1_38merge_sort_block_merge_config_selectorIalEEZZNS1_27merge_sort_block_merge_implIS3_PaN6thrust23THRUST_200600_302600_NS10device_ptrIlEEjNS1_19radix_merge_compareILb0ELb0EaNS0_19identity_decomposerEEEEE10hipError_tT0_T1_T2_jT3_P12ihipStream_tbPNSt15iterator_traitsISG_E10value_typeEPNSM_ISH_E10value_typeEPSI_NS1_7vsmem_tEENKUlT_SG_SH_SI_E_clIS7_S7_PlSB_EESF_SV_SG_SH_SI_EUlSV_E1_NS1_11comp_targetILNS1_3genE5ELNS1_11target_archE942ELNS1_3gpuE9ELNS1_3repE0EEENS1_36merge_oddeven_config_static_selectorELNS0_4arch9wavefront6targetE1EEEvSH_
	.globl	_ZN7rocprim17ROCPRIM_400000_NS6detail17trampoline_kernelINS0_14default_configENS1_38merge_sort_block_merge_config_selectorIalEEZZNS1_27merge_sort_block_merge_implIS3_PaN6thrust23THRUST_200600_302600_NS10device_ptrIlEEjNS1_19radix_merge_compareILb0ELb0EaNS0_19identity_decomposerEEEEE10hipError_tT0_T1_T2_jT3_P12ihipStream_tbPNSt15iterator_traitsISG_E10value_typeEPNSM_ISH_E10value_typeEPSI_NS1_7vsmem_tEENKUlT_SG_SH_SI_E_clIS7_S7_PlSB_EESF_SV_SG_SH_SI_EUlSV_E1_NS1_11comp_targetILNS1_3genE5ELNS1_11target_archE942ELNS1_3gpuE9ELNS1_3repE0EEENS1_36merge_oddeven_config_static_selectorELNS0_4arch9wavefront6targetE1EEEvSH_
	.p2align	8
	.type	_ZN7rocprim17ROCPRIM_400000_NS6detail17trampoline_kernelINS0_14default_configENS1_38merge_sort_block_merge_config_selectorIalEEZZNS1_27merge_sort_block_merge_implIS3_PaN6thrust23THRUST_200600_302600_NS10device_ptrIlEEjNS1_19radix_merge_compareILb0ELb0EaNS0_19identity_decomposerEEEEE10hipError_tT0_T1_T2_jT3_P12ihipStream_tbPNSt15iterator_traitsISG_E10value_typeEPNSM_ISH_E10value_typeEPSI_NS1_7vsmem_tEENKUlT_SG_SH_SI_E_clIS7_S7_PlSB_EESF_SV_SG_SH_SI_EUlSV_E1_NS1_11comp_targetILNS1_3genE5ELNS1_11target_archE942ELNS1_3gpuE9ELNS1_3repE0EEENS1_36merge_oddeven_config_static_selectorELNS0_4arch9wavefront6targetE1EEEvSH_,@function
_ZN7rocprim17ROCPRIM_400000_NS6detail17trampoline_kernelINS0_14default_configENS1_38merge_sort_block_merge_config_selectorIalEEZZNS1_27merge_sort_block_merge_implIS3_PaN6thrust23THRUST_200600_302600_NS10device_ptrIlEEjNS1_19radix_merge_compareILb0ELb0EaNS0_19identity_decomposerEEEEE10hipError_tT0_T1_T2_jT3_P12ihipStream_tbPNSt15iterator_traitsISG_E10value_typeEPNSM_ISH_E10value_typeEPSI_NS1_7vsmem_tEENKUlT_SG_SH_SI_E_clIS7_S7_PlSB_EESF_SV_SG_SH_SI_EUlSV_E1_NS1_11comp_targetILNS1_3genE5ELNS1_11target_archE942ELNS1_3gpuE9ELNS1_3repE0EEENS1_36merge_oddeven_config_static_selectorELNS0_4arch9wavefront6targetE1EEEvSH_: ; @_ZN7rocprim17ROCPRIM_400000_NS6detail17trampoline_kernelINS0_14default_configENS1_38merge_sort_block_merge_config_selectorIalEEZZNS1_27merge_sort_block_merge_implIS3_PaN6thrust23THRUST_200600_302600_NS10device_ptrIlEEjNS1_19radix_merge_compareILb0ELb0EaNS0_19identity_decomposerEEEEE10hipError_tT0_T1_T2_jT3_P12ihipStream_tbPNSt15iterator_traitsISG_E10value_typeEPNSM_ISH_E10value_typeEPSI_NS1_7vsmem_tEENKUlT_SG_SH_SI_E_clIS7_S7_PlSB_EESF_SV_SG_SH_SI_EUlSV_E1_NS1_11comp_targetILNS1_3genE5ELNS1_11target_archE942ELNS1_3gpuE9ELNS1_3repE0EEENS1_36merge_oddeven_config_static_selectorELNS0_4arch9wavefront6targetE1EEEvSH_
; %bb.0:
	.section	.rodata,"a",@progbits
	.p2align	6, 0x0
	.amdhsa_kernel _ZN7rocprim17ROCPRIM_400000_NS6detail17trampoline_kernelINS0_14default_configENS1_38merge_sort_block_merge_config_selectorIalEEZZNS1_27merge_sort_block_merge_implIS3_PaN6thrust23THRUST_200600_302600_NS10device_ptrIlEEjNS1_19radix_merge_compareILb0ELb0EaNS0_19identity_decomposerEEEEE10hipError_tT0_T1_T2_jT3_P12ihipStream_tbPNSt15iterator_traitsISG_E10value_typeEPNSM_ISH_E10value_typeEPSI_NS1_7vsmem_tEENKUlT_SG_SH_SI_E_clIS7_S7_PlSB_EESF_SV_SG_SH_SI_EUlSV_E1_NS1_11comp_targetILNS1_3genE5ELNS1_11target_archE942ELNS1_3gpuE9ELNS1_3repE0EEENS1_36merge_oddeven_config_static_selectorELNS0_4arch9wavefront6targetE1EEEvSH_
		.amdhsa_group_segment_fixed_size 0
		.amdhsa_private_segment_fixed_size 0
		.amdhsa_kernarg_size 48
		.amdhsa_user_sgpr_count 6
		.amdhsa_user_sgpr_private_segment_buffer 1
		.amdhsa_user_sgpr_dispatch_ptr 0
		.amdhsa_user_sgpr_queue_ptr 0
		.amdhsa_user_sgpr_kernarg_segment_ptr 1
		.amdhsa_user_sgpr_dispatch_id 0
		.amdhsa_user_sgpr_flat_scratch_init 0
		.amdhsa_user_sgpr_private_segment_size 0
		.amdhsa_uses_dynamic_stack 0
		.amdhsa_system_sgpr_private_segment_wavefront_offset 0
		.amdhsa_system_sgpr_workgroup_id_x 1
		.amdhsa_system_sgpr_workgroup_id_y 0
		.amdhsa_system_sgpr_workgroup_id_z 0
		.amdhsa_system_sgpr_workgroup_info 0
		.amdhsa_system_vgpr_workitem_id 0
		.amdhsa_next_free_vgpr 1
		.amdhsa_next_free_sgpr 0
		.amdhsa_reserve_vcc 0
		.amdhsa_reserve_flat_scratch 0
		.amdhsa_float_round_mode_32 0
		.amdhsa_float_round_mode_16_64 0
		.amdhsa_float_denorm_mode_32 3
		.amdhsa_float_denorm_mode_16_64 3
		.amdhsa_dx10_clamp 1
		.amdhsa_ieee_mode 1
		.amdhsa_fp16_overflow 0
		.amdhsa_exception_fp_ieee_invalid_op 0
		.amdhsa_exception_fp_denorm_src 0
		.amdhsa_exception_fp_ieee_div_zero 0
		.amdhsa_exception_fp_ieee_overflow 0
		.amdhsa_exception_fp_ieee_underflow 0
		.amdhsa_exception_fp_ieee_inexact 0
		.amdhsa_exception_int_div_zero 0
	.end_amdhsa_kernel
	.section	.text._ZN7rocprim17ROCPRIM_400000_NS6detail17trampoline_kernelINS0_14default_configENS1_38merge_sort_block_merge_config_selectorIalEEZZNS1_27merge_sort_block_merge_implIS3_PaN6thrust23THRUST_200600_302600_NS10device_ptrIlEEjNS1_19radix_merge_compareILb0ELb0EaNS0_19identity_decomposerEEEEE10hipError_tT0_T1_T2_jT3_P12ihipStream_tbPNSt15iterator_traitsISG_E10value_typeEPNSM_ISH_E10value_typeEPSI_NS1_7vsmem_tEENKUlT_SG_SH_SI_E_clIS7_S7_PlSB_EESF_SV_SG_SH_SI_EUlSV_E1_NS1_11comp_targetILNS1_3genE5ELNS1_11target_archE942ELNS1_3gpuE9ELNS1_3repE0EEENS1_36merge_oddeven_config_static_selectorELNS0_4arch9wavefront6targetE1EEEvSH_,"axG",@progbits,_ZN7rocprim17ROCPRIM_400000_NS6detail17trampoline_kernelINS0_14default_configENS1_38merge_sort_block_merge_config_selectorIalEEZZNS1_27merge_sort_block_merge_implIS3_PaN6thrust23THRUST_200600_302600_NS10device_ptrIlEEjNS1_19radix_merge_compareILb0ELb0EaNS0_19identity_decomposerEEEEE10hipError_tT0_T1_T2_jT3_P12ihipStream_tbPNSt15iterator_traitsISG_E10value_typeEPNSM_ISH_E10value_typeEPSI_NS1_7vsmem_tEENKUlT_SG_SH_SI_E_clIS7_S7_PlSB_EESF_SV_SG_SH_SI_EUlSV_E1_NS1_11comp_targetILNS1_3genE5ELNS1_11target_archE942ELNS1_3gpuE9ELNS1_3repE0EEENS1_36merge_oddeven_config_static_selectorELNS0_4arch9wavefront6targetE1EEEvSH_,comdat
.Lfunc_end496:
	.size	_ZN7rocprim17ROCPRIM_400000_NS6detail17trampoline_kernelINS0_14default_configENS1_38merge_sort_block_merge_config_selectorIalEEZZNS1_27merge_sort_block_merge_implIS3_PaN6thrust23THRUST_200600_302600_NS10device_ptrIlEEjNS1_19radix_merge_compareILb0ELb0EaNS0_19identity_decomposerEEEEE10hipError_tT0_T1_T2_jT3_P12ihipStream_tbPNSt15iterator_traitsISG_E10value_typeEPNSM_ISH_E10value_typeEPSI_NS1_7vsmem_tEENKUlT_SG_SH_SI_E_clIS7_S7_PlSB_EESF_SV_SG_SH_SI_EUlSV_E1_NS1_11comp_targetILNS1_3genE5ELNS1_11target_archE942ELNS1_3gpuE9ELNS1_3repE0EEENS1_36merge_oddeven_config_static_selectorELNS0_4arch9wavefront6targetE1EEEvSH_, .Lfunc_end496-_ZN7rocprim17ROCPRIM_400000_NS6detail17trampoline_kernelINS0_14default_configENS1_38merge_sort_block_merge_config_selectorIalEEZZNS1_27merge_sort_block_merge_implIS3_PaN6thrust23THRUST_200600_302600_NS10device_ptrIlEEjNS1_19radix_merge_compareILb0ELb0EaNS0_19identity_decomposerEEEEE10hipError_tT0_T1_T2_jT3_P12ihipStream_tbPNSt15iterator_traitsISG_E10value_typeEPNSM_ISH_E10value_typeEPSI_NS1_7vsmem_tEENKUlT_SG_SH_SI_E_clIS7_S7_PlSB_EESF_SV_SG_SH_SI_EUlSV_E1_NS1_11comp_targetILNS1_3genE5ELNS1_11target_archE942ELNS1_3gpuE9ELNS1_3repE0EEENS1_36merge_oddeven_config_static_selectorELNS0_4arch9wavefront6targetE1EEEvSH_
                                        ; -- End function
	.set _ZN7rocprim17ROCPRIM_400000_NS6detail17trampoline_kernelINS0_14default_configENS1_38merge_sort_block_merge_config_selectorIalEEZZNS1_27merge_sort_block_merge_implIS3_PaN6thrust23THRUST_200600_302600_NS10device_ptrIlEEjNS1_19radix_merge_compareILb0ELb0EaNS0_19identity_decomposerEEEEE10hipError_tT0_T1_T2_jT3_P12ihipStream_tbPNSt15iterator_traitsISG_E10value_typeEPNSM_ISH_E10value_typeEPSI_NS1_7vsmem_tEENKUlT_SG_SH_SI_E_clIS7_S7_PlSB_EESF_SV_SG_SH_SI_EUlSV_E1_NS1_11comp_targetILNS1_3genE5ELNS1_11target_archE942ELNS1_3gpuE9ELNS1_3repE0EEENS1_36merge_oddeven_config_static_selectorELNS0_4arch9wavefront6targetE1EEEvSH_.num_vgpr, 0
	.set _ZN7rocprim17ROCPRIM_400000_NS6detail17trampoline_kernelINS0_14default_configENS1_38merge_sort_block_merge_config_selectorIalEEZZNS1_27merge_sort_block_merge_implIS3_PaN6thrust23THRUST_200600_302600_NS10device_ptrIlEEjNS1_19radix_merge_compareILb0ELb0EaNS0_19identity_decomposerEEEEE10hipError_tT0_T1_T2_jT3_P12ihipStream_tbPNSt15iterator_traitsISG_E10value_typeEPNSM_ISH_E10value_typeEPSI_NS1_7vsmem_tEENKUlT_SG_SH_SI_E_clIS7_S7_PlSB_EESF_SV_SG_SH_SI_EUlSV_E1_NS1_11comp_targetILNS1_3genE5ELNS1_11target_archE942ELNS1_3gpuE9ELNS1_3repE0EEENS1_36merge_oddeven_config_static_selectorELNS0_4arch9wavefront6targetE1EEEvSH_.num_agpr, 0
	.set _ZN7rocprim17ROCPRIM_400000_NS6detail17trampoline_kernelINS0_14default_configENS1_38merge_sort_block_merge_config_selectorIalEEZZNS1_27merge_sort_block_merge_implIS3_PaN6thrust23THRUST_200600_302600_NS10device_ptrIlEEjNS1_19radix_merge_compareILb0ELb0EaNS0_19identity_decomposerEEEEE10hipError_tT0_T1_T2_jT3_P12ihipStream_tbPNSt15iterator_traitsISG_E10value_typeEPNSM_ISH_E10value_typeEPSI_NS1_7vsmem_tEENKUlT_SG_SH_SI_E_clIS7_S7_PlSB_EESF_SV_SG_SH_SI_EUlSV_E1_NS1_11comp_targetILNS1_3genE5ELNS1_11target_archE942ELNS1_3gpuE9ELNS1_3repE0EEENS1_36merge_oddeven_config_static_selectorELNS0_4arch9wavefront6targetE1EEEvSH_.numbered_sgpr, 0
	.set _ZN7rocprim17ROCPRIM_400000_NS6detail17trampoline_kernelINS0_14default_configENS1_38merge_sort_block_merge_config_selectorIalEEZZNS1_27merge_sort_block_merge_implIS3_PaN6thrust23THRUST_200600_302600_NS10device_ptrIlEEjNS1_19radix_merge_compareILb0ELb0EaNS0_19identity_decomposerEEEEE10hipError_tT0_T1_T2_jT3_P12ihipStream_tbPNSt15iterator_traitsISG_E10value_typeEPNSM_ISH_E10value_typeEPSI_NS1_7vsmem_tEENKUlT_SG_SH_SI_E_clIS7_S7_PlSB_EESF_SV_SG_SH_SI_EUlSV_E1_NS1_11comp_targetILNS1_3genE5ELNS1_11target_archE942ELNS1_3gpuE9ELNS1_3repE0EEENS1_36merge_oddeven_config_static_selectorELNS0_4arch9wavefront6targetE1EEEvSH_.num_named_barrier, 0
	.set _ZN7rocprim17ROCPRIM_400000_NS6detail17trampoline_kernelINS0_14default_configENS1_38merge_sort_block_merge_config_selectorIalEEZZNS1_27merge_sort_block_merge_implIS3_PaN6thrust23THRUST_200600_302600_NS10device_ptrIlEEjNS1_19radix_merge_compareILb0ELb0EaNS0_19identity_decomposerEEEEE10hipError_tT0_T1_T2_jT3_P12ihipStream_tbPNSt15iterator_traitsISG_E10value_typeEPNSM_ISH_E10value_typeEPSI_NS1_7vsmem_tEENKUlT_SG_SH_SI_E_clIS7_S7_PlSB_EESF_SV_SG_SH_SI_EUlSV_E1_NS1_11comp_targetILNS1_3genE5ELNS1_11target_archE942ELNS1_3gpuE9ELNS1_3repE0EEENS1_36merge_oddeven_config_static_selectorELNS0_4arch9wavefront6targetE1EEEvSH_.private_seg_size, 0
	.set _ZN7rocprim17ROCPRIM_400000_NS6detail17trampoline_kernelINS0_14default_configENS1_38merge_sort_block_merge_config_selectorIalEEZZNS1_27merge_sort_block_merge_implIS3_PaN6thrust23THRUST_200600_302600_NS10device_ptrIlEEjNS1_19radix_merge_compareILb0ELb0EaNS0_19identity_decomposerEEEEE10hipError_tT0_T1_T2_jT3_P12ihipStream_tbPNSt15iterator_traitsISG_E10value_typeEPNSM_ISH_E10value_typeEPSI_NS1_7vsmem_tEENKUlT_SG_SH_SI_E_clIS7_S7_PlSB_EESF_SV_SG_SH_SI_EUlSV_E1_NS1_11comp_targetILNS1_3genE5ELNS1_11target_archE942ELNS1_3gpuE9ELNS1_3repE0EEENS1_36merge_oddeven_config_static_selectorELNS0_4arch9wavefront6targetE1EEEvSH_.uses_vcc, 0
	.set _ZN7rocprim17ROCPRIM_400000_NS6detail17trampoline_kernelINS0_14default_configENS1_38merge_sort_block_merge_config_selectorIalEEZZNS1_27merge_sort_block_merge_implIS3_PaN6thrust23THRUST_200600_302600_NS10device_ptrIlEEjNS1_19radix_merge_compareILb0ELb0EaNS0_19identity_decomposerEEEEE10hipError_tT0_T1_T2_jT3_P12ihipStream_tbPNSt15iterator_traitsISG_E10value_typeEPNSM_ISH_E10value_typeEPSI_NS1_7vsmem_tEENKUlT_SG_SH_SI_E_clIS7_S7_PlSB_EESF_SV_SG_SH_SI_EUlSV_E1_NS1_11comp_targetILNS1_3genE5ELNS1_11target_archE942ELNS1_3gpuE9ELNS1_3repE0EEENS1_36merge_oddeven_config_static_selectorELNS0_4arch9wavefront6targetE1EEEvSH_.uses_flat_scratch, 0
	.set _ZN7rocprim17ROCPRIM_400000_NS6detail17trampoline_kernelINS0_14default_configENS1_38merge_sort_block_merge_config_selectorIalEEZZNS1_27merge_sort_block_merge_implIS3_PaN6thrust23THRUST_200600_302600_NS10device_ptrIlEEjNS1_19radix_merge_compareILb0ELb0EaNS0_19identity_decomposerEEEEE10hipError_tT0_T1_T2_jT3_P12ihipStream_tbPNSt15iterator_traitsISG_E10value_typeEPNSM_ISH_E10value_typeEPSI_NS1_7vsmem_tEENKUlT_SG_SH_SI_E_clIS7_S7_PlSB_EESF_SV_SG_SH_SI_EUlSV_E1_NS1_11comp_targetILNS1_3genE5ELNS1_11target_archE942ELNS1_3gpuE9ELNS1_3repE0EEENS1_36merge_oddeven_config_static_selectorELNS0_4arch9wavefront6targetE1EEEvSH_.has_dyn_sized_stack, 0
	.set _ZN7rocprim17ROCPRIM_400000_NS6detail17trampoline_kernelINS0_14default_configENS1_38merge_sort_block_merge_config_selectorIalEEZZNS1_27merge_sort_block_merge_implIS3_PaN6thrust23THRUST_200600_302600_NS10device_ptrIlEEjNS1_19radix_merge_compareILb0ELb0EaNS0_19identity_decomposerEEEEE10hipError_tT0_T1_T2_jT3_P12ihipStream_tbPNSt15iterator_traitsISG_E10value_typeEPNSM_ISH_E10value_typeEPSI_NS1_7vsmem_tEENKUlT_SG_SH_SI_E_clIS7_S7_PlSB_EESF_SV_SG_SH_SI_EUlSV_E1_NS1_11comp_targetILNS1_3genE5ELNS1_11target_archE942ELNS1_3gpuE9ELNS1_3repE0EEENS1_36merge_oddeven_config_static_selectorELNS0_4arch9wavefront6targetE1EEEvSH_.has_recursion, 0
	.set _ZN7rocprim17ROCPRIM_400000_NS6detail17trampoline_kernelINS0_14default_configENS1_38merge_sort_block_merge_config_selectorIalEEZZNS1_27merge_sort_block_merge_implIS3_PaN6thrust23THRUST_200600_302600_NS10device_ptrIlEEjNS1_19radix_merge_compareILb0ELb0EaNS0_19identity_decomposerEEEEE10hipError_tT0_T1_T2_jT3_P12ihipStream_tbPNSt15iterator_traitsISG_E10value_typeEPNSM_ISH_E10value_typeEPSI_NS1_7vsmem_tEENKUlT_SG_SH_SI_E_clIS7_S7_PlSB_EESF_SV_SG_SH_SI_EUlSV_E1_NS1_11comp_targetILNS1_3genE5ELNS1_11target_archE942ELNS1_3gpuE9ELNS1_3repE0EEENS1_36merge_oddeven_config_static_selectorELNS0_4arch9wavefront6targetE1EEEvSH_.has_indirect_call, 0
	.section	.AMDGPU.csdata,"",@progbits
; Kernel info:
; codeLenInByte = 0
; TotalNumSgprs: 4
; NumVgprs: 0
; ScratchSize: 0
; MemoryBound: 0
; FloatMode: 240
; IeeeMode: 1
; LDSByteSize: 0 bytes/workgroup (compile time only)
; SGPRBlocks: 0
; VGPRBlocks: 0
; NumSGPRsForWavesPerEU: 4
; NumVGPRsForWavesPerEU: 1
; Occupancy: 10
; WaveLimiterHint : 0
; COMPUTE_PGM_RSRC2:SCRATCH_EN: 0
; COMPUTE_PGM_RSRC2:USER_SGPR: 6
; COMPUTE_PGM_RSRC2:TRAP_HANDLER: 0
; COMPUTE_PGM_RSRC2:TGID_X_EN: 1
; COMPUTE_PGM_RSRC2:TGID_Y_EN: 0
; COMPUTE_PGM_RSRC2:TGID_Z_EN: 0
; COMPUTE_PGM_RSRC2:TIDIG_COMP_CNT: 0
	.section	.text._ZN7rocprim17ROCPRIM_400000_NS6detail17trampoline_kernelINS0_14default_configENS1_38merge_sort_block_merge_config_selectorIalEEZZNS1_27merge_sort_block_merge_implIS3_PaN6thrust23THRUST_200600_302600_NS10device_ptrIlEEjNS1_19radix_merge_compareILb0ELb0EaNS0_19identity_decomposerEEEEE10hipError_tT0_T1_T2_jT3_P12ihipStream_tbPNSt15iterator_traitsISG_E10value_typeEPNSM_ISH_E10value_typeEPSI_NS1_7vsmem_tEENKUlT_SG_SH_SI_E_clIS7_S7_PlSB_EESF_SV_SG_SH_SI_EUlSV_E1_NS1_11comp_targetILNS1_3genE4ELNS1_11target_archE910ELNS1_3gpuE8ELNS1_3repE0EEENS1_36merge_oddeven_config_static_selectorELNS0_4arch9wavefront6targetE1EEEvSH_,"axG",@progbits,_ZN7rocprim17ROCPRIM_400000_NS6detail17trampoline_kernelINS0_14default_configENS1_38merge_sort_block_merge_config_selectorIalEEZZNS1_27merge_sort_block_merge_implIS3_PaN6thrust23THRUST_200600_302600_NS10device_ptrIlEEjNS1_19radix_merge_compareILb0ELb0EaNS0_19identity_decomposerEEEEE10hipError_tT0_T1_T2_jT3_P12ihipStream_tbPNSt15iterator_traitsISG_E10value_typeEPNSM_ISH_E10value_typeEPSI_NS1_7vsmem_tEENKUlT_SG_SH_SI_E_clIS7_S7_PlSB_EESF_SV_SG_SH_SI_EUlSV_E1_NS1_11comp_targetILNS1_3genE4ELNS1_11target_archE910ELNS1_3gpuE8ELNS1_3repE0EEENS1_36merge_oddeven_config_static_selectorELNS0_4arch9wavefront6targetE1EEEvSH_,comdat
	.protected	_ZN7rocprim17ROCPRIM_400000_NS6detail17trampoline_kernelINS0_14default_configENS1_38merge_sort_block_merge_config_selectorIalEEZZNS1_27merge_sort_block_merge_implIS3_PaN6thrust23THRUST_200600_302600_NS10device_ptrIlEEjNS1_19radix_merge_compareILb0ELb0EaNS0_19identity_decomposerEEEEE10hipError_tT0_T1_T2_jT3_P12ihipStream_tbPNSt15iterator_traitsISG_E10value_typeEPNSM_ISH_E10value_typeEPSI_NS1_7vsmem_tEENKUlT_SG_SH_SI_E_clIS7_S7_PlSB_EESF_SV_SG_SH_SI_EUlSV_E1_NS1_11comp_targetILNS1_3genE4ELNS1_11target_archE910ELNS1_3gpuE8ELNS1_3repE0EEENS1_36merge_oddeven_config_static_selectorELNS0_4arch9wavefront6targetE1EEEvSH_ ; -- Begin function _ZN7rocprim17ROCPRIM_400000_NS6detail17trampoline_kernelINS0_14default_configENS1_38merge_sort_block_merge_config_selectorIalEEZZNS1_27merge_sort_block_merge_implIS3_PaN6thrust23THRUST_200600_302600_NS10device_ptrIlEEjNS1_19radix_merge_compareILb0ELb0EaNS0_19identity_decomposerEEEEE10hipError_tT0_T1_T2_jT3_P12ihipStream_tbPNSt15iterator_traitsISG_E10value_typeEPNSM_ISH_E10value_typeEPSI_NS1_7vsmem_tEENKUlT_SG_SH_SI_E_clIS7_S7_PlSB_EESF_SV_SG_SH_SI_EUlSV_E1_NS1_11comp_targetILNS1_3genE4ELNS1_11target_archE910ELNS1_3gpuE8ELNS1_3repE0EEENS1_36merge_oddeven_config_static_selectorELNS0_4arch9wavefront6targetE1EEEvSH_
	.globl	_ZN7rocprim17ROCPRIM_400000_NS6detail17trampoline_kernelINS0_14default_configENS1_38merge_sort_block_merge_config_selectorIalEEZZNS1_27merge_sort_block_merge_implIS3_PaN6thrust23THRUST_200600_302600_NS10device_ptrIlEEjNS1_19radix_merge_compareILb0ELb0EaNS0_19identity_decomposerEEEEE10hipError_tT0_T1_T2_jT3_P12ihipStream_tbPNSt15iterator_traitsISG_E10value_typeEPNSM_ISH_E10value_typeEPSI_NS1_7vsmem_tEENKUlT_SG_SH_SI_E_clIS7_S7_PlSB_EESF_SV_SG_SH_SI_EUlSV_E1_NS1_11comp_targetILNS1_3genE4ELNS1_11target_archE910ELNS1_3gpuE8ELNS1_3repE0EEENS1_36merge_oddeven_config_static_selectorELNS0_4arch9wavefront6targetE1EEEvSH_
	.p2align	8
	.type	_ZN7rocprim17ROCPRIM_400000_NS6detail17trampoline_kernelINS0_14default_configENS1_38merge_sort_block_merge_config_selectorIalEEZZNS1_27merge_sort_block_merge_implIS3_PaN6thrust23THRUST_200600_302600_NS10device_ptrIlEEjNS1_19radix_merge_compareILb0ELb0EaNS0_19identity_decomposerEEEEE10hipError_tT0_T1_T2_jT3_P12ihipStream_tbPNSt15iterator_traitsISG_E10value_typeEPNSM_ISH_E10value_typeEPSI_NS1_7vsmem_tEENKUlT_SG_SH_SI_E_clIS7_S7_PlSB_EESF_SV_SG_SH_SI_EUlSV_E1_NS1_11comp_targetILNS1_3genE4ELNS1_11target_archE910ELNS1_3gpuE8ELNS1_3repE0EEENS1_36merge_oddeven_config_static_selectorELNS0_4arch9wavefront6targetE1EEEvSH_,@function
_ZN7rocprim17ROCPRIM_400000_NS6detail17trampoline_kernelINS0_14default_configENS1_38merge_sort_block_merge_config_selectorIalEEZZNS1_27merge_sort_block_merge_implIS3_PaN6thrust23THRUST_200600_302600_NS10device_ptrIlEEjNS1_19radix_merge_compareILb0ELb0EaNS0_19identity_decomposerEEEEE10hipError_tT0_T1_T2_jT3_P12ihipStream_tbPNSt15iterator_traitsISG_E10value_typeEPNSM_ISH_E10value_typeEPSI_NS1_7vsmem_tEENKUlT_SG_SH_SI_E_clIS7_S7_PlSB_EESF_SV_SG_SH_SI_EUlSV_E1_NS1_11comp_targetILNS1_3genE4ELNS1_11target_archE910ELNS1_3gpuE8ELNS1_3repE0EEENS1_36merge_oddeven_config_static_selectorELNS0_4arch9wavefront6targetE1EEEvSH_: ; @_ZN7rocprim17ROCPRIM_400000_NS6detail17trampoline_kernelINS0_14default_configENS1_38merge_sort_block_merge_config_selectorIalEEZZNS1_27merge_sort_block_merge_implIS3_PaN6thrust23THRUST_200600_302600_NS10device_ptrIlEEjNS1_19radix_merge_compareILb0ELb0EaNS0_19identity_decomposerEEEEE10hipError_tT0_T1_T2_jT3_P12ihipStream_tbPNSt15iterator_traitsISG_E10value_typeEPNSM_ISH_E10value_typeEPSI_NS1_7vsmem_tEENKUlT_SG_SH_SI_E_clIS7_S7_PlSB_EESF_SV_SG_SH_SI_EUlSV_E1_NS1_11comp_targetILNS1_3genE4ELNS1_11target_archE910ELNS1_3gpuE8ELNS1_3repE0EEENS1_36merge_oddeven_config_static_selectorELNS0_4arch9wavefront6targetE1EEEvSH_
; %bb.0:
	.section	.rodata,"a",@progbits
	.p2align	6, 0x0
	.amdhsa_kernel _ZN7rocprim17ROCPRIM_400000_NS6detail17trampoline_kernelINS0_14default_configENS1_38merge_sort_block_merge_config_selectorIalEEZZNS1_27merge_sort_block_merge_implIS3_PaN6thrust23THRUST_200600_302600_NS10device_ptrIlEEjNS1_19radix_merge_compareILb0ELb0EaNS0_19identity_decomposerEEEEE10hipError_tT0_T1_T2_jT3_P12ihipStream_tbPNSt15iterator_traitsISG_E10value_typeEPNSM_ISH_E10value_typeEPSI_NS1_7vsmem_tEENKUlT_SG_SH_SI_E_clIS7_S7_PlSB_EESF_SV_SG_SH_SI_EUlSV_E1_NS1_11comp_targetILNS1_3genE4ELNS1_11target_archE910ELNS1_3gpuE8ELNS1_3repE0EEENS1_36merge_oddeven_config_static_selectorELNS0_4arch9wavefront6targetE1EEEvSH_
		.amdhsa_group_segment_fixed_size 0
		.amdhsa_private_segment_fixed_size 0
		.amdhsa_kernarg_size 48
		.amdhsa_user_sgpr_count 6
		.amdhsa_user_sgpr_private_segment_buffer 1
		.amdhsa_user_sgpr_dispatch_ptr 0
		.amdhsa_user_sgpr_queue_ptr 0
		.amdhsa_user_sgpr_kernarg_segment_ptr 1
		.amdhsa_user_sgpr_dispatch_id 0
		.amdhsa_user_sgpr_flat_scratch_init 0
		.amdhsa_user_sgpr_private_segment_size 0
		.amdhsa_uses_dynamic_stack 0
		.amdhsa_system_sgpr_private_segment_wavefront_offset 0
		.amdhsa_system_sgpr_workgroup_id_x 1
		.amdhsa_system_sgpr_workgroup_id_y 0
		.amdhsa_system_sgpr_workgroup_id_z 0
		.amdhsa_system_sgpr_workgroup_info 0
		.amdhsa_system_vgpr_workitem_id 0
		.amdhsa_next_free_vgpr 1
		.amdhsa_next_free_sgpr 0
		.amdhsa_reserve_vcc 0
		.amdhsa_reserve_flat_scratch 0
		.amdhsa_float_round_mode_32 0
		.amdhsa_float_round_mode_16_64 0
		.amdhsa_float_denorm_mode_32 3
		.amdhsa_float_denorm_mode_16_64 3
		.amdhsa_dx10_clamp 1
		.amdhsa_ieee_mode 1
		.amdhsa_fp16_overflow 0
		.amdhsa_exception_fp_ieee_invalid_op 0
		.amdhsa_exception_fp_denorm_src 0
		.amdhsa_exception_fp_ieee_div_zero 0
		.amdhsa_exception_fp_ieee_overflow 0
		.amdhsa_exception_fp_ieee_underflow 0
		.amdhsa_exception_fp_ieee_inexact 0
		.amdhsa_exception_int_div_zero 0
	.end_amdhsa_kernel
	.section	.text._ZN7rocprim17ROCPRIM_400000_NS6detail17trampoline_kernelINS0_14default_configENS1_38merge_sort_block_merge_config_selectorIalEEZZNS1_27merge_sort_block_merge_implIS3_PaN6thrust23THRUST_200600_302600_NS10device_ptrIlEEjNS1_19radix_merge_compareILb0ELb0EaNS0_19identity_decomposerEEEEE10hipError_tT0_T1_T2_jT3_P12ihipStream_tbPNSt15iterator_traitsISG_E10value_typeEPNSM_ISH_E10value_typeEPSI_NS1_7vsmem_tEENKUlT_SG_SH_SI_E_clIS7_S7_PlSB_EESF_SV_SG_SH_SI_EUlSV_E1_NS1_11comp_targetILNS1_3genE4ELNS1_11target_archE910ELNS1_3gpuE8ELNS1_3repE0EEENS1_36merge_oddeven_config_static_selectorELNS0_4arch9wavefront6targetE1EEEvSH_,"axG",@progbits,_ZN7rocprim17ROCPRIM_400000_NS6detail17trampoline_kernelINS0_14default_configENS1_38merge_sort_block_merge_config_selectorIalEEZZNS1_27merge_sort_block_merge_implIS3_PaN6thrust23THRUST_200600_302600_NS10device_ptrIlEEjNS1_19radix_merge_compareILb0ELb0EaNS0_19identity_decomposerEEEEE10hipError_tT0_T1_T2_jT3_P12ihipStream_tbPNSt15iterator_traitsISG_E10value_typeEPNSM_ISH_E10value_typeEPSI_NS1_7vsmem_tEENKUlT_SG_SH_SI_E_clIS7_S7_PlSB_EESF_SV_SG_SH_SI_EUlSV_E1_NS1_11comp_targetILNS1_3genE4ELNS1_11target_archE910ELNS1_3gpuE8ELNS1_3repE0EEENS1_36merge_oddeven_config_static_selectorELNS0_4arch9wavefront6targetE1EEEvSH_,comdat
.Lfunc_end497:
	.size	_ZN7rocprim17ROCPRIM_400000_NS6detail17trampoline_kernelINS0_14default_configENS1_38merge_sort_block_merge_config_selectorIalEEZZNS1_27merge_sort_block_merge_implIS3_PaN6thrust23THRUST_200600_302600_NS10device_ptrIlEEjNS1_19radix_merge_compareILb0ELb0EaNS0_19identity_decomposerEEEEE10hipError_tT0_T1_T2_jT3_P12ihipStream_tbPNSt15iterator_traitsISG_E10value_typeEPNSM_ISH_E10value_typeEPSI_NS1_7vsmem_tEENKUlT_SG_SH_SI_E_clIS7_S7_PlSB_EESF_SV_SG_SH_SI_EUlSV_E1_NS1_11comp_targetILNS1_3genE4ELNS1_11target_archE910ELNS1_3gpuE8ELNS1_3repE0EEENS1_36merge_oddeven_config_static_selectorELNS0_4arch9wavefront6targetE1EEEvSH_, .Lfunc_end497-_ZN7rocprim17ROCPRIM_400000_NS6detail17trampoline_kernelINS0_14default_configENS1_38merge_sort_block_merge_config_selectorIalEEZZNS1_27merge_sort_block_merge_implIS3_PaN6thrust23THRUST_200600_302600_NS10device_ptrIlEEjNS1_19radix_merge_compareILb0ELb0EaNS0_19identity_decomposerEEEEE10hipError_tT0_T1_T2_jT3_P12ihipStream_tbPNSt15iterator_traitsISG_E10value_typeEPNSM_ISH_E10value_typeEPSI_NS1_7vsmem_tEENKUlT_SG_SH_SI_E_clIS7_S7_PlSB_EESF_SV_SG_SH_SI_EUlSV_E1_NS1_11comp_targetILNS1_3genE4ELNS1_11target_archE910ELNS1_3gpuE8ELNS1_3repE0EEENS1_36merge_oddeven_config_static_selectorELNS0_4arch9wavefront6targetE1EEEvSH_
                                        ; -- End function
	.set _ZN7rocprim17ROCPRIM_400000_NS6detail17trampoline_kernelINS0_14default_configENS1_38merge_sort_block_merge_config_selectorIalEEZZNS1_27merge_sort_block_merge_implIS3_PaN6thrust23THRUST_200600_302600_NS10device_ptrIlEEjNS1_19radix_merge_compareILb0ELb0EaNS0_19identity_decomposerEEEEE10hipError_tT0_T1_T2_jT3_P12ihipStream_tbPNSt15iterator_traitsISG_E10value_typeEPNSM_ISH_E10value_typeEPSI_NS1_7vsmem_tEENKUlT_SG_SH_SI_E_clIS7_S7_PlSB_EESF_SV_SG_SH_SI_EUlSV_E1_NS1_11comp_targetILNS1_3genE4ELNS1_11target_archE910ELNS1_3gpuE8ELNS1_3repE0EEENS1_36merge_oddeven_config_static_selectorELNS0_4arch9wavefront6targetE1EEEvSH_.num_vgpr, 0
	.set _ZN7rocprim17ROCPRIM_400000_NS6detail17trampoline_kernelINS0_14default_configENS1_38merge_sort_block_merge_config_selectorIalEEZZNS1_27merge_sort_block_merge_implIS3_PaN6thrust23THRUST_200600_302600_NS10device_ptrIlEEjNS1_19radix_merge_compareILb0ELb0EaNS0_19identity_decomposerEEEEE10hipError_tT0_T1_T2_jT3_P12ihipStream_tbPNSt15iterator_traitsISG_E10value_typeEPNSM_ISH_E10value_typeEPSI_NS1_7vsmem_tEENKUlT_SG_SH_SI_E_clIS7_S7_PlSB_EESF_SV_SG_SH_SI_EUlSV_E1_NS1_11comp_targetILNS1_3genE4ELNS1_11target_archE910ELNS1_3gpuE8ELNS1_3repE0EEENS1_36merge_oddeven_config_static_selectorELNS0_4arch9wavefront6targetE1EEEvSH_.num_agpr, 0
	.set _ZN7rocprim17ROCPRIM_400000_NS6detail17trampoline_kernelINS0_14default_configENS1_38merge_sort_block_merge_config_selectorIalEEZZNS1_27merge_sort_block_merge_implIS3_PaN6thrust23THRUST_200600_302600_NS10device_ptrIlEEjNS1_19radix_merge_compareILb0ELb0EaNS0_19identity_decomposerEEEEE10hipError_tT0_T1_T2_jT3_P12ihipStream_tbPNSt15iterator_traitsISG_E10value_typeEPNSM_ISH_E10value_typeEPSI_NS1_7vsmem_tEENKUlT_SG_SH_SI_E_clIS7_S7_PlSB_EESF_SV_SG_SH_SI_EUlSV_E1_NS1_11comp_targetILNS1_3genE4ELNS1_11target_archE910ELNS1_3gpuE8ELNS1_3repE0EEENS1_36merge_oddeven_config_static_selectorELNS0_4arch9wavefront6targetE1EEEvSH_.numbered_sgpr, 0
	.set _ZN7rocprim17ROCPRIM_400000_NS6detail17trampoline_kernelINS0_14default_configENS1_38merge_sort_block_merge_config_selectorIalEEZZNS1_27merge_sort_block_merge_implIS3_PaN6thrust23THRUST_200600_302600_NS10device_ptrIlEEjNS1_19radix_merge_compareILb0ELb0EaNS0_19identity_decomposerEEEEE10hipError_tT0_T1_T2_jT3_P12ihipStream_tbPNSt15iterator_traitsISG_E10value_typeEPNSM_ISH_E10value_typeEPSI_NS1_7vsmem_tEENKUlT_SG_SH_SI_E_clIS7_S7_PlSB_EESF_SV_SG_SH_SI_EUlSV_E1_NS1_11comp_targetILNS1_3genE4ELNS1_11target_archE910ELNS1_3gpuE8ELNS1_3repE0EEENS1_36merge_oddeven_config_static_selectorELNS0_4arch9wavefront6targetE1EEEvSH_.num_named_barrier, 0
	.set _ZN7rocprim17ROCPRIM_400000_NS6detail17trampoline_kernelINS0_14default_configENS1_38merge_sort_block_merge_config_selectorIalEEZZNS1_27merge_sort_block_merge_implIS3_PaN6thrust23THRUST_200600_302600_NS10device_ptrIlEEjNS1_19radix_merge_compareILb0ELb0EaNS0_19identity_decomposerEEEEE10hipError_tT0_T1_T2_jT3_P12ihipStream_tbPNSt15iterator_traitsISG_E10value_typeEPNSM_ISH_E10value_typeEPSI_NS1_7vsmem_tEENKUlT_SG_SH_SI_E_clIS7_S7_PlSB_EESF_SV_SG_SH_SI_EUlSV_E1_NS1_11comp_targetILNS1_3genE4ELNS1_11target_archE910ELNS1_3gpuE8ELNS1_3repE0EEENS1_36merge_oddeven_config_static_selectorELNS0_4arch9wavefront6targetE1EEEvSH_.private_seg_size, 0
	.set _ZN7rocprim17ROCPRIM_400000_NS6detail17trampoline_kernelINS0_14default_configENS1_38merge_sort_block_merge_config_selectorIalEEZZNS1_27merge_sort_block_merge_implIS3_PaN6thrust23THRUST_200600_302600_NS10device_ptrIlEEjNS1_19radix_merge_compareILb0ELb0EaNS0_19identity_decomposerEEEEE10hipError_tT0_T1_T2_jT3_P12ihipStream_tbPNSt15iterator_traitsISG_E10value_typeEPNSM_ISH_E10value_typeEPSI_NS1_7vsmem_tEENKUlT_SG_SH_SI_E_clIS7_S7_PlSB_EESF_SV_SG_SH_SI_EUlSV_E1_NS1_11comp_targetILNS1_3genE4ELNS1_11target_archE910ELNS1_3gpuE8ELNS1_3repE0EEENS1_36merge_oddeven_config_static_selectorELNS0_4arch9wavefront6targetE1EEEvSH_.uses_vcc, 0
	.set _ZN7rocprim17ROCPRIM_400000_NS6detail17trampoline_kernelINS0_14default_configENS1_38merge_sort_block_merge_config_selectorIalEEZZNS1_27merge_sort_block_merge_implIS3_PaN6thrust23THRUST_200600_302600_NS10device_ptrIlEEjNS1_19radix_merge_compareILb0ELb0EaNS0_19identity_decomposerEEEEE10hipError_tT0_T1_T2_jT3_P12ihipStream_tbPNSt15iterator_traitsISG_E10value_typeEPNSM_ISH_E10value_typeEPSI_NS1_7vsmem_tEENKUlT_SG_SH_SI_E_clIS7_S7_PlSB_EESF_SV_SG_SH_SI_EUlSV_E1_NS1_11comp_targetILNS1_3genE4ELNS1_11target_archE910ELNS1_3gpuE8ELNS1_3repE0EEENS1_36merge_oddeven_config_static_selectorELNS0_4arch9wavefront6targetE1EEEvSH_.uses_flat_scratch, 0
	.set _ZN7rocprim17ROCPRIM_400000_NS6detail17trampoline_kernelINS0_14default_configENS1_38merge_sort_block_merge_config_selectorIalEEZZNS1_27merge_sort_block_merge_implIS3_PaN6thrust23THRUST_200600_302600_NS10device_ptrIlEEjNS1_19radix_merge_compareILb0ELb0EaNS0_19identity_decomposerEEEEE10hipError_tT0_T1_T2_jT3_P12ihipStream_tbPNSt15iterator_traitsISG_E10value_typeEPNSM_ISH_E10value_typeEPSI_NS1_7vsmem_tEENKUlT_SG_SH_SI_E_clIS7_S7_PlSB_EESF_SV_SG_SH_SI_EUlSV_E1_NS1_11comp_targetILNS1_3genE4ELNS1_11target_archE910ELNS1_3gpuE8ELNS1_3repE0EEENS1_36merge_oddeven_config_static_selectorELNS0_4arch9wavefront6targetE1EEEvSH_.has_dyn_sized_stack, 0
	.set _ZN7rocprim17ROCPRIM_400000_NS6detail17trampoline_kernelINS0_14default_configENS1_38merge_sort_block_merge_config_selectorIalEEZZNS1_27merge_sort_block_merge_implIS3_PaN6thrust23THRUST_200600_302600_NS10device_ptrIlEEjNS1_19radix_merge_compareILb0ELb0EaNS0_19identity_decomposerEEEEE10hipError_tT0_T1_T2_jT3_P12ihipStream_tbPNSt15iterator_traitsISG_E10value_typeEPNSM_ISH_E10value_typeEPSI_NS1_7vsmem_tEENKUlT_SG_SH_SI_E_clIS7_S7_PlSB_EESF_SV_SG_SH_SI_EUlSV_E1_NS1_11comp_targetILNS1_3genE4ELNS1_11target_archE910ELNS1_3gpuE8ELNS1_3repE0EEENS1_36merge_oddeven_config_static_selectorELNS0_4arch9wavefront6targetE1EEEvSH_.has_recursion, 0
	.set _ZN7rocprim17ROCPRIM_400000_NS6detail17trampoline_kernelINS0_14default_configENS1_38merge_sort_block_merge_config_selectorIalEEZZNS1_27merge_sort_block_merge_implIS3_PaN6thrust23THRUST_200600_302600_NS10device_ptrIlEEjNS1_19radix_merge_compareILb0ELb0EaNS0_19identity_decomposerEEEEE10hipError_tT0_T1_T2_jT3_P12ihipStream_tbPNSt15iterator_traitsISG_E10value_typeEPNSM_ISH_E10value_typeEPSI_NS1_7vsmem_tEENKUlT_SG_SH_SI_E_clIS7_S7_PlSB_EESF_SV_SG_SH_SI_EUlSV_E1_NS1_11comp_targetILNS1_3genE4ELNS1_11target_archE910ELNS1_3gpuE8ELNS1_3repE0EEENS1_36merge_oddeven_config_static_selectorELNS0_4arch9wavefront6targetE1EEEvSH_.has_indirect_call, 0
	.section	.AMDGPU.csdata,"",@progbits
; Kernel info:
; codeLenInByte = 0
; TotalNumSgprs: 4
; NumVgprs: 0
; ScratchSize: 0
; MemoryBound: 0
; FloatMode: 240
; IeeeMode: 1
; LDSByteSize: 0 bytes/workgroup (compile time only)
; SGPRBlocks: 0
; VGPRBlocks: 0
; NumSGPRsForWavesPerEU: 4
; NumVGPRsForWavesPerEU: 1
; Occupancy: 10
; WaveLimiterHint : 0
; COMPUTE_PGM_RSRC2:SCRATCH_EN: 0
; COMPUTE_PGM_RSRC2:USER_SGPR: 6
; COMPUTE_PGM_RSRC2:TRAP_HANDLER: 0
; COMPUTE_PGM_RSRC2:TGID_X_EN: 1
; COMPUTE_PGM_RSRC2:TGID_Y_EN: 0
; COMPUTE_PGM_RSRC2:TGID_Z_EN: 0
; COMPUTE_PGM_RSRC2:TIDIG_COMP_CNT: 0
	.section	.text._ZN7rocprim17ROCPRIM_400000_NS6detail17trampoline_kernelINS0_14default_configENS1_38merge_sort_block_merge_config_selectorIalEEZZNS1_27merge_sort_block_merge_implIS3_PaN6thrust23THRUST_200600_302600_NS10device_ptrIlEEjNS1_19radix_merge_compareILb0ELb0EaNS0_19identity_decomposerEEEEE10hipError_tT0_T1_T2_jT3_P12ihipStream_tbPNSt15iterator_traitsISG_E10value_typeEPNSM_ISH_E10value_typeEPSI_NS1_7vsmem_tEENKUlT_SG_SH_SI_E_clIS7_S7_PlSB_EESF_SV_SG_SH_SI_EUlSV_E1_NS1_11comp_targetILNS1_3genE3ELNS1_11target_archE908ELNS1_3gpuE7ELNS1_3repE0EEENS1_36merge_oddeven_config_static_selectorELNS0_4arch9wavefront6targetE1EEEvSH_,"axG",@progbits,_ZN7rocprim17ROCPRIM_400000_NS6detail17trampoline_kernelINS0_14default_configENS1_38merge_sort_block_merge_config_selectorIalEEZZNS1_27merge_sort_block_merge_implIS3_PaN6thrust23THRUST_200600_302600_NS10device_ptrIlEEjNS1_19radix_merge_compareILb0ELb0EaNS0_19identity_decomposerEEEEE10hipError_tT0_T1_T2_jT3_P12ihipStream_tbPNSt15iterator_traitsISG_E10value_typeEPNSM_ISH_E10value_typeEPSI_NS1_7vsmem_tEENKUlT_SG_SH_SI_E_clIS7_S7_PlSB_EESF_SV_SG_SH_SI_EUlSV_E1_NS1_11comp_targetILNS1_3genE3ELNS1_11target_archE908ELNS1_3gpuE7ELNS1_3repE0EEENS1_36merge_oddeven_config_static_selectorELNS0_4arch9wavefront6targetE1EEEvSH_,comdat
	.protected	_ZN7rocprim17ROCPRIM_400000_NS6detail17trampoline_kernelINS0_14default_configENS1_38merge_sort_block_merge_config_selectorIalEEZZNS1_27merge_sort_block_merge_implIS3_PaN6thrust23THRUST_200600_302600_NS10device_ptrIlEEjNS1_19radix_merge_compareILb0ELb0EaNS0_19identity_decomposerEEEEE10hipError_tT0_T1_T2_jT3_P12ihipStream_tbPNSt15iterator_traitsISG_E10value_typeEPNSM_ISH_E10value_typeEPSI_NS1_7vsmem_tEENKUlT_SG_SH_SI_E_clIS7_S7_PlSB_EESF_SV_SG_SH_SI_EUlSV_E1_NS1_11comp_targetILNS1_3genE3ELNS1_11target_archE908ELNS1_3gpuE7ELNS1_3repE0EEENS1_36merge_oddeven_config_static_selectorELNS0_4arch9wavefront6targetE1EEEvSH_ ; -- Begin function _ZN7rocprim17ROCPRIM_400000_NS6detail17trampoline_kernelINS0_14default_configENS1_38merge_sort_block_merge_config_selectorIalEEZZNS1_27merge_sort_block_merge_implIS3_PaN6thrust23THRUST_200600_302600_NS10device_ptrIlEEjNS1_19radix_merge_compareILb0ELb0EaNS0_19identity_decomposerEEEEE10hipError_tT0_T1_T2_jT3_P12ihipStream_tbPNSt15iterator_traitsISG_E10value_typeEPNSM_ISH_E10value_typeEPSI_NS1_7vsmem_tEENKUlT_SG_SH_SI_E_clIS7_S7_PlSB_EESF_SV_SG_SH_SI_EUlSV_E1_NS1_11comp_targetILNS1_3genE3ELNS1_11target_archE908ELNS1_3gpuE7ELNS1_3repE0EEENS1_36merge_oddeven_config_static_selectorELNS0_4arch9wavefront6targetE1EEEvSH_
	.globl	_ZN7rocprim17ROCPRIM_400000_NS6detail17trampoline_kernelINS0_14default_configENS1_38merge_sort_block_merge_config_selectorIalEEZZNS1_27merge_sort_block_merge_implIS3_PaN6thrust23THRUST_200600_302600_NS10device_ptrIlEEjNS1_19radix_merge_compareILb0ELb0EaNS0_19identity_decomposerEEEEE10hipError_tT0_T1_T2_jT3_P12ihipStream_tbPNSt15iterator_traitsISG_E10value_typeEPNSM_ISH_E10value_typeEPSI_NS1_7vsmem_tEENKUlT_SG_SH_SI_E_clIS7_S7_PlSB_EESF_SV_SG_SH_SI_EUlSV_E1_NS1_11comp_targetILNS1_3genE3ELNS1_11target_archE908ELNS1_3gpuE7ELNS1_3repE0EEENS1_36merge_oddeven_config_static_selectorELNS0_4arch9wavefront6targetE1EEEvSH_
	.p2align	8
	.type	_ZN7rocprim17ROCPRIM_400000_NS6detail17trampoline_kernelINS0_14default_configENS1_38merge_sort_block_merge_config_selectorIalEEZZNS1_27merge_sort_block_merge_implIS3_PaN6thrust23THRUST_200600_302600_NS10device_ptrIlEEjNS1_19radix_merge_compareILb0ELb0EaNS0_19identity_decomposerEEEEE10hipError_tT0_T1_T2_jT3_P12ihipStream_tbPNSt15iterator_traitsISG_E10value_typeEPNSM_ISH_E10value_typeEPSI_NS1_7vsmem_tEENKUlT_SG_SH_SI_E_clIS7_S7_PlSB_EESF_SV_SG_SH_SI_EUlSV_E1_NS1_11comp_targetILNS1_3genE3ELNS1_11target_archE908ELNS1_3gpuE7ELNS1_3repE0EEENS1_36merge_oddeven_config_static_selectorELNS0_4arch9wavefront6targetE1EEEvSH_,@function
_ZN7rocprim17ROCPRIM_400000_NS6detail17trampoline_kernelINS0_14default_configENS1_38merge_sort_block_merge_config_selectorIalEEZZNS1_27merge_sort_block_merge_implIS3_PaN6thrust23THRUST_200600_302600_NS10device_ptrIlEEjNS1_19radix_merge_compareILb0ELb0EaNS0_19identity_decomposerEEEEE10hipError_tT0_T1_T2_jT3_P12ihipStream_tbPNSt15iterator_traitsISG_E10value_typeEPNSM_ISH_E10value_typeEPSI_NS1_7vsmem_tEENKUlT_SG_SH_SI_E_clIS7_S7_PlSB_EESF_SV_SG_SH_SI_EUlSV_E1_NS1_11comp_targetILNS1_3genE3ELNS1_11target_archE908ELNS1_3gpuE7ELNS1_3repE0EEENS1_36merge_oddeven_config_static_selectorELNS0_4arch9wavefront6targetE1EEEvSH_: ; @_ZN7rocprim17ROCPRIM_400000_NS6detail17trampoline_kernelINS0_14default_configENS1_38merge_sort_block_merge_config_selectorIalEEZZNS1_27merge_sort_block_merge_implIS3_PaN6thrust23THRUST_200600_302600_NS10device_ptrIlEEjNS1_19radix_merge_compareILb0ELb0EaNS0_19identity_decomposerEEEEE10hipError_tT0_T1_T2_jT3_P12ihipStream_tbPNSt15iterator_traitsISG_E10value_typeEPNSM_ISH_E10value_typeEPSI_NS1_7vsmem_tEENKUlT_SG_SH_SI_E_clIS7_S7_PlSB_EESF_SV_SG_SH_SI_EUlSV_E1_NS1_11comp_targetILNS1_3genE3ELNS1_11target_archE908ELNS1_3gpuE7ELNS1_3repE0EEENS1_36merge_oddeven_config_static_selectorELNS0_4arch9wavefront6targetE1EEEvSH_
; %bb.0:
	.section	.rodata,"a",@progbits
	.p2align	6, 0x0
	.amdhsa_kernel _ZN7rocprim17ROCPRIM_400000_NS6detail17trampoline_kernelINS0_14default_configENS1_38merge_sort_block_merge_config_selectorIalEEZZNS1_27merge_sort_block_merge_implIS3_PaN6thrust23THRUST_200600_302600_NS10device_ptrIlEEjNS1_19radix_merge_compareILb0ELb0EaNS0_19identity_decomposerEEEEE10hipError_tT0_T1_T2_jT3_P12ihipStream_tbPNSt15iterator_traitsISG_E10value_typeEPNSM_ISH_E10value_typeEPSI_NS1_7vsmem_tEENKUlT_SG_SH_SI_E_clIS7_S7_PlSB_EESF_SV_SG_SH_SI_EUlSV_E1_NS1_11comp_targetILNS1_3genE3ELNS1_11target_archE908ELNS1_3gpuE7ELNS1_3repE0EEENS1_36merge_oddeven_config_static_selectorELNS0_4arch9wavefront6targetE1EEEvSH_
		.amdhsa_group_segment_fixed_size 0
		.amdhsa_private_segment_fixed_size 0
		.amdhsa_kernarg_size 48
		.amdhsa_user_sgpr_count 6
		.amdhsa_user_sgpr_private_segment_buffer 1
		.amdhsa_user_sgpr_dispatch_ptr 0
		.amdhsa_user_sgpr_queue_ptr 0
		.amdhsa_user_sgpr_kernarg_segment_ptr 1
		.amdhsa_user_sgpr_dispatch_id 0
		.amdhsa_user_sgpr_flat_scratch_init 0
		.amdhsa_user_sgpr_private_segment_size 0
		.amdhsa_uses_dynamic_stack 0
		.amdhsa_system_sgpr_private_segment_wavefront_offset 0
		.amdhsa_system_sgpr_workgroup_id_x 1
		.amdhsa_system_sgpr_workgroup_id_y 0
		.amdhsa_system_sgpr_workgroup_id_z 0
		.amdhsa_system_sgpr_workgroup_info 0
		.amdhsa_system_vgpr_workitem_id 0
		.amdhsa_next_free_vgpr 1
		.amdhsa_next_free_sgpr 0
		.amdhsa_reserve_vcc 0
		.amdhsa_reserve_flat_scratch 0
		.amdhsa_float_round_mode_32 0
		.amdhsa_float_round_mode_16_64 0
		.amdhsa_float_denorm_mode_32 3
		.amdhsa_float_denorm_mode_16_64 3
		.amdhsa_dx10_clamp 1
		.amdhsa_ieee_mode 1
		.amdhsa_fp16_overflow 0
		.amdhsa_exception_fp_ieee_invalid_op 0
		.amdhsa_exception_fp_denorm_src 0
		.amdhsa_exception_fp_ieee_div_zero 0
		.amdhsa_exception_fp_ieee_overflow 0
		.amdhsa_exception_fp_ieee_underflow 0
		.amdhsa_exception_fp_ieee_inexact 0
		.amdhsa_exception_int_div_zero 0
	.end_amdhsa_kernel
	.section	.text._ZN7rocprim17ROCPRIM_400000_NS6detail17trampoline_kernelINS0_14default_configENS1_38merge_sort_block_merge_config_selectorIalEEZZNS1_27merge_sort_block_merge_implIS3_PaN6thrust23THRUST_200600_302600_NS10device_ptrIlEEjNS1_19radix_merge_compareILb0ELb0EaNS0_19identity_decomposerEEEEE10hipError_tT0_T1_T2_jT3_P12ihipStream_tbPNSt15iterator_traitsISG_E10value_typeEPNSM_ISH_E10value_typeEPSI_NS1_7vsmem_tEENKUlT_SG_SH_SI_E_clIS7_S7_PlSB_EESF_SV_SG_SH_SI_EUlSV_E1_NS1_11comp_targetILNS1_3genE3ELNS1_11target_archE908ELNS1_3gpuE7ELNS1_3repE0EEENS1_36merge_oddeven_config_static_selectorELNS0_4arch9wavefront6targetE1EEEvSH_,"axG",@progbits,_ZN7rocprim17ROCPRIM_400000_NS6detail17trampoline_kernelINS0_14default_configENS1_38merge_sort_block_merge_config_selectorIalEEZZNS1_27merge_sort_block_merge_implIS3_PaN6thrust23THRUST_200600_302600_NS10device_ptrIlEEjNS1_19radix_merge_compareILb0ELb0EaNS0_19identity_decomposerEEEEE10hipError_tT0_T1_T2_jT3_P12ihipStream_tbPNSt15iterator_traitsISG_E10value_typeEPNSM_ISH_E10value_typeEPSI_NS1_7vsmem_tEENKUlT_SG_SH_SI_E_clIS7_S7_PlSB_EESF_SV_SG_SH_SI_EUlSV_E1_NS1_11comp_targetILNS1_3genE3ELNS1_11target_archE908ELNS1_3gpuE7ELNS1_3repE0EEENS1_36merge_oddeven_config_static_selectorELNS0_4arch9wavefront6targetE1EEEvSH_,comdat
.Lfunc_end498:
	.size	_ZN7rocprim17ROCPRIM_400000_NS6detail17trampoline_kernelINS0_14default_configENS1_38merge_sort_block_merge_config_selectorIalEEZZNS1_27merge_sort_block_merge_implIS3_PaN6thrust23THRUST_200600_302600_NS10device_ptrIlEEjNS1_19radix_merge_compareILb0ELb0EaNS0_19identity_decomposerEEEEE10hipError_tT0_T1_T2_jT3_P12ihipStream_tbPNSt15iterator_traitsISG_E10value_typeEPNSM_ISH_E10value_typeEPSI_NS1_7vsmem_tEENKUlT_SG_SH_SI_E_clIS7_S7_PlSB_EESF_SV_SG_SH_SI_EUlSV_E1_NS1_11comp_targetILNS1_3genE3ELNS1_11target_archE908ELNS1_3gpuE7ELNS1_3repE0EEENS1_36merge_oddeven_config_static_selectorELNS0_4arch9wavefront6targetE1EEEvSH_, .Lfunc_end498-_ZN7rocprim17ROCPRIM_400000_NS6detail17trampoline_kernelINS0_14default_configENS1_38merge_sort_block_merge_config_selectorIalEEZZNS1_27merge_sort_block_merge_implIS3_PaN6thrust23THRUST_200600_302600_NS10device_ptrIlEEjNS1_19radix_merge_compareILb0ELb0EaNS0_19identity_decomposerEEEEE10hipError_tT0_T1_T2_jT3_P12ihipStream_tbPNSt15iterator_traitsISG_E10value_typeEPNSM_ISH_E10value_typeEPSI_NS1_7vsmem_tEENKUlT_SG_SH_SI_E_clIS7_S7_PlSB_EESF_SV_SG_SH_SI_EUlSV_E1_NS1_11comp_targetILNS1_3genE3ELNS1_11target_archE908ELNS1_3gpuE7ELNS1_3repE0EEENS1_36merge_oddeven_config_static_selectorELNS0_4arch9wavefront6targetE1EEEvSH_
                                        ; -- End function
	.set _ZN7rocprim17ROCPRIM_400000_NS6detail17trampoline_kernelINS0_14default_configENS1_38merge_sort_block_merge_config_selectorIalEEZZNS1_27merge_sort_block_merge_implIS3_PaN6thrust23THRUST_200600_302600_NS10device_ptrIlEEjNS1_19radix_merge_compareILb0ELb0EaNS0_19identity_decomposerEEEEE10hipError_tT0_T1_T2_jT3_P12ihipStream_tbPNSt15iterator_traitsISG_E10value_typeEPNSM_ISH_E10value_typeEPSI_NS1_7vsmem_tEENKUlT_SG_SH_SI_E_clIS7_S7_PlSB_EESF_SV_SG_SH_SI_EUlSV_E1_NS1_11comp_targetILNS1_3genE3ELNS1_11target_archE908ELNS1_3gpuE7ELNS1_3repE0EEENS1_36merge_oddeven_config_static_selectorELNS0_4arch9wavefront6targetE1EEEvSH_.num_vgpr, 0
	.set _ZN7rocprim17ROCPRIM_400000_NS6detail17trampoline_kernelINS0_14default_configENS1_38merge_sort_block_merge_config_selectorIalEEZZNS1_27merge_sort_block_merge_implIS3_PaN6thrust23THRUST_200600_302600_NS10device_ptrIlEEjNS1_19radix_merge_compareILb0ELb0EaNS0_19identity_decomposerEEEEE10hipError_tT0_T1_T2_jT3_P12ihipStream_tbPNSt15iterator_traitsISG_E10value_typeEPNSM_ISH_E10value_typeEPSI_NS1_7vsmem_tEENKUlT_SG_SH_SI_E_clIS7_S7_PlSB_EESF_SV_SG_SH_SI_EUlSV_E1_NS1_11comp_targetILNS1_3genE3ELNS1_11target_archE908ELNS1_3gpuE7ELNS1_3repE0EEENS1_36merge_oddeven_config_static_selectorELNS0_4arch9wavefront6targetE1EEEvSH_.num_agpr, 0
	.set _ZN7rocprim17ROCPRIM_400000_NS6detail17trampoline_kernelINS0_14default_configENS1_38merge_sort_block_merge_config_selectorIalEEZZNS1_27merge_sort_block_merge_implIS3_PaN6thrust23THRUST_200600_302600_NS10device_ptrIlEEjNS1_19radix_merge_compareILb0ELb0EaNS0_19identity_decomposerEEEEE10hipError_tT0_T1_T2_jT3_P12ihipStream_tbPNSt15iterator_traitsISG_E10value_typeEPNSM_ISH_E10value_typeEPSI_NS1_7vsmem_tEENKUlT_SG_SH_SI_E_clIS7_S7_PlSB_EESF_SV_SG_SH_SI_EUlSV_E1_NS1_11comp_targetILNS1_3genE3ELNS1_11target_archE908ELNS1_3gpuE7ELNS1_3repE0EEENS1_36merge_oddeven_config_static_selectorELNS0_4arch9wavefront6targetE1EEEvSH_.numbered_sgpr, 0
	.set _ZN7rocprim17ROCPRIM_400000_NS6detail17trampoline_kernelINS0_14default_configENS1_38merge_sort_block_merge_config_selectorIalEEZZNS1_27merge_sort_block_merge_implIS3_PaN6thrust23THRUST_200600_302600_NS10device_ptrIlEEjNS1_19radix_merge_compareILb0ELb0EaNS0_19identity_decomposerEEEEE10hipError_tT0_T1_T2_jT3_P12ihipStream_tbPNSt15iterator_traitsISG_E10value_typeEPNSM_ISH_E10value_typeEPSI_NS1_7vsmem_tEENKUlT_SG_SH_SI_E_clIS7_S7_PlSB_EESF_SV_SG_SH_SI_EUlSV_E1_NS1_11comp_targetILNS1_3genE3ELNS1_11target_archE908ELNS1_3gpuE7ELNS1_3repE0EEENS1_36merge_oddeven_config_static_selectorELNS0_4arch9wavefront6targetE1EEEvSH_.num_named_barrier, 0
	.set _ZN7rocprim17ROCPRIM_400000_NS6detail17trampoline_kernelINS0_14default_configENS1_38merge_sort_block_merge_config_selectorIalEEZZNS1_27merge_sort_block_merge_implIS3_PaN6thrust23THRUST_200600_302600_NS10device_ptrIlEEjNS1_19radix_merge_compareILb0ELb0EaNS0_19identity_decomposerEEEEE10hipError_tT0_T1_T2_jT3_P12ihipStream_tbPNSt15iterator_traitsISG_E10value_typeEPNSM_ISH_E10value_typeEPSI_NS1_7vsmem_tEENKUlT_SG_SH_SI_E_clIS7_S7_PlSB_EESF_SV_SG_SH_SI_EUlSV_E1_NS1_11comp_targetILNS1_3genE3ELNS1_11target_archE908ELNS1_3gpuE7ELNS1_3repE0EEENS1_36merge_oddeven_config_static_selectorELNS0_4arch9wavefront6targetE1EEEvSH_.private_seg_size, 0
	.set _ZN7rocprim17ROCPRIM_400000_NS6detail17trampoline_kernelINS0_14default_configENS1_38merge_sort_block_merge_config_selectorIalEEZZNS1_27merge_sort_block_merge_implIS3_PaN6thrust23THRUST_200600_302600_NS10device_ptrIlEEjNS1_19radix_merge_compareILb0ELb0EaNS0_19identity_decomposerEEEEE10hipError_tT0_T1_T2_jT3_P12ihipStream_tbPNSt15iterator_traitsISG_E10value_typeEPNSM_ISH_E10value_typeEPSI_NS1_7vsmem_tEENKUlT_SG_SH_SI_E_clIS7_S7_PlSB_EESF_SV_SG_SH_SI_EUlSV_E1_NS1_11comp_targetILNS1_3genE3ELNS1_11target_archE908ELNS1_3gpuE7ELNS1_3repE0EEENS1_36merge_oddeven_config_static_selectorELNS0_4arch9wavefront6targetE1EEEvSH_.uses_vcc, 0
	.set _ZN7rocprim17ROCPRIM_400000_NS6detail17trampoline_kernelINS0_14default_configENS1_38merge_sort_block_merge_config_selectorIalEEZZNS1_27merge_sort_block_merge_implIS3_PaN6thrust23THRUST_200600_302600_NS10device_ptrIlEEjNS1_19radix_merge_compareILb0ELb0EaNS0_19identity_decomposerEEEEE10hipError_tT0_T1_T2_jT3_P12ihipStream_tbPNSt15iterator_traitsISG_E10value_typeEPNSM_ISH_E10value_typeEPSI_NS1_7vsmem_tEENKUlT_SG_SH_SI_E_clIS7_S7_PlSB_EESF_SV_SG_SH_SI_EUlSV_E1_NS1_11comp_targetILNS1_3genE3ELNS1_11target_archE908ELNS1_3gpuE7ELNS1_3repE0EEENS1_36merge_oddeven_config_static_selectorELNS0_4arch9wavefront6targetE1EEEvSH_.uses_flat_scratch, 0
	.set _ZN7rocprim17ROCPRIM_400000_NS6detail17trampoline_kernelINS0_14default_configENS1_38merge_sort_block_merge_config_selectorIalEEZZNS1_27merge_sort_block_merge_implIS3_PaN6thrust23THRUST_200600_302600_NS10device_ptrIlEEjNS1_19radix_merge_compareILb0ELb0EaNS0_19identity_decomposerEEEEE10hipError_tT0_T1_T2_jT3_P12ihipStream_tbPNSt15iterator_traitsISG_E10value_typeEPNSM_ISH_E10value_typeEPSI_NS1_7vsmem_tEENKUlT_SG_SH_SI_E_clIS7_S7_PlSB_EESF_SV_SG_SH_SI_EUlSV_E1_NS1_11comp_targetILNS1_3genE3ELNS1_11target_archE908ELNS1_3gpuE7ELNS1_3repE0EEENS1_36merge_oddeven_config_static_selectorELNS0_4arch9wavefront6targetE1EEEvSH_.has_dyn_sized_stack, 0
	.set _ZN7rocprim17ROCPRIM_400000_NS6detail17trampoline_kernelINS0_14default_configENS1_38merge_sort_block_merge_config_selectorIalEEZZNS1_27merge_sort_block_merge_implIS3_PaN6thrust23THRUST_200600_302600_NS10device_ptrIlEEjNS1_19radix_merge_compareILb0ELb0EaNS0_19identity_decomposerEEEEE10hipError_tT0_T1_T2_jT3_P12ihipStream_tbPNSt15iterator_traitsISG_E10value_typeEPNSM_ISH_E10value_typeEPSI_NS1_7vsmem_tEENKUlT_SG_SH_SI_E_clIS7_S7_PlSB_EESF_SV_SG_SH_SI_EUlSV_E1_NS1_11comp_targetILNS1_3genE3ELNS1_11target_archE908ELNS1_3gpuE7ELNS1_3repE0EEENS1_36merge_oddeven_config_static_selectorELNS0_4arch9wavefront6targetE1EEEvSH_.has_recursion, 0
	.set _ZN7rocprim17ROCPRIM_400000_NS6detail17trampoline_kernelINS0_14default_configENS1_38merge_sort_block_merge_config_selectorIalEEZZNS1_27merge_sort_block_merge_implIS3_PaN6thrust23THRUST_200600_302600_NS10device_ptrIlEEjNS1_19radix_merge_compareILb0ELb0EaNS0_19identity_decomposerEEEEE10hipError_tT0_T1_T2_jT3_P12ihipStream_tbPNSt15iterator_traitsISG_E10value_typeEPNSM_ISH_E10value_typeEPSI_NS1_7vsmem_tEENKUlT_SG_SH_SI_E_clIS7_S7_PlSB_EESF_SV_SG_SH_SI_EUlSV_E1_NS1_11comp_targetILNS1_3genE3ELNS1_11target_archE908ELNS1_3gpuE7ELNS1_3repE0EEENS1_36merge_oddeven_config_static_selectorELNS0_4arch9wavefront6targetE1EEEvSH_.has_indirect_call, 0
	.section	.AMDGPU.csdata,"",@progbits
; Kernel info:
; codeLenInByte = 0
; TotalNumSgprs: 4
; NumVgprs: 0
; ScratchSize: 0
; MemoryBound: 0
; FloatMode: 240
; IeeeMode: 1
; LDSByteSize: 0 bytes/workgroup (compile time only)
; SGPRBlocks: 0
; VGPRBlocks: 0
; NumSGPRsForWavesPerEU: 4
; NumVGPRsForWavesPerEU: 1
; Occupancy: 10
; WaveLimiterHint : 0
; COMPUTE_PGM_RSRC2:SCRATCH_EN: 0
; COMPUTE_PGM_RSRC2:USER_SGPR: 6
; COMPUTE_PGM_RSRC2:TRAP_HANDLER: 0
; COMPUTE_PGM_RSRC2:TGID_X_EN: 1
; COMPUTE_PGM_RSRC2:TGID_Y_EN: 0
; COMPUTE_PGM_RSRC2:TGID_Z_EN: 0
; COMPUTE_PGM_RSRC2:TIDIG_COMP_CNT: 0
	.section	.text._ZN7rocprim17ROCPRIM_400000_NS6detail17trampoline_kernelINS0_14default_configENS1_38merge_sort_block_merge_config_selectorIalEEZZNS1_27merge_sort_block_merge_implIS3_PaN6thrust23THRUST_200600_302600_NS10device_ptrIlEEjNS1_19radix_merge_compareILb0ELb0EaNS0_19identity_decomposerEEEEE10hipError_tT0_T1_T2_jT3_P12ihipStream_tbPNSt15iterator_traitsISG_E10value_typeEPNSM_ISH_E10value_typeEPSI_NS1_7vsmem_tEENKUlT_SG_SH_SI_E_clIS7_S7_PlSB_EESF_SV_SG_SH_SI_EUlSV_E1_NS1_11comp_targetILNS1_3genE2ELNS1_11target_archE906ELNS1_3gpuE6ELNS1_3repE0EEENS1_36merge_oddeven_config_static_selectorELNS0_4arch9wavefront6targetE1EEEvSH_,"axG",@progbits,_ZN7rocprim17ROCPRIM_400000_NS6detail17trampoline_kernelINS0_14default_configENS1_38merge_sort_block_merge_config_selectorIalEEZZNS1_27merge_sort_block_merge_implIS3_PaN6thrust23THRUST_200600_302600_NS10device_ptrIlEEjNS1_19radix_merge_compareILb0ELb0EaNS0_19identity_decomposerEEEEE10hipError_tT0_T1_T2_jT3_P12ihipStream_tbPNSt15iterator_traitsISG_E10value_typeEPNSM_ISH_E10value_typeEPSI_NS1_7vsmem_tEENKUlT_SG_SH_SI_E_clIS7_S7_PlSB_EESF_SV_SG_SH_SI_EUlSV_E1_NS1_11comp_targetILNS1_3genE2ELNS1_11target_archE906ELNS1_3gpuE6ELNS1_3repE0EEENS1_36merge_oddeven_config_static_selectorELNS0_4arch9wavefront6targetE1EEEvSH_,comdat
	.protected	_ZN7rocprim17ROCPRIM_400000_NS6detail17trampoline_kernelINS0_14default_configENS1_38merge_sort_block_merge_config_selectorIalEEZZNS1_27merge_sort_block_merge_implIS3_PaN6thrust23THRUST_200600_302600_NS10device_ptrIlEEjNS1_19radix_merge_compareILb0ELb0EaNS0_19identity_decomposerEEEEE10hipError_tT0_T1_T2_jT3_P12ihipStream_tbPNSt15iterator_traitsISG_E10value_typeEPNSM_ISH_E10value_typeEPSI_NS1_7vsmem_tEENKUlT_SG_SH_SI_E_clIS7_S7_PlSB_EESF_SV_SG_SH_SI_EUlSV_E1_NS1_11comp_targetILNS1_3genE2ELNS1_11target_archE906ELNS1_3gpuE6ELNS1_3repE0EEENS1_36merge_oddeven_config_static_selectorELNS0_4arch9wavefront6targetE1EEEvSH_ ; -- Begin function _ZN7rocprim17ROCPRIM_400000_NS6detail17trampoline_kernelINS0_14default_configENS1_38merge_sort_block_merge_config_selectorIalEEZZNS1_27merge_sort_block_merge_implIS3_PaN6thrust23THRUST_200600_302600_NS10device_ptrIlEEjNS1_19radix_merge_compareILb0ELb0EaNS0_19identity_decomposerEEEEE10hipError_tT0_T1_T2_jT3_P12ihipStream_tbPNSt15iterator_traitsISG_E10value_typeEPNSM_ISH_E10value_typeEPSI_NS1_7vsmem_tEENKUlT_SG_SH_SI_E_clIS7_S7_PlSB_EESF_SV_SG_SH_SI_EUlSV_E1_NS1_11comp_targetILNS1_3genE2ELNS1_11target_archE906ELNS1_3gpuE6ELNS1_3repE0EEENS1_36merge_oddeven_config_static_selectorELNS0_4arch9wavefront6targetE1EEEvSH_
	.globl	_ZN7rocprim17ROCPRIM_400000_NS6detail17trampoline_kernelINS0_14default_configENS1_38merge_sort_block_merge_config_selectorIalEEZZNS1_27merge_sort_block_merge_implIS3_PaN6thrust23THRUST_200600_302600_NS10device_ptrIlEEjNS1_19radix_merge_compareILb0ELb0EaNS0_19identity_decomposerEEEEE10hipError_tT0_T1_T2_jT3_P12ihipStream_tbPNSt15iterator_traitsISG_E10value_typeEPNSM_ISH_E10value_typeEPSI_NS1_7vsmem_tEENKUlT_SG_SH_SI_E_clIS7_S7_PlSB_EESF_SV_SG_SH_SI_EUlSV_E1_NS1_11comp_targetILNS1_3genE2ELNS1_11target_archE906ELNS1_3gpuE6ELNS1_3repE0EEENS1_36merge_oddeven_config_static_selectorELNS0_4arch9wavefront6targetE1EEEvSH_
	.p2align	8
	.type	_ZN7rocprim17ROCPRIM_400000_NS6detail17trampoline_kernelINS0_14default_configENS1_38merge_sort_block_merge_config_selectorIalEEZZNS1_27merge_sort_block_merge_implIS3_PaN6thrust23THRUST_200600_302600_NS10device_ptrIlEEjNS1_19radix_merge_compareILb0ELb0EaNS0_19identity_decomposerEEEEE10hipError_tT0_T1_T2_jT3_P12ihipStream_tbPNSt15iterator_traitsISG_E10value_typeEPNSM_ISH_E10value_typeEPSI_NS1_7vsmem_tEENKUlT_SG_SH_SI_E_clIS7_S7_PlSB_EESF_SV_SG_SH_SI_EUlSV_E1_NS1_11comp_targetILNS1_3genE2ELNS1_11target_archE906ELNS1_3gpuE6ELNS1_3repE0EEENS1_36merge_oddeven_config_static_selectorELNS0_4arch9wavefront6targetE1EEEvSH_,@function
_ZN7rocprim17ROCPRIM_400000_NS6detail17trampoline_kernelINS0_14default_configENS1_38merge_sort_block_merge_config_selectorIalEEZZNS1_27merge_sort_block_merge_implIS3_PaN6thrust23THRUST_200600_302600_NS10device_ptrIlEEjNS1_19radix_merge_compareILb0ELb0EaNS0_19identity_decomposerEEEEE10hipError_tT0_T1_T2_jT3_P12ihipStream_tbPNSt15iterator_traitsISG_E10value_typeEPNSM_ISH_E10value_typeEPSI_NS1_7vsmem_tEENKUlT_SG_SH_SI_E_clIS7_S7_PlSB_EESF_SV_SG_SH_SI_EUlSV_E1_NS1_11comp_targetILNS1_3genE2ELNS1_11target_archE906ELNS1_3gpuE6ELNS1_3repE0EEENS1_36merge_oddeven_config_static_selectorELNS0_4arch9wavefront6targetE1EEEvSH_: ; @_ZN7rocprim17ROCPRIM_400000_NS6detail17trampoline_kernelINS0_14default_configENS1_38merge_sort_block_merge_config_selectorIalEEZZNS1_27merge_sort_block_merge_implIS3_PaN6thrust23THRUST_200600_302600_NS10device_ptrIlEEjNS1_19radix_merge_compareILb0ELb0EaNS0_19identity_decomposerEEEEE10hipError_tT0_T1_T2_jT3_P12ihipStream_tbPNSt15iterator_traitsISG_E10value_typeEPNSM_ISH_E10value_typeEPSI_NS1_7vsmem_tEENKUlT_SG_SH_SI_E_clIS7_S7_PlSB_EESF_SV_SG_SH_SI_EUlSV_E1_NS1_11comp_targetILNS1_3genE2ELNS1_11target_archE906ELNS1_3gpuE6ELNS1_3repE0EEENS1_36merge_oddeven_config_static_selectorELNS0_4arch9wavefront6targetE1EEEvSH_
; %bb.0:
	s_load_dword s7, s[4:5], 0x20
	s_waitcnt lgkmcnt(0)
	s_lshr_b32 s0, s7, 8
	s_cmp_eq_u32 s6, s0
	s_cselect_b64 s[16:17], -1, 0
	s_cmp_lg_u32 s6, s0
	s_cselect_b64 s[0:1], -1, 0
	s_lshl_b32 s18, s6, 8
	s_sub_i32 s2, s7, s18
	v_cmp_gt_u32_e64 s[2:3], s2, v0
	s_or_b64 s[0:1], s[0:1], s[2:3]
	s_and_saveexec_b64 s[8:9], s[0:1]
	s_cbranch_execz .LBB499_24
; %bb.1:
	s_load_dwordx8 s[8:15], s[4:5], 0x0
	s_mov_b32 s19, 0
	v_lshlrev_b32_e32 v3, 3, v0
	s_waitcnt lgkmcnt(0)
	s_add_u32 s0, s8, s18
	s_addc_u32 s1, s9, 0
	s_lshl_b64 s[20:21], s[18:19], 3
	s_add_u32 s12, s12, s20
	s_addc_u32 s13, s13, s21
	global_load_dwordx2 v[1:2], v3, s[12:13]
	global_load_sbyte v5, v0, s[0:1]
	s_load_dword s13, s[4:5], 0x24
	v_add_u32_e32 v3, s18, v0
	s_waitcnt lgkmcnt(0)
	s_lshr_b32 s0, s13, 8
	s_sub_i32 s1, 0, s0
	s_and_b32 s1, s6, s1
	s_and_b32 s0, s1, s0
	s_lshl_b32 s19, s1, 8
	s_sub_i32 s6, 0, s13
	s_cmp_eq_u32 s0, 0
	s_cselect_b64 s[0:1], -1, 0
	s_and_b64 s[4:5], s[0:1], exec
	s_cselect_b32 s6, s13, s6
	s_add_i32 s6, s6, s19
	s_mov_b64 s[4:5], -1
	s_cmp_gt_u32 s7, s6
	s_cbranch_scc1 .LBB499_9
; %bb.2:
	s_and_b64 vcc, exec, s[16:17]
	s_cbranch_vccz .LBB499_6
; %bb.3:
	v_cmp_gt_u32_e32 vcc, s7, v3
	s_and_saveexec_b64 s[4:5], vcc
	s_cbranch_execz .LBB499_5
; %bb.4:
	v_mov_b32_e32 v4, 0
	v_lshlrev_b64 v[6:7], 3, v[3:4]
	v_mov_b32_e32 v0, s15
	v_add_co_u32_e32 v6, vcc, s14, v6
	v_addc_co_u32_e32 v7, vcc, v0, v7, vcc
	s_waitcnt vmcnt(0)
	global_store_byte v3, v5, s[10:11]
	global_store_dwordx2 v[6:7], v[1:2], off
.LBB499_5:
	s_or_b64 exec, exec, s[4:5]
	s_mov_b64 s[4:5], 0
.LBB499_6:
	s_andn2_b64 vcc, exec, s[4:5]
	s_cbranch_vccnz .LBB499_8
; %bb.7:
	v_mov_b32_e32 v4, 0
	v_lshlrev_b64 v[6:7], 3, v[3:4]
	v_mov_b32_e32 v0, s15
	v_add_co_u32_e32 v6, vcc, s14, v6
	v_addc_co_u32_e32 v7, vcc, v0, v7, vcc
	s_waitcnt vmcnt(0)
	global_store_byte v3, v5, s[10:11]
	global_store_dwordx2 v[6:7], v[1:2], off
.LBB499_8:
	s_mov_b64 s[4:5], 0
.LBB499_9:
	s_andn2_b64 vcc, exec, s[4:5]
	s_cbranch_vccnz .LBB499_24
; %bb.10:
	s_min_u32 s12, s6, s7
	s_add_i32 s4, s12, s13
	s_min_u32 s7, s4, s7
	s_min_u32 s4, s19, s12
	s_add_i32 s19, s19, s12
	v_subrev_u32_e32 v0, s19, v3
	v_add_u32_e32 v0, s4, v0
	s_andn2_b64 vcc, exec, s[16:17]
	s_mov_b64 s[4:5], -1
	s_cbranch_vccnz .LBB499_18
; %bb.11:
	s_and_saveexec_b64 s[4:5], s[2:3]
	s_cbranch_execz .LBB499_17
; %bb.12:
	s_cmp_ge_u32 s6, s7
	v_mov_b32_e32 v3, s12
	s_cbranch_scc1 .LBB499_16
; %bb.13:
	s_mov_b64 s[2:3], 0
	v_mov_b32_e32 v4, s7
	v_mov_b32_e32 v3, s12
.LBB499_14:                             ; =>This Inner Loop Header: Depth=1
	v_add_u32_e32 v6, v3, v4
	v_lshrrev_b32_e32 v6, 1, v6
	global_load_sbyte v7, v6, s[8:9]
	v_add_u32_e32 v8, 1, v6
	s_waitcnt vmcnt(0)
	v_cmp_gt_i16_e32 vcc, v5, v7
	v_cndmask_b32_e64 v9, 0, 1, vcc
	v_cmp_le_i16_e32 vcc, v7, v5
	v_cndmask_b32_e64 v7, 0, 1, vcc
	v_cndmask_b32_e64 v7, v7, v9, s[0:1]
	v_and_b32_e32 v7, 1, v7
	v_cmp_eq_u32_e32 vcc, 1, v7
	v_cndmask_b32_e32 v4, v6, v4, vcc
	v_cndmask_b32_e32 v3, v3, v8, vcc
	v_cmp_ge_u32_e32 vcc, v3, v4
	s_or_b64 s[2:3], vcc, s[2:3]
	s_andn2_b64 exec, exec, s[2:3]
	s_cbranch_execnz .LBB499_14
; %bb.15:
	s_or_b64 exec, exec, s[2:3]
.LBB499_16:
	v_add_u32_e32 v3, v3, v0
	v_mov_b32_e32 v4, 0
	s_waitcnt vmcnt(0)
	global_store_byte v3, v5, s[10:11]
	v_lshlrev_b64 v[3:4], 3, v[3:4]
	v_mov_b32_e32 v6, s15
	v_add_co_u32_e32 v3, vcc, s14, v3
	v_addc_co_u32_e32 v4, vcc, v6, v4, vcc
	global_store_dwordx2 v[3:4], v[1:2], off
.LBB499_17:
	s_or_b64 exec, exec, s[4:5]
	s_mov_b64 s[4:5], 0
.LBB499_18:
	s_andn2_b64 vcc, exec, s[4:5]
	s_cbranch_vccnz .LBB499_24
; %bb.19:
	s_cmp_ge_u32 s6, s7
	v_mov_b32_e32 v3, s12
	s_cbranch_scc1 .LBB499_23
; %bb.20:
	s_mov_b64 s[2:3], 0
	v_mov_b32_e32 v4, s7
	v_mov_b32_e32 v3, s12
.LBB499_21:                             ; =>This Inner Loop Header: Depth=1
	v_add_u32_e32 v6, v3, v4
	v_lshrrev_b32_e32 v6, 1, v6
	global_load_sbyte v7, v6, s[8:9]
	v_add_u32_e32 v8, 1, v6
	s_waitcnt vmcnt(0)
	v_cmp_gt_i16_e32 vcc, v5, v7
	v_cndmask_b32_e64 v9, 0, 1, vcc
	v_cmp_le_i16_e32 vcc, v7, v5
	v_cndmask_b32_e64 v7, 0, 1, vcc
	v_cndmask_b32_e64 v7, v7, v9, s[0:1]
	v_and_b32_e32 v7, 1, v7
	v_cmp_eq_u32_e32 vcc, 1, v7
	v_cndmask_b32_e32 v4, v6, v4, vcc
	v_cndmask_b32_e32 v3, v3, v8, vcc
	v_cmp_ge_u32_e32 vcc, v3, v4
	s_or_b64 s[2:3], vcc, s[2:3]
	s_andn2_b64 exec, exec, s[2:3]
	s_cbranch_execnz .LBB499_21
; %bb.22:
	s_or_b64 exec, exec, s[2:3]
.LBB499_23:
	v_add_u32_e32 v3, v3, v0
	v_mov_b32_e32 v4, 0
	s_waitcnt vmcnt(0)
	global_store_byte v3, v5, s[10:11]
	v_lshlrev_b64 v[3:4], 3, v[3:4]
	v_mov_b32_e32 v0, s15
	v_add_co_u32_e32 v3, vcc, s14, v3
	v_addc_co_u32_e32 v4, vcc, v0, v4, vcc
	global_store_dwordx2 v[3:4], v[1:2], off
.LBB499_24:
	s_endpgm
	.section	.rodata,"a",@progbits
	.p2align	6, 0x0
	.amdhsa_kernel _ZN7rocprim17ROCPRIM_400000_NS6detail17trampoline_kernelINS0_14default_configENS1_38merge_sort_block_merge_config_selectorIalEEZZNS1_27merge_sort_block_merge_implIS3_PaN6thrust23THRUST_200600_302600_NS10device_ptrIlEEjNS1_19radix_merge_compareILb0ELb0EaNS0_19identity_decomposerEEEEE10hipError_tT0_T1_T2_jT3_P12ihipStream_tbPNSt15iterator_traitsISG_E10value_typeEPNSM_ISH_E10value_typeEPSI_NS1_7vsmem_tEENKUlT_SG_SH_SI_E_clIS7_S7_PlSB_EESF_SV_SG_SH_SI_EUlSV_E1_NS1_11comp_targetILNS1_3genE2ELNS1_11target_archE906ELNS1_3gpuE6ELNS1_3repE0EEENS1_36merge_oddeven_config_static_selectorELNS0_4arch9wavefront6targetE1EEEvSH_
		.amdhsa_group_segment_fixed_size 0
		.amdhsa_private_segment_fixed_size 0
		.amdhsa_kernarg_size 48
		.amdhsa_user_sgpr_count 6
		.amdhsa_user_sgpr_private_segment_buffer 1
		.amdhsa_user_sgpr_dispatch_ptr 0
		.amdhsa_user_sgpr_queue_ptr 0
		.amdhsa_user_sgpr_kernarg_segment_ptr 1
		.amdhsa_user_sgpr_dispatch_id 0
		.amdhsa_user_sgpr_flat_scratch_init 0
		.amdhsa_user_sgpr_private_segment_size 0
		.amdhsa_uses_dynamic_stack 0
		.amdhsa_system_sgpr_private_segment_wavefront_offset 0
		.amdhsa_system_sgpr_workgroup_id_x 1
		.amdhsa_system_sgpr_workgroup_id_y 0
		.amdhsa_system_sgpr_workgroup_id_z 0
		.amdhsa_system_sgpr_workgroup_info 0
		.amdhsa_system_vgpr_workitem_id 0
		.amdhsa_next_free_vgpr 10
		.amdhsa_next_free_sgpr 22
		.amdhsa_reserve_vcc 1
		.amdhsa_reserve_flat_scratch 0
		.amdhsa_float_round_mode_32 0
		.amdhsa_float_round_mode_16_64 0
		.amdhsa_float_denorm_mode_32 3
		.amdhsa_float_denorm_mode_16_64 3
		.amdhsa_dx10_clamp 1
		.amdhsa_ieee_mode 1
		.amdhsa_fp16_overflow 0
		.amdhsa_exception_fp_ieee_invalid_op 0
		.amdhsa_exception_fp_denorm_src 0
		.amdhsa_exception_fp_ieee_div_zero 0
		.amdhsa_exception_fp_ieee_overflow 0
		.amdhsa_exception_fp_ieee_underflow 0
		.amdhsa_exception_fp_ieee_inexact 0
		.amdhsa_exception_int_div_zero 0
	.end_amdhsa_kernel
	.section	.text._ZN7rocprim17ROCPRIM_400000_NS6detail17trampoline_kernelINS0_14default_configENS1_38merge_sort_block_merge_config_selectorIalEEZZNS1_27merge_sort_block_merge_implIS3_PaN6thrust23THRUST_200600_302600_NS10device_ptrIlEEjNS1_19radix_merge_compareILb0ELb0EaNS0_19identity_decomposerEEEEE10hipError_tT0_T1_T2_jT3_P12ihipStream_tbPNSt15iterator_traitsISG_E10value_typeEPNSM_ISH_E10value_typeEPSI_NS1_7vsmem_tEENKUlT_SG_SH_SI_E_clIS7_S7_PlSB_EESF_SV_SG_SH_SI_EUlSV_E1_NS1_11comp_targetILNS1_3genE2ELNS1_11target_archE906ELNS1_3gpuE6ELNS1_3repE0EEENS1_36merge_oddeven_config_static_selectorELNS0_4arch9wavefront6targetE1EEEvSH_,"axG",@progbits,_ZN7rocprim17ROCPRIM_400000_NS6detail17trampoline_kernelINS0_14default_configENS1_38merge_sort_block_merge_config_selectorIalEEZZNS1_27merge_sort_block_merge_implIS3_PaN6thrust23THRUST_200600_302600_NS10device_ptrIlEEjNS1_19radix_merge_compareILb0ELb0EaNS0_19identity_decomposerEEEEE10hipError_tT0_T1_T2_jT3_P12ihipStream_tbPNSt15iterator_traitsISG_E10value_typeEPNSM_ISH_E10value_typeEPSI_NS1_7vsmem_tEENKUlT_SG_SH_SI_E_clIS7_S7_PlSB_EESF_SV_SG_SH_SI_EUlSV_E1_NS1_11comp_targetILNS1_3genE2ELNS1_11target_archE906ELNS1_3gpuE6ELNS1_3repE0EEENS1_36merge_oddeven_config_static_selectorELNS0_4arch9wavefront6targetE1EEEvSH_,comdat
.Lfunc_end499:
	.size	_ZN7rocprim17ROCPRIM_400000_NS6detail17trampoline_kernelINS0_14default_configENS1_38merge_sort_block_merge_config_selectorIalEEZZNS1_27merge_sort_block_merge_implIS3_PaN6thrust23THRUST_200600_302600_NS10device_ptrIlEEjNS1_19radix_merge_compareILb0ELb0EaNS0_19identity_decomposerEEEEE10hipError_tT0_T1_T2_jT3_P12ihipStream_tbPNSt15iterator_traitsISG_E10value_typeEPNSM_ISH_E10value_typeEPSI_NS1_7vsmem_tEENKUlT_SG_SH_SI_E_clIS7_S7_PlSB_EESF_SV_SG_SH_SI_EUlSV_E1_NS1_11comp_targetILNS1_3genE2ELNS1_11target_archE906ELNS1_3gpuE6ELNS1_3repE0EEENS1_36merge_oddeven_config_static_selectorELNS0_4arch9wavefront6targetE1EEEvSH_, .Lfunc_end499-_ZN7rocprim17ROCPRIM_400000_NS6detail17trampoline_kernelINS0_14default_configENS1_38merge_sort_block_merge_config_selectorIalEEZZNS1_27merge_sort_block_merge_implIS3_PaN6thrust23THRUST_200600_302600_NS10device_ptrIlEEjNS1_19radix_merge_compareILb0ELb0EaNS0_19identity_decomposerEEEEE10hipError_tT0_T1_T2_jT3_P12ihipStream_tbPNSt15iterator_traitsISG_E10value_typeEPNSM_ISH_E10value_typeEPSI_NS1_7vsmem_tEENKUlT_SG_SH_SI_E_clIS7_S7_PlSB_EESF_SV_SG_SH_SI_EUlSV_E1_NS1_11comp_targetILNS1_3genE2ELNS1_11target_archE906ELNS1_3gpuE6ELNS1_3repE0EEENS1_36merge_oddeven_config_static_selectorELNS0_4arch9wavefront6targetE1EEEvSH_
                                        ; -- End function
	.set _ZN7rocprim17ROCPRIM_400000_NS6detail17trampoline_kernelINS0_14default_configENS1_38merge_sort_block_merge_config_selectorIalEEZZNS1_27merge_sort_block_merge_implIS3_PaN6thrust23THRUST_200600_302600_NS10device_ptrIlEEjNS1_19radix_merge_compareILb0ELb0EaNS0_19identity_decomposerEEEEE10hipError_tT0_T1_T2_jT3_P12ihipStream_tbPNSt15iterator_traitsISG_E10value_typeEPNSM_ISH_E10value_typeEPSI_NS1_7vsmem_tEENKUlT_SG_SH_SI_E_clIS7_S7_PlSB_EESF_SV_SG_SH_SI_EUlSV_E1_NS1_11comp_targetILNS1_3genE2ELNS1_11target_archE906ELNS1_3gpuE6ELNS1_3repE0EEENS1_36merge_oddeven_config_static_selectorELNS0_4arch9wavefront6targetE1EEEvSH_.num_vgpr, 10
	.set _ZN7rocprim17ROCPRIM_400000_NS6detail17trampoline_kernelINS0_14default_configENS1_38merge_sort_block_merge_config_selectorIalEEZZNS1_27merge_sort_block_merge_implIS3_PaN6thrust23THRUST_200600_302600_NS10device_ptrIlEEjNS1_19radix_merge_compareILb0ELb0EaNS0_19identity_decomposerEEEEE10hipError_tT0_T1_T2_jT3_P12ihipStream_tbPNSt15iterator_traitsISG_E10value_typeEPNSM_ISH_E10value_typeEPSI_NS1_7vsmem_tEENKUlT_SG_SH_SI_E_clIS7_S7_PlSB_EESF_SV_SG_SH_SI_EUlSV_E1_NS1_11comp_targetILNS1_3genE2ELNS1_11target_archE906ELNS1_3gpuE6ELNS1_3repE0EEENS1_36merge_oddeven_config_static_selectorELNS0_4arch9wavefront6targetE1EEEvSH_.num_agpr, 0
	.set _ZN7rocprim17ROCPRIM_400000_NS6detail17trampoline_kernelINS0_14default_configENS1_38merge_sort_block_merge_config_selectorIalEEZZNS1_27merge_sort_block_merge_implIS3_PaN6thrust23THRUST_200600_302600_NS10device_ptrIlEEjNS1_19radix_merge_compareILb0ELb0EaNS0_19identity_decomposerEEEEE10hipError_tT0_T1_T2_jT3_P12ihipStream_tbPNSt15iterator_traitsISG_E10value_typeEPNSM_ISH_E10value_typeEPSI_NS1_7vsmem_tEENKUlT_SG_SH_SI_E_clIS7_S7_PlSB_EESF_SV_SG_SH_SI_EUlSV_E1_NS1_11comp_targetILNS1_3genE2ELNS1_11target_archE906ELNS1_3gpuE6ELNS1_3repE0EEENS1_36merge_oddeven_config_static_selectorELNS0_4arch9wavefront6targetE1EEEvSH_.numbered_sgpr, 22
	.set _ZN7rocprim17ROCPRIM_400000_NS6detail17trampoline_kernelINS0_14default_configENS1_38merge_sort_block_merge_config_selectorIalEEZZNS1_27merge_sort_block_merge_implIS3_PaN6thrust23THRUST_200600_302600_NS10device_ptrIlEEjNS1_19radix_merge_compareILb0ELb0EaNS0_19identity_decomposerEEEEE10hipError_tT0_T1_T2_jT3_P12ihipStream_tbPNSt15iterator_traitsISG_E10value_typeEPNSM_ISH_E10value_typeEPSI_NS1_7vsmem_tEENKUlT_SG_SH_SI_E_clIS7_S7_PlSB_EESF_SV_SG_SH_SI_EUlSV_E1_NS1_11comp_targetILNS1_3genE2ELNS1_11target_archE906ELNS1_3gpuE6ELNS1_3repE0EEENS1_36merge_oddeven_config_static_selectorELNS0_4arch9wavefront6targetE1EEEvSH_.num_named_barrier, 0
	.set _ZN7rocprim17ROCPRIM_400000_NS6detail17trampoline_kernelINS0_14default_configENS1_38merge_sort_block_merge_config_selectorIalEEZZNS1_27merge_sort_block_merge_implIS3_PaN6thrust23THRUST_200600_302600_NS10device_ptrIlEEjNS1_19radix_merge_compareILb0ELb0EaNS0_19identity_decomposerEEEEE10hipError_tT0_T1_T2_jT3_P12ihipStream_tbPNSt15iterator_traitsISG_E10value_typeEPNSM_ISH_E10value_typeEPSI_NS1_7vsmem_tEENKUlT_SG_SH_SI_E_clIS7_S7_PlSB_EESF_SV_SG_SH_SI_EUlSV_E1_NS1_11comp_targetILNS1_3genE2ELNS1_11target_archE906ELNS1_3gpuE6ELNS1_3repE0EEENS1_36merge_oddeven_config_static_selectorELNS0_4arch9wavefront6targetE1EEEvSH_.private_seg_size, 0
	.set _ZN7rocprim17ROCPRIM_400000_NS6detail17trampoline_kernelINS0_14default_configENS1_38merge_sort_block_merge_config_selectorIalEEZZNS1_27merge_sort_block_merge_implIS3_PaN6thrust23THRUST_200600_302600_NS10device_ptrIlEEjNS1_19radix_merge_compareILb0ELb0EaNS0_19identity_decomposerEEEEE10hipError_tT0_T1_T2_jT3_P12ihipStream_tbPNSt15iterator_traitsISG_E10value_typeEPNSM_ISH_E10value_typeEPSI_NS1_7vsmem_tEENKUlT_SG_SH_SI_E_clIS7_S7_PlSB_EESF_SV_SG_SH_SI_EUlSV_E1_NS1_11comp_targetILNS1_3genE2ELNS1_11target_archE906ELNS1_3gpuE6ELNS1_3repE0EEENS1_36merge_oddeven_config_static_selectorELNS0_4arch9wavefront6targetE1EEEvSH_.uses_vcc, 1
	.set _ZN7rocprim17ROCPRIM_400000_NS6detail17trampoline_kernelINS0_14default_configENS1_38merge_sort_block_merge_config_selectorIalEEZZNS1_27merge_sort_block_merge_implIS3_PaN6thrust23THRUST_200600_302600_NS10device_ptrIlEEjNS1_19radix_merge_compareILb0ELb0EaNS0_19identity_decomposerEEEEE10hipError_tT0_T1_T2_jT3_P12ihipStream_tbPNSt15iterator_traitsISG_E10value_typeEPNSM_ISH_E10value_typeEPSI_NS1_7vsmem_tEENKUlT_SG_SH_SI_E_clIS7_S7_PlSB_EESF_SV_SG_SH_SI_EUlSV_E1_NS1_11comp_targetILNS1_3genE2ELNS1_11target_archE906ELNS1_3gpuE6ELNS1_3repE0EEENS1_36merge_oddeven_config_static_selectorELNS0_4arch9wavefront6targetE1EEEvSH_.uses_flat_scratch, 0
	.set _ZN7rocprim17ROCPRIM_400000_NS6detail17trampoline_kernelINS0_14default_configENS1_38merge_sort_block_merge_config_selectorIalEEZZNS1_27merge_sort_block_merge_implIS3_PaN6thrust23THRUST_200600_302600_NS10device_ptrIlEEjNS1_19radix_merge_compareILb0ELb0EaNS0_19identity_decomposerEEEEE10hipError_tT0_T1_T2_jT3_P12ihipStream_tbPNSt15iterator_traitsISG_E10value_typeEPNSM_ISH_E10value_typeEPSI_NS1_7vsmem_tEENKUlT_SG_SH_SI_E_clIS7_S7_PlSB_EESF_SV_SG_SH_SI_EUlSV_E1_NS1_11comp_targetILNS1_3genE2ELNS1_11target_archE906ELNS1_3gpuE6ELNS1_3repE0EEENS1_36merge_oddeven_config_static_selectorELNS0_4arch9wavefront6targetE1EEEvSH_.has_dyn_sized_stack, 0
	.set _ZN7rocprim17ROCPRIM_400000_NS6detail17trampoline_kernelINS0_14default_configENS1_38merge_sort_block_merge_config_selectorIalEEZZNS1_27merge_sort_block_merge_implIS3_PaN6thrust23THRUST_200600_302600_NS10device_ptrIlEEjNS1_19radix_merge_compareILb0ELb0EaNS0_19identity_decomposerEEEEE10hipError_tT0_T1_T2_jT3_P12ihipStream_tbPNSt15iterator_traitsISG_E10value_typeEPNSM_ISH_E10value_typeEPSI_NS1_7vsmem_tEENKUlT_SG_SH_SI_E_clIS7_S7_PlSB_EESF_SV_SG_SH_SI_EUlSV_E1_NS1_11comp_targetILNS1_3genE2ELNS1_11target_archE906ELNS1_3gpuE6ELNS1_3repE0EEENS1_36merge_oddeven_config_static_selectorELNS0_4arch9wavefront6targetE1EEEvSH_.has_recursion, 0
	.set _ZN7rocprim17ROCPRIM_400000_NS6detail17trampoline_kernelINS0_14default_configENS1_38merge_sort_block_merge_config_selectorIalEEZZNS1_27merge_sort_block_merge_implIS3_PaN6thrust23THRUST_200600_302600_NS10device_ptrIlEEjNS1_19radix_merge_compareILb0ELb0EaNS0_19identity_decomposerEEEEE10hipError_tT0_T1_T2_jT3_P12ihipStream_tbPNSt15iterator_traitsISG_E10value_typeEPNSM_ISH_E10value_typeEPSI_NS1_7vsmem_tEENKUlT_SG_SH_SI_E_clIS7_S7_PlSB_EESF_SV_SG_SH_SI_EUlSV_E1_NS1_11comp_targetILNS1_3genE2ELNS1_11target_archE906ELNS1_3gpuE6ELNS1_3repE0EEENS1_36merge_oddeven_config_static_selectorELNS0_4arch9wavefront6targetE1EEEvSH_.has_indirect_call, 0
	.section	.AMDGPU.csdata,"",@progbits
; Kernel info:
; codeLenInByte = 720
; TotalNumSgprs: 26
; NumVgprs: 10
; ScratchSize: 0
; MemoryBound: 0
; FloatMode: 240
; IeeeMode: 1
; LDSByteSize: 0 bytes/workgroup (compile time only)
; SGPRBlocks: 3
; VGPRBlocks: 2
; NumSGPRsForWavesPerEU: 26
; NumVGPRsForWavesPerEU: 10
; Occupancy: 10
; WaveLimiterHint : 0
; COMPUTE_PGM_RSRC2:SCRATCH_EN: 0
; COMPUTE_PGM_RSRC2:USER_SGPR: 6
; COMPUTE_PGM_RSRC2:TRAP_HANDLER: 0
; COMPUTE_PGM_RSRC2:TGID_X_EN: 1
; COMPUTE_PGM_RSRC2:TGID_Y_EN: 0
; COMPUTE_PGM_RSRC2:TGID_Z_EN: 0
; COMPUTE_PGM_RSRC2:TIDIG_COMP_CNT: 0
	.section	.text._ZN7rocprim17ROCPRIM_400000_NS6detail17trampoline_kernelINS0_14default_configENS1_38merge_sort_block_merge_config_selectorIalEEZZNS1_27merge_sort_block_merge_implIS3_PaN6thrust23THRUST_200600_302600_NS10device_ptrIlEEjNS1_19radix_merge_compareILb0ELb0EaNS0_19identity_decomposerEEEEE10hipError_tT0_T1_T2_jT3_P12ihipStream_tbPNSt15iterator_traitsISG_E10value_typeEPNSM_ISH_E10value_typeEPSI_NS1_7vsmem_tEENKUlT_SG_SH_SI_E_clIS7_S7_PlSB_EESF_SV_SG_SH_SI_EUlSV_E1_NS1_11comp_targetILNS1_3genE9ELNS1_11target_archE1100ELNS1_3gpuE3ELNS1_3repE0EEENS1_36merge_oddeven_config_static_selectorELNS0_4arch9wavefront6targetE1EEEvSH_,"axG",@progbits,_ZN7rocprim17ROCPRIM_400000_NS6detail17trampoline_kernelINS0_14default_configENS1_38merge_sort_block_merge_config_selectorIalEEZZNS1_27merge_sort_block_merge_implIS3_PaN6thrust23THRUST_200600_302600_NS10device_ptrIlEEjNS1_19radix_merge_compareILb0ELb0EaNS0_19identity_decomposerEEEEE10hipError_tT0_T1_T2_jT3_P12ihipStream_tbPNSt15iterator_traitsISG_E10value_typeEPNSM_ISH_E10value_typeEPSI_NS1_7vsmem_tEENKUlT_SG_SH_SI_E_clIS7_S7_PlSB_EESF_SV_SG_SH_SI_EUlSV_E1_NS1_11comp_targetILNS1_3genE9ELNS1_11target_archE1100ELNS1_3gpuE3ELNS1_3repE0EEENS1_36merge_oddeven_config_static_selectorELNS0_4arch9wavefront6targetE1EEEvSH_,comdat
	.protected	_ZN7rocprim17ROCPRIM_400000_NS6detail17trampoline_kernelINS0_14default_configENS1_38merge_sort_block_merge_config_selectorIalEEZZNS1_27merge_sort_block_merge_implIS3_PaN6thrust23THRUST_200600_302600_NS10device_ptrIlEEjNS1_19radix_merge_compareILb0ELb0EaNS0_19identity_decomposerEEEEE10hipError_tT0_T1_T2_jT3_P12ihipStream_tbPNSt15iterator_traitsISG_E10value_typeEPNSM_ISH_E10value_typeEPSI_NS1_7vsmem_tEENKUlT_SG_SH_SI_E_clIS7_S7_PlSB_EESF_SV_SG_SH_SI_EUlSV_E1_NS1_11comp_targetILNS1_3genE9ELNS1_11target_archE1100ELNS1_3gpuE3ELNS1_3repE0EEENS1_36merge_oddeven_config_static_selectorELNS0_4arch9wavefront6targetE1EEEvSH_ ; -- Begin function _ZN7rocprim17ROCPRIM_400000_NS6detail17trampoline_kernelINS0_14default_configENS1_38merge_sort_block_merge_config_selectorIalEEZZNS1_27merge_sort_block_merge_implIS3_PaN6thrust23THRUST_200600_302600_NS10device_ptrIlEEjNS1_19radix_merge_compareILb0ELb0EaNS0_19identity_decomposerEEEEE10hipError_tT0_T1_T2_jT3_P12ihipStream_tbPNSt15iterator_traitsISG_E10value_typeEPNSM_ISH_E10value_typeEPSI_NS1_7vsmem_tEENKUlT_SG_SH_SI_E_clIS7_S7_PlSB_EESF_SV_SG_SH_SI_EUlSV_E1_NS1_11comp_targetILNS1_3genE9ELNS1_11target_archE1100ELNS1_3gpuE3ELNS1_3repE0EEENS1_36merge_oddeven_config_static_selectorELNS0_4arch9wavefront6targetE1EEEvSH_
	.globl	_ZN7rocprim17ROCPRIM_400000_NS6detail17trampoline_kernelINS0_14default_configENS1_38merge_sort_block_merge_config_selectorIalEEZZNS1_27merge_sort_block_merge_implIS3_PaN6thrust23THRUST_200600_302600_NS10device_ptrIlEEjNS1_19radix_merge_compareILb0ELb0EaNS0_19identity_decomposerEEEEE10hipError_tT0_T1_T2_jT3_P12ihipStream_tbPNSt15iterator_traitsISG_E10value_typeEPNSM_ISH_E10value_typeEPSI_NS1_7vsmem_tEENKUlT_SG_SH_SI_E_clIS7_S7_PlSB_EESF_SV_SG_SH_SI_EUlSV_E1_NS1_11comp_targetILNS1_3genE9ELNS1_11target_archE1100ELNS1_3gpuE3ELNS1_3repE0EEENS1_36merge_oddeven_config_static_selectorELNS0_4arch9wavefront6targetE1EEEvSH_
	.p2align	8
	.type	_ZN7rocprim17ROCPRIM_400000_NS6detail17trampoline_kernelINS0_14default_configENS1_38merge_sort_block_merge_config_selectorIalEEZZNS1_27merge_sort_block_merge_implIS3_PaN6thrust23THRUST_200600_302600_NS10device_ptrIlEEjNS1_19radix_merge_compareILb0ELb0EaNS0_19identity_decomposerEEEEE10hipError_tT0_T1_T2_jT3_P12ihipStream_tbPNSt15iterator_traitsISG_E10value_typeEPNSM_ISH_E10value_typeEPSI_NS1_7vsmem_tEENKUlT_SG_SH_SI_E_clIS7_S7_PlSB_EESF_SV_SG_SH_SI_EUlSV_E1_NS1_11comp_targetILNS1_3genE9ELNS1_11target_archE1100ELNS1_3gpuE3ELNS1_3repE0EEENS1_36merge_oddeven_config_static_selectorELNS0_4arch9wavefront6targetE1EEEvSH_,@function
_ZN7rocprim17ROCPRIM_400000_NS6detail17trampoline_kernelINS0_14default_configENS1_38merge_sort_block_merge_config_selectorIalEEZZNS1_27merge_sort_block_merge_implIS3_PaN6thrust23THRUST_200600_302600_NS10device_ptrIlEEjNS1_19radix_merge_compareILb0ELb0EaNS0_19identity_decomposerEEEEE10hipError_tT0_T1_T2_jT3_P12ihipStream_tbPNSt15iterator_traitsISG_E10value_typeEPNSM_ISH_E10value_typeEPSI_NS1_7vsmem_tEENKUlT_SG_SH_SI_E_clIS7_S7_PlSB_EESF_SV_SG_SH_SI_EUlSV_E1_NS1_11comp_targetILNS1_3genE9ELNS1_11target_archE1100ELNS1_3gpuE3ELNS1_3repE0EEENS1_36merge_oddeven_config_static_selectorELNS0_4arch9wavefront6targetE1EEEvSH_: ; @_ZN7rocprim17ROCPRIM_400000_NS6detail17trampoline_kernelINS0_14default_configENS1_38merge_sort_block_merge_config_selectorIalEEZZNS1_27merge_sort_block_merge_implIS3_PaN6thrust23THRUST_200600_302600_NS10device_ptrIlEEjNS1_19radix_merge_compareILb0ELb0EaNS0_19identity_decomposerEEEEE10hipError_tT0_T1_T2_jT3_P12ihipStream_tbPNSt15iterator_traitsISG_E10value_typeEPNSM_ISH_E10value_typeEPSI_NS1_7vsmem_tEENKUlT_SG_SH_SI_E_clIS7_S7_PlSB_EESF_SV_SG_SH_SI_EUlSV_E1_NS1_11comp_targetILNS1_3genE9ELNS1_11target_archE1100ELNS1_3gpuE3ELNS1_3repE0EEENS1_36merge_oddeven_config_static_selectorELNS0_4arch9wavefront6targetE1EEEvSH_
; %bb.0:
	.section	.rodata,"a",@progbits
	.p2align	6, 0x0
	.amdhsa_kernel _ZN7rocprim17ROCPRIM_400000_NS6detail17trampoline_kernelINS0_14default_configENS1_38merge_sort_block_merge_config_selectorIalEEZZNS1_27merge_sort_block_merge_implIS3_PaN6thrust23THRUST_200600_302600_NS10device_ptrIlEEjNS1_19radix_merge_compareILb0ELb0EaNS0_19identity_decomposerEEEEE10hipError_tT0_T1_T2_jT3_P12ihipStream_tbPNSt15iterator_traitsISG_E10value_typeEPNSM_ISH_E10value_typeEPSI_NS1_7vsmem_tEENKUlT_SG_SH_SI_E_clIS7_S7_PlSB_EESF_SV_SG_SH_SI_EUlSV_E1_NS1_11comp_targetILNS1_3genE9ELNS1_11target_archE1100ELNS1_3gpuE3ELNS1_3repE0EEENS1_36merge_oddeven_config_static_selectorELNS0_4arch9wavefront6targetE1EEEvSH_
		.amdhsa_group_segment_fixed_size 0
		.amdhsa_private_segment_fixed_size 0
		.amdhsa_kernarg_size 48
		.amdhsa_user_sgpr_count 6
		.amdhsa_user_sgpr_private_segment_buffer 1
		.amdhsa_user_sgpr_dispatch_ptr 0
		.amdhsa_user_sgpr_queue_ptr 0
		.amdhsa_user_sgpr_kernarg_segment_ptr 1
		.amdhsa_user_sgpr_dispatch_id 0
		.amdhsa_user_sgpr_flat_scratch_init 0
		.amdhsa_user_sgpr_private_segment_size 0
		.amdhsa_uses_dynamic_stack 0
		.amdhsa_system_sgpr_private_segment_wavefront_offset 0
		.amdhsa_system_sgpr_workgroup_id_x 1
		.amdhsa_system_sgpr_workgroup_id_y 0
		.amdhsa_system_sgpr_workgroup_id_z 0
		.amdhsa_system_sgpr_workgroup_info 0
		.amdhsa_system_vgpr_workitem_id 0
		.amdhsa_next_free_vgpr 1
		.amdhsa_next_free_sgpr 0
		.amdhsa_reserve_vcc 0
		.amdhsa_reserve_flat_scratch 0
		.amdhsa_float_round_mode_32 0
		.amdhsa_float_round_mode_16_64 0
		.amdhsa_float_denorm_mode_32 3
		.amdhsa_float_denorm_mode_16_64 3
		.amdhsa_dx10_clamp 1
		.amdhsa_ieee_mode 1
		.amdhsa_fp16_overflow 0
		.amdhsa_exception_fp_ieee_invalid_op 0
		.amdhsa_exception_fp_denorm_src 0
		.amdhsa_exception_fp_ieee_div_zero 0
		.amdhsa_exception_fp_ieee_overflow 0
		.amdhsa_exception_fp_ieee_underflow 0
		.amdhsa_exception_fp_ieee_inexact 0
		.amdhsa_exception_int_div_zero 0
	.end_amdhsa_kernel
	.section	.text._ZN7rocprim17ROCPRIM_400000_NS6detail17trampoline_kernelINS0_14default_configENS1_38merge_sort_block_merge_config_selectorIalEEZZNS1_27merge_sort_block_merge_implIS3_PaN6thrust23THRUST_200600_302600_NS10device_ptrIlEEjNS1_19radix_merge_compareILb0ELb0EaNS0_19identity_decomposerEEEEE10hipError_tT0_T1_T2_jT3_P12ihipStream_tbPNSt15iterator_traitsISG_E10value_typeEPNSM_ISH_E10value_typeEPSI_NS1_7vsmem_tEENKUlT_SG_SH_SI_E_clIS7_S7_PlSB_EESF_SV_SG_SH_SI_EUlSV_E1_NS1_11comp_targetILNS1_3genE9ELNS1_11target_archE1100ELNS1_3gpuE3ELNS1_3repE0EEENS1_36merge_oddeven_config_static_selectorELNS0_4arch9wavefront6targetE1EEEvSH_,"axG",@progbits,_ZN7rocprim17ROCPRIM_400000_NS6detail17trampoline_kernelINS0_14default_configENS1_38merge_sort_block_merge_config_selectorIalEEZZNS1_27merge_sort_block_merge_implIS3_PaN6thrust23THRUST_200600_302600_NS10device_ptrIlEEjNS1_19radix_merge_compareILb0ELb0EaNS0_19identity_decomposerEEEEE10hipError_tT0_T1_T2_jT3_P12ihipStream_tbPNSt15iterator_traitsISG_E10value_typeEPNSM_ISH_E10value_typeEPSI_NS1_7vsmem_tEENKUlT_SG_SH_SI_E_clIS7_S7_PlSB_EESF_SV_SG_SH_SI_EUlSV_E1_NS1_11comp_targetILNS1_3genE9ELNS1_11target_archE1100ELNS1_3gpuE3ELNS1_3repE0EEENS1_36merge_oddeven_config_static_selectorELNS0_4arch9wavefront6targetE1EEEvSH_,comdat
.Lfunc_end500:
	.size	_ZN7rocprim17ROCPRIM_400000_NS6detail17trampoline_kernelINS0_14default_configENS1_38merge_sort_block_merge_config_selectorIalEEZZNS1_27merge_sort_block_merge_implIS3_PaN6thrust23THRUST_200600_302600_NS10device_ptrIlEEjNS1_19radix_merge_compareILb0ELb0EaNS0_19identity_decomposerEEEEE10hipError_tT0_T1_T2_jT3_P12ihipStream_tbPNSt15iterator_traitsISG_E10value_typeEPNSM_ISH_E10value_typeEPSI_NS1_7vsmem_tEENKUlT_SG_SH_SI_E_clIS7_S7_PlSB_EESF_SV_SG_SH_SI_EUlSV_E1_NS1_11comp_targetILNS1_3genE9ELNS1_11target_archE1100ELNS1_3gpuE3ELNS1_3repE0EEENS1_36merge_oddeven_config_static_selectorELNS0_4arch9wavefront6targetE1EEEvSH_, .Lfunc_end500-_ZN7rocprim17ROCPRIM_400000_NS6detail17trampoline_kernelINS0_14default_configENS1_38merge_sort_block_merge_config_selectorIalEEZZNS1_27merge_sort_block_merge_implIS3_PaN6thrust23THRUST_200600_302600_NS10device_ptrIlEEjNS1_19radix_merge_compareILb0ELb0EaNS0_19identity_decomposerEEEEE10hipError_tT0_T1_T2_jT3_P12ihipStream_tbPNSt15iterator_traitsISG_E10value_typeEPNSM_ISH_E10value_typeEPSI_NS1_7vsmem_tEENKUlT_SG_SH_SI_E_clIS7_S7_PlSB_EESF_SV_SG_SH_SI_EUlSV_E1_NS1_11comp_targetILNS1_3genE9ELNS1_11target_archE1100ELNS1_3gpuE3ELNS1_3repE0EEENS1_36merge_oddeven_config_static_selectorELNS0_4arch9wavefront6targetE1EEEvSH_
                                        ; -- End function
	.set _ZN7rocprim17ROCPRIM_400000_NS6detail17trampoline_kernelINS0_14default_configENS1_38merge_sort_block_merge_config_selectorIalEEZZNS1_27merge_sort_block_merge_implIS3_PaN6thrust23THRUST_200600_302600_NS10device_ptrIlEEjNS1_19radix_merge_compareILb0ELb0EaNS0_19identity_decomposerEEEEE10hipError_tT0_T1_T2_jT3_P12ihipStream_tbPNSt15iterator_traitsISG_E10value_typeEPNSM_ISH_E10value_typeEPSI_NS1_7vsmem_tEENKUlT_SG_SH_SI_E_clIS7_S7_PlSB_EESF_SV_SG_SH_SI_EUlSV_E1_NS1_11comp_targetILNS1_3genE9ELNS1_11target_archE1100ELNS1_3gpuE3ELNS1_3repE0EEENS1_36merge_oddeven_config_static_selectorELNS0_4arch9wavefront6targetE1EEEvSH_.num_vgpr, 0
	.set _ZN7rocprim17ROCPRIM_400000_NS6detail17trampoline_kernelINS0_14default_configENS1_38merge_sort_block_merge_config_selectorIalEEZZNS1_27merge_sort_block_merge_implIS3_PaN6thrust23THRUST_200600_302600_NS10device_ptrIlEEjNS1_19radix_merge_compareILb0ELb0EaNS0_19identity_decomposerEEEEE10hipError_tT0_T1_T2_jT3_P12ihipStream_tbPNSt15iterator_traitsISG_E10value_typeEPNSM_ISH_E10value_typeEPSI_NS1_7vsmem_tEENKUlT_SG_SH_SI_E_clIS7_S7_PlSB_EESF_SV_SG_SH_SI_EUlSV_E1_NS1_11comp_targetILNS1_3genE9ELNS1_11target_archE1100ELNS1_3gpuE3ELNS1_3repE0EEENS1_36merge_oddeven_config_static_selectorELNS0_4arch9wavefront6targetE1EEEvSH_.num_agpr, 0
	.set _ZN7rocprim17ROCPRIM_400000_NS6detail17trampoline_kernelINS0_14default_configENS1_38merge_sort_block_merge_config_selectorIalEEZZNS1_27merge_sort_block_merge_implIS3_PaN6thrust23THRUST_200600_302600_NS10device_ptrIlEEjNS1_19radix_merge_compareILb0ELb0EaNS0_19identity_decomposerEEEEE10hipError_tT0_T1_T2_jT3_P12ihipStream_tbPNSt15iterator_traitsISG_E10value_typeEPNSM_ISH_E10value_typeEPSI_NS1_7vsmem_tEENKUlT_SG_SH_SI_E_clIS7_S7_PlSB_EESF_SV_SG_SH_SI_EUlSV_E1_NS1_11comp_targetILNS1_3genE9ELNS1_11target_archE1100ELNS1_3gpuE3ELNS1_3repE0EEENS1_36merge_oddeven_config_static_selectorELNS0_4arch9wavefront6targetE1EEEvSH_.numbered_sgpr, 0
	.set _ZN7rocprim17ROCPRIM_400000_NS6detail17trampoline_kernelINS0_14default_configENS1_38merge_sort_block_merge_config_selectorIalEEZZNS1_27merge_sort_block_merge_implIS3_PaN6thrust23THRUST_200600_302600_NS10device_ptrIlEEjNS1_19radix_merge_compareILb0ELb0EaNS0_19identity_decomposerEEEEE10hipError_tT0_T1_T2_jT3_P12ihipStream_tbPNSt15iterator_traitsISG_E10value_typeEPNSM_ISH_E10value_typeEPSI_NS1_7vsmem_tEENKUlT_SG_SH_SI_E_clIS7_S7_PlSB_EESF_SV_SG_SH_SI_EUlSV_E1_NS1_11comp_targetILNS1_3genE9ELNS1_11target_archE1100ELNS1_3gpuE3ELNS1_3repE0EEENS1_36merge_oddeven_config_static_selectorELNS0_4arch9wavefront6targetE1EEEvSH_.num_named_barrier, 0
	.set _ZN7rocprim17ROCPRIM_400000_NS6detail17trampoline_kernelINS0_14default_configENS1_38merge_sort_block_merge_config_selectorIalEEZZNS1_27merge_sort_block_merge_implIS3_PaN6thrust23THRUST_200600_302600_NS10device_ptrIlEEjNS1_19radix_merge_compareILb0ELb0EaNS0_19identity_decomposerEEEEE10hipError_tT0_T1_T2_jT3_P12ihipStream_tbPNSt15iterator_traitsISG_E10value_typeEPNSM_ISH_E10value_typeEPSI_NS1_7vsmem_tEENKUlT_SG_SH_SI_E_clIS7_S7_PlSB_EESF_SV_SG_SH_SI_EUlSV_E1_NS1_11comp_targetILNS1_3genE9ELNS1_11target_archE1100ELNS1_3gpuE3ELNS1_3repE0EEENS1_36merge_oddeven_config_static_selectorELNS0_4arch9wavefront6targetE1EEEvSH_.private_seg_size, 0
	.set _ZN7rocprim17ROCPRIM_400000_NS6detail17trampoline_kernelINS0_14default_configENS1_38merge_sort_block_merge_config_selectorIalEEZZNS1_27merge_sort_block_merge_implIS3_PaN6thrust23THRUST_200600_302600_NS10device_ptrIlEEjNS1_19radix_merge_compareILb0ELb0EaNS0_19identity_decomposerEEEEE10hipError_tT0_T1_T2_jT3_P12ihipStream_tbPNSt15iterator_traitsISG_E10value_typeEPNSM_ISH_E10value_typeEPSI_NS1_7vsmem_tEENKUlT_SG_SH_SI_E_clIS7_S7_PlSB_EESF_SV_SG_SH_SI_EUlSV_E1_NS1_11comp_targetILNS1_3genE9ELNS1_11target_archE1100ELNS1_3gpuE3ELNS1_3repE0EEENS1_36merge_oddeven_config_static_selectorELNS0_4arch9wavefront6targetE1EEEvSH_.uses_vcc, 0
	.set _ZN7rocprim17ROCPRIM_400000_NS6detail17trampoline_kernelINS0_14default_configENS1_38merge_sort_block_merge_config_selectorIalEEZZNS1_27merge_sort_block_merge_implIS3_PaN6thrust23THRUST_200600_302600_NS10device_ptrIlEEjNS1_19radix_merge_compareILb0ELb0EaNS0_19identity_decomposerEEEEE10hipError_tT0_T1_T2_jT3_P12ihipStream_tbPNSt15iterator_traitsISG_E10value_typeEPNSM_ISH_E10value_typeEPSI_NS1_7vsmem_tEENKUlT_SG_SH_SI_E_clIS7_S7_PlSB_EESF_SV_SG_SH_SI_EUlSV_E1_NS1_11comp_targetILNS1_3genE9ELNS1_11target_archE1100ELNS1_3gpuE3ELNS1_3repE0EEENS1_36merge_oddeven_config_static_selectorELNS0_4arch9wavefront6targetE1EEEvSH_.uses_flat_scratch, 0
	.set _ZN7rocprim17ROCPRIM_400000_NS6detail17trampoline_kernelINS0_14default_configENS1_38merge_sort_block_merge_config_selectorIalEEZZNS1_27merge_sort_block_merge_implIS3_PaN6thrust23THRUST_200600_302600_NS10device_ptrIlEEjNS1_19radix_merge_compareILb0ELb0EaNS0_19identity_decomposerEEEEE10hipError_tT0_T1_T2_jT3_P12ihipStream_tbPNSt15iterator_traitsISG_E10value_typeEPNSM_ISH_E10value_typeEPSI_NS1_7vsmem_tEENKUlT_SG_SH_SI_E_clIS7_S7_PlSB_EESF_SV_SG_SH_SI_EUlSV_E1_NS1_11comp_targetILNS1_3genE9ELNS1_11target_archE1100ELNS1_3gpuE3ELNS1_3repE0EEENS1_36merge_oddeven_config_static_selectorELNS0_4arch9wavefront6targetE1EEEvSH_.has_dyn_sized_stack, 0
	.set _ZN7rocprim17ROCPRIM_400000_NS6detail17trampoline_kernelINS0_14default_configENS1_38merge_sort_block_merge_config_selectorIalEEZZNS1_27merge_sort_block_merge_implIS3_PaN6thrust23THRUST_200600_302600_NS10device_ptrIlEEjNS1_19radix_merge_compareILb0ELb0EaNS0_19identity_decomposerEEEEE10hipError_tT0_T1_T2_jT3_P12ihipStream_tbPNSt15iterator_traitsISG_E10value_typeEPNSM_ISH_E10value_typeEPSI_NS1_7vsmem_tEENKUlT_SG_SH_SI_E_clIS7_S7_PlSB_EESF_SV_SG_SH_SI_EUlSV_E1_NS1_11comp_targetILNS1_3genE9ELNS1_11target_archE1100ELNS1_3gpuE3ELNS1_3repE0EEENS1_36merge_oddeven_config_static_selectorELNS0_4arch9wavefront6targetE1EEEvSH_.has_recursion, 0
	.set _ZN7rocprim17ROCPRIM_400000_NS6detail17trampoline_kernelINS0_14default_configENS1_38merge_sort_block_merge_config_selectorIalEEZZNS1_27merge_sort_block_merge_implIS3_PaN6thrust23THRUST_200600_302600_NS10device_ptrIlEEjNS1_19radix_merge_compareILb0ELb0EaNS0_19identity_decomposerEEEEE10hipError_tT0_T1_T2_jT3_P12ihipStream_tbPNSt15iterator_traitsISG_E10value_typeEPNSM_ISH_E10value_typeEPSI_NS1_7vsmem_tEENKUlT_SG_SH_SI_E_clIS7_S7_PlSB_EESF_SV_SG_SH_SI_EUlSV_E1_NS1_11comp_targetILNS1_3genE9ELNS1_11target_archE1100ELNS1_3gpuE3ELNS1_3repE0EEENS1_36merge_oddeven_config_static_selectorELNS0_4arch9wavefront6targetE1EEEvSH_.has_indirect_call, 0
	.section	.AMDGPU.csdata,"",@progbits
; Kernel info:
; codeLenInByte = 0
; TotalNumSgprs: 4
; NumVgprs: 0
; ScratchSize: 0
; MemoryBound: 0
; FloatMode: 240
; IeeeMode: 1
; LDSByteSize: 0 bytes/workgroup (compile time only)
; SGPRBlocks: 0
; VGPRBlocks: 0
; NumSGPRsForWavesPerEU: 4
; NumVGPRsForWavesPerEU: 1
; Occupancy: 10
; WaveLimiterHint : 0
; COMPUTE_PGM_RSRC2:SCRATCH_EN: 0
; COMPUTE_PGM_RSRC2:USER_SGPR: 6
; COMPUTE_PGM_RSRC2:TRAP_HANDLER: 0
; COMPUTE_PGM_RSRC2:TGID_X_EN: 1
; COMPUTE_PGM_RSRC2:TGID_Y_EN: 0
; COMPUTE_PGM_RSRC2:TGID_Z_EN: 0
; COMPUTE_PGM_RSRC2:TIDIG_COMP_CNT: 0
	.section	.text._ZN7rocprim17ROCPRIM_400000_NS6detail17trampoline_kernelINS0_14default_configENS1_38merge_sort_block_merge_config_selectorIalEEZZNS1_27merge_sort_block_merge_implIS3_PaN6thrust23THRUST_200600_302600_NS10device_ptrIlEEjNS1_19radix_merge_compareILb0ELb0EaNS0_19identity_decomposerEEEEE10hipError_tT0_T1_T2_jT3_P12ihipStream_tbPNSt15iterator_traitsISG_E10value_typeEPNSM_ISH_E10value_typeEPSI_NS1_7vsmem_tEENKUlT_SG_SH_SI_E_clIS7_S7_PlSB_EESF_SV_SG_SH_SI_EUlSV_E1_NS1_11comp_targetILNS1_3genE8ELNS1_11target_archE1030ELNS1_3gpuE2ELNS1_3repE0EEENS1_36merge_oddeven_config_static_selectorELNS0_4arch9wavefront6targetE1EEEvSH_,"axG",@progbits,_ZN7rocprim17ROCPRIM_400000_NS6detail17trampoline_kernelINS0_14default_configENS1_38merge_sort_block_merge_config_selectorIalEEZZNS1_27merge_sort_block_merge_implIS3_PaN6thrust23THRUST_200600_302600_NS10device_ptrIlEEjNS1_19radix_merge_compareILb0ELb0EaNS0_19identity_decomposerEEEEE10hipError_tT0_T1_T2_jT3_P12ihipStream_tbPNSt15iterator_traitsISG_E10value_typeEPNSM_ISH_E10value_typeEPSI_NS1_7vsmem_tEENKUlT_SG_SH_SI_E_clIS7_S7_PlSB_EESF_SV_SG_SH_SI_EUlSV_E1_NS1_11comp_targetILNS1_3genE8ELNS1_11target_archE1030ELNS1_3gpuE2ELNS1_3repE0EEENS1_36merge_oddeven_config_static_selectorELNS0_4arch9wavefront6targetE1EEEvSH_,comdat
	.protected	_ZN7rocprim17ROCPRIM_400000_NS6detail17trampoline_kernelINS0_14default_configENS1_38merge_sort_block_merge_config_selectorIalEEZZNS1_27merge_sort_block_merge_implIS3_PaN6thrust23THRUST_200600_302600_NS10device_ptrIlEEjNS1_19radix_merge_compareILb0ELb0EaNS0_19identity_decomposerEEEEE10hipError_tT0_T1_T2_jT3_P12ihipStream_tbPNSt15iterator_traitsISG_E10value_typeEPNSM_ISH_E10value_typeEPSI_NS1_7vsmem_tEENKUlT_SG_SH_SI_E_clIS7_S7_PlSB_EESF_SV_SG_SH_SI_EUlSV_E1_NS1_11comp_targetILNS1_3genE8ELNS1_11target_archE1030ELNS1_3gpuE2ELNS1_3repE0EEENS1_36merge_oddeven_config_static_selectorELNS0_4arch9wavefront6targetE1EEEvSH_ ; -- Begin function _ZN7rocprim17ROCPRIM_400000_NS6detail17trampoline_kernelINS0_14default_configENS1_38merge_sort_block_merge_config_selectorIalEEZZNS1_27merge_sort_block_merge_implIS3_PaN6thrust23THRUST_200600_302600_NS10device_ptrIlEEjNS1_19radix_merge_compareILb0ELb0EaNS0_19identity_decomposerEEEEE10hipError_tT0_T1_T2_jT3_P12ihipStream_tbPNSt15iterator_traitsISG_E10value_typeEPNSM_ISH_E10value_typeEPSI_NS1_7vsmem_tEENKUlT_SG_SH_SI_E_clIS7_S7_PlSB_EESF_SV_SG_SH_SI_EUlSV_E1_NS1_11comp_targetILNS1_3genE8ELNS1_11target_archE1030ELNS1_3gpuE2ELNS1_3repE0EEENS1_36merge_oddeven_config_static_selectorELNS0_4arch9wavefront6targetE1EEEvSH_
	.globl	_ZN7rocprim17ROCPRIM_400000_NS6detail17trampoline_kernelINS0_14default_configENS1_38merge_sort_block_merge_config_selectorIalEEZZNS1_27merge_sort_block_merge_implIS3_PaN6thrust23THRUST_200600_302600_NS10device_ptrIlEEjNS1_19radix_merge_compareILb0ELb0EaNS0_19identity_decomposerEEEEE10hipError_tT0_T1_T2_jT3_P12ihipStream_tbPNSt15iterator_traitsISG_E10value_typeEPNSM_ISH_E10value_typeEPSI_NS1_7vsmem_tEENKUlT_SG_SH_SI_E_clIS7_S7_PlSB_EESF_SV_SG_SH_SI_EUlSV_E1_NS1_11comp_targetILNS1_3genE8ELNS1_11target_archE1030ELNS1_3gpuE2ELNS1_3repE0EEENS1_36merge_oddeven_config_static_selectorELNS0_4arch9wavefront6targetE1EEEvSH_
	.p2align	8
	.type	_ZN7rocprim17ROCPRIM_400000_NS6detail17trampoline_kernelINS0_14default_configENS1_38merge_sort_block_merge_config_selectorIalEEZZNS1_27merge_sort_block_merge_implIS3_PaN6thrust23THRUST_200600_302600_NS10device_ptrIlEEjNS1_19radix_merge_compareILb0ELb0EaNS0_19identity_decomposerEEEEE10hipError_tT0_T1_T2_jT3_P12ihipStream_tbPNSt15iterator_traitsISG_E10value_typeEPNSM_ISH_E10value_typeEPSI_NS1_7vsmem_tEENKUlT_SG_SH_SI_E_clIS7_S7_PlSB_EESF_SV_SG_SH_SI_EUlSV_E1_NS1_11comp_targetILNS1_3genE8ELNS1_11target_archE1030ELNS1_3gpuE2ELNS1_3repE0EEENS1_36merge_oddeven_config_static_selectorELNS0_4arch9wavefront6targetE1EEEvSH_,@function
_ZN7rocprim17ROCPRIM_400000_NS6detail17trampoline_kernelINS0_14default_configENS1_38merge_sort_block_merge_config_selectorIalEEZZNS1_27merge_sort_block_merge_implIS3_PaN6thrust23THRUST_200600_302600_NS10device_ptrIlEEjNS1_19radix_merge_compareILb0ELb0EaNS0_19identity_decomposerEEEEE10hipError_tT0_T1_T2_jT3_P12ihipStream_tbPNSt15iterator_traitsISG_E10value_typeEPNSM_ISH_E10value_typeEPSI_NS1_7vsmem_tEENKUlT_SG_SH_SI_E_clIS7_S7_PlSB_EESF_SV_SG_SH_SI_EUlSV_E1_NS1_11comp_targetILNS1_3genE8ELNS1_11target_archE1030ELNS1_3gpuE2ELNS1_3repE0EEENS1_36merge_oddeven_config_static_selectorELNS0_4arch9wavefront6targetE1EEEvSH_: ; @_ZN7rocprim17ROCPRIM_400000_NS6detail17trampoline_kernelINS0_14default_configENS1_38merge_sort_block_merge_config_selectorIalEEZZNS1_27merge_sort_block_merge_implIS3_PaN6thrust23THRUST_200600_302600_NS10device_ptrIlEEjNS1_19radix_merge_compareILb0ELb0EaNS0_19identity_decomposerEEEEE10hipError_tT0_T1_T2_jT3_P12ihipStream_tbPNSt15iterator_traitsISG_E10value_typeEPNSM_ISH_E10value_typeEPSI_NS1_7vsmem_tEENKUlT_SG_SH_SI_E_clIS7_S7_PlSB_EESF_SV_SG_SH_SI_EUlSV_E1_NS1_11comp_targetILNS1_3genE8ELNS1_11target_archE1030ELNS1_3gpuE2ELNS1_3repE0EEENS1_36merge_oddeven_config_static_selectorELNS0_4arch9wavefront6targetE1EEEvSH_
; %bb.0:
	.section	.rodata,"a",@progbits
	.p2align	6, 0x0
	.amdhsa_kernel _ZN7rocprim17ROCPRIM_400000_NS6detail17trampoline_kernelINS0_14default_configENS1_38merge_sort_block_merge_config_selectorIalEEZZNS1_27merge_sort_block_merge_implIS3_PaN6thrust23THRUST_200600_302600_NS10device_ptrIlEEjNS1_19radix_merge_compareILb0ELb0EaNS0_19identity_decomposerEEEEE10hipError_tT0_T1_T2_jT3_P12ihipStream_tbPNSt15iterator_traitsISG_E10value_typeEPNSM_ISH_E10value_typeEPSI_NS1_7vsmem_tEENKUlT_SG_SH_SI_E_clIS7_S7_PlSB_EESF_SV_SG_SH_SI_EUlSV_E1_NS1_11comp_targetILNS1_3genE8ELNS1_11target_archE1030ELNS1_3gpuE2ELNS1_3repE0EEENS1_36merge_oddeven_config_static_selectorELNS0_4arch9wavefront6targetE1EEEvSH_
		.amdhsa_group_segment_fixed_size 0
		.amdhsa_private_segment_fixed_size 0
		.amdhsa_kernarg_size 48
		.amdhsa_user_sgpr_count 6
		.amdhsa_user_sgpr_private_segment_buffer 1
		.amdhsa_user_sgpr_dispatch_ptr 0
		.amdhsa_user_sgpr_queue_ptr 0
		.amdhsa_user_sgpr_kernarg_segment_ptr 1
		.amdhsa_user_sgpr_dispatch_id 0
		.amdhsa_user_sgpr_flat_scratch_init 0
		.amdhsa_user_sgpr_private_segment_size 0
		.amdhsa_uses_dynamic_stack 0
		.amdhsa_system_sgpr_private_segment_wavefront_offset 0
		.amdhsa_system_sgpr_workgroup_id_x 1
		.amdhsa_system_sgpr_workgroup_id_y 0
		.amdhsa_system_sgpr_workgroup_id_z 0
		.amdhsa_system_sgpr_workgroup_info 0
		.amdhsa_system_vgpr_workitem_id 0
		.amdhsa_next_free_vgpr 1
		.amdhsa_next_free_sgpr 0
		.amdhsa_reserve_vcc 0
		.amdhsa_reserve_flat_scratch 0
		.amdhsa_float_round_mode_32 0
		.amdhsa_float_round_mode_16_64 0
		.amdhsa_float_denorm_mode_32 3
		.amdhsa_float_denorm_mode_16_64 3
		.amdhsa_dx10_clamp 1
		.amdhsa_ieee_mode 1
		.amdhsa_fp16_overflow 0
		.amdhsa_exception_fp_ieee_invalid_op 0
		.amdhsa_exception_fp_denorm_src 0
		.amdhsa_exception_fp_ieee_div_zero 0
		.amdhsa_exception_fp_ieee_overflow 0
		.amdhsa_exception_fp_ieee_underflow 0
		.amdhsa_exception_fp_ieee_inexact 0
		.amdhsa_exception_int_div_zero 0
	.end_amdhsa_kernel
	.section	.text._ZN7rocprim17ROCPRIM_400000_NS6detail17trampoline_kernelINS0_14default_configENS1_38merge_sort_block_merge_config_selectorIalEEZZNS1_27merge_sort_block_merge_implIS3_PaN6thrust23THRUST_200600_302600_NS10device_ptrIlEEjNS1_19radix_merge_compareILb0ELb0EaNS0_19identity_decomposerEEEEE10hipError_tT0_T1_T2_jT3_P12ihipStream_tbPNSt15iterator_traitsISG_E10value_typeEPNSM_ISH_E10value_typeEPSI_NS1_7vsmem_tEENKUlT_SG_SH_SI_E_clIS7_S7_PlSB_EESF_SV_SG_SH_SI_EUlSV_E1_NS1_11comp_targetILNS1_3genE8ELNS1_11target_archE1030ELNS1_3gpuE2ELNS1_3repE0EEENS1_36merge_oddeven_config_static_selectorELNS0_4arch9wavefront6targetE1EEEvSH_,"axG",@progbits,_ZN7rocprim17ROCPRIM_400000_NS6detail17trampoline_kernelINS0_14default_configENS1_38merge_sort_block_merge_config_selectorIalEEZZNS1_27merge_sort_block_merge_implIS3_PaN6thrust23THRUST_200600_302600_NS10device_ptrIlEEjNS1_19radix_merge_compareILb0ELb0EaNS0_19identity_decomposerEEEEE10hipError_tT0_T1_T2_jT3_P12ihipStream_tbPNSt15iterator_traitsISG_E10value_typeEPNSM_ISH_E10value_typeEPSI_NS1_7vsmem_tEENKUlT_SG_SH_SI_E_clIS7_S7_PlSB_EESF_SV_SG_SH_SI_EUlSV_E1_NS1_11comp_targetILNS1_3genE8ELNS1_11target_archE1030ELNS1_3gpuE2ELNS1_3repE0EEENS1_36merge_oddeven_config_static_selectorELNS0_4arch9wavefront6targetE1EEEvSH_,comdat
.Lfunc_end501:
	.size	_ZN7rocprim17ROCPRIM_400000_NS6detail17trampoline_kernelINS0_14default_configENS1_38merge_sort_block_merge_config_selectorIalEEZZNS1_27merge_sort_block_merge_implIS3_PaN6thrust23THRUST_200600_302600_NS10device_ptrIlEEjNS1_19radix_merge_compareILb0ELb0EaNS0_19identity_decomposerEEEEE10hipError_tT0_T1_T2_jT3_P12ihipStream_tbPNSt15iterator_traitsISG_E10value_typeEPNSM_ISH_E10value_typeEPSI_NS1_7vsmem_tEENKUlT_SG_SH_SI_E_clIS7_S7_PlSB_EESF_SV_SG_SH_SI_EUlSV_E1_NS1_11comp_targetILNS1_3genE8ELNS1_11target_archE1030ELNS1_3gpuE2ELNS1_3repE0EEENS1_36merge_oddeven_config_static_selectorELNS0_4arch9wavefront6targetE1EEEvSH_, .Lfunc_end501-_ZN7rocprim17ROCPRIM_400000_NS6detail17trampoline_kernelINS0_14default_configENS1_38merge_sort_block_merge_config_selectorIalEEZZNS1_27merge_sort_block_merge_implIS3_PaN6thrust23THRUST_200600_302600_NS10device_ptrIlEEjNS1_19radix_merge_compareILb0ELb0EaNS0_19identity_decomposerEEEEE10hipError_tT0_T1_T2_jT3_P12ihipStream_tbPNSt15iterator_traitsISG_E10value_typeEPNSM_ISH_E10value_typeEPSI_NS1_7vsmem_tEENKUlT_SG_SH_SI_E_clIS7_S7_PlSB_EESF_SV_SG_SH_SI_EUlSV_E1_NS1_11comp_targetILNS1_3genE8ELNS1_11target_archE1030ELNS1_3gpuE2ELNS1_3repE0EEENS1_36merge_oddeven_config_static_selectorELNS0_4arch9wavefront6targetE1EEEvSH_
                                        ; -- End function
	.set _ZN7rocprim17ROCPRIM_400000_NS6detail17trampoline_kernelINS0_14default_configENS1_38merge_sort_block_merge_config_selectorIalEEZZNS1_27merge_sort_block_merge_implIS3_PaN6thrust23THRUST_200600_302600_NS10device_ptrIlEEjNS1_19radix_merge_compareILb0ELb0EaNS0_19identity_decomposerEEEEE10hipError_tT0_T1_T2_jT3_P12ihipStream_tbPNSt15iterator_traitsISG_E10value_typeEPNSM_ISH_E10value_typeEPSI_NS1_7vsmem_tEENKUlT_SG_SH_SI_E_clIS7_S7_PlSB_EESF_SV_SG_SH_SI_EUlSV_E1_NS1_11comp_targetILNS1_3genE8ELNS1_11target_archE1030ELNS1_3gpuE2ELNS1_3repE0EEENS1_36merge_oddeven_config_static_selectorELNS0_4arch9wavefront6targetE1EEEvSH_.num_vgpr, 0
	.set _ZN7rocprim17ROCPRIM_400000_NS6detail17trampoline_kernelINS0_14default_configENS1_38merge_sort_block_merge_config_selectorIalEEZZNS1_27merge_sort_block_merge_implIS3_PaN6thrust23THRUST_200600_302600_NS10device_ptrIlEEjNS1_19radix_merge_compareILb0ELb0EaNS0_19identity_decomposerEEEEE10hipError_tT0_T1_T2_jT3_P12ihipStream_tbPNSt15iterator_traitsISG_E10value_typeEPNSM_ISH_E10value_typeEPSI_NS1_7vsmem_tEENKUlT_SG_SH_SI_E_clIS7_S7_PlSB_EESF_SV_SG_SH_SI_EUlSV_E1_NS1_11comp_targetILNS1_3genE8ELNS1_11target_archE1030ELNS1_3gpuE2ELNS1_3repE0EEENS1_36merge_oddeven_config_static_selectorELNS0_4arch9wavefront6targetE1EEEvSH_.num_agpr, 0
	.set _ZN7rocprim17ROCPRIM_400000_NS6detail17trampoline_kernelINS0_14default_configENS1_38merge_sort_block_merge_config_selectorIalEEZZNS1_27merge_sort_block_merge_implIS3_PaN6thrust23THRUST_200600_302600_NS10device_ptrIlEEjNS1_19radix_merge_compareILb0ELb0EaNS0_19identity_decomposerEEEEE10hipError_tT0_T1_T2_jT3_P12ihipStream_tbPNSt15iterator_traitsISG_E10value_typeEPNSM_ISH_E10value_typeEPSI_NS1_7vsmem_tEENKUlT_SG_SH_SI_E_clIS7_S7_PlSB_EESF_SV_SG_SH_SI_EUlSV_E1_NS1_11comp_targetILNS1_3genE8ELNS1_11target_archE1030ELNS1_3gpuE2ELNS1_3repE0EEENS1_36merge_oddeven_config_static_selectorELNS0_4arch9wavefront6targetE1EEEvSH_.numbered_sgpr, 0
	.set _ZN7rocprim17ROCPRIM_400000_NS6detail17trampoline_kernelINS0_14default_configENS1_38merge_sort_block_merge_config_selectorIalEEZZNS1_27merge_sort_block_merge_implIS3_PaN6thrust23THRUST_200600_302600_NS10device_ptrIlEEjNS1_19radix_merge_compareILb0ELb0EaNS0_19identity_decomposerEEEEE10hipError_tT0_T1_T2_jT3_P12ihipStream_tbPNSt15iterator_traitsISG_E10value_typeEPNSM_ISH_E10value_typeEPSI_NS1_7vsmem_tEENKUlT_SG_SH_SI_E_clIS7_S7_PlSB_EESF_SV_SG_SH_SI_EUlSV_E1_NS1_11comp_targetILNS1_3genE8ELNS1_11target_archE1030ELNS1_3gpuE2ELNS1_3repE0EEENS1_36merge_oddeven_config_static_selectorELNS0_4arch9wavefront6targetE1EEEvSH_.num_named_barrier, 0
	.set _ZN7rocprim17ROCPRIM_400000_NS6detail17trampoline_kernelINS0_14default_configENS1_38merge_sort_block_merge_config_selectorIalEEZZNS1_27merge_sort_block_merge_implIS3_PaN6thrust23THRUST_200600_302600_NS10device_ptrIlEEjNS1_19radix_merge_compareILb0ELb0EaNS0_19identity_decomposerEEEEE10hipError_tT0_T1_T2_jT3_P12ihipStream_tbPNSt15iterator_traitsISG_E10value_typeEPNSM_ISH_E10value_typeEPSI_NS1_7vsmem_tEENKUlT_SG_SH_SI_E_clIS7_S7_PlSB_EESF_SV_SG_SH_SI_EUlSV_E1_NS1_11comp_targetILNS1_3genE8ELNS1_11target_archE1030ELNS1_3gpuE2ELNS1_3repE0EEENS1_36merge_oddeven_config_static_selectorELNS0_4arch9wavefront6targetE1EEEvSH_.private_seg_size, 0
	.set _ZN7rocprim17ROCPRIM_400000_NS6detail17trampoline_kernelINS0_14default_configENS1_38merge_sort_block_merge_config_selectorIalEEZZNS1_27merge_sort_block_merge_implIS3_PaN6thrust23THRUST_200600_302600_NS10device_ptrIlEEjNS1_19radix_merge_compareILb0ELb0EaNS0_19identity_decomposerEEEEE10hipError_tT0_T1_T2_jT3_P12ihipStream_tbPNSt15iterator_traitsISG_E10value_typeEPNSM_ISH_E10value_typeEPSI_NS1_7vsmem_tEENKUlT_SG_SH_SI_E_clIS7_S7_PlSB_EESF_SV_SG_SH_SI_EUlSV_E1_NS1_11comp_targetILNS1_3genE8ELNS1_11target_archE1030ELNS1_3gpuE2ELNS1_3repE0EEENS1_36merge_oddeven_config_static_selectorELNS0_4arch9wavefront6targetE1EEEvSH_.uses_vcc, 0
	.set _ZN7rocprim17ROCPRIM_400000_NS6detail17trampoline_kernelINS0_14default_configENS1_38merge_sort_block_merge_config_selectorIalEEZZNS1_27merge_sort_block_merge_implIS3_PaN6thrust23THRUST_200600_302600_NS10device_ptrIlEEjNS1_19radix_merge_compareILb0ELb0EaNS0_19identity_decomposerEEEEE10hipError_tT0_T1_T2_jT3_P12ihipStream_tbPNSt15iterator_traitsISG_E10value_typeEPNSM_ISH_E10value_typeEPSI_NS1_7vsmem_tEENKUlT_SG_SH_SI_E_clIS7_S7_PlSB_EESF_SV_SG_SH_SI_EUlSV_E1_NS1_11comp_targetILNS1_3genE8ELNS1_11target_archE1030ELNS1_3gpuE2ELNS1_3repE0EEENS1_36merge_oddeven_config_static_selectorELNS0_4arch9wavefront6targetE1EEEvSH_.uses_flat_scratch, 0
	.set _ZN7rocprim17ROCPRIM_400000_NS6detail17trampoline_kernelINS0_14default_configENS1_38merge_sort_block_merge_config_selectorIalEEZZNS1_27merge_sort_block_merge_implIS3_PaN6thrust23THRUST_200600_302600_NS10device_ptrIlEEjNS1_19radix_merge_compareILb0ELb0EaNS0_19identity_decomposerEEEEE10hipError_tT0_T1_T2_jT3_P12ihipStream_tbPNSt15iterator_traitsISG_E10value_typeEPNSM_ISH_E10value_typeEPSI_NS1_7vsmem_tEENKUlT_SG_SH_SI_E_clIS7_S7_PlSB_EESF_SV_SG_SH_SI_EUlSV_E1_NS1_11comp_targetILNS1_3genE8ELNS1_11target_archE1030ELNS1_3gpuE2ELNS1_3repE0EEENS1_36merge_oddeven_config_static_selectorELNS0_4arch9wavefront6targetE1EEEvSH_.has_dyn_sized_stack, 0
	.set _ZN7rocprim17ROCPRIM_400000_NS6detail17trampoline_kernelINS0_14default_configENS1_38merge_sort_block_merge_config_selectorIalEEZZNS1_27merge_sort_block_merge_implIS3_PaN6thrust23THRUST_200600_302600_NS10device_ptrIlEEjNS1_19radix_merge_compareILb0ELb0EaNS0_19identity_decomposerEEEEE10hipError_tT0_T1_T2_jT3_P12ihipStream_tbPNSt15iterator_traitsISG_E10value_typeEPNSM_ISH_E10value_typeEPSI_NS1_7vsmem_tEENKUlT_SG_SH_SI_E_clIS7_S7_PlSB_EESF_SV_SG_SH_SI_EUlSV_E1_NS1_11comp_targetILNS1_3genE8ELNS1_11target_archE1030ELNS1_3gpuE2ELNS1_3repE0EEENS1_36merge_oddeven_config_static_selectorELNS0_4arch9wavefront6targetE1EEEvSH_.has_recursion, 0
	.set _ZN7rocprim17ROCPRIM_400000_NS6detail17trampoline_kernelINS0_14default_configENS1_38merge_sort_block_merge_config_selectorIalEEZZNS1_27merge_sort_block_merge_implIS3_PaN6thrust23THRUST_200600_302600_NS10device_ptrIlEEjNS1_19radix_merge_compareILb0ELb0EaNS0_19identity_decomposerEEEEE10hipError_tT0_T1_T2_jT3_P12ihipStream_tbPNSt15iterator_traitsISG_E10value_typeEPNSM_ISH_E10value_typeEPSI_NS1_7vsmem_tEENKUlT_SG_SH_SI_E_clIS7_S7_PlSB_EESF_SV_SG_SH_SI_EUlSV_E1_NS1_11comp_targetILNS1_3genE8ELNS1_11target_archE1030ELNS1_3gpuE2ELNS1_3repE0EEENS1_36merge_oddeven_config_static_selectorELNS0_4arch9wavefront6targetE1EEEvSH_.has_indirect_call, 0
	.section	.AMDGPU.csdata,"",@progbits
; Kernel info:
; codeLenInByte = 0
; TotalNumSgprs: 4
; NumVgprs: 0
; ScratchSize: 0
; MemoryBound: 0
; FloatMode: 240
; IeeeMode: 1
; LDSByteSize: 0 bytes/workgroup (compile time only)
; SGPRBlocks: 0
; VGPRBlocks: 0
; NumSGPRsForWavesPerEU: 4
; NumVGPRsForWavesPerEU: 1
; Occupancy: 10
; WaveLimiterHint : 0
; COMPUTE_PGM_RSRC2:SCRATCH_EN: 0
; COMPUTE_PGM_RSRC2:USER_SGPR: 6
; COMPUTE_PGM_RSRC2:TRAP_HANDLER: 0
; COMPUTE_PGM_RSRC2:TGID_X_EN: 1
; COMPUTE_PGM_RSRC2:TGID_Y_EN: 0
; COMPUTE_PGM_RSRC2:TGID_Z_EN: 0
; COMPUTE_PGM_RSRC2:TIDIG_COMP_CNT: 0
	.section	.text._ZN7rocprim17ROCPRIM_400000_NS6detail17trampoline_kernelINS0_14default_configENS1_38merge_sort_block_merge_config_selectorIalEEZZNS1_27merge_sort_block_merge_implIS3_PaN6thrust23THRUST_200600_302600_NS10device_ptrIlEEjNS1_19radix_merge_compareILb0ELb0EaNS0_19identity_decomposerEEEEE10hipError_tT0_T1_T2_jT3_P12ihipStream_tbPNSt15iterator_traitsISG_E10value_typeEPNSM_ISH_E10value_typeEPSI_NS1_7vsmem_tEENKUlT_SG_SH_SI_E_clIS7_S7_SB_PlEESF_SV_SG_SH_SI_EUlSV_E_NS1_11comp_targetILNS1_3genE0ELNS1_11target_archE4294967295ELNS1_3gpuE0ELNS1_3repE0EEENS1_48merge_mergepath_partition_config_static_selectorELNS0_4arch9wavefront6targetE1EEEvSH_,"axG",@progbits,_ZN7rocprim17ROCPRIM_400000_NS6detail17trampoline_kernelINS0_14default_configENS1_38merge_sort_block_merge_config_selectorIalEEZZNS1_27merge_sort_block_merge_implIS3_PaN6thrust23THRUST_200600_302600_NS10device_ptrIlEEjNS1_19radix_merge_compareILb0ELb0EaNS0_19identity_decomposerEEEEE10hipError_tT0_T1_T2_jT3_P12ihipStream_tbPNSt15iterator_traitsISG_E10value_typeEPNSM_ISH_E10value_typeEPSI_NS1_7vsmem_tEENKUlT_SG_SH_SI_E_clIS7_S7_SB_PlEESF_SV_SG_SH_SI_EUlSV_E_NS1_11comp_targetILNS1_3genE0ELNS1_11target_archE4294967295ELNS1_3gpuE0ELNS1_3repE0EEENS1_48merge_mergepath_partition_config_static_selectorELNS0_4arch9wavefront6targetE1EEEvSH_,comdat
	.protected	_ZN7rocprim17ROCPRIM_400000_NS6detail17trampoline_kernelINS0_14default_configENS1_38merge_sort_block_merge_config_selectorIalEEZZNS1_27merge_sort_block_merge_implIS3_PaN6thrust23THRUST_200600_302600_NS10device_ptrIlEEjNS1_19radix_merge_compareILb0ELb0EaNS0_19identity_decomposerEEEEE10hipError_tT0_T1_T2_jT3_P12ihipStream_tbPNSt15iterator_traitsISG_E10value_typeEPNSM_ISH_E10value_typeEPSI_NS1_7vsmem_tEENKUlT_SG_SH_SI_E_clIS7_S7_SB_PlEESF_SV_SG_SH_SI_EUlSV_E_NS1_11comp_targetILNS1_3genE0ELNS1_11target_archE4294967295ELNS1_3gpuE0ELNS1_3repE0EEENS1_48merge_mergepath_partition_config_static_selectorELNS0_4arch9wavefront6targetE1EEEvSH_ ; -- Begin function _ZN7rocprim17ROCPRIM_400000_NS6detail17trampoline_kernelINS0_14default_configENS1_38merge_sort_block_merge_config_selectorIalEEZZNS1_27merge_sort_block_merge_implIS3_PaN6thrust23THRUST_200600_302600_NS10device_ptrIlEEjNS1_19radix_merge_compareILb0ELb0EaNS0_19identity_decomposerEEEEE10hipError_tT0_T1_T2_jT3_P12ihipStream_tbPNSt15iterator_traitsISG_E10value_typeEPNSM_ISH_E10value_typeEPSI_NS1_7vsmem_tEENKUlT_SG_SH_SI_E_clIS7_S7_SB_PlEESF_SV_SG_SH_SI_EUlSV_E_NS1_11comp_targetILNS1_3genE0ELNS1_11target_archE4294967295ELNS1_3gpuE0ELNS1_3repE0EEENS1_48merge_mergepath_partition_config_static_selectorELNS0_4arch9wavefront6targetE1EEEvSH_
	.globl	_ZN7rocprim17ROCPRIM_400000_NS6detail17trampoline_kernelINS0_14default_configENS1_38merge_sort_block_merge_config_selectorIalEEZZNS1_27merge_sort_block_merge_implIS3_PaN6thrust23THRUST_200600_302600_NS10device_ptrIlEEjNS1_19radix_merge_compareILb0ELb0EaNS0_19identity_decomposerEEEEE10hipError_tT0_T1_T2_jT3_P12ihipStream_tbPNSt15iterator_traitsISG_E10value_typeEPNSM_ISH_E10value_typeEPSI_NS1_7vsmem_tEENKUlT_SG_SH_SI_E_clIS7_S7_SB_PlEESF_SV_SG_SH_SI_EUlSV_E_NS1_11comp_targetILNS1_3genE0ELNS1_11target_archE4294967295ELNS1_3gpuE0ELNS1_3repE0EEENS1_48merge_mergepath_partition_config_static_selectorELNS0_4arch9wavefront6targetE1EEEvSH_
	.p2align	8
	.type	_ZN7rocprim17ROCPRIM_400000_NS6detail17trampoline_kernelINS0_14default_configENS1_38merge_sort_block_merge_config_selectorIalEEZZNS1_27merge_sort_block_merge_implIS3_PaN6thrust23THRUST_200600_302600_NS10device_ptrIlEEjNS1_19radix_merge_compareILb0ELb0EaNS0_19identity_decomposerEEEEE10hipError_tT0_T1_T2_jT3_P12ihipStream_tbPNSt15iterator_traitsISG_E10value_typeEPNSM_ISH_E10value_typeEPSI_NS1_7vsmem_tEENKUlT_SG_SH_SI_E_clIS7_S7_SB_PlEESF_SV_SG_SH_SI_EUlSV_E_NS1_11comp_targetILNS1_3genE0ELNS1_11target_archE4294967295ELNS1_3gpuE0ELNS1_3repE0EEENS1_48merge_mergepath_partition_config_static_selectorELNS0_4arch9wavefront6targetE1EEEvSH_,@function
_ZN7rocprim17ROCPRIM_400000_NS6detail17trampoline_kernelINS0_14default_configENS1_38merge_sort_block_merge_config_selectorIalEEZZNS1_27merge_sort_block_merge_implIS3_PaN6thrust23THRUST_200600_302600_NS10device_ptrIlEEjNS1_19radix_merge_compareILb0ELb0EaNS0_19identity_decomposerEEEEE10hipError_tT0_T1_T2_jT3_P12ihipStream_tbPNSt15iterator_traitsISG_E10value_typeEPNSM_ISH_E10value_typeEPSI_NS1_7vsmem_tEENKUlT_SG_SH_SI_E_clIS7_S7_SB_PlEESF_SV_SG_SH_SI_EUlSV_E_NS1_11comp_targetILNS1_3genE0ELNS1_11target_archE4294967295ELNS1_3gpuE0ELNS1_3repE0EEENS1_48merge_mergepath_partition_config_static_selectorELNS0_4arch9wavefront6targetE1EEEvSH_: ; @_ZN7rocprim17ROCPRIM_400000_NS6detail17trampoline_kernelINS0_14default_configENS1_38merge_sort_block_merge_config_selectorIalEEZZNS1_27merge_sort_block_merge_implIS3_PaN6thrust23THRUST_200600_302600_NS10device_ptrIlEEjNS1_19radix_merge_compareILb0ELb0EaNS0_19identity_decomposerEEEEE10hipError_tT0_T1_T2_jT3_P12ihipStream_tbPNSt15iterator_traitsISG_E10value_typeEPNSM_ISH_E10value_typeEPSI_NS1_7vsmem_tEENKUlT_SG_SH_SI_E_clIS7_S7_SB_PlEESF_SV_SG_SH_SI_EUlSV_E_NS1_11comp_targetILNS1_3genE0ELNS1_11target_archE4294967295ELNS1_3gpuE0ELNS1_3repE0EEENS1_48merge_mergepath_partition_config_static_selectorELNS0_4arch9wavefront6targetE1EEEvSH_
; %bb.0:
	.section	.rodata,"a",@progbits
	.p2align	6, 0x0
	.amdhsa_kernel _ZN7rocprim17ROCPRIM_400000_NS6detail17trampoline_kernelINS0_14default_configENS1_38merge_sort_block_merge_config_selectorIalEEZZNS1_27merge_sort_block_merge_implIS3_PaN6thrust23THRUST_200600_302600_NS10device_ptrIlEEjNS1_19radix_merge_compareILb0ELb0EaNS0_19identity_decomposerEEEEE10hipError_tT0_T1_T2_jT3_P12ihipStream_tbPNSt15iterator_traitsISG_E10value_typeEPNSM_ISH_E10value_typeEPSI_NS1_7vsmem_tEENKUlT_SG_SH_SI_E_clIS7_S7_SB_PlEESF_SV_SG_SH_SI_EUlSV_E_NS1_11comp_targetILNS1_3genE0ELNS1_11target_archE4294967295ELNS1_3gpuE0ELNS1_3repE0EEENS1_48merge_mergepath_partition_config_static_selectorELNS0_4arch9wavefront6targetE1EEEvSH_
		.amdhsa_group_segment_fixed_size 0
		.amdhsa_private_segment_fixed_size 0
		.amdhsa_kernarg_size 40
		.amdhsa_user_sgpr_count 6
		.amdhsa_user_sgpr_private_segment_buffer 1
		.amdhsa_user_sgpr_dispatch_ptr 0
		.amdhsa_user_sgpr_queue_ptr 0
		.amdhsa_user_sgpr_kernarg_segment_ptr 1
		.amdhsa_user_sgpr_dispatch_id 0
		.amdhsa_user_sgpr_flat_scratch_init 0
		.amdhsa_user_sgpr_private_segment_size 0
		.amdhsa_uses_dynamic_stack 0
		.amdhsa_system_sgpr_private_segment_wavefront_offset 0
		.amdhsa_system_sgpr_workgroup_id_x 1
		.amdhsa_system_sgpr_workgroup_id_y 0
		.amdhsa_system_sgpr_workgroup_id_z 0
		.amdhsa_system_sgpr_workgroup_info 0
		.amdhsa_system_vgpr_workitem_id 0
		.amdhsa_next_free_vgpr 1
		.amdhsa_next_free_sgpr 0
		.amdhsa_reserve_vcc 0
		.amdhsa_reserve_flat_scratch 0
		.amdhsa_float_round_mode_32 0
		.amdhsa_float_round_mode_16_64 0
		.amdhsa_float_denorm_mode_32 3
		.amdhsa_float_denorm_mode_16_64 3
		.amdhsa_dx10_clamp 1
		.amdhsa_ieee_mode 1
		.amdhsa_fp16_overflow 0
		.amdhsa_exception_fp_ieee_invalid_op 0
		.amdhsa_exception_fp_denorm_src 0
		.amdhsa_exception_fp_ieee_div_zero 0
		.amdhsa_exception_fp_ieee_overflow 0
		.amdhsa_exception_fp_ieee_underflow 0
		.amdhsa_exception_fp_ieee_inexact 0
		.amdhsa_exception_int_div_zero 0
	.end_amdhsa_kernel
	.section	.text._ZN7rocprim17ROCPRIM_400000_NS6detail17trampoline_kernelINS0_14default_configENS1_38merge_sort_block_merge_config_selectorIalEEZZNS1_27merge_sort_block_merge_implIS3_PaN6thrust23THRUST_200600_302600_NS10device_ptrIlEEjNS1_19radix_merge_compareILb0ELb0EaNS0_19identity_decomposerEEEEE10hipError_tT0_T1_T2_jT3_P12ihipStream_tbPNSt15iterator_traitsISG_E10value_typeEPNSM_ISH_E10value_typeEPSI_NS1_7vsmem_tEENKUlT_SG_SH_SI_E_clIS7_S7_SB_PlEESF_SV_SG_SH_SI_EUlSV_E_NS1_11comp_targetILNS1_3genE0ELNS1_11target_archE4294967295ELNS1_3gpuE0ELNS1_3repE0EEENS1_48merge_mergepath_partition_config_static_selectorELNS0_4arch9wavefront6targetE1EEEvSH_,"axG",@progbits,_ZN7rocprim17ROCPRIM_400000_NS6detail17trampoline_kernelINS0_14default_configENS1_38merge_sort_block_merge_config_selectorIalEEZZNS1_27merge_sort_block_merge_implIS3_PaN6thrust23THRUST_200600_302600_NS10device_ptrIlEEjNS1_19radix_merge_compareILb0ELb0EaNS0_19identity_decomposerEEEEE10hipError_tT0_T1_T2_jT3_P12ihipStream_tbPNSt15iterator_traitsISG_E10value_typeEPNSM_ISH_E10value_typeEPSI_NS1_7vsmem_tEENKUlT_SG_SH_SI_E_clIS7_S7_SB_PlEESF_SV_SG_SH_SI_EUlSV_E_NS1_11comp_targetILNS1_3genE0ELNS1_11target_archE4294967295ELNS1_3gpuE0ELNS1_3repE0EEENS1_48merge_mergepath_partition_config_static_selectorELNS0_4arch9wavefront6targetE1EEEvSH_,comdat
.Lfunc_end502:
	.size	_ZN7rocprim17ROCPRIM_400000_NS6detail17trampoline_kernelINS0_14default_configENS1_38merge_sort_block_merge_config_selectorIalEEZZNS1_27merge_sort_block_merge_implIS3_PaN6thrust23THRUST_200600_302600_NS10device_ptrIlEEjNS1_19radix_merge_compareILb0ELb0EaNS0_19identity_decomposerEEEEE10hipError_tT0_T1_T2_jT3_P12ihipStream_tbPNSt15iterator_traitsISG_E10value_typeEPNSM_ISH_E10value_typeEPSI_NS1_7vsmem_tEENKUlT_SG_SH_SI_E_clIS7_S7_SB_PlEESF_SV_SG_SH_SI_EUlSV_E_NS1_11comp_targetILNS1_3genE0ELNS1_11target_archE4294967295ELNS1_3gpuE0ELNS1_3repE0EEENS1_48merge_mergepath_partition_config_static_selectorELNS0_4arch9wavefront6targetE1EEEvSH_, .Lfunc_end502-_ZN7rocprim17ROCPRIM_400000_NS6detail17trampoline_kernelINS0_14default_configENS1_38merge_sort_block_merge_config_selectorIalEEZZNS1_27merge_sort_block_merge_implIS3_PaN6thrust23THRUST_200600_302600_NS10device_ptrIlEEjNS1_19radix_merge_compareILb0ELb0EaNS0_19identity_decomposerEEEEE10hipError_tT0_T1_T2_jT3_P12ihipStream_tbPNSt15iterator_traitsISG_E10value_typeEPNSM_ISH_E10value_typeEPSI_NS1_7vsmem_tEENKUlT_SG_SH_SI_E_clIS7_S7_SB_PlEESF_SV_SG_SH_SI_EUlSV_E_NS1_11comp_targetILNS1_3genE0ELNS1_11target_archE4294967295ELNS1_3gpuE0ELNS1_3repE0EEENS1_48merge_mergepath_partition_config_static_selectorELNS0_4arch9wavefront6targetE1EEEvSH_
                                        ; -- End function
	.set _ZN7rocprim17ROCPRIM_400000_NS6detail17trampoline_kernelINS0_14default_configENS1_38merge_sort_block_merge_config_selectorIalEEZZNS1_27merge_sort_block_merge_implIS3_PaN6thrust23THRUST_200600_302600_NS10device_ptrIlEEjNS1_19radix_merge_compareILb0ELb0EaNS0_19identity_decomposerEEEEE10hipError_tT0_T1_T2_jT3_P12ihipStream_tbPNSt15iterator_traitsISG_E10value_typeEPNSM_ISH_E10value_typeEPSI_NS1_7vsmem_tEENKUlT_SG_SH_SI_E_clIS7_S7_SB_PlEESF_SV_SG_SH_SI_EUlSV_E_NS1_11comp_targetILNS1_3genE0ELNS1_11target_archE4294967295ELNS1_3gpuE0ELNS1_3repE0EEENS1_48merge_mergepath_partition_config_static_selectorELNS0_4arch9wavefront6targetE1EEEvSH_.num_vgpr, 0
	.set _ZN7rocprim17ROCPRIM_400000_NS6detail17trampoline_kernelINS0_14default_configENS1_38merge_sort_block_merge_config_selectorIalEEZZNS1_27merge_sort_block_merge_implIS3_PaN6thrust23THRUST_200600_302600_NS10device_ptrIlEEjNS1_19radix_merge_compareILb0ELb0EaNS0_19identity_decomposerEEEEE10hipError_tT0_T1_T2_jT3_P12ihipStream_tbPNSt15iterator_traitsISG_E10value_typeEPNSM_ISH_E10value_typeEPSI_NS1_7vsmem_tEENKUlT_SG_SH_SI_E_clIS7_S7_SB_PlEESF_SV_SG_SH_SI_EUlSV_E_NS1_11comp_targetILNS1_3genE0ELNS1_11target_archE4294967295ELNS1_3gpuE0ELNS1_3repE0EEENS1_48merge_mergepath_partition_config_static_selectorELNS0_4arch9wavefront6targetE1EEEvSH_.num_agpr, 0
	.set _ZN7rocprim17ROCPRIM_400000_NS6detail17trampoline_kernelINS0_14default_configENS1_38merge_sort_block_merge_config_selectorIalEEZZNS1_27merge_sort_block_merge_implIS3_PaN6thrust23THRUST_200600_302600_NS10device_ptrIlEEjNS1_19radix_merge_compareILb0ELb0EaNS0_19identity_decomposerEEEEE10hipError_tT0_T1_T2_jT3_P12ihipStream_tbPNSt15iterator_traitsISG_E10value_typeEPNSM_ISH_E10value_typeEPSI_NS1_7vsmem_tEENKUlT_SG_SH_SI_E_clIS7_S7_SB_PlEESF_SV_SG_SH_SI_EUlSV_E_NS1_11comp_targetILNS1_3genE0ELNS1_11target_archE4294967295ELNS1_3gpuE0ELNS1_3repE0EEENS1_48merge_mergepath_partition_config_static_selectorELNS0_4arch9wavefront6targetE1EEEvSH_.numbered_sgpr, 0
	.set _ZN7rocprim17ROCPRIM_400000_NS6detail17trampoline_kernelINS0_14default_configENS1_38merge_sort_block_merge_config_selectorIalEEZZNS1_27merge_sort_block_merge_implIS3_PaN6thrust23THRUST_200600_302600_NS10device_ptrIlEEjNS1_19radix_merge_compareILb0ELb0EaNS0_19identity_decomposerEEEEE10hipError_tT0_T1_T2_jT3_P12ihipStream_tbPNSt15iterator_traitsISG_E10value_typeEPNSM_ISH_E10value_typeEPSI_NS1_7vsmem_tEENKUlT_SG_SH_SI_E_clIS7_S7_SB_PlEESF_SV_SG_SH_SI_EUlSV_E_NS1_11comp_targetILNS1_3genE0ELNS1_11target_archE4294967295ELNS1_3gpuE0ELNS1_3repE0EEENS1_48merge_mergepath_partition_config_static_selectorELNS0_4arch9wavefront6targetE1EEEvSH_.num_named_barrier, 0
	.set _ZN7rocprim17ROCPRIM_400000_NS6detail17trampoline_kernelINS0_14default_configENS1_38merge_sort_block_merge_config_selectorIalEEZZNS1_27merge_sort_block_merge_implIS3_PaN6thrust23THRUST_200600_302600_NS10device_ptrIlEEjNS1_19radix_merge_compareILb0ELb0EaNS0_19identity_decomposerEEEEE10hipError_tT0_T1_T2_jT3_P12ihipStream_tbPNSt15iterator_traitsISG_E10value_typeEPNSM_ISH_E10value_typeEPSI_NS1_7vsmem_tEENKUlT_SG_SH_SI_E_clIS7_S7_SB_PlEESF_SV_SG_SH_SI_EUlSV_E_NS1_11comp_targetILNS1_3genE0ELNS1_11target_archE4294967295ELNS1_3gpuE0ELNS1_3repE0EEENS1_48merge_mergepath_partition_config_static_selectorELNS0_4arch9wavefront6targetE1EEEvSH_.private_seg_size, 0
	.set _ZN7rocprim17ROCPRIM_400000_NS6detail17trampoline_kernelINS0_14default_configENS1_38merge_sort_block_merge_config_selectorIalEEZZNS1_27merge_sort_block_merge_implIS3_PaN6thrust23THRUST_200600_302600_NS10device_ptrIlEEjNS1_19radix_merge_compareILb0ELb0EaNS0_19identity_decomposerEEEEE10hipError_tT0_T1_T2_jT3_P12ihipStream_tbPNSt15iterator_traitsISG_E10value_typeEPNSM_ISH_E10value_typeEPSI_NS1_7vsmem_tEENKUlT_SG_SH_SI_E_clIS7_S7_SB_PlEESF_SV_SG_SH_SI_EUlSV_E_NS1_11comp_targetILNS1_3genE0ELNS1_11target_archE4294967295ELNS1_3gpuE0ELNS1_3repE0EEENS1_48merge_mergepath_partition_config_static_selectorELNS0_4arch9wavefront6targetE1EEEvSH_.uses_vcc, 0
	.set _ZN7rocprim17ROCPRIM_400000_NS6detail17trampoline_kernelINS0_14default_configENS1_38merge_sort_block_merge_config_selectorIalEEZZNS1_27merge_sort_block_merge_implIS3_PaN6thrust23THRUST_200600_302600_NS10device_ptrIlEEjNS1_19radix_merge_compareILb0ELb0EaNS0_19identity_decomposerEEEEE10hipError_tT0_T1_T2_jT3_P12ihipStream_tbPNSt15iterator_traitsISG_E10value_typeEPNSM_ISH_E10value_typeEPSI_NS1_7vsmem_tEENKUlT_SG_SH_SI_E_clIS7_S7_SB_PlEESF_SV_SG_SH_SI_EUlSV_E_NS1_11comp_targetILNS1_3genE0ELNS1_11target_archE4294967295ELNS1_3gpuE0ELNS1_3repE0EEENS1_48merge_mergepath_partition_config_static_selectorELNS0_4arch9wavefront6targetE1EEEvSH_.uses_flat_scratch, 0
	.set _ZN7rocprim17ROCPRIM_400000_NS6detail17trampoline_kernelINS0_14default_configENS1_38merge_sort_block_merge_config_selectorIalEEZZNS1_27merge_sort_block_merge_implIS3_PaN6thrust23THRUST_200600_302600_NS10device_ptrIlEEjNS1_19radix_merge_compareILb0ELb0EaNS0_19identity_decomposerEEEEE10hipError_tT0_T1_T2_jT3_P12ihipStream_tbPNSt15iterator_traitsISG_E10value_typeEPNSM_ISH_E10value_typeEPSI_NS1_7vsmem_tEENKUlT_SG_SH_SI_E_clIS7_S7_SB_PlEESF_SV_SG_SH_SI_EUlSV_E_NS1_11comp_targetILNS1_3genE0ELNS1_11target_archE4294967295ELNS1_3gpuE0ELNS1_3repE0EEENS1_48merge_mergepath_partition_config_static_selectorELNS0_4arch9wavefront6targetE1EEEvSH_.has_dyn_sized_stack, 0
	.set _ZN7rocprim17ROCPRIM_400000_NS6detail17trampoline_kernelINS0_14default_configENS1_38merge_sort_block_merge_config_selectorIalEEZZNS1_27merge_sort_block_merge_implIS3_PaN6thrust23THRUST_200600_302600_NS10device_ptrIlEEjNS1_19radix_merge_compareILb0ELb0EaNS0_19identity_decomposerEEEEE10hipError_tT0_T1_T2_jT3_P12ihipStream_tbPNSt15iterator_traitsISG_E10value_typeEPNSM_ISH_E10value_typeEPSI_NS1_7vsmem_tEENKUlT_SG_SH_SI_E_clIS7_S7_SB_PlEESF_SV_SG_SH_SI_EUlSV_E_NS1_11comp_targetILNS1_3genE0ELNS1_11target_archE4294967295ELNS1_3gpuE0ELNS1_3repE0EEENS1_48merge_mergepath_partition_config_static_selectorELNS0_4arch9wavefront6targetE1EEEvSH_.has_recursion, 0
	.set _ZN7rocprim17ROCPRIM_400000_NS6detail17trampoline_kernelINS0_14default_configENS1_38merge_sort_block_merge_config_selectorIalEEZZNS1_27merge_sort_block_merge_implIS3_PaN6thrust23THRUST_200600_302600_NS10device_ptrIlEEjNS1_19radix_merge_compareILb0ELb0EaNS0_19identity_decomposerEEEEE10hipError_tT0_T1_T2_jT3_P12ihipStream_tbPNSt15iterator_traitsISG_E10value_typeEPNSM_ISH_E10value_typeEPSI_NS1_7vsmem_tEENKUlT_SG_SH_SI_E_clIS7_S7_SB_PlEESF_SV_SG_SH_SI_EUlSV_E_NS1_11comp_targetILNS1_3genE0ELNS1_11target_archE4294967295ELNS1_3gpuE0ELNS1_3repE0EEENS1_48merge_mergepath_partition_config_static_selectorELNS0_4arch9wavefront6targetE1EEEvSH_.has_indirect_call, 0
	.section	.AMDGPU.csdata,"",@progbits
; Kernel info:
; codeLenInByte = 0
; TotalNumSgprs: 4
; NumVgprs: 0
; ScratchSize: 0
; MemoryBound: 0
; FloatMode: 240
; IeeeMode: 1
; LDSByteSize: 0 bytes/workgroup (compile time only)
; SGPRBlocks: 0
; VGPRBlocks: 0
; NumSGPRsForWavesPerEU: 4
; NumVGPRsForWavesPerEU: 1
; Occupancy: 10
; WaveLimiterHint : 0
; COMPUTE_PGM_RSRC2:SCRATCH_EN: 0
; COMPUTE_PGM_RSRC2:USER_SGPR: 6
; COMPUTE_PGM_RSRC2:TRAP_HANDLER: 0
; COMPUTE_PGM_RSRC2:TGID_X_EN: 1
; COMPUTE_PGM_RSRC2:TGID_Y_EN: 0
; COMPUTE_PGM_RSRC2:TGID_Z_EN: 0
; COMPUTE_PGM_RSRC2:TIDIG_COMP_CNT: 0
	.section	.text._ZN7rocprim17ROCPRIM_400000_NS6detail17trampoline_kernelINS0_14default_configENS1_38merge_sort_block_merge_config_selectorIalEEZZNS1_27merge_sort_block_merge_implIS3_PaN6thrust23THRUST_200600_302600_NS10device_ptrIlEEjNS1_19radix_merge_compareILb0ELb0EaNS0_19identity_decomposerEEEEE10hipError_tT0_T1_T2_jT3_P12ihipStream_tbPNSt15iterator_traitsISG_E10value_typeEPNSM_ISH_E10value_typeEPSI_NS1_7vsmem_tEENKUlT_SG_SH_SI_E_clIS7_S7_SB_PlEESF_SV_SG_SH_SI_EUlSV_E_NS1_11comp_targetILNS1_3genE10ELNS1_11target_archE1201ELNS1_3gpuE5ELNS1_3repE0EEENS1_48merge_mergepath_partition_config_static_selectorELNS0_4arch9wavefront6targetE1EEEvSH_,"axG",@progbits,_ZN7rocprim17ROCPRIM_400000_NS6detail17trampoline_kernelINS0_14default_configENS1_38merge_sort_block_merge_config_selectorIalEEZZNS1_27merge_sort_block_merge_implIS3_PaN6thrust23THRUST_200600_302600_NS10device_ptrIlEEjNS1_19radix_merge_compareILb0ELb0EaNS0_19identity_decomposerEEEEE10hipError_tT0_T1_T2_jT3_P12ihipStream_tbPNSt15iterator_traitsISG_E10value_typeEPNSM_ISH_E10value_typeEPSI_NS1_7vsmem_tEENKUlT_SG_SH_SI_E_clIS7_S7_SB_PlEESF_SV_SG_SH_SI_EUlSV_E_NS1_11comp_targetILNS1_3genE10ELNS1_11target_archE1201ELNS1_3gpuE5ELNS1_3repE0EEENS1_48merge_mergepath_partition_config_static_selectorELNS0_4arch9wavefront6targetE1EEEvSH_,comdat
	.protected	_ZN7rocprim17ROCPRIM_400000_NS6detail17trampoline_kernelINS0_14default_configENS1_38merge_sort_block_merge_config_selectorIalEEZZNS1_27merge_sort_block_merge_implIS3_PaN6thrust23THRUST_200600_302600_NS10device_ptrIlEEjNS1_19radix_merge_compareILb0ELb0EaNS0_19identity_decomposerEEEEE10hipError_tT0_T1_T2_jT3_P12ihipStream_tbPNSt15iterator_traitsISG_E10value_typeEPNSM_ISH_E10value_typeEPSI_NS1_7vsmem_tEENKUlT_SG_SH_SI_E_clIS7_S7_SB_PlEESF_SV_SG_SH_SI_EUlSV_E_NS1_11comp_targetILNS1_3genE10ELNS1_11target_archE1201ELNS1_3gpuE5ELNS1_3repE0EEENS1_48merge_mergepath_partition_config_static_selectorELNS0_4arch9wavefront6targetE1EEEvSH_ ; -- Begin function _ZN7rocprim17ROCPRIM_400000_NS6detail17trampoline_kernelINS0_14default_configENS1_38merge_sort_block_merge_config_selectorIalEEZZNS1_27merge_sort_block_merge_implIS3_PaN6thrust23THRUST_200600_302600_NS10device_ptrIlEEjNS1_19radix_merge_compareILb0ELb0EaNS0_19identity_decomposerEEEEE10hipError_tT0_T1_T2_jT3_P12ihipStream_tbPNSt15iterator_traitsISG_E10value_typeEPNSM_ISH_E10value_typeEPSI_NS1_7vsmem_tEENKUlT_SG_SH_SI_E_clIS7_S7_SB_PlEESF_SV_SG_SH_SI_EUlSV_E_NS1_11comp_targetILNS1_3genE10ELNS1_11target_archE1201ELNS1_3gpuE5ELNS1_3repE0EEENS1_48merge_mergepath_partition_config_static_selectorELNS0_4arch9wavefront6targetE1EEEvSH_
	.globl	_ZN7rocprim17ROCPRIM_400000_NS6detail17trampoline_kernelINS0_14default_configENS1_38merge_sort_block_merge_config_selectorIalEEZZNS1_27merge_sort_block_merge_implIS3_PaN6thrust23THRUST_200600_302600_NS10device_ptrIlEEjNS1_19radix_merge_compareILb0ELb0EaNS0_19identity_decomposerEEEEE10hipError_tT0_T1_T2_jT3_P12ihipStream_tbPNSt15iterator_traitsISG_E10value_typeEPNSM_ISH_E10value_typeEPSI_NS1_7vsmem_tEENKUlT_SG_SH_SI_E_clIS7_S7_SB_PlEESF_SV_SG_SH_SI_EUlSV_E_NS1_11comp_targetILNS1_3genE10ELNS1_11target_archE1201ELNS1_3gpuE5ELNS1_3repE0EEENS1_48merge_mergepath_partition_config_static_selectorELNS0_4arch9wavefront6targetE1EEEvSH_
	.p2align	8
	.type	_ZN7rocprim17ROCPRIM_400000_NS6detail17trampoline_kernelINS0_14default_configENS1_38merge_sort_block_merge_config_selectorIalEEZZNS1_27merge_sort_block_merge_implIS3_PaN6thrust23THRUST_200600_302600_NS10device_ptrIlEEjNS1_19radix_merge_compareILb0ELb0EaNS0_19identity_decomposerEEEEE10hipError_tT0_T1_T2_jT3_P12ihipStream_tbPNSt15iterator_traitsISG_E10value_typeEPNSM_ISH_E10value_typeEPSI_NS1_7vsmem_tEENKUlT_SG_SH_SI_E_clIS7_S7_SB_PlEESF_SV_SG_SH_SI_EUlSV_E_NS1_11comp_targetILNS1_3genE10ELNS1_11target_archE1201ELNS1_3gpuE5ELNS1_3repE0EEENS1_48merge_mergepath_partition_config_static_selectorELNS0_4arch9wavefront6targetE1EEEvSH_,@function
_ZN7rocprim17ROCPRIM_400000_NS6detail17trampoline_kernelINS0_14default_configENS1_38merge_sort_block_merge_config_selectorIalEEZZNS1_27merge_sort_block_merge_implIS3_PaN6thrust23THRUST_200600_302600_NS10device_ptrIlEEjNS1_19radix_merge_compareILb0ELb0EaNS0_19identity_decomposerEEEEE10hipError_tT0_T1_T2_jT3_P12ihipStream_tbPNSt15iterator_traitsISG_E10value_typeEPNSM_ISH_E10value_typeEPSI_NS1_7vsmem_tEENKUlT_SG_SH_SI_E_clIS7_S7_SB_PlEESF_SV_SG_SH_SI_EUlSV_E_NS1_11comp_targetILNS1_3genE10ELNS1_11target_archE1201ELNS1_3gpuE5ELNS1_3repE0EEENS1_48merge_mergepath_partition_config_static_selectorELNS0_4arch9wavefront6targetE1EEEvSH_: ; @_ZN7rocprim17ROCPRIM_400000_NS6detail17trampoline_kernelINS0_14default_configENS1_38merge_sort_block_merge_config_selectorIalEEZZNS1_27merge_sort_block_merge_implIS3_PaN6thrust23THRUST_200600_302600_NS10device_ptrIlEEjNS1_19radix_merge_compareILb0ELb0EaNS0_19identity_decomposerEEEEE10hipError_tT0_T1_T2_jT3_P12ihipStream_tbPNSt15iterator_traitsISG_E10value_typeEPNSM_ISH_E10value_typeEPSI_NS1_7vsmem_tEENKUlT_SG_SH_SI_E_clIS7_S7_SB_PlEESF_SV_SG_SH_SI_EUlSV_E_NS1_11comp_targetILNS1_3genE10ELNS1_11target_archE1201ELNS1_3gpuE5ELNS1_3repE0EEENS1_48merge_mergepath_partition_config_static_selectorELNS0_4arch9wavefront6targetE1EEEvSH_
; %bb.0:
	.section	.rodata,"a",@progbits
	.p2align	6, 0x0
	.amdhsa_kernel _ZN7rocprim17ROCPRIM_400000_NS6detail17trampoline_kernelINS0_14default_configENS1_38merge_sort_block_merge_config_selectorIalEEZZNS1_27merge_sort_block_merge_implIS3_PaN6thrust23THRUST_200600_302600_NS10device_ptrIlEEjNS1_19radix_merge_compareILb0ELb0EaNS0_19identity_decomposerEEEEE10hipError_tT0_T1_T2_jT3_P12ihipStream_tbPNSt15iterator_traitsISG_E10value_typeEPNSM_ISH_E10value_typeEPSI_NS1_7vsmem_tEENKUlT_SG_SH_SI_E_clIS7_S7_SB_PlEESF_SV_SG_SH_SI_EUlSV_E_NS1_11comp_targetILNS1_3genE10ELNS1_11target_archE1201ELNS1_3gpuE5ELNS1_3repE0EEENS1_48merge_mergepath_partition_config_static_selectorELNS0_4arch9wavefront6targetE1EEEvSH_
		.amdhsa_group_segment_fixed_size 0
		.amdhsa_private_segment_fixed_size 0
		.amdhsa_kernarg_size 40
		.amdhsa_user_sgpr_count 6
		.amdhsa_user_sgpr_private_segment_buffer 1
		.amdhsa_user_sgpr_dispatch_ptr 0
		.amdhsa_user_sgpr_queue_ptr 0
		.amdhsa_user_sgpr_kernarg_segment_ptr 1
		.amdhsa_user_sgpr_dispatch_id 0
		.amdhsa_user_sgpr_flat_scratch_init 0
		.amdhsa_user_sgpr_private_segment_size 0
		.amdhsa_uses_dynamic_stack 0
		.amdhsa_system_sgpr_private_segment_wavefront_offset 0
		.amdhsa_system_sgpr_workgroup_id_x 1
		.amdhsa_system_sgpr_workgroup_id_y 0
		.amdhsa_system_sgpr_workgroup_id_z 0
		.amdhsa_system_sgpr_workgroup_info 0
		.amdhsa_system_vgpr_workitem_id 0
		.amdhsa_next_free_vgpr 1
		.amdhsa_next_free_sgpr 0
		.amdhsa_reserve_vcc 0
		.amdhsa_reserve_flat_scratch 0
		.amdhsa_float_round_mode_32 0
		.amdhsa_float_round_mode_16_64 0
		.amdhsa_float_denorm_mode_32 3
		.amdhsa_float_denorm_mode_16_64 3
		.amdhsa_dx10_clamp 1
		.amdhsa_ieee_mode 1
		.amdhsa_fp16_overflow 0
		.amdhsa_exception_fp_ieee_invalid_op 0
		.amdhsa_exception_fp_denorm_src 0
		.amdhsa_exception_fp_ieee_div_zero 0
		.amdhsa_exception_fp_ieee_overflow 0
		.amdhsa_exception_fp_ieee_underflow 0
		.amdhsa_exception_fp_ieee_inexact 0
		.amdhsa_exception_int_div_zero 0
	.end_amdhsa_kernel
	.section	.text._ZN7rocprim17ROCPRIM_400000_NS6detail17trampoline_kernelINS0_14default_configENS1_38merge_sort_block_merge_config_selectorIalEEZZNS1_27merge_sort_block_merge_implIS3_PaN6thrust23THRUST_200600_302600_NS10device_ptrIlEEjNS1_19radix_merge_compareILb0ELb0EaNS0_19identity_decomposerEEEEE10hipError_tT0_T1_T2_jT3_P12ihipStream_tbPNSt15iterator_traitsISG_E10value_typeEPNSM_ISH_E10value_typeEPSI_NS1_7vsmem_tEENKUlT_SG_SH_SI_E_clIS7_S7_SB_PlEESF_SV_SG_SH_SI_EUlSV_E_NS1_11comp_targetILNS1_3genE10ELNS1_11target_archE1201ELNS1_3gpuE5ELNS1_3repE0EEENS1_48merge_mergepath_partition_config_static_selectorELNS0_4arch9wavefront6targetE1EEEvSH_,"axG",@progbits,_ZN7rocprim17ROCPRIM_400000_NS6detail17trampoline_kernelINS0_14default_configENS1_38merge_sort_block_merge_config_selectorIalEEZZNS1_27merge_sort_block_merge_implIS3_PaN6thrust23THRUST_200600_302600_NS10device_ptrIlEEjNS1_19radix_merge_compareILb0ELb0EaNS0_19identity_decomposerEEEEE10hipError_tT0_T1_T2_jT3_P12ihipStream_tbPNSt15iterator_traitsISG_E10value_typeEPNSM_ISH_E10value_typeEPSI_NS1_7vsmem_tEENKUlT_SG_SH_SI_E_clIS7_S7_SB_PlEESF_SV_SG_SH_SI_EUlSV_E_NS1_11comp_targetILNS1_3genE10ELNS1_11target_archE1201ELNS1_3gpuE5ELNS1_3repE0EEENS1_48merge_mergepath_partition_config_static_selectorELNS0_4arch9wavefront6targetE1EEEvSH_,comdat
.Lfunc_end503:
	.size	_ZN7rocprim17ROCPRIM_400000_NS6detail17trampoline_kernelINS0_14default_configENS1_38merge_sort_block_merge_config_selectorIalEEZZNS1_27merge_sort_block_merge_implIS3_PaN6thrust23THRUST_200600_302600_NS10device_ptrIlEEjNS1_19radix_merge_compareILb0ELb0EaNS0_19identity_decomposerEEEEE10hipError_tT0_T1_T2_jT3_P12ihipStream_tbPNSt15iterator_traitsISG_E10value_typeEPNSM_ISH_E10value_typeEPSI_NS1_7vsmem_tEENKUlT_SG_SH_SI_E_clIS7_S7_SB_PlEESF_SV_SG_SH_SI_EUlSV_E_NS1_11comp_targetILNS1_3genE10ELNS1_11target_archE1201ELNS1_3gpuE5ELNS1_3repE0EEENS1_48merge_mergepath_partition_config_static_selectorELNS0_4arch9wavefront6targetE1EEEvSH_, .Lfunc_end503-_ZN7rocprim17ROCPRIM_400000_NS6detail17trampoline_kernelINS0_14default_configENS1_38merge_sort_block_merge_config_selectorIalEEZZNS1_27merge_sort_block_merge_implIS3_PaN6thrust23THRUST_200600_302600_NS10device_ptrIlEEjNS1_19radix_merge_compareILb0ELb0EaNS0_19identity_decomposerEEEEE10hipError_tT0_T1_T2_jT3_P12ihipStream_tbPNSt15iterator_traitsISG_E10value_typeEPNSM_ISH_E10value_typeEPSI_NS1_7vsmem_tEENKUlT_SG_SH_SI_E_clIS7_S7_SB_PlEESF_SV_SG_SH_SI_EUlSV_E_NS1_11comp_targetILNS1_3genE10ELNS1_11target_archE1201ELNS1_3gpuE5ELNS1_3repE0EEENS1_48merge_mergepath_partition_config_static_selectorELNS0_4arch9wavefront6targetE1EEEvSH_
                                        ; -- End function
	.set _ZN7rocprim17ROCPRIM_400000_NS6detail17trampoline_kernelINS0_14default_configENS1_38merge_sort_block_merge_config_selectorIalEEZZNS1_27merge_sort_block_merge_implIS3_PaN6thrust23THRUST_200600_302600_NS10device_ptrIlEEjNS1_19radix_merge_compareILb0ELb0EaNS0_19identity_decomposerEEEEE10hipError_tT0_T1_T2_jT3_P12ihipStream_tbPNSt15iterator_traitsISG_E10value_typeEPNSM_ISH_E10value_typeEPSI_NS1_7vsmem_tEENKUlT_SG_SH_SI_E_clIS7_S7_SB_PlEESF_SV_SG_SH_SI_EUlSV_E_NS1_11comp_targetILNS1_3genE10ELNS1_11target_archE1201ELNS1_3gpuE5ELNS1_3repE0EEENS1_48merge_mergepath_partition_config_static_selectorELNS0_4arch9wavefront6targetE1EEEvSH_.num_vgpr, 0
	.set _ZN7rocprim17ROCPRIM_400000_NS6detail17trampoline_kernelINS0_14default_configENS1_38merge_sort_block_merge_config_selectorIalEEZZNS1_27merge_sort_block_merge_implIS3_PaN6thrust23THRUST_200600_302600_NS10device_ptrIlEEjNS1_19radix_merge_compareILb0ELb0EaNS0_19identity_decomposerEEEEE10hipError_tT0_T1_T2_jT3_P12ihipStream_tbPNSt15iterator_traitsISG_E10value_typeEPNSM_ISH_E10value_typeEPSI_NS1_7vsmem_tEENKUlT_SG_SH_SI_E_clIS7_S7_SB_PlEESF_SV_SG_SH_SI_EUlSV_E_NS1_11comp_targetILNS1_3genE10ELNS1_11target_archE1201ELNS1_3gpuE5ELNS1_3repE0EEENS1_48merge_mergepath_partition_config_static_selectorELNS0_4arch9wavefront6targetE1EEEvSH_.num_agpr, 0
	.set _ZN7rocprim17ROCPRIM_400000_NS6detail17trampoline_kernelINS0_14default_configENS1_38merge_sort_block_merge_config_selectorIalEEZZNS1_27merge_sort_block_merge_implIS3_PaN6thrust23THRUST_200600_302600_NS10device_ptrIlEEjNS1_19radix_merge_compareILb0ELb0EaNS0_19identity_decomposerEEEEE10hipError_tT0_T1_T2_jT3_P12ihipStream_tbPNSt15iterator_traitsISG_E10value_typeEPNSM_ISH_E10value_typeEPSI_NS1_7vsmem_tEENKUlT_SG_SH_SI_E_clIS7_S7_SB_PlEESF_SV_SG_SH_SI_EUlSV_E_NS1_11comp_targetILNS1_3genE10ELNS1_11target_archE1201ELNS1_3gpuE5ELNS1_3repE0EEENS1_48merge_mergepath_partition_config_static_selectorELNS0_4arch9wavefront6targetE1EEEvSH_.numbered_sgpr, 0
	.set _ZN7rocprim17ROCPRIM_400000_NS6detail17trampoline_kernelINS0_14default_configENS1_38merge_sort_block_merge_config_selectorIalEEZZNS1_27merge_sort_block_merge_implIS3_PaN6thrust23THRUST_200600_302600_NS10device_ptrIlEEjNS1_19radix_merge_compareILb0ELb0EaNS0_19identity_decomposerEEEEE10hipError_tT0_T1_T2_jT3_P12ihipStream_tbPNSt15iterator_traitsISG_E10value_typeEPNSM_ISH_E10value_typeEPSI_NS1_7vsmem_tEENKUlT_SG_SH_SI_E_clIS7_S7_SB_PlEESF_SV_SG_SH_SI_EUlSV_E_NS1_11comp_targetILNS1_3genE10ELNS1_11target_archE1201ELNS1_3gpuE5ELNS1_3repE0EEENS1_48merge_mergepath_partition_config_static_selectorELNS0_4arch9wavefront6targetE1EEEvSH_.num_named_barrier, 0
	.set _ZN7rocprim17ROCPRIM_400000_NS6detail17trampoline_kernelINS0_14default_configENS1_38merge_sort_block_merge_config_selectorIalEEZZNS1_27merge_sort_block_merge_implIS3_PaN6thrust23THRUST_200600_302600_NS10device_ptrIlEEjNS1_19radix_merge_compareILb0ELb0EaNS0_19identity_decomposerEEEEE10hipError_tT0_T1_T2_jT3_P12ihipStream_tbPNSt15iterator_traitsISG_E10value_typeEPNSM_ISH_E10value_typeEPSI_NS1_7vsmem_tEENKUlT_SG_SH_SI_E_clIS7_S7_SB_PlEESF_SV_SG_SH_SI_EUlSV_E_NS1_11comp_targetILNS1_3genE10ELNS1_11target_archE1201ELNS1_3gpuE5ELNS1_3repE0EEENS1_48merge_mergepath_partition_config_static_selectorELNS0_4arch9wavefront6targetE1EEEvSH_.private_seg_size, 0
	.set _ZN7rocprim17ROCPRIM_400000_NS6detail17trampoline_kernelINS0_14default_configENS1_38merge_sort_block_merge_config_selectorIalEEZZNS1_27merge_sort_block_merge_implIS3_PaN6thrust23THRUST_200600_302600_NS10device_ptrIlEEjNS1_19radix_merge_compareILb0ELb0EaNS0_19identity_decomposerEEEEE10hipError_tT0_T1_T2_jT3_P12ihipStream_tbPNSt15iterator_traitsISG_E10value_typeEPNSM_ISH_E10value_typeEPSI_NS1_7vsmem_tEENKUlT_SG_SH_SI_E_clIS7_S7_SB_PlEESF_SV_SG_SH_SI_EUlSV_E_NS1_11comp_targetILNS1_3genE10ELNS1_11target_archE1201ELNS1_3gpuE5ELNS1_3repE0EEENS1_48merge_mergepath_partition_config_static_selectorELNS0_4arch9wavefront6targetE1EEEvSH_.uses_vcc, 0
	.set _ZN7rocprim17ROCPRIM_400000_NS6detail17trampoline_kernelINS0_14default_configENS1_38merge_sort_block_merge_config_selectorIalEEZZNS1_27merge_sort_block_merge_implIS3_PaN6thrust23THRUST_200600_302600_NS10device_ptrIlEEjNS1_19radix_merge_compareILb0ELb0EaNS0_19identity_decomposerEEEEE10hipError_tT0_T1_T2_jT3_P12ihipStream_tbPNSt15iterator_traitsISG_E10value_typeEPNSM_ISH_E10value_typeEPSI_NS1_7vsmem_tEENKUlT_SG_SH_SI_E_clIS7_S7_SB_PlEESF_SV_SG_SH_SI_EUlSV_E_NS1_11comp_targetILNS1_3genE10ELNS1_11target_archE1201ELNS1_3gpuE5ELNS1_3repE0EEENS1_48merge_mergepath_partition_config_static_selectorELNS0_4arch9wavefront6targetE1EEEvSH_.uses_flat_scratch, 0
	.set _ZN7rocprim17ROCPRIM_400000_NS6detail17trampoline_kernelINS0_14default_configENS1_38merge_sort_block_merge_config_selectorIalEEZZNS1_27merge_sort_block_merge_implIS3_PaN6thrust23THRUST_200600_302600_NS10device_ptrIlEEjNS1_19radix_merge_compareILb0ELb0EaNS0_19identity_decomposerEEEEE10hipError_tT0_T1_T2_jT3_P12ihipStream_tbPNSt15iterator_traitsISG_E10value_typeEPNSM_ISH_E10value_typeEPSI_NS1_7vsmem_tEENKUlT_SG_SH_SI_E_clIS7_S7_SB_PlEESF_SV_SG_SH_SI_EUlSV_E_NS1_11comp_targetILNS1_3genE10ELNS1_11target_archE1201ELNS1_3gpuE5ELNS1_3repE0EEENS1_48merge_mergepath_partition_config_static_selectorELNS0_4arch9wavefront6targetE1EEEvSH_.has_dyn_sized_stack, 0
	.set _ZN7rocprim17ROCPRIM_400000_NS6detail17trampoline_kernelINS0_14default_configENS1_38merge_sort_block_merge_config_selectorIalEEZZNS1_27merge_sort_block_merge_implIS3_PaN6thrust23THRUST_200600_302600_NS10device_ptrIlEEjNS1_19radix_merge_compareILb0ELb0EaNS0_19identity_decomposerEEEEE10hipError_tT0_T1_T2_jT3_P12ihipStream_tbPNSt15iterator_traitsISG_E10value_typeEPNSM_ISH_E10value_typeEPSI_NS1_7vsmem_tEENKUlT_SG_SH_SI_E_clIS7_S7_SB_PlEESF_SV_SG_SH_SI_EUlSV_E_NS1_11comp_targetILNS1_3genE10ELNS1_11target_archE1201ELNS1_3gpuE5ELNS1_3repE0EEENS1_48merge_mergepath_partition_config_static_selectorELNS0_4arch9wavefront6targetE1EEEvSH_.has_recursion, 0
	.set _ZN7rocprim17ROCPRIM_400000_NS6detail17trampoline_kernelINS0_14default_configENS1_38merge_sort_block_merge_config_selectorIalEEZZNS1_27merge_sort_block_merge_implIS3_PaN6thrust23THRUST_200600_302600_NS10device_ptrIlEEjNS1_19radix_merge_compareILb0ELb0EaNS0_19identity_decomposerEEEEE10hipError_tT0_T1_T2_jT3_P12ihipStream_tbPNSt15iterator_traitsISG_E10value_typeEPNSM_ISH_E10value_typeEPSI_NS1_7vsmem_tEENKUlT_SG_SH_SI_E_clIS7_S7_SB_PlEESF_SV_SG_SH_SI_EUlSV_E_NS1_11comp_targetILNS1_3genE10ELNS1_11target_archE1201ELNS1_3gpuE5ELNS1_3repE0EEENS1_48merge_mergepath_partition_config_static_selectorELNS0_4arch9wavefront6targetE1EEEvSH_.has_indirect_call, 0
	.section	.AMDGPU.csdata,"",@progbits
; Kernel info:
; codeLenInByte = 0
; TotalNumSgprs: 4
; NumVgprs: 0
; ScratchSize: 0
; MemoryBound: 0
; FloatMode: 240
; IeeeMode: 1
; LDSByteSize: 0 bytes/workgroup (compile time only)
; SGPRBlocks: 0
; VGPRBlocks: 0
; NumSGPRsForWavesPerEU: 4
; NumVGPRsForWavesPerEU: 1
; Occupancy: 10
; WaveLimiterHint : 0
; COMPUTE_PGM_RSRC2:SCRATCH_EN: 0
; COMPUTE_PGM_RSRC2:USER_SGPR: 6
; COMPUTE_PGM_RSRC2:TRAP_HANDLER: 0
; COMPUTE_PGM_RSRC2:TGID_X_EN: 1
; COMPUTE_PGM_RSRC2:TGID_Y_EN: 0
; COMPUTE_PGM_RSRC2:TGID_Z_EN: 0
; COMPUTE_PGM_RSRC2:TIDIG_COMP_CNT: 0
	.section	.text._ZN7rocprim17ROCPRIM_400000_NS6detail17trampoline_kernelINS0_14default_configENS1_38merge_sort_block_merge_config_selectorIalEEZZNS1_27merge_sort_block_merge_implIS3_PaN6thrust23THRUST_200600_302600_NS10device_ptrIlEEjNS1_19radix_merge_compareILb0ELb0EaNS0_19identity_decomposerEEEEE10hipError_tT0_T1_T2_jT3_P12ihipStream_tbPNSt15iterator_traitsISG_E10value_typeEPNSM_ISH_E10value_typeEPSI_NS1_7vsmem_tEENKUlT_SG_SH_SI_E_clIS7_S7_SB_PlEESF_SV_SG_SH_SI_EUlSV_E_NS1_11comp_targetILNS1_3genE5ELNS1_11target_archE942ELNS1_3gpuE9ELNS1_3repE0EEENS1_48merge_mergepath_partition_config_static_selectorELNS0_4arch9wavefront6targetE1EEEvSH_,"axG",@progbits,_ZN7rocprim17ROCPRIM_400000_NS6detail17trampoline_kernelINS0_14default_configENS1_38merge_sort_block_merge_config_selectorIalEEZZNS1_27merge_sort_block_merge_implIS3_PaN6thrust23THRUST_200600_302600_NS10device_ptrIlEEjNS1_19radix_merge_compareILb0ELb0EaNS0_19identity_decomposerEEEEE10hipError_tT0_T1_T2_jT3_P12ihipStream_tbPNSt15iterator_traitsISG_E10value_typeEPNSM_ISH_E10value_typeEPSI_NS1_7vsmem_tEENKUlT_SG_SH_SI_E_clIS7_S7_SB_PlEESF_SV_SG_SH_SI_EUlSV_E_NS1_11comp_targetILNS1_3genE5ELNS1_11target_archE942ELNS1_3gpuE9ELNS1_3repE0EEENS1_48merge_mergepath_partition_config_static_selectorELNS0_4arch9wavefront6targetE1EEEvSH_,comdat
	.protected	_ZN7rocprim17ROCPRIM_400000_NS6detail17trampoline_kernelINS0_14default_configENS1_38merge_sort_block_merge_config_selectorIalEEZZNS1_27merge_sort_block_merge_implIS3_PaN6thrust23THRUST_200600_302600_NS10device_ptrIlEEjNS1_19radix_merge_compareILb0ELb0EaNS0_19identity_decomposerEEEEE10hipError_tT0_T1_T2_jT3_P12ihipStream_tbPNSt15iterator_traitsISG_E10value_typeEPNSM_ISH_E10value_typeEPSI_NS1_7vsmem_tEENKUlT_SG_SH_SI_E_clIS7_S7_SB_PlEESF_SV_SG_SH_SI_EUlSV_E_NS1_11comp_targetILNS1_3genE5ELNS1_11target_archE942ELNS1_3gpuE9ELNS1_3repE0EEENS1_48merge_mergepath_partition_config_static_selectorELNS0_4arch9wavefront6targetE1EEEvSH_ ; -- Begin function _ZN7rocprim17ROCPRIM_400000_NS6detail17trampoline_kernelINS0_14default_configENS1_38merge_sort_block_merge_config_selectorIalEEZZNS1_27merge_sort_block_merge_implIS3_PaN6thrust23THRUST_200600_302600_NS10device_ptrIlEEjNS1_19radix_merge_compareILb0ELb0EaNS0_19identity_decomposerEEEEE10hipError_tT0_T1_T2_jT3_P12ihipStream_tbPNSt15iterator_traitsISG_E10value_typeEPNSM_ISH_E10value_typeEPSI_NS1_7vsmem_tEENKUlT_SG_SH_SI_E_clIS7_S7_SB_PlEESF_SV_SG_SH_SI_EUlSV_E_NS1_11comp_targetILNS1_3genE5ELNS1_11target_archE942ELNS1_3gpuE9ELNS1_3repE0EEENS1_48merge_mergepath_partition_config_static_selectorELNS0_4arch9wavefront6targetE1EEEvSH_
	.globl	_ZN7rocprim17ROCPRIM_400000_NS6detail17trampoline_kernelINS0_14default_configENS1_38merge_sort_block_merge_config_selectorIalEEZZNS1_27merge_sort_block_merge_implIS3_PaN6thrust23THRUST_200600_302600_NS10device_ptrIlEEjNS1_19radix_merge_compareILb0ELb0EaNS0_19identity_decomposerEEEEE10hipError_tT0_T1_T2_jT3_P12ihipStream_tbPNSt15iterator_traitsISG_E10value_typeEPNSM_ISH_E10value_typeEPSI_NS1_7vsmem_tEENKUlT_SG_SH_SI_E_clIS7_S7_SB_PlEESF_SV_SG_SH_SI_EUlSV_E_NS1_11comp_targetILNS1_3genE5ELNS1_11target_archE942ELNS1_3gpuE9ELNS1_3repE0EEENS1_48merge_mergepath_partition_config_static_selectorELNS0_4arch9wavefront6targetE1EEEvSH_
	.p2align	8
	.type	_ZN7rocprim17ROCPRIM_400000_NS6detail17trampoline_kernelINS0_14default_configENS1_38merge_sort_block_merge_config_selectorIalEEZZNS1_27merge_sort_block_merge_implIS3_PaN6thrust23THRUST_200600_302600_NS10device_ptrIlEEjNS1_19radix_merge_compareILb0ELb0EaNS0_19identity_decomposerEEEEE10hipError_tT0_T1_T2_jT3_P12ihipStream_tbPNSt15iterator_traitsISG_E10value_typeEPNSM_ISH_E10value_typeEPSI_NS1_7vsmem_tEENKUlT_SG_SH_SI_E_clIS7_S7_SB_PlEESF_SV_SG_SH_SI_EUlSV_E_NS1_11comp_targetILNS1_3genE5ELNS1_11target_archE942ELNS1_3gpuE9ELNS1_3repE0EEENS1_48merge_mergepath_partition_config_static_selectorELNS0_4arch9wavefront6targetE1EEEvSH_,@function
_ZN7rocprim17ROCPRIM_400000_NS6detail17trampoline_kernelINS0_14default_configENS1_38merge_sort_block_merge_config_selectorIalEEZZNS1_27merge_sort_block_merge_implIS3_PaN6thrust23THRUST_200600_302600_NS10device_ptrIlEEjNS1_19radix_merge_compareILb0ELb0EaNS0_19identity_decomposerEEEEE10hipError_tT0_T1_T2_jT3_P12ihipStream_tbPNSt15iterator_traitsISG_E10value_typeEPNSM_ISH_E10value_typeEPSI_NS1_7vsmem_tEENKUlT_SG_SH_SI_E_clIS7_S7_SB_PlEESF_SV_SG_SH_SI_EUlSV_E_NS1_11comp_targetILNS1_3genE5ELNS1_11target_archE942ELNS1_3gpuE9ELNS1_3repE0EEENS1_48merge_mergepath_partition_config_static_selectorELNS0_4arch9wavefront6targetE1EEEvSH_: ; @_ZN7rocprim17ROCPRIM_400000_NS6detail17trampoline_kernelINS0_14default_configENS1_38merge_sort_block_merge_config_selectorIalEEZZNS1_27merge_sort_block_merge_implIS3_PaN6thrust23THRUST_200600_302600_NS10device_ptrIlEEjNS1_19radix_merge_compareILb0ELb0EaNS0_19identity_decomposerEEEEE10hipError_tT0_T1_T2_jT3_P12ihipStream_tbPNSt15iterator_traitsISG_E10value_typeEPNSM_ISH_E10value_typeEPSI_NS1_7vsmem_tEENKUlT_SG_SH_SI_E_clIS7_S7_SB_PlEESF_SV_SG_SH_SI_EUlSV_E_NS1_11comp_targetILNS1_3genE5ELNS1_11target_archE942ELNS1_3gpuE9ELNS1_3repE0EEENS1_48merge_mergepath_partition_config_static_selectorELNS0_4arch9wavefront6targetE1EEEvSH_
; %bb.0:
	.section	.rodata,"a",@progbits
	.p2align	6, 0x0
	.amdhsa_kernel _ZN7rocprim17ROCPRIM_400000_NS6detail17trampoline_kernelINS0_14default_configENS1_38merge_sort_block_merge_config_selectorIalEEZZNS1_27merge_sort_block_merge_implIS3_PaN6thrust23THRUST_200600_302600_NS10device_ptrIlEEjNS1_19radix_merge_compareILb0ELb0EaNS0_19identity_decomposerEEEEE10hipError_tT0_T1_T2_jT3_P12ihipStream_tbPNSt15iterator_traitsISG_E10value_typeEPNSM_ISH_E10value_typeEPSI_NS1_7vsmem_tEENKUlT_SG_SH_SI_E_clIS7_S7_SB_PlEESF_SV_SG_SH_SI_EUlSV_E_NS1_11comp_targetILNS1_3genE5ELNS1_11target_archE942ELNS1_3gpuE9ELNS1_3repE0EEENS1_48merge_mergepath_partition_config_static_selectorELNS0_4arch9wavefront6targetE1EEEvSH_
		.amdhsa_group_segment_fixed_size 0
		.amdhsa_private_segment_fixed_size 0
		.amdhsa_kernarg_size 40
		.amdhsa_user_sgpr_count 6
		.amdhsa_user_sgpr_private_segment_buffer 1
		.amdhsa_user_sgpr_dispatch_ptr 0
		.amdhsa_user_sgpr_queue_ptr 0
		.amdhsa_user_sgpr_kernarg_segment_ptr 1
		.amdhsa_user_sgpr_dispatch_id 0
		.amdhsa_user_sgpr_flat_scratch_init 0
		.amdhsa_user_sgpr_private_segment_size 0
		.amdhsa_uses_dynamic_stack 0
		.amdhsa_system_sgpr_private_segment_wavefront_offset 0
		.amdhsa_system_sgpr_workgroup_id_x 1
		.amdhsa_system_sgpr_workgroup_id_y 0
		.amdhsa_system_sgpr_workgroup_id_z 0
		.amdhsa_system_sgpr_workgroup_info 0
		.amdhsa_system_vgpr_workitem_id 0
		.amdhsa_next_free_vgpr 1
		.amdhsa_next_free_sgpr 0
		.amdhsa_reserve_vcc 0
		.amdhsa_reserve_flat_scratch 0
		.amdhsa_float_round_mode_32 0
		.amdhsa_float_round_mode_16_64 0
		.amdhsa_float_denorm_mode_32 3
		.amdhsa_float_denorm_mode_16_64 3
		.amdhsa_dx10_clamp 1
		.amdhsa_ieee_mode 1
		.amdhsa_fp16_overflow 0
		.amdhsa_exception_fp_ieee_invalid_op 0
		.amdhsa_exception_fp_denorm_src 0
		.amdhsa_exception_fp_ieee_div_zero 0
		.amdhsa_exception_fp_ieee_overflow 0
		.amdhsa_exception_fp_ieee_underflow 0
		.amdhsa_exception_fp_ieee_inexact 0
		.amdhsa_exception_int_div_zero 0
	.end_amdhsa_kernel
	.section	.text._ZN7rocprim17ROCPRIM_400000_NS6detail17trampoline_kernelINS0_14default_configENS1_38merge_sort_block_merge_config_selectorIalEEZZNS1_27merge_sort_block_merge_implIS3_PaN6thrust23THRUST_200600_302600_NS10device_ptrIlEEjNS1_19radix_merge_compareILb0ELb0EaNS0_19identity_decomposerEEEEE10hipError_tT0_T1_T2_jT3_P12ihipStream_tbPNSt15iterator_traitsISG_E10value_typeEPNSM_ISH_E10value_typeEPSI_NS1_7vsmem_tEENKUlT_SG_SH_SI_E_clIS7_S7_SB_PlEESF_SV_SG_SH_SI_EUlSV_E_NS1_11comp_targetILNS1_3genE5ELNS1_11target_archE942ELNS1_3gpuE9ELNS1_3repE0EEENS1_48merge_mergepath_partition_config_static_selectorELNS0_4arch9wavefront6targetE1EEEvSH_,"axG",@progbits,_ZN7rocprim17ROCPRIM_400000_NS6detail17trampoline_kernelINS0_14default_configENS1_38merge_sort_block_merge_config_selectorIalEEZZNS1_27merge_sort_block_merge_implIS3_PaN6thrust23THRUST_200600_302600_NS10device_ptrIlEEjNS1_19radix_merge_compareILb0ELb0EaNS0_19identity_decomposerEEEEE10hipError_tT0_T1_T2_jT3_P12ihipStream_tbPNSt15iterator_traitsISG_E10value_typeEPNSM_ISH_E10value_typeEPSI_NS1_7vsmem_tEENKUlT_SG_SH_SI_E_clIS7_S7_SB_PlEESF_SV_SG_SH_SI_EUlSV_E_NS1_11comp_targetILNS1_3genE5ELNS1_11target_archE942ELNS1_3gpuE9ELNS1_3repE0EEENS1_48merge_mergepath_partition_config_static_selectorELNS0_4arch9wavefront6targetE1EEEvSH_,comdat
.Lfunc_end504:
	.size	_ZN7rocprim17ROCPRIM_400000_NS6detail17trampoline_kernelINS0_14default_configENS1_38merge_sort_block_merge_config_selectorIalEEZZNS1_27merge_sort_block_merge_implIS3_PaN6thrust23THRUST_200600_302600_NS10device_ptrIlEEjNS1_19radix_merge_compareILb0ELb0EaNS0_19identity_decomposerEEEEE10hipError_tT0_T1_T2_jT3_P12ihipStream_tbPNSt15iterator_traitsISG_E10value_typeEPNSM_ISH_E10value_typeEPSI_NS1_7vsmem_tEENKUlT_SG_SH_SI_E_clIS7_S7_SB_PlEESF_SV_SG_SH_SI_EUlSV_E_NS1_11comp_targetILNS1_3genE5ELNS1_11target_archE942ELNS1_3gpuE9ELNS1_3repE0EEENS1_48merge_mergepath_partition_config_static_selectorELNS0_4arch9wavefront6targetE1EEEvSH_, .Lfunc_end504-_ZN7rocprim17ROCPRIM_400000_NS6detail17trampoline_kernelINS0_14default_configENS1_38merge_sort_block_merge_config_selectorIalEEZZNS1_27merge_sort_block_merge_implIS3_PaN6thrust23THRUST_200600_302600_NS10device_ptrIlEEjNS1_19radix_merge_compareILb0ELb0EaNS0_19identity_decomposerEEEEE10hipError_tT0_T1_T2_jT3_P12ihipStream_tbPNSt15iterator_traitsISG_E10value_typeEPNSM_ISH_E10value_typeEPSI_NS1_7vsmem_tEENKUlT_SG_SH_SI_E_clIS7_S7_SB_PlEESF_SV_SG_SH_SI_EUlSV_E_NS1_11comp_targetILNS1_3genE5ELNS1_11target_archE942ELNS1_3gpuE9ELNS1_3repE0EEENS1_48merge_mergepath_partition_config_static_selectorELNS0_4arch9wavefront6targetE1EEEvSH_
                                        ; -- End function
	.set _ZN7rocprim17ROCPRIM_400000_NS6detail17trampoline_kernelINS0_14default_configENS1_38merge_sort_block_merge_config_selectorIalEEZZNS1_27merge_sort_block_merge_implIS3_PaN6thrust23THRUST_200600_302600_NS10device_ptrIlEEjNS1_19radix_merge_compareILb0ELb0EaNS0_19identity_decomposerEEEEE10hipError_tT0_T1_T2_jT3_P12ihipStream_tbPNSt15iterator_traitsISG_E10value_typeEPNSM_ISH_E10value_typeEPSI_NS1_7vsmem_tEENKUlT_SG_SH_SI_E_clIS7_S7_SB_PlEESF_SV_SG_SH_SI_EUlSV_E_NS1_11comp_targetILNS1_3genE5ELNS1_11target_archE942ELNS1_3gpuE9ELNS1_3repE0EEENS1_48merge_mergepath_partition_config_static_selectorELNS0_4arch9wavefront6targetE1EEEvSH_.num_vgpr, 0
	.set _ZN7rocprim17ROCPRIM_400000_NS6detail17trampoline_kernelINS0_14default_configENS1_38merge_sort_block_merge_config_selectorIalEEZZNS1_27merge_sort_block_merge_implIS3_PaN6thrust23THRUST_200600_302600_NS10device_ptrIlEEjNS1_19radix_merge_compareILb0ELb0EaNS0_19identity_decomposerEEEEE10hipError_tT0_T1_T2_jT3_P12ihipStream_tbPNSt15iterator_traitsISG_E10value_typeEPNSM_ISH_E10value_typeEPSI_NS1_7vsmem_tEENKUlT_SG_SH_SI_E_clIS7_S7_SB_PlEESF_SV_SG_SH_SI_EUlSV_E_NS1_11comp_targetILNS1_3genE5ELNS1_11target_archE942ELNS1_3gpuE9ELNS1_3repE0EEENS1_48merge_mergepath_partition_config_static_selectorELNS0_4arch9wavefront6targetE1EEEvSH_.num_agpr, 0
	.set _ZN7rocprim17ROCPRIM_400000_NS6detail17trampoline_kernelINS0_14default_configENS1_38merge_sort_block_merge_config_selectorIalEEZZNS1_27merge_sort_block_merge_implIS3_PaN6thrust23THRUST_200600_302600_NS10device_ptrIlEEjNS1_19radix_merge_compareILb0ELb0EaNS0_19identity_decomposerEEEEE10hipError_tT0_T1_T2_jT3_P12ihipStream_tbPNSt15iterator_traitsISG_E10value_typeEPNSM_ISH_E10value_typeEPSI_NS1_7vsmem_tEENKUlT_SG_SH_SI_E_clIS7_S7_SB_PlEESF_SV_SG_SH_SI_EUlSV_E_NS1_11comp_targetILNS1_3genE5ELNS1_11target_archE942ELNS1_3gpuE9ELNS1_3repE0EEENS1_48merge_mergepath_partition_config_static_selectorELNS0_4arch9wavefront6targetE1EEEvSH_.numbered_sgpr, 0
	.set _ZN7rocprim17ROCPRIM_400000_NS6detail17trampoline_kernelINS0_14default_configENS1_38merge_sort_block_merge_config_selectorIalEEZZNS1_27merge_sort_block_merge_implIS3_PaN6thrust23THRUST_200600_302600_NS10device_ptrIlEEjNS1_19radix_merge_compareILb0ELb0EaNS0_19identity_decomposerEEEEE10hipError_tT0_T1_T2_jT3_P12ihipStream_tbPNSt15iterator_traitsISG_E10value_typeEPNSM_ISH_E10value_typeEPSI_NS1_7vsmem_tEENKUlT_SG_SH_SI_E_clIS7_S7_SB_PlEESF_SV_SG_SH_SI_EUlSV_E_NS1_11comp_targetILNS1_3genE5ELNS1_11target_archE942ELNS1_3gpuE9ELNS1_3repE0EEENS1_48merge_mergepath_partition_config_static_selectorELNS0_4arch9wavefront6targetE1EEEvSH_.num_named_barrier, 0
	.set _ZN7rocprim17ROCPRIM_400000_NS6detail17trampoline_kernelINS0_14default_configENS1_38merge_sort_block_merge_config_selectorIalEEZZNS1_27merge_sort_block_merge_implIS3_PaN6thrust23THRUST_200600_302600_NS10device_ptrIlEEjNS1_19radix_merge_compareILb0ELb0EaNS0_19identity_decomposerEEEEE10hipError_tT0_T1_T2_jT3_P12ihipStream_tbPNSt15iterator_traitsISG_E10value_typeEPNSM_ISH_E10value_typeEPSI_NS1_7vsmem_tEENKUlT_SG_SH_SI_E_clIS7_S7_SB_PlEESF_SV_SG_SH_SI_EUlSV_E_NS1_11comp_targetILNS1_3genE5ELNS1_11target_archE942ELNS1_3gpuE9ELNS1_3repE0EEENS1_48merge_mergepath_partition_config_static_selectorELNS0_4arch9wavefront6targetE1EEEvSH_.private_seg_size, 0
	.set _ZN7rocprim17ROCPRIM_400000_NS6detail17trampoline_kernelINS0_14default_configENS1_38merge_sort_block_merge_config_selectorIalEEZZNS1_27merge_sort_block_merge_implIS3_PaN6thrust23THRUST_200600_302600_NS10device_ptrIlEEjNS1_19radix_merge_compareILb0ELb0EaNS0_19identity_decomposerEEEEE10hipError_tT0_T1_T2_jT3_P12ihipStream_tbPNSt15iterator_traitsISG_E10value_typeEPNSM_ISH_E10value_typeEPSI_NS1_7vsmem_tEENKUlT_SG_SH_SI_E_clIS7_S7_SB_PlEESF_SV_SG_SH_SI_EUlSV_E_NS1_11comp_targetILNS1_3genE5ELNS1_11target_archE942ELNS1_3gpuE9ELNS1_3repE0EEENS1_48merge_mergepath_partition_config_static_selectorELNS0_4arch9wavefront6targetE1EEEvSH_.uses_vcc, 0
	.set _ZN7rocprim17ROCPRIM_400000_NS6detail17trampoline_kernelINS0_14default_configENS1_38merge_sort_block_merge_config_selectorIalEEZZNS1_27merge_sort_block_merge_implIS3_PaN6thrust23THRUST_200600_302600_NS10device_ptrIlEEjNS1_19radix_merge_compareILb0ELb0EaNS0_19identity_decomposerEEEEE10hipError_tT0_T1_T2_jT3_P12ihipStream_tbPNSt15iterator_traitsISG_E10value_typeEPNSM_ISH_E10value_typeEPSI_NS1_7vsmem_tEENKUlT_SG_SH_SI_E_clIS7_S7_SB_PlEESF_SV_SG_SH_SI_EUlSV_E_NS1_11comp_targetILNS1_3genE5ELNS1_11target_archE942ELNS1_3gpuE9ELNS1_3repE0EEENS1_48merge_mergepath_partition_config_static_selectorELNS0_4arch9wavefront6targetE1EEEvSH_.uses_flat_scratch, 0
	.set _ZN7rocprim17ROCPRIM_400000_NS6detail17trampoline_kernelINS0_14default_configENS1_38merge_sort_block_merge_config_selectorIalEEZZNS1_27merge_sort_block_merge_implIS3_PaN6thrust23THRUST_200600_302600_NS10device_ptrIlEEjNS1_19radix_merge_compareILb0ELb0EaNS0_19identity_decomposerEEEEE10hipError_tT0_T1_T2_jT3_P12ihipStream_tbPNSt15iterator_traitsISG_E10value_typeEPNSM_ISH_E10value_typeEPSI_NS1_7vsmem_tEENKUlT_SG_SH_SI_E_clIS7_S7_SB_PlEESF_SV_SG_SH_SI_EUlSV_E_NS1_11comp_targetILNS1_3genE5ELNS1_11target_archE942ELNS1_3gpuE9ELNS1_3repE0EEENS1_48merge_mergepath_partition_config_static_selectorELNS0_4arch9wavefront6targetE1EEEvSH_.has_dyn_sized_stack, 0
	.set _ZN7rocprim17ROCPRIM_400000_NS6detail17trampoline_kernelINS0_14default_configENS1_38merge_sort_block_merge_config_selectorIalEEZZNS1_27merge_sort_block_merge_implIS3_PaN6thrust23THRUST_200600_302600_NS10device_ptrIlEEjNS1_19radix_merge_compareILb0ELb0EaNS0_19identity_decomposerEEEEE10hipError_tT0_T1_T2_jT3_P12ihipStream_tbPNSt15iterator_traitsISG_E10value_typeEPNSM_ISH_E10value_typeEPSI_NS1_7vsmem_tEENKUlT_SG_SH_SI_E_clIS7_S7_SB_PlEESF_SV_SG_SH_SI_EUlSV_E_NS1_11comp_targetILNS1_3genE5ELNS1_11target_archE942ELNS1_3gpuE9ELNS1_3repE0EEENS1_48merge_mergepath_partition_config_static_selectorELNS0_4arch9wavefront6targetE1EEEvSH_.has_recursion, 0
	.set _ZN7rocprim17ROCPRIM_400000_NS6detail17trampoline_kernelINS0_14default_configENS1_38merge_sort_block_merge_config_selectorIalEEZZNS1_27merge_sort_block_merge_implIS3_PaN6thrust23THRUST_200600_302600_NS10device_ptrIlEEjNS1_19radix_merge_compareILb0ELb0EaNS0_19identity_decomposerEEEEE10hipError_tT0_T1_T2_jT3_P12ihipStream_tbPNSt15iterator_traitsISG_E10value_typeEPNSM_ISH_E10value_typeEPSI_NS1_7vsmem_tEENKUlT_SG_SH_SI_E_clIS7_S7_SB_PlEESF_SV_SG_SH_SI_EUlSV_E_NS1_11comp_targetILNS1_3genE5ELNS1_11target_archE942ELNS1_3gpuE9ELNS1_3repE0EEENS1_48merge_mergepath_partition_config_static_selectorELNS0_4arch9wavefront6targetE1EEEvSH_.has_indirect_call, 0
	.section	.AMDGPU.csdata,"",@progbits
; Kernel info:
; codeLenInByte = 0
; TotalNumSgprs: 4
; NumVgprs: 0
; ScratchSize: 0
; MemoryBound: 0
; FloatMode: 240
; IeeeMode: 1
; LDSByteSize: 0 bytes/workgroup (compile time only)
; SGPRBlocks: 0
; VGPRBlocks: 0
; NumSGPRsForWavesPerEU: 4
; NumVGPRsForWavesPerEU: 1
; Occupancy: 10
; WaveLimiterHint : 0
; COMPUTE_PGM_RSRC2:SCRATCH_EN: 0
; COMPUTE_PGM_RSRC2:USER_SGPR: 6
; COMPUTE_PGM_RSRC2:TRAP_HANDLER: 0
; COMPUTE_PGM_RSRC2:TGID_X_EN: 1
; COMPUTE_PGM_RSRC2:TGID_Y_EN: 0
; COMPUTE_PGM_RSRC2:TGID_Z_EN: 0
; COMPUTE_PGM_RSRC2:TIDIG_COMP_CNT: 0
	.section	.text._ZN7rocprim17ROCPRIM_400000_NS6detail17trampoline_kernelINS0_14default_configENS1_38merge_sort_block_merge_config_selectorIalEEZZNS1_27merge_sort_block_merge_implIS3_PaN6thrust23THRUST_200600_302600_NS10device_ptrIlEEjNS1_19radix_merge_compareILb0ELb0EaNS0_19identity_decomposerEEEEE10hipError_tT0_T1_T2_jT3_P12ihipStream_tbPNSt15iterator_traitsISG_E10value_typeEPNSM_ISH_E10value_typeEPSI_NS1_7vsmem_tEENKUlT_SG_SH_SI_E_clIS7_S7_SB_PlEESF_SV_SG_SH_SI_EUlSV_E_NS1_11comp_targetILNS1_3genE4ELNS1_11target_archE910ELNS1_3gpuE8ELNS1_3repE0EEENS1_48merge_mergepath_partition_config_static_selectorELNS0_4arch9wavefront6targetE1EEEvSH_,"axG",@progbits,_ZN7rocprim17ROCPRIM_400000_NS6detail17trampoline_kernelINS0_14default_configENS1_38merge_sort_block_merge_config_selectorIalEEZZNS1_27merge_sort_block_merge_implIS3_PaN6thrust23THRUST_200600_302600_NS10device_ptrIlEEjNS1_19radix_merge_compareILb0ELb0EaNS0_19identity_decomposerEEEEE10hipError_tT0_T1_T2_jT3_P12ihipStream_tbPNSt15iterator_traitsISG_E10value_typeEPNSM_ISH_E10value_typeEPSI_NS1_7vsmem_tEENKUlT_SG_SH_SI_E_clIS7_S7_SB_PlEESF_SV_SG_SH_SI_EUlSV_E_NS1_11comp_targetILNS1_3genE4ELNS1_11target_archE910ELNS1_3gpuE8ELNS1_3repE0EEENS1_48merge_mergepath_partition_config_static_selectorELNS0_4arch9wavefront6targetE1EEEvSH_,comdat
	.protected	_ZN7rocprim17ROCPRIM_400000_NS6detail17trampoline_kernelINS0_14default_configENS1_38merge_sort_block_merge_config_selectorIalEEZZNS1_27merge_sort_block_merge_implIS3_PaN6thrust23THRUST_200600_302600_NS10device_ptrIlEEjNS1_19radix_merge_compareILb0ELb0EaNS0_19identity_decomposerEEEEE10hipError_tT0_T1_T2_jT3_P12ihipStream_tbPNSt15iterator_traitsISG_E10value_typeEPNSM_ISH_E10value_typeEPSI_NS1_7vsmem_tEENKUlT_SG_SH_SI_E_clIS7_S7_SB_PlEESF_SV_SG_SH_SI_EUlSV_E_NS1_11comp_targetILNS1_3genE4ELNS1_11target_archE910ELNS1_3gpuE8ELNS1_3repE0EEENS1_48merge_mergepath_partition_config_static_selectorELNS0_4arch9wavefront6targetE1EEEvSH_ ; -- Begin function _ZN7rocprim17ROCPRIM_400000_NS6detail17trampoline_kernelINS0_14default_configENS1_38merge_sort_block_merge_config_selectorIalEEZZNS1_27merge_sort_block_merge_implIS3_PaN6thrust23THRUST_200600_302600_NS10device_ptrIlEEjNS1_19radix_merge_compareILb0ELb0EaNS0_19identity_decomposerEEEEE10hipError_tT0_T1_T2_jT3_P12ihipStream_tbPNSt15iterator_traitsISG_E10value_typeEPNSM_ISH_E10value_typeEPSI_NS1_7vsmem_tEENKUlT_SG_SH_SI_E_clIS7_S7_SB_PlEESF_SV_SG_SH_SI_EUlSV_E_NS1_11comp_targetILNS1_3genE4ELNS1_11target_archE910ELNS1_3gpuE8ELNS1_3repE0EEENS1_48merge_mergepath_partition_config_static_selectorELNS0_4arch9wavefront6targetE1EEEvSH_
	.globl	_ZN7rocprim17ROCPRIM_400000_NS6detail17trampoline_kernelINS0_14default_configENS1_38merge_sort_block_merge_config_selectorIalEEZZNS1_27merge_sort_block_merge_implIS3_PaN6thrust23THRUST_200600_302600_NS10device_ptrIlEEjNS1_19radix_merge_compareILb0ELb0EaNS0_19identity_decomposerEEEEE10hipError_tT0_T1_T2_jT3_P12ihipStream_tbPNSt15iterator_traitsISG_E10value_typeEPNSM_ISH_E10value_typeEPSI_NS1_7vsmem_tEENKUlT_SG_SH_SI_E_clIS7_S7_SB_PlEESF_SV_SG_SH_SI_EUlSV_E_NS1_11comp_targetILNS1_3genE4ELNS1_11target_archE910ELNS1_3gpuE8ELNS1_3repE0EEENS1_48merge_mergepath_partition_config_static_selectorELNS0_4arch9wavefront6targetE1EEEvSH_
	.p2align	8
	.type	_ZN7rocprim17ROCPRIM_400000_NS6detail17trampoline_kernelINS0_14default_configENS1_38merge_sort_block_merge_config_selectorIalEEZZNS1_27merge_sort_block_merge_implIS3_PaN6thrust23THRUST_200600_302600_NS10device_ptrIlEEjNS1_19radix_merge_compareILb0ELb0EaNS0_19identity_decomposerEEEEE10hipError_tT0_T1_T2_jT3_P12ihipStream_tbPNSt15iterator_traitsISG_E10value_typeEPNSM_ISH_E10value_typeEPSI_NS1_7vsmem_tEENKUlT_SG_SH_SI_E_clIS7_S7_SB_PlEESF_SV_SG_SH_SI_EUlSV_E_NS1_11comp_targetILNS1_3genE4ELNS1_11target_archE910ELNS1_3gpuE8ELNS1_3repE0EEENS1_48merge_mergepath_partition_config_static_selectorELNS0_4arch9wavefront6targetE1EEEvSH_,@function
_ZN7rocprim17ROCPRIM_400000_NS6detail17trampoline_kernelINS0_14default_configENS1_38merge_sort_block_merge_config_selectorIalEEZZNS1_27merge_sort_block_merge_implIS3_PaN6thrust23THRUST_200600_302600_NS10device_ptrIlEEjNS1_19radix_merge_compareILb0ELb0EaNS0_19identity_decomposerEEEEE10hipError_tT0_T1_T2_jT3_P12ihipStream_tbPNSt15iterator_traitsISG_E10value_typeEPNSM_ISH_E10value_typeEPSI_NS1_7vsmem_tEENKUlT_SG_SH_SI_E_clIS7_S7_SB_PlEESF_SV_SG_SH_SI_EUlSV_E_NS1_11comp_targetILNS1_3genE4ELNS1_11target_archE910ELNS1_3gpuE8ELNS1_3repE0EEENS1_48merge_mergepath_partition_config_static_selectorELNS0_4arch9wavefront6targetE1EEEvSH_: ; @_ZN7rocprim17ROCPRIM_400000_NS6detail17trampoline_kernelINS0_14default_configENS1_38merge_sort_block_merge_config_selectorIalEEZZNS1_27merge_sort_block_merge_implIS3_PaN6thrust23THRUST_200600_302600_NS10device_ptrIlEEjNS1_19radix_merge_compareILb0ELb0EaNS0_19identity_decomposerEEEEE10hipError_tT0_T1_T2_jT3_P12ihipStream_tbPNSt15iterator_traitsISG_E10value_typeEPNSM_ISH_E10value_typeEPSI_NS1_7vsmem_tEENKUlT_SG_SH_SI_E_clIS7_S7_SB_PlEESF_SV_SG_SH_SI_EUlSV_E_NS1_11comp_targetILNS1_3genE4ELNS1_11target_archE910ELNS1_3gpuE8ELNS1_3repE0EEENS1_48merge_mergepath_partition_config_static_selectorELNS0_4arch9wavefront6targetE1EEEvSH_
; %bb.0:
	.section	.rodata,"a",@progbits
	.p2align	6, 0x0
	.amdhsa_kernel _ZN7rocprim17ROCPRIM_400000_NS6detail17trampoline_kernelINS0_14default_configENS1_38merge_sort_block_merge_config_selectorIalEEZZNS1_27merge_sort_block_merge_implIS3_PaN6thrust23THRUST_200600_302600_NS10device_ptrIlEEjNS1_19radix_merge_compareILb0ELb0EaNS0_19identity_decomposerEEEEE10hipError_tT0_T1_T2_jT3_P12ihipStream_tbPNSt15iterator_traitsISG_E10value_typeEPNSM_ISH_E10value_typeEPSI_NS1_7vsmem_tEENKUlT_SG_SH_SI_E_clIS7_S7_SB_PlEESF_SV_SG_SH_SI_EUlSV_E_NS1_11comp_targetILNS1_3genE4ELNS1_11target_archE910ELNS1_3gpuE8ELNS1_3repE0EEENS1_48merge_mergepath_partition_config_static_selectorELNS0_4arch9wavefront6targetE1EEEvSH_
		.amdhsa_group_segment_fixed_size 0
		.amdhsa_private_segment_fixed_size 0
		.amdhsa_kernarg_size 40
		.amdhsa_user_sgpr_count 6
		.amdhsa_user_sgpr_private_segment_buffer 1
		.amdhsa_user_sgpr_dispatch_ptr 0
		.amdhsa_user_sgpr_queue_ptr 0
		.amdhsa_user_sgpr_kernarg_segment_ptr 1
		.amdhsa_user_sgpr_dispatch_id 0
		.amdhsa_user_sgpr_flat_scratch_init 0
		.amdhsa_user_sgpr_private_segment_size 0
		.amdhsa_uses_dynamic_stack 0
		.amdhsa_system_sgpr_private_segment_wavefront_offset 0
		.amdhsa_system_sgpr_workgroup_id_x 1
		.amdhsa_system_sgpr_workgroup_id_y 0
		.amdhsa_system_sgpr_workgroup_id_z 0
		.amdhsa_system_sgpr_workgroup_info 0
		.amdhsa_system_vgpr_workitem_id 0
		.amdhsa_next_free_vgpr 1
		.amdhsa_next_free_sgpr 0
		.amdhsa_reserve_vcc 0
		.amdhsa_reserve_flat_scratch 0
		.amdhsa_float_round_mode_32 0
		.amdhsa_float_round_mode_16_64 0
		.amdhsa_float_denorm_mode_32 3
		.amdhsa_float_denorm_mode_16_64 3
		.amdhsa_dx10_clamp 1
		.amdhsa_ieee_mode 1
		.amdhsa_fp16_overflow 0
		.amdhsa_exception_fp_ieee_invalid_op 0
		.amdhsa_exception_fp_denorm_src 0
		.amdhsa_exception_fp_ieee_div_zero 0
		.amdhsa_exception_fp_ieee_overflow 0
		.amdhsa_exception_fp_ieee_underflow 0
		.amdhsa_exception_fp_ieee_inexact 0
		.amdhsa_exception_int_div_zero 0
	.end_amdhsa_kernel
	.section	.text._ZN7rocprim17ROCPRIM_400000_NS6detail17trampoline_kernelINS0_14default_configENS1_38merge_sort_block_merge_config_selectorIalEEZZNS1_27merge_sort_block_merge_implIS3_PaN6thrust23THRUST_200600_302600_NS10device_ptrIlEEjNS1_19radix_merge_compareILb0ELb0EaNS0_19identity_decomposerEEEEE10hipError_tT0_T1_T2_jT3_P12ihipStream_tbPNSt15iterator_traitsISG_E10value_typeEPNSM_ISH_E10value_typeEPSI_NS1_7vsmem_tEENKUlT_SG_SH_SI_E_clIS7_S7_SB_PlEESF_SV_SG_SH_SI_EUlSV_E_NS1_11comp_targetILNS1_3genE4ELNS1_11target_archE910ELNS1_3gpuE8ELNS1_3repE0EEENS1_48merge_mergepath_partition_config_static_selectorELNS0_4arch9wavefront6targetE1EEEvSH_,"axG",@progbits,_ZN7rocprim17ROCPRIM_400000_NS6detail17trampoline_kernelINS0_14default_configENS1_38merge_sort_block_merge_config_selectorIalEEZZNS1_27merge_sort_block_merge_implIS3_PaN6thrust23THRUST_200600_302600_NS10device_ptrIlEEjNS1_19radix_merge_compareILb0ELb0EaNS0_19identity_decomposerEEEEE10hipError_tT0_T1_T2_jT3_P12ihipStream_tbPNSt15iterator_traitsISG_E10value_typeEPNSM_ISH_E10value_typeEPSI_NS1_7vsmem_tEENKUlT_SG_SH_SI_E_clIS7_S7_SB_PlEESF_SV_SG_SH_SI_EUlSV_E_NS1_11comp_targetILNS1_3genE4ELNS1_11target_archE910ELNS1_3gpuE8ELNS1_3repE0EEENS1_48merge_mergepath_partition_config_static_selectorELNS0_4arch9wavefront6targetE1EEEvSH_,comdat
.Lfunc_end505:
	.size	_ZN7rocprim17ROCPRIM_400000_NS6detail17trampoline_kernelINS0_14default_configENS1_38merge_sort_block_merge_config_selectorIalEEZZNS1_27merge_sort_block_merge_implIS3_PaN6thrust23THRUST_200600_302600_NS10device_ptrIlEEjNS1_19radix_merge_compareILb0ELb0EaNS0_19identity_decomposerEEEEE10hipError_tT0_T1_T2_jT3_P12ihipStream_tbPNSt15iterator_traitsISG_E10value_typeEPNSM_ISH_E10value_typeEPSI_NS1_7vsmem_tEENKUlT_SG_SH_SI_E_clIS7_S7_SB_PlEESF_SV_SG_SH_SI_EUlSV_E_NS1_11comp_targetILNS1_3genE4ELNS1_11target_archE910ELNS1_3gpuE8ELNS1_3repE0EEENS1_48merge_mergepath_partition_config_static_selectorELNS0_4arch9wavefront6targetE1EEEvSH_, .Lfunc_end505-_ZN7rocprim17ROCPRIM_400000_NS6detail17trampoline_kernelINS0_14default_configENS1_38merge_sort_block_merge_config_selectorIalEEZZNS1_27merge_sort_block_merge_implIS3_PaN6thrust23THRUST_200600_302600_NS10device_ptrIlEEjNS1_19radix_merge_compareILb0ELb0EaNS0_19identity_decomposerEEEEE10hipError_tT0_T1_T2_jT3_P12ihipStream_tbPNSt15iterator_traitsISG_E10value_typeEPNSM_ISH_E10value_typeEPSI_NS1_7vsmem_tEENKUlT_SG_SH_SI_E_clIS7_S7_SB_PlEESF_SV_SG_SH_SI_EUlSV_E_NS1_11comp_targetILNS1_3genE4ELNS1_11target_archE910ELNS1_3gpuE8ELNS1_3repE0EEENS1_48merge_mergepath_partition_config_static_selectorELNS0_4arch9wavefront6targetE1EEEvSH_
                                        ; -- End function
	.set _ZN7rocprim17ROCPRIM_400000_NS6detail17trampoline_kernelINS0_14default_configENS1_38merge_sort_block_merge_config_selectorIalEEZZNS1_27merge_sort_block_merge_implIS3_PaN6thrust23THRUST_200600_302600_NS10device_ptrIlEEjNS1_19radix_merge_compareILb0ELb0EaNS0_19identity_decomposerEEEEE10hipError_tT0_T1_T2_jT3_P12ihipStream_tbPNSt15iterator_traitsISG_E10value_typeEPNSM_ISH_E10value_typeEPSI_NS1_7vsmem_tEENKUlT_SG_SH_SI_E_clIS7_S7_SB_PlEESF_SV_SG_SH_SI_EUlSV_E_NS1_11comp_targetILNS1_3genE4ELNS1_11target_archE910ELNS1_3gpuE8ELNS1_3repE0EEENS1_48merge_mergepath_partition_config_static_selectorELNS0_4arch9wavefront6targetE1EEEvSH_.num_vgpr, 0
	.set _ZN7rocprim17ROCPRIM_400000_NS6detail17trampoline_kernelINS0_14default_configENS1_38merge_sort_block_merge_config_selectorIalEEZZNS1_27merge_sort_block_merge_implIS3_PaN6thrust23THRUST_200600_302600_NS10device_ptrIlEEjNS1_19radix_merge_compareILb0ELb0EaNS0_19identity_decomposerEEEEE10hipError_tT0_T1_T2_jT3_P12ihipStream_tbPNSt15iterator_traitsISG_E10value_typeEPNSM_ISH_E10value_typeEPSI_NS1_7vsmem_tEENKUlT_SG_SH_SI_E_clIS7_S7_SB_PlEESF_SV_SG_SH_SI_EUlSV_E_NS1_11comp_targetILNS1_3genE4ELNS1_11target_archE910ELNS1_3gpuE8ELNS1_3repE0EEENS1_48merge_mergepath_partition_config_static_selectorELNS0_4arch9wavefront6targetE1EEEvSH_.num_agpr, 0
	.set _ZN7rocprim17ROCPRIM_400000_NS6detail17trampoline_kernelINS0_14default_configENS1_38merge_sort_block_merge_config_selectorIalEEZZNS1_27merge_sort_block_merge_implIS3_PaN6thrust23THRUST_200600_302600_NS10device_ptrIlEEjNS1_19radix_merge_compareILb0ELb0EaNS0_19identity_decomposerEEEEE10hipError_tT0_T1_T2_jT3_P12ihipStream_tbPNSt15iterator_traitsISG_E10value_typeEPNSM_ISH_E10value_typeEPSI_NS1_7vsmem_tEENKUlT_SG_SH_SI_E_clIS7_S7_SB_PlEESF_SV_SG_SH_SI_EUlSV_E_NS1_11comp_targetILNS1_3genE4ELNS1_11target_archE910ELNS1_3gpuE8ELNS1_3repE0EEENS1_48merge_mergepath_partition_config_static_selectorELNS0_4arch9wavefront6targetE1EEEvSH_.numbered_sgpr, 0
	.set _ZN7rocprim17ROCPRIM_400000_NS6detail17trampoline_kernelINS0_14default_configENS1_38merge_sort_block_merge_config_selectorIalEEZZNS1_27merge_sort_block_merge_implIS3_PaN6thrust23THRUST_200600_302600_NS10device_ptrIlEEjNS1_19radix_merge_compareILb0ELb0EaNS0_19identity_decomposerEEEEE10hipError_tT0_T1_T2_jT3_P12ihipStream_tbPNSt15iterator_traitsISG_E10value_typeEPNSM_ISH_E10value_typeEPSI_NS1_7vsmem_tEENKUlT_SG_SH_SI_E_clIS7_S7_SB_PlEESF_SV_SG_SH_SI_EUlSV_E_NS1_11comp_targetILNS1_3genE4ELNS1_11target_archE910ELNS1_3gpuE8ELNS1_3repE0EEENS1_48merge_mergepath_partition_config_static_selectorELNS0_4arch9wavefront6targetE1EEEvSH_.num_named_barrier, 0
	.set _ZN7rocprim17ROCPRIM_400000_NS6detail17trampoline_kernelINS0_14default_configENS1_38merge_sort_block_merge_config_selectorIalEEZZNS1_27merge_sort_block_merge_implIS3_PaN6thrust23THRUST_200600_302600_NS10device_ptrIlEEjNS1_19radix_merge_compareILb0ELb0EaNS0_19identity_decomposerEEEEE10hipError_tT0_T1_T2_jT3_P12ihipStream_tbPNSt15iterator_traitsISG_E10value_typeEPNSM_ISH_E10value_typeEPSI_NS1_7vsmem_tEENKUlT_SG_SH_SI_E_clIS7_S7_SB_PlEESF_SV_SG_SH_SI_EUlSV_E_NS1_11comp_targetILNS1_3genE4ELNS1_11target_archE910ELNS1_3gpuE8ELNS1_3repE0EEENS1_48merge_mergepath_partition_config_static_selectorELNS0_4arch9wavefront6targetE1EEEvSH_.private_seg_size, 0
	.set _ZN7rocprim17ROCPRIM_400000_NS6detail17trampoline_kernelINS0_14default_configENS1_38merge_sort_block_merge_config_selectorIalEEZZNS1_27merge_sort_block_merge_implIS3_PaN6thrust23THRUST_200600_302600_NS10device_ptrIlEEjNS1_19radix_merge_compareILb0ELb0EaNS0_19identity_decomposerEEEEE10hipError_tT0_T1_T2_jT3_P12ihipStream_tbPNSt15iterator_traitsISG_E10value_typeEPNSM_ISH_E10value_typeEPSI_NS1_7vsmem_tEENKUlT_SG_SH_SI_E_clIS7_S7_SB_PlEESF_SV_SG_SH_SI_EUlSV_E_NS1_11comp_targetILNS1_3genE4ELNS1_11target_archE910ELNS1_3gpuE8ELNS1_3repE0EEENS1_48merge_mergepath_partition_config_static_selectorELNS0_4arch9wavefront6targetE1EEEvSH_.uses_vcc, 0
	.set _ZN7rocprim17ROCPRIM_400000_NS6detail17trampoline_kernelINS0_14default_configENS1_38merge_sort_block_merge_config_selectorIalEEZZNS1_27merge_sort_block_merge_implIS3_PaN6thrust23THRUST_200600_302600_NS10device_ptrIlEEjNS1_19radix_merge_compareILb0ELb0EaNS0_19identity_decomposerEEEEE10hipError_tT0_T1_T2_jT3_P12ihipStream_tbPNSt15iterator_traitsISG_E10value_typeEPNSM_ISH_E10value_typeEPSI_NS1_7vsmem_tEENKUlT_SG_SH_SI_E_clIS7_S7_SB_PlEESF_SV_SG_SH_SI_EUlSV_E_NS1_11comp_targetILNS1_3genE4ELNS1_11target_archE910ELNS1_3gpuE8ELNS1_3repE0EEENS1_48merge_mergepath_partition_config_static_selectorELNS0_4arch9wavefront6targetE1EEEvSH_.uses_flat_scratch, 0
	.set _ZN7rocprim17ROCPRIM_400000_NS6detail17trampoline_kernelINS0_14default_configENS1_38merge_sort_block_merge_config_selectorIalEEZZNS1_27merge_sort_block_merge_implIS3_PaN6thrust23THRUST_200600_302600_NS10device_ptrIlEEjNS1_19radix_merge_compareILb0ELb0EaNS0_19identity_decomposerEEEEE10hipError_tT0_T1_T2_jT3_P12ihipStream_tbPNSt15iterator_traitsISG_E10value_typeEPNSM_ISH_E10value_typeEPSI_NS1_7vsmem_tEENKUlT_SG_SH_SI_E_clIS7_S7_SB_PlEESF_SV_SG_SH_SI_EUlSV_E_NS1_11comp_targetILNS1_3genE4ELNS1_11target_archE910ELNS1_3gpuE8ELNS1_3repE0EEENS1_48merge_mergepath_partition_config_static_selectorELNS0_4arch9wavefront6targetE1EEEvSH_.has_dyn_sized_stack, 0
	.set _ZN7rocprim17ROCPRIM_400000_NS6detail17trampoline_kernelINS0_14default_configENS1_38merge_sort_block_merge_config_selectorIalEEZZNS1_27merge_sort_block_merge_implIS3_PaN6thrust23THRUST_200600_302600_NS10device_ptrIlEEjNS1_19radix_merge_compareILb0ELb0EaNS0_19identity_decomposerEEEEE10hipError_tT0_T1_T2_jT3_P12ihipStream_tbPNSt15iterator_traitsISG_E10value_typeEPNSM_ISH_E10value_typeEPSI_NS1_7vsmem_tEENKUlT_SG_SH_SI_E_clIS7_S7_SB_PlEESF_SV_SG_SH_SI_EUlSV_E_NS1_11comp_targetILNS1_3genE4ELNS1_11target_archE910ELNS1_3gpuE8ELNS1_3repE0EEENS1_48merge_mergepath_partition_config_static_selectorELNS0_4arch9wavefront6targetE1EEEvSH_.has_recursion, 0
	.set _ZN7rocprim17ROCPRIM_400000_NS6detail17trampoline_kernelINS0_14default_configENS1_38merge_sort_block_merge_config_selectorIalEEZZNS1_27merge_sort_block_merge_implIS3_PaN6thrust23THRUST_200600_302600_NS10device_ptrIlEEjNS1_19radix_merge_compareILb0ELb0EaNS0_19identity_decomposerEEEEE10hipError_tT0_T1_T2_jT3_P12ihipStream_tbPNSt15iterator_traitsISG_E10value_typeEPNSM_ISH_E10value_typeEPSI_NS1_7vsmem_tEENKUlT_SG_SH_SI_E_clIS7_S7_SB_PlEESF_SV_SG_SH_SI_EUlSV_E_NS1_11comp_targetILNS1_3genE4ELNS1_11target_archE910ELNS1_3gpuE8ELNS1_3repE0EEENS1_48merge_mergepath_partition_config_static_selectorELNS0_4arch9wavefront6targetE1EEEvSH_.has_indirect_call, 0
	.section	.AMDGPU.csdata,"",@progbits
; Kernel info:
; codeLenInByte = 0
; TotalNumSgprs: 4
; NumVgprs: 0
; ScratchSize: 0
; MemoryBound: 0
; FloatMode: 240
; IeeeMode: 1
; LDSByteSize: 0 bytes/workgroup (compile time only)
; SGPRBlocks: 0
; VGPRBlocks: 0
; NumSGPRsForWavesPerEU: 4
; NumVGPRsForWavesPerEU: 1
; Occupancy: 10
; WaveLimiterHint : 0
; COMPUTE_PGM_RSRC2:SCRATCH_EN: 0
; COMPUTE_PGM_RSRC2:USER_SGPR: 6
; COMPUTE_PGM_RSRC2:TRAP_HANDLER: 0
; COMPUTE_PGM_RSRC2:TGID_X_EN: 1
; COMPUTE_PGM_RSRC2:TGID_Y_EN: 0
; COMPUTE_PGM_RSRC2:TGID_Z_EN: 0
; COMPUTE_PGM_RSRC2:TIDIG_COMP_CNT: 0
	.section	.text._ZN7rocprim17ROCPRIM_400000_NS6detail17trampoline_kernelINS0_14default_configENS1_38merge_sort_block_merge_config_selectorIalEEZZNS1_27merge_sort_block_merge_implIS3_PaN6thrust23THRUST_200600_302600_NS10device_ptrIlEEjNS1_19radix_merge_compareILb0ELb0EaNS0_19identity_decomposerEEEEE10hipError_tT0_T1_T2_jT3_P12ihipStream_tbPNSt15iterator_traitsISG_E10value_typeEPNSM_ISH_E10value_typeEPSI_NS1_7vsmem_tEENKUlT_SG_SH_SI_E_clIS7_S7_SB_PlEESF_SV_SG_SH_SI_EUlSV_E_NS1_11comp_targetILNS1_3genE3ELNS1_11target_archE908ELNS1_3gpuE7ELNS1_3repE0EEENS1_48merge_mergepath_partition_config_static_selectorELNS0_4arch9wavefront6targetE1EEEvSH_,"axG",@progbits,_ZN7rocprim17ROCPRIM_400000_NS6detail17trampoline_kernelINS0_14default_configENS1_38merge_sort_block_merge_config_selectorIalEEZZNS1_27merge_sort_block_merge_implIS3_PaN6thrust23THRUST_200600_302600_NS10device_ptrIlEEjNS1_19radix_merge_compareILb0ELb0EaNS0_19identity_decomposerEEEEE10hipError_tT0_T1_T2_jT3_P12ihipStream_tbPNSt15iterator_traitsISG_E10value_typeEPNSM_ISH_E10value_typeEPSI_NS1_7vsmem_tEENKUlT_SG_SH_SI_E_clIS7_S7_SB_PlEESF_SV_SG_SH_SI_EUlSV_E_NS1_11comp_targetILNS1_3genE3ELNS1_11target_archE908ELNS1_3gpuE7ELNS1_3repE0EEENS1_48merge_mergepath_partition_config_static_selectorELNS0_4arch9wavefront6targetE1EEEvSH_,comdat
	.protected	_ZN7rocprim17ROCPRIM_400000_NS6detail17trampoline_kernelINS0_14default_configENS1_38merge_sort_block_merge_config_selectorIalEEZZNS1_27merge_sort_block_merge_implIS3_PaN6thrust23THRUST_200600_302600_NS10device_ptrIlEEjNS1_19radix_merge_compareILb0ELb0EaNS0_19identity_decomposerEEEEE10hipError_tT0_T1_T2_jT3_P12ihipStream_tbPNSt15iterator_traitsISG_E10value_typeEPNSM_ISH_E10value_typeEPSI_NS1_7vsmem_tEENKUlT_SG_SH_SI_E_clIS7_S7_SB_PlEESF_SV_SG_SH_SI_EUlSV_E_NS1_11comp_targetILNS1_3genE3ELNS1_11target_archE908ELNS1_3gpuE7ELNS1_3repE0EEENS1_48merge_mergepath_partition_config_static_selectorELNS0_4arch9wavefront6targetE1EEEvSH_ ; -- Begin function _ZN7rocprim17ROCPRIM_400000_NS6detail17trampoline_kernelINS0_14default_configENS1_38merge_sort_block_merge_config_selectorIalEEZZNS1_27merge_sort_block_merge_implIS3_PaN6thrust23THRUST_200600_302600_NS10device_ptrIlEEjNS1_19radix_merge_compareILb0ELb0EaNS0_19identity_decomposerEEEEE10hipError_tT0_T1_T2_jT3_P12ihipStream_tbPNSt15iterator_traitsISG_E10value_typeEPNSM_ISH_E10value_typeEPSI_NS1_7vsmem_tEENKUlT_SG_SH_SI_E_clIS7_S7_SB_PlEESF_SV_SG_SH_SI_EUlSV_E_NS1_11comp_targetILNS1_3genE3ELNS1_11target_archE908ELNS1_3gpuE7ELNS1_3repE0EEENS1_48merge_mergepath_partition_config_static_selectorELNS0_4arch9wavefront6targetE1EEEvSH_
	.globl	_ZN7rocprim17ROCPRIM_400000_NS6detail17trampoline_kernelINS0_14default_configENS1_38merge_sort_block_merge_config_selectorIalEEZZNS1_27merge_sort_block_merge_implIS3_PaN6thrust23THRUST_200600_302600_NS10device_ptrIlEEjNS1_19radix_merge_compareILb0ELb0EaNS0_19identity_decomposerEEEEE10hipError_tT0_T1_T2_jT3_P12ihipStream_tbPNSt15iterator_traitsISG_E10value_typeEPNSM_ISH_E10value_typeEPSI_NS1_7vsmem_tEENKUlT_SG_SH_SI_E_clIS7_S7_SB_PlEESF_SV_SG_SH_SI_EUlSV_E_NS1_11comp_targetILNS1_3genE3ELNS1_11target_archE908ELNS1_3gpuE7ELNS1_3repE0EEENS1_48merge_mergepath_partition_config_static_selectorELNS0_4arch9wavefront6targetE1EEEvSH_
	.p2align	8
	.type	_ZN7rocprim17ROCPRIM_400000_NS6detail17trampoline_kernelINS0_14default_configENS1_38merge_sort_block_merge_config_selectorIalEEZZNS1_27merge_sort_block_merge_implIS3_PaN6thrust23THRUST_200600_302600_NS10device_ptrIlEEjNS1_19radix_merge_compareILb0ELb0EaNS0_19identity_decomposerEEEEE10hipError_tT0_T1_T2_jT3_P12ihipStream_tbPNSt15iterator_traitsISG_E10value_typeEPNSM_ISH_E10value_typeEPSI_NS1_7vsmem_tEENKUlT_SG_SH_SI_E_clIS7_S7_SB_PlEESF_SV_SG_SH_SI_EUlSV_E_NS1_11comp_targetILNS1_3genE3ELNS1_11target_archE908ELNS1_3gpuE7ELNS1_3repE0EEENS1_48merge_mergepath_partition_config_static_selectorELNS0_4arch9wavefront6targetE1EEEvSH_,@function
_ZN7rocprim17ROCPRIM_400000_NS6detail17trampoline_kernelINS0_14default_configENS1_38merge_sort_block_merge_config_selectorIalEEZZNS1_27merge_sort_block_merge_implIS3_PaN6thrust23THRUST_200600_302600_NS10device_ptrIlEEjNS1_19radix_merge_compareILb0ELb0EaNS0_19identity_decomposerEEEEE10hipError_tT0_T1_T2_jT3_P12ihipStream_tbPNSt15iterator_traitsISG_E10value_typeEPNSM_ISH_E10value_typeEPSI_NS1_7vsmem_tEENKUlT_SG_SH_SI_E_clIS7_S7_SB_PlEESF_SV_SG_SH_SI_EUlSV_E_NS1_11comp_targetILNS1_3genE3ELNS1_11target_archE908ELNS1_3gpuE7ELNS1_3repE0EEENS1_48merge_mergepath_partition_config_static_selectorELNS0_4arch9wavefront6targetE1EEEvSH_: ; @_ZN7rocprim17ROCPRIM_400000_NS6detail17trampoline_kernelINS0_14default_configENS1_38merge_sort_block_merge_config_selectorIalEEZZNS1_27merge_sort_block_merge_implIS3_PaN6thrust23THRUST_200600_302600_NS10device_ptrIlEEjNS1_19radix_merge_compareILb0ELb0EaNS0_19identity_decomposerEEEEE10hipError_tT0_T1_T2_jT3_P12ihipStream_tbPNSt15iterator_traitsISG_E10value_typeEPNSM_ISH_E10value_typeEPSI_NS1_7vsmem_tEENKUlT_SG_SH_SI_E_clIS7_S7_SB_PlEESF_SV_SG_SH_SI_EUlSV_E_NS1_11comp_targetILNS1_3genE3ELNS1_11target_archE908ELNS1_3gpuE7ELNS1_3repE0EEENS1_48merge_mergepath_partition_config_static_selectorELNS0_4arch9wavefront6targetE1EEEvSH_
; %bb.0:
	.section	.rodata,"a",@progbits
	.p2align	6, 0x0
	.amdhsa_kernel _ZN7rocprim17ROCPRIM_400000_NS6detail17trampoline_kernelINS0_14default_configENS1_38merge_sort_block_merge_config_selectorIalEEZZNS1_27merge_sort_block_merge_implIS3_PaN6thrust23THRUST_200600_302600_NS10device_ptrIlEEjNS1_19radix_merge_compareILb0ELb0EaNS0_19identity_decomposerEEEEE10hipError_tT0_T1_T2_jT3_P12ihipStream_tbPNSt15iterator_traitsISG_E10value_typeEPNSM_ISH_E10value_typeEPSI_NS1_7vsmem_tEENKUlT_SG_SH_SI_E_clIS7_S7_SB_PlEESF_SV_SG_SH_SI_EUlSV_E_NS1_11comp_targetILNS1_3genE3ELNS1_11target_archE908ELNS1_3gpuE7ELNS1_3repE0EEENS1_48merge_mergepath_partition_config_static_selectorELNS0_4arch9wavefront6targetE1EEEvSH_
		.amdhsa_group_segment_fixed_size 0
		.amdhsa_private_segment_fixed_size 0
		.amdhsa_kernarg_size 40
		.amdhsa_user_sgpr_count 6
		.amdhsa_user_sgpr_private_segment_buffer 1
		.amdhsa_user_sgpr_dispatch_ptr 0
		.amdhsa_user_sgpr_queue_ptr 0
		.amdhsa_user_sgpr_kernarg_segment_ptr 1
		.amdhsa_user_sgpr_dispatch_id 0
		.amdhsa_user_sgpr_flat_scratch_init 0
		.amdhsa_user_sgpr_private_segment_size 0
		.amdhsa_uses_dynamic_stack 0
		.amdhsa_system_sgpr_private_segment_wavefront_offset 0
		.amdhsa_system_sgpr_workgroup_id_x 1
		.amdhsa_system_sgpr_workgroup_id_y 0
		.amdhsa_system_sgpr_workgroup_id_z 0
		.amdhsa_system_sgpr_workgroup_info 0
		.amdhsa_system_vgpr_workitem_id 0
		.amdhsa_next_free_vgpr 1
		.amdhsa_next_free_sgpr 0
		.amdhsa_reserve_vcc 0
		.amdhsa_reserve_flat_scratch 0
		.amdhsa_float_round_mode_32 0
		.amdhsa_float_round_mode_16_64 0
		.amdhsa_float_denorm_mode_32 3
		.amdhsa_float_denorm_mode_16_64 3
		.amdhsa_dx10_clamp 1
		.amdhsa_ieee_mode 1
		.amdhsa_fp16_overflow 0
		.amdhsa_exception_fp_ieee_invalid_op 0
		.amdhsa_exception_fp_denorm_src 0
		.amdhsa_exception_fp_ieee_div_zero 0
		.amdhsa_exception_fp_ieee_overflow 0
		.amdhsa_exception_fp_ieee_underflow 0
		.amdhsa_exception_fp_ieee_inexact 0
		.amdhsa_exception_int_div_zero 0
	.end_amdhsa_kernel
	.section	.text._ZN7rocprim17ROCPRIM_400000_NS6detail17trampoline_kernelINS0_14default_configENS1_38merge_sort_block_merge_config_selectorIalEEZZNS1_27merge_sort_block_merge_implIS3_PaN6thrust23THRUST_200600_302600_NS10device_ptrIlEEjNS1_19radix_merge_compareILb0ELb0EaNS0_19identity_decomposerEEEEE10hipError_tT0_T1_T2_jT3_P12ihipStream_tbPNSt15iterator_traitsISG_E10value_typeEPNSM_ISH_E10value_typeEPSI_NS1_7vsmem_tEENKUlT_SG_SH_SI_E_clIS7_S7_SB_PlEESF_SV_SG_SH_SI_EUlSV_E_NS1_11comp_targetILNS1_3genE3ELNS1_11target_archE908ELNS1_3gpuE7ELNS1_3repE0EEENS1_48merge_mergepath_partition_config_static_selectorELNS0_4arch9wavefront6targetE1EEEvSH_,"axG",@progbits,_ZN7rocprim17ROCPRIM_400000_NS6detail17trampoline_kernelINS0_14default_configENS1_38merge_sort_block_merge_config_selectorIalEEZZNS1_27merge_sort_block_merge_implIS3_PaN6thrust23THRUST_200600_302600_NS10device_ptrIlEEjNS1_19radix_merge_compareILb0ELb0EaNS0_19identity_decomposerEEEEE10hipError_tT0_T1_T2_jT3_P12ihipStream_tbPNSt15iterator_traitsISG_E10value_typeEPNSM_ISH_E10value_typeEPSI_NS1_7vsmem_tEENKUlT_SG_SH_SI_E_clIS7_S7_SB_PlEESF_SV_SG_SH_SI_EUlSV_E_NS1_11comp_targetILNS1_3genE3ELNS1_11target_archE908ELNS1_3gpuE7ELNS1_3repE0EEENS1_48merge_mergepath_partition_config_static_selectorELNS0_4arch9wavefront6targetE1EEEvSH_,comdat
.Lfunc_end506:
	.size	_ZN7rocprim17ROCPRIM_400000_NS6detail17trampoline_kernelINS0_14default_configENS1_38merge_sort_block_merge_config_selectorIalEEZZNS1_27merge_sort_block_merge_implIS3_PaN6thrust23THRUST_200600_302600_NS10device_ptrIlEEjNS1_19radix_merge_compareILb0ELb0EaNS0_19identity_decomposerEEEEE10hipError_tT0_T1_T2_jT3_P12ihipStream_tbPNSt15iterator_traitsISG_E10value_typeEPNSM_ISH_E10value_typeEPSI_NS1_7vsmem_tEENKUlT_SG_SH_SI_E_clIS7_S7_SB_PlEESF_SV_SG_SH_SI_EUlSV_E_NS1_11comp_targetILNS1_3genE3ELNS1_11target_archE908ELNS1_3gpuE7ELNS1_3repE0EEENS1_48merge_mergepath_partition_config_static_selectorELNS0_4arch9wavefront6targetE1EEEvSH_, .Lfunc_end506-_ZN7rocprim17ROCPRIM_400000_NS6detail17trampoline_kernelINS0_14default_configENS1_38merge_sort_block_merge_config_selectorIalEEZZNS1_27merge_sort_block_merge_implIS3_PaN6thrust23THRUST_200600_302600_NS10device_ptrIlEEjNS1_19radix_merge_compareILb0ELb0EaNS0_19identity_decomposerEEEEE10hipError_tT0_T1_T2_jT3_P12ihipStream_tbPNSt15iterator_traitsISG_E10value_typeEPNSM_ISH_E10value_typeEPSI_NS1_7vsmem_tEENKUlT_SG_SH_SI_E_clIS7_S7_SB_PlEESF_SV_SG_SH_SI_EUlSV_E_NS1_11comp_targetILNS1_3genE3ELNS1_11target_archE908ELNS1_3gpuE7ELNS1_3repE0EEENS1_48merge_mergepath_partition_config_static_selectorELNS0_4arch9wavefront6targetE1EEEvSH_
                                        ; -- End function
	.set _ZN7rocprim17ROCPRIM_400000_NS6detail17trampoline_kernelINS0_14default_configENS1_38merge_sort_block_merge_config_selectorIalEEZZNS1_27merge_sort_block_merge_implIS3_PaN6thrust23THRUST_200600_302600_NS10device_ptrIlEEjNS1_19radix_merge_compareILb0ELb0EaNS0_19identity_decomposerEEEEE10hipError_tT0_T1_T2_jT3_P12ihipStream_tbPNSt15iterator_traitsISG_E10value_typeEPNSM_ISH_E10value_typeEPSI_NS1_7vsmem_tEENKUlT_SG_SH_SI_E_clIS7_S7_SB_PlEESF_SV_SG_SH_SI_EUlSV_E_NS1_11comp_targetILNS1_3genE3ELNS1_11target_archE908ELNS1_3gpuE7ELNS1_3repE0EEENS1_48merge_mergepath_partition_config_static_selectorELNS0_4arch9wavefront6targetE1EEEvSH_.num_vgpr, 0
	.set _ZN7rocprim17ROCPRIM_400000_NS6detail17trampoline_kernelINS0_14default_configENS1_38merge_sort_block_merge_config_selectorIalEEZZNS1_27merge_sort_block_merge_implIS3_PaN6thrust23THRUST_200600_302600_NS10device_ptrIlEEjNS1_19radix_merge_compareILb0ELb0EaNS0_19identity_decomposerEEEEE10hipError_tT0_T1_T2_jT3_P12ihipStream_tbPNSt15iterator_traitsISG_E10value_typeEPNSM_ISH_E10value_typeEPSI_NS1_7vsmem_tEENKUlT_SG_SH_SI_E_clIS7_S7_SB_PlEESF_SV_SG_SH_SI_EUlSV_E_NS1_11comp_targetILNS1_3genE3ELNS1_11target_archE908ELNS1_3gpuE7ELNS1_3repE0EEENS1_48merge_mergepath_partition_config_static_selectorELNS0_4arch9wavefront6targetE1EEEvSH_.num_agpr, 0
	.set _ZN7rocprim17ROCPRIM_400000_NS6detail17trampoline_kernelINS0_14default_configENS1_38merge_sort_block_merge_config_selectorIalEEZZNS1_27merge_sort_block_merge_implIS3_PaN6thrust23THRUST_200600_302600_NS10device_ptrIlEEjNS1_19radix_merge_compareILb0ELb0EaNS0_19identity_decomposerEEEEE10hipError_tT0_T1_T2_jT3_P12ihipStream_tbPNSt15iterator_traitsISG_E10value_typeEPNSM_ISH_E10value_typeEPSI_NS1_7vsmem_tEENKUlT_SG_SH_SI_E_clIS7_S7_SB_PlEESF_SV_SG_SH_SI_EUlSV_E_NS1_11comp_targetILNS1_3genE3ELNS1_11target_archE908ELNS1_3gpuE7ELNS1_3repE0EEENS1_48merge_mergepath_partition_config_static_selectorELNS0_4arch9wavefront6targetE1EEEvSH_.numbered_sgpr, 0
	.set _ZN7rocprim17ROCPRIM_400000_NS6detail17trampoline_kernelINS0_14default_configENS1_38merge_sort_block_merge_config_selectorIalEEZZNS1_27merge_sort_block_merge_implIS3_PaN6thrust23THRUST_200600_302600_NS10device_ptrIlEEjNS1_19radix_merge_compareILb0ELb0EaNS0_19identity_decomposerEEEEE10hipError_tT0_T1_T2_jT3_P12ihipStream_tbPNSt15iterator_traitsISG_E10value_typeEPNSM_ISH_E10value_typeEPSI_NS1_7vsmem_tEENKUlT_SG_SH_SI_E_clIS7_S7_SB_PlEESF_SV_SG_SH_SI_EUlSV_E_NS1_11comp_targetILNS1_3genE3ELNS1_11target_archE908ELNS1_3gpuE7ELNS1_3repE0EEENS1_48merge_mergepath_partition_config_static_selectorELNS0_4arch9wavefront6targetE1EEEvSH_.num_named_barrier, 0
	.set _ZN7rocprim17ROCPRIM_400000_NS6detail17trampoline_kernelINS0_14default_configENS1_38merge_sort_block_merge_config_selectorIalEEZZNS1_27merge_sort_block_merge_implIS3_PaN6thrust23THRUST_200600_302600_NS10device_ptrIlEEjNS1_19radix_merge_compareILb0ELb0EaNS0_19identity_decomposerEEEEE10hipError_tT0_T1_T2_jT3_P12ihipStream_tbPNSt15iterator_traitsISG_E10value_typeEPNSM_ISH_E10value_typeEPSI_NS1_7vsmem_tEENKUlT_SG_SH_SI_E_clIS7_S7_SB_PlEESF_SV_SG_SH_SI_EUlSV_E_NS1_11comp_targetILNS1_3genE3ELNS1_11target_archE908ELNS1_3gpuE7ELNS1_3repE0EEENS1_48merge_mergepath_partition_config_static_selectorELNS0_4arch9wavefront6targetE1EEEvSH_.private_seg_size, 0
	.set _ZN7rocprim17ROCPRIM_400000_NS6detail17trampoline_kernelINS0_14default_configENS1_38merge_sort_block_merge_config_selectorIalEEZZNS1_27merge_sort_block_merge_implIS3_PaN6thrust23THRUST_200600_302600_NS10device_ptrIlEEjNS1_19radix_merge_compareILb0ELb0EaNS0_19identity_decomposerEEEEE10hipError_tT0_T1_T2_jT3_P12ihipStream_tbPNSt15iterator_traitsISG_E10value_typeEPNSM_ISH_E10value_typeEPSI_NS1_7vsmem_tEENKUlT_SG_SH_SI_E_clIS7_S7_SB_PlEESF_SV_SG_SH_SI_EUlSV_E_NS1_11comp_targetILNS1_3genE3ELNS1_11target_archE908ELNS1_3gpuE7ELNS1_3repE0EEENS1_48merge_mergepath_partition_config_static_selectorELNS0_4arch9wavefront6targetE1EEEvSH_.uses_vcc, 0
	.set _ZN7rocprim17ROCPRIM_400000_NS6detail17trampoline_kernelINS0_14default_configENS1_38merge_sort_block_merge_config_selectorIalEEZZNS1_27merge_sort_block_merge_implIS3_PaN6thrust23THRUST_200600_302600_NS10device_ptrIlEEjNS1_19radix_merge_compareILb0ELb0EaNS0_19identity_decomposerEEEEE10hipError_tT0_T1_T2_jT3_P12ihipStream_tbPNSt15iterator_traitsISG_E10value_typeEPNSM_ISH_E10value_typeEPSI_NS1_7vsmem_tEENKUlT_SG_SH_SI_E_clIS7_S7_SB_PlEESF_SV_SG_SH_SI_EUlSV_E_NS1_11comp_targetILNS1_3genE3ELNS1_11target_archE908ELNS1_3gpuE7ELNS1_3repE0EEENS1_48merge_mergepath_partition_config_static_selectorELNS0_4arch9wavefront6targetE1EEEvSH_.uses_flat_scratch, 0
	.set _ZN7rocprim17ROCPRIM_400000_NS6detail17trampoline_kernelINS0_14default_configENS1_38merge_sort_block_merge_config_selectorIalEEZZNS1_27merge_sort_block_merge_implIS3_PaN6thrust23THRUST_200600_302600_NS10device_ptrIlEEjNS1_19radix_merge_compareILb0ELb0EaNS0_19identity_decomposerEEEEE10hipError_tT0_T1_T2_jT3_P12ihipStream_tbPNSt15iterator_traitsISG_E10value_typeEPNSM_ISH_E10value_typeEPSI_NS1_7vsmem_tEENKUlT_SG_SH_SI_E_clIS7_S7_SB_PlEESF_SV_SG_SH_SI_EUlSV_E_NS1_11comp_targetILNS1_3genE3ELNS1_11target_archE908ELNS1_3gpuE7ELNS1_3repE0EEENS1_48merge_mergepath_partition_config_static_selectorELNS0_4arch9wavefront6targetE1EEEvSH_.has_dyn_sized_stack, 0
	.set _ZN7rocprim17ROCPRIM_400000_NS6detail17trampoline_kernelINS0_14default_configENS1_38merge_sort_block_merge_config_selectorIalEEZZNS1_27merge_sort_block_merge_implIS3_PaN6thrust23THRUST_200600_302600_NS10device_ptrIlEEjNS1_19radix_merge_compareILb0ELb0EaNS0_19identity_decomposerEEEEE10hipError_tT0_T1_T2_jT3_P12ihipStream_tbPNSt15iterator_traitsISG_E10value_typeEPNSM_ISH_E10value_typeEPSI_NS1_7vsmem_tEENKUlT_SG_SH_SI_E_clIS7_S7_SB_PlEESF_SV_SG_SH_SI_EUlSV_E_NS1_11comp_targetILNS1_3genE3ELNS1_11target_archE908ELNS1_3gpuE7ELNS1_3repE0EEENS1_48merge_mergepath_partition_config_static_selectorELNS0_4arch9wavefront6targetE1EEEvSH_.has_recursion, 0
	.set _ZN7rocprim17ROCPRIM_400000_NS6detail17trampoline_kernelINS0_14default_configENS1_38merge_sort_block_merge_config_selectorIalEEZZNS1_27merge_sort_block_merge_implIS3_PaN6thrust23THRUST_200600_302600_NS10device_ptrIlEEjNS1_19radix_merge_compareILb0ELb0EaNS0_19identity_decomposerEEEEE10hipError_tT0_T1_T2_jT3_P12ihipStream_tbPNSt15iterator_traitsISG_E10value_typeEPNSM_ISH_E10value_typeEPSI_NS1_7vsmem_tEENKUlT_SG_SH_SI_E_clIS7_S7_SB_PlEESF_SV_SG_SH_SI_EUlSV_E_NS1_11comp_targetILNS1_3genE3ELNS1_11target_archE908ELNS1_3gpuE7ELNS1_3repE0EEENS1_48merge_mergepath_partition_config_static_selectorELNS0_4arch9wavefront6targetE1EEEvSH_.has_indirect_call, 0
	.section	.AMDGPU.csdata,"",@progbits
; Kernel info:
; codeLenInByte = 0
; TotalNumSgprs: 4
; NumVgprs: 0
; ScratchSize: 0
; MemoryBound: 0
; FloatMode: 240
; IeeeMode: 1
; LDSByteSize: 0 bytes/workgroup (compile time only)
; SGPRBlocks: 0
; VGPRBlocks: 0
; NumSGPRsForWavesPerEU: 4
; NumVGPRsForWavesPerEU: 1
; Occupancy: 10
; WaveLimiterHint : 0
; COMPUTE_PGM_RSRC2:SCRATCH_EN: 0
; COMPUTE_PGM_RSRC2:USER_SGPR: 6
; COMPUTE_PGM_RSRC2:TRAP_HANDLER: 0
; COMPUTE_PGM_RSRC2:TGID_X_EN: 1
; COMPUTE_PGM_RSRC2:TGID_Y_EN: 0
; COMPUTE_PGM_RSRC2:TGID_Z_EN: 0
; COMPUTE_PGM_RSRC2:TIDIG_COMP_CNT: 0
	.section	.text._ZN7rocprim17ROCPRIM_400000_NS6detail17trampoline_kernelINS0_14default_configENS1_38merge_sort_block_merge_config_selectorIalEEZZNS1_27merge_sort_block_merge_implIS3_PaN6thrust23THRUST_200600_302600_NS10device_ptrIlEEjNS1_19radix_merge_compareILb0ELb0EaNS0_19identity_decomposerEEEEE10hipError_tT0_T1_T2_jT3_P12ihipStream_tbPNSt15iterator_traitsISG_E10value_typeEPNSM_ISH_E10value_typeEPSI_NS1_7vsmem_tEENKUlT_SG_SH_SI_E_clIS7_S7_SB_PlEESF_SV_SG_SH_SI_EUlSV_E_NS1_11comp_targetILNS1_3genE2ELNS1_11target_archE906ELNS1_3gpuE6ELNS1_3repE0EEENS1_48merge_mergepath_partition_config_static_selectorELNS0_4arch9wavefront6targetE1EEEvSH_,"axG",@progbits,_ZN7rocprim17ROCPRIM_400000_NS6detail17trampoline_kernelINS0_14default_configENS1_38merge_sort_block_merge_config_selectorIalEEZZNS1_27merge_sort_block_merge_implIS3_PaN6thrust23THRUST_200600_302600_NS10device_ptrIlEEjNS1_19radix_merge_compareILb0ELb0EaNS0_19identity_decomposerEEEEE10hipError_tT0_T1_T2_jT3_P12ihipStream_tbPNSt15iterator_traitsISG_E10value_typeEPNSM_ISH_E10value_typeEPSI_NS1_7vsmem_tEENKUlT_SG_SH_SI_E_clIS7_S7_SB_PlEESF_SV_SG_SH_SI_EUlSV_E_NS1_11comp_targetILNS1_3genE2ELNS1_11target_archE906ELNS1_3gpuE6ELNS1_3repE0EEENS1_48merge_mergepath_partition_config_static_selectorELNS0_4arch9wavefront6targetE1EEEvSH_,comdat
	.protected	_ZN7rocprim17ROCPRIM_400000_NS6detail17trampoline_kernelINS0_14default_configENS1_38merge_sort_block_merge_config_selectorIalEEZZNS1_27merge_sort_block_merge_implIS3_PaN6thrust23THRUST_200600_302600_NS10device_ptrIlEEjNS1_19radix_merge_compareILb0ELb0EaNS0_19identity_decomposerEEEEE10hipError_tT0_T1_T2_jT3_P12ihipStream_tbPNSt15iterator_traitsISG_E10value_typeEPNSM_ISH_E10value_typeEPSI_NS1_7vsmem_tEENKUlT_SG_SH_SI_E_clIS7_S7_SB_PlEESF_SV_SG_SH_SI_EUlSV_E_NS1_11comp_targetILNS1_3genE2ELNS1_11target_archE906ELNS1_3gpuE6ELNS1_3repE0EEENS1_48merge_mergepath_partition_config_static_selectorELNS0_4arch9wavefront6targetE1EEEvSH_ ; -- Begin function _ZN7rocprim17ROCPRIM_400000_NS6detail17trampoline_kernelINS0_14default_configENS1_38merge_sort_block_merge_config_selectorIalEEZZNS1_27merge_sort_block_merge_implIS3_PaN6thrust23THRUST_200600_302600_NS10device_ptrIlEEjNS1_19radix_merge_compareILb0ELb0EaNS0_19identity_decomposerEEEEE10hipError_tT0_T1_T2_jT3_P12ihipStream_tbPNSt15iterator_traitsISG_E10value_typeEPNSM_ISH_E10value_typeEPSI_NS1_7vsmem_tEENKUlT_SG_SH_SI_E_clIS7_S7_SB_PlEESF_SV_SG_SH_SI_EUlSV_E_NS1_11comp_targetILNS1_3genE2ELNS1_11target_archE906ELNS1_3gpuE6ELNS1_3repE0EEENS1_48merge_mergepath_partition_config_static_selectorELNS0_4arch9wavefront6targetE1EEEvSH_
	.globl	_ZN7rocprim17ROCPRIM_400000_NS6detail17trampoline_kernelINS0_14default_configENS1_38merge_sort_block_merge_config_selectorIalEEZZNS1_27merge_sort_block_merge_implIS3_PaN6thrust23THRUST_200600_302600_NS10device_ptrIlEEjNS1_19radix_merge_compareILb0ELb0EaNS0_19identity_decomposerEEEEE10hipError_tT0_T1_T2_jT3_P12ihipStream_tbPNSt15iterator_traitsISG_E10value_typeEPNSM_ISH_E10value_typeEPSI_NS1_7vsmem_tEENKUlT_SG_SH_SI_E_clIS7_S7_SB_PlEESF_SV_SG_SH_SI_EUlSV_E_NS1_11comp_targetILNS1_3genE2ELNS1_11target_archE906ELNS1_3gpuE6ELNS1_3repE0EEENS1_48merge_mergepath_partition_config_static_selectorELNS0_4arch9wavefront6targetE1EEEvSH_
	.p2align	8
	.type	_ZN7rocprim17ROCPRIM_400000_NS6detail17trampoline_kernelINS0_14default_configENS1_38merge_sort_block_merge_config_selectorIalEEZZNS1_27merge_sort_block_merge_implIS3_PaN6thrust23THRUST_200600_302600_NS10device_ptrIlEEjNS1_19radix_merge_compareILb0ELb0EaNS0_19identity_decomposerEEEEE10hipError_tT0_T1_T2_jT3_P12ihipStream_tbPNSt15iterator_traitsISG_E10value_typeEPNSM_ISH_E10value_typeEPSI_NS1_7vsmem_tEENKUlT_SG_SH_SI_E_clIS7_S7_SB_PlEESF_SV_SG_SH_SI_EUlSV_E_NS1_11comp_targetILNS1_3genE2ELNS1_11target_archE906ELNS1_3gpuE6ELNS1_3repE0EEENS1_48merge_mergepath_partition_config_static_selectorELNS0_4arch9wavefront6targetE1EEEvSH_,@function
_ZN7rocprim17ROCPRIM_400000_NS6detail17trampoline_kernelINS0_14default_configENS1_38merge_sort_block_merge_config_selectorIalEEZZNS1_27merge_sort_block_merge_implIS3_PaN6thrust23THRUST_200600_302600_NS10device_ptrIlEEjNS1_19radix_merge_compareILb0ELb0EaNS0_19identity_decomposerEEEEE10hipError_tT0_T1_T2_jT3_P12ihipStream_tbPNSt15iterator_traitsISG_E10value_typeEPNSM_ISH_E10value_typeEPSI_NS1_7vsmem_tEENKUlT_SG_SH_SI_E_clIS7_S7_SB_PlEESF_SV_SG_SH_SI_EUlSV_E_NS1_11comp_targetILNS1_3genE2ELNS1_11target_archE906ELNS1_3gpuE6ELNS1_3repE0EEENS1_48merge_mergepath_partition_config_static_selectorELNS0_4arch9wavefront6targetE1EEEvSH_: ; @_ZN7rocprim17ROCPRIM_400000_NS6detail17trampoline_kernelINS0_14default_configENS1_38merge_sort_block_merge_config_selectorIalEEZZNS1_27merge_sort_block_merge_implIS3_PaN6thrust23THRUST_200600_302600_NS10device_ptrIlEEjNS1_19radix_merge_compareILb0ELb0EaNS0_19identity_decomposerEEEEE10hipError_tT0_T1_T2_jT3_P12ihipStream_tbPNSt15iterator_traitsISG_E10value_typeEPNSM_ISH_E10value_typeEPSI_NS1_7vsmem_tEENKUlT_SG_SH_SI_E_clIS7_S7_SB_PlEESF_SV_SG_SH_SI_EUlSV_E_NS1_11comp_targetILNS1_3genE2ELNS1_11target_archE906ELNS1_3gpuE6ELNS1_3repE0EEENS1_48merge_mergepath_partition_config_static_selectorELNS0_4arch9wavefront6targetE1EEEvSH_
; %bb.0:
	s_load_dword s0, s[4:5], 0x0
	v_lshl_or_b32 v0, s6, 7, v0
	s_waitcnt lgkmcnt(0)
	v_cmp_gt_u32_e32 vcc, s0, v0
	s_and_saveexec_b64 s[0:1], vcc
	s_cbranch_execz .LBB507_6
; %bb.1:
	s_load_dwordx2 s[2:3], s[4:5], 0x4
	s_load_dwordx2 s[0:1], s[4:5], 0x20
	s_waitcnt lgkmcnt(0)
	s_lshr_b32 s6, s2, 9
	s_and_b32 s6, s6, 0x7ffffe
	s_add_i32 s7, s6, -1
	s_sub_i32 s6, 0, s6
	v_and_b32_e32 v1, s6, v0
	v_lshlrev_b32_e32 v3, 10, v1
	v_min_u32_e32 v1, s3, v3
	v_add_u32_e32 v3, s2, v3
	v_min_u32_e32 v7, s3, v3
	v_add_u32_e32 v3, s2, v7
	v_and_b32_e32 v2, s7, v0
	v_min_u32_e32 v4, s3, v3
	v_sub_u32_e32 v3, v4, v1
	v_lshlrev_b32_e32 v2, 10, v2
	v_min_u32_e32 v3, v3, v2
	v_sub_u32_e32 v5, v7, v1
	v_sub_u32_e32 v2, v4, v7
	v_sub_u32_e64 v2, v3, v2 clamp
	v_min_u32_e32 v4, v3, v5
	v_cmp_lt_u32_e32 vcc, v2, v4
	s_and_saveexec_b64 s[2:3], vcc
	s_cbranch_execz .LBB507_5
; %bb.2:
	s_load_dwordx2 s[4:5], s[4:5], 0x10
	s_waitcnt lgkmcnt(0)
	v_mov_b32_e32 v8, s5
	v_add_co_u32_e32 v5, vcc, s4, v1
	v_addc_co_u32_e32 v6, vcc, 0, v8, vcc
	v_add_co_u32_e32 v7, vcc, s4, v7
	v_addc_co_u32_e32 v8, vcc, 0, v8, vcc
	s_mov_b64 s[4:5], 0
.LBB507_3:                              ; =>This Inner Loop Header: Depth=1
	v_add_u32_e32 v9, v4, v2
	v_lshrrev_b32_e32 v13, 1, v9
	v_add_co_u32_e32 v9, vcc, v5, v13
	v_xad_u32 v11, v13, -1, v3
	v_addc_co_u32_e32 v10, vcc, 0, v6, vcc
	v_add_co_u32_e32 v11, vcc, v7, v11
	v_addc_co_u32_e32 v12, vcc, 0, v8, vcc
	global_load_sbyte v14, v[9:10], off
	global_load_sbyte v15, v[11:12], off
	v_add_u32_e32 v9, 1, v13
	s_waitcnt vmcnt(0)
	v_cmp_gt_i16_e32 vcc, v14, v15
	v_cndmask_b32_e32 v4, v4, v13, vcc
	v_cndmask_b32_e32 v2, v9, v2, vcc
	v_cmp_ge_u32_e32 vcc, v2, v4
	s_or_b64 s[4:5], vcc, s[4:5]
	s_andn2_b64 exec, exec, s[4:5]
	s_cbranch_execnz .LBB507_3
; %bb.4:
	s_or_b64 exec, exec, s[4:5]
.LBB507_5:
	s_or_b64 exec, exec, s[2:3]
	v_add_u32_e32 v2, v2, v1
	v_mov_b32_e32 v1, 0
	v_lshlrev_b64 v[0:1], 2, v[0:1]
	v_mov_b32_e32 v3, s1
	v_add_co_u32_e32 v0, vcc, s0, v0
	v_addc_co_u32_e32 v1, vcc, v3, v1, vcc
	global_store_dword v[0:1], v2, off
.LBB507_6:
	s_endpgm
	.section	.rodata,"a",@progbits
	.p2align	6, 0x0
	.amdhsa_kernel _ZN7rocprim17ROCPRIM_400000_NS6detail17trampoline_kernelINS0_14default_configENS1_38merge_sort_block_merge_config_selectorIalEEZZNS1_27merge_sort_block_merge_implIS3_PaN6thrust23THRUST_200600_302600_NS10device_ptrIlEEjNS1_19radix_merge_compareILb0ELb0EaNS0_19identity_decomposerEEEEE10hipError_tT0_T1_T2_jT3_P12ihipStream_tbPNSt15iterator_traitsISG_E10value_typeEPNSM_ISH_E10value_typeEPSI_NS1_7vsmem_tEENKUlT_SG_SH_SI_E_clIS7_S7_SB_PlEESF_SV_SG_SH_SI_EUlSV_E_NS1_11comp_targetILNS1_3genE2ELNS1_11target_archE906ELNS1_3gpuE6ELNS1_3repE0EEENS1_48merge_mergepath_partition_config_static_selectorELNS0_4arch9wavefront6targetE1EEEvSH_
		.amdhsa_group_segment_fixed_size 0
		.amdhsa_private_segment_fixed_size 0
		.amdhsa_kernarg_size 40
		.amdhsa_user_sgpr_count 6
		.amdhsa_user_sgpr_private_segment_buffer 1
		.amdhsa_user_sgpr_dispatch_ptr 0
		.amdhsa_user_sgpr_queue_ptr 0
		.amdhsa_user_sgpr_kernarg_segment_ptr 1
		.amdhsa_user_sgpr_dispatch_id 0
		.amdhsa_user_sgpr_flat_scratch_init 0
		.amdhsa_user_sgpr_private_segment_size 0
		.amdhsa_uses_dynamic_stack 0
		.amdhsa_system_sgpr_private_segment_wavefront_offset 0
		.amdhsa_system_sgpr_workgroup_id_x 1
		.amdhsa_system_sgpr_workgroup_id_y 0
		.amdhsa_system_sgpr_workgroup_id_z 0
		.amdhsa_system_sgpr_workgroup_info 0
		.amdhsa_system_vgpr_workitem_id 0
		.amdhsa_next_free_vgpr 16
		.amdhsa_next_free_sgpr 8
		.amdhsa_reserve_vcc 1
		.amdhsa_reserve_flat_scratch 0
		.amdhsa_float_round_mode_32 0
		.amdhsa_float_round_mode_16_64 0
		.amdhsa_float_denorm_mode_32 3
		.amdhsa_float_denorm_mode_16_64 3
		.amdhsa_dx10_clamp 1
		.amdhsa_ieee_mode 1
		.amdhsa_fp16_overflow 0
		.amdhsa_exception_fp_ieee_invalid_op 0
		.amdhsa_exception_fp_denorm_src 0
		.amdhsa_exception_fp_ieee_div_zero 0
		.amdhsa_exception_fp_ieee_overflow 0
		.amdhsa_exception_fp_ieee_underflow 0
		.amdhsa_exception_fp_ieee_inexact 0
		.amdhsa_exception_int_div_zero 0
	.end_amdhsa_kernel
	.section	.text._ZN7rocprim17ROCPRIM_400000_NS6detail17trampoline_kernelINS0_14default_configENS1_38merge_sort_block_merge_config_selectorIalEEZZNS1_27merge_sort_block_merge_implIS3_PaN6thrust23THRUST_200600_302600_NS10device_ptrIlEEjNS1_19radix_merge_compareILb0ELb0EaNS0_19identity_decomposerEEEEE10hipError_tT0_T1_T2_jT3_P12ihipStream_tbPNSt15iterator_traitsISG_E10value_typeEPNSM_ISH_E10value_typeEPSI_NS1_7vsmem_tEENKUlT_SG_SH_SI_E_clIS7_S7_SB_PlEESF_SV_SG_SH_SI_EUlSV_E_NS1_11comp_targetILNS1_3genE2ELNS1_11target_archE906ELNS1_3gpuE6ELNS1_3repE0EEENS1_48merge_mergepath_partition_config_static_selectorELNS0_4arch9wavefront6targetE1EEEvSH_,"axG",@progbits,_ZN7rocprim17ROCPRIM_400000_NS6detail17trampoline_kernelINS0_14default_configENS1_38merge_sort_block_merge_config_selectorIalEEZZNS1_27merge_sort_block_merge_implIS3_PaN6thrust23THRUST_200600_302600_NS10device_ptrIlEEjNS1_19radix_merge_compareILb0ELb0EaNS0_19identity_decomposerEEEEE10hipError_tT0_T1_T2_jT3_P12ihipStream_tbPNSt15iterator_traitsISG_E10value_typeEPNSM_ISH_E10value_typeEPSI_NS1_7vsmem_tEENKUlT_SG_SH_SI_E_clIS7_S7_SB_PlEESF_SV_SG_SH_SI_EUlSV_E_NS1_11comp_targetILNS1_3genE2ELNS1_11target_archE906ELNS1_3gpuE6ELNS1_3repE0EEENS1_48merge_mergepath_partition_config_static_selectorELNS0_4arch9wavefront6targetE1EEEvSH_,comdat
.Lfunc_end507:
	.size	_ZN7rocprim17ROCPRIM_400000_NS6detail17trampoline_kernelINS0_14default_configENS1_38merge_sort_block_merge_config_selectorIalEEZZNS1_27merge_sort_block_merge_implIS3_PaN6thrust23THRUST_200600_302600_NS10device_ptrIlEEjNS1_19radix_merge_compareILb0ELb0EaNS0_19identity_decomposerEEEEE10hipError_tT0_T1_T2_jT3_P12ihipStream_tbPNSt15iterator_traitsISG_E10value_typeEPNSM_ISH_E10value_typeEPSI_NS1_7vsmem_tEENKUlT_SG_SH_SI_E_clIS7_S7_SB_PlEESF_SV_SG_SH_SI_EUlSV_E_NS1_11comp_targetILNS1_3genE2ELNS1_11target_archE906ELNS1_3gpuE6ELNS1_3repE0EEENS1_48merge_mergepath_partition_config_static_selectorELNS0_4arch9wavefront6targetE1EEEvSH_, .Lfunc_end507-_ZN7rocprim17ROCPRIM_400000_NS6detail17trampoline_kernelINS0_14default_configENS1_38merge_sort_block_merge_config_selectorIalEEZZNS1_27merge_sort_block_merge_implIS3_PaN6thrust23THRUST_200600_302600_NS10device_ptrIlEEjNS1_19radix_merge_compareILb0ELb0EaNS0_19identity_decomposerEEEEE10hipError_tT0_T1_T2_jT3_P12ihipStream_tbPNSt15iterator_traitsISG_E10value_typeEPNSM_ISH_E10value_typeEPSI_NS1_7vsmem_tEENKUlT_SG_SH_SI_E_clIS7_S7_SB_PlEESF_SV_SG_SH_SI_EUlSV_E_NS1_11comp_targetILNS1_3genE2ELNS1_11target_archE906ELNS1_3gpuE6ELNS1_3repE0EEENS1_48merge_mergepath_partition_config_static_selectorELNS0_4arch9wavefront6targetE1EEEvSH_
                                        ; -- End function
	.set _ZN7rocprim17ROCPRIM_400000_NS6detail17trampoline_kernelINS0_14default_configENS1_38merge_sort_block_merge_config_selectorIalEEZZNS1_27merge_sort_block_merge_implIS3_PaN6thrust23THRUST_200600_302600_NS10device_ptrIlEEjNS1_19radix_merge_compareILb0ELb0EaNS0_19identity_decomposerEEEEE10hipError_tT0_T1_T2_jT3_P12ihipStream_tbPNSt15iterator_traitsISG_E10value_typeEPNSM_ISH_E10value_typeEPSI_NS1_7vsmem_tEENKUlT_SG_SH_SI_E_clIS7_S7_SB_PlEESF_SV_SG_SH_SI_EUlSV_E_NS1_11comp_targetILNS1_3genE2ELNS1_11target_archE906ELNS1_3gpuE6ELNS1_3repE0EEENS1_48merge_mergepath_partition_config_static_selectorELNS0_4arch9wavefront6targetE1EEEvSH_.num_vgpr, 16
	.set _ZN7rocprim17ROCPRIM_400000_NS6detail17trampoline_kernelINS0_14default_configENS1_38merge_sort_block_merge_config_selectorIalEEZZNS1_27merge_sort_block_merge_implIS3_PaN6thrust23THRUST_200600_302600_NS10device_ptrIlEEjNS1_19radix_merge_compareILb0ELb0EaNS0_19identity_decomposerEEEEE10hipError_tT0_T1_T2_jT3_P12ihipStream_tbPNSt15iterator_traitsISG_E10value_typeEPNSM_ISH_E10value_typeEPSI_NS1_7vsmem_tEENKUlT_SG_SH_SI_E_clIS7_S7_SB_PlEESF_SV_SG_SH_SI_EUlSV_E_NS1_11comp_targetILNS1_3genE2ELNS1_11target_archE906ELNS1_3gpuE6ELNS1_3repE0EEENS1_48merge_mergepath_partition_config_static_selectorELNS0_4arch9wavefront6targetE1EEEvSH_.num_agpr, 0
	.set _ZN7rocprim17ROCPRIM_400000_NS6detail17trampoline_kernelINS0_14default_configENS1_38merge_sort_block_merge_config_selectorIalEEZZNS1_27merge_sort_block_merge_implIS3_PaN6thrust23THRUST_200600_302600_NS10device_ptrIlEEjNS1_19radix_merge_compareILb0ELb0EaNS0_19identity_decomposerEEEEE10hipError_tT0_T1_T2_jT3_P12ihipStream_tbPNSt15iterator_traitsISG_E10value_typeEPNSM_ISH_E10value_typeEPSI_NS1_7vsmem_tEENKUlT_SG_SH_SI_E_clIS7_S7_SB_PlEESF_SV_SG_SH_SI_EUlSV_E_NS1_11comp_targetILNS1_3genE2ELNS1_11target_archE906ELNS1_3gpuE6ELNS1_3repE0EEENS1_48merge_mergepath_partition_config_static_selectorELNS0_4arch9wavefront6targetE1EEEvSH_.numbered_sgpr, 8
	.set _ZN7rocprim17ROCPRIM_400000_NS6detail17trampoline_kernelINS0_14default_configENS1_38merge_sort_block_merge_config_selectorIalEEZZNS1_27merge_sort_block_merge_implIS3_PaN6thrust23THRUST_200600_302600_NS10device_ptrIlEEjNS1_19radix_merge_compareILb0ELb0EaNS0_19identity_decomposerEEEEE10hipError_tT0_T1_T2_jT3_P12ihipStream_tbPNSt15iterator_traitsISG_E10value_typeEPNSM_ISH_E10value_typeEPSI_NS1_7vsmem_tEENKUlT_SG_SH_SI_E_clIS7_S7_SB_PlEESF_SV_SG_SH_SI_EUlSV_E_NS1_11comp_targetILNS1_3genE2ELNS1_11target_archE906ELNS1_3gpuE6ELNS1_3repE0EEENS1_48merge_mergepath_partition_config_static_selectorELNS0_4arch9wavefront6targetE1EEEvSH_.num_named_barrier, 0
	.set _ZN7rocprim17ROCPRIM_400000_NS6detail17trampoline_kernelINS0_14default_configENS1_38merge_sort_block_merge_config_selectorIalEEZZNS1_27merge_sort_block_merge_implIS3_PaN6thrust23THRUST_200600_302600_NS10device_ptrIlEEjNS1_19radix_merge_compareILb0ELb0EaNS0_19identity_decomposerEEEEE10hipError_tT0_T1_T2_jT3_P12ihipStream_tbPNSt15iterator_traitsISG_E10value_typeEPNSM_ISH_E10value_typeEPSI_NS1_7vsmem_tEENKUlT_SG_SH_SI_E_clIS7_S7_SB_PlEESF_SV_SG_SH_SI_EUlSV_E_NS1_11comp_targetILNS1_3genE2ELNS1_11target_archE906ELNS1_3gpuE6ELNS1_3repE0EEENS1_48merge_mergepath_partition_config_static_selectorELNS0_4arch9wavefront6targetE1EEEvSH_.private_seg_size, 0
	.set _ZN7rocprim17ROCPRIM_400000_NS6detail17trampoline_kernelINS0_14default_configENS1_38merge_sort_block_merge_config_selectorIalEEZZNS1_27merge_sort_block_merge_implIS3_PaN6thrust23THRUST_200600_302600_NS10device_ptrIlEEjNS1_19radix_merge_compareILb0ELb0EaNS0_19identity_decomposerEEEEE10hipError_tT0_T1_T2_jT3_P12ihipStream_tbPNSt15iterator_traitsISG_E10value_typeEPNSM_ISH_E10value_typeEPSI_NS1_7vsmem_tEENKUlT_SG_SH_SI_E_clIS7_S7_SB_PlEESF_SV_SG_SH_SI_EUlSV_E_NS1_11comp_targetILNS1_3genE2ELNS1_11target_archE906ELNS1_3gpuE6ELNS1_3repE0EEENS1_48merge_mergepath_partition_config_static_selectorELNS0_4arch9wavefront6targetE1EEEvSH_.uses_vcc, 1
	.set _ZN7rocprim17ROCPRIM_400000_NS6detail17trampoline_kernelINS0_14default_configENS1_38merge_sort_block_merge_config_selectorIalEEZZNS1_27merge_sort_block_merge_implIS3_PaN6thrust23THRUST_200600_302600_NS10device_ptrIlEEjNS1_19radix_merge_compareILb0ELb0EaNS0_19identity_decomposerEEEEE10hipError_tT0_T1_T2_jT3_P12ihipStream_tbPNSt15iterator_traitsISG_E10value_typeEPNSM_ISH_E10value_typeEPSI_NS1_7vsmem_tEENKUlT_SG_SH_SI_E_clIS7_S7_SB_PlEESF_SV_SG_SH_SI_EUlSV_E_NS1_11comp_targetILNS1_3genE2ELNS1_11target_archE906ELNS1_3gpuE6ELNS1_3repE0EEENS1_48merge_mergepath_partition_config_static_selectorELNS0_4arch9wavefront6targetE1EEEvSH_.uses_flat_scratch, 0
	.set _ZN7rocprim17ROCPRIM_400000_NS6detail17trampoline_kernelINS0_14default_configENS1_38merge_sort_block_merge_config_selectorIalEEZZNS1_27merge_sort_block_merge_implIS3_PaN6thrust23THRUST_200600_302600_NS10device_ptrIlEEjNS1_19radix_merge_compareILb0ELb0EaNS0_19identity_decomposerEEEEE10hipError_tT0_T1_T2_jT3_P12ihipStream_tbPNSt15iterator_traitsISG_E10value_typeEPNSM_ISH_E10value_typeEPSI_NS1_7vsmem_tEENKUlT_SG_SH_SI_E_clIS7_S7_SB_PlEESF_SV_SG_SH_SI_EUlSV_E_NS1_11comp_targetILNS1_3genE2ELNS1_11target_archE906ELNS1_3gpuE6ELNS1_3repE0EEENS1_48merge_mergepath_partition_config_static_selectorELNS0_4arch9wavefront6targetE1EEEvSH_.has_dyn_sized_stack, 0
	.set _ZN7rocprim17ROCPRIM_400000_NS6detail17trampoline_kernelINS0_14default_configENS1_38merge_sort_block_merge_config_selectorIalEEZZNS1_27merge_sort_block_merge_implIS3_PaN6thrust23THRUST_200600_302600_NS10device_ptrIlEEjNS1_19radix_merge_compareILb0ELb0EaNS0_19identity_decomposerEEEEE10hipError_tT0_T1_T2_jT3_P12ihipStream_tbPNSt15iterator_traitsISG_E10value_typeEPNSM_ISH_E10value_typeEPSI_NS1_7vsmem_tEENKUlT_SG_SH_SI_E_clIS7_S7_SB_PlEESF_SV_SG_SH_SI_EUlSV_E_NS1_11comp_targetILNS1_3genE2ELNS1_11target_archE906ELNS1_3gpuE6ELNS1_3repE0EEENS1_48merge_mergepath_partition_config_static_selectorELNS0_4arch9wavefront6targetE1EEEvSH_.has_recursion, 0
	.set _ZN7rocprim17ROCPRIM_400000_NS6detail17trampoline_kernelINS0_14default_configENS1_38merge_sort_block_merge_config_selectorIalEEZZNS1_27merge_sort_block_merge_implIS3_PaN6thrust23THRUST_200600_302600_NS10device_ptrIlEEjNS1_19radix_merge_compareILb0ELb0EaNS0_19identity_decomposerEEEEE10hipError_tT0_T1_T2_jT3_P12ihipStream_tbPNSt15iterator_traitsISG_E10value_typeEPNSM_ISH_E10value_typeEPSI_NS1_7vsmem_tEENKUlT_SG_SH_SI_E_clIS7_S7_SB_PlEESF_SV_SG_SH_SI_EUlSV_E_NS1_11comp_targetILNS1_3genE2ELNS1_11target_archE906ELNS1_3gpuE6ELNS1_3repE0EEENS1_48merge_mergepath_partition_config_static_selectorELNS0_4arch9wavefront6targetE1EEEvSH_.has_indirect_call, 0
	.section	.AMDGPU.csdata,"",@progbits
; Kernel info:
; codeLenInByte = 316
; TotalNumSgprs: 12
; NumVgprs: 16
; ScratchSize: 0
; MemoryBound: 0
; FloatMode: 240
; IeeeMode: 1
; LDSByteSize: 0 bytes/workgroup (compile time only)
; SGPRBlocks: 1
; VGPRBlocks: 3
; NumSGPRsForWavesPerEU: 12
; NumVGPRsForWavesPerEU: 16
; Occupancy: 10
; WaveLimiterHint : 0
; COMPUTE_PGM_RSRC2:SCRATCH_EN: 0
; COMPUTE_PGM_RSRC2:USER_SGPR: 6
; COMPUTE_PGM_RSRC2:TRAP_HANDLER: 0
; COMPUTE_PGM_RSRC2:TGID_X_EN: 1
; COMPUTE_PGM_RSRC2:TGID_Y_EN: 0
; COMPUTE_PGM_RSRC2:TGID_Z_EN: 0
; COMPUTE_PGM_RSRC2:TIDIG_COMP_CNT: 0
	.section	.text._ZN7rocprim17ROCPRIM_400000_NS6detail17trampoline_kernelINS0_14default_configENS1_38merge_sort_block_merge_config_selectorIalEEZZNS1_27merge_sort_block_merge_implIS3_PaN6thrust23THRUST_200600_302600_NS10device_ptrIlEEjNS1_19radix_merge_compareILb0ELb0EaNS0_19identity_decomposerEEEEE10hipError_tT0_T1_T2_jT3_P12ihipStream_tbPNSt15iterator_traitsISG_E10value_typeEPNSM_ISH_E10value_typeEPSI_NS1_7vsmem_tEENKUlT_SG_SH_SI_E_clIS7_S7_SB_PlEESF_SV_SG_SH_SI_EUlSV_E_NS1_11comp_targetILNS1_3genE9ELNS1_11target_archE1100ELNS1_3gpuE3ELNS1_3repE0EEENS1_48merge_mergepath_partition_config_static_selectorELNS0_4arch9wavefront6targetE1EEEvSH_,"axG",@progbits,_ZN7rocprim17ROCPRIM_400000_NS6detail17trampoline_kernelINS0_14default_configENS1_38merge_sort_block_merge_config_selectorIalEEZZNS1_27merge_sort_block_merge_implIS3_PaN6thrust23THRUST_200600_302600_NS10device_ptrIlEEjNS1_19radix_merge_compareILb0ELb0EaNS0_19identity_decomposerEEEEE10hipError_tT0_T1_T2_jT3_P12ihipStream_tbPNSt15iterator_traitsISG_E10value_typeEPNSM_ISH_E10value_typeEPSI_NS1_7vsmem_tEENKUlT_SG_SH_SI_E_clIS7_S7_SB_PlEESF_SV_SG_SH_SI_EUlSV_E_NS1_11comp_targetILNS1_3genE9ELNS1_11target_archE1100ELNS1_3gpuE3ELNS1_3repE0EEENS1_48merge_mergepath_partition_config_static_selectorELNS0_4arch9wavefront6targetE1EEEvSH_,comdat
	.protected	_ZN7rocprim17ROCPRIM_400000_NS6detail17trampoline_kernelINS0_14default_configENS1_38merge_sort_block_merge_config_selectorIalEEZZNS1_27merge_sort_block_merge_implIS3_PaN6thrust23THRUST_200600_302600_NS10device_ptrIlEEjNS1_19radix_merge_compareILb0ELb0EaNS0_19identity_decomposerEEEEE10hipError_tT0_T1_T2_jT3_P12ihipStream_tbPNSt15iterator_traitsISG_E10value_typeEPNSM_ISH_E10value_typeEPSI_NS1_7vsmem_tEENKUlT_SG_SH_SI_E_clIS7_S7_SB_PlEESF_SV_SG_SH_SI_EUlSV_E_NS1_11comp_targetILNS1_3genE9ELNS1_11target_archE1100ELNS1_3gpuE3ELNS1_3repE0EEENS1_48merge_mergepath_partition_config_static_selectorELNS0_4arch9wavefront6targetE1EEEvSH_ ; -- Begin function _ZN7rocprim17ROCPRIM_400000_NS6detail17trampoline_kernelINS0_14default_configENS1_38merge_sort_block_merge_config_selectorIalEEZZNS1_27merge_sort_block_merge_implIS3_PaN6thrust23THRUST_200600_302600_NS10device_ptrIlEEjNS1_19radix_merge_compareILb0ELb0EaNS0_19identity_decomposerEEEEE10hipError_tT0_T1_T2_jT3_P12ihipStream_tbPNSt15iterator_traitsISG_E10value_typeEPNSM_ISH_E10value_typeEPSI_NS1_7vsmem_tEENKUlT_SG_SH_SI_E_clIS7_S7_SB_PlEESF_SV_SG_SH_SI_EUlSV_E_NS1_11comp_targetILNS1_3genE9ELNS1_11target_archE1100ELNS1_3gpuE3ELNS1_3repE0EEENS1_48merge_mergepath_partition_config_static_selectorELNS0_4arch9wavefront6targetE1EEEvSH_
	.globl	_ZN7rocprim17ROCPRIM_400000_NS6detail17trampoline_kernelINS0_14default_configENS1_38merge_sort_block_merge_config_selectorIalEEZZNS1_27merge_sort_block_merge_implIS3_PaN6thrust23THRUST_200600_302600_NS10device_ptrIlEEjNS1_19radix_merge_compareILb0ELb0EaNS0_19identity_decomposerEEEEE10hipError_tT0_T1_T2_jT3_P12ihipStream_tbPNSt15iterator_traitsISG_E10value_typeEPNSM_ISH_E10value_typeEPSI_NS1_7vsmem_tEENKUlT_SG_SH_SI_E_clIS7_S7_SB_PlEESF_SV_SG_SH_SI_EUlSV_E_NS1_11comp_targetILNS1_3genE9ELNS1_11target_archE1100ELNS1_3gpuE3ELNS1_3repE0EEENS1_48merge_mergepath_partition_config_static_selectorELNS0_4arch9wavefront6targetE1EEEvSH_
	.p2align	8
	.type	_ZN7rocprim17ROCPRIM_400000_NS6detail17trampoline_kernelINS0_14default_configENS1_38merge_sort_block_merge_config_selectorIalEEZZNS1_27merge_sort_block_merge_implIS3_PaN6thrust23THRUST_200600_302600_NS10device_ptrIlEEjNS1_19radix_merge_compareILb0ELb0EaNS0_19identity_decomposerEEEEE10hipError_tT0_T1_T2_jT3_P12ihipStream_tbPNSt15iterator_traitsISG_E10value_typeEPNSM_ISH_E10value_typeEPSI_NS1_7vsmem_tEENKUlT_SG_SH_SI_E_clIS7_S7_SB_PlEESF_SV_SG_SH_SI_EUlSV_E_NS1_11comp_targetILNS1_3genE9ELNS1_11target_archE1100ELNS1_3gpuE3ELNS1_3repE0EEENS1_48merge_mergepath_partition_config_static_selectorELNS0_4arch9wavefront6targetE1EEEvSH_,@function
_ZN7rocprim17ROCPRIM_400000_NS6detail17trampoline_kernelINS0_14default_configENS1_38merge_sort_block_merge_config_selectorIalEEZZNS1_27merge_sort_block_merge_implIS3_PaN6thrust23THRUST_200600_302600_NS10device_ptrIlEEjNS1_19radix_merge_compareILb0ELb0EaNS0_19identity_decomposerEEEEE10hipError_tT0_T1_T2_jT3_P12ihipStream_tbPNSt15iterator_traitsISG_E10value_typeEPNSM_ISH_E10value_typeEPSI_NS1_7vsmem_tEENKUlT_SG_SH_SI_E_clIS7_S7_SB_PlEESF_SV_SG_SH_SI_EUlSV_E_NS1_11comp_targetILNS1_3genE9ELNS1_11target_archE1100ELNS1_3gpuE3ELNS1_3repE0EEENS1_48merge_mergepath_partition_config_static_selectorELNS0_4arch9wavefront6targetE1EEEvSH_: ; @_ZN7rocprim17ROCPRIM_400000_NS6detail17trampoline_kernelINS0_14default_configENS1_38merge_sort_block_merge_config_selectorIalEEZZNS1_27merge_sort_block_merge_implIS3_PaN6thrust23THRUST_200600_302600_NS10device_ptrIlEEjNS1_19radix_merge_compareILb0ELb0EaNS0_19identity_decomposerEEEEE10hipError_tT0_T1_T2_jT3_P12ihipStream_tbPNSt15iterator_traitsISG_E10value_typeEPNSM_ISH_E10value_typeEPSI_NS1_7vsmem_tEENKUlT_SG_SH_SI_E_clIS7_S7_SB_PlEESF_SV_SG_SH_SI_EUlSV_E_NS1_11comp_targetILNS1_3genE9ELNS1_11target_archE1100ELNS1_3gpuE3ELNS1_3repE0EEENS1_48merge_mergepath_partition_config_static_selectorELNS0_4arch9wavefront6targetE1EEEvSH_
; %bb.0:
	.section	.rodata,"a",@progbits
	.p2align	6, 0x0
	.amdhsa_kernel _ZN7rocprim17ROCPRIM_400000_NS6detail17trampoline_kernelINS0_14default_configENS1_38merge_sort_block_merge_config_selectorIalEEZZNS1_27merge_sort_block_merge_implIS3_PaN6thrust23THRUST_200600_302600_NS10device_ptrIlEEjNS1_19radix_merge_compareILb0ELb0EaNS0_19identity_decomposerEEEEE10hipError_tT0_T1_T2_jT3_P12ihipStream_tbPNSt15iterator_traitsISG_E10value_typeEPNSM_ISH_E10value_typeEPSI_NS1_7vsmem_tEENKUlT_SG_SH_SI_E_clIS7_S7_SB_PlEESF_SV_SG_SH_SI_EUlSV_E_NS1_11comp_targetILNS1_3genE9ELNS1_11target_archE1100ELNS1_3gpuE3ELNS1_3repE0EEENS1_48merge_mergepath_partition_config_static_selectorELNS0_4arch9wavefront6targetE1EEEvSH_
		.amdhsa_group_segment_fixed_size 0
		.amdhsa_private_segment_fixed_size 0
		.amdhsa_kernarg_size 40
		.amdhsa_user_sgpr_count 6
		.amdhsa_user_sgpr_private_segment_buffer 1
		.amdhsa_user_sgpr_dispatch_ptr 0
		.amdhsa_user_sgpr_queue_ptr 0
		.amdhsa_user_sgpr_kernarg_segment_ptr 1
		.amdhsa_user_sgpr_dispatch_id 0
		.amdhsa_user_sgpr_flat_scratch_init 0
		.amdhsa_user_sgpr_private_segment_size 0
		.amdhsa_uses_dynamic_stack 0
		.amdhsa_system_sgpr_private_segment_wavefront_offset 0
		.amdhsa_system_sgpr_workgroup_id_x 1
		.amdhsa_system_sgpr_workgroup_id_y 0
		.amdhsa_system_sgpr_workgroup_id_z 0
		.amdhsa_system_sgpr_workgroup_info 0
		.amdhsa_system_vgpr_workitem_id 0
		.amdhsa_next_free_vgpr 1
		.amdhsa_next_free_sgpr 0
		.amdhsa_reserve_vcc 0
		.amdhsa_reserve_flat_scratch 0
		.amdhsa_float_round_mode_32 0
		.amdhsa_float_round_mode_16_64 0
		.amdhsa_float_denorm_mode_32 3
		.amdhsa_float_denorm_mode_16_64 3
		.amdhsa_dx10_clamp 1
		.amdhsa_ieee_mode 1
		.amdhsa_fp16_overflow 0
		.amdhsa_exception_fp_ieee_invalid_op 0
		.amdhsa_exception_fp_denorm_src 0
		.amdhsa_exception_fp_ieee_div_zero 0
		.amdhsa_exception_fp_ieee_overflow 0
		.amdhsa_exception_fp_ieee_underflow 0
		.amdhsa_exception_fp_ieee_inexact 0
		.amdhsa_exception_int_div_zero 0
	.end_amdhsa_kernel
	.section	.text._ZN7rocprim17ROCPRIM_400000_NS6detail17trampoline_kernelINS0_14default_configENS1_38merge_sort_block_merge_config_selectorIalEEZZNS1_27merge_sort_block_merge_implIS3_PaN6thrust23THRUST_200600_302600_NS10device_ptrIlEEjNS1_19radix_merge_compareILb0ELb0EaNS0_19identity_decomposerEEEEE10hipError_tT0_T1_T2_jT3_P12ihipStream_tbPNSt15iterator_traitsISG_E10value_typeEPNSM_ISH_E10value_typeEPSI_NS1_7vsmem_tEENKUlT_SG_SH_SI_E_clIS7_S7_SB_PlEESF_SV_SG_SH_SI_EUlSV_E_NS1_11comp_targetILNS1_3genE9ELNS1_11target_archE1100ELNS1_3gpuE3ELNS1_3repE0EEENS1_48merge_mergepath_partition_config_static_selectorELNS0_4arch9wavefront6targetE1EEEvSH_,"axG",@progbits,_ZN7rocprim17ROCPRIM_400000_NS6detail17trampoline_kernelINS0_14default_configENS1_38merge_sort_block_merge_config_selectorIalEEZZNS1_27merge_sort_block_merge_implIS3_PaN6thrust23THRUST_200600_302600_NS10device_ptrIlEEjNS1_19radix_merge_compareILb0ELb0EaNS0_19identity_decomposerEEEEE10hipError_tT0_T1_T2_jT3_P12ihipStream_tbPNSt15iterator_traitsISG_E10value_typeEPNSM_ISH_E10value_typeEPSI_NS1_7vsmem_tEENKUlT_SG_SH_SI_E_clIS7_S7_SB_PlEESF_SV_SG_SH_SI_EUlSV_E_NS1_11comp_targetILNS1_3genE9ELNS1_11target_archE1100ELNS1_3gpuE3ELNS1_3repE0EEENS1_48merge_mergepath_partition_config_static_selectorELNS0_4arch9wavefront6targetE1EEEvSH_,comdat
.Lfunc_end508:
	.size	_ZN7rocprim17ROCPRIM_400000_NS6detail17trampoline_kernelINS0_14default_configENS1_38merge_sort_block_merge_config_selectorIalEEZZNS1_27merge_sort_block_merge_implIS3_PaN6thrust23THRUST_200600_302600_NS10device_ptrIlEEjNS1_19radix_merge_compareILb0ELb0EaNS0_19identity_decomposerEEEEE10hipError_tT0_T1_T2_jT3_P12ihipStream_tbPNSt15iterator_traitsISG_E10value_typeEPNSM_ISH_E10value_typeEPSI_NS1_7vsmem_tEENKUlT_SG_SH_SI_E_clIS7_S7_SB_PlEESF_SV_SG_SH_SI_EUlSV_E_NS1_11comp_targetILNS1_3genE9ELNS1_11target_archE1100ELNS1_3gpuE3ELNS1_3repE0EEENS1_48merge_mergepath_partition_config_static_selectorELNS0_4arch9wavefront6targetE1EEEvSH_, .Lfunc_end508-_ZN7rocprim17ROCPRIM_400000_NS6detail17trampoline_kernelINS0_14default_configENS1_38merge_sort_block_merge_config_selectorIalEEZZNS1_27merge_sort_block_merge_implIS3_PaN6thrust23THRUST_200600_302600_NS10device_ptrIlEEjNS1_19radix_merge_compareILb0ELb0EaNS0_19identity_decomposerEEEEE10hipError_tT0_T1_T2_jT3_P12ihipStream_tbPNSt15iterator_traitsISG_E10value_typeEPNSM_ISH_E10value_typeEPSI_NS1_7vsmem_tEENKUlT_SG_SH_SI_E_clIS7_S7_SB_PlEESF_SV_SG_SH_SI_EUlSV_E_NS1_11comp_targetILNS1_3genE9ELNS1_11target_archE1100ELNS1_3gpuE3ELNS1_3repE0EEENS1_48merge_mergepath_partition_config_static_selectorELNS0_4arch9wavefront6targetE1EEEvSH_
                                        ; -- End function
	.set _ZN7rocprim17ROCPRIM_400000_NS6detail17trampoline_kernelINS0_14default_configENS1_38merge_sort_block_merge_config_selectorIalEEZZNS1_27merge_sort_block_merge_implIS3_PaN6thrust23THRUST_200600_302600_NS10device_ptrIlEEjNS1_19radix_merge_compareILb0ELb0EaNS0_19identity_decomposerEEEEE10hipError_tT0_T1_T2_jT3_P12ihipStream_tbPNSt15iterator_traitsISG_E10value_typeEPNSM_ISH_E10value_typeEPSI_NS1_7vsmem_tEENKUlT_SG_SH_SI_E_clIS7_S7_SB_PlEESF_SV_SG_SH_SI_EUlSV_E_NS1_11comp_targetILNS1_3genE9ELNS1_11target_archE1100ELNS1_3gpuE3ELNS1_3repE0EEENS1_48merge_mergepath_partition_config_static_selectorELNS0_4arch9wavefront6targetE1EEEvSH_.num_vgpr, 0
	.set _ZN7rocprim17ROCPRIM_400000_NS6detail17trampoline_kernelINS0_14default_configENS1_38merge_sort_block_merge_config_selectorIalEEZZNS1_27merge_sort_block_merge_implIS3_PaN6thrust23THRUST_200600_302600_NS10device_ptrIlEEjNS1_19radix_merge_compareILb0ELb0EaNS0_19identity_decomposerEEEEE10hipError_tT0_T1_T2_jT3_P12ihipStream_tbPNSt15iterator_traitsISG_E10value_typeEPNSM_ISH_E10value_typeEPSI_NS1_7vsmem_tEENKUlT_SG_SH_SI_E_clIS7_S7_SB_PlEESF_SV_SG_SH_SI_EUlSV_E_NS1_11comp_targetILNS1_3genE9ELNS1_11target_archE1100ELNS1_3gpuE3ELNS1_3repE0EEENS1_48merge_mergepath_partition_config_static_selectorELNS0_4arch9wavefront6targetE1EEEvSH_.num_agpr, 0
	.set _ZN7rocprim17ROCPRIM_400000_NS6detail17trampoline_kernelINS0_14default_configENS1_38merge_sort_block_merge_config_selectorIalEEZZNS1_27merge_sort_block_merge_implIS3_PaN6thrust23THRUST_200600_302600_NS10device_ptrIlEEjNS1_19radix_merge_compareILb0ELb0EaNS0_19identity_decomposerEEEEE10hipError_tT0_T1_T2_jT3_P12ihipStream_tbPNSt15iterator_traitsISG_E10value_typeEPNSM_ISH_E10value_typeEPSI_NS1_7vsmem_tEENKUlT_SG_SH_SI_E_clIS7_S7_SB_PlEESF_SV_SG_SH_SI_EUlSV_E_NS1_11comp_targetILNS1_3genE9ELNS1_11target_archE1100ELNS1_3gpuE3ELNS1_3repE0EEENS1_48merge_mergepath_partition_config_static_selectorELNS0_4arch9wavefront6targetE1EEEvSH_.numbered_sgpr, 0
	.set _ZN7rocprim17ROCPRIM_400000_NS6detail17trampoline_kernelINS0_14default_configENS1_38merge_sort_block_merge_config_selectorIalEEZZNS1_27merge_sort_block_merge_implIS3_PaN6thrust23THRUST_200600_302600_NS10device_ptrIlEEjNS1_19radix_merge_compareILb0ELb0EaNS0_19identity_decomposerEEEEE10hipError_tT0_T1_T2_jT3_P12ihipStream_tbPNSt15iterator_traitsISG_E10value_typeEPNSM_ISH_E10value_typeEPSI_NS1_7vsmem_tEENKUlT_SG_SH_SI_E_clIS7_S7_SB_PlEESF_SV_SG_SH_SI_EUlSV_E_NS1_11comp_targetILNS1_3genE9ELNS1_11target_archE1100ELNS1_3gpuE3ELNS1_3repE0EEENS1_48merge_mergepath_partition_config_static_selectorELNS0_4arch9wavefront6targetE1EEEvSH_.num_named_barrier, 0
	.set _ZN7rocprim17ROCPRIM_400000_NS6detail17trampoline_kernelINS0_14default_configENS1_38merge_sort_block_merge_config_selectorIalEEZZNS1_27merge_sort_block_merge_implIS3_PaN6thrust23THRUST_200600_302600_NS10device_ptrIlEEjNS1_19radix_merge_compareILb0ELb0EaNS0_19identity_decomposerEEEEE10hipError_tT0_T1_T2_jT3_P12ihipStream_tbPNSt15iterator_traitsISG_E10value_typeEPNSM_ISH_E10value_typeEPSI_NS1_7vsmem_tEENKUlT_SG_SH_SI_E_clIS7_S7_SB_PlEESF_SV_SG_SH_SI_EUlSV_E_NS1_11comp_targetILNS1_3genE9ELNS1_11target_archE1100ELNS1_3gpuE3ELNS1_3repE0EEENS1_48merge_mergepath_partition_config_static_selectorELNS0_4arch9wavefront6targetE1EEEvSH_.private_seg_size, 0
	.set _ZN7rocprim17ROCPRIM_400000_NS6detail17trampoline_kernelINS0_14default_configENS1_38merge_sort_block_merge_config_selectorIalEEZZNS1_27merge_sort_block_merge_implIS3_PaN6thrust23THRUST_200600_302600_NS10device_ptrIlEEjNS1_19radix_merge_compareILb0ELb0EaNS0_19identity_decomposerEEEEE10hipError_tT0_T1_T2_jT3_P12ihipStream_tbPNSt15iterator_traitsISG_E10value_typeEPNSM_ISH_E10value_typeEPSI_NS1_7vsmem_tEENKUlT_SG_SH_SI_E_clIS7_S7_SB_PlEESF_SV_SG_SH_SI_EUlSV_E_NS1_11comp_targetILNS1_3genE9ELNS1_11target_archE1100ELNS1_3gpuE3ELNS1_3repE0EEENS1_48merge_mergepath_partition_config_static_selectorELNS0_4arch9wavefront6targetE1EEEvSH_.uses_vcc, 0
	.set _ZN7rocprim17ROCPRIM_400000_NS6detail17trampoline_kernelINS0_14default_configENS1_38merge_sort_block_merge_config_selectorIalEEZZNS1_27merge_sort_block_merge_implIS3_PaN6thrust23THRUST_200600_302600_NS10device_ptrIlEEjNS1_19radix_merge_compareILb0ELb0EaNS0_19identity_decomposerEEEEE10hipError_tT0_T1_T2_jT3_P12ihipStream_tbPNSt15iterator_traitsISG_E10value_typeEPNSM_ISH_E10value_typeEPSI_NS1_7vsmem_tEENKUlT_SG_SH_SI_E_clIS7_S7_SB_PlEESF_SV_SG_SH_SI_EUlSV_E_NS1_11comp_targetILNS1_3genE9ELNS1_11target_archE1100ELNS1_3gpuE3ELNS1_3repE0EEENS1_48merge_mergepath_partition_config_static_selectorELNS0_4arch9wavefront6targetE1EEEvSH_.uses_flat_scratch, 0
	.set _ZN7rocprim17ROCPRIM_400000_NS6detail17trampoline_kernelINS0_14default_configENS1_38merge_sort_block_merge_config_selectorIalEEZZNS1_27merge_sort_block_merge_implIS3_PaN6thrust23THRUST_200600_302600_NS10device_ptrIlEEjNS1_19radix_merge_compareILb0ELb0EaNS0_19identity_decomposerEEEEE10hipError_tT0_T1_T2_jT3_P12ihipStream_tbPNSt15iterator_traitsISG_E10value_typeEPNSM_ISH_E10value_typeEPSI_NS1_7vsmem_tEENKUlT_SG_SH_SI_E_clIS7_S7_SB_PlEESF_SV_SG_SH_SI_EUlSV_E_NS1_11comp_targetILNS1_3genE9ELNS1_11target_archE1100ELNS1_3gpuE3ELNS1_3repE0EEENS1_48merge_mergepath_partition_config_static_selectorELNS0_4arch9wavefront6targetE1EEEvSH_.has_dyn_sized_stack, 0
	.set _ZN7rocprim17ROCPRIM_400000_NS6detail17trampoline_kernelINS0_14default_configENS1_38merge_sort_block_merge_config_selectorIalEEZZNS1_27merge_sort_block_merge_implIS3_PaN6thrust23THRUST_200600_302600_NS10device_ptrIlEEjNS1_19radix_merge_compareILb0ELb0EaNS0_19identity_decomposerEEEEE10hipError_tT0_T1_T2_jT3_P12ihipStream_tbPNSt15iterator_traitsISG_E10value_typeEPNSM_ISH_E10value_typeEPSI_NS1_7vsmem_tEENKUlT_SG_SH_SI_E_clIS7_S7_SB_PlEESF_SV_SG_SH_SI_EUlSV_E_NS1_11comp_targetILNS1_3genE9ELNS1_11target_archE1100ELNS1_3gpuE3ELNS1_3repE0EEENS1_48merge_mergepath_partition_config_static_selectorELNS0_4arch9wavefront6targetE1EEEvSH_.has_recursion, 0
	.set _ZN7rocprim17ROCPRIM_400000_NS6detail17trampoline_kernelINS0_14default_configENS1_38merge_sort_block_merge_config_selectorIalEEZZNS1_27merge_sort_block_merge_implIS3_PaN6thrust23THRUST_200600_302600_NS10device_ptrIlEEjNS1_19radix_merge_compareILb0ELb0EaNS0_19identity_decomposerEEEEE10hipError_tT0_T1_T2_jT3_P12ihipStream_tbPNSt15iterator_traitsISG_E10value_typeEPNSM_ISH_E10value_typeEPSI_NS1_7vsmem_tEENKUlT_SG_SH_SI_E_clIS7_S7_SB_PlEESF_SV_SG_SH_SI_EUlSV_E_NS1_11comp_targetILNS1_3genE9ELNS1_11target_archE1100ELNS1_3gpuE3ELNS1_3repE0EEENS1_48merge_mergepath_partition_config_static_selectorELNS0_4arch9wavefront6targetE1EEEvSH_.has_indirect_call, 0
	.section	.AMDGPU.csdata,"",@progbits
; Kernel info:
; codeLenInByte = 0
; TotalNumSgprs: 4
; NumVgprs: 0
; ScratchSize: 0
; MemoryBound: 0
; FloatMode: 240
; IeeeMode: 1
; LDSByteSize: 0 bytes/workgroup (compile time only)
; SGPRBlocks: 0
; VGPRBlocks: 0
; NumSGPRsForWavesPerEU: 4
; NumVGPRsForWavesPerEU: 1
; Occupancy: 10
; WaveLimiterHint : 0
; COMPUTE_PGM_RSRC2:SCRATCH_EN: 0
; COMPUTE_PGM_RSRC2:USER_SGPR: 6
; COMPUTE_PGM_RSRC2:TRAP_HANDLER: 0
; COMPUTE_PGM_RSRC2:TGID_X_EN: 1
; COMPUTE_PGM_RSRC2:TGID_Y_EN: 0
; COMPUTE_PGM_RSRC2:TGID_Z_EN: 0
; COMPUTE_PGM_RSRC2:TIDIG_COMP_CNT: 0
	.section	.text._ZN7rocprim17ROCPRIM_400000_NS6detail17trampoline_kernelINS0_14default_configENS1_38merge_sort_block_merge_config_selectorIalEEZZNS1_27merge_sort_block_merge_implIS3_PaN6thrust23THRUST_200600_302600_NS10device_ptrIlEEjNS1_19radix_merge_compareILb0ELb0EaNS0_19identity_decomposerEEEEE10hipError_tT0_T1_T2_jT3_P12ihipStream_tbPNSt15iterator_traitsISG_E10value_typeEPNSM_ISH_E10value_typeEPSI_NS1_7vsmem_tEENKUlT_SG_SH_SI_E_clIS7_S7_SB_PlEESF_SV_SG_SH_SI_EUlSV_E_NS1_11comp_targetILNS1_3genE8ELNS1_11target_archE1030ELNS1_3gpuE2ELNS1_3repE0EEENS1_48merge_mergepath_partition_config_static_selectorELNS0_4arch9wavefront6targetE1EEEvSH_,"axG",@progbits,_ZN7rocprim17ROCPRIM_400000_NS6detail17trampoline_kernelINS0_14default_configENS1_38merge_sort_block_merge_config_selectorIalEEZZNS1_27merge_sort_block_merge_implIS3_PaN6thrust23THRUST_200600_302600_NS10device_ptrIlEEjNS1_19radix_merge_compareILb0ELb0EaNS0_19identity_decomposerEEEEE10hipError_tT0_T1_T2_jT3_P12ihipStream_tbPNSt15iterator_traitsISG_E10value_typeEPNSM_ISH_E10value_typeEPSI_NS1_7vsmem_tEENKUlT_SG_SH_SI_E_clIS7_S7_SB_PlEESF_SV_SG_SH_SI_EUlSV_E_NS1_11comp_targetILNS1_3genE8ELNS1_11target_archE1030ELNS1_3gpuE2ELNS1_3repE0EEENS1_48merge_mergepath_partition_config_static_selectorELNS0_4arch9wavefront6targetE1EEEvSH_,comdat
	.protected	_ZN7rocprim17ROCPRIM_400000_NS6detail17trampoline_kernelINS0_14default_configENS1_38merge_sort_block_merge_config_selectorIalEEZZNS1_27merge_sort_block_merge_implIS3_PaN6thrust23THRUST_200600_302600_NS10device_ptrIlEEjNS1_19radix_merge_compareILb0ELb0EaNS0_19identity_decomposerEEEEE10hipError_tT0_T1_T2_jT3_P12ihipStream_tbPNSt15iterator_traitsISG_E10value_typeEPNSM_ISH_E10value_typeEPSI_NS1_7vsmem_tEENKUlT_SG_SH_SI_E_clIS7_S7_SB_PlEESF_SV_SG_SH_SI_EUlSV_E_NS1_11comp_targetILNS1_3genE8ELNS1_11target_archE1030ELNS1_3gpuE2ELNS1_3repE0EEENS1_48merge_mergepath_partition_config_static_selectorELNS0_4arch9wavefront6targetE1EEEvSH_ ; -- Begin function _ZN7rocprim17ROCPRIM_400000_NS6detail17trampoline_kernelINS0_14default_configENS1_38merge_sort_block_merge_config_selectorIalEEZZNS1_27merge_sort_block_merge_implIS3_PaN6thrust23THRUST_200600_302600_NS10device_ptrIlEEjNS1_19radix_merge_compareILb0ELb0EaNS0_19identity_decomposerEEEEE10hipError_tT0_T1_T2_jT3_P12ihipStream_tbPNSt15iterator_traitsISG_E10value_typeEPNSM_ISH_E10value_typeEPSI_NS1_7vsmem_tEENKUlT_SG_SH_SI_E_clIS7_S7_SB_PlEESF_SV_SG_SH_SI_EUlSV_E_NS1_11comp_targetILNS1_3genE8ELNS1_11target_archE1030ELNS1_3gpuE2ELNS1_3repE0EEENS1_48merge_mergepath_partition_config_static_selectorELNS0_4arch9wavefront6targetE1EEEvSH_
	.globl	_ZN7rocprim17ROCPRIM_400000_NS6detail17trampoline_kernelINS0_14default_configENS1_38merge_sort_block_merge_config_selectorIalEEZZNS1_27merge_sort_block_merge_implIS3_PaN6thrust23THRUST_200600_302600_NS10device_ptrIlEEjNS1_19radix_merge_compareILb0ELb0EaNS0_19identity_decomposerEEEEE10hipError_tT0_T1_T2_jT3_P12ihipStream_tbPNSt15iterator_traitsISG_E10value_typeEPNSM_ISH_E10value_typeEPSI_NS1_7vsmem_tEENKUlT_SG_SH_SI_E_clIS7_S7_SB_PlEESF_SV_SG_SH_SI_EUlSV_E_NS1_11comp_targetILNS1_3genE8ELNS1_11target_archE1030ELNS1_3gpuE2ELNS1_3repE0EEENS1_48merge_mergepath_partition_config_static_selectorELNS0_4arch9wavefront6targetE1EEEvSH_
	.p2align	8
	.type	_ZN7rocprim17ROCPRIM_400000_NS6detail17trampoline_kernelINS0_14default_configENS1_38merge_sort_block_merge_config_selectorIalEEZZNS1_27merge_sort_block_merge_implIS3_PaN6thrust23THRUST_200600_302600_NS10device_ptrIlEEjNS1_19radix_merge_compareILb0ELb0EaNS0_19identity_decomposerEEEEE10hipError_tT0_T1_T2_jT3_P12ihipStream_tbPNSt15iterator_traitsISG_E10value_typeEPNSM_ISH_E10value_typeEPSI_NS1_7vsmem_tEENKUlT_SG_SH_SI_E_clIS7_S7_SB_PlEESF_SV_SG_SH_SI_EUlSV_E_NS1_11comp_targetILNS1_3genE8ELNS1_11target_archE1030ELNS1_3gpuE2ELNS1_3repE0EEENS1_48merge_mergepath_partition_config_static_selectorELNS0_4arch9wavefront6targetE1EEEvSH_,@function
_ZN7rocprim17ROCPRIM_400000_NS6detail17trampoline_kernelINS0_14default_configENS1_38merge_sort_block_merge_config_selectorIalEEZZNS1_27merge_sort_block_merge_implIS3_PaN6thrust23THRUST_200600_302600_NS10device_ptrIlEEjNS1_19radix_merge_compareILb0ELb0EaNS0_19identity_decomposerEEEEE10hipError_tT0_T1_T2_jT3_P12ihipStream_tbPNSt15iterator_traitsISG_E10value_typeEPNSM_ISH_E10value_typeEPSI_NS1_7vsmem_tEENKUlT_SG_SH_SI_E_clIS7_S7_SB_PlEESF_SV_SG_SH_SI_EUlSV_E_NS1_11comp_targetILNS1_3genE8ELNS1_11target_archE1030ELNS1_3gpuE2ELNS1_3repE0EEENS1_48merge_mergepath_partition_config_static_selectorELNS0_4arch9wavefront6targetE1EEEvSH_: ; @_ZN7rocprim17ROCPRIM_400000_NS6detail17trampoline_kernelINS0_14default_configENS1_38merge_sort_block_merge_config_selectorIalEEZZNS1_27merge_sort_block_merge_implIS3_PaN6thrust23THRUST_200600_302600_NS10device_ptrIlEEjNS1_19radix_merge_compareILb0ELb0EaNS0_19identity_decomposerEEEEE10hipError_tT0_T1_T2_jT3_P12ihipStream_tbPNSt15iterator_traitsISG_E10value_typeEPNSM_ISH_E10value_typeEPSI_NS1_7vsmem_tEENKUlT_SG_SH_SI_E_clIS7_S7_SB_PlEESF_SV_SG_SH_SI_EUlSV_E_NS1_11comp_targetILNS1_3genE8ELNS1_11target_archE1030ELNS1_3gpuE2ELNS1_3repE0EEENS1_48merge_mergepath_partition_config_static_selectorELNS0_4arch9wavefront6targetE1EEEvSH_
; %bb.0:
	.section	.rodata,"a",@progbits
	.p2align	6, 0x0
	.amdhsa_kernel _ZN7rocprim17ROCPRIM_400000_NS6detail17trampoline_kernelINS0_14default_configENS1_38merge_sort_block_merge_config_selectorIalEEZZNS1_27merge_sort_block_merge_implIS3_PaN6thrust23THRUST_200600_302600_NS10device_ptrIlEEjNS1_19radix_merge_compareILb0ELb0EaNS0_19identity_decomposerEEEEE10hipError_tT0_T1_T2_jT3_P12ihipStream_tbPNSt15iterator_traitsISG_E10value_typeEPNSM_ISH_E10value_typeEPSI_NS1_7vsmem_tEENKUlT_SG_SH_SI_E_clIS7_S7_SB_PlEESF_SV_SG_SH_SI_EUlSV_E_NS1_11comp_targetILNS1_3genE8ELNS1_11target_archE1030ELNS1_3gpuE2ELNS1_3repE0EEENS1_48merge_mergepath_partition_config_static_selectorELNS0_4arch9wavefront6targetE1EEEvSH_
		.amdhsa_group_segment_fixed_size 0
		.amdhsa_private_segment_fixed_size 0
		.amdhsa_kernarg_size 40
		.amdhsa_user_sgpr_count 6
		.amdhsa_user_sgpr_private_segment_buffer 1
		.amdhsa_user_sgpr_dispatch_ptr 0
		.amdhsa_user_sgpr_queue_ptr 0
		.amdhsa_user_sgpr_kernarg_segment_ptr 1
		.amdhsa_user_sgpr_dispatch_id 0
		.amdhsa_user_sgpr_flat_scratch_init 0
		.amdhsa_user_sgpr_private_segment_size 0
		.amdhsa_uses_dynamic_stack 0
		.amdhsa_system_sgpr_private_segment_wavefront_offset 0
		.amdhsa_system_sgpr_workgroup_id_x 1
		.amdhsa_system_sgpr_workgroup_id_y 0
		.amdhsa_system_sgpr_workgroup_id_z 0
		.amdhsa_system_sgpr_workgroup_info 0
		.amdhsa_system_vgpr_workitem_id 0
		.amdhsa_next_free_vgpr 1
		.amdhsa_next_free_sgpr 0
		.amdhsa_reserve_vcc 0
		.amdhsa_reserve_flat_scratch 0
		.amdhsa_float_round_mode_32 0
		.amdhsa_float_round_mode_16_64 0
		.amdhsa_float_denorm_mode_32 3
		.amdhsa_float_denorm_mode_16_64 3
		.amdhsa_dx10_clamp 1
		.amdhsa_ieee_mode 1
		.amdhsa_fp16_overflow 0
		.amdhsa_exception_fp_ieee_invalid_op 0
		.amdhsa_exception_fp_denorm_src 0
		.amdhsa_exception_fp_ieee_div_zero 0
		.amdhsa_exception_fp_ieee_overflow 0
		.amdhsa_exception_fp_ieee_underflow 0
		.amdhsa_exception_fp_ieee_inexact 0
		.amdhsa_exception_int_div_zero 0
	.end_amdhsa_kernel
	.section	.text._ZN7rocprim17ROCPRIM_400000_NS6detail17trampoline_kernelINS0_14default_configENS1_38merge_sort_block_merge_config_selectorIalEEZZNS1_27merge_sort_block_merge_implIS3_PaN6thrust23THRUST_200600_302600_NS10device_ptrIlEEjNS1_19radix_merge_compareILb0ELb0EaNS0_19identity_decomposerEEEEE10hipError_tT0_T1_T2_jT3_P12ihipStream_tbPNSt15iterator_traitsISG_E10value_typeEPNSM_ISH_E10value_typeEPSI_NS1_7vsmem_tEENKUlT_SG_SH_SI_E_clIS7_S7_SB_PlEESF_SV_SG_SH_SI_EUlSV_E_NS1_11comp_targetILNS1_3genE8ELNS1_11target_archE1030ELNS1_3gpuE2ELNS1_3repE0EEENS1_48merge_mergepath_partition_config_static_selectorELNS0_4arch9wavefront6targetE1EEEvSH_,"axG",@progbits,_ZN7rocprim17ROCPRIM_400000_NS6detail17trampoline_kernelINS0_14default_configENS1_38merge_sort_block_merge_config_selectorIalEEZZNS1_27merge_sort_block_merge_implIS3_PaN6thrust23THRUST_200600_302600_NS10device_ptrIlEEjNS1_19radix_merge_compareILb0ELb0EaNS0_19identity_decomposerEEEEE10hipError_tT0_T1_T2_jT3_P12ihipStream_tbPNSt15iterator_traitsISG_E10value_typeEPNSM_ISH_E10value_typeEPSI_NS1_7vsmem_tEENKUlT_SG_SH_SI_E_clIS7_S7_SB_PlEESF_SV_SG_SH_SI_EUlSV_E_NS1_11comp_targetILNS1_3genE8ELNS1_11target_archE1030ELNS1_3gpuE2ELNS1_3repE0EEENS1_48merge_mergepath_partition_config_static_selectorELNS0_4arch9wavefront6targetE1EEEvSH_,comdat
.Lfunc_end509:
	.size	_ZN7rocprim17ROCPRIM_400000_NS6detail17trampoline_kernelINS0_14default_configENS1_38merge_sort_block_merge_config_selectorIalEEZZNS1_27merge_sort_block_merge_implIS3_PaN6thrust23THRUST_200600_302600_NS10device_ptrIlEEjNS1_19radix_merge_compareILb0ELb0EaNS0_19identity_decomposerEEEEE10hipError_tT0_T1_T2_jT3_P12ihipStream_tbPNSt15iterator_traitsISG_E10value_typeEPNSM_ISH_E10value_typeEPSI_NS1_7vsmem_tEENKUlT_SG_SH_SI_E_clIS7_S7_SB_PlEESF_SV_SG_SH_SI_EUlSV_E_NS1_11comp_targetILNS1_3genE8ELNS1_11target_archE1030ELNS1_3gpuE2ELNS1_3repE0EEENS1_48merge_mergepath_partition_config_static_selectorELNS0_4arch9wavefront6targetE1EEEvSH_, .Lfunc_end509-_ZN7rocprim17ROCPRIM_400000_NS6detail17trampoline_kernelINS0_14default_configENS1_38merge_sort_block_merge_config_selectorIalEEZZNS1_27merge_sort_block_merge_implIS3_PaN6thrust23THRUST_200600_302600_NS10device_ptrIlEEjNS1_19radix_merge_compareILb0ELb0EaNS0_19identity_decomposerEEEEE10hipError_tT0_T1_T2_jT3_P12ihipStream_tbPNSt15iterator_traitsISG_E10value_typeEPNSM_ISH_E10value_typeEPSI_NS1_7vsmem_tEENKUlT_SG_SH_SI_E_clIS7_S7_SB_PlEESF_SV_SG_SH_SI_EUlSV_E_NS1_11comp_targetILNS1_3genE8ELNS1_11target_archE1030ELNS1_3gpuE2ELNS1_3repE0EEENS1_48merge_mergepath_partition_config_static_selectorELNS0_4arch9wavefront6targetE1EEEvSH_
                                        ; -- End function
	.set _ZN7rocprim17ROCPRIM_400000_NS6detail17trampoline_kernelINS0_14default_configENS1_38merge_sort_block_merge_config_selectorIalEEZZNS1_27merge_sort_block_merge_implIS3_PaN6thrust23THRUST_200600_302600_NS10device_ptrIlEEjNS1_19radix_merge_compareILb0ELb0EaNS0_19identity_decomposerEEEEE10hipError_tT0_T1_T2_jT3_P12ihipStream_tbPNSt15iterator_traitsISG_E10value_typeEPNSM_ISH_E10value_typeEPSI_NS1_7vsmem_tEENKUlT_SG_SH_SI_E_clIS7_S7_SB_PlEESF_SV_SG_SH_SI_EUlSV_E_NS1_11comp_targetILNS1_3genE8ELNS1_11target_archE1030ELNS1_3gpuE2ELNS1_3repE0EEENS1_48merge_mergepath_partition_config_static_selectorELNS0_4arch9wavefront6targetE1EEEvSH_.num_vgpr, 0
	.set _ZN7rocprim17ROCPRIM_400000_NS6detail17trampoline_kernelINS0_14default_configENS1_38merge_sort_block_merge_config_selectorIalEEZZNS1_27merge_sort_block_merge_implIS3_PaN6thrust23THRUST_200600_302600_NS10device_ptrIlEEjNS1_19radix_merge_compareILb0ELb0EaNS0_19identity_decomposerEEEEE10hipError_tT0_T1_T2_jT3_P12ihipStream_tbPNSt15iterator_traitsISG_E10value_typeEPNSM_ISH_E10value_typeEPSI_NS1_7vsmem_tEENKUlT_SG_SH_SI_E_clIS7_S7_SB_PlEESF_SV_SG_SH_SI_EUlSV_E_NS1_11comp_targetILNS1_3genE8ELNS1_11target_archE1030ELNS1_3gpuE2ELNS1_3repE0EEENS1_48merge_mergepath_partition_config_static_selectorELNS0_4arch9wavefront6targetE1EEEvSH_.num_agpr, 0
	.set _ZN7rocprim17ROCPRIM_400000_NS6detail17trampoline_kernelINS0_14default_configENS1_38merge_sort_block_merge_config_selectorIalEEZZNS1_27merge_sort_block_merge_implIS3_PaN6thrust23THRUST_200600_302600_NS10device_ptrIlEEjNS1_19radix_merge_compareILb0ELb0EaNS0_19identity_decomposerEEEEE10hipError_tT0_T1_T2_jT3_P12ihipStream_tbPNSt15iterator_traitsISG_E10value_typeEPNSM_ISH_E10value_typeEPSI_NS1_7vsmem_tEENKUlT_SG_SH_SI_E_clIS7_S7_SB_PlEESF_SV_SG_SH_SI_EUlSV_E_NS1_11comp_targetILNS1_3genE8ELNS1_11target_archE1030ELNS1_3gpuE2ELNS1_3repE0EEENS1_48merge_mergepath_partition_config_static_selectorELNS0_4arch9wavefront6targetE1EEEvSH_.numbered_sgpr, 0
	.set _ZN7rocprim17ROCPRIM_400000_NS6detail17trampoline_kernelINS0_14default_configENS1_38merge_sort_block_merge_config_selectorIalEEZZNS1_27merge_sort_block_merge_implIS3_PaN6thrust23THRUST_200600_302600_NS10device_ptrIlEEjNS1_19radix_merge_compareILb0ELb0EaNS0_19identity_decomposerEEEEE10hipError_tT0_T1_T2_jT3_P12ihipStream_tbPNSt15iterator_traitsISG_E10value_typeEPNSM_ISH_E10value_typeEPSI_NS1_7vsmem_tEENKUlT_SG_SH_SI_E_clIS7_S7_SB_PlEESF_SV_SG_SH_SI_EUlSV_E_NS1_11comp_targetILNS1_3genE8ELNS1_11target_archE1030ELNS1_3gpuE2ELNS1_3repE0EEENS1_48merge_mergepath_partition_config_static_selectorELNS0_4arch9wavefront6targetE1EEEvSH_.num_named_barrier, 0
	.set _ZN7rocprim17ROCPRIM_400000_NS6detail17trampoline_kernelINS0_14default_configENS1_38merge_sort_block_merge_config_selectorIalEEZZNS1_27merge_sort_block_merge_implIS3_PaN6thrust23THRUST_200600_302600_NS10device_ptrIlEEjNS1_19radix_merge_compareILb0ELb0EaNS0_19identity_decomposerEEEEE10hipError_tT0_T1_T2_jT3_P12ihipStream_tbPNSt15iterator_traitsISG_E10value_typeEPNSM_ISH_E10value_typeEPSI_NS1_7vsmem_tEENKUlT_SG_SH_SI_E_clIS7_S7_SB_PlEESF_SV_SG_SH_SI_EUlSV_E_NS1_11comp_targetILNS1_3genE8ELNS1_11target_archE1030ELNS1_3gpuE2ELNS1_3repE0EEENS1_48merge_mergepath_partition_config_static_selectorELNS0_4arch9wavefront6targetE1EEEvSH_.private_seg_size, 0
	.set _ZN7rocprim17ROCPRIM_400000_NS6detail17trampoline_kernelINS0_14default_configENS1_38merge_sort_block_merge_config_selectorIalEEZZNS1_27merge_sort_block_merge_implIS3_PaN6thrust23THRUST_200600_302600_NS10device_ptrIlEEjNS1_19radix_merge_compareILb0ELb0EaNS0_19identity_decomposerEEEEE10hipError_tT0_T1_T2_jT3_P12ihipStream_tbPNSt15iterator_traitsISG_E10value_typeEPNSM_ISH_E10value_typeEPSI_NS1_7vsmem_tEENKUlT_SG_SH_SI_E_clIS7_S7_SB_PlEESF_SV_SG_SH_SI_EUlSV_E_NS1_11comp_targetILNS1_3genE8ELNS1_11target_archE1030ELNS1_3gpuE2ELNS1_3repE0EEENS1_48merge_mergepath_partition_config_static_selectorELNS0_4arch9wavefront6targetE1EEEvSH_.uses_vcc, 0
	.set _ZN7rocprim17ROCPRIM_400000_NS6detail17trampoline_kernelINS0_14default_configENS1_38merge_sort_block_merge_config_selectorIalEEZZNS1_27merge_sort_block_merge_implIS3_PaN6thrust23THRUST_200600_302600_NS10device_ptrIlEEjNS1_19radix_merge_compareILb0ELb0EaNS0_19identity_decomposerEEEEE10hipError_tT0_T1_T2_jT3_P12ihipStream_tbPNSt15iterator_traitsISG_E10value_typeEPNSM_ISH_E10value_typeEPSI_NS1_7vsmem_tEENKUlT_SG_SH_SI_E_clIS7_S7_SB_PlEESF_SV_SG_SH_SI_EUlSV_E_NS1_11comp_targetILNS1_3genE8ELNS1_11target_archE1030ELNS1_3gpuE2ELNS1_3repE0EEENS1_48merge_mergepath_partition_config_static_selectorELNS0_4arch9wavefront6targetE1EEEvSH_.uses_flat_scratch, 0
	.set _ZN7rocprim17ROCPRIM_400000_NS6detail17trampoline_kernelINS0_14default_configENS1_38merge_sort_block_merge_config_selectorIalEEZZNS1_27merge_sort_block_merge_implIS3_PaN6thrust23THRUST_200600_302600_NS10device_ptrIlEEjNS1_19radix_merge_compareILb0ELb0EaNS0_19identity_decomposerEEEEE10hipError_tT0_T1_T2_jT3_P12ihipStream_tbPNSt15iterator_traitsISG_E10value_typeEPNSM_ISH_E10value_typeEPSI_NS1_7vsmem_tEENKUlT_SG_SH_SI_E_clIS7_S7_SB_PlEESF_SV_SG_SH_SI_EUlSV_E_NS1_11comp_targetILNS1_3genE8ELNS1_11target_archE1030ELNS1_3gpuE2ELNS1_3repE0EEENS1_48merge_mergepath_partition_config_static_selectorELNS0_4arch9wavefront6targetE1EEEvSH_.has_dyn_sized_stack, 0
	.set _ZN7rocprim17ROCPRIM_400000_NS6detail17trampoline_kernelINS0_14default_configENS1_38merge_sort_block_merge_config_selectorIalEEZZNS1_27merge_sort_block_merge_implIS3_PaN6thrust23THRUST_200600_302600_NS10device_ptrIlEEjNS1_19radix_merge_compareILb0ELb0EaNS0_19identity_decomposerEEEEE10hipError_tT0_T1_T2_jT3_P12ihipStream_tbPNSt15iterator_traitsISG_E10value_typeEPNSM_ISH_E10value_typeEPSI_NS1_7vsmem_tEENKUlT_SG_SH_SI_E_clIS7_S7_SB_PlEESF_SV_SG_SH_SI_EUlSV_E_NS1_11comp_targetILNS1_3genE8ELNS1_11target_archE1030ELNS1_3gpuE2ELNS1_3repE0EEENS1_48merge_mergepath_partition_config_static_selectorELNS0_4arch9wavefront6targetE1EEEvSH_.has_recursion, 0
	.set _ZN7rocprim17ROCPRIM_400000_NS6detail17trampoline_kernelINS0_14default_configENS1_38merge_sort_block_merge_config_selectorIalEEZZNS1_27merge_sort_block_merge_implIS3_PaN6thrust23THRUST_200600_302600_NS10device_ptrIlEEjNS1_19radix_merge_compareILb0ELb0EaNS0_19identity_decomposerEEEEE10hipError_tT0_T1_T2_jT3_P12ihipStream_tbPNSt15iterator_traitsISG_E10value_typeEPNSM_ISH_E10value_typeEPSI_NS1_7vsmem_tEENKUlT_SG_SH_SI_E_clIS7_S7_SB_PlEESF_SV_SG_SH_SI_EUlSV_E_NS1_11comp_targetILNS1_3genE8ELNS1_11target_archE1030ELNS1_3gpuE2ELNS1_3repE0EEENS1_48merge_mergepath_partition_config_static_selectorELNS0_4arch9wavefront6targetE1EEEvSH_.has_indirect_call, 0
	.section	.AMDGPU.csdata,"",@progbits
; Kernel info:
; codeLenInByte = 0
; TotalNumSgprs: 4
; NumVgprs: 0
; ScratchSize: 0
; MemoryBound: 0
; FloatMode: 240
; IeeeMode: 1
; LDSByteSize: 0 bytes/workgroup (compile time only)
; SGPRBlocks: 0
; VGPRBlocks: 0
; NumSGPRsForWavesPerEU: 4
; NumVGPRsForWavesPerEU: 1
; Occupancy: 10
; WaveLimiterHint : 0
; COMPUTE_PGM_RSRC2:SCRATCH_EN: 0
; COMPUTE_PGM_RSRC2:USER_SGPR: 6
; COMPUTE_PGM_RSRC2:TRAP_HANDLER: 0
; COMPUTE_PGM_RSRC2:TGID_X_EN: 1
; COMPUTE_PGM_RSRC2:TGID_Y_EN: 0
; COMPUTE_PGM_RSRC2:TGID_Z_EN: 0
; COMPUTE_PGM_RSRC2:TIDIG_COMP_CNT: 0
	.section	.text._ZN7rocprim17ROCPRIM_400000_NS6detail17trampoline_kernelINS0_14default_configENS1_38merge_sort_block_merge_config_selectorIalEEZZNS1_27merge_sort_block_merge_implIS3_PaN6thrust23THRUST_200600_302600_NS10device_ptrIlEEjNS1_19radix_merge_compareILb0ELb0EaNS0_19identity_decomposerEEEEE10hipError_tT0_T1_T2_jT3_P12ihipStream_tbPNSt15iterator_traitsISG_E10value_typeEPNSM_ISH_E10value_typeEPSI_NS1_7vsmem_tEENKUlT_SG_SH_SI_E_clIS7_S7_SB_PlEESF_SV_SG_SH_SI_EUlSV_E0_NS1_11comp_targetILNS1_3genE0ELNS1_11target_archE4294967295ELNS1_3gpuE0ELNS1_3repE0EEENS1_38merge_mergepath_config_static_selectorELNS0_4arch9wavefront6targetE1EEEvSH_,"axG",@progbits,_ZN7rocprim17ROCPRIM_400000_NS6detail17trampoline_kernelINS0_14default_configENS1_38merge_sort_block_merge_config_selectorIalEEZZNS1_27merge_sort_block_merge_implIS3_PaN6thrust23THRUST_200600_302600_NS10device_ptrIlEEjNS1_19radix_merge_compareILb0ELb0EaNS0_19identity_decomposerEEEEE10hipError_tT0_T1_T2_jT3_P12ihipStream_tbPNSt15iterator_traitsISG_E10value_typeEPNSM_ISH_E10value_typeEPSI_NS1_7vsmem_tEENKUlT_SG_SH_SI_E_clIS7_S7_SB_PlEESF_SV_SG_SH_SI_EUlSV_E0_NS1_11comp_targetILNS1_3genE0ELNS1_11target_archE4294967295ELNS1_3gpuE0ELNS1_3repE0EEENS1_38merge_mergepath_config_static_selectorELNS0_4arch9wavefront6targetE1EEEvSH_,comdat
	.protected	_ZN7rocprim17ROCPRIM_400000_NS6detail17trampoline_kernelINS0_14default_configENS1_38merge_sort_block_merge_config_selectorIalEEZZNS1_27merge_sort_block_merge_implIS3_PaN6thrust23THRUST_200600_302600_NS10device_ptrIlEEjNS1_19radix_merge_compareILb0ELb0EaNS0_19identity_decomposerEEEEE10hipError_tT0_T1_T2_jT3_P12ihipStream_tbPNSt15iterator_traitsISG_E10value_typeEPNSM_ISH_E10value_typeEPSI_NS1_7vsmem_tEENKUlT_SG_SH_SI_E_clIS7_S7_SB_PlEESF_SV_SG_SH_SI_EUlSV_E0_NS1_11comp_targetILNS1_3genE0ELNS1_11target_archE4294967295ELNS1_3gpuE0ELNS1_3repE0EEENS1_38merge_mergepath_config_static_selectorELNS0_4arch9wavefront6targetE1EEEvSH_ ; -- Begin function _ZN7rocprim17ROCPRIM_400000_NS6detail17trampoline_kernelINS0_14default_configENS1_38merge_sort_block_merge_config_selectorIalEEZZNS1_27merge_sort_block_merge_implIS3_PaN6thrust23THRUST_200600_302600_NS10device_ptrIlEEjNS1_19radix_merge_compareILb0ELb0EaNS0_19identity_decomposerEEEEE10hipError_tT0_T1_T2_jT3_P12ihipStream_tbPNSt15iterator_traitsISG_E10value_typeEPNSM_ISH_E10value_typeEPSI_NS1_7vsmem_tEENKUlT_SG_SH_SI_E_clIS7_S7_SB_PlEESF_SV_SG_SH_SI_EUlSV_E0_NS1_11comp_targetILNS1_3genE0ELNS1_11target_archE4294967295ELNS1_3gpuE0ELNS1_3repE0EEENS1_38merge_mergepath_config_static_selectorELNS0_4arch9wavefront6targetE1EEEvSH_
	.globl	_ZN7rocprim17ROCPRIM_400000_NS6detail17trampoline_kernelINS0_14default_configENS1_38merge_sort_block_merge_config_selectorIalEEZZNS1_27merge_sort_block_merge_implIS3_PaN6thrust23THRUST_200600_302600_NS10device_ptrIlEEjNS1_19radix_merge_compareILb0ELb0EaNS0_19identity_decomposerEEEEE10hipError_tT0_T1_T2_jT3_P12ihipStream_tbPNSt15iterator_traitsISG_E10value_typeEPNSM_ISH_E10value_typeEPSI_NS1_7vsmem_tEENKUlT_SG_SH_SI_E_clIS7_S7_SB_PlEESF_SV_SG_SH_SI_EUlSV_E0_NS1_11comp_targetILNS1_3genE0ELNS1_11target_archE4294967295ELNS1_3gpuE0ELNS1_3repE0EEENS1_38merge_mergepath_config_static_selectorELNS0_4arch9wavefront6targetE1EEEvSH_
	.p2align	8
	.type	_ZN7rocprim17ROCPRIM_400000_NS6detail17trampoline_kernelINS0_14default_configENS1_38merge_sort_block_merge_config_selectorIalEEZZNS1_27merge_sort_block_merge_implIS3_PaN6thrust23THRUST_200600_302600_NS10device_ptrIlEEjNS1_19radix_merge_compareILb0ELb0EaNS0_19identity_decomposerEEEEE10hipError_tT0_T1_T2_jT3_P12ihipStream_tbPNSt15iterator_traitsISG_E10value_typeEPNSM_ISH_E10value_typeEPSI_NS1_7vsmem_tEENKUlT_SG_SH_SI_E_clIS7_S7_SB_PlEESF_SV_SG_SH_SI_EUlSV_E0_NS1_11comp_targetILNS1_3genE0ELNS1_11target_archE4294967295ELNS1_3gpuE0ELNS1_3repE0EEENS1_38merge_mergepath_config_static_selectorELNS0_4arch9wavefront6targetE1EEEvSH_,@function
_ZN7rocprim17ROCPRIM_400000_NS6detail17trampoline_kernelINS0_14default_configENS1_38merge_sort_block_merge_config_selectorIalEEZZNS1_27merge_sort_block_merge_implIS3_PaN6thrust23THRUST_200600_302600_NS10device_ptrIlEEjNS1_19radix_merge_compareILb0ELb0EaNS0_19identity_decomposerEEEEE10hipError_tT0_T1_T2_jT3_P12ihipStream_tbPNSt15iterator_traitsISG_E10value_typeEPNSM_ISH_E10value_typeEPSI_NS1_7vsmem_tEENKUlT_SG_SH_SI_E_clIS7_S7_SB_PlEESF_SV_SG_SH_SI_EUlSV_E0_NS1_11comp_targetILNS1_3genE0ELNS1_11target_archE4294967295ELNS1_3gpuE0ELNS1_3repE0EEENS1_38merge_mergepath_config_static_selectorELNS0_4arch9wavefront6targetE1EEEvSH_: ; @_ZN7rocprim17ROCPRIM_400000_NS6detail17trampoline_kernelINS0_14default_configENS1_38merge_sort_block_merge_config_selectorIalEEZZNS1_27merge_sort_block_merge_implIS3_PaN6thrust23THRUST_200600_302600_NS10device_ptrIlEEjNS1_19radix_merge_compareILb0ELb0EaNS0_19identity_decomposerEEEEE10hipError_tT0_T1_T2_jT3_P12ihipStream_tbPNSt15iterator_traitsISG_E10value_typeEPNSM_ISH_E10value_typeEPSI_NS1_7vsmem_tEENKUlT_SG_SH_SI_E_clIS7_S7_SB_PlEESF_SV_SG_SH_SI_EUlSV_E0_NS1_11comp_targetILNS1_3genE0ELNS1_11target_archE4294967295ELNS1_3gpuE0ELNS1_3repE0EEENS1_38merge_mergepath_config_static_selectorELNS0_4arch9wavefront6targetE1EEEvSH_
; %bb.0:
	.section	.rodata,"a",@progbits
	.p2align	6, 0x0
	.amdhsa_kernel _ZN7rocprim17ROCPRIM_400000_NS6detail17trampoline_kernelINS0_14default_configENS1_38merge_sort_block_merge_config_selectorIalEEZZNS1_27merge_sort_block_merge_implIS3_PaN6thrust23THRUST_200600_302600_NS10device_ptrIlEEjNS1_19radix_merge_compareILb0ELb0EaNS0_19identity_decomposerEEEEE10hipError_tT0_T1_T2_jT3_P12ihipStream_tbPNSt15iterator_traitsISG_E10value_typeEPNSM_ISH_E10value_typeEPSI_NS1_7vsmem_tEENKUlT_SG_SH_SI_E_clIS7_S7_SB_PlEESF_SV_SG_SH_SI_EUlSV_E0_NS1_11comp_targetILNS1_3genE0ELNS1_11target_archE4294967295ELNS1_3gpuE0ELNS1_3repE0EEENS1_38merge_mergepath_config_static_selectorELNS0_4arch9wavefront6targetE1EEEvSH_
		.amdhsa_group_segment_fixed_size 0
		.amdhsa_private_segment_fixed_size 0
		.amdhsa_kernarg_size 64
		.amdhsa_user_sgpr_count 6
		.amdhsa_user_sgpr_private_segment_buffer 1
		.amdhsa_user_sgpr_dispatch_ptr 0
		.amdhsa_user_sgpr_queue_ptr 0
		.amdhsa_user_sgpr_kernarg_segment_ptr 1
		.amdhsa_user_sgpr_dispatch_id 0
		.amdhsa_user_sgpr_flat_scratch_init 0
		.amdhsa_user_sgpr_private_segment_size 0
		.amdhsa_uses_dynamic_stack 0
		.amdhsa_system_sgpr_private_segment_wavefront_offset 0
		.amdhsa_system_sgpr_workgroup_id_x 1
		.amdhsa_system_sgpr_workgroup_id_y 0
		.amdhsa_system_sgpr_workgroup_id_z 0
		.amdhsa_system_sgpr_workgroup_info 0
		.amdhsa_system_vgpr_workitem_id 0
		.amdhsa_next_free_vgpr 1
		.amdhsa_next_free_sgpr 0
		.amdhsa_reserve_vcc 0
		.amdhsa_reserve_flat_scratch 0
		.amdhsa_float_round_mode_32 0
		.amdhsa_float_round_mode_16_64 0
		.amdhsa_float_denorm_mode_32 3
		.amdhsa_float_denorm_mode_16_64 3
		.amdhsa_dx10_clamp 1
		.amdhsa_ieee_mode 1
		.amdhsa_fp16_overflow 0
		.amdhsa_exception_fp_ieee_invalid_op 0
		.amdhsa_exception_fp_denorm_src 0
		.amdhsa_exception_fp_ieee_div_zero 0
		.amdhsa_exception_fp_ieee_overflow 0
		.amdhsa_exception_fp_ieee_underflow 0
		.amdhsa_exception_fp_ieee_inexact 0
		.amdhsa_exception_int_div_zero 0
	.end_amdhsa_kernel
	.section	.text._ZN7rocprim17ROCPRIM_400000_NS6detail17trampoline_kernelINS0_14default_configENS1_38merge_sort_block_merge_config_selectorIalEEZZNS1_27merge_sort_block_merge_implIS3_PaN6thrust23THRUST_200600_302600_NS10device_ptrIlEEjNS1_19radix_merge_compareILb0ELb0EaNS0_19identity_decomposerEEEEE10hipError_tT0_T1_T2_jT3_P12ihipStream_tbPNSt15iterator_traitsISG_E10value_typeEPNSM_ISH_E10value_typeEPSI_NS1_7vsmem_tEENKUlT_SG_SH_SI_E_clIS7_S7_SB_PlEESF_SV_SG_SH_SI_EUlSV_E0_NS1_11comp_targetILNS1_3genE0ELNS1_11target_archE4294967295ELNS1_3gpuE0ELNS1_3repE0EEENS1_38merge_mergepath_config_static_selectorELNS0_4arch9wavefront6targetE1EEEvSH_,"axG",@progbits,_ZN7rocprim17ROCPRIM_400000_NS6detail17trampoline_kernelINS0_14default_configENS1_38merge_sort_block_merge_config_selectorIalEEZZNS1_27merge_sort_block_merge_implIS3_PaN6thrust23THRUST_200600_302600_NS10device_ptrIlEEjNS1_19radix_merge_compareILb0ELb0EaNS0_19identity_decomposerEEEEE10hipError_tT0_T1_T2_jT3_P12ihipStream_tbPNSt15iterator_traitsISG_E10value_typeEPNSM_ISH_E10value_typeEPSI_NS1_7vsmem_tEENKUlT_SG_SH_SI_E_clIS7_S7_SB_PlEESF_SV_SG_SH_SI_EUlSV_E0_NS1_11comp_targetILNS1_3genE0ELNS1_11target_archE4294967295ELNS1_3gpuE0ELNS1_3repE0EEENS1_38merge_mergepath_config_static_selectorELNS0_4arch9wavefront6targetE1EEEvSH_,comdat
.Lfunc_end510:
	.size	_ZN7rocprim17ROCPRIM_400000_NS6detail17trampoline_kernelINS0_14default_configENS1_38merge_sort_block_merge_config_selectorIalEEZZNS1_27merge_sort_block_merge_implIS3_PaN6thrust23THRUST_200600_302600_NS10device_ptrIlEEjNS1_19radix_merge_compareILb0ELb0EaNS0_19identity_decomposerEEEEE10hipError_tT0_T1_T2_jT3_P12ihipStream_tbPNSt15iterator_traitsISG_E10value_typeEPNSM_ISH_E10value_typeEPSI_NS1_7vsmem_tEENKUlT_SG_SH_SI_E_clIS7_S7_SB_PlEESF_SV_SG_SH_SI_EUlSV_E0_NS1_11comp_targetILNS1_3genE0ELNS1_11target_archE4294967295ELNS1_3gpuE0ELNS1_3repE0EEENS1_38merge_mergepath_config_static_selectorELNS0_4arch9wavefront6targetE1EEEvSH_, .Lfunc_end510-_ZN7rocprim17ROCPRIM_400000_NS6detail17trampoline_kernelINS0_14default_configENS1_38merge_sort_block_merge_config_selectorIalEEZZNS1_27merge_sort_block_merge_implIS3_PaN6thrust23THRUST_200600_302600_NS10device_ptrIlEEjNS1_19radix_merge_compareILb0ELb0EaNS0_19identity_decomposerEEEEE10hipError_tT0_T1_T2_jT3_P12ihipStream_tbPNSt15iterator_traitsISG_E10value_typeEPNSM_ISH_E10value_typeEPSI_NS1_7vsmem_tEENKUlT_SG_SH_SI_E_clIS7_S7_SB_PlEESF_SV_SG_SH_SI_EUlSV_E0_NS1_11comp_targetILNS1_3genE0ELNS1_11target_archE4294967295ELNS1_3gpuE0ELNS1_3repE0EEENS1_38merge_mergepath_config_static_selectorELNS0_4arch9wavefront6targetE1EEEvSH_
                                        ; -- End function
	.set _ZN7rocprim17ROCPRIM_400000_NS6detail17trampoline_kernelINS0_14default_configENS1_38merge_sort_block_merge_config_selectorIalEEZZNS1_27merge_sort_block_merge_implIS3_PaN6thrust23THRUST_200600_302600_NS10device_ptrIlEEjNS1_19radix_merge_compareILb0ELb0EaNS0_19identity_decomposerEEEEE10hipError_tT0_T1_T2_jT3_P12ihipStream_tbPNSt15iterator_traitsISG_E10value_typeEPNSM_ISH_E10value_typeEPSI_NS1_7vsmem_tEENKUlT_SG_SH_SI_E_clIS7_S7_SB_PlEESF_SV_SG_SH_SI_EUlSV_E0_NS1_11comp_targetILNS1_3genE0ELNS1_11target_archE4294967295ELNS1_3gpuE0ELNS1_3repE0EEENS1_38merge_mergepath_config_static_selectorELNS0_4arch9wavefront6targetE1EEEvSH_.num_vgpr, 0
	.set _ZN7rocprim17ROCPRIM_400000_NS6detail17trampoline_kernelINS0_14default_configENS1_38merge_sort_block_merge_config_selectorIalEEZZNS1_27merge_sort_block_merge_implIS3_PaN6thrust23THRUST_200600_302600_NS10device_ptrIlEEjNS1_19radix_merge_compareILb0ELb0EaNS0_19identity_decomposerEEEEE10hipError_tT0_T1_T2_jT3_P12ihipStream_tbPNSt15iterator_traitsISG_E10value_typeEPNSM_ISH_E10value_typeEPSI_NS1_7vsmem_tEENKUlT_SG_SH_SI_E_clIS7_S7_SB_PlEESF_SV_SG_SH_SI_EUlSV_E0_NS1_11comp_targetILNS1_3genE0ELNS1_11target_archE4294967295ELNS1_3gpuE0ELNS1_3repE0EEENS1_38merge_mergepath_config_static_selectorELNS0_4arch9wavefront6targetE1EEEvSH_.num_agpr, 0
	.set _ZN7rocprim17ROCPRIM_400000_NS6detail17trampoline_kernelINS0_14default_configENS1_38merge_sort_block_merge_config_selectorIalEEZZNS1_27merge_sort_block_merge_implIS3_PaN6thrust23THRUST_200600_302600_NS10device_ptrIlEEjNS1_19radix_merge_compareILb0ELb0EaNS0_19identity_decomposerEEEEE10hipError_tT0_T1_T2_jT3_P12ihipStream_tbPNSt15iterator_traitsISG_E10value_typeEPNSM_ISH_E10value_typeEPSI_NS1_7vsmem_tEENKUlT_SG_SH_SI_E_clIS7_S7_SB_PlEESF_SV_SG_SH_SI_EUlSV_E0_NS1_11comp_targetILNS1_3genE0ELNS1_11target_archE4294967295ELNS1_3gpuE0ELNS1_3repE0EEENS1_38merge_mergepath_config_static_selectorELNS0_4arch9wavefront6targetE1EEEvSH_.numbered_sgpr, 0
	.set _ZN7rocprim17ROCPRIM_400000_NS6detail17trampoline_kernelINS0_14default_configENS1_38merge_sort_block_merge_config_selectorIalEEZZNS1_27merge_sort_block_merge_implIS3_PaN6thrust23THRUST_200600_302600_NS10device_ptrIlEEjNS1_19radix_merge_compareILb0ELb0EaNS0_19identity_decomposerEEEEE10hipError_tT0_T1_T2_jT3_P12ihipStream_tbPNSt15iterator_traitsISG_E10value_typeEPNSM_ISH_E10value_typeEPSI_NS1_7vsmem_tEENKUlT_SG_SH_SI_E_clIS7_S7_SB_PlEESF_SV_SG_SH_SI_EUlSV_E0_NS1_11comp_targetILNS1_3genE0ELNS1_11target_archE4294967295ELNS1_3gpuE0ELNS1_3repE0EEENS1_38merge_mergepath_config_static_selectorELNS0_4arch9wavefront6targetE1EEEvSH_.num_named_barrier, 0
	.set _ZN7rocprim17ROCPRIM_400000_NS6detail17trampoline_kernelINS0_14default_configENS1_38merge_sort_block_merge_config_selectorIalEEZZNS1_27merge_sort_block_merge_implIS3_PaN6thrust23THRUST_200600_302600_NS10device_ptrIlEEjNS1_19radix_merge_compareILb0ELb0EaNS0_19identity_decomposerEEEEE10hipError_tT0_T1_T2_jT3_P12ihipStream_tbPNSt15iterator_traitsISG_E10value_typeEPNSM_ISH_E10value_typeEPSI_NS1_7vsmem_tEENKUlT_SG_SH_SI_E_clIS7_S7_SB_PlEESF_SV_SG_SH_SI_EUlSV_E0_NS1_11comp_targetILNS1_3genE0ELNS1_11target_archE4294967295ELNS1_3gpuE0ELNS1_3repE0EEENS1_38merge_mergepath_config_static_selectorELNS0_4arch9wavefront6targetE1EEEvSH_.private_seg_size, 0
	.set _ZN7rocprim17ROCPRIM_400000_NS6detail17trampoline_kernelINS0_14default_configENS1_38merge_sort_block_merge_config_selectorIalEEZZNS1_27merge_sort_block_merge_implIS3_PaN6thrust23THRUST_200600_302600_NS10device_ptrIlEEjNS1_19radix_merge_compareILb0ELb0EaNS0_19identity_decomposerEEEEE10hipError_tT0_T1_T2_jT3_P12ihipStream_tbPNSt15iterator_traitsISG_E10value_typeEPNSM_ISH_E10value_typeEPSI_NS1_7vsmem_tEENKUlT_SG_SH_SI_E_clIS7_S7_SB_PlEESF_SV_SG_SH_SI_EUlSV_E0_NS1_11comp_targetILNS1_3genE0ELNS1_11target_archE4294967295ELNS1_3gpuE0ELNS1_3repE0EEENS1_38merge_mergepath_config_static_selectorELNS0_4arch9wavefront6targetE1EEEvSH_.uses_vcc, 0
	.set _ZN7rocprim17ROCPRIM_400000_NS6detail17trampoline_kernelINS0_14default_configENS1_38merge_sort_block_merge_config_selectorIalEEZZNS1_27merge_sort_block_merge_implIS3_PaN6thrust23THRUST_200600_302600_NS10device_ptrIlEEjNS1_19radix_merge_compareILb0ELb0EaNS0_19identity_decomposerEEEEE10hipError_tT0_T1_T2_jT3_P12ihipStream_tbPNSt15iterator_traitsISG_E10value_typeEPNSM_ISH_E10value_typeEPSI_NS1_7vsmem_tEENKUlT_SG_SH_SI_E_clIS7_S7_SB_PlEESF_SV_SG_SH_SI_EUlSV_E0_NS1_11comp_targetILNS1_3genE0ELNS1_11target_archE4294967295ELNS1_3gpuE0ELNS1_3repE0EEENS1_38merge_mergepath_config_static_selectorELNS0_4arch9wavefront6targetE1EEEvSH_.uses_flat_scratch, 0
	.set _ZN7rocprim17ROCPRIM_400000_NS6detail17trampoline_kernelINS0_14default_configENS1_38merge_sort_block_merge_config_selectorIalEEZZNS1_27merge_sort_block_merge_implIS3_PaN6thrust23THRUST_200600_302600_NS10device_ptrIlEEjNS1_19radix_merge_compareILb0ELb0EaNS0_19identity_decomposerEEEEE10hipError_tT0_T1_T2_jT3_P12ihipStream_tbPNSt15iterator_traitsISG_E10value_typeEPNSM_ISH_E10value_typeEPSI_NS1_7vsmem_tEENKUlT_SG_SH_SI_E_clIS7_S7_SB_PlEESF_SV_SG_SH_SI_EUlSV_E0_NS1_11comp_targetILNS1_3genE0ELNS1_11target_archE4294967295ELNS1_3gpuE0ELNS1_3repE0EEENS1_38merge_mergepath_config_static_selectorELNS0_4arch9wavefront6targetE1EEEvSH_.has_dyn_sized_stack, 0
	.set _ZN7rocprim17ROCPRIM_400000_NS6detail17trampoline_kernelINS0_14default_configENS1_38merge_sort_block_merge_config_selectorIalEEZZNS1_27merge_sort_block_merge_implIS3_PaN6thrust23THRUST_200600_302600_NS10device_ptrIlEEjNS1_19radix_merge_compareILb0ELb0EaNS0_19identity_decomposerEEEEE10hipError_tT0_T1_T2_jT3_P12ihipStream_tbPNSt15iterator_traitsISG_E10value_typeEPNSM_ISH_E10value_typeEPSI_NS1_7vsmem_tEENKUlT_SG_SH_SI_E_clIS7_S7_SB_PlEESF_SV_SG_SH_SI_EUlSV_E0_NS1_11comp_targetILNS1_3genE0ELNS1_11target_archE4294967295ELNS1_3gpuE0ELNS1_3repE0EEENS1_38merge_mergepath_config_static_selectorELNS0_4arch9wavefront6targetE1EEEvSH_.has_recursion, 0
	.set _ZN7rocprim17ROCPRIM_400000_NS6detail17trampoline_kernelINS0_14default_configENS1_38merge_sort_block_merge_config_selectorIalEEZZNS1_27merge_sort_block_merge_implIS3_PaN6thrust23THRUST_200600_302600_NS10device_ptrIlEEjNS1_19radix_merge_compareILb0ELb0EaNS0_19identity_decomposerEEEEE10hipError_tT0_T1_T2_jT3_P12ihipStream_tbPNSt15iterator_traitsISG_E10value_typeEPNSM_ISH_E10value_typeEPSI_NS1_7vsmem_tEENKUlT_SG_SH_SI_E_clIS7_S7_SB_PlEESF_SV_SG_SH_SI_EUlSV_E0_NS1_11comp_targetILNS1_3genE0ELNS1_11target_archE4294967295ELNS1_3gpuE0ELNS1_3repE0EEENS1_38merge_mergepath_config_static_selectorELNS0_4arch9wavefront6targetE1EEEvSH_.has_indirect_call, 0
	.section	.AMDGPU.csdata,"",@progbits
; Kernel info:
; codeLenInByte = 0
; TotalNumSgprs: 4
; NumVgprs: 0
; ScratchSize: 0
; MemoryBound: 0
; FloatMode: 240
; IeeeMode: 1
; LDSByteSize: 0 bytes/workgroup (compile time only)
; SGPRBlocks: 0
; VGPRBlocks: 0
; NumSGPRsForWavesPerEU: 4
; NumVGPRsForWavesPerEU: 1
; Occupancy: 10
; WaveLimiterHint : 0
; COMPUTE_PGM_RSRC2:SCRATCH_EN: 0
; COMPUTE_PGM_RSRC2:USER_SGPR: 6
; COMPUTE_PGM_RSRC2:TRAP_HANDLER: 0
; COMPUTE_PGM_RSRC2:TGID_X_EN: 1
; COMPUTE_PGM_RSRC2:TGID_Y_EN: 0
; COMPUTE_PGM_RSRC2:TGID_Z_EN: 0
; COMPUTE_PGM_RSRC2:TIDIG_COMP_CNT: 0
	.section	.text._ZN7rocprim17ROCPRIM_400000_NS6detail17trampoline_kernelINS0_14default_configENS1_38merge_sort_block_merge_config_selectorIalEEZZNS1_27merge_sort_block_merge_implIS3_PaN6thrust23THRUST_200600_302600_NS10device_ptrIlEEjNS1_19radix_merge_compareILb0ELb0EaNS0_19identity_decomposerEEEEE10hipError_tT0_T1_T2_jT3_P12ihipStream_tbPNSt15iterator_traitsISG_E10value_typeEPNSM_ISH_E10value_typeEPSI_NS1_7vsmem_tEENKUlT_SG_SH_SI_E_clIS7_S7_SB_PlEESF_SV_SG_SH_SI_EUlSV_E0_NS1_11comp_targetILNS1_3genE10ELNS1_11target_archE1201ELNS1_3gpuE5ELNS1_3repE0EEENS1_38merge_mergepath_config_static_selectorELNS0_4arch9wavefront6targetE1EEEvSH_,"axG",@progbits,_ZN7rocprim17ROCPRIM_400000_NS6detail17trampoline_kernelINS0_14default_configENS1_38merge_sort_block_merge_config_selectorIalEEZZNS1_27merge_sort_block_merge_implIS3_PaN6thrust23THRUST_200600_302600_NS10device_ptrIlEEjNS1_19radix_merge_compareILb0ELb0EaNS0_19identity_decomposerEEEEE10hipError_tT0_T1_T2_jT3_P12ihipStream_tbPNSt15iterator_traitsISG_E10value_typeEPNSM_ISH_E10value_typeEPSI_NS1_7vsmem_tEENKUlT_SG_SH_SI_E_clIS7_S7_SB_PlEESF_SV_SG_SH_SI_EUlSV_E0_NS1_11comp_targetILNS1_3genE10ELNS1_11target_archE1201ELNS1_3gpuE5ELNS1_3repE0EEENS1_38merge_mergepath_config_static_selectorELNS0_4arch9wavefront6targetE1EEEvSH_,comdat
	.protected	_ZN7rocprim17ROCPRIM_400000_NS6detail17trampoline_kernelINS0_14default_configENS1_38merge_sort_block_merge_config_selectorIalEEZZNS1_27merge_sort_block_merge_implIS3_PaN6thrust23THRUST_200600_302600_NS10device_ptrIlEEjNS1_19radix_merge_compareILb0ELb0EaNS0_19identity_decomposerEEEEE10hipError_tT0_T1_T2_jT3_P12ihipStream_tbPNSt15iterator_traitsISG_E10value_typeEPNSM_ISH_E10value_typeEPSI_NS1_7vsmem_tEENKUlT_SG_SH_SI_E_clIS7_S7_SB_PlEESF_SV_SG_SH_SI_EUlSV_E0_NS1_11comp_targetILNS1_3genE10ELNS1_11target_archE1201ELNS1_3gpuE5ELNS1_3repE0EEENS1_38merge_mergepath_config_static_selectorELNS0_4arch9wavefront6targetE1EEEvSH_ ; -- Begin function _ZN7rocprim17ROCPRIM_400000_NS6detail17trampoline_kernelINS0_14default_configENS1_38merge_sort_block_merge_config_selectorIalEEZZNS1_27merge_sort_block_merge_implIS3_PaN6thrust23THRUST_200600_302600_NS10device_ptrIlEEjNS1_19radix_merge_compareILb0ELb0EaNS0_19identity_decomposerEEEEE10hipError_tT0_T1_T2_jT3_P12ihipStream_tbPNSt15iterator_traitsISG_E10value_typeEPNSM_ISH_E10value_typeEPSI_NS1_7vsmem_tEENKUlT_SG_SH_SI_E_clIS7_S7_SB_PlEESF_SV_SG_SH_SI_EUlSV_E0_NS1_11comp_targetILNS1_3genE10ELNS1_11target_archE1201ELNS1_3gpuE5ELNS1_3repE0EEENS1_38merge_mergepath_config_static_selectorELNS0_4arch9wavefront6targetE1EEEvSH_
	.globl	_ZN7rocprim17ROCPRIM_400000_NS6detail17trampoline_kernelINS0_14default_configENS1_38merge_sort_block_merge_config_selectorIalEEZZNS1_27merge_sort_block_merge_implIS3_PaN6thrust23THRUST_200600_302600_NS10device_ptrIlEEjNS1_19radix_merge_compareILb0ELb0EaNS0_19identity_decomposerEEEEE10hipError_tT0_T1_T2_jT3_P12ihipStream_tbPNSt15iterator_traitsISG_E10value_typeEPNSM_ISH_E10value_typeEPSI_NS1_7vsmem_tEENKUlT_SG_SH_SI_E_clIS7_S7_SB_PlEESF_SV_SG_SH_SI_EUlSV_E0_NS1_11comp_targetILNS1_3genE10ELNS1_11target_archE1201ELNS1_3gpuE5ELNS1_3repE0EEENS1_38merge_mergepath_config_static_selectorELNS0_4arch9wavefront6targetE1EEEvSH_
	.p2align	8
	.type	_ZN7rocprim17ROCPRIM_400000_NS6detail17trampoline_kernelINS0_14default_configENS1_38merge_sort_block_merge_config_selectorIalEEZZNS1_27merge_sort_block_merge_implIS3_PaN6thrust23THRUST_200600_302600_NS10device_ptrIlEEjNS1_19radix_merge_compareILb0ELb0EaNS0_19identity_decomposerEEEEE10hipError_tT0_T1_T2_jT3_P12ihipStream_tbPNSt15iterator_traitsISG_E10value_typeEPNSM_ISH_E10value_typeEPSI_NS1_7vsmem_tEENKUlT_SG_SH_SI_E_clIS7_S7_SB_PlEESF_SV_SG_SH_SI_EUlSV_E0_NS1_11comp_targetILNS1_3genE10ELNS1_11target_archE1201ELNS1_3gpuE5ELNS1_3repE0EEENS1_38merge_mergepath_config_static_selectorELNS0_4arch9wavefront6targetE1EEEvSH_,@function
_ZN7rocprim17ROCPRIM_400000_NS6detail17trampoline_kernelINS0_14default_configENS1_38merge_sort_block_merge_config_selectorIalEEZZNS1_27merge_sort_block_merge_implIS3_PaN6thrust23THRUST_200600_302600_NS10device_ptrIlEEjNS1_19radix_merge_compareILb0ELb0EaNS0_19identity_decomposerEEEEE10hipError_tT0_T1_T2_jT3_P12ihipStream_tbPNSt15iterator_traitsISG_E10value_typeEPNSM_ISH_E10value_typeEPSI_NS1_7vsmem_tEENKUlT_SG_SH_SI_E_clIS7_S7_SB_PlEESF_SV_SG_SH_SI_EUlSV_E0_NS1_11comp_targetILNS1_3genE10ELNS1_11target_archE1201ELNS1_3gpuE5ELNS1_3repE0EEENS1_38merge_mergepath_config_static_selectorELNS0_4arch9wavefront6targetE1EEEvSH_: ; @_ZN7rocprim17ROCPRIM_400000_NS6detail17trampoline_kernelINS0_14default_configENS1_38merge_sort_block_merge_config_selectorIalEEZZNS1_27merge_sort_block_merge_implIS3_PaN6thrust23THRUST_200600_302600_NS10device_ptrIlEEjNS1_19radix_merge_compareILb0ELb0EaNS0_19identity_decomposerEEEEE10hipError_tT0_T1_T2_jT3_P12ihipStream_tbPNSt15iterator_traitsISG_E10value_typeEPNSM_ISH_E10value_typeEPSI_NS1_7vsmem_tEENKUlT_SG_SH_SI_E_clIS7_S7_SB_PlEESF_SV_SG_SH_SI_EUlSV_E0_NS1_11comp_targetILNS1_3genE10ELNS1_11target_archE1201ELNS1_3gpuE5ELNS1_3repE0EEENS1_38merge_mergepath_config_static_selectorELNS0_4arch9wavefront6targetE1EEEvSH_
; %bb.0:
	.section	.rodata,"a",@progbits
	.p2align	6, 0x0
	.amdhsa_kernel _ZN7rocprim17ROCPRIM_400000_NS6detail17trampoline_kernelINS0_14default_configENS1_38merge_sort_block_merge_config_selectorIalEEZZNS1_27merge_sort_block_merge_implIS3_PaN6thrust23THRUST_200600_302600_NS10device_ptrIlEEjNS1_19radix_merge_compareILb0ELb0EaNS0_19identity_decomposerEEEEE10hipError_tT0_T1_T2_jT3_P12ihipStream_tbPNSt15iterator_traitsISG_E10value_typeEPNSM_ISH_E10value_typeEPSI_NS1_7vsmem_tEENKUlT_SG_SH_SI_E_clIS7_S7_SB_PlEESF_SV_SG_SH_SI_EUlSV_E0_NS1_11comp_targetILNS1_3genE10ELNS1_11target_archE1201ELNS1_3gpuE5ELNS1_3repE0EEENS1_38merge_mergepath_config_static_selectorELNS0_4arch9wavefront6targetE1EEEvSH_
		.amdhsa_group_segment_fixed_size 0
		.amdhsa_private_segment_fixed_size 0
		.amdhsa_kernarg_size 64
		.amdhsa_user_sgpr_count 6
		.amdhsa_user_sgpr_private_segment_buffer 1
		.amdhsa_user_sgpr_dispatch_ptr 0
		.amdhsa_user_sgpr_queue_ptr 0
		.amdhsa_user_sgpr_kernarg_segment_ptr 1
		.amdhsa_user_sgpr_dispatch_id 0
		.amdhsa_user_sgpr_flat_scratch_init 0
		.amdhsa_user_sgpr_private_segment_size 0
		.amdhsa_uses_dynamic_stack 0
		.amdhsa_system_sgpr_private_segment_wavefront_offset 0
		.amdhsa_system_sgpr_workgroup_id_x 1
		.amdhsa_system_sgpr_workgroup_id_y 0
		.amdhsa_system_sgpr_workgroup_id_z 0
		.amdhsa_system_sgpr_workgroup_info 0
		.amdhsa_system_vgpr_workitem_id 0
		.amdhsa_next_free_vgpr 1
		.amdhsa_next_free_sgpr 0
		.amdhsa_reserve_vcc 0
		.amdhsa_reserve_flat_scratch 0
		.amdhsa_float_round_mode_32 0
		.amdhsa_float_round_mode_16_64 0
		.amdhsa_float_denorm_mode_32 3
		.amdhsa_float_denorm_mode_16_64 3
		.amdhsa_dx10_clamp 1
		.amdhsa_ieee_mode 1
		.amdhsa_fp16_overflow 0
		.amdhsa_exception_fp_ieee_invalid_op 0
		.amdhsa_exception_fp_denorm_src 0
		.amdhsa_exception_fp_ieee_div_zero 0
		.amdhsa_exception_fp_ieee_overflow 0
		.amdhsa_exception_fp_ieee_underflow 0
		.amdhsa_exception_fp_ieee_inexact 0
		.amdhsa_exception_int_div_zero 0
	.end_amdhsa_kernel
	.section	.text._ZN7rocprim17ROCPRIM_400000_NS6detail17trampoline_kernelINS0_14default_configENS1_38merge_sort_block_merge_config_selectorIalEEZZNS1_27merge_sort_block_merge_implIS3_PaN6thrust23THRUST_200600_302600_NS10device_ptrIlEEjNS1_19radix_merge_compareILb0ELb0EaNS0_19identity_decomposerEEEEE10hipError_tT0_T1_T2_jT3_P12ihipStream_tbPNSt15iterator_traitsISG_E10value_typeEPNSM_ISH_E10value_typeEPSI_NS1_7vsmem_tEENKUlT_SG_SH_SI_E_clIS7_S7_SB_PlEESF_SV_SG_SH_SI_EUlSV_E0_NS1_11comp_targetILNS1_3genE10ELNS1_11target_archE1201ELNS1_3gpuE5ELNS1_3repE0EEENS1_38merge_mergepath_config_static_selectorELNS0_4arch9wavefront6targetE1EEEvSH_,"axG",@progbits,_ZN7rocprim17ROCPRIM_400000_NS6detail17trampoline_kernelINS0_14default_configENS1_38merge_sort_block_merge_config_selectorIalEEZZNS1_27merge_sort_block_merge_implIS3_PaN6thrust23THRUST_200600_302600_NS10device_ptrIlEEjNS1_19radix_merge_compareILb0ELb0EaNS0_19identity_decomposerEEEEE10hipError_tT0_T1_T2_jT3_P12ihipStream_tbPNSt15iterator_traitsISG_E10value_typeEPNSM_ISH_E10value_typeEPSI_NS1_7vsmem_tEENKUlT_SG_SH_SI_E_clIS7_S7_SB_PlEESF_SV_SG_SH_SI_EUlSV_E0_NS1_11comp_targetILNS1_3genE10ELNS1_11target_archE1201ELNS1_3gpuE5ELNS1_3repE0EEENS1_38merge_mergepath_config_static_selectorELNS0_4arch9wavefront6targetE1EEEvSH_,comdat
.Lfunc_end511:
	.size	_ZN7rocprim17ROCPRIM_400000_NS6detail17trampoline_kernelINS0_14default_configENS1_38merge_sort_block_merge_config_selectorIalEEZZNS1_27merge_sort_block_merge_implIS3_PaN6thrust23THRUST_200600_302600_NS10device_ptrIlEEjNS1_19radix_merge_compareILb0ELb0EaNS0_19identity_decomposerEEEEE10hipError_tT0_T1_T2_jT3_P12ihipStream_tbPNSt15iterator_traitsISG_E10value_typeEPNSM_ISH_E10value_typeEPSI_NS1_7vsmem_tEENKUlT_SG_SH_SI_E_clIS7_S7_SB_PlEESF_SV_SG_SH_SI_EUlSV_E0_NS1_11comp_targetILNS1_3genE10ELNS1_11target_archE1201ELNS1_3gpuE5ELNS1_3repE0EEENS1_38merge_mergepath_config_static_selectorELNS0_4arch9wavefront6targetE1EEEvSH_, .Lfunc_end511-_ZN7rocprim17ROCPRIM_400000_NS6detail17trampoline_kernelINS0_14default_configENS1_38merge_sort_block_merge_config_selectorIalEEZZNS1_27merge_sort_block_merge_implIS3_PaN6thrust23THRUST_200600_302600_NS10device_ptrIlEEjNS1_19radix_merge_compareILb0ELb0EaNS0_19identity_decomposerEEEEE10hipError_tT0_T1_T2_jT3_P12ihipStream_tbPNSt15iterator_traitsISG_E10value_typeEPNSM_ISH_E10value_typeEPSI_NS1_7vsmem_tEENKUlT_SG_SH_SI_E_clIS7_S7_SB_PlEESF_SV_SG_SH_SI_EUlSV_E0_NS1_11comp_targetILNS1_3genE10ELNS1_11target_archE1201ELNS1_3gpuE5ELNS1_3repE0EEENS1_38merge_mergepath_config_static_selectorELNS0_4arch9wavefront6targetE1EEEvSH_
                                        ; -- End function
	.set _ZN7rocprim17ROCPRIM_400000_NS6detail17trampoline_kernelINS0_14default_configENS1_38merge_sort_block_merge_config_selectorIalEEZZNS1_27merge_sort_block_merge_implIS3_PaN6thrust23THRUST_200600_302600_NS10device_ptrIlEEjNS1_19radix_merge_compareILb0ELb0EaNS0_19identity_decomposerEEEEE10hipError_tT0_T1_T2_jT3_P12ihipStream_tbPNSt15iterator_traitsISG_E10value_typeEPNSM_ISH_E10value_typeEPSI_NS1_7vsmem_tEENKUlT_SG_SH_SI_E_clIS7_S7_SB_PlEESF_SV_SG_SH_SI_EUlSV_E0_NS1_11comp_targetILNS1_3genE10ELNS1_11target_archE1201ELNS1_3gpuE5ELNS1_3repE0EEENS1_38merge_mergepath_config_static_selectorELNS0_4arch9wavefront6targetE1EEEvSH_.num_vgpr, 0
	.set _ZN7rocprim17ROCPRIM_400000_NS6detail17trampoline_kernelINS0_14default_configENS1_38merge_sort_block_merge_config_selectorIalEEZZNS1_27merge_sort_block_merge_implIS3_PaN6thrust23THRUST_200600_302600_NS10device_ptrIlEEjNS1_19radix_merge_compareILb0ELb0EaNS0_19identity_decomposerEEEEE10hipError_tT0_T1_T2_jT3_P12ihipStream_tbPNSt15iterator_traitsISG_E10value_typeEPNSM_ISH_E10value_typeEPSI_NS1_7vsmem_tEENKUlT_SG_SH_SI_E_clIS7_S7_SB_PlEESF_SV_SG_SH_SI_EUlSV_E0_NS1_11comp_targetILNS1_3genE10ELNS1_11target_archE1201ELNS1_3gpuE5ELNS1_3repE0EEENS1_38merge_mergepath_config_static_selectorELNS0_4arch9wavefront6targetE1EEEvSH_.num_agpr, 0
	.set _ZN7rocprim17ROCPRIM_400000_NS6detail17trampoline_kernelINS0_14default_configENS1_38merge_sort_block_merge_config_selectorIalEEZZNS1_27merge_sort_block_merge_implIS3_PaN6thrust23THRUST_200600_302600_NS10device_ptrIlEEjNS1_19radix_merge_compareILb0ELb0EaNS0_19identity_decomposerEEEEE10hipError_tT0_T1_T2_jT3_P12ihipStream_tbPNSt15iterator_traitsISG_E10value_typeEPNSM_ISH_E10value_typeEPSI_NS1_7vsmem_tEENKUlT_SG_SH_SI_E_clIS7_S7_SB_PlEESF_SV_SG_SH_SI_EUlSV_E0_NS1_11comp_targetILNS1_3genE10ELNS1_11target_archE1201ELNS1_3gpuE5ELNS1_3repE0EEENS1_38merge_mergepath_config_static_selectorELNS0_4arch9wavefront6targetE1EEEvSH_.numbered_sgpr, 0
	.set _ZN7rocprim17ROCPRIM_400000_NS6detail17trampoline_kernelINS0_14default_configENS1_38merge_sort_block_merge_config_selectorIalEEZZNS1_27merge_sort_block_merge_implIS3_PaN6thrust23THRUST_200600_302600_NS10device_ptrIlEEjNS1_19radix_merge_compareILb0ELb0EaNS0_19identity_decomposerEEEEE10hipError_tT0_T1_T2_jT3_P12ihipStream_tbPNSt15iterator_traitsISG_E10value_typeEPNSM_ISH_E10value_typeEPSI_NS1_7vsmem_tEENKUlT_SG_SH_SI_E_clIS7_S7_SB_PlEESF_SV_SG_SH_SI_EUlSV_E0_NS1_11comp_targetILNS1_3genE10ELNS1_11target_archE1201ELNS1_3gpuE5ELNS1_3repE0EEENS1_38merge_mergepath_config_static_selectorELNS0_4arch9wavefront6targetE1EEEvSH_.num_named_barrier, 0
	.set _ZN7rocprim17ROCPRIM_400000_NS6detail17trampoline_kernelINS0_14default_configENS1_38merge_sort_block_merge_config_selectorIalEEZZNS1_27merge_sort_block_merge_implIS3_PaN6thrust23THRUST_200600_302600_NS10device_ptrIlEEjNS1_19radix_merge_compareILb0ELb0EaNS0_19identity_decomposerEEEEE10hipError_tT0_T1_T2_jT3_P12ihipStream_tbPNSt15iterator_traitsISG_E10value_typeEPNSM_ISH_E10value_typeEPSI_NS1_7vsmem_tEENKUlT_SG_SH_SI_E_clIS7_S7_SB_PlEESF_SV_SG_SH_SI_EUlSV_E0_NS1_11comp_targetILNS1_3genE10ELNS1_11target_archE1201ELNS1_3gpuE5ELNS1_3repE0EEENS1_38merge_mergepath_config_static_selectorELNS0_4arch9wavefront6targetE1EEEvSH_.private_seg_size, 0
	.set _ZN7rocprim17ROCPRIM_400000_NS6detail17trampoline_kernelINS0_14default_configENS1_38merge_sort_block_merge_config_selectorIalEEZZNS1_27merge_sort_block_merge_implIS3_PaN6thrust23THRUST_200600_302600_NS10device_ptrIlEEjNS1_19radix_merge_compareILb0ELb0EaNS0_19identity_decomposerEEEEE10hipError_tT0_T1_T2_jT3_P12ihipStream_tbPNSt15iterator_traitsISG_E10value_typeEPNSM_ISH_E10value_typeEPSI_NS1_7vsmem_tEENKUlT_SG_SH_SI_E_clIS7_S7_SB_PlEESF_SV_SG_SH_SI_EUlSV_E0_NS1_11comp_targetILNS1_3genE10ELNS1_11target_archE1201ELNS1_3gpuE5ELNS1_3repE0EEENS1_38merge_mergepath_config_static_selectorELNS0_4arch9wavefront6targetE1EEEvSH_.uses_vcc, 0
	.set _ZN7rocprim17ROCPRIM_400000_NS6detail17trampoline_kernelINS0_14default_configENS1_38merge_sort_block_merge_config_selectorIalEEZZNS1_27merge_sort_block_merge_implIS3_PaN6thrust23THRUST_200600_302600_NS10device_ptrIlEEjNS1_19radix_merge_compareILb0ELb0EaNS0_19identity_decomposerEEEEE10hipError_tT0_T1_T2_jT3_P12ihipStream_tbPNSt15iterator_traitsISG_E10value_typeEPNSM_ISH_E10value_typeEPSI_NS1_7vsmem_tEENKUlT_SG_SH_SI_E_clIS7_S7_SB_PlEESF_SV_SG_SH_SI_EUlSV_E0_NS1_11comp_targetILNS1_3genE10ELNS1_11target_archE1201ELNS1_3gpuE5ELNS1_3repE0EEENS1_38merge_mergepath_config_static_selectorELNS0_4arch9wavefront6targetE1EEEvSH_.uses_flat_scratch, 0
	.set _ZN7rocprim17ROCPRIM_400000_NS6detail17trampoline_kernelINS0_14default_configENS1_38merge_sort_block_merge_config_selectorIalEEZZNS1_27merge_sort_block_merge_implIS3_PaN6thrust23THRUST_200600_302600_NS10device_ptrIlEEjNS1_19radix_merge_compareILb0ELb0EaNS0_19identity_decomposerEEEEE10hipError_tT0_T1_T2_jT3_P12ihipStream_tbPNSt15iterator_traitsISG_E10value_typeEPNSM_ISH_E10value_typeEPSI_NS1_7vsmem_tEENKUlT_SG_SH_SI_E_clIS7_S7_SB_PlEESF_SV_SG_SH_SI_EUlSV_E0_NS1_11comp_targetILNS1_3genE10ELNS1_11target_archE1201ELNS1_3gpuE5ELNS1_3repE0EEENS1_38merge_mergepath_config_static_selectorELNS0_4arch9wavefront6targetE1EEEvSH_.has_dyn_sized_stack, 0
	.set _ZN7rocprim17ROCPRIM_400000_NS6detail17trampoline_kernelINS0_14default_configENS1_38merge_sort_block_merge_config_selectorIalEEZZNS1_27merge_sort_block_merge_implIS3_PaN6thrust23THRUST_200600_302600_NS10device_ptrIlEEjNS1_19radix_merge_compareILb0ELb0EaNS0_19identity_decomposerEEEEE10hipError_tT0_T1_T2_jT3_P12ihipStream_tbPNSt15iterator_traitsISG_E10value_typeEPNSM_ISH_E10value_typeEPSI_NS1_7vsmem_tEENKUlT_SG_SH_SI_E_clIS7_S7_SB_PlEESF_SV_SG_SH_SI_EUlSV_E0_NS1_11comp_targetILNS1_3genE10ELNS1_11target_archE1201ELNS1_3gpuE5ELNS1_3repE0EEENS1_38merge_mergepath_config_static_selectorELNS0_4arch9wavefront6targetE1EEEvSH_.has_recursion, 0
	.set _ZN7rocprim17ROCPRIM_400000_NS6detail17trampoline_kernelINS0_14default_configENS1_38merge_sort_block_merge_config_selectorIalEEZZNS1_27merge_sort_block_merge_implIS3_PaN6thrust23THRUST_200600_302600_NS10device_ptrIlEEjNS1_19radix_merge_compareILb0ELb0EaNS0_19identity_decomposerEEEEE10hipError_tT0_T1_T2_jT3_P12ihipStream_tbPNSt15iterator_traitsISG_E10value_typeEPNSM_ISH_E10value_typeEPSI_NS1_7vsmem_tEENKUlT_SG_SH_SI_E_clIS7_S7_SB_PlEESF_SV_SG_SH_SI_EUlSV_E0_NS1_11comp_targetILNS1_3genE10ELNS1_11target_archE1201ELNS1_3gpuE5ELNS1_3repE0EEENS1_38merge_mergepath_config_static_selectorELNS0_4arch9wavefront6targetE1EEEvSH_.has_indirect_call, 0
	.section	.AMDGPU.csdata,"",@progbits
; Kernel info:
; codeLenInByte = 0
; TotalNumSgprs: 4
; NumVgprs: 0
; ScratchSize: 0
; MemoryBound: 0
; FloatMode: 240
; IeeeMode: 1
; LDSByteSize: 0 bytes/workgroup (compile time only)
; SGPRBlocks: 0
; VGPRBlocks: 0
; NumSGPRsForWavesPerEU: 4
; NumVGPRsForWavesPerEU: 1
; Occupancy: 10
; WaveLimiterHint : 0
; COMPUTE_PGM_RSRC2:SCRATCH_EN: 0
; COMPUTE_PGM_RSRC2:USER_SGPR: 6
; COMPUTE_PGM_RSRC2:TRAP_HANDLER: 0
; COMPUTE_PGM_RSRC2:TGID_X_EN: 1
; COMPUTE_PGM_RSRC2:TGID_Y_EN: 0
; COMPUTE_PGM_RSRC2:TGID_Z_EN: 0
; COMPUTE_PGM_RSRC2:TIDIG_COMP_CNT: 0
	.section	.text._ZN7rocprim17ROCPRIM_400000_NS6detail17trampoline_kernelINS0_14default_configENS1_38merge_sort_block_merge_config_selectorIalEEZZNS1_27merge_sort_block_merge_implIS3_PaN6thrust23THRUST_200600_302600_NS10device_ptrIlEEjNS1_19radix_merge_compareILb0ELb0EaNS0_19identity_decomposerEEEEE10hipError_tT0_T1_T2_jT3_P12ihipStream_tbPNSt15iterator_traitsISG_E10value_typeEPNSM_ISH_E10value_typeEPSI_NS1_7vsmem_tEENKUlT_SG_SH_SI_E_clIS7_S7_SB_PlEESF_SV_SG_SH_SI_EUlSV_E0_NS1_11comp_targetILNS1_3genE5ELNS1_11target_archE942ELNS1_3gpuE9ELNS1_3repE0EEENS1_38merge_mergepath_config_static_selectorELNS0_4arch9wavefront6targetE1EEEvSH_,"axG",@progbits,_ZN7rocprim17ROCPRIM_400000_NS6detail17trampoline_kernelINS0_14default_configENS1_38merge_sort_block_merge_config_selectorIalEEZZNS1_27merge_sort_block_merge_implIS3_PaN6thrust23THRUST_200600_302600_NS10device_ptrIlEEjNS1_19radix_merge_compareILb0ELb0EaNS0_19identity_decomposerEEEEE10hipError_tT0_T1_T2_jT3_P12ihipStream_tbPNSt15iterator_traitsISG_E10value_typeEPNSM_ISH_E10value_typeEPSI_NS1_7vsmem_tEENKUlT_SG_SH_SI_E_clIS7_S7_SB_PlEESF_SV_SG_SH_SI_EUlSV_E0_NS1_11comp_targetILNS1_3genE5ELNS1_11target_archE942ELNS1_3gpuE9ELNS1_3repE0EEENS1_38merge_mergepath_config_static_selectorELNS0_4arch9wavefront6targetE1EEEvSH_,comdat
	.protected	_ZN7rocprim17ROCPRIM_400000_NS6detail17trampoline_kernelINS0_14default_configENS1_38merge_sort_block_merge_config_selectorIalEEZZNS1_27merge_sort_block_merge_implIS3_PaN6thrust23THRUST_200600_302600_NS10device_ptrIlEEjNS1_19radix_merge_compareILb0ELb0EaNS0_19identity_decomposerEEEEE10hipError_tT0_T1_T2_jT3_P12ihipStream_tbPNSt15iterator_traitsISG_E10value_typeEPNSM_ISH_E10value_typeEPSI_NS1_7vsmem_tEENKUlT_SG_SH_SI_E_clIS7_S7_SB_PlEESF_SV_SG_SH_SI_EUlSV_E0_NS1_11comp_targetILNS1_3genE5ELNS1_11target_archE942ELNS1_3gpuE9ELNS1_3repE0EEENS1_38merge_mergepath_config_static_selectorELNS0_4arch9wavefront6targetE1EEEvSH_ ; -- Begin function _ZN7rocprim17ROCPRIM_400000_NS6detail17trampoline_kernelINS0_14default_configENS1_38merge_sort_block_merge_config_selectorIalEEZZNS1_27merge_sort_block_merge_implIS3_PaN6thrust23THRUST_200600_302600_NS10device_ptrIlEEjNS1_19radix_merge_compareILb0ELb0EaNS0_19identity_decomposerEEEEE10hipError_tT0_T1_T2_jT3_P12ihipStream_tbPNSt15iterator_traitsISG_E10value_typeEPNSM_ISH_E10value_typeEPSI_NS1_7vsmem_tEENKUlT_SG_SH_SI_E_clIS7_S7_SB_PlEESF_SV_SG_SH_SI_EUlSV_E0_NS1_11comp_targetILNS1_3genE5ELNS1_11target_archE942ELNS1_3gpuE9ELNS1_3repE0EEENS1_38merge_mergepath_config_static_selectorELNS0_4arch9wavefront6targetE1EEEvSH_
	.globl	_ZN7rocprim17ROCPRIM_400000_NS6detail17trampoline_kernelINS0_14default_configENS1_38merge_sort_block_merge_config_selectorIalEEZZNS1_27merge_sort_block_merge_implIS3_PaN6thrust23THRUST_200600_302600_NS10device_ptrIlEEjNS1_19radix_merge_compareILb0ELb0EaNS0_19identity_decomposerEEEEE10hipError_tT0_T1_T2_jT3_P12ihipStream_tbPNSt15iterator_traitsISG_E10value_typeEPNSM_ISH_E10value_typeEPSI_NS1_7vsmem_tEENKUlT_SG_SH_SI_E_clIS7_S7_SB_PlEESF_SV_SG_SH_SI_EUlSV_E0_NS1_11comp_targetILNS1_3genE5ELNS1_11target_archE942ELNS1_3gpuE9ELNS1_3repE0EEENS1_38merge_mergepath_config_static_selectorELNS0_4arch9wavefront6targetE1EEEvSH_
	.p2align	8
	.type	_ZN7rocprim17ROCPRIM_400000_NS6detail17trampoline_kernelINS0_14default_configENS1_38merge_sort_block_merge_config_selectorIalEEZZNS1_27merge_sort_block_merge_implIS3_PaN6thrust23THRUST_200600_302600_NS10device_ptrIlEEjNS1_19radix_merge_compareILb0ELb0EaNS0_19identity_decomposerEEEEE10hipError_tT0_T1_T2_jT3_P12ihipStream_tbPNSt15iterator_traitsISG_E10value_typeEPNSM_ISH_E10value_typeEPSI_NS1_7vsmem_tEENKUlT_SG_SH_SI_E_clIS7_S7_SB_PlEESF_SV_SG_SH_SI_EUlSV_E0_NS1_11comp_targetILNS1_3genE5ELNS1_11target_archE942ELNS1_3gpuE9ELNS1_3repE0EEENS1_38merge_mergepath_config_static_selectorELNS0_4arch9wavefront6targetE1EEEvSH_,@function
_ZN7rocprim17ROCPRIM_400000_NS6detail17trampoline_kernelINS0_14default_configENS1_38merge_sort_block_merge_config_selectorIalEEZZNS1_27merge_sort_block_merge_implIS3_PaN6thrust23THRUST_200600_302600_NS10device_ptrIlEEjNS1_19radix_merge_compareILb0ELb0EaNS0_19identity_decomposerEEEEE10hipError_tT0_T1_T2_jT3_P12ihipStream_tbPNSt15iterator_traitsISG_E10value_typeEPNSM_ISH_E10value_typeEPSI_NS1_7vsmem_tEENKUlT_SG_SH_SI_E_clIS7_S7_SB_PlEESF_SV_SG_SH_SI_EUlSV_E0_NS1_11comp_targetILNS1_3genE5ELNS1_11target_archE942ELNS1_3gpuE9ELNS1_3repE0EEENS1_38merge_mergepath_config_static_selectorELNS0_4arch9wavefront6targetE1EEEvSH_: ; @_ZN7rocprim17ROCPRIM_400000_NS6detail17trampoline_kernelINS0_14default_configENS1_38merge_sort_block_merge_config_selectorIalEEZZNS1_27merge_sort_block_merge_implIS3_PaN6thrust23THRUST_200600_302600_NS10device_ptrIlEEjNS1_19radix_merge_compareILb0ELb0EaNS0_19identity_decomposerEEEEE10hipError_tT0_T1_T2_jT3_P12ihipStream_tbPNSt15iterator_traitsISG_E10value_typeEPNSM_ISH_E10value_typeEPSI_NS1_7vsmem_tEENKUlT_SG_SH_SI_E_clIS7_S7_SB_PlEESF_SV_SG_SH_SI_EUlSV_E0_NS1_11comp_targetILNS1_3genE5ELNS1_11target_archE942ELNS1_3gpuE9ELNS1_3repE0EEENS1_38merge_mergepath_config_static_selectorELNS0_4arch9wavefront6targetE1EEEvSH_
; %bb.0:
	.section	.rodata,"a",@progbits
	.p2align	6, 0x0
	.amdhsa_kernel _ZN7rocprim17ROCPRIM_400000_NS6detail17trampoline_kernelINS0_14default_configENS1_38merge_sort_block_merge_config_selectorIalEEZZNS1_27merge_sort_block_merge_implIS3_PaN6thrust23THRUST_200600_302600_NS10device_ptrIlEEjNS1_19radix_merge_compareILb0ELb0EaNS0_19identity_decomposerEEEEE10hipError_tT0_T1_T2_jT3_P12ihipStream_tbPNSt15iterator_traitsISG_E10value_typeEPNSM_ISH_E10value_typeEPSI_NS1_7vsmem_tEENKUlT_SG_SH_SI_E_clIS7_S7_SB_PlEESF_SV_SG_SH_SI_EUlSV_E0_NS1_11comp_targetILNS1_3genE5ELNS1_11target_archE942ELNS1_3gpuE9ELNS1_3repE0EEENS1_38merge_mergepath_config_static_selectorELNS0_4arch9wavefront6targetE1EEEvSH_
		.amdhsa_group_segment_fixed_size 0
		.amdhsa_private_segment_fixed_size 0
		.amdhsa_kernarg_size 64
		.amdhsa_user_sgpr_count 6
		.amdhsa_user_sgpr_private_segment_buffer 1
		.amdhsa_user_sgpr_dispatch_ptr 0
		.amdhsa_user_sgpr_queue_ptr 0
		.amdhsa_user_sgpr_kernarg_segment_ptr 1
		.amdhsa_user_sgpr_dispatch_id 0
		.amdhsa_user_sgpr_flat_scratch_init 0
		.amdhsa_user_sgpr_private_segment_size 0
		.amdhsa_uses_dynamic_stack 0
		.amdhsa_system_sgpr_private_segment_wavefront_offset 0
		.amdhsa_system_sgpr_workgroup_id_x 1
		.amdhsa_system_sgpr_workgroup_id_y 0
		.amdhsa_system_sgpr_workgroup_id_z 0
		.amdhsa_system_sgpr_workgroup_info 0
		.amdhsa_system_vgpr_workitem_id 0
		.amdhsa_next_free_vgpr 1
		.amdhsa_next_free_sgpr 0
		.amdhsa_reserve_vcc 0
		.amdhsa_reserve_flat_scratch 0
		.amdhsa_float_round_mode_32 0
		.amdhsa_float_round_mode_16_64 0
		.amdhsa_float_denorm_mode_32 3
		.amdhsa_float_denorm_mode_16_64 3
		.amdhsa_dx10_clamp 1
		.amdhsa_ieee_mode 1
		.amdhsa_fp16_overflow 0
		.amdhsa_exception_fp_ieee_invalid_op 0
		.amdhsa_exception_fp_denorm_src 0
		.amdhsa_exception_fp_ieee_div_zero 0
		.amdhsa_exception_fp_ieee_overflow 0
		.amdhsa_exception_fp_ieee_underflow 0
		.amdhsa_exception_fp_ieee_inexact 0
		.amdhsa_exception_int_div_zero 0
	.end_amdhsa_kernel
	.section	.text._ZN7rocprim17ROCPRIM_400000_NS6detail17trampoline_kernelINS0_14default_configENS1_38merge_sort_block_merge_config_selectorIalEEZZNS1_27merge_sort_block_merge_implIS3_PaN6thrust23THRUST_200600_302600_NS10device_ptrIlEEjNS1_19radix_merge_compareILb0ELb0EaNS0_19identity_decomposerEEEEE10hipError_tT0_T1_T2_jT3_P12ihipStream_tbPNSt15iterator_traitsISG_E10value_typeEPNSM_ISH_E10value_typeEPSI_NS1_7vsmem_tEENKUlT_SG_SH_SI_E_clIS7_S7_SB_PlEESF_SV_SG_SH_SI_EUlSV_E0_NS1_11comp_targetILNS1_3genE5ELNS1_11target_archE942ELNS1_3gpuE9ELNS1_3repE0EEENS1_38merge_mergepath_config_static_selectorELNS0_4arch9wavefront6targetE1EEEvSH_,"axG",@progbits,_ZN7rocprim17ROCPRIM_400000_NS6detail17trampoline_kernelINS0_14default_configENS1_38merge_sort_block_merge_config_selectorIalEEZZNS1_27merge_sort_block_merge_implIS3_PaN6thrust23THRUST_200600_302600_NS10device_ptrIlEEjNS1_19radix_merge_compareILb0ELb0EaNS0_19identity_decomposerEEEEE10hipError_tT0_T1_T2_jT3_P12ihipStream_tbPNSt15iterator_traitsISG_E10value_typeEPNSM_ISH_E10value_typeEPSI_NS1_7vsmem_tEENKUlT_SG_SH_SI_E_clIS7_S7_SB_PlEESF_SV_SG_SH_SI_EUlSV_E0_NS1_11comp_targetILNS1_3genE5ELNS1_11target_archE942ELNS1_3gpuE9ELNS1_3repE0EEENS1_38merge_mergepath_config_static_selectorELNS0_4arch9wavefront6targetE1EEEvSH_,comdat
.Lfunc_end512:
	.size	_ZN7rocprim17ROCPRIM_400000_NS6detail17trampoline_kernelINS0_14default_configENS1_38merge_sort_block_merge_config_selectorIalEEZZNS1_27merge_sort_block_merge_implIS3_PaN6thrust23THRUST_200600_302600_NS10device_ptrIlEEjNS1_19radix_merge_compareILb0ELb0EaNS0_19identity_decomposerEEEEE10hipError_tT0_T1_T2_jT3_P12ihipStream_tbPNSt15iterator_traitsISG_E10value_typeEPNSM_ISH_E10value_typeEPSI_NS1_7vsmem_tEENKUlT_SG_SH_SI_E_clIS7_S7_SB_PlEESF_SV_SG_SH_SI_EUlSV_E0_NS1_11comp_targetILNS1_3genE5ELNS1_11target_archE942ELNS1_3gpuE9ELNS1_3repE0EEENS1_38merge_mergepath_config_static_selectorELNS0_4arch9wavefront6targetE1EEEvSH_, .Lfunc_end512-_ZN7rocprim17ROCPRIM_400000_NS6detail17trampoline_kernelINS0_14default_configENS1_38merge_sort_block_merge_config_selectorIalEEZZNS1_27merge_sort_block_merge_implIS3_PaN6thrust23THRUST_200600_302600_NS10device_ptrIlEEjNS1_19radix_merge_compareILb0ELb0EaNS0_19identity_decomposerEEEEE10hipError_tT0_T1_T2_jT3_P12ihipStream_tbPNSt15iterator_traitsISG_E10value_typeEPNSM_ISH_E10value_typeEPSI_NS1_7vsmem_tEENKUlT_SG_SH_SI_E_clIS7_S7_SB_PlEESF_SV_SG_SH_SI_EUlSV_E0_NS1_11comp_targetILNS1_3genE5ELNS1_11target_archE942ELNS1_3gpuE9ELNS1_3repE0EEENS1_38merge_mergepath_config_static_selectorELNS0_4arch9wavefront6targetE1EEEvSH_
                                        ; -- End function
	.set _ZN7rocprim17ROCPRIM_400000_NS6detail17trampoline_kernelINS0_14default_configENS1_38merge_sort_block_merge_config_selectorIalEEZZNS1_27merge_sort_block_merge_implIS3_PaN6thrust23THRUST_200600_302600_NS10device_ptrIlEEjNS1_19radix_merge_compareILb0ELb0EaNS0_19identity_decomposerEEEEE10hipError_tT0_T1_T2_jT3_P12ihipStream_tbPNSt15iterator_traitsISG_E10value_typeEPNSM_ISH_E10value_typeEPSI_NS1_7vsmem_tEENKUlT_SG_SH_SI_E_clIS7_S7_SB_PlEESF_SV_SG_SH_SI_EUlSV_E0_NS1_11comp_targetILNS1_3genE5ELNS1_11target_archE942ELNS1_3gpuE9ELNS1_3repE0EEENS1_38merge_mergepath_config_static_selectorELNS0_4arch9wavefront6targetE1EEEvSH_.num_vgpr, 0
	.set _ZN7rocprim17ROCPRIM_400000_NS6detail17trampoline_kernelINS0_14default_configENS1_38merge_sort_block_merge_config_selectorIalEEZZNS1_27merge_sort_block_merge_implIS3_PaN6thrust23THRUST_200600_302600_NS10device_ptrIlEEjNS1_19radix_merge_compareILb0ELb0EaNS0_19identity_decomposerEEEEE10hipError_tT0_T1_T2_jT3_P12ihipStream_tbPNSt15iterator_traitsISG_E10value_typeEPNSM_ISH_E10value_typeEPSI_NS1_7vsmem_tEENKUlT_SG_SH_SI_E_clIS7_S7_SB_PlEESF_SV_SG_SH_SI_EUlSV_E0_NS1_11comp_targetILNS1_3genE5ELNS1_11target_archE942ELNS1_3gpuE9ELNS1_3repE0EEENS1_38merge_mergepath_config_static_selectorELNS0_4arch9wavefront6targetE1EEEvSH_.num_agpr, 0
	.set _ZN7rocprim17ROCPRIM_400000_NS6detail17trampoline_kernelINS0_14default_configENS1_38merge_sort_block_merge_config_selectorIalEEZZNS1_27merge_sort_block_merge_implIS3_PaN6thrust23THRUST_200600_302600_NS10device_ptrIlEEjNS1_19radix_merge_compareILb0ELb0EaNS0_19identity_decomposerEEEEE10hipError_tT0_T1_T2_jT3_P12ihipStream_tbPNSt15iterator_traitsISG_E10value_typeEPNSM_ISH_E10value_typeEPSI_NS1_7vsmem_tEENKUlT_SG_SH_SI_E_clIS7_S7_SB_PlEESF_SV_SG_SH_SI_EUlSV_E0_NS1_11comp_targetILNS1_3genE5ELNS1_11target_archE942ELNS1_3gpuE9ELNS1_3repE0EEENS1_38merge_mergepath_config_static_selectorELNS0_4arch9wavefront6targetE1EEEvSH_.numbered_sgpr, 0
	.set _ZN7rocprim17ROCPRIM_400000_NS6detail17trampoline_kernelINS0_14default_configENS1_38merge_sort_block_merge_config_selectorIalEEZZNS1_27merge_sort_block_merge_implIS3_PaN6thrust23THRUST_200600_302600_NS10device_ptrIlEEjNS1_19radix_merge_compareILb0ELb0EaNS0_19identity_decomposerEEEEE10hipError_tT0_T1_T2_jT3_P12ihipStream_tbPNSt15iterator_traitsISG_E10value_typeEPNSM_ISH_E10value_typeEPSI_NS1_7vsmem_tEENKUlT_SG_SH_SI_E_clIS7_S7_SB_PlEESF_SV_SG_SH_SI_EUlSV_E0_NS1_11comp_targetILNS1_3genE5ELNS1_11target_archE942ELNS1_3gpuE9ELNS1_3repE0EEENS1_38merge_mergepath_config_static_selectorELNS0_4arch9wavefront6targetE1EEEvSH_.num_named_barrier, 0
	.set _ZN7rocprim17ROCPRIM_400000_NS6detail17trampoline_kernelINS0_14default_configENS1_38merge_sort_block_merge_config_selectorIalEEZZNS1_27merge_sort_block_merge_implIS3_PaN6thrust23THRUST_200600_302600_NS10device_ptrIlEEjNS1_19radix_merge_compareILb0ELb0EaNS0_19identity_decomposerEEEEE10hipError_tT0_T1_T2_jT3_P12ihipStream_tbPNSt15iterator_traitsISG_E10value_typeEPNSM_ISH_E10value_typeEPSI_NS1_7vsmem_tEENKUlT_SG_SH_SI_E_clIS7_S7_SB_PlEESF_SV_SG_SH_SI_EUlSV_E0_NS1_11comp_targetILNS1_3genE5ELNS1_11target_archE942ELNS1_3gpuE9ELNS1_3repE0EEENS1_38merge_mergepath_config_static_selectorELNS0_4arch9wavefront6targetE1EEEvSH_.private_seg_size, 0
	.set _ZN7rocprim17ROCPRIM_400000_NS6detail17trampoline_kernelINS0_14default_configENS1_38merge_sort_block_merge_config_selectorIalEEZZNS1_27merge_sort_block_merge_implIS3_PaN6thrust23THRUST_200600_302600_NS10device_ptrIlEEjNS1_19radix_merge_compareILb0ELb0EaNS0_19identity_decomposerEEEEE10hipError_tT0_T1_T2_jT3_P12ihipStream_tbPNSt15iterator_traitsISG_E10value_typeEPNSM_ISH_E10value_typeEPSI_NS1_7vsmem_tEENKUlT_SG_SH_SI_E_clIS7_S7_SB_PlEESF_SV_SG_SH_SI_EUlSV_E0_NS1_11comp_targetILNS1_3genE5ELNS1_11target_archE942ELNS1_3gpuE9ELNS1_3repE0EEENS1_38merge_mergepath_config_static_selectorELNS0_4arch9wavefront6targetE1EEEvSH_.uses_vcc, 0
	.set _ZN7rocprim17ROCPRIM_400000_NS6detail17trampoline_kernelINS0_14default_configENS1_38merge_sort_block_merge_config_selectorIalEEZZNS1_27merge_sort_block_merge_implIS3_PaN6thrust23THRUST_200600_302600_NS10device_ptrIlEEjNS1_19radix_merge_compareILb0ELb0EaNS0_19identity_decomposerEEEEE10hipError_tT0_T1_T2_jT3_P12ihipStream_tbPNSt15iterator_traitsISG_E10value_typeEPNSM_ISH_E10value_typeEPSI_NS1_7vsmem_tEENKUlT_SG_SH_SI_E_clIS7_S7_SB_PlEESF_SV_SG_SH_SI_EUlSV_E0_NS1_11comp_targetILNS1_3genE5ELNS1_11target_archE942ELNS1_3gpuE9ELNS1_3repE0EEENS1_38merge_mergepath_config_static_selectorELNS0_4arch9wavefront6targetE1EEEvSH_.uses_flat_scratch, 0
	.set _ZN7rocprim17ROCPRIM_400000_NS6detail17trampoline_kernelINS0_14default_configENS1_38merge_sort_block_merge_config_selectorIalEEZZNS1_27merge_sort_block_merge_implIS3_PaN6thrust23THRUST_200600_302600_NS10device_ptrIlEEjNS1_19radix_merge_compareILb0ELb0EaNS0_19identity_decomposerEEEEE10hipError_tT0_T1_T2_jT3_P12ihipStream_tbPNSt15iterator_traitsISG_E10value_typeEPNSM_ISH_E10value_typeEPSI_NS1_7vsmem_tEENKUlT_SG_SH_SI_E_clIS7_S7_SB_PlEESF_SV_SG_SH_SI_EUlSV_E0_NS1_11comp_targetILNS1_3genE5ELNS1_11target_archE942ELNS1_3gpuE9ELNS1_3repE0EEENS1_38merge_mergepath_config_static_selectorELNS0_4arch9wavefront6targetE1EEEvSH_.has_dyn_sized_stack, 0
	.set _ZN7rocprim17ROCPRIM_400000_NS6detail17trampoline_kernelINS0_14default_configENS1_38merge_sort_block_merge_config_selectorIalEEZZNS1_27merge_sort_block_merge_implIS3_PaN6thrust23THRUST_200600_302600_NS10device_ptrIlEEjNS1_19radix_merge_compareILb0ELb0EaNS0_19identity_decomposerEEEEE10hipError_tT0_T1_T2_jT3_P12ihipStream_tbPNSt15iterator_traitsISG_E10value_typeEPNSM_ISH_E10value_typeEPSI_NS1_7vsmem_tEENKUlT_SG_SH_SI_E_clIS7_S7_SB_PlEESF_SV_SG_SH_SI_EUlSV_E0_NS1_11comp_targetILNS1_3genE5ELNS1_11target_archE942ELNS1_3gpuE9ELNS1_3repE0EEENS1_38merge_mergepath_config_static_selectorELNS0_4arch9wavefront6targetE1EEEvSH_.has_recursion, 0
	.set _ZN7rocprim17ROCPRIM_400000_NS6detail17trampoline_kernelINS0_14default_configENS1_38merge_sort_block_merge_config_selectorIalEEZZNS1_27merge_sort_block_merge_implIS3_PaN6thrust23THRUST_200600_302600_NS10device_ptrIlEEjNS1_19radix_merge_compareILb0ELb0EaNS0_19identity_decomposerEEEEE10hipError_tT0_T1_T2_jT3_P12ihipStream_tbPNSt15iterator_traitsISG_E10value_typeEPNSM_ISH_E10value_typeEPSI_NS1_7vsmem_tEENKUlT_SG_SH_SI_E_clIS7_S7_SB_PlEESF_SV_SG_SH_SI_EUlSV_E0_NS1_11comp_targetILNS1_3genE5ELNS1_11target_archE942ELNS1_3gpuE9ELNS1_3repE0EEENS1_38merge_mergepath_config_static_selectorELNS0_4arch9wavefront6targetE1EEEvSH_.has_indirect_call, 0
	.section	.AMDGPU.csdata,"",@progbits
; Kernel info:
; codeLenInByte = 0
; TotalNumSgprs: 4
; NumVgprs: 0
; ScratchSize: 0
; MemoryBound: 0
; FloatMode: 240
; IeeeMode: 1
; LDSByteSize: 0 bytes/workgroup (compile time only)
; SGPRBlocks: 0
; VGPRBlocks: 0
; NumSGPRsForWavesPerEU: 4
; NumVGPRsForWavesPerEU: 1
; Occupancy: 10
; WaveLimiterHint : 0
; COMPUTE_PGM_RSRC2:SCRATCH_EN: 0
; COMPUTE_PGM_RSRC2:USER_SGPR: 6
; COMPUTE_PGM_RSRC2:TRAP_HANDLER: 0
; COMPUTE_PGM_RSRC2:TGID_X_EN: 1
; COMPUTE_PGM_RSRC2:TGID_Y_EN: 0
; COMPUTE_PGM_RSRC2:TGID_Z_EN: 0
; COMPUTE_PGM_RSRC2:TIDIG_COMP_CNT: 0
	.section	.text._ZN7rocprim17ROCPRIM_400000_NS6detail17trampoline_kernelINS0_14default_configENS1_38merge_sort_block_merge_config_selectorIalEEZZNS1_27merge_sort_block_merge_implIS3_PaN6thrust23THRUST_200600_302600_NS10device_ptrIlEEjNS1_19radix_merge_compareILb0ELb0EaNS0_19identity_decomposerEEEEE10hipError_tT0_T1_T2_jT3_P12ihipStream_tbPNSt15iterator_traitsISG_E10value_typeEPNSM_ISH_E10value_typeEPSI_NS1_7vsmem_tEENKUlT_SG_SH_SI_E_clIS7_S7_SB_PlEESF_SV_SG_SH_SI_EUlSV_E0_NS1_11comp_targetILNS1_3genE4ELNS1_11target_archE910ELNS1_3gpuE8ELNS1_3repE0EEENS1_38merge_mergepath_config_static_selectorELNS0_4arch9wavefront6targetE1EEEvSH_,"axG",@progbits,_ZN7rocprim17ROCPRIM_400000_NS6detail17trampoline_kernelINS0_14default_configENS1_38merge_sort_block_merge_config_selectorIalEEZZNS1_27merge_sort_block_merge_implIS3_PaN6thrust23THRUST_200600_302600_NS10device_ptrIlEEjNS1_19radix_merge_compareILb0ELb0EaNS0_19identity_decomposerEEEEE10hipError_tT0_T1_T2_jT3_P12ihipStream_tbPNSt15iterator_traitsISG_E10value_typeEPNSM_ISH_E10value_typeEPSI_NS1_7vsmem_tEENKUlT_SG_SH_SI_E_clIS7_S7_SB_PlEESF_SV_SG_SH_SI_EUlSV_E0_NS1_11comp_targetILNS1_3genE4ELNS1_11target_archE910ELNS1_3gpuE8ELNS1_3repE0EEENS1_38merge_mergepath_config_static_selectorELNS0_4arch9wavefront6targetE1EEEvSH_,comdat
	.protected	_ZN7rocprim17ROCPRIM_400000_NS6detail17trampoline_kernelINS0_14default_configENS1_38merge_sort_block_merge_config_selectorIalEEZZNS1_27merge_sort_block_merge_implIS3_PaN6thrust23THRUST_200600_302600_NS10device_ptrIlEEjNS1_19radix_merge_compareILb0ELb0EaNS0_19identity_decomposerEEEEE10hipError_tT0_T1_T2_jT3_P12ihipStream_tbPNSt15iterator_traitsISG_E10value_typeEPNSM_ISH_E10value_typeEPSI_NS1_7vsmem_tEENKUlT_SG_SH_SI_E_clIS7_S7_SB_PlEESF_SV_SG_SH_SI_EUlSV_E0_NS1_11comp_targetILNS1_3genE4ELNS1_11target_archE910ELNS1_3gpuE8ELNS1_3repE0EEENS1_38merge_mergepath_config_static_selectorELNS0_4arch9wavefront6targetE1EEEvSH_ ; -- Begin function _ZN7rocprim17ROCPRIM_400000_NS6detail17trampoline_kernelINS0_14default_configENS1_38merge_sort_block_merge_config_selectorIalEEZZNS1_27merge_sort_block_merge_implIS3_PaN6thrust23THRUST_200600_302600_NS10device_ptrIlEEjNS1_19radix_merge_compareILb0ELb0EaNS0_19identity_decomposerEEEEE10hipError_tT0_T1_T2_jT3_P12ihipStream_tbPNSt15iterator_traitsISG_E10value_typeEPNSM_ISH_E10value_typeEPSI_NS1_7vsmem_tEENKUlT_SG_SH_SI_E_clIS7_S7_SB_PlEESF_SV_SG_SH_SI_EUlSV_E0_NS1_11comp_targetILNS1_3genE4ELNS1_11target_archE910ELNS1_3gpuE8ELNS1_3repE0EEENS1_38merge_mergepath_config_static_selectorELNS0_4arch9wavefront6targetE1EEEvSH_
	.globl	_ZN7rocprim17ROCPRIM_400000_NS6detail17trampoline_kernelINS0_14default_configENS1_38merge_sort_block_merge_config_selectorIalEEZZNS1_27merge_sort_block_merge_implIS3_PaN6thrust23THRUST_200600_302600_NS10device_ptrIlEEjNS1_19radix_merge_compareILb0ELb0EaNS0_19identity_decomposerEEEEE10hipError_tT0_T1_T2_jT3_P12ihipStream_tbPNSt15iterator_traitsISG_E10value_typeEPNSM_ISH_E10value_typeEPSI_NS1_7vsmem_tEENKUlT_SG_SH_SI_E_clIS7_S7_SB_PlEESF_SV_SG_SH_SI_EUlSV_E0_NS1_11comp_targetILNS1_3genE4ELNS1_11target_archE910ELNS1_3gpuE8ELNS1_3repE0EEENS1_38merge_mergepath_config_static_selectorELNS0_4arch9wavefront6targetE1EEEvSH_
	.p2align	8
	.type	_ZN7rocprim17ROCPRIM_400000_NS6detail17trampoline_kernelINS0_14default_configENS1_38merge_sort_block_merge_config_selectorIalEEZZNS1_27merge_sort_block_merge_implIS3_PaN6thrust23THRUST_200600_302600_NS10device_ptrIlEEjNS1_19radix_merge_compareILb0ELb0EaNS0_19identity_decomposerEEEEE10hipError_tT0_T1_T2_jT3_P12ihipStream_tbPNSt15iterator_traitsISG_E10value_typeEPNSM_ISH_E10value_typeEPSI_NS1_7vsmem_tEENKUlT_SG_SH_SI_E_clIS7_S7_SB_PlEESF_SV_SG_SH_SI_EUlSV_E0_NS1_11comp_targetILNS1_3genE4ELNS1_11target_archE910ELNS1_3gpuE8ELNS1_3repE0EEENS1_38merge_mergepath_config_static_selectorELNS0_4arch9wavefront6targetE1EEEvSH_,@function
_ZN7rocprim17ROCPRIM_400000_NS6detail17trampoline_kernelINS0_14default_configENS1_38merge_sort_block_merge_config_selectorIalEEZZNS1_27merge_sort_block_merge_implIS3_PaN6thrust23THRUST_200600_302600_NS10device_ptrIlEEjNS1_19radix_merge_compareILb0ELb0EaNS0_19identity_decomposerEEEEE10hipError_tT0_T1_T2_jT3_P12ihipStream_tbPNSt15iterator_traitsISG_E10value_typeEPNSM_ISH_E10value_typeEPSI_NS1_7vsmem_tEENKUlT_SG_SH_SI_E_clIS7_S7_SB_PlEESF_SV_SG_SH_SI_EUlSV_E0_NS1_11comp_targetILNS1_3genE4ELNS1_11target_archE910ELNS1_3gpuE8ELNS1_3repE0EEENS1_38merge_mergepath_config_static_selectorELNS0_4arch9wavefront6targetE1EEEvSH_: ; @_ZN7rocprim17ROCPRIM_400000_NS6detail17trampoline_kernelINS0_14default_configENS1_38merge_sort_block_merge_config_selectorIalEEZZNS1_27merge_sort_block_merge_implIS3_PaN6thrust23THRUST_200600_302600_NS10device_ptrIlEEjNS1_19radix_merge_compareILb0ELb0EaNS0_19identity_decomposerEEEEE10hipError_tT0_T1_T2_jT3_P12ihipStream_tbPNSt15iterator_traitsISG_E10value_typeEPNSM_ISH_E10value_typeEPSI_NS1_7vsmem_tEENKUlT_SG_SH_SI_E_clIS7_S7_SB_PlEESF_SV_SG_SH_SI_EUlSV_E0_NS1_11comp_targetILNS1_3genE4ELNS1_11target_archE910ELNS1_3gpuE8ELNS1_3repE0EEENS1_38merge_mergepath_config_static_selectorELNS0_4arch9wavefront6targetE1EEEvSH_
; %bb.0:
	.section	.rodata,"a",@progbits
	.p2align	6, 0x0
	.amdhsa_kernel _ZN7rocprim17ROCPRIM_400000_NS6detail17trampoline_kernelINS0_14default_configENS1_38merge_sort_block_merge_config_selectorIalEEZZNS1_27merge_sort_block_merge_implIS3_PaN6thrust23THRUST_200600_302600_NS10device_ptrIlEEjNS1_19radix_merge_compareILb0ELb0EaNS0_19identity_decomposerEEEEE10hipError_tT0_T1_T2_jT3_P12ihipStream_tbPNSt15iterator_traitsISG_E10value_typeEPNSM_ISH_E10value_typeEPSI_NS1_7vsmem_tEENKUlT_SG_SH_SI_E_clIS7_S7_SB_PlEESF_SV_SG_SH_SI_EUlSV_E0_NS1_11comp_targetILNS1_3genE4ELNS1_11target_archE910ELNS1_3gpuE8ELNS1_3repE0EEENS1_38merge_mergepath_config_static_selectorELNS0_4arch9wavefront6targetE1EEEvSH_
		.amdhsa_group_segment_fixed_size 0
		.amdhsa_private_segment_fixed_size 0
		.amdhsa_kernarg_size 64
		.amdhsa_user_sgpr_count 6
		.amdhsa_user_sgpr_private_segment_buffer 1
		.amdhsa_user_sgpr_dispatch_ptr 0
		.amdhsa_user_sgpr_queue_ptr 0
		.amdhsa_user_sgpr_kernarg_segment_ptr 1
		.amdhsa_user_sgpr_dispatch_id 0
		.amdhsa_user_sgpr_flat_scratch_init 0
		.amdhsa_user_sgpr_private_segment_size 0
		.amdhsa_uses_dynamic_stack 0
		.amdhsa_system_sgpr_private_segment_wavefront_offset 0
		.amdhsa_system_sgpr_workgroup_id_x 1
		.amdhsa_system_sgpr_workgroup_id_y 0
		.amdhsa_system_sgpr_workgroup_id_z 0
		.amdhsa_system_sgpr_workgroup_info 0
		.amdhsa_system_vgpr_workitem_id 0
		.amdhsa_next_free_vgpr 1
		.amdhsa_next_free_sgpr 0
		.amdhsa_reserve_vcc 0
		.amdhsa_reserve_flat_scratch 0
		.amdhsa_float_round_mode_32 0
		.amdhsa_float_round_mode_16_64 0
		.amdhsa_float_denorm_mode_32 3
		.amdhsa_float_denorm_mode_16_64 3
		.amdhsa_dx10_clamp 1
		.amdhsa_ieee_mode 1
		.amdhsa_fp16_overflow 0
		.amdhsa_exception_fp_ieee_invalid_op 0
		.amdhsa_exception_fp_denorm_src 0
		.amdhsa_exception_fp_ieee_div_zero 0
		.amdhsa_exception_fp_ieee_overflow 0
		.amdhsa_exception_fp_ieee_underflow 0
		.amdhsa_exception_fp_ieee_inexact 0
		.amdhsa_exception_int_div_zero 0
	.end_amdhsa_kernel
	.section	.text._ZN7rocprim17ROCPRIM_400000_NS6detail17trampoline_kernelINS0_14default_configENS1_38merge_sort_block_merge_config_selectorIalEEZZNS1_27merge_sort_block_merge_implIS3_PaN6thrust23THRUST_200600_302600_NS10device_ptrIlEEjNS1_19radix_merge_compareILb0ELb0EaNS0_19identity_decomposerEEEEE10hipError_tT0_T1_T2_jT3_P12ihipStream_tbPNSt15iterator_traitsISG_E10value_typeEPNSM_ISH_E10value_typeEPSI_NS1_7vsmem_tEENKUlT_SG_SH_SI_E_clIS7_S7_SB_PlEESF_SV_SG_SH_SI_EUlSV_E0_NS1_11comp_targetILNS1_3genE4ELNS1_11target_archE910ELNS1_3gpuE8ELNS1_3repE0EEENS1_38merge_mergepath_config_static_selectorELNS0_4arch9wavefront6targetE1EEEvSH_,"axG",@progbits,_ZN7rocprim17ROCPRIM_400000_NS6detail17trampoline_kernelINS0_14default_configENS1_38merge_sort_block_merge_config_selectorIalEEZZNS1_27merge_sort_block_merge_implIS3_PaN6thrust23THRUST_200600_302600_NS10device_ptrIlEEjNS1_19radix_merge_compareILb0ELb0EaNS0_19identity_decomposerEEEEE10hipError_tT0_T1_T2_jT3_P12ihipStream_tbPNSt15iterator_traitsISG_E10value_typeEPNSM_ISH_E10value_typeEPSI_NS1_7vsmem_tEENKUlT_SG_SH_SI_E_clIS7_S7_SB_PlEESF_SV_SG_SH_SI_EUlSV_E0_NS1_11comp_targetILNS1_3genE4ELNS1_11target_archE910ELNS1_3gpuE8ELNS1_3repE0EEENS1_38merge_mergepath_config_static_selectorELNS0_4arch9wavefront6targetE1EEEvSH_,comdat
.Lfunc_end513:
	.size	_ZN7rocprim17ROCPRIM_400000_NS6detail17trampoline_kernelINS0_14default_configENS1_38merge_sort_block_merge_config_selectorIalEEZZNS1_27merge_sort_block_merge_implIS3_PaN6thrust23THRUST_200600_302600_NS10device_ptrIlEEjNS1_19radix_merge_compareILb0ELb0EaNS0_19identity_decomposerEEEEE10hipError_tT0_T1_T2_jT3_P12ihipStream_tbPNSt15iterator_traitsISG_E10value_typeEPNSM_ISH_E10value_typeEPSI_NS1_7vsmem_tEENKUlT_SG_SH_SI_E_clIS7_S7_SB_PlEESF_SV_SG_SH_SI_EUlSV_E0_NS1_11comp_targetILNS1_3genE4ELNS1_11target_archE910ELNS1_3gpuE8ELNS1_3repE0EEENS1_38merge_mergepath_config_static_selectorELNS0_4arch9wavefront6targetE1EEEvSH_, .Lfunc_end513-_ZN7rocprim17ROCPRIM_400000_NS6detail17trampoline_kernelINS0_14default_configENS1_38merge_sort_block_merge_config_selectorIalEEZZNS1_27merge_sort_block_merge_implIS3_PaN6thrust23THRUST_200600_302600_NS10device_ptrIlEEjNS1_19radix_merge_compareILb0ELb0EaNS0_19identity_decomposerEEEEE10hipError_tT0_T1_T2_jT3_P12ihipStream_tbPNSt15iterator_traitsISG_E10value_typeEPNSM_ISH_E10value_typeEPSI_NS1_7vsmem_tEENKUlT_SG_SH_SI_E_clIS7_S7_SB_PlEESF_SV_SG_SH_SI_EUlSV_E0_NS1_11comp_targetILNS1_3genE4ELNS1_11target_archE910ELNS1_3gpuE8ELNS1_3repE0EEENS1_38merge_mergepath_config_static_selectorELNS0_4arch9wavefront6targetE1EEEvSH_
                                        ; -- End function
	.set _ZN7rocprim17ROCPRIM_400000_NS6detail17trampoline_kernelINS0_14default_configENS1_38merge_sort_block_merge_config_selectorIalEEZZNS1_27merge_sort_block_merge_implIS3_PaN6thrust23THRUST_200600_302600_NS10device_ptrIlEEjNS1_19radix_merge_compareILb0ELb0EaNS0_19identity_decomposerEEEEE10hipError_tT0_T1_T2_jT3_P12ihipStream_tbPNSt15iterator_traitsISG_E10value_typeEPNSM_ISH_E10value_typeEPSI_NS1_7vsmem_tEENKUlT_SG_SH_SI_E_clIS7_S7_SB_PlEESF_SV_SG_SH_SI_EUlSV_E0_NS1_11comp_targetILNS1_3genE4ELNS1_11target_archE910ELNS1_3gpuE8ELNS1_3repE0EEENS1_38merge_mergepath_config_static_selectorELNS0_4arch9wavefront6targetE1EEEvSH_.num_vgpr, 0
	.set _ZN7rocprim17ROCPRIM_400000_NS6detail17trampoline_kernelINS0_14default_configENS1_38merge_sort_block_merge_config_selectorIalEEZZNS1_27merge_sort_block_merge_implIS3_PaN6thrust23THRUST_200600_302600_NS10device_ptrIlEEjNS1_19radix_merge_compareILb0ELb0EaNS0_19identity_decomposerEEEEE10hipError_tT0_T1_T2_jT3_P12ihipStream_tbPNSt15iterator_traitsISG_E10value_typeEPNSM_ISH_E10value_typeEPSI_NS1_7vsmem_tEENKUlT_SG_SH_SI_E_clIS7_S7_SB_PlEESF_SV_SG_SH_SI_EUlSV_E0_NS1_11comp_targetILNS1_3genE4ELNS1_11target_archE910ELNS1_3gpuE8ELNS1_3repE0EEENS1_38merge_mergepath_config_static_selectorELNS0_4arch9wavefront6targetE1EEEvSH_.num_agpr, 0
	.set _ZN7rocprim17ROCPRIM_400000_NS6detail17trampoline_kernelINS0_14default_configENS1_38merge_sort_block_merge_config_selectorIalEEZZNS1_27merge_sort_block_merge_implIS3_PaN6thrust23THRUST_200600_302600_NS10device_ptrIlEEjNS1_19radix_merge_compareILb0ELb0EaNS0_19identity_decomposerEEEEE10hipError_tT0_T1_T2_jT3_P12ihipStream_tbPNSt15iterator_traitsISG_E10value_typeEPNSM_ISH_E10value_typeEPSI_NS1_7vsmem_tEENKUlT_SG_SH_SI_E_clIS7_S7_SB_PlEESF_SV_SG_SH_SI_EUlSV_E0_NS1_11comp_targetILNS1_3genE4ELNS1_11target_archE910ELNS1_3gpuE8ELNS1_3repE0EEENS1_38merge_mergepath_config_static_selectorELNS0_4arch9wavefront6targetE1EEEvSH_.numbered_sgpr, 0
	.set _ZN7rocprim17ROCPRIM_400000_NS6detail17trampoline_kernelINS0_14default_configENS1_38merge_sort_block_merge_config_selectorIalEEZZNS1_27merge_sort_block_merge_implIS3_PaN6thrust23THRUST_200600_302600_NS10device_ptrIlEEjNS1_19radix_merge_compareILb0ELb0EaNS0_19identity_decomposerEEEEE10hipError_tT0_T1_T2_jT3_P12ihipStream_tbPNSt15iterator_traitsISG_E10value_typeEPNSM_ISH_E10value_typeEPSI_NS1_7vsmem_tEENKUlT_SG_SH_SI_E_clIS7_S7_SB_PlEESF_SV_SG_SH_SI_EUlSV_E0_NS1_11comp_targetILNS1_3genE4ELNS1_11target_archE910ELNS1_3gpuE8ELNS1_3repE0EEENS1_38merge_mergepath_config_static_selectorELNS0_4arch9wavefront6targetE1EEEvSH_.num_named_barrier, 0
	.set _ZN7rocprim17ROCPRIM_400000_NS6detail17trampoline_kernelINS0_14default_configENS1_38merge_sort_block_merge_config_selectorIalEEZZNS1_27merge_sort_block_merge_implIS3_PaN6thrust23THRUST_200600_302600_NS10device_ptrIlEEjNS1_19radix_merge_compareILb0ELb0EaNS0_19identity_decomposerEEEEE10hipError_tT0_T1_T2_jT3_P12ihipStream_tbPNSt15iterator_traitsISG_E10value_typeEPNSM_ISH_E10value_typeEPSI_NS1_7vsmem_tEENKUlT_SG_SH_SI_E_clIS7_S7_SB_PlEESF_SV_SG_SH_SI_EUlSV_E0_NS1_11comp_targetILNS1_3genE4ELNS1_11target_archE910ELNS1_3gpuE8ELNS1_3repE0EEENS1_38merge_mergepath_config_static_selectorELNS0_4arch9wavefront6targetE1EEEvSH_.private_seg_size, 0
	.set _ZN7rocprim17ROCPRIM_400000_NS6detail17trampoline_kernelINS0_14default_configENS1_38merge_sort_block_merge_config_selectorIalEEZZNS1_27merge_sort_block_merge_implIS3_PaN6thrust23THRUST_200600_302600_NS10device_ptrIlEEjNS1_19radix_merge_compareILb0ELb0EaNS0_19identity_decomposerEEEEE10hipError_tT0_T1_T2_jT3_P12ihipStream_tbPNSt15iterator_traitsISG_E10value_typeEPNSM_ISH_E10value_typeEPSI_NS1_7vsmem_tEENKUlT_SG_SH_SI_E_clIS7_S7_SB_PlEESF_SV_SG_SH_SI_EUlSV_E0_NS1_11comp_targetILNS1_3genE4ELNS1_11target_archE910ELNS1_3gpuE8ELNS1_3repE0EEENS1_38merge_mergepath_config_static_selectorELNS0_4arch9wavefront6targetE1EEEvSH_.uses_vcc, 0
	.set _ZN7rocprim17ROCPRIM_400000_NS6detail17trampoline_kernelINS0_14default_configENS1_38merge_sort_block_merge_config_selectorIalEEZZNS1_27merge_sort_block_merge_implIS3_PaN6thrust23THRUST_200600_302600_NS10device_ptrIlEEjNS1_19radix_merge_compareILb0ELb0EaNS0_19identity_decomposerEEEEE10hipError_tT0_T1_T2_jT3_P12ihipStream_tbPNSt15iterator_traitsISG_E10value_typeEPNSM_ISH_E10value_typeEPSI_NS1_7vsmem_tEENKUlT_SG_SH_SI_E_clIS7_S7_SB_PlEESF_SV_SG_SH_SI_EUlSV_E0_NS1_11comp_targetILNS1_3genE4ELNS1_11target_archE910ELNS1_3gpuE8ELNS1_3repE0EEENS1_38merge_mergepath_config_static_selectorELNS0_4arch9wavefront6targetE1EEEvSH_.uses_flat_scratch, 0
	.set _ZN7rocprim17ROCPRIM_400000_NS6detail17trampoline_kernelINS0_14default_configENS1_38merge_sort_block_merge_config_selectorIalEEZZNS1_27merge_sort_block_merge_implIS3_PaN6thrust23THRUST_200600_302600_NS10device_ptrIlEEjNS1_19radix_merge_compareILb0ELb0EaNS0_19identity_decomposerEEEEE10hipError_tT0_T1_T2_jT3_P12ihipStream_tbPNSt15iterator_traitsISG_E10value_typeEPNSM_ISH_E10value_typeEPSI_NS1_7vsmem_tEENKUlT_SG_SH_SI_E_clIS7_S7_SB_PlEESF_SV_SG_SH_SI_EUlSV_E0_NS1_11comp_targetILNS1_3genE4ELNS1_11target_archE910ELNS1_3gpuE8ELNS1_3repE0EEENS1_38merge_mergepath_config_static_selectorELNS0_4arch9wavefront6targetE1EEEvSH_.has_dyn_sized_stack, 0
	.set _ZN7rocprim17ROCPRIM_400000_NS6detail17trampoline_kernelINS0_14default_configENS1_38merge_sort_block_merge_config_selectorIalEEZZNS1_27merge_sort_block_merge_implIS3_PaN6thrust23THRUST_200600_302600_NS10device_ptrIlEEjNS1_19radix_merge_compareILb0ELb0EaNS0_19identity_decomposerEEEEE10hipError_tT0_T1_T2_jT3_P12ihipStream_tbPNSt15iterator_traitsISG_E10value_typeEPNSM_ISH_E10value_typeEPSI_NS1_7vsmem_tEENKUlT_SG_SH_SI_E_clIS7_S7_SB_PlEESF_SV_SG_SH_SI_EUlSV_E0_NS1_11comp_targetILNS1_3genE4ELNS1_11target_archE910ELNS1_3gpuE8ELNS1_3repE0EEENS1_38merge_mergepath_config_static_selectorELNS0_4arch9wavefront6targetE1EEEvSH_.has_recursion, 0
	.set _ZN7rocprim17ROCPRIM_400000_NS6detail17trampoline_kernelINS0_14default_configENS1_38merge_sort_block_merge_config_selectorIalEEZZNS1_27merge_sort_block_merge_implIS3_PaN6thrust23THRUST_200600_302600_NS10device_ptrIlEEjNS1_19radix_merge_compareILb0ELb0EaNS0_19identity_decomposerEEEEE10hipError_tT0_T1_T2_jT3_P12ihipStream_tbPNSt15iterator_traitsISG_E10value_typeEPNSM_ISH_E10value_typeEPSI_NS1_7vsmem_tEENKUlT_SG_SH_SI_E_clIS7_S7_SB_PlEESF_SV_SG_SH_SI_EUlSV_E0_NS1_11comp_targetILNS1_3genE4ELNS1_11target_archE910ELNS1_3gpuE8ELNS1_3repE0EEENS1_38merge_mergepath_config_static_selectorELNS0_4arch9wavefront6targetE1EEEvSH_.has_indirect_call, 0
	.section	.AMDGPU.csdata,"",@progbits
; Kernel info:
; codeLenInByte = 0
; TotalNumSgprs: 4
; NumVgprs: 0
; ScratchSize: 0
; MemoryBound: 0
; FloatMode: 240
; IeeeMode: 1
; LDSByteSize: 0 bytes/workgroup (compile time only)
; SGPRBlocks: 0
; VGPRBlocks: 0
; NumSGPRsForWavesPerEU: 4
; NumVGPRsForWavesPerEU: 1
; Occupancy: 10
; WaveLimiterHint : 0
; COMPUTE_PGM_RSRC2:SCRATCH_EN: 0
; COMPUTE_PGM_RSRC2:USER_SGPR: 6
; COMPUTE_PGM_RSRC2:TRAP_HANDLER: 0
; COMPUTE_PGM_RSRC2:TGID_X_EN: 1
; COMPUTE_PGM_RSRC2:TGID_Y_EN: 0
; COMPUTE_PGM_RSRC2:TGID_Z_EN: 0
; COMPUTE_PGM_RSRC2:TIDIG_COMP_CNT: 0
	.section	.text._ZN7rocprim17ROCPRIM_400000_NS6detail17trampoline_kernelINS0_14default_configENS1_38merge_sort_block_merge_config_selectorIalEEZZNS1_27merge_sort_block_merge_implIS3_PaN6thrust23THRUST_200600_302600_NS10device_ptrIlEEjNS1_19radix_merge_compareILb0ELb0EaNS0_19identity_decomposerEEEEE10hipError_tT0_T1_T2_jT3_P12ihipStream_tbPNSt15iterator_traitsISG_E10value_typeEPNSM_ISH_E10value_typeEPSI_NS1_7vsmem_tEENKUlT_SG_SH_SI_E_clIS7_S7_SB_PlEESF_SV_SG_SH_SI_EUlSV_E0_NS1_11comp_targetILNS1_3genE3ELNS1_11target_archE908ELNS1_3gpuE7ELNS1_3repE0EEENS1_38merge_mergepath_config_static_selectorELNS0_4arch9wavefront6targetE1EEEvSH_,"axG",@progbits,_ZN7rocprim17ROCPRIM_400000_NS6detail17trampoline_kernelINS0_14default_configENS1_38merge_sort_block_merge_config_selectorIalEEZZNS1_27merge_sort_block_merge_implIS3_PaN6thrust23THRUST_200600_302600_NS10device_ptrIlEEjNS1_19radix_merge_compareILb0ELb0EaNS0_19identity_decomposerEEEEE10hipError_tT0_T1_T2_jT3_P12ihipStream_tbPNSt15iterator_traitsISG_E10value_typeEPNSM_ISH_E10value_typeEPSI_NS1_7vsmem_tEENKUlT_SG_SH_SI_E_clIS7_S7_SB_PlEESF_SV_SG_SH_SI_EUlSV_E0_NS1_11comp_targetILNS1_3genE3ELNS1_11target_archE908ELNS1_3gpuE7ELNS1_3repE0EEENS1_38merge_mergepath_config_static_selectorELNS0_4arch9wavefront6targetE1EEEvSH_,comdat
	.protected	_ZN7rocprim17ROCPRIM_400000_NS6detail17trampoline_kernelINS0_14default_configENS1_38merge_sort_block_merge_config_selectorIalEEZZNS1_27merge_sort_block_merge_implIS3_PaN6thrust23THRUST_200600_302600_NS10device_ptrIlEEjNS1_19radix_merge_compareILb0ELb0EaNS0_19identity_decomposerEEEEE10hipError_tT0_T1_T2_jT3_P12ihipStream_tbPNSt15iterator_traitsISG_E10value_typeEPNSM_ISH_E10value_typeEPSI_NS1_7vsmem_tEENKUlT_SG_SH_SI_E_clIS7_S7_SB_PlEESF_SV_SG_SH_SI_EUlSV_E0_NS1_11comp_targetILNS1_3genE3ELNS1_11target_archE908ELNS1_3gpuE7ELNS1_3repE0EEENS1_38merge_mergepath_config_static_selectorELNS0_4arch9wavefront6targetE1EEEvSH_ ; -- Begin function _ZN7rocprim17ROCPRIM_400000_NS6detail17trampoline_kernelINS0_14default_configENS1_38merge_sort_block_merge_config_selectorIalEEZZNS1_27merge_sort_block_merge_implIS3_PaN6thrust23THRUST_200600_302600_NS10device_ptrIlEEjNS1_19radix_merge_compareILb0ELb0EaNS0_19identity_decomposerEEEEE10hipError_tT0_T1_T2_jT3_P12ihipStream_tbPNSt15iterator_traitsISG_E10value_typeEPNSM_ISH_E10value_typeEPSI_NS1_7vsmem_tEENKUlT_SG_SH_SI_E_clIS7_S7_SB_PlEESF_SV_SG_SH_SI_EUlSV_E0_NS1_11comp_targetILNS1_3genE3ELNS1_11target_archE908ELNS1_3gpuE7ELNS1_3repE0EEENS1_38merge_mergepath_config_static_selectorELNS0_4arch9wavefront6targetE1EEEvSH_
	.globl	_ZN7rocprim17ROCPRIM_400000_NS6detail17trampoline_kernelINS0_14default_configENS1_38merge_sort_block_merge_config_selectorIalEEZZNS1_27merge_sort_block_merge_implIS3_PaN6thrust23THRUST_200600_302600_NS10device_ptrIlEEjNS1_19radix_merge_compareILb0ELb0EaNS0_19identity_decomposerEEEEE10hipError_tT0_T1_T2_jT3_P12ihipStream_tbPNSt15iterator_traitsISG_E10value_typeEPNSM_ISH_E10value_typeEPSI_NS1_7vsmem_tEENKUlT_SG_SH_SI_E_clIS7_S7_SB_PlEESF_SV_SG_SH_SI_EUlSV_E0_NS1_11comp_targetILNS1_3genE3ELNS1_11target_archE908ELNS1_3gpuE7ELNS1_3repE0EEENS1_38merge_mergepath_config_static_selectorELNS0_4arch9wavefront6targetE1EEEvSH_
	.p2align	8
	.type	_ZN7rocprim17ROCPRIM_400000_NS6detail17trampoline_kernelINS0_14default_configENS1_38merge_sort_block_merge_config_selectorIalEEZZNS1_27merge_sort_block_merge_implIS3_PaN6thrust23THRUST_200600_302600_NS10device_ptrIlEEjNS1_19radix_merge_compareILb0ELb0EaNS0_19identity_decomposerEEEEE10hipError_tT0_T1_T2_jT3_P12ihipStream_tbPNSt15iterator_traitsISG_E10value_typeEPNSM_ISH_E10value_typeEPSI_NS1_7vsmem_tEENKUlT_SG_SH_SI_E_clIS7_S7_SB_PlEESF_SV_SG_SH_SI_EUlSV_E0_NS1_11comp_targetILNS1_3genE3ELNS1_11target_archE908ELNS1_3gpuE7ELNS1_3repE0EEENS1_38merge_mergepath_config_static_selectorELNS0_4arch9wavefront6targetE1EEEvSH_,@function
_ZN7rocprim17ROCPRIM_400000_NS6detail17trampoline_kernelINS0_14default_configENS1_38merge_sort_block_merge_config_selectorIalEEZZNS1_27merge_sort_block_merge_implIS3_PaN6thrust23THRUST_200600_302600_NS10device_ptrIlEEjNS1_19radix_merge_compareILb0ELb0EaNS0_19identity_decomposerEEEEE10hipError_tT0_T1_T2_jT3_P12ihipStream_tbPNSt15iterator_traitsISG_E10value_typeEPNSM_ISH_E10value_typeEPSI_NS1_7vsmem_tEENKUlT_SG_SH_SI_E_clIS7_S7_SB_PlEESF_SV_SG_SH_SI_EUlSV_E0_NS1_11comp_targetILNS1_3genE3ELNS1_11target_archE908ELNS1_3gpuE7ELNS1_3repE0EEENS1_38merge_mergepath_config_static_selectorELNS0_4arch9wavefront6targetE1EEEvSH_: ; @_ZN7rocprim17ROCPRIM_400000_NS6detail17trampoline_kernelINS0_14default_configENS1_38merge_sort_block_merge_config_selectorIalEEZZNS1_27merge_sort_block_merge_implIS3_PaN6thrust23THRUST_200600_302600_NS10device_ptrIlEEjNS1_19radix_merge_compareILb0ELb0EaNS0_19identity_decomposerEEEEE10hipError_tT0_T1_T2_jT3_P12ihipStream_tbPNSt15iterator_traitsISG_E10value_typeEPNSM_ISH_E10value_typeEPSI_NS1_7vsmem_tEENKUlT_SG_SH_SI_E_clIS7_S7_SB_PlEESF_SV_SG_SH_SI_EUlSV_E0_NS1_11comp_targetILNS1_3genE3ELNS1_11target_archE908ELNS1_3gpuE7ELNS1_3repE0EEENS1_38merge_mergepath_config_static_selectorELNS0_4arch9wavefront6targetE1EEEvSH_
; %bb.0:
	.section	.rodata,"a",@progbits
	.p2align	6, 0x0
	.amdhsa_kernel _ZN7rocprim17ROCPRIM_400000_NS6detail17trampoline_kernelINS0_14default_configENS1_38merge_sort_block_merge_config_selectorIalEEZZNS1_27merge_sort_block_merge_implIS3_PaN6thrust23THRUST_200600_302600_NS10device_ptrIlEEjNS1_19radix_merge_compareILb0ELb0EaNS0_19identity_decomposerEEEEE10hipError_tT0_T1_T2_jT3_P12ihipStream_tbPNSt15iterator_traitsISG_E10value_typeEPNSM_ISH_E10value_typeEPSI_NS1_7vsmem_tEENKUlT_SG_SH_SI_E_clIS7_S7_SB_PlEESF_SV_SG_SH_SI_EUlSV_E0_NS1_11comp_targetILNS1_3genE3ELNS1_11target_archE908ELNS1_3gpuE7ELNS1_3repE0EEENS1_38merge_mergepath_config_static_selectorELNS0_4arch9wavefront6targetE1EEEvSH_
		.amdhsa_group_segment_fixed_size 0
		.amdhsa_private_segment_fixed_size 0
		.amdhsa_kernarg_size 64
		.amdhsa_user_sgpr_count 6
		.amdhsa_user_sgpr_private_segment_buffer 1
		.amdhsa_user_sgpr_dispatch_ptr 0
		.amdhsa_user_sgpr_queue_ptr 0
		.amdhsa_user_sgpr_kernarg_segment_ptr 1
		.amdhsa_user_sgpr_dispatch_id 0
		.amdhsa_user_sgpr_flat_scratch_init 0
		.amdhsa_user_sgpr_private_segment_size 0
		.amdhsa_uses_dynamic_stack 0
		.amdhsa_system_sgpr_private_segment_wavefront_offset 0
		.amdhsa_system_sgpr_workgroup_id_x 1
		.amdhsa_system_sgpr_workgroup_id_y 0
		.amdhsa_system_sgpr_workgroup_id_z 0
		.amdhsa_system_sgpr_workgroup_info 0
		.amdhsa_system_vgpr_workitem_id 0
		.amdhsa_next_free_vgpr 1
		.amdhsa_next_free_sgpr 0
		.amdhsa_reserve_vcc 0
		.amdhsa_reserve_flat_scratch 0
		.amdhsa_float_round_mode_32 0
		.amdhsa_float_round_mode_16_64 0
		.amdhsa_float_denorm_mode_32 3
		.amdhsa_float_denorm_mode_16_64 3
		.amdhsa_dx10_clamp 1
		.amdhsa_ieee_mode 1
		.amdhsa_fp16_overflow 0
		.amdhsa_exception_fp_ieee_invalid_op 0
		.amdhsa_exception_fp_denorm_src 0
		.amdhsa_exception_fp_ieee_div_zero 0
		.amdhsa_exception_fp_ieee_overflow 0
		.amdhsa_exception_fp_ieee_underflow 0
		.amdhsa_exception_fp_ieee_inexact 0
		.amdhsa_exception_int_div_zero 0
	.end_amdhsa_kernel
	.section	.text._ZN7rocprim17ROCPRIM_400000_NS6detail17trampoline_kernelINS0_14default_configENS1_38merge_sort_block_merge_config_selectorIalEEZZNS1_27merge_sort_block_merge_implIS3_PaN6thrust23THRUST_200600_302600_NS10device_ptrIlEEjNS1_19radix_merge_compareILb0ELb0EaNS0_19identity_decomposerEEEEE10hipError_tT0_T1_T2_jT3_P12ihipStream_tbPNSt15iterator_traitsISG_E10value_typeEPNSM_ISH_E10value_typeEPSI_NS1_7vsmem_tEENKUlT_SG_SH_SI_E_clIS7_S7_SB_PlEESF_SV_SG_SH_SI_EUlSV_E0_NS1_11comp_targetILNS1_3genE3ELNS1_11target_archE908ELNS1_3gpuE7ELNS1_3repE0EEENS1_38merge_mergepath_config_static_selectorELNS0_4arch9wavefront6targetE1EEEvSH_,"axG",@progbits,_ZN7rocprim17ROCPRIM_400000_NS6detail17trampoline_kernelINS0_14default_configENS1_38merge_sort_block_merge_config_selectorIalEEZZNS1_27merge_sort_block_merge_implIS3_PaN6thrust23THRUST_200600_302600_NS10device_ptrIlEEjNS1_19radix_merge_compareILb0ELb0EaNS0_19identity_decomposerEEEEE10hipError_tT0_T1_T2_jT3_P12ihipStream_tbPNSt15iterator_traitsISG_E10value_typeEPNSM_ISH_E10value_typeEPSI_NS1_7vsmem_tEENKUlT_SG_SH_SI_E_clIS7_S7_SB_PlEESF_SV_SG_SH_SI_EUlSV_E0_NS1_11comp_targetILNS1_3genE3ELNS1_11target_archE908ELNS1_3gpuE7ELNS1_3repE0EEENS1_38merge_mergepath_config_static_selectorELNS0_4arch9wavefront6targetE1EEEvSH_,comdat
.Lfunc_end514:
	.size	_ZN7rocprim17ROCPRIM_400000_NS6detail17trampoline_kernelINS0_14default_configENS1_38merge_sort_block_merge_config_selectorIalEEZZNS1_27merge_sort_block_merge_implIS3_PaN6thrust23THRUST_200600_302600_NS10device_ptrIlEEjNS1_19radix_merge_compareILb0ELb0EaNS0_19identity_decomposerEEEEE10hipError_tT0_T1_T2_jT3_P12ihipStream_tbPNSt15iterator_traitsISG_E10value_typeEPNSM_ISH_E10value_typeEPSI_NS1_7vsmem_tEENKUlT_SG_SH_SI_E_clIS7_S7_SB_PlEESF_SV_SG_SH_SI_EUlSV_E0_NS1_11comp_targetILNS1_3genE3ELNS1_11target_archE908ELNS1_3gpuE7ELNS1_3repE0EEENS1_38merge_mergepath_config_static_selectorELNS0_4arch9wavefront6targetE1EEEvSH_, .Lfunc_end514-_ZN7rocprim17ROCPRIM_400000_NS6detail17trampoline_kernelINS0_14default_configENS1_38merge_sort_block_merge_config_selectorIalEEZZNS1_27merge_sort_block_merge_implIS3_PaN6thrust23THRUST_200600_302600_NS10device_ptrIlEEjNS1_19radix_merge_compareILb0ELb0EaNS0_19identity_decomposerEEEEE10hipError_tT0_T1_T2_jT3_P12ihipStream_tbPNSt15iterator_traitsISG_E10value_typeEPNSM_ISH_E10value_typeEPSI_NS1_7vsmem_tEENKUlT_SG_SH_SI_E_clIS7_S7_SB_PlEESF_SV_SG_SH_SI_EUlSV_E0_NS1_11comp_targetILNS1_3genE3ELNS1_11target_archE908ELNS1_3gpuE7ELNS1_3repE0EEENS1_38merge_mergepath_config_static_selectorELNS0_4arch9wavefront6targetE1EEEvSH_
                                        ; -- End function
	.set _ZN7rocprim17ROCPRIM_400000_NS6detail17trampoline_kernelINS0_14default_configENS1_38merge_sort_block_merge_config_selectorIalEEZZNS1_27merge_sort_block_merge_implIS3_PaN6thrust23THRUST_200600_302600_NS10device_ptrIlEEjNS1_19radix_merge_compareILb0ELb0EaNS0_19identity_decomposerEEEEE10hipError_tT0_T1_T2_jT3_P12ihipStream_tbPNSt15iterator_traitsISG_E10value_typeEPNSM_ISH_E10value_typeEPSI_NS1_7vsmem_tEENKUlT_SG_SH_SI_E_clIS7_S7_SB_PlEESF_SV_SG_SH_SI_EUlSV_E0_NS1_11comp_targetILNS1_3genE3ELNS1_11target_archE908ELNS1_3gpuE7ELNS1_3repE0EEENS1_38merge_mergepath_config_static_selectorELNS0_4arch9wavefront6targetE1EEEvSH_.num_vgpr, 0
	.set _ZN7rocprim17ROCPRIM_400000_NS6detail17trampoline_kernelINS0_14default_configENS1_38merge_sort_block_merge_config_selectorIalEEZZNS1_27merge_sort_block_merge_implIS3_PaN6thrust23THRUST_200600_302600_NS10device_ptrIlEEjNS1_19radix_merge_compareILb0ELb0EaNS0_19identity_decomposerEEEEE10hipError_tT0_T1_T2_jT3_P12ihipStream_tbPNSt15iterator_traitsISG_E10value_typeEPNSM_ISH_E10value_typeEPSI_NS1_7vsmem_tEENKUlT_SG_SH_SI_E_clIS7_S7_SB_PlEESF_SV_SG_SH_SI_EUlSV_E0_NS1_11comp_targetILNS1_3genE3ELNS1_11target_archE908ELNS1_3gpuE7ELNS1_3repE0EEENS1_38merge_mergepath_config_static_selectorELNS0_4arch9wavefront6targetE1EEEvSH_.num_agpr, 0
	.set _ZN7rocprim17ROCPRIM_400000_NS6detail17trampoline_kernelINS0_14default_configENS1_38merge_sort_block_merge_config_selectorIalEEZZNS1_27merge_sort_block_merge_implIS3_PaN6thrust23THRUST_200600_302600_NS10device_ptrIlEEjNS1_19radix_merge_compareILb0ELb0EaNS0_19identity_decomposerEEEEE10hipError_tT0_T1_T2_jT3_P12ihipStream_tbPNSt15iterator_traitsISG_E10value_typeEPNSM_ISH_E10value_typeEPSI_NS1_7vsmem_tEENKUlT_SG_SH_SI_E_clIS7_S7_SB_PlEESF_SV_SG_SH_SI_EUlSV_E0_NS1_11comp_targetILNS1_3genE3ELNS1_11target_archE908ELNS1_3gpuE7ELNS1_3repE0EEENS1_38merge_mergepath_config_static_selectorELNS0_4arch9wavefront6targetE1EEEvSH_.numbered_sgpr, 0
	.set _ZN7rocprim17ROCPRIM_400000_NS6detail17trampoline_kernelINS0_14default_configENS1_38merge_sort_block_merge_config_selectorIalEEZZNS1_27merge_sort_block_merge_implIS3_PaN6thrust23THRUST_200600_302600_NS10device_ptrIlEEjNS1_19radix_merge_compareILb0ELb0EaNS0_19identity_decomposerEEEEE10hipError_tT0_T1_T2_jT3_P12ihipStream_tbPNSt15iterator_traitsISG_E10value_typeEPNSM_ISH_E10value_typeEPSI_NS1_7vsmem_tEENKUlT_SG_SH_SI_E_clIS7_S7_SB_PlEESF_SV_SG_SH_SI_EUlSV_E0_NS1_11comp_targetILNS1_3genE3ELNS1_11target_archE908ELNS1_3gpuE7ELNS1_3repE0EEENS1_38merge_mergepath_config_static_selectorELNS0_4arch9wavefront6targetE1EEEvSH_.num_named_barrier, 0
	.set _ZN7rocprim17ROCPRIM_400000_NS6detail17trampoline_kernelINS0_14default_configENS1_38merge_sort_block_merge_config_selectorIalEEZZNS1_27merge_sort_block_merge_implIS3_PaN6thrust23THRUST_200600_302600_NS10device_ptrIlEEjNS1_19radix_merge_compareILb0ELb0EaNS0_19identity_decomposerEEEEE10hipError_tT0_T1_T2_jT3_P12ihipStream_tbPNSt15iterator_traitsISG_E10value_typeEPNSM_ISH_E10value_typeEPSI_NS1_7vsmem_tEENKUlT_SG_SH_SI_E_clIS7_S7_SB_PlEESF_SV_SG_SH_SI_EUlSV_E0_NS1_11comp_targetILNS1_3genE3ELNS1_11target_archE908ELNS1_3gpuE7ELNS1_3repE0EEENS1_38merge_mergepath_config_static_selectorELNS0_4arch9wavefront6targetE1EEEvSH_.private_seg_size, 0
	.set _ZN7rocprim17ROCPRIM_400000_NS6detail17trampoline_kernelINS0_14default_configENS1_38merge_sort_block_merge_config_selectorIalEEZZNS1_27merge_sort_block_merge_implIS3_PaN6thrust23THRUST_200600_302600_NS10device_ptrIlEEjNS1_19radix_merge_compareILb0ELb0EaNS0_19identity_decomposerEEEEE10hipError_tT0_T1_T2_jT3_P12ihipStream_tbPNSt15iterator_traitsISG_E10value_typeEPNSM_ISH_E10value_typeEPSI_NS1_7vsmem_tEENKUlT_SG_SH_SI_E_clIS7_S7_SB_PlEESF_SV_SG_SH_SI_EUlSV_E0_NS1_11comp_targetILNS1_3genE3ELNS1_11target_archE908ELNS1_3gpuE7ELNS1_3repE0EEENS1_38merge_mergepath_config_static_selectorELNS0_4arch9wavefront6targetE1EEEvSH_.uses_vcc, 0
	.set _ZN7rocprim17ROCPRIM_400000_NS6detail17trampoline_kernelINS0_14default_configENS1_38merge_sort_block_merge_config_selectorIalEEZZNS1_27merge_sort_block_merge_implIS3_PaN6thrust23THRUST_200600_302600_NS10device_ptrIlEEjNS1_19radix_merge_compareILb0ELb0EaNS0_19identity_decomposerEEEEE10hipError_tT0_T1_T2_jT3_P12ihipStream_tbPNSt15iterator_traitsISG_E10value_typeEPNSM_ISH_E10value_typeEPSI_NS1_7vsmem_tEENKUlT_SG_SH_SI_E_clIS7_S7_SB_PlEESF_SV_SG_SH_SI_EUlSV_E0_NS1_11comp_targetILNS1_3genE3ELNS1_11target_archE908ELNS1_3gpuE7ELNS1_3repE0EEENS1_38merge_mergepath_config_static_selectorELNS0_4arch9wavefront6targetE1EEEvSH_.uses_flat_scratch, 0
	.set _ZN7rocprim17ROCPRIM_400000_NS6detail17trampoline_kernelINS0_14default_configENS1_38merge_sort_block_merge_config_selectorIalEEZZNS1_27merge_sort_block_merge_implIS3_PaN6thrust23THRUST_200600_302600_NS10device_ptrIlEEjNS1_19radix_merge_compareILb0ELb0EaNS0_19identity_decomposerEEEEE10hipError_tT0_T1_T2_jT3_P12ihipStream_tbPNSt15iterator_traitsISG_E10value_typeEPNSM_ISH_E10value_typeEPSI_NS1_7vsmem_tEENKUlT_SG_SH_SI_E_clIS7_S7_SB_PlEESF_SV_SG_SH_SI_EUlSV_E0_NS1_11comp_targetILNS1_3genE3ELNS1_11target_archE908ELNS1_3gpuE7ELNS1_3repE0EEENS1_38merge_mergepath_config_static_selectorELNS0_4arch9wavefront6targetE1EEEvSH_.has_dyn_sized_stack, 0
	.set _ZN7rocprim17ROCPRIM_400000_NS6detail17trampoline_kernelINS0_14default_configENS1_38merge_sort_block_merge_config_selectorIalEEZZNS1_27merge_sort_block_merge_implIS3_PaN6thrust23THRUST_200600_302600_NS10device_ptrIlEEjNS1_19radix_merge_compareILb0ELb0EaNS0_19identity_decomposerEEEEE10hipError_tT0_T1_T2_jT3_P12ihipStream_tbPNSt15iterator_traitsISG_E10value_typeEPNSM_ISH_E10value_typeEPSI_NS1_7vsmem_tEENKUlT_SG_SH_SI_E_clIS7_S7_SB_PlEESF_SV_SG_SH_SI_EUlSV_E0_NS1_11comp_targetILNS1_3genE3ELNS1_11target_archE908ELNS1_3gpuE7ELNS1_3repE0EEENS1_38merge_mergepath_config_static_selectorELNS0_4arch9wavefront6targetE1EEEvSH_.has_recursion, 0
	.set _ZN7rocprim17ROCPRIM_400000_NS6detail17trampoline_kernelINS0_14default_configENS1_38merge_sort_block_merge_config_selectorIalEEZZNS1_27merge_sort_block_merge_implIS3_PaN6thrust23THRUST_200600_302600_NS10device_ptrIlEEjNS1_19radix_merge_compareILb0ELb0EaNS0_19identity_decomposerEEEEE10hipError_tT0_T1_T2_jT3_P12ihipStream_tbPNSt15iterator_traitsISG_E10value_typeEPNSM_ISH_E10value_typeEPSI_NS1_7vsmem_tEENKUlT_SG_SH_SI_E_clIS7_S7_SB_PlEESF_SV_SG_SH_SI_EUlSV_E0_NS1_11comp_targetILNS1_3genE3ELNS1_11target_archE908ELNS1_3gpuE7ELNS1_3repE0EEENS1_38merge_mergepath_config_static_selectorELNS0_4arch9wavefront6targetE1EEEvSH_.has_indirect_call, 0
	.section	.AMDGPU.csdata,"",@progbits
; Kernel info:
; codeLenInByte = 0
; TotalNumSgprs: 4
; NumVgprs: 0
; ScratchSize: 0
; MemoryBound: 0
; FloatMode: 240
; IeeeMode: 1
; LDSByteSize: 0 bytes/workgroup (compile time only)
; SGPRBlocks: 0
; VGPRBlocks: 0
; NumSGPRsForWavesPerEU: 4
; NumVGPRsForWavesPerEU: 1
; Occupancy: 10
; WaveLimiterHint : 0
; COMPUTE_PGM_RSRC2:SCRATCH_EN: 0
; COMPUTE_PGM_RSRC2:USER_SGPR: 6
; COMPUTE_PGM_RSRC2:TRAP_HANDLER: 0
; COMPUTE_PGM_RSRC2:TGID_X_EN: 1
; COMPUTE_PGM_RSRC2:TGID_Y_EN: 0
; COMPUTE_PGM_RSRC2:TGID_Z_EN: 0
; COMPUTE_PGM_RSRC2:TIDIG_COMP_CNT: 0
	.section	.text._ZN7rocprim17ROCPRIM_400000_NS6detail17trampoline_kernelINS0_14default_configENS1_38merge_sort_block_merge_config_selectorIalEEZZNS1_27merge_sort_block_merge_implIS3_PaN6thrust23THRUST_200600_302600_NS10device_ptrIlEEjNS1_19radix_merge_compareILb0ELb0EaNS0_19identity_decomposerEEEEE10hipError_tT0_T1_T2_jT3_P12ihipStream_tbPNSt15iterator_traitsISG_E10value_typeEPNSM_ISH_E10value_typeEPSI_NS1_7vsmem_tEENKUlT_SG_SH_SI_E_clIS7_S7_SB_PlEESF_SV_SG_SH_SI_EUlSV_E0_NS1_11comp_targetILNS1_3genE2ELNS1_11target_archE906ELNS1_3gpuE6ELNS1_3repE0EEENS1_38merge_mergepath_config_static_selectorELNS0_4arch9wavefront6targetE1EEEvSH_,"axG",@progbits,_ZN7rocprim17ROCPRIM_400000_NS6detail17trampoline_kernelINS0_14default_configENS1_38merge_sort_block_merge_config_selectorIalEEZZNS1_27merge_sort_block_merge_implIS3_PaN6thrust23THRUST_200600_302600_NS10device_ptrIlEEjNS1_19radix_merge_compareILb0ELb0EaNS0_19identity_decomposerEEEEE10hipError_tT0_T1_T2_jT3_P12ihipStream_tbPNSt15iterator_traitsISG_E10value_typeEPNSM_ISH_E10value_typeEPSI_NS1_7vsmem_tEENKUlT_SG_SH_SI_E_clIS7_S7_SB_PlEESF_SV_SG_SH_SI_EUlSV_E0_NS1_11comp_targetILNS1_3genE2ELNS1_11target_archE906ELNS1_3gpuE6ELNS1_3repE0EEENS1_38merge_mergepath_config_static_selectorELNS0_4arch9wavefront6targetE1EEEvSH_,comdat
	.protected	_ZN7rocprim17ROCPRIM_400000_NS6detail17trampoline_kernelINS0_14default_configENS1_38merge_sort_block_merge_config_selectorIalEEZZNS1_27merge_sort_block_merge_implIS3_PaN6thrust23THRUST_200600_302600_NS10device_ptrIlEEjNS1_19radix_merge_compareILb0ELb0EaNS0_19identity_decomposerEEEEE10hipError_tT0_T1_T2_jT3_P12ihipStream_tbPNSt15iterator_traitsISG_E10value_typeEPNSM_ISH_E10value_typeEPSI_NS1_7vsmem_tEENKUlT_SG_SH_SI_E_clIS7_S7_SB_PlEESF_SV_SG_SH_SI_EUlSV_E0_NS1_11comp_targetILNS1_3genE2ELNS1_11target_archE906ELNS1_3gpuE6ELNS1_3repE0EEENS1_38merge_mergepath_config_static_selectorELNS0_4arch9wavefront6targetE1EEEvSH_ ; -- Begin function _ZN7rocprim17ROCPRIM_400000_NS6detail17trampoline_kernelINS0_14default_configENS1_38merge_sort_block_merge_config_selectorIalEEZZNS1_27merge_sort_block_merge_implIS3_PaN6thrust23THRUST_200600_302600_NS10device_ptrIlEEjNS1_19radix_merge_compareILb0ELb0EaNS0_19identity_decomposerEEEEE10hipError_tT0_T1_T2_jT3_P12ihipStream_tbPNSt15iterator_traitsISG_E10value_typeEPNSM_ISH_E10value_typeEPSI_NS1_7vsmem_tEENKUlT_SG_SH_SI_E_clIS7_S7_SB_PlEESF_SV_SG_SH_SI_EUlSV_E0_NS1_11comp_targetILNS1_3genE2ELNS1_11target_archE906ELNS1_3gpuE6ELNS1_3repE0EEENS1_38merge_mergepath_config_static_selectorELNS0_4arch9wavefront6targetE1EEEvSH_
	.globl	_ZN7rocprim17ROCPRIM_400000_NS6detail17trampoline_kernelINS0_14default_configENS1_38merge_sort_block_merge_config_selectorIalEEZZNS1_27merge_sort_block_merge_implIS3_PaN6thrust23THRUST_200600_302600_NS10device_ptrIlEEjNS1_19radix_merge_compareILb0ELb0EaNS0_19identity_decomposerEEEEE10hipError_tT0_T1_T2_jT3_P12ihipStream_tbPNSt15iterator_traitsISG_E10value_typeEPNSM_ISH_E10value_typeEPSI_NS1_7vsmem_tEENKUlT_SG_SH_SI_E_clIS7_S7_SB_PlEESF_SV_SG_SH_SI_EUlSV_E0_NS1_11comp_targetILNS1_3genE2ELNS1_11target_archE906ELNS1_3gpuE6ELNS1_3repE0EEENS1_38merge_mergepath_config_static_selectorELNS0_4arch9wavefront6targetE1EEEvSH_
	.p2align	8
	.type	_ZN7rocprim17ROCPRIM_400000_NS6detail17trampoline_kernelINS0_14default_configENS1_38merge_sort_block_merge_config_selectorIalEEZZNS1_27merge_sort_block_merge_implIS3_PaN6thrust23THRUST_200600_302600_NS10device_ptrIlEEjNS1_19radix_merge_compareILb0ELb0EaNS0_19identity_decomposerEEEEE10hipError_tT0_T1_T2_jT3_P12ihipStream_tbPNSt15iterator_traitsISG_E10value_typeEPNSM_ISH_E10value_typeEPSI_NS1_7vsmem_tEENKUlT_SG_SH_SI_E_clIS7_S7_SB_PlEESF_SV_SG_SH_SI_EUlSV_E0_NS1_11comp_targetILNS1_3genE2ELNS1_11target_archE906ELNS1_3gpuE6ELNS1_3repE0EEENS1_38merge_mergepath_config_static_selectorELNS0_4arch9wavefront6targetE1EEEvSH_,@function
_ZN7rocprim17ROCPRIM_400000_NS6detail17trampoline_kernelINS0_14default_configENS1_38merge_sort_block_merge_config_selectorIalEEZZNS1_27merge_sort_block_merge_implIS3_PaN6thrust23THRUST_200600_302600_NS10device_ptrIlEEjNS1_19radix_merge_compareILb0ELb0EaNS0_19identity_decomposerEEEEE10hipError_tT0_T1_T2_jT3_P12ihipStream_tbPNSt15iterator_traitsISG_E10value_typeEPNSM_ISH_E10value_typeEPSI_NS1_7vsmem_tEENKUlT_SG_SH_SI_E_clIS7_S7_SB_PlEESF_SV_SG_SH_SI_EUlSV_E0_NS1_11comp_targetILNS1_3genE2ELNS1_11target_archE906ELNS1_3gpuE6ELNS1_3repE0EEENS1_38merge_mergepath_config_static_selectorELNS0_4arch9wavefront6targetE1EEEvSH_: ; @_ZN7rocprim17ROCPRIM_400000_NS6detail17trampoline_kernelINS0_14default_configENS1_38merge_sort_block_merge_config_selectorIalEEZZNS1_27merge_sort_block_merge_implIS3_PaN6thrust23THRUST_200600_302600_NS10device_ptrIlEEjNS1_19radix_merge_compareILb0ELb0EaNS0_19identity_decomposerEEEEE10hipError_tT0_T1_T2_jT3_P12ihipStream_tbPNSt15iterator_traitsISG_E10value_typeEPNSM_ISH_E10value_typeEPSI_NS1_7vsmem_tEENKUlT_SG_SH_SI_E_clIS7_S7_SB_PlEESF_SV_SG_SH_SI_EUlSV_E0_NS1_11comp_targetILNS1_3genE2ELNS1_11target_archE906ELNS1_3gpuE6ELNS1_3repE0EEENS1_38merge_mergepath_config_static_selectorELNS0_4arch9wavefront6targetE1EEEvSH_
; %bb.0:
	s_load_dwordx2 s[22:23], s[4:5], 0x40
	s_load_dword s1, s[4:5], 0x30
	s_add_u32 s20, s4, 64
	s_addc_u32 s21, s5, 0
	s_waitcnt lgkmcnt(0)
	s_mul_i32 s0, s23, s8
	s_add_i32 s0, s0, s7
	s_mul_i32 s0, s0, s22
	s_add_i32 s0, s0, s6
	s_cmp_ge_u32 s0, s1
	s_cbranch_scc1 .LBB515_46
; %bb.1:
	s_load_dwordx8 s[8:15], s[4:5], 0x10
	s_load_dwordx2 s[26:27], s[4:5], 0x8
	s_load_dwordx2 s[2:3], s[4:5], 0x38
	s_mov_b32 s1, 0
	v_mov_b32_e32 v1, 0
	s_waitcnt lgkmcnt(0)
	s_lshr_b32 s28, s14, 10
	s_cmp_lg_u32 s0, s28
	s_cselect_b64 s[18:19], -1, 0
	s_lshl_b64 s[4:5], s[0:1], 2
	s_add_u32 s4, s2, s4
	s_addc_u32 s5, s3, s5
	s_load_dwordx2 s[2:3], s[4:5], 0x0
	s_lshr_b32 s4, s15, 9
	s_and_b32 s4, s4, 0x7ffffe
	s_sub_i32 s5, 0, s4
	s_and_b32 s4, s0, s5
	s_lshl_b32 s7, s4, 10
	s_lshl_b32 s16, s0, 10
	;; [unrolled: 1-line block ×3, first 2 shown]
	s_sub_i32 s17, s16, s7
	s_add_i32 s23, s4, s15
	s_add_i32 s17, s23, s17
	s_waitcnt lgkmcnt(0)
	s_sub_i32 s4, s17, s2
	s_sub_i32 s17, s17, s3
	;; [unrolled: 1-line block ×3, first 2 shown]
	s_min_u32 s4, s14, s4
	s_addk_i32 s17, 0x400
	s_or_b32 s5, s0, s5
	s_min_u32 s23, s14, s7
	s_add_i32 s7, s7, s15
	s_cmp_eq_u32 s5, -1
	s_cselect_b32 s5, s7, s17
	s_cselect_b32 s3, s23, s3
	s_min_u32 s17, s5, s14
	s_sub_i32 s15, s3, s2
	s_add_u32 s24, s26, s2
	s_addc_u32 s25, s27, 0
	s_add_u32 s23, s26, s4
	global_load_dword v2, v1, s[20:21] offset:14
	s_addc_u32 s26, s27, 0
	s_cmp_lt_u32 s6, s22
	s_cselect_b32 s3, 12, 18
	s_add_u32 s6, s20, s3
	s_addc_u32 s7, s21, 0
	global_load_ushort v1, v1, s[6:7]
	s_mov_b32 s3, s1
	s_mov_b32 s5, s1
	s_cmp_eq_u32 s0, s28
	s_waitcnt vmcnt(1)
	v_lshrrev_b32_e32 v3, 16, v2
	v_and_b32_e32 v2, 0xffff, v2
	v_mul_lo_u32 v2, v2, v3
	s_waitcnt vmcnt(0)
	v_mul_lo_u32 v15, v2, v1
	v_add_u32_e32 v11, v15, v0
	v_add_u32_e32 v9, v11, v15
	s_cbranch_scc1 .LBB515_3
; %bb.2:
	v_mov_b32_e32 v1, s25
	v_add_co_u32_e32 v3, vcc, s24, v0
	v_addc_co_u32_e32 v1, vcc, 0, v1, vcc
	v_subrev_co_u32_e32 v2, vcc, s15, v0
	v_mov_b32_e32 v4, s26
	v_add_co_u32_e64 v5, s[0:1], s23, v2
	v_addc_co_u32_e64 v2, s[0:1], 0, v4, s[0:1]
	v_cndmask_b32_e32 v2, v2, v1, vcc
	v_cndmask_b32_e32 v1, v5, v3, vcc
	v_mov_b32_e32 v3, s25
	v_add_co_u32_e32 v5, vcc, s24, v11
	v_addc_co_u32_e32 v3, vcc, 0, v3, vcc
	v_subrev_co_u32_e32 v4, vcc, s15, v11
	v_mov_b32_e32 v6, s26
	v_add_co_u32_e64 v7, s[0:1], s23, v4
	v_addc_co_u32_e64 v4, s[0:1], 0, v6, s[0:1]
	v_cndmask_b32_e32 v4, v4, v3, vcc
	v_cndmask_b32_e32 v3, v7, v5, vcc
	;; [unrolled: 9-line block ×3, first 2 shown]
	global_load_ubyte v7, v[1:2], off
	global_load_ubyte v8, v[3:4], off
	;; [unrolled: 1-line block ×3, first 2 shown]
	s_mov_b32 s0, 0xc0c0004
	v_add_u32_e32 v1, v9, v15
	s_waitcnt vmcnt(1)
	v_perm_b32 v2, v7, v8, s0
	s_waitcnt vmcnt(0)
	v_lshl_or_b32 v14, v10, 16, v2
	s_mov_b64 s[0:1], -1
	s_sub_i32 s17, s17, s4
	s_cbranch_execz .LBB515_4
	s_branch .LBB515_9
.LBB515_3:
	s_mov_b64 s[0:1], 0
                                        ; implicit-def: $vgpr1
                                        ; implicit-def: $vgpr14
	s_sub_i32 s17, s17, s4
.LBB515_4:
	s_add_i32 s20, s17, s15
	v_cmp_gt_u32_e32 vcc, s20, v0
	v_mov_b32_e32 v14, 0
	s_and_saveexec_b64 s[6:7], vcc
	s_cbranch_execnz .LBB515_47
; %bb.5:
	s_or_b64 exec, exec, s[6:7]
	v_cmp_gt_u32_e32 vcc, s20, v11
	s_and_saveexec_b64 s[6:7], vcc
	s_cbranch_execnz .LBB515_48
.LBB515_6:
	s_or_b64 exec, exec, s[6:7]
	v_cmp_gt_u32_e32 vcc, s20, v9
	s_and_saveexec_b64 s[6:7], vcc
	s_cbranch_execz .LBB515_8
.LBB515_7:
	v_mov_b32_e32 v1, s25
	v_add_co_u32_e32 v3, vcc, s24, v9
	v_addc_co_u32_e32 v1, vcc, 0, v1, vcc
	v_subrev_co_u32_e32 v2, vcc, s15, v9
	v_mov_b32_e32 v4, s26
	v_add_co_u32_e64 v5, s[0:1], s23, v2
	v_addc_co_u32_e64 v2, s[0:1], 0, v4, s[0:1]
	v_cndmask_b32_e32 v2, v2, v1, vcc
	v_cndmask_b32_e32 v1, v5, v3, vcc
	global_load_ubyte v1, v[1:2], off
	s_waitcnt vmcnt(0)
	v_lshl_or_b32 v14, v1, 16, v14
.LBB515_8:
	s_or_b64 exec, exec, s[6:7]
	v_add_u32_e32 v1, v9, v15
	v_cmp_gt_u32_e64 s[0:1], s20, v1
.LBB515_9:
	s_and_saveexec_b64 s[6:7], s[0:1]
	s_cbranch_execz .LBB515_11
; %bb.10:
	v_mov_b32_e32 v2, s25
	v_add_co_u32_e32 v3, vcc, s24, v1
	v_addc_co_u32_e32 v2, vcc, 0, v2, vcc
	v_subrev_co_u32_e32 v1, vcc, s15, v1
	v_mov_b32_e32 v4, s26
	v_add_co_u32_e64 v1, s[0:1], s23, v1
	v_addc_co_u32_e64 v4, s[0:1], 0, v4, s[0:1]
	v_cndmask_b32_e32 v2, v4, v2, vcc
	v_cndmask_b32_e32 v1, v1, v3, vcc
	global_load_ubyte v1, v[1:2], off
	s_mov_b32 s0, 0x60504
	s_waitcnt vmcnt(0)
	v_perm_b32 v14, v14, v1, s0
.LBB515_11:
	s_or_b64 exec, exec, s[6:7]
	s_lshl_b64 s[0:1], s[2:3], 3
	s_add_u32 s6, s10, s0
	s_addc_u32 s7, s11, s1
	s_lshl_b64 s[0:1], s[4:5], 3
	s_add_u32 s4, s10, s0
	s_waitcnt vmcnt(0)
	v_lshrrev_b32_e32 v16, 16, v14
	v_mov_b32_e32 v7, 0
	v_lshrrev_b32_e32 v17, 8, v14
	v_lshrrev_b32_e32 v18, 24, v14
	s_addc_u32 s5, s11, s1
	s_andn2_b64 vcc, exec, s[18:19]
	v_lshlrev_b32_e32 v13, 3, v0
	ds_write_b8 v0, v14
	ds_write_b8 v0, v17 offset:256
	ds_write_b8 v0, v16 offset:512
	;; [unrolled: 1-line block ×3, first 2 shown]
	s_cbranch_vccnz .LBB515_13
; %bb.12:
	v_mov_b32_e32 v1, s7
	v_add_co_u32_e32 v3, vcc, s6, v13
	v_addc_co_u32_e32 v4, vcc, 0, v1, vcc
	v_subrev_co_u32_e32 v6, vcc, s15, v0
	v_lshlrev_b64 v[1:2], 3, v[6:7]
	v_mov_b32_e32 v5, s5
	v_add_co_u32_e64 v1, s[0:1], s4, v1
	v_addc_co_u32_e64 v2, s[0:1], v5, v2, s[0:1]
	v_mov_b32_e32 v12, v7
	v_cndmask_b32_e32 v2, v2, v4, vcc
	v_cndmask_b32_e32 v1, v1, v3, vcc
	v_lshlrev_b64 v[3:4], 3, v[11:12]
	v_mov_b32_e32 v5, s7
	v_add_co_u32_e32 v8, vcc, s6, v3
	v_addc_co_u32_e32 v5, vcc, v5, v4, vcc
	v_subrev_co_u32_e32 v6, vcc, s15, v11
	v_lshlrev_b64 v[3:4], 3, v[6:7]
	v_mov_b32_e32 v6, s5
	v_add_co_u32_e64 v3, s[0:1], s4, v3
	v_addc_co_u32_e64 v4, s[0:1], v6, v4, s[0:1]
	v_mov_b32_e32 v10, v7
	v_cndmask_b32_e32 v4, v4, v5, vcc
	v_lshlrev_b64 v[5:6], 3, v[9:10]
	v_cndmask_b32_e32 v3, v3, v8, vcc
	v_mov_b32_e32 v8, s7
	v_add_co_u32_e32 v10, vcc, s6, v5
	v_addc_co_u32_e32 v8, vcc, v8, v6, vcc
	v_subrev_co_u32_e32 v6, vcc, s15, v9
	v_lshlrev_b64 v[5:6], 3, v[6:7]
	v_mov_b32_e32 v12, s5
	v_add_co_u32_e64 v5, s[0:1], s4, v5
	v_addc_co_u32_e64 v6, s[0:1], v12, v6, s[0:1]
	v_cndmask_b32_e32 v6, v6, v8, vcc
	v_cndmask_b32_e32 v5, v5, v10, vcc
	global_load_dwordx2 v[1:2], v[1:2], off
	s_add_i32 s10, s17, s15
	global_load_dwordx2 v[3:4], v[3:4], off
	v_mov_b32_e32 v8, v7
	global_load_dwordx2 v[5:6], v[5:6], off
	v_add_u32_e32 v10, v9, v15
	s_mov_b64 s[0:1], -1
	v_mov_b32_e32 v12, s10
	s_cbranch_execz .LBB515_14
	s_branch .LBB515_19
.LBB515_13:
	s_mov_b64 s[0:1], 0
                                        ; implicit-def: $vgpr10
                                        ; implicit-def: $vgpr1_vgpr2_vgpr3_vgpr4_vgpr5_vgpr6_vgpr7_vgpr8
                                        ; implicit-def: $vgpr12
.LBB515_14:
	s_add_i32 s10, s17, s15
	s_waitcnt vmcnt(2)
	v_mov_b32_e32 v1, 0
	v_cmp_gt_u32_e32 vcc, s10, v0
	v_mov_b32_e32 v2, v1
	s_waitcnt vmcnt(1)
	v_mov_b32_e32 v3, v1
	v_mov_b32_e32 v4, v1
	s_waitcnt vmcnt(0)
	v_mov_b32_e32 v5, v1
	v_mov_b32_e32 v6, v1
	v_mov_b32_e32 v7, v1
	v_mov_b32_e32 v8, v1
	s_and_saveexec_b64 s[2:3], vcc
	s_cbranch_execnz .LBB515_49
; %bb.15:
	s_or_b64 exec, exec, s[2:3]
	v_cmp_gt_u32_e32 vcc, s10, v11
	s_and_saveexec_b64 s[2:3], vcc
	s_cbranch_execnz .LBB515_50
.LBB515_16:
	s_or_b64 exec, exec, s[2:3]
	v_cmp_gt_u32_e32 vcc, s10, v9
	s_and_saveexec_b64 s[2:3], vcc
	s_cbranch_execz .LBB515_18
.LBB515_17:
	v_mov_b32_e32 v10, 0
	v_lshlrev_b64 v[5:6], 3, v[9:10]
	v_mov_b32_e32 v11, s7
	v_add_co_u32_e32 v12, vcc, s6, v5
	v_addc_co_u32_e32 v11, vcc, v11, v6, vcc
	v_subrev_co_u32_e32 v5, vcc, s15, v9
	v_mov_b32_e32 v6, v10
	v_lshlrev_b64 v[5:6], 3, v[5:6]
	v_mov_b32_e32 v10, s5
	v_add_co_u32_e64 v5, s[0:1], s4, v5
	v_addc_co_u32_e64 v6, s[0:1], v10, v6, s[0:1]
	v_cndmask_b32_e32 v6, v6, v11, vcc
	v_cndmask_b32_e32 v5, v5, v12, vcc
	global_load_dwordx2 v[5:6], v[5:6], off
.LBB515_18:
	s_or_b64 exec, exec, s[2:3]
	v_add_u32_e32 v10, v9, v15
	v_cmp_gt_u32_e64 s[0:1], s10, v10
	v_mov_b32_e32 v12, s10
.LBB515_19:
	s_and_saveexec_b64 s[2:3], s[0:1]
	s_cbranch_execz .LBB515_21
; %bb.20:
	v_mov_b32_e32 v8, 0
	v_mov_b32_e32 v11, v8
	v_lshlrev_b64 v[19:20], 3, v[10:11]
	v_mov_b32_e32 v7, s7
	v_add_co_u32_e32 v9, vcc, s6, v19
	v_addc_co_u32_e32 v11, vcc, v7, v20, vcc
	v_subrev_co_u32_e32 v7, vcc, s15, v10
	v_lshlrev_b64 v[7:8], 3, v[7:8]
	v_mov_b32_e32 v10, s5
	v_add_co_u32_e64 v7, s[0:1], s4, v7
	v_addc_co_u32_e64 v8, s[0:1], v10, v8, s[0:1]
	v_cndmask_b32_e32 v8, v8, v11, vcc
	v_cndmask_b32_e32 v7, v7, v9, vcc
	global_load_dwordx2 v[7:8], v[7:8], off
.LBB515_21:
	s_or_b64 exec, exec, s[2:3]
	v_lshlrev_b32_e32 v11, 2, v0
	v_min_u32_e32 v10, v12, v11
	v_sub_u32_e64 v9, v10, s17 clamp
	v_min_u32_e32 v15, s15, v10
	v_cmp_lt_u32_e32 vcc, v9, v15
	s_waitcnt vmcnt(0) lgkmcnt(0)
	s_barrier
	s_and_saveexec_b64 s[0:1], vcc
	s_cbranch_execz .LBB515_25
; %bb.22:
	v_add_u32_e32 v19, s15, v10
	s_mov_b64 s[2:3], 0
.LBB515_23:                             ; =>This Inner Loop Header: Depth=1
	v_add_u32_e32 v20, v15, v9
	v_lshrrev_b32_e32 v20, 1, v20
	v_xad_u32 v21, v20, -1, v19
	ds_read_i8 v22, v20
	ds_read_i8 v21, v21
	v_add_u32_e32 v23, 1, v20
	s_waitcnt lgkmcnt(0)
	v_cmp_gt_i16_e32 vcc, v22, v21
	v_cndmask_b32_e32 v15, v15, v20, vcc
	v_cndmask_b32_e32 v9, v23, v9, vcc
	v_cmp_ge_u32_e32 vcc, v9, v15
	s_or_b64 s[2:3], vcc, s[2:3]
	s_andn2_b64 exec, exec, s[2:3]
	s_cbranch_execnz .LBB515_23
; %bb.24:
	s_or_b64 exec, exec, s[2:3]
.LBB515_25:
	s_or_b64 exec, exec, s[0:1]
	v_sub_u32_e32 v10, v10, v9
	v_add_u32_e32 v20, s15, v10
	v_cmp_ge_u32_e32 vcc, s15, v9
	v_cmp_le_u32_e64 s[0:1], v20, v12
	s_or_b64 s[0:1], vcc, s[0:1]
	v_mov_b32_e32 v21, 0
	v_mov_b32_e32 v19, 0
	;; [unrolled: 1-line block ×4, first 2 shown]
	s_and_saveexec_b64 s[6:7], s[0:1]
	s_cbranch_execz .LBB515_31
; %bb.26:
	v_cmp_gt_u32_e32 vcc, s15, v9
                                        ; implicit-def: $vgpr14
	s_and_saveexec_b64 s[0:1], vcc
; %bb.27:
	ds_read_u8 v14, v9
; %bb.28:
	s_or_b64 exec, exec, s[0:1]
	v_cmp_ge_u32_e64 s[0:1], v20, v12
	v_cmp_lt_u32_e64 s[2:3], v20, v12
                                        ; implicit-def: $vgpr16
	s_and_saveexec_b64 s[4:5], s[2:3]
; %bb.29:
	ds_read_u8 v16, v20
; %bb.30:
	s_or_b64 exec, exec, s[4:5]
	s_waitcnt lgkmcnt(0)
	v_cmp_le_i16_sdwa s[2:3], sext(v14), sext(v16) src0_sel:BYTE_0 src1_sel:BYTE_0
	s_and_b64 s[2:3], vcc, s[2:3]
	s_or_b64 vcc, s[0:1], s[2:3]
	v_mov_b32_e32 v17, s15
	v_cndmask_b32_e32 v10, v20, v9, vcc
	v_cndmask_b32_e32 v15, v12, v17, vcc
	v_add_u32_e32 v18, 1, v10
	v_add_u32_e32 v15, -1, v15
	v_min_u32_e32 v15, v18, v15
	ds_read_u8 v15, v15
	v_cndmask_b32_e32 v9, v9, v18, vcc
	v_cndmask_b32_e32 v19, v18, v20, vcc
	v_cmp_gt_u32_e64 s[2:3], s15, v9
	v_cmp_ge_u32_e64 s[0:1], v19, v12
	s_waitcnt lgkmcnt(0)
	v_cndmask_b32_e32 v21, v15, v16, vcc
	v_cndmask_b32_e32 v22, v14, v15, vcc
	v_cmp_le_i16_sdwa s[4:5], sext(v22), sext(v21) src0_sel:BYTE_0 src1_sel:BYTE_0
	s_and_b64 s[2:3], s[2:3], s[4:5]
	s_or_b64 s[0:1], s[0:1], s[2:3]
	v_cndmask_b32_e64 v15, v19, v9, s[0:1]
	v_cndmask_b32_e64 v18, v12, v17, s[0:1]
	v_add_u32_e32 v20, 1, v15
	v_add_u32_e32 v18, -1, v18
	v_min_u32_e32 v18, v20, v18
	ds_read_u8 v18, v18
	v_cndmask_b32_e64 v9, v9, v20, s[0:1]
	v_cndmask_b32_e64 v24, v20, v19, s[0:1]
	v_cmp_gt_u32_e64 s[4:5], s15, v9
	v_cmp_ge_u32_e64 s[2:3], v24, v12
	s_waitcnt lgkmcnt(0)
	v_cndmask_b32_e64 v23, v18, v21, s[0:1]
	v_cndmask_b32_e64 v18, v22, v18, s[0:1]
	v_cmp_le_i16_sdwa s[10:11], sext(v18), sext(v23) src0_sel:BYTE_0 src1_sel:BYTE_0
	s_and_b64 s[4:5], s[4:5], s[10:11]
	s_or_b64 s[2:3], s[2:3], s[4:5]
	v_cndmask_b32_e64 v19, v24, v9, s[2:3]
	v_cndmask_b32_e64 v17, v12, v17, s[2:3]
	v_add_u32_e32 v20, 1, v19
	v_add_u32_e32 v17, -1, v17
	v_min_u32_e32 v17, v20, v17
	ds_read_u8 v25, v17
	v_cndmask_b32_e32 v14, v16, v14, vcc
	v_cndmask_b32_e64 v17, v21, v22, s[0:1]
	v_cndmask_b32_e64 v16, v23, v18, s[2:3]
	v_cndmask_b32_e64 v9, v9, v20, s[2:3]
	s_waitcnt lgkmcnt(0)
	v_cndmask_b32_e64 v22, v25, v23, s[2:3]
	v_cndmask_b32_e64 v18, v18, v25, s[2:3]
	;; [unrolled: 1-line block ×3, first 2 shown]
	v_cmp_gt_u32_e64 s[0:1], s15, v9
	v_cmp_le_i16_sdwa s[2:3], sext(v18), sext(v22) src0_sel:BYTE_0 src1_sel:BYTE_0
	v_cmp_ge_u32_e32 vcc, v21, v12
	s_and_b64 s[0:1], s[0:1], s[2:3]
	s_or_b64 vcc, vcc, s[0:1]
	v_cndmask_b32_e32 v21, v21, v9, vcc
	v_cndmask_b32_e32 v18, v22, v18, vcc
.LBB515_31:
	s_or_b64 exec, exec, s[6:7]
	v_mad_u32_u24 v9, v0, 7, v0
	s_barrier
	ds_write2st64_b64 v9, v[1:2], v[3:4] offset1:4
	ds_write2st64_b64 v9, v[5:6], v[7:8] offset0:8 offset1:12
	v_lshlrev_b32_e32 v1, 3, v10
	v_lshlrev_b32_e32 v2, 3, v15
	;; [unrolled: 1-line block ×4, first 2 shown]
	s_waitcnt lgkmcnt(0)
	s_barrier
	ds_read_b64 v[5:6], v1
	ds_read_b64 v[7:8], v2
	;; [unrolled: 1-line block ×4, first 2 shown]
	v_lshrrev_b32_e32 v19, 3, v0
	s_mov_b32 s2, 0xc0c0004
	s_add_u32 s0, s8, s16
	v_and_b32_e32 v9, 28, v19
	v_perm_b32 v10, v14, v17, s2
	v_perm_b32 v12, v16, v18, s2
	s_addc_u32 s1, s9, 0
	v_add_u32_e32 v9, v9, v11
	v_lshl_or_b32 v10, v12, 16, v10
	v_or_b32_e32 v22, 0x100, v0
	v_or_b32_e32 v21, 0x200, v0
	;; [unrolled: 1-line block ×3, first 2 shown]
	s_waitcnt lgkmcnt(0)
	s_barrier
	s_barrier
	ds_write_b32 v9, v10
	v_lshrrev_b32_e32 v15, 5, v22
	v_lshrrev_b32_e32 v16, 5, v21
	;; [unrolled: 1-line block ×3, first 2 shown]
	v_mov_b32_e32 v10, s1
	v_add_co_u32_e32 v9, vcc, s0, v0
	v_lshrrev_b32_e32 v14, 5, v0
	v_and_b32_e32 v12, 12, v15
	v_and_b32_e32 v18, 20, v16
	;; [unrolled: 1-line block ×3, first 2 shown]
	v_addc_co_u32_e32 v10, vcc, 0, v10, vcc
	s_mov_b32 s17, 0
	v_and_b32_e32 v23, 4, v14
	s_and_b64 vcc, exec, s[18:19]
	v_add_u32_e32 v24, v12, v0
	v_add_u32_e32 v25, v18, v0
	;; [unrolled: 1-line block ×3, first 2 shown]
	v_lshlrev_b32_e32 v18, 3, v11
	s_waitcnt lgkmcnt(0)
	s_cbranch_vccz .LBB515_33
; %bb.32:
	v_add_u32_e32 v11, v23, v0
	s_barrier
	ds_read_u8 v11, v11
	ds_read_u8 v12, v24 offset:256
	ds_read_u8 v27, v25 offset:512
	;; [unrolled: 1-line block ×3, first 2 shown]
	s_lshl_b64 s[0:1], s[16:17], 3
	s_add_u32 s0, s12, s0
	s_waitcnt lgkmcnt(3)
	global_store_byte v[9:10], v11, off
	s_waitcnt lgkmcnt(2)
	global_store_byte v[9:10], v12, off offset:256
	s_waitcnt lgkmcnt(1)
	global_store_byte v[9:10], v27, off offset:512
	;; [unrolled: 2-line block ×3, first 2 shown]
	v_lshl_add_u32 v11, v19, 3, v18
	s_waitcnt vmcnt(0)
	s_barrier
	ds_write2_b64 v11, v[5:6], v[7:8] offset1:1
	ds_write2_b64 v11, v[1:2], v[3:4] offset0:2 offset1:3
	v_lshl_add_u32 v11, v14, 3, v13
	v_lshl_add_u32 v12, v15, 3, v13
	;; [unrolled: 1-line block ×3, first 2 shown]
	s_addc_u32 s1, s13, s1
	s_waitcnt lgkmcnt(0)
	s_barrier
	v_lshl_add_u32 v33, v17, 3, v13
	ds_read_b64 v[27:28], v11
	ds_read_b64 v[29:30], v12 offset:2048
	ds_read_b64 v[31:32], v31 offset:4096
	;; [unrolled: 1-line block ×3, first 2 shown]
	v_mov_b32_e32 v33, s1
	v_add_co_u32_e32 v34, vcc, s0, v13
	v_addc_co_u32_e32 v33, vcc, 0, v33, vcc
	s_waitcnt lgkmcnt(3)
	global_store_dwordx2 v13, v[27:28], s[0:1]
	s_waitcnt lgkmcnt(2)
	global_store_dwordx2 v13, v[29:30], s[0:1] offset:2048
	v_add_co_u32_e32 v27, vcc, 0x1000, v34
	v_addc_co_u32_e32 v28, vcc, 0, v33, vcc
	s_waitcnt lgkmcnt(1)
	global_store_dwordx2 v[27:28], v[31:32], off
	s_mov_b64 s[6:7], -1
	s_cbranch_execz .LBB515_34
	s_branch .LBB515_44
.LBB515_33:
	s_mov_b64 s[6:7], 0
                                        ; implicit-def: $vgpr11_vgpr12
.LBB515_34:
	s_waitcnt vmcnt(0) lgkmcnt(0)
	s_barrier
	ds_read_u8 v24, v24 offset:256
	ds_read_u8 v12, v25 offset:512
	ds_read_u8 v11, v26 offset:768
	s_sub_i32 s6, s14, s16
	v_cmp_gt_u32_e32 vcc, s6, v0
	s_and_saveexec_b64 s[0:1], vcc
	s_cbranch_execnz .LBB515_51
; %bb.35:
	s_or_b64 exec, exec, s[0:1]
	v_cmp_gt_u32_e64 s[0:1], s6, v22
	s_and_saveexec_b64 s[2:3], s[0:1]
	s_cbranch_execnz .LBB515_52
.LBB515_36:
	s_or_b64 exec, exec, s[2:3]
	v_cmp_gt_u32_e64 s[2:3], s6, v21
	s_and_saveexec_b64 s[4:5], s[2:3]
	s_cbranch_execnz .LBB515_53
.LBB515_37:
	s_or_b64 exec, exec, s[4:5]
	v_cmp_gt_u32_e64 s[6:7], s6, v20
	s_and_saveexec_b64 s[4:5], s[6:7]
	s_cbranch_execz .LBB515_39
.LBB515_38:
	s_waitcnt lgkmcnt(0)
	global_store_byte v[9:10], v11, off offset:768
.LBB515_39:
	s_or_b64 exec, exec, s[4:5]
	v_lshl_add_u32 v0, v19, 3, v18
	s_waitcnt vmcnt(0) lgkmcnt(0)
	s_barrier
	ds_write2_b64 v0, v[5:6], v[7:8] offset1:1
	ds_write2_b64 v0, v[1:2], v[3:4] offset0:2 offset1:3
	v_lshl_add_u32 v0, v15, 3, v13
	v_lshl_add_u32 v1, v16, 3, v13
	s_waitcnt lgkmcnt(0)
	s_barrier
	v_lshl_add_u32 v2, v17, 3, v13
	ds_read_b64 v[4:5], v0 offset:2048
	ds_read_b64 v[0:1], v1 offset:4096
	;; [unrolled: 1-line block ×3, first 2 shown]
	s_lshl_b64 s[4:5], s[16:17], 3
	s_add_u32 s4, s12, s4
	s_addc_u32 s5, s13, s5
	v_mov_b32_e32 v3, s5
	v_add_co_u32_e64 v2, s[4:5], s4, v13
	v_addc_co_u32_e64 v3, s[4:5], 0, v3, s[4:5]
	s_and_saveexec_b64 s[4:5], vcc
	s_cbranch_execnz .LBB515_54
; %bb.40:
	s_or_b64 exec, exec, s[4:5]
	s_and_saveexec_b64 s[4:5], s[0:1]
	s_cbranch_execnz .LBB515_55
.LBB515_41:
	s_or_b64 exec, exec, s[4:5]
	s_and_saveexec_b64 s[0:1], s[2:3]
	s_cbranch_execz .LBB515_43
.LBB515_42:
	v_add_co_u32_e32 v2, vcc, 0x1000, v2
	v_addc_co_u32_e32 v3, vcc, 0, v3, vcc
	s_waitcnt lgkmcnt(1)
	global_store_dwordx2 v[2:3], v[0:1], off
.LBB515_43:
	s_or_b64 exec, exec, s[0:1]
.LBB515_44:
	s_and_saveexec_b64 s[0:1], s[6:7]
	s_cbranch_execz .LBB515_46
; %bb.45:
	s_lshl_b64 s[0:1], s[16:17], 3
	s_add_u32 s0, s12, s0
	s_addc_u32 s1, s13, s1
	s_waitcnt lgkmcnt(1)
	v_mov_b32_e32 v0, s1
	v_add_co_u32_e32 v1, vcc, s0, v13
	v_addc_co_u32_e32 v2, vcc, 0, v0, vcc
	v_add_co_u32_e32 v0, vcc, 0x1000, v1
	v_addc_co_u32_e32 v1, vcc, 0, v2, vcc
	s_waitcnt lgkmcnt(0)
	global_store_dwordx2 v[0:1], v[11:12], off offset:2048
.LBB515_46:
	s_endpgm
.LBB515_47:
	v_mov_b32_e32 v1, s25
	v_add_co_u32_e32 v3, vcc, s24, v0
	v_addc_co_u32_e32 v1, vcc, 0, v1, vcc
	v_subrev_co_u32_e32 v2, vcc, s15, v0
	v_mov_b32_e32 v4, s26
	v_add_co_u32_e64 v5, s[0:1], s23, v2
	v_addc_co_u32_e64 v2, s[0:1], 0, v4, s[0:1]
	v_cndmask_b32_e32 v2, v2, v1, vcc
	v_cndmask_b32_e32 v1, v5, v3, vcc
	global_load_ubyte v14, v[1:2], off
	s_or_b64 exec, exec, s[6:7]
	v_cmp_gt_u32_e32 vcc, s20, v11
	s_and_saveexec_b64 s[6:7], vcc
	s_cbranch_execz .LBB515_6
.LBB515_48:
	v_mov_b32_e32 v1, s25
	v_add_co_u32_e32 v3, vcc, s24, v11
	v_addc_co_u32_e32 v1, vcc, 0, v1, vcc
	v_subrev_co_u32_e32 v2, vcc, s15, v11
	v_mov_b32_e32 v4, s26
	v_add_co_u32_e64 v5, s[0:1], s23, v2
	v_addc_co_u32_e64 v2, s[0:1], 0, v4, s[0:1]
	v_cndmask_b32_e32 v2, v2, v1, vcc
	v_cndmask_b32_e32 v1, v5, v3, vcc
	global_load_ubyte v1, v[1:2], off
	s_waitcnt vmcnt(0)
	v_lshlrev_b16_e32 v1, 8, v1
	v_or_b32_e32 v1, v14, v1
	v_and_b32_e32 v14, 0xffff, v1
	s_or_b64 exec, exec, s[6:7]
	v_cmp_gt_u32_e32 vcc, s20, v9
	s_and_saveexec_b64 s[6:7], vcc
	s_cbranch_execnz .LBB515_7
	s_branch .LBB515_8
.LBB515_49:
	v_mov_b32_e32 v2, s7
	v_add_co_u32_e32 v4, vcc, s6, v13
	v_addc_co_u32_e32 v5, vcc, 0, v2, vcc
	v_subrev_co_u32_e32 v2, vcc, s15, v0
	v_mov_b32_e32 v3, v1
	v_lshlrev_b64 v[2:3], 3, v[2:3]
	v_mov_b32_e32 v6, s5
	v_add_co_u32_e64 v2, s[0:1], s4, v2
	v_addc_co_u32_e64 v3, s[0:1], v6, v3, s[0:1]
	v_cndmask_b32_e32 v3, v3, v5, vcc
	v_cndmask_b32_e32 v2, v2, v4, vcc
	global_load_dwordx2 v[19:20], v[2:3], off
	v_mov_b32_e32 v21, v1
	v_mov_b32_e32 v22, v1
	;; [unrolled: 1-line block ×6, first 2 shown]
	s_waitcnt vmcnt(0)
	v_mov_b32_e32 v1, v19
	v_mov_b32_e32 v2, v20
	;; [unrolled: 1-line block ×8, first 2 shown]
	s_or_b64 exec, exec, s[2:3]
	v_cmp_gt_u32_e32 vcc, s10, v11
	s_and_saveexec_b64 s[2:3], vcc
	s_cbranch_execz .LBB515_16
.LBB515_50:
	v_mov_b32_e32 v12, 0
	v_lshlrev_b64 v[3:4], 3, v[11:12]
	v_mov_b32_e32 v10, s7
	v_add_co_u32_e32 v19, vcc, s6, v3
	v_addc_co_u32_e32 v10, vcc, v10, v4, vcc
	v_subrev_co_u32_e32 v11, vcc, s15, v11
	v_lshlrev_b64 v[3:4], 3, v[11:12]
	v_mov_b32_e32 v11, s5
	v_add_co_u32_e64 v3, s[0:1], s4, v3
	v_addc_co_u32_e64 v4, s[0:1], v11, v4, s[0:1]
	v_cndmask_b32_e32 v4, v4, v10, vcc
	v_cndmask_b32_e32 v3, v3, v19, vcc
	global_load_dwordx2 v[3:4], v[3:4], off
	s_or_b64 exec, exec, s[2:3]
	v_cmp_gt_u32_e32 vcc, s10, v9
	s_and_saveexec_b64 s[2:3], vcc
	s_cbranch_execnz .LBB515_17
	s_branch .LBB515_18
.LBB515_51:
	v_add_u32_e32 v0, v23, v0
	ds_read_u8 v0, v0
	s_waitcnt lgkmcnt(0)
	global_store_byte v[9:10], v0, off
	s_or_b64 exec, exec, s[0:1]
	v_cmp_gt_u32_e64 s[0:1], s6, v22
	s_and_saveexec_b64 s[2:3], s[0:1]
	s_cbranch_execz .LBB515_36
.LBB515_52:
	s_waitcnt lgkmcnt(2)
	global_store_byte v[9:10], v24, off offset:256
	s_or_b64 exec, exec, s[2:3]
	v_cmp_gt_u32_e64 s[2:3], s6, v21
	s_and_saveexec_b64 s[4:5], s[2:3]
	s_cbranch_execz .LBB515_37
.LBB515_53:
	s_waitcnt lgkmcnt(1)
	global_store_byte v[9:10], v12, off offset:512
	s_or_b64 exec, exec, s[4:5]
	v_cmp_gt_u32_e64 s[6:7], s6, v20
	s_and_saveexec_b64 s[4:5], s[6:7]
	s_cbranch_execnz .LBB515_38
	s_branch .LBB515_39
.LBB515_54:
	v_lshl_add_u32 v6, v14, 3, v13
	ds_read_b64 v[6:7], v6
	s_waitcnt lgkmcnt(0)
	global_store_dwordx2 v[2:3], v[6:7], off
	s_or_b64 exec, exec, s[4:5]
	s_and_saveexec_b64 s[4:5], s[0:1]
	s_cbranch_execz .LBB515_41
.LBB515_55:
	s_waitcnt lgkmcnt(2)
	global_store_dwordx2 v[2:3], v[4:5], off offset:2048
	s_or_b64 exec, exec, s[4:5]
	s_and_saveexec_b64 s[0:1], s[2:3]
	s_cbranch_execnz .LBB515_42
	s_branch .LBB515_43
	.section	.rodata,"a",@progbits
	.p2align	6, 0x0
	.amdhsa_kernel _ZN7rocprim17ROCPRIM_400000_NS6detail17trampoline_kernelINS0_14default_configENS1_38merge_sort_block_merge_config_selectorIalEEZZNS1_27merge_sort_block_merge_implIS3_PaN6thrust23THRUST_200600_302600_NS10device_ptrIlEEjNS1_19radix_merge_compareILb0ELb0EaNS0_19identity_decomposerEEEEE10hipError_tT0_T1_T2_jT3_P12ihipStream_tbPNSt15iterator_traitsISG_E10value_typeEPNSM_ISH_E10value_typeEPSI_NS1_7vsmem_tEENKUlT_SG_SH_SI_E_clIS7_S7_SB_PlEESF_SV_SG_SH_SI_EUlSV_E0_NS1_11comp_targetILNS1_3genE2ELNS1_11target_archE906ELNS1_3gpuE6ELNS1_3repE0EEENS1_38merge_mergepath_config_static_selectorELNS0_4arch9wavefront6targetE1EEEvSH_
		.amdhsa_group_segment_fixed_size 8448
		.amdhsa_private_segment_fixed_size 0
		.amdhsa_kernarg_size 320
		.amdhsa_user_sgpr_count 6
		.amdhsa_user_sgpr_private_segment_buffer 1
		.amdhsa_user_sgpr_dispatch_ptr 0
		.amdhsa_user_sgpr_queue_ptr 0
		.amdhsa_user_sgpr_kernarg_segment_ptr 1
		.amdhsa_user_sgpr_dispatch_id 0
		.amdhsa_user_sgpr_flat_scratch_init 0
		.amdhsa_user_sgpr_private_segment_size 0
		.amdhsa_uses_dynamic_stack 0
		.amdhsa_system_sgpr_private_segment_wavefront_offset 0
		.amdhsa_system_sgpr_workgroup_id_x 1
		.amdhsa_system_sgpr_workgroup_id_y 1
		.amdhsa_system_sgpr_workgroup_id_z 1
		.amdhsa_system_sgpr_workgroup_info 0
		.amdhsa_system_vgpr_workitem_id 0
		.amdhsa_next_free_vgpr 35
		.amdhsa_next_free_sgpr 77
		.amdhsa_reserve_vcc 1
		.amdhsa_reserve_flat_scratch 0
		.amdhsa_float_round_mode_32 0
		.amdhsa_float_round_mode_16_64 0
		.amdhsa_float_denorm_mode_32 3
		.amdhsa_float_denorm_mode_16_64 3
		.amdhsa_dx10_clamp 1
		.amdhsa_ieee_mode 1
		.amdhsa_fp16_overflow 0
		.amdhsa_exception_fp_ieee_invalid_op 0
		.amdhsa_exception_fp_denorm_src 0
		.amdhsa_exception_fp_ieee_div_zero 0
		.amdhsa_exception_fp_ieee_overflow 0
		.amdhsa_exception_fp_ieee_underflow 0
		.amdhsa_exception_fp_ieee_inexact 0
		.amdhsa_exception_int_div_zero 0
	.end_amdhsa_kernel
	.section	.text._ZN7rocprim17ROCPRIM_400000_NS6detail17trampoline_kernelINS0_14default_configENS1_38merge_sort_block_merge_config_selectorIalEEZZNS1_27merge_sort_block_merge_implIS3_PaN6thrust23THRUST_200600_302600_NS10device_ptrIlEEjNS1_19radix_merge_compareILb0ELb0EaNS0_19identity_decomposerEEEEE10hipError_tT0_T1_T2_jT3_P12ihipStream_tbPNSt15iterator_traitsISG_E10value_typeEPNSM_ISH_E10value_typeEPSI_NS1_7vsmem_tEENKUlT_SG_SH_SI_E_clIS7_S7_SB_PlEESF_SV_SG_SH_SI_EUlSV_E0_NS1_11comp_targetILNS1_3genE2ELNS1_11target_archE906ELNS1_3gpuE6ELNS1_3repE0EEENS1_38merge_mergepath_config_static_selectorELNS0_4arch9wavefront6targetE1EEEvSH_,"axG",@progbits,_ZN7rocprim17ROCPRIM_400000_NS6detail17trampoline_kernelINS0_14default_configENS1_38merge_sort_block_merge_config_selectorIalEEZZNS1_27merge_sort_block_merge_implIS3_PaN6thrust23THRUST_200600_302600_NS10device_ptrIlEEjNS1_19radix_merge_compareILb0ELb0EaNS0_19identity_decomposerEEEEE10hipError_tT0_T1_T2_jT3_P12ihipStream_tbPNSt15iterator_traitsISG_E10value_typeEPNSM_ISH_E10value_typeEPSI_NS1_7vsmem_tEENKUlT_SG_SH_SI_E_clIS7_S7_SB_PlEESF_SV_SG_SH_SI_EUlSV_E0_NS1_11comp_targetILNS1_3genE2ELNS1_11target_archE906ELNS1_3gpuE6ELNS1_3repE0EEENS1_38merge_mergepath_config_static_selectorELNS0_4arch9wavefront6targetE1EEEvSH_,comdat
.Lfunc_end515:
	.size	_ZN7rocprim17ROCPRIM_400000_NS6detail17trampoline_kernelINS0_14default_configENS1_38merge_sort_block_merge_config_selectorIalEEZZNS1_27merge_sort_block_merge_implIS3_PaN6thrust23THRUST_200600_302600_NS10device_ptrIlEEjNS1_19radix_merge_compareILb0ELb0EaNS0_19identity_decomposerEEEEE10hipError_tT0_T1_T2_jT3_P12ihipStream_tbPNSt15iterator_traitsISG_E10value_typeEPNSM_ISH_E10value_typeEPSI_NS1_7vsmem_tEENKUlT_SG_SH_SI_E_clIS7_S7_SB_PlEESF_SV_SG_SH_SI_EUlSV_E0_NS1_11comp_targetILNS1_3genE2ELNS1_11target_archE906ELNS1_3gpuE6ELNS1_3repE0EEENS1_38merge_mergepath_config_static_selectorELNS0_4arch9wavefront6targetE1EEEvSH_, .Lfunc_end515-_ZN7rocprim17ROCPRIM_400000_NS6detail17trampoline_kernelINS0_14default_configENS1_38merge_sort_block_merge_config_selectorIalEEZZNS1_27merge_sort_block_merge_implIS3_PaN6thrust23THRUST_200600_302600_NS10device_ptrIlEEjNS1_19radix_merge_compareILb0ELb0EaNS0_19identity_decomposerEEEEE10hipError_tT0_T1_T2_jT3_P12ihipStream_tbPNSt15iterator_traitsISG_E10value_typeEPNSM_ISH_E10value_typeEPSI_NS1_7vsmem_tEENKUlT_SG_SH_SI_E_clIS7_S7_SB_PlEESF_SV_SG_SH_SI_EUlSV_E0_NS1_11comp_targetILNS1_3genE2ELNS1_11target_archE906ELNS1_3gpuE6ELNS1_3repE0EEENS1_38merge_mergepath_config_static_selectorELNS0_4arch9wavefront6targetE1EEEvSH_
                                        ; -- End function
	.set _ZN7rocprim17ROCPRIM_400000_NS6detail17trampoline_kernelINS0_14default_configENS1_38merge_sort_block_merge_config_selectorIalEEZZNS1_27merge_sort_block_merge_implIS3_PaN6thrust23THRUST_200600_302600_NS10device_ptrIlEEjNS1_19radix_merge_compareILb0ELb0EaNS0_19identity_decomposerEEEEE10hipError_tT0_T1_T2_jT3_P12ihipStream_tbPNSt15iterator_traitsISG_E10value_typeEPNSM_ISH_E10value_typeEPSI_NS1_7vsmem_tEENKUlT_SG_SH_SI_E_clIS7_S7_SB_PlEESF_SV_SG_SH_SI_EUlSV_E0_NS1_11comp_targetILNS1_3genE2ELNS1_11target_archE906ELNS1_3gpuE6ELNS1_3repE0EEENS1_38merge_mergepath_config_static_selectorELNS0_4arch9wavefront6targetE1EEEvSH_.num_vgpr, 35
	.set _ZN7rocprim17ROCPRIM_400000_NS6detail17trampoline_kernelINS0_14default_configENS1_38merge_sort_block_merge_config_selectorIalEEZZNS1_27merge_sort_block_merge_implIS3_PaN6thrust23THRUST_200600_302600_NS10device_ptrIlEEjNS1_19radix_merge_compareILb0ELb0EaNS0_19identity_decomposerEEEEE10hipError_tT0_T1_T2_jT3_P12ihipStream_tbPNSt15iterator_traitsISG_E10value_typeEPNSM_ISH_E10value_typeEPSI_NS1_7vsmem_tEENKUlT_SG_SH_SI_E_clIS7_S7_SB_PlEESF_SV_SG_SH_SI_EUlSV_E0_NS1_11comp_targetILNS1_3genE2ELNS1_11target_archE906ELNS1_3gpuE6ELNS1_3repE0EEENS1_38merge_mergepath_config_static_selectorELNS0_4arch9wavefront6targetE1EEEvSH_.num_agpr, 0
	.set _ZN7rocprim17ROCPRIM_400000_NS6detail17trampoline_kernelINS0_14default_configENS1_38merge_sort_block_merge_config_selectorIalEEZZNS1_27merge_sort_block_merge_implIS3_PaN6thrust23THRUST_200600_302600_NS10device_ptrIlEEjNS1_19radix_merge_compareILb0ELb0EaNS0_19identity_decomposerEEEEE10hipError_tT0_T1_T2_jT3_P12ihipStream_tbPNSt15iterator_traitsISG_E10value_typeEPNSM_ISH_E10value_typeEPSI_NS1_7vsmem_tEENKUlT_SG_SH_SI_E_clIS7_S7_SB_PlEESF_SV_SG_SH_SI_EUlSV_E0_NS1_11comp_targetILNS1_3genE2ELNS1_11target_archE906ELNS1_3gpuE6ELNS1_3repE0EEENS1_38merge_mergepath_config_static_selectorELNS0_4arch9wavefront6targetE1EEEvSH_.numbered_sgpr, 29
	.set _ZN7rocprim17ROCPRIM_400000_NS6detail17trampoline_kernelINS0_14default_configENS1_38merge_sort_block_merge_config_selectorIalEEZZNS1_27merge_sort_block_merge_implIS3_PaN6thrust23THRUST_200600_302600_NS10device_ptrIlEEjNS1_19radix_merge_compareILb0ELb0EaNS0_19identity_decomposerEEEEE10hipError_tT0_T1_T2_jT3_P12ihipStream_tbPNSt15iterator_traitsISG_E10value_typeEPNSM_ISH_E10value_typeEPSI_NS1_7vsmem_tEENKUlT_SG_SH_SI_E_clIS7_S7_SB_PlEESF_SV_SG_SH_SI_EUlSV_E0_NS1_11comp_targetILNS1_3genE2ELNS1_11target_archE906ELNS1_3gpuE6ELNS1_3repE0EEENS1_38merge_mergepath_config_static_selectorELNS0_4arch9wavefront6targetE1EEEvSH_.num_named_barrier, 0
	.set _ZN7rocprim17ROCPRIM_400000_NS6detail17trampoline_kernelINS0_14default_configENS1_38merge_sort_block_merge_config_selectorIalEEZZNS1_27merge_sort_block_merge_implIS3_PaN6thrust23THRUST_200600_302600_NS10device_ptrIlEEjNS1_19radix_merge_compareILb0ELb0EaNS0_19identity_decomposerEEEEE10hipError_tT0_T1_T2_jT3_P12ihipStream_tbPNSt15iterator_traitsISG_E10value_typeEPNSM_ISH_E10value_typeEPSI_NS1_7vsmem_tEENKUlT_SG_SH_SI_E_clIS7_S7_SB_PlEESF_SV_SG_SH_SI_EUlSV_E0_NS1_11comp_targetILNS1_3genE2ELNS1_11target_archE906ELNS1_3gpuE6ELNS1_3repE0EEENS1_38merge_mergepath_config_static_selectorELNS0_4arch9wavefront6targetE1EEEvSH_.private_seg_size, 0
	.set _ZN7rocprim17ROCPRIM_400000_NS6detail17trampoline_kernelINS0_14default_configENS1_38merge_sort_block_merge_config_selectorIalEEZZNS1_27merge_sort_block_merge_implIS3_PaN6thrust23THRUST_200600_302600_NS10device_ptrIlEEjNS1_19radix_merge_compareILb0ELb0EaNS0_19identity_decomposerEEEEE10hipError_tT0_T1_T2_jT3_P12ihipStream_tbPNSt15iterator_traitsISG_E10value_typeEPNSM_ISH_E10value_typeEPSI_NS1_7vsmem_tEENKUlT_SG_SH_SI_E_clIS7_S7_SB_PlEESF_SV_SG_SH_SI_EUlSV_E0_NS1_11comp_targetILNS1_3genE2ELNS1_11target_archE906ELNS1_3gpuE6ELNS1_3repE0EEENS1_38merge_mergepath_config_static_selectorELNS0_4arch9wavefront6targetE1EEEvSH_.uses_vcc, 1
	.set _ZN7rocprim17ROCPRIM_400000_NS6detail17trampoline_kernelINS0_14default_configENS1_38merge_sort_block_merge_config_selectorIalEEZZNS1_27merge_sort_block_merge_implIS3_PaN6thrust23THRUST_200600_302600_NS10device_ptrIlEEjNS1_19radix_merge_compareILb0ELb0EaNS0_19identity_decomposerEEEEE10hipError_tT0_T1_T2_jT3_P12ihipStream_tbPNSt15iterator_traitsISG_E10value_typeEPNSM_ISH_E10value_typeEPSI_NS1_7vsmem_tEENKUlT_SG_SH_SI_E_clIS7_S7_SB_PlEESF_SV_SG_SH_SI_EUlSV_E0_NS1_11comp_targetILNS1_3genE2ELNS1_11target_archE906ELNS1_3gpuE6ELNS1_3repE0EEENS1_38merge_mergepath_config_static_selectorELNS0_4arch9wavefront6targetE1EEEvSH_.uses_flat_scratch, 0
	.set _ZN7rocprim17ROCPRIM_400000_NS6detail17trampoline_kernelINS0_14default_configENS1_38merge_sort_block_merge_config_selectorIalEEZZNS1_27merge_sort_block_merge_implIS3_PaN6thrust23THRUST_200600_302600_NS10device_ptrIlEEjNS1_19radix_merge_compareILb0ELb0EaNS0_19identity_decomposerEEEEE10hipError_tT0_T1_T2_jT3_P12ihipStream_tbPNSt15iterator_traitsISG_E10value_typeEPNSM_ISH_E10value_typeEPSI_NS1_7vsmem_tEENKUlT_SG_SH_SI_E_clIS7_S7_SB_PlEESF_SV_SG_SH_SI_EUlSV_E0_NS1_11comp_targetILNS1_3genE2ELNS1_11target_archE906ELNS1_3gpuE6ELNS1_3repE0EEENS1_38merge_mergepath_config_static_selectorELNS0_4arch9wavefront6targetE1EEEvSH_.has_dyn_sized_stack, 0
	.set _ZN7rocprim17ROCPRIM_400000_NS6detail17trampoline_kernelINS0_14default_configENS1_38merge_sort_block_merge_config_selectorIalEEZZNS1_27merge_sort_block_merge_implIS3_PaN6thrust23THRUST_200600_302600_NS10device_ptrIlEEjNS1_19radix_merge_compareILb0ELb0EaNS0_19identity_decomposerEEEEE10hipError_tT0_T1_T2_jT3_P12ihipStream_tbPNSt15iterator_traitsISG_E10value_typeEPNSM_ISH_E10value_typeEPSI_NS1_7vsmem_tEENKUlT_SG_SH_SI_E_clIS7_S7_SB_PlEESF_SV_SG_SH_SI_EUlSV_E0_NS1_11comp_targetILNS1_3genE2ELNS1_11target_archE906ELNS1_3gpuE6ELNS1_3repE0EEENS1_38merge_mergepath_config_static_selectorELNS0_4arch9wavefront6targetE1EEEvSH_.has_recursion, 0
	.set _ZN7rocprim17ROCPRIM_400000_NS6detail17trampoline_kernelINS0_14default_configENS1_38merge_sort_block_merge_config_selectorIalEEZZNS1_27merge_sort_block_merge_implIS3_PaN6thrust23THRUST_200600_302600_NS10device_ptrIlEEjNS1_19radix_merge_compareILb0ELb0EaNS0_19identity_decomposerEEEEE10hipError_tT0_T1_T2_jT3_P12ihipStream_tbPNSt15iterator_traitsISG_E10value_typeEPNSM_ISH_E10value_typeEPSI_NS1_7vsmem_tEENKUlT_SG_SH_SI_E_clIS7_S7_SB_PlEESF_SV_SG_SH_SI_EUlSV_E0_NS1_11comp_targetILNS1_3genE2ELNS1_11target_archE906ELNS1_3gpuE6ELNS1_3repE0EEENS1_38merge_mergepath_config_static_selectorELNS0_4arch9wavefront6targetE1EEEvSH_.has_indirect_call, 0
	.section	.AMDGPU.csdata,"",@progbits
; Kernel info:
; codeLenInByte = 3400
; TotalNumSgprs: 33
; NumVgprs: 35
; ScratchSize: 0
; MemoryBound: 0
; FloatMode: 240
; IeeeMode: 1
; LDSByteSize: 8448 bytes/workgroup (compile time only)
; SGPRBlocks: 10
; VGPRBlocks: 8
; NumSGPRsForWavesPerEU: 81
; NumVGPRsForWavesPerEU: 35
; Occupancy: 7
; WaveLimiterHint : 1
; COMPUTE_PGM_RSRC2:SCRATCH_EN: 0
; COMPUTE_PGM_RSRC2:USER_SGPR: 6
; COMPUTE_PGM_RSRC2:TRAP_HANDLER: 0
; COMPUTE_PGM_RSRC2:TGID_X_EN: 1
; COMPUTE_PGM_RSRC2:TGID_Y_EN: 1
; COMPUTE_PGM_RSRC2:TGID_Z_EN: 1
; COMPUTE_PGM_RSRC2:TIDIG_COMP_CNT: 0
	.section	.text._ZN7rocprim17ROCPRIM_400000_NS6detail17trampoline_kernelINS0_14default_configENS1_38merge_sort_block_merge_config_selectorIalEEZZNS1_27merge_sort_block_merge_implIS3_PaN6thrust23THRUST_200600_302600_NS10device_ptrIlEEjNS1_19radix_merge_compareILb0ELb0EaNS0_19identity_decomposerEEEEE10hipError_tT0_T1_T2_jT3_P12ihipStream_tbPNSt15iterator_traitsISG_E10value_typeEPNSM_ISH_E10value_typeEPSI_NS1_7vsmem_tEENKUlT_SG_SH_SI_E_clIS7_S7_SB_PlEESF_SV_SG_SH_SI_EUlSV_E0_NS1_11comp_targetILNS1_3genE9ELNS1_11target_archE1100ELNS1_3gpuE3ELNS1_3repE0EEENS1_38merge_mergepath_config_static_selectorELNS0_4arch9wavefront6targetE1EEEvSH_,"axG",@progbits,_ZN7rocprim17ROCPRIM_400000_NS6detail17trampoline_kernelINS0_14default_configENS1_38merge_sort_block_merge_config_selectorIalEEZZNS1_27merge_sort_block_merge_implIS3_PaN6thrust23THRUST_200600_302600_NS10device_ptrIlEEjNS1_19radix_merge_compareILb0ELb0EaNS0_19identity_decomposerEEEEE10hipError_tT0_T1_T2_jT3_P12ihipStream_tbPNSt15iterator_traitsISG_E10value_typeEPNSM_ISH_E10value_typeEPSI_NS1_7vsmem_tEENKUlT_SG_SH_SI_E_clIS7_S7_SB_PlEESF_SV_SG_SH_SI_EUlSV_E0_NS1_11comp_targetILNS1_3genE9ELNS1_11target_archE1100ELNS1_3gpuE3ELNS1_3repE0EEENS1_38merge_mergepath_config_static_selectorELNS0_4arch9wavefront6targetE1EEEvSH_,comdat
	.protected	_ZN7rocprim17ROCPRIM_400000_NS6detail17trampoline_kernelINS0_14default_configENS1_38merge_sort_block_merge_config_selectorIalEEZZNS1_27merge_sort_block_merge_implIS3_PaN6thrust23THRUST_200600_302600_NS10device_ptrIlEEjNS1_19radix_merge_compareILb0ELb0EaNS0_19identity_decomposerEEEEE10hipError_tT0_T1_T2_jT3_P12ihipStream_tbPNSt15iterator_traitsISG_E10value_typeEPNSM_ISH_E10value_typeEPSI_NS1_7vsmem_tEENKUlT_SG_SH_SI_E_clIS7_S7_SB_PlEESF_SV_SG_SH_SI_EUlSV_E0_NS1_11comp_targetILNS1_3genE9ELNS1_11target_archE1100ELNS1_3gpuE3ELNS1_3repE0EEENS1_38merge_mergepath_config_static_selectorELNS0_4arch9wavefront6targetE1EEEvSH_ ; -- Begin function _ZN7rocprim17ROCPRIM_400000_NS6detail17trampoline_kernelINS0_14default_configENS1_38merge_sort_block_merge_config_selectorIalEEZZNS1_27merge_sort_block_merge_implIS3_PaN6thrust23THRUST_200600_302600_NS10device_ptrIlEEjNS1_19radix_merge_compareILb0ELb0EaNS0_19identity_decomposerEEEEE10hipError_tT0_T1_T2_jT3_P12ihipStream_tbPNSt15iterator_traitsISG_E10value_typeEPNSM_ISH_E10value_typeEPSI_NS1_7vsmem_tEENKUlT_SG_SH_SI_E_clIS7_S7_SB_PlEESF_SV_SG_SH_SI_EUlSV_E0_NS1_11comp_targetILNS1_3genE9ELNS1_11target_archE1100ELNS1_3gpuE3ELNS1_3repE0EEENS1_38merge_mergepath_config_static_selectorELNS0_4arch9wavefront6targetE1EEEvSH_
	.globl	_ZN7rocprim17ROCPRIM_400000_NS6detail17trampoline_kernelINS0_14default_configENS1_38merge_sort_block_merge_config_selectorIalEEZZNS1_27merge_sort_block_merge_implIS3_PaN6thrust23THRUST_200600_302600_NS10device_ptrIlEEjNS1_19radix_merge_compareILb0ELb0EaNS0_19identity_decomposerEEEEE10hipError_tT0_T1_T2_jT3_P12ihipStream_tbPNSt15iterator_traitsISG_E10value_typeEPNSM_ISH_E10value_typeEPSI_NS1_7vsmem_tEENKUlT_SG_SH_SI_E_clIS7_S7_SB_PlEESF_SV_SG_SH_SI_EUlSV_E0_NS1_11comp_targetILNS1_3genE9ELNS1_11target_archE1100ELNS1_3gpuE3ELNS1_3repE0EEENS1_38merge_mergepath_config_static_selectorELNS0_4arch9wavefront6targetE1EEEvSH_
	.p2align	8
	.type	_ZN7rocprim17ROCPRIM_400000_NS6detail17trampoline_kernelINS0_14default_configENS1_38merge_sort_block_merge_config_selectorIalEEZZNS1_27merge_sort_block_merge_implIS3_PaN6thrust23THRUST_200600_302600_NS10device_ptrIlEEjNS1_19radix_merge_compareILb0ELb0EaNS0_19identity_decomposerEEEEE10hipError_tT0_T1_T2_jT3_P12ihipStream_tbPNSt15iterator_traitsISG_E10value_typeEPNSM_ISH_E10value_typeEPSI_NS1_7vsmem_tEENKUlT_SG_SH_SI_E_clIS7_S7_SB_PlEESF_SV_SG_SH_SI_EUlSV_E0_NS1_11comp_targetILNS1_3genE9ELNS1_11target_archE1100ELNS1_3gpuE3ELNS1_3repE0EEENS1_38merge_mergepath_config_static_selectorELNS0_4arch9wavefront6targetE1EEEvSH_,@function
_ZN7rocprim17ROCPRIM_400000_NS6detail17trampoline_kernelINS0_14default_configENS1_38merge_sort_block_merge_config_selectorIalEEZZNS1_27merge_sort_block_merge_implIS3_PaN6thrust23THRUST_200600_302600_NS10device_ptrIlEEjNS1_19radix_merge_compareILb0ELb0EaNS0_19identity_decomposerEEEEE10hipError_tT0_T1_T2_jT3_P12ihipStream_tbPNSt15iterator_traitsISG_E10value_typeEPNSM_ISH_E10value_typeEPSI_NS1_7vsmem_tEENKUlT_SG_SH_SI_E_clIS7_S7_SB_PlEESF_SV_SG_SH_SI_EUlSV_E0_NS1_11comp_targetILNS1_3genE9ELNS1_11target_archE1100ELNS1_3gpuE3ELNS1_3repE0EEENS1_38merge_mergepath_config_static_selectorELNS0_4arch9wavefront6targetE1EEEvSH_: ; @_ZN7rocprim17ROCPRIM_400000_NS6detail17trampoline_kernelINS0_14default_configENS1_38merge_sort_block_merge_config_selectorIalEEZZNS1_27merge_sort_block_merge_implIS3_PaN6thrust23THRUST_200600_302600_NS10device_ptrIlEEjNS1_19radix_merge_compareILb0ELb0EaNS0_19identity_decomposerEEEEE10hipError_tT0_T1_T2_jT3_P12ihipStream_tbPNSt15iterator_traitsISG_E10value_typeEPNSM_ISH_E10value_typeEPSI_NS1_7vsmem_tEENKUlT_SG_SH_SI_E_clIS7_S7_SB_PlEESF_SV_SG_SH_SI_EUlSV_E0_NS1_11comp_targetILNS1_3genE9ELNS1_11target_archE1100ELNS1_3gpuE3ELNS1_3repE0EEENS1_38merge_mergepath_config_static_selectorELNS0_4arch9wavefront6targetE1EEEvSH_
; %bb.0:
	.section	.rodata,"a",@progbits
	.p2align	6, 0x0
	.amdhsa_kernel _ZN7rocprim17ROCPRIM_400000_NS6detail17trampoline_kernelINS0_14default_configENS1_38merge_sort_block_merge_config_selectorIalEEZZNS1_27merge_sort_block_merge_implIS3_PaN6thrust23THRUST_200600_302600_NS10device_ptrIlEEjNS1_19radix_merge_compareILb0ELb0EaNS0_19identity_decomposerEEEEE10hipError_tT0_T1_T2_jT3_P12ihipStream_tbPNSt15iterator_traitsISG_E10value_typeEPNSM_ISH_E10value_typeEPSI_NS1_7vsmem_tEENKUlT_SG_SH_SI_E_clIS7_S7_SB_PlEESF_SV_SG_SH_SI_EUlSV_E0_NS1_11comp_targetILNS1_3genE9ELNS1_11target_archE1100ELNS1_3gpuE3ELNS1_3repE0EEENS1_38merge_mergepath_config_static_selectorELNS0_4arch9wavefront6targetE1EEEvSH_
		.amdhsa_group_segment_fixed_size 0
		.amdhsa_private_segment_fixed_size 0
		.amdhsa_kernarg_size 64
		.amdhsa_user_sgpr_count 6
		.amdhsa_user_sgpr_private_segment_buffer 1
		.amdhsa_user_sgpr_dispatch_ptr 0
		.amdhsa_user_sgpr_queue_ptr 0
		.amdhsa_user_sgpr_kernarg_segment_ptr 1
		.amdhsa_user_sgpr_dispatch_id 0
		.amdhsa_user_sgpr_flat_scratch_init 0
		.amdhsa_user_sgpr_private_segment_size 0
		.amdhsa_uses_dynamic_stack 0
		.amdhsa_system_sgpr_private_segment_wavefront_offset 0
		.amdhsa_system_sgpr_workgroup_id_x 1
		.amdhsa_system_sgpr_workgroup_id_y 0
		.amdhsa_system_sgpr_workgroup_id_z 0
		.amdhsa_system_sgpr_workgroup_info 0
		.amdhsa_system_vgpr_workitem_id 0
		.amdhsa_next_free_vgpr 1
		.amdhsa_next_free_sgpr 0
		.amdhsa_reserve_vcc 0
		.amdhsa_reserve_flat_scratch 0
		.amdhsa_float_round_mode_32 0
		.amdhsa_float_round_mode_16_64 0
		.amdhsa_float_denorm_mode_32 3
		.amdhsa_float_denorm_mode_16_64 3
		.amdhsa_dx10_clamp 1
		.amdhsa_ieee_mode 1
		.amdhsa_fp16_overflow 0
		.amdhsa_exception_fp_ieee_invalid_op 0
		.amdhsa_exception_fp_denorm_src 0
		.amdhsa_exception_fp_ieee_div_zero 0
		.amdhsa_exception_fp_ieee_overflow 0
		.amdhsa_exception_fp_ieee_underflow 0
		.amdhsa_exception_fp_ieee_inexact 0
		.amdhsa_exception_int_div_zero 0
	.end_amdhsa_kernel
	.section	.text._ZN7rocprim17ROCPRIM_400000_NS6detail17trampoline_kernelINS0_14default_configENS1_38merge_sort_block_merge_config_selectorIalEEZZNS1_27merge_sort_block_merge_implIS3_PaN6thrust23THRUST_200600_302600_NS10device_ptrIlEEjNS1_19radix_merge_compareILb0ELb0EaNS0_19identity_decomposerEEEEE10hipError_tT0_T1_T2_jT3_P12ihipStream_tbPNSt15iterator_traitsISG_E10value_typeEPNSM_ISH_E10value_typeEPSI_NS1_7vsmem_tEENKUlT_SG_SH_SI_E_clIS7_S7_SB_PlEESF_SV_SG_SH_SI_EUlSV_E0_NS1_11comp_targetILNS1_3genE9ELNS1_11target_archE1100ELNS1_3gpuE3ELNS1_3repE0EEENS1_38merge_mergepath_config_static_selectorELNS0_4arch9wavefront6targetE1EEEvSH_,"axG",@progbits,_ZN7rocprim17ROCPRIM_400000_NS6detail17trampoline_kernelINS0_14default_configENS1_38merge_sort_block_merge_config_selectorIalEEZZNS1_27merge_sort_block_merge_implIS3_PaN6thrust23THRUST_200600_302600_NS10device_ptrIlEEjNS1_19radix_merge_compareILb0ELb0EaNS0_19identity_decomposerEEEEE10hipError_tT0_T1_T2_jT3_P12ihipStream_tbPNSt15iterator_traitsISG_E10value_typeEPNSM_ISH_E10value_typeEPSI_NS1_7vsmem_tEENKUlT_SG_SH_SI_E_clIS7_S7_SB_PlEESF_SV_SG_SH_SI_EUlSV_E0_NS1_11comp_targetILNS1_3genE9ELNS1_11target_archE1100ELNS1_3gpuE3ELNS1_3repE0EEENS1_38merge_mergepath_config_static_selectorELNS0_4arch9wavefront6targetE1EEEvSH_,comdat
.Lfunc_end516:
	.size	_ZN7rocprim17ROCPRIM_400000_NS6detail17trampoline_kernelINS0_14default_configENS1_38merge_sort_block_merge_config_selectorIalEEZZNS1_27merge_sort_block_merge_implIS3_PaN6thrust23THRUST_200600_302600_NS10device_ptrIlEEjNS1_19radix_merge_compareILb0ELb0EaNS0_19identity_decomposerEEEEE10hipError_tT0_T1_T2_jT3_P12ihipStream_tbPNSt15iterator_traitsISG_E10value_typeEPNSM_ISH_E10value_typeEPSI_NS1_7vsmem_tEENKUlT_SG_SH_SI_E_clIS7_S7_SB_PlEESF_SV_SG_SH_SI_EUlSV_E0_NS1_11comp_targetILNS1_3genE9ELNS1_11target_archE1100ELNS1_3gpuE3ELNS1_3repE0EEENS1_38merge_mergepath_config_static_selectorELNS0_4arch9wavefront6targetE1EEEvSH_, .Lfunc_end516-_ZN7rocprim17ROCPRIM_400000_NS6detail17trampoline_kernelINS0_14default_configENS1_38merge_sort_block_merge_config_selectorIalEEZZNS1_27merge_sort_block_merge_implIS3_PaN6thrust23THRUST_200600_302600_NS10device_ptrIlEEjNS1_19radix_merge_compareILb0ELb0EaNS0_19identity_decomposerEEEEE10hipError_tT0_T1_T2_jT3_P12ihipStream_tbPNSt15iterator_traitsISG_E10value_typeEPNSM_ISH_E10value_typeEPSI_NS1_7vsmem_tEENKUlT_SG_SH_SI_E_clIS7_S7_SB_PlEESF_SV_SG_SH_SI_EUlSV_E0_NS1_11comp_targetILNS1_3genE9ELNS1_11target_archE1100ELNS1_3gpuE3ELNS1_3repE0EEENS1_38merge_mergepath_config_static_selectorELNS0_4arch9wavefront6targetE1EEEvSH_
                                        ; -- End function
	.set _ZN7rocprim17ROCPRIM_400000_NS6detail17trampoline_kernelINS0_14default_configENS1_38merge_sort_block_merge_config_selectorIalEEZZNS1_27merge_sort_block_merge_implIS3_PaN6thrust23THRUST_200600_302600_NS10device_ptrIlEEjNS1_19radix_merge_compareILb0ELb0EaNS0_19identity_decomposerEEEEE10hipError_tT0_T1_T2_jT3_P12ihipStream_tbPNSt15iterator_traitsISG_E10value_typeEPNSM_ISH_E10value_typeEPSI_NS1_7vsmem_tEENKUlT_SG_SH_SI_E_clIS7_S7_SB_PlEESF_SV_SG_SH_SI_EUlSV_E0_NS1_11comp_targetILNS1_3genE9ELNS1_11target_archE1100ELNS1_3gpuE3ELNS1_3repE0EEENS1_38merge_mergepath_config_static_selectorELNS0_4arch9wavefront6targetE1EEEvSH_.num_vgpr, 0
	.set _ZN7rocprim17ROCPRIM_400000_NS6detail17trampoline_kernelINS0_14default_configENS1_38merge_sort_block_merge_config_selectorIalEEZZNS1_27merge_sort_block_merge_implIS3_PaN6thrust23THRUST_200600_302600_NS10device_ptrIlEEjNS1_19radix_merge_compareILb0ELb0EaNS0_19identity_decomposerEEEEE10hipError_tT0_T1_T2_jT3_P12ihipStream_tbPNSt15iterator_traitsISG_E10value_typeEPNSM_ISH_E10value_typeEPSI_NS1_7vsmem_tEENKUlT_SG_SH_SI_E_clIS7_S7_SB_PlEESF_SV_SG_SH_SI_EUlSV_E0_NS1_11comp_targetILNS1_3genE9ELNS1_11target_archE1100ELNS1_3gpuE3ELNS1_3repE0EEENS1_38merge_mergepath_config_static_selectorELNS0_4arch9wavefront6targetE1EEEvSH_.num_agpr, 0
	.set _ZN7rocprim17ROCPRIM_400000_NS6detail17trampoline_kernelINS0_14default_configENS1_38merge_sort_block_merge_config_selectorIalEEZZNS1_27merge_sort_block_merge_implIS3_PaN6thrust23THRUST_200600_302600_NS10device_ptrIlEEjNS1_19radix_merge_compareILb0ELb0EaNS0_19identity_decomposerEEEEE10hipError_tT0_T1_T2_jT3_P12ihipStream_tbPNSt15iterator_traitsISG_E10value_typeEPNSM_ISH_E10value_typeEPSI_NS1_7vsmem_tEENKUlT_SG_SH_SI_E_clIS7_S7_SB_PlEESF_SV_SG_SH_SI_EUlSV_E0_NS1_11comp_targetILNS1_3genE9ELNS1_11target_archE1100ELNS1_3gpuE3ELNS1_3repE0EEENS1_38merge_mergepath_config_static_selectorELNS0_4arch9wavefront6targetE1EEEvSH_.numbered_sgpr, 0
	.set _ZN7rocprim17ROCPRIM_400000_NS6detail17trampoline_kernelINS0_14default_configENS1_38merge_sort_block_merge_config_selectorIalEEZZNS1_27merge_sort_block_merge_implIS3_PaN6thrust23THRUST_200600_302600_NS10device_ptrIlEEjNS1_19radix_merge_compareILb0ELb0EaNS0_19identity_decomposerEEEEE10hipError_tT0_T1_T2_jT3_P12ihipStream_tbPNSt15iterator_traitsISG_E10value_typeEPNSM_ISH_E10value_typeEPSI_NS1_7vsmem_tEENKUlT_SG_SH_SI_E_clIS7_S7_SB_PlEESF_SV_SG_SH_SI_EUlSV_E0_NS1_11comp_targetILNS1_3genE9ELNS1_11target_archE1100ELNS1_3gpuE3ELNS1_3repE0EEENS1_38merge_mergepath_config_static_selectorELNS0_4arch9wavefront6targetE1EEEvSH_.num_named_barrier, 0
	.set _ZN7rocprim17ROCPRIM_400000_NS6detail17trampoline_kernelINS0_14default_configENS1_38merge_sort_block_merge_config_selectorIalEEZZNS1_27merge_sort_block_merge_implIS3_PaN6thrust23THRUST_200600_302600_NS10device_ptrIlEEjNS1_19radix_merge_compareILb0ELb0EaNS0_19identity_decomposerEEEEE10hipError_tT0_T1_T2_jT3_P12ihipStream_tbPNSt15iterator_traitsISG_E10value_typeEPNSM_ISH_E10value_typeEPSI_NS1_7vsmem_tEENKUlT_SG_SH_SI_E_clIS7_S7_SB_PlEESF_SV_SG_SH_SI_EUlSV_E0_NS1_11comp_targetILNS1_3genE9ELNS1_11target_archE1100ELNS1_3gpuE3ELNS1_3repE0EEENS1_38merge_mergepath_config_static_selectorELNS0_4arch9wavefront6targetE1EEEvSH_.private_seg_size, 0
	.set _ZN7rocprim17ROCPRIM_400000_NS6detail17trampoline_kernelINS0_14default_configENS1_38merge_sort_block_merge_config_selectorIalEEZZNS1_27merge_sort_block_merge_implIS3_PaN6thrust23THRUST_200600_302600_NS10device_ptrIlEEjNS1_19radix_merge_compareILb0ELb0EaNS0_19identity_decomposerEEEEE10hipError_tT0_T1_T2_jT3_P12ihipStream_tbPNSt15iterator_traitsISG_E10value_typeEPNSM_ISH_E10value_typeEPSI_NS1_7vsmem_tEENKUlT_SG_SH_SI_E_clIS7_S7_SB_PlEESF_SV_SG_SH_SI_EUlSV_E0_NS1_11comp_targetILNS1_3genE9ELNS1_11target_archE1100ELNS1_3gpuE3ELNS1_3repE0EEENS1_38merge_mergepath_config_static_selectorELNS0_4arch9wavefront6targetE1EEEvSH_.uses_vcc, 0
	.set _ZN7rocprim17ROCPRIM_400000_NS6detail17trampoline_kernelINS0_14default_configENS1_38merge_sort_block_merge_config_selectorIalEEZZNS1_27merge_sort_block_merge_implIS3_PaN6thrust23THRUST_200600_302600_NS10device_ptrIlEEjNS1_19radix_merge_compareILb0ELb0EaNS0_19identity_decomposerEEEEE10hipError_tT0_T1_T2_jT3_P12ihipStream_tbPNSt15iterator_traitsISG_E10value_typeEPNSM_ISH_E10value_typeEPSI_NS1_7vsmem_tEENKUlT_SG_SH_SI_E_clIS7_S7_SB_PlEESF_SV_SG_SH_SI_EUlSV_E0_NS1_11comp_targetILNS1_3genE9ELNS1_11target_archE1100ELNS1_3gpuE3ELNS1_3repE0EEENS1_38merge_mergepath_config_static_selectorELNS0_4arch9wavefront6targetE1EEEvSH_.uses_flat_scratch, 0
	.set _ZN7rocprim17ROCPRIM_400000_NS6detail17trampoline_kernelINS0_14default_configENS1_38merge_sort_block_merge_config_selectorIalEEZZNS1_27merge_sort_block_merge_implIS3_PaN6thrust23THRUST_200600_302600_NS10device_ptrIlEEjNS1_19radix_merge_compareILb0ELb0EaNS0_19identity_decomposerEEEEE10hipError_tT0_T1_T2_jT3_P12ihipStream_tbPNSt15iterator_traitsISG_E10value_typeEPNSM_ISH_E10value_typeEPSI_NS1_7vsmem_tEENKUlT_SG_SH_SI_E_clIS7_S7_SB_PlEESF_SV_SG_SH_SI_EUlSV_E0_NS1_11comp_targetILNS1_3genE9ELNS1_11target_archE1100ELNS1_3gpuE3ELNS1_3repE0EEENS1_38merge_mergepath_config_static_selectorELNS0_4arch9wavefront6targetE1EEEvSH_.has_dyn_sized_stack, 0
	.set _ZN7rocprim17ROCPRIM_400000_NS6detail17trampoline_kernelINS0_14default_configENS1_38merge_sort_block_merge_config_selectorIalEEZZNS1_27merge_sort_block_merge_implIS3_PaN6thrust23THRUST_200600_302600_NS10device_ptrIlEEjNS1_19radix_merge_compareILb0ELb0EaNS0_19identity_decomposerEEEEE10hipError_tT0_T1_T2_jT3_P12ihipStream_tbPNSt15iterator_traitsISG_E10value_typeEPNSM_ISH_E10value_typeEPSI_NS1_7vsmem_tEENKUlT_SG_SH_SI_E_clIS7_S7_SB_PlEESF_SV_SG_SH_SI_EUlSV_E0_NS1_11comp_targetILNS1_3genE9ELNS1_11target_archE1100ELNS1_3gpuE3ELNS1_3repE0EEENS1_38merge_mergepath_config_static_selectorELNS0_4arch9wavefront6targetE1EEEvSH_.has_recursion, 0
	.set _ZN7rocprim17ROCPRIM_400000_NS6detail17trampoline_kernelINS0_14default_configENS1_38merge_sort_block_merge_config_selectorIalEEZZNS1_27merge_sort_block_merge_implIS3_PaN6thrust23THRUST_200600_302600_NS10device_ptrIlEEjNS1_19radix_merge_compareILb0ELb0EaNS0_19identity_decomposerEEEEE10hipError_tT0_T1_T2_jT3_P12ihipStream_tbPNSt15iterator_traitsISG_E10value_typeEPNSM_ISH_E10value_typeEPSI_NS1_7vsmem_tEENKUlT_SG_SH_SI_E_clIS7_S7_SB_PlEESF_SV_SG_SH_SI_EUlSV_E0_NS1_11comp_targetILNS1_3genE9ELNS1_11target_archE1100ELNS1_3gpuE3ELNS1_3repE0EEENS1_38merge_mergepath_config_static_selectorELNS0_4arch9wavefront6targetE1EEEvSH_.has_indirect_call, 0
	.section	.AMDGPU.csdata,"",@progbits
; Kernel info:
; codeLenInByte = 0
; TotalNumSgprs: 4
; NumVgprs: 0
; ScratchSize: 0
; MemoryBound: 0
; FloatMode: 240
; IeeeMode: 1
; LDSByteSize: 0 bytes/workgroup (compile time only)
; SGPRBlocks: 0
; VGPRBlocks: 0
; NumSGPRsForWavesPerEU: 4
; NumVGPRsForWavesPerEU: 1
; Occupancy: 10
; WaveLimiterHint : 0
; COMPUTE_PGM_RSRC2:SCRATCH_EN: 0
; COMPUTE_PGM_RSRC2:USER_SGPR: 6
; COMPUTE_PGM_RSRC2:TRAP_HANDLER: 0
; COMPUTE_PGM_RSRC2:TGID_X_EN: 1
; COMPUTE_PGM_RSRC2:TGID_Y_EN: 0
; COMPUTE_PGM_RSRC2:TGID_Z_EN: 0
; COMPUTE_PGM_RSRC2:TIDIG_COMP_CNT: 0
	.section	.text._ZN7rocprim17ROCPRIM_400000_NS6detail17trampoline_kernelINS0_14default_configENS1_38merge_sort_block_merge_config_selectorIalEEZZNS1_27merge_sort_block_merge_implIS3_PaN6thrust23THRUST_200600_302600_NS10device_ptrIlEEjNS1_19radix_merge_compareILb0ELb0EaNS0_19identity_decomposerEEEEE10hipError_tT0_T1_T2_jT3_P12ihipStream_tbPNSt15iterator_traitsISG_E10value_typeEPNSM_ISH_E10value_typeEPSI_NS1_7vsmem_tEENKUlT_SG_SH_SI_E_clIS7_S7_SB_PlEESF_SV_SG_SH_SI_EUlSV_E0_NS1_11comp_targetILNS1_3genE8ELNS1_11target_archE1030ELNS1_3gpuE2ELNS1_3repE0EEENS1_38merge_mergepath_config_static_selectorELNS0_4arch9wavefront6targetE1EEEvSH_,"axG",@progbits,_ZN7rocprim17ROCPRIM_400000_NS6detail17trampoline_kernelINS0_14default_configENS1_38merge_sort_block_merge_config_selectorIalEEZZNS1_27merge_sort_block_merge_implIS3_PaN6thrust23THRUST_200600_302600_NS10device_ptrIlEEjNS1_19radix_merge_compareILb0ELb0EaNS0_19identity_decomposerEEEEE10hipError_tT0_T1_T2_jT3_P12ihipStream_tbPNSt15iterator_traitsISG_E10value_typeEPNSM_ISH_E10value_typeEPSI_NS1_7vsmem_tEENKUlT_SG_SH_SI_E_clIS7_S7_SB_PlEESF_SV_SG_SH_SI_EUlSV_E0_NS1_11comp_targetILNS1_3genE8ELNS1_11target_archE1030ELNS1_3gpuE2ELNS1_3repE0EEENS1_38merge_mergepath_config_static_selectorELNS0_4arch9wavefront6targetE1EEEvSH_,comdat
	.protected	_ZN7rocprim17ROCPRIM_400000_NS6detail17trampoline_kernelINS0_14default_configENS1_38merge_sort_block_merge_config_selectorIalEEZZNS1_27merge_sort_block_merge_implIS3_PaN6thrust23THRUST_200600_302600_NS10device_ptrIlEEjNS1_19radix_merge_compareILb0ELb0EaNS0_19identity_decomposerEEEEE10hipError_tT0_T1_T2_jT3_P12ihipStream_tbPNSt15iterator_traitsISG_E10value_typeEPNSM_ISH_E10value_typeEPSI_NS1_7vsmem_tEENKUlT_SG_SH_SI_E_clIS7_S7_SB_PlEESF_SV_SG_SH_SI_EUlSV_E0_NS1_11comp_targetILNS1_3genE8ELNS1_11target_archE1030ELNS1_3gpuE2ELNS1_3repE0EEENS1_38merge_mergepath_config_static_selectorELNS0_4arch9wavefront6targetE1EEEvSH_ ; -- Begin function _ZN7rocprim17ROCPRIM_400000_NS6detail17trampoline_kernelINS0_14default_configENS1_38merge_sort_block_merge_config_selectorIalEEZZNS1_27merge_sort_block_merge_implIS3_PaN6thrust23THRUST_200600_302600_NS10device_ptrIlEEjNS1_19radix_merge_compareILb0ELb0EaNS0_19identity_decomposerEEEEE10hipError_tT0_T1_T2_jT3_P12ihipStream_tbPNSt15iterator_traitsISG_E10value_typeEPNSM_ISH_E10value_typeEPSI_NS1_7vsmem_tEENKUlT_SG_SH_SI_E_clIS7_S7_SB_PlEESF_SV_SG_SH_SI_EUlSV_E0_NS1_11comp_targetILNS1_3genE8ELNS1_11target_archE1030ELNS1_3gpuE2ELNS1_3repE0EEENS1_38merge_mergepath_config_static_selectorELNS0_4arch9wavefront6targetE1EEEvSH_
	.globl	_ZN7rocprim17ROCPRIM_400000_NS6detail17trampoline_kernelINS0_14default_configENS1_38merge_sort_block_merge_config_selectorIalEEZZNS1_27merge_sort_block_merge_implIS3_PaN6thrust23THRUST_200600_302600_NS10device_ptrIlEEjNS1_19radix_merge_compareILb0ELb0EaNS0_19identity_decomposerEEEEE10hipError_tT0_T1_T2_jT3_P12ihipStream_tbPNSt15iterator_traitsISG_E10value_typeEPNSM_ISH_E10value_typeEPSI_NS1_7vsmem_tEENKUlT_SG_SH_SI_E_clIS7_S7_SB_PlEESF_SV_SG_SH_SI_EUlSV_E0_NS1_11comp_targetILNS1_3genE8ELNS1_11target_archE1030ELNS1_3gpuE2ELNS1_3repE0EEENS1_38merge_mergepath_config_static_selectorELNS0_4arch9wavefront6targetE1EEEvSH_
	.p2align	8
	.type	_ZN7rocprim17ROCPRIM_400000_NS6detail17trampoline_kernelINS0_14default_configENS1_38merge_sort_block_merge_config_selectorIalEEZZNS1_27merge_sort_block_merge_implIS3_PaN6thrust23THRUST_200600_302600_NS10device_ptrIlEEjNS1_19radix_merge_compareILb0ELb0EaNS0_19identity_decomposerEEEEE10hipError_tT0_T1_T2_jT3_P12ihipStream_tbPNSt15iterator_traitsISG_E10value_typeEPNSM_ISH_E10value_typeEPSI_NS1_7vsmem_tEENKUlT_SG_SH_SI_E_clIS7_S7_SB_PlEESF_SV_SG_SH_SI_EUlSV_E0_NS1_11comp_targetILNS1_3genE8ELNS1_11target_archE1030ELNS1_3gpuE2ELNS1_3repE0EEENS1_38merge_mergepath_config_static_selectorELNS0_4arch9wavefront6targetE1EEEvSH_,@function
_ZN7rocprim17ROCPRIM_400000_NS6detail17trampoline_kernelINS0_14default_configENS1_38merge_sort_block_merge_config_selectorIalEEZZNS1_27merge_sort_block_merge_implIS3_PaN6thrust23THRUST_200600_302600_NS10device_ptrIlEEjNS1_19radix_merge_compareILb0ELb0EaNS0_19identity_decomposerEEEEE10hipError_tT0_T1_T2_jT3_P12ihipStream_tbPNSt15iterator_traitsISG_E10value_typeEPNSM_ISH_E10value_typeEPSI_NS1_7vsmem_tEENKUlT_SG_SH_SI_E_clIS7_S7_SB_PlEESF_SV_SG_SH_SI_EUlSV_E0_NS1_11comp_targetILNS1_3genE8ELNS1_11target_archE1030ELNS1_3gpuE2ELNS1_3repE0EEENS1_38merge_mergepath_config_static_selectorELNS0_4arch9wavefront6targetE1EEEvSH_: ; @_ZN7rocprim17ROCPRIM_400000_NS6detail17trampoline_kernelINS0_14default_configENS1_38merge_sort_block_merge_config_selectorIalEEZZNS1_27merge_sort_block_merge_implIS3_PaN6thrust23THRUST_200600_302600_NS10device_ptrIlEEjNS1_19radix_merge_compareILb0ELb0EaNS0_19identity_decomposerEEEEE10hipError_tT0_T1_T2_jT3_P12ihipStream_tbPNSt15iterator_traitsISG_E10value_typeEPNSM_ISH_E10value_typeEPSI_NS1_7vsmem_tEENKUlT_SG_SH_SI_E_clIS7_S7_SB_PlEESF_SV_SG_SH_SI_EUlSV_E0_NS1_11comp_targetILNS1_3genE8ELNS1_11target_archE1030ELNS1_3gpuE2ELNS1_3repE0EEENS1_38merge_mergepath_config_static_selectorELNS0_4arch9wavefront6targetE1EEEvSH_
; %bb.0:
	.section	.rodata,"a",@progbits
	.p2align	6, 0x0
	.amdhsa_kernel _ZN7rocprim17ROCPRIM_400000_NS6detail17trampoline_kernelINS0_14default_configENS1_38merge_sort_block_merge_config_selectorIalEEZZNS1_27merge_sort_block_merge_implIS3_PaN6thrust23THRUST_200600_302600_NS10device_ptrIlEEjNS1_19radix_merge_compareILb0ELb0EaNS0_19identity_decomposerEEEEE10hipError_tT0_T1_T2_jT3_P12ihipStream_tbPNSt15iterator_traitsISG_E10value_typeEPNSM_ISH_E10value_typeEPSI_NS1_7vsmem_tEENKUlT_SG_SH_SI_E_clIS7_S7_SB_PlEESF_SV_SG_SH_SI_EUlSV_E0_NS1_11comp_targetILNS1_3genE8ELNS1_11target_archE1030ELNS1_3gpuE2ELNS1_3repE0EEENS1_38merge_mergepath_config_static_selectorELNS0_4arch9wavefront6targetE1EEEvSH_
		.amdhsa_group_segment_fixed_size 0
		.amdhsa_private_segment_fixed_size 0
		.amdhsa_kernarg_size 64
		.amdhsa_user_sgpr_count 6
		.amdhsa_user_sgpr_private_segment_buffer 1
		.amdhsa_user_sgpr_dispatch_ptr 0
		.amdhsa_user_sgpr_queue_ptr 0
		.amdhsa_user_sgpr_kernarg_segment_ptr 1
		.amdhsa_user_sgpr_dispatch_id 0
		.amdhsa_user_sgpr_flat_scratch_init 0
		.amdhsa_user_sgpr_private_segment_size 0
		.amdhsa_uses_dynamic_stack 0
		.amdhsa_system_sgpr_private_segment_wavefront_offset 0
		.amdhsa_system_sgpr_workgroup_id_x 1
		.amdhsa_system_sgpr_workgroup_id_y 0
		.amdhsa_system_sgpr_workgroup_id_z 0
		.amdhsa_system_sgpr_workgroup_info 0
		.amdhsa_system_vgpr_workitem_id 0
		.amdhsa_next_free_vgpr 1
		.amdhsa_next_free_sgpr 0
		.amdhsa_reserve_vcc 0
		.amdhsa_reserve_flat_scratch 0
		.amdhsa_float_round_mode_32 0
		.amdhsa_float_round_mode_16_64 0
		.amdhsa_float_denorm_mode_32 3
		.amdhsa_float_denorm_mode_16_64 3
		.amdhsa_dx10_clamp 1
		.amdhsa_ieee_mode 1
		.amdhsa_fp16_overflow 0
		.amdhsa_exception_fp_ieee_invalid_op 0
		.amdhsa_exception_fp_denorm_src 0
		.amdhsa_exception_fp_ieee_div_zero 0
		.amdhsa_exception_fp_ieee_overflow 0
		.amdhsa_exception_fp_ieee_underflow 0
		.amdhsa_exception_fp_ieee_inexact 0
		.amdhsa_exception_int_div_zero 0
	.end_amdhsa_kernel
	.section	.text._ZN7rocprim17ROCPRIM_400000_NS6detail17trampoline_kernelINS0_14default_configENS1_38merge_sort_block_merge_config_selectorIalEEZZNS1_27merge_sort_block_merge_implIS3_PaN6thrust23THRUST_200600_302600_NS10device_ptrIlEEjNS1_19radix_merge_compareILb0ELb0EaNS0_19identity_decomposerEEEEE10hipError_tT0_T1_T2_jT3_P12ihipStream_tbPNSt15iterator_traitsISG_E10value_typeEPNSM_ISH_E10value_typeEPSI_NS1_7vsmem_tEENKUlT_SG_SH_SI_E_clIS7_S7_SB_PlEESF_SV_SG_SH_SI_EUlSV_E0_NS1_11comp_targetILNS1_3genE8ELNS1_11target_archE1030ELNS1_3gpuE2ELNS1_3repE0EEENS1_38merge_mergepath_config_static_selectorELNS0_4arch9wavefront6targetE1EEEvSH_,"axG",@progbits,_ZN7rocprim17ROCPRIM_400000_NS6detail17trampoline_kernelINS0_14default_configENS1_38merge_sort_block_merge_config_selectorIalEEZZNS1_27merge_sort_block_merge_implIS3_PaN6thrust23THRUST_200600_302600_NS10device_ptrIlEEjNS1_19radix_merge_compareILb0ELb0EaNS0_19identity_decomposerEEEEE10hipError_tT0_T1_T2_jT3_P12ihipStream_tbPNSt15iterator_traitsISG_E10value_typeEPNSM_ISH_E10value_typeEPSI_NS1_7vsmem_tEENKUlT_SG_SH_SI_E_clIS7_S7_SB_PlEESF_SV_SG_SH_SI_EUlSV_E0_NS1_11comp_targetILNS1_3genE8ELNS1_11target_archE1030ELNS1_3gpuE2ELNS1_3repE0EEENS1_38merge_mergepath_config_static_selectorELNS0_4arch9wavefront6targetE1EEEvSH_,comdat
.Lfunc_end517:
	.size	_ZN7rocprim17ROCPRIM_400000_NS6detail17trampoline_kernelINS0_14default_configENS1_38merge_sort_block_merge_config_selectorIalEEZZNS1_27merge_sort_block_merge_implIS3_PaN6thrust23THRUST_200600_302600_NS10device_ptrIlEEjNS1_19radix_merge_compareILb0ELb0EaNS0_19identity_decomposerEEEEE10hipError_tT0_T1_T2_jT3_P12ihipStream_tbPNSt15iterator_traitsISG_E10value_typeEPNSM_ISH_E10value_typeEPSI_NS1_7vsmem_tEENKUlT_SG_SH_SI_E_clIS7_S7_SB_PlEESF_SV_SG_SH_SI_EUlSV_E0_NS1_11comp_targetILNS1_3genE8ELNS1_11target_archE1030ELNS1_3gpuE2ELNS1_3repE0EEENS1_38merge_mergepath_config_static_selectorELNS0_4arch9wavefront6targetE1EEEvSH_, .Lfunc_end517-_ZN7rocprim17ROCPRIM_400000_NS6detail17trampoline_kernelINS0_14default_configENS1_38merge_sort_block_merge_config_selectorIalEEZZNS1_27merge_sort_block_merge_implIS3_PaN6thrust23THRUST_200600_302600_NS10device_ptrIlEEjNS1_19radix_merge_compareILb0ELb0EaNS0_19identity_decomposerEEEEE10hipError_tT0_T1_T2_jT3_P12ihipStream_tbPNSt15iterator_traitsISG_E10value_typeEPNSM_ISH_E10value_typeEPSI_NS1_7vsmem_tEENKUlT_SG_SH_SI_E_clIS7_S7_SB_PlEESF_SV_SG_SH_SI_EUlSV_E0_NS1_11comp_targetILNS1_3genE8ELNS1_11target_archE1030ELNS1_3gpuE2ELNS1_3repE0EEENS1_38merge_mergepath_config_static_selectorELNS0_4arch9wavefront6targetE1EEEvSH_
                                        ; -- End function
	.set _ZN7rocprim17ROCPRIM_400000_NS6detail17trampoline_kernelINS0_14default_configENS1_38merge_sort_block_merge_config_selectorIalEEZZNS1_27merge_sort_block_merge_implIS3_PaN6thrust23THRUST_200600_302600_NS10device_ptrIlEEjNS1_19radix_merge_compareILb0ELb0EaNS0_19identity_decomposerEEEEE10hipError_tT0_T1_T2_jT3_P12ihipStream_tbPNSt15iterator_traitsISG_E10value_typeEPNSM_ISH_E10value_typeEPSI_NS1_7vsmem_tEENKUlT_SG_SH_SI_E_clIS7_S7_SB_PlEESF_SV_SG_SH_SI_EUlSV_E0_NS1_11comp_targetILNS1_3genE8ELNS1_11target_archE1030ELNS1_3gpuE2ELNS1_3repE0EEENS1_38merge_mergepath_config_static_selectorELNS0_4arch9wavefront6targetE1EEEvSH_.num_vgpr, 0
	.set _ZN7rocprim17ROCPRIM_400000_NS6detail17trampoline_kernelINS0_14default_configENS1_38merge_sort_block_merge_config_selectorIalEEZZNS1_27merge_sort_block_merge_implIS3_PaN6thrust23THRUST_200600_302600_NS10device_ptrIlEEjNS1_19radix_merge_compareILb0ELb0EaNS0_19identity_decomposerEEEEE10hipError_tT0_T1_T2_jT3_P12ihipStream_tbPNSt15iterator_traitsISG_E10value_typeEPNSM_ISH_E10value_typeEPSI_NS1_7vsmem_tEENKUlT_SG_SH_SI_E_clIS7_S7_SB_PlEESF_SV_SG_SH_SI_EUlSV_E0_NS1_11comp_targetILNS1_3genE8ELNS1_11target_archE1030ELNS1_3gpuE2ELNS1_3repE0EEENS1_38merge_mergepath_config_static_selectorELNS0_4arch9wavefront6targetE1EEEvSH_.num_agpr, 0
	.set _ZN7rocprim17ROCPRIM_400000_NS6detail17trampoline_kernelINS0_14default_configENS1_38merge_sort_block_merge_config_selectorIalEEZZNS1_27merge_sort_block_merge_implIS3_PaN6thrust23THRUST_200600_302600_NS10device_ptrIlEEjNS1_19radix_merge_compareILb0ELb0EaNS0_19identity_decomposerEEEEE10hipError_tT0_T1_T2_jT3_P12ihipStream_tbPNSt15iterator_traitsISG_E10value_typeEPNSM_ISH_E10value_typeEPSI_NS1_7vsmem_tEENKUlT_SG_SH_SI_E_clIS7_S7_SB_PlEESF_SV_SG_SH_SI_EUlSV_E0_NS1_11comp_targetILNS1_3genE8ELNS1_11target_archE1030ELNS1_3gpuE2ELNS1_3repE0EEENS1_38merge_mergepath_config_static_selectorELNS0_4arch9wavefront6targetE1EEEvSH_.numbered_sgpr, 0
	.set _ZN7rocprim17ROCPRIM_400000_NS6detail17trampoline_kernelINS0_14default_configENS1_38merge_sort_block_merge_config_selectorIalEEZZNS1_27merge_sort_block_merge_implIS3_PaN6thrust23THRUST_200600_302600_NS10device_ptrIlEEjNS1_19radix_merge_compareILb0ELb0EaNS0_19identity_decomposerEEEEE10hipError_tT0_T1_T2_jT3_P12ihipStream_tbPNSt15iterator_traitsISG_E10value_typeEPNSM_ISH_E10value_typeEPSI_NS1_7vsmem_tEENKUlT_SG_SH_SI_E_clIS7_S7_SB_PlEESF_SV_SG_SH_SI_EUlSV_E0_NS1_11comp_targetILNS1_3genE8ELNS1_11target_archE1030ELNS1_3gpuE2ELNS1_3repE0EEENS1_38merge_mergepath_config_static_selectorELNS0_4arch9wavefront6targetE1EEEvSH_.num_named_barrier, 0
	.set _ZN7rocprim17ROCPRIM_400000_NS6detail17trampoline_kernelINS0_14default_configENS1_38merge_sort_block_merge_config_selectorIalEEZZNS1_27merge_sort_block_merge_implIS3_PaN6thrust23THRUST_200600_302600_NS10device_ptrIlEEjNS1_19radix_merge_compareILb0ELb0EaNS0_19identity_decomposerEEEEE10hipError_tT0_T1_T2_jT3_P12ihipStream_tbPNSt15iterator_traitsISG_E10value_typeEPNSM_ISH_E10value_typeEPSI_NS1_7vsmem_tEENKUlT_SG_SH_SI_E_clIS7_S7_SB_PlEESF_SV_SG_SH_SI_EUlSV_E0_NS1_11comp_targetILNS1_3genE8ELNS1_11target_archE1030ELNS1_3gpuE2ELNS1_3repE0EEENS1_38merge_mergepath_config_static_selectorELNS0_4arch9wavefront6targetE1EEEvSH_.private_seg_size, 0
	.set _ZN7rocprim17ROCPRIM_400000_NS6detail17trampoline_kernelINS0_14default_configENS1_38merge_sort_block_merge_config_selectorIalEEZZNS1_27merge_sort_block_merge_implIS3_PaN6thrust23THRUST_200600_302600_NS10device_ptrIlEEjNS1_19radix_merge_compareILb0ELb0EaNS0_19identity_decomposerEEEEE10hipError_tT0_T1_T2_jT3_P12ihipStream_tbPNSt15iterator_traitsISG_E10value_typeEPNSM_ISH_E10value_typeEPSI_NS1_7vsmem_tEENKUlT_SG_SH_SI_E_clIS7_S7_SB_PlEESF_SV_SG_SH_SI_EUlSV_E0_NS1_11comp_targetILNS1_3genE8ELNS1_11target_archE1030ELNS1_3gpuE2ELNS1_3repE0EEENS1_38merge_mergepath_config_static_selectorELNS0_4arch9wavefront6targetE1EEEvSH_.uses_vcc, 0
	.set _ZN7rocprim17ROCPRIM_400000_NS6detail17trampoline_kernelINS0_14default_configENS1_38merge_sort_block_merge_config_selectorIalEEZZNS1_27merge_sort_block_merge_implIS3_PaN6thrust23THRUST_200600_302600_NS10device_ptrIlEEjNS1_19radix_merge_compareILb0ELb0EaNS0_19identity_decomposerEEEEE10hipError_tT0_T1_T2_jT3_P12ihipStream_tbPNSt15iterator_traitsISG_E10value_typeEPNSM_ISH_E10value_typeEPSI_NS1_7vsmem_tEENKUlT_SG_SH_SI_E_clIS7_S7_SB_PlEESF_SV_SG_SH_SI_EUlSV_E0_NS1_11comp_targetILNS1_3genE8ELNS1_11target_archE1030ELNS1_3gpuE2ELNS1_3repE0EEENS1_38merge_mergepath_config_static_selectorELNS0_4arch9wavefront6targetE1EEEvSH_.uses_flat_scratch, 0
	.set _ZN7rocprim17ROCPRIM_400000_NS6detail17trampoline_kernelINS0_14default_configENS1_38merge_sort_block_merge_config_selectorIalEEZZNS1_27merge_sort_block_merge_implIS3_PaN6thrust23THRUST_200600_302600_NS10device_ptrIlEEjNS1_19radix_merge_compareILb0ELb0EaNS0_19identity_decomposerEEEEE10hipError_tT0_T1_T2_jT3_P12ihipStream_tbPNSt15iterator_traitsISG_E10value_typeEPNSM_ISH_E10value_typeEPSI_NS1_7vsmem_tEENKUlT_SG_SH_SI_E_clIS7_S7_SB_PlEESF_SV_SG_SH_SI_EUlSV_E0_NS1_11comp_targetILNS1_3genE8ELNS1_11target_archE1030ELNS1_3gpuE2ELNS1_3repE0EEENS1_38merge_mergepath_config_static_selectorELNS0_4arch9wavefront6targetE1EEEvSH_.has_dyn_sized_stack, 0
	.set _ZN7rocprim17ROCPRIM_400000_NS6detail17trampoline_kernelINS0_14default_configENS1_38merge_sort_block_merge_config_selectorIalEEZZNS1_27merge_sort_block_merge_implIS3_PaN6thrust23THRUST_200600_302600_NS10device_ptrIlEEjNS1_19radix_merge_compareILb0ELb0EaNS0_19identity_decomposerEEEEE10hipError_tT0_T1_T2_jT3_P12ihipStream_tbPNSt15iterator_traitsISG_E10value_typeEPNSM_ISH_E10value_typeEPSI_NS1_7vsmem_tEENKUlT_SG_SH_SI_E_clIS7_S7_SB_PlEESF_SV_SG_SH_SI_EUlSV_E0_NS1_11comp_targetILNS1_3genE8ELNS1_11target_archE1030ELNS1_3gpuE2ELNS1_3repE0EEENS1_38merge_mergepath_config_static_selectorELNS0_4arch9wavefront6targetE1EEEvSH_.has_recursion, 0
	.set _ZN7rocprim17ROCPRIM_400000_NS6detail17trampoline_kernelINS0_14default_configENS1_38merge_sort_block_merge_config_selectorIalEEZZNS1_27merge_sort_block_merge_implIS3_PaN6thrust23THRUST_200600_302600_NS10device_ptrIlEEjNS1_19radix_merge_compareILb0ELb0EaNS0_19identity_decomposerEEEEE10hipError_tT0_T1_T2_jT3_P12ihipStream_tbPNSt15iterator_traitsISG_E10value_typeEPNSM_ISH_E10value_typeEPSI_NS1_7vsmem_tEENKUlT_SG_SH_SI_E_clIS7_S7_SB_PlEESF_SV_SG_SH_SI_EUlSV_E0_NS1_11comp_targetILNS1_3genE8ELNS1_11target_archE1030ELNS1_3gpuE2ELNS1_3repE0EEENS1_38merge_mergepath_config_static_selectorELNS0_4arch9wavefront6targetE1EEEvSH_.has_indirect_call, 0
	.section	.AMDGPU.csdata,"",@progbits
; Kernel info:
; codeLenInByte = 0
; TotalNumSgprs: 4
; NumVgprs: 0
; ScratchSize: 0
; MemoryBound: 0
; FloatMode: 240
; IeeeMode: 1
; LDSByteSize: 0 bytes/workgroup (compile time only)
; SGPRBlocks: 0
; VGPRBlocks: 0
; NumSGPRsForWavesPerEU: 4
; NumVGPRsForWavesPerEU: 1
; Occupancy: 10
; WaveLimiterHint : 0
; COMPUTE_PGM_RSRC2:SCRATCH_EN: 0
; COMPUTE_PGM_RSRC2:USER_SGPR: 6
; COMPUTE_PGM_RSRC2:TRAP_HANDLER: 0
; COMPUTE_PGM_RSRC2:TGID_X_EN: 1
; COMPUTE_PGM_RSRC2:TGID_Y_EN: 0
; COMPUTE_PGM_RSRC2:TGID_Z_EN: 0
; COMPUTE_PGM_RSRC2:TIDIG_COMP_CNT: 0
	.section	.text._ZN7rocprim17ROCPRIM_400000_NS6detail17trampoline_kernelINS0_14default_configENS1_38merge_sort_block_merge_config_selectorIalEEZZNS1_27merge_sort_block_merge_implIS3_PaN6thrust23THRUST_200600_302600_NS10device_ptrIlEEjNS1_19radix_merge_compareILb0ELb0EaNS0_19identity_decomposerEEEEE10hipError_tT0_T1_T2_jT3_P12ihipStream_tbPNSt15iterator_traitsISG_E10value_typeEPNSM_ISH_E10value_typeEPSI_NS1_7vsmem_tEENKUlT_SG_SH_SI_E_clIS7_S7_SB_PlEESF_SV_SG_SH_SI_EUlSV_E1_NS1_11comp_targetILNS1_3genE0ELNS1_11target_archE4294967295ELNS1_3gpuE0ELNS1_3repE0EEENS1_36merge_oddeven_config_static_selectorELNS0_4arch9wavefront6targetE1EEEvSH_,"axG",@progbits,_ZN7rocprim17ROCPRIM_400000_NS6detail17trampoline_kernelINS0_14default_configENS1_38merge_sort_block_merge_config_selectorIalEEZZNS1_27merge_sort_block_merge_implIS3_PaN6thrust23THRUST_200600_302600_NS10device_ptrIlEEjNS1_19radix_merge_compareILb0ELb0EaNS0_19identity_decomposerEEEEE10hipError_tT0_T1_T2_jT3_P12ihipStream_tbPNSt15iterator_traitsISG_E10value_typeEPNSM_ISH_E10value_typeEPSI_NS1_7vsmem_tEENKUlT_SG_SH_SI_E_clIS7_S7_SB_PlEESF_SV_SG_SH_SI_EUlSV_E1_NS1_11comp_targetILNS1_3genE0ELNS1_11target_archE4294967295ELNS1_3gpuE0ELNS1_3repE0EEENS1_36merge_oddeven_config_static_selectorELNS0_4arch9wavefront6targetE1EEEvSH_,comdat
	.protected	_ZN7rocprim17ROCPRIM_400000_NS6detail17trampoline_kernelINS0_14default_configENS1_38merge_sort_block_merge_config_selectorIalEEZZNS1_27merge_sort_block_merge_implIS3_PaN6thrust23THRUST_200600_302600_NS10device_ptrIlEEjNS1_19radix_merge_compareILb0ELb0EaNS0_19identity_decomposerEEEEE10hipError_tT0_T1_T2_jT3_P12ihipStream_tbPNSt15iterator_traitsISG_E10value_typeEPNSM_ISH_E10value_typeEPSI_NS1_7vsmem_tEENKUlT_SG_SH_SI_E_clIS7_S7_SB_PlEESF_SV_SG_SH_SI_EUlSV_E1_NS1_11comp_targetILNS1_3genE0ELNS1_11target_archE4294967295ELNS1_3gpuE0ELNS1_3repE0EEENS1_36merge_oddeven_config_static_selectorELNS0_4arch9wavefront6targetE1EEEvSH_ ; -- Begin function _ZN7rocprim17ROCPRIM_400000_NS6detail17trampoline_kernelINS0_14default_configENS1_38merge_sort_block_merge_config_selectorIalEEZZNS1_27merge_sort_block_merge_implIS3_PaN6thrust23THRUST_200600_302600_NS10device_ptrIlEEjNS1_19radix_merge_compareILb0ELb0EaNS0_19identity_decomposerEEEEE10hipError_tT0_T1_T2_jT3_P12ihipStream_tbPNSt15iterator_traitsISG_E10value_typeEPNSM_ISH_E10value_typeEPSI_NS1_7vsmem_tEENKUlT_SG_SH_SI_E_clIS7_S7_SB_PlEESF_SV_SG_SH_SI_EUlSV_E1_NS1_11comp_targetILNS1_3genE0ELNS1_11target_archE4294967295ELNS1_3gpuE0ELNS1_3repE0EEENS1_36merge_oddeven_config_static_selectorELNS0_4arch9wavefront6targetE1EEEvSH_
	.globl	_ZN7rocprim17ROCPRIM_400000_NS6detail17trampoline_kernelINS0_14default_configENS1_38merge_sort_block_merge_config_selectorIalEEZZNS1_27merge_sort_block_merge_implIS3_PaN6thrust23THRUST_200600_302600_NS10device_ptrIlEEjNS1_19radix_merge_compareILb0ELb0EaNS0_19identity_decomposerEEEEE10hipError_tT0_T1_T2_jT3_P12ihipStream_tbPNSt15iterator_traitsISG_E10value_typeEPNSM_ISH_E10value_typeEPSI_NS1_7vsmem_tEENKUlT_SG_SH_SI_E_clIS7_S7_SB_PlEESF_SV_SG_SH_SI_EUlSV_E1_NS1_11comp_targetILNS1_3genE0ELNS1_11target_archE4294967295ELNS1_3gpuE0ELNS1_3repE0EEENS1_36merge_oddeven_config_static_selectorELNS0_4arch9wavefront6targetE1EEEvSH_
	.p2align	8
	.type	_ZN7rocprim17ROCPRIM_400000_NS6detail17trampoline_kernelINS0_14default_configENS1_38merge_sort_block_merge_config_selectorIalEEZZNS1_27merge_sort_block_merge_implIS3_PaN6thrust23THRUST_200600_302600_NS10device_ptrIlEEjNS1_19radix_merge_compareILb0ELb0EaNS0_19identity_decomposerEEEEE10hipError_tT0_T1_T2_jT3_P12ihipStream_tbPNSt15iterator_traitsISG_E10value_typeEPNSM_ISH_E10value_typeEPSI_NS1_7vsmem_tEENKUlT_SG_SH_SI_E_clIS7_S7_SB_PlEESF_SV_SG_SH_SI_EUlSV_E1_NS1_11comp_targetILNS1_3genE0ELNS1_11target_archE4294967295ELNS1_3gpuE0ELNS1_3repE0EEENS1_36merge_oddeven_config_static_selectorELNS0_4arch9wavefront6targetE1EEEvSH_,@function
_ZN7rocprim17ROCPRIM_400000_NS6detail17trampoline_kernelINS0_14default_configENS1_38merge_sort_block_merge_config_selectorIalEEZZNS1_27merge_sort_block_merge_implIS3_PaN6thrust23THRUST_200600_302600_NS10device_ptrIlEEjNS1_19radix_merge_compareILb0ELb0EaNS0_19identity_decomposerEEEEE10hipError_tT0_T1_T2_jT3_P12ihipStream_tbPNSt15iterator_traitsISG_E10value_typeEPNSM_ISH_E10value_typeEPSI_NS1_7vsmem_tEENKUlT_SG_SH_SI_E_clIS7_S7_SB_PlEESF_SV_SG_SH_SI_EUlSV_E1_NS1_11comp_targetILNS1_3genE0ELNS1_11target_archE4294967295ELNS1_3gpuE0ELNS1_3repE0EEENS1_36merge_oddeven_config_static_selectorELNS0_4arch9wavefront6targetE1EEEvSH_: ; @_ZN7rocprim17ROCPRIM_400000_NS6detail17trampoline_kernelINS0_14default_configENS1_38merge_sort_block_merge_config_selectorIalEEZZNS1_27merge_sort_block_merge_implIS3_PaN6thrust23THRUST_200600_302600_NS10device_ptrIlEEjNS1_19radix_merge_compareILb0ELb0EaNS0_19identity_decomposerEEEEE10hipError_tT0_T1_T2_jT3_P12ihipStream_tbPNSt15iterator_traitsISG_E10value_typeEPNSM_ISH_E10value_typeEPSI_NS1_7vsmem_tEENKUlT_SG_SH_SI_E_clIS7_S7_SB_PlEESF_SV_SG_SH_SI_EUlSV_E1_NS1_11comp_targetILNS1_3genE0ELNS1_11target_archE4294967295ELNS1_3gpuE0ELNS1_3repE0EEENS1_36merge_oddeven_config_static_selectorELNS0_4arch9wavefront6targetE1EEEvSH_
; %bb.0:
	.section	.rodata,"a",@progbits
	.p2align	6, 0x0
	.amdhsa_kernel _ZN7rocprim17ROCPRIM_400000_NS6detail17trampoline_kernelINS0_14default_configENS1_38merge_sort_block_merge_config_selectorIalEEZZNS1_27merge_sort_block_merge_implIS3_PaN6thrust23THRUST_200600_302600_NS10device_ptrIlEEjNS1_19radix_merge_compareILb0ELb0EaNS0_19identity_decomposerEEEEE10hipError_tT0_T1_T2_jT3_P12ihipStream_tbPNSt15iterator_traitsISG_E10value_typeEPNSM_ISH_E10value_typeEPSI_NS1_7vsmem_tEENKUlT_SG_SH_SI_E_clIS7_S7_SB_PlEESF_SV_SG_SH_SI_EUlSV_E1_NS1_11comp_targetILNS1_3genE0ELNS1_11target_archE4294967295ELNS1_3gpuE0ELNS1_3repE0EEENS1_36merge_oddeven_config_static_selectorELNS0_4arch9wavefront6targetE1EEEvSH_
		.amdhsa_group_segment_fixed_size 0
		.amdhsa_private_segment_fixed_size 0
		.amdhsa_kernarg_size 48
		.amdhsa_user_sgpr_count 6
		.amdhsa_user_sgpr_private_segment_buffer 1
		.amdhsa_user_sgpr_dispatch_ptr 0
		.amdhsa_user_sgpr_queue_ptr 0
		.amdhsa_user_sgpr_kernarg_segment_ptr 1
		.amdhsa_user_sgpr_dispatch_id 0
		.amdhsa_user_sgpr_flat_scratch_init 0
		.amdhsa_user_sgpr_private_segment_size 0
		.amdhsa_uses_dynamic_stack 0
		.amdhsa_system_sgpr_private_segment_wavefront_offset 0
		.amdhsa_system_sgpr_workgroup_id_x 1
		.amdhsa_system_sgpr_workgroup_id_y 0
		.amdhsa_system_sgpr_workgroup_id_z 0
		.amdhsa_system_sgpr_workgroup_info 0
		.amdhsa_system_vgpr_workitem_id 0
		.amdhsa_next_free_vgpr 1
		.amdhsa_next_free_sgpr 0
		.amdhsa_reserve_vcc 0
		.amdhsa_reserve_flat_scratch 0
		.amdhsa_float_round_mode_32 0
		.amdhsa_float_round_mode_16_64 0
		.amdhsa_float_denorm_mode_32 3
		.amdhsa_float_denorm_mode_16_64 3
		.amdhsa_dx10_clamp 1
		.amdhsa_ieee_mode 1
		.amdhsa_fp16_overflow 0
		.amdhsa_exception_fp_ieee_invalid_op 0
		.amdhsa_exception_fp_denorm_src 0
		.amdhsa_exception_fp_ieee_div_zero 0
		.amdhsa_exception_fp_ieee_overflow 0
		.amdhsa_exception_fp_ieee_underflow 0
		.amdhsa_exception_fp_ieee_inexact 0
		.amdhsa_exception_int_div_zero 0
	.end_amdhsa_kernel
	.section	.text._ZN7rocprim17ROCPRIM_400000_NS6detail17trampoline_kernelINS0_14default_configENS1_38merge_sort_block_merge_config_selectorIalEEZZNS1_27merge_sort_block_merge_implIS3_PaN6thrust23THRUST_200600_302600_NS10device_ptrIlEEjNS1_19radix_merge_compareILb0ELb0EaNS0_19identity_decomposerEEEEE10hipError_tT0_T1_T2_jT3_P12ihipStream_tbPNSt15iterator_traitsISG_E10value_typeEPNSM_ISH_E10value_typeEPSI_NS1_7vsmem_tEENKUlT_SG_SH_SI_E_clIS7_S7_SB_PlEESF_SV_SG_SH_SI_EUlSV_E1_NS1_11comp_targetILNS1_3genE0ELNS1_11target_archE4294967295ELNS1_3gpuE0ELNS1_3repE0EEENS1_36merge_oddeven_config_static_selectorELNS0_4arch9wavefront6targetE1EEEvSH_,"axG",@progbits,_ZN7rocprim17ROCPRIM_400000_NS6detail17trampoline_kernelINS0_14default_configENS1_38merge_sort_block_merge_config_selectorIalEEZZNS1_27merge_sort_block_merge_implIS3_PaN6thrust23THRUST_200600_302600_NS10device_ptrIlEEjNS1_19radix_merge_compareILb0ELb0EaNS0_19identity_decomposerEEEEE10hipError_tT0_T1_T2_jT3_P12ihipStream_tbPNSt15iterator_traitsISG_E10value_typeEPNSM_ISH_E10value_typeEPSI_NS1_7vsmem_tEENKUlT_SG_SH_SI_E_clIS7_S7_SB_PlEESF_SV_SG_SH_SI_EUlSV_E1_NS1_11comp_targetILNS1_3genE0ELNS1_11target_archE4294967295ELNS1_3gpuE0ELNS1_3repE0EEENS1_36merge_oddeven_config_static_selectorELNS0_4arch9wavefront6targetE1EEEvSH_,comdat
.Lfunc_end518:
	.size	_ZN7rocprim17ROCPRIM_400000_NS6detail17trampoline_kernelINS0_14default_configENS1_38merge_sort_block_merge_config_selectorIalEEZZNS1_27merge_sort_block_merge_implIS3_PaN6thrust23THRUST_200600_302600_NS10device_ptrIlEEjNS1_19radix_merge_compareILb0ELb0EaNS0_19identity_decomposerEEEEE10hipError_tT0_T1_T2_jT3_P12ihipStream_tbPNSt15iterator_traitsISG_E10value_typeEPNSM_ISH_E10value_typeEPSI_NS1_7vsmem_tEENKUlT_SG_SH_SI_E_clIS7_S7_SB_PlEESF_SV_SG_SH_SI_EUlSV_E1_NS1_11comp_targetILNS1_3genE0ELNS1_11target_archE4294967295ELNS1_3gpuE0ELNS1_3repE0EEENS1_36merge_oddeven_config_static_selectorELNS0_4arch9wavefront6targetE1EEEvSH_, .Lfunc_end518-_ZN7rocprim17ROCPRIM_400000_NS6detail17trampoline_kernelINS0_14default_configENS1_38merge_sort_block_merge_config_selectorIalEEZZNS1_27merge_sort_block_merge_implIS3_PaN6thrust23THRUST_200600_302600_NS10device_ptrIlEEjNS1_19radix_merge_compareILb0ELb0EaNS0_19identity_decomposerEEEEE10hipError_tT0_T1_T2_jT3_P12ihipStream_tbPNSt15iterator_traitsISG_E10value_typeEPNSM_ISH_E10value_typeEPSI_NS1_7vsmem_tEENKUlT_SG_SH_SI_E_clIS7_S7_SB_PlEESF_SV_SG_SH_SI_EUlSV_E1_NS1_11comp_targetILNS1_3genE0ELNS1_11target_archE4294967295ELNS1_3gpuE0ELNS1_3repE0EEENS1_36merge_oddeven_config_static_selectorELNS0_4arch9wavefront6targetE1EEEvSH_
                                        ; -- End function
	.set _ZN7rocprim17ROCPRIM_400000_NS6detail17trampoline_kernelINS0_14default_configENS1_38merge_sort_block_merge_config_selectorIalEEZZNS1_27merge_sort_block_merge_implIS3_PaN6thrust23THRUST_200600_302600_NS10device_ptrIlEEjNS1_19radix_merge_compareILb0ELb0EaNS0_19identity_decomposerEEEEE10hipError_tT0_T1_T2_jT3_P12ihipStream_tbPNSt15iterator_traitsISG_E10value_typeEPNSM_ISH_E10value_typeEPSI_NS1_7vsmem_tEENKUlT_SG_SH_SI_E_clIS7_S7_SB_PlEESF_SV_SG_SH_SI_EUlSV_E1_NS1_11comp_targetILNS1_3genE0ELNS1_11target_archE4294967295ELNS1_3gpuE0ELNS1_3repE0EEENS1_36merge_oddeven_config_static_selectorELNS0_4arch9wavefront6targetE1EEEvSH_.num_vgpr, 0
	.set _ZN7rocprim17ROCPRIM_400000_NS6detail17trampoline_kernelINS0_14default_configENS1_38merge_sort_block_merge_config_selectorIalEEZZNS1_27merge_sort_block_merge_implIS3_PaN6thrust23THRUST_200600_302600_NS10device_ptrIlEEjNS1_19radix_merge_compareILb0ELb0EaNS0_19identity_decomposerEEEEE10hipError_tT0_T1_T2_jT3_P12ihipStream_tbPNSt15iterator_traitsISG_E10value_typeEPNSM_ISH_E10value_typeEPSI_NS1_7vsmem_tEENKUlT_SG_SH_SI_E_clIS7_S7_SB_PlEESF_SV_SG_SH_SI_EUlSV_E1_NS1_11comp_targetILNS1_3genE0ELNS1_11target_archE4294967295ELNS1_3gpuE0ELNS1_3repE0EEENS1_36merge_oddeven_config_static_selectorELNS0_4arch9wavefront6targetE1EEEvSH_.num_agpr, 0
	.set _ZN7rocprim17ROCPRIM_400000_NS6detail17trampoline_kernelINS0_14default_configENS1_38merge_sort_block_merge_config_selectorIalEEZZNS1_27merge_sort_block_merge_implIS3_PaN6thrust23THRUST_200600_302600_NS10device_ptrIlEEjNS1_19radix_merge_compareILb0ELb0EaNS0_19identity_decomposerEEEEE10hipError_tT0_T1_T2_jT3_P12ihipStream_tbPNSt15iterator_traitsISG_E10value_typeEPNSM_ISH_E10value_typeEPSI_NS1_7vsmem_tEENKUlT_SG_SH_SI_E_clIS7_S7_SB_PlEESF_SV_SG_SH_SI_EUlSV_E1_NS1_11comp_targetILNS1_3genE0ELNS1_11target_archE4294967295ELNS1_3gpuE0ELNS1_3repE0EEENS1_36merge_oddeven_config_static_selectorELNS0_4arch9wavefront6targetE1EEEvSH_.numbered_sgpr, 0
	.set _ZN7rocprim17ROCPRIM_400000_NS6detail17trampoline_kernelINS0_14default_configENS1_38merge_sort_block_merge_config_selectorIalEEZZNS1_27merge_sort_block_merge_implIS3_PaN6thrust23THRUST_200600_302600_NS10device_ptrIlEEjNS1_19radix_merge_compareILb0ELb0EaNS0_19identity_decomposerEEEEE10hipError_tT0_T1_T2_jT3_P12ihipStream_tbPNSt15iterator_traitsISG_E10value_typeEPNSM_ISH_E10value_typeEPSI_NS1_7vsmem_tEENKUlT_SG_SH_SI_E_clIS7_S7_SB_PlEESF_SV_SG_SH_SI_EUlSV_E1_NS1_11comp_targetILNS1_3genE0ELNS1_11target_archE4294967295ELNS1_3gpuE0ELNS1_3repE0EEENS1_36merge_oddeven_config_static_selectorELNS0_4arch9wavefront6targetE1EEEvSH_.num_named_barrier, 0
	.set _ZN7rocprim17ROCPRIM_400000_NS6detail17trampoline_kernelINS0_14default_configENS1_38merge_sort_block_merge_config_selectorIalEEZZNS1_27merge_sort_block_merge_implIS3_PaN6thrust23THRUST_200600_302600_NS10device_ptrIlEEjNS1_19radix_merge_compareILb0ELb0EaNS0_19identity_decomposerEEEEE10hipError_tT0_T1_T2_jT3_P12ihipStream_tbPNSt15iterator_traitsISG_E10value_typeEPNSM_ISH_E10value_typeEPSI_NS1_7vsmem_tEENKUlT_SG_SH_SI_E_clIS7_S7_SB_PlEESF_SV_SG_SH_SI_EUlSV_E1_NS1_11comp_targetILNS1_3genE0ELNS1_11target_archE4294967295ELNS1_3gpuE0ELNS1_3repE0EEENS1_36merge_oddeven_config_static_selectorELNS0_4arch9wavefront6targetE1EEEvSH_.private_seg_size, 0
	.set _ZN7rocprim17ROCPRIM_400000_NS6detail17trampoline_kernelINS0_14default_configENS1_38merge_sort_block_merge_config_selectorIalEEZZNS1_27merge_sort_block_merge_implIS3_PaN6thrust23THRUST_200600_302600_NS10device_ptrIlEEjNS1_19radix_merge_compareILb0ELb0EaNS0_19identity_decomposerEEEEE10hipError_tT0_T1_T2_jT3_P12ihipStream_tbPNSt15iterator_traitsISG_E10value_typeEPNSM_ISH_E10value_typeEPSI_NS1_7vsmem_tEENKUlT_SG_SH_SI_E_clIS7_S7_SB_PlEESF_SV_SG_SH_SI_EUlSV_E1_NS1_11comp_targetILNS1_3genE0ELNS1_11target_archE4294967295ELNS1_3gpuE0ELNS1_3repE0EEENS1_36merge_oddeven_config_static_selectorELNS0_4arch9wavefront6targetE1EEEvSH_.uses_vcc, 0
	.set _ZN7rocprim17ROCPRIM_400000_NS6detail17trampoline_kernelINS0_14default_configENS1_38merge_sort_block_merge_config_selectorIalEEZZNS1_27merge_sort_block_merge_implIS3_PaN6thrust23THRUST_200600_302600_NS10device_ptrIlEEjNS1_19radix_merge_compareILb0ELb0EaNS0_19identity_decomposerEEEEE10hipError_tT0_T1_T2_jT3_P12ihipStream_tbPNSt15iterator_traitsISG_E10value_typeEPNSM_ISH_E10value_typeEPSI_NS1_7vsmem_tEENKUlT_SG_SH_SI_E_clIS7_S7_SB_PlEESF_SV_SG_SH_SI_EUlSV_E1_NS1_11comp_targetILNS1_3genE0ELNS1_11target_archE4294967295ELNS1_3gpuE0ELNS1_3repE0EEENS1_36merge_oddeven_config_static_selectorELNS0_4arch9wavefront6targetE1EEEvSH_.uses_flat_scratch, 0
	.set _ZN7rocprim17ROCPRIM_400000_NS6detail17trampoline_kernelINS0_14default_configENS1_38merge_sort_block_merge_config_selectorIalEEZZNS1_27merge_sort_block_merge_implIS3_PaN6thrust23THRUST_200600_302600_NS10device_ptrIlEEjNS1_19radix_merge_compareILb0ELb0EaNS0_19identity_decomposerEEEEE10hipError_tT0_T1_T2_jT3_P12ihipStream_tbPNSt15iterator_traitsISG_E10value_typeEPNSM_ISH_E10value_typeEPSI_NS1_7vsmem_tEENKUlT_SG_SH_SI_E_clIS7_S7_SB_PlEESF_SV_SG_SH_SI_EUlSV_E1_NS1_11comp_targetILNS1_3genE0ELNS1_11target_archE4294967295ELNS1_3gpuE0ELNS1_3repE0EEENS1_36merge_oddeven_config_static_selectorELNS0_4arch9wavefront6targetE1EEEvSH_.has_dyn_sized_stack, 0
	.set _ZN7rocprim17ROCPRIM_400000_NS6detail17trampoline_kernelINS0_14default_configENS1_38merge_sort_block_merge_config_selectorIalEEZZNS1_27merge_sort_block_merge_implIS3_PaN6thrust23THRUST_200600_302600_NS10device_ptrIlEEjNS1_19radix_merge_compareILb0ELb0EaNS0_19identity_decomposerEEEEE10hipError_tT0_T1_T2_jT3_P12ihipStream_tbPNSt15iterator_traitsISG_E10value_typeEPNSM_ISH_E10value_typeEPSI_NS1_7vsmem_tEENKUlT_SG_SH_SI_E_clIS7_S7_SB_PlEESF_SV_SG_SH_SI_EUlSV_E1_NS1_11comp_targetILNS1_3genE0ELNS1_11target_archE4294967295ELNS1_3gpuE0ELNS1_3repE0EEENS1_36merge_oddeven_config_static_selectorELNS0_4arch9wavefront6targetE1EEEvSH_.has_recursion, 0
	.set _ZN7rocprim17ROCPRIM_400000_NS6detail17trampoline_kernelINS0_14default_configENS1_38merge_sort_block_merge_config_selectorIalEEZZNS1_27merge_sort_block_merge_implIS3_PaN6thrust23THRUST_200600_302600_NS10device_ptrIlEEjNS1_19radix_merge_compareILb0ELb0EaNS0_19identity_decomposerEEEEE10hipError_tT0_T1_T2_jT3_P12ihipStream_tbPNSt15iterator_traitsISG_E10value_typeEPNSM_ISH_E10value_typeEPSI_NS1_7vsmem_tEENKUlT_SG_SH_SI_E_clIS7_S7_SB_PlEESF_SV_SG_SH_SI_EUlSV_E1_NS1_11comp_targetILNS1_3genE0ELNS1_11target_archE4294967295ELNS1_3gpuE0ELNS1_3repE0EEENS1_36merge_oddeven_config_static_selectorELNS0_4arch9wavefront6targetE1EEEvSH_.has_indirect_call, 0
	.section	.AMDGPU.csdata,"",@progbits
; Kernel info:
; codeLenInByte = 0
; TotalNumSgprs: 4
; NumVgprs: 0
; ScratchSize: 0
; MemoryBound: 0
; FloatMode: 240
; IeeeMode: 1
; LDSByteSize: 0 bytes/workgroup (compile time only)
; SGPRBlocks: 0
; VGPRBlocks: 0
; NumSGPRsForWavesPerEU: 4
; NumVGPRsForWavesPerEU: 1
; Occupancy: 10
; WaveLimiterHint : 0
; COMPUTE_PGM_RSRC2:SCRATCH_EN: 0
; COMPUTE_PGM_RSRC2:USER_SGPR: 6
; COMPUTE_PGM_RSRC2:TRAP_HANDLER: 0
; COMPUTE_PGM_RSRC2:TGID_X_EN: 1
; COMPUTE_PGM_RSRC2:TGID_Y_EN: 0
; COMPUTE_PGM_RSRC2:TGID_Z_EN: 0
; COMPUTE_PGM_RSRC2:TIDIG_COMP_CNT: 0
	.section	.text._ZN7rocprim17ROCPRIM_400000_NS6detail17trampoline_kernelINS0_14default_configENS1_38merge_sort_block_merge_config_selectorIalEEZZNS1_27merge_sort_block_merge_implIS3_PaN6thrust23THRUST_200600_302600_NS10device_ptrIlEEjNS1_19radix_merge_compareILb0ELb0EaNS0_19identity_decomposerEEEEE10hipError_tT0_T1_T2_jT3_P12ihipStream_tbPNSt15iterator_traitsISG_E10value_typeEPNSM_ISH_E10value_typeEPSI_NS1_7vsmem_tEENKUlT_SG_SH_SI_E_clIS7_S7_SB_PlEESF_SV_SG_SH_SI_EUlSV_E1_NS1_11comp_targetILNS1_3genE10ELNS1_11target_archE1201ELNS1_3gpuE5ELNS1_3repE0EEENS1_36merge_oddeven_config_static_selectorELNS0_4arch9wavefront6targetE1EEEvSH_,"axG",@progbits,_ZN7rocprim17ROCPRIM_400000_NS6detail17trampoline_kernelINS0_14default_configENS1_38merge_sort_block_merge_config_selectorIalEEZZNS1_27merge_sort_block_merge_implIS3_PaN6thrust23THRUST_200600_302600_NS10device_ptrIlEEjNS1_19radix_merge_compareILb0ELb0EaNS0_19identity_decomposerEEEEE10hipError_tT0_T1_T2_jT3_P12ihipStream_tbPNSt15iterator_traitsISG_E10value_typeEPNSM_ISH_E10value_typeEPSI_NS1_7vsmem_tEENKUlT_SG_SH_SI_E_clIS7_S7_SB_PlEESF_SV_SG_SH_SI_EUlSV_E1_NS1_11comp_targetILNS1_3genE10ELNS1_11target_archE1201ELNS1_3gpuE5ELNS1_3repE0EEENS1_36merge_oddeven_config_static_selectorELNS0_4arch9wavefront6targetE1EEEvSH_,comdat
	.protected	_ZN7rocprim17ROCPRIM_400000_NS6detail17trampoline_kernelINS0_14default_configENS1_38merge_sort_block_merge_config_selectorIalEEZZNS1_27merge_sort_block_merge_implIS3_PaN6thrust23THRUST_200600_302600_NS10device_ptrIlEEjNS1_19radix_merge_compareILb0ELb0EaNS0_19identity_decomposerEEEEE10hipError_tT0_T1_T2_jT3_P12ihipStream_tbPNSt15iterator_traitsISG_E10value_typeEPNSM_ISH_E10value_typeEPSI_NS1_7vsmem_tEENKUlT_SG_SH_SI_E_clIS7_S7_SB_PlEESF_SV_SG_SH_SI_EUlSV_E1_NS1_11comp_targetILNS1_3genE10ELNS1_11target_archE1201ELNS1_3gpuE5ELNS1_3repE0EEENS1_36merge_oddeven_config_static_selectorELNS0_4arch9wavefront6targetE1EEEvSH_ ; -- Begin function _ZN7rocprim17ROCPRIM_400000_NS6detail17trampoline_kernelINS0_14default_configENS1_38merge_sort_block_merge_config_selectorIalEEZZNS1_27merge_sort_block_merge_implIS3_PaN6thrust23THRUST_200600_302600_NS10device_ptrIlEEjNS1_19radix_merge_compareILb0ELb0EaNS0_19identity_decomposerEEEEE10hipError_tT0_T1_T2_jT3_P12ihipStream_tbPNSt15iterator_traitsISG_E10value_typeEPNSM_ISH_E10value_typeEPSI_NS1_7vsmem_tEENKUlT_SG_SH_SI_E_clIS7_S7_SB_PlEESF_SV_SG_SH_SI_EUlSV_E1_NS1_11comp_targetILNS1_3genE10ELNS1_11target_archE1201ELNS1_3gpuE5ELNS1_3repE0EEENS1_36merge_oddeven_config_static_selectorELNS0_4arch9wavefront6targetE1EEEvSH_
	.globl	_ZN7rocprim17ROCPRIM_400000_NS6detail17trampoline_kernelINS0_14default_configENS1_38merge_sort_block_merge_config_selectorIalEEZZNS1_27merge_sort_block_merge_implIS3_PaN6thrust23THRUST_200600_302600_NS10device_ptrIlEEjNS1_19radix_merge_compareILb0ELb0EaNS0_19identity_decomposerEEEEE10hipError_tT0_T1_T2_jT3_P12ihipStream_tbPNSt15iterator_traitsISG_E10value_typeEPNSM_ISH_E10value_typeEPSI_NS1_7vsmem_tEENKUlT_SG_SH_SI_E_clIS7_S7_SB_PlEESF_SV_SG_SH_SI_EUlSV_E1_NS1_11comp_targetILNS1_3genE10ELNS1_11target_archE1201ELNS1_3gpuE5ELNS1_3repE0EEENS1_36merge_oddeven_config_static_selectorELNS0_4arch9wavefront6targetE1EEEvSH_
	.p2align	8
	.type	_ZN7rocprim17ROCPRIM_400000_NS6detail17trampoline_kernelINS0_14default_configENS1_38merge_sort_block_merge_config_selectorIalEEZZNS1_27merge_sort_block_merge_implIS3_PaN6thrust23THRUST_200600_302600_NS10device_ptrIlEEjNS1_19radix_merge_compareILb0ELb0EaNS0_19identity_decomposerEEEEE10hipError_tT0_T1_T2_jT3_P12ihipStream_tbPNSt15iterator_traitsISG_E10value_typeEPNSM_ISH_E10value_typeEPSI_NS1_7vsmem_tEENKUlT_SG_SH_SI_E_clIS7_S7_SB_PlEESF_SV_SG_SH_SI_EUlSV_E1_NS1_11comp_targetILNS1_3genE10ELNS1_11target_archE1201ELNS1_3gpuE5ELNS1_3repE0EEENS1_36merge_oddeven_config_static_selectorELNS0_4arch9wavefront6targetE1EEEvSH_,@function
_ZN7rocprim17ROCPRIM_400000_NS6detail17trampoline_kernelINS0_14default_configENS1_38merge_sort_block_merge_config_selectorIalEEZZNS1_27merge_sort_block_merge_implIS3_PaN6thrust23THRUST_200600_302600_NS10device_ptrIlEEjNS1_19radix_merge_compareILb0ELb0EaNS0_19identity_decomposerEEEEE10hipError_tT0_T1_T2_jT3_P12ihipStream_tbPNSt15iterator_traitsISG_E10value_typeEPNSM_ISH_E10value_typeEPSI_NS1_7vsmem_tEENKUlT_SG_SH_SI_E_clIS7_S7_SB_PlEESF_SV_SG_SH_SI_EUlSV_E1_NS1_11comp_targetILNS1_3genE10ELNS1_11target_archE1201ELNS1_3gpuE5ELNS1_3repE0EEENS1_36merge_oddeven_config_static_selectorELNS0_4arch9wavefront6targetE1EEEvSH_: ; @_ZN7rocprim17ROCPRIM_400000_NS6detail17trampoline_kernelINS0_14default_configENS1_38merge_sort_block_merge_config_selectorIalEEZZNS1_27merge_sort_block_merge_implIS3_PaN6thrust23THRUST_200600_302600_NS10device_ptrIlEEjNS1_19radix_merge_compareILb0ELb0EaNS0_19identity_decomposerEEEEE10hipError_tT0_T1_T2_jT3_P12ihipStream_tbPNSt15iterator_traitsISG_E10value_typeEPNSM_ISH_E10value_typeEPSI_NS1_7vsmem_tEENKUlT_SG_SH_SI_E_clIS7_S7_SB_PlEESF_SV_SG_SH_SI_EUlSV_E1_NS1_11comp_targetILNS1_3genE10ELNS1_11target_archE1201ELNS1_3gpuE5ELNS1_3repE0EEENS1_36merge_oddeven_config_static_selectorELNS0_4arch9wavefront6targetE1EEEvSH_
; %bb.0:
	.section	.rodata,"a",@progbits
	.p2align	6, 0x0
	.amdhsa_kernel _ZN7rocprim17ROCPRIM_400000_NS6detail17trampoline_kernelINS0_14default_configENS1_38merge_sort_block_merge_config_selectorIalEEZZNS1_27merge_sort_block_merge_implIS3_PaN6thrust23THRUST_200600_302600_NS10device_ptrIlEEjNS1_19radix_merge_compareILb0ELb0EaNS0_19identity_decomposerEEEEE10hipError_tT0_T1_T2_jT3_P12ihipStream_tbPNSt15iterator_traitsISG_E10value_typeEPNSM_ISH_E10value_typeEPSI_NS1_7vsmem_tEENKUlT_SG_SH_SI_E_clIS7_S7_SB_PlEESF_SV_SG_SH_SI_EUlSV_E1_NS1_11comp_targetILNS1_3genE10ELNS1_11target_archE1201ELNS1_3gpuE5ELNS1_3repE0EEENS1_36merge_oddeven_config_static_selectorELNS0_4arch9wavefront6targetE1EEEvSH_
		.amdhsa_group_segment_fixed_size 0
		.amdhsa_private_segment_fixed_size 0
		.amdhsa_kernarg_size 48
		.amdhsa_user_sgpr_count 6
		.amdhsa_user_sgpr_private_segment_buffer 1
		.amdhsa_user_sgpr_dispatch_ptr 0
		.amdhsa_user_sgpr_queue_ptr 0
		.amdhsa_user_sgpr_kernarg_segment_ptr 1
		.amdhsa_user_sgpr_dispatch_id 0
		.amdhsa_user_sgpr_flat_scratch_init 0
		.amdhsa_user_sgpr_private_segment_size 0
		.amdhsa_uses_dynamic_stack 0
		.amdhsa_system_sgpr_private_segment_wavefront_offset 0
		.amdhsa_system_sgpr_workgroup_id_x 1
		.amdhsa_system_sgpr_workgroup_id_y 0
		.amdhsa_system_sgpr_workgroup_id_z 0
		.amdhsa_system_sgpr_workgroup_info 0
		.amdhsa_system_vgpr_workitem_id 0
		.amdhsa_next_free_vgpr 1
		.amdhsa_next_free_sgpr 0
		.amdhsa_reserve_vcc 0
		.amdhsa_reserve_flat_scratch 0
		.amdhsa_float_round_mode_32 0
		.amdhsa_float_round_mode_16_64 0
		.amdhsa_float_denorm_mode_32 3
		.amdhsa_float_denorm_mode_16_64 3
		.amdhsa_dx10_clamp 1
		.amdhsa_ieee_mode 1
		.amdhsa_fp16_overflow 0
		.amdhsa_exception_fp_ieee_invalid_op 0
		.amdhsa_exception_fp_denorm_src 0
		.amdhsa_exception_fp_ieee_div_zero 0
		.amdhsa_exception_fp_ieee_overflow 0
		.amdhsa_exception_fp_ieee_underflow 0
		.amdhsa_exception_fp_ieee_inexact 0
		.amdhsa_exception_int_div_zero 0
	.end_amdhsa_kernel
	.section	.text._ZN7rocprim17ROCPRIM_400000_NS6detail17trampoline_kernelINS0_14default_configENS1_38merge_sort_block_merge_config_selectorIalEEZZNS1_27merge_sort_block_merge_implIS3_PaN6thrust23THRUST_200600_302600_NS10device_ptrIlEEjNS1_19radix_merge_compareILb0ELb0EaNS0_19identity_decomposerEEEEE10hipError_tT0_T1_T2_jT3_P12ihipStream_tbPNSt15iterator_traitsISG_E10value_typeEPNSM_ISH_E10value_typeEPSI_NS1_7vsmem_tEENKUlT_SG_SH_SI_E_clIS7_S7_SB_PlEESF_SV_SG_SH_SI_EUlSV_E1_NS1_11comp_targetILNS1_3genE10ELNS1_11target_archE1201ELNS1_3gpuE5ELNS1_3repE0EEENS1_36merge_oddeven_config_static_selectorELNS0_4arch9wavefront6targetE1EEEvSH_,"axG",@progbits,_ZN7rocprim17ROCPRIM_400000_NS6detail17trampoline_kernelINS0_14default_configENS1_38merge_sort_block_merge_config_selectorIalEEZZNS1_27merge_sort_block_merge_implIS3_PaN6thrust23THRUST_200600_302600_NS10device_ptrIlEEjNS1_19radix_merge_compareILb0ELb0EaNS0_19identity_decomposerEEEEE10hipError_tT0_T1_T2_jT3_P12ihipStream_tbPNSt15iterator_traitsISG_E10value_typeEPNSM_ISH_E10value_typeEPSI_NS1_7vsmem_tEENKUlT_SG_SH_SI_E_clIS7_S7_SB_PlEESF_SV_SG_SH_SI_EUlSV_E1_NS1_11comp_targetILNS1_3genE10ELNS1_11target_archE1201ELNS1_3gpuE5ELNS1_3repE0EEENS1_36merge_oddeven_config_static_selectorELNS0_4arch9wavefront6targetE1EEEvSH_,comdat
.Lfunc_end519:
	.size	_ZN7rocprim17ROCPRIM_400000_NS6detail17trampoline_kernelINS0_14default_configENS1_38merge_sort_block_merge_config_selectorIalEEZZNS1_27merge_sort_block_merge_implIS3_PaN6thrust23THRUST_200600_302600_NS10device_ptrIlEEjNS1_19radix_merge_compareILb0ELb0EaNS0_19identity_decomposerEEEEE10hipError_tT0_T1_T2_jT3_P12ihipStream_tbPNSt15iterator_traitsISG_E10value_typeEPNSM_ISH_E10value_typeEPSI_NS1_7vsmem_tEENKUlT_SG_SH_SI_E_clIS7_S7_SB_PlEESF_SV_SG_SH_SI_EUlSV_E1_NS1_11comp_targetILNS1_3genE10ELNS1_11target_archE1201ELNS1_3gpuE5ELNS1_3repE0EEENS1_36merge_oddeven_config_static_selectorELNS0_4arch9wavefront6targetE1EEEvSH_, .Lfunc_end519-_ZN7rocprim17ROCPRIM_400000_NS6detail17trampoline_kernelINS0_14default_configENS1_38merge_sort_block_merge_config_selectorIalEEZZNS1_27merge_sort_block_merge_implIS3_PaN6thrust23THRUST_200600_302600_NS10device_ptrIlEEjNS1_19radix_merge_compareILb0ELb0EaNS0_19identity_decomposerEEEEE10hipError_tT0_T1_T2_jT3_P12ihipStream_tbPNSt15iterator_traitsISG_E10value_typeEPNSM_ISH_E10value_typeEPSI_NS1_7vsmem_tEENKUlT_SG_SH_SI_E_clIS7_S7_SB_PlEESF_SV_SG_SH_SI_EUlSV_E1_NS1_11comp_targetILNS1_3genE10ELNS1_11target_archE1201ELNS1_3gpuE5ELNS1_3repE0EEENS1_36merge_oddeven_config_static_selectorELNS0_4arch9wavefront6targetE1EEEvSH_
                                        ; -- End function
	.set _ZN7rocprim17ROCPRIM_400000_NS6detail17trampoline_kernelINS0_14default_configENS1_38merge_sort_block_merge_config_selectorIalEEZZNS1_27merge_sort_block_merge_implIS3_PaN6thrust23THRUST_200600_302600_NS10device_ptrIlEEjNS1_19radix_merge_compareILb0ELb0EaNS0_19identity_decomposerEEEEE10hipError_tT0_T1_T2_jT3_P12ihipStream_tbPNSt15iterator_traitsISG_E10value_typeEPNSM_ISH_E10value_typeEPSI_NS1_7vsmem_tEENKUlT_SG_SH_SI_E_clIS7_S7_SB_PlEESF_SV_SG_SH_SI_EUlSV_E1_NS1_11comp_targetILNS1_3genE10ELNS1_11target_archE1201ELNS1_3gpuE5ELNS1_3repE0EEENS1_36merge_oddeven_config_static_selectorELNS0_4arch9wavefront6targetE1EEEvSH_.num_vgpr, 0
	.set _ZN7rocprim17ROCPRIM_400000_NS6detail17trampoline_kernelINS0_14default_configENS1_38merge_sort_block_merge_config_selectorIalEEZZNS1_27merge_sort_block_merge_implIS3_PaN6thrust23THRUST_200600_302600_NS10device_ptrIlEEjNS1_19radix_merge_compareILb0ELb0EaNS0_19identity_decomposerEEEEE10hipError_tT0_T1_T2_jT3_P12ihipStream_tbPNSt15iterator_traitsISG_E10value_typeEPNSM_ISH_E10value_typeEPSI_NS1_7vsmem_tEENKUlT_SG_SH_SI_E_clIS7_S7_SB_PlEESF_SV_SG_SH_SI_EUlSV_E1_NS1_11comp_targetILNS1_3genE10ELNS1_11target_archE1201ELNS1_3gpuE5ELNS1_3repE0EEENS1_36merge_oddeven_config_static_selectorELNS0_4arch9wavefront6targetE1EEEvSH_.num_agpr, 0
	.set _ZN7rocprim17ROCPRIM_400000_NS6detail17trampoline_kernelINS0_14default_configENS1_38merge_sort_block_merge_config_selectorIalEEZZNS1_27merge_sort_block_merge_implIS3_PaN6thrust23THRUST_200600_302600_NS10device_ptrIlEEjNS1_19radix_merge_compareILb0ELb0EaNS0_19identity_decomposerEEEEE10hipError_tT0_T1_T2_jT3_P12ihipStream_tbPNSt15iterator_traitsISG_E10value_typeEPNSM_ISH_E10value_typeEPSI_NS1_7vsmem_tEENKUlT_SG_SH_SI_E_clIS7_S7_SB_PlEESF_SV_SG_SH_SI_EUlSV_E1_NS1_11comp_targetILNS1_3genE10ELNS1_11target_archE1201ELNS1_3gpuE5ELNS1_3repE0EEENS1_36merge_oddeven_config_static_selectorELNS0_4arch9wavefront6targetE1EEEvSH_.numbered_sgpr, 0
	.set _ZN7rocprim17ROCPRIM_400000_NS6detail17trampoline_kernelINS0_14default_configENS1_38merge_sort_block_merge_config_selectorIalEEZZNS1_27merge_sort_block_merge_implIS3_PaN6thrust23THRUST_200600_302600_NS10device_ptrIlEEjNS1_19radix_merge_compareILb0ELb0EaNS0_19identity_decomposerEEEEE10hipError_tT0_T1_T2_jT3_P12ihipStream_tbPNSt15iterator_traitsISG_E10value_typeEPNSM_ISH_E10value_typeEPSI_NS1_7vsmem_tEENKUlT_SG_SH_SI_E_clIS7_S7_SB_PlEESF_SV_SG_SH_SI_EUlSV_E1_NS1_11comp_targetILNS1_3genE10ELNS1_11target_archE1201ELNS1_3gpuE5ELNS1_3repE0EEENS1_36merge_oddeven_config_static_selectorELNS0_4arch9wavefront6targetE1EEEvSH_.num_named_barrier, 0
	.set _ZN7rocprim17ROCPRIM_400000_NS6detail17trampoline_kernelINS0_14default_configENS1_38merge_sort_block_merge_config_selectorIalEEZZNS1_27merge_sort_block_merge_implIS3_PaN6thrust23THRUST_200600_302600_NS10device_ptrIlEEjNS1_19radix_merge_compareILb0ELb0EaNS0_19identity_decomposerEEEEE10hipError_tT0_T1_T2_jT3_P12ihipStream_tbPNSt15iterator_traitsISG_E10value_typeEPNSM_ISH_E10value_typeEPSI_NS1_7vsmem_tEENKUlT_SG_SH_SI_E_clIS7_S7_SB_PlEESF_SV_SG_SH_SI_EUlSV_E1_NS1_11comp_targetILNS1_3genE10ELNS1_11target_archE1201ELNS1_3gpuE5ELNS1_3repE0EEENS1_36merge_oddeven_config_static_selectorELNS0_4arch9wavefront6targetE1EEEvSH_.private_seg_size, 0
	.set _ZN7rocprim17ROCPRIM_400000_NS6detail17trampoline_kernelINS0_14default_configENS1_38merge_sort_block_merge_config_selectorIalEEZZNS1_27merge_sort_block_merge_implIS3_PaN6thrust23THRUST_200600_302600_NS10device_ptrIlEEjNS1_19radix_merge_compareILb0ELb0EaNS0_19identity_decomposerEEEEE10hipError_tT0_T1_T2_jT3_P12ihipStream_tbPNSt15iterator_traitsISG_E10value_typeEPNSM_ISH_E10value_typeEPSI_NS1_7vsmem_tEENKUlT_SG_SH_SI_E_clIS7_S7_SB_PlEESF_SV_SG_SH_SI_EUlSV_E1_NS1_11comp_targetILNS1_3genE10ELNS1_11target_archE1201ELNS1_3gpuE5ELNS1_3repE0EEENS1_36merge_oddeven_config_static_selectorELNS0_4arch9wavefront6targetE1EEEvSH_.uses_vcc, 0
	.set _ZN7rocprim17ROCPRIM_400000_NS6detail17trampoline_kernelINS0_14default_configENS1_38merge_sort_block_merge_config_selectorIalEEZZNS1_27merge_sort_block_merge_implIS3_PaN6thrust23THRUST_200600_302600_NS10device_ptrIlEEjNS1_19radix_merge_compareILb0ELb0EaNS0_19identity_decomposerEEEEE10hipError_tT0_T1_T2_jT3_P12ihipStream_tbPNSt15iterator_traitsISG_E10value_typeEPNSM_ISH_E10value_typeEPSI_NS1_7vsmem_tEENKUlT_SG_SH_SI_E_clIS7_S7_SB_PlEESF_SV_SG_SH_SI_EUlSV_E1_NS1_11comp_targetILNS1_3genE10ELNS1_11target_archE1201ELNS1_3gpuE5ELNS1_3repE0EEENS1_36merge_oddeven_config_static_selectorELNS0_4arch9wavefront6targetE1EEEvSH_.uses_flat_scratch, 0
	.set _ZN7rocprim17ROCPRIM_400000_NS6detail17trampoline_kernelINS0_14default_configENS1_38merge_sort_block_merge_config_selectorIalEEZZNS1_27merge_sort_block_merge_implIS3_PaN6thrust23THRUST_200600_302600_NS10device_ptrIlEEjNS1_19radix_merge_compareILb0ELb0EaNS0_19identity_decomposerEEEEE10hipError_tT0_T1_T2_jT3_P12ihipStream_tbPNSt15iterator_traitsISG_E10value_typeEPNSM_ISH_E10value_typeEPSI_NS1_7vsmem_tEENKUlT_SG_SH_SI_E_clIS7_S7_SB_PlEESF_SV_SG_SH_SI_EUlSV_E1_NS1_11comp_targetILNS1_3genE10ELNS1_11target_archE1201ELNS1_3gpuE5ELNS1_3repE0EEENS1_36merge_oddeven_config_static_selectorELNS0_4arch9wavefront6targetE1EEEvSH_.has_dyn_sized_stack, 0
	.set _ZN7rocprim17ROCPRIM_400000_NS6detail17trampoline_kernelINS0_14default_configENS1_38merge_sort_block_merge_config_selectorIalEEZZNS1_27merge_sort_block_merge_implIS3_PaN6thrust23THRUST_200600_302600_NS10device_ptrIlEEjNS1_19radix_merge_compareILb0ELb0EaNS0_19identity_decomposerEEEEE10hipError_tT0_T1_T2_jT3_P12ihipStream_tbPNSt15iterator_traitsISG_E10value_typeEPNSM_ISH_E10value_typeEPSI_NS1_7vsmem_tEENKUlT_SG_SH_SI_E_clIS7_S7_SB_PlEESF_SV_SG_SH_SI_EUlSV_E1_NS1_11comp_targetILNS1_3genE10ELNS1_11target_archE1201ELNS1_3gpuE5ELNS1_3repE0EEENS1_36merge_oddeven_config_static_selectorELNS0_4arch9wavefront6targetE1EEEvSH_.has_recursion, 0
	.set _ZN7rocprim17ROCPRIM_400000_NS6detail17trampoline_kernelINS0_14default_configENS1_38merge_sort_block_merge_config_selectorIalEEZZNS1_27merge_sort_block_merge_implIS3_PaN6thrust23THRUST_200600_302600_NS10device_ptrIlEEjNS1_19radix_merge_compareILb0ELb0EaNS0_19identity_decomposerEEEEE10hipError_tT0_T1_T2_jT3_P12ihipStream_tbPNSt15iterator_traitsISG_E10value_typeEPNSM_ISH_E10value_typeEPSI_NS1_7vsmem_tEENKUlT_SG_SH_SI_E_clIS7_S7_SB_PlEESF_SV_SG_SH_SI_EUlSV_E1_NS1_11comp_targetILNS1_3genE10ELNS1_11target_archE1201ELNS1_3gpuE5ELNS1_3repE0EEENS1_36merge_oddeven_config_static_selectorELNS0_4arch9wavefront6targetE1EEEvSH_.has_indirect_call, 0
	.section	.AMDGPU.csdata,"",@progbits
; Kernel info:
; codeLenInByte = 0
; TotalNumSgprs: 4
; NumVgprs: 0
; ScratchSize: 0
; MemoryBound: 0
; FloatMode: 240
; IeeeMode: 1
; LDSByteSize: 0 bytes/workgroup (compile time only)
; SGPRBlocks: 0
; VGPRBlocks: 0
; NumSGPRsForWavesPerEU: 4
; NumVGPRsForWavesPerEU: 1
; Occupancy: 10
; WaveLimiterHint : 0
; COMPUTE_PGM_RSRC2:SCRATCH_EN: 0
; COMPUTE_PGM_RSRC2:USER_SGPR: 6
; COMPUTE_PGM_RSRC2:TRAP_HANDLER: 0
; COMPUTE_PGM_RSRC2:TGID_X_EN: 1
; COMPUTE_PGM_RSRC2:TGID_Y_EN: 0
; COMPUTE_PGM_RSRC2:TGID_Z_EN: 0
; COMPUTE_PGM_RSRC2:TIDIG_COMP_CNT: 0
	.section	.text._ZN7rocprim17ROCPRIM_400000_NS6detail17trampoline_kernelINS0_14default_configENS1_38merge_sort_block_merge_config_selectorIalEEZZNS1_27merge_sort_block_merge_implIS3_PaN6thrust23THRUST_200600_302600_NS10device_ptrIlEEjNS1_19radix_merge_compareILb0ELb0EaNS0_19identity_decomposerEEEEE10hipError_tT0_T1_T2_jT3_P12ihipStream_tbPNSt15iterator_traitsISG_E10value_typeEPNSM_ISH_E10value_typeEPSI_NS1_7vsmem_tEENKUlT_SG_SH_SI_E_clIS7_S7_SB_PlEESF_SV_SG_SH_SI_EUlSV_E1_NS1_11comp_targetILNS1_3genE5ELNS1_11target_archE942ELNS1_3gpuE9ELNS1_3repE0EEENS1_36merge_oddeven_config_static_selectorELNS0_4arch9wavefront6targetE1EEEvSH_,"axG",@progbits,_ZN7rocprim17ROCPRIM_400000_NS6detail17trampoline_kernelINS0_14default_configENS1_38merge_sort_block_merge_config_selectorIalEEZZNS1_27merge_sort_block_merge_implIS3_PaN6thrust23THRUST_200600_302600_NS10device_ptrIlEEjNS1_19radix_merge_compareILb0ELb0EaNS0_19identity_decomposerEEEEE10hipError_tT0_T1_T2_jT3_P12ihipStream_tbPNSt15iterator_traitsISG_E10value_typeEPNSM_ISH_E10value_typeEPSI_NS1_7vsmem_tEENKUlT_SG_SH_SI_E_clIS7_S7_SB_PlEESF_SV_SG_SH_SI_EUlSV_E1_NS1_11comp_targetILNS1_3genE5ELNS1_11target_archE942ELNS1_3gpuE9ELNS1_3repE0EEENS1_36merge_oddeven_config_static_selectorELNS0_4arch9wavefront6targetE1EEEvSH_,comdat
	.protected	_ZN7rocprim17ROCPRIM_400000_NS6detail17trampoline_kernelINS0_14default_configENS1_38merge_sort_block_merge_config_selectorIalEEZZNS1_27merge_sort_block_merge_implIS3_PaN6thrust23THRUST_200600_302600_NS10device_ptrIlEEjNS1_19radix_merge_compareILb0ELb0EaNS0_19identity_decomposerEEEEE10hipError_tT0_T1_T2_jT3_P12ihipStream_tbPNSt15iterator_traitsISG_E10value_typeEPNSM_ISH_E10value_typeEPSI_NS1_7vsmem_tEENKUlT_SG_SH_SI_E_clIS7_S7_SB_PlEESF_SV_SG_SH_SI_EUlSV_E1_NS1_11comp_targetILNS1_3genE5ELNS1_11target_archE942ELNS1_3gpuE9ELNS1_3repE0EEENS1_36merge_oddeven_config_static_selectorELNS0_4arch9wavefront6targetE1EEEvSH_ ; -- Begin function _ZN7rocprim17ROCPRIM_400000_NS6detail17trampoline_kernelINS0_14default_configENS1_38merge_sort_block_merge_config_selectorIalEEZZNS1_27merge_sort_block_merge_implIS3_PaN6thrust23THRUST_200600_302600_NS10device_ptrIlEEjNS1_19radix_merge_compareILb0ELb0EaNS0_19identity_decomposerEEEEE10hipError_tT0_T1_T2_jT3_P12ihipStream_tbPNSt15iterator_traitsISG_E10value_typeEPNSM_ISH_E10value_typeEPSI_NS1_7vsmem_tEENKUlT_SG_SH_SI_E_clIS7_S7_SB_PlEESF_SV_SG_SH_SI_EUlSV_E1_NS1_11comp_targetILNS1_3genE5ELNS1_11target_archE942ELNS1_3gpuE9ELNS1_3repE0EEENS1_36merge_oddeven_config_static_selectorELNS0_4arch9wavefront6targetE1EEEvSH_
	.globl	_ZN7rocprim17ROCPRIM_400000_NS6detail17trampoline_kernelINS0_14default_configENS1_38merge_sort_block_merge_config_selectorIalEEZZNS1_27merge_sort_block_merge_implIS3_PaN6thrust23THRUST_200600_302600_NS10device_ptrIlEEjNS1_19radix_merge_compareILb0ELb0EaNS0_19identity_decomposerEEEEE10hipError_tT0_T1_T2_jT3_P12ihipStream_tbPNSt15iterator_traitsISG_E10value_typeEPNSM_ISH_E10value_typeEPSI_NS1_7vsmem_tEENKUlT_SG_SH_SI_E_clIS7_S7_SB_PlEESF_SV_SG_SH_SI_EUlSV_E1_NS1_11comp_targetILNS1_3genE5ELNS1_11target_archE942ELNS1_3gpuE9ELNS1_3repE0EEENS1_36merge_oddeven_config_static_selectorELNS0_4arch9wavefront6targetE1EEEvSH_
	.p2align	8
	.type	_ZN7rocprim17ROCPRIM_400000_NS6detail17trampoline_kernelINS0_14default_configENS1_38merge_sort_block_merge_config_selectorIalEEZZNS1_27merge_sort_block_merge_implIS3_PaN6thrust23THRUST_200600_302600_NS10device_ptrIlEEjNS1_19radix_merge_compareILb0ELb0EaNS0_19identity_decomposerEEEEE10hipError_tT0_T1_T2_jT3_P12ihipStream_tbPNSt15iterator_traitsISG_E10value_typeEPNSM_ISH_E10value_typeEPSI_NS1_7vsmem_tEENKUlT_SG_SH_SI_E_clIS7_S7_SB_PlEESF_SV_SG_SH_SI_EUlSV_E1_NS1_11comp_targetILNS1_3genE5ELNS1_11target_archE942ELNS1_3gpuE9ELNS1_3repE0EEENS1_36merge_oddeven_config_static_selectorELNS0_4arch9wavefront6targetE1EEEvSH_,@function
_ZN7rocprim17ROCPRIM_400000_NS6detail17trampoline_kernelINS0_14default_configENS1_38merge_sort_block_merge_config_selectorIalEEZZNS1_27merge_sort_block_merge_implIS3_PaN6thrust23THRUST_200600_302600_NS10device_ptrIlEEjNS1_19radix_merge_compareILb0ELb0EaNS0_19identity_decomposerEEEEE10hipError_tT0_T1_T2_jT3_P12ihipStream_tbPNSt15iterator_traitsISG_E10value_typeEPNSM_ISH_E10value_typeEPSI_NS1_7vsmem_tEENKUlT_SG_SH_SI_E_clIS7_S7_SB_PlEESF_SV_SG_SH_SI_EUlSV_E1_NS1_11comp_targetILNS1_3genE5ELNS1_11target_archE942ELNS1_3gpuE9ELNS1_3repE0EEENS1_36merge_oddeven_config_static_selectorELNS0_4arch9wavefront6targetE1EEEvSH_: ; @_ZN7rocprim17ROCPRIM_400000_NS6detail17trampoline_kernelINS0_14default_configENS1_38merge_sort_block_merge_config_selectorIalEEZZNS1_27merge_sort_block_merge_implIS3_PaN6thrust23THRUST_200600_302600_NS10device_ptrIlEEjNS1_19radix_merge_compareILb0ELb0EaNS0_19identity_decomposerEEEEE10hipError_tT0_T1_T2_jT3_P12ihipStream_tbPNSt15iterator_traitsISG_E10value_typeEPNSM_ISH_E10value_typeEPSI_NS1_7vsmem_tEENKUlT_SG_SH_SI_E_clIS7_S7_SB_PlEESF_SV_SG_SH_SI_EUlSV_E1_NS1_11comp_targetILNS1_3genE5ELNS1_11target_archE942ELNS1_3gpuE9ELNS1_3repE0EEENS1_36merge_oddeven_config_static_selectorELNS0_4arch9wavefront6targetE1EEEvSH_
; %bb.0:
	.section	.rodata,"a",@progbits
	.p2align	6, 0x0
	.amdhsa_kernel _ZN7rocprim17ROCPRIM_400000_NS6detail17trampoline_kernelINS0_14default_configENS1_38merge_sort_block_merge_config_selectorIalEEZZNS1_27merge_sort_block_merge_implIS3_PaN6thrust23THRUST_200600_302600_NS10device_ptrIlEEjNS1_19radix_merge_compareILb0ELb0EaNS0_19identity_decomposerEEEEE10hipError_tT0_T1_T2_jT3_P12ihipStream_tbPNSt15iterator_traitsISG_E10value_typeEPNSM_ISH_E10value_typeEPSI_NS1_7vsmem_tEENKUlT_SG_SH_SI_E_clIS7_S7_SB_PlEESF_SV_SG_SH_SI_EUlSV_E1_NS1_11comp_targetILNS1_3genE5ELNS1_11target_archE942ELNS1_3gpuE9ELNS1_3repE0EEENS1_36merge_oddeven_config_static_selectorELNS0_4arch9wavefront6targetE1EEEvSH_
		.amdhsa_group_segment_fixed_size 0
		.amdhsa_private_segment_fixed_size 0
		.amdhsa_kernarg_size 48
		.amdhsa_user_sgpr_count 6
		.amdhsa_user_sgpr_private_segment_buffer 1
		.amdhsa_user_sgpr_dispatch_ptr 0
		.amdhsa_user_sgpr_queue_ptr 0
		.amdhsa_user_sgpr_kernarg_segment_ptr 1
		.amdhsa_user_sgpr_dispatch_id 0
		.amdhsa_user_sgpr_flat_scratch_init 0
		.amdhsa_user_sgpr_private_segment_size 0
		.amdhsa_uses_dynamic_stack 0
		.amdhsa_system_sgpr_private_segment_wavefront_offset 0
		.amdhsa_system_sgpr_workgroup_id_x 1
		.amdhsa_system_sgpr_workgroup_id_y 0
		.amdhsa_system_sgpr_workgroup_id_z 0
		.amdhsa_system_sgpr_workgroup_info 0
		.amdhsa_system_vgpr_workitem_id 0
		.amdhsa_next_free_vgpr 1
		.amdhsa_next_free_sgpr 0
		.amdhsa_reserve_vcc 0
		.amdhsa_reserve_flat_scratch 0
		.amdhsa_float_round_mode_32 0
		.amdhsa_float_round_mode_16_64 0
		.amdhsa_float_denorm_mode_32 3
		.amdhsa_float_denorm_mode_16_64 3
		.amdhsa_dx10_clamp 1
		.amdhsa_ieee_mode 1
		.amdhsa_fp16_overflow 0
		.amdhsa_exception_fp_ieee_invalid_op 0
		.amdhsa_exception_fp_denorm_src 0
		.amdhsa_exception_fp_ieee_div_zero 0
		.amdhsa_exception_fp_ieee_overflow 0
		.amdhsa_exception_fp_ieee_underflow 0
		.amdhsa_exception_fp_ieee_inexact 0
		.amdhsa_exception_int_div_zero 0
	.end_amdhsa_kernel
	.section	.text._ZN7rocprim17ROCPRIM_400000_NS6detail17trampoline_kernelINS0_14default_configENS1_38merge_sort_block_merge_config_selectorIalEEZZNS1_27merge_sort_block_merge_implIS3_PaN6thrust23THRUST_200600_302600_NS10device_ptrIlEEjNS1_19radix_merge_compareILb0ELb0EaNS0_19identity_decomposerEEEEE10hipError_tT0_T1_T2_jT3_P12ihipStream_tbPNSt15iterator_traitsISG_E10value_typeEPNSM_ISH_E10value_typeEPSI_NS1_7vsmem_tEENKUlT_SG_SH_SI_E_clIS7_S7_SB_PlEESF_SV_SG_SH_SI_EUlSV_E1_NS1_11comp_targetILNS1_3genE5ELNS1_11target_archE942ELNS1_3gpuE9ELNS1_3repE0EEENS1_36merge_oddeven_config_static_selectorELNS0_4arch9wavefront6targetE1EEEvSH_,"axG",@progbits,_ZN7rocprim17ROCPRIM_400000_NS6detail17trampoline_kernelINS0_14default_configENS1_38merge_sort_block_merge_config_selectorIalEEZZNS1_27merge_sort_block_merge_implIS3_PaN6thrust23THRUST_200600_302600_NS10device_ptrIlEEjNS1_19radix_merge_compareILb0ELb0EaNS0_19identity_decomposerEEEEE10hipError_tT0_T1_T2_jT3_P12ihipStream_tbPNSt15iterator_traitsISG_E10value_typeEPNSM_ISH_E10value_typeEPSI_NS1_7vsmem_tEENKUlT_SG_SH_SI_E_clIS7_S7_SB_PlEESF_SV_SG_SH_SI_EUlSV_E1_NS1_11comp_targetILNS1_3genE5ELNS1_11target_archE942ELNS1_3gpuE9ELNS1_3repE0EEENS1_36merge_oddeven_config_static_selectorELNS0_4arch9wavefront6targetE1EEEvSH_,comdat
.Lfunc_end520:
	.size	_ZN7rocprim17ROCPRIM_400000_NS6detail17trampoline_kernelINS0_14default_configENS1_38merge_sort_block_merge_config_selectorIalEEZZNS1_27merge_sort_block_merge_implIS3_PaN6thrust23THRUST_200600_302600_NS10device_ptrIlEEjNS1_19radix_merge_compareILb0ELb0EaNS0_19identity_decomposerEEEEE10hipError_tT0_T1_T2_jT3_P12ihipStream_tbPNSt15iterator_traitsISG_E10value_typeEPNSM_ISH_E10value_typeEPSI_NS1_7vsmem_tEENKUlT_SG_SH_SI_E_clIS7_S7_SB_PlEESF_SV_SG_SH_SI_EUlSV_E1_NS1_11comp_targetILNS1_3genE5ELNS1_11target_archE942ELNS1_3gpuE9ELNS1_3repE0EEENS1_36merge_oddeven_config_static_selectorELNS0_4arch9wavefront6targetE1EEEvSH_, .Lfunc_end520-_ZN7rocprim17ROCPRIM_400000_NS6detail17trampoline_kernelINS0_14default_configENS1_38merge_sort_block_merge_config_selectorIalEEZZNS1_27merge_sort_block_merge_implIS3_PaN6thrust23THRUST_200600_302600_NS10device_ptrIlEEjNS1_19radix_merge_compareILb0ELb0EaNS0_19identity_decomposerEEEEE10hipError_tT0_T1_T2_jT3_P12ihipStream_tbPNSt15iterator_traitsISG_E10value_typeEPNSM_ISH_E10value_typeEPSI_NS1_7vsmem_tEENKUlT_SG_SH_SI_E_clIS7_S7_SB_PlEESF_SV_SG_SH_SI_EUlSV_E1_NS1_11comp_targetILNS1_3genE5ELNS1_11target_archE942ELNS1_3gpuE9ELNS1_3repE0EEENS1_36merge_oddeven_config_static_selectorELNS0_4arch9wavefront6targetE1EEEvSH_
                                        ; -- End function
	.set _ZN7rocprim17ROCPRIM_400000_NS6detail17trampoline_kernelINS0_14default_configENS1_38merge_sort_block_merge_config_selectorIalEEZZNS1_27merge_sort_block_merge_implIS3_PaN6thrust23THRUST_200600_302600_NS10device_ptrIlEEjNS1_19radix_merge_compareILb0ELb0EaNS0_19identity_decomposerEEEEE10hipError_tT0_T1_T2_jT3_P12ihipStream_tbPNSt15iterator_traitsISG_E10value_typeEPNSM_ISH_E10value_typeEPSI_NS1_7vsmem_tEENKUlT_SG_SH_SI_E_clIS7_S7_SB_PlEESF_SV_SG_SH_SI_EUlSV_E1_NS1_11comp_targetILNS1_3genE5ELNS1_11target_archE942ELNS1_3gpuE9ELNS1_3repE0EEENS1_36merge_oddeven_config_static_selectorELNS0_4arch9wavefront6targetE1EEEvSH_.num_vgpr, 0
	.set _ZN7rocprim17ROCPRIM_400000_NS6detail17trampoline_kernelINS0_14default_configENS1_38merge_sort_block_merge_config_selectorIalEEZZNS1_27merge_sort_block_merge_implIS3_PaN6thrust23THRUST_200600_302600_NS10device_ptrIlEEjNS1_19radix_merge_compareILb0ELb0EaNS0_19identity_decomposerEEEEE10hipError_tT0_T1_T2_jT3_P12ihipStream_tbPNSt15iterator_traitsISG_E10value_typeEPNSM_ISH_E10value_typeEPSI_NS1_7vsmem_tEENKUlT_SG_SH_SI_E_clIS7_S7_SB_PlEESF_SV_SG_SH_SI_EUlSV_E1_NS1_11comp_targetILNS1_3genE5ELNS1_11target_archE942ELNS1_3gpuE9ELNS1_3repE0EEENS1_36merge_oddeven_config_static_selectorELNS0_4arch9wavefront6targetE1EEEvSH_.num_agpr, 0
	.set _ZN7rocprim17ROCPRIM_400000_NS6detail17trampoline_kernelINS0_14default_configENS1_38merge_sort_block_merge_config_selectorIalEEZZNS1_27merge_sort_block_merge_implIS3_PaN6thrust23THRUST_200600_302600_NS10device_ptrIlEEjNS1_19radix_merge_compareILb0ELb0EaNS0_19identity_decomposerEEEEE10hipError_tT0_T1_T2_jT3_P12ihipStream_tbPNSt15iterator_traitsISG_E10value_typeEPNSM_ISH_E10value_typeEPSI_NS1_7vsmem_tEENKUlT_SG_SH_SI_E_clIS7_S7_SB_PlEESF_SV_SG_SH_SI_EUlSV_E1_NS1_11comp_targetILNS1_3genE5ELNS1_11target_archE942ELNS1_3gpuE9ELNS1_3repE0EEENS1_36merge_oddeven_config_static_selectorELNS0_4arch9wavefront6targetE1EEEvSH_.numbered_sgpr, 0
	.set _ZN7rocprim17ROCPRIM_400000_NS6detail17trampoline_kernelINS0_14default_configENS1_38merge_sort_block_merge_config_selectorIalEEZZNS1_27merge_sort_block_merge_implIS3_PaN6thrust23THRUST_200600_302600_NS10device_ptrIlEEjNS1_19radix_merge_compareILb0ELb0EaNS0_19identity_decomposerEEEEE10hipError_tT0_T1_T2_jT3_P12ihipStream_tbPNSt15iterator_traitsISG_E10value_typeEPNSM_ISH_E10value_typeEPSI_NS1_7vsmem_tEENKUlT_SG_SH_SI_E_clIS7_S7_SB_PlEESF_SV_SG_SH_SI_EUlSV_E1_NS1_11comp_targetILNS1_3genE5ELNS1_11target_archE942ELNS1_3gpuE9ELNS1_3repE0EEENS1_36merge_oddeven_config_static_selectorELNS0_4arch9wavefront6targetE1EEEvSH_.num_named_barrier, 0
	.set _ZN7rocprim17ROCPRIM_400000_NS6detail17trampoline_kernelINS0_14default_configENS1_38merge_sort_block_merge_config_selectorIalEEZZNS1_27merge_sort_block_merge_implIS3_PaN6thrust23THRUST_200600_302600_NS10device_ptrIlEEjNS1_19radix_merge_compareILb0ELb0EaNS0_19identity_decomposerEEEEE10hipError_tT0_T1_T2_jT3_P12ihipStream_tbPNSt15iterator_traitsISG_E10value_typeEPNSM_ISH_E10value_typeEPSI_NS1_7vsmem_tEENKUlT_SG_SH_SI_E_clIS7_S7_SB_PlEESF_SV_SG_SH_SI_EUlSV_E1_NS1_11comp_targetILNS1_3genE5ELNS1_11target_archE942ELNS1_3gpuE9ELNS1_3repE0EEENS1_36merge_oddeven_config_static_selectorELNS0_4arch9wavefront6targetE1EEEvSH_.private_seg_size, 0
	.set _ZN7rocprim17ROCPRIM_400000_NS6detail17trampoline_kernelINS0_14default_configENS1_38merge_sort_block_merge_config_selectorIalEEZZNS1_27merge_sort_block_merge_implIS3_PaN6thrust23THRUST_200600_302600_NS10device_ptrIlEEjNS1_19radix_merge_compareILb0ELb0EaNS0_19identity_decomposerEEEEE10hipError_tT0_T1_T2_jT3_P12ihipStream_tbPNSt15iterator_traitsISG_E10value_typeEPNSM_ISH_E10value_typeEPSI_NS1_7vsmem_tEENKUlT_SG_SH_SI_E_clIS7_S7_SB_PlEESF_SV_SG_SH_SI_EUlSV_E1_NS1_11comp_targetILNS1_3genE5ELNS1_11target_archE942ELNS1_3gpuE9ELNS1_3repE0EEENS1_36merge_oddeven_config_static_selectorELNS0_4arch9wavefront6targetE1EEEvSH_.uses_vcc, 0
	.set _ZN7rocprim17ROCPRIM_400000_NS6detail17trampoline_kernelINS0_14default_configENS1_38merge_sort_block_merge_config_selectorIalEEZZNS1_27merge_sort_block_merge_implIS3_PaN6thrust23THRUST_200600_302600_NS10device_ptrIlEEjNS1_19radix_merge_compareILb0ELb0EaNS0_19identity_decomposerEEEEE10hipError_tT0_T1_T2_jT3_P12ihipStream_tbPNSt15iterator_traitsISG_E10value_typeEPNSM_ISH_E10value_typeEPSI_NS1_7vsmem_tEENKUlT_SG_SH_SI_E_clIS7_S7_SB_PlEESF_SV_SG_SH_SI_EUlSV_E1_NS1_11comp_targetILNS1_3genE5ELNS1_11target_archE942ELNS1_3gpuE9ELNS1_3repE0EEENS1_36merge_oddeven_config_static_selectorELNS0_4arch9wavefront6targetE1EEEvSH_.uses_flat_scratch, 0
	.set _ZN7rocprim17ROCPRIM_400000_NS6detail17trampoline_kernelINS0_14default_configENS1_38merge_sort_block_merge_config_selectorIalEEZZNS1_27merge_sort_block_merge_implIS3_PaN6thrust23THRUST_200600_302600_NS10device_ptrIlEEjNS1_19radix_merge_compareILb0ELb0EaNS0_19identity_decomposerEEEEE10hipError_tT0_T1_T2_jT3_P12ihipStream_tbPNSt15iterator_traitsISG_E10value_typeEPNSM_ISH_E10value_typeEPSI_NS1_7vsmem_tEENKUlT_SG_SH_SI_E_clIS7_S7_SB_PlEESF_SV_SG_SH_SI_EUlSV_E1_NS1_11comp_targetILNS1_3genE5ELNS1_11target_archE942ELNS1_3gpuE9ELNS1_3repE0EEENS1_36merge_oddeven_config_static_selectorELNS0_4arch9wavefront6targetE1EEEvSH_.has_dyn_sized_stack, 0
	.set _ZN7rocprim17ROCPRIM_400000_NS6detail17trampoline_kernelINS0_14default_configENS1_38merge_sort_block_merge_config_selectorIalEEZZNS1_27merge_sort_block_merge_implIS3_PaN6thrust23THRUST_200600_302600_NS10device_ptrIlEEjNS1_19radix_merge_compareILb0ELb0EaNS0_19identity_decomposerEEEEE10hipError_tT0_T1_T2_jT3_P12ihipStream_tbPNSt15iterator_traitsISG_E10value_typeEPNSM_ISH_E10value_typeEPSI_NS1_7vsmem_tEENKUlT_SG_SH_SI_E_clIS7_S7_SB_PlEESF_SV_SG_SH_SI_EUlSV_E1_NS1_11comp_targetILNS1_3genE5ELNS1_11target_archE942ELNS1_3gpuE9ELNS1_3repE0EEENS1_36merge_oddeven_config_static_selectorELNS0_4arch9wavefront6targetE1EEEvSH_.has_recursion, 0
	.set _ZN7rocprim17ROCPRIM_400000_NS6detail17trampoline_kernelINS0_14default_configENS1_38merge_sort_block_merge_config_selectorIalEEZZNS1_27merge_sort_block_merge_implIS3_PaN6thrust23THRUST_200600_302600_NS10device_ptrIlEEjNS1_19radix_merge_compareILb0ELb0EaNS0_19identity_decomposerEEEEE10hipError_tT0_T1_T2_jT3_P12ihipStream_tbPNSt15iterator_traitsISG_E10value_typeEPNSM_ISH_E10value_typeEPSI_NS1_7vsmem_tEENKUlT_SG_SH_SI_E_clIS7_S7_SB_PlEESF_SV_SG_SH_SI_EUlSV_E1_NS1_11comp_targetILNS1_3genE5ELNS1_11target_archE942ELNS1_3gpuE9ELNS1_3repE0EEENS1_36merge_oddeven_config_static_selectorELNS0_4arch9wavefront6targetE1EEEvSH_.has_indirect_call, 0
	.section	.AMDGPU.csdata,"",@progbits
; Kernel info:
; codeLenInByte = 0
; TotalNumSgprs: 4
; NumVgprs: 0
; ScratchSize: 0
; MemoryBound: 0
; FloatMode: 240
; IeeeMode: 1
; LDSByteSize: 0 bytes/workgroup (compile time only)
; SGPRBlocks: 0
; VGPRBlocks: 0
; NumSGPRsForWavesPerEU: 4
; NumVGPRsForWavesPerEU: 1
; Occupancy: 10
; WaveLimiterHint : 0
; COMPUTE_PGM_RSRC2:SCRATCH_EN: 0
; COMPUTE_PGM_RSRC2:USER_SGPR: 6
; COMPUTE_PGM_RSRC2:TRAP_HANDLER: 0
; COMPUTE_PGM_RSRC2:TGID_X_EN: 1
; COMPUTE_PGM_RSRC2:TGID_Y_EN: 0
; COMPUTE_PGM_RSRC2:TGID_Z_EN: 0
; COMPUTE_PGM_RSRC2:TIDIG_COMP_CNT: 0
	.section	.text._ZN7rocprim17ROCPRIM_400000_NS6detail17trampoline_kernelINS0_14default_configENS1_38merge_sort_block_merge_config_selectorIalEEZZNS1_27merge_sort_block_merge_implIS3_PaN6thrust23THRUST_200600_302600_NS10device_ptrIlEEjNS1_19radix_merge_compareILb0ELb0EaNS0_19identity_decomposerEEEEE10hipError_tT0_T1_T2_jT3_P12ihipStream_tbPNSt15iterator_traitsISG_E10value_typeEPNSM_ISH_E10value_typeEPSI_NS1_7vsmem_tEENKUlT_SG_SH_SI_E_clIS7_S7_SB_PlEESF_SV_SG_SH_SI_EUlSV_E1_NS1_11comp_targetILNS1_3genE4ELNS1_11target_archE910ELNS1_3gpuE8ELNS1_3repE0EEENS1_36merge_oddeven_config_static_selectorELNS0_4arch9wavefront6targetE1EEEvSH_,"axG",@progbits,_ZN7rocprim17ROCPRIM_400000_NS6detail17trampoline_kernelINS0_14default_configENS1_38merge_sort_block_merge_config_selectorIalEEZZNS1_27merge_sort_block_merge_implIS3_PaN6thrust23THRUST_200600_302600_NS10device_ptrIlEEjNS1_19radix_merge_compareILb0ELb0EaNS0_19identity_decomposerEEEEE10hipError_tT0_T1_T2_jT3_P12ihipStream_tbPNSt15iterator_traitsISG_E10value_typeEPNSM_ISH_E10value_typeEPSI_NS1_7vsmem_tEENKUlT_SG_SH_SI_E_clIS7_S7_SB_PlEESF_SV_SG_SH_SI_EUlSV_E1_NS1_11comp_targetILNS1_3genE4ELNS1_11target_archE910ELNS1_3gpuE8ELNS1_3repE0EEENS1_36merge_oddeven_config_static_selectorELNS0_4arch9wavefront6targetE1EEEvSH_,comdat
	.protected	_ZN7rocprim17ROCPRIM_400000_NS6detail17trampoline_kernelINS0_14default_configENS1_38merge_sort_block_merge_config_selectorIalEEZZNS1_27merge_sort_block_merge_implIS3_PaN6thrust23THRUST_200600_302600_NS10device_ptrIlEEjNS1_19radix_merge_compareILb0ELb0EaNS0_19identity_decomposerEEEEE10hipError_tT0_T1_T2_jT3_P12ihipStream_tbPNSt15iterator_traitsISG_E10value_typeEPNSM_ISH_E10value_typeEPSI_NS1_7vsmem_tEENKUlT_SG_SH_SI_E_clIS7_S7_SB_PlEESF_SV_SG_SH_SI_EUlSV_E1_NS1_11comp_targetILNS1_3genE4ELNS1_11target_archE910ELNS1_3gpuE8ELNS1_3repE0EEENS1_36merge_oddeven_config_static_selectorELNS0_4arch9wavefront6targetE1EEEvSH_ ; -- Begin function _ZN7rocprim17ROCPRIM_400000_NS6detail17trampoline_kernelINS0_14default_configENS1_38merge_sort_block_merge_config_selectorIalEEZZNS1_27merge_sort_block_merge_implIS3_PaN6thrust23THRUST_200600_302600_NS10device_ptrIlEEjNS1_19radix_merge_compareILb0ELb0EaNS0_19identity_decomposerEEEEE10hipError_tT0_T1_T2_jT3_P12ihipStream_tbPNSt15iterator_traitsISG_E10value_typeEPNSM_ISH_E10value_typeEPSI_NS1_7vsmem_tEENKUlT_SG_SH_SI_E_clIS7_S7_SB_PlEESF_SV_SG_SH_SI_EUlSV_E1_NS1_11comp_targetILNS1_3genE4ELNS1_11target_archE910ELNS1_3gpuE8ELNS1_3repE0EEENS1_36merge_oddeven_config_static_selectorELNS0_4arch9wavefront6targetE1EEEvSH_
	.globl	_ZN7rocprim17ROCPRIM_400000_NS6detail17trampoline_kernelINS0_14default_configENS1_38merge_sort_block_merge_config_selectorIalEEZZNS1_27merge_sort_block_merge_implIS3_PaN6thrust23THRUST_200600_302600_NS10device_ptrIlEEjNS1_19radix_merge_compareILb0ELb0EaNS0_19identity_decomposerEEEEE10hipError_tT0_T1_T2_jT3_P12ihipStream_tbPNSt15iterator_traitsISG_E10value_typeEPNSM_ISH_E10value_typeEPSI_NS1_7vsmem_tEENKUlT_SG_SH_SI_E_clIS7_S7_SB_PlEESF_SV_SG_SH_SI_EUlSV_E1_NS1_11comp_targetILNS1_3genE4ELNS1_11target_archE910ELNS1_3gpuE8ELNS1_3repE0EEENS1_36merge_oddeven_config_static_selectorELNS0_4arch9wavefront6targetE1EEEvSH_
	.p2align	8
	.type	_ZN7rocprim17ROCPRIM_400000_NS6detail17trampoline_kernelINS0_14default_configENS1_38merge_sort_block_merge_config_selectorIalEEZZNS1_27merge_sort_block_merge_implIS3_PaN6thrust23THRUST_200600_302600_NS10device_ptrIlEEjNS1_19radix_merge_compareILb0ELb0EaNS0_19identity_decomposerEEEEE10hipError_tT0_T1_T2_jT3_P12ihipStream_tbPNSt15iterator_traitsISG_E10value_typeEPNSM_ISH_E10value_typeEPSI_NS1_7vsmem_tEENKUlT_SG_SH_SI_E_clIS7_S7_SB_PlEESF_SV_SG_SH_SI_EUlSV_E1_NS1_11comp_targetILNS1_3genE4ELNS1_11target_archE910ELNS1_3gpuE8ELNS1_3repE0EEENS1_36merge_oddeven_config_static_selectorELNS0_4arch9wavefront6targetE1EEEvSH_,@function
_ZN7rocprim17ROCPRIM_400000_NS6detail17trampoline_kernelINS0_14default_configENS1_38merge_sort_block_merge_config_selectorIalEEZZNS1_27merge_sort_block_merge_implIS3_PaN6thrust23THRUST_200600_302600_NS10device_ptrIlEEjNS1_19radix_merge_compareILb0ELb0EaNS0_19identity_decomposerEEEEE10hipError_tT0_T1_T2_jT3_P12ihipStream_tbPNSt15iterator_traitsISG_E10value_typeEPNSM_ISH_E10value_typeEPSI_NS1_7vsmem_tEENKUlT_SG_SH_SI_E_clIS7_S7_SB_PlEESF_SV_SG_SH_SI_EUlSV_E1_NS1_11comp_targetILNS1_3genE4ELNS1_11target_archE910ELNS1_3gpuE8ELNS1_3repE0EEENS1_36merge_oddeven_config_static_selectorELNS0_4arch9wavefront6targetE1EEEvSH_: ; @_ZN7rocprim17ROCPRIM_400000_NS6detail17trampoline_kernelINS0_14default_configENS1_38merge_sort_block_merge_config_selectorIalEEZZNS1_27merge_sort_block_merge_implIS3_PaN6thrust23THRUST_200600_302600_NS10device_ptrIlEEjNS1_19radix_merge_compareILb0ELb0EaNS0_19identity_decomposerEEEEE10hipError_tT0_T1_T2_jT3_P12ihipStream_tbPNSt15iterator_traitsISG_E10value_typeEPNSM_ISH_E10value_typeEPSI_NS1_7vsmem_tEENKUlT_SG_SH_SI_E_clIS7_S7_SB_PlEESF_SV_SG_SH_SI_EUlSV_E1_NS1_11comp_targetILNS1_3genE4ELNS1_11target_archE910ELNS1_3gpuE8ELNS1_3repE0EEENS1_36merge_oddeven_config_static_selectorELNS0_4arch9wavefront6targetE1EEEvSH_
; %bb.0:
	.section	.rodata,"a",@progbits
	.p2align	6, 0x0
	.amdhsa_kernel _ZN7rocprim17ROCPRIM_400000_NS6detail17trampoline_kernelINS0_14default_configENS1_38merge_sort_block_merge_config_selectorIalEEZZNS1_27merge_sort_block_merge_implIS3_PaN6thrust23THRUST_200600_302600_NS10device_ptrIlEEjNS1_19radix_merge_compareILb0ELb0EaNS0_19identity_decomposerEEEEE10hipError_tT0_T1_T2_jT3_P12ihipStream_tbPNSt15iterator_traitsISG_E10value_typeEPNSM_ISH_E10value_typeEPSI_NS1_7vsmem_tEENKUlT_SG_SH_SI_E_clIS7_S7_SB_PlEESF_SV_SG_SH_SI_EUlSV_E1_NS1_11comp_targetILNS1_3genE4ELNS1_11target_archE910ELNS1_3gpuE8ELNS1_3repE0EEENS1_36merge_oddeven_config_static_selectorELNS0_4arch9wavefront6targetE1EEEvSH_
		.amdhsa_group_segment_fixed_size 0
		.amdhsa_private_segment_fixed_size 0
		.amdhsa_kernarg_size 48
		.amdhsa_user_sgpr_count 6
		.amdhsa_user_sgpr_private_segment_buffer 1
		.amdhsa_user_sgpr_dispatch_ptr 0
		.amdhsa_user_sgpr_queue_ptr 0
		.amdhsa_user_sgpr_kernarg_segment_ptr 1
		.amdhsa_user_sgpr_dispatch_id 0
		.amdhsa_user_sgpr_flat_scratch_init 0
		.amdhsa_user_sgpr_private_segment_size 0
		.amdhsa_uses_dynamic_stack 0
		.amdhsa_system_sgpr_private_segment_wavefront_offset 0
		.amdhsa_system_sgpr_workgroup_id_x 1
		.amdhsa_system_sgpr_workgroup_id_y 0
		.amdhsa_system_sgpr_workgroup_id_z 0
		.amdhsa_system_sgpr_workgroup_info 0
		.amdhsa_system_vgpr_workitem_id 0
		.amdhsa_next_free_vgpr 1
		.amdhsa_next_free_sgpr 0
		.amdhsa_reserve_vcc 0
		.amdhsa_reserve_flat_scratch 0
		.amdhsa_float_round_mode_32 0
		.amdhsa_float_round_mode_16_64 0
		.amdhsa_float_denorm_mode_32 3
		.amdhsa_float_denorm_mode_16_64 3
		.amdhsa_dx10_clamp 1
		.amdhsa_ieee_mode 1
		.amdhsa_fp16_overflow 0
		.amdhsa_exception_fp_ieee_invalid_op 0
		.amdhsa_exception_fp_denorm_src 0
		.amdhsa_exception_fp_ieee_div_zero 0
		.amdhsa_exception_fp_ieee_overflow 0
		.amdhsa_exception_fp_ieee_underflow 0
		.amdhsa_exception_fp_ieee_inexact 0
		.amdhsa_exception_int_div_zero 0
	.end_amdhsa_kernel
	.section	.text._ZN7rocprim17ROCPRIM_400000_NS6detail17trampoline_kernelINS0_14default_configENS1_38merge_sort_block_merge_config_selectorIalEEZZNS1_27merge_sort_block_merge_implIS3_PaN6thrust23THRUST_200600_302600_NS10device_ptrIlEEjNS1_19radix_merge_compareILb0ELb0EaNS0_19identity_decomposerEEEEE10hipError_tT0_T1_T2_jT3_P12ihipStream_tbPNSt15iterator_traitsISG_E10value_typeEPNSM_ISH_E10value_typeEPSI_NS1_7vsmem_tEENKUlT_SG_SH_SI_E_clIS7_S7_SB_PlEESF_SV_SG_SH_SI_EUlSV_E1_NS1_11comp_targetILNS1_3genE4ELNS1_11target_archE910ELNS1_3gpuE8ELNS1_3repE0EEENS1_36merge_oddeven_config_static_selectorELNS0_4arch9wavefront6targetE1EEEvSH_,"axG",@progbits,_ZN7rocprim17ROCPRIM_400000_NS6detail17trampoline_kernelINS0_14default_configENS1_38merge_sort_block_merge_config_selectorIalEEZZNS1_27merge_sort_block_merge_implIS3_PaN6thrust23THRUST_200600_302600_NS10device_ptrIlEEjNS1_19radix_merge_compareILb0ELb0EaNS0_19identity_decomposerEEEEE10hipError_tT0_T1_T2_jT3_P12ihipStream_tbPNSt15iterator_traitsISG_E10value_typeEPNSM_ISH_E10value_typeEPSI_NS1_7vsmem_tEENKUlT_SG_SH_SI_E_clIS7_S7_SB_PlEESF_SV_SG_SH_SI_EUlSV_E1_NS1_11comp_targetILNS1_3genE4ELNS1_11target_archE910ELNS1_3gpuE8ELNS1_3repE0EEENS1_36merge_oddeven_config_static_selectorELNS0_4arch9wavefront6targetE1EEEvSH_,comdat
.Lfunc_end521:
	.size	_ZN7rocprim17ROCPRIM_400000_NS6detail17trampoline_kernelINS0_14default_configENS1_38merge_sort_block_merge_config_selectorIalEEZZNS1_27merge_sort_block_merge_implIS3_PaN6thrust23THRUST_200600_302600_NS10device_ptrIlEEjNS1_19radix_merge_compareILb0ELb0EaNS0_19identity_decomposerEEEEE10hipError_tT0_T1_T2_jT3_P12ihipStream_tbPNSt15iterator_traitsISG_E10value_typeEPNSM_ISH_E10value_typeEPSI_NS1_7vsmem_tEENKUlT_SG_SH_SI_E_clIS7_S7_SB_PlEESF_SV_SG_SH_SI_EUlSV_E1_NS1_11comp_targetILNS1_3genE4ELNS1_11target_archE910ELNS1_3gpuE8ELNS1_3repE0EEENS1_36merge_oddeven_config_static_selectorELNS0_4arch9wavefront6targetE1EEEvSH_, .Lfunc_end521-_ZN7rocprim17ROCPRIM_400000_NS6detail17trampoline_kernelINS0_14default_configENS1_38merge_sort_block_merge_config_selectorIalEEZZNS1_27merge_sort_block_merge_implIS3_PaN6thrust23THRUST_200600_302600_NS10device_ptrIlEEjNS1_19radix_merge_compareILb0ELb0EaNS0_19identity_decomposerEEEEE10hipError_tT0_T1_T2_jT3_P12ihipStream_tbPNSt15iterator_traitsISG_E10value_typeEPNSM_ISH_E10value_typeEPSI_NS1_7vsmem_tEENKUlT_SG_SH_SI_E_clIS7_S7_SB_PlEESF_SV_SG_SH_SI_EUlSV_E1_NS1_11comp_targetILNS1_3genE4ELNS1_11target_archE910ELNS1_3gpuE8ELNS1_3repE0EEENS1_36merge_oddeven_config_static_selectorELNS0_4arch9wavefront6targetE1EEEvSH_
                                        ; -- End function
	.set _ZN7rocprim17ROCPRIM_400000_NS6detail17trampoline_kernelINS0_14default_configENS1_38merge_sort_block_merge_config_selectorIalEEZZNS1_27merge_sort_block_merge_implIS3_PaN6thrust23THRUST_200600_302600_NS10device_ptrIlEEjNS1_19radix_merge_compareILb0ELb0EaNS0_19identity_decomposerEEEEE10hipError_tT0_T1_T2_jT3_P12ihipStream_tbPNSt15iterator_traitsISG_E10value_typeEPNSM_ISH_E10value_typeEPSI_NS1_7vsmem_tEENKUlT_SG_SH_SI_E_clIS7_S7_SB_PlEESF_SV_SG_SH_SI_EUlSV_E1_NS1_11comp_targetILNS1_3genE4ELNS1_11target_archE910ELNS1_3gpuE8ELNS1_3repE0EEENS1_36merge_oddeven_config_static_selectorELNS0_4arch9wavefront6targetE1EEEvSH_.num_vgpr, 0
	.set _ZN7rocprim17ROCPRIM_400000_NS6detail17trampoline_kernelINS0_14default_configENS1_38merge_sort_block_merge_config_selectorIalEEZZNS1_27merge_sort_block_merge_implIS3_PaN6thrust23THRUST_200600_302600_NS10device_ptrIlEEjNS1_19radix_merge_compareILb0ELb0EaNS0_19identity_decomposerEEEEE10hipError_tT0_T1_T2_jT3_P12ihipStream_tbPNSt15iterator_traitsISG_E10value_typeEPNSM_ISH_E10value_typeEPSI_NS1_7vsmem_tEENKUlT_SG_SH_SI_E_clIS7_S7_SB_PlEESF_SV_SG_SH_SI_EUlSV_E1_NS1_11comp_targetILNS1_3genE4ELNS1_11target_archE910ELNS1_3gpuE8ELNS1_3repE0EEENS1_36merge_oddeven_config_static_selectorELNS0_4arch9wavefront6targetE1EEEvSH_.num_agpr, 0
	.set _ZN7rocprim17ROCPRIM_400000_NS6detail17trampoline_kernelINS0_14default_configENS1_38merge_sort_block_merge_config_selectorIalEEZZNS1_27merge_sort_block_merge_implIS3_PaN6thrust23THRUST_200600_302600_NS10device_ptrIlEEjNS1_19radix_merge_compareILb0ELb0EaNS0_19identity_decomposerEEEEE10hipError_tT0_T1_T2_jT3_P12ihipStream_tbPNSt15iterator_traitsISG_E10value_typeEPNSM_ISH_E10value_typeEPSI_NS1_7vsmem_tEENKUlT_SG_SH_SI_E_clIS7_S7_SB_PlEESF_SV_SG_SH_SI_EUlSV_E1_NS1_11comp_targetILNS1_3genE4ELNS1_11target_archE910ELNS1_3gpuE8ELNS1_3repE0EEENS1_36merge_oddeven_config_static_selectorELNS0_4arch9wavefront6targetE1EEEvSH_.numbered_sgpr, 0
	.set _ZN7rocprim17ROCPRIM_400000_NS6detail17trampoline_kernelINS0_14default_configENS1_38merge_sort_block_merge_config_selectorIalEEZZNS1_27merge_sort_block_merge_implIS3_PaN6thrust23THRUST_200600_302600_NS10device_ptrIlEEjNS1_19radix_merge_compareILb0ELb0EaNS0_19identity_decomposerEEEEE10hipError_tT0_T1_T2_jT3_P12ihipStream_tbPNSt15iterator_traitsISG_E10value_typeEPNSM_ISH_E10value_typeEPSI_NS1_7vsmem_tEENKUlT_SG_SH_SI_E_clIS7_S7_SB_PlEESF_SV_SG_SH_SI_EUlSV_E1_NS1_11comp_targetILNS1_3genE4ELNS1_11target_archE910ELNS1_3gpuE8ELNS1_3repE0EEENS1_36merge_oddeven_config_static_selectorELNS0_4arch9wavefront6targetE1EEEvSH_.num_named_barrier, 0
	.set _ZN7rocprim17ROCPRIM_400000_NS6detail17trampoline_kernelINS0_14default_configENS1_38merge_sort_block_merge_config_selectorIalEEZZNS1_27merge_sort_block_merge_implIS3_PaN6thrust23THRUST_200600_302600_NS10device_ptrIlEEjNS1_19radix_merge_compareILb0ELb0EaNS0_19identity_decomposerEEEEE10hipError_tT0_T1_T2_jT3_P12ihipStream_tbPNSt15iterator_traitsISG_E10value_typeEPNSM_ISH_E10value_typeEPSI_NS1_7vsmem_tEENKUlT_SG_SH_SI_E_clIS7_S7_SB_PlEESF_SV_SG_SH_SI_EUlSV_E1_NS1_11comp_targetILNS1_3genE4ELNS1_11target_archE910ELNS1_3gpuE8ELNS1_3repE0EEENS1_36merge_oddeven_config_static_selectorELNS0_4arch9wavefront6targetE1EEEvSH_.private_seg_size, 0
	.set _ZN7rocprim17ROCPRIM_400000_NS6detail17trampoline_kernelINS0_14default_configENS1_38merge_sort_block_merge_config_selectorIalEEZZNS1_27merge_sort_block_merge_implIS3_PaN6thrust23THRUST_200600_302600_NS10device_ptrIlEEjNS1_19radix_merge_compareILb0ELb0EaNS0_19identity_decomposerEEEEE10hipError_tT0_T1_T2_jT3_P12ihipStream_tbPNSt15iterator_traitsISG_E10value_typeEPNSM_ISH_E10value_typeEPSI_NS1_7vsmem_tEENKUlT_SG_SH_SI_E_clIS7_S7_SB_PlEESF_SV_SG_SH_SI_EUlSV_E1_NS1_11comp_targetILNS1_3genE4ELNS1_11target_archE910ELNS1_3gpuE8ELNS1_3repE0EEENS1_36merge_oddeven_config_static_selectorELNS0_4arch9wavefront6targetE1EEEvSH_.uses_vcc, 0
	.set _ZN7rocprim17ROCPRIM_400000_NS6detail17trampoline_kernelINS0_14default_configENS1_38merge_sort_block_merge_config_selectorIalEEZZNS1_27merge_sort_block_merge_implIS3_PaN6thrust23THRUST_200600_302600_NS10device_ptrIlEEjNS1_19radix_merge_compareILb0ELb0EaNS0_19identity_decomposerEEEEE10hipError_tT0_T1_T2_jT3_P12ihipStream_tbPNSt15iterator_traitsISG_E10value_typeEPNSM_ISH_E10value_typeEPSI_NS1_7vsmem_tEENKUlT_SG_SH_SI_E_clIS7_S7_SB_PlEESF_SV_SG_SH_SI_EUlSV_E1_NS1_11comp_targetILNS1_3genE4ELNS1_11target_archE910ELNS1_3gpuE8ELNS1_3repE0EEENS1_36merge_oddeven_config_static_selectorELNS0_4arch9wavefront6targetE1EEEvSH_.uses_flat_scratch, 0
	.set _ZN7rocprim17ROCPRIM_400000_NS6detail17trampoline_kernelINS0_14default_configENS1_38merge_sort_block_merge_config_selectorIalEEZZNS1_27merge_sort_block_merge_implIS3_PaN6thrust23THRUST_200600_302600_NS10device_ptrIlEEjNS1_19radix_merge_compareILb0ELb0EaNS0_19identity_decomposerEEEEE10hipError_tT0_T1_T2_jT3_P12ihipStream_tbPNSt15iterator_traitsISG_E10value_typeEPNSM_ISH_E10value_typeEPSI_NS1_7vsmem_tEENKUlT_SG_SH_SI_E_clIS7_S7_SB_PlEESF_SV_SG_SH_SI_EUlSV_E1_NS1_11comp_targetILNS1_3genE4ELNS1_11target_archE910ELNS1_3gpuE8ELNS1_3repE0EEENS1_36merge_oddeven_config_static_selectorELNS0_4arch9wavefront6targetE1EEEvSH_.has_dyn_sized_stack, 0
	.set _ZN7rocprim17ROCPRIM_400000_NS6detail17trampoline_kernelINS0_14default_configENS1_38merge_sort_block_merge_config_selectorIalEEZZNS1_27merge_sort_block_merge_implIS3_PaN6thrust23THRUST_200600_302600_NS10device_ptrIlEEjNS1_19radix_merge_compareILb0ELb0EaNS0_19identity_decomposerEEEEE10hipError_tT0_T1_T2_jT3_P12ihipStream_tbPNSt15iterator_traitsISG_E10value_typeEPNSM_ISH_E10value_typeEPSI_NS1_7vsmem_tEENKUlT_SG_SH_SI_E_clIS7_S7_SB_PlEESF_SV_SG_SH_SI_EUlSV_E1_NS1_11comp_targetILNS1_3genE4ELNS1_11target_archE910ELNS1_3gpuE8ELNS1_3repE0EEENS1_36merge_oddeven_config_static_selectorELNS0_4arch9wavefront6targetE1EEEvSH_.has_recursion, 0
	.set _ZN7rocprim17ROCPRIM_400000_NS6detail17trampoline_kernelINS0_14default_configENS1_38merge_sort_block_merge_config_selectorIalEEZZNS1_27merge_sort_block_merge_implIS3_PaN6thrust23THRUST_200600_302600_NS10device_ptrIlEEjNS1_19radix_merge_compareILb0ELb0EaNS0_19identity_decomposerEEEEE10hipError_tT0_T1_T2_jT3_P12ihipStream_tbPNSt15iterator_traitsISG_E10value_typeEPNSM_ISH_E10value_typeEPSI_NS1_7vsmem_tEENKUlT_SG_SH_SI_E_clIS7_S7_SB_PlEESF_SV_SG_SH_SI_EUlSV_E1_NS1_11comp_targetILNS1_3genE4ELNS1_11target_archE910ELNS1_3gpuE8ELNS1_3repE0EEENS1_36merge_oddeven_config_static_selectorELNS0_4arch9wavefront6targetE1EEEvSH_.has_indirect_call, 0
	.section	.AMDGPU.csdata,"",@progbits
; Kernel info:
; codeLenInByte = 0
; TotalNumSgprs: 4
; NumVgprs: 0
; ScratchSize: 0
; MemoryBound: 0
; FloatMode: 240
; IeeeMode: 1
; LDSByteSize: 0 bytes/workgroup (compile time only)
; SGPRBlocks: 0
; VGPRBlocks: 0
; NumSGPRsForWavesPerEU: 4
; NumVGPRsForWavesPerEU: 1
; Occupancy: 10
; WaveLimiterHint : 0
; COMPUTE_PGM_RSRC2:SCRATCH_EN: 0
; COMPUTE_PGM_RSRC2:USER_SGPR: 6
; COMPUTE_PGM_RSRC2:TRAP_HANDLER: 0
; COMPUTE_PGM_RSRC2:TGID_X_EN: 1
; COMPUTE_PGM_RSRC2:TGID_Y_EN: 0
; COMPUTE_PGM_RSRC2:TGID_Z_EN: 0
; COMPUTE_PGM_RSRC2:TIDIG_COMP_CNT: 0
	.section	.text._ZN7rocprim17ROCPRIM_400000_NS6detail17trampoline_kernelINS0_14default_configENS1_38merge_sort_block_merge_config_selectorIalEEZZNS1_27merge_sort_block_merge_implIS3_PaN6thrust23THRUST_200600_302600_NS10device_ptrIlEEjNS1_19radix_merge_compareILb0ELb0EaNS0_19identity_decomposerEEEEE10hipError_tT0_T1_T2_jT3_P12ihipStream_tbPNSt15iterator_traitsISG_E10value_typeEPNSM_ISH_E10value_typeEPSI_NS1_7vsmem_tEENKUlT_SG_SH_SI_E_clIS7_S7_SB_PlEESF_SV_SG_SH_SI_EUlSV_E1_NS1_11comp_targetILNS1_3genE3ELNS1_11target_archE908ELNS1_3gpuE7ELNS1_3repE0EEENS1_36merge_oddeven_config_static_selectorELNS0_4arch9wavefront6targetE1EEEvSH_,"axG",@progbits,_ZN7rocprim17ROCPRIM_400000_NS6detail17trampoline_kernelINS0_14default_configENS1_38merge_sort_block_merge_config_selectorIalEEZZNS1_27merge_sort_block_merge_implIS3_PaN6thrust23THRUST_200600_302600_NS10device_ptrIlEEjNS1_19radix_merge_compareILb0ELb0EaNS0_19identity_decomposerEEEEE10hipError_tT0_T1_T2_jT3_P12ihipStream_tbPNSt15iterator_traitsISG_E10value_typeEPNSM_ISH_E10value_typeEPSI_NS1_7vsmem_tEENKUlT_SG_SH_SI_E_clIS7_S7_SB_PlEESF_SV_SG_SH_SI_EUlSV_E1_NS1_11comp_targetILNS1_3genE3ELNS1_11target_archE908ELNS1_3gpuE7ELNS1_3repE0EEENS1_36merge_oddeven_config_static_selectorELNS0_4arch9wavefront6targetE1EEEvSH_,comdat
	.protected	_ZN7rocprim17ROCPRIM_400000_NS6detail17trampoline_kernelINS0_14default_configENS1_38merge_sort_block_merge_config_selectorIalEEZZNS1_27merge_sort_block_merge_implIS3_PaN6thrust23THRUST_200600_302600_NS10device_ptrIlEEjNS1_19radix_merge_compareILb0ELb0EaNS0_19identity_decomposerEEEEE10hipError_tT0_T1_T2_jT3_P12ihipStream_tbPNSt15iterator_traitsISG_E10value_typeEPNSM_ISH_E10value_typeEPSI_NS1_7vsmem_tEENKUlT_SG_SH_SI_E_clIS7_S7_SB_PlEESF_SV_SG_SH_SI_EUlSV_E1_NS1_11comp_targetILNS1_3genE3ELNS1_11target_archE908ELNS1_3gpuE7ELNS1_3repE0EEENS1_36merge_oddeven_config_static_selectorELNS0_4arch9wavefront6targetE1EEEvSH_ ; -- Begin function _ZN7rocprim17ROCPRIM_400000_NS6detail17trampoline_kernelINS0_14default_configENS1_38merge_sort_block_merge_config_selectorIalEEZZNS1_27merge_sort_block_merge_implIS3_PaN6thrust23THRUST_200600_302600_NS10device_ptrIlEEjNS1_19radix_merge_compareILb0ELb0EaNS0_19identity_decomposerEEEEE10hipError_tT0_T1_T2_jT3_P12ihipStream_tbPNSt15iterator_traitsISG_E10value_typeEPNSM_ISH_E10value_typeEPSI_NS1_7vsmem_tEENKUlT_SG_SH_SI_E_clIS7_S7_SB_PlEESF_SV_SG_SH_SI_EUlSV_E1_NS1_11comp_targetILNS1_3genE3ELNS1_11target_archE908ELNS1_3gpuE7ELNS1_3repE0EEENS1_36merge_oddeven_config_static_selectorELNS0_4arch9wavefront6targetE1EEEvSH_
	.globl	_ZN7rocprim17ROCPRIM_400000_NS6detail17trampoline_kernelINS0_14default_configENS1_38merge_sort_block_merge_config_selectorIalEEZZNS1_27merge_sort_block_merge_implIS3_PaN6thrust23THRUST_200600_302600_NS10device_ptrIlEEjNS1_19radix_merge_compareILb0ELb0EaNS0_19identity_decomposerEEEEE10hipError_tT0_T1_T2_jT3_P12ihipStream_tbPNSt15iterator_traitsISG_E10value_typeEPNSM_ISH_E10value_typeEPSI_NS1_7vsmem_tEENKUlT_SG_SH_SI_E_clIS7_S7_SB_PlEESF_SV_SG_SH_SI_EUlSV_E1_NS1_11comp_targetILNS1_3genE3ELNS1_11target_archE908ELNS1_3gpuE7ELNS1_3repE0EEENS1_36merge_oddeven_config_static_selectorELNS0_4arch9wavefront6targetE1EEEvSH_
	.p2align	8
	.type	_ZN7rocprim17ROCPRIM_400000_NS6detail17trampoline_kernelINS0_14default_configENS1_38merge_sort_block_merge_config_selectorIalEEZZNS1_27merge_sort_block_merge_implIS3_PaN6thrust23THRUST_200600_302600_NS10device_ptrIlEEjNS1_19radix_merge_compareILb0ELb0EaNS0_19identity_decomposerEEEEE10hipError_tT0_T1_T2_jT3_P12ihipStream_tbPNSt15iterator_traitsISG_E10value_typeEPNSM_ISH_E10value_typeEPSI_NS1_7vsmem_tEENKUlT_SG_SH_SI_E_clIS7_S7_SB_PlEESF_SV_SG_SH_SI_EUlSV_E1_NS1_11comp_targetILNS1_3genE3ELNS1_11target_archE908ELNS1_3gpuE7ELNS1_3repE0EEENS1_36merge_oddeven_config_static_selectorELNS0_4arch9wavefront6targetE1EEEvSH_,@function
_ZN7rocprim17ROCPRIM_400000_NS6detail17trampoline_kernelINS0_14default_configENS1_38merge_sort_block_merge_config_selectorIalEEZZNS1_27merge_sort_block_merge_implIS3_PaN6thrust23THRUST_200600_302600_NS10device_ptrIlEEjNS1_19radix_merge_compareILb0ELb0EaNS0_19identity_decomposerEEEEE10hipError_tT0_T1_T2_jT3_P12ihipStream_tbPNSt15iterator_traitsISG_E10value_typeEPNSM_ISH_E10value_typeEPSI_NS1_7vsmem_tEENKUlT_SG_SH_SI_E_clIS7_S7_SB_PlEESF_SV_SG_SH_SI_EUlSV_E1_NS1_11comp_targetILNS1_3genE3ELNS1_11target_archE908ELNS1_3gpuE7ELNS1_3repE0EEENS1_36merge_oddeven_config_static_selectorELNS0_4arch9wavefront6targetE1EEEvSH_: ; @_ZN7rocprim17ROCPRIM_400000_NS6detail17trampoline_kernelINS0_14default_configENS1_38merge_sort_block_merge_config_selectorIalEEZZNS1_27merge_sort_block_merge_implIS3_PaN6thrust23THRUST_200600_302600_NS10device_ptrIlEEjNS1_19radix_merge_compareILb0ELb0EaNS0_19identity_decomposerEEEEE10hipError_tT0_T1_T2_jT3_P12ihipStream_tbPNSt15iterator_traitsISG_E10value_typeEPNSM_ISH_E10value_typeEPSI_NS1_7vsmem_tEENKUlT_SG_SH_SI_E_clIS7_S7_SB_PlEESF_SV_SG_SH_SI_EUlSV_E1_NS1_11comp_targetILNS1_3genE3ELNS1_11target_archE908ELNS1_3gpuE7ELNS1_3repE0EEENS1_36merge_oddeven_config_static_selectorELNS0_4arch9wavefront6targetE1EEEvSH_
; %bb.0:
	.section	.rodata,"a",@progbits
	.p2align	6, 0x0
	.amdhsa_kernel _ZN7rocprim17ROCPRIM_400000_NS6detail17trampoline_kernelINS0_14default_configENS1_38merge_sort_block_merge_config_selectorIalEEZZNS1_27merge_sort_block_merge_implIS3_PaN6thrust23THRUST_200600_302600_NS10device_ptrIlEEjNS1_19radix_merge_compareILb0ELb0EaNS0_19identity_decomposerEEEEE10hipError_tT0_T1_T2_jT3_P12ihipStream_tbPNSt15iterator_traitsISG_E10value_typeEPNSM_ISH_E10value_typeEPSI_NS1_7vsmem_tEENKUlT_SG_SH_SI_E_clIS7_S7_SB_PlEESF_SV_SG_SH_SI_EUlSV_E1_NS1_11comp_targetILNS1_3genE3ELNS1_11target_archE908ELNS1_3gpuE7ELNS1_3repE0EEENS1_36merge_oddeven_config_static_selectorELNS0_4arch9wavefront6targetE1EEEvSH_
		.amdhsa_group_segment_fixed_size 0
		.amdhsa_private_segment_fixed_size 0
		.amdhsa_kernarg_size 48
		.amdhsa_user_sgpr_count 6
		.amdhsa_user_sgpr_private_segment_buffer 1
		.amdhsa_user_sgpr_dispatch_ptr 0
		.amdhsa_user_sgpr_queue_ptr 0
		.amdhsa_user_sgpr_kernarg_segment_ptr 1
		.amdhsa_user_sgpr_dispatch_id 0
		.amdhsa_user_sgpr_flat_scratch_init 0
		.amdhsa_user_sgpr_private_segment_size 0
		.amdhsa_uses_dynamic_stack 0
		.amdhsa_system_sgpr_private_segment_wavefront_offset 0
		.amdhsa_system_sgpr_workgroup_id_x 1
		.amdhsa_system_sgpr_workgroup_id_y 0
		.amdhsa_system_sgpr_workgroup_id_z 0
		.amdhsa_system_sgpr_workgroup_info 0
		.amdhsa_system_vgpr_workitem_id 0
		.amdhsa_next_free_vgpr 1
		.amdhsa_next_free_sgpr 0
		.amdhsa_reserve_vcc 0
		.amdhsa_reserve_flat_scratch 0
		.amdhsa_float_round_mode_32 0
		.amdhsa_float_round_mode_16_64 0
		.amdhsa_float_denorm_mode_32 3
		.amdhsa_float_denorm_mode_16_64 3
		.amdhsa_dx10_clamp 1
		.amdhsa_ieee_mode 1
		.amdhsa_fp16_overflow 0
		.amdhsa_exception_fp_ieee_invalid_op 0
		.amdhsa_exception_fp_denorm_src 0
		.amdhsa_exception_fp_ieee_div_zero 0
		.amdhsa_exception_fp_ieee_overflow 0
		.amdhsa_exception_fp_ieee_underflow 0
		.amdhsa_exception_fp_ieee_inexact 0
		.amdhsa_exception_int_div_zero 0
	.end_amdhsa_kernel
	.section	.text._ZN7rocprim17ROCPRIM_400000_NS6detail17trampoline_kernelINS0_14default_configENS1_38merge_sort_block_merge_config_selectorIalEEZZNS1_27merge_sort_block_merge_implIS3_PaN6thrust23THRUST_200600_302600_NS10device_ptrIlEEjNS1_19radix_merge_compareILb0ELb0EaNS0_19identity_decomposerEEEEE10hipError_tT0_T1_T2_jT3_P12ihipStream_tbPNSt15iterator_traitsISG_E10value_typeEPNSM_ISH_E10value_typeEPSI_NS1_7vsmem_tEENKUlT_SG_SH_SI_E_clIS7_S7_SB_PlEESF_SV_SG_SH_SI_EUlSV_E1_NS1_11comp_targetILNS1_3genE3ELNS1_11target_archE908ELNS1_3gpuE7ELNS1_3repE0EEENS1_36merge_oddeven_config_static_selectorELNS0_4arch9wavefront6targetE1EEEvSH_,"axG",@progbits,_ZN7rocprim17ROCPRIM_400000_NS6detail17trampoline_kernelINS0_14default_configENS1_38merge_sort_block_merge_config_selectorIalEEZZNS1_27merge_sort_block_merge_implIS3_PaN6thrust23THRUST_200600_302600_NS10device_ptrIlEEjNS1_19radix_merge_compareILb0ELb0EaNS0_19identity_decomposerEEEEE10hipError_tT0_T1_T2_jT3_P12ihipStream_tbPNSt15iterator_traitsISG_E10value_typeEPNSM_ISH_E10value_typeEPSI_NS1_7vsmem_tEENKUlT_SG_SH_SI_E_clIS7_S7_SB_PlEESF_SV_SG_SH_SI_EUlSV_E1_NS1_11comp_targetILNS1_3genE3ELNS1_11target_archE908ELNS1_3gpuE7ELNS1_3repE0EEENS1_36merge_oddeven_config_static_selectorELNS0_4arch9wavefront6targetE1EEEvSH_,comdat
.Lfunc_end522:
	.size	_ZN7rocprim17ROCPRIM_400000_NS6detail17trampoline_kernelINS0_14default_configENS1_38merge_sort_block_merge_config_selectorIalEEZZNS1_27merge_sort_block_merge_implIS3_PaN6thrust23THRUST_200600_302600_NS10device_ptrIlEEjNS1_19radix_merge_compareILb0ELb0EaNS0_19identity_decomposerEEEEE10hipError_tT0_T1_T2_jT3_P12ihipStream_tbPNSt15iterator_traitsISG_E10value_typeEPNSM_ISH_E10value_typeEPSI_NS1_7vsmem_tEENKUlT_SG_SH_SI_E_clIS7_S7_SB_PlEESF_SV_SG_SH_SI_EUlSV_E1_NS1_11comp_targetILNS1_3genE3ELNS1_11target_archE908ELNS1_3gpuE7ELNS1_3repE0EEENS1_36merge_oddeven_config_static_selectorELNS0_4arch9wavefront6targetE1EEEvSH_, .Lfunc_end522-_ZN7rocprim17ROCPRIM_400000_NS6detail17trampoline_kernelINS0_14default_configENS1_38merge_sort_block_merge_config_selectorIalEEZZNS1_27merge_sort_block_merge_implIS3_PaN6thrust23THRUST_200600_302600_NS10device_ptrIlEEjNS1_19radix_merge_compareILb0ELb0EaNS0_19identity_decomposerEEEEE10hipError_tT0_T1_T2_jT3_P12ihipStream_tbPNSt15iterator_traitsISG_E10value_typeEPNSM_ISH_E10value_typeEPSI_NS1_7vsmem_tEENKUlT_SG_SH_SI_E_clIS7_S7_SB_PlEESF_SV_SG_SH_SI_EUlSV_E1_NS1_11comp_targetILNS1_3genE3ELNS1_11target_archE908ELNS1_3gpuE7ELNS1_3repE0EEENS1_36merge_oddeven_config_static_selectorELNS0_4arch9wavefront6targetE1EEEvSH_
                                        ; -- End function
	.set _ZN7rocprim17ROCPRIM_400000_NS6detail17trampoline_kernelINS0_14default_configENS1_38merge_sort_block_merge_config_selectorIalEEZZNS1_27merge_sort_block_merge_implIS3_PaN6thrust23THRUST_200600_302600_NS10device_ptrIlEEjNS1_19radix_merge_compareILb0ELb0EaNS0_19identity_decomposerEEEEE10hipError_tT0_T1_T2_jT3_P12ihipStream_tbPNSt15iterator_traitsISG_E10value_typeEPNSM_ISH_E10value_typeEPSI_NS1_7vsmem_tEENKUlT_SG_SH_SI_E_clIS7_S7_SB_PlEESF_SV_SG_SH_SI_EUlSV_E1_NS1_11comp_targetILNS1_3genE3ELNS1_11target_archE908ELNS1_3gpuE7ELNS1_3repE0EEENS1_36merge_oddeven_config_static_selectorELNS0_4arch9wavefront6targetE1EEEvSH_.num_vgpr, 0
	.set _ZN7rocprim17ROCPRIM_400000_NS6detail17trampoline_kernelINS0_14default_configENS1_38merge_sort_block_merge_config_selectorIalEEZZNS1_27merge_sort_block_merge_implIS3_PaN6thrust23THRUST_200600_302600_NS10device_ptrIlEEjNS1_19radix_merge_compareILb0ELb0EaNS0_19identity_decomposerEEEEE10hipError_tT0_T1_T2_jT3_P12ihipStream_tbPNSt15iterator_traitsISG_E10value_typeEPNSM_ISH_E10value_typeEPSI_NS1_7vsmem_tEENKUlT_SG_SH_SI_E_clIS7_S7_SB_PlEESF_SV_SG_SH_SI_EUlSV_E1_NS1_11comp_targetILNS1_3genE3ELNS1_11target_archE908ELNS1_3gpuE7ELNS1_3repE0EEENS1_36merge_oddeven_config_static_selectorELNS0_4arch9wavefront6targetE1EEEvSH_.num_agpr, 0
	.set _ZN7rocprim17ROCPRIM_400000_NS6detail17trampoline_kernelINS0_14default_configENS1_38merge_sort_block_merge_config_selectorIalEEZZNS1_27merge_sort_block_merge_implIS3_PaN6thrust23THRUST_200600_302600_NS10device_ptrIlEEjNS1_19radix_merge_compareILb0ELb0EaNS0_19identity_decomposerEEEEE10hipError_tT0_T1_T2_jT3_P12ihipStream_tbPNSt15iterator_traitsISG_E10value_typeEPNSM_ISH_E10value_typeEPSI_NS1_7vsmem_tEENKUlT_SG_SH_SI_E_clIS7_S7_SB_PlEESF_SV_SG_SH_SI_EUlSV_E1_NS1_11comp_targetILNS1_3genE3ELNS1_11target_archE908ELNS1_3gpuE7ELNS1_3repE0EEENS1_36merge_oddeven_config_static_selectorELNS0_4arch9wavefront6targetE1EEEvSH_.numbered_sgpr, 0
	.set _ZN7rocprim17ROCPRIM_400000_NS6detail17trampoline_kernelINS0_14default_configENS1_38merge_sort_block_merge_config_selectorIalEEZZNS1_27merge_sort_block_merge_implIS3_PaN6thrust23THRUST_200600_302600_NS10device_ptrIlEEjNS1_19radix_merge_compareILb0ELb0EaNS0_19identity_decomposerEEEEE10hipError_tT0_T1_T2_jT3_P12ihipStream_tbPNSt15iterator_traitsISG_E10value_typeEPNSM_ISH_E10value_typeEPSI_NS1_7vsmem_tEENKUlT_SG_SH_SI_E_clIS7_S7_SB_PlEESF_SV_SG_SH_SI_EUlSV_E1_NS1_11comp_targetILNS1_3genE3ELNS1_11target_archE908ELNS1_3gpuE7ELNS1_3repE0EEENS1_36merge_oddeven_config_static_selectorELNS0_4arch9wavefront6targetE1EEEvSH_.num_named_barrier, 0
	.set _ZN7rocprim17ROCPRIM_400000_NS6detail17trampoline_kernelINS0_14default_configENS1_38merge_sort_block_merge_config_selectorIalEEZZNS1_27merge_sort_block_merge_implIS3_PaN6thrust23THRUST_200600_302600_NS10device_ptrIlEEjNS1_19radix_merge_compareILb0ELb0EaNS0_19identity_decomposerEEEEE10hipError_tT0_T1_T2_jT3_P12ihipStream_tbPNSt15iterator_traitsISG_E10value_typeEPNSM_ISH_E10value_typeEPSI_NS1_7vsmem_tEENKUlT_SG_SH_SI_E_clIS7_S7_SB_PlEESF_SV_SG_SH_SI_EUlSV_E1_NS1_11comp_targetILNS1_3genE3ELNS1_11target_archE908ELNS1_3gpuE7ELNS1_3repE0EEENS1_36merge_oddeven_config_static_selectorELNS0_4arch9wavefront6targetE1EEEvSH_.private_seg_size, 0
	.set _ZN7rocprim17ROCPRIM_400000_NS6detail17trampoline_kernelINS0_14default_configENS1_38merge_sort_block_merge_config_selectorIalEEZZNS1_27merge_sort_block_merge_implIS3_PaN6thrust23THRUST_200600_302600_NS10device_ptrIlEEjNS1_19radix_merge_compareILb0ELb0EaNS0_19identity_decomposerEEEEE10hipError_tT0_T1_T2_jT3_P12ihipStream_tbPNSt15iterator_traitsISG_E10value_typeEPNSM_ISH_E10value_typeEPSI_NS1_7vsmem_tEENKUlT_SG_SH_SI_E_clIS7_S7_SB_PlEESF_SV_SG_SH_SI_EUlSV_E1_NS1_11comp_targetILNS1_3genE3ELNS1_11target_archE908ELNS1_3gpuE7ELNS1_3repE0EEENS1_36merge_oddeven_config_static_selectorELNS0_4arch9wavefront6targetE1EEEvSH_.uses_vcc, 0
	.set _ZN7rocprim17ROCPRIM_400000_NS6detail17trampoline_kernelINS0_14default_configENS1_38merge_sort_block_merge_config_selectorIalEEZZNS1_27merge_sort_block_merge_implIS3_PaN6thrust23THRUST_200600_302600_NS10device_ptrIlEEjNS1_19radix_merge_compareILb0ELb0EaNS0_19identity_decomposerEEEEE10hipError_tT0_T1_T2_jT3_P12ihipStream_tbPNSt15iterator_traitsISG_E10value_typeEPNSM_ISH_E10value_typeEPSI_NS1_7vsmem_tEENKUlT_SG_SH_SI_E_clIS7_S7_SB_PlEESF_SV_SG_SH_SI_EUlSV_E1_NS1_11comp_targetILNS1_3genE3ELNS1_11target_archE908ELNS1_3gpuE7ELNS1_3repE0EEENS1_36merge_oddeven_config_static_selectorELNS0_4arch9wavefront6targetE1EEEvSH_.uses_flat_scratch, 0
	.set _ZN7rocprim17ROCPRIM_400000_NS6detail17trampoline_kernelINS0_14default_configENS1_38merge_sort_block_merge_config_selectorIalEEZZNS1_27merge_sort_block_merge_implIS3_PaN6thrust23THRUST_200600_302600_NS10device_ptrIlEEjNS1_19radix_merge_compareILb0ELb0EaNS0_19identity_decomposerEEEEE10hipError_tT0_T1_T2_jT3_P12ihipStream_tbPNSt15iterator_traitsISG_E10value_typeEPNSM_ISH_E10value_typeEPSI_NS1_7vsmem_tEENKUlT_SG_SH_SI_E_clIS7_S7_SB_PlEESF_SV_SG_SH_SI_EUlSV_E1_NS1_11comp_targetILNS1_3genE3ELNS1_11target_archE908ELNS1_3gpuE7ELNS1_3repE0EEENS1_36merge_oddeven_config_static_selectorELNS0_4arch9wavefront6targetE1EEEvSH_.has_dyn_sized_stack, 0
	.set _ZN7rocprim17ROCPRIM_400000_NS6detail17trampoline_kernelINS0_14default_configENS1_38merge_sort_block_merge_config_selectorIalEEZZNS1_27merge_sort_block_merge_implIS3_PaN6thrust23THRUST_200600_302600_NS10device_ptrIlEEjNS1_19radix_merge_compareILb0ELb0EaNS0_19identity_decomposerEEEEE10hipError_tT0_T1_T2_jT3_P12ihipStream_tbPNSt15iterator_traitsISG_E10value_typeEPNSM_ISH_E10value_typeEPSI_NS1_7vsmem_tEENKUlT_SG_SH_SI_E_clIS7_S7_SB_PlEESF_SV_SG_SH_SI_EUlSV_E1_NS1_11comp_targetILNS1_3genE3ELNS1_11target_archE908ELNS1_3gpuE7ELNS1_3repE0EEENS1_36merge_oddeven_config_static_selectorELNS0_4arch9wavefront6targetE1EEEvSH_.has_recursion, 0
	.set _ZN7rocprim17ROCPRIM_400000_NS6detail17trampoline_kernelINS0_14default_configENS1_38merge_sort_block_merge_config_selectorIalEEZZNS1_27merge_sort_block_merge_implIS3_PaN6thrust23THRUST_200600_302600_NS10device_ptrIlEEjNS1_19radix_merge_compareILb0ELb0EaNS0_19identity_decomposerEEEEE10hipError_tT0_T1_T2_jT3_P12ihipStream_tbPNSt15iterator_traitsISG_E10value_typeEPNSM_ISH_E10value_typeEPSI_NS1_7vsmem_tEENKUlT_SG_SH_SI_E_clIS7_S7_SB_PlEESF_SV_SG_SH_SI_EUlSV_E1_NS1_11comp_targetILNS1_3genE3ELNS1_11target_archE908ELNS1_3gpuE7ELNS1_3repE0EEENS1_36merge_oddeven_config_static_selectorELNS0_4arch9wavefront6targetE1EEEvSH_.has_indirect_call, 0
	.section	.AMDGPU.csdata,"",@progbits
; Kernel info:
; codeLenInByte = 0
; TotalNumSgprs: 4
; NumVgprs: 0
; ScratchSize: 0
; MemoryBound: 0
; FloatMode: 240
; IeeeMode: 1
; LDSByteSize: 0 bytes/workgroup (compile time only)
; SGPRBlocks: 0
; VGPRBlocks: 0
; NumSGPRsForWavesPerEU: 4
; NumVGPRsForWavesPerEU: 1
; Occupancy: 10
; WaveLimiterHint : 0
; COMPUTE_PGM_RSRC2:SCRATCH_EN: 0
; COMPUTE_PGM_RSRC2:USER_SGPR: 6
; COMPUTE_PGM_RSRC2:TRAP_HANDLER: 0
; COMPUTE_PGM_RSRC2:TGID_X_EN: 1
; COMPUTE_PGM_RSRC2:TGID_Y_EN: 0
; COMPUTE_PGM_RSRC2:TGID_Z_EN: 0
; COMPUTE_PGM_RSRC2:TIDIG_COMP_CNT: 0
	.section	.text._ZN7rocprim17ROCPRIM_400000_NS6detail17trampoline_kernelINS0_14default_configENS1_38merge_sort_block_merge_config_selectorIalEEZZNS1_27merge_sort_block_merge_implIS3_PaN6thrust23THRUST_200600_302600_NS10device_ptrIlEEjNS1_19radix_merge_compareILb0ELb0EaNS0_19identity_decomposerEEEEE10hipError_tT0_T1_T2_jT3_P12ihipStream_tbPNSt15iterator_traitsISG_E10value_typeEPNSM_ISH_E10value_typeEPSI_NS1_7vsmem_tEENKUlT_SG_SH_SI_E_clIS7_S7_SB_PlEESF_SV_SG_SH_SI_EUlSV_E1_NS1_11comp_targetILNS1_3genE2ELNS1_11target_archE906ELNS1_3gpuE6ELNS1_3repE0EEENS1_36merge_oddeven_config_static_selectorELNS0_4arch9wavefront6targetE1EEEvSH_,"axG",@progbits,_ZN7rocprim17ROCPRIM_400000_NS6detail17trampoline_kernelINS0_14default_configENS1_38merge_sort_block_merge_config_selectorIalEEZZNS1_27merge_sort_block_merge_implIS3_PaN6thrust23THRUST_200600_302600_NS10device_ptrIlEEjNS1_19radix_merge_compareILb0ELb0EaNS0_19identity_decomposerEEEEE10hipError_tT0_T1_T2_jT3_P12ihipStream_tbPNSt15iterator_traitsISG_E10value_typeEPNSM_ISH_E10value_typeEPSI_NS1_7vsmem_tEENKUlT_SG_SH_SI_E_clIS7_S7_SB_PlEESF_SV_SG_SH_SI_EUlSV_E1_NS1_11comp_targetILNS1_3genE2ELNS1_11target_archE906ELNS1_3gpuE6ELNS1_3repE0EEENS1_36merge_oddeven_config_static_selectorELNS0_4arch9wavefront6targetE1EEEvSH_,comdat
	.protected	_ZN7rocprim17ROCPRIM_400000_NS6detail17trampoline_kernelINS0_14default_configENS1_38merge_sort_block_merge_config_selectorIalEEZZNS1_27merge_sort_block_merge_implIS3_PaN6thrust23THRUST_200600_302600_NS10device_ptrIlEEjNS1_19radix_merge_compareILb0ELb0EaNS0_19identity_decomposerEEEEE10hipError_tT0_T1_T2_jT3_P12ihipStream_tbPNSt15iterator_traitsISG_E10value_typeEPNSM_ISH_E10value_typeEPSI_NS1_7vsmem_tEENKUlT_SG_SH_SI_E_clIS7_S7_SB_PlEESF_SV_SG_SH_SI_EUlSV_E1_NS1_11comp_targetILNS1_3genE2ELNS1_11target_archE906ELNS1_3gpuE6ELNS1_3repE0EEENS1_36merge_oddeven_config_static_selectorELNS0_4arch9wavefront6targetE1EEEvSH_ ; -- Begin function _ZN7rocprim17ROCPRIM_400000_NS6detail17trampoline_kernelINS0_14default_configENS1_38merge_sort_block_merge_config_selectorIalEEZZNS1_27merge_sort_block_merge_implIS3_PaN6thrust23THRUST_200600_302600_NS10device_ptrIlEEjNS1_19radix_merge_compareILb0ELb0EaNS0_19identity_decomposerEEEEE10hipError_tT0_T1_T2_jT3_P12ihipStream_tbPNSt15iterator_traitsISG_E10value_typeEPNSM_ISH_E10value_typeEPSI_NS1_7vsmem_tEENKUlT_SG_SH_SI_E_clIS7_S7_SB_PlEESF_SV_SG_SH_SI_EUlSV_E1_NS1_11comp_targetILNS1_3genE2ELNS1_11target_archE906ELNS1_3gpuE6ELNS1_3repE0EEENS1_36merge_oddeven_config_static_selectorELNS0_4arch9wavefront6targetE1EEEvSH_
	.globl	_ZN7rocprim17ROCPRIM_400000_NS6detail17trampoline_kernelINS0_14default_configENS1_38merge_sort_block_merge_config_selectorIalEEZZNS1_27merge_sort_block_merge_implIS3_PaN6thrust23THRUST_200600_302600_NS10device_ptrIlEEjNS1_19radix_merge_compareILb0ELb0EaNS0_19identity_decomposerEEEEE10hipError_tT0_T1_T2_jT3_P12ihipStream_tbPNSt15iterator_traitsISG_E10value_typeEPNSM_ISH_E10value_typeEPSI_NS1_7vsmem_tEENKUlT_SG_SH_SI_E_clIS7_S7_SB_PlEESF_SV_SG_SH_SI_EUlSV_E1_NS1_11comp_targetILNS1_3genE2ELNS1_11target_archE906ELNS1_3gpuE6ELNS1_3repE0EEENS1_36merge_oddeven_config_static_selectorELNS0_4arch9wavefront6targetE1EEEvSH_
	.p2align	8
	.type	_ZN7rocprim17ROCPRIM_400000_NS6detail17trampoline_kernelINS0_14default_configENS1_38merge_sort_block_merge_config_selectorIalEEZZNS1_27merge_sort_block_merge_implIS3_PaN6thrust23THRUST_200600_302600_NS10device_ptrIlEEjNS1_19radix_merge_compareILb0ELb0EaNS0_19identity_decomposerEEEEE10hipError_tT0_T1_T2_jT3_P12ihipStream_tbPNSt15iterator_traitsISG_E10value_typeEPNSM_ISH_E10value_typeEPSI_NS1_7vsmem_tEENKUlT_SG_SH_SI_E_clIS7_S7_SB_PlEESF_SV_SG_SH_SI_EUlSV_E1_NS1_11comp_targetILNS1_3genE2ELNS1_11target_archE906ELNS1_3gpuE6ELNS1_3repE0EEENS1_36merge_oddeven_config_static_selectorELNS0_4arch9wavefront6targetE1EEEvSH_,@function
_ZN7rocprim17ROCPRIM_400000_NS6detail17trampoline_kernelINS0_14default_configENS1_38merge_sort_block_merge_config_selectorIalEEZZNS1_27merge_sort_block_merge_implIS3_PaN6thrust23THRUST_200600_302600_NS10device_ptrIlEEjNS1_19radix_merge_compareILb0ELb0EaNS0_19identity_decomposerEEEEE10hipError_tT0_T1_T2_jT3_P12ihipStream_tbPNSt15iterator_traitsISG_E10value_typeEPNSM_ISH_E10value_typeEPSI_NS1_7vsmem_tEENKUlT_SG_SH_SI_E_clIS7_S7_SB_PlEESF_SV_SG_SH_SI_EUlSV_E1_NS1_11comp_targetILNS1_3genE2ELNS1_11target_archE906ELNS1_3gpuE6ELNS1_3repE0EEENS1_36merge_oddeven_config_static_selectorELNS0_4arch9wavefront6targetE1EEEvSH_: ; @_ZN7rocprim17ROCPRIM_400000_NS6detail17trampoline_kernelINS0_14default_configENS1_38merge_sort_block_merge_config_selectorIalEEZZNS1_27merge_sort_block_merge_implIS3_PaN6thrust23THRUST_200600_302600_NS10device_ptrIlEEjNS1_19radix_merge_compareILb0ELb0EaNS0_19identity_decomposerEEEEE10hipError_tT0_T1_T2_jT3_P12ihipStream_tbPNSt15iterator_traitsISG_E10value_typeEPNSM_ISH_E10value_typeEPSI_NS1_7vsmem_tEENKUlT_SG_SH_SI_E_clIS7_S7_SB_PlEESF_SV_SG_SH_SI_EUlSV_E1_NS1_11comp_targetILNS1_3genE2ELNS1_11target_archE906ELNS1_3gpuE6ELNS1_3repE0EEENS1_36merge_oddeven_config_static_selectorELNS0_4arch9wavefront6targetE1EEEvSH_
; %bb.0:
	s_load_dword s7, s[4:5], 0x20
	s_waitcnt lgkmcnt(0)
	s_lshr_b32 s0, s7, 8
	s_cmp_eq_u32 s6, s0
	s_cselect_b64 s[16:17], -1, 0
	s_cmp_lg_u32 s6, s0
	s_cselect_b64 s[0:1], -1, 0
	s_lshl_b32 s18, s6, 8
	s_sub_i32 s2, s7, s18
	v_cmp_gt_u32_e64 s[2:3], s2, v0
	s_or_b64 s[0:1], s[0:1], s[2:3]
	s_and_saveexec_b64 s[8:9], s[0:1]
	s_cbranch_execz .LBB523_24
; %bb.1:
	s_load_dwordx8 s[8:15], s[4:5], 0x0
	s_mov_b32 s19, 0
	v_lshlrev_b32_e32 v3, 3, v0
	s_waitcnt lgkmcnt(0)
	s_add_u32 s0, s8, s18
	s_addc_u32 s1, s9, 0
	s_lshl_b64 s[20:21], s[18:19], 3
	s_add_u32 s12, s12, s20
	s_addc_u32 s13, s13, s21
	global_load_dwordx2 v[1:2], v3, s[12:13]
	global_load_sbyte v5, v0, s[0:1]
	s_load_dword s13, s[4:5], 0x24
	v_add_u32_e32 v3, s18, v0
	s_waitcnt lgkmcnt(0)
	s_lshr_b32 s0, s13, 8
	s_sub_i32 s1, 0, s0
	s_and_b32 s1, s6, s1
	s_and_b32 s0, s1, s0
	s_lshl_b32 s19, s1, 8
	s_sub_i32 s6, 0, s13
	s_cmp_eq_u32 s0, 0
	s_cselect_b64 s[0:1], -1, 0
	s_and_b64 s[4:5], s[0:1], exec
	s_cselect_b32 s6, s13, s6
	s_add_i32 s6, s6, s19
	s_mov_b64 s[4:5], -1
	s_cmp_gt_u32 s7, s6
	s_cbranch_scc1 .LBB523_9
; %bb.2:
	s_and_b64 vcc, exec, s[16:17]
	s_cbranch_vccz .LBB523_6
; %bb.3:
	v_cmp_gt_u32_e32 vcc, s7, v3
	s_and_saveexec_b64 s[4:5], vcc
	s_cbranch_execz .LBB523_5
; %bb.4:
	v_mov_b32_e32 v4, 0
	v_lshlrev_b64 v[6:7], 3, v[3:4]
	v_mov_b32_e32 v0, s15
	v_add_co_u32_e32 v6, vcc, s14, v6
	v_addc_co_u32_e32 v7, vcc, v0, v7, vcc
	s_waitcnt vmcnt(0)
	global_store_byte v3, v5, s[10:11]
	global_store_dwordx2 v[6:7], v[1:2], off
.LBB523_5:
	s_or_b64 exec, exec, s[4:5]
	s_mov_b64 s[4:5], 0
.LBB523_6:
	s_andn2_b64 vcc, exec, s[4:5]
	s_cbranch_vccnz .LBB523_8
; %bb.7:
	v_mov_b32_e32 v4, 0
	v_lshlrev_b64 v[6:7], 3, v[3:4]
	v_mov_b32_e32 v0, s15
	v_add_co_u32_e32 v6, vcc, s14, v6
	v_addc_co_u32_e32 v7, vcc, v0, v7, vcc
	s_waitcnt vmcnt(0)
	global_store_byte v3, v5, s[10:11]
	global_store_dwordx2 v[6:7], v[1:2], off
.LBB523_8:
	s_mov_b64 s[4:5], 0
.LBB523_9:
	s_andn2_b64 vcc, exec, s[4:5]
	s_cbranch_vccnz .LBB523_24
; %bb.10:
	s_min_u32 s12, s6, s7
	s_add_i32 s4, s12, s13
	s_min_u32 s7, s4, s7
	s_min_u32 s4, s19, s12
	s_add_i32 s19, s19, s12
	v_subrev_u32_e32 v0, s19, v3
	v_add_u32_e32 v0, s4, v0
	s_andn2_b64 vcc, exec, s[16:17]
	s_mov_b64 s[4:5], -1
	s_cbranch_vccnz .LBB523_18
; %bb.11:
	s_and_saveexec_b64 s[4:5], s[2:3]
	s_cbranch_execz .LBB523_17
; %bb.12:
	s_cmp_ge_u32 s6, s7
	v_mov_b32_e32 v3, s12
	s_cbranch_scc1 .LBB523_16
; %bb.13:
	s_mov_b64 s[2:3], 0
	v_mov_b32_e32 v4, s7
	v_mov_b32_e32 v3, s12
.LBB523_14:                             ; =>This Inner Loop Header: Depth=1
	v_add_u32_e32 v6, v3, v4
	v_lshrrev_b32_e32 v6, 1, v6
	global_load_sbyte v7, v6, s[8:9]
	v_add_u32_e32 v8, 1, v6
	s_waitcnt vmcnt(0)
	v_cmp_gt_i16_e32 vcc, v5, v7
	v_cndmask_b32_e64 v9, 0, 1, vcc
	v_cmp_le_i16_e32 vcc, v7, v5
	v_cndmask_b32_e64 v7, 0, 1, vcc
	v_cndmask_b32_e64 v7, v7, v9, s[0:1]
	v_and_b32_e32 v7, 1, v7
	v_cmp_eq_u32_e32 vcc, 1, v7
	v_cndmask_b32_e32 v4, v6, v4, vcc
	v_cndmask_b32_e32 v3, v3, v8, vcc
	v_cmp_ge_u32_e32 vcc, v3, v4
	s_or_b64 s[2:3], vcc, s[2:3]
	s_andn2_b64 exec, exec, s[2:3]
	s_cbranch_execnz .LBB523_14
; %bb.15:
	s_or_b64 exec, exec, s[2:3]
.LBB523_16:
	v_add_u32_e32 v3, v3, v0
	v_mov_b32_e32 v4, 0
	s_waitcnt vmcnt(0)
	global_store_byte v3, v5, s[10:11]
	v_lshlrev_b64 v[3:4], 3, v[3:4]
	v_mov_b32_e32 v6, s15
	v_add_co_u32_e32 v3, vcc, s14, v3
	v_addc_co_u32_e32 v4, vcc, v6, v4, vcc
	global_store_dwordx2 v[3:4], v[1:2], off
.LBB523_17:
	s_or_b64 exec, exec, s[4:5]
	s_mov_b64 s[4:5], 0
.LBB523_18:
	s_andn2_b64 vcc, exec, s[4:5]
	s_cbranch_vccnz .LBB523_24
; %bb.19:
	s_cmp_ge_u32 s6, s7
	v_mov_b32_e32 v3, s12
	s_cbranch_scc1 .LBB523_23
; %bb.20:
	s_mov_b64 s[2:3], 0
	v_mov_b32_e32 v4, s7
	v_mov_b32_e32 v3, s12
.LBB523_21:                             ; =>This Inner Loop Header: Depth=1
	v_add_u32_e32 v6, v3, v4
	v_lshrrev_b32_e32 v6, 1, v6
	global_load_sbyte v7, v6, s[8:9]
	v_add_u32_e32 v8, 1, v6
	s_waitcnt vmcnt(0)
	v_cmp_gt_i16_e32 vcc, v5, v7
	v_cndmask_b32_e64 v9, 0, 1, vcc
	v_cmp_le_i16_e32 vcc, v7, v5
	v_cndmask_b32_e64 v7, 0, 1, vcc
	v_cndmask_b32_e64 v7, v7, v9, s[0:1]
	v_and_b32_e32 v7, 1, v7
	v_cmp_eq_u32_e32 vcc, 1, v7
	v_cndmask_b32_e32 v4, v6, v4, vcc
	v_cndmask_b32_e32 v3, v3, v8, vcc
	v_cmp_ge_u32_e32 vcc, v3, v4
	s_or_b64 s[2:3], vcc, s[2:3]
	s_andn2_b64 exec, exec, s[2:3]
	s_cbranch_execnz .LBB523_21
; %bb.22:
	s_or_b64 exec, exec, s[2:3]
.LBB523_23:
	v_add_u32_e32 v3, v3, v0
	v_mov_b32_e32 v4, 0
	s_waitcnt vmcnt(0)
	global_store_byte v3, v5, s[10:11]
	v_lshlrev_b64 v[3:4], 3, v[3:4]
	v_mov_b32_e32 v0, s15
	v_add_co_u32_e32 v3, vcc, s14, v3
	v_addc_co_u32_e32 v4, vcc, v0, v4, vcc
	global_store_dwordx2 v[3:4], v[1:2], off
.LBB523_24:
	s_endpgm
	.section	.rodata,"a",@progbits
	.p2align	6, 0x0
	.amdhsa_kernel _ZN7rocprim17ROCPRIM_400000_NS6detail17trampoline_kernelINS0_14default_configENS1_38merge_sort_block_merge_config_selectorIalEEZZNS1_27merge_sort_block_merge_implIS3_PaN6thrust23THRUST_200600_302600_NS10device_ptrIlEEjNS1_19radix_merge_compareILb0ELb0EaNS0_19identity_decomposerEEEEE10hipError_tT0_T1_T2_jT3_P12ihipStream_tbPNSt15iterator_traitsISG_E10value_typeEPNSM_ISH_E10value_typeEPSI_NS1_7vsmem_tEENKUlT_SG_SH_SI_E_clIS7_S7_SB_PlEESF_SV_SG_SH_SI_EUlSV_E1_NS1_11comp_targetILNS1_3genE2ELNS1_11target_archE906ELNS1_3gpuE6ELNS1_3repE0EEENS1_36merge_oddeven_config_static_selectorELNS0_4arch9wavefront6targetE1EEEvSH_
		.amdhsa_group_segment_fixed_size 0
		.amdhsa_private_segment_fixed_size 0
		.amdhsa_kernarg_size 48
		.amdhsa_user_sgpr_count 6
		.amdhsa_user_sgpr_private_segment_buffer 1
		.amdhsa_user_sgpr_dispatch_ptr 0
		.amdhsa_user_sgpr_queue_ptr 0
		.amdhsa_user_sgpr_kernarg_segment_ptr 1
		.amdhsa_user_sgpr_dispatch_id 0
		.amdhsa_user_sgpr_flat_scratch_init 0
		.amdhsa_user_sgpr_private_segment_size 0
		.amdhsa_uses_dynamic_stack 0
		.amdhsa_system_sgpr_private_segment_wavefront_offset 0
		.amdhsa_system_sgpr_workgroup_id_x 1
		.amdhsa_system_sgpr_workgroup_id_y 0
		.amdhsa_system_sgpr_workgroup_id_z 0
		.amdhsa_system_sgpr_workgroup_info 0
		.amdhsa_system_vgpr_workitem_id 0
		.amdhsa_next_free_vgpr 10
		.amdhsa_next_free_sgpr 22
		.amdhsa_reserve_vcc 1
		.amdhsa_reserve_flat_scratch 0
		.amdhsa_float_round_mode_32 0
		.amdhsa_float_round_mode_16_64 0
		.amdhsa_float_denorm_mode_32 3
		.amdhsa_float_denorm_mode_16_64 3
		.amdhsa_dx10_clamp 1
		.amdhsa_ieee_mode 1
		.amdhsa_fp16_overflow 0
		.amdhsa_exception_fp_ieee_invalid_op 0
		.amdhsa_exception_fp_denorm_src 0
		.amdhsa_exception_fp_ieee_div_zero 0
		.amdhsa_exception_fp_ieee_overflow 0
		.amdhsa_exception_fp_ieee_underflow 0
		.amdhsa_exception_fp_ieee_inexact 0
		.amdhsa_exception_int_div_zero 0
	.end_amdhsa_kernel
	.section	.text._ZN7rocprim17ROCPRIM_400000_NS6detail17trampoline_kernelINS0_14default_configENS1_38merge_sort_block_merge_config_selectorIalEEZZNS1_27merge_sort_block_merge_implIS3_PaN6thrust23THRUST_200600_302600_NS10device_ptrIlEEjNS1_19radix_merge_compareILb0ELb0EaNS0_19identity_decomposerEEEEE10hipError_tT0_T1_T2_jT3_P12ihipStream_tbPNSt15iterator_traitsISG_E10value_typeEPNSM_ISH_E10value_typeEPSI_NS1_7vsmem_tEENKUlT_SG_SH_SI_E_clIS7_S7_SB_PlEESF_SV_SG_SH_SI_EUlSV_E1_NS1_11comp_targetILNS1_3genE2ELNS1_11target_archE906ELNS1_3gpuE6ELNS1_3repE0EEENS1_36merge_oddeven_config_static_selectorELNS0_4arch9wavefront6targetE1EEEvSH_,"axG",@progbits,_ZN7rocprim17ROCPRIM_400000_NS6detail17trampoline_kernelINS0_14default_configENS1_38merge_sort_block_merge_config_selectorIalEEZZNS1_27merge_sort_block_merge_implIS3_PaN6thrust23THRUST_200600_302600_NS10device_ptrIlEEjNS1_19radix_merge_compareILb0ELb0EaNS0_19identity_decomposerEEEEE10hipError_tT0_T1_T2_jT3_P12ihipStream_tbPNSt15iterator_traitsISG_E10value_typeEPNSM_ISH_E10value_typeEPSI_NS1_7vsmem_tEENKUlT_SG_SH_SI_E_clIS7_S7_SB_PlEESF_SV_SG_SH_SI_EUlSV_E1_NS1_11comp_targetILNS1_3genE2ELNS1_11target_archE906ELNS1_3gpuE6ELNS1_3repE0EEENS1_36merge_oddeven_config_static_selectorELNS0_4arch9wavefront6targetE1EEEvSH_,comdat
.Lfunc_end523:
	.size	_ZN7rocprim17ROCPRIM_400000_NS6detail17trampoline_kernelINS0_14default_configENS1_38merge_sort_block_merge_config_selectorIalEEZZNS1_27merge_sort_block_merge_implIS3_PaN6thrust23THRUST_200600_302600_NS10device_ptrIlEEjNS1_19radix_merge_compareILb0ELb0EaNS0_19identity_decomposerEEEEE10hipError_tT0_T1_T2_jT3_P12ihipStream_tbPNSt15iterator_traitsISG_E10value_typeEPNSM_ISH_E10value_typeEPSI_NS1_7vsmem_tEENKUlT_SG_SH_SI_E_clIS7_S7_SB_PlEESF_SV_SG_SH_SI_EUlSV_E1_NS1_11comp_targetILNS1_3genE2ELNS1_11target_archE906ELNS1_3gpuE6ELNS1_3repE0EEENS1_36merge_oddeven_config_static_selectorELNS0_4arch9wavefront6targetE1EEEvSH_, .Lfunc_end523-_ZN7rocprim17ROCPRIM_400000_NS6detail17trampoline_kernelINS0_14default_configENS1_38merge_sort_block_merge_config_selectorIalEEZZNS1_27merge_sort_block_merge_implIS3_PaN6thrust23THRUST_200600_302600_NS10device_ptrIlEEjNS1_19radix_merge_compareILb0ELb0EaNS0_19identity_decomposerEEEEE10hipError_tT0_T1_T2_jT3_P12ihipStream_tbPNSt15iterator_traitsISG_E10value_typeEPNSM_ISH_E10value_typeEPSI_NS1_7vsmem_tEENKUlT_SG_SH_SI_E_clIS7_S7_SB_PlEESF_SV_SG_SH_SI_EUlSV_E1_NS1_11comp_targetILNS1_3genE2ELNS1_11target_archE906ELNS1_3gpuE6ELNS1_3repE0EEENS1_36merge_oddeven_config_static_selectorELNS0_4arch9wavefront6targetE1EEEvSH_
                                        ; -- End function
	.set _ZN7rocprim17ROCPRIM_400000_NS6detail17trampoline_kernelINS0_14default_configENS1_38merge_sort_block_merge_config_selectorIalEEZZNS1_27merge_sort_block_merge_implIS3_PaN6thrust23THRUST_200600_302600_NS10device_ptrIlEEjNS1_19radix_merge_compareILb0ELb0EaNS0_19identity_decomposerEEEEE10hipError_tT0_T1_T2_jT3_P12ihipStream_tbPNSt15iterator_traitsISG_E10value_typeEPNSM_ISH_E10value_typeEPSI_NS1_7vsmem_tEENKUlT_SG_SH_SI_E_clIS7_S7_SB_PlEESF_SV_SG_SH_SI_EUlSV_E1_NS1_11comp_targetILNS1_3genE2ELNS1_11target_archE906ELNS1_3gpuE6ELNS1_3repE0EEENS1_36merge_oddeven_config_static_selectorELNS0_4arch9wavefront6targetE1EEEvSH_.num_vgpr, 10
	.set _ZN7rocprim17ROCPRIM_400000_NS6detail17trampoline_kernelINS0_14default_configENS1_38merge_sort_block_merge_config_selectorIalEEZZNS1_27merge_sort_block_merge_implIS3_PaN6thrust23THRUST_200600_302600_NS10device_ptrIlEEjNS1_19radix_merge_compareILb0ELb0EaNS0_19identity_decomposerEEEEE10hipError_tT0_T1_T2_jT3_P12ihipStream_tbPNSt15iterator_traitsISG_E10value_typeEPNSM_ISH_E10value_typeEPSI_NS1_7vsmem_tEENKUlT_SG_SH_SI_E_clIS7_S7_SB_PlEESF_SV_SG_SH_SI_EUlSV_E1_NS1_11comp_targetILNS1_3genE2ELNS1_11target_archE906ELNS1_3gpuE6ELNS1_3repE0EEENS1_36merge_oddeven_config_static_selectorELNS0_4arch9wavefront6targetE1EEEvSH_.num_agpr, 0
	.set _ZN7rocprim17ROCPRIM_400000_NS6detail17trampoline_kernelINS0_14default_configENS1_38merge_sort_block_merge_config_selectorIalEEZZNS1_27merge_sort_block_merge_implIS3_PaN6thrust23THRUST_200600_302600_NS10device_ptrIlEEjNS1_19radix_merge_compareILb0ELb0EaNS0_19identity_decomposerEEEEE10hipError_tT0_T1_T2_jT3_P12ihipStream_tbPNSt15iterator_traitsISG_E10value_typeEPNSM_ISH_E10value_typeEPSI_NS1_7vsmem_tEENKUlT_SG_SH_SI_E_clIS7_S7_SB_PlEESF_SV_SG_SH_SI_EUlSV_E1_NS1_11comp_targetILNS1_3genE2ELNS1_11target_archE906ELNS1_3gpuE6ELNS1_3repE0EEENS1_36merge_oddeven_config_static_selectorELNS0_4arch9wavefront6targetE1EEEvSH_.numbered_sgpr, 22
	.set _ZN7rocprim17ROCPRIM_400000_NS6detail17trampoline_kernelINS0_14default_configENS1_38merge_sort_block_merge_config_selectorIalEEZZNS1_27merge_sort_block_merge_implIS3_PaN6thrust23THRUST_200600_302600_NS10device_ptrIlEEjNS1_19radix_merge_compareILb0ELb0EaNS0_19identity_decomposerEEEEE10hipError_tT0_T1_T2_jT3_P12ihipStream_tbPNSt15iterator_traitsISG_E10value_typeEPNSM_ISH_E10value_typeEPSI_NS1_7vsmem_tEENKUlT_SG_SH_SI_E_clIS7_S7_SB_PlEESF_SV_SG_SH_SI_EUlSV_E1_NS1_11comp_targetILNS1_3genE2ELNS1_11target_archE906ELNS1_3gpuE6ELNS1_3repE0EEENS1_36merge_oddeven_config_static_selectorELNS0_4arch9wavefront6targetE1EEEvSH_.num_named_barrier, 0
	.set _ZN7rocprim17ROCPRIM_400000_NS6detail17trampoline_kernelINS0_14default_configENS1_38merge_sort_block_merge_config_selectorIalEEZZNS1_27merge_sort_block_merge_implIS3_PaN6thrust23THRUST_200600_302600_NS10device_ptrIlEEjNS1_19radix_merge_compareILb0ELb0EaNS0_19identity_decomposerEEEEE10hipError_tT0_T1_T2_jT3_P12ihipStream_tbPNSt15iterator_traitsISG_E10value_typeEPNSM_ISH_E10value_typeEPSI_NS1_7vsmem_tEENKUlT_SG_SH_SI_E_clIS7_S7_SB_PlEESF_SV_SG_SH_SI_EUlSV_E1_NS1_11comp_targetILNS1_3genE2ELNS1_11target_archE906ELNS1_3gpuE6ELNS1_3repE0EEENS1_36merge_oddeven_config_static_selectorELNS0_4arch9wavefront6targetE1EEEvSH_.private_seg_size, 0
	.set _ZN7rocprim17ROCPRIM_400000_NS6detail17trampoline_kernelINS0_14default_configENS1_38merge_sort_block_merge_config_selectorIalEEZZNS1_27merge_sort_block_merge_implIS3_PaN6thrust23THRUST_200600_302600_NS10device_ptrIlEEjNS1_19radix_merge_compareILb0ELb0EaNS0_19identity_decomposerEEEEE10hipError_tT0_T1_T2_jT3_P12ihipStream_tbPNSt15iterator_traitsISG_E10value_typeEPNSM_ISH_E10value_typeEPSI_NS1_7vsmem_tEENKUlT_SG_SH_SI_E_clIS7_S7_SB_PlEESF_SV_SG_SH_SI_EUlSV_E1_NS1_11comp_targetILNS1_3genE2ELNS1_11target_archE906ELNS1_3gpuE6ELNS1_3repE0EEENS1_36merge_oddeven_config_static_selectorELNS0_4arch9wavefront6targetE1EEEvSH_.uses_vcc, 1
	.set _ZN7rocprim17ROCPRIM_400000_NS6detail17trampoline_kernelINS0_14default_configENS1_38merge_sort_block_merge_config_selectorIalEEZZNS1_27merge_sort_block_merge_implIS3_PaN6thrust23THRUST_200600_302600_NS10device_ptrIlEEjNS1_19radix_merge_compareILb0ELb0EaNS0_19identity_decomposerEEEEE10hipError_tT0_T1_T2_jT3_P12ihipStream_tbPNSt15iterator_traitsISG_E10value_typeEPNSM_ISH_E10value_typeEPSI_NS1_7vsmem_tEENKUlT_SG_SH_SI_E_clIS7_S7_SB_PlEESF_SV_SG_SH_SI_EUlSV_E1_NS1_11comp_targetILNS1_3genE2ELNS1_11target_archE906ELNS1_3gpuE6ELNS1_3repE0EEENS1_36merge_oddeven_config_static_selectorELNS0_4arch9wavefront6targetE1EEEvSH_.uses_flat_scratch, 0
	.set _ZN7rocprim17ROCPRIM_400000_NS6detail17trampoline_kernelINS0_14default_configENS1_38merge_sort_block_merge_config_selectorIalEEZZNS1_27merge_sort_block_merge_implIS3_PaN6thrust23THRUST_200600_302600_NS10device_ptrIlEEjNS1_19radix_merge_compareILb0ELb0EaNS0_19identity_decomposerEEEEE10hipError_tT0_T1_T2_jT3_P12ihipStream_tbPNSt15iterator_traitsISG_E10value_typeEPNSM_ISH_E10value_typeEPSI_NS1_7vsmem_tEENKUlT_SG_SH_SI_E_clIS7_S7_SB_PlEESF_SV_SG_SH_SI_EUlSV_E1_NS1_11comp_targetILNS1_3genE2ELNS1_11target_archE906ELNS1_3gpuE6ELNS1_3repE0EEENS1_36merge_oddeven_config_static_selectorELNS0_4arch9wavefront6targetE1EEEvSH_.has_dyn_sized_stack, 0
	.set _ZN7rocprim17ROCPRIM_400000_NS6detail17trampoline_kernelINS0_14default_configENS1_38merge_sort_block_merge_config_selectorIalEEZZNS1_27merge_sort_block_merge_implIS3_PaN6thrust23THRUST_200600_302600_NS10device_ptrIlEEjNS1_19radix_merge_compareILb0ELb0EaNS0_19identity_decomposerEEEEE10hipError_tT0_T1_T2_jT3_P12ihipStream_tbPNSt15iterator_traitsISG_E10value_typeEPNSM_ISH_E10value_typeEPSI_NS1_7vsmem_tEENKUlT_SG_SH_SI_E_clIS7_S7_SB_PlEESF_SV_SG_SH_SI_EUlSV_E1_NS1_11comp_targetILNS1_3genE2ELNS1_11target_archE906ELNS1_3gpuE6ELNS1_3repE0EEENS1_36merge_oddeven_config_static_selectorELNS0_4arch9wavefront6targetE1EEEvSH_.has_recursion, 0
	.set _ZN7rocprim17ROCPRIM_400000_NS6detail17trampoline_kernelINS0_14default_configENS1_38merge_sort_block_merge_config_selectorIalEEZZNS1_27merge_sort_block_merge_implIS3_PaN6thrust23THRUST_200600_302600_NS10device_ptrIlEEjNS1_19radix_merge_compareILb0ELb0EaNS0_19identity_decomposerEEEEE10hipError_tT0_T1_T2_jT3_P12ihipStream_tbPNSt15iterator_traitsISG_E10value_typeEPNSM_ISH_E10value_typeEPSI_NS1_7vsmem_tEENKUlT_SG_SH_SI_E_clIS7_S7_SB_PlEESF_SV_SG_SH_SI_EUlSV_E1_NS1_11comp_targetILNS1_3genE2ELNS1_11target_archE906ELNS1_3gpuE6ELNS1_3repE0EEENS1_36merge_oddeven_config_static_selectorELNS0_4arch9wavefront6targetE1EEEvSH_.has_indirect_call, 0
	.section	.AMDGPU.csdata,"",@progbits
; Kernel info:
; codeLenInByte = 720
; TotalNumSgprs: 26
; NumVgprs: 10
; ScratchSize: 0
; MemoryBound: 0
; FloatMode: 240
; IeeeMode: 1
; LDSByteSize: 0 bytes/workgroup (compile time only)
; SGPRBlocks: 3
; VGPRBlocks: 2
; NumSGPRsForWavesPerEU: 26
; NumVGPRsForWavesPerEU: 10
; Occupancy: 10
; WaveLimiterHint : 0
; COMPUTE_PGM_RSRC2:SCRATCH_EN: 0
; COMPUTE_PGM_RSRC2:USER_SGPR: 6
; COMPUTE_PGM_RSRC2:TRAP_HANDLER: 0
; COMPUTE_PGM_RSRC2:TGID_X_EN: 1
; COMPUTE_PGM_RSRC2:TGID_Y_EN: 0
; COMPUTE_PGM_RSRC2:TGID_Z_EN: 0
; COMPUTE_PGM_RSRC2:TIDIG_COMP_CNT: 0
	.section	.text._ZN7rocprim17ROCPRIM_400000_NS6detail17trampoline_kernelINS0_14default_configENS1_38merge_sort_block_merge_config_selectorIalEEZZNS1_27merge_sort_block_merge_implIS3_PaN6thrust23THRUST_200600_302600_NS10device_ptrIlEEjNS1_19radix_merge_compareILb0ELb0EaNS0_19identity_decomposerEEEEE10hipError_tT0_T1_T2_jT3_P12ihipStream_tbPNSt15iterator_traitsISG_E10value_typeEPNSM_ISH_E10value_typeEPSI_NS1_7vsmem_tEENKUlT_SG_SH_SI_E_clIS7_S7_SB_PlEESF_SV_SG_SH_SI_EUlSV_E1_NS1_11comp_targetILNS1_3genE9ELNS1_11target_archE1100ELNS1_3gpuE3ELNS1_3repE0EEENS1_36merge_oddeven_config_static_selectorELNS0_4arch9wavefront6targetE1EEEvSH_,"axG",@progbits,_ZN7rocprim17ROCPRIM_400000_NS6detail17trampoline_kernelINS0_14default_configENS1_38merge_sort_block_merge_config_selectorIalEEZZNS1_27merge_sort_block_merge_implIS3_PaN6thrust23THRUST_200600_302600_NS10device_ptrIlEEjNS1_19radix_merge_compareILb0ELb0EaNS0_19identity_decomposerEEEEE10hipError_tT0_T1_T2_jT3_P12ihipStream_tbPNSt15iterator_traitsISG_E10value_typeEPNSM_ISH_E10value_typeEPSI_NS1_7vsmem_tEENKUlT_SG_SH_SI_E_clIS7_S7_SB_PlEESF_SV_SG_SH_SI_EUlSV_E1_NS1_11comp_targetILNS1_3genE9ELNS1_11target_archE1100ELNS1_3gpuE3ELNS1_3repE0EEENS1_36merge_oddeven_config_static_selectorELNS0_4arch9wavefront6targetE1EEEvSH_,comdat
	.protected	_ZN7rocprim17ROCPRIM_400000_NS6detail17trampoline_kernelINS0_14default_configENS1_38merge_sort_block_merge_config_selectorIalEEZZNS1_27merge_sort_block_merge_implIS3_PaN6thrust23THRUST_200600_302600_NS10device_ptrIlEEjNS1_19radix_merge_compareILb0ELb0EaNS0_19identity_decomposerEEEEE10hipError_tT0_T1_T2_jT3_P12ihipStream_tbPNSt15iterator_traitsISG_E10value_typeEPNSM_ISH_E10value_typeEPSI_NS1_7vsmem_tEENKUlT_SG_SH_SI_E_clIS7_S7_SB_PlEESF_SV_SG_SH_SI_EUlSV_E1_NS1_11comp_targetILNS1_3genE9ELNS1_11target_archE1100ELNS1_3gpuE3ELNS1_3repE0EEENS1_36merge_oddeven_config_static_selectorELNS0_4arch9wavefront6targetE1EEEvSH_ ; -- Begin function _ZN7rocprim17ROCPRIM_400000_NS6detail17trampoline_kernelINS0_14default_configENS1_38merge_sort_block_merge_config_selectorIalEEZZNS1_27merge_sort_block_merge_implIS3_PaN6thrust23THRUST_200600_302600_NS10device_ptrIlEEjNS1_19radix_merge_compareILb0ELb0EaNS0_19identity_decomposerEEEEE10hipError_tT0_T1_T2_jT3_P12ihipStream_tbPNSt15iterator_traitsISG_E10value_typeEPNSM_ISH_E10value_typeEPSI_NS1_7vsmem_tEENKUlT_SG_SH_SI_E_clIS7_S7_SB_PlEESF_SV_SG_SH_SI_EUlSV_E1_NS1_11comp_targetILNS1_3genE9ELNS1_11target_archE1100ELNS1_3gpuE3ELNS1_3repE0EEENS1_36merge_oddeven_config_static_selectorELNS0_4arch9wavefront6targetE1EEEvSH_
	.globl	_ZN7rocprim17ROCPRIM_400000_NS6detail17trampoline_kernelINS0_14default_configENS1_38merge_sort_block_merge_config_selectorIalEEZZNS1_27merge_sort_block_merge_implIS3_PaN6thrust23THRUST_200600_302600_NS10device_ptrIlEEjNS1_19radix_merge_compareILb0ELb0EaNS0_19identity_decomposerEEEEE10hipError_tT0_T1_T2_jT3_P12ihipStream_tbPNSt15iterator_traitsISG_E10value_typeEPNSM_ISH_E10value_typeEPSI_NS1_7vsmem_tEENKUlT_SG_SH_SI_E_clIS7_S7_SB_PlEESF_SV_SG_SH_SI_EUlSV_E1_NS1_11comp_targetILNS1_3genE9ELNS1_11target_archE1100ELNS1_3gpuE3ELNS1_3repE0EEENS1_36merge_oddeven_config_static_selectorELNS0_4arch9wavefront6targetE1EEEvSH_
	.p2align	8
	.type	_ZN7rocprim17ROCPRIM_400000_NS6detail17trampoline_kernelINS0_14default_configENS1_38merge_sort_block_merge_config_selectorIalEEZZNS1_27merge_sort_block_merge_implIS3_PaN6thrust23THRUST_200600_302600_NS10device_ptrIlEEjNS1_19radix_merge_compareILb0ELb0EaNS0_19identity_decomposerEEEEE10hipError_tT0_T1_T2_jT3_P12ihipStream_tbPNSt15iterator_traitsISG_E10value_typeEPNSM_ISH_E10value_typeEPSI_NS1_7vsmem_tEENKUlT_SG_SH_SI_E_clIS7_S7_SB_PlEESF_SV_SG_SH_SI_EUlSV_E1_NS1_11comp_targetILNS1_3genE9ELNS1_11target_archE1100ELNS1_3gpuE3ELNS1_3repE0EEENS1_36merge_oddeven_config_static_selectorELNS0_4arch9wavefront6targetE1EEEvSH_,@function
_ZN7rocprim17ROCPRIM_400000_NS6detail17trampoline_kernelINS0_14default_configENS1_38merge_sort_block_merge_config_selectorIalEEZZNS1_27merge_sort_block_merge_implIS3_PaN6thrust23THRUST_200600_302600_NS10device_ptrIlEEjNS1_19radix_merge_compareILb0ELb0EaNS0_19identity_decomposerEEEEE10hipError_tT0_T1_T2_jT3_P12ihipStream_tbPNSt15iterator_traitsISG_E10value_typeEPNSM_ISH_E10value_typeEPSI_NS1_7vsmem_tEENKUlT_SG_SH_SI_E_clIS7_S7_SB_PlEESF_SV_SG_SH_SI_EUlSV_E1_NS1_11comp_targetILNS1_3genE9ELNS1_11target_archE1100ELNS1_3gpuE3ELNS1_3repE0EEENS1_36merge_oddeven_config_static_selectorELNS0_4arch9wavefront6targetE1EEEvSH_: ; @_ZN7rocprim17ROCPRIM_400000_NS6detail17trampoline_kernelINS0_14default_configENS1_38merge_sort_block_merge_config_selectorIalEEZZNS1_27merge_sort_block_merge_implIS3_PaN6thrust23THRUST_200600_302600_NS10device_ptrIlEEjNS1_19radix_merge_compareILb0ELb0EaNS0_19identity_decomposerEEEEE10hipError_tT0_T1_T2_jT3_P12ihipStream_tbPNSt15iterator_traitsISG_E10value_typeEPNSM_ISH_E10value_typeEPSI_NS1_7vsmem_tEENKUlT_SG_SH_SI_E_clIS7_S7_SB_PlEESF_SV_SG_SH_SI_EUlSV_E1_NS1_11comp_targetILNS1_3genE9ELNS1_11target_archE1100ELNS1_3gpuE3ELNS1_3repE0EEENS1_36merge_oddeven_config_static_selectorELNS0_4arch9wavefront6targetE1EEEvSH_
; %bb.0:
	.section	.rodata,"a",@progbits
	.p2align	6, 0x0
	.amdhsa_kernel _ZN7rocprim17ROCPRIM_400000_NS6detail17trampoline_kernelINS0_14default_configENS1_38merge_sort_block_merge_config_selectorIalEEZZNS1_27merge_sort_block_merge_implIS3_PaN6thrust23THRUST_200600_302600_NS10device_ptrIlEEjNS1_19radix_merge_compareILb0ELb0EaNS0_19identity_decomposerEEEEE10hipError_tT0_T1_T2_jT3_P12ihipStream_tbPNSt15iterator_traitsISG_E10value_typeEPNSM_ISH_E10value_typeEPSI_NS1_7vsmem_tEENKUlT_SG_SH_SI_E_clIS7_S7_SB_PlEESF_SV_SG_SH_SI_EUlSV_E1_NS1_11comp_targetILNS1_3genE9ELNS1_11target_archE1100ELNS1_3gpuE3ELNS1_3repE0EEENS1_36merge_oddeven_config_static_selectorELNS0_4arch9wavefront6targetE1EEEvSH_
		.amdhsa_group_segment_fixed_size 0
		.amdhsa_private_segment_fixed_size 0
		.amdhsa_kernarg_size 48
		.amdhsa_user_sgpr_count 6
		.amdhsa_user_sgpr_private_segment_buffer 1
		.amdhsa_user_sgpr_dispatch_ptr 0
		.amdhsa_user_sgpr_queue_ptr 0
		.amdhsa_user_sgpr_kernarg_segment_ptr 1
		.amdhsa_user_sgpr_dispatch_id 0
		.amdhsa_user_sgpr_flat_scratch_init 0
		.amdhsa_user_sgpr_private_segment_size 0
		.amdhsa_uses_dynamic_stack 0
		.amdhsa_system_sgpr_private_segment_wavefront_offset 0
		.amdhsa_system_sgpr_workgroup_id_x 1
		.amdhsa_system_sgpr_workgroup_id_y 0
		.amdhsa_system_sgpr_workgroup_id_z 0
		.amdhsa_system_sgpr_workgroup_info 0
		.amdhsa_system_vgpr_workitem_id 0
		.amdhsa_next_free_vgpr 1
		.amdhsa_next_free_sgpr 0
		.amdhsa_reserve_vcc 0
		.amdhsa_reserve_flat_scratch 0
		.amdhsa_float_round_mode_32 0
		.amdhsa_float_round_mode_16_64 0
		.amdhsa_float_denorm_mode_32 3
		.amdhsa_float_denorm_mode_16_64 3
		.amdhsa_dx10_clamp 1
		.amdhsa_ieee_mode 1
		.amdhsa_fp16_overflow 0
		.amdhsa_exception_fp_ieee_invalid_op 0
		.amdhsa_exception_fp_denorm_src 0
		.amdhsa_exception_fp_ieee_div_zero 0
		.amdhsa_exception_fp_ieee_overflow 0
		.amdhsa_exception_fp_ieee_underflow 0
		.amdhsa_exception_fp_ieee_inexact 0
		.amdhsa_exception_int_div_zero 0
	.end_amdhsa_kernel
	.section	.text._ZN7rocprim17ROCPRIM_400000_NS6detail17trampoline_kernelINS0_14default_configENS1_38merge_sort_block_merge_config_selectorIalEEZZNS1_27merge_sort_block_merge_implIS3_PaN6thrust23THRUST_200600_302600_NS10device_ptrIlEEjNS1_19radix_merge_compareILb0ELb0EaNS0_19identity_decomposerEEEEE10hipError_tT0_T1_T2_jT3_P12ihipStream_tbPNSt15iterator_traitsISG_E10value_typeEPNSM_ISH_E10value_typeEPSI_NS1_7vsmem_tEENKUlT_SG_SH_SI_E_clIS7_S7_SB_PlEESF_SV_SG_SH_SI_EUlSV_E1_NS1_11comp_targetILNS1_3genE9ELNS1_11target_archE1100ELNS1_3gpuE3ELNS1_3repE0EEENS1_36merge_oddeven_config_static_selectorELNS0_4arch9wavefront6targetE1EEEvSH_,"axG",@progbits,_ZN7rocprim17ROCPRIM_400000_NS6detail17trampoline_kernelINS0_14default_configENS1_38merge_sort_block_merge_config_selectorIalEEZZNS1_27merge_sort_block_merge_implIS3_PaN6thrust23THRUST_200600_302600_NS10device_ptrIlEEjNS1_19radix_merge_compareILb0ELb0EaNS0_19identity_decomposerEEEEE10hipError_tT0_T1_T2_jT3_P12ihipStream_tbPNSt15iterator_traitsISG_E10value_typeEPNSM_ISH_E10value_typeEPSI_NS1_7vsmem_tEENKUlT_SG_SH_SI_E_clIS7_S7_SB_PlEESF_SV_SG_SH_SI_EUlSV_E1_NS1_11comp_targetILNS1_3genE9ELNS1_11target_archE1100ELNS1_3gpuE3ELNS1_3repE0EEENS1_36merge_oddeven_config_static_selectorELNS0_4arch9wavefront6targetE1EEEvSH_,comdat
.Lfunc_end524:
	.size	_ZN7rocprim17ROCPRIM_400000_NS6detail17trampoline_kernelINS0_14default_configENS1_38merge_sort_block_merge_config_selectorIalEEZZNS1_27merge_sort_block_merge_implIS3_PaN6thrust23THRUST_200600_302600_NS10device_ptrIlEEjNS1_19radix_merge_compareILb0ELb0EaNS0_19identity_decomposerEEEEE10hipError_tT0_T1_T2_jT3_P12ihipStream_tbPNSt15iterator_traitsISG_E10value_typeEPNSM_ISH_E10value_typeEPSI_NS1_7vsmem_tEENKUlT_SG_SH_SI_E_clIS7_S7_SB_PlEESF_SV_SG_SH_SI_EUlSV_E1_NS1_11comp_targetILNS1_3genE9ELNS1_11target_archE1100ELNS1_3gpuE3ELNS1_3repE0EEENS1_36merge_oddeven_config_static_selectorELNS0_4arch9wavefront6targetE1EEEvSH_, .Lfunc_end524-_ZN7rocprim17ROCPRIM_400000_NS6detail17trampoline_kernelINS0_14default_configENS1_38merge_sort_block_merge_config_selectorIalEEZZNS1_27merge_sort_block_merge_implIS3_PaN6thrust23THRUST_200600_302600_NS10device_ptrIlEEjNS1_19radix_merge_compareILb0ELb0EaNS0_19identity_decomposerEEEEE10hipError_tT0_T1_T2_jT3_P12ihipStream_tbPNSt15iterator_traitsISG_E10value_typeEPNSM_ISH_E10value_typeEPSI_NS1_7vsmem_tEENKUlT_SG_SH_SI_E_clIS7_S7_SB_PlEESF_SV_SG_SH_SI_EUlSV_E1_NS1_11comp_targetILNS1_3genE9ELNS1_11target_archE1100ELNS1_3gpuE3ELNS1_3repE0EEENS1_36merge_oddeven_config_static_selectorELNS0_4arch9wavefront6targetE1EEEvSH_
                                        ; -- End function
	.set _ZN7rocprim17ROCPRIM_400000_NS6detail17trampoline_kernelINS0_14default_configENS1_38merge_sort_block_merge_config_selectorIalEEZZNS1_27merge_sort_block_merge_implIS3_PaN6thrust23THRUST_200600_302600_NS10device_ptrIlEEjNS1_19radix_merge_compareILb0ELb0EaNS0_19identity_decomposerEEEEE10hipError_tT0_T1_T2_jT3_P12ihipStream_tbPNSt15iterator_traitsISG_E10value_typeEPNSM_ISH_E10value_typeEPSI_NS1_7vsmem_tEENKUlT_SG_SH_SI_E_clIS7_S7_SB_PlEESF_SV_SG_SH_SI_EUlSV_E1_NS1_11comp_targetILNS1_3genE9ELNS1_11target_archE1100ELNS1_3gpuE3ELNS1_3repE0EEENS1_36merge_oddeven_config_static_selectorELNS0_4arch9wavefront6targetE1EEEvSH_.num_vgpr, 0
	.set _ZN7rocprim17ROCPRIM_400000_NS6detail17trampoline_kernelINS0_14default_configENS1_38merge_sort_block_merge_config_selectorIalEEZZNS1_27merge_sort_block_merge_implIS3_PaN6thrust23THRUST_200600_302600_NS10device_ptrIlEEjNS1_19radix_merge_compareILb0ELb0EaNS0_19identity_decomposerEEEEE10hipError_tT0_T1_T2_jT3_P12ihipStream_tbPNSt15iterator_traitsISG_E10value_typeEPNSM_ISH_E10value_typeEPSI_NS1_7vsmem_tEENKUlT_SG_SH_SI_E_clIS7_S7_SB_PlEESF_SV_SG_SH_SI_EUlSV_E1_NS1_11comp_targetILNS1_3genE9ELNS1_11target_archE1100ELNS1_3gpuE3ELNS1_3repE0EEENS1_36merge_oddeven_config_static_selectorELNS0_4arch9wavefront6targetE1EEEvSH_.num_agpr, 0
	.set _ZN7rocprim17ROCPRIM_400000_NS6detail17trampoline_kernelINS0_14default_configENS1_38merge_sort_block_merge_config_selectorIalEEZZNS1_27merge_sort_block_merge_implIS3_PaN6thrust23THRUST_200600_302600_NS10device_ptrIlEEjNS1_19radix_merge_compareILb0ELb0EaNS0_19identity_decomposerEEEEE10hipError_tT0_T1_T2_jT3_P12ihipStream_tbPNSt15iterator_traitsISG_E10value_typeEPNSM_ISH_E10value_typeEPSI_NS1_7vsmem_tEENKUlT_SG_SH_SI_E_clIS7_S7_SB_PlEESF_SV_SG_SH_SI_EUlSV_E1_NS1_11comp_targetILNS1_3genE9ELNS1_11target_archE1100ELNS1_3gpuE3ELNS1_3repE0EEENS1_36merge_oddeven_config_static_selectorELNS0_4arch9wavefront6targetE1EEEvSH_.numbered_sgpr, 0
	.set _ZN7rocprim17ROCPRIM_400000_NS6detail17trampoline_kernelINS0_14default_configENS1_38merge_sort_block_merge_config_selectorIalEEZZNS1_27merge_sort_block_merge_implIS3_PaN6thrust23THRUST_200600_302600_NS10device_ptrIlEEjNS1_19radix_merge_compareILb0ELb0EaNS0_19identity_decomposerEEEEE10hipError_tT0_T1_T2_jT3_P12ihipStream_tbPNSt15iterator_traitsISG_E10value_typeEPNSM_ISH_E10value_typeEPSI_NS1_7vsmem_tEENKUlT_SG_SH_SI_E_clIS7_S7_SB_PlEESF_SV_SG_SH_SI_EUlSV_E1_NS1_11comp_targetILNS1_3genE9ELNS1_11target_archE1100ELNS1_3gpuE3ELNS1_3repE0EEENS1_36merge_oddeven_config_static_selectorELNS0_4arch9wavefront6targetE1EEEvSH_.num_named_barrier, 0
	.set _ZN7rocprim17ROCPRIM_400000_NS6detail17trampoline_kernelINS0_14default_configENS1_38merge_sort_block_merge_config_selectorIalEEZZNS1_27merge_sort_block_merge_implIS3_PaN6thrust23THRUST_200600_302600_NS10device_ptrIlEEjNS1_19radix_merge_compareILb0ELb0EaNS0_19identity_decomposerEEEEE10hipError_tT0_T1_T2_jT3_P12ihipStream_tbPNSt15iterator_traitsISG_E10value_typeEPNSM_ISH_E10value_typeEPSI_NS1_7vsmem_tEENKUlT_SG_SH_SI_E_clIS7_S7_SB_PlEESF_SV_SG_SH_SI_EUlSV_E1_NS1_11comp_targetILNS1_3genE9ELNS1_11target_archE1100ELNS1_3gpuE3ELNS1_3repE0EEENS1_36merge_oddeven_config_static_selectorELNS0_4arch9wavefront6targetE1EEEvSH_.private_seg_size, 0
	.set _ZN7rocprim17ROCPRIM_400000_NS6detail17trampoline_kernelINS0_14default_configENS1_38merge_sort_block_merge_config_selectorIalEEZZNS1_27merge_sort_block_merge_implIS3_PaN6thrust23THRUST_200600_302600_NS10device_ptrIlEEjNS1_19radix_merge_compareILb0ELb0EaNS0_19identity_decomposerEEEEE10hipError_tT0_T1_T2_jT3_P12ihipStream_tbPNSt15iterator_traitsISG_E10value_typeEPNSM_ISH_E10value_typeEPSI_NS1_7vsmem_tEENKUlT_SG_SH_SI_E_clIS7_S7_SB_PlEESF_SV_SG_SH_SI_EUlSV_E1_NS1_11comp_targetILNS1_3genE9ELNS1_11target_archE1100ELNS1_3gpuE3ELNS1_3repE0EEENS1_36merge_oddeven_config_static_selectorELNS0_4arch9wavefront6targetE1EEEvSH_.uses_vcc, 0
	.set _ZN7rocprim17ROCPRIM_400000_NS6detail17trampoline_kernelINS0_14default_configENS1_38merge_sort_block_merge_config_selectorIalEEZZNS1_27merge_sort_block_merge_implIS3_PaN6thrust23THRUST_200600_302600_NS10device_ptrIlEEjNS1_19radix_merge_compareILb0ELb0EaNS0_19identity_decomposerEEEEE10hipError_tT0_T1_T2_jT3_P12ihipStream_tbPNSt15iterator_traitsISG_E10value_typeEPNSM_ISH_E10value_typeEPSI_NS1_7vsmem_tEENKUlT_SG_SH_SI_E_clIS7_S7_SB_PlEESF_SV_SG_SH_SI_EUlSV_E1_NS1_11comp_targetILNS1_3genE9ELNS1_11target_archE1100ELNS1_3gpuE3ELNS1_3repE0EEENS1_36merge_oddeven_config_static_selectorELNS0_4arch9wavefront6targetE1EEEvSH_.uses_flat_scratch, 0
	.set _ZN7rocprim17ROCPRIM_400000_NS6detail17trampoline_kernelINS0_14default_configENS1_38merge_sort_block_merge_config_selectorIalEEZZNS1_27merge_sort_block_merge_implIS3_PaN6thrust23THRUST_200600_302600_NS10device_ptrIlEEjNS1_19radix_merge_compareILb0ELb0EaNS0_19identity_decomposerEEEEE10hipError_tT0_T1_T2_jT3_P12ihipStream_tbPNSt15iterator_traitsISG_E10value_typeEPNSM_ISH_E10value_typeEPSI_NS1_7vsmem_tEENKUlT_SG_SH_SI_E_clIS7_S7_SB_PlEESF_SV_SG_SH_SI_EUlSV_E1_NS1_11comp_targetILNS1_3genE9ELNS1_11target_archE1100ELNS1_3gpuE3ELNS1_3repE0EEENS1_36merge_oddeven_config_static_selectorELNS0_4arch9wavefront6targetE1EEEvSH_.has_dyn_sized_stack, 0
	.set _ZN7rocprim17ROCPRIM_400000_NS6detail17trampoline_kernelINS0_14default_configENS1_38merge_sort_block_merge_config_selectorIalEEZZNS1_27merge_sort_block_merge_implIS3_PaN6thrust23THRUST_200600_302600_NS10device_ptrIlEEjNS1_19radix_merge_compareILb0ELb0EaNS0_19identity_decomposerEEEEE10hipError_tT0_T1_T2_jT3_P12ihipStream_tbPNSt15iterator_traitsISG_E10value_typeEPNSM_ISH_E10value_typeEPSI_NS1_7vsmem_tEENKUlT_SG_SH_SI_E_clIS7_S7_SB_PlEESF_SV_SG_SH_SI_EUlSV_E1_NS1_11comp_targetILNS1_3genE9ELNS1_11target_archE1100ELNS1_3gpuE3ELNS1_3repE0EEENS1_36merge_oddeven_config_static_selectorELNS0_4arch9wavefront6targetE1EEEvSH_.has_recursion, 0
	.set _ZN7rocprim17ROCPRIM_400000_NS6detail17trampoline_kernelINS0_14default_configENS1_38merge_sort_block_merge_config_selectorIalEEZZNS1_27merge_sort_block_merge_implIS3_PaN6thrust23THRUST_200600_302600_NS10device_ptrIlEEjNS1_19radix_merge_compareILb0ELb0EaNS0_19identity_decomposerEEEEE10hipError_tT0_T1_T2_jT3_P12ihipStream_tbPNSt15iterator_traitsISG_E10value_typeEPNSM_ISH_E10value_typeEPSI_NS1_7vsmem_tEENKUlT_SG_SH_SI_E_clIS7_S7_SB_PlEESF_SV_SG_SH_SI_EUlSV_E1_NS1_11comp_targetILNS1_3genE9ELNS1_11target_archE1100ELNS1_3gpuE3ELNS1_3repE0EEENS1_36merge_oddeven_config_static_selectorELNS0_4arch9wavefront6targetE1EEEvSH_.has_indirect_call, 0
	.section	.AMDGPU.csdata,"",@progbits
; Kernel info:
; codeLenInByte = 0
; TotalNumSgprs: 4
; NumVgprs: 0
; ScratchSize: 0
; MemoryBound: 0
; FloatMode: 240
; IeeeMode: 1
; LDSByteSize: 0 bytes/workgroup (compile time only)
; SGPRBlocks: 0
; VGPRBlocks: 0
; NumSGPRsForWavesPerEU: 4
; NumVGPRsForWavesPerEU: 1
; Occupancy: 10
; WaveLimiterHint : 0
; COMPUTE_PGM_RSRC2:SCRATCH_EN: 0
; COMPUTE_PGM_RSRC2:USER_SGPR: 6
; COMPUTE_PGM_RSRC2:TRAP_HANDLER: 0
; COMPUTE_PGM_RSRC2:TGID_X_EN: 1
; COMPUTE_PGM_RSRC2:TGID_Y_EN: 0
; COMPUTE_PGM_RSRC2:TGID_Z_EN: 0
; COMPUTE_PGM_RSRC2:TIDIG_COMP_CNT: 0
	.section	.text._ZN7rocprim17ROCPRIM_400000_NS6detail17trampoline_kernelINS0_14default_configENS1_38merge_sort_block_merge_config_selectorIalEEZZNS1_27merge_sort_block_merge_implIS3_PaN6thrust23THRUST_200600_302600_NS10device_ptrIlEEjNS1_19radix_merge_compareILb0ELb0EaNS0_19identity_decomposerEEEEE10hipError_tT0_T1_T2_jT3_P12ihipStream_tbPNSt15iterator_traitsISG_E10value_typeEPNSM_ISH_E10value_typeEPSI_NS1_7vsmem_tEENKUlT_SG_SH_SI_E_clIS7_S7_SB_PlEESF_SV_SG_SH_SI_EUlSV_E1_NS1_11comp_targetILNS1_3genE8ELNS1_11target_archE1030ELNS1_3gpuE2ELNS1_3repE0EEENS1_36merge_oddeven_config_static_selectorELNS0_4arch9wavefront6targetE1EEEvSH_,"axG",@progbits,_ZN7rocprim17ROCPRIM_400000_NS6detail17trampoline_kernelINS0_14default_configENS1_38merge_sort_block_merge_config_selectorIalEEZZNS1_27merge_sort_block_merge_implIS3_PaN6thrust23THRUST_200600_302600_NS10device_ptrIlEEjNS1_19radix_merge_compareILb0ELb0EaNS0_19identity_decomposerEEEEE10hipError_tT0_T1_T2_jT3_P12ihipStream_tbPNSt15iterator_traitsISG_E10value_typeEPNSM_ISH_E10value_typeEPSI_NS1_7vsmem_tEENKUlT_SG_SH_SI_E_clIS7_S7_SB_PlEESF_SV_SG_SH_SI_EUlSV_E1_NS1_11comp_targetILNS1_3genE8ELNS1_11target_archE1030ELNS1_3gpuE2ELNS1_3repE0EEENS1_36merge_oddeven_config_static_selectorELNS0_4arch9wavefront6targetE1EEEvSH_,comdat
	.protected	_ZN7rocprim17ROCPRIM_400000_NS6detail17trampoline_kernelINS0_14default_configENS1_38merge_sort_block_merge_config_selectorIalEEZZNS1_27merge_sort_block_merge_implIS3_PaN6thrust23THRUST_200600_302600_NS10device_ptrIlEEjNS1_19radix_merge_compareILb0ELb0EaNS0_19identity_decomposerEEEEE10hipError_tT0_T1_T2_jT3_P12ihipStream_tbPNSt15iterator_traitsISG_E10value_typeEPNSM_ISH_E10value_typeEPSI_NS1_7vsmem_tEENKUlT_SG_SH_SI_E_clIS7_S7_SB_PlEESF_SV_SG_SH_SI_EUlSV_E1_NS1_11comp_targetILNS1_3genE8ELNS1_11target_archE1030ELNS1_3gpuE2ELNS1_3repE0EEENS1_36merge_oddeven_config_static_selectorELNS0_4arch9wavefront6targetE1EEEvSH_ ; -- Begin function _ZN7rocprim17ROCPRIM_400000_NS6detail17trampoline_kernelINS0_14default_configENS1_38merge_sort_block_merge_config_selectorIalEEZZNS1_27merge_sort_block_merge_implIS3_PaN6thrust23THRUST_200600_302600_NS10device_ptrIlEEjNS1_19radix_merge_compareILb0ELb0EaNS0_19identity_decomposerEEEEE10hipError_tT0_T1_T2_jT3_P12ihipStream_tbPNSt15iterator_traitsISG_E10value_typeEPNSM_ISH_E10value_typeEPSI_NS1_7vsmem_tEENKUlT_SG_SH_SI_E_clIS7_S7_SB_PlEESF_SV_SG_SH_SI_EUlSV_E1_NS1_11comp_targetILNS1_3genE8ELNS1_11target_archE1030ELNS1_3gpuE2ELNS1_3repE0EEENS1_36merge_oddeven_config_static_selectorELNS0_4arch9wavefront6targetE1EEEvSH_
	.globl	_ZN7rocprim17ROCPRIM_400000_NS6detail17trampoline_kernelINS0_14default_configENS1_38merge_sort_block_merge_config_selectorIalEEZZNS1_27merge_sort_block_merge_implIS3_PaN6thrust23THRUST_200600_302600_NS10device_ptrIlEEjNS1_19radix_merge_compareILb0ELb0EaNS0_19identity_decomposerEEEEE10hipError_tT0_T1_T2_jT3_P12ihipStream_tbPNSt15iterator_traitsISG_E10value_typeEPNSM_ISH_E10value_typeEPSI_NS1_7vsmem_tEENKUlT_SG_SH_SI_E_clIS7_S7_SB_PlEESF_SV_SG_SH_SI_EUlSV_E1_NS1_11comp_targetILNS1_3genE8ELNS1_11target_archE1030ELNS1_3gpuE2ELNS1_3repE0EEENS1_36merge_oddeven_config_static_selectorELNS0_4arch9wavefront6targetE1EEEvSH_
	.p2align	8
	.type	_ZN7rocprim17ROCPRIM_400000_NS6detail17trampoline_kernelINS0_14default_configENS1_38merge_sort_block_merge_config_selectorIalEEZZNS1_27merge_sort_block_merge_implIS3_PaN6thrust23THRUST_200600_302600_NS10device_ptrIlEEjNS1_19radix_merge_compareILb0ELb0EaNS0_19identity_decomposerEEEEE10hipError_tT0_T1_T2_jT3_P12ihipStream_tbPNSt15iterator_traitsISG_E10value_typeEPNSM_ISH_E10value_typeEPSI_NS1_7vsmem_tEENKUlT_SG_SH_SI_E_clIS7_S7_SB_PlEESF_SV_SG_SH_SI_EUlSV_E1_NS1_11comp_targetILNS1_3genE8ELNS1_11target_archE1030ELNS1_3gpuE2ELNS1_3repE0EEENS1_36merge_oddeven_config_static_selectorELNS0_4arch9wavefront6targetE1EEEvSH_,@function
_ZN7rocprim17ROCPRIM_400000_NS6detail17trampoline_kernelINS0_14default_configENS1_38merge_sort_block_merge_config_selectorIalEEZZNS1_27merge_sort_block_merge_implIS3_PaN6thrust23THRUST_200600_302600_NS10device_ptrIlEEjNS1_19radix_merge_compareILb0ELb0EaNS0_19identity_decomposerEEEEE10hipError_tT0_T1_T2_jT3_P12ihipStream_tbPNSt15iterator_traitsISG_E10value_typeEPNSM_ISH_E10value_typeEPSI_NS1_7vsmem_tEENKUlT_SG_SH_SI_E_clIS7_S7_SB_PlEESF_SV_SG_SH_SI_EUlSV_E1_NS1_11comp_targetILNS1_3genE8ELNS1_11target_archE1030ELNS1_3gpuE2ELNS1_3repE0EEENS1_36merge_oddeven_config_static_selectorELNS0_4arch9wavefront6targetE1EEEvSH_: ; @_ZN7rocprim17ROCPRIM_400000_NS6detail17trampoline_kernelINS0_14default_configENS1_38merge_sort_block_merge_config_selectorIalEEZZNS1_27merge_sort_block_merge_implIS3_PaN6thrust23THRUST_200600_302600_NS10device_ptrIlEEjNS1_19radix_merge_compareILb0ELb0EaNS0_19identity_decomposerEEEEE10hipError_tT0_T1_T2_jT3_P12ihipStream_tbPNSt15iterator_traitsISG_E10value_typeEPNSM_ISH_E10value_typeEPSI_NS1_7vsmem_tEENKUlT_SG_SH_SI_E_clIS7_S7_SB_PlEESF_SV_SG_SH_SI_EUlSV_E1_NS1_11comp_targetILNS1_3genE8ELNS1_11target_archE1030ELNS1_3gpuE2ELNS1_3repE0EEENS1_36merge_oddeven_config_static_selectorELNS0_4arch9wavefront6targetE1EEEvSH_
; %bb.0:
	.section	.rodata,"a",@progbits
	.p2align	6, 0x0
	.amdhsa_kernel _ZN7rocprim17ROCPRIM_400000_NS6detail17trampoline_kernelINS0_14default_configENS1_38merge_sort_block_merge_config_selectorIalEEZZNS1_27merge_sort_block_merge_implIS3_PaN6thrust23THRUST_200600_302600_NS10device_ptrIlEEjNS1_19radix_merge_compareILb0ELb0EaNS0_19identity_decomposerEEEEE10hipError_tT0_T1_T2_jT3_P12ihipStream_tbPNSt15iterator_traitsISG_E10value_typeEPNSM_ISH_E10value_typeEPSI_NS1_7vsmem_tEENKUlT_SG_SH_SI_E_clIS7_S7_SB_PlEESF_SV_SG_SH_SI_EUlSV_E1_NS1_11comp_targetILNS1_3genE8ELNS1_11target_archE1030ELNS1_3gpuE2ELNS1_3repE0EEENS1_36merge_oddeven_config_static_selectorELNS0_4arch9wavefront6targetE1EEEvSH_
		.amdhsa_group_segment_fixed_size 0
		.amdhsa_private_segment_fixed_size 0
		.amdhsa_kernarg_size 48
		.amdhsa_user_sgpr_count 6
		.amdhsa_user_sgpr_private_segment_buffer 1
		.amdhsa_user_sgpr_dispatch_ptr 0
		.amdhsa_user_sgpr_queue_ptr 0
		.amdhsa_user_sgpr_kernarg_segment_ptr 1
		.amdhsa_user_sgpr_dispatch_id 0
		.amdhsa_user_sgpr_flat_scratch_init 0
		.amdhsa_user_sgpr_private_segment_size 0
		.amdhsa_uses_dynamic_stack 0
		.amdhsa_system_sgpr_private_segment_wavefront_offset 0
		.amdhsa_system_sgpr_workgroup_id_x 1
		.amdhsa_system_sgpr_workgroup_id_y 0
		.amdhsa_system_sgpr_workgroup_id_z 0
		.amdhsa_system_sgpr_workgroup_info 0
		.amdhsa_system_vgpr_workitem_id 0
		.amdhsa_next_free_vgpr 1
		.amdhsa_next_free_sgpr 0
		.amdhsa_reserve_vcc 0
		.amdhsa_reserve_flat_scratch 0
		.amdhsa_float_round_mode_32 0
		.amdhsa_float_round_mode_16_64 0
		.amdhsa_float_denorm_mode_32 3
		.amdhsa_float_denorm_mode_16_64 3
		.amdhsa_dx10_clamp 1
		.amdhsa_ieee_mode 1
		.amdhsa_fp16_overflow 0
		.amdhsa_exception_fp_ieee_invalid_op 0
		.amdhsa_exception_fp_denorm_src 0
		.amdhsa_exception_fp_ieee_div_zero 0
		.amdhsa_exception_fp_ieee_overflow 0
		.amdhsa_exception_fp_ieee_underflow 0
		.amdhsa_exception_fp_ieee_inexact 0
		.amdhsa_exception_int_div_zero 0
	.end_amdhsa_kernel
	.section	.text._ZN7rocprim17ROCPRIM_400000_NS6detail17trampoline_kernelINS0_14default_configENS1_38merge_sort_block_merge_config_selectorIalEEZZNS1_27merge_sort_block_merge_implIS3_PaN6thrust23THRUST_200600_302600_NS10device_ptrIlEEjNS1_19radix_merge_compareILb0ELb0EaNS0_19identity_decomposerEEEEE10hipError_tT0_T1_T2_jT3_P12ihipStream_tbPNSt15iterator_traitsISG_E10value_typeEPNSM_ISH_E10value_typeEPSI_NS1_7vsmem_tEENKUlT_SG_SH_SI_E_clIS7_S7_SB_PlEESF_SV_SG_SH_SI_EUlSV_E1_NS1_11comp_targetILNS1_3genE8ELNS1_11target_archE1030ELNS1_3gpuE2ELNS1_3repE0EEENS1_36merge_oddeven_config_static_selectorELNS0_4arch9wavefront6targetE1EEEvSH_,"axG",@progbits,_ZN7rocprim17ROCPRIM_400000_NS6detail17trampoline_kernelINS0_14default_configENS1_38merge_sort_block_merge_config_selectorIalEEZZNS1_27merge_sort_block_merge_implIS3_PaN6thrust23THRUST_200600_302600_NS10device_ptrIlEEjNS1_19radix_merge_compareILb0ELb0EaNS0_19identity_decomposerEEEEE10hipError_tT0_T1_T2_jT3_P12ihipStream_tbPNSt15iterator_traitsISG_E10value_typeEPNSM_ISH_E10value_typeEPSI_NS1_7vsmem_tEENKUlT_SG_SH_SI_E_clIS7_S7_SB_PlEESF_SV_SG_SH_SI_EUlSV_E1_NS1_11comp_targetILNS1_3genE8ELNS1_11target_archE1030ELNS1_3gpuE2ELNS1_3repE0EEENS1_36merge_oddeven_config_static_selectorELNS0_4arch9wavefront6targetE1EEEvSH_,comdat
.Lfunc_end525:
	.size	_ZN7rocprim17ROCPRIM_400000_NS6detail17trampoline_kernelINS0_14default_configENS1_38merge_sort_block_merge_config_selectorIalEEZZNS1_27merge_sort_block_merge_implIS3_PaN6thrust23THRUST_200600_302600_NS10device_ptrIlEEjNS1_19radix_merge_compareILb0ELb0EaNS0_19identity_decomposerEEEEE10hipError_tT0_T1_T2_jT3_P12ihipStream_tbPNSt15iterator_traitsISG_E10value_typeEPNSM_ISH_E10value_typeEPSI_NS1_7vsmem_tEENKUlT_SG_SH_SI_E_clIS7_S7_SB_PlEESF_SV_SG_SH_SI_EUlSV_E1_NS1_11comp_targetILNS1_3genE8ELNS1_11target_archE1030ELNS1_3gpuE2ELNS1_3repE0EEENS1_36merge_oddeven_config_static_selectorELNS0_4arch9wavefront6targetE1EEEvSH_, .Lfunc_end525-_ZN7rocprim17ROCPRIM_400000_NS6detail17trampoline_kernelINS0_14default_configENS1_38merge_sort_block_merge_config_selectorIalEEZZNS1_27merge_sort_block_merge_implIS3_PaN6thrust23THRUST_200600_302600_NS10device_ptrIlEEjNS1_19radix_merge_compareILb0ELb0EaNS0_19identity_decomposerEEEEE10hipError_tT0_T1_T2_jT3_P12ihipStream_tbPNSt15iterator_traitsISG_E10value_typeEPNSM_ISH_E10value_typeEPSI_NS1_7vsmem_tEENKUlT_SG_SH_SI_E_clIS7_S7_SB_PlEESF_SV_SG_SH_SI_EUlSV_E1_NS1_11comp_targetILNS1_3genE8ELNS1_11target_archE1030ELNS1_3gpuE2ELNS1_3repE0EEENS1_36merge_oddeven_config_static_selectorELNS0_4arch9wavefront6targetE1EEEvSH_
                                        ; -- End function
	.set _ZN7rocprim17ROCPRIM_400000_NS6detail17trampoline_kernelINS0_14default_configENS1_38merge_sort_block_merge_config_selectorIalEEZZNS1_27merge_sort_block_merge_implIS3_PaN6thrust23THRUST_200600_302600_NS10device_ptrIlEEjNS1_19radix_merge_compareILb0ELb0EaNS0_19identity_decomposerEEEEE10hipError_tT0_T1_T2_jT3_P12ihipStream_tbPNSt15iterator_traitsISG_E10value_typeEPNSM_ISH_E10value_typeEPSI_NS1_7vsmem_tEENKUlT_SG_SH_SI_E_clIS7_S7_SB_PlEESF_SV_SG_SH_SI_EUlSV_E1_NS1_11comp_targetILNS1_3genE8ELNS1_11target_archE1030ELNS1_3gpuE2ELNS1_3repE0EEENS1_36merge_oddeven_config_static_selectorELNS0_4arch9wavefront6targetE1EEEvSH_.num_vgpr, 0
	.set _ZN7rocprim17ROCPRIM_400000_NS6detail17trampoline_kernelINS0_14default_configENS1_38merge_sort_block_merge_config_selectorIalEEZZNS1_27merge_sort_block_merge_implIS3_PaN6thrust23THRUST_200600_302600_NS10device_ptrIlEEjNS1_19radix_merge_compareILb0ELb0EaNS0_19identity_decomposerEEEEE10hipError_tT0_T1_T2_jT3_P12ihipStream_tbPNSt15iterator_traitsISG_E10value_typeEPNSM_ISH_E10value_typeEPSI_NS1_7vsmem_tEENKUlT_SG_SH_SI_E_clIS7_S7_SB_PlEESF_SV_SG_SH_SI_EUlSV_E1_NS1_11comp_targetILNS1_3genE8ELNS1_11target_archE1030ELNS1_3gpuE2ELNS1_3repE0EEENS1_36merge_oddeven_config_static_selectorELNS0_4arch9wavefront6targetE1EEEvSH_.num_agpr, 0
	.set _ZN7rocprim17ROCPRIM_400000_NS6detail17trampoline_kernelINS0_14default_configENS1_38merge_sort_block_merge_config_selectorIalEEZZNS1_27merge_sort_block_merge_implIS3_PaN6thrust23THRUST_200600_302600_NS10device_ptrIlEEjNS1_19radix_merge_compareILb0ELb0EaNS0_19identity_decomposerEEEEE10hipError_tT0_T1_T2_jT3_P12ihipStream_tbPNSt15iterator_traitsISG_E10value_typeEPNSM_ISH_E10value_typeEPSI_NS1_7vsmem_tEENKUlT_SG_SH_SI_E_clIS7_S7_SB_PlEESF_SV_SG_SH_SI_EUlSV_E1_NS1_11comp_targetILNS1_3genE8ELNS1_11target_archE1030ELNS1_3gpuE2ELNS1_3repE0EEENS1_36merge_oddeven_config_static_selectorELNS0_4arch9wavefront6targetE1EEEvSH_.numbered_sgpr, 0
	.set _ZN7rocprim17ROCPRIM_400000_NS6detail17trampoline_kernelINS0_14default_configENS1_38merge_sort_block_merge_config_selectorIalEEZZNS1_27merge_sort_block_merge_implIS3_PaN6thrust23THRUST_200600_302600_NS10device_ptrIlEEjNS1_19radix_merge_compareILb0ELb0EaNS0_19identity_decomposerEEEEE10hipError_tT0_T1_T2_jT3_P12ihipStream_tbPNSt15iterator_traitsISG_E10value_typeEPNSM_ISH_E10value_typeEPSI_NS1_7vsmem_tEENKUlT_SG_SH_SI_E_clIS7_S7_SB_PlEESF_SV_SG_SH_SI_EUlSV_E1_NS1_11comp_targetILNS1_3genE8ELNS1_11target_archE1030ELNS1_3gpuE2ELNS1_3repE0EEENS1_36merge_oddeven_config_static_selectorELNS0_4arch9wavefront6targetE1EEEvSH_.num_named_barrier, 0
	.set _ZN7rocprim17ROCPRIM_400000_NS6detail17trampoline_kernelINS0_14default_configENS1_38merge_sort_block_merge_config_selectorIalEEZZNS1_27merge_sort_block_merge_implIS3_PaN6thrust23THRUST_200600_302600_NS10device_ptrIlEEjNS1_19radix_merge_compareILb0ELb0EaNS0_19identity_decomposerEEEEE10hipError_tT0_T1_T2_jT3_P12ihipStream_tbPNSt15iterator_traitsISG_E10value_typeEPNSM_ISH_E10value_typeEPSI_NS1_7vsmem_tEENKUlT_SG_SH_SI_E_clIS7_S7_SB_PlEESF_SV_SG_SH_SI_EUlSV_E1_NS1_11comp_targetILNS1_3genE8ELNS1_11target_archE1030ELNS1_3gpuE2ELNS1_3repE0EEENS1_36merge_oddeven_config_static_selectorELNS0_4arch9wavefront6targetE1EEEvSH_.private_seg_size, 0
	.set _ZN7rocprim17ROCPRIM_400000_NS6detail17trampoline_kernelINS0_14default_configENS1_38merge_sort_block_merge_config_selectorIalEEZZNS1_27merge_sort_block_merge_implIS3_PaN6thrust23THRUST_200600_302600_NS10device_ptrIlEEjNS1_19radix_merge_compareILb0ELb0EaNS0_19identity_decomposerEEEEE10hipError_tT0_T1_T2_jT3_P12ihipStream_tbPNSt15iterator_traitsISG_E10value_typeEPNSM_ISH_E10value_typeEPSI_NS1_7vsmem_tEENKUlT_SG_SH_SI_E_clIS7_S7_SB_PlEESF_SV_SG_SH_SI_EUlSV_E1_NS1_11comp_targetILNS1_3genE8ELNS1_11target_archE1030ELNS1_3gpuE2ELNS1_3repE0EEENS1_36merge_oddeven_config_static_selectorELNS0_4arch9wavefront6targetE1EEEvSH_.uses_vcc, 0
	.set _ZN7rocprim17ROCPRIM_400000_NS6detail17trampoline_kernelINS0_14default_configENS1_38merge_sort_block_merge_config_selectorIalEEZZNS1_27merge_sort_block_merge_implIS3_PaN6thrust23THRUST_200600_302600_NS10device_ptrIlEEjNS1_19radix_merge_compareILb0ELb0EaNS0_19identity_decomposerEEEEE10hipError_tT0_T1_T2_jT3_P12ihipStream_tbPNSt15iterator_traitsISG_E10value_typeEPNSM_ISH_E10value_typeEPSI_NS1_7vsmem_tEENKUlT_SG_SH_SI_E_clIS7_S7_SB_PlEESF_SV_SG_SH_SI_EUlSV_E1_NS1_11comp_targetILNS1_3genE8ELNS1_11target_archE1030ELNS1_3gpuE2ELNS1_3repE0EEENS1_36merge_oddeven_config_static_selectorELNS0_4arch9wavefront6targetE1EEEvSH_.uses_flat_scratch, 0
	.set _ZN7rocprim17ROCPRIM_400000_NS6detail17trampoline_kernelINS0_14default_configENS1_38merge_sort_block_merge_config_selectorIalEEZZNS1_27merge_sort_block_merge_implIS3_PaN6thrust23THRUST_200600_302600_NS10device_ptrIlEEjNS1_19radix_merge_compareILb0ELb0EaNS0_19identity_decomposerEEEEE10hipError_tT0_T1_T2_jT3_P12ihipStream_tbPNSt15iterator_traitsISG_E10value_typeEPNSM_ISH_E10value_typeEPSI_NS1_7vsmem_tEENKUlT_SG_SH_SI_E_clIS7_S7_SB_PlEESF_SV_SG_SH_SI_EUlSV_E1_NS1_11comp_targetILNS1_3genE8ELNS1_11target_archE1030ELNS1_3gpuE2ELNS1_3repE0EEENS1_36merge_oddeven_config_static_selectorELNS0_4arch9wavefront6targetE1EEEvSH_.has_dyn_sized_stack, 0
	.set _ZN7rocprim17ROCPRIM_400000_NS6detail17trampoline_kernelINS0_14default_configENS1_38merge_sort_block_merge_config_selectorIalEEZZNS1_27merge_sort_block_merge_implIS3_PaN6thrust23THRUST_200600_302600_NS10device_ptrIlEEjNS1_19radix_merge_compareILb0ELb0EaNS0_19identity_decomposerEEEEE10hipError_tT0_T1_T2_jT3_P12ihipStream_tbPNSt15iterator_traitsISG_E10value_typeEPNSM_ISH_E10value_typeEPSI_NS1_7vsmem_tEENKUlT_SG_SH_SI_E_clIS7_S7_SB_PlEESF_SV_SG_SH_SI_EUlSV_E1_NS1_11comp_targetILNS1_3genE8ELNS1_11target_archE1030ELNS1_3gpuE2ELNS1_3repE0EEENS1_36merge_oddeven_config_static_selectorELNS0_4arch9wavefront6targetE1EEEvSH_.has_recursion, 0
	.set _ZN7rocprim17ROCPRIM_400000_NS6detail17trampoline_kernelINS0_14default_configENS1_38merge_sort_block_merge_config_selectorIalEEZZNS1_27merge_sort_block_merge_implIS3_PaN6thrust23THRUST_200600_302600_NS10device_ptrIlEEjNS1_19radix_merge_compareILb0ELb0EaNS0_19identity_decomposerEEEEE10hipError_tT0_T1_T2_jT3_P12ihipStream_tbPNSt15iterator_traitsISG_E10value_typeEPNSM_ISH_E10value_typeEPSI_NS1_7vsmem_tEENKUlT_SG_SH_SI_E_clIS7_S7_SB_PlEESF_SV_SG_SH_SI_EUlSV_E1_NS1_11comp_targetILNS1_3genE8ELNS1_11target_archE1030ELNS1_3gpuE2ELNS1_3repE0EEENS1_36merge_oddeven_config_static_selectorELNS0_4arch9wavefront6targetE1EEEvSH_.has_indirect_call, 0
	.section	.AMDGPU.csdata,"",@progbits
; Kernel info:
; codeLenInByte = 0
; TotalNumSgprs: 4
; NumVgprs: 0
; ScratchSize: 0
; MemoryBound: 0
; FloatMode: 240
; IeeeMode: 1
; LDSByteSize: 0 bytes/workgroup (compile time only)
; SGPRBlocks: 0
; VGPRBlocks: 0
; NumSGPRsForWavesPerEU: 4
; NumVGPRsForWavesPerEU: 1
; Occupancy: 10
; WaveLimiterHint : 0
; COMPUTE_PGM_RSRC2:SCRATCH_EN: 0
; COMPUTE_PGM_RSRC2:USER_SGPR: 6
; COMPUTE_PGM_RSRC2:TRAP_HANDLER: 0
; COMPUTE_PGM_RSRC2:TGID_X_EN: 1
; COMPUTE_PGM_RSRC2:TGID_Y_EN: 0
; COMPUTE_PGM_RSRC2:TGID_Z_EN: 0
; COMPUTE_PGM_RSRC2:TIDIG_COMP_CNT: 0
	.section	.text._ZN7rocprim17ROCPRIM_400000_NS6detail17trampoline_kernelINS0_14default_configENS1_25transform_config_selectorIaLb1EEEZNS1_14transform_implILb1ES3_S5_PaS7_NS0_8identityIaEEEE10hipError_tT2_T3_mT4_P12ihipStream_tbEUlT_E_NS1_11comp_targetILNS1_3genE0ELNS1_11target_archE4294967295ELNS1_3gpuE0ELNS1_3repE0EEENS1_30default_config_static_selectorELNS0_4arch9wavefront6targetE1EEEvT1_,"axG",@progbits,_ZN7rocprim17ROCPRIM_400000_NS6detail17trampoline_kernelINS0_14default_configENS1_25transform_config_selectorIaLb1EEEZNS1_14transform_implILb1ES3_S5_PaS7_NS0_8identityIaEEEE10hipError_tT2_T3_mT4_P12ihipStream_tbEUlT_E_NS1_11comp_targetILNS1_3genE0ELNS1_11target_archE4294967295ELNS1_3gpuE0ELNS1_3repE0EEENS1_30default_config_static_selectorELNS0_4arch9wavefront6targetE1EEEvT1_,comdat
	.protected	_ZN7rocprim17ROCPRIM_400000_NS6detail17trampoline_kernelINS0_14default_configENS1_25transform_config_selectorIaLb1EEEZNS1_14transform_implILb1ES3_S5_PaS7_NS0_8identityIaEEEE10hipError_tT2_T3_mT4_P12ihipStream_tbEUlT_E_NS1_11comp_targetILNS1_3genE0ELNS1_11target_archE4294967295ELNS1_3gpuE0ELNS1_3repE0EEENS1_30default_config_static_selectorELNS0_4arch9wavefront6targetE1EEEvT1_ ; -- Begin function _ZN7rocprim17ROCPRIM_400000_NS6detail17trampoline_kernelINS0_14default_configENS1_25transform_config_selectorIaLb1EEEZNS1_14transform_implILb1ES3_S5_PaS7_NS0_8identityIaEEEE10hipError_tT2_T3_mT4_P12ihipStream_tbEUlT_E_NS1_11comp_targetILNS1_3genE0ELNS1_11target_archE4294967295ELNS1_3gpuE0ELNS1_3repE0EEENS1_30default_config_static_selectorELNS0_4arch9wavefront6targetE1EEEvT1_
	.globl	_ZN7rocprim17ROCPRIM_400000_NS6detail17trampoline_kernelINS0_14default_configENS1_25transform_config_selectorIaLb1EEEZNS1_14transform_implILb1ES3_S5_PaS7_NS0_8identityIaEEEE10hipError_tT2_T3_mT4_P12ihipStream_tbEUlT_E_NS1_11comp_targetILNS1_3genE0ELNS1_11target_archE4294967295ELNS1_3gpuE0ELNS1_3repE0EEENS1_30default_config_static_selectorELNS0_4arch9wavefront6targetE1EEEvT1_
	.p2align	8
	.type	_ZN7rocprim17ROCPRIM_400000_NS6detail17trampoline_kernelINS0_14default_configENS1_25transform_config_selectorIaLb1EEEZNS1_14transform_implILb1ES3_S5_PaS7_NS0_8identityIaEEEE10hipError_tT2_T3_mT4_P12ihipStream_tbEUlT_E_NS1_11comp_targetILNS1_3genE0ELNS1_11target_archE4294967295ELNS1_3gpuE0ELNS1_3repE0EEENS1_30default_config_static_selectorELNS0_4arch9wavefront6targetE1EEEvT1_,@function
_ZN7rocprim17ROCPRIM_400000_NS6detail17trampoline_kernelINS0_14default_configENS1_25transform_config_selectorIaLb1EEEZNS1_14transform_implILb1ES3_S5_PaS7_NS0_8identityIaEEEE10hipError_tT2_T3_mT4_P12ihipStream_tbEUlT_E_NS1_11comp_targetILNS1_3genE0ELNS1_11target_archE4294967295ELNS1_3gpuE0ELNS1_3repE0EEENS1_30default_config_static_selectorELNS0_4arch9wavefront6targetE1EEEvT1_: ; @_ZN7rocprim17ROCPRIM_400000_NS6detail17trampoline_kernelINS0_14default_configENS1_25transform_config_selectorIaLb1EEEZNS1_14transform_implILb1ES3_S5_PaS7_NS0_8identityIaEEEE10hipError_tT2_T3_mT4_P12ihipStream_tbEUlT_E_NS1_11comp_targetILNS1_3genE0ELNS1_11target_archE4294967295ELNS1_3gpuE0ELNS1_3repE0EEENS1_30default_config_static_selectorELNS0_4arch9wavefront6targetE1EEEvT1_
; %bb.0:
	.section	.rodata,"a",@progbits
	.p2align	6, 0x0
	.amdhsa_kernel _ZN7rocprim17ROCPRIM_400000_NS6detail17trampoline_kernelINS0_14default_configENS1_25transform_config_selectorIaLb1EEEZNS1_14transform_implILb1ES3_S5_PaS7_NS0_8identityIaEEEE10hipError_tT2_T3_mT4_P12ihipStream_tbEUlT_E_NS1_11comp_targetILNS1_3genE0ELNS1_11target_archE4294967295ELNS1_3gpuE0ELNS1_3repE0EEENS1_30default_config_static_selectorELNS0_4arch9wavefront6targetE1EEEvT1_
		.amdhsa_group_segment_fixed_size 0
		.amdhsa_private_segment_fixed_size 0
		.amdhsa_kernarg_size 40
		.amdhsa_user_sgpr_count 6
		.amdhsa_user_sgpr_private_segment_buffer 1
		.amdhsa_user_sgpr_dispatch_ptr 0
		.amdhsa_user_sgpr_queue_ptr 0
		.amdhsa_user_sgpr_kernarg_segment_ptr 1
		.amdhsa_user_sgpr_dispatch_id 0
		.amdhsa_user_sgpr_flat_scratch_init 0
		.amdhsa_user_sgpr_private_segment_size 0
		.amdhsa_uses_dynamic_stack 0
		.amdhsa_system_sgpr_private_segment_wavefront_offset 0
		.amdhsa_system_sgpr_workgroup_id_x 1
		.amdhsa_system_sgpr_workgroup_id_y 0
		.amdhsa_system_sgpr_workgroup_id_z 0
		.amdhsa_system_sgpr_workgroup_info 0
		.amdhsa_system_vgpr_workitem_id 0
		.amdhsa_next_free_vgpr 1
		.amdhsa_next_free_sgpr 0
		.amdhsa_reserve_vcc 0
		.amdhsa_reserve_flat_scratch 0
		.amdhsa_float_round_mode_32 0
		.amdhsa_float_round_mode_16_64 0
		.amdhsa_float_denorm_mode_32 3
		.amdhsa_float_denorm_mode_16_64 3
		.amdhsa_dx10_clamp 1
		.amdhsa_ieee_mode 1
		.amdhsa_fp16_overflow 0
		.amdhsa_exception_fp_ieee_invalid_op 0
		.amdhsa_exception_fp_denorm_src 0
		.amdhsa_exception_fp_ieee_div_zero 0
		.amdhsa_exception_fp_ieee_overflow 0
		.amdhsa_exception_fp_ieee_underflow 0
		.amdhsa_exception_fp_ieee_inexact 0
		.amdhsa_exception_int_div_zero 0
	.end_amdhsa_kernel
	.section	.text._ZN7rocprim17ROCPRIM_400000_NS6detail17trampoline_kernelINS0_14default_configENS1_25transform_config_selectorIaLb1EEEZNS1_14transform_implILb1ES3_S5_PaS7_NS0_8identityIaEEEE10hipError_tT2_T3_mT4_P12ihipStream_tbEUlT_E_NS1_11comp_targetILNS1_3genE0ELNS1_11target_archE4294967295ELNS1_3gpuE0ELNS1_3repE0EEENS1_30default_config_static_selectorELNS0_4arch9wavefront6targetE1EEEvT1_,"axG",@progbits,_ZN7rocprim17ROCPRIM_400000_NS6detail17trampoline_kernelINS0_14default_configENS1_25transform_config_selectorIaLb1EEEZNS1_14transform_implILb1ES3_S5_PaS7_NS0_8identityIaEEEE10hipError_tT2_T3_mT4_P12ihipStream_tbEUlT_E_NS1_11comp_targetILNS1_3genE0ELNS1_11target_archE4294967295ELNS1_3gpuE0ELNS1_3repE0EEENS1_30default_config_static_selectorELNS0_4arch9wavefront6targetE1EEEvT1_,comdat
.Lfunc_end526:
	.size	_ZN7rocprim17ROCPRIM_400000_NS6detail17trampoline_kernelINS0_14default_configENS1_25transform_config_selectorIaLb1EEEZNS1_14transform_implILb1ES3_S5_PaS7_NS0_8identityIaEEEE10hipError_tT2_T3_mT4_P12ihipStream_tbEUlT_E_NS1_11comp_targetILNS1_3genE0ELNS1_11target_archE4294967295ELNS1_3gpuE0ELNS1_3repE0EEENS1_30default_config_static_selectorELNS0_4arch9wavefront6targetE1EEEvT1_, .Lfunc_end526-_ZN7rocprim17ROCPRIM_400000_NS6detail17trampoline_kernelINS0_14default_configENS1_25transform_config_selectorIaLb1EEEZNS1_14transform_implILb1ES3_S5_PaS7_NS0_8identityIaEEEE10hipError_tT2_T3_mT4_P12ihipStream_tbEUlT_E_NS1_11comp_targetILNS1_3genE0ELNS1_11target_archE4294967295ELNS1_3gpuE0ELNS1_3repE0EEENS1_30default_config_static_selectorELNS0_4arch9wavefront6targetE1EEEvT1_
                                        ; -- End function
	.set _ZN7rocprim17ROCPRIM_400000_NS6detail17trampoline_kernelINS0_14default_configENS1_25transform_config_selectorIaLb1EEEZNS1_14transform_implILb1ES3_S5_PaS7_NS0_8identityIaEEEE10hipError_tT2_T3_mT4_P12ihipStream_tbEUlT_E_NS1_11comp_targetILNS1_3genE0ELNS1_11target_archE4294967295ELNS1_3gpuE0ELNS1_3repE0EEENS1_30default_config_static_selectorELNS0_4arch9wavefront6targetE1EEEvT1_.num_vgpr, 0
	.set _ZN7rocprim17ROCPRIM_400000_NS6detail17trampoline_kernelINS0_14default_configENS1_25transform_config_selectorIaLb1EEEZNS1_14transform_implILb1ES3_S5_PaS7_NS0_8identityIaEEEE10hipError_tT2_T3_mT4_P12ihipStream_tbEUlT_E_NS1_11comp_targetILNS1_3genE0ELNS1_11target_archE4294967295ELNS1_3gpuE0ELNS1_3repE0EEENS1_30default_config_static_selectorELNS0_4arch9wavefront6targetE1EEEvT1_.num_agpr, 0
	.set _ZN7rocprim17ROCPRIM_400000_NS6detail17trampoline_kernelINS0_14default_configENS1_25transform_config_selectorIaLb1EEEZNS1_14transform_implILb1ES3_S5_PaS7_NS0_8identityIaEEEE10hipError_tT2_T3_mT4_P12ihipStream_tbEUlT_E_NS1_11comp_targetILNS1_3genE0ELNS1_11target_archE4294967295ELNS1_3gpuE0ELNS1_3repE0EEENS1_30default_config_static_selectorELNS0_4arch9wavefront6targetE1EEEvT1_.numbered_sgpr, 0
	.set _ZN7rocprim17ROCPRIM_400000_NS6detail17trampoline_kernelINS0_14default_configENS1_25transform_config_selectorIaLb1EEEZNS1_14transform_implILb1ES3_S5_PaS7_NS0_8identityIaEEEE10hipError_tT2_T3_mT4_P12ihipStream_tbEUlT_E_NS1_11comp_targetILNS1_3genE0ELNS1_11target_archE4294967295ELNS1_3gpuE0ELNS1_3repE0EEENS1_30default_config_static_selectorELNS0_4arch9wavefront6targetE1EEEvT1_.num_named_barrier, 0
	.set _ZN7rocprim17ROCPRIM_400000_NS6detail17trampoline_kernelINS0_14default_configENS1_25transform_config_selectorIaLb1EEEZNS1_14transform_implILb1ES3_S5_PaS7_NS0_8identityIaEEEE10hipError_tT2_T3_mT4_P12ihipStream_tbEUlT_E_NS1_11comp_targetILNS1_3genE0ELNS1_11target_archE4294967295ELNS1_3gpuE0ELNS1_3repE0EEENS1_30default_config_static_selectorELNS0_4arch9wavefront6targetE1EEEvT1_.private_seg_size, 0
	.set _ZN7rocprim17ROCPRIM_400000_NS6detail17trampoline_kernelINS0_14default_configENS1_25transform_config_selectorIaLb1EEEZNS1_14transform_implILb1ES3_S5_PaS7_NS0_8identityIaEEEE10hipError_tT2_T3_mT4_P12ihipStream_tbEUlT_E_NS1_11comp_targetILNS1_3genE0ELNS1_11target_archE4294967295ELNS1_3gpuE0ELNS1_3repE0EEENS1_30default_config_static_selectorELNS0_4arch9wavefront6targetE1EEEvT1_.uses_vcc, 0
	.set _ZN7rocprim17ROCPRIM_400000_NS6detail17trampoline_kernelINS0_14default_configENS1_25transform_config_selectorIaLb1EEEZNS1_14transform_implILb1ES3_S5_PaS7_NS0_8identityIaEEEE10hipError_tT2_T3_mT4_P12ihipStream_tbEUlT_E_NS1_11comp_targetILNS1_3genE0ELNS1_11target_archE4294967295ELNS1_3gpuE0ELNS1_3repE0EEENS1_30default_config_static_selectorELNS0_4arch9wavefront6targetE1EEEvT1_.uses_flat_scratch, 0
	.set _ZN7rocprim17ROCPRIM_400000_NS6detail17trampoline_kernelINS0_14default_configENS1_25transform_config_selectorIaLb1EEEZNS1_14transform_implILb1ES3_S5_PaS7_NS0_8identityIaEEEE10hipError_tT2_T3_mT4_P12ihipStream_tbEUlT_E_NS1_11comp_targetILNS1_3genE0ELNS1_11target_archE4294967295ELNS1_3gpuE0ELNS1_3repE0EEENS1_30default_config_static_selectorELNS0_4arch9wavefront6targetE1EEEvT1_.has_dyn_sized_stack, 0
	.set _ZN7rocprim17ROCPRIM_400000_NS6detail17trampoline_kernelINS0_14default_configENS1_25transform_config_selectorIaLb1EEEZNS1_14transform_implILb1ES3_S5_PaS7_NS0_8identityIaEEEE10hipError_tT2_T3_mT4_P12ihipStream_tbEUlT_E_NS1_11comp_targetILNS1_3genE0ELNS1_11target_archE4294967295ELNS1_3gpuE0ELNS1_3repE0EEENS1_30default_config_static_selectorELNS0_4arch9wavefront6targetE1EEEvT1_.has_recursion, 0
	.set _ZN7rocprim17ROCPRIM_400000_NS6detail17trampoline_kernelINS0_14default_configENS1_25transform_config_selectorIaLb1EEEZNS1_14transform_implILb1ES3_S5_PaS7_NS0_8identityIaEEEE10hipError_tT2_T3_mT4_P12ihipStream_tbEUlT_E_NS1_11comp_targetILNS1_3genE0ELNS1_11target_archE4294967295ELNS1_3gpuE0ELNS1_3repE0EEENS1_30default_config_static_selectorELNS0_4arch9wavefront6targetE1EEEvT1_.has_indirect_call, 0
	.section	.AMDGPU.csdata,"",@progbits
; Kernel info:
; codeLenInByte = 0
; TotalNumSgprs: 4
; NumVgprs: 0
; ScratchSize: 0
; MemoryBound: 0
; FloatMode: 240
; IeeeMode: 1
; LDSByteSize: 0 bytes/workgroup (compile time only)
; SGPRBlocks: 0
; VGPRBlocks: 0
; NumSGPRsForWavesPerEU: 4
; NumVGPRsForWavesPerEU: 1
; Occupancy: 10
; WaveLimiterHint : 0
; COMPUTE_PGM_RSRC2:SCRATCH_EN: 0
; COMPUTE_PGM_RSRC2:USER_SGPR: 6
; COMPUTE_PGM_RSRC2:TRAP_HANDLER: 0
; COMPUTE_PGM_RSRC2:TGID_X_EN: 1
; COMPUTE_PGM_RSRC2:TGID_Y_EN: 0
; COMPUTE_PGM_RSRC2:TGID_Z_EN: 0
; COMPUTE_PGM_RSRC2:TIDIG_COMP_CNT: 0
	.section	.text._ZN7rocprim17ROCPRIM_400000_NS6detail17trampoline_kernelINS0_14default_configENS1_25transform_config_selectorIaLb1EEEZNS1_14transform_implILb1ES3_S5_PaS7_NS0_8identityIaEEEE10hipError_tT2_T3_mT4_P12ihipStream_tbEUlT_E_NS1_11comp_targetILNS1_3genE10ELNS1_11target_archE1201ELNS1_3gpuE5ELNS1_3repE0EEENS1_30default_config_static_selectorELNS0_4arch9wavefront6targetE1EEEvT1_,"axG",@progbits,_ZN7rocprim17ROCPRIM_400000_NS6detail17trampoline_kernelINS0_14default_configENS1_25transform_config_selectorIaLb1EEEZNS1_14transform_implILb1ES3_S5_PaS7_NS0_8identityIaEEEE10hipError_tT2_T3_mT4_P12ihipStream_tbEUlT_E_NS1_11comp_targetILNS1_3genE10ELNS1_11target_archE1201ELNS1_3gpuE5ELNS1_3repE0EEENS1_30default_config_static_selectorELNS0_4arch9wavefront6targetE1EEEvT1_,comdat
	.protected	_ZN7rocprim17ROCPRIM_400000_NS6detail17trampoline_kernelINS0_14default_configENS1_25transform_config_selectorIaLb1EEEZNS1_14transform_implILb1ES3_S5_PaS7_NS0_8identityIaEEEE10hipError_tT2_T3_mT4_P12ihipStream_tbEUlT_E_NS1_11comp_targetILNS1_3genE10ELNS1_11target_archE1201ELNS1_3gpuE5ELNS1_3repE0EEENS1_30default_config_static_selectorELNS0_4arch9wavefront6targetE1EEEvT1_ ; -- Begin function _ZN7rocprim17ROCPRIM_400000_NS6detail17trampoline_kernelINS0_14default_configENS1_25transform_config_selectorIaLb1EEEZNS1_14transform_implILb1ES3_S5_PaS7_NS0_8identityIaEEEE10hipError_tT2_T3_mT4_P12ihipStream_tbEUlT_E_NS1_11comp_targetILNS1_3genE10ELNS1_11target_archE1201ELNS1_3gpuE5ELNS1_3repE0EEENS1_30default_config_static_selectorELNS0_4arch9wavefront6targetE1EEEvT1_
	.globl	_ZN7rocprim17ROCPRIM_400000_NS6detail17trampoline_kernelINS0_14default_configENS1_25transform_config_selectorIaLb1EEEZNS1_14transform_implILb1ES3_S5_PaS7_NS0_8identityIaEEEE10hipError_tT2_T3_mT4_P12ihipStream_tbEUlT_E_NS1_11comp_targetILNS1_3genE10ELNS1_11target_archE1201ELNS1_3gpuE5ELNS1_3repE0EEENS1_30default_config_static_selectorELNS0_4arch9wavefront6targetE1EEEvT1_
	.p2align	8
	.type	_ZN7rocprim17ROCPRIM_400000_NS6detail17trampoline_kernelINS0_14default_configENS1_25transform_config_selectorIaLb1EEEZNS1_14transform_implILb1ES3_S5_PaS7_NS0_8identityIaEEEE10hipError_tT2_T3_mT4_P12ihipStream_tbEUlT_E_NS1_11comp_targetILNS1_3genE10ELNS1_11target_archE1201ELNS1_3gpuE5ELNS1_3repE0EEENS1_30default_config_static_selectorELNS0_4arch9wavefront6targetE1EEEvT1_,@function
_ZN7rocprim17ROCPRIM_400000_NS6detail17trampoline_kernelINS0_14default_configENS1_25transform_config_selectorIaLb1EEEZNS1_14transform_implILb1ES3_S5_PaS7_NS0_8identityIaEEEE10hipError_tT2_T3_mT4_P12ihipStream_tbEUlT_E_NS1_11comp_targetILNS1_3genE10ELNS1_11target_archE1201ELNS1_3gpuE5ELNS1_3repE0EEENS1_30default_config_static_selectorELNS0_4arch9wavefront6targetE1EEEvT1_: ; @_ZN7rocprim17ROCPRIM_400000_NS6detail17trampoline_kernelINS0_14default_configENS1_25transform_config_selectorIaLb1EEEZNS1_14transform_implILb1ES3_S5_PaS7_NS0_8identityIaEEEE10hipError_tT2_T3_mT4_P12ihipStream_tbEUlT_E_NS1_11comp_targetILNS1_3genE10ELNS1_11target_archE1201ELNS1_3gpuE5ELNS1_3repE0EEENS1_30default_config_static_selectorELNS0_4arch9wavefront6targetE1EEEvT1_
; %bb.0:
	.section	.rodata,"a",@progbits
	.p2align	6, 0x0
	.amdhsa_kernel _ZN7rocprim17ROCPRIM_400000_NS6detail17trampoline_kernelINS0_14default_configENS1_25transform_config_selectorIaLb1EEEZNS1_14transform_implILb1ES3_S5_PaS7_NS0_8identityIaEEEE10hipError_tT2_T3_mT4_P12ihipStream_tbEUlT_E_NS1_11comp_targetILNS1_3genE10ELNS1_11target_archE1201ELNS1_3gpuE5ELNS1_3repE0EEENS1_30default_config_static_selectorELNS0_4arch9wavefront6targetE1EEEvT1_
		.amdhsa_group_segment_fixed_size 0
		.amdhsa_private_segment_fixed_size 0
		.amdhsa_kernarg_size 40
		.amdhsa_user_sgpr_count 6
		.amdhsa_user_sgpr_private_segment_buffer 1
		.amdhsa_user_sgpr_dispatch_ptr 0
		.amdhsa_user_sgpr_queue_ptr 0
		.amdhsa_user_sgpr_kernarg_segment_ptr 1
		.amdhsa_user_sgpr_dispatch_id 0
		.amdhsa_user_sgpr_flat_scratch_init 0
		.amdhsa_user_sgpr_private_segment_size 0
		.amdhsa_uses_dynamic_stack 0
		.amdhsa_system_sgpr_private_segment_wavefront_offset 0
		.amdhsa_system_sgpr_workgroup_id_x 1
		.amdhsa_system_sgpr_workgroup_id_y 0
		.amdhsa_system_sgpr_workgroup_id_z 0
		.amdhsa_system_sgpr_workgroup_info 0
		.amdhsa_system_vgpr_workitem_id 0
		.amdhsa_next_free_vgpr 1
		.amdhsa_next_free_sgpr 0
		.amdhsa_reserve_vcc 0
		.amdhsa_reserve_flat_scratch 0
		.amdhsa_float_round_mode_32 0
		.amdhsa_float_round_mode_16_64 0
		.amdhsa_float_denorm_mode_32 3
		.amdhsa_float_denorm_mode_16_64 3
		.amdhsa_dx10_clamp 1
		.amdhsa_ieee_mode 1
		.amdhsa_fp16_overflow 0
		.amdhsa_exception_fp_ieee_invalid_op 0
		.amdhsa_exception_fp_denorm_src 0
		.amdhsa_exception_fp_ieee_div_zero 0
		.amdhsa_exception_fp_ieee_overflow 0
		.amdhsa_exception_fp_ieee_underflow 0
		.amdhsa_exception_fp_ieee_inexact 0
		.amdhsa_exception_int_div_zero 0
	.end_amdhsa_kernel
	.section	.text._ZN7rocprim17ROCPRIM_400000_NS6detail17trampoline_kernelINS0_14default_configENS1_25transform_config_selectorIaLb1EEEZNS1_14transform_implILb1ES3_S5_PaS7_NS0_8identityIaEEEE10hipError_tT2_T3_mT4_P12ihipStream_tbEUlT_E_NS1_11comp_targetILNS1_3genE10ELNS1_11target_archE1201ELNS1_3gpuE5ELNS1_3repE0EEENS1_30default_config_static_selectorELNS0_4arch9wavefront6targetE1EEEvT1_,"axG",@progbits,_ZN7rocprim17ROCPRIM_400000_NS6detail17trampoline_kernelINS0_14default_configENS1_25transform_config_selectorIaLb1EEEZNS1_14transform_implILb1ES3_S5_PaS7_NS0_8identityIaEEEE10hipError_tT2_T3_mT4_P12ihipStream_tbEUlT_E_NS1_11comp_targetILNS1_3genE10ELNS1_11target_archE1201ELNS1_3gpuE5ELNS1_3repE0EEENS1_30default_config_static_selectorELNS0_4arch9wavefront6targetE1EEEvT1_,comdat
.Lfunc_end527:
	.size	_ZN7rocprim17ROCPRIM_400000_NS6detail17trampoline_kernelINS0_14default_configENS1_25transform_config_selectorIaLb1EEEZNS1_14transform_implILb1ES3_S5_PaS7_NS0_8identityIaEEEE10hipError_tT2_T3_mT4_P12ihipStream_tbEUlT_E_NS1_11comp_targetILNS1_3genE10ELNS1_11target_archE1201ELNS1_3gpuE5ELNS1_3repE0EEENS1_30default_config_static_selectorELNS0_4arch9wavefront6targetE1EEEvT1_, .Lfunc_end527-_ZN7rocprim17ROCPRIM_400000_NS6detail17trampoline_kernelINS0_14default_configENS1_25transform_config_selectorIaLb1EEEZNS1_14transform_implILb1ES3_S5_PaS7_NS0_8identityIaEEEE10hipError_tT2_T3_mT4_P12ihipStream_tbEUlT_E_NS1_11comp_targetILNS1_3genE10ELNS1_11target_archE1201ELNS1_3gpuE5ELNS1_3repE0EEENS1_30default_config_static_selectorELNS0_4arch9wavefront6targetE1EEEvT1_
                                        ; -- End function
	.set _ZN7rocprim17ROCPRIM_400000_NS6detail17trampoline_kernelINS0_14default_configENS1_25transform_config_selectorIaLb1EEEZNS1_14transform_implILb1ES3_S5_PaS7_NS0_8identityIaEEEE10hipError_tT2_T3_mT4_P12ihipStream_tbEUlT_E_NS1_11comp_targetILNS1_3genE10ELNS1_11target_archE1201ELNS1_3gpuE5ELNS1_3repE0EEENS1_30default_config_static_selectorELNS0_4arch9wavefront6targetE1EEEvT1_.num_vgpr, 0
	.set _ZN7rocprim17ROCPRIM_400000_NS6detail17trampoline_kernelINS0_14default_configENS1_25transform_config_selectorIaLb1EEEZNS1_14transform_implILb1ES3_S5_PaS7_NS0_8identityIaEEEE10hipError_tT2_T3_mT4_P12ihipStream_tbEUlT_E_NS1_11comp_targetILNS1_3genE10ELNS1_11target_archE1201ELNS1_3gpuE5ELNS1_3repE0EEENS1_30default_config_static_selectorELNS0_4arch9wavefront6targetE1EEEvT1_.num_agpr, 0
	.set _ZN7rocprim17ROCPRIM_400000_NS6detail17trampoline_kernelINS0_14default_configENS1_25transform_config_selectorIaLb1EEEZNS1_14transform_implILb1ES3_S5_PaS7_NS0_8identityIaEEEE10hipError_tT2_T3_mT4_P12ihipStream_tbEUlT_E_NS1_11comp_targetILNS1_3genE10ELNS1_11target_archE1201ELNS1_3gpuE5ELNS1_3repE0EEENS1_30default_config_static_selectorELNS0_4arch9wavefront6targetE1EEEvT1_.numbered_sgpr, 0
	.set _ZN7rocprim17ROCPRIM_400000_NS6detail17trampoline_kernelINS0_14default_configENS1_25transform_config_selectorIaLb1EEEZNS1_14transform_implILb1ES3_S5_PaS7_NS0_8identityIaEEEE10hipError_tT2_T3_mT4_P12ihipStream_tbEUlT_E_NS1_11comp_targetILNS1_3genE10ELNS1_11target_archE1201ELNS1_3gpuE5ELNS1_3repE0EEENS1_30default_config_static_selectorELNS0_4arch9wavefront6targetE1EEEvT1_.num_named_barrier, 0
	.set _ZN7rocprim17ROCPRIM_400000_NS6detail17trampoline_kernelINS0_14default_configENS1_25transform_config_selectorIaLb1EEEZNS1_14transform_implILb1ES3_S5_PaS7_NS0_8identityIaEEEE10hipError_tT2_T3_mT4_P12ihipStream_tbEUlT_E_NS1_11comp_targetILNS1_3genE10ELNS1_11target_archE1201ELNS1_3gpuE5ELNS1_3repE0EEENS1_30default_config_static_selectorELNS0_4arch9wavefront6targetE1EEEvT1_.private_seg_size, 0
	.set _ZN7rocprim17ROCPRIM_400000_NS6detail17trampoline_kernelINS0_14default_configENS1_25transform_config_selectorIaLb1EEEZNS1_14transform_implILb1ES3_S5_PaS7_NS0_8identityIaEEEE10hipError_tT2_T3_mT4_P12ihipStream_tbEUlT_E_NS1_11comp_targetILNS1_3genE10ELNS1_11target_archE1201ELNS1_3gpuE5ELNS1_3repE0EEENS1_30default_config_static_selectorELNS0_4arch9wavefront6targetE1EEEvT1_.uses_vcc, 0
	.set _ZN7rocprim17ROCPRIM_400000_NS6detail17trampoline_kernelINS0_14default_configENS1_25transform_config_selectorIaLb1EEEZNS1_14transform_implILb1ES3_S5_PaS7_NS0_8identityIaEEEE10hipError_tT2_T3_mT4_P12ihipStream_tbEUlT_E_NS1_11comp_targetILNS1_3genE10ELNS1_11target_archE1201ELNS1_3gpuE5ELNS1_3repE0EEENS1_30default_config_static_selectorELNS0_4arch9wavefront6targetE1EEEvT1_.uses_flat_scratch, 0
	.set _ZN7rocprim17ROCPRIM_400000_NS6detail17trampoline_kernelINS0_14default_configENS1_25transform_config_selectorIaLb1EEEZNS1_14transform_implILb1ES3_S5_PaS7_NS0_8identityIaEEEE10hipError_tT2_T3_mT4_P12ihipStream_tbEUlT_E_NS1_11comp_targetILNS1_3genE10ELNS1_11target_archE1201ELNS1_3gpuE5ELNS1_3repE0EEENS1_30default_config_static_selectorELNS0_4arch9wavefront6targetE1EEEvT1_.has_dyn_sized_stack, 0
	.set _ZN7rocprim17ROCPRIM_400000_NS6detail17trampoline_kernelINS0_14default_configENS1_25transform_config_selectorIaLb1EEEZNS1_14transform_implILb1ES3_S5_PaS7_NS0_8identityIaEEEE10hipError_tT2_T3_mT4_P12ihipStream_tbEUlT_E_NS1_11comp_targetILNS1_3genE10ELNS1_11target_archE1201ELNS1_3gpuE5ELNS1_3repE0EEENS1_30default_config_static_selectorELNS0_4arch9wavefront6targetE1EEEvT1_.has_recursion, 0
	.set _ZN7rocprim17ROCPRIM_400000_NS6detail17trampoline_kernelINS0_14default_configENS1_25transform_config_selectorIaLb1EEEZNS1_14transform_implILb1ES3_S5_PaS7_NS0_8identityIaEEEE10hipError_tT2_T3_mT4_P12ihipStream_tbEUlT_E_NS1_11comp_targetILNS1_3genE10ELNS1_11target_archE1201ELNS1_3gpuE5ELNS1_3repE0EEENS1_30default_config_static_selectorELNS0_4arch9wavefront6targetE1EEEvT1_.has_indirect_call, 0
	.section	.AMDGPU.csdata,"",@progbits
; Kernel info:
; codeLenInByte = 0
; TotalNumSgprs: 4
; NumVgprs: 0
; ScratchSize: 0
; MemoryBound: 0
; FloatMode: 240
; IeeeMode: 1
; LDSByteSize: 0 bytes/workgroup (compile time only)
; SGPRBlocks: 0
; VGPRBlocks: 0
; NumSGPRsForWavesPerEU: 4
; NumVGPRsForWavesPerEU: 1
; Occupancy: 10
; WaveLimiterHint : 0
; COMPUTE_PGM_RSRC2:SCRATCH_EN: 0
; COMPUTE_PGM_RSRC2:USER_SGPR: 6
; COMPUTE_PGM_RSRC2:TRAP_HANDLER: 0
; COMPUTE_PGM_RSRC2:TGID_X_EN: 1
; COMPUTE_PGM_RSRC2:TGID_Y_EN: 0
; COMPUTE_PGM_RSRC2:TGID_Z_EN: 0
; COMPUTE_PGM_RSRC2:TIDIG_COMP_CNT: 0
	.section	.text._ZN7rocprim17ROCPRIM_400000_NS6detail17trampoline_kernelINS0_14default_configENS1_25transform_config_selectorIaLb1EEEZNS1_14transform_implILb1ES3_S5_PaS7_NS0_8identityIaEEEE10hipError_tT2_T3_mT4_P12ihipStream_tbEUlT_E_NS1_11comp_targetILNS1_3genE5ELNS1_11target_archE942ELNS1_3gpuE9ELNS1_3repE0EEENS1_30default_config_static_selectorELNS0_4arch9wavefront6targetE1EEEvT1_,"axG",@progbits,_ZN7rocprim17ROCPRIM_400000_NS6detail17trampoline_kernelINS0_14default_configENS1_25transform_config_selectorIaLb1EEEZNS1_14transform_implILb1ES3_S5_PaS7_NS0_8identityIaEEEE10hipError_tT2_T3_mT4_P12ihipStream_tbEUlT_E_NS1_11comp_targetILNS1_3genE5ELNS1_11target_archE942ELNS1_3gpuE9ELNS1_3repE0EEENS1_30default_config_static_selectorELNS0_4arch9wavefront6targetE1EEEvT1_,comdat
	.protected	_ZN7rocprim17ROCPRIM_400000_NS6detail17trampoline_kernelINS0_14default_configENS1_25transform_config_selectorIaLb1EEEZNS1_14transform_implILb1ES3_S5_PaS7_NS0_8identityIaEEEE10hipError_tT2_T3_mT4_P12ihipStream_tbEUlT_E_NS1_11comp_targetILNS1_3genE5ELNS1_11target_archE942ELNS1_3gpuE9ELNS1_3repE0EEENS1_30default_config_static_selectorELNS0_4arch9wavefront6targetE1EEEvT1_ ; -- Begin function _ZN7rocprim17ROCPRIM_400000_NS6detail17trampoline_kernelINS0_14default_configENS1_25transform_config_selectorIaLb1EEEZNS1_14transform_implILb1ES3_S5_PaS7_NS0_8identityIaEEEE10hipError_tT2_T3_mT4_P12ihipStream_tbEUlT_E_NS1_11comp_targetILNS1_3genE5ELNS1_11target_archE942ELNS1_3gpuE9ELNS1_3repE0EEENS1_30default_config_static_selectorELNS0_4arch9wavefront6targetE1EEEvT1_
	.globl	_ZN7rocprim17ROCPRIM_400000_NS6detail17trampoline_kernelINS0_14default_configENS1_25transform_config_selectorIaLb1EEEZNS1_14transform_implILb1ES3_S5_PaS7_NS0_8identityIaEEEE10hipError_tT2_T3_mT4_P12ihipStream_tbEUlT_E_NS1_11comp_targetILNS1_3genE5ELNS1_11target_archE942ELNS1_3gpuE9ELNS1_3repE0EEENS1_30default_config_static_selectorELNS0_4arch9wavefront6targetE1EEEvT1_
	.p2align	8
	.type	_ZN7rocprim17ROCPRIM_400000_NS6detail17trampoline_kernelINS0_14default_configENS1_25transform_config_selectorIaLb1EEEZNS1_14transform_implILb1ES3_S5_PaS7_NS0_8identityIaEEEE10hipError_tT2_T3_mT4_P12ihipStream_tbEUlT_E_NS1_11comp_targetILNS1_3genE5ELNS1_11target_archE942ELNS1_3gpuE9ELNS1_3repE0EEENS1_30default_config_static_selectorELNS0_4arch9wavefront6targetE1EEEvT1_,@function
_ZN7rocprim17ROCPRIM_400000_NS6detail17trampoline_kernelINS0_14default_configENS1_25transform_config_selectorIaLb1EEEZNS1_14transform_implILb1ES3_S5_PaS7_NS0_8identityIaEEEE10hipError_tT2_T3_mT4_P12ihipStream_tbEUlT_E_NS1_11comp_targetILNS1_3genE5ELNS1_11target_archE942ELNS1_3gpuE9ELNS1_3repE0EEENS1_30default_config_static_selectorELNS0_4arch9wavefront6targetE1EEEvT1_: ; @_ZN7rocprim17ROCPRIM_400000_NS6detail17trampoline_kernelINS0_14default_configENS1_25transform_config_selectorIaLb1EEEZNS1_14transform_implILb1ES3_S5_PaS7_NS0_8identityIaEEEE10hipError_tT2_T3_mT4_P12ihipStream_tbEUlT_E_NS1_11comp_targetILNS1_3genE5ELNS1_11target_archE942ELNS1_3gpuE9ELNS1_3repE0EEENS1_30default_config_static_selectorELNS0_4arch9wavefront6targetE1EEEvT1_
; %bb.0:
	.section	.rodata,"a",@progbits
	.p2align	6, 0x0
	.amdhsa_kernel _ZN7rocprim17ROCPRIM_400000_NS6detail17trampoline_kernelINS0_14default_configENS1_25transform_config_selectorIaLb1EEEZNS1_14transform_implILb1ES3_S5_PaS7_NS0_8identityIaEEEE10hipError_tT2_T3_mT4_P12ihipStream_tbEUlT_E_NS1_11comp_targetILNS1_3genE5ELNS1_11target_archE942ELNS1_3gpuE9ELNS1_3repE0EEENS1_30default_config_static_selectorELNS0_4arch9wavefront6targetE1EEEvT1_
		.amdhsa_group_segment_fixed_size 0
		.amdhsa_private_segment_fixed_size 0
		.amdhsa_kernarg_size 40
		.amdhsa_user_sgpr_count 6
		.amdhsa_user_sgpr_private_segment_buffer 1
		.amdhsa_user_sgpr_dispatch_ptr 0
		.amdhsa_user_sgpr_queue_ptr 0
		.amdhsa_user_sgpr_kernarg_segment_ptr 1
		.amdhsa_user_sgpr_dispatch_id 0
		.amdhsa_user_sgpr_flat_scratch_init 0
		.amdhsa_user_sgpr_private_segment_size 0
		.amdhsa_uses_dynamic_stack 0
		.amdhsa_system_sgpr_private_segment_wavefront_offset 0
		.amdhsa_system_sgpr_workgroup_id_x 1
		.amdhsa_system_sgpr_workgroup_id_y 0
		.amdhsa_system_sgpr_workgroup_id_z 0
		.amdhsa_system_sgpr_workgroup_info 0
		.amdhsa_system_vgpr_workitem_id 0
		.amdhsa_next_free_vgpr 1
		.amdhsa_next_free_sgpr 0
		.amdhsa_reserve_vcc 0
		.amdhsa_reserve_flat_scratch 0
		.amdhsa_float_round_mode_32 0
		.amdhsa_float_round_mode_16_64 0
		.amdhsa_float_denorm_mode_32 3
		.amdhsa_float_denorm_mode_16_64 3
		.amdhsa_dx10_clamp 1
		.amdhsa_ieee_mode 1
		.amdhsa_fp16_overflow 0
		.amdhsa_exception_fp_ieee_invalid_op 0
		.amdhsa_exception_fp_denorm_src 0
		.amdhsa_exception_fp_ieee_div_zero 0
		.amdhsa_exception_fp_ieee_overflow 0
		.amdhsa_exception_fp_ieee_underflow 0
		.amdhsa_exception_fp_ieee_inexact 0
		.amdhsa_exception_int_div_zero 0
	.end_amdhsa_kernel
	.section	.text._ZN7rocprim17ROCPRIM_400000_NS6detail17trampoline_kernelINS0_14default_configENS1_25transform_config_selectorIaLb1EEEZNS1_14transform_implILb1ES3_S5_PaS7_NS0_8identityIaEEEE10hipError_tT2_T3_mT4_P12ihipStream_tbEUlT_E_NS1_11comp_targetILNS1_3genE5ELNS1_11target_archE942ELNS1_3gpuE9ELNS1_3repE0EEENS1_30default_config_static_selectorELNS0_4arch9wavefront6targetE1EEEvT1_,"axG",@progbits,_ZN7rocprim17ROCPRIM_400000_NS6detail17trampoline_kernelINS0_14default_configENS1_25transform_config_selectorIaLb1EEEZNS1_14transform_implILb1ES3_S5_PaS7_NS0_8identityIaEEEE10hipError_tT2_T3_mT4_P12ihipStream_tbEUlT_E_NS1_11comp_targetILNS1_3genE5ELNS1_11target_archE942ELNS1_3gpuE9ELNS1_3repE0EEENS1_30default_config_static_selectorELNS0_4arch9wavefront6targetE1EEEvT1_,comdat
.Lfunc_end528:
	.size	_ZN7rocprim17ROCPRIM_400000_NS6detail17trampoline_kernelINS0_14default_configENS1_25transform_config_selectorIaLb1EEEZNS1_14transform_implILb1ES3_S5_PaS7_NS0_8identityIaEEEE10hipError_tT2_T3_mT4_P12ihipStream_tbEUlT_E_NS1_11comp_targetILNS1_3genE5ELNS1_11target_archE942ELNS1_3gpuE9ELNS1_3repE0EEENS1_30default_config_static_selectorELNS0_4arch9wavefront6targetE1EEEvT1_, .Lfunc_end528-_ZN7rocprim17ROCPRIM_400000_NS6detail17trampoline_kernelINS0_14default_configENS1_25transform_config_selectorIaLb1EEEZNS1_14transform_implILb1ES3_S5_PaS7_NS0_8identityIaEEEE10hipError_tT2_T3_mT4_P12ihipStream_tbEUlT_E_NS1_11comp_targetILNS1_3genE5ELNS1_11target_archE942ELNS1_3gpuE9ELNS1_3repE0EEENS1_30default_config_static_selectorELNS0_4arch9wavefront6targetE1EEEvT1_
                                        ; -- End function
	.set _ZN7rocprim17ROCPRIM_400000_NS6detail17trampoline_kernelINS0_14default_configENS1_25transform_config_selectorIaLb1EEEZNS1_14transform_implILb1ES3_S5_PaS7_NS0_8identityIaEEEE10hipError_tT2_T3_mT4_P12ihipStream_tbEUlT_E_NS1_11comp_targetILNS1_3genE5ELNS1_11target_archE942ELNS1_3gpuE9ELNS1_3repE0EEENS1_30default_config_static_selectorELNS0_4arch9wavefront6targetE1EEEvT1_.num_vgpr, 0
	.set _ZN7rocprim17ROCPRIM_400000_NS6detail17trampoline_kernelINS0_14default_configENS1_25transform_config_selectorIaLb1EEEZNS1_14transform_implILb1ES3_S5_PaS7_NS0_8identityIaEEEE10hipError_tT2_T3_mT4_P12ihipStream_tbEUlT_E_NS1_11comp_targetILNS1_3genE5ELNS1_11target_archE942ELNS1_3gpuE9ELNS1_3repE0EEENS1_30default_config_static_selectorELNS0_4arch9wavefront6targetE1EEEvT1_.num_agpr, 0
	.set _ZN7rocprim17ROCPRIM_400000_NS6detail17trampoline_kernelINS0_14default_configENS1_25transform_config_selectorIaLb1EEEZNS1_14transform_implILb1ES3_S5_PaS7_NS0_8identityIaEEEE10hipError_tT2_T3_mT4_P12ihipStream_tbEUlT_E_NS1_11comp_targetILNS1_3genE5ELNS1_11target_archE942ELNS1_3gpuE9ELNS1_3repE0EEENS1_30default_config_static_selectorELNS0_4arch9wavefront6targetE1EEEvT1_.numbered_sgpr, 0
	.set _ZN7rocprim17ROCPRIM_400000_NS6detail17trampoline_kernelINS0_14default_configENS1_25transform_config_selectorIaLb1EEEZNS1_14transform_implILb1ES3_S5_PaS7_NS0_8identityIaEEEE10hipError_tT2_T3_mT4_P12ihipStream_tbEUlT_E_NS1_11comp_targetILNS1_3genE5ELNS1_11target_archE942ELNS1_3gpuE9ELNS1_3repE0EEENS1_30default_config_static_selectorELNS0_4arch9wavefront6targetE1EEEvT1_.num_named_barrier, 0
	.set _ZN7rocprim17ROCPRIM_400000_NS6detail17trampoline_kernelINS0_14default_configENS1_25transform_config_selectorIaLb1EEEZNS1_14transform_implILb1ES3_S5_PaS7_NS0_8identityIaEEEE10hipError_tT2_T3_mT4_P12ihipStream_tbEUlT_E_NS1_11comp_targetILNS1_3genE5ELNS1_11target_archE942ELNS1_3gpuE9ELNS1_3repE0EEENS1_30default_config_static_selectorELNS0_4arch9wavefront6targetE1EEEvT1_.private_seg_size, 0
	.set _ZN7rocprim17ROCPRIM_400000_NS6detail17trampoline_kernelINS0_14default_configENS1_25transform_config_selectorIaLb1EEEZNS1_14transform_implILb1ES3_S5_PaS7_NS0_8identityIaEEEE10hipError_tT2_T3_mT4_P12ihipStream_tbEUlT_E_NS1_11comp_targetILNS1_3genE5ELNS1_11target_archE942ELNS1_3gpuE9ELNS1_3repE0EEENS1_30default_config_static_selectorELNS0_4arch9wavefront6targetE1EEEvT1_.uses_vcc, 0
	.set _ZN7rocprim17ROCPRIM_400000_NS6detail17trampoline_kernelINS0_14default_configENS1_25transform_config_selectorIaLb1EEEZNS1_14transform_implILb1ES3_S5_PaS7_NS0_8identityIaEEEE10hipError_tT2_T3_mT4_P12ihipStream_tbEUlT_E_NS1_11comp_targetILNS1_3genE5ELNS1_11target_archE942ELNS1_3gpuE9ELNS1_3repE0EEENS1_30default_config_static_selectorELNS0_4arch9wavefront6targetE1EEEvT1_.uses_flat_scratch, 0
	.set _ZN7rocprim17ROCPRIM_400000_NS6detail17trampoline_kernelINS0_14default_configENS1_25transform_config_selectorIaLb1EEEZNS1_14transform_implILb1ES3_S5_PaS7_NS0_8identityIaEEEE10hipError_tT2_T3_mT4_P12ihipStream_tbEUlT_E_NS1_11comp_targetILNS1_3genE5ELNS1_11target_archE942ELNS1_3gpuE9ELNS1_3repE0EEENS1_30default_config_static_selectorELNS0_4arch9wavefront6targetE1EEEvT1_.has_dyn_sized_stack, 0
	.set _ZN7rocprim17ROCPRIM_400000_NS6detail17trampoline_kernelINS0_14default_configENS1_25transform_config_selectorIaLb1EEEZNS1_14transform_implILb1ES3_S5_PaS7_NS0_8identityIaEEEE10hipError_tT2_T3_mT4_P12ihipStream_tbEUlT_E_NS1_11comp_targetILNS1_3genE5ELNS1_11target_archE942ELNS1_3gpuE9ELNS1_3repE0EEENS1_30default_config_static_selectorELNS0_4arch9wavefront6targetE1EEEvT1_.has_recursion, 0
	.set _ZN7rocprim17ROCPRIM_400000_NS6detail17trampoline_kernelINS0_14default_configENS1_25transform_config_selectorIaLb1EEEZNS1_14transform_implILb1ES3_S5_PaS7_NS0_8identityIaEEEE10hipError_tT2_T3_mT4_P12ihipStream_tbEUlT_E_NS1_11comp_targetILNS1_3genE5ELNS1_11target_archE942ELNS1_3gpuE9ELNS1_3repE0EEENS1_30default_config_static_selectorELNS0_4arch9wavefront6targetE1EEEvT1_.has_indirect_call, 0
	.section	.AMDGPU.csdata,"",@progbits
; Kernel info:
; codeLenInByte = 0
; TotalNumSgprs: 4
; NumVgprs: 0
; ScratchSize: 0
; MemoryBound: 0
; FloatMode: 240
; IeeeMode: 1
; LDSByteSize: 0 bytes/workgroup (compile time only)
; SGPRBlocks: 0
; VGPRBlocks: 0
; NumSGPRsForWavesPerEU: 4
; NumVGPRsForWavesPerEU: 1
; Occupancy: 10
; WaveLimiterHint : 0
; COMPUTE_PGM_RSRC2:SCRATCH_EN: 0
; COMPUTE_PGM_RSRC2:USER_SGPR: 6
; COMPUTE_PGM_RSRC2:TRAP_HANDLER: 0
; COMPUTE_PGM_RSRC2:TGID_X_EN: 1
; COMPUTE_PGM_RSRC2:TGID_Y_EN: 0
; COMPUTE_PGM_RSRC2:TGID_Z_EN: 0
; COMPUTE_PGM_RSRC2:TIDIG_COMP_CNT: 0
	.section	.text._ZN7rocprim17ROCPRIM_400000_NS6detail17trampoline_kernelINS0_14default_configENS1_25transform_config_selectorIaLb1EEEZNS1_14transform_implILb1ES3_S5_PaS7_NS0_8identityIaEEEE10hipError_tT2_T3_mT4_P12ihipStream_tbEUlT_E_NS1_11comp_targetILNS1_3genE4ELNS1_11target_archE910ELNS1_3gpuE8ELNS1_3repE0EEENS1_30default_config_static_selectorELNS0_4arch9wavefront6targetE1EEEvT1_,"axG",@progbits,_ZN7rocprim17ROCPRIM_400000_NS6detail17trampoline_kernelINS0_14default_configENS1_25transform_config_selectorIaLb1EEEZNS1_14transform_implILb1ES3_S5_PaS7_NS0_8identityIaEEEE10hipError_tT2_T3_mT4_P12ihipStream_tbEUlT_E_NS1_11comp_targetILNS1_3genE4ELNS1_11target_archE910ELNS1_3gpuE8ELNS1_3repE0EEENS1_30default_config_static_selectorELNS0_4arch9wavefront6targetE1EEEvT1_,comdat
	.protected	_ZN7rocprim17ROCPRIM_400000_NS6detail17trampoline_kernelINS0_14default_configENS1_25transform_config_selectorIaLb1EEEZNS1_14transform_implILb1ES3_S5_PaS7_NS0_8identityIaEEEE10hipError_tT2_T3_mT4_P12ihipStream_tbEUlT_E_NS1_11comp_targetILNS1_3genE4ELNS1_11target_archE910ELNS1_3gpuE8ELNS1_3repE0EEENS1_30default_config_static_selectorELNS0_4arch9wavefront6targetE1EEEvT1_ ; -- Begin function _ZN7rocprim17ROCPRIM_400000_NS6detail17trampoline_kernelINS0_14default_configENS1_25transform_config_selectorIaLb1EEEZNS1_14transform_implILb1ES3_S5_PaS7_NS0_8identityIaEEEE10hipError_tT2_T3_mT4_P12ihipStream_tbEUlT_E_NS1_11comp_targetILNS1_3genE4ELNS1_11target_archE910ELNS1_3gpuE8ELNS1_3repE0EEENS1_30default_config_static_selectorELNS0_4arch9wavefront6targetE1EEEvT1_
	.globl	_ZN7rocprim17ROCPRIM_400000_NS6detail17trampoline_kernelINS0_14default_configENS1_25transform_config_selectorIaLb1EEEZNS1_14transform_implILb1ES3_S5_PaS7_NS0_8identityIaEEEE10hipError_tT2_T3_mT4_P12ihipStream_tbEUlT_E_NS1_11comp_targetILNS1_3genE4ELNS1_11target_archE910ELNS1_3gpuE8ELNS1_3repE0EEENS1_30default_config_static_selectorELNS0_4arch9wavefront6targetE1EEEvT1_
	.p2align	8
	.type	_ZN7rocprim17ROCPRIM_400000_NS6detail17trampoline_kernelINS0_14default_configENS1_25transform_config_selectorIaLb1EEEZNS1_14transform_implILb1ES3_S5_PaS7_NS0_8identityIaEEEE10hipError_tT2_T3_mT4_P12ihipStream_tbEUlT_E_NS1_11comp_targetILNS1_3genE4ELNS1_11target_archE910ELNS1_3gpuE8ELNS1_3repE0EEENS1_30default_config_static_selectorELNS0_4arch9wavefront6targetE1EEEvT1_,@function
_ZN7rocprim17ROCPRIM_400000_NS6detail17trampoline_kernelINS0_14default_configENS1_25transform_config_selectorIaLb1EEEZNS1_14transform_implILb1ES3_S5_PaS7_NS0_8identityIaEEEE10hipError_tT2_T3_mT4_P12ihipStream_tbEUlT_E_NS1_11comp_targetILNS1_3genE4ELNS1_11target_archE910ELNS1_3gpuE8ELNS1_3repE0EEENS1_30default_config_static_selectorELNS0_4arch9wavefront6targetE1EEEvT1_: ; @_ZN7rocprim17ROCPRIM_400000_NS6detail17trampoline_kernelINS0_14default_configENS1_25transform_config_selectorIaLb1EEEZNS1_14transform_implILb1ES3_S5_PaS7_NS0_8identityIaEEEE10hipError_tT2_T3_mT4_P12ihipStream_tbEUlT_E_NS1_11comp_targetILNS1_3genE4ELNS1_11target_archE910ELNS1_3gpuE8ELNS1_3repE0EEENS1_30default_config_static_selectorELNS0_4arch9wavefront6targetE1EEEvT1_
; %bb.0:
	.section	.rodata,"a",@progbits
	.p2align	6, 0x0
	.amdhsa_kernel _ZN7rocprim17ROCPRIM_400000_NS6detail17trampoline_kernelINS0_14default_configENS1_25transform_config_selectorIaLb1EEEZNS1_14transform_implILb1ES3_S5_PaS7_NS0_8identityIaEEEE10hipError_tT2_T3_mT4_P12ihipStream_tbEUlT_E_NS1_11comp_targetILNS1_3genE4ELNS1_11target_archE910ELNS1_3gpuE8ELNS1_3repE0EEENS1_30default_config_static_selectorELNS0_4arch9wavefront6targetE1EEEvT1_
		.amdhsa_group_segment_fixed_size 0
		.amdhsa_private_segment_fixed_size 0
		.amdhsa_kernarg_size 40
		.amdhsa_user_sgpr_count 6
		.amdhsa_user_sgpr_private_segment_buffer 1
		.amdhsa_user_sgpr_dispatch_ptr 0
		.amdhsa_user_sgpr_queue_ptr 0
		.amdhsa_user_sgpr_kernarg_segment_ptr 1
		.amdhsa_user_sgpr_dispatch_id 0
		.amdhsa_user_sgpr_flat_scratch_init 0
		.amdhsa_user_sgpr_private_segment_size 0
		.amdhsa_uses_dynamic_stack 0
		.amdhsa_system_sgpr_private_segment_wavefront_offset 0
		.amdhsa_system_sgpr_workgroup_id_x 1
		.amdhsa_system_sgpr_workgroup_id_y 0
		.amdhsa_system_sgpr_workgroup_id_z 0
		.amdhsa_system_sgpr_workgroup_info 0
		.amdhsa_system_vgpr_workitem_id 0
		.amdhsa_next_free_vgpr 1
		.amdhsa_next_free_sgpr 0
		.amdhsa_reserve_vcc 0
		.amdhsa_reserve_flat_scratch 0
		.amdhsa_float_round_mode_32 0
		.amdhsa_float_round_mode_16_64 0
		.amdhsa_float_denorm_mode_32 3
		.amdhsa_float_denorm_mode_16_64 3
		.amdhsa_dx10_clamp 1
		.amdhsa_ieee_mode 1
		.amdhsa_fp16_overflow 0
		.amdhsa_exception_fp_ieee_invalid_op 0
		.amdhsa_exception_fp_denorm_src 0
		.amdhsa_exception_fp_ieee_div_zero 0
		.amdhsa_exception_fp_ieee_overflow 0
		.amdhsa_exception_fp_ieee_underflow 0
		.amdhsa_exception_fp_ieee_inexact 0
		.amdhsa_exception_int_div_zero 0
	.end_amdhsa_kernel
	.section	.text._ZN7rocprim17ROCPRIM_400000_NS6detail17trampoline_kernelINS0_14default_configENS1_25transform_config_selectorIaLb1EEEZNS1_14transform_implILb1ES3_S5_PaS7_NS0_8identityIaEEEE10hipError_tT2_T3_mT4_P12ihipStream_tbEUlT_E_NS1_11comp_targetILNS1_3genE4ELNS1_11target_archE910ELNS1_3gpuE8ELNS1_3repE0EEENS1_30default_config_static_selectorELNS0_4arch9wavefront6targetE1EEEvT1_,"axG",@progbits,_ZN7rocprim17ROCPRIM_400000_NS6detail17trampoline_kernelINS0_14default_configENS1_25transform_config_selectorIaLb1EEEZNS1_14transform_implILb1ES3_S5_PaS7_NS0_8identityIaEEEE10hipError_tT2_T3_mT4_P12ihipStream_tbEUlT_E_NS1_11comp_targetILNS1_3genE4ELNS1_11target_archE910ELNS1_3gpuE8ELNS1_3repE0EEENS1_30default_config_static_selectorELNS0_4arch9wavefront6targetE1EEEvT1_,comdat
.Lfunc_end529:
	.size	_ZN7rocprim17ROCPRIM_400000_NS6detail17trampoline_kernelINS0_14default_configENS1_25transform_config_selectorIaLb1EEEZNS1_14transform_implILb1ES3_S5_PaS7_NS0_8identityIaEEEE10hipError_tT2_T3_mT4_P12ihipStream_tbEUlT_E_NS1_11comp_targetILNS1_3genE4ELNS1_11target_archE910ELNS1_3gpuE8ELNS1_3repE0EEENS1_30default_config_static_selectorELNS0_4arch9wavefront6targetE1EEEvT1_, .Lfunc_end529-_ZN7rocprim17ROCPRIM_400000_NS6detail17trampoline_kernelINS0_14default_configENS1_25transform_config_selectorIaLb1EEEZNS1_14transform_implILb1ES3_S5_PaS7_NS0_8identityIaEEEE10hipError_tT2_T3_mT4_P12ihipStream_tbEUlT_E_NS1_11comp_targetILNS1_3genE4ELNS1_11target_archE910ELNS1_3gpuE8ELNS1_3repE0EEENS1_30default_config_static_selectorELNS0_4arch9wavefront6targetE1EEEvT1_
                                        ; -- End function
	.set _ZN7rocprim17ROCPRIM_400000_NS6detail17trampoline_kernelINS0_14default_configENS1_25transform_config_selectorIaLb1EEEZNS1_14transform_implILb1ES3_S5_PaS7_NS0_8identityIaEEEE10hipError_tT2_T3_mT4_P12ihipStream_tbEUlT_E_NS1_11comp_targetILNS1_3genE4ELNS1_11target_archE910ELNS1_3gpuE8ELNS1_3repE0EEENS1_30default_config_static_selectorELNS0_4arch9wavefront6targetE1EEEvT1_.num_vgpr, 0
	.set _ZN7rocprim17ROCPRIM_400000_NS6detail17trampoline_kernelINS0_14default_configENS1_25transform_config_selectorIaLb1EEEZNS1_14transform_implILb1ES3_S5_PaS7_NS0_8identityIaEEEE10hipError_tT2_T3_mT4_P12ihipStream_tbEUlT_E_NS1_11comp_targetILNS1_3genE4ELNS1_11target_archE910ELNS1_3gpuE8ELNS1_3repE0EEENS1_30default_config_static_selectorELNS0_4arch9wavefront6targetE1EEEvT1_.num_agpr, 0
	.set _ZN7rocprim17ROCPRIM_400000_NS6detail17trampoline_kernelINS0_14default_configENS1_25transform_config_selectorIaLb1EEEZNS1_14transform_implILb1ES3_S5_PaS7_NS0_8identityIaEEEE10hipError_tT2_T3_mT4_P12ihipStream_tbEUlT_E_NS1_11comp_targetILNS1_3genE4ELNS1_11target_archE910ELNS1_3gpuE8ELNS1_3repE0EEENS1_30default_config_static_selectorELNS0_4arch9wavefront6targetE1EEEvT1_.numbered_sgpr, 0
	.set _ZN7rocprim17ROCPRIM_400000_NS6detail17trampoline_kernelINS0_14default_configENS1_25transform_config_selectorIaLb1EEEZNS1_14transform_implILb1ES3_S5_PaS7_NS0_8identityIaEEEE10hipError_tT2_T3_mT4_P12ihipStream_tbEUlT_E_NS1_11comp_targetILNS1_3genE4ELNS1_11target_archE910ELNS1_3gpuE8ELNS1_3repE0EEENS1_30default_config_static_selectorELNS0_4arch9wavefront6targetE1EEEvT1_.num_named_barrier, 0
	.set _ZN7rocprim17ROCPRIM_400000_NS6detail17trampoline_kernelINS0_14default_configENS1_25transform_config_selectorIaLb1EEEZNS1_14transform_implILb1ES3_S5_PaS7_NS0_8identityIaEEEE10hipError_tT2_T3_mT4_P12ihipStream_tbEUlT_E_NS1_11comp_targetILNS1_3genE4ELNS1_11target_archE910ELNS1_3gpuE8ELNS1_3repE0EEENS1_30default_config_static_selectorELNS0_4arch9wavefront6targetE1EEEvT1_.private_seg_size, 0
	.set _ZN7rocprim17ROCPRIM_400000_NS6detail17trampoline_kernelINS0_14default_configENS1_25transform_config_selectorIaLb1EEEZNS1_14transform_implILb1ES3_S5_PaS7_NS0_8identityIaEEEE10hipError_tT2_T3_mT4_P12ihipStream_tbEUlT_E_NS1_11comp_targetILNS1_3genE4ELNS1_11target_archE910ELNS1_3gpuE8ELNS1_3repE0EEENS1_30default_config_static_selectorELNS0_4arch9wavefront6targetE1EEEvT1_.uses_vcc, 0
	.set _ZN7rocprim17ROCPRIM_400000_NS6detail17trampoline_kernelINS0_14default_configENS1_25transform_config_selectorIaLb1EEEZNS1_14transform_implILb1ES3_S5_PaS7_NS0_8identityIaEEEE10hipError_tT2_T3_mT4_P12ihipStream_tbEUlT_E_NS1_11comp_targetILNS1_3genE4ELNS1_11target_archE910ELNS1_3gpuE8ELNS1_3repE0EEENS1_30default_config_static_selectorELNS0_4arch9wavefront6targetE1EEEvT1_.uses_flat_scratch, 0
	.set _ZN7rocprim17ROCPRIM_400000_NS6detail17trampoline_kernelINS0_14default_configENS1_25transform_config_selectorIaLb1EEEZNS1_14transform_implILb1ES3_S5_PaS7_NS0_8identityIaEEEE10hipError_tT2_T3_mT4_P12ihipStream_tbEUlT_E_NS1_11comp_targetILNS1_3genE4ELNS1_11target_archE910ELNS1_3gpuE8ELNS1_3repE0EEENS1_30default_config_static_selectorELNS0_4arch9wavefront6targetE1EEEvT1_.has_dyn_sized_stack, 0
	.set _ZN7rocprim17ROCPRIM_400000_NS6detail17trampoline_kernelINS0_14default_configENS1_25transform_config_selectorIaLb1EEEZNS1_14transform_implILb1ES3_S5_PaS7_NS0_8identityIaEEEE10hipError_tT2_T3_mT4_P12ihipStream_tbEUlT_E_NS1_11comp_targetILNS1_3genE4ELNS1_11target_archE910ELNS1_3gpuE8ELNS1_3repE0EEENS1_30default_config_static_selectorELNS0_4arch9wavefront6targetE1EEEvT1_.has_recursion, 0
	.set _ZN7rocprim17ROCPRIM_400000_NS6detail17trampoline_kernelINS0_14default_configENS1_25transform_config_selectorIaLb1EEEZNS1_14transform_implILb1ES3_S5_PaS7_NS0_8identityIaEEEE10hipError_tT2_T3_mT4_P12ihipStream_tbEUlT_E_NS1_11comp_targetILNS1_3genE4ELNS1_11target_archE910ELNS1_3gpuE8ELNS1_3repE0EEENS1_30default_config_static_selectorELNS0_4arch9wavefront6targetE1EEEvT1_.has_indirect_call, 0
	.section	.AMDGPU.csdata,"",@progbits
; Kernel info:
; codeLenInByte = 0
; TotalNumSgprs: 4
; NumVgprs: 0
; ScratchSize: 0
; MemoryBound: 0
; FloatMode: 240
; IeeeMode: 1
; LDSByteSize: 0 bytes/workgroup (compile time only)
; SGPRBlocks: 0
; VGPRBlocks: 0
; NumSGPRsForWavesPerEU: 4
; NumVGPRsForWavesPerEU: 1
; Occupancy: 10
; WaveLimiterHint : 0
; COMPUTE_PGM_RSRC2:SCRATCH_EN: 0
; COMPUTE_PGM_RSRC2:USER_SGPR: 6
; COMPUTE_PGM_RSRC2:TRAP_HANDLER: 0
; COMPUTE_PGM_RSRC2:TGID_X_EN: 1
; COMPUTE_PGM_RSRC2:TGID_Y_EN: 0
; COMPUTE_PGM_RSRC2:TGID_Z_EN: 0
; COMPUTE_PGM_RSRC2:TIDIG_COMP_CNT: 0
	.section	.text._ZN7rocprim17ROCPRIM_400000_NS6detail17trampoline_kernelINS0_14default_configENS1_25transform_config_selectorIaLb1EEEZNS1_14transform_implILb1ES3_S5_PaS7_NS0_8identityIaEEEE10hipError_tT2_T3_mT4_P12ihipStream_tbEUlT_E_NS1_11comp_targetILNS1_3genE3ELNS1_11target_archE908ELNS1_3gpuE7ELNS1_3repE0EEENS1_30default_config_static_selectorELNS0_4arch9wavefront6targetE1EEEvT1_,"axG",@progbits,_ZN7rocprim17ROCPRIM_400000_NS6detail17trampoline_kernelINS0_14default_configENS1_25transform_config_selectorIaLb1EEEZNS1_14transform_implILb1ES3_S5_PaS7_NS0_8identityIaEEEE10hipError_tT2_T3_mT4_P12ihipStream_tbEUlT_E_NS1_11comp_targetILNS1_3genE3ELNS1_11target_archE908ELNS1_3gpuE7ELNS1_3repE0EEENS1_30default_config_static_selectorELNS0_4arch9wavefront6targetE1EEEvT1_,comdat
	.protected	_ZN7rocprim17ROCPRIM_400000_NS6detail17trampoline_kernelINS0_14default_configENS1_25transform_config_selectorIaLb1EEEZNS1_14transform_implILb1ES3_S5_PaS7_NS0_8identityIaEEEE10hipError_tT2_T3_mT4_P12ihipStream_tbEUlT_E_NS1_11comp_targetILNS1_3genE3ELNS1_11target_archE908ELNS1_3gpuE7ELNS1_3repE0EEENS1_30default_config_static_selectorELNS0_4arch9wavefront6targetE1EEEvT1_ ; -- Begin function _ZN7rocprim17ROCPRIM_400000_NS6detail17trampoline_kernelINS0_14default_configENS1_25transform_config_selectorIaLb1EEEZNS1_14transform_implILb1ES3_S5_PaS7_NS0_8identityIaEEEE10hipError_tT2_T3_mT4_P12ihipStream_tbEUlT_E_NS1_11comp_targetILNS1_3genE3ELNS1_11target_archE908ELNS1_3gpuE7ELNS1_3repE0EEENS1_30default_config_static_selectorELNS0_4arch9wavefront6targetE1EEEvT1_
	.globl	_ZN7rocprim17ROCPRIM_400000_NS6detail17trampoline_kernelINS0_14default_configENS1_25transform_config_selectorIaLb1EEEZNS1_14transform_implILb1ES3_S5_PaS7_NS0_8identityIaEEEE10hipError_tT2_T3_mT4_P12ihipStream_tbEUlT_E_NS1_11comp_targetILNS1_3genE3ELNS1_11target_archE908ELNS1_3gpuE7ELNS1_3repE0EEENS1_30default_config_static_selectorELNS0_4arch9wavefront6targetE1EEEvT1_
	.p2align	8
	.type	_ZN7rocprim17ROCPRIM_400000_NS6detail17trampoline_kernelINS0_14default_configENS1_25transform_config_selectorIaLb1EEEZNS1_14transform_implILb1ES3_S5_PaS7_NS0_8identityIaEEEE10hipError_tT2_T3_mT4_P12ihipStream_tbEUlT_E_NS1_11comp_targetILNS1_3genE3ELNS1_11target_archE908ELNS1_3gpuE7ELNS1_3repE0EEENS1_30default_config_static_selectorELNS0_4arch9wavefront6targetE1EEEvT1_,@function
_ZN7rocprim17ROCPRIM_400000_NS6detail17trampoline_kernelINS0_14default_configENS1_25transform_config_selectorIaLb1EEEZNS1_14transform_implILb1ES3_S5_PaS7_NS0_8identityIaEEEE10hipError_tT2_T3_mT4_P12ihipStream_tbEUlT_E_NS1_11comp_targetILNS1_3genE3ELNS1_11target_archE908ELNS1_3gpuE7ELNS1_3repE0EEENS1_30default_config_static_selectorELNS0_4arch9wavefront6targetE1EEEvT1_: ; @_ZN7rocprim17ROCPRIM_400000_NS6detail17trampoline_kernelINS0_14default_configENS1_25transform_config_selectorIaLb1EEEZNS1_14transform_implILb1ES3_S5_PaS7_NS0_8identityIaEEEE10hipError_tT2_T3_mT4_P12ihipStream_tbEUlT_E_NS1_11comp_targetILNS1_3genE3ELNS1_11target_archE908ELNS1_3gpuE7ELNS1_3repE0EEENS1_30default_config_static_selectorELNS0_4arch9wavefront6targetE1EEEvT1_
; %bb.0:
	.section	.rodata,"a",@progbits
	.p2align	6, 0x0
	.amdhsa_kernel _ZN7rocprim17ROCPRIM_400000_NS6detail17trampoline_kernelINS0_14default_configENS1_25transform_config_selectorIaLb1EEEZNS1_14transform_implILb1ES3_S5_PaS7_NS0_8identityIaEEEE10hipError_tT2_T3_mT4_P12ihipStream_tbEUlT_E_NS1_11comp_targetILNS1_3genE3ELNS1_11target_archE908ELNS1_3gpuE7ELNS1_3repE0EEENS1_30default_config_static_selectorELNS0_4arch9wavefront6targetE1EEEvT1_
		.amdhsa_group_segment_fixed_size 0
		.amdhsa_private_segment_fixed_size 0
		.amdhsa_kernarg_size 40
		.amdhsa_user_sgpr_count 6
		.amdhsa_user_sgpr_private_segment_buffer 1
		.amdhsa_user_sgpr_dispatch_ptr 0
		.amdhsa_user_sgpr_queue_ptr 0
		.amdhsa_user_sgpr_kernarg_segment_ptr 1
		.amdhsa_user_sgpr_dispatch_id 0
		.amdhsa_user_sgpr_flat_scratch_init 0
		.amdhsa_user_sgpr_private_segment_size 0
		.amdhsa_uses_dynamic_stack 0
		.amdhsa_system_sgpr_private_segment_wavefront_offset 0
		.amdhsa_system_sgpr_workgroup_id_x 1
		.amdhsa_system_sgpr_workgroup_id_y 0
		.amdhsa_system_sgpr_workgroup_id_z 0
		.amdhsa_system_sgpr_workgroup_info 0
		.amdhsa_system_vgpr_workitem_id 0
		.amdhsa_next_free_vgpr 1
		.amdhsa_next_free_sgpr 0
		.amdhsa_reserve_vcc 0
		.amdhsa_reserve_flat_scratch 0
		.amdhsa_float_round_mode_32 0
		.amdhsa_float_round_mode_16_64 0
		.amdhsa_float_denorm_mode_32 3
		.amdhsa_float_denorm_mode_16_64 3
		.amdhsa_dx10_clamp 1
		.amdhsa_ieee_mode 1
		.amdhsa_fp16_overflow 0
		.amdhsa_exception_fp_ieee_invalid_op 0
		.amdhsa_exception_fp_denorm_src 0
		.amdhsa_exception_fp_ieee_div_zero 0
		.amdhsa_exception_fp_ieee_overflow 0
		.amdhsa_exception_fp_ieee_underflow 0
		.amdhsa_exception_fp_ieee_inexact 0
		.amdhsa_exception_int_div_zero 0
	.end_amdhsa_kernel
	.section	.text._ZN7rocprim17ROCPRIM_400000_NS6detail17trampoline_kernelINS0_14default_configENS1_25transform_config_selectorIaLb1EEEZNS1_14transform_implILb1ES3_S5_PaS7_NS0_8identityIaEEEE10hipError_tT2_T3_mT4_P12ihipStream_tbEUlT_E_NS1_11comp_targetILNS1_3genE3ELNS1_11target_archE908ELNS1_3gpuE7ELNS1_3repE0EEENS1_30default_config_static_selectorELNS0_4arch9wavefront6targetE1EEEvT1_,"axG",@progbits,_ZN7rocprim17ROCPRIM_400000_NS6detail17trampoline_kernelINS0_14default_configENS1_25transform_config_selectorIaLb1EEEZNS1_14transform_implILb1ES3_S5_PaS7_NS0_8identityIaEEEE10hipError_tT2_T3_mT4_P12ihipStream_tbEUlT_E_NS1_11comp_targetILNS1_3genE3ELNS1_11target_archE908ELNS1_3gpuE7ELNS1_3repE0EEENS1_30default_config_static_selectorELNS0_4arch9wavefront6targetE1EEEvT1_,comdat
.Lfunc_end530:
	.size	_ZN7rocprim17ROCPRIM_400000_NS6detail17trampoline_kernelINS0_14default_configENS1_25transform_config_selectorIaLb1EEEZNS1_14transform_implILb1ES3_S5_PaS7_NS0_8identityIaEEEE10hipError_tT2_T3_mT4_P12ihipStream_tbEUlT_E_NS1_11comp_targetILNS1_3genE3ELNS1_11target_archE908ELNS1_3gpuE7ELNS1_3repE0EEENS1_30default_config_static_selectorELNS0_4arch9wavefront6targetE1EEEvT1_, .Lfunc_end530-_ZN7rocprim17ROCPRIM_400000_NS6detail17trampoline_kernelINS0_14default_configENS1_25transform_config_selectorIaLb1EEEZNS1_14transform_implILb1ES3_S5_PaS7_NS0_8identityIaEEEE10hipError_tT2_T3_mT4_P12ihipStream_tbEUlT_E_NS1_11comp_targetILNS1_3genE3ELNS1_11target_archE908ELNS1_3gpuE7ELNS1_3repE0EEENS1_30default_config_static_selectorELNS0_4arch9wavefront6targetE1EEEvT1_
                                        ; -- End function
	.set _ZN7rocprim17ROCPRIM_400000_NS6detail17trampoline_kernelINS0_14default_configENS1_25transform_config_selectorIaLb1EEEZNS1_14transform_implILb1ES3_S5_PaS7_NS0_8identityIaEEEE10hipError_tT2_T3_mT4_P12ihipStream_tbEUlT_E_NS1_11comp_targetILNS1_3genE3ELNS1_11target_archE908ELNS1_3gpuE7ELNS1_3repE0EEENS1_30default_config_static_selectorELNS0_4arch9wavefront6targetE1EEEvT1_.num_vgpr, 0
	.set _ZN7rocprim17ROCPRIM_400000_NS6detail17trampoline_kernelINS0_14default_configENS1_25transform_config_selectorIaLb1EEEZNS1_14transform_implILb1ES3_S5_PaS7_NS0_8identityIaEEEE10hipError_tT2_T3_mT4_P12ihipStream_tbEUlT_E_NS1_11comp_targetILNS1_3genE3ELNS1_11target_archE908ELNS1_3gpuE7ELNS1_3repE0EEENS1_30default_config_static_selectorELNS0_4arch9wavefront6targetE1EEEvT1_.num_agpr, 0
	.set _ZN7rocprim17ROCPRIM_400000_NS6detail17trampoline_kernelINS0_14default_configENS1_25transform_config_selectorIaLb1EEEZNS1_14transform_implILb1ES3_S5_PaS7_NS0_8identityIaEEEE10hipError_tT2_T3_mT4_P12ihipStream_tbEUlT_E_NS1_11comp_targetILNS1_3genE3ELNS1_11target_archE908ELNS1_3gpuE7ELNS1_3repE0EEENS1_30default_config_static_selectorELNS0_4arch9wavefront6targetE1EEEvT1_.numbered_sgpr, 0
	.set _ZN7rocprim17ROCPRIM_400000_NS6detail17trampoline_kernelINS0_14default_configENS1_25transform_config_selectorIaLb1EEEZNS1_14transform_implILb1ES3_S5_PaS7_NS0_8identityIaEEEE10hipError_tT2_T3_mT4_P12ihipStream_tbEUlT_E_NS1_11comp_targetILNS1_3genE3ELNS1_11target_archE908ELNS1_3gpuE7ELNS1_3repE0EEENS1_30default_config_static_selectorELNS0_4arch9wavefront6targetE1EEEvT1_.num_named_barrier, 0
	.set _ZN7rocprim17ROCPRIM_400000_NS6detail17trampoline_kernelINS0_14default_configENS1_25transform_config_selectorIaLb1EEEZNS1_14transform_implILb1ES3_S5_PaS7_NS0_8identityIaEEEE10hipError_tT2_T3_mT4_P12ihipStream_tbEUlT_E_NS1_11comp_targetILNS1_3genE3ELNS1_11target_archE908ELNS1_3gpuE7ELNS1_3repE0EEENS1_30default_config_static_selectorELNS0_4arch9wavefront6targetE1EEEvT1_.private_seg_size, 0
	.set _ZN7rocprim17ROCPRIM_400000_NS6detail17trampoline_kernelINS0_14default_configENS1_25transform_config_selectorIaLb1EEEZNS1_14transform_implILb1ES3_S5_PaS7_NS0_8identityIaEEEE10hipError_tT2_T3_mT4_P12ihipStream_tbEUlT_E_NS1_11comp_targetILNS1_3genE3ELNS1_11target_archE908ELNS1_3gpuE7ELNS1_3repE0EEENS1_30default_config_static_selectorELNS0_4arch9wavefront6targetE1EEEvT1_.uses_vcc, 0
	.set _ZN7rocprim17ROCPRIM_400000_NS6detail17trampoline_kernelINS0_14default_configENS1_25transform_config_selectorIaLb1EEEZNS1_14transform_implILb1ES3_S5_PaS7_NS0_8identityIaEEEE10hipError_tT2_T3_mT4_P12ihipStream_tbEUlT_E_NS1_11comp_targetILNS1_3genE3ELNS1_11target_archE908ELNS1_3gpuE7ELNS1_3repE0EEENS1_30default_config_static_selectorELNS0_4arch9wavefront6targetE1EEEvT1_.uses_flat_scratch, 0
	.set _ZN7rocprim17ROCPRIM_400000_NS6detail17trampoline_kernelINS0_14default_configENS1_25transform_config_selectorIaLb1EEEZNS1_14transform_implILb1ES3_S5_PaS7_NS0_8identityIaEEEE10hipError_tT2_T3_mT4_P12ihipStream_tbEUlT_E_NS1_11comp_targetILNS1_3genE3ELNS1_11target_archE908ELNS1_3gpuE7ELNS1_3repE0EEENS1_30default_config_static_selectorELNS0_4arch9wavefront6targetE1EEEvT1_.has_dyn_sized_stack, 0
	.set _ZN7rocprim17ROCPRIM_400000_NS6detail17trampoline_kernelINS0_14default_configENS1_25transform_config_selectorIaLb1EEEZNS1_14transform_implILb1ES3_S5_PaS7_NS0_8identityIaEEEE10hipError_tT2_T3_mT4_P12ihipStream_tbEUlT_E_NS1_11comp_targetILNS1_3genE3ELNS1_11target_archE908ELNS1_3gpuE7ELNS1_3repE0EEENS1_30default_config_static_selectorELNS0_4arch9wavefront6targetE1EEEvT1_.has_recursion, 0
	.set _ZN7rocprim17ROCPRIM_400000_NS6detail17trampoline_kernelINS0_14default_configENS1_25transform_config_selectorIaLb1EEEZNS1_14transform_implILb1ES3_S5_PaS7_NS0_8identityIaEEEE10hipError_tT2_T3_mT4_P12ihipStream_tbEUlT_E_NS1_11comp_targetILNS1_3genE3ELNS1_11target_archE908ELNS1_3gpuE7ELNS1_3repE0EEENS1_30default_config_static_selectorELNS0_4arch9wavefront6targetE1EEEvT1_.has_indirect_call, 0
	.section	.AMDGPU.csdata,"",@progbits
; Kernel info:
; codeLenInByte = 0
; TotalNumSgprs: 4
; NumVgprs: 0
; ScratchSize: 0
; MemoryBound: 0
; FloatMode: 240
; IeeeMode: 1
; LDSByteSize: 0 bytes/workgroup (compile time only)
; SGPRBlocks: 0
; VGPRBlocks: 0
; NumSGPRsForWavesPerEU: 4
; NumVGPRsForWavesPerEU: 1
; Occupancy: 10
; WaveLimiterHint : 0
; COMPUTE_PGM_RSRC2:SCRATCH_EN: 0
; COMPUTE_PGM_RSRC2:USER_SGPR: 6
; COMPUTE_PGM_RSRC2:TRAP_HANDLER: 0
; COMPUTE_PGM_RSRC2:TGID_X_EN: 1
; COMPUTE_PGM_RSRC2:TGID_Y_EN: 0
; COMPUTE_PGM_RSRC2:TGID_Z_EN: 0
; COMPUTE_PGM_RSRC2:TIDIG_COMP_CNT: 0
	.section	.text._ZN7rocprim17ROCPRIM_400000_NS6detail17trampoline_kernelINS0_14default_configENS1_25transform_config_selectorIaLb1EEEZNS1_14transform_implILb1ES3_S5_PaS7_NS0_8identityIaEEEE10hipError_tT2_T3_mT4_P12ihipStream_tbEUlT_E_NS1_11comp_targetILNS1_3genE2ELNS1_11target_archE906ELNS1_3gpuE6ELNS1_3repE0EEENS1_30default_config_static_selectorELNS0_4arch9wavefront6targetE1EEEvT1_,"axG",@progbits,_ZN7rocprim17ROCPRIM_400000_NS6detail17trampoline_kernelINS0_14default_configENS1_25transform_config_selectorIaLb1EEEZNS1_14transform_implILb1ES3_S5_PaS7_NS0_8identityIaEEEE10hipError_tT2_T3_mT4_P12ihipStream_tbEUlT_E_NS1_11comp_targetILNS1_3genE2ELNS1_11target_archE906ELNS1_3gpuE6ELNS1_3repE0EEENS1_30default_config_static_selectorELNS0_4arch9wavefront6targetE1EEEvT1_,comdat
	.protected	_ZN7rocprim17ROCPRIM_400000_NS6detail17trampoline_kernelINS0_14default_configENS1_25transform_config_selectorIaLb1EEEZNS1_14transform_implILb1ES3_S5_PaS7_NS0_8identityIaEEEE10hipError_tT2_T3_mT4_P12ihipStream_tbEUlT_E_NS1_11comp_targetILNS1_3genE2ELNS1_11target_archE906ELNS1_3gpuE6ELNS1_3repE0EEENS1_30default_config_static_selectorELNS0_4arch9wavefront6targetE1EEEvT1_ ; -- Begin function _ZN7rocprim17ROCPRIM_400000_NS6detail17trampoline_kernelINS0_14default_configENS1_25transform_config_selectorIaLb1EEEZNS1_14transform_implILb1ES3_S5_PaS7_NS0_8identityIaEEEE10hipError_tT2_T3_mT4_P12ihipStream_tbEUlT_E_NS1_11comp_targetILNS1_3genE2ELNS1_11target_archE906ELNS1_3gpuE6ELNS1_3repE0EEENS1_30default_config_static_selectorELNS0_4arch9wavefront6targetE1EEEvT1_
	.globl	_ZN7rocprim17ROCPRIM_400000_NS6detail17trampoline_kernelINS0_14default_configENS1_25transform_config_selectorIaLb1EEEZNS1_14transform_implILb1ES3_S5_PaS7_NS0_8identityIaEEEE10hipError_tT2_T3_mT4_P12ihipStream_tbEUlT_E_NS1_11comp_targetILNS1_3genE2ELNS1_11target_archE906ELNS1_3gpuE6ELNS1_3repE0EEENS1_30default_config_static_selectorELNS0_4arch9wavefront6targetE1EEEvT1_
	.p2align	8
	.type	_ZN7rocprim17ROCPRIM_400000_NS6detail17trampoline_kernelINS0_14default_configENS1_25transform_config_selectorIaLb1EEEZNS1_14transform_implILb1ES3_S5_PaS7_NS0_8identityIaEEEE10hipError_tT2_T3_mT4_P12ihipStream_tbEUlT_E_NS1_11comp_targetILNS1_3genE2ELNS1_11target_archE906ELNS1_3gpuE6ELNS1_3repE0EEENS1_30default_config_static_selectorELNS0_4arch9wavefront6targetE1EEEvT1_,@function
_ZN7rocprim17ROCPRIM_400000_NS6detail17trampoline_kernelINS0_14default_configENS1_25transform_config_selectorIaLb1EEEZNS1_14transform_implILb1ES3_S5_PaS7_NS0_8identityIaEEEE10hipError_tT2_T3_mT4_P12ihipStream_tbEUlT_E_NS1_11comp_targetILNS1_3genE2ELNS1_11target_archE906ELNS1_3gpuE6ELNS1_3repE0EEENS1_30default_config_static_selectorELNS0_4arch9wavefront6targetE1EEEvT1_: ; @_ZN7rocprim17ROCPRIM_400000_NS6detail17trampoline_kernelINS0_14default_configENS1_25transform_config_selectorIaLb1EEEZNS1_14transform_implILb1ES3_S5_PaS7_NS0_8identityIaEEEE10hipError_tT2_T3_mT4_P12ihipStream_tbEUlT_E_NS1_11comp_targetILNS1_3genE2ELNS1_11target_archE906ELNS1_3gpuE6ELNS1_3repE0EEENS1_30default_config_static_selectorELNS0_4arch9wavefront6targetE1EEEvT1_
; %bb.0:
	s_load_dwordx8 s[8:15], s[4:5], 0x0
	s_load_dword s0, s[4:5], 0x28
	s_waitcnt lgkmcnt(0)
	s_add_u32 s1, s8, s10
	s_addc_u32 s2, s9, s11
	s_add_u32 s20, s14, s10
	s_addc_u32 s21, s15, s11
	s_lshl_b32 s22, s6, 12
	s_add_i32 s0, s0, -1
	s_add_u32 s16, s1, s22
	s_addc_u32 s17, s2, 0
	s_cmp_lg_u32 s6, s0
	s_mov_b64 s[0:1], -1
	s_cbranch_scc0 .LBB531_2
; %bb.1:
	v_lshlrev_b32_e32 v3, 3, v0
	global_load_dwordx2 v[1:2], v3, s[16:17] glc slc
	s_add_u32 s0, s20, s22
	s_addc_u32 s1, s21, 0
	s_waitcnt vmcnt(0)
	global_store_dwordx2 v3, v[1:2], s[0:1]
	s_mov_b64 s[0:1], 0
.LBB531_2:
	s_andn2_b64 vcc, exec, s[0:1]
	s_cbranch_vccnz .LBB531_33
; %bb.3:
	s_sub_i32 s14, s12, s22
	v_cmp_gt_u32_e32 vcc, s14, v0
	v_mov_b32_e32 v9, 0
	v_mov_b32_e32 v10, 0
	;; [unrolled: 1-line block ×7, first 2 shown]
	s_and_saveexec_b64 s[0:1], vcc
	s_cbranch_execz .LBB531_5
; %bb.4:
	global_load_ubyte v10, v0, s[16:17]
	v_mov_b32_e32 v11, 0
	v_mov_b32_e32 v5, 0
	;; [unrolled: 1-line block ×5, first 2 shown]
.LBB531_5:
	s_or_b64 exec, exec, s[0:1]
	v_or_b32_e32 v1, 0x200, v0
	v_cmp_gt_u32_e64 s[0:1], s14, v1
	v_mov_b32_e32 v12, v9
	s_and_saveexec_b64 s[2:3], s[0:1]
	s_cbranch_execz .LBB531_7
; %bb.6:
	global_load_ubyte v12, v0, s[16:17] offset:512
.LBB531_7:
	s_or_b64 exec, exec, s[2:3]
	v_or_b32_e32 v1, 0x400, v0
	v_cmp_gt_u32_e64 s[2:3], s14, v1
	s_and_saveexec_b64 s[4:5], s[2:3]
	s_cbranch_execz .LBB531_9
; %bb.8:
	global_load_ubyte v9, v0, s[16:17] offset:1024
.LBB531_9:
	s_or_b64 exec, exec, s[4:5]
	v_or_b32_e32 v1, 0x600, v0
	v_cmp_gt_u32_e64 s[4:5], s14, v1
	;; [unrolled: 8-line block ×6, first 2 shown]
	v_cmp_le_u32_e64 s[14:15], s14, v1
	v_mov_b32_e32 v1, 0
	s_and_saveexec_b64 s[18:19], s[14:15]
	s_xor_b64 s[14:15], exec, s[18:19]
	s_andn2_saveexec_b64 s[18:19], s[14:15]
	s_cbranch_execz .LBB531_19
; %bb.18:
	v_mov_b32_e32 v3, s17
	v_add_co_u32_e64 v2, s[14:15], s16, v0
	v_addc_co_u32_e64 v3, s[14:15], 0, v3, s[14:15]
	global_load_ubyte v8, v[2:3], off offset:3584
.LBB531_19:
	s_or_b64 exec, exec, s[18:19]
	s_mov_b32 s14, 0xffff
	s_waitcnt vmcnt(0)
	v_and_b32_sdwa v2, s14, v10 dst_sel:DWORD dst_unused:UNUSED_PAD src0_sel:DWORD src1_sel:BYTE_0
	s_add_u32 s14, s20, s22
	s_addc_u32 s15, s21, 0
	v_mov_b32_e32 v4, s15
	v_add_co_u32_e64 v0, s[14:15], s14, v0
	v_mov_b32_e32 v3, 0
	v_cndmask_b32_e32 v2, 0, v2, vcc
	v_addc_co_u32_e64 v1, s[14:15], v4, v1, s[14:15]
	s_and_saveexec_b64 s[14:15], vcc
	s_cbranch_execz .LBB531_21
; %bb.20:
	global_store_byte v[0:1], v2, off
.LBB531_21:
	s_or_b64 exec, exec, s[14:15]
	s_mov_b32 s14, 0xc0c0004
	v_perm_b32 v4, v10, v12, s14
	v_perm_b32 v13, v9, v11, s14
	v_lshl_or_b32 v13, v13, 16, v4
	v_cndmask_b32_e64 v14, v2, v13, s[0:1]
	s_and_saveexec_b64 s[14:15], s[0:1]
	s_cbranch_execz .LBB531_23
; %bb.22:
	v_lshrrev_b32_e32 v4, 8, v14
	global_store_byte v[0:1], v4, off offset:512
.LBB531_23:
	s_or_b64 exec, exec, s[14:15]
	v_and_b32_e32 v4, 0xffffff00, v14
	v_or_b32_e32 v15, v2, v4
	v_lshrrev_b64 v[3:4], 24, v[2:3]
	s_mov_b64 vcc, s[2:3]
	v_mov_b32_e32 v4, 8
	v_lshrrev_b32_sdwa v4, v4, v14 dst_sel:BYTE_1 dst_unused:UNUSED_PAD src0_sel:DWORD src1_sel:DWORD
	v_cndmask_b32_sdwa v13, v15, v13, vcc dst_sel:DWORD dst_unused:UNUSED_PAD src0_sel:WORD_0 src1_sel:DWORD
	s_and_saveexec_b64 s[0:1], s[2:3]
	s_cbranch_execz .LBB531_25
; %bb.24:
	global_store_byte_d16_hi v[0:1], v13, off offset:1024
.LBB531_25:
	s_or_b64 exec, exec, s[0:1]
	s_mov_b32 s0, 0xc0c0006
	v_or_b32_e32 v2, v2, v4
	v_perm_b32 v3, v13, v3, s0
	v_and_b32_e32 v2, 0xffff, v2
	s_mov_b32 s0, 0xc0c0004
	v_lshl_or_b32 v2, v3, 16, v2
	v_perm_b32 v3, v10, v12, s0
	v_perm_b32 v4, v9, v11, s0
	v_lshl_or_b32 v3, v4, 16, v3
	v_cndmask_b32_e64 v3, v2, v3, s[4:5]
	v_perm_b32 v2, v5, v6, s0
	v_perm_b32 v4, v7, v8, s0
	v_lshl_or_b32 v2, v4, 16, v2
	s_and_saveexec_b64 s[0:1], s[4:5]
	s_cbranch_execz .LBB531_27
; %bb.26:
	v_lshrrev_b32_e32 v3, 24, v3
	global_store_byte v[0:1], v3, off offset:1536
.LBB531_27:
	s_or_b64 exec, exec, s[0:1]
	v_cndmask_b32_e64 v2, 0, v2, s[6:7]
	s_and_saveexec_b64 s[0:1], s[6:7]
	s_cbranch_execz .LBB531_29
; %bb.28:
	global_store_byte v[0:1], v2, off offset:2048
.LBB531_29:
	s_or_b64 exec, exec, s[0:1]
	s_mov_b32 s0, 0xc0c0004
	v_perm_b32 v3, v5, v6, s0
	v_perm_b32 v4, v7, v8, s0
	v_lshl_or_b32 v3, v4, 16, v3
	s_mov_b64 vcc, s[8:9]
	v_cndmask_b32_sdwa v3, v2, v3, vcc dst_sel:DWORD dst_unused:UNUSED_PAD src0_sel:BYTE_0 src1_sel:DWORD
	v_lshrrev_b32_e32 v3, 8, v3
	s_and_saveexec_b64 s[0:1], s[8:9]
	s_cbranch_execnz .LBB531_34
; %bb.30:
	s_or_b64 exec, exec, s[0:1]
	s_and_saveexec_b64 s[0:1], s[10:11]
	s_cbranch_execnz .LBB531_35
.LBB531_31:
	s_or_b64 exec, exec, s[0:1]
	s_and_saveexec_b64 s[0:1], s[12:13]
	s_cbranch_execz .LBB531_33
.LBB531_32:
	s_mov_b32 s0, 0xc0c0004
	v_perm_b32 v4, v5, v6, s0
	v_perm_b32 v5, v7, v8, s0
	v_lshl_or_b32 v4, v5, 16, v4
	v_perm_b32 v2, v2, v3, s0
	v_cndmask_b32_e64 v2, v2, v4, s[12:13]
	v_lshrrev_b32_e32 v2, 24, v2
	global_store_byte v[0:1], v2, off offset:3584
.LBB531_33:
	s_endpgm
.LBB531_34:
	global_store_byte v[0:1], v3, off offset:2560
	s_or_b64 exec, exec, s[0:1]
	s_and_saveexec_b64 s[0:1], s[10:11]
	s_cbranch_execz .LBB531_31
.LBB531_35:
	s_mov_b32 s2, 0xc0c0004
	v_perm_b32 v4, v5, v6, s2
	v_perm_b32 v9, v7, v8, s2
	v_lshl_or_b32 v4, v9, 16, v4
	v_perm_b32 v9, v2, v3, s2
	v_cndmask_b32_e64 v4, v9, v4, s[10:11]
	global_store_byte_d16_hi v[0:1], v4, off offset:3072
	s_or_b64 exec, exec, s[0:1]
	s_and_saveexec_b64 s[0:1], s[12:13]
	s_cbranch_execnz .LBB531_32
	s_branch .LBB531_33
	.section	.rodata,"a",@progbits
	.p2align	6, 0x0
	.amdhsa_kernel _ZN7rocprim17ROCPRIM_400000_NS6detail17trampoline_kernelINS0_14default_configENS1_25transform_config_selectorIaLb1EEEZNS1_14transform_implILb1ES3_S5_PaS7_NS0_8identityIaEEEE10hipError_tT2_T3_mT4_P12ihipStream_tbEUlT_E_NS1_11comp_targetILNS1_3genE2ELNS1_11target_archE906ELNS1_3gpuE6ELNS1_3repE0EEENS1_30default_config_static_selectorELNS0_4arch9wavefront6targetE1EEEvT1_
		.amdhsa_group_segment_fixed_size 0
		.amdhsa_private_segment_fixed_size 0
		.amdhsa_kernarg_size 296
		.amdhsa_user_sgpr_count 6
		.amdhsa_user_sgpr_private_segment_buffer 1
		.amdhsa_user_sgpr_dispatch_ptr 0
		.amdhsa_user_sgpr_queue_ptr 0
		.amdhsa_user_sgpr_kernarg_segment_ptr 1
		.amdhsa_user_sgpr_dispatch_id 0
		.amdhsa_user_sgpr_flat_scratch_init 0
		.amdhsa_user_sgpr_private_segment_size 0
		.amdhsa_uses_dynamic_stack 0
		.amdhsa_system_sgpr_private_segment_wavefront_offset 0
		.amdhsa_system_sgpr_workgroup_id_x 1
		.amdhsa_system_sgpr_workgroup_id_y 0
		.amdhsa_system_sgpr_workgroup_id_z 0
		.amdhsa_system_sgpr_workgroup_info 0
		.amdhsa_system_vgpr_workitem_id 0
		.amdhsa_next_free_vgpr 16
		.amdhsa_next_free_sgpr 23
		.amdhsa_reserve_vcc 1
		.amdhsa_reserve_flat_scratch 0
		.amdhsa_float_round_mode_32 0
		.amdhsa_float_round_mode_16_64 0
		.amdhsa_float_denorm_mode_32 3
		.amdhsa_float_denorm_mode_16_64 3
		.amdhsa_dx10_clamp 1
		.amdhsa_ieee_mode 1
		.amdhsa_fp16_overflow 0
		.amdhsa_exception_fp_ieee_invalid_op 0
		.amdhsa_exception_fp_denorm_src 0
		.amdhsa_exception_fp_ieee_div_zero 0
		.amdhsa_exception_fp_ieee_overflow 0
		.amdhsa_exception_fp_ieee_underflow 0
		.amdhsa_exception_fp_ieee_inexact 0
		.amdhsa_exception_int_div_zero 0
	.end_amdhsa_kernel
	.section	.text._ZN7rocprim17ROCPRIM_400000_NS6detail17trampoline_kernelINS0_14default_configENS1_25transform_config_selectorIaLb1EEEZNS1_14transform_implILb1ES3_S5_PaS7_NS0_8identityIaEEEE10hipError_tT2_T3_mT4_P12ihipStream_tbEUlT_E_NS1_11comp_targetILNS1_3genE2ELNS1_11target_archE906ELNS1_3gpuE6ELNS1_3repE0EEENS1_30default_config_static_selectorELNS0_4arch9wavefront6targetE1EEEvT1_,"axG",@progbits,_ZN7rocprim17ROCPRIM_400000_NS6detail17trampoline_kernelINS0_14default_configENS1_25transform_config_selectorIaLb1EEEZNS1_14transform_implILb1ES3_S5_PaS7_NS0_8identityIaEEEE10hipError_tT2_T3_mT4_P12ihipStream_tbEUlT_E_NS1_11comp_targetILNS1_3genE2ELNS1_11target_archE906ELNS1_3gpuE6ELNS1_3repE0EEENS1_30default_config_static_selectorELNS0_4arch9wavefront6targetE1EEEvT1_,comdat
.Lfunc_end531:
	.size	_ZN7rocprim17ROCPRIM_400000_NS6detail17trampoline_kernelINS0_14default_configENS1_25transform_config_selectorIaLb1EEEZNS1_14transform_implILb1ES3_S5_PaS7_NS0_8identityIaEEEE10hipError_tT2_T3_mT4_P12ihipStream_tbEUlT_E_NS1_11comp_targetILNS1_3genE2ELNS1_11target_archE906ELNS1_3gpuE6ELNS1_3repE0EEENS1_30default_config_static_selectorELNS0_4arch9wavefront6targetE1EEEvT1_, .Lfunc_end531-_ZN7rocprim17ROCPRIM_400000_NS6detail17trampoline_kernelINS0_14default_configENS1_25transform_config_selectorIaLb1EEEZNS1_14transform_implILb1ES3_S5_PaS7_NS0_8identityIaEEEE10hipError_tT2_T3_mT4_P12ihipStream_tbEUlT_E_NS1_11comp_targetILNS1_3genE2ELNS1_11target_archE906ELNS1_3gpuE6ELNS1_3repE0EEENS1_30default_config_static_selectorELNS0_4arch9wavefront6targetE1EEEvT1_
                                        ; -- End function
	.set _ZN7rocprim17ROCPRIM_400000_NS6detail17trampoline_kernelINS0_14default_configENS1_25transform_config_selectorIaLb1EEEZNS1_14transform_implILb1ES3_S5_PaS7_NS0_8identityIaEEEE10hipError_tT2_T3_mT4_P12ihipStream_tbEUlT_E_NS1_11comp_targetILNS1_3genE2ELNS1_11target_archE906ELNS1_3gpuE6ELNS1_3repE0EEENS1_30default_config_static_selectorELNS0_4arch9wavefront6targetE1EEEvT1_.num_vgpr, 16
	.set _ZN7rocprim17ROCPRIM_400000_NS6detail17trampoline_kernelINS0_14default_configENS1_25transform_config_selectorIaLb1EEEZNS1_14transform_implILb1ES3_S5_PaS7_NS0_8identityIaEEEE10hipError_tT2_T3_mT4_P12ihipStream_tbEUlT_E_NS1_11comp_targetILNS1_3genE2ELNS1_11target_archE906ELNS1_3gpuE6ELNS1_3repE0EEENS1_30default_config_static_selectorELNS0_4arch9wavefront6targetE1EEEvT1_.num_agpr, 0
	.set _ZN7rocprim17ROCPRIM_400000_NS6detail17trampoline_kernelINS0_14default_configENS1_25transform_config_selectorIaLb1EEEZNS1_14transform_implILb1ES3_S5_PaS7_NS0_8identityIaEEEE10hipError_tT2_T3_mT4_P12ihipStream_tbEUlT_E_NS1_11comp_targetILNS1_3genE2ELNS1_11target_archE906ELNS1_3gpuE6ELNS1_3repE0EEENS1_30default_config_static_selectorELNS0_4arch9wavefront6targetE1EEEvT1_.numbered_sgpr, 23
	.set _ZN7rocprim17ROCPRIM_400000_NS6detail17trampoline_kernelINS0_14default_configENS1_25transform_config_selectorIaLb1EEEZNS1_14transform_implILb1ES3_S5_PaS7_NS0_8identityIaEEEE10hipError_tT2_T3_mT4_P12ihipStream_tbEUlT_E_NS1_11comp_targetILNS1_3genE2ELNS1_11target_archE906ELNS1_3gpuE6ELNS1_3repE0EEENS1_30default_config_static_selectorELNS0_4arch9wavefront6targetE1EEEvT1_.num_named_barrier, 0
	.set _ZN7rocprim17ROCPRIM_400000_NS6detail17trampoline_kernelINS0_14default_configENS1_25transform_config_selectorIaLb1EEEZNS1_14transform_implILb1ES3_S5_PaS7_NS0_8identityIaEEEE10hipError_tT2_T3_mT4_P12ihipStream_tbEUlT_E_NS1_11comp_targetILNS1_3genE2ELNS1_11target_archE906ELNS1_3gpuE6ELNS1_3repE0EEENS1_30default_config_static_selectorELNS0_4arch9wavefront6targetE1EEEvT1_.private_seg_size, 0
	.set _ZN7rocprim17ROCPRIM_400000_NS6detail17trampoline_kernelINS0_14default_configENS1_25transform_config_selectorIaLb1EEEZNS1_14transform_implILb1ES3_S5_PaS7_NS0_8identityIaEEEE10hipError_tT2_T3_mT4_P12ihipStream_tbEUlT_E_NS1_11comp_targetILNS1_3genE2ELNS1_11target_archE906ELNS1_3gpuE6ELNS1_3repE0EEENS1_30default_config_static_selectorELNS0_4arch9wavefront6targetE1EEEvT1_.uses_vcc, 1
	.set _ZN7rocprim17ROCPRIM_400000_NS6detail17trampoline_kernelINS0_14default_configENS1_25transform_config_selectorIaLb1EEEZNS1_14transform_implILb1ES3_S5_PaS7_NS0_8identityIaEEEE10hipError_tT2_T3_mT4_P12ihipStream_tbEUlT_E_NS1_11comp_targetILNS1_3genE2ELNS1_11target_archE906ELNS1_3gpuE6ELNS1_3repE0EEENS1_30default_config_static_selectorELNS0_4arch9wavefront6targetE1EEEvT1_.uses_flat_scratch, 0
	.set _ZN7rocprim17ROCPRIM_400000_NS6detail17trampoline_kernelINS0_14default_configENS1_25transform_config_selectorIaLb1EEEZNS1_14transform_implILb1ES3_S5_PaS7_NS0_8identityIaEEEE10hipError_tT2_T3_mT4_P12ihipStream_tbEUlT_E_NS1_11comp_targetILNS1_3genE2ELNS1_11target_archE906ELNS1_3gpuE6ELNS1_3repE0EEENS1_30default_config_static_selectorELNS0_4arch9wavefront6targetE1EEEvT1_.has_dyn_sized_stack, 0
	.set _ZN7rocprim17ROCPRIM_400000_NS6detail17trampoline_kernelINS0_14default_configENS1_25transform_config_selectorIaLb1EEEZNS1_14transform_implILb1ES3_S5_PaS7_NS0_8identityIaEEEE10hipError_tT2_T3_mT4_P12ihipStream_tbEUlT_E_NS1_11comp_targetILNS1_3genE2ELNS1_11target_archE906ELNS1_3gpuE6ELNS1_3repE0EEENS1_30default_config_static_selectorELNS0_4arch9wavefront6targetE1EEEvT1_.has_recursion, 0
	.set _ZN7rocprim17ROCPRIM_400000_NS6detail17trampoline_kernelINS0_14default_configENS1_25transform_config_selectorIaLb1EEEZNS1_14transform_implILb1ES3_S5_PaS7_NS0_8identityIaEEEE10hipError_tT2_T3_mT4_P12ihipStream_tbEUlT_E_NS1_11comp_targetILNS1_3genE2ELNS1_11target_archE906ELNS1_3gpuE6ELNS1_3repE0EEENS1_30default_config_static_selectorELNS0_4arch9wavefront6targetE1EEEvT1_.has_indirect_call, 0
	.section	.AMDGPU.csdata,"",@progbits
; Kernel info:
; codeLenInByte = 1072
; TotalNumSgprs: 27
; NumVgprs: 16
; ScratchSize: 0
; MemoryBound: 0
; FloatMode: 240
; IeeeMode: 1
; LDSByteSize: 0 bytes/workgroup (compile time only)
; SGPRBlocks: 3
; VGPRBlocks: 3
; NumSGPRsForWavesPerEU: 27
; NumVGPRsForWavesPerEU: 16
; Occupancy: 10
; WaveLimiterHint : 0
; COMPUTE_PGM_RSRC2:SCRATCH_EN: 0
; COMPUTE_PGM_RSRC2:USER_SGPR: 6
; COMPUTE_PGM_RSRC2:TRAP_HANDLER: 0
; COMPUTE_PGM_RSRC2:TGID_X_EN: 1
; COMPUTE_PGM_RSRC2:TGID_Y_EN: 0
; COMPUTE_PGM_RSRC2:TGID_Z_EN: 0
; COMPUTE_PGM_RSRC2:TIDIG_COMP_CNT: 0
	.section	.text._ZN7rocprim17ROCPRIM_400000_NS6detail17trampoline_kernelINS0_14default_configENS1_25transform_config_selectorIaLb1EEEZNS1_14transform_implILb1ES3_S5_PaS7_NS0_8identityIaEEEE10hipError_tT2_T3_mT4_P12ihipStream_tbEUlT_E_NS1_11comp_targetILNS1_3genE9ELNS1_11target_archE1100ELNS1_3gpuE3ELNS1_3repE0EEENS1_30default_config_static_selectorELNS0_4arch9wavefront6targetE1EEEvT1_,"axG",@progbits,_ZN7rocprim17ROCPRIM_400000_NS6detail17trampoline_kernelINS0_14default_configENS1_25transform_config_selectorIaLb1EEEZNS1_14transform_implILb1ES3_S5_PaS7_NS0_8identityIaEEEE10hipError_tT2_T3_mT4_P12ihipStream_tbEUlT_E_NS1_11comp_targetILNS1_3genE9ELNS1_11target_archE1100ELNS1_3gpuE3ELNS1_3repE0EEENS1_30default_config_static_selectorELNS0_4arch9wavefront6targetE1EEEvT1_,comdat
	.protected	_ZN7rocprim17ROCPRIM_400000_NS6detail17trampoline_kernelINS0_14default_configENS1_25transform_config_selectorIaLb1EEEZNS1_14transform_implILb1ES3_S5_PaS7_NS0_8identityIaEEEE10hipError_tT2_T3_mT4_P12ihipStream_tbEUlT_E_NS1_11comp_targetILNS1_3genE9ELNS1_11target_archE1100ELNS1_3gpuE3ELNS1_3repE0EEENS1_30default_config_static_selectorELNS0_4arch9wavefront6targetE1EEEvT1_ ; -- Begin function _ZN7rocprim17ROCPRIM_400000_NS6detail17trampoline_kernelINS0_14default_configENS1_25transform_config_selectorIaLb1EEEZNS1_14transform_implILb1ES3_S5_PaS7_NS0_8identityIaEEEE10hipError_tT2_T3_mT4_P12ihipStream_tbEUlT_E_NS1_11comp_targetILNS1_3genE9ELNS1_11target_archE1100ELNS1_3gpuE3ELNS1_3repE0EEENS1_30default_config_static_selectorELNS0_4arch9wavefront6targetE1EEEvT1_
	.globl	_ZN7rocprim17ROCPRIM_400000_NS6detail17trampoline_kernelINS0_14default_configENS1_25transform_config_selectorIaLb1EEEZNS1_14transform_implILb1ES3_S5_PaS7_NS0_8identityIaEEEE10hipError_tT2_T3_mT4_P12ihipStream_tbEUlT_E_NS1_11comp_targetILNS1_3genE9ELNS1_11target_archE1100ELNS1_3gpuE3ELNS1_3repE0EEENS1_30default_config_static_selectorELNS0_4arch9wavefront6targetE1EEEvT1_
	.p2align	8
	.type	_ZN7rocprim17ROCPRIM_400000_NS6detail17trampoline_kernelINS0_14default_configENS1_25transform_config_selectorIaLb1EEEZNS1_14transform_implILb1ES3_S5_PaS7_NS0_8identityIaEEEE10hipError_tT2_T3_mT4_P12ihipStream_tbEUlT_E_NS1_11comp_targetILNS1_3genE9ELNS1_11target_archE1100ELNS1_3gpuE3ELNS1_3repE0EEENS1_30default_config_static_selectorELNS0_4arch9wavefront6targetE1EEEvT1_,@function
_ZN7rocprim17ROCPRIM_400000_NS6detail17trampoline_kernelINS0_14default_configENS1_25transform_config_selectorIaLb1EEEZNS1_14transform_implILb1ES3_S5_PaS7_NS0_8identityIaEEEE10hipError_tT2_T3_mT4_P12ihipStream_tbEUlT_E_NS1_11comp_targetILNS1_3genE9ELNS1_11target_archE1100ELNS1_3gpuE3ELNS1_3repE0EEENS1_30default_config_static_selectorELNS0_4arch9wavefront6targetE1EEEvT1_: ; @_ZN7rocprim17ROCPRIM_400000_NS6detail17trampoline_kernelINS0_14default_configENS1_25transform_config_selectorIaLb1EEEZNS1_14transform_implILb1ES3_S5_PaS7_NS0_8identityIaEEEE10hipError_tT2_T3_mT4_P12ihipStream_tbEUlT_E_NS1_11comp_targetILNS1_3genE9ELNS1_11target_archE1100ELNS1_3gpuE3ELNS1_3repE0EEENS1_30default_config_static_selectorELNS0_4arch9wavefront6targetE1EEEvT1_
; %bb.0:
	.section	.rodata,"a",@progbits
	.p2align	6, 0x0
	.amdhsa_kernel _ZN7rocprim17ROCPRIM_400000_NS6detail17trampoline_kernelINS0_14default_configENS1_25transform_config_selectorIaLb1EEEZNS1_14transform_implILb1ES3_S5_PaS7_NS0_8identityIaEEEE10hipError_tT2_T3_mT4_P12ihipStream_tbEUlT_E_NS1_11comp_targetILNS1_3genE9ELNS1_11target_archE1100ELNS1_3gpuE3ELNS1_3repE0EEENS1_30default_config_static_selectorELNS0_4arch9wavefront6targetE1EEEvT1_
		.amdhsa_group_segment_fixed_size 0
		.amdhsa_private_segment_fixed_size 0
		.amdhsa_kernarg_size 40
		.amdhsa_user_sgpr_count 6
		.amdhsa_user_sgpr_private_segment_buffer 1
		.amdhsa_user_sgpr_dispatch_ptr 0
		.amdhsa_user_sgpr_queue_ptr 0
		.amdhsa_user_sgpr_kernarg_segment_ptr 1
		.amdhsa_user_sgpr_dispatch_id 0
		.amdhsa_user_sgpr_flat_scratch_init 0
		.amdhsa_user_sgpr_private_segment_size 0
		.amdhsa_uses_dynamic_stack 0
		.amdhsa_system_sgpr_private_segment_wavefront_offset 0
		.amdhsa_system_sgpr_workgroup_id_x 1
		.amdhsa_system_sgpr_workgroup_id_y 0
		.amdhsa_system_sgpr_workgroup_id_z 0
		.amdhsa_system_sgpr_workgroup_info 0
		.amdhsa_system_vgpr_workitem_id 0
		.amdhsa_next_free_vgpr 1
		.amdhsa_next_free_sgpr 0
		.amdhsa_reserve_vcc 0
		.amdhsa_reserve_flat_scratch 0
		.amdhsa_float_round_mode_32 0
		.amdhsa_float_round_mode_16_64 0
		.amdhsa_float_denorm_mode_32 3
		.amdhsa_float_denorm_mode_16_64 3
		.amdhsa_dx10_clamp 1
		.amdhsa_ieee_mode 1
		.amdhsa_fp16_overflow 0
		.amdhsa_exception_fp_ieee_invalid_op 0
		.amdhsa_exception_fp_denorm_src 0
		.amdhsa_exception_fp_ieee_div_zero 0
		.amdhsa_exception_fp_ieee_overflow 0
		.amdhsa_exception_fp_ieee_underflow 0
		.amdhsa_exception_fp_ieee_inexact 0
		.amdhsa_exception_int_div_zero 0
	.end_amdhsa_kernel
	.section	.text._ZN7rocprim17ROCPRIM_400000_NS6detail17trampoline_kernelINS0_14default_configENS1_25transform_config_selectorIaLb1EEEZNS1_14transform_implILb1ES3_S5_PaS7_NS0_8identityIaEEEE10hipError_tT2_T3_mT4_P12ihipStream_tbEUlT_E_NS1_11comp_targetILNS1_3genE9ELNS1_11target_archE1100ELNS1_3gpuE3ELNS1_3repE0EEENS1_30default_config_static_selectorELNS0_4arch9wavefront6targetE1EEEvT1_,"axG",@progbits,_ZN7rocprim17ROCPRIM_400000_NS6detail17trampoline_kernelINS0_14default_configENS1_25transform_config_selectorIaLb1EEEZNS1_14transform_implILb1ES3_S5_PaS7_NS0_8identityIaEEEE10hipError_tT2_T3_mT4_P12ihipStream_tbEUlT_E_NS1_11comp_targetILNS1_3genE9ELNS1_11target_archE1100ELNS1_3gpuE3ELNS1_3repE0EEENS1_30default_config_static_selectorELNS0_4arch9wavefront6targetE1EEEvT1_,comdat
.Lfunc_end532:
	.size	_ZN7rocprim17ROCPRIM_400000_NS6detail17trampoline_kernelINS0_14default_configENS1_25transform_config_selectorIaLb1EEEZNS1_14transform_implILb1ES3_S5_PaS7_NS0_8identityIaEEEE10hipError_tT2_T3_mT4_P12ihipStream_tbEUlT_E_NS1_11comp_targetILNS1_3genE9ELNS1_11target_archE1100ELNS1_3gpuE3ELNS1_3repE0EEENS1_30default_config_static_selectorELNS0_4arch9wavefront6targetE1EEEvT1_, .Lfunc_end532-_ZN7rocprim17ROCPRIM_400000_NS6detail17trampoline_kernelINS0_14default_configENS1_25transform_config_selectorIaLb1EEEZNS1_14transform_implILb1ES3_S5_PaS7_NS0_8identityIaEEEE10hipError_tT2_T3_mT4_P12ihipStream_tbEUlT_E_NS1_11comp_targetILNS1_3genE9ELNS1_11target_archE1100ELNS1_3gpuE3ELNS1_3repE0EEENS1_30default_config_static_selectorELNS0_4arch9wavefront6targetE1EEEvT1_
                                        ; -- End function
	.set _ZN7rocprim17ROCPRIM_400000_NS6detail17trampoline_kernelINS0_14default_configENS1_25transform_config_selectorIaLb1EEEZNS1_14transform_implILb1ES3_S5_PaS7_NS0_8identityIaEEEE10hipError_tT2_T3_mT4_P12ihipStream_tbEUlT_E_NS1_11comp_targetILNS1_3genE9ELNS1_11target_archE1100ELNS1_3gpuE3ELNS1_3repE0EEENS1_30default_config_static_selectorELNS0_4arch9wavefront6targetE1EEEvT1_.num_vgpr, 0
	.set _ZN7rocprim17ROCPRIM_400000_NS6detail17trampoline_kernelINS0_14default_configENS1_25transform_config_selectorIaLb1EEEZNS1_14transform_implILb1ES3_S5_PaS7_NS0_8identityIaEEEE10hipError_tT2_T3_mT4_P12ihipStream_tbEUlT_E_NS1_11comp_targetILNS1_3genE9ELNS1_11target_archE1100ELNS1_3gpuE3ELNS1_3repE0EEENS1_30default_config_static_selectorELNS0_4arch9wavefront6targetE1EEEvT1_.num_agpr, 0
	.set _ZN7rocprim17ROCPRIM_400000_NS6detail17trampoline_kernelINS0_14default_configENS1_25transform_config_selectorIaLb1EEEZNS1_14transform_implILb1ES3_S5_PaS7_NS0_8identityIaEEEE10hipError_tT2_T3_mT4_P12ihipStream_tbEUlT_E_NS1_11comp_targetILNS1_3genE9ELNS1_11target_archE1100ELNS1_3gpuE3ELNS1_3repE0EEENS1_30default_config_static_selectorELNS0_4arch9wavefront6targetE1EEEvT1_.numbered_sgpr, 0
	.set _ZN7rocprim17ROCPRIM_400000_NS6detail17trampoline_kernelINS0_14default_configENS1_25transform_config_selectorIaLb1EEEZNS1_14transform_implILb1ES3_S5_PaS7_NS0_8identityIaEEEE10hipError_tT2_T3_mT4_P12ihipStream_tbEUlT_E_NS1_11comp_targetILNS1_3genE9ELNS1_11target_archE1100ELNS1_3gpuE3ELNS1_3repE0EEENS1_30default_config_static_selectorELNS0_4arch9wavefront6targetE1EEEvT1_.num_named_barrier, 0
	.set _ZN7rocprim17ROCPRIM_400000_NS6detail17trampoline_kernelINS0_14default_configENS1_25transform_config_selectorIaLb1EEEZNS1_14transform_implILb1ES3_S5_PaS7_NS0_8identityIaEEEE10hipError_tT2_T3_mT4_P12ihipStream_tbEUlT_E_NS1_11comp_targetILNS1_3genE9ELNS1_11target_archE1100ELNS1_3gpuE3ELNS1_3repE0EEENS1_30default_config_static_selectorELNS0_4arch9wavefront6targetE1EEEvT1_.private_seg_size, 0
	.set _ZN7rocprim17ROCPRIM_400000_NS6detail17trampoline_kernelINS0_14default_configENS1_25transform_config_selectorIaLb1EEEZNS1_14transform_implILb1ES3_S5_PaS7_NS0_8identityIaEEEE10hipError_tT2_T3_mT4_P12ihipStream_tbEUlT_E_NS1_11comp_targetILNS1_3genE9ELNS1_11target_archE1100ELNS1_3gpuE3ELNS1_3repE0EEENS1_30default_config_static_selectorELNS0_4arch9wavefront6targetE1EEEvT1_.uses_vcc, 0
	.set _ZN7rocprim17ROCPRIM_400000_NS6detail17trampoline_kernelINS0_14default_configENS1_25transform_config_selectorIaLb1EEEZNS1_14transform_implILb1ES3_S5_PaS7_NS0_8identityIaEEEE10hipError_tT2_T3_mT4_P12ihipStream_tbEUlT_E_NS1_11comp_targetILNS1_3genE9ELNS1_11target_archE1100ELNS1_3gpuE3ELNS1_3repE0EEENS1_30default_config_static_selectorELNS0_4arch9wavefront6targetE1EEEvT1_.uses_flat_scratch, 0
	.set _ZN7rocprim17ROCPRIM_400000_NS6detail17trampoline_kernelINS0_14default_configENS1_25transform_config_selectorIaLb1EEEZNS1_14transform_implILb1ES3_S5_PaS7_NS0_8identityIaEEEE10hipError_tT2_T3_mT4_P12ihipStream_tbEUlT_E_NS1_11comp_targetILNS1_3genE9ELNS1_11target_archE1100ELNS1_3gpuE3ELNS1_3repE0EEENS1_30default_config_static_selectorELNS0_4arch9wavefront6targetE1EEEvT1_.has_dyn_sized_stack, 0
	.set _ZN7rocprim17ROCPRIM_400000_NS6detail17trampoline_kernelINS0_14default_configENS1_25transform_config_selectorIaLb1EEEZNS1_14transform_implILb1ES3_S5_PaS7_NS0_8identityIaEEEE10hipError_tT2_T3_mT4_P12ihipStream_tbEUlT_E_NS1_11comp_targetILNS1_3genE9ELNS1_11target_archE1100ELNS1_3gpuE3ELNS1_3repE0EEENS1_30default_config_static_selectorELNS0_4arch9wavefront6targetE1EEEvT1_.has_recursion, 0
	.set _ZN7rocprim17ROCPRIM_400000_NS6detail17trampoline_kernelINS0_14default_configENS1_25transform_config_selectorIaLb1EEEZNS1_14transform_implILb1ES3_S5_PaS7_NS0_8identityIaEEEE10hipError_tT2_T3_mT4_P12ihipStream_tbEUlT_E_NS1_11comp_targetILNS1_3genE9ELNS1_11target_archE1100ELNS1_3gpuE3ELNS1_3repE0EEENS1_30default_config_static_selectorELNS0_4arch9wavefront6targetE1EEEvT1_.has_indirect_call, 0
	.section	.AMDGPU.csdata,"",@progbits
; Kernel info:
; codeLenInByte = 0
; TotalNumSgprs: 4
; NumVgprs: 0
; ScratchSize: 0
; MemoryBound: 0
; FloatMode: 240
; IeeeMode: 1
; LDSByteSize: 0 bytes/workgroup (compile time only)
; SGPRBlocks: 0
; VGPRBlocks: 0
; NumSGPRsForWavesPerEU: 4
; NumVGPRsForWavesPerEU: 1
; Occupancy: 10
; WaveLimiterHint : 0
; COMPUTE_PGM_RSRC2:SCRATCH_EN: 0
; COMPUTE_PGM_RSRC2:USER_SGPR: 6
; COMPUTE_PGM_RSRC2:TRAP_HANDLER: 0
; COMPUTE_PGM_RSRC2:TGID_X_EN: 1
; COMPUTE_PGM_RSRC2:TGID_Y_EN: 0
; COMPUTE_PGM_RSRC2:TGID_Z_EN: 0
; COMPUTE_PGM_RSRC2:TIDIG_COMP_CNT: 0
	.section	.text._ZN7rocprim17ROCPRIM_400000_NS6detail17trampoline_kernelINS0_14default_configENS1_25transform_config_selectorIaLb1EEEZNS1_14transform_implILb1ES3_S5_PaS7_NS0_8identityIaEEEE10hipError_tT2_T3_mT4_P12ihipStream_tbEUlT_E_NS1_11comp_targetILNS1_3genE8ELNS1_11target_archE1030ELNS1_3gpuE2ELNS1_3repE0EEENS1_30default_config_static_selectorELNS0_4arch9wavefront6targetE1EEEvT1_,"axG",@progbits,_ZN7rocprim17ROCPRIM_400000_NS6detail17trampoline_kernelINS0_14default_configENS1_25transform_config_selectorIaLb1EEEZNS1_14transform_implILb1ES3_S5_PaS7_NS0_8identityIaEEEE10hipError_tT2_T3_mT4_P12ihipStream_tbEUlT_E_NS1_11comp_targetILNS1_3genE8ELNS1_11target_archE1030ELNS1_3gpuE2ELNS1_3repE0EEENS1_30default_config_static_selectorELNS0_4arch9wavefront6targetE1EEEvT1_,comdat
	.protected	_ZN7rocprim17ROCPRIM_400000_NS6detail17trampoline_kernelINS0_14default_configENS1_25transform_config_selectorIaLb1EEEZNS1_14transform_implILb1ES3_S5_PaS7_NS0_8identityIaEEEE10hipError_tT2_T3_mT4_P12ihipStream_tbEUlT_E_NS1_11comp_targetILNS1_3genE8ELNS1_11target_archE1030ELNS1_3gpuE2ELNS1_3repE0EEENS1_30default_config_static_selectorELNS0_4arch9wavefront6targetE1EEEvT1_ ; -- Begin function _ZN7rocprim17ROCPRIM_400000_NS6detail17trampoline_kernelINS0_14default_configENS1_25transform_config_selectorIaLb1EEEZNS1_14transform_implILb1ES3_S5_PaS7_NS0_8identityIaEEEE10hipError_tT2_T3_mT4_P12ihipStream_tbEUlT_E_NS1_11comp_targetILNS1_3genE8ELNS1_11target_archE1030ELNS1_3gpuE2ELNS1_3repE0EEENS1_30default_config_static_selectorELNS0_4arch9wavefront6targetE1EEEvT1_
	.globl	_ZN7rocprim17ROCPRIM_400000_NS6detail17trampoline_kernelINS0_14default_configENS1_25transform_config_selectorIaLb1EEEZNS1_14transform_implILb1ES3_S5_PaS7_NS0_8identityIaEEEE10hipError_tT2_T3_mT4_P12ihipStream_tbEUlT_E_NS1_11comp_targetILNS1_3genE8ELNS1_11target_archE1030ELNS1_3gpuE2ELNS1_3repE0EEENS1_30default_config_static_selectorELNS0_4arch9wavefront6targetE1EEEvT1_
	.p2align	8
	.type	_ZN7rocprim17ROCPRIM_400000_NS6detail17trampoline_kernelINS0_14default_configENS1_25transform_config_selectorIaLb1EEEZNS1_14transform_implILb1ES3_S5_PaS7_NS0_8identityIaEEEE10hipError_tT2_T3_mT4_P12ihipStream_tbEUlT_E_NS1_11comp_targetILNS1_3genE8ELNS1_11target_archE1030ELNS1_3gpuE2ELNS1_3repE0EEENS1_30default_config_static_selectorELNS0_4arch9wavefront6targetE1EEEvT1_,@function
_ZN7rocprim17ROCPRIM_400000_NS6detail17trampoline_kernelINS0_14default_configENS1_25transform_config_selectorIaLb1EEEZNS1_14transform_implILb1ES3_S5_PaS7_NS0_8identityIaEEEE10hipError_tT2_T3_mT4_P12ihipStream_tbEUlT_E_NS1_11comp_targetILNS1_3genE8ELNS1_11target_archE1030ELNS1_3gpuE2ELNS1_3repE0EEENS1_30default_config_static_selectorELNS0_4arch9wavefront6targetE1EEEvT1_: ; @_ZN7rocprim17ROCPRIM_400000_NS6detail17trampoline_kernelINS0_14default_configENS1_25transform_config_selectorIaLb1EEEZNS1_14transform_implILb1ES3_S5_PaS7_NS0_8identityIaEEEE10hipError_tT2_T3_mT4_P12ihipStream_tbEUlT_E_NS1_11comp_targetILNS1_3genE8ELNS1_11target_archE1030ELNS1_3gpuE2ELNS1_3repE0EEENS1_30default_config_static_selectorELNS0_4arch9wavefront6targetE1EEEvT1_
; %bb.0:
	.section	.rodata,"a",@progbits
	.p2align	6, 0x0
	.amdhsa_kernel _ZN7rocprim17ROCPRIM_400000_NS6detail17trampoline_kernelINS0_14default_configENS1_25transform_config_selectorIaLb1EEEZNS1_14transform_implILb1ES3_S5_PaS7_NS0_8identityIaEEEE10hipError_tT2_T3_mT4_P12ihipStream_tbEUlT_E_NS1_11comp_targetILNS1_3genE8ELNS1_11target_archE1030ELNS1_3gpuE2ELNS1_3repE0EEENS1_30default_config_static_selectorELNS0_4arch9wavefront6targetE1EEEvT1_
		.amdhsa_group_segment_fixed_size 0
		.amdhsa_private_segment_fixed_size 0
		.amdhsa_kernarg_size 40
		.amdhsa_user_sgpr_count 6
		.amdhsa_user_sgpr_private_segment_buffer 1
		.amdhsa_user_sgpr_dispatch_ptr 0
		.amdhsa_user_sgpr_queue_ptr 0
		.amdhsa_user_sgpr_kernarg_segment_ptr 1
		.amdhsa_user_sgpr_dispatch_id 0
		.amdhsa_user_sgpr_flat_scratch_init 0
		.amdhsa_user_sgpr_private_segment_size 0
		.amdhsa_uses_dynamic_stack 0
		.amdhsa_system_sgpr_private_segment_wavefront_offset 0
		.amdhsa_system_sgpr_workgroup_id_x 1
		.amdhsa_system_sgpr_workgroup_id_y 0
		.amdhsa_system_sgpr_workgroup_id_z 0
		.amdhsa_system_sgpr_workgroup_info 0
		.amdhsa_system_vgpr_workitem_id 0
		.amdhsa_next_free_vgpr 1
		.amdhsa_next_free_sgpr 0
		.amdhsa_reserve_vcc 0
		.amdhsa_reserve_flat_scratch 0
		.amdhsa_float_round_mode_32 0
		.amdhsa_float_round_mode_16_64 0
		.amdhsa_float_denorm_mode_32 3
		.amdhsa_float_denorm_mode_16_64 3
		.amdhsa_dx10_clamp 1
		.amdhsa_ieee_mode 1
		.amdhsa_fp16_overflow 0
		.amdhsa_exception_fp_ieee_invalid_op 0
		.amdhsa_exception_fp_denorm_src 0
		.amdhsa_exception_fp_ieee_div_zero 0
		.amdhsa_exception_fp_ieee_overflow 0
		.amdhsa_exception_fp_ieee_underflow 0
		.amdhsa_exception_fp_ieee_inexact 0
		.amdhsa_exception_int_div_zero 0
	.end_amdhsa_kernel
	.section	.text._ZN7rocprim17ROCPRIM_400000_NS6detail17trampoline_kernelINS0_14default_configENS1_25transform_config_selectorIaLb1EEEZNS1_14transform_implILb1ES3_S5_PaS7_NS0_8identityIaEEEE10hipError_tT2_T3_mT4_P12ihipStream_tbEUlT_E_NS1_11comp_targetILNS1_3genE8ELNS1_11target_archE1030ELNS1_3gpuE2ELNS1_3repE0EEENS1_30default_config_static_selectorELNS0_4arch9wavefront6targetE1EEEvT1_,"axG",@progbits,_ZN7rocprim17ROCPRIM_400000_NS6detail17trampoline_kernelINS0_14default_configENS1_25transform_config_selectorIaLb1EEEZNS1_14transform_implILb1ES3_S5_PaS7_NS0_8identityIaEEEE10hipError_tT2_T3_mT4_P12ihipStream_tbEUlT_E_NS1_11comp_targetILNS1_3genE8ELNS1_11target_archE1030ELNS1_3gpuE2ELNS1_3repE0EEENS1_30default_config_static_selectorELNS0_4arch9wavefront6targetE1EEEvT1_,comdat
.Lfunc_end533:
	.size	_ZN7rocprim17ROCPRIM_400000_NS6detail17trampoline_kernelINS0_14default_configENS1_25transform_config_selectorIaLb1EEEZNS1_14transform_implILb1ES3_S5_PaS7_NS0_8identityIaEEEE10hipError_tT2_T3_mT4_P12ihipStream_tbEUlT_E_NS1_11comp_targetILNS1_3genE8ELNS1_11target_archE1030ELNS1_3gpuE2ELNS1_3repE0EEENS1_30default_config_static_selectorELNS0_4arch9wavefront6targetE1EEEvT1_, .Lfunc_end533-_ZN7rocprim17ROCPRIM_400000_NS6detail17trampoline_kernelINS0_14default_configENS1_25transform_config_selectorIaLb1EEEZNS1_14transform_implILb1ES3_S5_PaS7_NS0_8identityIaEEEE10hipError_tT2_T3_mT4_P12ihipStream_tbEUlT_E_NS1_11comp_targetILNS1_3genE8ELNS1_11target_archE1030ELNS1_3gpuE2ELNS1_3repE0EEENS1_30default_config_static_selectorELNS0_4arch9wavefront6targetE1EEEvT1_
                                        ; -- End function
	.set _ZN7rocprim17ROCPRIM_400000_NS6detail17trampoline_kernelINS0_14default_configENS1_25transform_config_selectorIaLb1EEEZNS1_14transform_implILb1ES3_S5_PaS7_NS0_8identityIaEEEE10hipError_tT2_T3_mT4_P12ihipStream_tbEUlT_E_NS1_11comp_targetILNS1_3genE8ELNS1_11target_archE1030ELNS1_3gpuE2ELNS1_3repE0EEENS1_30default_config_static_selectorELNS0_4arch9wavefront6targetE1EEEvT1_.num_vgpr, 0
	.set _ZN7rocprim17ROCPRIM_400000_NS6detail17trampoline_kernelINS0_14default_configENS1_25transform_config_selectorIaLb1EEEZNS1_14transform_implILb1ES3_S5_PaS7_NS0_8identityIaEEEE10hipError_tT2_T3_mT4_P12ihipStream_tbEUlT_E_NS1_11comp_targetILNS1_3genE8ELNS1_11target_archE1030ELNS1_3gpuE2ELNS1_3repE0EEENS1_30default_config_static_selectorELNS0_4arch9wavefront6targetE1EEEvT1_.num_agpr, 0
	.set _ZN7rocprim17ROCPRIM_400000_NS6detail17trampoline_kernelINS0_14default_configENS1_25transform_config_selectorIaLb1EEEZNS1_14transform_implILb1ES3_S5_PaS7_NS0_8identityIaEEEE10hipError_tT2_T3_mT4_P12ihipStream_tbEUlT_E_NS1_11comp_targetILNS1_3genE8ELNS1_11target_archE1030ELNS1_3gpuE2ELNS1_3repE0EEENS1_30default_config_static_selectorELNS0_4arch9wavefront6targetE1EEEvT1_.numbered_sgpr, 0
	.set _ZN7rocprim17ROCPRIM_400000_NS6detail17trampoline_kernelINS0_14default_configENS1_25transform_config_selectorIaLb1EEEZNS1_14transform_implILb1ES3_S5_PaS7_NS0_8identityIaEEEE10hipError_tT2_T3_mT4_P12ihipStream_tbEUlT_E_NS1_11comp_targetILNS1_3genE8ELNS1_11target_archE1030ELNS1_3gpuE2ELNS1_3repE0EEENS1_30default_config_static_selectorELNS0_4arch9wavefront6targetE1EEEvT1_.num_named_barrier, 0
	.set _ZN7rocprim17ROCPRIM_400000_NS6detail17trampoline_kernelINS0_14default_configENS1_25transform_config_selectorIaLb1EEEZNS1_14transform_implILb1ES3_S5_PaS7_NS0_8identityIaEEEE10hipError_tT2_T3_mT4_P12ihipStream_tbEUlT_E_NS1_11comp_targetILNS1_3genE8ELNS1_11target_archE1030ELNS1_3gpuE2ELNS1_3repE0EEENS1_30default_config_static_selectorELNS0_4arch9wavefront6targetE1EEEvT1_.private_seg_size, 0
	.set _ZN7rocprim17ROCPRIM_400000_NS6detail17trampoline_kernelINS0_14default_configENS1_25transform_config_selectorIaLb1EEEZNS1_14transform_implILb1ES3_S5_PaS7_NS0_8identityIaEEEE10hipError_tT2_T3_mT4_P12ihipStream_tbEUlT_E_NS1_11comp_targetILNS1_3genE8ELNS1_11target_archE1030ELNS1_3gpuE2ELNS1_3repE0EEENS1_30default_config_static_selectorELNS0_4arch9wavefront6targetE1EEEvT1_.uses_vcc, 0
	.set _ZN7rocprim17ROCPRIM_400000_NS6detail17trampoline_kernelINS0_14default_configENS1_25transform_config_selectorIaLb1EEEZNS1_14transform_implILb1ES3_S5_PaS7_NS0_8identityIaEEEE10hipError_tT2_T3_mT4_P12ihipStream_tbEUlT_E_NS1_11comp_targetILNS1_3genE8ELNS1_11target_archE1030ELNS1_3gpuE2ELNS1_3repE0EEENS1_30default_config_static_selectorELNS0_4arch9wavefront6targetE1EEEvT1_.uses_flat_scratch, 0
	.set _ZN7rocprim17ROCPRIM_400000_NS6detail17trampoline_kernelINS0_14default_configENS1_25transform_config_selectorIaLb1EEEZNS1_14transform_implILb1ES3_S5_PaS7_NS0_8identityIaEEEE10hipError_tT2_T3_mT4_P12ihipStream_tbEUlT_E_NS1_11comp_targetILNS1_3genE8ELNS1_11target_archE1030ELNS1_3gpuE2ELNS1_3repE0EEENS1_30default_config_static_selectorELNS0_4arch9wavefront6targetE1EEEvT1_.has_dyn_sized_stack, 0
	.set _ZN7rocprim17ROCPRIM_400000_NS6detail17trampoline_kernelINS0_14default_configENS1_25transform_config_selectorIaLb1EEEZNS1_14transform_implILb1ES3_S5_PaS7_NS0_8identityIaEEEE10hipError_tT2_T3_mT4_P12ihipStream_tbEUlT_E_NS1_11comp_targetILNS1_3genE8ELNS1_11target_archE1030ELNS1_3gpuE2ELNS1_3repE0EEENS1_30default_config_static_selectorELNS0_4arch9wavefront6targetE1EEEvT1_.has_recursion, 0
	.set _ZN7rocprim17ROCPRIM_400000_NS6detail17trampoline_kernelINS0_14default_configENS1_25transform_config_selectorIaLb1EEEZNS1_14transform_implILb1ES3_S5_PaS7_NS0_8identityIaEEEE10hipError_tT2_T3_mT4_P12ihipStream_tbEUlT_E_NS1_11comp_targetILNS1_3genE8ELNS1_11target_archE1030ELNS1_3gpuE2ELNS1_3repE0EEENS1_30default_config_static_selectorELNS0_4arch9wavefront6targetE1EEEvT1_.has_indirect_call, 0
	.section	.AMDGPU.csdata,"",@progbits
; Kernel info:
; codeLenInByte = 0
; TotalNumSgprs: 4
; NumVgprs: 0
; ScratchSize: 0
; MemoryBound: 0
; FloatMode: 240
; IeeeMode: 1
; LDSByteSize: 0 bytes/workgroup (compile time only)
; SGPRBlocks: 0
; VGPRBlocks: 0
; NumSGPRsForWavesPerEU: 4
; NumVGPRsForWavesPerEU: 1
; Occupancy: 10
; WaveLimiterHint : 0
; COMPUTE_PGM_RSRC2:SCRATCH_EN: 0
; COMPUTE_PGM_RSRC2:USER_SGPR: 6
; COMPUTE_PGM_RSRC2:TRAP_HANDLER: 0
; COMPUTE_PGM_RSRC2:TGID_X_EN: 1
; COMPUTE_PGM_RSRC2:TGID_Y_EN: 0
; COMPUTE_PGM_RSRC2:TGID_Z_EN: 0
; COMPUTE_PGM_RSRC2:TIDIG_COMP_CNT: 0
	.section	.text._ZN7rocprim17ROCPRIM_400000_NS6detail17trampoline_kernelINS0_14default_configENS1_38merge_sort_block_merge_config_selectorIalEEZZNS1_27merge_sort_block_merge_implIS3_PaN6thrust23THRUST_200600_302600_NS10device_ptrIlEEjNS1_19radix_merge_compareILb0ELb1EaNS0_19identity_decomposerEEEEE10hipError_tT0_T1_T2_jT3_P12ihipStream_tbPNSt15iterator_traitsISG_E10value_typeEPNSM_ISH_E10value_typeEPSI_NS1_7vsmem_tEENKUlT_SG_SH_SI_E_clIS7_S7_PlSB_EESF_SV_SG_SH_SI_EUlSV_E_NS1_11comp_targetILNS1_3genE0ELNS1_11target_archE4294967295ELNS1_3gpuE0ELNS1_3repE0EEENS1_48merge_mergepath_partition_config_static_selectorELNS0_4arch9wavefront6targetE1EEEvSH_,"axG",@progbits,_ZN7rocprim17ROCPRIM_400000_NS6detail17trampoline_kernelINS0_14default_configENS1_38merge_sort_block_merge_config_selectorIalEEZZNS1_27merge_sort_block_merge_implIS3_PaN6thrust23THRUST_200600_302600_NS10device_ptrIlEEjNS1_19radix_merge_compareILb0ELb1EaNS0_19identity_decomposerEEEEE10hipError_tT0_T1_T2_jT3_P12ihipStream_tbPNSt15iterator_traitsISG_E10value_typeEPNSM_ISH_E10value_typeEPSI_NS1_7vsmem_tEENKUlT_SG_SH_SI_E_clIS7_S7_PlSB_EESF_SV_SG_SH_SI_EUlSV_E_NS1_11comp_targetILNS1_3genE0ELNS1_11target_archE4294967295ELNS1_3gpuE0ELNS1_3repE0EEENS1_48merge_mergepath_partition_config_static_selectorELNS0_4arch9wavefront6targetE1EEEvSH_,comdat
	.protected	_ZN7rocprim17ROCPRIM_400000_NS6detail17trampoline_kernelINS0_14default_configENS1_38merge_sort_block_merge_config_selectorIalEEZZNS1_27merge_sort_block_merge_implIS3_PaN6thrust23THRUST_200600_302600_NS10device_ptrIlEEjNS1_19radix_merge_compareILb0ELb1EaNS0_19identity_decomposerEEEEE10hipError_tT0_T1_T2_jT3_P12ihipStream_tbPNSt15iterator_traitsISG_E10value_typeEPNSM_ISH_E10value_typeEPSI_NS1_7vsmem_tEENKUlT_SG_SH_SI_E_clIS7_S7_PlSB_EESF_SV_SG_SH_SI_EUlSV_E_NS1_11comp_targetILNS1_3genE0ELNS1_11target_archE4294967295ELNS1_3gpuE0ELNS1_3repE0EEENS1_48merge_mergepath_partition_config_static_selectorELNS0_4arch9wavefront6targetE1EEEvSH_ ; -- Begin function _ZN7rocprim17ROCPRIM_400000_NS6detail17trampoline_kernelINS0_14default_configENS1_38merge_sort_block_merge_config_selectorIalEEZZNS1_27merge_sort_block_merge_implIS3_PaN6thrust23THRUST_200600_302600_NS10device_ptrIlEEjNS1_19radix_merge_compareILb0ELb1EaNS0_19identity_decomposerEEEEE10hipError_tT0_T1_T2_jT3_P12ihipStream_tbPNSt15iterator_traitsISG_E10value_typeEPNSM_ISH_E10value_typeEPSI_NS1_7vsmem_tEENKUlT_SG_SH_SI_E_clIS7_S7_PlSB_EESF_SV_SG_SH_SI_EUlSV_E_NS1_11comp_targetILNS1_3genE0ELNS1_11target_archE4294967295ELNS1_3gpuE0ELNS1_3repE0EEENS1_48merge_mergepath_partition_config_static_selectorELNS0_4arch9wavefront6targetE1EEEvSH_
	.globl	_ZN7rocprim17ROCPRIM_400000_NS6detail17trampoline_kernelINS0_14default_configENS1_38merge_sort_block_merge_config_selectorIalEEZZNS1_27merge_sort_block_merge_implIS3_PaN6thrust23THRUST_200600_302600_NS10device_ptrIlEEjNS1_19radix_merge_compareILb0ELb1EaNS0_19identity_decomposerEEEEE10hipError_tT0_T1_T2_jT3_P12ihipStream_tbPNSt15iterator_traitsISG_E10value_typeEPNSM_ISH_E10value_typeEPSI_NS1_7vsmem_tEENKUlT_SG_SH_SI_E_clIS7_S7_PlSB_EESF_SV_SG_SH_SI_EUlSV_E_NS1_11comp_targetILNS1_3genE0ELNS1_11target_archE4294967295ELNS1_3gpuE0ELNS1_3repE0EEENS1_48merge_mergepath_partition_config_static_selectorELNS0_4arch9wavefront6targetE1EEEvSH_
	.p2align	8
	.type	_ZN7rocprim17ROCPRIM_400000_NS6detail17trampoline_kernelINS0_14default_configENS1_38merge_sort_block_merge_config_selectorIalEEZZNS1_27merge_sort_block_merge_implIS3_PaN6thrust23THRUST_200600_302600_NS10device_ptrIlEEjNS1_19radix_merge_compareILb0ELb1EaNS0_19identity_decomposerEEEEE10hipError_tT0_T1_T2_jT3_P12ihipStream_tbPNSt15iterator_traitsISG_E10value_typeEPNSM_ISH_E10value_typeEPSI_NS1_7vsmem_tEENKUlT_SG_SH_SI_E_clIS7_S7_PlSB_EESF_SV_SG_SH_SI_EUlSV_E_NS1_11comp_targetILNS1_3genE0ELNS1_11target_archE4294967295ELNS1_3gpuE0ELNS1_3repE0EEENS1_48merge_mergepath_partition_config_static_selectorELNS0_4arch9wavefront6targetE1EEEvSH_,@function
_ZN7rocprim17ROCPRIM_400000_NS6detail17trampoline_kernelINS0_14default_configENS1_38merge_sort_block_merge_config_selectorIalEEZZNS1_27merge_sort_block_merge_implIS3_PaN6thrust23THRUST_200600_302600_NS10device_ptrIlEEjNS1_19radix_merge_compareILb0ELb1EaNS0_19identity_decomposerEEEEE10hipError_tT0_T1_T2_jT3_P12ihipStream_tbPNSt15iterator_traitsISG_E10value_typeEPNSM_ISH_E10value_typeEPSI_NS1_7vsmem_tEENKUlT_SG_SH_SI_E_clIS7_S7_PlSB_EESF_SV_SG_SH_SI_EUlSV_E_NS1_11comp_targetILNS1_3genE0ELNS1_11target_archE4294967295ELNS1_3gpuE0ELNS1_3repE0EEENS1_48merge_mergepath_partition_config_static_selectorELNS0_4arch9wavefront6targetE1EEEvSH_: ; @_ZN7rocprim17ROCPRIM_400000_NS6detail17trampoline_kernelINS0_14default_configENS1_38merge_sort_block_merge_config_selectorIalEEZZNS1_27merge_sort_block_merge_implIS3_PaN6thrust23THRUST_200600_302600_NS10device_ptrIlEEjNS1_19radix_merge_compareILb0ELb1EaNS0_19identity_decomposerEEEEE10hipError_tT0_T1_T2_jT3_P12ihipStream_tbPNSt15iterator_traitsISG_E10value_typeEPNSM_ISH_E10value_typeEPSI_NS1_7vsmem_tEENKUlT_SG_SH_SI_E_clIS7_S7_PlSB_EESF_SV_SG_SH_SI_EUlSV_E_NS1_11comp_targetILNS1_3genE0ELNS1_11target_archE4294967295ELNS1_3gpuE0ELNS1_3repE0EEENS1_48merge_mergepath_partition_config_static_selectorELNS0_4arch9wavefront6targetE1EEEvSH_
; %bb.0:
	.section	.rodata,"a",@progbits
	.p2align	6, 0x0
	.amdhsa_kernel _ZN7rocprim17ROCPRIM_400000_NS6detail17trampoline_kernelINS0_14default_configENS1_38merge_sort_block_merge_config_selectorIalEEZZNS1_27merge_sort_block_merge_implIS3_PaN6thrust23THRUST_200600_302600_NS10device_ptrIlEEjNS1_19radix_merge_compareILb0ELb1EaNS0_19identity_decomposerEEEEE10hipError_tT0_T1_T2_jT3_P12ihipStream_tbPNSt15iterator_traitsISG_E10value_typeEPNSM_ISH_E10value_typeEPSI_NS1_7vsmem_tEENKUlT_SG_SH_SI_E_clIS7_S7_PlSB_EESF_SV_SG_SH_SI_EUlSV_E_NS1_11comp_targetILNS1_3genE0ELNS1_11target_archE4294967295ELNS1_3gpuE0ELNS1_3repE0EEENS1_48merge_mergepath_partition_config_static_selectorELNS0_4arch9wavefront6targetE1EEEvSH_
		.amdhsa_group_segment_fixed_size 0
		.amdhsa_private_segment_fixed_size 0
		.amdhsa_kernarg_size 40
		.amdhsa_user_sgpr_count 6
		.amdhsa_user_sgpr_private_segment_buffer 1
		.amdhsa_user_sgpr_dispatch_ptr 0
		.amdhsa_user_sgpr_queue_ptr 0
		.amdhsa_user_sgpr_kernarg_segment_ptr 1
		.amdhsa_user_sgpr_dispatch_id 0
		.amdhsa_user_sgpr_flat_scratch_init 0
		.amdhsa_user_sgpr_private_segment_size 0
		.amdhsa_uses_dynamic_stack 0
		.amdhsa_system_sgpr_private_segment_wavefront_offset 0
		.amdhsa_system_sgpr_workgroup_id_x 1
		.amdhsa_system_sgpr_workgroup_id_y 0
		.amdhsa_system_sgpr_workgroup_id_z 0
		.amdhsa_system_sgpr_workgroup_info 0
		.amdhsa_system_vgpr_workitem_id 0
		.amdhsa_next_free_vgpr 1
		.amdhsa_next_free_sgpr 0
		.amdhsa_reserve_vcc 0
		.amdhsa_reserve_flat_scratch 0
		.amdhsa_float_round_mode_32 0
		.amdhsa_float_round_mode_16_64 0
		.amdhsa_float_denorm_mode_32 3
		.amdhsa_float_denorm_mode_16_64 3
		.amdhsa_dx10_clamp 1
		.amdhsa_ieee_mode 1
		.amdhsa_fp16_overflow 0
		.amdhsa_exception_fp_ieee_invalid_op 0
		.amdhsa_exception_fp_denorm_src 0
		.amdhsa_exception_fp_ieee_div_zero 0
		.amdhsa_exception_fp_ieee_overflow 0
		.amdhsa_exception_fp_ieee_underflow 0
		.amdhsa_exception_fp_ieee_inexact 0
		.amdhsa_exception_int_div_zero 0
	.end_amdhsa_kernel
	.section	.text._ZN7rocprim17ROCPRIM_400000_NS6detail17trampoline_kernelINS0_14default_configENS1_38merge_sort_block_merge_config_selectorIalEEZZNS1_27merge_sort_block_merge_implIS3_PaN6thrust23THRUST_200600_302600_NS10device_ptrIlEEjNS1_19radix_merge_compareILb0ELb1EaNS0_19identity_decomposerEEEEE10hipError_tT0_T1_T2_jT3_P12ihipStream_tbPNSt15iterator_traitsISG_E10value_typeEPNSM_ISH_E10value_typeEPSI_NS1_7vsmem_tEENKUlT_SG_SH_SI_E_clIS7_S7_PlSB_EESF_SV_SG_SH_SI_EUlSV_E_NS1_11comp_targetILNS1_3genE0ELNS1_11target_archE4294967295ELNS1_3gpuE0ELNS1_3repE0EEENS1_48merge_mergepath_partition_config_static_selectorELNS0_4arch9wavefront6targetE1EEEvSH_,"axG",@progbits,_ZN7rocprim17ROCPRIM_400000_NS6detail17trampoline_kernelINS0_14default_configENS1_38merge_sort_block_merge_config_selectorIalEEZZNS1_27merge_sort_block_merge_implIS3_PaN6thrust23THRUST_200600_302600_NS10device_ptrIlEEjNS1_19radix_merge_compareILb0ELb1EaNS0_19identity_decomposerEEEEE10hipError_tT0_T1_T2_jT3_P12ihipStream_tbPNSt15iterator_traitsISG_E10value_typeEPNSM_ISH_E10value_typeEPSI_NS1_7vsmem_tEENKUlT_SG_SH_SI_E_clIS7_S7_PlSB_EESF_SV_SG_SH_SI_EUlSV_E_NS1_11comp_targetILNS1_3genE0ELNS1_11target_archE4294967295ELNS1_3gpuE0ELNS1_3repE0EEENS1_48merge_mergepath_partition_config_static_selectorELNS0_4arch9wavefront6targetE1EEEvSH_,comdat
.Lfunc_end534:
	.size	_ZN7rocprim17ROCPRIM_400000_NS6detail17trampoline_kernelINS0_14default_configENS1_38merge_sort_block_merge_config_selectorIalEEZZNS1_27merge_sort_block_merge_implIS3_PaN6thrust23THRUST_200600_302600_NS10device_ptrIlEEjNS1_19radix_merge_compareILb0ELb1EaNS0_19identity_decomposerEEEEE10hipError_tT0_T1_T2_jT3_P12ihipStream_tbPNSt15iterator_traitsISG_E10value_typeEPNSM_ISH_E10value_typeEPSI_NS1_7vsmem_tEENKUlT_SG_SH_SI_E_clIS7_S7_PlSB_EESF_SV_SG_SH_SI_EUlSV_E_NS1_11comp_targetILNS1_3genE0ELNS1_11target_archE4294967295ELNS1_3gpuE0ELNS1_3repE0EEENS1_48merge_mergepath_partition_config_static_selectorELNS0_4arch9wavefront6targetE1EEEvSH_, .Lfunc_end534-_ZN7rocprim17ROCPRIM_400000_NS6detail17trampoline_kernelINS0_14default_configENS1_38merge_sort_block_merge_config_selectorIalEEZZNS1_27merge_sort_block_merge_implIS3_PaN6thrust23THRUST_200600_302600_NS10device_ptrIlEEjNS1_19radix_merge_compareILb0ELb1EaNS0_19identity_decomposerEEEEE10hipError_tT0_T1_T2_jT3_P12ihipStream_tbPNSt15iterator_traitsISG_E10value_typeEPNSM_ISH_E10value_typeEPSI_NS1_7vsmem_tEENKUlT_SG_SH_SI_E_clIS7_S7_PlSB_EESF_SV_SG_SH_SI_EUlSV_E_NS1_11comp_targetILNS1_3genE0ELNS1_11target_archE4294967295ELNS1_3gpuE0ELNS1_3repE0EEENS1_48merge_mergepath_partition_config_static_selectorELNS0_4arch9wavefront6targetE1EEEvSH_
                                        ; -- End function
	.set _ZN7rocprim17ROCPRIM_400000_NS6detail17trampoline_kernelINS0_14default_configENS1_38merge_sort_block_merge_config_selectorIalEEZZNS1_27merge_sort_block_merge_implIS3_PaN6thrust23THRUST_200600_302600_NS10device_ptrIlEEjNS1_19radix_merge_compareILb0ELb1EaNS0_19identity_decomposerEEEEE10hipError_tT0_T1_T2_jT3_P12ihipStream_tbPNSt15iterator_traitsISG_E10value_typeEPNSM_ISH_E10value_typeEPSI_NS1_7vsmem_tEENKUlT_SG_SH_SI_E_clIS7_S7_PlSB_EESF_SV_SG_SH_SI_EUlSV_E_NS1_11comp_targetILNS1_3genE0ELNS1_11target_archE4294967295ELNS1_3gpuE0ELNS1_3repE0EEENS1_48merge_mergepath_partition_config_static_selectorELNS0_4arch9wavefront6targetE1EEEvSH_.num_vgpr, 0
	.set _ZN7rocprim17ROCPRIM_400000_NS6detail17trampoline_kernelINS0_14default_configENS1_38merge_sort_block_merge_config_selectorIalEEZZNS1_27merge_sort_block_merge_implIS3_PaN6thrust23THRUST_200600_302600_NS10device_ptrIlEEjNS1_19radix_merge_compareILb0ELb1EaNS0_19identity_decomposerEEEEE10hipError_tT0_T1_T2_jT3_P12ihipStream_tbPNSt15iterator_traitsISG_E10value_typeEPNSM_ISH_E10value_typeEPSI_NS1_7vsmem_tEENKUlT_SG_SH_SI_E_clIS7_S7_PlSB_EESF_SV_SG_SH_SI_EUlSV_E_NS1_11comp_targetILNS1_3genE0ELNS1_11target_archE4294967295ELNS1_3gpuE0ELNS1_3repE0EEENS1_48merge_mergepath_partition_config_static_selectorELNS0_4arch9wavefront6targetE1EEEvSH_.num_agpr, 0
	.set _ZN7rocprim17ROCPRIM_400000_NS6detail17trampoline_kernelINS0_14default_configENS1_38merge_sort_block_merge_config_selectorIalEEZZNS1_27merge_sort_block_merge_implIS3_PaN6thrust23THRUST_200600_302600_NS10device_ptrIlEEjNS1_19radix_merge_compareILb0ELb1EaNS0_19identity_decomposerEEEEE10hipError_tT0_T1_T2_jT3_P12ihipStream_tbPNSt15iterator_traitsISG_E10value_typeEPNSM_ISH_E10value_typeEPSI_NS1_7vsmem_tEENKUlT_SG_SH_SI_E_clIS7_S7_PlSB_EESF_SV_SG_SH_SI_EUlSV_E_NS1_11comp_targetILNS1_3genE0ELNS1_11target_archE4294967295ELNS1_3gpuE0ELNS1_3repE0EEENS1_48merge_mergepath_partition_config_static_selectorELNS0_4arch9wavefront6targetE1EEEvSH_.numbered_sgpr, 0
	.set _ZN7rocprim17ROCPRIM_400000_NS6detail17trampoline_kernelINS0_14default_configENS1_38merge_sort_block_merge_config_selectorIalEEZZNS1_27merge_sort_block_merge_implIS3_PaN6thrust23THRUST_200600_302600_NS10device_ptrIlEEjNS1_19radix_merge_compareILb0ELb1EaNS0_19identity_decomposerEEEEE10hipError_tT0_T1_T2_jT3_P12ihipStream_tbPNSt15iterator_traitsISG_E10value_typeEPNSM_ISH_E10value_typeEPSI_NS1_7vsmem_tEENKUlT_SG_SH_SI_E_clIS7_S7_PlSB_EESF_SV_SG_SH_SI_EUlSV_E_NS1_11comp_targetILNS1_3genE0ELNS1_11target_archE4294967295ELNS1_3gpuE0ELNS1_3repE0EEENS1_48merge_mergepath_partition_config_static_selectorELNS0_4arch9wavefront6targetE1EEEvSH_.num_named_barrier, 0
	.set _ZN7rocprim17ROCPRIM_400000_NS6detail17trampoline_kernelINS0_14default_configENS1_38merge_sort_block_merge_config_selectorIalEEZZNS1_27merge_sort_block_merge_implIS3_PaN6thrust23THRUST_200600_302600_NS10device_ptrIlEEjNS1_19radix_merge_compareILb0ELb1EaNS0_19identity_decomposerEEEEE10hipError_tT0_T1_T2_jT3_P12ihipStream_tbPNSt15iterator_traitsISG_E10value_typeEPNSM_ISH_E10value_typeEPSI_NS1_7vsmem_tEENKUlT_SG_SH_SI_E_clIS7_S7_PlSB_EESF_SV_SG_SH_SI_EUlSV_E_NS1_11comp_targetILNS1_3genE0ELNS1_11target_archE4294967295ELNS1_3gpuE0ELNS1_3repE0EEENS1_48merge_mergepath_partition_config_static_selectorELNS0_4arch9wavefront6targetE1EEEvSH_.private_seg_size, 0
	.set _ZN7rocprim17ROCPRIM_400000_NS6detail17trampoline_kernelINS0_14default_configENS1_38merge_sort_block_merge_config_selectorIalEEZZNS1_27merge_sort_block_merge_implIS3_PaN6thrust23THRUST_200600_302600_NS10device_ptrIlEEjNS1_19radix_merge_compareILb0ELb1EaNS0_19identity_decomposerEEEEE10hipError_tT0_T1_T2_jT3_P12ihipStream_tbPNSt15iterator_traitsISG_E10value_typeEPNSM_ISH_E10value_typeEPSI_NS1_7vsmem_tEENKUlT_SG_SH_SI_E_clIS7_S7_PlSB_EESF_SV_SG_SH_SI_EUlSV_E_NS1_11comp_targetILNS1_3genE0ELNS1_11target_archE4294967295ELNS1_3gpuE0ELNS1_3repE0EEENS1_48merge_mergepath_partition_config_static_selectorELNS0_4arch9wavefront6targetE1EEEvSH_.uses_vcc, 0
	.set _ZN7rocprim17ROCPRIM_400000_NS6detail17trampoline_kernelINS0_14default_configENS1_38merge_sort_block_merge_config_selectorIalEEZZNS1_27merge_sort_block_merge_implIS3_PaN6thrust23THRUST_200600_302600_NS10device_ptrIlEEjNS1_19radix_merge_compareILb0ELb1EaNS0_19identity_decomposerEEEEE10hipError_tT0_T1_T2_jT3_P12ihipStream_tbPNSt15iterator_traitsISG_E10value_typeEPNSM_ISH_E10value_typeEPSI_NS1_7vsmem_tEENKUlT_SG_SH_SI_E_clIS7_S7_PlSB_EESF_SV_SG_SH_SI_EUlSV_E_NS1_11comp_targetILNS1_3genE0ELNS1_11target_archE4294967295ELNS1_3gpuE0ELNS1_3repE0EEENS1_48merge_mergepath_partition_config_static_selectorELNS0_4arch9wavefront6targetE1EEEvSH_.uses_flat_scratch, 0
	.set _ZN7rocprim17ROCPRIM_400000_NS6detail17trampoline_kernelINS0_14default_configENS1_38merge_sort_block_merge_config_selectorIalEEZZNS1_27merge_sort_block_merge_implIS3_PaN6thrust23THRUST_200600_302600_NS10device_ptrIlEEjNS1_19radix_merge_compareILb0ELb1EaNS0_19identity_decomposerEEEEE10hipError_tT0_T1_T2_jT3_P12ihipStream_tbPNSt15iterator_traitsISG_E10value_typeEPNSM_ISH_E10value_typeEPSI_NS1_7vsmem_tEENKUlT_SG_SH_SI_E_clIS7_S7_PlSB_EESF_SV_SG_SH_SI_EUlSV_E_NS1_11comp_targetILNS1_3genE0ELNS1_11target_archE4294967295ELNS1_3gpuE0ELNS1_3repE0EEENS1_48merge_mergepath_partition_config_static_selectorELNS0_4arch9wavefront6targetE1EEEvSH_.has_dyn_sized_stack, 0
	.set _ZN7rocprim17ROCPRIM_400000_NS6detail17trampoline_kernelINS0_14default_configENS1_38merge_sort_block_merge_config_selectorIalEEZZNS1_27merge_sort_block_merge_implIS3_PaN6thrust23THRUST_200600_302600_NS10device_ptrIlEEjNS1_19radix_merge_compareILb0ELb1EaNS0_19identity_decomposerEEEEE10hipError_tT0_T1_T2_jT3_P12ihipStream_tbPNSt15iterator_traitsISG_E10value_typeEPNSM_ISH_E10value_typeEPSI_NS1_7vsmem_tEENKUlT_SG_SH_SI_E_clIS7_S7_PlSB_EESF_SV_SG_SH_SI_EUlSV_E_NS1_11comp_targetILNS1_3genE0ELNS1_11target_archE4294967295ELNS1_3gpuE0ELNS1_3repE0EEENS1_48merge_mergepath_partition_config_static_selectorELNS0_4arch9wavefront6targetE1EEEvSH_.has_recursion, 0
	.set _ZN7rocprim17ROCPRIM_400000_NS6detail17trampoline_kernelINS0_14default_configENS1_38merge_sort_block_merge_config_selectorIalEEZZNS1_27merge_sort_block_merge_implIS3_PaN6thrust23THRUST_200600_302600_NS10device_ptrIlEEjNS1_19radix_merge_compareILb0ELb1EaNS0_19identity_decomposerEEEEE10hipError_tT0_T1_T2_jT3_P12ihipStream_tbPNSt15iterator_traitsISG_E10value_typeEPNSM_ISH_E10value_typeEPSI_NS1_7vsmem_tEENKUlT_SG_SH_SI_E_clIS7_S7_PlSB_EESF_SV_SG_SH_SI_EUlSV_E_NS1_11comp_targetILNS1_3genE0ELNS1_11target_archE4294967295ELNS1_3gpuE0ELNS1_3repE0EEENS1_48merge_mergepath_partition_config_static_selectorELNS0_4arch9wavefront6targetE1EEEvSH_.has_indirect_call, 0
	.section	.AMDGPU.csdata,"",@progbits
; Kernel info:
; codeLenInByte = 0
; TotalNumSgprs: 4
; NumVgprs: 0
; ScratchSize: 0
; MemoryBound: 0
; FloatMode: 240
; IeeeMode: 1
; LDSByteSize: 0 bytes/workgroup (compile time only)
; SGPRBlocks: 0
; VGPRBlocks: 0
; NumSGPRsForWavesPerEU: 4
; NumVGPRsForWavesPerEU: 1
; Occupancy: 10
; WaveLimiterHint : 0
; COMPUTE_PGM_RSRC2:SCRATCH_EN: 0
; COMPUTE_PGM_RSRC2:USER_SGPR: 6
; COMPUTE_PGM_RSRC2:TRAP_HANDLER: 0
; COMPUTE_PGM_RSRC2:TGID_X_EN: 1
; COMPUTE_PGM_RSRC2:TGID_Y_EN: 0
; COMPUTE_PGM_RSRC2:TGID_Z_EN: 0
; COMPUTE_PGM_RSRC2:TIDIG_COMP_CNT: 0
	.section	.text._ZN7rocprim17ROCPRIM_400000_NS6detail17trampoline_kernelINS0_14default_configENS1_38merge_sort_block_merge_config_selectorIalEEZZNS1_27merge_sort_block_merge_implIS3_PaN6thrust23THRUST_200600_302600_NS10device_ptrIlEEjNS1_19radix_merge_compareILb0ELb1EaNS0_19identity_decomposerEEEEE10hipError_tT0_T1_T2_jT3_P12ihipStream_tbPNSt15iterator_traitsISG_E10value_typeEPNSM_ISH_E10value_typeEPSI_NS1_7vsmem_tEENKUlT_SG_SH_SI_E_clIS7_S7_PlSB_EESF_SV_SG_SH_SI_EUlSV_E_NS1_11comp_targetILNS1_3genE10ELNS1_11target_archE1201ELNS1_3gpuE5ELNS1_3repE0EEENS1_48merge_mergepath_partition_config_static_selectorELNS0_4arch9wavefront6targetE1EEEvSH_,"axG",@progbits,_ZN7rocprim17ROCPRIM_400000_NS6detail17trampoline_kernelINS0_14default_configENS1_38merge_sort_block_merge_config_selectorIalEEZZNS1_27merge_sort_block_merge_implIS3_PaN6thrust23THRUST_200600_302600_NS10device_ptrIlEEjNS1_19radix_merge_compareILb0ELb1EaNS0_19identity_decomposerEEEEE10hipError_tT0_T1_T2_jT3_P12ihipStream_tbPNSt15iterator_traitsISG_E10value_typeEPNSM_ISH_E10value_typeEPSI_NS1_7vsmem_tEENKUlT_SG_SH_SI_E_clIS7_S7_PlSB_EESF_SV_SG_SH_SI_EUlSV_E_NS1_11comp_targetILNS1_3genE10ELNS1_11target_archE1201ELNS1_3gpuE5ELNS1_3repE0EEENS1_48merge_mergepath_partition_config_static_selectorELNS0_4arch9wavefront6targetE1EEEvSH_,comdat
	.protected	_ZN7rocprim17ROCPRIM_400000_NS6detail17trampoline_kernelINS0_14default_configENS1_38merge_sort_block_merge_config_selectorIalEEZZNS1_27merge_sort_block_merge_implIS3_PaN6thrust23THRUST_200600_302600_NS10device_ptrIlEEjNS1_19radix_merge_compareILb0ELb1EaNS0_19identity_decomposerEEEEE10hipError_tT0_T1_T2_jT3_P12ihipStream_tbPNSt15iterator_traitsISG_E10value_typeEPNSM_ISH_E10value_typeEPSI_NS1_7vsmem_tEENKUlT_SG_SH_SI_E_clIS7_S7_PlSB_EESF_SV_SG_SH_SI_EUlSV_E_NS1_11comp_targetILNS1_3genE10ELNS1_11target_archE1201ELNS1_3gpuE5ELNS1_3repE0EEENS1_48merge_mergepath_partition_config_static_selectorELNS0_4arch9wavefront6targetE1EEEvSH_ ; -- Begin function _ZN7rocprim17ROCPRIM_400000_NS6detail17trampoline_kernelINS0_14default_configENS1_38merge_sort_block_merge_config_selectorIalEEZZNS1_27merge_sort_block_merge_implIS3_PaN6thrust23THRUST_200600_302600_NS10device_ptrIlEEjNS1_19radix_merge_compareILb0ELb1EaNS0_19identity_decomposerEEEEE10hipError_tT0_T1_T2_jT3_P12ihipStream_tbPNSt15iterator_traitsISG_E10value_typeEPNSM_ISH_E10value_typeEPSI_NS1_7vsmem_tEENKUlT_SG_SH_SI_E_clIS7_S7_PlSB_EESF_SV_SG_SH_SI_EUlSV_E_NS1_11comp_targetILNS1_3genE10ELNS1_11target_archE1201ELNS1_3gpuE5ELNS1_3repE0EEENS1_48merge_mergepath_partition_config_static_selectorELNS0_4arch9wavefront6targetE1EEEvSH_
	.globl	_ZN7rocprim17ROCPRIM_400000_NS6detail17trampoline_kernelINS0_14default_configENS1_38merge_sort_block_merge_config_selectorIalEEZZNS1_27merge_sort_block_merge_implIS3_PaN6thrust23THRUST_200600_302600_NS10device_ptrIlEEjNS1_19radix_merge_compareILb0ELb1EaNS0_19identity_decomposerEEEEE10hipError_tT0_T1_T2_jT3_P12ihipStream_tbPNSt15iterator_traitsISG_E10value_typeEPNSM_ISH_E10value_typeEPSI_NS1_7vsmem_tEENKUlT_SG_SH_SI_E_clIS7_S7_PlSB_EESF_SV_SG_SH_SI_EUlSV_E_NS1_11comp_targetILNS1_3genE10ELNS1_11target_archE1201ELNS1_3gpuE5ELNS1_3repE0EEENS1_48merge_mergepath_partition_config_static_selectorELNS0_4arch9wavefront6targetE1EEEvSH_
	.p2align	8
	.type	_ZN7rocprim17ROCPRIM_400000_NS6detail17trampoline_kernelINS0_14default_configENS1_38merge_sort_block_merge_config_selectorIalEEZZNS1_27merge_sort_block_merge_implIS3_PaN6thrust23THRUST_200600_302600_NS10device_ptrIlEEjNS1_19radix_merge_compareILb0ELb1EaNS0_19identity_decomposerEEEEE10hipError_tT0_T1_T2_jT3_P12ihipStream_tbPNSt15iterator_traitsISG_E10value_typeEPNSM_ISH_E10value_typeEPSI_NS1_7vsmem_tEENKUlT_SG_SH_SI_E_clIS7_S7_PlSB_EESF_SV_SG_SH_SI_EUlSV_E_NS1_11comp_targetILNS1_3genE10ELNS1_11target_archE1201ELNS1_3gpuE5ELNS1_3repE0EEENS1_48merge_mergepath_partition_config_static_selectorELNS0_4arch9wavefront6targetE1EEEvSH_,@function
_ZN7rocprim17ROCPRIM_400000_NS6detail17trampoline_kernelINS0_14default_configENS1_38merge_sort_block_merge_config_selectorIalEEZZNS1_27merge_sort_block_merge_implIS3_PaN6thrust23THRUST_200600_302600_NS10device_ptrIlEEjNS1_19radix_merge_compareILb0ELb1EaNS0_19identity_decomposerEEEEE10hipError_tT0_T1_T2_jT3_P12ihipStream_tbPNSt15iterator_traitsISG_E10value_typeEPNSM_ISH_E10value_typeEPSI_NS1_7vsmem_tEENKUlT_SG_SH_SI_E_clIS7_S7_PlSB_EESF_SV_SG_SH_SI_EUlSV_E_NS1_11comp_targetILNS1_3genE10ELNS1_11target_archE1201ELNS1_3gpuE5ELNS1_3repE0EEENS1_48merge_mergepath_partition_config_static_selectorELNS0_4arch9wavefront6targetE1EEEvSH_: ; @_ZN7rocprim17ROCPRIM_400000_NS6detail17trampoline_kernelINS0_14default_configENS1_38merge_sort_block_merge_config_selectorIalEEZZNS1_27merge_sort_block_merge_implIS3_PaN6thrust23THRUST_200600_302600_NS10device_ptrIlEEjNS1_19radix_merge_compareILb0ELb1EaNS0_19identity_decomposerEEEEE10hipError_tT0_T1_T2_jT3_P12ihipStream_tbPNSt15iterator_traitsISG_E10value_typeEPNSM_ISH_E10value_typeEPSI_NS1_7vsmem_tEENKUlT_SG_SH_SI_E_clIS7_S7_PlSB_EESF_SV_SG_SH_SI_EUlSV_E_NS1_11comp_targetILNS1_3genE10ELNS1_11target_archE1201ELNS1_3gpuE5ELNS1_3repE0EEENS1_48merge_mergepath_partition_config_static_selectorELNS0_4arch9wavefront6targetE1EEEvSH_
; %bb.0:
	.section	.rodata,"a",@progbits
	.p2align	6, 0x0
	.amdhsa_kernel _ZN7rocprim17ROCPRIM_400000_NS6detail17trampoline_kernelINS0_14default_configENS1_38merge_sort_block_merge_config_selectorIalEEZZNS1_27merge_sort_block_merge_implIS3_PaN6thrust23THRUST_200600_302600_NS10device_ptrIlEEjNS1_19radix_merge_compareILb0ELb1EaNS0_19identity_decomposerEEEEE10hipError_tT0_T1_T2_jT3_P12ihipStream_tbPNSt15iterator_traitsISG_E10value_typeEPNSM_ISH_E10value_typeEPSI_NS1_7vsmem_tEENKUlT_SG_SH_SI_E_clIS7_S7_PlSB_EESF_SV_SG_SH_SI_EUlSV_E_NS1_11comp_targetILNS1_3genE10ELNS1_11target_archE1201ELNS1_3gpuE5ELNS1_3repE0EEENS1_48merge_mergepath_partition_config_static_selectorELNS0_4arch9wavefront6targetE1EEEvSH_
		.amdhsa_group_segment_fixed_size 0
		.amdhsa_private_segment_fixed_size 0
		.amdhsa_kernarg_size 40
		.amdhsa_user_sgpr_count 6
		.amdhsa_user_sgpr_private_segment_buffer 1
		.amdhsa_user_sgpr_dispatch_ptr 0
		.amdhsa_user_sgpr_queue_ptr 0
		.amdhsa_user_sgpr_kernarg_segment_ptr 1
		.amdhsa_user_sgpr_dispatch_id 0
		.amdhsa_user_sgpr_flat_scratch_init 0
		.amdhsa_user_sgpr_private_segment_size 0
		.amdhsa_uses_dynamic_stack 0
		.amdhsa_system_sgpr_private_segment_wavefront_offset 0
		.amdhsa_system_sgpr_workgroup_id_x 1
		.amdhsa_system_sgpr_workgroup_id_y 0
		.amdhsa_system_sgpr_workgroup_id_z 0
		.amdhsa_system_sgpr_workgroup_info 0
		.amdhsa_system_vgpr_workitem_id 0
		.amdhsa_next_free_vgpr 1
		.amdhsa_next_free_sgpr 0
		.amdhsa_reserve_vcc 0
		.amdhsa_reserve_flat_scratch 0
		.amdhsa_float_round_mode_32 0
		.amdhsa_float_round_mode_16_64 0
		.amdhsa_float_denorm_mode_32 3
		.amdhsa_float_denorm_mode_16_64 3
		.amdhsa_dx10_clamp 1
		.amdhsa_ieee_mode 1
		.amdhsa_fp16_overflow 0
		.amdhsa_exception_fp_ieee_invalid_op 0
		.amdhsa_exception_fp_denorm_src 0
		.amdhsa_exception_fp_ieee_div_zero 0
		.amdhsa_exception_fp_ieee_overflow 0
		.amdhsa_exception_fp_ieee_underflow 0
		.amdhsa_exception_fp_ieee_inexact 0
		.amdhsa_exception_int_div_zero 0
	.end_amdhsa_kernel
	.section	.text._ZN7rocprim17ROCPRIM_400000_NS6detail17trampoline_kernelINS0_14default_configENS1_38merge_sort_block_merge_config_selectorIalEEZZNS1_27merge_sort_block_merge_implIS3_PaN6thrust23THRUST_200600_302600_NS10device_ptrIlEEjNS1_19radix_merge_compareILb0ELb1EaNS0_19identity_decomposerEEEEE10hipError_tT0_T1_T2_jT3_P12ihipStream_tbPNSt15iterator_traitsISG_E10value_typeEPNSM_ISH_E10value_typeEPSI_NS1_7vsmem_tEENKUlT_SG_SH_SI_E_clIS7_S7_PlSB_EESF_SV_SG_SH_SI_EUlSV_E_NS1_11comp_targetILNS1_3genE10ELNS1_11target_archE1201ELNS1_3gpuE5ELNS1_3repE0EEENS1_48merge_mergepath_partition_config_static_selectorELNS0_4arch9wavefront6targetE1EEEvSH_,"axG",@progbits,_ZN7rocprim17ROCPRIM_400000_NS6detail17trampoline_kernelINS0_14default_configENS1_38merge_sort_block_merge_config_selectorIalEEZZNS1_27merge_sort_block_merge_implIS3_PaN6thrust23THRUST_200600_302600_NS10device_ptrIlEEjNS1_19radix_merge_compareILb0ELb1EaNS0_19identity_decomposerEEEEE10hipError_tT0_T1_T2_jT3_P12ihipStream_tbPNSt15iterator_traitsISG_E10value_typeEPNSM_ISH_E10value_typeEPSI_NS1_7vsmem_tEENKUlT_SG_SH_SI_E_clIS7_S7_PlSB_EESF_SV_SG_SH_SI_EUlSV_E_NS1_11comp_targetILNS1_3genE10ELNS1_11target_archE1201ELNS1_3gpuE5ELNS1_3repE0EEENS1_48merge_mergepath_partition_config_static_selectorELNS0_4arch9wavefront6targetE1EEEvSH_,comdat
.Lfunc_end535:
	.size	_ZN7rocprim17ROCPRIM_400000_NS6detail17trampoline_kernelINS0_14default_configENS1_38merge_sort_block_merge_config_selectorIalEEZZNS1_27merge_sort_block_merge_implIS3_PaN6thrust23THRUST_200600_302600_NS10device_ptrIlEEjNS1_19radix_merge_compareILb0ELb1EaNS0_19identity_decomposerEEEEE10hipError_tT0_T1_T2_jT3_P12ihipStream_tbPNSt15iterator_traitsISG_E10value_typeEPNSM_ISH_E10value_typeEPSI_NS1_7vsmem_tEENKUlT_SG_SH_SI_E_clIS7_S7_PlSB_EESF_SV_SG_SH_SI_EUlSV_E_NS1_11comp_targetILNS1_3genE10ELNS1_11target_archE1201ELNS1_3gpuE5ELNS1_3repE0EEENS1_48merge_mergepath_partition_config_static_selectorELNS0_4arch9wavefront6targetE1EEEvSH_, .Lfunc_end535-_ZN7rocprim17ROCPRIM_400000_NS6detail17trampoline_kernelINS0_14default_configENS1_38merge_sort_block_merge_config_selectorIalEEZZNS1_27merge_sort_block_merge_implIS3_PaN6thrust23THRUST_200600_302600_NS10device_ptrIlEEjNS1_19radix_merge_compareILb0ELb1EaNS0_19identity_decomposerEEEEE10hipError_tT0_T1_T2_jT3_P12ihipStream_tbPNSt15iterator_traitsISG_E10value_typeEPNSM_ISH_E10value_typeEPSI_NS1_7vsmem_tEENKUlT_SG_SH_SI_E_clIS7_S7_PlSB_EESF_SV_SG_SH_SI_EUlSV_E_NS1_11comp_targetILNS1_3genE10ELNS1_11target_archE1201ELNS1_3gpuE5ELNS1_3repE0EEENS1_48merge_mergepath_partition_config_static_selectorELNS0_4arch9wavefront6targetE1EEEvSH_
                                        ; -- End function
	.set _ZN7rocprim17ROCPRIM_400000_NS6detail17trampoline_kernelINS0_14default_configENS1_38merge_sort_block_merge_config_selectorIalEEZZNS1_27merge_sort_block_merge_implIS3_PaN6thrust23THRUST_200600_302600_NS10device_ptrIlEEjNS1_19radix_merge_compareILb0ELb1EaNS0_19identity_decomposerEEEEE10hipError_tT0_T1_T2_jT3_P12ihipStream_tbPNSt15iterator_traitsISG_E10value_typeEPNSM_ISH_E10value_typeEPSI_NS1_7vsmem_tEENKUlT_SG_SH_SI_E_clIS7_S7_PlSB_EESF_SV_SG_SH_SI_EUlSV_E_NS1_11comp_targetILNS1_3genE10ELNS1_11target_archE1201ELNS1_3gpuE5ELNS1_3repE0EEENS1_48merge_mergepath_partition_config_static_selectorELNS0_4arch9wavefront6targetE1EEEvSH_.num_vgpr, 0
	.set _ZN7rocprim17ROCPRIM_400000_NS6detail17trampoline_kernelINS0_14default_configENS1_38merge_sort_block_merge_config_selectorIalEEZZNS1_27merge_sort_block_merge_implIS3_PaN6thrust23THRUST_200600_302600_NS10device_ptrIlEEjNS1_19radix_merge_compareILb0ELb1EaNS0_19identity_decomposerEEEEE10hipError_tT0_T1_T2_jT3_P12ihipStream_tbPNSt15iterator_traitsISG_E10value_typeEPNSM_ISH_E10value_typeEPSI_NS1_7vsmem_tEENKUlT_SG_SH_SI_E_clIS7_S7_PlSB_EESF_SV_SG_SH_SI_EUlSV_E_NS1_11comp_targetILNS1_3genE10ELNS1_11target_archE1201ELNS1_3gpuE5ELNS1_3repE0EEENS1_48merge_mergepath_partition_config_static_selectorELNS0_4arch9wavefront6targetE1EEEvSH_.num_agpr, 0
	.set _ZN7rocprim17ROCPRIM_400000_NS6detail17trampoline_kernelINS0_14default_configENS1_38merge_sort_block_merge_config_selectorIalEEZZNS1_27merge_sort_block_merge_implIS3_PaN6thrust23THRUST_200600_302600_NS10device_ptrIlEEjNS1_19radix_merge_compareILb0ELb1EaNS0_19identity_decomposerEEEEE10hipError_tT0_T1_T2_jT3_P12ihipStream_tbPNSt15iterator_traitsISG_E10value_typeEPNSM_ISH_E10value_typeEPSI_NS1_7vsmem_tEENKUlT_SG_SH_SI_E_clIS7_S7_PlSB_EESF_SV_SG_SH_SI_EUlSV_E_NS1_11comp_targetILNS1_3genE10ELNS1_11target_archE1201ELNS1_3gpuE5ELNS1_3repE0EEENS1_48merge_mergepath_partition_config_static_selectorELNS0_4arch9wavefront6targetE1EEEvSH_.numbered_sgpr, 0
	.set _ZN7rocprim17ROCPRIM_400000_NS6detail17trampoline_kernelINS0_14default_configENS1_38merge_sort_block_merge_config_selectorIalEEZZNS1_27merge_sort_block_merge_implIS3_PaN6thrust23THRUST_200600_302600_NS10device_ptrIlEEjNS1_19radix_merge_compareILb0ELb1EaNS0_19identity_decomposerEEEEE10hipError_tT0_T1_T2_jT3_P12ihipStream_tbPNSt15iterator_traitsISG_E10value_typeEPNSM_ISH_E10value_typeEPSI_NS1_7vsmem_tEENKUlT_SG_SH_SI_E_clIS7_S7_PlSB_EESF_SV_SG_SH_SI_EUlSV_E_NS1_11comp_targetILNS1_3genE10ELNS1_11target_archE1201ELNS1_3gpuE5ELNS1_3repE0EEENS1_48merge_mergepath_partition_config_static_selectorELNS0_4arch9wavefront6targetE1EEEvSH_.num_named_barrier, 0
	.set _ZN7rocprim17ROCPRIM_400000_NS6detail17trampoline_kernelINS0_14default_configENS1_38merge_sort_block_merge_config_selectorIalEEZZNS1_27merge_sort_block_merge_implIS3_PaN6thrust23THRUST_200600_302600_NS10device_ptrIlEEjNS1_19radix_merge_compareILb0ELb1EaNS0_19identity_decomposerEEEEE10hipError_tT0_T1_T2_jT3_P12ihipStream_tbPNSt15iterator_traitsISG_E10value_typeEPNSM_ISH_E10value_typeEPSI_NS1_7vsmem_tEENKUlT_SG_SH_SI_E_clIS7_S7_PlSB_EESF_SV_SG_SH_SI_EUlSV_E_NS1_11comp_targetILNS1_3genE10ELNS1_11target_archE1201ELNS1_3gpuE5ELNS1_3repE0EEENS1_48merge_mergepath_partition_config_static_selectorELNS0_4arch9wavefront6targetE1EEEvSH_.private_seg_size, 0
	.set _ZN7rocprim17ROCPRIM_400000_NS6detail17trampoline_kernelINS0_14default_configENS1_38merge_sort_block_merge_config_selectorIalEEZZNS1_27merge_sort_block_merge_implIS3_PaN6thrust23THRUST_200600_302600_NS10device_ptrIlEEjNS1_19radix_merge_compareILb0ELb1EaNS0_19identity_decomposerEEEEE10hipError_tT0_T1_T2_jT3_P12ihipStream_tbPNSt15iterator_traitsISG_E10value_typeEPNSM_ISH_E10value_typeEPSI_NS1_7vsmem_tEENKUlT_SG_SH_SI_E_clIS7_S7_PlSB_EESF_SV_SG_SH_SI_EUlSV_E_NS1_11comp_targetILNS1_3genE10ELNS1_11target_archE1201ELNS1_3gpuE5ELNS1_3repE0EEENS1_48merge_mergepath_partition_config_static_selectorELNS0_4arch9wavefront6targetE1EEEvSH_.uses_vcc, 0
	.set _ZN7rocprim17ROCPRIM_400000_NS6detail17trampoline_kernelINS0_14default_configENS1_38merge_sort_block_merge_config_selectorIalEEZZNS1_27merge_sort_block_merge_implIS3_PaN6thrust23THRUST_200600_302600_NS10device_ptrIlEEjNS1_19radix_merge_compareILb0ELb1EaNS0_19identity_decomposerEEEEE10hipError_tT0_T1_T2_jT3_P12ihipStream_tbPNSt15iterator_traitsISG_E10value_typeEPNSM_ISH_E10value_typeEPSI_NS1_7vsmem_tEENKUlT_SG_SH_SI_E_clIS7_S7_PlSB_EESF_SV_SG_SH_SI_EUlSV_E_NS1_11comp_targetILNS1_3genE10ELNS1_11target_archE1201ELNS1_3gpuE5ELNS1_3repE0EEENS1_48merge_mergepath_partition_config_static_selectorELNS0_4arch9wavefront6targetE1EEEvSH_.uses_flat_scratch, 0
	.set _ZN7rocprim17ROCPRIM_400000_NS6detail17trampoline_kernelINS0_14default_configENS1_38merge_sort_block_merge_config_selectorIalEEZZNS1_27merge_sort_block_merge_implIS3_PaN6thrust23THRUST_200600_302600_NS10device_ptrIlEEjNS1_19radix_merge_compareILb0ELb1EaNS0_19identity_decomposerEEEEE10hipError_tT0_T1_T2_jT3_P12ihipStream_tbPNSt15iterator_traitsISG_E10value_typeEPNSM_ISH_E10value_typeEPSI_NS1_7vsmem_tEENKUlT_SG_SH_SI_E_clIS7_S7_PlSB_EESF_SV_SG_SH_SI_EUlSV_E_NS1_11comp_targetILNS1_3genE10ELNS1_11target_archE1201ELNS1_3gpuE5ELNS1_3repE0EEENS1_48merge_mergepath_partition_config_static_selectorELNS0_4arch9wavefront6targetE1EEEvSH_.has_dyn_sized_stack, 0
	.set _ZN7rocprim17ROCPRIM_400000_NS6detail17trampoline_kernelINS0_14default_configENS1_38merge_sort_block_merge_config_selectorIalEEZZNS1_27merge_sort_block_merge_implIS3_PaN6thrust23THRUST_200600_302600_NS10device_ptrIlEEjNS1_19radix_merge_compareILb0ELb1EaNS0_19identity_decomposerEEEEE10hipError_tT0_T1_T2_jT3_P12ihipStream_tbPNSt15iterator_traitsISG_E10value_typeEPNSM_ISH_E10value_typeEPSI_NS1_7vsmem_tEENKUlT_SG_SH_SI_E_clIS7_S7_PlSB_EESF_SV_SG_SH_SI_EUlSV_E_NS1_11comp_targetILNS1_3genE10ELNS1_11target_archE1201ELNS1_3gpuE5ELNS1_3repE0EEENS1_48merge_mergepath_partition_config_static_selectorELNS0_4arch9wavefront6targetE1EEEvSH_.has_recursion, 0
	.set _ZN7rocprim17ROCPRIM_400000_NS6detail17trampoline_kernelINS0_14default_configENS1_38merge_sort_block_merge_config_selectorIalEEZZNS1_27merge_sort_block_merge_implIS3_PaN6thrust23THRUST_200600_302600_NS10device_ptrIlEEjNS1_19radix_merge_compareILb0ELb1EaNS0_19identity_decomposerEEEEE10hipError_tT0_T1_T2_jT3_P12ihipStream_tbPNSt15iterator_traitsISG_E10value_typeEPNSM_ISH_E10value_typeEPSI_NS1_7vsmem_tEENKUlT_SG_SH_SI_E_clIS7_S7_PlSB_EESF_SV_SG_SH_SI_EUlSV_E_NS1_11comp_targetILNS1_3genE10ELNS1_11target_archE1201ELNS1_3gpuE5ELNS1_3repE0EEENS1_48merge_mergepath_partition_config_static_selectorELNS0_4arch9wavefront6targetE1EEEvSH_.has_indirect_call, 0
	.section	.AMDGPU.csdata,"",@progbits
; Kernel info:
; codeLenInByte = 0
; TotalNumSgprs: 4
; NumVgprs: 0
; ScratchSize: 0
; MemoryBound: 0
; FloatMode: 240
; IeeeMode: 1
; LDSByteSize: 0 bytes/workgroup (compile time only)
; SGPRBlocks: 0
; VGPRBlocks: 0
; NumSGPRsForWavesPerEU: 4
; NumVGPRsForWavesPerEU: 1
; Occupancy: 10
; WaveLimiterHint : 0
; COMPUTE_PGM_RSRC2:SCRATCH_EN: 0
; COMPUTE_PGM_RSRC2:USER_SGPR: 6
; COMPUTE_PGM_RSRC2:TRAP_HANDLER: 0
; COMPUTE_PGM_RSRC2:TGID_X_EN: 1
; COMPUTE_PGM_RSRC2:TGID_Y_EN: 0
; COMPUTE_PGM_RSRC2:TGID_Z_EN: 0
; COMPUTE_PGM_RSRC2:TIDIG_COMP_CNT: 0
	.section	.text._ZN7rocprim17ROCPRIM_400000_NS6detail17trampoline_kernelINS0_14default_configENS1_38merge_sort_block_merge_config_selectorIalEEZZNS1_27merge_sort_block_merge_implIS3_PaN6thrust23THRUST_200600_302600_NS10device_ptrIlEEjNS1_19radix_merge_compareILb0ELb1EaNS0_19identity_decomposerEEEEE10hipError_tT0_T1_T2_jT3_P12ihipStream_tbPNSt15iterator_traitsISG_E10value_typeEPNSM_ISH_E10value_typeEPSI_NS1_7vsmem_tEENKUlT_SG_SH_SI_E_clIS7_S7_PlSB_EESF_SV_SG_SH_SI_EUlSV_E_NS1_11comp_targetILNS1_3genE5ELNS1_11target_archE942ELNS1_3gpuE9ELNS1_3repE0EEENS1_48merge_mergepath_partition_config_static_selectorELNS0_4arch9wavefront6targetE1EEEvSH_,"axG",@progbits,_ZN7rocprim17ROCPRIM_400000_NS6detail17trampoline_kernelINS0_14default_configENS1_38merge_sort_block_merge_config_selectorIalEEZZNS1_27merge_sort_block_merge_implIS3_PaN6thrust23THRUST_200600_302600_NS10device_ptrIlEEjNS1_19radix_merge_compareILb0ELb1EaNS0_19identity_decomposerEEEEE10hipError_tT0_T1_T2_jT3_P12ihipStream_tbPNSt15iterator_traitsISG_E10value_typeEPNSM_ISH_E10value_typeEPSI_NS1_7vsmem_tEENKUlT_SG_SH_SI_E_clIS7_S7_PlSB_EESF_SV_SG_SH_SI_EUlSV_E_NS1_11comp_targetILNS1_3genE5ELNS1_11target_archE942ELNS1_3gpuE9ELNS1_3repE0EEENS1_48merge_mergepath_partition_config_static_selectorELNS0_4arch9wavefront6targetE1EEEvSH_,comdat
	.protected	_ZN7rocprim17ROCPRIM_400000_NS6detail17trampoline_kernelINS0_14default_configENS1_38merge_sort_block_merge_config_selectorIalEEZZNS1_27merge_sort_block_merge_implIS3_PaN6thrust23THRUST_200600_302600_NS10device_ptrIlEEjNS1_19radix_merge_compareILb0ELb1EaNS0_19identity_decomposerEEEEE10hipError_tT0_T1_T2_jT3_P12ihipStream_tbPNSt15iterator_traitsISG_E10value_typeEPNSM_ISH_E10value_typeEPSI_NS1_7vsmem_tEENKUlT_SG_SH_SI_E_clIS7_S7_PlSB_EESF_SV_SG_SH_SI_EUlSV_E_NS1_11comp_targetILNS1_3genE5ELNS1_11target_archE942ELNS1_3gpuE9ELNS1_3repE0EEENS1_48merge_mergepath_partition_config_static_selectorELNS0_4arch9wavefront6targetE1EEEvSH_ ; -- Begin function _ZN7rocprim17ROCPRIM_400000_NS6detail17trampoline_kernelINS0_14default_configENS1_38merge_sort_block_merge_config_selectorIalEEZZNS1_27merge_sort_block_merge_implIS3_PaN6thrust23THRUST_200600_302600_NS10device_ptrIlEEjNS1_19radix_merge_compareILb0ELb1EaNS0_19identity_decomposerEEEEE10hipError_tT0_T1_T2_jT3_P12ihipStream_tbPNSt15iterator_traitsISG_E10value_typeEPNSM_ISH_E10value_typeEPSI_NS1_7vsmem_tEENKUlT_SG_SH_SI_E_clIS7_S7_PlSB_EESF_SV_SG_SH_SI_EUlSV_E_NS1_11comp_targetILNS1_3genE5ELNS1_11target_archE942ELNS1_3gpuE9ELNS1_3repE0EEENS1_48merge_mergepath_partition_config_static_selectorELNS0_4arch9wavefront6targetE1EEEvSH_
	.globl	_ZN7rocprim17ROCPRIM_400000_NS6detail17trampoline_kernelINS0_14default_configENS1_38merge_sort_block_merge_config_selectorIalEEZZNS1_27merge_sort_block_merge_implIS3_PaN6thrust23THRUST_200600_302600_NS10device_ptrIlEEjNS1_19radix_merge_compareILb0ELb1EaNS0_19identity_decomposerEEEEE10hipError_tT0_T1_T2_jT3_P12ihipStream_tbPNSt15iterator_traitsISG_E10value_typeEPNSM_ISH_E10value_typeEPSI_NS1_7vsmem_tEENKUlT_SG_SH_SI_E_clIS7_S7_PlSB_EESF_SV_SG_SH_SI_EUlSV_E_NS1_11comp_targetILNS1_3genE5ELNS1_11target_archE942ELNS1_3gpuE9ELNS1_3repE0EEENS1_48merge_mergepath_partition_config_static_selectorELNS0_4arch9wavefront6targetE1EEEvSH_
	.p2align	8
	.type	_ZN7rocprim17ROCPRIM_400000_NS6detail17trampoline_kernelINS0_14default_configENS1_38merge_sort_block_merge_config_selectorIalEEZZNS1_27merge_sort_block_merge_implIS3_PaN6thrust23THRUST_200600_302600_NS10device_ptrIlEEjNS1_19radix_merge_compareILb0ELb1EaNS0_19identity_decomposerEEEEE10hipError_tT0_T1_T2_jT3_P12ihipStream_tbPNSt15iterator_traitsISG_E10value_typeEPNSM_ISH_E10value_typeEPSI_NS1_7vsmem_tEENKUlT_SG_SH_SI_E_clIS7_S7_PlSB_EESF_SV_SG_SH_SI_EUlSV_E_NS1_11comp_targetILNS1_3genE5ELNS1_11target_archE942ELNS1_3gpuE9ELNS1_3repE0EEENS1_48merge_mergepath_partition_config_static_selectorELNS0_4arch9wavefront6targetE1EEEvSH_,@function
_ZN7rocprim17ROCPRIM_400000_NS6detail17trampoline_kernelINS0_14default_configENS1_38merge_sort_block_merge_config_selectorIalEEZZNS1_27merge_sort_block_merge_implIS3_PaN6thrust23THRUST_200600_302600_NS10device_ptrIlEEjNS1_19radix_merge_compareILb0ELb1EaNS0_19identity_decomposerEEEEE10hipError_tT0_T1_T2_jT3_P12ihipStream_tbPNSt15iterator_traitsISG_E10value_typeEPNSM_ISH_E10value_typeEPSI_NS1_7vsmem_tEENKUlT_SG_SH_SI_E_clIS7_S7_PlSB_EESF_SV_SG_SH_SI_EUlSV_E_NS1_11comp_targetILNS1_3genE5ELNS1_11target_archE942ELNS1_3gpuE9ELNS1_3repE0EEENS1_48merge_mergepath_partition_config_static_selectorELNS0_4arch9wavefront6targetE1EEEvSH_: ; @_ZN7rocprim17ROCPRIM_400000_NS6detail17trampoline_kernelINS0_14default_configENS1_38merge_sort_block_merge_config_selectorIalEEZZNS1_27merge_sort_block_merge_implIS3_PaN6thrust23THRUST_200600_302600_NS10device_ptrIlEEjNS1_19radix_merge_compareILb0ELb1EaNS0_19identity_decomposerEEEEE10hipError_tT0_T1_T2_jT3_P12ihipStream_tbPNSt15iterator_traitsISG_E10value_typeEPNSM_ISH_E10value_typeEPSI_NS1_7vsmem_tEENKUlT_SG_SH_SI_E_clIS7_S7_PlSB_EESF_SV_SG_SH_SI_EUlSV_E_NS1_11comp_targetILNS1_3genE5ELNS1_11target_archE942ELNS1_3gpuE9ELNS1_3repE0EEENS1_48merge_mergepath_partition_config_static_selectorELNS0_4arch9wavefront6targetE1EEEvSH_
; %bb.0:
	.section	.rodata,"a",@progbits
	.p2align	6, 0x0
	.amdhsa_kernel _ZN7rocprim17ROCPRIM_400000_NS6detail17trampoline_kernelINS0_14default_configENS1_38merge_sort_block_merge_config_selectorIalEEZZNS1_27merge_sort_block_merge_implIS3_PaN6thrust23THRUST_200600_302600_NS10device_ptrIlEEjNS1_19radix_merge_compareILb0ELb1EaNS0_19identity_decomposerEEEEE10hipError_tT0_T1_T2_jT3_P12ihipStream_tbPNSt15iterator_traitsISG_E10value_typeEPNSM_ISH_E10value_typeEPSI_NS1_7vsmem_tEENKUlT_SG_SH_SI_E_clIS7_S7_PlSB_EESF_SV_SG_SH_SI_EUlSV_E_NS1_11comp_targetILNS1_3genE5ELNS1_11target_archE942ELNS1_3gpuE9ELNS1_3repE0EEENS1_48merge_mergepath_partition_config_static_selectorELNS0_4arch9wavefront6targetE1EEEvSH_
		.amdhsa_group_segment_fixed_size 0
		.amdhsa_private_segment_fixed_size 0
		.amdhsa_kernarg_size 40
		.amdhsa_user_sgpr_count 6
		.amdhsa_user_sgpr_private_segment_buffer 1
		.amdhsa_user_sgpr_dispatch_ptr 0
		.amdhsa_user_sgpr_queue_ptr 0
		.amdhsa_user_sgpr_kernarg_segment_ptr 1
		.amdhsa_user_sgpr_dispatch_id 0
		.amdhsa_user_sgpr_flat_scratch_init 0
		.amdhsa_user_sgpr_private_segment_size 0
		.amdhsa_uses_dynamic_stack 0
		.amdhsa_system_sgpr_private_segment_wavefront_offset 0
		.amdhsa_system_sgpr_workgroup_id_x 1
		.amdhsa_system_sgpr_workgroup_id_y 0
		.amdhsa_system_sgpr_workgroup_id_z 0
		.amdhsa_system_sgpr_workgroup_info 0
		.amdhsa_system_vgpr_workitem_id 0
		.amdhsa_next_free_vgpr 1
		.amdhsa_next_free_sgpr 0
		.amdhsa_reserve_vcc 0
		.amdhsa_reserve_flat_scratch 0
		.amdhsa_float_round_mode_32 0
		.amdhsa_float_round_mode_16_64 0
		.amdhsa_float_denorm_mode_32 3
		.amdhsa_float_denorm_mode_16_64 3
		.amdhsa_dx10_clamp 1
		.amdhsa_ieee_mode 1
		.amdhsa_fp16_overflow 0
		.amdhsa_exception_fp_ieee_invalid_op 0
		.amdhsa_exception_fp_denorm_src 0
		.amdhsa_exception_fp_ieee_div_zero 0
		.amdhsa_exception_fp_ieee_overflow 0
		.amdhsa_exception_fp_ieee_underflow 0
		.amdhsa_exception_fp_ieee_inexact 0
		.amdhsa_exception_int_div_zero 0
	.end_amdhsa_kernel
	.section	.text._ZN7rocprim17ROCPRIM_400000_NS6detail17trampoline_kernelINS0_14default_configENS1_38merge_sort_block_merge_config_selectorIalEEZZNS1_27merge_sort_block_merge_implIS3_PaN6thrust23THRUST_200600_302600_NS10device_ptrIlEEjNS1_19radix_merge_compareILb0ELb1EaNS0_19identity_decomposerEEEEE10hipError_tT0_T1_T2_jT3_P12ihipStream_tbPNSt15iterator_traitsISG_E10value_typeEPNSM_ISH_E10value_typeEPSI_NS1_7vsmem_tEENKUlT_SG_SH_SI_E_clIS7_S7_PlSB_EESF_SV_SG_SH_SI_EUlSV_E_NS1_11comp_targetILNS1_3genE5ELNS1_11target_archE942ELNS1_3gpuE9ELNS1_3repE0EEENS1_48merge_mergepath_partition_config_static_selectorELNS0_4arch9wavefront6targetE1EEEvSH_,"axG",@progbits,_ZN7rocprim17ROCPRIM_400000_NS6detail17trampoline_kernelINS0_14default_configENS1_38merge_sort_block_merge_config_selectorIalEEZZNS1_27merge_sort_block_merge_implIS3_PaN6thrust23THRUST_200600_302600_NS10device_ptrIlEEjNS1_19radix_merge_compareILb0ELb1EaNS0_19identity_decomposerEEEEE10hipError_tT0_T1_T2_jT3_P12ihipStream_tbPNSt15iterator_traitsISG_E10value_typeEPNSM_ISH_E10value_typeEPSI_NS1_7vsmem_tEENKUlT_SG_SH_SI_E_clIS7_S7_PlSB_EESF_SV_SG_SH_SI_EUlSV_E_NS1_11comp_targetILNS1_3genE5ELNS1_11target_archE942ELNS1_3gpuE9ELNS1_3repE0EEENS1_48merge_mergepath_partition_config_static_selectorELNS0_4arch9wavefront6targetE1EEEvSH_,comdat
.Lfunc_end536:
	.size	_ZN7rocprim17ROCPRIM_400000_NS6detail17trampoline_kernelINS0_14default_configENS1_38merge_sort_block_merge_config_selectorIalEEZZNS1_27merge_sort_block_merge_implIS3_PaN6thrust23THRUST_200600_302600_NS10device_ptrIlEEjNS1_19radix_merge_compareILb0ELb1EaNS0_19identity_decomposerEEEEE10hipError_tT0_T1_T2_jT3_P12ihipStream_tbPNSt15iterator_traitsISG_E10value_typeEPNSM_ISH_E10value_typeEPSI_NS1_7vsmem_tEENKUlT_SG_SH_SI_E_clIS7_S7_PlSB_EESF_SV_SG_SH_SI_EUlSV_E_NS1_11comp_targetILNS1_3genE5ELNS1_11target_archE942ELNS1_3gpuE9ELNS1_3repE0EEENS1_48merge_mergepath_partition_config_static_selectorELNS0_4arch9wavefront6targetE1EEEvSH_, .Lfunc_end536-_ZN7rocprim17ROCPRIM_400000_NS6detail17trampoline_kernelINS0_14default_configENS1_38merge_sort_block_merge_config_selectorIalEEZZNS1_27merge_sort_block_merge_implIS3_PaN6thrust23THRUST_200600_302600_NS10device_ptrIlEEjNS1_19radix_merge_compareILb0ELb1EaNS0_19identity_decomposerEEEEE10hipError_tT0_T1_T2_jT3_P12ihipStream_tbPNSt15iterator_traitsISG_E10value_typeEPNSM_ISH_E10value_typeEPSI_NS1_7vsmem_tEENKUlT_SG_SH_SI_E_clIS7_S7_PlSB_EESF_SV_SG_SH_SI_EUlSV_E_NS1_11comp_targetILNS1_3genE5ELNS1_11target_archE942ELNS1_3gpuE9ELNS1_3repE0EEENS1_48merge_mergepath_partition_config_static_selectorELNS0_4arch9wavefront6targetE1EEEvSH_
                                        ; -- End function
	.set _ZN7rocprim17ROCPRIM_400000_NS6detail17trampoline_kernelINS0_14default_configENS1_38merge_sort_block_merge_config_selectorIalEEZZNS1_27merge_sort_block_merge_implIS3_PaN6thrust23THRUST_200600_302600_NS10device_ptrIlEEjNS1_19radix_merge_compareILb0ELb1EaNS0_19identity_decomposerEEEEE10hipError_tT0_T1_T2_jT3_P12ihipStream_tbPNSt15iterator_traitsISG_E10value_typeEPNSM_ISH_E10value_typeEPSI_NS1_7vsmem_tEENKUlT_SG_SH_SI_E_clIS7_S7_PlSB_EESF_SV_SG_SH_SI_EUlSV_E_NS1_11comp_targetILNS1_3genE5ELNS1_11target_archE942ELNS1_3gpuE9ELNS1_3repE0EEENS1_48merge_mergepath_partition_config_static_selectorELNS0_4arch9wavefront6targetE1EEEvSH_.num_vgpr, 0
	.set _ZN7rocprim17ROCPRIM_400000_NS6detail17trampoline_kernelINS0_14default_configENS1_38merge_sort_block_merge_config_selectorIalEEZZNS1_27merge_sort_block_merge_implIS3_PaN6thrust23THRUST_200600_302600_NS10device_ptrIlEEjNS1_19radix_merge_compareILb0ELb1EaNS0_19identity_decomposerEEEEE10hipError_tT0_T1_T2_jT3_P12ihipStream_tbPNSt15iterator_traitsISG_E10value_typeEPNSM_ISH_E10value_typeEPSI_NS1_7vsmem_tEENKUlT_SG_SH_SI_E_clIS7_S7_PlSB_EESF_SV_SG_SH_SI_EUlSV_E_NS1_11comp_targetILNS1_3genE5ELNS1_11target_archE942ELNS1_3gpuE9ELNS1_3repE0EEENS1_48merge_mergepath_partition_config_static_selectorELNS0_4arch9wavefront6targetE1EEEvSH_.num_agpr, 0
	.set _ZN7rocprim17ROCPRIM_400000_NS6detail17trampoline_kernelINS0_14default_configENS1_38merge_sort_block_merge_config_selectorIalEEZZNS1_27merge_sort_block_merge_implIS3_PaN6thrust23THRUST_200600_302600_NS10device_ptrIlEEjNS1_19radix_merge_compareILb0ELb1EaNS0_19identity_decomposerEEEEE10hipError_tT0_T1_T2_jT3_P12ihipStream_tbPNSt15iterator_traitsISG_E10value_typeEPNSM_ISH_E10value_typeEPSI_NS1_7vsmem_tEENKUlT_SG_SH_SI_E_clIS7_S7_PlSB_EESF_SV_SG_SH_SI_EUlSV_E_NS1_11comp_targetILNS1_3genE5ELNS1_11target_archE942ELNS1_3gpuE9ELNS1_3repE0EEENS1_48merge_mergepath_partition_config_static_selectorELNS0_4arch9wavefront6targetE1EEEvSH_.numbered_sgpr, 0
	.set _ZN7rocprim17ROCPRIM_400000_NS6detail17trampoline_kernelINS0_14default_configENS1_38merge_sort_block_merge_config_selectorIalEEZZNS1_27merge_sort_block_merge_implIS3_PaN6thrust23THRUST_200600_302600_NS10device_ptrIlEEjNS1_19radix_merge_compareILb0ELb1EaNS0_19identity_decomposerEEEEE10hipError_tT0_T1_T2_jT3_P12ihipStream_tbPNSt15iterator_traitsISG_E10value_typeEPNSM_ISH_E10value_typeEPSI_NS1_7vsmem_tEENKUlT_SG_SH_SI_E_clIS7_S7_PlSB_EESF_SV_SG_SH_SI_EUlSV_E_NS1_11comp_targetILNS1_3genE5ELNS1_11target_archE942ELNS1_3gpuE9ELNS1_3repE0EEENS1_48merge_mergepath_partition_config_static_selectorELNS0_4arch9wavefront6targetE1EEEvSH_.num_named_barrier, 0
	.set _ZN7rocprim17ROCPRIM_400000_NS6detail17trampoline_kernelINS0_14default_configENS1_38merge_sort_block_merge_config_selectorIalEEZZNS1_27merge_sort_block_merge_implIS3_PaN6thrust23THRUST_200600_302600_NS10device_ptrIlEEjNS1_19radix_merge_compareILb0ELb1EaNS0_19identity_decomposerEEEEE10hipError_tT0_T1_T2_jT3_P12ihipStream_tbPNSt15iterator_traitsISG_E10value_typeEPNSM_ISH_E10value_typeEPSI_NS1_7vsmem_tEENKUlT_SG_SH_SI_E_clIS7_S7_PlSB_EESF_SV_SG_SH_SI_EUlSV_E_NS1_11comp_targetILNS1_3genE5ELNS1_11target_archE942ELNS1_3gpuE9ELNS1_3repE0EEENS1_48merge_mergepath_partition_config_static_selectorELNS0_4arch9wavefront6targetE1EEEvSH_.private_seg_size, 0
	.set _ZN7rocprim17ROCPRIM_400000_NS6detail17trampoline_kernelINS0_14default_configENS1_38merge_sort_block_merge_config_selectorIalEEZZNS1_27merge_sort_block_merge_implIS3_PaN6thrust23THRUST_200600_302600_NS10device_ptrIlEEjNS1_19radix_merge_compareILb0ELb1EaNS0_19identity_decomposerEEEEE10hipError_tT0_T1_T2_jT3_P12ihipStream_tbPNSt15iterator_traitsISG_E10value_typeEPNSM_ISH_E10value_typeEPSI_NS1_7vsmem_tEENKUlT_SG_SH_SI_E_clIS7_S7_PlSB_EESF_SV_SG_SH_SI_EUlSV_E_NS1_11comp_targetILNS1_3genE5ELNS1_11target_archE942ELNS1_3gpuE9ELNS1_3repE0EEENS1_48merge_mergepath_partition_config_static_selectorELNS0_4arch9wavefront6targetE1EEEvSH_.uses_vcc, 0
	.set _ZN7rocprim17ROCPRIM_400000_NS6detail17trampoline_kernelINS0_14default_configENS1_38merge_sort_block_merge_config_selectorIalEEZZNS1_27merge_sort_block_merge_implIS3_PaN6thrust23THRUST_200600_302600_NS10device_ptrIlEEjNS1_19radix_merge_compareILb0ELb1EaNS0_19identity_decomposerEEEEE10hipError_tT0_T1_T2_jT3_P12ihipStream_tbPNSt15iterator_traitsISG_E10value_typeEPNSM_ISH_E10value_typeEPSI_NS1_7vsmem_tEENKUlT_SG_SH_SI_E_clIS7_S7_PlSB_EESF_SV_SG_SH_SI_EUlSV_E_NS1_11comp_targetILNS1_3genE5ELNS1_11target_archE942ELNS1_3gpuE9ELNS1_3repE0EEENS1_48merge_mergepath_partition_config_static_selectorELNS0_4arch9wavefront6targetE1EEEvSH_.uses_flat_scratch, 0
	.set _ZN7rocprim17ROCPRIM_400000_NS6detail17trampoline_kernelINS0_14default_configENS1_38merge_sort_block_merge_config_selectorIalEEZZNS1_27merge_sort_block_merge_implIS3_PaN6thrust23THRUST_200600_302600_NS10device_ptrIlEEjNS1_19radix_merge_compareILb0ELb1EaNS0_19identity_decomposerEEEEE10hipError_tT0_T1_T2_jT3_P12ihipStream_tbPNSt15iterator_traitsISG_E10value_typeEPNSM_ISH_E10value_typeEPSI_NS1_7vsmem_tEENKUlT_SG_SH_SI_E_clIS7_S7_PlSB_EESF_SV_SG_SH_SI_EUlSV_E_NS1_11comp_targetILNS1_3genE5ELNS1_11target_archE942ELNS1_3gpuE9ELNS1_3repE0EEENS1_48merge_mergepath_partition_config_static_selectorELNS0_4arch9wavefront6targetE1EEEvSH_.has_dyn_sized_stack, 0
	.set _ZN7rocprim17ROCPRIM_400000_NS6detail17trampoline_kernelINS0_14default_configENS1_38merge_sort_block_merge_config_selectorIalEEZZNS1_27merge_sort_block_merge_implIS3_PaN6thrust23THRUST_200600_302600_NS10device_ptrIlEEjNS1_19radix_merge_compareILb0ELb1EaNS0_19identity_decomposerEEEEE10hipError_tT0_T1_T2_jT3_P12ihipStream_tbPNSt15iterator_traitsISG_E10value_typeEPNSM_ISH_E10value_typeEPSI_NS1_7vsmem_tEENKUlT_SG_SH_SI_E_clIS7_S7_PlSB_EESF_SV_SG_SH_SI_EUlSV_E_NS1_11comp_targetILNS1_3genE5ELNS1_11target_archE942ELNS1_3gpuE9ELNS1_3repE0EEENS1_48merge_mergepath_partition_config_static_selectorELNS0_4arch9wavefront6targetE1EEEvSH_.has_recursion, 0
	.set _ZN7rocprim17ROCPRIM_400000_NS6detail17trampoline_kernelINS0_14default_configENS1_38merge_sort_block_merge_config_selectorIalEEZZNS1_27merge_sort_block_merge_implIS3_PaN6thrust23THRUST_200600_302600_NS10device_ptrIlEEjNS1_19radix_merge_compareILb0ELb1EaNS0_19identity_decomposerEEEEE10hipError_tT0_T1_T2_jT3_P12ihipStream_tbPNSt15iterator_traitsISG_E10value_typeEPNSM_ISH_E10value_typeEPSI_NS1_7vsmem_tEENKUlT_SG_SH_SI_E_clIS7_S7_PlSB_EESF_SV_SG_SH_SI_EUlSV_E_NS1_11comp_targetILNS1_3genE5ELNS1_11target_archE942ELNS1_3gpuE9ELNS1_3repE0EEENS1_48merge_mergepath_partition_config_static_selectorELNS0_4arch9wavefront6targetE1EEEvSH_.has_indirect_call, 0
	.section	.AMDGPU.csdata,"",@progbits
; Kernel info:
; codeLenInByte = 0
; TotalNumSgprs: 4
; NumVgprs: 0
; ScratchSize: 0
; MemoryBound: 0
; FloatMode: 240
; IeeeMode: 1
; LDSByteSize: 0 bytes/workgroup (compile time only)
; SGPRBlocks: 0
; VGPRBlocks: 0
; NumSGPRsForWavesPerEU: 4
; NumVGPRsForWavesPerEU: 1
; Occupancy: 10
; WaveLimiterHint : 0
; COMPUTE_PGM_RSRC2:SCRATCH_EN: 0
; COMPUTE_PGM_RSRC2:USER_SGPR: 6
; COMPUTE_PGM_RSRC2:TRAP_HANDLER: 0
; COMPUTE_PGM_RSRC2:TGID_X_EN: 1
; COMPUTE_PGM_RSRC2:TGID_Y_EN: 0
; COMPUTE_PGM_RSRC2:TGID_Z_EN: 0
; COMPUTE_PGM_RSRC2:TIDIG_COMP_CNT: 0
	.section	.text._ZN7rocprim17ROCPRIM_400000_NS6detail17trampoline_kernelINS0_14default_configENS1_38merge_sort_block_merge_config_selectorIalEEZZNS1_27merge_sort_block_merge_implIS3_PaN6thrust23THRUST_200600_302600_NS10device_ptrIlEEjNS1_19radix_merge_compareILb0ELb1EaNS0_19identity_decomposerEEEEE10hipError_tT0_T1_T2_jT3_P12ihipStream_tbPNSt15iterator_traitsISG_E10value_typeEPNSM_ISH_E10value_typeEPSI_NS1_7vsmem_tEENKUlT_SG_SH_SI_E_clIS7_S7_PlSB_EESF_SV_SG_SH_SI_EUlSV_E_NS1_11comp_targetILNS1_3genE4ELNS1_11target_archE910ELNS1_3gpuE8ELNS1_3repE0EEENS1_48merge_mergepath_partition_config_static_selectorELNS0_4arch9wavefront6targetE1EEEvSH_,"axG",@progbits,_ZN7rocprim17ROCPRIM_400000_NS6detail17trampoline_kernelINS0_14default_configENS1_38merge_sort_block_merge_config_selectorIalEEZZNS1_27merge_sort_block_merge_implIS3_PaN6thrust23THRUST_200600_302600_NS10device_ptrIlEEjNS1_19radix_merge_compareILb0ELb1EaNS0_19identity_decomposerEEEEE10hipError_tT0_T1_T2_jT3_P12ihipStream_tbPNSt15iterator_traitsISG_E10value_typeEPNSM_ISH_E10value_typeEPSI_NS1_7vsmem_tEENKUlT_SG_SH_SI_E_clIS7_S7_PlSB_EESF_SV_SG_SH_SI_EUlSV_E_NS1_11comp_targetILNS1_3genE4ELNS1_11target_archE910ELNS1_3gpuE8ELNS1_3repE0EEENS1_48merge_mergepath_partition_config_static_selectorELNS0_4arch9wavefront6targetE1EEEvSH_,comdat
	.protected	_ZN7rocprim17ROCPRIM_400000_NS6detail17trampoline_kernelINS0_14default_configENS1_38merge_sort_block_merge_config_selectorIalEEZZNS1_27merge_sort_block_merge_implIS3_PaN6thrust23THRUST_200600_302600_NS10device_ptrIlEEjNS1_19radix_merge_compareILb0ELb1EaNS0_19identity_decomposerEEEEE10hipError_tT0_T1_T2_jT3_P12ihipStream_tbPNSt15iterator_traitsISG_E10value_typeEPNSM_ISH_E10value_typeEPSI_NS1_7vsmem_tEENKUlT_SG_SH_SI_E_clIS7_S7_PlSB_EESF_SV_SG_SH_SI_EUlSV_E_NS1_11comp_targetILNS1_3genE4ELNS1_11target_archE910ELNS1_3gpuE8ELNS1_3repE0EEENS1_48merge_mergepath_partition_config_static_selectorELNS0_4arch9wavefront6targetE1EEEvSH_ ; -- Begin function _ZN7rocprim17ROCPRIM_400000_NS6detail17trampoline_kernelINS0_14default_configENS1_38merge_sort_block_merge_config_selectorIalEEZZNS1_27merge_sort_block_merge_implIS3_PaN6thrust23THRUST_200600_302600_NS10device_ptrIlEEjNS1_19radix_merge_compareILb0ELb1EaNS0_19identity_decomposerEEEEE10hipError_tT0_T1_T2_jT3_P12ihipStream_tbPNSt15iterator_traitsISG_E10value_typeEPNSM_ISH_E10value_typeEPSI_NS1_7vsmem_tEENKUlT_SG_SH_SI_E_clIS7_S7_PlSB_EESF_SV_SG_SH_SI_EUlSV_E_NS1_11comp_targetILNS1_3genE4ELNS1_11target_archE910ELNS1_3gpuE8ELNS1_3repE0EEENS1_48merge_mergepath_partition_config_static_selectorELNS0_4arch9wavefront6targetE1EEEvSH_
	.globl	_ZN7rocprim17ROCPRIM_400000_NS6detail17trampoline_kernelINS0_14default_configENS1_38merge_sort_block_merge_config_selectorIalEEZZNS1_27merge_sort_block_merge_implIS3_PaN6thrust23THRUST_200600_302600_NS10device_ptrIlEEjNS1_19radix_merge_compareILb0ELb1EaNS0_19identity_decomposerEEEEE10hipError_tT0_T1_T2_jT3_P12ihipStream_tbPNSt15iterator_traitsISG_E10value_typeEPNSM_ISH_E10value_typeEPSI_NS1_7vsmem_tEENKUlT_SG_SH_SI_E_clIS7_S7_PlSB_EESF_SV_SG_SH_SI_EUlSV_E_NS1_11comp_targetILNS1_3genE4ELNS1_11target_archE910ELNS1_3gpuE8ELNS1_3repE0EEENS1_48merge_mergepath_partition_config_static_selectorELNS0_4arch9wavefront6targetE1EEEvSH_
	.p2align	8
	.type	_ZN7rocprim17ROCPRIM_400000_NS6detail17trampoline_kernelINS0_14default_configENS1_38merge_sort_block_merge_config_selectorIalEEZZNS1_27merge_sort_block_merge_implIS3_PaN6thrust23THRUST_200600_302600_NS10device_ptrIlEEjNS1_19radix_merge_compareILb0ELb1EaNS0_19identity_decomposerEEEEE10hipError_tT0_T1_T2_jT3_P12ihipStream_tbPNSt15iterator_traitsISG_E10value_typeEPNSM_ISH_E10value_typeEPSI_NS1_7vsmem_tEENKUlT_SG_SH_SI_E_clIS7_S7_PlSB_EESF_SV_SG_SH_SI_EUlSV_E_NS1_11comp_targetILNS1_3genE4ELNS1_11target_archE910ELNS1_3gpuE8ELNS1_3repE0EEENS1_48merge_mergepath_partition_config_static_selectorELNS0_4arch9wavefront6targetE1EEEvSH_,@function
_ZN7rocprim17ROCPRIM_400000_NS6detail17trampoline_kernelINS0_14default_configENS1_38merge_sort_block_merge_config_selectorIalEEZZNS1_27merge_sort_block_merge_implIS3_PaN6thrust23THRUST_200600_302600_NS10device_ptrIlEEjNS1_19radix_merge_compareILb0ELb1EaNS0_19identity_decomposerEEEEE10hipError_tT0_T1_T2_jT3_P12ihipStream_tbPNSt15iterator_traitsISG_E10value_typeEPNSM_ISH_E10value_typeEPSI_NS1_7vsmem_tEENKUlT_SG_SH_SI_E_clIS7_S7_PlSB_EESF_SV_SG_SH_SI_EUlSV_E_NS1_11comp_targetILNS1_3genE4ELNS1_11target_archE910ELNS1_3gpuE8ELNS1_3repE0EEENS1_48merge_mergepath_partition_config_static_selectorELNS0_4arch9wavefront6targetE1EEEvSH_: ; @_ZN7rocprim17ROCPRIM_400000_NS6detail17trampoline_kernelINS0_14default_configENS1_38merge_sort_block_merge_config_selectorIalEEZZNS1_27merge_sort_block_merge_implIS3_PaN6thrust23THRUST_200600_302600_NS10device_ptrIlEEjNS1_19radix_merge_compareILb0ELb1EaNS0_19identity_decomposerEEEEE10hipError_tT0_T1_T2_jT3_P12ihipStream_tbPNSt15iterator_traitsISG_E10value_typeEPNSM_ISH_E10value_typeEPSI_NS1_7vsmem_tEENKUlT_SG_SH_SI_E_clIS7_S7_PlSB_EESF_SV_SG_SH_SI_EUlSV_E_NS1_11comp_targetILNS1_3genE4ELNS1_11target_archE910ELNS1_3gpuE8ELNS1_3repE0EEENS1_48merge_mergepath_partition_config_static_selectorELNS0_4arch9wavefront6targetE1EEEvSH_
; %bb.0:
	.section	.rodata,"a",@progbits
	.p2align	6, 0x0
	.amdhsa_kernel _ZN7rocprim17ROCPRIM_400000_NS6detail17trampoline_kernelINS0_14default_configENS1_38merge_sort_block_merge_config_selectorIalEEZZNS1_27merge_sort_block_merge_implIS3_PaN6thrust23THRUST_200600_302600_NS10device_ptrIlEEjNS1_19radix_merge_compareILb0ELb1EaNS0_19identity_decomposerEEEEE10hipError_tT0_T1_T2_jT3_P12ihipStream_tbPNSt15iterator_traitsISG_E10value_typeEPNSM_ISH_E10value_typeEPSI_NS1_7vsmem_tEENKUlT_SG_SH_SI_E_clIS7_S7_PlSB_EESF_SV_SG_SH_SI_EUlSV_E_NS1_11comp_targetILNS1_3genE4ELNS1_11target_archE910ELNS1_3gpuE8ELNS1_3repE0EEENS1_48merge_mergepath_partition_config_static_selectorELNS0_4arch9wavefront6targetE1EEEvSH_
		.amdhsa_group_segment_fixed_size 0
		.amdhsa_private_segment_fixed_size 0
		.amdhsa_kernarg_size 40
		.amdhsa_user_sgpr_count 6
		.amdhsa_user_sgpr_private_segment_buffer 1
		.amdhsa_user_sgpr_dispatch_ptr 0
		.amdhsa_user_sgpr_queue_ptr 0
		.amdhsa_user_sgpr_kernarg_segment_ptr 1
		.amdhsa_user_sgpr_dispatch_id 0
		.amdhsa_user_sgpr_flat_scratch_init 0
		.amdhsa_user_sgpr_private_segment_size 0
		.amdhsa_uses_dynamic_stack 0
		.amdhsa_system_sgpr_private_segment_wavefront_offset 0
		.amdhsa_system_sgpr_workgroup_id_x 1
		.amdhsa_system_sgpr_workgroup_id_y 0
		.amdhsa_system_sgpr_workgroup_id_z 0
		.amdhsa_system_sgpr_workgroup_info 0
		.amdhsa_system_vgpr_workitem_id 0
		.amdhsa_next_free_vgpr 1
		.amdhsa_next_free_sgpr 0
		.amdhsa_reserve_vcc 0
		.amdhsa_reserve_flat_scratch 0
		.amdhsa_float_round_mode_32 0
		.amdhsa_float_round_mode_16_64 0
		.amdhsa_float_denorm_mode_32 3
		.amdhsa_float_denorm_mode_16_64 3
		.amdhsa_dx10_clamp 1
		.amdhsa_ieee_mode 1
		.amdhsa_fp16_overflow 0
		.amdhsa_exception_fp_ieee_invalid_op 0
		.amdhsa_exception_fp_denorm_src 0
		.amdhsa_exception_fp_ieee_div_zero 0
		.amdhsa_exception_fp_ieee_overflow 0
		.amdhsa_exception_fp_ieee_underflow 0
		.amdhsa_exception_fp_ieee_inexact 0
		.amdhsa_exception_int_div_zero 0
	.end_amdhsa_kernel
	.section	.text._ZN7rocprim17ROCPRIM_400000_NS6detail17trampoline_kernelINS0_14default_configENS1_38merge_sort_block_merge_config_selectorIalEEZZNS1_27merge_sort_block_merge_implIS3_PaN6thrust23THRUST_200600_302600_NS10device_ptrIlEEjNS1_19radix_merge_compareILb0ELb1EaNS0_19identity_decomposerEEEEE10hipError_tT0_T1_T2_jT3_P12ihipStream_tbPNSt15iterator_traitsISG_E10value_typeEPNSM_ISH_E10value_typeEPSI_NS1_7vsmem_tEENKUlT_SG_SH_SI_E_clIS7_S7_PlSB_EESF_SV_SG_SH_SI_EUlSV_E_NS1_11comp_targetILNS1_3genE4ELNS1_11target_archE910ELNS1_3gpuE8ELNS1_3repE0EEENS1_48merge_mergepath_partition_config_static_selectorELNS0_4arch9wavefront6targetE1EEEvSH_,"axG",@progbits,_ZN7rocprim17ROCPRIM_400000_NS6detail17trampoline_kernelINS0_14default_configENS1_38merge_sort_block_merge_config_selectorIalEEZZNS1_27merge_sort_block_merge_implIS3_PaN6thrust23THRUST_200600_302600_NS10device_ptrIlEEjNS1_19radix_merge_compareILb0ELb1EaNS0_19identity_decomposerEEEEE10hipError_tT0_T1_T2_jT3_P12ihipStream_tbPNSt15iterator_traitsISG_E10value_typeEPNSM_ISH_E10value_typeEPSI_NS1_7vsmem_tEENKUlT_SG_SH_SI_E_clIS7_S7_PlSB_EESF_SV_SG_SH_SI_EUlSV_E_NS1_11comp_targetILNS1_3genE4ELNS1_11target_archE910ELNS1_3gpuE8ELNS1_3repE0EEENS1_48merge_mergepath_partition_config_static_selectorELNS0_4arch9wavefront6targetE1EEEvSH_,comdat
.Lfunc_end537:
	.size	_ZN7rocprim17ROCPRIM_400000_NS6detail17trampoline_kernelINS0_14default_configENS1_38merge_sort_block_merge_config_selectorIalEEZZNS1_27merge_sort_block_merge_implIS3_PaN6thrust23THRUST_200600_302600_NS10device_ptrIlEEjNS1_19radix_merge_compareILb0ELb1EaNS0_19identity_decomposerEEEEE10hipError_tT0_T1_T2_jT3_P12ihipStream_tbPNSt15iterator_traitsISG_E10value_typeEPNSM_ISH_E10value_typeEPSI_NS1_7vsmem_tEENKUlT_SG_SH_SI_E_clIS7_S7_PlSB_EESF_SV_SG_SH_SI_EUlSV_E_NS1_11comp_targetILNS1_3genE4ELNS1_11target_archE910ELNS1_3gpuE8ELNS1_3repE0EEENS1_48merge_mergepath_partition_config_static_selectorELNS0_4arch9wavefront6targetE1EEEvSH_, .Lfunc_end537-_ZN7rocprim17ROCPRIM_400000_NS6detail17trampoline_kernelINS0_14default_configENS1_38merge_sort_block_merge_config_selectorIalEEZZNS1_27merge_sort_block_merge_implIS3_PaN6thrust23THRUST_200600_302600_NS10device_ptrIlEEjNS1_19radix_merge_compareILb0ELb1EaNS0_19identity_decomposerEEEEE10hipError_tT0_T1_T2_jT3_P12ihipStream_tbPNSt15iterator_traitsISG_E10value_typeEPNSM_ISH_E10value_typeEPSI_NS1_7vsmem_tEENKUlT_SG_SH_SI_E_clIS7_S7_PlSB_EESF_SV_SG_SH_SI_EUlSV_E_NS1_11comp_targetILNS1_3genE4ELNS1_11target_archE910ELNS1_3gpuE8ELNS1_3repE0EEENS1_48merge_mergepath_partition_config_static_selectorELNS0_4arch9wavefront6targetE1EEEvSH_
                                        ; -- End function
	.set _ZN7rocprim17ROCPRIM_400000_NS6detail17trampoline_kernelINS0_14default_configENS1_38merge_sort_block_merge_config_selectorIalEEZZNS1_27merge_sort_block_merge_implIS3_PaN6thrust23THRUST_200600_302600_NS10device_ptrIlEEjNS1_19radix_merge_compareILb0ELb1EaNS0_19identity_decomposerEEEEE10hipError_tT0_T1_T2_jT3_P12ihipStream_tbPNSt15iterator_traitsISG_E10value_typeEPNSM_ISH_E10value_typeEPSI_NS1_7vsmem_tEENKUlT_SG_SH_SI_E_clIS7_S7_PlSB_EESF_SV_SG_SH_SI_EUlSV_E_NS1_11comp_targetILNS1_3genE4ELNS1_11target_archE910ELNS1_3gpuE8ELNS1_3repE0EEENS1_48merge_mergepath_partition_config_static_selectorELNS0_4arch9wavefront6targetE1EEEvSH_.num_vgpr, 0
	.set _ZN7rocprim17ROCPRIM_400000_NS6detail17trampoline_kernelINS0_14default_configENS1_38merge_sort_block_merge_config_selectorIalEEZZNS1_27merge_sort_block_merge_implIS3_PaN6thrust23THRUST_200600_302600_NS10device_ptrIlEEjNS1_19radix_merge_compareILb0ELb1EaNS0_19identity_decomposerEEEEE10hipError_tT0_T1_T2_jT3_P12ihipStream_tbPNSt15iterator_traitsISG_E10value_typeEPNSM_ISH_E10value_typeEPSI_NS1_7vsmem_tEENKUlT_SG_SH_SI_E_clIS7_S7_PlSB_EESF_SV_SG_SH_SI_EUlSV_E_NS1_11comp_targetILNS1_3genE4ELNS1_11target_archE910ELNS1_3gpuE8ELNS1_3repE0EEENS1_48merge_mergepath_partition_config_static_selectorELNS0_4arch9wavefront6targetE1EEEvSH_.num_agpr, 0
	.set _ZN7rocprim17ROCPRIM_400000_NS6detail17trampoline_kernelINS0_14default_configENS1_38merge_sort_block_merge_config_selectorIalEEZZNS1_27merge_sort_block_merge_implIS3_PaN6thrust23THRUST_200600_302600_NS10device_ptrIlEEjNS1_19radix_merge_compareILb0ELb1EaNS0_19identity_decomposerEEEEE10hipError_tT0_T1_T2_jT3_P12ihipStream_tbPNSt15iterator_traitsISG_E10value_typeEPNSM_ISH_E10value_typeEPSI_NS1_7vsmem_tEENKUlT_SG_SH_SI_E_clIS7_S7_PlSB_EESF_SV_SG_SH_SI_EUlSV_E_NS1_11comp_targetILNS1_3genE4ELNS1_11target_archE910ELNS1_3gpuE8ELNS1_3repE0EEENS1_48merge_mergepath_partition_config_static_selectorELNS0_4arch9wavefront6targetE1EEEvSH_.numbered_sgpr, 0
	.set _ZN7rocprim17ROCPRIM_400000_NS6detail17trampoline_kernelINS0_14default_configENS1_38merge_sort_block_merge_config_selectorIalEEZZNS1_27merge_sort_block_merge_implIS3_PaN6thrust23THRUST_200600_302600_NS10device_ptrIlEEjNS1_19radix_merge_compareILb0ELb1EaNS0_19identity_decomposerEEEEE10hipError_tT0_T1_T2_jT3_P12ihipStream_tbPNSt15iterator_traitsISG_E10value_typeEPNSM_ISH_E10value_typeEPSI_NS1_7vsmem_tEENKUlT_SG_SH_SI_E_clIS7_S7_PlSB_EESF_SV_SG_SH_SI_EUlSV_E_NS1_11comp_targetILNS1_3genE4ELNS1_11target_archE910ELNS1_3gpuE8ELNS1_3repE0EEENS1_48merge_mergepath_partition_config_static_selectorELNS0_4arch9wavefront6targetE1EEEvSH_.num_named_barrier, 0
	.set _ZN7rocprim17ROCPRIM_400000_NS6detail17trampoline_kernelINS0_14default_configENS1_38merge_sort_block_merge_config_selectorIalEEZZNS1_27merge_sort_block_merge_implIS3_PaN6thrust23THRUST_200600_302600_NS10device_ptrIlEEjNS1_19radix_merge_compareILb0ELb1EaNS0_19identity_decomposerEEEEE10hipError_tT0_T1_T2_jT3_P12ihipStream_tbPNSt15iterator_traitsISG_E10value_typeEPNSM_ISH_E10value_typeEPSI_NS1_7vsmem_tEENKUlT_SG_SH_SI_E_clIS7_S7_PlSB_EESF_SV_SG_SH_SI_EUlSV_E_NS1_11comp_targetILNS1_3genE4ELNS1_11target_archE910ELNS1_3gpuE8ELNS1_3repE0EEENS1_48merge_mergepath_partition_config_static_selectorELNS0_4arch9wavefront6targetE1EEEvSH_.private_seg_size, 0
	.set _ZN7rocprim17ROCPRIM_400000_NS6detail17trampoline_kernelINS0_14default_configENS1_38merge_sort_block_merge_config_selectorIalEEZZNS1_27merge_sort_block_merge_implIS3_PaN6thrust23THRUST_200600_302600_NS10device_ptrIlEEjNS1_19radix_merge_compareILb0ELb1EaNS0_19identity_decomposerEEEEE10hipError_tT0_T1_T2_jT3_P12ihipStream_tbPNSt15iterator_traitsISG_E10value_typeEPNSM_ISH_E10value_typeEPSI_NS1_7vsmem_tEENKUlT_SG_SH_SI_E_clIS7_S7_PlSB_EESF_SV_SG_SH_SI_EUlSV_E_NS1_11comp_targetILNS1_3genE4ELNS1_11target_archE910ELNS1_3gpuE8ELNS1_3repE0EEENS1_48merge_mergepath_partition_config_static_selectorELNS0_4arch9wavefront6targetE1EEEvSH_.uses_vcc, 0
	.set _ZN7rocprim17ROCPRIM_400000_NS6detail17trampoline_kernelINS0_14default_configENS1_38merge_sort_block_merge_config_selectorIalEEZZNS1_27merge_sort_block_merge_implIS3_PaN6thrust23THRUST_200600_302600_NS10device_ptrIlEEjNS1_19radix_merge_compareILb0ELb1EaNS0_19identity_decomposerEEEEE10hipError_tT0_T1_T2_jT3_P12ihipStream_tbPNSt15iterator_traitsISG_E10value_typeEPNSM_ISH_E10value_typeEPSI_NS1_7vsmem_tEENKUlT_SG_SH_SI_E_clIS7_S7_PlSB_EESF_SV_SG_SH_SI_EUlSV_E_NS1_11comp_targetILNS1_3genE4ELNS1_11target_archE910ELNS1_3gpuE8ELNS1_3repE0EEENS1_48merge_mergepath_partition_config_static_selectorELNS0_4arch9wavefront6targetE1EEEvSH_.uses_flat_scratch, 0
	.set _ZN7rocprim17ROCPRIM_400000_NS6detail17trampoline_kernelINS0_14default_configENS1_38merge_sort_block_merge_config_selectorIalEEZZNS1_27merge_sort_block_merge_implIS3_PaN6thrust23THRUST_200600_302600_NS10device_ptrIlEEjNS1_19radix_merge_compareILb0ELb1EaNS0_19identity_decomposerEEEEE10hipError_tT0_T1_T2_jT3_P12ihipStream_tbPNSt15iterator_traitsISG_E10value_typeEPNSM_ISH_E10value_typeEPSI_NS1_7vsmem_tEENKUlT_SG_SH_SI_E_clIS7_S7_PlSB_EESF_SV_SG_SH_SI_EUlSV_E_NS1_11comp_targetILNS1_3genE4ELNS1_11target_archE910ELNS1_3gpuE8ELNS1_3repE0EEENS1_48merge_mergepath_partition_config_static_selectorELNS0_4arch9wavefront6targetE1EEEvSH_.has_dyn_sized_stack, 0
	.set _ZN7rocprim17ROCPRIM_400000_NS6detail17trampoline_kernelINS0_14default_configENS1_38merge_sort_block_merge_config_selectorIalEEZZNS1_27merge_sort_block_merge_implIS3_PaN6thrust23THRUST_200600_302600_NS10device_ptrIlEEjNS1_19radix_merge_compareILb0ELb1EaNS0_19identity_decomposerEEEEE10hipError_tT0_T1_T2_jT3_P12ihipStream_tbPNSt15iterator_traitsISG_E10value_typeEPNSM_ISH_E10value_typeEPSI_NS1_7vsmem_tEENKUlT_SG_SH_SI_E_clIS7_S7_PlSB_EESF_SV_SG_SH_SI_EUlSV_E_NS1_11comp_targetILNS1_3genE4ELNS1_11target_archE910ELNS1_3gpuE8ELNS1_3repE0EEENS1_48merge_mergepath_partition_config_static_selectorELNS0_4arch9wavefront6targetE1EEEvSH_.has_recursion, 0
	.set _ZN7rocprim17ROCPRIM_400000_NS6detail17trampoline_kernelINS0_14default_configENS1_38merge_sort_block_merge_config_selectorIalEEZZNS1_27merge_sort_block_merge_implIS3_PaN6thrust23THRUST_200600_302600_NS10device_ptrIlEEjNS1_19radix_merge_compareILb0ELb1EaNS0_19identity_decomposerEEEEE10hipError_tT0_T1_T2_jT3_P12ihipStream_tbPNSt15iterator_traitsISG_E10value_typeEPNSM_ISH_E10value_typeEPSI_NS1_7vsmem_tEENKUlT_SG_SH_SI_E_clIS7_S7_PlSB_EESF_SV_SG_SH_SI_EUlSV_E_NS1_11comp_targetILNS1_3genE4ELNS1_11target_archE910ELNS1_3gpuE8ELNS1_3repE0EEENS1_48merge_mergepath_partition_config_static_selectorELNS0_4arch9wavefront6targetE1EEEvSH_.has_indirect_call, 0
	.section	.AMDGPU.csdata,"",@progbits
; Kernel info:
; codeLenInByte = 0
; TotalNumSgprs: 4
; NumVgprs: 0
; ScratchSize: 0
; MemoryBound: 0
; FloatMode: 240
; IeeeMode: 1
; LDSByteSize: 0 bytes/workgroup (compile time only)
; SGPRBlocks: 0
; VGPRBlocks: 0
; NumSGPRsForWavesPerEU: 4
; NumVGPRsForWavesPerEU: 1
; Occupancy: 10
; WaveLimiterHint : 0
; COMPUTE_PGM_RSRC2:SCRATCH_EN: 0
; COMPUTE_PGM_RSRC2:USER_SGPR: 6
; COMPUTE_PGM_RSRC2:TRAP_HANDLER: 0
; COMPUTE_PGM_RSRC2:TGID_X_EN: 1
; COMPUTE_PGM_RSRC2:TGID_Y_EN: 0
; COMPUTE_PGM_RSRC2:TGID_Z_EN: 0
; COMPUTE_PGM_RSRC2:TIDIG_COMP_CNT: 0
	.section	.text._ZN7rocprim17ROCPRIM_400000_NS6detail17trampoline_kernelINS0_14default_configENS1_38merge_sort_block_merge_config_selectorIalEEZZNS1_27merge_sort_block_merge_implIS3_PaN6thrust23THRUST_200600_302600_NS10device_ptrIlEEjNS1_19radix_merge_compareILb0ELb1EaNS0_19identity_decomposerEEEEE10hipError_tT0_T1_T2_jT3_P12ihipStream_tbPNSt15iterator_traitsISG_E10value_typeEPNSM_ISH_E10value_typeEPSI_NS1_7vsmem_tEENKUlT_SG_SH_SI_E_clIS7_S7_PlSB_EESF_SV_SG_SH_SI_EUlSV_E_NS1_11comp_targetILNS1_3genE3ELNS1_11target_archE908ELNS1_3gpuE7ELNS1_3repE0EEENS1_48merge_mergepath_partition_config_static_selectorELNS0_4arch9wavefront6targetE1EEEvSH_,"axG",@progbits,_ZN7rocprim17ROCPRIM_400000_NS6detail17trampoline_kernelINS0_14default_configENS1_38merge_sort_block_merge_config_selectorIalEEZZNS1_27merge_sort_block_merge_implIS3_PaN6thrust23THRUST_200600_302600_NS10device_ptrIlEEjNS1_19radix_merge_compareILb0ELb1EaNS0_19identity_decomposerEEEEE10hipError_tT0_T1_T2_jT3_P12ihipStream_tbPNSt15iterator_traitsISG_E10value_typeEPNSM_ISH_E10value_typeEPSI_NS1_7vsmem_tEENKUlT_SG_SH_SI_E_clIS7_S7_PlSB_EESF_SV_SG_SH_SI_EUlSV_E_NS1_11comp_targetILNS1_3genE3ELNS1_11target_archE908ELNS1_3gpuE7ELNS1_3repE0EEENS1_48merge_mergepath_partition_config_static_selectorELNS0_4arch9wavefront6targetE1EEEvSH_,comdat
	.protected	_ZN7rocprim17ROCPRIM_400000_NS6detail17trampoline_kernelINS0_14default_configENS1_38merge_sort_block_merge_config_selectorIalEEZZNS1_27merge_sort_block_merge_implIS3_PaN6thrust23THRUST_200600_302600_NS10device_ptrIlEEjNS1_19radix_merge_compareILb0ELb1EaNS0_19identity_decomposerEEEEE10hipError_tT0_T1_T2_jT3_P12ihipStream_tbPNSt15iterator_traitsISG_E10value_typeEPNSM_ISH_E10value_typeEPSI_NS1_7vsmem_tEENKUlT_SG_SH_SI_E_clIS7_S7_PlSB_EESF_SV_SG_SH_SI_EUlSV_E_NS1_11comp_targetILNS1_3genE3ELNS1_11target_archE908ELNS1_3gpuE7ELNS1_3repE0EEENS1_48merge_mergepath_partition_config_static_selectorELNS0_4arch9wavefront6targetE1EEEvSH_ ; -- Begin function _ZN7rocprim17ROCPRIM_400000_NS6detail17trampoline_kernelINS0_14default_configENS1_38merge_sort_block_merge_config_selectorIalEEZZNS1_27merge_sort_block_merge_implIS3_PaN6thrust23THRUST_200600_302600_NS10device_ptrIlEEjNS1_19radix_merge_compareILb0ELb1EaNS0_19identity_decomposerEEEEE10hipError_tT0_T1_T2_jT3_P12ihipStream_tbPNSt15iterator_traitsISG_E10value_typeEPNSM_ISH_E10value_typeEPSI_NS1_7vsmem_tEENKUlT_SG_SH_SI_E_clIS7_S7_PlSB_EESF_SV_SG_SH_SI_EUlSV_E_NS1_11comp_targetILNS1_3genE3ELNS1_11target_archE908ELNS1_3gpuE7ELNS1_3repE0EEENS1_48merge_mergepath_partition_config_static_selectorELNS0_4arch9wavefront6targetE1EEEvSH_
	.globl	_ZN7rocprim17ROCPRIM_400000_NS6detail17trampoline_kernelINS0_14default_configENS1_38merge_sort_block_merge_config_selectorIalEEZZNS1_27merge_sort_block_merge_implIS3_PaN6thrust23THRUST_200600_302600_NS10device_ptrIlEEjNS1_19radix_merge_compareILb0ELb1EaNS0_19identity_decomposerEEEEE10hipError_tT0_T1_T2_jT3_P12ihipStream_tbPNSt15iterator_traitsISG_E10value_typeEPNSM_ISH_E10value_typeEPSI_NS1_7vsmem_tEENKUlT_SG_SH_SI_E_clIS7_S7_PlSB_EESF_SV_SG_SH_SI_EUlSV_E_NS1_11comp_targetILNS1_3genE3ELNS1_11target_archE908ELNS1_3gpuE7ELNS1_3repE0EEENS1_48merge_mergepath_partition_config_static_selectorELNS0_4arch9wavefront6targetE1EEEvSH_
	.p2align	8
	.type	_ZN7rocprim17ROCPRIM_400000_NS6detail17trampoline_kernelINS0_14default_configENS1_38merge_sort_block_merge_config_selectorIalEEZZNS1_27merge_sort_block_merge_implIS3_PaN6thrust23THRUST_200600_302600_NS10device_ptrIlEEjNS1_19radix_merge_compareILb0ELb1EaNS0_19identity_decomposerEEEEE10hipError_tT0_T1_T2_jT3_P12ihipStream_tbPNSt15iterator_traitsISG_E10value_typeEPNSM_ISH_E10value_typeEPSI_NS1_7vsmem_tEENKUlT_SG_SH_SI_E_clIS7_S7_PlSB_EESF_SV_SG_SH_SI_EUlSV_E_NS1_11comp_targetILNS1_3genE3ELNS1_11target_archE908ELNS1_3gpuE7ELNS1_3repE0EEENS1_48merge_mergepath_partition_config_static_selectorELNS0_4arch9wavefront6targetE1EEEvSH_,@function
_ZN7rocprim17ROCPRIM_400000_NS6detail17trampoline_kernelINS0_14default_configENS1_38merge_sort_block_merge_config_selectorIalEEZZNS1_27merge_sort_block_merge_implIS3_PaN6thrust23THRUST_200600_302600_NS10device_ptrIlEEjNS1_19radix_merge_compareILb0ELb1EaNS0_19identity_decomposerEEEEE10hipError_tT0_T1_T2_jT3_P12ihipStream_tbPNSt15iterator_traitsISG_E10value_typeEPNSM_ISH_E10value_typeEPSI_NS1_7vsmem_tEENKUlT_SG_SH_SI_E_clIS7_S7_PlSB_EESF_SV_SG_SH_SI_EUlSV_E_NS1_11comp_targetILNS1_3genE3ELNS1_11target_archE908ELNS1_3gpuE7ELNS1_3repE0EEENS1_48merge_mergepath_partition_config_static_selectorELNS0_4arch9wavefront6targetE1EEEvSH_: ; @_ZN7rocprim17ROCPRIM_400000_NS6detail17trampoline_kernelINS0_14default_configENS1_38merge_sort_block_merge_config_selectorIalEEZZNS1_27merge_sort_block_merge_implIS3_PaN6thrust23THRUST_200600_302600_NS10device_ptrIlEEjNS1_19radix_merge_compareILb0ELb1EaNS0_19identity_decomposerEEEEE10hipError_tT0_T1_T2_jT3_P12ihipStream_tbPNSt15iterator_traitsISG_E10value_typeEPNSM_ISH_E10value_typeEPSI_NS1_7vsmem_tEENKUlT_SG_SH_SI_E_clIS7_S7_PlSB_EESF_SV_SG_SH_SI_EUlSV_E_NS1_11comp_targetILNS1_3genE3ELNS1_11target_archE908ELNS1_3gpuE7ELNS1_3repE0EEENS1_48merge_mergepath_partition_config_static_selectorELNS0_4arch9wavefront6targetE1EEEvSH_
; %bb.0:
	.section	.rodata,"a",@progbits
	.p2align	6, 0x0
	.amdhsa_kernel _ZN7rocprim17ROCPRIM_400000_NS6detail17trampoline_kernelINS0_14default_configENS1_38merge_sort_block_merge_config_selectorIalEEZZNS1_27merge_sort_block_merge_implIS3_PaN6thrust23THRUST_200600_302600_NS10device_ptrIlEEjNS1_19radix_merge_compareILb0ELb1EaNS0_19identity_decomposerEEEEE10hipError_tT0_T1_T2_jT3_P12ihipStream_tbPNSt15iterator_traitsISG_E10value_typeEPNSM_ISH_E10value_typeEPSI_NS1_7vsmem_tEENKUlT_SG_SH_SI_E_clIS7_S7_PlSB_EESF_SV_SG_SH_SI_EUlSV_E_NS1_11comp_targetILNS1_3genE3ELNS1_11target_archE908ELNS1_3gpuE7ELNS1_3repE0EEENS1_48merge_mergepath_partition_config_static_selectorELNS0_4arch9wavefront6targetE1EEEvSH_
		.amdhsa_group_segment_fixed_size 0
		.amdhsa_private_segment_fixed_size 0
		.amdhsa_kernarg_size 40
		.amdhsa_user_sgpr_count 6
		.amdhsa_user_sgpr_private_segment_buffer 1
		.amdhsa_user_sgpr_dispatch_ptr 0
		.amdhsa_user_sgpr_queue_ptr 0
		.amdhsa_user_sgpr_kernarg_segment_ptr 1
		.amdhsa_user_sgpr_dispatch_id 0
		.amdhsa_user_sgpr_flat_scratch_init 0
		.amdhsa_user_sgpr_private_segment_size 0
		.amdhsa_uses_dynamic_stack 0
		.amdhsa_system_sgpr_private_segment_wavefront_offset 0
		.amdhsa_system_sgpr_workgroup_id_x 1
		.amdhsa_system_sgpr_workgroup_id_y 0
		.amdhsa_system_sgpr_workgroup_id_z 0
		.amdhsa_system_sgpr_workgroup_info 0
		.amdhsa_system_vgpr_workitem_id 0
		.amdhsa_next_free_vgpr 1
		.amdhsa_next_free_sgpr 0
		.amdhsa_reserve_vcc 0
		.amdhsa_reserve_flat_scratch 0
		.amdhsa_float_round_mode_32 0
		.amdhsa_float_round_mode_16_64 0
		.amdhsa_float_denorm_mode_32 3
		.amdhsa_float_denorm_mode_16_64 3
		.amdhsa_dx10_clamp 1
		.amdhsa_ieee_mode 1
		.amdhsa_fp16_overflow 0
		.amdhsa_exception_fp_ieee_invalid_op 0
		.amdhsa_exception_fp_denorm_src 0
		.amdhsa_exception_fp_ieee_div_zero 0
		.amdhsa_exception_fp_ieee_overflow 0
		.amdhsa_exception_fp_ieee_underflow 0
		.amdhsa_exception_fp_ieee_inexact 0
		.amdhsa_exception_int_div_zero 0
	.end_amdhsa_kernel
	.section	.text._ZN7rocprim17ROCPRIM_400000_NS6detail17trampoline_kernelINS0_14default_configENS1_38merge_sort_block_merge_config_selectorIalEEZZNS1_27merge_sort_block_merge_implIS3_PaN6thrust23THRUST_200600_302600_NS10device_ptrIlEEjNS1_19radix_merge_compareILb0ELb1EaNS0_19identity_decomposerEEEEE10hipError_tT0_T1_T2_jT3_P12ihipStream_tbPNSt15iterator_traitsISG_E10value_typeEPNSM_ISH_E10value_typeEPSI_NS1_7vsmem_tEENKUlT_SG_SH_SI_E_clIS7_S7_PlSB_EESF_SV_SG_SH_SI_EUlSV_E_NS1_11comp_targetILNS1_3genE3ELNS1_11target_archE908ELNS1_3gpuE7ELNS1_3repE0EEENS1_48merge_mergepath_partition_config_static_selectorELNS0_4arch9wavefront6targetE1EEEvSH_,"axG",@progbits,_ZN7rocprim17ROCPRIM_400000_NS6detail17trampoline_kernelINS0_14default_configENS1_38merge_sort_block_merge_config_selectorIalEEZZNS1_27merge_sort_block_merge_implIS3_PaN6thrust23THRUST_200600_302600_NS10device_ptrIlEEjNS1_19radix_merge_compareILb0ELb1EaNS0_19identity_decomposerEEEEE10hipError_tT0_T1_T2_jT3_P12ihipStream_tbPNSt15iterator_traitsISG_E10value_typeEPNSM_ISH_E10value_typeEPSI_NS1_7vsmem_tEENKUlT_SG_SH_SI_E_clIS7_S7_PlSB_EESF_SV_SG_SH_SI_EUlSV_E_NS1_11comp_targetILNS1_3genE3ELNS1_11target_archE908ELNS1_3gpuE7ELNS1_3repE0EEENS1_48merge_mergepath_partition_config_static_selectorELNS0_4arch9wavefront6targetE1EEEvSH_,comdat
.Lfunc_end538:
	.size	_ZN7rocprim17ROCPRIM_400000_NS6detail17trampoline_kernelINS0_14default_configENS1_38merge_sort_block_merge_config_selectorIalEEZZNS1_27merge_sort_block_merge_implIS3_PaN6thrust23THRUST_200600_302600_NS10device_ptrIlEEjNS1_19radix_merge_compareILb0ELb1EaNS0_19identity_decomposerEEEEE10hipError_tT0_T1_T2_jT3_P12ihipStream_tbPNSt15iterator_traitsISG_E10value_typeEPNSM_ISH_E10value_typeEPSI_NS1_7vsmem_tEENKUlT_SG_SH_SI_E_clIS7_S7_PlSB_EESF_SV_SG_SH_SI_EUlSV_E_NS1_11comp_targetILNS1_3genE3ELNS1_11target_archE908ELNS1_3gpuE7ELNS1_3repE0EEENS1_48merge_mergepath_partition_config_static_selectorELNS0_4arch9wavefront6targetE1EEEvSH_, .Lfunc_end538-_ZN7rocprim17ROCPRIM_400000_NS6detail17trampoline_kernelINS0_14default_configENS1_38merge_sort_block_merge_config_selectorIalEEZZNS1_27merge_sort_block_merge_implIS3_PaN6thrust23THRUST_200600_302600_NS10device_ptrIlEEjNS1_19radix_merge_compareILb0ELb1EaNS0_19identity_decomposerEEEEE10hipError_tT0_T1_T2_jT3_P12ihipStream_tbPNSt15iterator_traitsISG_E10value_typeEPNSM_ISH_E10value_typeEPSI_NS1_7vsmem_tEENKUlT_SG_SH_SI_E_clIS7_S7_PlSB_EESF_SV_SG_SH_SI_EUlSV_E_NS1_11comp_targetILNS1_3genE3ELNS1_11target_archE908ELNS1_3gpuE7ELNS1_3repE0EEENS1_48merge_mergepath_partition_config_static_selectorELNS0_4arch9wavefront6targetE1EEEvSH_
                                        ; -- End function
	.set _ZN7rocprim17ROCPRIM_400000_NS6detail17trampoline_kernelINS0_14default_configENS1_38merge_sort_block_merge_config_selectorIalEEZZNS1_27merge_sort_block_merge_implIS3_PaN6thrust23THRUST_200600_302600_NS10device_ptrIlEEjNS1_19radix_merge_compareILb0ELb1EaNS0_19identity_decomposerEEEEE10hipError_tT0_T1_T2_jT3_P12ihipStream_tbPNSt15iterator_traitsISG_E10value_typeEPNSM_ISH_E10value_typeEPSI_NS1_7vsmem_tEENKUlT_SG_SH_SI_E_clIS7_S7_PlSB_EESF_SV_SG_SH_SI_EUlSV_E_NS1_11comp_targetILNS1_3genE3ELNS1_11target_archE908ELNS1_3gpuE7ELNS1_3repE0EEENS1_48merge_mergepath_partition_config_static_selectorELNS0_4arch9wavefront6targetE1EEEvSH_.num_vgpr, 0
	.set _ZN7rocprim17ROCPRIM_400000_NS6detail17trampoline_kernelINS0_14default_configENS1_38merge_sort_block_merge_config_selectorIalEEZZNS1_27merge_sort_block_merge_implIS3_PaN6thrust23THRUST_200600_302600_NS10device_ptrIlEEjNS1_19radix_merge_compareILb0ELb1EaNS0_19identity_decomposerEEEEE10hipError_tT0_T1_T2_jT3_P12ihipStream_tbPNSt15iterator_traitsISG_E10value_typeEPNSM_ISH_E10value_typeEPSI_NS1_7vsmem_tEENKUlT_SG_SH_SI_E_clIS7_S7_PlSB_EESF_SV_SG_SH_SI_EUlSV_E_NS1_11comp_targetILNS1_3genE3ELNS1_11target_archE908ELNS1_3gpuE7ELNS1_3repE0EEENS1_48merge_mergepath_partition_config_static_selectorELNS0_4arch9wavefront6targetE1EEEvSH_.num_agpr, 0
	.set _ZN7rocprim17ROCPRIM_400000_NS6detail17trampoline_kernelINS0_14default_configENS1_38merge_sort_block_merge_config_selectorIalEEZZNS1_27merge_sort_block_merge_implIS3_PaN6thrust23THRUST_200600_302600_NS10device_ptrIlEEjNS1_19radix_merge_compareILb0ELb1EaNS0_19identity_decomposerEEEEE10hipError_tT0_T1_T2_jT3_P12ihipStream_tbPNSt15iterator_traitsISG_E10value_typeEPNSM_ISH_E10value_typeEPSI_NS1_7vsmem_tEENKUlT_SG_SH_SI_E_clIS7_S7_PlSB_EESF_SV_SG_SH_SI_EUlSV_E_NS1_11comp_targetILNS1_3genE3ELNS1_11target_archE908ELNS1_3gpuE7ELNS1_3repE0EEENS1_48merge_mergepath_partition_config_static_selectorELNS0_4arch9wavefront6targetE1EEEvSH_.numbered_sgpr, 0
	.set _ZN7rocprim17ROCPRIM_400000_NS6detail17trampoline_kernelINS0_14default_configENS1_38merge_sort_block_merge_config_selectorIalEEZZNS1_27merge_sort_block_merge_implIS3_PaN6thrust23THRUST_200600_302600_NS10device_ptrIlEEjNS1_19radix_merge_compareILb0ELb1EaNS0_19identity_decomposerEEEEE10hipError_tT0_T1_T2_jT3_P12ihipStream_tbPNSt15iterator_traitsISG_E10value_typeEPNSM_ISH_E10value_typeEPSI_NS1_7vsmem_tEENKUlT_SG_SH_SI_E_clIS7_S7_PlSB_EESF_SV_SG_SH_SI_EUlSV_E_NS1_11comp_targetILNS1_3genE3ELNS1_11target_archE908ELNS1_3gpuE7ELNS1_3repE0EEENS1_48merge_mergepath_partition_config_static_selectorELNS0_4arch9wavefront6targetE1EEEvSH_.num_named_barrier, 0
	.set _ZN7rocprim17ROCPRIM_400000_NS6detail17trampoline_kernelINS0_14default_configENS1_38merge_sort_block_merge_config_selectorIalEEZZNS1_27merge_sort_block_merge_implIS3_PaN6thrust23THRUST_200600_302600_NS10device_ptrIlEEjNS1_19radix_merge_compareILb0ELb1EaNS0_19identity_decomposerEEEEE10hipError_tT0_T1_T2_jT3_P12ihipStream_tbPNSt15iterator_traitsISG_E10value_typeEPNSM_ISH_E10value_typeEPSI_NS1_7vsmem_tEENKUlT_SG_SH_SI_E_clIS7_S7_PlSB_EESF_SV_SG_SH_SI_EUlSV_E_NS1_11comp_targetILNS1_3genE3ELNS1_11target_archE908ELNS1_3gpuE7ELNS1_3repE0EEENS1_48merge_mergepath_partition_config_static_selectorELNS0_4arch9wavefront6targetE1EEEvSH_.private_seg_size, 0
	.set _ZN7rocprim17ROCPRIM_400000_NS6detail17trampoline_kernelINS0_14default_configENS1_38merge_sort_block_merge_config_selectorIalEEZZNS1_27merge_sort_block_merge_implIS3_PaN6thrust23THRUST_200600_302600_NS10device_ptrIlEEjNS1_19radix_merge_compareILb0ELb1EaNS0_19identity_decomposerEEEEE10hipError_tT0_T1_T2_jT3_P12ihipStream_tbPNSt15iterator_traitsISG_E10value_typeEPNSM_ISH_E10value_typeEPSI_NS1_7vsmem_tEENKUlT_SG_SH_SI_E_clIS7_S7_PlSB_EESF_SV_SG_SH_SI_EUlSV_E_NS1_11comp_targetILNS1_3genE3ELNS1_11target_archE908ELNS1_3gpuE7ELNS1_3repE0EEENS1_48merge_mergepath_partition_config_static_selectorELNS0_4arch9wavefront6targetE1EEEvSH_.uses_vcc, 0
	.set _ZN7rocprim17ROCPRIM_400000_NS6detail17trampoline_kernelINS0_14default_configENS1_38merge_sort_block_merge_config_selectorIalEEZZNS1_27merge_sort_block_merge_implIS3_PaN6thrust23THRUST_200600_302600_NS10device_ptrIlEEjNS1_19radix_merge_compareILb0ELb1EaNS0_19identity_decomposerEEEEE10hipError_tT0_T1_T2_jT3_P12ihipStream_tbPNSt15iterator_traitsISG_E10value_typeEPNSM_ISH_E10value_typeEPSI_NS1_7vsmem_tEENKUlT_SG_SH_SI_E_clIS7_S7_PlSB_EESF_SV_SG_SH_SI_EUlSV_E_NS1_11comp_targetILNS1_3genE3ELNS1_11target_archE908ELNS1_3gpuE7ELNS1_3repE0EEENS1_48merge_mergepath_partition_config_static_selectorELNS0_4arch9wavefront6targetE1EEEvSH_.uses_flat_scratch, 0
	.set _ZN7rocprim17ROCPRIM_400000_NS6detail17trampoline_kernelINS0_14default_configENS1_38merge_sort_block_merge_config_selectorIalEEZZNS1_27merge_sort_block_merge_implIS3_PaN6thrust23THRUST_200600_302600_NS10device_ptrIlEEjNS1_19radix_merge_compareILb0ELb1EaNS0_19identity_decomposerEEEEE10hipError_tT0_T1_T2_jT3_P12ihipStream_tbPNSt15iterator_traitsISG_E10value_typeEPNSM_ISH_E10value_typeEPSI_NS1_7vsmem_tEENKUlT_SG_SH_SI_E_clIS7_S7_PlSB_EESF_SV_SG_SH_SI_EUlSV_E_NS1_11comp_targetILNS1_3genE3ELNS1_11target_archE908ELNS1_3gpuE7ELNS1_3repE0EEENS1_48merge_mergepath_partition_config_static_selectorELNS0_4arch9wavefront6targetE1EEEvSH_.has_dyn_sized_stack, 0
	.set _ZN7rocprim17ROCPRIM_400000_NS6detail17trampoline_kernelINS0_14default_configENS1_38merge_sort_block_merge_config_selectorIalEEZZNS1_27merge_sort_block_merge_implIS3_PaN6thrust23THRUST_200600_302600_NS10device_ptrIlEEjNS1_19radix_merge_compareILb0ELb1EaNS0_19identity_decomposerEEEEE10hipError_tT0_T1_T2_jT3_P12ihipStream_tbPNSt15iterator_traitsISG_E10value_typeEPNSM_ISH_E10value_typeEPSI_NS1_7vsmem_tEENKUlT_SG_SH_SI_E_clIS7_S7_PlSB_EESF_SV_SG_SH_SI_EUlSV_E_NS1_11comp_targetILNS1_3genE3ELNS1_11target_archE908ELNS1_3gpuE7ELNS1_3repE0EEENS1_48merge_mergepath_partition_config_static_selectorELNS0_4arch9wavefront6targetE1EEEvSH_.has_recursion, 0
	.set _ZN7rocprim17ROCPRIM_400000_NS6detail17trampoline_kernelINS0_14default_configENS1_38merge_sort_block_merge_config_selectorIalEEZZNS1_27merge_sort_block_merge_implIS3_PaN6thrust23THRUST_200600_302600_NS10device_ptrIlEEjNS1_19radix_merge_compareILb0ELb1EaNS0_19identity_decomposerEEEEE10hipError_tT0_T1_T2_jT3_P12ihipStream_tbPNSt15iterator_traitsISG_E10value_typeEPNSM_ISH_E10value_typeEPSI_NS1_7vsmem_tEENKUlT_SG_SH_SI_E_clIS7_S7_PlSB_EESF_SV_SG_SH_SI_EUlSV_E_NS1_11comp_targetILNS1_3genE3ELNS1_11target_archE908ELNS1_3gpuE7ELNS1_3repE0EEENS1_48merge_mergepath_partition_config_static_selectorELNS0_4arch9wavefront6targetE1EEEvSH_.has_indirect_call, 0
	.section	.AMDGPU.csdata,"",@progbits
; Kernel info:
; codeLenInByte = 0
; TotalNumSgprs: 4
; NumVgprs: 0
; ScratchSize: 0
; MemoryBound: 0
; FloatMode: 240
; IeeeMode: 1
; LDSByteSize: 0 bytes/workgroup (compile time only)
; SGPRBlocks: 0
; VGPRBlocks: 0
; NumSGPRsForWavesPerEU: 4
; NumVGPRsForWavesPerEU: 1
; Occupancy: 10
; WaveLimiterHint : 0
; COMPUTE_PGM_RSRC2:SCRATCH_EN: 0
; COMPUTE_PGM_RSRC2:USER_SGPR: 6
; COMPUTE_PGM_RSRC2:TRAP_HANDLER: 0
; COMPUTE_PGM_RSRC2:TGID_X_EN: 1
; COMPUTE_PGM_RSRC2:TGID_Y_EN: 0
; COMPUTE_PGM_RSRC2:TGID_Z_EN: 0
; COMPUTE_PGM_RSRC2:TIDIG_COMP_CNT: 0
	.section	.text._ZN7rocprim17ROCPRIM_400000_NS6detail17trampoline_kernelINS0_14default_configENS1_38merge_sort_block_merge_config_selectorIalEEZZNS1_27merge_sort_block_merge_implIS3_PaN6thrust23THRUST_200600_302600_NS10device_ptrIlEEjNS1_19radix_merge_compareILb0ELb1EaNS0_19identity_decomposerEEEEE10hipError_tT0_T1_T2_jT3_P12ihipStream_tbPNSt15iterator_traitsISG_E10value_typeEPNSM_ISH_E10value_typeEPSI_NS1_7vsmem_tEENKUlT_SG_SH_SI_E_clIS7_S7_PlSB_EESF_SV_SG_SH_SI_EUlSV_E_NS1_11comp_targetILNS1_3genE2ELNS1_11target_archE906ELNS1_3gpuE6ELNS1_3repE0EEENS1_48merge_mergepath_partition_config_static_selectorELNS0_4arch9wavefront6targetE1EEEvSH_,"axG",@progbits,_ZN7rocprim17ROCPRIM_400000_NS6detail17trampoline_kernelINS0_14default_configENS1_38merge_sort_block_merge_config_selectorIalEEZZNS1_27merge_sort_block_merge_implIS3_PaN6thrust23THRUST_200600_302600_NS10device_ptrIlEEjNS1_19radix_merge_compareILb0ELb1EaNS0_19identity_decomposerEEEEE10hipError_tT0_T1_T2_jT3_P12ihipStream_tbPNSt15iterator_traitsISG_E10value_typeEPNSM_ISH_E10value_typeEPSI_NS1_7vsmem_tEENKUlT_SG_SH_SI_E_clIS7_S7_PlSB_EESF_SV_SG_SH_SI_EUlSV_E_NS1_11comp_targetILNS1_3genE2ELNS1_11target_archE906ELNS1_3gpuE6ELNS1_3repE0EEENS1_48merge_mergepath_partition_config_static_selectorELNS0_4arch9wavefront6targetE1EEEvSH_,comdat
	.protected	_ZN7rocprim17ROCPRIM_400000_NS6detail17trampoline_kernelINS0_14default_configENS1_38merge_sort_block_merge_config_selectorIalEEZZNS1_27merge_sort_block_merge_implIS3_PaN6thrust23THRUST_200600_302600_NS10device_ptrIlEEjNS1_19radix_merge_compareILb0ELb1EaNS0_19identity_decomposerEEEEE10hipError_tT0_T1_T2_jT3_P12ihipStream_tbPNSt15iterator_traitsISG_E10value_typeEPNSM_ISH_E10value_typeEPSI_NS1_7vsmem_tEENKUlT_SG_SH_SI_E_clIS7_S7_PlSB_EESF_SV_SG_SH_SI_EUlSV_E_NS1_11comp_targetILNS1_3genE2ELNS1_11target_archE906ELNS1_3gpuE6ELNS1_3repE0EEENS1_48merge_mergepath_partition_config_static_selectorELNS0_4arch9wavefront6targetE1EEEvSH_ ; -- Begin function _ZN7rocprim17ROCPRIM_400000_NS6detail17trampoline_kernelINS0_14default_configENS1_38merge_sort_block_merge_config_selectorIalEEZZNS1_27merge_sort_block_merge_implIS3_PaN6thrust23THRUST_200600_302600_NS10device_ptrIlEEjNS1_19radix_merge_compareILb0ELb1EaNS0_19identity_decomposerEEEEE10hipError_tT0_T1_T2_jT3_P12ihipStream_tbPNSt15iterator_traitsISG_E10value_typeEPNSM_ISH_E10value_typeEPSI_NS1_7vsmem_tEENKUlT_SG_SH_SI_E_clIS7_S7_PlSB_EESF_SV_SG_SH_SI_EUlSV_E_NS1_11comp_targetILNS1_3genE2ELNS1_11target_archE906ELNS1_3gpuE6ELNS1_3repE0EEENS1_48merge_mergepath_partition_config_static_selectorELNS0_4arch9wavefront6targetE1EEEvSH_
	.globl	_ZN7rocprim17ROCPRIM_400000_NS6detail17trampoline_kernelINS0_14default_configENS1_38merge_sort_block_merge_config_selectorIalEEZZNS1_27merge_sort_block_merge_implIS3_PaN6thrust23THRUST_200600_302600_NS10device_ptrIlEEjNS1_19radix_merge_compareILb0ELb1EaNS0_19identity_decomposerEEEEE10hipError_tT0_T1_T2_jT3_P12ihipStream_tbPNSt15iterator_traitsISG_E10value_typeEPNSM_ISH_E10value_typeEPSI_NS1_7vsmem_tEENKUlT_SG_SH_SI_E_clIS7_S7_PlSB_EESF_SV_SG_SH_SI_EUlSV_E_NS1_11comp_targetILNS1_3genE2ELNS1_11target_archE906ELNS1_3gpuE6ELNS1_3repE0EEENS1_48merge_mergepath_partition_config_static_selectorELNS0_4arch9wavefront6targetE1EEEvSH_
	.p2align	8
	.type	_ZN7rocprim17ROCPRIM_400000_NS6detail17trampoline_kernelINS0_14default_configENS1_38merge_sort_block_merge_config_selectorIalEEZZNS1_27merge_sort_block_merge_implIS3_PaN6thrust23THRUST_200600_302600_NS10device_ptrIlEEjNS1_19radix_merge_compareILb0ELb1EaNS0_19identity_decomposerEEEEE10hipError_tT0_T1_T2_jT3_P12ihipStream_tbPNSt15iterator_traitsISG_E10value_typeEPNSM_ISH_E10value_typeEPSI_NS1_7vsmem_tEENKUlT_SG_SH_SI_E_clIS7_S7_PlSB_EESF_SV_SG_SH_SI_EUlSV_E_NS1_11comp_targetILNS1_3genE2ELNS1_11target_archE906ELNS1_3gpuE6ELNS1_3repE0EEENS1_48merge_mergepath_partition_config_static_selectorELNS0_4arch9wavefront6targetE1EEEvSH_,@function
_ZN7rocprim17ROCPRIM_400000_NS6detail17trampoline_kernelINS0_14default_configENS1_38merge_sort_block_merge_config_selectorIalEEZZNS1_27merge_sort_block_merge_implIS3_PaN6thrust23THRUST_200600_302600_NS10device_ptrIlEEjNS1_19radix_merge_compareILb0ELb1EaNS0_19identity_decomposerEEEEE10hipError_tT0_T1_T2_jT3_P12ihipStream_tbPNSt15iterator_traitsISG_E10value_typeEPNSM_ISH_E10value_typeEPSI_NS1_7vsmem_tEENKUlT_SG_SH_SI_E_clIS7_S7_PlSB_EESF_SV_SG_SH_SI_EUlSV_E_NS1_11comp_targetILNS1_3genE2ELNS1_11target_archE906ELNS1_3gpuE6ELNS1_3repE0EEENS1_48merge_mergepath_partition_config_static_selectorELNS0_4arch9wavefront6targetE1EEEvSH_: ; @_ZN7rocprim17ROCPRIM_400000_NS6detail17trampoline_kernelINS0_14default_configENS1_38merge_sort_block_merge_config_selectorIalEEZZNS1_27merge_sort_block_merge_implIS3_PaN6thrust23THRUST_200600_302600_NS10device_ptrIlEEjNS1_19radix_merge_compareILb0ELb1EaNS0_19identity_decomposerEEEEE10hipError_tT0_T1_T2_jT3_P12ihipStream_tbPNSt15iterator_traitsISG_E10value_typeEPNSM_ISH_E10value_typeEPSI_NS1_7vsmem_tEENKUlT_SG_SH_SI_E_clIS7_S7_PlSB_EESF_SV_SG_SH_SI_EUlSV_E_NS1_11comp_targetILNS1_3genE2ELNS1_11target_archE906ELNS1_3gpuE6ELNS1_3repE0EEENS1_48merge_mergepath_partition_config_static_selectorELNS0_4arch9wavefront6targetE1EEEvSH_
; %bb.0:
	s_load_dword s0, s[4:5], 0x0
	v_lshl_or_b32 v0, s6, 7, v0
	s_waitcnt lgkmcnt(0)
	v_cmp_gt_u32_e32 vcc, s0, v0
	s_and_saveexec_b64 s[0:1], vcc
	s_cbranch_execz .LBB539_6
; %bb.1:
	s_load_dwordx2 s[2:3], s[4:5], 0x4
	s_load_dwordx2 s[0:1], s[4:5], 0x20
	s_waitcnt lgkmcnt(0)
	s_lshr_b32 s6, s2, 9
	s_and_b32 s6, s6, 0x7ffffe
	s_add_i32 s7, s6, -1
	s_sub_i32 s6, 0, s6
	v_and_b32_e32 v1, s6, v0
	v_lshlrev_b32_e32 v3, 10, v1
	v_min_u32_e32 v1, s3, v3
	v_add_u32_e32 v3, s2, v3
	v_min_u32_e32 v7, s3, v3
	v_add_u32_e32 v3, s2, v7
	v_and_b32_e32 v2, s7, v0
	v_min_u32_e32 v4, s3, v3
	v_sub_u32_e32 v3, v4, v1
	v_lshlrev_b32_e32 v2, 10, v2
	v_min_u32_e32 v3, v3, v2
	v_sub_u32_e32 v5, v7, v1
	v_sub_u32_e32 v2, v4, v7
	v_sub_u32_e64 v2, v3, v2 clamp
	v_min_u32_e32 v4, v3, v5
	v_cmp_lt_u32_e32 vcc, v2, v4
	s_and_saveexec_b64 s[2:3], vcc
	s_cbranch_execz .LBB539_5
; %bb.2:
	s_load_dwordx2 s[8:9], s[4:5], 0x10
	s_load_dword s6, s[4:5], 0x18
	s_mov_b64 s[4:5], 0
	s_waitcnt lgkmcnt(0)
	v_mov_b32_e32 v8, s9
	v_add_co_u32_e32 v5, vcc, s8, v1
	v_addc_co_u32_e32 v6, vcc, 0, v8, vcc
	v_add_co_u32_e32 v7, vcc, s8, v7
	v_addc_co_u32_e32 v8, vcc, 0, v8, vcc
.LBB539_3:                              ; =>This Inner Loop Header: Depth=1
	v_add_u32_e32 v9, v4, v2
	v_lshrrev_b32_e32 v13, 1, v9
	v_add_co_u32_e32 v9, vcc, v5, v13
	v_xad_u32 v11, v13, -1, v3
	v_addc_co_u32_e32 v10, vcc, 0, v6, vcc
	v_add_co_u32_e32 v11, vcc, v7, v11
	v_addc_co_u32_e32 v12, vcc, 0, v8, vcc
	global_load_ubyte v14, v[9:10], off
	global_load_ubyte v15, v[11:12], off
	v_add_u32_e32 v9, 1, v13
	s_waitcnt vmcnt(1)
	v_and_b32_e32 v10, s6, v14
	s_waitcnt vmcnt(0)
	v_and_b32_e32 v11, s6, v15
	v_cmp_gt_i16_sdwa vcc, sext(v10), sext(v11) src0_sel:BYTE_0 src1_sel:BYTE_0
	v_cndmask_b32_e32 v4, v4, v13, vcc
	v_cndmask_b32_e32 v2, v9, v2, vcc
	v_cmp_ge_u32_e32 vcc, v2, v4
	s_or_b64 s[4:5], vcc, s[4:5]
	s_andn2_b64 exec, exec, s[4:5]
	s_cbranch_execnz .LBB539_3
; %bb.4:
	s_or_b64 exec, exec, s[4:5]
.LBB539_5:
	s_or_b64 exec, exec, s[2:3]
	v_add_u32_e32 v2, v2, v1
	v_mov_b32_e32 v1, 0
	v_lshlrev_b64 v[0:1], 2, v[0:1]
	v_mov_b32_e32 v3, s1
	v_add_co_u32_e32 v0, vcc, s0, v0
	v_addc_co_u32_e32 v1, vcc, v3, v1, vcc
	global_store_dword v[0:1], v2, off
.LBB539_6:
	s_endpgm
	.section	.rodata,"a",@progbits
	.p2align	6, 0x0
	.amdhsa_kernel _ZN7rocprim17ROCPRIM_400000_NS6detail17trampoline_kernelINS0_14default_configENS1_38merge_sort_block_merge_config_selectorIalEEZZNS1_27merge_sort_block_merge_implIS3_PaN6thrust23THRUST_200600_302600_NS10device_ptrIlEEjNS1_19radix_merge_compareILb0ELb1EaNS0_19identity_decomposerEEEEE10hipError_tT0_T1_T2_jT3_P12ihipStream_tbPNSt15iterator_traitsISG_E10value_typeEPNSM_ISH_E10value_typeEPSI_NS1_7vsmem_tEENKUlT_SG_SH_SI_E_clIS7_S7_PlSB_EESF_SV_SG_SH_SI_EUlSV_E_NS1_11comp_targetILNS1_3genE2ELNS1_11target_archE906ELNS1_3gpuE6ELNS1_3repE0EEENS1_48merge_mergepath_partition_config_static_selectorELNS0_4arch9wavefront6targetE1EEEvSH_
		.amdhsa_group_segment_fixed_size 0
		.amdhsa_private_segment_fixed_size 0
		.amdhsa_kernarg_size 40
		.amdhsa_user_sgpr_count 6
		.amdhsa_user_sgpr_private_segment_buffer 1
		.amdhsa_user_sgpr_dispatch_ptr 0
		.amdhsa_user_sgpr_queue_ptr 0
		.amdhsa_user_sgpr_kernarg_segment_ptr 1
		.amdhsa_user_sgpr_dispatch_id 0
		.amdhsa_user_sgpr_flat_scratch_init 0
		.amdhsa_user_sgpr_private_segment_size 0
		.amdhsa_uses_dynamic_stack 0
		.amdhsa_system_sgpr_private_segment_wavefront_offset 0
		.amdhsa_system_sgpr_workgroup_id_x 1
		.amdhsa_system_sgpr_workgroup_id_y 0
		.amdhsa_system_sgpr_workgroup_id_z 0
		.amdhsa_system_sgpr_workgroup_info 0
		.amdhsa_system_vgpr_workitem_id 0
		.amdhsa_next_free_vgpr 16
		.amdhsa_next_free_sgpr 10
		.amdhsa_reserve_vcc 1
		.amdhsa_reserve_flat_scratch 0
		.amdhsa_float_round_mode_32 0
		.amdhsa_float_round_mode_16_64 0
		.amdhsa_float_denorm_mode_32 3
		.amdhsa_float_denorm_mode_16_64 3
		.amdhsa_dx10_clamp 1
		.amdhsa_ieee_mode 1
		.amdhsa_fp16_overflow 0
		.amdhsa_exception_fp_ieee_invalid_op 0
		.amdhsa_exception_fp_denorm_src 0
		.amdhsa_exception_fp_ieee_div_zero 0
		.amdhsa_exception_fp_ieee_overflow 0
		.amdhsa_exception_fp_ieee_underflow 0
		.amdhsa_exception_fp_ieee_inexact 0
		.amdhsa_exception_int_div_zero 0
	.end_amdhsa_kernel
	.section	.text._ZN7rocprim17ROCPRIM_400000_NS6detail17trampoline_kernelINS0_14default_configENS1_38merge_sort_block_merge_config_selectorIalEEZZNS1_27merge_sort_block_merge_implIS3_PaN6thrust23THRUST_200600_302600_NS10device_ptrIlEEjNS1_19radix_merge_compareILb0ELb1EaNS0_19identity_decomposerEEEEE10hipError_tT0_T1_T2_jT3_P12ihipStream_tbPNSt15iterator_traitsISG_E10value_typeEPNSM_ISH_E10value_typeEPSI_NS1_7vsmem_tEENKUlT_SG_SH_SI_E_clIS7_S7_PlSB_EESF_SV_SG_SH_SI_EUlSV_E_NS1_11comp_targetILNS1_3genE2ELNS1_11target_archE906ELNS1_3gpuE6ELNS1_3repE0EEENS1_48merge_mergepath_partition_config_static_selectorELNS0_4arch9wavefront6targetE1EEEvSH_,"axG",@progbits,_ZN7rocprim17ROCPRIM_400000_NS6detail17trampoline_kernelINS0_14default_configENS1_38merge_sort_block_merge_config_selectorIalEEZZNS1_27merge_sort_block_merge_implIS3_PaN6thrust23THRUST_200600_302600_NS10device_ptrIlEEjNS1_19radix_merge_compareILb0ELb1EaNS0_19identity_decomposerEEEEE10hipError_tT0_T1_T2_jT3_P12ihipStream_tbPNSt15iterator_traitsISG_E10value_typeEPNSM_ISH_E10value_typeEPSI_NS1_7vsmem_tEENKUlT_SG_SH_SI_E_clIS7_S7_PlSB_EESF_SV_SG_SH_SI_EUlSV_E_NS1_11comp_targetILNS1_3genE2ELNS1_11target_archE906ELNS1_3gpuE6ELNS1_3repE0EEENS1_48merge_mergepath_partition_config_static_selectorELNS0_4arch9wavefront6targetE1EEEvSH_,comdat
.Lfunc_end539:
	.size	_ZN7rocprim17ROCPRIM_400000_NS6detail17trampoline_kernelINS0_14default_configENS1_38merge_sort_block_merge_config_selectorIalEEZZNS1_27merge_sort_block_merge_implIS3_PaN6thrust23THRUST_200600_302600_NS10device_ptrIlEEjNS1_19radix_merge_compareILb0ELb1EaNS0_19identity_decomposerEEEEE10hipError_tT0_T1_T2_jT3_P12ihipStream_tbPNSt15iterator_traitsISG_E10value_typeEPNSM_ISH_E10value_typeEPSI_NS1_7vsmem_tEENKUlT_SG_SH_SI_E_clIS7_S7_PlSB_EESF_SV_SG_SH_SI_EUlSV_E_NS1_11comp_targetILNS1_3genE2ELNS1_11target_archE906ELNS1_3gpuE6ELNS1_3repE0EEENS1_48merge_mergepath_partition_config_static_selectorELNS0_4arch9wavefront6targetE1EEEvSH_, .Lfunc_end539-_ZN7rocprim17ROCPRIM_400000_NS6detail17trampoline_kernelINS0_14default_configENS1_38merge_sort_block_merge_config_selectorIalEEZZNS1_27merge_sort_block_merge_implIS3_PaN6thrust23THRUST_200600_302600_NS10device_ptrIlEEjNS1_19radix_merge_compareILb0ELb1EaNS0_19identity_decomposerEEEEE10hipError_tT0_T1_T2_jT3_P12ihipStream_tbPNSt15iterator_traitsISG_E10value_typeEPNSM_ISH_E10value_typeEPSI_NS1_7vsmem_tEENKUlT_SG_SH_SI_E_clIS7_S7_PlSB_EESF_SV_SG_SH_SI_EUlSV_E_NS1_11comp_targetILNS1_3genE2ELNS1_11target_archE906ELNS1_3gpuE6ELNS1_3repE0EEENS1_48merge_mergepath_partition_config_static_selectorELNS0_4arch9wavefront6targetE1EEEvSH_
                                        ; -- End function
	.set _ZN7rocprim17ROCPRIM_400000_NS6detail17trampoline_kernelINS0_14default_configENS1_38merge_sort_block_merge_config_selectorIalEEZZNS1_27merge_sort_block_merge_implIS3_PaN6thrust23THRUST_200600_302600_NS10device_ptrIlEEjNS1_19radix_merge_compareILb0ELb1EaNS0_19identity_decomposerEEEEE10hipError_tT0_T1_T2_jT3_P12ihipStream_tbPNSt15iterator_traitsISG_E10value_typeEPNSM_ISH_E10value_typeEPSI_NS1_7vsmem_tEENKUlT_SG_SH_SI_E_clIS7_S7_PlSB_EESF_SV_SG_SH_SI_EUlSV_E_NS1_11comp_targetILNS1_3genE2ELNS1_11target_archE906ELNS1_3gpuE6ELNS1_3repE0EEENS1_48merge_mergepath_partition_config_static_selectorELNS0_4arch9wavefront6targetE1EEEvSH_.num_vgpr, 16
	.set _ZN7rocprim17ROCPRIM_400000_NS6detail17trampoline_kernelINS0_14default_configENS1_38merge_sort_block_merge_config_selectorIalEEZZNS1_27merge_sort_block_merge_implIS3_PaN6thrust23THRUST_200600_302600_NS10device_ptrIlEEjNS1_19radix_merge_compareILb0ELb1EaNS0_19identity_decomposerEEEEE10hipError_tT0_T1_T2_jT3_P12ihipStream_tbPNSt15iterator_traitsISG_E10value_typeEPNSM_ISH_E10value_typeEPSI_NS1_7vsmem_tEENKUlT_SG_SH_SI_E_clIS7_S7_PlSB_EESF_SV_SG_SH_SI_EUlSV_E_NS1_11comp_targetILNS1_3genE2ELNS1_11target_archE906ELNS1_3gpuE6ELNS1_3repE0EEENS1_48merge_mergepath_partition_config_static_selectorELNS0_4arch9wavefront6targetE1EEEvSH_.num_agpr, 0
	.set _ZN7rocprim17ROCPRIM_400000_NS6detail17trampoline_kernelINS0_14default_configENS1_38merge_sort_block_merge_config_selectorIalEEZZNS1_27merge_sort_block_merge_implIS3_PaN6thrust23THRUST_200600_302600_NS10device_ptrIlEEjNS1_19radix_merge_compareILb0ELb1EaNS0_19identity_decomposerEEEEE10hipError_tT0_T1_T2_jT3_P12ihipStream_tbPNSt15iterator_traitsISG_E10value_typeEPNSM_ISH_E10value_typeEPSI_NS1_7vsmem_tEENKUlT_SG_SH_SI_E_clIS7_S7_PlSB_EESF_SV_SG_SH_SI_EUlSV_E_NS1_11comp_targetILNS1_3genE2ELNS1_11target_archE906ELNS1_3gpuE6ELNS1_3repE0EEENS1_48merge_mergepath_partition_config_static_selectorELNS0_4arch9wavefront6targetE1EEEvSH_.numbered_sgpr, 10
	.set _ZN7rocprim17ROCPRIM_400000_NS6detail17trampoline_kernelINS0_14default_configENS1_38merge_sort_block_merge_config_selectorIalEEZZNS1_27merge_sort_block_merge_implIS3_PaN6thrust23THRUST_200600_302600_NS10device_ptrIlEEjNS1_19radix_merge_compareILb0ELb1EaNS0_19identity_decomposerEEEEE10hipError_tT0_T1_T2_jT3_P12ihipStream_tbPNSt15iterator_traitsISG_E10value_typeEPNSM_ISH_E10value_typeEPSI_NS1_7vsmem_tEENKUlT_SG_SH_SI_E_clIS7_S7_PlSB_EESF_SV_SG_SH_SI_EUlSV_E_NS1_11comp_targetILNS1_3genE2ELNS1_11target_archE906ELNS1_3gpuE6ELNS1_3repE0EEENS1_48merge_mergepath_partition_config_static_selectorELNS0_4arch9wavefront6targetE1EEEvSH_.num_named_barrier, 0
	.set _ZN7rocprim17ROCPRIM_400000_NS6detail17trampoline_kernelINS0_14default_configENS1_38merge_sort_block_merge_config_selectorIalEEZZNS1_27merge_sort_block_merge_implIS3_PaN6thrust23THRUST_200600_302600_NS10device_ptrIlEEjNS1_19radix_merge_compareILb0ELb1EaNS0_19identity_decomposerEEEEE10hipError_tT0_T1_T2_jT3_P12ihipStream_tbPNSt15iterator_traitsISG_E10value_typeEPNSM_ISH_E10value_typeEPSI_NS1_7vsmem_tEENKUlT_SG_SH_SI_E_clIS7_S7_PlSB_EESF_SV_SG_SH_SI_EUlSV_E_NS1_11comp_targetILNS1_3genE2ELNS1_11target_archE906ELNS1_3gpuE6ELNS1_3repE0EEENS1_48merge_mergepath_partition_config_static_selectorELNS0_4arch9wavefront6targetE1EEEvSH_.private_seg_size, 0
	.set _ZN7rocprim17ROCPRIM_400000_NS6detail17trampoline_kernelINS0_14default_configENS1_38merge_sort_block_merge_config_selectorIalEEZZNS1_27merge_sort_block_merge_implIS3_PaN6thrust23THRUST_200600_302600_NS10device_ptrIlEEjNS1_19radix_merge_compareILb0ELb1EaNS0_19identity_decomposerEEEEE10hipError_tT0_T1_T2_jT3_P12ihipStream_tbPNSt15iterator_traitsISG_E10value_typeEPNSM_ISH_E10value_typeEPSI_NS1_7vsmem_tEENKUlT_SG_SH_SI_E_clIS7_S7_PlSB_EESF_SV_SG_SH_SI_EUlSV_E_NS1_11comp_targetILNS1_3genE2ELNS1_11target_archE906ELNS1_3gpuE6ELNS1_3repE0EEENS1_48merge_mergepath_partition_config_static_selectorELNS0_4arch9wavefront6targetE1EEEvSH_.uses_vcc, 1
	.set _ZN7rocprim17ROCPRIM_400000_NS6detail17trampoline_kernelINS0_14default_configENS1_38merge_sort_block_merge_config_selectorIalEEZZNS1_27merge_sort_block_merge_implIS3_PaN6thrust23THRUST_200600_302600_NS10device_ptrIlEEjNS1_19radix_merge_compareILb0ELb1EaNS0_19identity_decomposerEEEEE10hipError_tT0_T1_T2_jT3_P12ihipStream_tbPNSt15iterator_traitsISG_E10value_typeEPNSM_ISH_E10value_typeEPSI_NS1_7vsmem_tEENKUlT_SG_SH_SI_E_clIS7_S7_PlSB_EESF_SV_SG_SH_SI_EUlSV_E_NS1_11comp_targetILNS1_3genE2ELNS1_11target_archE906ELNS1_3gpuE6ELNS1_3repE0EEENS1_48merge_mergepath_partition_config_static_selectorELNS0_4arch9wavefront6targetE1EEEvSH_.uses_flat_scratch, 0
	.set _ZN7rocprim17ROCPRIM_400000_NS6detail17trampoline_kernelINS0_14default_configENS1_38merge_sort_block_merge_config_selectorIalEEZZNS1_27merge_sort_block_merge_implIS3_PaN6thrust23THRUST_200600_302600_NS10device_ptrIlEEjNS1_19radix_merge_compareILb0ELb1EaNS0_19identity_decomposerEEEEE10hipError_tT0_T1_T2_jT3_P12ihipStream_tbPNSt15iterator_traitsISG_E10value_typeEPNSM_ISH_E10value_typeEPSI_NS1_7vsmem_tEENKUlT_SG_SH_SI_E_clIS7_S7_PlSB_EESF_SV_SG_SH_SI_EUlSV_E_NS1_11comp_targetILNS1_3genE2ELNS1_11target_archE906ELNS1_3gpuE6ELNS1_3repE0EEENS1_48merge_mergepath_partition_config_static_selectorELNS0_4arch9wavefront6targetE1EEEvSH_.has_dyn_sized_stack, 0
	.set _ZN7rocprim17ROCPRIM_400000_NS6detail17trampoline_kernelINS0_14default_configENS1_38merge_sort_block_merge_config_selectorIalEEZZNS1_27merge_sort_block_merge_implIS3_PaN6thrust23THRUST_200600_302600_NS10device_ptrIlEEjNS1_19radix_merge_compareILb0ELb1EaNS0_19identity_decomposerEEEEE10hipError_tT0_T1_T2_jT3_P12ihipStream_tbPNSt15iterator_traitsISG_E10value_typeEPNSM_ISH_E10value_typeEPSI_NS1_7vsmem_tEENKUlT_SG_SH_SI_E_clIS7_S7_PlSB_EESF_SV_SG_SH_SI_EUlSV_E_NS1_11comp_targetILNS1_3genE2ELNS1_11target_archE906ELNS1_3gpuE6ELNS1_3repE0EEENS1_48merge_mergepath_partition_config_static_selectorELNS0_4arch9wavefront6targetE1EEEvSH_.has_recursion, 0
	.set _ZN7rocprim17ROCPRIM_400000_NS6detail17trampoline_kernelINS0_14default_configENS1_38merge_sort_block_merge_config_selectorIalEEZZNS1_27merge_sort_block_merge_implIS3_PaN6thrust23THRUST_200600_302600_NS10device_ptrIlEEjNS1_19radix_merge_compareILb0ELb1EaNS0_19identity_decomposerEEEEE10hipError_tT0_T1_T2_jT3_P12ihipStream_tbPNSt15iterator_traitsISG_E10value_typeEPNSM_ISH_E10value_typeEPSI_NS1_7vsmem_tEENKUlT_SG_SH_SI_E_clIS7_S7_PlSB_EESF_SV_SG_SH_SI_EUlSV_E_NS1_11comp_targetILNS1_3genE2ELNS1_11target_archE906ELNS1_3gpuE6ELNS1_3repE0EEENS1_48merge_mergepath_partition_config_static_selectorELNS0_4arch9wavefront6targetE1EEEvSH_.has_indirect_call, 0
	.section	.AMDGPU.csdata,"",@progbits
; Kernel info:
; codeLenInByte = 340
; TotalNumSgprs: 14
; NumVgprs: 16
; ScratchSize: 0
; MemoryBound: 0
; FloatMode: 240
; IeeeMode: 1
; LDSByteSize: 0 bytes/workgroup (compile time only)
; SGPRBlocks: 1
; VGPRBlocks: 3
; NumSGPRsForWavesPerEU: 14
; NumVGPRsForWavesPerEU: 16
; Occupancy: 10
; WaveLimiterHint : 0
; COMPUTE_PGM_RSRC2:SCRATCH_EN: 0
; COMPUTE_PGM_RSRC2:USER_SGPR: 6
; COMPUTE_PGM_RSRC2:TRAP_HANDLER: 0
; COMPUTE_PGM_RSRC2:TGID_X_EN: 1
; COMPUTE_PGM_RSRC2:TGID_Y_EN: 0
; COMPUTE_PGM_RSRC2:TGID_Z_EN: 0
; COMPUTE_PGM_RSRC2:TIDIG_COMP_CNT: 0
	.section	.text._ZN7rocprim17ROCPRIM_400000_NS6detail17trampoline_kernelINS0_14default_configENS1_38merge_sort_block_merge_config_selectorIalEEZZNS1_27merge_sort_block_merge_implIS3_PaN6thrust23THRUST_200600_302600_NS10device_ptrIlEEjNS1_19radix_merge_compareILb0ELb1EaNS0_19identity_decomposerEEEEE10hipError_tT0_T1_T2_jT3_P12ihipStream_tbPNSt15iterator_traitsISG_E10value_typeEPNSM_ISH_E10value_typeEPSI_NS1_7vsmem_tEENKUlT_SG_SH_SI_E_clIS7_S7_PlSB_EESF_SV_SG_SH_SI_EUlSV_E_NS1_11comp_targetILNS1_3genE9ELNS1_11target_archE1100ELNS1_3gpuE3ELNS1_3repE0EEENS1_48merge_mergepath_partition_config_static_selectorELNS0_4arch9wavefront6targetE1EEEvSH_,"axG",@progbits,_ZN7rocprim17ROCPRIM_400000_NS6detail17trampoline_kernelINS0_14default_configENS1_38merge_sort_block_merge_config_selectorIalEEZZNS1_27merge_sort_block_merge_implIS3_PaN6thrust23THRUST_200600_302600_NS10device_ptrIlEEjNS1_19radix_merge_compareILb0ELb1EaNS0_19identity_decomposerEEEEE10hipError_tT0_T1_T2_jT3_P12ihipStream_tbPNSt15iterator_traitsISG_E10value_typeEPNSM_ISH_E10value_typeEPSI_NS1_7vsmem_tEENKUlT_SG_SH_SI_E_clIS7_S7_PlSB_EESF_SV_SG_SH_SI_EUlSV_E_NS1_11comp_targetILNS1_3genE9ELNS1_11target_archE1100ELNS1_3gpuE3ELNS1_3repE0EEENS1_48merge_mergepath_partition_config_static_selectorELNS0_4arch9wavefront6targetE1EEEvSH_,comdat
	.protected	_ZN7rocprim17ROCPRIM_400000_NS6detail17trampoline_kernelINS0_14default_configENS1_38merge_sort_block_merge_config_selectorIalEEZZNS1_27merge_sort_block_merge_implIS3_PaN6thrust23THRUST_200600_302600_NS10device_ptrIlEEjNS1_19radix_merge_compareILb0ELb1EaNS0_19identity_decomposerEEEEE10hipError_tT0_T1_T2_jT3_P12ihipStream_tbPNSt15iterator_traitsISG_E10value_typeEPNSM_ISH_E10value_typeEPSI_NS1_7vsmem_tEENKUlT_SG_SH_SI_E_clIS7_S7_PlSB_EESF_SV_SG_SH_SI_EUlSV_E_NS1_11comp_targetILNS1_3genE9ELNS1_11target_archE1100ELNS1_3gpuE3ELNS1_3repE0EEENS1_48merge_mergepath_partition_config_static_selectorELNS0_4arch9wavefront6targetE1EEEvSH_ ; -- Begin function _ZN7rocprim17ROCPRIM_400000_NS6detail17trampoline_kernelINS0_14default_configENS1_38merge_sort_block_merge_config_selectorIalEEZZNS1_27merge_sort_block_merge_implIS3_PaN6thrust23THRUST_200600_302600_NS10device_ptrIlEEjNS1_19radix_merge_compareILb0ELb1EaNS0_19identity_decomposerEEEEE10hipError_tT0_T1_T2_jT3_P12ihipStream_tbPNSt15iterator_traitsISG_E10value_typeEPNSM_ISH_E10value_typeEPSI_NS1_7vsmem_tEENKUlT_SG_SH_SI_E_clIS7_S7_PlSB_EESF_SV_SG_SH_SI_EUlSV_E_NS1_11comp_targetILNS1_3genE9ELNS1_11target_archE1100ELNS1_3gpuE3ELNS1_3repE0EEENS1_48merge_mergepath_partition_config_static_selectorELNS0_4arch9wavefront6targetE1EEEvSH_
	.globl	_ZN7rocprim17ROCPRIM_400000_NS6detail17trampoline_kernelINS0_14default_configENS1_38merge_sort_block_merge_config_selectorIalEEZZNS1_27merge_sort_block_merge_implIS3_PaN6thrust23THRUST_200600_302600_NS10device_ptrIlEEjNS1_19radix_merge_compareILb0ELb1EaNS0_19identity_decomposerEEEEE10hipError_tT0_T1_T2_jT3_P12ihipStream_tbPNSt15iterator_traitsISG_E10value_typeEPNSM_ISH_E10value_typeEPSI_NS1_7vsmem_tEENKUlT_SG_SH_SI_E_clIS7_S7_PlSB_EESF_SV_SG_SH_SI_EUlSV_E_NS1_11comp_targetILNS1_3genE9ELNS1_11target_archE1100ELNS1_3gpuE3ELNS1_3repE0EEENS1_48merge_mergepath_partition_config_static_selectorELNS0_4arch9wavefront6targetE1EEEvSH_
	.p2align	8
	.type	_ZN7rocprim17ROCPRIM_400000_NS6detail17trampoline_kernelINS0_14default_configENS1_38merge_sort_block_merge_config_selectorIalEEZZNS1_27merge_sort_block_merge_implIS3_PaN6thrust23THRUST_200600_302600_NS10device_ptrIlEEjNS1_19radix_merge_compareILb0ELb1EaNS0_19identity_decomposerEEEEE10hipError_tT0_T1_T2_jT3_P12ihipStream_tbPNSt15iterator_traitsISG_E10value_typeEPNSM_ISH_E10value_typeEPSI_NS1_7vsmem_tEENKUlT_SG_SH_SI_E_clIS7_S7_PlSB_EESF_SV_SG_SH_SI_EUlSV_E_NS1_11comp_targetILNS1_3genE9ELNS1_11target_archE1100ELNS1_3gpuE3ELNS1_3repE0EEENS1_48merge_mergepath_partition_config_static_selectorELNS0_4arch9wavefront6targetE1EEEvSH_,@function
_ZN7rocprim17ROCPRIM_400000_NS6detail17trampoline_kernelINS0_14default_configENS1_38merge_sort_block_merge_config_selectorIalEEZZNS1_27merge_sort_block_merge_implIS3_PaN6thrust23THRUST_200600_302600_NS10device_ptrIlEEjNS1_19radix_merge_compareILb0ELb1EaNS0_19identity_decomposerEEEEE10hipError_tT0_T1_T2_jT3_P12ihipStream_tbPNSt15iterator_traitsISG_E10value_typeEPNSM_ISH_E10value_typeEPSI_NS1_7vsmem_tEENKUlT_SG_SH_SI_E_clIS7_S7_PlSB_EESF_SV_SG_SH_SI_EUlSV_E_NS1_11comp_targetILNS1_3genE9ELNS1_11target_archE1100ELNS1_3gpuE3ELNS1_3repE0EEENS1_48merge_mergepath_partition_config_static_selectorELNS0_4arch9wavefront6targetE1EEEvSH_: ; @_ZN7rocprim17ROCPRIM_400000_NS6detail17trampoline_kernelINS0_14default_configENS1_38merge_sort_block_merge_config_selectorIalEEZZNS1_27merge_sort_block_merge_implIS3_PaN6thrust23THRUST_200600_302600_NS10device_ptrIlEEjNS1_19radix_merge_compareILb0ELb1EaNS0_19identity_decomposerEEEEE10hipError_tT0_T1_T2_jT3_P12ihipStream_tbPNSt15iterator_traitsISG_E10value_typeEPNSM_ISH_E10value_typeEPSI_NS1_7vsmem_tEENKUlT_SG_SH_SI_E_clIS7_S7_PlSB_EESF_SV_SG_SH_SI_EUlSV_E_NS1_11comp_targetILNS1_3genE9ELNS1_11target_archE1100ELNS1_3gpuE3ELNS1_3repE0EEENS1_48merge_mergepath_partition_config_static_selectorELNS0_4arch9wavefront6targetE1EEEvSH_
; %bb.0:
	.section	.rodata,"a",@progbits
	.p2align	6, 0x0
	.amdhsa_kernel _ZN7rocprim17ROCPRIM_400000_NS6detail17trampoline_kernelINS0_14default_configENS1_38merge_sort_block_merge_config_selectorIalEEZZNS1_27merge_sort_block_merge_implIS3_PaN6thrust23THRUST_200600_302600_NS10device_ptrIlEEjNS1_19radix_merge_compareILb0ELb1EaNS0_19identity_decomposerEEEEE10hipError_tT0_T1_T2_jT3_P12ihipStream_tbPNSt15iterator_traitsISG_E10value_typeEPNSM_ISH_E10value_typeEPSI_NS1_7vsmem_tEENKUlT_SG_SH_SI_E_clIS7_S7_PlSB_EESF_SV_SG_SH_SI_EUlSV_E_NS1_11comp_targetILNS1_3genE9ELNS1_11target_archE1100ELNS1_3gpuE3ELNS1_3repE0EEENS1_48merge_mergepath_partition_config_static_selectorELNS0_4arch9wavefront6targetE1EEEvSH_
		.amdhsa_group_segment_fixed_size 0
		.amdhsa_private_segment_fixed_size 0
		.amdhsa_kernarg_size 40
		.amdhsa_user_sgpr_count 6
		.amdhsa_user_sgpr_private_segment_buffer 1
		.amdhsa_user_sgpr_dispatch_ptr 0
		.amdhsa_user_sgpr_queue_ptr 0
		.amdhsa_user_sgpr_kernarg_segment_ptr 1
		.amdhsa_user_sgpr_dispatch_id 0
		.amdhsa_user_sgpr_flat_scratch_init 0
		.amdhsa_user_sgpr_private_segment_size 0
		.amdhsa_uses_dynamic_stack 0
		.amdhsa_system_sgpr_private_segment_wavefront_offset 0
		.amdhsa_system_sgpr_workgroup_id_x 1
		.amdhsa_system_sgpr_workgroup_id_y 0
		.amdhsa_system_sgpr_workgroup_id_z 0
		.amdhsa_system_sgpr_workgroup_info 0
		.amdhsa_system_vgpr_workitem_id 0
		.amdhsa_next_free_vgpr 1
		.amdhsa_next_free_sgpr 0
		.amdhsa_reserve_vcc 0
		.amdhsa_reserve_flat_scratch 0
		.amdhsa_float_round_mode_32 0
		.amdhsa_float_round_mode_16_64 0
		.amdhsa_float_denorm_mode_32 3
		.amdhsa_float_denorm_mode_16_64 3
		.amdhsa_dx10_clamp 1
		.amdhsa_ieee_mode 1
		.amdhsa_fp16_overflow 0
		.amdhsa_exception_fp_ieee_invalid_op 0
		.amdhsa_exception_fp_denorm_src 0
		.amdhsa_exception_fp_ieee_div_zero 0
		.amdhsa_exception_fp_ieee_overflow 0
		.amdhsa_exception_fp_ieee_underflow 0
		.amdhsa_exception_fp_ieee_inexact 0
		.amdhsa_exception_int_div_zero 0
	.end_amdhsa_kernel
	.section	.text._ZN7rocprim17ROCPRIM_400000_NS6detail17trampoline_kernelINS0_14default_configENS1_38merge_sort_block_merge_config_selectorIalEEZZNS1_27merge_sort_block_merge_implIS3_PaN6thrust23THRUST_200600_302600_NS10device_ptrIlEEjNS1_19radix_merge_compareILb0ELb1EaNS0_19identity_decomposerEEEEE10hipError_tT0_T1_T2_jT3_P12ihipStream_tbPNSt15iterator_traitsISG_E10value_typeEPNSM_ISH_E10value_typeEPSI_NS1_7vsmem_tEENKUlT_SG_SH_SI_E_clIS7_S7_PlSB_EESF_SV_SG_SH_SI_EUlSV_E_NS1_11comp_targetILNS1_3genE9ELNS1_11target_archE1100ELNS1_3gpuE3ELNS1_3repE0EEENS1_48merge_mergepath_partition_config_static_selectorELNS0_4arch9wavefront6targetE1EEEvSH_,"axG",@progbits,_ZN7rocprim17ROCPRIM_400000_NS6detail17trampoline_kernelINS0_14default_configENS1_38merge_sort_block_merge_config_selectorIalEEZZNS1_27merge_sort_block_merge_implIS3_PaN6thrust23THRUST_200600_302600_NS10device_ptrIlEEjNS1_19radix_merge_compareILb0ELb1EaNS0_19identity_decomposerEEEEE10hipError_tT0_T1_T2_jT3_P12ihipStream_tbPNSt15iterator_traitsISG_E10value_typeEPNSM_ISH_E10value_typeEPSI_NS1_7vsmem_tEENKUlT_SG_SH_SI_E_clIS7_S7_PlSB_EESF_SV_SG_SH_SI_EUlSV_E_NS1_11comp_targetILNS1_3genE9ELNS1_11target_archE1100ELNS1_3gpuE3ELNS1_3repE0EEENS1_48merge_mergepath_partition_config_static_selectorELNS0_4arch9wavefront6targetE1EEEvSH_,comdat
.Lfunc_end540:
	.size	_ZN7rocprim17ROCPRIM_400000_NS6detail17trampoline_kernelINS0_14default_configENS1_38merge_sort_block_merge_config_selectorIalEEZZNS1_27merge_sort_block_merge_implIS3_PaN6thrust23THRUST_200600_302600_NS10device_ptrIlEEjNS1_19radix_merge_compareILb0ELb1EaNS0_19identity_decomposerEEEEE10hipError_tT0_T1_T2_jT3_P12ihipStream_tbPNSt15iterator_traitsISG_E10value_typeEPNSM_ISH_E10value_typeEPSI_NS1_7vsmem_tEENKUlT_SG_SH_SI_E_clIS7_S7_PlSB_EESF_SV_SG_SH_SI_EUlSV_E_NS1_11comp_targetILNS1_3genE9ELNS1_11target_archE1100ELNS1_3gpuE3ELNS1_3repE0EEENS1_48merge_mergepath_partition_config_static_selectorELNS0_4arch9wavefront6targetE1EEEvSH_, .Lfunc_end540-_ZN7rocprim17ROCPRIM_400000_NS6detail17trampoline_kernelINS0_14default_configENS1_38merge_sort_block_merge_config_selectorIalEEZZNS1_27merge_sort_block_merge_implIS3_PaN6thrust23THRUST_200600_302600_NS10device_ptrIlEEjNS1_19radix_merge_compareILb0ELb1EaNS0_19identity_decomposerEEEEE10hipError_tT0_T1_T2_jT3_P12ihipStream_tbPNSt15iterator_traitsISG_E10value_typeEPNSM_ISH_E10value_typeEPSI_NS1_7vsmem_tEENKUlT_SG_SH_SI_E_clIS7_S7_PlSB_EESF_SV_SG_SH_SI_EUlSV_E_NS1_11comp_targetILNS1_3genE9ELNS1_11target_archE1100ELNS1_3gpuE3ELNS1_3repE0EEENS1_48merge_mergepath_partition_config_static_selectorELNS0_4arch9wavefront6targetE1EEEvSH_
                                        ; -- End function
	.set _ZN7rocprim17ROCPRIM_400000_NS6detail17trampoline_kernelINS0_14default_configENS1_38merge_sort_block_merge_config_selectorIalEEZZNS1_27merge_sort_block_merge_implIS3_PaN6thrust23THRUST_200600_302600_NS10device_ptrIlEEjNS1_19radix_merge_compareILb0ELb1EaNS0_19identity_decomposerEEEEE10hipError_tT0_T1_T2_jT3_P12ihipStream_tbPNSt15iterator_traitsISG_E10value_typeEPNSM_ISH_E10value_typeEPSI_NS1_7vsmem_tEENKUlT_SG_SH_SI_E_clIS7_S7_PlSB_EESF_SV_SG_SH_SI_EUlSV_E_NS1_11comp_targetILNS1_3genE9ELNS1_11target_archE1100ELNS1_3gpuE3ELNS1_3repE0EEENS1_48merge_mergepath_partition_config_static_selectorELNS0_4arch9wavefront6targetE1EEEvSH_.num_vgpr, 0
	.set _ZN7rocprim17ROCPRIM_400000_NS6detail17trampoline_kernelINS0_14default_configENS1_38merge_sort_block_merge_config_selectorIalEEZZNS1_27merge_sort_block_merge_implIS3_PaN6thrust23THRUST_200600_302600_NS10device_ptrIlEEjNS1_19radix_merge_compareILb0ELb1EaNS0_19identity_decomposerEEEEE10hipError_tT0_T1_T2_jT3_P12ihipStream_tbPNSt15iterator_traitsISG_E10value_typeEPNSM_ISH_E10value_typeEPSI_NS1_7vsmem_tEENKUlT_SG_SH_SI_E_clIS7_S7_PlSB_EESF_SV_SG_SH_SI_EUlSV_E_NS1_11comp_targetILNS1_3genE9ELNS1_11target_archE1100ELNS1_3gpuE3ELNS1_3repE0EEENS1_48merge_mergepath_partition_config_static_selectorELNS0_4arch9wavefront6targetE1EEEvSH_.num_agpr, 0
	.set _ZN7rocprim17ROCPRIM_400000_NS6detail17trampoline_kernelINS0_14default_configENS1_38merge_sort_block_merge_config_selectorIalEEZZNS1_27merge_sort_block_merge_implIS3_PaN6thrust23THRUST_200600_302600_NS10device_ptrIlEEjNS1_19radix_merge_compareILb0ELb1EaNS0_19identity_decomposerEEEEE10hipError_tT0_T1_T2_jT3_P12ihipStream_tbPNSt15iterator_traitsISG_E10value_typeEPNSM_ISH_E10value_typeEPSI_NS1_7vsmem_tEENKUlT_SG_SH_SI_E_clIS7_S7_PlSB_EESF_SV_SG_SH_SI_EUlSV_E_NS1_11comp_targetILNS1_3genE9ELNS1_11target_archE1100ELNS1_3gpuE3ELNS1_3repE0EEENS1_48merge_mergepath_partition_config_static_selectorELNS0_4arch9wavefront6targetE1EEEvSH_.numbered_sgpr, 0
	.set _ZN7rocprim17ROCPRIM_400000_NS6detail17trampoline_kernelINS0_14default_configENS1_38merge_sort_block_merge_config_selectorIalEEZZNS1_27merge_sort_block_merge_implIS3_PaN6thrust23THRUST_200600_302600_NS10device_ptrIlEEjNS1_19radix_merge_compareILb0ELb1EaNS0_19identity_decomposerEEEEE10hipError_tT0_T1_T2_jT3_P12ihipStream_tbPNSt15iterator_traitsISG_E10value_typeEPNSM_ISH_E10value_typeEPSI_NS1_7vsmem_tEENKUlT_SG_SH_SI_E_clIS7_S7_PlSB_EESF_SV_SG_SH_SI_EUlSV_E_NS1_11comp_targetILNS1_3genE9ELNS1_11target_archE1100ELNS1_3gpuE3ELNS1_3repE0EEENS1_48merge_mergepath_partition_config_static_selectorELNS0_4arch9wavefront6targetE1EEEvSH_.num_named_barrier, 0
	.set _ZN7rocprim17ROCPRIM_400000_NS6detail17trampoline_kernelINS0_14default_configENS1_38merge_sort_block_merge_config_selectorIalEEZZNS1_27merge_sort_block_merge_implIS3_PaN6thrust23THRUST_200600_302600_NS10device_ptrIlEEjNS1_19radix_merge_compareILb0ELb1EaNS0_19identity_decomposerEEEEE10hipError_tT0_T1_T2_jT3_P12ihipStream_tbPNSt15iterator_traitsISG_E10value_typeEPNSM_ISH_E10value_typeEPSI_NS1_7vsmem_tEENKUlT_SG_SH_SI_E_clIS7_S7_PlSB_EESF_SV_SG_SH_SI_EUlSV_E_NS1_11comp_targetILNS1_3genE9ELNS1_11target_archE1100ELNS1_3gpuE3ELNS1_3repE0EEENS1_48merge_mergepath_partition_config_static_selectorELNS0_4arch9wavefront6targetE1EEEvSH_.private_seg_size, 0
	.set _ZN7rocprim17ROCPRIM_400000_NS6detail17trampoline_kernelINS0_14default_configENS1_38merge_sort_block_merge_config_selectorIalEEZZNS1_27merge_sort_block_merge_implIS3_PaN6thrust23THRUST_200600_302600_NS10device_ptrIlEEjNS1_19radix_merge_compareILb0ELb1EaNS0_19identity_decomposerEEEEE10hipError_tT0_T1_T2_jT3_P12ihipStream_tbPNSt15iterator_traitsISG_E10value_typeEPNSM_ISH_E10value_typeEPSI_NS1_7vsmem_tEENKUlT_SG_SH_SI_E_clIS7_S7_PlSB_EESF_SV_SG_SH_SI_EUlSV_E_NS1_11comp_targetILNS1_3genE9ELNS1_11target_archE1100ELNS1_3gpuE3ELNS1_3repE0EEENS1_48merge_mergepath_partition_config_static_selectorELNS0_4arch9wavefront6targetE1EEEvSH_.uses_vcc, 0
	.set _ZN7rocprim17ROCPRIM_400000_NS6detail17trampoline_kernelINS0_14default_configENS1_38merge_sort_block_merge_config_selectorIalEEZZNS1_27merge_sort_block_merge_implIS3_PaN6thrust23THRUST_200600_302600_NS10device_ptrIlEEjNS1_19radix_merge_compareILb0ELb1EaNS0_19identity_decomposerEEEEE10hipError_tT0_T1_T2_jT3_P12ihipStream_tbPNSt15iterator_traitsISG_E10value_typeEPNSM_ISH_E10value_typeEPSI_NS1_7vsmem_tEENKUlT_SG_SH_SI_E_clIS7_S7_PlSB_EESF_SV_SG_SH_SI_EUlSV_E_NS1_11comp_targetILNS1_3genE9ELNS1_11target_archE1100ELNS1_3gpuE3ELNS1_3repE0EEENS1_48merge_mergepath_partition_config_static_selectorELNS0_4arch9wavefront6targetE1EEEvSH_.uses_flat_scratch, 0
	.set _ZN7rocprim17ROCPRIM_400000_NS6detail17trampoline_kernelINS0_14default_configENS1_38merge_sort_block_merge_config_selectorIalEEZZNS1_27merge_sort_block_merge_implIS3_PaN6thrust23THRUST_200600_302600_NS10device_ptrIlEEjNS1_19radix_merge_compareILb0ELb1EaNS0_19identity_decomposerEEEEE10hipError_tT0_T1_T2_jT3_P12ihipStream_tbPNSt15iterator_traitsISG_E10value_typeEPNSM_ISH_E10value_typeEPSI_NS1_7vsmem_tEENKUlT_SG_SH_SI_E_clIS7_S7_PlSB_EESF_SV_SG_SH_SI_EUlSV_E_NS1_11comp_targetILNS1_3genE9ELNS1_11target_archE1100ELNS1_3gpuE3ELNS1_3repE0EEENS1_48merge_mergepath_partition_config_static_selectorELNS0_4arch9wavefront6targetE1EEEvSH_.has_dyn_sized_stack, 0
	.set _ZN7rocprim17ROCPRIM_400000_NS6detail17trampoline_kernelINS0_14default_configENS1_38merge_sort_block_merge_config_selectorIalEEZZNS1_27merge_sort_block_merge_implIS3_PaN6thrust23THRUST_200600_302600_NS10device_ptrIlEEjNS1_19radix_merge_compareILb0ELb1EaNS0_19identity_decomposerEEEEE10hipError_tT0_T1_T2_jT3_P12ihipStream_tbPNSt15iterator_traitsISG_E10value_typeEPNSM_ISH_E10value_typeEPSI_NS1_7vsmem_tEENKUlT_SG_SH_SI_E_clIS7_S7_PlSB_EESF_SV_SG_SH_SI_EUlSV_E_NS1_11comp_targetILNS1_3genE9ELNS1_11target_archE1100ELNS1_3gpuE3ELNS1_3repE0EEENS1_48merge_mergepath_partition_config_static_selectorELNS0_4arch9wavefront6targetE1EEEvSH_.has_recursion, 0
	.set _ZN7rocprim17ROCPRIM_400000_NS6detail17trampoline_kernelINS0_14default_configENS1_38merge_sort_block_merge_config_selectorIalEEZZNS1_27merge_sort_block_merge_implIS3_PaN6thrust23THRUST_200600_302600_NS10device_ptrIlEEjNS1_19radix_merge_compareILb0ELb1EaNS0_19identity_decomposerEEEEE10hipError_tT0_T1_T2_jT3_P12ihipStream_tbPNSt15iterator_traitsISG_E10value_typeEPNSM_ISH_E10value_typeEPSI_NS1_7vsmem_tEENKUlT_SG_SH_SI_E_clIS7_S7_PlSB_EESF_SV_SG_SH_SI_EUlSV_E_NS1_11comp_targetILNS1_3genE9ELNS1_11target_archE1100ELNS1_3gpuE3ELNS1_3repE0EEENS1_48merge_mergepath_partition_config_static_selectorELNS0_4arch9wavefront6targetE1EEEvSH_.has_indirect_call, 0
	.section	.AMDGPU.csdata,"",@progbits
; Kernel info:
; codeLenInByte = 0
; TotalNumSgprs: 4
; NumVgprs: 0
; ScratchSize: 0
; MemoryBound: 0
; FloatMode: 240
; IeeeMode: 1
; LDSByteSize: 0 bytes/workgroup (compile time only)
; SGPRBlocks: 0
; VGPRBlocks: 0
; NumSGPRsForWavesPerEU: 4
; NumVGPRsForWavesPerEU: 1
; Occupancy: 10
; WaveLimiterHint : 0
; COMPUTE_PGM_RSRC2:SCRATCH_EN: 0
; COMPUTE_PGM_RSRC2:USER_SGPR: 6
; COMPUTE_PGM_RSRC2:TRAP_HANDLER: 0
; COMPUTE_PGM_RSRC2:TGID_X_EN: 1
; COMPUTE_PGM_RSRC2:TGID_Y_EN: 0
; COMPUTE_PGM_RSRC2:TGID_Z_EN: 0
; COMPUTE_PGM_RSRC2:TIDIG_COMP_CNT: 0
	.section	.text._ZN7rocprim17ROCPRIM_400000_NS6detail17trampoline_kernelINS0_14default_configENS1_38merge_sort_block_merge_config_selectorIalEEZZNS1_27merge_sort_block_merge_implIS3_PaN6thrust23THRUST_200600_302600_NS10device_ptrIlEEjNS1_19radix_merge_compareILb0ELb1EaNS0_19identity_decomposerEEEEE10hipError_tT0_T1_T2_jT3_P12ihipStream_tbPNSt15iterator_traitsISG_E10value_typeEPNSM_ISH_E10value_typeEPSI_NS1_7vsmem_tEENKUlT_SG_SH_SI_E_clIS7_S7_PlSB_EESF_SV_SG_SH_SI_EUlSV_E_NS1_11comp_targetILNS1_3genE8ELNS1_11target_archE1030ELNS1_3gpuE2ELNS1_3repE0EEENS1_48merge_mergepath_partition_config_static_selectorELNS0_4arch9wavefront6targetE1EEEvSH_,"axG",@progbits,_ZN7rocprim17ROCPRIM_400000_NS6detail17trampoline_kernelINS0_14default_configENS1_38merge_sort_block_merge_config_selectorIalEEZZNS1_27merge_sort_block_merge_implIS3_PaN6thrust23THRUST_200600_302600_NS10device_ptrIlEEjNS1_19radix_merge_compareILb0ELb1EaNS0_19identity_decomposerEEEEE10hipError_tT0_T1_T2_jT3_P12ihipStream_tbPNSt15iterator_traitsISG_E10value_typeEPNSM_ISH_E10value_typeEPSI_NS1_7vsmem_tEENKUlT_SG_SH_SI_E_clIS7_S7_PlSB_EESF_SV_SG_SH_SI_EUlSV_E_NS1_11comp_targetILNS1_3genE8ELNS1_11target_archE1030ELNS1_3gpuE2ELNS1_3repE0EEENS1_48merge_mergepath_partition_config_static_selectorELNS0_4arch9wavefront6targetE1EEEvSH_,comdat
	.protected	_ZN7rocprim17ROCPRIM_400000_NS6detail17trampoline_kernelINS0_14default_configENS1_38merge_sort_block_merge_config_selectorIalEEZZNS1_27merge_sort_block_merge_implIS3_PaN6thrust23THRUST_200600_302600_NS10device_ptrIlEEjNS1_19radix_merge_compareILb0ELb1EaNS0_19identity_decomposerEEEEE10hipError_tT0_T1_T2_jT3_P12ihipStream_tbPNSt15iterator_traitsISG_E10value_typeEPNSM_ISH_E10value_typeEPSI_NS1_7vsmem_tEENKUlT_SG_SH_SI_E_clIS7_S7_PlSB_EESF_SV_SG_SH_SI_EUlSV_E_NS1_11comp_targetILNS1_3genE8ELNS1_11target_archE1030ELNS1_3gpuE2ELNS1_3repE0EEENS1_48merge_mergepath_partition_config_static_selectorELNS0_4arch9wavefront6targetE1EEEvSH_ ; -- Begin function _ZN7rocprim17ROCPRIM_400000_NS6detail17trampoline_kernelINS0_14default_configENS1_38merge_sort_block_merge_config_selectorIalEEZZNS1_27merge_sort_block_merge_implIS3_PaN6thrust23THRUST_200600_302600_NS10device_ptrIlEEjNS1_19radix_merge_compareILb0ELb1EaNS0_19identity_decomposerEEEEE10hipError_tT0_T1_T2_jT3_P12ihipStream_tbPNSt15iterator_traitsISG_E10value_typeEPNSM_ISH_E10value_typeEPSI_NS1_7vsmem_tEENKUlT_SG_SH_SI_E_clIS7_S7_PlSB_EESF_SV_SG_SH_SI_EUlSV_E_NS1_11comp_targetILNS1_3genE8ELNS1_11target_archE1030ELNS1_3gpuE2ELNS1_3repE0EEENS1_48merge_mergepath_partition_config_static_selectorELNS0_4arch9wavefront6targetE1EEEvSH_
	.globl	_ZN7rocprim17ROCPRIM_400000_NS6detail17trampoline_kernelINS0_14default_configENS1_38merge_sort_block_merge_config_selectorIalEEZZNS1_27merge_sort_block_merge_implIS3_PaN6thrust23THRUST_200600_302600_NS10device_ptrIlEEjNS1_19radix_merge_compareILb0ELb1EaNS0_19identity_decomposerEEEEE10hipError_tT0_T1_T2_jT3_P12ihipStream_tbPNSt15iterator_traitsISG_E10value_typeEPNSM_ISH_E10value_typeEPSI_NS1_7vsmem_tEENKUlT_SG_SH_SI_E_clIS7_S7_PlSB_EESF_SV_SG_SH_SI_EUlSV_E_NS1_11comp_targetILNS1_3genE8ELNS1_11target_archE1030ELNS1_3gpuE2ELNS1_3repE0EEENS1_48merge_mergepath_partition_config_static_selectorELNS0_4arch9wavefront6targetE1EEEvSH_
	.p2align	8
	.type	_ZN7rocprim17ROCPRIM_400000_NS6detail17trampoline_kernelINS0_14default_configENS1_38merge_sort_block_merge_config_selectorIalEEZZNS1_27merge_sort_block_merge_implIS3_PaN6thrust23THRUST_200600_302600_NS10device_ptrIlEEjNS1_19radix_merge_compareILb0ELb1EaNS0_19identity_decomposerEEEEE10hipError_tT0_T1_T2_jT3_P12ihipStream_tbPNSt15iterator_traitsISG_E10value_typeEPNSM_ISH_E10value_typeEPSI_NS1_7vsmem_tEENKUlT_SG_SH_SI_E_clIS7_S7_PlSB_EESF_SV_SG_SH_SI_EUlSV_E_NS1_11comp_targetILNS1_3genE8ELNS1_11target_archE1030ELNS1_3gpuE2ELNS1_3repE0EEENS1_48merge_mergepath_partition_config_static_selectorELNS0_4arch9wavefront6targetE1EEEvSH_,@function
_ZN7rocprim17ROCPRIM_400000_NS6detail17trampoline_kernelINS0_14default_configENS1_38merge_sort_block_merge_config_selectorIalEEZZNS1_27merge_sort_block_merge_implIS3_PaN6thrust23THRUST_200600_302600_NS10device_ptrIlEEjNS1_19radix_merge_compareILb0ELb1EaNS0_19identity_decomposerEEEEE10hipError_tT0_T1_T2_jT3_P12ihipStream_tbPNSt15iterator_traitsISG_E10value_typeEPNSM_ISH_E10value_typeEPSI_NS1_7vsmem_tEENKUlT_SG_SH_SI_E_clIS7_S7_PlSB_EESF_SV_SG_SH_SI_EUlSV_E_NS1_11comp_targetILNS1_3genE8ELNS1_11target_archE1030ELNS1_3gpuE2ELNS1_3repE0EEENS1_48merge_mergepath_partition_config_static_selectorELNS0_4arch9wavefront6targetE1EEEvSH_: ; @_ZN7rocprim17ROCPRIM_400000_NS6detail17trampoline_kernelINS0_14default_configENS1_38merge_sort_block_merge_config_selectorIalEEZZNS1_27merge_sort_block_merge_implIS3_PaN6thrust23THRUST_200600_302600_NS10device_ptrIlEEjNS1_19radix_merge_compareILb0ELb1EaNS0_19identity_decomposerEEEEE10hipError_tT0_T1_T2_jT3_P12ihipStream_tbPNSt15iterator_traitsISG_E10value_typeEPNSM_ISH_E10value_typeEPSI_NS1_7vsmem_tEENKUlT_SG_SH_SI_E_clIS7_S7_PlSB_EESF_SV_SG_SH_SI_EUlSV_E_NS1_11comp_targetILNS1_3genE8ELNS1_11target_archE1030ELNS1_3gpuE2ELNS1_3repE0EEENS1_48merge_mergepath_partition_config_static_selectorELNS0_4arch9wavefront6targetE1EEEvSH_
; %bb.0:
	.section	.rodata,"a",@progbits
	.p2align	6, 0x0
	.amdhsa_kernel _ZN7rocprim17ROCPRIM_400000_NS6detail17trampoline_kernelINS0_14default_configENS1_38merge_sort_block_merge_config_selectorIalEEZZNS1_27merge_sort_block_merge_implIS3_PaN6thrust23THRUST_200600_302600_NS10device_ptrIlEEjNS1_19radix_merge_compareILb0ELb1EaNS0_19identity_decomposerEEEEE10hipError_tT0_T1_T2_jT3_P12ihipStream_tbPNSt15iterator_traitsISG_E10value_typeEPNSM_ISH_E10value_typeEPSI_NS1_7vsmem_tEENKUlT_SG_SH_SI_E_clIS7_S7_PlSB_EESF_SV_SG_SH_SI_EUlSV_E_NS1_11comp_targetILNS1_3genE8ELNS1_11target_archE1030ELNS1_3gpuE2ELNS1_3repE0EEENS1_48merge_mergepath_partition_config_static_selectorELNS0_4arch9wavefront6targetE1EEEvSH_
		.amdhsa_group_segment_fixed_size 0
		.amdhsa_private_segment_fixed_size 0
		.amdhsa_kernarg_size 40
		.amdhsa_user_sgpr_count 6
		.amdhsa_user_sgpr_private_segment_buffer 1
		.amdhsa_user_sgpr_dispatch_ptr 0
		.amdhsa_user_sgpr_queue_ptr 0
		.amdhsa_user_sgpr_kernarg_segment_ptr 1
		.amdhsa_user_sgpr_dispatch_id 0
		.amdhsa_user_sgpr_flat_scratch_init 0
		.amdhsa_user_sgpr_private_segment_size 0
		.amdhsa_uses_dynamic_stack 0
		.amdhsa_system_sgpr_private_segment_wavefront_offset 0
		.amdhsa_system_sgpr_workgroup_id_x 1
		.amdhsa_system_sgpr_workgroup_id_y 0
		.amdhsa_system_sgpr_workgroup_id_z 0
		.amdhsa_system_sgpr_workgroup_info 0
		.amdhsa_system_vgpr_workitem_id 0
		.amdhsa_next_free_vgpr 1
		.amdhsa_next_free_sgpr 0
		.amdhsa_reserve_vcc 0
		.amdhsa_reserve_flat_scratch 0
		.amdhsa_float_round_mode_32 0
		.amdhsa_float_round_mode_16_64 0
		.amdhsa_float_denorm_mode_32 3
		.amdhsa_float_denorm_mode_16_64 3
		.amdhsa_dx10_clamp 1
		.amdhsa_ieee_mode 1
		.amdhsa_fp16_overflow 0
		.amdhsa_exception_fp_ieee_invalid_op 0
		.amdhsa_exception_fp_denorm_src 0
		.amdhsa_exception_fp_ieee_div_zero 0
		.amdhsa_exception_fp_ieee_overflow 0
		.amdhsa_exception_fp_ieee_underflow 0
		.amdhsa_exception_fp_ieee_inexact 0
		.amdhsa_exception_int_div_zero 0
	.end_amdhsa_kernel
	.section	.text._ZN7rocprim17ROCPRIM_400000_NS6detail17trampoline_kernelINS0_14default_configENS1_38merge_sort_block_merge_config_selectorIalEEZZNS1_27merge_sort_block_merge_implIS3_PaN6thrust23THRUST_200600_302600_NS10device_ptrIlEEjNS1_19radix_merge_compareILb0ELb1EaNS0_19identity_decomposerEEEEE10hipError_tT0_T1_T2_jT3_P12ihipStream_tbPNSt15iterator_traitsISG_E10value_typeEPNSM_ISH_E10value_typeEPSI_NS1_7vsmem_tEENKUlT_SG_SH_SI_E_clIS7_S7_PlSB_EESF_SV_SG_SH_SI_EUlSV_E_NS1_11comp_targetILNS1_3genE8ELNS1_11target_archE1030ELNS1_3gpuE2ELNS1_3repE0EEENS1_48merge_mergepath_partition_config_static_selectorELNS0_4arch9wavefront6targetE1EEEvSH_,"axG",@progbits,_ZN7rocprim17ROCPRIM_400000_NS6detail17trampoline_kernelINS0_14default_configENS1_38merge_sort_block_merge_config_selectorIalEEZZNS1_27merge_sort_block_merge_implIS3_PaN6thrust23THRUST_200600_302600_NS10device_ptrIlEEjNS1_19radix_merge_compareILb0ELb1EaNS0_19identity_decomposerEEEEE10hipError_tT0_T1_T2_jT3_P12ihipStream_tbPNSt15iterator_traitsISG_E10value_typeEPNSM_ISH_E10value_typeEPSI_NS1_7vsmem_tEENKUlT_SG_SH_SI_E_clIS7_S7_PlSB_EESF_SV_SG_SH_SI_EUlSV_E_NS1_11comp_targetILNS1_3genE8ELNS1_11target_archE1030ELNS1_3gpuE2ELNS1_3repE0EEENS1_48merge_mergepath_partition_config_static_selectorELNS0_4arch9wavefront6targetE1EEEvSH_,comdat
.Lfunc_end541:
	.size	_ZN7rocprim17ROCPRIM_400000_NS6detail17trampoline_kernelINS0_14default_configENS1_38merge_sort_block_merge_config_selectorIalEEZZNS1_27merge_sort_block_merge_implIS3_PaN6thrust23THRUST_200600_302600_NS10device_ptrIlEEjNS1_19radix_merge_compareILb0ELb1EaNS0_19identity_decomposerEEEEE10hipError_tT0_T1_T2_jT3_P12ihipStream_tbPNSt15iterator_traitsISG_E10value_typeEPNSM_ISH_E10value_typeEPSI_NS1_7vsmem_tEENKUlT_SG_SH_SI_E_clIS7_S7_PlSB_EESF_SV_SG_SH_SI_EUlSV_E_NS1_11comp_targetILNS1_3genE8ELNS1_11target_archE1030ELNS1_3gpuE2ELNS1_3repE0EEENS1_48merge_mergepath_partition_config_static_selectorELNS0_4arch9wavefront6targetE1EEEvSH_, .Lfunc_end541-_ZN7rocprim17ROCPRIM_400000_NS6detail17trampoline_kernelINS0_14default_configENS1_38merge_sort_block_merge_config_selectorIalEEZZNS1_27merge_sort_block_merge_implIS3_PaN6thrust23THRUST_200600_302600_NS10device_ptrIlEEjNS1_19radix_merge_compareILb0ELb1EaNS0_19identity_decomposerEEEEE10hipError_tT0_T1_T2_jT3_P12ihipStream_tbPNSt15iterator_traitsISG_E10value_typeEPNSM_ISH_E10value_typeEPSI_NS1_7vsmem_tEENKUlT_SG_SH_SI_E_clIS7_S7_PlSB_EESF_SV_SG_SH_SI_EUlSV_E_NS1_11comp_targetILNS1_3genE8ELNS1_11target_archE1030ELNS1_3gpuE2ELNS1_3repE0EEENS1_48merge_mergepath_partition_config_static_selectorELNS0_4arch9wavefront6targetE1EEEvSH_
                                        ; -- End function
	.set _ZN7rocprim17ROCPRIM_400000_NS6detail17trampoline_kernelINS0_14default_configENS1_38merge_sort_block_merge_config_selectorIalEEZZNS1_27merge_sort_block_merge_implIS3_PaN6thrust23THRUST_200600_302600_NS10device_ptrIlEEjNS1_19radix_merge_compareILb0ELb1EaNS0_19identity_decomposerEEEEE10hipError_tT0_T1_T2_jT3_P12ihipStream_tbPNSt15iterator_traitsISG_E10value_typeEPNSM_ISH_E10value_typeEPSI_NS1_7vsmem_tEENKUlT_SG_SH_SI_E_clIS7_S7_PlSB_EESF_SV_SG_SH_SI_EUlSV_E_NS1_11comp_targetILNS1_3genE8ELNS1_11target_archE1030ELNS1_3gpuE2ELNS1_3repE0EEENS1_48merge_mergepath_partition_config_static_selectorELNS0_4arch9wavefront6targetE1EEEvSH_.num_vgpr, 0
	.set _ZN7rocprim17ROCPRIM_400000_NS6detail17trampoline_kernelINS0_14default_configENS1_38merge_sort_block_merge_config_selectorIalEEZZNS1_27merge_sort_block_merge_implIS3_PaN6thrust23THRUST_200600_302600_NS10device_ptrIlEEjNS1_19radix_merge_compareILb0ELb1EaNS0_19identity_decomposerEEEEE10hipError_tT0_T1_T2_jT3_P12ihipStream_tbPNSt15iterator_traitsISG_E10value_typeEPNSM_ISH_E10value_typeEPSI_NS1_7vsmem_tEENKUlT_SG_SH_SI_E_clIS7_S7_PlSB_EESF_SV_SG_SH_SI_EUlSV_E_NS1_11comp_targetILNS1_3genE8ELNS1_11target_archE1030ELNS1_3gpuE2ELNS1_3repE0EEENS1_48merge_mergepath_partition_config_static_selectorELNS0_4arch9wavefront6targetE1EEEvSH_.num_agpr, 0
	.set _ZN7rocprim17ROCPRIM_400000_NS6detail17trampoline_kernelINS0_14default_configENS1_38merge_sort_block_merge_config_selectorIalEEZZNS1_27merge_sort_block_merge_implIS3_PaN6thrust23THRUST_200600_302600_NS10device_ptrIlEEjNS1_19radix_merge_compareILb0ELb1EaNS0_19identity_decomposerEEEEE10hipError_tT0_T1_T2_jT3_P12ihipStream_tbPNSt15iterator_traitsISG_E10value_typeEPNSM_ISH_E10value_typeEPSI_NS1_7vsmem_tEENKUlT_SG_SH_SI_E_clIS7_S7_PlSB_EESF_SV_SG_SH_SI_EUlSV_E_NS1_11comp_targetILNS1_3genE8ELNS1_11target_archE1030ELNS1_3gpuE2ELNS1_3repE0EEENS1_48merge_mergepath_partition_config_static_selectorELNS0_4arch9wavefront6targetE1EEEvSH_.numbered_sgpr, 0
	.set _ZN7rocprim17ROCPRIM_400000_NS6detail17trampoline_kernelINS0_14default_configENS1_38merge_sort_block_merge_config_selectorIalEEZZNS1_27merge_sort_block_merge_implIS3_PaN6thrust23THRUST_200600_302600_NS10device_ptrIlEEjNS1_19radix_merge_compareILb0ELb1EaNS0_19identity_decomposerEEEEE10hipError_tT0_T1_T2_jT3_P12ihipStream_tbPNSt15iterator_traitsISG_E10value_typeEPNSM_ISH_E10value_typeEPSI_NS1_7vsmem_tEENKUlT_SG_SH_SI_E_clIS7_S7_PlSB_EESF_SV_SG_SH_SI_EUlSV_E_NS1_11comp_targetILNS1_3genE8ELNS1_11target_archE1030ELNS1_3gpuE2ELNS1_3repE0EEENS1_48merge_mergepath_partition_config_static_selectorELNS0_4arch9wavefront6targetE1EEEvSH_.num_named_barrier, 0
	.set _ZN7rocprim17ROCPRIM_400000_NS6detail17trampoline_kernelINS0_14default_configENS1_38merge_sort_block_merge_config_selectorIalEEZZNS1_27merge_sort_block_merge_implIS3_PaN6thrust23THRUST_200600_302600_NS10device_ptrIlEEjNS1_19radix_merge_compareILb0ELb1EaNS0_19identity_decomposerEEEEE10hipError_tT0_T1_T2_jT3_P12ihipStream_tbPNSt15iterator_traitsISG_E10value_typeEPNSM_ISH_E10value_typeEPSI_NS1_7vsmem_tEENKUlT_SG_SH_SI_E_clIS7_S7_PlSB_EESF_SV_SG_SH_SI_EUlSV_E_NS1_11comp_targetILNS1_3genE8ELNS1_11target_archE1030ELNS1_3gpuE2ELNS1_3repE0EEENS1_48merge_mergepath_partition_config_static_selectorELNS0_4arch9wavefront6targetE1EEEvSH_.private_seg_size, 0
	.set _ZN7rocprim17ROCPRIM_400000_NS6detail17trampoline_kernelINS0_14default_configENS1_38merge_sort_block_merge_config_selectorIalEEZZNS1_27merge_sort_block_merge_implIS3_PaN6thrust23THRUST_200600_302600_NS10device_ptrIlEEjNS1_19radix_merge_compareILb0ELb1EaNS0_19identity_decomposerEEEEE10hipError_tT0_T1_T2_jT3_P12ihipStream_tbPNSt15iterator_traitsISG_E10value_typeEPNSM_ISH_E10value_typeEPSI_NS1_7vsmem_tEENKUlT_SG_SH_SI_E_clIS7_S7_PlSB_EESF_SV_SG_SH_SI_EUlSV_E_NS1_11comp_targetILNS1_3genE8ELNS1_11target_archE1030ELNS1_3gpuE2ELNS1_3repE0EEENS1_48merge_mergepath_partition_config_static_selectorELNS0_4arch9wavefront6targetE1EEEvSH_.uses_vcc, 0
	.set _ZN7rocprim17ROCPRIM_400000_NS6detail17trampoline_kernelINS0_14default_configENS1_38merge_sort_block_merge_config_selectorIalEEZZNS1_27merge_sort_block_merge_implIS3_PaN6thrust23THRUST_200600_302600_NS10device_ptrIlEEjNS1_19radix_merge_compareILb0ELb1EaNS0_19identity_decomposerEEEEE10hipError_tT0_T1_T2_jT3_P12ihipStream_tbPNSt15iterator_traitsISG_E10value_typeEPNSM_ISH_E10value_typeEPSI_NS1_7vsmem_tEENKUlT_SG_SH_SI_E_clIS7_S7_PlSB_EESF_SV_SG_SH_SI_EUlSV_E_NS1_11comp_targetILNS1_3genE8ELNS1_11target_archE1030ELNS1_3gpuE2ELNS1_3repE0EEENS1_48merge_mergepath_partition_config_static_selectorELNS0_4arch9wavefront6targetE1EEEvSH_.uses_flat_scratch, 0
	.set _ZN7rocprim17ROCPRIM_400000_NS6detail17trampoline_kernelINS0_14default_configENS1_38merge_sort_block_merge_config_selectorIalEEZZNS1_27merge_sort_block_merge_implIS3_PaN6thrust23THRUST_200600_302600_NS10device_ptrIlEEjNS1_19radix_merge_compareILb0ELb1EaNS0_19identity_decomposerEEEEE10hipError_tT0_T1_T2_jT3_P12ihipStream_tbPNSt15iterator_traitsISG_E10value_typeEPNSM_ISH_E10value_typeEPSI_NS1_7vsmem_tEENKUlT_SG_SH_SI_E_clIS7_S7_PlSB_EESF_SV_SG_SH_SI_EUlSV_E_NS1_11comp_targetILNS1_3genE8ELNS1_11target_archE1030ELNS1_3gpuE2ELNS1_3repE0EEENS1_48merge_mergepath_partition_config_static_selectorELNS0_4arch9wavefront6targetE1EEEvSH_.has_dyn_sized_stack, 0
	.set _ZN7rocprim17ROCPRIM_400000_NS6detail17trampoline_kernelINS0_14default_configENS1_38merge_sort_block_merge_config_selectorIalEEZZNS1_27merge_sort_block_merge_implIS3_PaN6thrust23THRUST_200600_302600_NS10device_ptrIlEEjNS1_19radix_merge_compareILb0ELb1EaNS0_19identity_decomposerEEEEE10hipError_tT0_T1_T2_jT3_P12ihipStream_tbPNSt15iterator_traitsISG_E10value_typeEPNSM_ISH_E10value_typeEPSI_NS1_7vsmem_tEENKUlT_SG_SH_SI_E_clIS7_S7_PlSB_EESF_SV_SG_SH_SI_EUlSV_E_NS1_11comp_targetILNS1_3genE8ELNS1_11target_archE1030ELNS1_3gpuE2ELNS1_3repE0EEENS1_48merge_mergepath_partition_config_static_selectorELNS0_4arch9wavefront6targetE1EEEvSH_.has_recursion, 0
	.set _ZN7rocprim17ROCPRIM_400000_NS6detail17trampoline_kernelINS0_14default_configENS1_38merge_sort_block_merge_config_selectorIalEEZZNS1_27merge_sort_block_merge_implIS3_PaN6thrust23THRUST_200600_302600_NS10device_ptrIlEEjNS1_19radix_merge_compareILb0ELb1EaNS0_19identity_decomposerEEEEE10hipError_tT0_T1_T2_jT3_P12ihipStream_tbPNSt15iterator_traitsISG_E10value_typeEPNSM_ISH_E10value_typeEPSI_NS1_7vsmem_tEENKUlT_SG_SH_SI_E_clIS7_S7_PlSB_EESF_SV_SG_SH_SI_EUlSV_E_NS1_11comp_targetILNS1_3genE8ELNS1_11target_archE1030ELNS1_3gpuE2ELNS1_3repE0EEENS1_48merge_mergepath_partition_config_static_selectorELNS0_4arch9wavefront6targetE1EEEvSH_.has_indirect_call, 0
	.section	.AMDGPU.csdata,"",@progbits
; Kernel info:
; codeLenInByte = 0
; TotalNumSgprs: 4
; NumVgprs: 0
; ScratchSize: 0
; MemoryBound: 0
; FloatMode: 240
; IeeeMode: 1
; LDSByteSize: 0 bytes/workgroup (compile time only)
; SGPRBlocks: 0
; VGPRBlocks: 0
; NumSGPRsForWavesPerEU: 4
; NumVGPRsForWavesPerEU: 1
; Occupancy: 10
; WaveLimiterHint : 0
; COMPUTE_PGM_RSRC2:SCRATCH_EN: 0
; COMPUTE_PGM_RSRC2:USER_SGPR: 6
; COMPUTE_PGM_RSRC2:TRAP_HANDLER: 0
; COMPUTE_PGM_RSRC2:TGID_X_EN: 1
; COMPUTE_PGM_RSRC2:TGID_Y_EN: 0
; COMPUTE_PGM_RSRC2:TGID_Z_EN: 0
; COMPUTE_PGM_RSRC2:TIDIG_COMP_CNT: 0
	.section	.text._ZN7rocprim17ROCPRIM_400000_NS6detail17trampoline_kernelINS0_14default_configENS1_38merge_sort_block_merge_config_selectorIalEEZZNS1_27merge_sort_block_merge_implIS3_PaN6thrust23THRUST_200600_302600_NS10device_ptrIlEEjNS1_19radix_merge_compareILb0ELb1EaNS0_19identity_decomposerEEEEE10hipError_tT0_T1_T2_jT3_P12ihipStream_tbPNSt15iterator_traitsISG_E10value_typeEPNSM_ISH_E10value_typeEPSI_NS1_7vsmem_tEENKUlT_SG_SH_SI_E_clIS7_S7_PlSB_EESF_SV_SG_SH_SI_EUlSV_E0_NS1_11comp_targetILNS1_3genE0ELNS1_11target_archE4294967295ELNS1_3gpuE0ELNS1_3repE0EEENS1_38merge_mergepath_config_static_selectorELNS0_4arch9wavefront6targetE1EEEvSH_,"axG",@progbits,_ZN7rocprim17ROCPRIM_400000_NS6detail17trampoline_kernelINS0_14default_configENS1_38merge_sort_block_merge_config_selectorIalEEZZNS1_27merge_sort_block_merge_implIS3_PaN6thrust23THRUST_200600_302600_NS10device_ptrIlEEjNS1_19radix_merge_compareILb0ELb1EaNS0_19identity_decomposerEEEEE10hipError_tT0_T1_T2_jT3_P12ihipStream_tbPNSt15iterator_traitsISG_E10value_typeEPNSM_ISH_E10value_typeEPSI_NS1_7vsmem_tEENKUlT_SG_SH_SI_E_clIS7_S7_PlSB_EESF_SV_SG_SH_SI_EUlSV_E0_NS1_11comp_targetILNS1_3genE0ELNS1_11target_archE4294967295ELNS1_3gpuE0ELNS1_3repE0EEENS1_38merge_mergepath_config_static_selectorELNS0_4arch9wavefront6targetE1EEEvSH_,comdat
	.protected	_ZN7rocprim17ROCPRIM_400000_NS6detail17trampoline_kernelINS0_14default_configENS1_38merge_sort_block_merge_config_selectorIalEEZZNS1_27merge_sort_block_merge_implIS3_PaN6thrust23THRUST_200600_302600_NS10device_ptrIlEEjNS1_19radix_merge_compareILb0ELb1EaNS0_19identity_decomposerEEEEE10hipError_tT0_T1_T2_jT3_P12ihipStream_tbPNSt15iterator_traitsISG_E10value_typeEPNSM_ISH_E10value_typeEPSI_NS1_7vsmem_tEENKUlT_SG_SH_SI_E_clIS7_S7_PlSB_EESF_SV_SG_SH_SI_EUlSV_E0_NS1_11comp_targetILNS1_3genE0ELNS1_11target_archE4294967295ELNS1_3gpuE0ELNS1_3repE0EEENS1_38merge_mergepath_config_static_selectorELNS0_4arch9wavefront6targetE1EEEvSH_ ; -- Begin function _ZN7rocprim17ROCPRIM_400000_NS6detail17trampoline_kernelINS0_14default_configENS1_38merge_sort_block_merge_config_selectorIalEEZZNS1_27merge_sort_block_merge_implIS3_PaN6thrust23THRUST_200600_302600_NS10device_ptrIlEEjNS1_19radix_merge_compareILb0ELb1EaNS0_19identity_decomposerEEEEE10hipError_tT0_T1_T2_jT3_P12ihipStream_tbPNSt15iterator_traitsISG_E10value_typeEPNSM_ISH_E10value_typeEPSI_NS1_7vsmem_tEENKUlT_SG_SH_SI_E_clIS7_S7_PlSB_EESF_SV_SG_SH_SI_EUlSV_E0_NS1_11comp_targetILNS1_3genE0ELNS1_11target_archE4294967295ELNS1_3gpuE0ELNS1_3repE0EEENS1_38merge_mergepath_config_static_selectorELNS0_4arch9wavefront6targetE1EEEvSH_
	.globl	_ZN7rocprim17ROCPRIM_400000_NS6detail17trampoline_kernelINS0_14default_configENS1_38merge_sort_block_merge_config_selectorIalEEZZNS1_27merge_sort_block_merge_implIS3_PaN6thrust23THRUST_200600_302600_NS10device_ptrIlEEjNS1_19radix_merge_compareILb0ELb1EaNS0_19identity_decomposerEEEEE10hipError_tT0_T1_T2_jT3_P12ihipStream_tbPNSt15iterator_traitsISG_E10value_typeEPNSM_ISH_E10value_typeEPSI_NS1_7vsmem_tEENKUlT_SG_SH_SI_E_clIS7_S7_PlSB_EESF_SV_SG_SH_SI_EUlSV_E0_NS1_11comp_targetILNS1_3genE0ELNS1_11target_archE4294967295ELNS1_3gpuE0ELNS1_3repE0EEENS1_38merge_mergepath_config_static_selectorELNS0_4arch9wavefront6targetE1EEEvSH_
	.p2align	8
	.type	_ZN7rocprim17ROCPRIM_400000_NS6detail17trampoline_kernelINS0_14default_configENS1_38merge_sort_block_merge_config_selectorIalEEZZNS1_27merge_sort_block_merge_implIS3_PaN6thrust23THRUST_200600_302600_NS10device_ptrIlEEjNS1_19radix_merge_compareILb0ELb1EaNS0_19identity_decomposerEEEEE10hipError_tT0_T1_T2_jT3_P12ihipStream_tbPNSt15iterator_traitsISG_E10value_typeEPNSM_ISH_E10value_typeEPSI_NS1_7vsmem_tEENKUlT_SG_SH_SI_E_clIS7_S7_PlSB_EESF_SV_SG_SH_SI_EUlSV_E0_NS1_11comp_targetILNS1_3genE0ELNS1_11target_archE4294967295ELNS1_3gpuE0ELNS1_3repE0EEENS1_38merge_mergepath_config_static_selectorELNS0_4arch9wavefront6targetE1EEEvSH_,@function
_ZN7rocprim17ROCPRIM_400000_NS6detail17trampoline_kernelINS0_14default_configENS1_38merge_sort_block_merge_config_selectorIalEEZZNS1_27merge_sort_block_merge_implIS3_PaN6thrust23THRUST_200600_302600_NS10device_ptrIlEEjNS1_19radix_merge_compareILb0ELb1EaNS0_19identity_decomposerEEEEE10hipError_tT0_T1_T2_jT3_P12ihipStream_tbPNSt15iterator_traitsISG_E10value_typeEPNSM_ISH_E10value_typeEPSI_NS1_7vsmem_tEENKUlT_SG_SH_SI_E_clIS7_S7_PlSB_EESF_SV_SG_SH_SI_EUlSV_E0_NS1_11comp_targetILNS1_3genE0ELNS1_11target_archE4294967295ELNS1_3gpuE0ELNS1_3repE0EEENS1_38merge_mergepath_config_static_selectorELNS0_4arch9wavefront6targetE1EEEvSH_: ; @_ZN7rocprim17ROCPRIM_400000_NS6detail17trampoline_kernelINS0_14default_configENS1_38merge_sort_block_merge_config_selectorIalEEZZNS1_27merge_sort_block_merge_implIS3_PaN6thrust23THRUST_200600_302600_NS10device_ptrIlEEjNS1_19radix_merge_compareILb0ELb1EaNS0_19identity_decomposerEEEEE10hipError_tT0_T1_T2_jT3_P12ihipStream_tbPNSt15iterator_traitsISG_E10value_typeEPNSM_ISH_E10value_typeEPSI_NS1_7vsmem_tEENKUlT_SG_SH_SI_E_clIS7_S7_PlSB_EESF_SV_SG_SH_SI_EUlSV_E0_NS1_11comp_targetILNS1_3genE0ELNS1_11target_archE4294967295ELNS1_3gpuE0ELNS1_3repE0EEENS1_38merge_mergepath_config_static_selectorELNS0_4arch9wavefront6targetE1EEEvSH_
; %bb.0:
	.section	.rodata,"a",@progbits
	.p2align	6, 0x0
	.amdhsa_kernel _ZN7rocprim17ROCPRIM_400000_NS6detail17trampoline_kernelINS0_14default_configENS1_38merge_sort_block_merge_config_selectorIalEEZZNS1_27merge_sort_block_merge_implIS3_PaN6thrust23THRUST_200600_302600_NS10device_ptrIlEEjNS1_19radix_merge_compareILb0ELb1EaNS0_19identity_decomposerEEEEE10hipError_tT0_T1_T2_jT3_P12ihipStream_tbPNSt15iterator_traitsISG_E10value_typeEPNSM_ISH_E10value_typeEPSI_NS1_7vsmem_tEENKUlT_SG_SH_SI_E_clIS7_S7_PlSB_EESF_SV_SG_SH_SI_EUlSV_E0_NS1_11comp_targetILNS1_3genE0ELNS1_11target_archE4294967295ELNS1_3gpuE0ELNS1_3repE0EEENS1_38merge_mergepath_config_static_selectorELNS0_4arch9wavefront6targetE1EEEvSH_
		.amdhsa_group_segment_fixed_size 0
		.amdhsa_private_segment_fixed_size 0
		.amdhsa_kernarg_size 64
		.amdhsa_user_sgpr_count 6
		.amdhsa_user_sgpr_private_segment_buffer 1
		.amdhsa_user_sgpr_dispatch_ptr 0
		.amdhsa_user_sgpr_queue_ptr 0
		.amdhsa_user_sgpr_kernarg_segment_ptr 1
		.amdhsa_user_sgpr_dispatch_id 0
		.amdhsa_user_sgpr_flat_scratch_init 0
		.amdhsa_user_sgpr_private_segment_size 0
		.amdhsa_uses_dynamic_stack 0
		.amdhsa_system_sgpr_private_segment_wavefront_offset 0
		.amdhsa_system_sgpr_workgroup_id_x 1
		.amdhsa_system_sgpr_workgroup_id_y 0
		.amdhsa_system_sgpr_workgroup_id_z 0
		.amdhsa_system_sgpr_workgroup_info 0
		.amdhsa_system_vgpr_workitem_id 0
		.amdhsa_next_free_vgpr 1
		.amdhsa_next_free_sgpr 0
		.amdhsa_reserve_vcc 0
		.amdhsa_reserve_flat_scratch 0
		.amdhsa_float_round_mode_32 0
		.amdhsa_float_round_mode_16_64 0
		.amdhsa_float_denorm_mode_32 3
		.amdhsa_float_denorm_mode_16_64 3
		.amdhsa_dx10_clamp 1
		.amdhsa_ieee_mode 1
		.amdhsa_fp16_overflow 0
		.amdhsa_exception_fp_ieee_invalid_op 0
		.amdhsa_exception_fp_denorm_src 0
		.amdhsa_exception_fp_ieee_div_zero 0
		.amdhsa_exception_fp_ieee_overflow 0
		.amdhsa_exception_fp_ieee_underflow 0
		.amdhsa_exception_fp_ieee_inexact 0
		.amdhsa_exception_int_div_zero 0
	.end_amdhsa_kernel
	.section	.text._ZN7rocprim17ROCPRIM_400000_NS6detail17trampoline_kernelINS0_14default_configENS1_38merge_sort_block_merge_config_selectorIalEEZZNS1_27merge_sort_block_merge_implIS3_PaN6thrust23THRUST_200600_302600_NS10device_ptrIlEEjNS1_19radix_merge_compareILb0ELb1EaNS0_19identity_decomposerEEEEE10hipError_tT0_T1_T2_jT3_P12ihipStream_tbPNSt15iterator_traitsISG_E10value_typeEPNSM_ISH_E10value_typeEPSI_NS1_7vsmem_tEENKUlT_SG_SH_SI_E_clIS7_S7_PlSB_EESF_SV_SG_SH_SI_EUlSV_E0_NS1_11comp_targetILNS1_3genE0ELNS1_11target_archE4294967295ELNS1_3gpuE0ELNS1_3repE0EEENS1_38merge_mergepath_config_static_selectorELNS0_4arch9wavefront6targetE1EEEvSH_,"axG",@progbits,_ZN7rocprim17ROCPRIM_400000_NS6detail17trampoline_kernelINS0_14default_configENS1_38merge_sort_block_merge_config_selectorIalEEZZNS1_27merge_sort_block_merge_implIS3_PaN6thrust23THRUST_200600_302600_NS10device_ptrIlEEjNS1_19radix_merge_compareILb0ELb1EaNS0_19identity_decomposerEEEEE10hipError_tT0_T1_T2_jT3_P12ihipStream_tbPNSt15iterator_traitsISG_E10value_typeEPNSM_ISH_E10value_typeEPSI_NS1_7vsmem_tEENKUlT_SG_SH_SI_E_clIS7_S7_PlSB_EESF_SV_SG_SH_SI_EUlSV_E0_NS1_11comp_targetILNS1_3genE0ELNS1_11target_archE4294967295ELNS1_3gpuE0ELNS1_3repE0EEENS1_38merge_mergepath_config_static_selectorELNS0_4arch9wavefront6targetE1EEEvSH_,comdat
.Lfunc_end542:
	.size	_ZN7rocprim17ROCPRIM_400000_NS6detail17trampoline_kernelINS0_14default_configENS1_38merge_sort_block_merge_config_selectorIalEEZZNS1_27merge_sort_block_merge_implIS3_PaN6thrust23THRUST_200600_302600_NS10device_ptrIlEEjNS1_19radix_merge_compareILb0ELb1EaNS0_19identity_decomposerEEEEE10hipError_tT0_T1_T2_jT3_P12ihipStream_tbPNSt15iterator_traitsISG_E10value_typeEPNSM_ISH_E10value_typeEPSI_NS1_7vsmem_tEENKUlT_SG_SH_SI_E_clIS7_S7_PlSB_EESF_SV_SG_SH_SI_EUlSV_E0_NS1_11comp_targetILNS1_3genE0ELNS1_11target_archE4294967295ELNS1_3gpuE0ELNS1_3repE0EEENS1_38merge_mergepath_config_static_selectorELNS0_4arch9wavefront6targetE1EEEvSH_, .Lfunc_end542-_ZN7rocprim17ROCPRIM_400000_NS6detail17trampoline_kernelINS0_14default_configENS1_38merge_sort_block_merge_config_selectorIalEEZZNS1_27merge_sort_block_merge_implIS3_PaN6thrust23THRUST_200600_302600_NS10device_ptrIlEEjNS1_19radix_merge_compareILb0ELb1EaNS0_19identity_decomposerEEEEE10hipError_tT0_T1_T2_jT3_P12ihipStream_tbPNSt15iterator_traitsISG_E10value_typeEPNSM_ISH_E10value_typeEPSI_NS1_7vsmem_tEENKUlT_SG_SH_SI_E_clIS7_S7_PlSB_EESF_SV_SG_SH_SI_EUlSV_E0_NS1_11comp_targetILNS1_3genE0ELNS1_11target_archE4294967295ELNS1_3gpuE0ELNS1_3repE0EEENS1_38merge_mergepath_config_static_selectorELNS0_4arch9wavefront6targetE1EEEvSH_
                                        ; -- End function
	.set _ZN7rocprim17ROCPRIM_400000_NS6detail17trampoline_kernelINS0_14default_configENS1_38merge_sort_block_merge_config_selectorIalEEZZNS1_27merge_sort_block_merge_implIS3_PaN6thrust23THRUST_200600_302600_NS10device_ptrIlEEjNS1_19radix_merge_compareILb0ELb1EaNS0_19identity_decomposerEEEEE10hipError_tT0_T1_T2_jT3_P12ihipStream_tbPNSt15iterator_traitsISG_E10value_typeEPNSM_ISH_E10value_typeEPSI_NS1_7vsmem_tEENKUlT_SG_SH_SI_E_clIS7_S7_PlSB_EESF_SV_SG_SH_SI_EUlSV_E0_NS1_11comp_targetILNS1_3genE0ELNS1_11target_archE4294967295ELNS1_3gpuE0ELNS1_3repE0EEENS1_38merge_mergepath_config_static_selectorELNS0_4arch9wavefront6targetE1EEEvSH_.num_vgpr, 0
	.set _ZN7rocprim17ROCPRIM_400000_NS6detail17trampoline_kernelINS0_14default_configENS1_38merge_sort_block_merge_config_selectorIalEEZZNS1_27merge_sort_block_merge_implIS3_PaN6thrust23THRUST_200600_302600_NS10device_ptrIlEEjNS1_19radix_merge_compareILb0ELb1EaNS0_19identity_decomposerEEEEE10hipError_tT0_T1_T2_jT3_P12ihipStream_tbPNSt15iterator_traitsISG_E10value_typeEPNSM_ISH_E10value_typeEPSI_NS1_7vsmem_tEENKUlT_SG_SH_SI_E_clIS7_S7_PlSB_EESF_SV_SG_SH_SI_EUlSV_E0_NS1_11comp_targetILNS1_3genE0ELNS1_11target_archE4294967295ELNS1_3gpuE0ELNS1_3repE0EEENS1_38merge_mergepath_config_static_selectorELNS0_4arch9wavefront6targetE1EEEvSH_.num_agpr, 0
	.set _ZN7rocprim17ROCPRIM_400000_NS6detail17trampoline_kernelINS0_14default_configENS1_38merge_sort_block_merge_config_selectorIalEEZZNS1_27merge_sort_block_merge_implIS3_PaN6thrust23THRUST_200600_302600_NS10device_ptrIlEEjNS1_19radix_merge_compareILb0ELb1EaNS0_19identity_decomposerEEEEE10hipError_tT0_T1_T2_jT3_P12ihipStream_tbPNSt15iterator_traitsISG_E10value_typeEPNSM_ISH_E10value_typeEPSI_NS1_7vsmem_tEENKUlT_SG_SH_SI_E_clIS7_S7_PlSB_EESF_SV_SG_SH_SI_EUlSV_E0_NS1_11comp_targetILNS1_3genE0ELNS1_11target_archE4294967295ELNS1_3gpuE0ELNS1_3repE0EEENS1_38merge_mergepath_config_static_selectorELNS0_4arch9wavefront6targetE1EEEvSH_.numbered_sgpr, 0
	.set _ZN7rocprim17ROCPRIM_400000_NS6detail17trampoline_kernelINS0_14default_configENS1_38merge_sort_block_merge_config_selectorIalEEZZNS1_27merge_sort_block_merge_implIS3_PaN6thrust23THRUST_200600_302600_NS10device_ptrIlEEjNS1_19radix_merge_compareILb0ELb1EaNS0_19identity_decomposerEEEEE10hipError_tT0_T1_T2_jT3_P12ihipStream_tbPNSt15iterator_traitsISG_E10value_typeEPNSM_ISH_E10value_typeEPSI_NS1_7vsmem_tEENKUlT_SG_SH_SI_E_clIS7_S7_PlSB_EESF_SV_SG_SH_SI_EUlSV_E0_NS1_11comp_targetILNS1_3genE0ELNS1_11target_archE4294967295ELNS1_3gpuE0ELNS1_3repE0EEENS1_38merge_mergepath_config_static_selectorELNS0_4arch9wavefront6targetE1EEEvSH_.num_named_barrier, 0
	.set _ZN7rocprim17ROCPRIM_400000_NS6detail17trampoline_kernelINS0_14default_configENS1_38merge_sort_block_merge_config_selectorIalEEZZNS1_27merge_sort_block_merge_implIS3_PaN6thrust23THRUST_200600_302600_NS10device_ptrIlEEjNS1_19radix_merge_compareILb0ELb1EaNS0_19identity_decomposerEEEEE10hipError_tT0_T1_T2_jT3_P12ihipStream_tbPNSt15iterator_traitsISG_E10value_typeEPNSM_ISH_E10value_typeEPSI_NS1_7vsmem_tEENKUlT_SG_SH_SI_E_clIS7_S7_PlSB_EESF_SV_SG_SH_SI_EUlSV_E0_NS1_11comp_targetILNS1_3genE0ELNS1_11target_archE4294967295ELNS1_3gpuE0ELNS1_3repE0EEENS1_38merge_mergepath_config_static_selectorELNS0_4arch9wavefront6targetE1EEEvSH_.private_seg_size, 0
	.set _ZN7rocprim17ROCPRIM_400000_NS6detail17trampoline_kernelINS0_14default_configENS1_38merge_sort_block_merge_config_selectorIalEEZZNS1_27merge_sort_block_merge_implIS3_PaN6thrust23THRUST_200600_302600_NS10device_ptrIlEEjNS1_19radix_merge_compareILb0ELb1EaNS0_19identity_decomposerEEEEE10hipError_tT0_T1_T2_jT3_P12ihipStream_tbPNSt15iterator_traitsISG_E10value_typeEPNSM_ISH_E10value_typeEPSI_NS1_7vsmem_tEENKUlT_SG_SH_SI_E_clIS7_S7_PlSB_EESF_SV_SG_SH_SI_EUlSV_E0_NS1_11comp_targetILNS1_3genE0ELNS1_11target_archE4294967295ELNS1_3gpuE0ELNS1_3repE0EEENS1_38merge_mergepath_config_static_selectorELNS0_4arch9wavefront6targetE1EEEvSH_.uses_vcc, 0
	.set _ZN7rocprim17ROCPRIM_400000_NS6detail17trampoline_kernelINS0_14default_configENS1_38merge_sort_block_merge_config_selectorIalEEZZNS1_27merge_sort_block_merge_implIS3_PaN6thrust23THRUST_200600_302600_NS10device_ptrIlEEjNS1_19radix_merge_compareILb0ELb1EaNS0_19identity_decomposerEEEEE10hipError_tT0_T1_T2_jT3_P12ihipStream_tbPNSt15iterator_traitsISG_E10value_typeEPNSM_ISH_E10value_typeEPSI_NS1_7vsmem_tEENKUlT_SG_SH_SI_E_clIS7_S7_PlSB_EESF_SV_SG_SH_SI_EUlSV_E0_NS1_11comp_targetILNS1_3genE0ELNS1_11target_archE4294967295ELNS1_3gpuE0ELNS1_3repE0EEENS1_38merge_mergepath_config_static_selectorELNS0_4arch9wavefront6targetE1EEEvSH_.uses_flat_scratch, 0
	.set _ZN7rocprim17ROCPRIM_400000_NS6detail17trampoline_kernelINS0_14default_configENS1_38merge_sort_block_merge_config_selectorIalEEZZNS1_27merge_sort_block_merge_implIS3_PaN6thrust23THRUST_200600_302600_NS10device_ptrIlEEjNS1_19radix_merge_compareILb0ELb1EaNS0_19identity_decomposerEEEEE10hipError_tT0_T1_T2_jT3_P12ihipStream_tbPNSt15iterator_traitsISG_E10value_typeEPNSM_ISH_E10value_typeEPSI_NS1_7vsmem_tEENKUlT_SG_SH_SI_E_clIS7_S7_PlSB_EESF_SV_SG_SH_SI_EUlSV_E0_NS1_11comp_targetILNS1_3genE0ELNS1_11target_archE4294967295ELNS1_3gpuE0ELNS1_3repE0EEENS1_38merge_mergepath_config_static_selectorELNS0_4arch9wavefront6targetE1EEEvSH_.has_dyn_sized_stack, 0
	.set _ZN7rocprim17ROCPRIM_400000_NS6detail17trampoline_kernelINS0_14default_configENS1_38merge_sort_block_merge_config_selectorIalEEZZNS1_27merge_sort_block_merge_implIS3_PaN6thrust23THRUST_200600_302600_NS10device_ptrIlEEjNS1_19radix_merge_compareILb0ELb1EaNS0_19identity_decomposerEEEEE10hipError_tT0_T1_T2_jT3_P12ihipStream_tbPNSt15iterator_traitsISG_E10value_typeEPNSM_ISH_E10value_typeEPSI_NS1_7vsmem_tEENKUlT_SG_SH_SI_E_clIS7_S7_PlSB_EESF_SV_SG_SH_SI_EUlSV_E0_NS1_11comp_targetILNS1_3genE0ELNS1_11target_archE4294967295ELNS1_3gpuE0ELNS1_3repE0EEENS1_38merge_mergepath_config_static_selectorELNS0_4arch9wavefront6targetE1EEEvSH_.has_recursion, 0
	.set _ZN7rocprim17ROCPRIM_400000_NS6detail17trampoline_kernelINS0_14default_configENS1_38merge_sort_block_merge_config_selectorIalEEZZNS1_27merge_sort_block_merge_implIS3_PaN6thrust23THRUST_200600_302600_NS10device_ptrIlEEjNS1_19radix_merge_compareILb0ELb1EaNS0_19identity_decomposerEEEEE10hipError_tT0_T1_T2_jT3_P12ihipStream_tbPNSt15iterator_traitsISG_E10value_typeEPNSM_ISH_E10value_typeEPSI_NS1_7vsmem_tEENKUlT_SG_SH_SI_E_clIS7_S7_PlSB_EESF_SV_SG_SH_SI_EUlSV_E0_NS1_11comp_targetILNS1_3genE0ELNS1_11target_archE4294967295ELNS1_3gpuE0ELNS1_3repE0EEENS1_38merge_mergepath_config_static_selectorELNS0_4arch9wavefront6targetE1EEEvSH_.has_indirect_call, 0
	.section	.AMDGPU.csdata,"",@progbits
; Kernel info:
; codeLenInByte = 0
; TotalNumSgprs: 4
; NumVgprs: 0
; ScratchSize: 0
; MemoryBound: 0
; FloatMode: 240
; IeeeMode: 1
; LDSByteSize: 0 bytes/workgroup (compile time only)
; SGPRBlocks: 0
; VGPRBlocks: 0
; NumSGPRsForWavesPerEU: 4
; NumVGPRsForWavesPerEU: 1
; Occupancy: 10
; WaveLimiterHint : 0
; COMPUTE_PGM_RSRC2:SCRATCH_EN: 0
; COMPUTE_PGM_RSRC2:USER_SGPR: 6
; COMPUTE_PGM_RSRC2:TRAP_HANDLER: 0
; COMPUTE_PGM_RSRC2:TGID_X_EN: 1
; COMPUTE_PGM_RSRC2:TGID_Y_EN: 0
; COMPUTE_PGM_RSRC2:TGID_Z_EN: 0
; COMPUTE_PGM_RSRC2:TIDIG_COMP_CNT: 0
	.section	.text._ZN7rocprim17ROCPRIM_400000_NS6detail17trampoline_kernelINS0_14default_configENS1_38merge_sort_block_merge_config_selectorIalEEZZNS1_27merge_sort_block_merge_implIS3_PaN6thrust23THRUST_200600_302600_NS10device_ptrIlEEjNS1_19radix_merge_compareILb0ELb1EaNS0_19identity_decomposerEEEEE10hipError_tT0_T1_T2_jT3_P12ihipStream_tbPNSt15iterator_traitsISG_E10value_typeEPNSM_ISH_E10value_typeEPSI_NS1_7vsmem_tEENKUlT_SG_SH_SI_E_clIS7_S7_PlSB_EESF_SV_SG_SH_SI_EUlSV_E0_NS1_11comp_targetILNS1_3genE10ELNS1_11target_archE1201ELNS1_3gpuE5ELNS1_3repE0EEENS1_38merge_mergepath_config_static_selectorELNS0_4arch9wavefront6targetE1EEEvSH_,"axG",@progbits,_ZN7rocprim17ROCPRIM_400000_NS6detail17trampoline_kernelINS0_14default_configENS1_38merge_sort_block_merge_config_selectorIalEEZZNS1_27merge_sort_block_merge_implIS3_PaN6thrust23THRUST_200600_302600_NS10device_ptrIlEEjNS1_19radix_merge_compareILb0ELb1EaNS0_19identity_decomposerEEEEE10hipError_tT0_T1_T2_jT3_P12ihipStream_tbPNSt15iterator_traitsISG_E10value_typeEPNSM_ISH_E10value_typeEPSI_NS1_7vsmem_tEENKUlT_SG_SH_SI_E_clIS7_S7_PlSB_EESF_SV_SG_SH_SI_EUlSV_E0_NS1_11comp_targetILNS1_3genE10ELNS1_11target_archE1201ELNS1_3gpuE5ELNS1_3repE0EEENS1_38merge_mergepath_config_static_selectorELNS0_4arch9wavefront6targetE1EEEvSH_,comdat
	.protected	_ZN7rocprim17ROCPRIM_400000_NS6detail17trampoline_kernelINS0_14default_configENS1_38merge_sort_block_merge_config_selectorIalEEZZNS1_27merge_sort_block_merge_implIS3_PaN6thrust23THRUST_200600_302600_NS10device_ptrIlEEjNS1_19radix_merge_compareILb0ELb1EaNS0_19identity_decomposerEEEEE10hipError_tT0_T1_T2_jT3_P12ihipStream_tbPNSt15iterator_traitsISG_E10value_typeEPNSM_ISH_E10value_typeEPSI_NS1_7vsmem_tEENKUlT_SG_SH_SI_E_clIS7_S7_PlSB_EESF_SV_SG_SH_SI_EUlSV_E0_NS1_11comp_targetILNS1_3genE10ELNS1_11target_archE1201ELNS1_3gpuE5ELNS1_3repE0EEENS1_38merge_mergepath_config_static_selectorELNS0_4arch9wavefront6targetE1EEEvSH_ ; -- Begin function _ZN7rocprim17ROCPRIM_400000_NS6detail17trampoline_kernelINS0_14default_configENS1_38merge_sort_block_merge_config_selectorIalEEZZNS1_27merge_sort_block_merge_implIS3_PaN6thrust23THRUST_200600_302600_NS10device_ptrIlEEjNS1_19radix_merge_compareILb0ELb1EaNS0_19identity_decomposerEEEEE10hipError_tT0_T1_T2_jT3_P12ihipStream_tbPNSt15iterator_traitsISG_E10value_typeEPNSM_ISH_E10value_typeEPSI_NS1_7vsmem_tEENKUlT_SG_SH_SI_E_clIS7_S7_PlSB_EESF_SV_SG_SH_SI_EUlSV_E0_NS1_11comp_targetILNS1_3genE10ELNS1_11target_archE1201ELNS1_3gpuE5ELNS1_3repE0EEENS1_38merge_mergepath_config_static_selectorELNS0_4arch9wavefront6targetE1EEEvSH_
	.globl	_ZN7rocprim17ROCPRIM_400000_NS6detail17trampoline_kernelINS0_14default_configENS1_38merge_sort_block_merge_config_selectorIalEEZZNS1_27merge_sort_block_merge_implIS3_PaN6thrust23THRUST_200600_302600_NS10device_ptrIlEEjNS1_19radix_merge_compareILb0ELb1EaNS0_19identity_decomposerEEEEE10hipError_tT0_T1_T2_jT3_P12ihipStream_tbPNSt15iterator_traitsISG_E10value_typeEPNSM_ISH_E10value_typeEPSI_NS1_7vsmem_tEENKUlT_SG_SH_SI_E_clIS7_S7_PlSB_EESF_SV_SG_SH_SI_EUlSV_E0_NS1_11comp_targetILNS1_3genE10ELNS1_11target_archE1201ELNS1_3gpuE5ELNS1_3repE0EEENS1_38merge_mergepath_config_static_selectorELNS0_4arch9wavefront6targetE1EEEvSH_
	.p2align	8
	.type	_ZN7rocprim17ROCPRIM_400000_NS6detail17trampoline_kernelINS0_14default_configENS1_38merge_sort_block_merge_config_selectorIalEEZZNS1_27merge_sort_block_merge_implIS3_PaN6thrust23THRUST_200600_302600_NS10device_ptrIlEEjNS1_19radix_merge_compareILb0ELb1EaNS0_19identity_decomposerEEEEE10hipError_tT0_T1_T2_jT3_P12ihipStream_tbPNSt15iterator_traitsISG_E10value_typeEPNSM_ISH_E10value_typeEPSI_NS1_7vsmem_tEENKUlT_SG_SH_SI_E_clIS7_S7_PlSB_EESF_SV_SG_SH_SI_EUlSV_E0_NS1_11comp_targetILNS1_3genE10ELNS1_11target_archE1201ELNS1_3gpuE5ELNS1_3repE0EEENS1_38merge_mergepath_config_static_selectorELNS0_4arch9wavefront6targetE1EEEvSH_,@function
_ZN7rocprim17ROCPRIM_400000_NS6detail17trampoline_kernelINS0_14default_configENS1_38merge_sort_block_merge_config_selectorIalEEZZNS1_27merge_sort_block_merge_implIS3_PaN6thrust23THRUST_200600_302600_NS10device_ptrIlEEjNS1_19radix_merge_compareILb0ELb1EaNS0_19identity_decomposerEEEEE10hipError_tT0_T1_T2_jT3_P12ihipStream_tbPNSt15iterator_traitsISG_E10value_typeEPNSM_ISH_E10value_typeEPSI_NS1_7vsmem_tEENKUlT_SG_SH_SI_E_clIS7_S7_PlSB_EESF_SV_SG_SH_SI_EUlSV_E0_NS1_11comp_targetILNS1_3genE10ELNS1_11target_archE1201ELNS1_3gpuE5ELNS1_3repE0EEENS1_38merge_mergepath_config_static_selectorELNS0_4arch9wavefront6targetE1EEEvSH_: ; @_ZN7rocprim17ROCPRIM_400000_NS6detail17trampoline_kernelINS0_14default_configENS1_38merge_sort_block_merge_config_selectorIalEEZZNS1_27merge_sort_block_merge_implIS3_PaN6thrust23THRUST_200600_302600_NS10device_ptrIlEEjNS1_19radix_merge_compareILb0ELb1EaNS0_19identity_decomposerEEEEE10hipError_tT0_T1_T2_jT3_P12ihipStream_tbPNSt15iterator_traitsISG_E10value_typeEPNSM_ISH_E10value_typeEPSI_NS1_7vsmem_tEENKUlT_SG_SH_SI_E_clIS7_S7_PlSB_EESF_SV_SG_SH_SI_EUlSV_E0_NS1_11comp_targetILNS1_3genE10ELNS1_11target_archE1201ELNS1_3gpuE5ELNS1_3repE0EEENS1_38merge_mergepath_config_static_selectorELNS0_4arch9wavefront6targetE1EEEvSH_
; %bb.0:
	.section	.rodata,"a",@progbits
	.p2align	6, 0x0
	.amdhsa_kernel _ZN7rocprim17ROCPRIM_400000_NS6detail17trampoline_kernelINS0_14default_configENS1_38merge_sort_block_merge_config_selectorIalEEZZNS1_27merge_sort_block_merge_implIS3_PaN6thrust23THRUST_200600_302600_NS10device_ptrIlEEjNS1_19radix_merge_compareILb0ELb1EaNS0_19identity_decomposerEEEEE10hipError_tT0_T1_T2_jT3_P12ihipStream_tbPNSt15iterator_traitsISG_E10value_typeEPNSM_ISH_E10value_typeEPSI_NS1_7vsmem_tEENKUlT_SG_SH_SI_E_clIS7_S7_PlSB_EESF_SV_SG_SH_SI_EUlSV_E0_NS1_11comp_targetILNS1_3genE10ELNS1_11target_archE1201ELNS1_3gpuE5ELNS1_3repE0EEENS1_38merge_mergepath_config_static_selectorELNS0_4arch9wavefront6targetE1EEEvSH_
		.amdhsa_group_segment_fixed_size 0
		.amdhsa_private_segment_fixed_size 0
		.amdhsa_kernarg_size 64
		.amdhsa_user_sgpr_count 6
		.amdhsa_user_sgpr_private_segment_buffer 1
		.amdhsa_user_sgpr_dispatch_ptr 0
		.amdhsa_user_sgpr_queue_ptr 0
		.amdhsa_user_sgpr_kernarg_segment_ptr 1
		.amdhsa_user_sgpr_dispatch_id 0
		.amdhsa_user_sgpr_flat_scratch_init 0
		.amdhsa_user_sgpr_private_segment_size 0
		.amdhsa_uses_dynamic_stack 0
		.amdhsa_system_sgpr_private_segment_wavefront_offset 0
		.amdhsa_system_sgpr_workgroup_id_x 1
		.amdhsa_system_sgpr_workgroup_id_y 0
		.amdhsa_system_sgpr_workgroup_id_z 0
		.amdhsa_system_sgpr_workgroup_info 0
		.amdhsa_system_vgpr_workitem_id 0
		.amdhsa_next_free_vgpr 1
		.amdhsa_next_free_sgpr 0
		.amdhsa_reserve_vcc 0
		.amdhsa_reserve_flat_scratch 0
		.amdhsa_float_round_mode_32 0
		.amdhsa_float_round_mode_16_64 0
		.amdhsa_float_denorm_mode_32 3
		.amdhsa_float_denorm_mode_16_64 3
		.amdhsa_dx10_clamp 1
		.amdhsa_ieee_mode 1
		.amdhsa_fp16_overflow 0
		.amdhsa_exception_fp_ieee_invalid_op 0
		.amdhsa_exception_fp_denorm_src 0
		.amdhsa_exception_fp_ieee_div_zero 0
		.amdhsa_exception_fp_ieee_overflow 0
		.amdhsa_exception_fp_ieee_underflow 0
		.amdhsa_exception_fp_ieee_inexact 0
		.amdhsa_exception_int_div_zero 0
	.end_amdhsa_kernel
	.section	.text._ZN7rocprim17ROCPRIM_400000_NS6detail17trampoline_kernelINS0_14default_configENS1_38merge_sort_block_merge_config_selectorIalEEZZNS1_27merge_sort_block_merge_implIS3_PaN6thrust23THRUST_200600_302600_NS10device_ptrIlEEjNS1_19radix_merge_compareILb0ELb1EaNS0_19identity_decomposerEEEEE10hipError_tT0_T1_T2_jT3_P12ihipStream_tbPNSt15iterator_traitsISG_E10value_typeEPNSM_ISH_E10value_typeEPSI_NS1_7vsmem_tEENKUlT_SG_SH_SI_E_clIS7_S7_PlSB_EESF_SV_SG_SH_SI_EUlSV_E0_NS1_11comp_targetILNS1_3genE10ELNS1_11target_archE1201ELNS1_3gpuE5ELNS1_3repE0EEENS1_38merge_mergepath_config_static_selectorELNS0_4arch9wavefront6targetE1EEEvSH_,"axG",@progbits,_ZN7rocprim17ROCPRIM_400000_NS6detail17trampoline_kernelINS0_14default_configENS1_38merge_sort_block_merge_config_selectorIalEEZZNS1_27merge_sort_block_merge_implIS3_PaN6thrust23THRUST_200600_302600_NS10device_ptrIlEEjNS1_19radix_merge_compareILb0ELb1EaNS0_19identity_decomposerEEEEE10hipError_tT0_T1_T2_jT3_P12ihipStream_tbPNSt15iterator_traitsISG_E10value_typeEPNSM_ISH_E10value_typeEPSI_NS1_7vsmem_tEENKUlT_SG_SH_SI_E_clIS7_S7_PlSB_EESF_SV_SG_SH_SI_EUlSV_E0_NS1_11comp_targetILNS1_3genE10ELNS1_11target_archE1201ELNS1_3gpuE5ELNS1_3repE0EEENS1_38merge_mergepath_config_static_selectorELNS0_4arch9wavefront6targetE1EEEvSH_,comdat
.Lfunc_end543:
	.size	_ZN7rocprim17ROCPRIM_400000_NS6detail17trampoline_kernelINS0_14default_configENS1_38merge_sort_block_merge_config_selectorIalEEZZNS1_27merge_sort_block_merge_implIS3_PaN6thrust23THRUST_200600_302600_NS10device_ptrIlEEjNS1_19radix_merge_compareILb0ELb1EaNS0_19identity_decomposerEEEEE10hipError_tT0_T1_T2_jT3_P12ihipStream_tbPNSt15iterator_traitsISG_E10value_typeEPNSM_ISH_E10value_typeEPSI_NS1_7vsmem_tEENKUlT_SG_SH_SI_E_clIS7_S7_PlSB_EESF_SV_SG_SH_SI_EUlSV_E0_NS1_11comp_targetILNS1_3genE10ELNS1_11target_archE1201ELNS1_3gpuE5ELNS1_3repE0EEENS1_38merge_mergepath_config_static_selectorELNS0_4arch9wavefront6targetE1EEEvSH_, .Lfunc_end543-_ZN7rocprim17ROCPRIM_400000_NS6detail17trampoline_kernelINS0_14default_configENS1_38merge_sort_block_merge_config_selectorIalEEZZNS1_27merge_sort_block_merge_implIS3_PaN6thrust23THRUST_200600_302600_NS10device_ptrIlEEjNS1_19radix_merge_compareILb0ELb1EaNS0_19identity_decomposerEEEEE10hipError_tT0_T1_T2_jT3_P12ihipStream_tbPNSt15iterator_traitsISG_E10value_typeEPNSM_ISH_E10value_typeEPSI_NS1_7vsmem_tEENKUlT_SG_SH_SI_E_clIS7_S7_PlSB_EESF_SV_SG_SH_SI_EUlSV_E0_NS1_11comp_targetILNS1_3genE10ELNS1_11target_archE1201ELNS1_3gpuE5ELNS1_3repE0EEENS1_38merge_mergepath_config_static_selectorELNS0_4arch9wavefront6targetE1EEEvSH_
                                        ; -- End function
	.set _ZN7rocprim17ROCPRIM_400000_NS6detail17trampoline_kernelINS0_14default_configENS1_38merge_sort_block_merge_config_selectorIalEEZZNS1_27merge_sort_block_merge_implIS3_PaN6thrust23THRUST_200600_302600_NS10device_ptrIlEEjNS1_19radix_merge_compareILb0ELb1EaNS0_19identity_decomposerEEEEE10hipError_tT0_T1_T2_jT3_P12ihipStream_tbPNSt15iterator_traitsISG_E10value_typeEPNSM_ISH_E10value_typeEPSI_NS1_7vsmem_tEENKUlT_SG_SH_SI_E_clIS7_S7_PlSB_EESF_SV_SG_SH_SI_EUlSV_E0_NS1_11comp_targetILNS1_3genE10ELNS1_11target_archE1201ELNS1_3gpuE5ELNS1_3repE0EEENS1_38merge_mergepath_config_static_selectorELNS0_4arch9wavefront6targetE1EEEvSH_.num_vgpr, 0
	.set _ZN7rocprim17ROCPRIM_400000_NS6detail17trampoline_kernelINS0_14default_configENS1_38merge_sort_block_merge_config_selectorIalEEZZNS1_27merge_sort_block_merge_implIS3_PaN6thrust23THRUST_200600_302600_NS10device_ptrIlEEjNS1_19radix_merge_compareILb0ELb1EaNS0_19identity_decomposerEEEEE10hipError_tT0_T1_T2_jT3_P12ihipStream_tbPNSt15iterator_traitsISG_E10value_typeEPNSM_ISH_E10value_typeEPSI_NS1_7vsmem_tEENKUlT_SG_SH_SI_E_clIS7_S7_PlSB_EESF_SV_SG_SH_SI_EUlSV_E0_NS1_11comp_targetILNS1_3genE10ELNS1_11target_archE1201ELNS1_3gpuE5ELNS1_3repE0EEENS1_38merge_mergepath_config_static_selectorELNS0_4arch9wavefront6targetE1EEEvSH_.num_agpr, 0
	.set _ZN7rocprim17ROCPRIM_400000_NS6detail17trampoline_kernelINS0_14default_configENS1_38merge_sort_block_merge_config_selectorIalEEZZNS1_27merge_sort_block_merge_implIS3_PaN6thrust23THRUST_200600_302600_NS10device_ptrIlEEjNS1_19radix_merge_compareILb0ELb1EaNS0_19identity_decomposerEEEEE10hipError_tT0_T1_T2_jT3_P12ihipStream_tbPNSt15iterator_traitsISG_E10value_typeEPNSM_ISH_E10value_typeEPSI_NS1_7vsmem_tEENKUlT_SG_SH_SI_E_clIS7_S7_PlSB_EESF_SV_SG_SH_SI_EUlSV_E0_NS1_11comp_targetILNS1_3genE10ELNS1_11target_archE1201ELNS1_3gpuE5ELNS1_3repE0EEENS1_38merge_mergepath_config_static_selectorELNS0_4arch9wavefront6targetE1EEEvSH_.numbered_sgpr, 0
	.set _ZN7rocprim17ROCPRIM_400000_NS6detail17trampoline_kernelINS0_14default_configENS1_38merge_sort_block_merge_config_selectorIalEEZZNS1_27merge_sort_block_merge_implIS3_PaN6thrust23THRUST_200600_302600_NS10device_ptrIlEEjNS1_19radix_merge_compareILb0ELb1EaNS0_19identity_decomposerEEEEE10hipError_tT0_T1_T2_jT3_P12ihipStream_tbPNSt15iterator_traitsISG_E10value_typeEPNSM_ISH_E10value_typeEPSI_NS1_7vsmem_tEENKUlT_SG_SH_SI_E_clIS7_S7_PlSB_EESF_SV_SG_SH_SI_EUlSV_E0_NS1_11comp_targetILNS1_3genE10ELNS1_11target_archE1201ELNS1_3gpuE5ELNS1_3repE0EEENS1_38merge_mergepath_config_static_selectorELNS0_4arch9wavefront6targetE1EEEvSH_.num_named_barrier, 0
	.set _ZN7rocprim17ROCPRIM_400000_NS6detail17trampoline_kernelINS0_14default_configENS1_38merge_sort_block_merge_config_selectorIalEEZZNS1_27merge_sort_block_merge_implIS3_PaN6thrust23THRUST_200600_302600_NS10device_ptrIlEEjNS1_19radix_merge_compareILb0ELb1EaNS0_19identity_decomposerEEEEE10hipError_tT0_T1_T2_jT3_P12ihipStream_tbPNSt15iterator_traitsISG_E10value_typeEPNSM_ISH_E10value_typeEPSI_NS1_7vsmem_tEENKUlT_SG_SH_SI_E_clIS7_S7_PlSB_EESF_SV_SG_SH_SI_EUlSV_E0_NS1_11comp_targetILNS1_3genE10ELNS1_11target_archE1201ELNS1_3gpuE5ELNS1_3repE0EEENS1_38merge_mergepath_config_static_selectorELNS0_4arch9wavefront6targetE1EEEvSH_.private_seg_size, 0
	.set _ZN7rocprim17ROCPRIM_400000_NS6detail17trampoline_kernelINS0_14default_configENS1_38merge_sort_block_merge_config_selectorIalEEZZNS1_27merge_sort_block_merge_implIS3_PaN6thrust23THRUST_200600_302600_NS10device_ptrIlEEjNS1_19radix_merge_compareILb0ELb1EaNS0_19identity_decomposerEEEEE10hipError_tT0_T1_T2_jT3_P12ihipStream_tbPNSt15iterator_traitsISG_E10value_typeEPNSM_ISH_E10value_typeEPSI_NS1_7vsmem_tEENKUlT_SG_SH_SI_E_clIS7_S7_PlSB_EESF_SV_SG_SH_SI_EUlSV_E0_NS1_11comp_targetILNS1_3genE10ELNS1_11target_archE1201ELNS1_3gpuE5ELNS1_3repE0EEENS1_38merge_mergepath_config_static_selectorELNS0_4arch9wavefront6targetE1EEEvSH_.uses_vcc, 0
	.set _ZN7rocprim17ROCPRIM_400000_NS6detail17trampoline_kernelINS0_14default_configENS1_38merge_sort_block_merge_config_selectorIalEEZZNS1_27merge_sort_block_merge_implIS3_PaN6thrust23THRUST_200600_302600_NS10device_ptrIlEEjNS1_19radix_merge_compareILb0ELb1EaNS0_19identity_decomposerEEEEE10hipError_tT0_T1_T2_jT3_P12ihipStream_tbPNSt15iterator_traitsISG_E10value_typeEPNSM_ISH_E10value_typeEPSI_NS1_7vsmem_tEENKUlT_SG_SH_SI_E_clIS7_S7_PlSB_EESF_SV_SG_SH_SI_EUlSV_E0_NS1_11comp_targetILNS1_3genE10ELNS1_11target_archE1201ELNS1_3gpuE5ELNS1_3repE0EEENS1_38merge_mergepath_config_static_selectorELNS0_4arch9wavefront6targetE1EEEvSH_.uses_flat_scratch, 0
	.set _ZN7rocprim17ROCPRIM_400000_NS6detail17trampoline_kernelINS0_14default_configENS1_38merge_sort_block_merge_config_selectorIalEEZZNS1_27merge_sort_block_merge_implIS3_PaN6thrust23THRUST_200600_302600_NS10device_ptrIlEEjNS1_19radix_merge_compareILb0ELb1EaNS0_19identity_decomposerEEEEE10hipError_tT0_T1_T2_jT3_P12ihipStream_tbPNSt15iterator_traitsISG_E10value_typeEPNSM_ISH_E10value_typeEPSI_NS1_7vsmem_tEENKUlT_SG_SH_SI_E_clIS7_S7_PlSB_EESF_SV_SG_SH_SI_EUlSV_E0_NS1_11comp_targetILNS1_3genE10ELNS1_11target_archE1201ELNS1_3gpuE5ELNS1_3repE0EEENS1_38merge_mergepath_config_static_selectorELNS0_4arch9wavefront6targetE1EEEvSH_.has_dyn_sized_stack, 0
	.set _ZN7rocprim17ROCPRIM_400000_NS6detail17trampoline_kernelINS0_14default_configENS1_38merge_sort_block_merge_config_selectorIalEEZZNS1_27merge_sort_block_merge_implIS3_PaN6thrust23THRUST_200600_302600_NS10device_ptrIlEEjNS1_19radix_merge_compareILb0ELb1EaNS0_19identity_decomposerEEEEE10hipError_tT0_T1_T2_jT3_P12ihipStream_tbPNSt15iterator_traitsISG_E10value_typeEPNSM_ISH_E10value_typeEPSI_NS1_7vsmem_tEENKUlT_SG_SH_SI_E_clIS7_S7_PlSB_EESF_SV_SG_SH_SI_EUlSV_E0_NS1_11comp_targetILNS1_3genE10ELNS1_11target_archE1201ELNS1_3gpuE5ELNS1_3repE0EEENS1_38merge_mergepath_config_static_selectorELNS0_4arch9wavefront6targetE1EEEvSH_.has_recursion, 0
	.set _ZN7rocprim17ROCPRIM_400000_NS6detail17trampoline_kernelINS0_14default_configENS1_38merge_sort_block_merge_config_selectorIalEEZZNS1_27merge_sort_block_merge_implIS3_PaN6thrust23THRUST_200600_302600_NS10device_ptrIlEEjNS1_19radix_merge_compareILb0ELb1EaNS0_19identity_decomposerEEEEE10hipError_tT0_T1_T2_jT3_P12ihipStream_tbPNSt15iterator_traitsISG_E10value_typeEPNSM_ISH_E10value_typeEPSI_NS1_7vsmem_tEENKUlT_SG_SH_SI_E_clIS7_S7_PlSB_EESF_SV_SG_SH_SI_EUlSV_E0_NS1_11comp_targetILNS1_3genE10ELNS1_11target_archE1201ELNS1_3gpuE5ELNS1_3repE0EEENS1_38merge_mergepath_config_static_selectorELNS0_4arch9wavefront6targetE1EEEvSH_.has_indirect_call, 0
	.section	.AMDGPU.csdata,"",@progbits
; Kernel info:
; codeLenInByte = 0
; TotalNumSgprs: 4
; NumVgprs: 0
; ScratchSize: 0
; MemoryBound: 0
; FloatMode: 240
; IeeeMode: 1
; LDSByteSize: 0 bytes/workgroup (compile time only)
; SGPRBlocks: 0
; VGPRBlocks: 0
; NumSGPRsForWavesPerEU: 4
; NumVGPRsForWavesPerEU: 1
; Occupancy: 10
; WaveLimiterHint : 0
; COMPUTE_PGM_RSRC2:SCRATCH_EN: 0
; COMPUTE_PGM_RSRC2:USER_SGPR: 6
; COMPUTE_PGM_RSRC2:TRAP_HANDLER: 0
; COMPUTE_PGM_RSRC2:TGID_X_EN: 1
; COMPUTE_PGM_RSRC2:TGID_Y_EN: 0
; COMPUTE_PGM_RSRC2:TGID_Z_EN: 0
; COMPUTE_PGM_RSRC2:TIDIG_COMP_CNT: 0
	.section	.text._ZN7rocprim17ROCPRIM_400000_NS6detail17trampoline_kernelINS0_14default_configENS1_38merge_sort_block_merge_config_selectorIalEEZZNS1_27merge_sort_block_merge_implIS3_PaN6thrust23THRUST_200600_302600_NS10device_ptrIlEEjNS1_19radix_merge_compareILb0ELb1EaNS0_19identity_decomposerEEEEE10hipError_tT0_T1_T2_jT3_P12ihipStream_tbPNSt15iterator_traitsISG_E10value_typeEPNSM_ISH_E10value_typeEPSI_NS1_7vsmem_tEENKUlT_SG_SH_SI_E_clIS7_S7_PlSB_EESF_SV_SG_SH_SI_EUlSV_E0_NS1_11comp_targetILNS1_3genE5ELNS1_11target_archE942ELNS1_3gpuE9ELNS1_3repE0EEENS1_38merge_mergepath_config_static_selectorELNS0_4arch9wavefront6targetE1EEEvSH_,"axG",@progbits,_ZN7rocprim17ROCPRIM_400000_NS6detail17trampoline_kernelINS0_14default_configENS1_38merge_sort_block_merge_config_selectorIalEEZZNS1_27merge_sort_block_merge_implIS3_PaN6thrust23THRUST_200600_302600_NS10device_ptrIlEEjNS1_19radix_merge_compareILb0ELb1EaNS0_19identity_decomposerEEEEE10hipError_tT0_T1_T2_jT3_P12ihipStream_tbPNSt15iterator_traitsISG_E10value_typeEPNSM_ISH_E10value_typeEPSI_NS1_7vsmem_tEENKUlT_SG_SH_SI_E_clIS7_S7_PlSB_EESF_SV_SG_SH_SI_EUlSV_E0_NS1_11comp_targetILNS1_3genE5ELNS1_11target_archE942ELNS1_3gpuE9ELNS1_3repE0EEENS1_38merge_mergepath_config_static_selectorELNS0_4arch9wavefront6targetE1EEEvSH_,comdat
	.protected	_ZN7rocprim17ROCPRIM_400000_NS6detail17trampoline_kernelINS0_14default_configENS1_38merge_sort_block_merge_config_selectorIalEEZZNS1_27merge_sort_block_merge_implIS3_PaN6thrust23THRUST_200600_302600_NS10device_ptrIlEEjNS1_19radix_merge_compareILb0ELb1EaNS0_19identity_decomposerEEEEE10hipError_tT0_T1_T2_jT3_P12ihipStream_tbPNSt15iterator_traitsISG_E10value_typeEPNSM_ISH_E10value_typeEPSI_NS1_7vsmem_tEENKUlT_SG_SH_SI_E_clIS7_S7_PlSB_EESF_SV_SG_SH_SI_EUlSV_E0_NS1_11comp_targetILNS1_3genE5ELNS1_11target_archE942ELNS1_3gpuE9ELNS1_3repE0EEENS1_38merge_mergepath_config_static_selectorELNS0_4arch9wavefront6targetE1EEEvSH_ ; -- Begin function _ZN7rocprim17ROCPRIM_400000_NS6detail17trampoline_kernelINS0_14default_configENS1_38merge_sort_block_merge_config_selectorIalEEZZNS1_27merge_sort_block_merge_implIS3_PaN6thrust23THRUST_200600_302600_NS10device_ptrIlEEjNS1_19radix_merge_compareILb0ELb1EaNS0_19identity_decomposerEEEEE10hipError_tT0_T1_T2_jT3_P12ihipStream_tbPNSt15iterator_traitsISG_E10value_typeEPNSM_ISH_E10value_typeEPSI_NS1_7vsmem_tEENKUlT_SG_SH_SI_E_clIS7_S7_PlSB_EESF_SV_SG_SH_SI_EUlSV_E0_NS1_11comp_targetILNS1_3genE5ELNS1_11target_archE942ELNS1_3gpuE9ELNS1_3repE0EEENS1_38merge_mergepath_config_static_selectorELNS0_4arch9wavefront6targetE1EEEvSH_
	.globl	_ZN7rocprim17ROCPRIM_400000_NS6detail17trampoline_kernelINS0_14default_configENS1_38merge_sort_block_merge_config_selectorIalEEZZNS1_27merge_sort_block_merge_implIS3_PaN6thrust23THRUST_200600_302600_NS10device_ptrIlEEjNS1_19radix_merge_compareILb0ELb1EaNS0_19identity_decomposerEEEEE10hipError_tT0_T1_T2_jT3_P12ihipStream_tbPNSt15iterator_traitsISG_E10value_typeEPNSM_ISH_E10value_typeEPSI_NS1_7vsmem_tEENKUlT_SG_SH_SI_E_clIS7_S7_PlSB_EESF_SV_SG_SH_SI_EUlSV_E0_NS1_11comp_targetILNS1_3genE5ELNS1_11target_archE942ELNS1_3gpuE9ELNS1_3repE0EEENS1_38merge_mergepath_config_static_selectorELNS0_4arch9wavefront6targetE1EEEvSH_
	.p2align	8
	.type	_ZN7rocprim17ROCPRIM_400000_NS6detail17trampoline_kernelINS0_14default_configENS1_38merge_sort_block_merge_config_selectorIalEEZZNS1_27merge_sort_block_merge_implIS3_PaN6thrust23THRUST_200600_302600_NS10device_ptrIlEEjNS1_19radix_merge_compareILb0ELb1EaNS0_19identity_decomposerEEEEE10hipError_tT0_T1_T2_jT3_P12ihipStream_tbPNSt15iterator_traitsISG_E10value_typeEPNSM_ISH_E10value_typeEPSI_NS1_7vsmem_tEENKUlT_SG_SH_SI_E_clIS7_S7_PlSB_EESF_SV_SG_SH_SI_EUlSV_E0_NS1_11comp_targetILNS1_3genE5ELNS1_11target_archE942ELNS1_3gpuE9ELNS1_3repE0EEENS1_38merge_mergepath_config_static_selectorELNS0_4arch9wavefront6targetE1EEEvSH_,@function
_ZN7rocprim17ROCPRIM_400000_NS6detail17trampoline_kernelINS0_14default_configENS1_38merge_sort_block_merge_config_selectorIalEEZZNS1_27merge_sort_block_merge_implIS3_PaN6thrust23THRUST_200600_302600_NS10device_ptrIlEEjNS1_19radix_merge_compareILb0ELb1EaNS0_19identity_decomposerEEEEE10hipError_tT0_T1_T2_jT3_P12ihipStream_tbPNSt15iterator_traitsISG_E10value_typeEPNSM_ISH_E10value_typeEPSI_NS1_7vsmem_tEENKUlT_SG_SH_SI_E_clIS7_S7_PlSB_EESF_SV_SG_SH_SI_EUlSV_E0_NS1_11comp_targetILNS1_3genE5ELNS1_11target_archE942ELNS1_3gpuE9ELNS1_3repE0EEENS1_38merge_mergepath_config_static_selectorELNS0_4arch9wavefront6targetE1EEEvSH_: ; @_ZN7rocprim17ROCPRIM_400000_NS6detail17trampoline_kernelINS0_14default_configENS1_38merge_sort_block_merge_config_selectorIalEEZZNS1_27merge_sort_block_merge_implIS3_PaN6thrust23THRUST_200600_302600_NS10device_ptrIlEEjNS1_19radix_merge_compareILb0ELb1EaNS0_19identity_decomposerEEEEE10hipError_tT0_T1_T2_jT3_P12ihipStream_tbPNSt15iterator_traitsISG_E10value_typeEPNSM_ISH_E10value_typeEPSI_NS1_7vsmem_tEENKUlT_SG_SH_SI_E_clIS7_S7_PlSB_EESF_SV_SG_SH_SI_EUlSV_E0_NS1_11comp_targetILNS1_3genE5ELNS1_11target_archE942ELNS1_3gpuE9ELNS1_3repE0EEENS1_38merge_mergepath_config_static_selectorELNS0_4arch9wavefront6targetE1EEEvSH_
; %bb.0:
	.section	.rodata,"a",@progbits
	.p2align	6, 0x0
	.amdhsa_kernel _ZN7rocprim17ROCPRIM_400000_NS6detail17trampoline_kernelINS0_14default_configENS1_38merge_sort_block_merge_config_selectorIalEEZZNS1_27merge_sort_block_merge_implIS3_PaN6thrust23THRUST_200600_302600_NS10device_ptrIlEEjNS1_19radix_merge_compareILb0ELb1EaNS0_19identity_decomposerEEEEE10hipError_tT0_T1_T2_jT3_P12ihipStream_tbPNSt15iterator_traitsISG_E10value_typeEPNSM_ISH_E10value_typeEPSI_NS1_7vsmem_tEENKUlT_SG_SH_SI_E_clIS7_S7_PlSB_EESF_SV_SG_SH_SI_EUlSV_E0_NS1_11comp_targetILNS1_3genE5ELNS1_11target_archE942ELNS1_3gpuE9ELNS1_3repE0EEENS1_38merge_mergepath_config_static_selectorELNS0_4arch9wavefront6targetE1EEEvSH_
		.amdhsa_group_segment_fixed_size 0
		.amdhsa_private_segment_fixed_size 0
		.amdhsa_kernarg_size 64
		.amdhsa_user_sgpr_count 6
		.amdhsa_user_sgpr_private_segment_buffer 1
		.amdhsa_user_sgpr_dispatch_ptr 0
		.amdhsa_user_sgpr_queue_ptr 0
		.amdhsa_user_sgpr_kernarg_segment_ptr 1
		.amdhsa_user_sgpr_dispatch_id 0
		.amdhsa_user_sgpr_flat_scratch_init 0
		.amdhsa_user_sgpr_private_segment_size 0
		.amdhsa_uses_dynamic_stack 0
		.amdhsa_system_sgpr_private_segment_wavefront_offset 0
		.amdhsa_system_sgpr_workgroup_id_x 1
		.amdhsa_system_sgpr_workgroup_id_y 0
		.amdhsa_system_sgpr_workgroup_id_z 0
		.amdhsa_system_sgpr_workgroup_info 0
		.amdhsa_system_vgpr_workitem_id 0
		.amdhsa_next_free_vgpr 1
		.amdhsa_next_free_sgpr 0
		.amdhsa_reserve_vcc 0
		.amdhsa_reserve_flat_scratch 0
		.amdhsa_float_round_mode_32 0
		.amdhsa_float_round_mode_16_64 0
		.amdhsa_float_denorm_mode_32 3
		.amdhsa_float_denorm_mode_16_64 3
		.amdhsa_dx10_clamp 1
		.amdhsa_ieee_mode 1
		.amdhsa_fp16_overflow 0
		.amdhsa_exception_fp_ieee_invalid_op 0
		.amdhsa_exception_fp_denorm_src 0
		.amdhsa_exception_fp_ieee_div_zero 0
		.amdhsa_exception_fp_ieee_overflow 0
		.amdhsa_exception_fp_ieee_underflow 0
		.amdhsa_exception_fp_ieee_inexact 0
		.amdhsa_exception_int_div_zero 0
	.end_amdhsa_kernel
	.section	.text._ZN7rocprim17ROCPRIM_400000_NS6detail17trampoline_kernelINS0_14default_configENS1_38merge_sort_block_merge_config_selectorIalEEZZNS1_27merge_sort_block_merge_implIS3_PaN6thrust23THRUST_200600_302600_NS10device_ptrIlEEjNS1_19radix_merge_compareILb0ELb1EaNS0_19identity_decomposerEEEEE10hipError_tT0_T1_T2_jT3_P12ihipStream_tbPNSt15iterator_traitsISG_E10value_typeEPNSM_ISH_E10value_typeEPSI_NS1_7vsmem_tEENKUlT_SG_SH_SI_E_clIS7_S7_PlSB_EESF_SV_SG_SH_SI_EUlSV_E0_NS1_11comp_targetILNS1_3genE5ELNS1_11target_archE942ELNS1_3gpuE9ELNS1_3repE0EEENS1_38merge_mergepath_config_static_selectorELNS0_4arch9wavefront6targetE1EEEvSH_,"axG",@progbits,_ZN7rocprim17ROCPRIM_400000_NS6detail17trampoline_kernelINS0_14default_configENS1_38merge_sort_block_merge_config_selectorIalEEZZNS1_27merge_sort_block_merge_implIS3_PaN6thrust23THRUST_200600_302600_NS10device_ptrIlEEjNS1_19radix_merge_compareILb0ELb1EaNS0_19identity_decomposerEEEEE10hipError_tT0_T1_T2_jT3_P12ihipStream_tbPNSt15iterator_traitsISG_E10value_typeEPNSM_ISH_E10value_typeEPSI_NS1_7vsmem_tEENKUlT_SG_SH_SI_E_clIS7_S7_PlSB_EESF_SV_SG_SH_SI_EUlSV_E0_NS1_11comp_targetILNS1_3genE5ELNS1_11target_archE942ELNS1_3gpuE9ELNS1_3repE0EEENS1_38merge_mergepath_config_static_selectorELNS0_4arch9wavefront6targetE1EEEvSH_,comdat
.Lfunc_end544:
	.size	_ZN7rocprim17ROCPRIM_400000_NS6detail17trampoline_kernelINS0_14default_configENS1_38merge_sort_block_merge_config_selectorIalEEZZNS1_27merge_sort_block_merge_implIS3_PaN6thrust23THRUST_200600_302600_NS10device_ptrIlEEjNS1_19radix_merge_compareILb0ELb1EaNS0_19identity_decomposerEEEEE10hipError_tT0_T1_T2_jT3_P12ihipStream_tbPNSt15iterator_traitsISG_E10value_typeEPNSM_ISH_E10value_typeEPSI_NS1_7vsmem_tEENKUlT_SG_SH_SI_E_clIS7_S7_PlSB_EESF_SV_SG_SH_SI_EUlSV_E0_NS1_11comp_targetILNS1_3genE5ELNS1_11target_archE942ELNS1_3gpuE9ELNS1_3repE0EEENS1_38merge_mergepath_config_static_selectorELNS0_4arch9wavefront6targetE1EEEvSH_, .Lfunc_end544-_ZN7rocprim17ROCPRIM_400000_NS6detail17trampoline_kernelINS0_14default_configENS1_38merge_sort_block_merge_config_selectorIalEEZZNS1_27merge_sort_block_merge_implIS3_PaN6thrust23THRUST_200600_302600_NS10device_ptrIlEEjNS1_19radix_merge_compareILb0ELb1EaNS0_19identity_decomposerEEEEE10hipError_tT0_T1_T2_jT3_P12ihipStream_tbPNSt15iterator_traitsISG_E10value_typeEPNSM_ISH_E10value_typeEPSI_NS1_7vsmem_tEENKUlT_SG_SH_SI_E_clIS7_S7_PlSB_EESF_SV_SG_SH_SI_EUlSV_E0_NS1_11comp_targetILNS1_3genE5ELNS1_11target_archE942ELNS1_3gpuE9ELNS1_3repE0EEENS1_38merge_mergepath_config_static_selectorELNS0_4arch9wavefront6targetE1EEEvSH_
                                        ; -- End function
	.set _ZN7rocprim17ROCPRIM_400000_NS6detail17trampoline_kernelINS0_14default_configENS1_38merge_sort_block_merge_config_selectorIalEEZZNS1_27merge_sort_block_merge_implIS3_PaN6thrust23THRUST_200600_302600_NS10device_ptrIlEEjNS1_19radix_merge_compareILb0ELb1EaNS0_19identity_decomposerEEEEE10hipError_tT0_T1_T2_jT3_P12ihipStream_tbPNSt15iterator_traitsISG_E10value_typeEPNSM_ISH_E10value_typeEPSI_NS1_7vsmem_tEENKUlT_SG_SH_SI_E_clIS7_S7_PlSB_EESF_SV_SG_SH_SI_EUlSV_E0_NS1_11comp_targetILNS1_3genE5ELNS1_11target_archE942ELNS1_3gpuE9ELNS1_3repE0EEENS1_38merge_mergepath_config_static_selectorELNS0_4arch9wavefront6targetE1EEEvSH_.num_vgpr, 0
	.set _ZN7rocprim17ROCPRIM_400000_NS6detail17trampoline_kernelINS0_14default_configENS1_38merge_sort_block_merge_config_selectorIalEEZZNS1_27merge_sort_block_merge_implIS3_PaN6thrust23THRUST_200600_302600_NS10device_ptrIlEEjNS1_19radix_merge_compareILb0ELb1EaNS0_19identity_decomposerEEEEE10hipError_tT0_T1_T2_jT3_P12ihipStream_tbPNSt15iterator_traitsISG_E10value_typeEPNSM_ISH_E10value_typeEPSI_NS1_7vsmem_tEENKUlT_SG_SH_SI_E_clIS7_S7_PlSB_EESF_SV_SG_SH_SI_EUlSV_E0_NS1_11comp_targetILNS1_3genE5ELNS1_11target_archE942ELNS1_3gpuE9ELNS1_3repE0EEENS1_38merge_mergepath_config_static_selectorELNS0_4arch9wavefront6targetE1EEEvSH_.num_agpr, 0
	.set _ZN7rocprim17ROCPRIM_400000_NS6detail17trampoline_kernelINS0_14default_configENS1_38merge_sort_block_merge_config_selectorIalEEZZNS1_27merge_sort_block_merge_implIS3_PaN6thrust23THRUST_200600_302600_NS10device_ptrIlEEjNS1_19radix_merge_compareILb0ELb1EaNS0_19identity_decomposerEEEEE10hipError_tT0_T1_T2_jT3_P12ihipStream_tbPNSt15iterator_traitsISG_E10value_typeEPNSM_ISH_E10value_typeEPSI_NS1_7vsmem_tEENKUlT_SG_SH_SI_E_clIS7_S7_PlSB_EESF_SV_SG_SH_SI_EUlSV_E0_NS1_11comp_targetILNS1_3genE5ELNS1_11target_archE942ELNS1_3gpuE9ELNS1_3repE0EEENS1_38merge_mergepath_config_static_selectorELNS0_4arch9wavefront6targetE1EEEvSH_.numbered_sgpr, 0
	.set _ZN7rocprim17ROCPRIM_400000_NS6detail17trampoline_kernelINS0_14default_configENS1_38merge_sort_block_merge_config_selectorIalEEZZNS1_27merge_sort_block_merge_implIS3_PaN6thrust23THRUST_200600_302600_NS10device_ptrIlEEjNS1_19radix_merge_compareILb0ELb1EaNS0_19identity_decomposerEEEEE10hipError_tT0_T1_T2_jT3_P12ihipStream_tbPNSt15iterator_traitsISG_E10value_typeEPNSM_ISH_E10value_typeEPSI_NS1_7vsmem_tEENKUlT_SG_SH_SI_E_clIS7_S7_PlSB_EESF_SV_SG_SH_SI_EUlSV_E0_NS1_11comp_targetILNS1_3genE5ELNS1_11target_archE942ELNS1_3gpuE9ELNS1_3repE0EEENS1_38merge_mergepath_config_static_selectorELNS0_4arch9wavefront6targetE1EEEvSH_.num_named_barrier, 0
	.set _ZN7rocprim17ROCPRIM_400000_NS6detail17trampoline_kernelINS0_14default_configENS1_38merge_sort_block_merge_config_selectorIalEEZZNS1_27merge_sort_block_merge_implIS3_PaN6thrust23THRUST_200600_302600_NS10device_ptrIlEEjNS1_19radix_merge_compareILb0ELb1EaNS0_19identity_decomposerEEEEE10hipError_tT0_T1_T2_jT3_P12ihipStream_tbPNSt15iterator_traitsISG_E10value_typeEPNSM_ISH_E10value_typeEPSI_NS1_7vsmem_tEENKUlT_SG_SH_SI_E_clIS7_S7_PlSB_EESF_SV_SG_SH_SI_EUlSV_E0_NS1_11comp_targetILNS1_3genE5ELNS1_11target_archE942ELNS1_3gpuE9ELNS1_3repE0EEENS1_38merge_mergepath_config_static_selectorELNS0_4arch9wavefront6targetE1EEEvSH_.private_seg_size, 0
	.set _ZN7rocprim17ROCPRIM_400000_NS6detail17trampoline_kernelINS0_14default_configENS1_38merge_sort_block_merge_config_selectorIalEEZZNS1_27merge_sort_block_merge_implIS3_PaN6thrust23THRUST_200600_302600_NS10device_ptrIlEEjNS1_19radix_merge_compareILb0ELb1EaNS0_19identity_decomposerEEEEE10hipError_tT0_T1_T2_jT3_P12ihipStream_tbPNSt15iterator_traitsISG_E10value_typeEPNSM_ISH_E10value_typeEPSI_NS1_7vsmem_tEENKUlT_SG_SH_SI_E_clIS7_S7_PlSB_EESF_SV_SG_SH_SI_EUlSV_E0_NS1_11comp_targetILNS1_3genE5ELNS1_11target_archE942ELNS1_3gpuE9ELNS1_3repE0EEENS1_38merge_mergepath_config_static_selectorELNS0_4arch9wavefront6targetE1EEEvSH_.uses_vcc, 0
	.set _ZN7rocprim17ROCPRIM_400000_NS6detail17trampoline_kernelINS0_14default_configENS1_38merge_sort_block_merge_config_selectorIalEEZZNS1_27merge_sort_block_merge_implIS3_PaN6thrust23THRUST_200600_302600_NS10device_ptrIlEEjNS1_19radix_merge_compareILb0ELb1EaNS0_19identity_decomposerEEEEE10hipError_tT0_T1_T2_jT3_P12ihipStream_tbPNSt15iterator_traitsISG_E10value_typeEPNSM_ISH_E10value_typeEPSI_NS1_7vsmem_tEENKUlT_SG_SH_SI_E_clIS7_S7_PlSB_EESF_SV_SG_SH_SI_EUlSV_E0_NS1_11comp_targetILNS1_3genE5ELNS1_11target_archE942ELNS1_3gpuE9ELNS1_3repE0EEENS1_38merge_mergepath_config_static_selectorELNS0_4arch9wavefront6targetE1EEEvSH_.uses_flat_scratch, 0
	.set _ZN7rocprim17ROCPRIM_400000_NS6detail17trampoline_kernelINS0_14default_configENS1_38merge_sort_block_merge_config_selectorIalEEZZNS1_27merge_sort_block_merge_implIS3_PaN6thrust23THRUST_200600_302600_NS10device_ptrIlEEjNS1_19radix_merge_compareILb0ELb1EaNS0_19identity_decomposerEEEEE10hipError_tT0_T1_T2_jT3_P12ihipStream_tbPNSt15iterator_traitsISG_E10value_typeEPNSM_ISH_E10value_typeEPSI_NS1_7vsmem_tEENKUlT_SG_SH_SI_E_clIS7_S7_PlSB_EESF_SV_SG_SH_SI_EUlSV_E0_NS1_11comp_targetILNS1_3genE5ELNS1_11target_archE942ELNS1_3gpuE9ELNS1_3repE0EEENS1_38merge_mergepath_config_static_selectorELNS0_4arch9wavefront6targetE1EEEvSH_.has_dyn_sized_stack, 0
	.set _ZN7rocprim17ROCPRIM_400000_NS6detail17trampoline_kernelINS0_14default_configENS1_38merge_sort_block_merge_config_selectorIalEEZZNS1_27merge_sort_block_merge_implIS3_PaN6thrust23THRUST_200600_302600_NS10device_ptrIlEEjNS1_19radix_merge_compareILb0ELb1EaNS0_19identity_decomposerEEEEE10hipError_tT0_T1_T2_jT3_P12ihipStream_tbPNSt15iterator_traitsISG_E10value_typeEPNSM_ISH_E10value_typeEPSI_NS1_7vsmem_tEENKUlT_SG_SH_SI_E_clIS7_S7_PlSB_EESF_SV_SG_SH_SI_EUlSV_E0_NS1_11comp_targetILNS1_3genE5ELNS1_11target_archE942ELNS1_3gpuE9ELNS1_3repE0EEENS1_38merge_mergepath_config_static_selectorELNS0_4arch9wavefront6targetE1EEEvSH_.has_recursion, 0
	.set _ZN7rocprim17ROCPRIM_400000_NS6detail17trampoline_kernelINS0_14default_configENS1_38merge_sort_block_merge_config_selectorIalEEZZNS1_27merge_sort_block_merge_implIS3_PaN6thrust23THRUST_200600_302600_NS10device_ptrIlEEjNS1_19radix_merge_compareILb0ELb1EaNS0_19identity_decomposerEEEEE10hipError_tT0_T1_T2_jT3_P12ihipStream_tbPNSt15iterator_traitsISG_E10value_typeEPNSM_ISH_E10value_typeEPSI_NS1_7vsmem_tEENKUlT_SG_SH_SI_E_clIS7_S7_PlSB_EESF_SV_SG_SH_SI_EUlSV_E0_NS1_11comp_targetILNS1_3genE5ELNS1_11target_archE942ELNS1_3gpuE9ELNS1_3repE0EEENS1_38merge_mergepath_config_static_selectorELNS0_4arch9wavefront6targetE1EEEvSH_.has_indirect_call, 0
	.section	.AMDGPU.csdata,"",@progbits
; Kernel info:
; codeLenInByte = 0
; TotalNumSgprs: 4
; NumVgprs: 0
; ScratchSize: 0
; MemoryBound: 0
; FloatMode: 240
; IeeeMode: 1
; LDSByteSize: 0 bytes/workgroup (compile time only)
; SGPRBlocks: 0
; VGPRBlocks: 0
; NumSGPRsForWavesPerEU: 4
; NumVGPRsForWavesPerEU: 1
; Occupancy: 10
; WaveLimiterHint : 0
; COMPUTE_PGM_RSRC2:SCRATCH_EN: 0
; COMPUTE_PGM_RSRC2:USER_SGPR: 6
; COMPUTE_PGM_RSRC2:TRAP_HANDLER: 0
; COMPUTE_PGM_RSRC2:TGID_X_EN: 1
; COMPUTE_PGM_RSRC2:TGID_Y_EN: 0
; COMPUTE_PGM_RSRC2:TGID_Z_EN: 0
; COMPUTE_PGM_RSRC2:TIDIG_COMP_CNT: 0
	.section	.text._ZN7rocprim17ROCPRIM_400000_NS6detail17trampoline_kernelINS0_14default_configENS1_38merge_sort_block_merge_config_selectorIalEEZZNS1_27merge_sort_block_merge_implIS3_PaN6thrust23THRUST_200600_302600_NS10device_ptrIlEEjNS1_19radix_merge_compareILb0ELb1EaNS0_19identity_decomposerEEEEE10hipError_tT0_T1_T2_jT3_P12ihipStream_tbPNSt15iterator_traitsISG_E10value_typeEPNSM_ISH_E10value_typeEPSI_NS1_7vsmem_tEENKUlT_SG_SH_SI_E_clIS7_S7_PlSB_EESF_SV_SG_SH_SI_EUlSV_E0_NS1_11comp_targetILNS1_3genE4ELNS1_11target_archE910ELNS1_3gpuE8ELNS1_3repE0EEENS1_38merge_mergepath_config_static_selectorELNS0_4arch9wavefront6targetE1EEEvSH_,"axG",@progbits,_ZN7rocprim17ROCPRIM_400000_NS6detail17trampoline_kernelINS0_14default_configENS1_38merge_sort_block_merge_config_selectorIalEEZZNS1_27merge_sort_block_merge_implIS3_PaN6thrust23THRUST_200600_302600_NS10device_ptrIlEEjNS1_19radix_merge_compareILb0ELb1EaNS0_19identity_decomposerEEEEE10hipError_tT0_T1_T2_jT3_P12ihipStream_tbPNSt15iterator_traitsISG_E10value_typeEPNSM_ISH_E10value_typeEPSI_NS1_7vsmem_tEENKUlT_SG_SH_SI_E_clIS7_S7_PlSB_EESF_SV_SG_SH_SI_EUlSV_E0_NS1_11comp_targetILNS1_3genE4ELNS1_11target_archE910ELNS1_3gpuE8ELNS1_3repE0EEENS1_38merge_mergepath_config_static_selectorELNS0_4arch9wavefront6targetE1EEEvSH_,comdat
	.protected	_ZN7rocprim17ROCPRIM_400000_NS6detail17trampoline_kernelINS0_14default_configENS1_38merge_sort_block_merge_config_selectorIalEEZZNS1_27merge_sort_block_merge_implIS3_PaN6thrust23THRUST_200600_302600_NS10device_ptrIlEEjNS1_19radix_merge_compareILb0ELb1EaNS0_19identity_decomposerEEEEE10hipError_tT0_T1_T2_jT3_P12ihipStream_tbPNSt15iterator_traitsISG_E10value_typeEPNSM_ISH_E10value_typeEPSI_NS1_7vsmem_tEENKUlT_SG_SH_SI_E_clIS7_S7_PlSB_EESF_SV_SG_SH_SI_EUlSV_E0_NS1_11comp_targetILNS1_3genE4ELNS1_11target_archE910ELNS1_3gpuE8ELNS1_3repE0EEENS1_38merge_mergepath_config_static_selectorELNS0_4arch9wavefront6targetE1EEEvSH_ ; -- Begin function _ZN7rocprim17ROCPRIM_400000_NS6detail17trampoline_kernelINS0_14default_configENS1_38merge_sort_block_merge_config_selectorIalEEZZNS1_27merge_sort_block_merge_implIS3_PaN6thrust23THRUST_200600_302600_NS10device_ptrIlEEjNS1_19radix_merge_compareILb0ELb1EaNS0_19identity_decomposerEEEEE10hipError_tT0_T1_T2_jT3_P12ihipStream_tbPNSt15iterator_traitsISG_E10value_typeEPNSM_ISH_E10value_typeEPSI_NS1_7vsmem_tEENKUlT_SG_SH_SI_E_clIS7_S7_PlSB_EESF_SV_SG_SH_SI_EUlSV_E0_NS1_11comp_targetILNS1_3genE4ELNS1_11target_archE910ELNS1_3gpuE8ELNS1_3repE0EEENS1_38merge_mergepath_config_static_selectorELNS0_4arch9wavefront6targetE1EEEvSH_
	.globl	_ZN7rocprim17ROCPRIM_400000_NS6detail17trampoline_kernelINS0_14default_configENS1_38merge_sort_block_merge_config_selectorIalEEZZNS1_27merge_sort_block_merge_implIS3_PaN6thrust23THRUST_200600_302600_NS10device_ptrIlEEjNS1_19radix_merge_compareILb0ELb1EaNS0_19identity_decomposerEEEEE10hipError_tT0_T1_T2_jT3_P12ihipStream_tbPNSt15iterator_traitsISG_E10value_typeEPNSM_ISH_E10value_typeEPSI_NS1_7vsmem_tEENKUlT_SG_SH_SI_E_clIS7_S7_PlSB_EESF_SV_SG_SH_SI_EUlSV_E0_NS1_11comp_targetILNS1_3genE4ELNS1_11target_archE910ELNS1_3gpuE8ELNS1_3repE0EEENS1_38merge_mergepath_config_static_selectorELNS0_4arch9wavefront6targetE1EEEvSH_
	.p2align	8
	.type	_ZN7rocprim17ROCPRIM_400000_NS6detail17trampoline_kernelINS0_14default_configENS1_38merge_sort_block_merge_config_selectorIalEEZZNS1_27merge_sort_block_merge_implIS3_PaN6thrust23THRUST_200600_302600_NS10device_ptrIlEEjNS1_19radix_merge_compareILb0ELb1EaNS0_19identity_decomposerEEEEE10hipError_tT0_T1_T2_jT3_P12ihipStream_tbPNSt15iterator_traitsISG_E10value_typeEPNSM_ISH_E10value_typeEPSI_NS1_7vsmem_tEENKUlT_SG_SH_SI_E_clIS7_S7_PlSB_EESF_SV_SG_SH_SI_EUlSV_E0_NS1_11comp_targetILNS1_3genE4ELNS1_11target_archE910ELNS1_3gpuE8ELNS1_3repE0EEENS1_38merge_mergepath_config_static_selectorELNS0_4arch9wavefront6targetE1EEEvSH_,@function
_ZN7rocprim17ROCPRIM_400000_NS6detail17trampoline_kernelINS0_14default_configENS1_38merge_sort_block_merge_config_selectorIalEEZZNS1_27merge_sort_block_merge_implIS3_PaN6thrust23THRUST_200600_302600_NS10device_ptrIlEEjNS1_19radix_merge_compareILb0ELb1EaNS0_19identity_decomposerEEEEE10hipError_tT0_T1_T2_jT3_P12ihipStream_tbPNSt15iterator_traitsISG_E10value_typeEPNSM_ISH_E10value_typeEPSI_NS1_7vsmem_tEENKUlT_SG_SH_SI_E_clIS7_S7_PlSB_EESF_SV_SG_SH_SI_EUlSV_E0_NS1_11comp_targetILNS1_3genE4ELNS1_11target_archE910ELNS1_3gpuE8ELNS1_3repE0EEENS1_38merge_mergepath_config_static_selectorELNS0_4arch9wavefront6targetE1EEEvSH_: ; @_ZN7rocprim17ROCPRIM_400000_NS6detail17trampoline_kernelINS0_14default_configENS1_38merge_sort_block_merge_config_selectorIalEEZZNS1_27merge_sort_block_merge_implIS3_PaN6thrust23THRUST_200600_302600_NS10device_ptrIlEEjNS1_19radix_merge_compareILb0ELb1EaNS0_19identity_decomposerEEEEE10hipError_tT0_T1_T2_jT3_P12ihipStream_tbPNSt15iterator_traitsISG_E10value_typeEPNSM_ISH_E10value_typeEPSI_NS1_7vsmem_tEENKUlT_SG_SH_SI_E_clIS7_S7_PlSB_EESF_SV_SG_SH_SI_EUlSV_E0_NS1_11comp_targetILNS1_3genE4ELNS1_11target_archE910ELNS1_3gpuE8ELNS1_3repE0EEENS1_38merge_mergepath_config_static_selectorELNS0_4arch9wavefront6targetE1EEEvSH_
; %bb.0:
	.section	.rodata,"a",@progbits
	.p2align	6, 0x0
	.amdhsa_kernel _ZN7rocprim17ROCPRIM_400000_NS6detail17trampoline_kernelINS0_14default_configENS1_38merge_sort_block_merge_config_selectorIalEEZZNS1_27merge_sort_block_merge_implIS3_PaN6thrust23THRUST_200600_302600_NS10device_ptrIlEEjNS1_19radix_merge_compareILb0ELb1EaNS0_19identity_decomposerEEEEE10hipError_tT0_T1_T2_jT3_P12ihipStream_tbPNSt15iterator_traitsISG_E10value_typeEPNSM_ISH_E10value_typeEPSI_NS1_7vsmem_tEENKUlT_SG_SH_SI_E_clIS7_S7_PlSB_EESF_SV_SG_SH_SI_EUlSV_E0_NS1_11comp_targetILNS1_3genE4ELNS1_11target_archE910ELNS1_3gpuE8ELNS1_3repE0EEENS1_38merge_mergepath_config_static_selectorELNS0_4arch9wavefront6targetE1EEEvSH_
		.amdhsa_group_segment_fixed_size 0
		.amdhsa_private_segment_fixed_size 0
		.amdhsa_kernarg_size 64
		.amdhsa_user_sgpr_count 6
		.amdhsa_user_sgpr_private_segment_buffer 1
		.amdhsa_user_sgpr_dispatch_ptr 0
		.amdhsa_user_sgpr_queue_ptr 0
		.amdhsa_user_sgpr_kernarg_segment_ptr 1
		.amdhsa_user_sgpr_dispatch_id 0
		.amdhsa_user_sgpr_flat_scratch_init 0
		.amdhsa_user_sgpr_private_segment_size 0
		.amdhsa_uses_dynamic_stack 0
		.amdhsa_system_sgpr_private_segment_wavefront_offset 0
		.amdhsa_system_sgpr_workgroup_id_x 1
		.amdhsa_system_sgpr_workgroup_id_y 0
		.amdhsa_system_sgpr_workgroup_id_z 0
		.amdhsa_system_sgpr_workgroup_info 0
		.amdhsa_system_vgpr_workitem_id 0
		.amdhsa_next_free_vgpr 1
		.amdhsa_next_free_sgpr 0
		.amdhsa_reserve_vcc 0
		.amdhsa_reserve_flat_scratch 0
		.amdhsa_float_round_mode_32 0
		.amdhsa_float_round_mode_16_64 0
		.amdhsa_float_denorm_mode_32 3
		.amdhsa_float_denorm_mode_16_64 3
		.amdhsa_dx10_clamp 1
		.amdhsa_ieee_mode 1
		.amdhsa_fp16_overflow 0
		.amdhsa_exception_fp_ieee_invalid_op 0
		.amdhsa_exception_fp_denorm_src 0
		.amdhsa_exception_fp_ieee_div_zero 0
		.amdhsa_exception_fp_ieee_overflow 0
		.amdhsa_exception_fp_ieee_underflow 0
		.amdhsa_exception_fp_ieee_inexact 0
		.amdhsa_exception_int_div_zero 0
	.end_amdhsa_kernel
	.section	.text._ZN7rocprim17ROCPRIM_400000_NS6detail17trampoline_kernelINS0_14default_configENS1_38merge_sort_block_merge_config_selectorIalEEZZNS1_27merge_sort_block_merge_implIS3_PaN6thrust23THRUST_200600_302600_NS10device_ptrIlEEjNS1_19radix_merge_compareILb0ELb1EaNS0_19identity_decomposerEEEEE10hipError_tT0_T1_T2_jT3_P12ihipStream_tbPNSt15iterator_traitsISG_E10value_typeEPNSM_ISH_E10value_typeEPSI_NS1_7vsmem_tEENKUlT_SG_SH_SI_E_clIS7_S7_PlSB_EESF_SV_SG_SH_SI_EUlSV_E0_NS1_11comp_targetILNS1_3genE4ELNS1_11target_archE910ELNS1_3gpuE8ELNS1_3repE0EEENS1_38merge_mergepath_config_static_selectorELNS0_4arch9wavefront6targetE1EEEvSH_,"axG",@progbits,_ZN7rocprim17ROCPRIM_400000_NS6detail17trampoline_kernelINS0_14default_configENS1_38merge_sort_block_merge_config_selectorIalEEZZNS1_27merge_sort_block_merge_implIS3_PaN6thrust23THRUST_200600_302600_NS10device_ptrIlEEjNS1_19radix_merge_compareILb0ELb1EaNS0_19identity_decomposerEEEEE10hipError_tT0_T1_T2_jT3_P12ihipStream_tbPNSt15iterator_traitsISG_E10value_typeEPNSM_ISH_E10value_typeEPSI_NS1_7vsmem_tEENKUlT_SG_SH_SI_E_clIS7_S7_PlSB_EESF_SV_SG_SH_SI_EUlSV_E0_NS1_11comp_targetILNS1_3genE4ELNS1_11target_archE910ELNS1_3gpuE8ELNS1_3repE0EEENS1_38merge_mergepath_config_static_selectorELNS0_4arch9wavefront6targetE1EEEvSH_,comdat
.Lfunc_end545:
	.size	_ZN7rocprim17ROCPRIM_400000_NS6detail17trampoline_kernelINS0_14default_configENS1_38merge_sort_block_merge_config_selectorIalEEZZNS1_27merge_sort_block_merge_implIS3_PaN6thrust23THRUST_200600_302600_NS10device_ptrIlEEjNS1_19radix_merge_compareILb0ELb1EaNS0_19identity_decomposerEEEEE10hipError_tT0_T1_T2_jT3_P12ihipStream_tbPNSt15iterator_traitsISG_E10value_typeEPNSM_ISH_E10value_typeEPSI_NS1_7vsmem_tEENKUlT_SG_SH_SI_E_clIS7_S7_PlSB_EESF_SV_SG_SH_SI_EUlSV_E0_NS1_11comp_targetILNS1_3genE4ELNS1_11target_archE910ELNS1_3gpuE8ELNS1_3repE0EEENS1_38merge_mergepath_config_static_selectorELNS0_4arch9wavefront6targetE1EEEvSH_, .Lfunc_end545-_ZN7rocprim17ROCPRIM_400000_NS6detail17trampoline_kernelINS0_14default_configENS1_38merge_sort_block_merge_config_selectorIalEEZZNS1_27merge_sort_block_merge_implIS3_PaN6thrust23THRUST_200600_302600_NS10device_ptrIlEEjNS1_19radix_merge_compareILb0ELb1EaNS0_19identity_decomposerEEEEE10hipError_tT0_T1_T2_jT3_P12ihipStream_tbPNSt15iterator_traitsISG_E10value_typeEPNSM_ISH_E10value_typeEPSI_NS1_7vsmem_tEENKUlT_SG_SH_SI_E_clIS7_S7_PlSB_EESF_SV_SG_SH_SI_EUlSV_E0_NS1_11comp_targetILNS1_3genE4ELNS1_11target_archE910ELNS1_3gpuE8ELNS1_3repE0EEENS1_38merge_mergepath_config_static_selectorELNS0_4arch9wavefront6targetE1EEEvSH_
                                        ; -- End function
	.set _ZN7rocprim17ROCPRIM_400000_NS6detail17trampoline_kernelINS0_14default_configENS1_38merge_sort_block_merge_config_selectorIalEEZZNS1_27merge_sort_block_merge_implIS3_PaN6thrust23THRUST_200600_302600_NS10device_ptrIlEEjNS1_19radix_merge_compareILb0ELb1EaNS0_19identity_decomposerEEEEE10hipError_tT0_T1_T2_jT3_P12ihipStream_tbPNSt15iterator_traitsISG_E10value_typeEPNSM_ISH_E10value_typeEPSI_NS1_7vsmem_tEENKUlT_SG_SH_SI_E_clIS7_S7_PlSB_EESF_SV_SG_SH_SI_EUlSV_E0_NS1_11comp_targetILNS1_3genE4ELNS1_11target_archE910ELNS1_3gpuE8ELNS1_3repE0EEENS1_38merge_mergepath_config_static_selectorELNS0_4arch9wavefront6targetE1EEEvSH_.num_vgpr, 0
	.set _ZN7rocprim17ROCPRIM_400000_NS6detail17trampoline_kernelINS0_14default_configENS1_38merge_sort_block_merge_config_selectorIalEEZZNS1_27merge_sort_block_merge_implIS3_PaN6thrust23THRUST_200600_302600_NS10device_ptrIlEEjNS1_19radix_merge_compareILb0ELb1EaNS0_19identity_decomposerEEEEE10hipError_tT0_T1_T2_jT3_P12ihipStream_tbPNSt15iterator_traitsISG_E10value_typeEPNSM_ISH_E10value_typeEPSI_NS1_7vsmem_tEENKUlT_SG_SH_SI_E_clIS7_S7_PlSB_EESF_SV_SG_SH_SI_EUlSV_E0_NS1_11comp_targetILNS1_3genE4ELNS1_11target_archE910ELNS1_3gpuE8ELNS1_3repE0EEENS1_38merge_mergepath_config_static_selectorELNS0_4arch9wavefront6targetE1EEEvSH_.num_agpr, 0
	.set _ZN7rocprim17ROCPRIM_400000_NS6detail17trampoline_kernelINS0_14default_configENS1_38merge_sort_block_merge_config_selectorIalEEZZNS1_27merge_sort_block_merge_implIS3_PaN6thrust23THRUST_200600_302600_NS10device_ptrIlEEjNS1_19radix_merge_compareILb0ELb1EaNS0_19identity_decomposerEEEEE10hipError_tT0_T1_T2_jT3_P12ihipStream_tbPNSt15iterator_traitsISG_E10value_typeEPNSM_ISH_E10value_typeEPSI_NS1_7vsmem_tEENKUlT_SG_SH_SI_E_clIS7_S7_PlSB_EESF_SV_SG_SH_SI_EUlSV_E0_NS1_11comp_targetILNS1_3genE4ELNS1_11target_archE910ELNS1_3gpuE8ELNS1_3repE0EEENS1_38merge_mergepath_config_static_selectorELNS0_4arch9wavefront6targetE1EEEvSH_.numbered_sgpr, 0
	.set _ZN7rocprim17ROCPRIM_400000_NS6detail17trampoline_kernelINS0_14default_configENS1_38merge_sort_block_merge_config_selectorIalEEZZNS1_27merge_sort_block_merge_implIS3_PaN6thrust23THRUST_200600_302600_NS10device_ptrIlEEjNS1_19radix_merge_compareILb0ELb1EaNS0_19identity_decomposerEEEEE10hipError_tT0_T1_T2_jT3_P12ihipStream_tbPNSt15iterator_traitsISG_E10value_typeEPNSM_ISH_E10value_typeEPSI_NS1_7vsmem_tEENKUlT_SG_SH_SI_E_clIS7_S7_PlSB_EESF_SV_SG_SH_SI_EUlSV_E0_NS1_11comp_targetILNS1_3genE4ELNS1_11target_archE910ELNS1_3gpuE8ELNS1_3repE0EEENS1_38merge_mergepath_config_static_selectorELNS0_4arch9wavefront6targetE1EEEvSH_.num_named_barrier, 0
	.set _ZN7rocprim17ROCPRIM_400000_NS6detail17trampoline_kernelINS0_14default_configENS1_38merge_sort_block_merge_config_selectorIalEEZZNS1_27merge_sort_block_merge_implIS3_PaN6thrust23THRUST_200600_302600_NS10device_ptrIlEEjNS1_19radix_merge_compareILb0ELb1EaNS0_19identity_decomposerEEEEE10hipError_tT0_T1_T2_jT3_P12ihipStream_tbPNSt15iterator_traitsISG_E10value_typeEPNSM_ISH_E10value_typeEPSI_NS1_7vsmem_tEENKUlT_SG_SH_SI_E_clIS7_S7_PlSB_EESF_SV_SG_SH_SI_EUlSV_E0_NS1_11comp_targetILNS1_3genE4ELNS1_11target_archE910ELNS1_3gpuE8ELNS1_3repE0EEENS1_38merge_mergepath_config_static_selectorELNS0_4arch9wavefront6targetE1EEEvSH_.private_seg_size, 0
	.set _ZN7rocprim17ROCPRIM_400000_NS6detail17trampoline_kernelINS0_14default_configENS1_38merge_sort_block_merge_config_selectorIalEEZZNS1_27merge_sort_block_merge_implIS3_PaN6thrust23THRUST_200600_302600_NS10device_ptrIlEEjNS1_19radix_merge_compareILb0ELb1EaNS0_19identity_decomposerEEEEE10hipError_tT0_T1_T2_jT3_P12ihipStream_tbPNSt15iterator_traitsISG_E10value_typeEPNSM_ISH_E10value_typeEPSI_NS1_7vsmem_tEENKUlT_SG_SH_SI_E_clIS7_S7_PlSB_EESF_SV_SG_SH_SI_EUlSV_E0_NS1_11comp_targetILNS1_3genE4ELNS1_11target_archE910ELNS1_3gpuE8ELNS1_3repE0EEENS1_38merge_mergepath_config_static_selectorELNS0_4arch9wavefront6targetE1EEEvSH_.uses_vcc, 0
	.set _ZN7rocprim17ROCPRIM_400000_NS6detail17trampoline_kernelINS0_14default_configENS1_38merge_sort_block_merge_config_selectorIalEEZZNS1_27merge_sort_block_merge_implIS3_PaN6thrust23THRUST_200600_302600_NS10device_ptrIlEEjNS1_19radix_merge_compareILb0ELb1EaNS0_19identity_decomposerEEEEE10hipError_tT0_T1_T2_jT3_P12ihipStream_tbPNSt15iterator_traitsISG_E10value_typeEPNSM_ISH_E10value_typeEPSI_NS1_7vsmem_tEENKUlT_SG_SH_SI_E_clIS7_S7_PlSB_EESF_SV_SG_SH_SI_EUlSV_E0_NS1_11comp_targetILNS1_3genE4ELNS1_11target_archE910ELNS1_3gpuE8ELNS1_3repE0EEENS1_38merge_mergepath_config_static_selectorELNS0_4arch9wavefront6targetE1EEEvSH_.uses_flat_scratch, 0
	.set _ZN7rocprim17ROCPRIM_400000_NS6detail17trampoline_kernelINS0_14default_configENS1_38merge_sort_block_merge_config_selectorIalEEZZNS1_27merge_sort_block_merge_implIS3_PaN6thrust23THRUST_200600_302600_NS10device_ptrIlEEjNS1_19radix_merge_compareILb0ELb1EaNS0_19identity_decomposerEEEEE10hipError_tT0_T1_T2_jT3_P12ihipStream_tbPNSt15iterator_traitsISG_E10value_typeEPNSM_ISH_E10value_typeEPSI_NS1_7vsmem_tEENKUlT_SG_SH_SI_E_clIS7_S7_PlSB_EESF_SV_SG_SH_SI_EUlSV_E0_NS1_11comp_targetILNS1_3genE4ELNS1_11target_archE910ELNS1_3gpuE8ELNS1_3repE0EEENS1_38merge_mergepath_config_static_selectorELNS0_4arch9wavefront6targetE1EEEvSH_.has_dyn_sized_stack, 0
	.set _ZN7rocprim17ROCPRIM_400000_NS6detail17trampoline_kernelINS0_14default_configENS1_38merge_sort_block_merge_config_selectorIalEEZZNS1_27merge_sort_block_merge_implIS3_PaN6thrust23THRUST_200600_302600_NS10device_ptrIlEEjNS1_19radix_merge_compareILb0ELb1EaNS0_19identity_decomposerEEEEE10hipError_tT0_T1_T2_jT3_P12ihipStream_tbPNSt15iterator_traitsISG_E10value_typeEPNSM_ISH_E10value_typeEPSI_NS1_7vsmem_tEENKUlT_SG_SH_SI_E_clIS7_S7_PlSB_EESF_SV_SG_SH_SI_EUlSV_E0_NS1_11comp_targetILNS1_3genE4ELNS1_11target_archE910ELNS1_3gpuE8ELNS1_3repE0EEENS1_38merge_mergepath_config_static_selectorELNS0_4arch9wavefront6targetE1EEEvSH_.has_recursion, 0
	.set _ZN7rocprim17ROCPRIM_400000_NS6detail17trampoline_kernelINS0_14default_configENS1_38merge_sort_block_merge_config_selectorIalEEZZNS1_27merge_sort_block_merge_implIS3_PaN6thrust23THRUST_200600_302600_NS10device_ptrIlEEjNS1_19radix_merge_compareILb0ELb1EaNS0_19identity_decomposerEEEEE10hipError_tT0_T1_T2_jT3_P12ihipStream_tbPNSt15iterator_traitsISG_E10value_typeEPNSM_ISH_E10value_typeEPSI_NS1_7vsmem_tEENKUlT_SG_SH_SI_E_clIS7_S7_PlSB_EESF_SV_SG_SH_SI_EUlSV_E0_NS1_11comp_targetILNS1_3genE4ELNS1_11target_archE910ELNS1_3gpuE8ELNS1_3repE0EEENS1_38merge_mergepath_config_static_selectorELNS0_4arch9wavefront6targetE1EEEvSH_.has_indirect_call, 0
	.section	.AMDGPU.csdata,"",@progbits
; Kernel info:
; codeLenInByte = 0
; TotalNumSgprs: 4
; NumVgprs: 0
; ScratchSize: 0
; MemoryBound: 0
; FloatMode: 240
; IeeeMode: 1
; LDSByteSize: 0 bytes/workgroup (compile time only)
; SGPRBlocks: 0
; VGPRBlocks: 0
; NumSGPRsForWavesPerEU: 4
; NumVGPRsForWavesPerEU: 1
; Occupancy: 10
; WaveLimiterHint : 0
; COMPUTE_PGM_RSRC2:SCRATCH_EN: 0
; COMPUTE_PGM_RSRC2:USER_SGPR: 6
; COMPUTE_PGM_RSRC2:TRAP_HANDLER: 0
; COMPUTE_PGM_RSRC2:TGID_X_EN: 1
; COMPUTE_PGM_RSRC2:TGID_Y_EN: 0
; COMPUTE_PGM_RSRC2:TGID_Z_EN: 0
; COMPUTE_PGM_RSRC2:TIDIG_COMP_CNT: 0
	.section	.text._ZN7rocprim17ROCPRIM_400000_NS6detail17trampoline_kernelINS0_14default_configENS1_38merge_sort_block_merge_config_selectorIalEEZZNS1_27merge_sort_block_merge_implIS3_PaN6thrust23THRUST_200600_302600_NS10device_ptrIlEEjNS1_19radix_merge_compareILb0ELb1EaNS0_19identity_decomposerEEEEE10hipError_tT0_T1_T2_jT3_P12ihipStream_tbPNSt15iterator_traitsISG_E10value_typeEPNSM_ISH_E10value_typeEPSI_NS1_7vsmem_tEENKUlT_SG_SH_SI_E_clIS7_S7_PlSB_EESF_SV_SG_SH_SI_EUlSV_E0_NS1_11comp_targetILNS1_3genE3ELNS1_11target_archE908ELNS1_3gpuE7ELNS1_3repE0EEENS1_38merge_mergepath_config_static_selectorELNS0_4arch9wavefront6targetE1EEEvSH_,"axG",@progbits,_ZN7rocprim17ROCPRIM_400000_NS6detail17trampoline_kernelINS0_14default_configENS1_38merge_sort_block_merge_config_selectorIalEEZZNS1_27merge_sort_block_merge_implIS3_PaN6thrust23THRUST_200600_302600_NS10device_ptrIlEEjNS1_19radix_merge_compareILb0ELb1EaNS0_19identity_decomposerEEEEE10hipError_tT0_T1_T2_jT3_P12ihipStream_tbPNSt15iterator_traitsISG_E10value_typeEPNSM_ISH_E10value_typeEPSI_NS1_7vsmem_tEENKUlT_SG_SH_SI_E_clIS7_S7_PlSB_EESF_SV_SG_SH_SI_EUlSV_E0_NS1_11comp_targetILNS1_3genE3ELNS1_11target_archE908ELNS1_3gpuE7ELNS1_3repE0EEENS1_38merge_mergepath_config_static_selectorELNS0_4arch9wavefront6targetE1EEEvSH_,comdat
	.protected	_ZN7rocprim17ROCPRIM_400000_NS6detail17trampoline_kernelINS0_14default_configENS1_38merge_sort_block_merge_config_selectorIalEEZZNS1_27merge_sort_block_merge_implIS3_PaN6thrust23THRUST_200600_302600_NS10device_ptrIlEEjNS1_19radix_merge_compareILb0ELb1EaNS0_19identity_decomposerEEEEE10hipError_tT0_T1_T2_jT3_P12ihipStream_tbPNSt15iterator_traitsISG_E10value_typeEPNSM_ISH_E10value_typeEPSI_NS1_7vsmem_tEENKUlT_SG_SH_SI_E_clIS7_S7_PlSB_EESF_SV_SG_SH_SI_EUlSV_E0_NS1_11comp_targetILNS1_3genE3ELNS1_11target_archE908ELNS1_3gpuE7ELNS1_3repE0EEENS1_38merge_mergepath_config_static_selectorELNS0_4arch9wavefront6targetE1EEEvSH_ ; -- Begin function _ZN7rocprim17ROCPRIM_400000_NS6detail17trampoline_kernelINS0_14default_configENS1_38merge_sort_block_merge_config_selectorIalEEZZNS1_27merge_sort_block_merge_implIS3_PaN6thrust23THRUST_200600_302600_NS10device_ptrIlEEjNS1_19radix_merge_compareILb0ELb1EaNS0_19identity_decomposerEEEEE10hipError_tT0_T1_T2_jT3_P12ihipStream_tbPNSt15iterator_traitsISG_E10value_typeEPNSM_ISH_E10value_typeEPSI_NS1_7vsmem_tEENKUlT_SG_SH_SI_E_clIS7_S7_PlSB_EESF_SV_SG_SH_SI_EUlSV_E0_NS1_11comp_targetILNS1_3genE3ELNS1_11target_archE908ELNS1_3gpuE7ELNS1_3repE0EEENS1_38merge_mergepath_config_static_selectorELNS0_4arch9wavefront6targetE1EEEvSH_
	.globl	_ZN7rocprim17ROCPRIM_400000_NS6detail17trampoline_kernelINS0_14default_configENS1_38merge_sort_block_merge_config_selectorIalEEZZNS1_27merge_sort_block_merge_implIS3_PaN6thrust23THRUST_200600_302600_NS10device_ptrIlEEjNS1_19radix_merge_compareILb0ELb1EaNS0_19identity_decomposerEEEEE10hipError_tT0_T1_T2_jT3_P12ihipStream_tbPNSt15iterator_traitsISG_E10value_typeEPNSM_ISH_E10value_typeEPSI_NS1_7vsmem_tEENKUlT_SG_SH_SI_E_clIS7_S7_PlSB_EESF_SV_SG_SH_SI_EUlSV_E0_NS1_11comp_targetILNS1_3genE3ELNS1_11target_archE908ELNS1_3gpuE7ELNS1_3repE0EEENS1_38merge_mergepath_config_static_selectorELNS0_4arch9wavefront6targetE1EEEvSH_
	.p2align	8
	.type	_ZN7rocprim17ROCPRIM_400000_NS6detail17trampoline_kernelINS0_14default_configENS1_38merge_sort_block_merge_config_selectorIalEEZZNS1_27merge_sort_block_merge_implIS3_PaN6thrust23THRUST_200600_302600_NS10device_ptrIlEEjNS1_19radix_merge_compareILb0ELb1EaNS0_19identity_decomposerEEEEE10hipError_tT0_T1_T2_jT3_P12ihipStream_tbPNSt15iterator_traitsISG_E10value_typeEPNSM_ISH_E10value_typeEPSI_NS1_7vsmem_tEENKUlT_SG_SH_SI_E_clIS7_S7_PlSB_EESF_SV_SG_SH_SI_EUlSV_E0_NS1_11comp_targetILNS1_3genE3ELNS1_11target_archE908ELNS1_3gpuE7ELNS1_3repE0EEENS1_38merge_mergepath_config_static_selectorELNS0_4arch9wavefront6targetE1EEEvSH_,@function
_ZN7rocprim17ROCPRIM_400000_NS6detail17trampoline_kernelINS0_14default_configENS1_38merge_sort_block_merge_config_selectorIalEEZZNS1_27merge_sort_block_merge_implIS3_PaN6thrust23THRUST_200600_302600_NS10device_ptrIlEEjNS1_19radix_merge_compareILb0ELb1EaNS0_19identity_decomposerEEEEE10hipError_tT0_T1_T2_jT3_P12ihipStream_tbPNSt15iterator_traitsISG_E10value_typeEPNSM_ISH_E10value_typeEPSI_NS1_7vsmem_tEENKUlT_SG_SH_SI_E_clIS7_S7_PlSB_EESF_SV_SG_SH_SI_EUlSV_E0_NS1_11comp_targetILNS1_3genE3ELNS1_11target_archE908ELNS1_3gpuE7ELNS1_3repE0EEENS1_38merge_mergepath_config_static_selectorELNS0_4arch9wavefront6targetE1EEEvSH_: ; @_ZN7rocprim17ROCPRIM_400000_NS6detail17trampoline_kernelINS0_14default_configENS1_38merge_sort_block_merge_config_selectorIalEEZZNS1_27merge_sort_block_merge_implIS3_PaN6thrust23THRUST_200600_302600_NS10device_ptrIlEEjNS1_19radix_merge_compareILb0ELb1EaNS0_19identity_decomposerEEEEE10hipError_tT0_T1_T2_jT3_P12ihipStream_tbPNSt15iterator_traitsISG_E10value_typeEPNSM_ISH_E10value_typeEPSI_NS1_7vsmem_tEENKUlT_SG_SH_SI_E_clIS7_S7_PlSB_EESF_SV_SG_SH_SI_EUlSV_E0_NS1_11comp_targetILNS1_3genE3ELNS1_11target_archE908ELNS1_3gpuE7ELNS1_3repE0EEENS1_38merge_mergepath_config_static_selectorELNS0_4arch9wavefront6targetE1EEEvSH_
; %bb.0:
	.section	.rodata,"a",@progbits
	.p2align	6, 0x0
	.amdhsa_kernel _ZN7rocprim17ROCPRIM_400000_NS6detail17trampoline_kernelINS0_14default_configENS1_38merge_sort_block_merge_config_selectorIalEEZZNS1_27merge_sort_block_merge_implIS3_PaN6thrust23THRUST_200600_302600_NS10device_ptrIlEEjNS1_19radix_merge_compareILb0ELb1EaNS0_19identity_decomposerEEEEE10hipError_tT0_T1_T2_jT3_P12ihipStream_tbPNSt15iterator_traitsISG_E10value_typeEPNSM_ISH_E10value_typeEPSI_NS1_7vsmem_tEENKUlT_SG_SH_SI_E_clIS7_S7_PlSB_EESF_SV_SG_SH_SI_EUlSV_E0_NS1_11comp_targetILNS1_3genE3ELNS1_11target_archE908ELNS1_3gpuE7ELNS1_3repE0EEENS1_38merge_mergepath_config_static_selectorELNS0_4arch9wavefront6targetE1EEEvSH_
		.amdhsa_group_segment_fixed_size 0
		.amdhsa_private_segment_fixed_size 0
		.amdhsa_kernarg_size 64
		.amdhsa_user_sgpr_count 6
		.amdhsa_user_sgpr_private_segment_buffer 1
		.amdhsa_user_sgpr_dispatch_ptr 0
		.amdhsa_user_sgpr_queue_ptr 0
		.amdhsa_user_sgpr_kernarg_segment_ptr 1
		.amdhsa_user_sgpr_dispatch_id 0
		.amdhsa_user_sgpr_flat_scratch_init 0
		.amdhsa_user_sgpr_private_segment_size 0
		.amdhsa_uses_dynamic_stack 0
		.amdhsa_system_sgpr_private_segment_wavefront_offset 0
		.amdhsa_system_sgpr_workgroup_id_x 1
		.amdhsa_system_sgpr_workgroup_id_y 0
		.amdhsa_system_sgpr_workgroup_id_z 0
		.amdhsa_system_sgpr_workgroup_info 0
		.amdhsa_system_vgpr_workitem_id 0
		.amdhsa_next_free_vgpr 1
		.amdhsa_next_free_sgpr 0
		.amdhsa_reserve_vcc 0
		.amdhsa_reserve_flat_scratch 0
		.amdhsa_float_round_mode_32 0
		.amdhsa_float_round_mode_16_64 0
		.amdhsa_float_denorm_mode_32 3
		.amdhsa_float_denorm_mode_16_64 3
		.amdhsa_dx10_clamp 1
		.amdhsa_ieee_mode 1
		.amdhsa_fp16_overflow 0
		.amdhsa_exception_fp_ieee_invalid_op 0
		.amdhsa_exception_fp_denorm_src 0
		.amdhsa_exception_fp_ieee_div_zero 0
		.amdhsa_exception_fp_ieee_overflow 0
		.amdhsa_exception_fp_ieee_underflow 0
		.amdhsa_exception_fp_ieee_inexact 0
		.amdhsa_exception_int_div_zero 0
	.end_amdhsa_kernel
	.section	.text._ZN7rocprim17ROCPRIM_400000_NS6detail17trampoline_kernelINS0_14default_configENS1_38merge_sort_block_merge_config_selectorIalEEZZNS1_27merge_sort_block_merge_implIS3_PaN6thrust23THRUST_200600_302600_NS10device_ptrIlEEjNS1_19radix_merge_compareILb0ELb1EaNS0_19identity_decomposerEEEEE10hipError_tT0_T1_T2_jT3_P12ihipStream_tbPNSt15iterator_traitsISG_E10value_typeEPNSM_ISH_E10value_typeEPSI_NS1_7vsmem_tEENKUlT_SG_SH_SI_E_clIS7_S7_PlSB_EESF_SV_SG_SH_SI_EUlSV_E0_NS1_11comp_targetILNS1_3genE3ELNS1_11target_archE908ELNS1_3gpuE7ELNS1_3repE0EEENS1_38merge_mergepath_config_static_selectorELNS0_4arch9wavefront6targetE1EEEvSH_,"axG",@progbits,_ZN7rocprim17ROCPRIM_400000_NS6detail17trampoline_kernelINS0_14default_configENS1_38merge_sort_block_merge_config_selectorIalEEZZNS1_27merge_sort_block_merge_implIS3_PaN6thrust23THRUST_200600_302600_NS10device_ptrIlEEjNS1_19radix_merge_compareILb0ELb1EaNS0_19identity_decomposerEEEEE10hipError_tT0_T1_T2_jT3_P12ihipStream_tbPNSt15iterator_traitsISG_E10value_typeEPNSM_ISH_E10value_typeEPSI_NS1_7vsmem_tEENKUlT_SG_SH_SI_E_clIS7_S7_PlSB_EESF_SV_SG_SH_SI_EUlSV_E0_NS1_11comp_targetILNS1_3genE3ELNS1_11target_archE908ELNS1_3gpuE7ELNS1_3repE0EEENS1_38merge_mergepath_config_static_selectorELNS0_4arch9wavefront6targetE1EEEvSH_,comdat
.Lfunc_end546:
	.size	_ZN7rocprim17ROCPRIM_400000_NS6detail17trampoline_kernelINS0_14default_configENS1_38merge_sort_block_merge_config_selectorIalEEZZNS1_27merge_sort_block_merge_implIS3_PaN6thrust23THRUST_200600_302600_NS10device_ptrIlEEjNS1_19radix_merge_compareILb0ELb1EaNS0_19identity_decomposerEEEEE10hipError_tT0_T1_T2_jT3_P12ihipStream_tbPNSt15iterator_traitsISG_E10value_typeEPNSM_ISH_E10value_typeEPSI_NS1_7vsmem_tEENKUlT_SG_SH_SI_E_clIS7_S7_PlSB_EESF_SV_SG_SH_SI_EUlSV_E0_NS1_11comp_targetILNS1_3genE3ELNS1_11target_archE908ELNS1_3gpuE7ELNS1_3repE0EEENS1_38merge_mergepath_config_static_selectorELNS0_4arch9wavefront6targetE1EEEvSH_, .Lfunc_end546-_ZN7rocprim17ROCPRIM_400000_NS6detail17trampoline_kernelINS0_14default_configENS1_38merge_sort_block_merge_config_selectorIalEEZZNS1_27merge_sort_block_merge_implIS3_PaN6thrust23THRUST_200600_302600_NS10device_ptrIlEEjNS1_19radix_merge_compareILb0ELb1EaNS0_19identity_decomposerEEEEE10hipError_tT0_T1_T2_jT3_P12ihipStream_tbPNSt15iterator_traitsISG_E10value_typeEPNSM_ISH_E10value_typeEPSI_NS1_7vsmem_tEENKUlT_SG_SH_SI_E_clIS7_S7_PlSB_EESF_SV_SG_SH_SI_EUlSV_E0_NS1_11comp_targetILNS1_3genE3ELNS1_11target_archE908ELNS1_3gpuE7ELNS1_3repE0EEENS1_38merge_mergepath_config_static_selectorELNS0_4arch9wavefront6targetE1EEEvSH_
                                        ; -- End function
	.set _ZN7rocprim17ROCPRIM_400000_NS6detail17trampoline_kernelINS0_14default_configENS1_38merge_sort_block_merge_config_selectorIalEEZZNS1_27merge_sort_block_merge_implIS3_PaN6thrust23THRUST_200600_302600_NS10device_ptrIlEEjNS1_19radix_merge_compareILb0ELb1EaNS0_19identity_decomposerEEEEE10hipError_tT0_T1_T2_jT3_P12ihipStream_tbPNSt15iterator_traitsISG_E10value_typeEPNSM_ISH_E10value_typeEPSI_NS1_7vsmem_tEENKUlT_SG_SH_SI_E_clIS7_S7_PlSB_EESF_SV_SG_SH_SI_EUlSV_E0_NS1_11comp_targetILNS1_3genE3ELNS1_11target_archE908ELNS1_3gpuE7ELNS1_3repE0EEENS1_38merge_mergepath_config_static_selectorELNS0_4arch9wavefront6targetE1EEEvSH_.num_vgpr, 0
	.set _ZN7rocprim17ROCPRIM_400000_NS6detail17trampoline_kernelINS0_14default_configENS1_38merge_sort_block_merge_config_selectorIalEEZZNS1_27merge_sort_block_merge_implIS3_PaN6thrust23THRUST_200600_302600_NS10device_ptrIlEEjNS1_19radix_merge_compareILb0ELb1EaNS0_19identity_decomposerEEEEE10hipError_tT0_T1_T2_jT3_P12ihipStream_tbPNSt15iterator_traitsISG_E10value_typeEPNSM_ISH_E10value_typeEPSI_NS1_7vsmem_tEENKUlT_SG_SH_SI_E_clIS7_S7_PlSB_EESF_SV_SG_SH_SI_EUlSV_E0_NS1_11comp_targetILNS1_3genE3ELNS1_11target_archE908ELNS1_3gpuE7ELNS1_3repE0EEENS1_38merge_mergepath_config_static_selectorELNS0_4arch9wavefront6targetE1EEEvSH_.num_agpr, 0
	.set _ZN7rocprim17ROCPRIM_400000_NS6detail17trampoline_kernelINS0_14default_configENS1_38merge_sort_block_merge_config_selectorIalEEZZNS1_27merge_sort_block_merge_implIS3_PaN6thrust23THRUST_200600_302600_NS10device_ptrIlEEjNS1_19radix_merge_compareILb0ELb1EaNS0_19identity_decomposerEEEEE10hipError_tT0_T1_T2_jT3_P12ihipStream_tbPNSt15iterator_traitsISG_E10value_typeEPNSM_ISH_E10value_typeEPSI_NS1_7vsmem_tEENKUlT_SG_SH_SI_E_clIS7_S7_PlSB_EESF_SV_SG_SH_SI_EUlSV_E0_NS1_11comp_targetILNS1_3genE3ELNS1_11target_archE908ELNS1_3gpuE7ELNS1_3repE0EEENS1_38merge_mergepath_config_static_selectorELNS0_4arch9wavefront6targetE1EEEvSH_.numbered_sgpr, 0
	.set _ZN7rocprim17ROCPRIM_400000_NS6detail17trampoline_kernelINS0_14default_configENS1_38merge_sort_block_merge_config_selectorIalEEZZNS1_27merge_sort_block_merge_implIS3_PaN6thrust23THRUST_200600_302600_NS10device_ptrIlEEjNS1_19radix_merge_compareILb0ELb1EaNS0_19identity_decomposerEEEEE10hipError_tT0_T1_T2_jT3_P12ihipStream_tbPNSt15iterator_traitsISG_E10value_typeEPNSM_ISH_E10value_typeEPSI_NS1_7vsmem_tEENKUlT_SG_SH_SI_E_clIS7_S7_PlSB_EESF_SV_SG_SH_SI_EUlSV_E0_NS1_11comp_targetILNS1_3genE3ELNS1_11target_archE908ELNS1_3gpuE7ELNS1_3repE0EEENS1_38merge_mergepath_config_static_selectorELNS0_4arch9wavefront6targetE1EEEvSH_.num_named_barrier, 0
	.set _ZN7rocprim17ROCPRIM_400000_NS6detail17trampoline_kernelINS0_14default_configENS1_38merge_sort_block_merge_config_selectorIalEEZZNS1_27merge_sort_block_merge_implIS3_PaN6thrust23THRUST_200600_302600_NS10device_ptrIlEEjNS1_19radix_merge_compareILb0ELb1EaNS0_19identity_decomposerEEEEE10hipError_tT0_T1_T2_jT3_P12ihipStream_tbPNSt15iterator_traitsISG_E10value_typeEPNSM_ISH_E10value_typeEPSI_NS1_7vsmem_tEENKUlT_SG_SH_SI_E_clIS7_S7_PlSB_EESF_SV_SG_SH_SI_EUlSV_E0_NS1_11comp_targetILNS1_3genE3ELNS1_11target_archE908ELNS1_3gpuE7ELNS1_3repE0EEENS1_38merge_mergepath_config_static_selectorELNS0_4arch9wavefront6targetE1EEEvSH_.private_seg_size, 0
	.set _ZN7rocprim17ROCPRIM_400000_NS6detail17trampoline_kernelINS0_14default_configENS1_38merge_sort_block_merge_config_selectorIalEEZZNS1_27merge_sort_block_merge_implIS3_PaN6thrust23THRUST_200600_302600_NS10device_ptrIlEEjNS1_19radix_merge_compareILb0ELb1EaNS0_19identity_decomposerEEEEE10hipError_tT0_T1_T2_jT3_P12ihipStream_tbPNSt15iterator_traitsISG_E10value_typeEPNSM_ISH_E10value_typeEPSI_NS1_7vsmem_tEENKUlT_SG_SH_SI_E_clIS7_S7_PlSB_EESF_SV_SG_SH_SI_EUlSV_E0_NS1_11comp_targetILNS1_3genE3ELNS1_11target_archE908ELNS1_3gpuE7ELNS1_3repE0EEENS1_38merge_mergepath_config_static_selectorELNS0_4arch9wavefront6targetE1EEEvSH_.uses_vcc, 0
	.set _ZN7rocprim17ROCPRIM_400000_NS6detail17trampoline_kernelINS0_14default_configENS1_38merge_sort_block_merge_config_selectorIalEEZZNS1_27merge_sort_block_merge_implIS3_PaN6thrust23THRUST_200600_302600_NS10device_ptrIlEEjNS1_19radix_merge_compareILb0ELb1EaNS0_19identity_decomposerEEEEE10hipError_tT0_T1_T2_jT3_P12ihipStream_tbPNSt15iterator_traitsISG_E10value_typeEPNSM_ISH_E10value_typeEPSI_NS1_7vsmem_tEENKUlT_SG_SH_SI_E_clIS7_S7_PlSB_EESF_SV_SG_SH_SI_EUlSV_E0_NS1_11comp_targetILNS1_3genE3ELNS1_11target_archE908ELNS1_3gpuE7ELNS1_3repE0EEENS1_38merge_mergepath_config_static_selectorELNS0_4arch9wavefront6targetE1EEEvSH_.uses_flat_scratch, 0
	.set _ZN7rocprim17ROCPRIM_400000_NS6detail17trampoline_kernelINS0_14default_configENS1_38merge_sort_block_merge_config_selectorIalEEZZNS1_27merge_sort_block_merge_implIS3_PaN6thrust23THRUST_200600_302600_NS10device_ptrIlEEjNS1_19radix_merge_compareILb0ELb1EaNS0_19identity_decomposerEEEEE10hipError_tT0_T1_T2_jT3_P12ihipStream_tbPNSt15iterator_traitsISG_E10value_typeEPNSM_ISH_E10value_typeEPSI_NS1_7vsmem_tEENKUlT_SG_SH_SI_E_clIS7_S7_PlSB_EESF_SV_SG_SH_SI_EUlSV_E0_NS1_11comp_targetILNS1_3genE3ELNS1_11target_archE908ELNS1_3gpuE7ELNS1_3repE0EEENS1_38merge_mergepath_config_static_selectorELNS0_4arch9wavefront6targetE1EEEvSH_.has_dyn_sized_stack, 0
	.set _ZN7rocprim17ROCPRIM_400000_NS6detail17trampoline_kernelINS0_14default_configENS1_38merge_sort_block_merge_config_selectorIalEEZZNS1_27merge_sort_block_merge_implIS3_PaN6thrust23THRUST_200600_302600_NS10device_ptrIlEEjNS1_19radix_merge_compareILb0ELb1EaNS0_19identity_decomposerEEEEE10hipError_tT0_T1_T2_jT3_P12ihipStream_tbPNSt15iterator_traitsISG_E10value_typeEPNSM_ISH_E10value_typeEPSI_NS1_7vsmem_tEENKUlT_SG_SH_SI_E_clIS7_S7_PlSB_EESF_SV_SG_SH_SI_EUlSV_E0_NS1_11comp_targetILNS1_3genE3ELNS1_11target_archE908ELNS1_3gpuE7ELNS1_3repE0EEENS1_38merge_mergepath_config_static_selectorELNS0_4arch9wavefront6targetE1EEEvSH_.has_recursion, 0
	.set _ZN7rocprim17ROCPRIM_400000_NS6detail17trampoline_kernelINS0_14default_configENS1_38merge_sort_block_merge_config_selectorIalEEZZNS1_27merge_sort_block_merge_implIS3_PaN6thrust23THRUST_200600_302600_NS10device_ptrIlEEjNS1_19radix_merge_compareILb0ELb1EaNS0_19identity_decomposerEEEEE10hipError_tT0_T1_T2_jT3_P12ihipStream_tbPNSt15iterator_traitsISG_E10value_typeEPNSM_ISH_E10value_typeEPSI_NS1_7vsmem_tEENKUlT_SG_SH_SI_E_clIS7_S7_PlSB_EESF_SV_SG_SH_SI_EUlSV_E0_NS1_11comp_targetILNS1_3genE3ELNS1_11target_archE908ELNS1_3gpuE7ELNS1_3repE0EEENS1_38merge_mergepath_config_static_selectorELNS0_4arch9wavefront6targetE1EEEvSH_.has_indirect_call, 0
	.section	.AMDGPU.csdata,"",@progbits
; Kernel info:
; codeLenInByte = 0
; TotalNumSgprs: 4
; NumVgprs: 0
; ScratchSize: 0
; MemoryBound: 0
; FloatMode: 240
; IeeeMode: 1
; LDSByteSize: 0 bytes/workgroup (compile time only)
; SGPRBlocks: 0
; VGPRBlocks: 0
; NumSGPRsForWavesPerEU: 4
; NumVGPRsForWavesPerEU: 1
; Occupancy: 10
; WaveLimiterHint : 0
; COMPUTE_PGM_RSRC2:SCRATCH_EN: 0
; COMPUTE_PGM_RSRC2:USER_SGPR: 6
; COMPUTE_PGM_RSRC2:TRAP_HANDLER: 0
; COMPUTE_PGM_RSRC2:TGID_X_EN: 1
; COMPUTE_PGM_RSRC2:TGID_Y_EN: 0
; COMPUTE_PGM_RSRC2:TGID_Z_EN: 0
; COMPUTE_PGM_RSRC2:TIDIG_COMP_CNT: 0
	.section	.text._ZN7rocprim17ROCPRIM_400000_NS6detail17trampoline_kernelINS0_14default_configENS1_38merge_sort_block_merge_config_selectorIalEEZZNS1_27merge_sort_block_merge_implIS3_PaN6thrust23THRUST_200600_302600_NS10device_ptrIlEEjNS1_19radix_merge_compareILb0ELb1EaNS0_19identity_decomposerEEEEE10hipError_tT0_T1_T2_jT3_P12ihipStream_tbPNSt15iterator_traitsISG_E10value_typeEPNSM_ISH_E10value_typeEPSI_NS1_7vsmem_tEENKUlT_SG_SH_SI_E_clIS7_S7_PlSB_EESF_SV_SG_SH_SI_EUlSV_E0_NS1_11comp_targetILNS1_3genE2ELNS1_11target_archE906ELNS1_3gpuE6ELNS1_3repE0EEENS1_38merge_mergepath_config_static_selectorELNS0_4arch9wavefront6targetE1EEEvSH_,"axG",@progbits,_ZN7rocprim17ROCPRIM_400000_NS6detail17trampoline_kernelINS0_14default_configENS1_38merge_sort_block_merge_config_selectorIalEEZZNS1_27merge_sort_block_merge_implIS3_PaN6thrust23THRUST_200600_302600_NS10device_ptrIlEEjNS1_19radix_merge_compareILb0ELb1EaNS0_19identity_decomposerEEEEE10hipError_tT0_T1_T2_jT3_P12ihipStream_tbPNSt15iterator_traitsISG_E10value_typeEPNSM_ISH_E10value_typeEPSI_NS1_7vsmem_tEENKUlT_SG_SH_SI_E_clIS7_S7_PlSB_EESF_SV_SG_SH_SI_EUlSV_E0_NS1_11comp_targetILNS1_3genE2ELNS1_11target_archE906ELNS1_3gpuE6ELNS1_3repE0EEENS1_38merge_mergepath_config_static_selectorELNS0_4arch9wavefront6targetE1EEEvSH_,comdat
	.protected	_ZN7rocprim17ROCPRIM_400000_NS6detail17trampoline_kernelINS0_14default_configENS1_38merge_sort_block_merge_config_selectorIalEEZZNS1_27merge_sort_block_merge_implIS3_PaN6thrust23THRUST_200600_302600_NS10device_ptrIlEEjNS1_19radix_merge_compareILb0ELb1EaNS0_19identity_decomposerEEEEE10hipError_tT0_T1_T2_jT3_P12ihipStream_tbPNSt15iterator_traitsISG_E10value_typeEPNSM_ISH_E10value_typeEPSI_NS1_7vsmem_tEENKUlT_SG_SH_SI_E_clIS7_S7_PlSB_EESF_SV_SG_SH_SI_EUlSV_E0_NS1_11comp_targetILNS1_3genE2ELNS1_11target_archE906ELNS1_3gpuE6ELNS1_3repE0EEENS1_38merge_mergepath_config_static_selectorELNS0_4arch9wavefront6targetE1EEEvSH_ ; -- Begin function _ZN7rocprim17ROCPRIM_400000_NS6detail17trampoline_kernelINS0_14default_configENS1_38merge_sort_block_merge_config_selectorIalEEZZNS1_27merge_sort_block_merge_implIS3_PaN6thrust23THRUST_200600_302600_NS10device_ptrIlEEjNS1_19radix_merge_compareILb0ELb1EaNS0_19identity_decomposerEEEEE10hipError_tT0_T1_T2_jT3_P12ihipStream_tbPNSt15iterator_traitsISG_E10value_typeEPNSM_ISH_E10value_typeEPSI_NS1_7vsmem_tEENKUlT_SG_SH_SI_E_clIS7_S7_PlSB_EESF_SV_SG_SH_SI_EUlSV_E0_NS1_11comp_targetILNS1_3genE2ELNS1_11target_archE906ELNS1_3gpuE6ELNS1_3repE0EEENS1_38merge_mergepath_config_static_selectorELNS0_4arch9wavefront6targetE1EEEvSH_
	.globl	_ZN7rocprim17ROCPRIM_400000_NS6detail17trampoline_kernelINS0_14default_configENS1_38merge_sort_block_merge_config_selectorIalEEZZNS1_27merge_sort_block_merge_implIS3_PaN6thrust23THRUST_200600_302600_NS10device_ptrIlEEjNS1_19radix_merge_compareILb0ELb1EaNS0_19identity_decomposerEEEEE10hipError_tT0_T1_T2_jT3_P12ihipStream_tbPNSt15iterator_traitsISG_E10value_typeEPNSM_ISH_E10value_typeEPSI_NS1_7vsmem_tEENKUlT_SG_SH_SI_E_clIS7_S7_PlSB_EESF_SV_SG_SH_SI_EUlSV_E0_NS1_11comp_targetILNS1_3genE2ELNS1_11target_archE906ELNS1_3gpuE6ELNS1_3repE0EEENS1_38merge_mergepath_config_static_selectorELNS0_4arch9wavefront6targetE1EEEvSH_
	.p2align	8
	.type	_ZN7rocprim17ROCPRIM_400000_NS6detail17trampoline_kernelINS0_14default_configENS1_38merge_sort_block_merge_config_selectorIalEEZZNS1_27merge_sort_block_merge_implIS3_PaN6thrust23THRUST_200600_302600_NS10device_ptrIlEEjNS1_19radix_merge_compareILb0ELb1EaNS0_19identity_decomposerEEEEE10hipError_tT0_T1_T2_jT3_P12ihipStream_tbPNSt15iterator_traitsISG_E10value_typeEPNSM_ISH_E10value_typeEPSI_NS1_7vsmem_tEENKUlT_SG_SH_SI_E_clIS7_S7_PlSB_EESF_SV_SG_SH_SI_EUlSV_E0_NS1_11comp_targetILNS1_3genE2ELNS1_11target_archE906ELNS1_3gpuE6ELNS1_3repE0EEENS1_38merge_mergepath_config_static_selectorELNS0_4arch9wavefront6targetE1EEEvSH_,@function
_ZN7rocprim17ROCPRIM_400000_NS6detail17trampoline_kernelINS0_14default_configENS1_38merge_sort_block_merge_config_selectorIalEEZZNS1_27merge_sort_block_merge_implIS3_PaN6thrust23THRUST_200600_302600_NS10device_ptrIlEEjNS1_19radix_merge_compareILb0ELb1EaNS0_19identity_decomposerEEEEE10hipError_tT0_T1_T2_jT3_P12ihipStream_tbPNSt15iterator_traitsISG_E10value_typeEPNSM_ISH_E10value_typeEPSI_NS1_7vsmem_tEENKUlT_SG_SH_SI_E_clIS7_S7_PlSB_EESF_SV_SG_SH_SI_EUlSV_E0_NS1_11comp_targetILNS1_3genE2ELNS1_11target_archE906ELNS1_3gpuE6ELNS1_3repE0EEENS1_38merge_mergepath_config_static_selectorELNS0_4arch9wavefront6targetE1EEEvSH_: ; @_ZN7rocprim17ROCPRIM_400000_NS6detail17trampoline_kernelINS0_14default_configENS1_38merge_sort_block_merge_config_selectorIalEEZZNS1_27merge_sort_block_merge_implIS3_PaN6thrust23THRUST_200600_302600_NS10device_ptrIlEEjNS1_19radix_merge_compareILb0ELb1EaNS0_19identity_decomposerEEEEE10hipError_tT0_T1_T2_jT3_P12ihipStream_tbPNSt15iterator_traitsISG_E10value_typeEPNSM_ISH_E10value_typeEPSI_NS1_7vsmem_tEENKUlT_SG_SH_SI_E_clIS7_S7_PlSB_EESF_SV_SG_SH_SI_EUlSV_E0_NS1_11comp_targetILNS1_3genE2ELNS1_11target_archE906ELNS1_3gpuE6ELNS1_3repE0EEENS1_38merge_mergepath_config_static_selectorELNS0_4arch9wavefront6targetE1EEEvSH_
; %bb.0:
	s_load_dwordx2 s[24:25], s[4:5], 0x40
	s_load_dword s1, s[4:5], 0x30
	s_add_u32 s22, s4, 64
	s_addc_u32 s23, s5, 0
	s_waitcnt lgkmcnt(0)
	s_mul_i32 s0, s25, s8
	s_add_i32 s0, s0, s7
	s_mul_i32 s0, s0, s24
	s_add_i32 s0, s0, s6
	s_cmp_ge_u32 s0, s1
	s_cbranch_scc1 .LBB547_46
; %bb.1:
	s_load_dwordx8 s[8:15], s[4:5], 0x10
	s_load_dwordx2 s[28:29], s[4:5], 0x8
	s_load_dwordx2 s[2:3], s[4:5], 0x38
	s_mov_b32 s1, 0
	v_mov_b32_e32 v1, 0
	s_waitcnt lgkmcnt(0)
	s_lshr_b32 s30, s14, 10
	s_cmp_lg_u32 s0, s30
	s_cselect_b64 s[18:19], -1, 0
	s_lshl_b64 s[16:17], s[0:1], 2
	s_add_u32 s16, s2, s16
	s_addc_u32 s17, s3, s17
	s_lshr_b32 s7, s15, 9
	s_and_b32 s7, s7, 0x7ffffe
	s_load_dwordx2 s[2:3], s[16:17], 0x0
	s_sub_i32 s7, 0, s7
	s_and_b32 s17, s0, s7
	s_lshl_b32 s21, s17, 10
	s_lshl_b32 s16, s0, 10
	;; [unrolled: 1-line block ×3, first 2 shown]
	s_sub_i32 s20, s16, s21
	s_add_i32 s17, s17, s15
	s_add_i32 s25, s17, s20
	s_waitcnt lgkmcnt(0)
	s_sub_i32 s20, s25, s2
	s_sub_i32 s25, s25, s3
	;; [unrolled: 1-line block ×3, first 2 shown]
	s_min_u32 s20, s14, s20
	s_addk_i32 s25, 0x400
	s_or_b32 s7, s0, s7
	s_min_u32 s21, s14, s17
	s_add_i32 s17, s17, s15
	s_cmp_eq_u32 s7, -1
	s_cselect_b32 s7, s17, s25
	s_cselect_b32 s3, s21, s3
	s_min_u32 s17, s7, s14
	s_sub_i32 s15, s3, s2
	s_add_u32 s26, s28, s2
	s_addc_u32 s27, s29, 0
	s_add_u32 s25, s28, s20
	global_load_dword v2, v1, s[22:23] offset:14
	s_addc_u32 s28, s29, 0
	s_cmp_lt_u32 s6, s24
	s_cselect_b32 s3, 12, 18
	s_add_u32 s6, s22, s3
	s_addc_u32 s7, s23, 0
	global_load_ushort v1, v1, s[6:7]
	s_mov_b32 s3, s1
	s_mov_b32 s21, s1
	s_cmp_eq_u32 s0, s30
	s_waitcnt vmcnt(1)
	v_lshrrev_b32_e32 v3, 16, v2
	v_and_b32_e32 v2, 0xffff, v2
	v_mul_lo_u32 v2, v2, v3
	s_waitcnt vmcnt(0)
	v_mul_lo_u32 v15, v2, v1
	v_add_u32_e32 v11, v15, v0
	v_add_u32_e32 v9, v11, v15
	s_cbranch_scc1 .LBB547_3
; %bb.2:
	v_mov_b32_e32 v1, s27
	v_add_co_u32_e32 v3, vcc, s26, v0
	v_addc_co_u32_e32 v1, vcc, 0, v1, vcc
	v_subrev_co_u32_e32 v2, vcc, s15, v0
	v_mov_b32_e32 v4, s28
	v_add_co_u32_e64 v5, s[0:1], s25, v2
	v_addc_co_u32_e64 v2, s[0:1], 0, v4, s[0:1]
	v_cndmask_b32_e32 v2, v2, v1, vcc
	v_cndmask_b32_e32 v1, v5, v3, vcc
	v_mov_b32_e32 v3, s27
	v_add_co_u32_e32 v5, vcc, s26, v11
	v_addc_co_u32_e32 v3, vcc, 0, v3, vcc
	v_subrev_co_u32_e32 v4, vcc, s15, v11
	v_mov_b32_e32 v6, s28
	v_add_co_u32_e64 v7, s[0:1], s25, v4
	v_addc_co_u32_e64 v4, s[0:1], 0, v6, s[0:1]
	v_cndmask_b32_e32 v4, v4, v3, vcc
	v_cndmask_b32_e32 v3, v7, v5, vcc
	;; [unrolled: 9-line block ×3, first 2 shown]
	global_load_ubyte v7, v[1:2], off
	global_load_ubyte v8, v[3:4], off
	;; [unrolled: 1-line block ×3, first 2 shown]
	s_mov_b32 s0, 0xc0c0004
	v_add_u32_e32 v1, v9, v15
	s_waitcnt vmcnt(1)
	v_perm_b32 v2, v7, v8, s0
	s_waitcnt vmcnt(0)
	v_lshl_or_b32 v14, v10, 16, v2
	s_mov_b64 s[0:1], -1
	s_sub_i32 s17, s17, s20
	s_cbranch_execz .LBB547_4
	s_branch .LBB547_9
.LBB547_3:
	s_mov_b64 s[0:1], 0
                                        ; implicit-def: $vgpr1
                                        ; implicit-def: $vgpr14
	s_sub_i32 s17, s17, s20
.LBB547_4:
	s_add_i32 s22, s17, s15
	v_cmp_gt_u32_e32 vcc, s22, v0
	v_mov_b32_e32 v14, 0
	s_and_saveexec_b64 s[6:7], vcc
	s_cbranch_execnz .LBB547_47
; %bb.5:
	s_or_b64 exec, exec, s[6:7]
	v_cmp_gt_u32_e32 vcc, s22, v11
	s_and_saveexec_b64 s[6:7], vcc
	s_cbranch_execnz .LBB547_48
.LBB547_6:
	s_or_b64 exec, exec, s[6:7]
	v_cmp_gt_u32_e32 vcc, s22, v9
	s_and_saveexec_b64 s[6:7], vcc
	s_cbranch_execz .LBB547_8
.LBB547_7:
	v_mov_b32_e32 v1, s27
	v_add_co_u32_e32 v3, vcc, s26, v9
	v_addc_co_u32_e32 v1, vcc, 0, v1, vcc
	v_subrev_co_u32_e32 v2, vcc, s15, v9
	v_mov_b32_e32 v4, s28
	v_add_co_u32_e64 v5, s[0:1], s25, v2
	v_addc_co_u32_e64 v2, s[0:1], 0, v4, s[0:1]
	v_cndmask_b32_e32 v2, v2, v1, vcc
	v_cndmask_b32_e32 v1, v5, v3, vcc
	global_load_ubyte v1, v[1:2], off
	s_waitcnt vmcnt(0)
	v_lshl_or_b32 v14, v1, 16, v14
.LBB547_8:
	s_or_b64 exec, exec, s[6:7]
	v_add_u32_e32 v1, v9, v15
	v_cmp_gt_u32_e64 s[0:1], s22, v1
.LBB547_9:
	s_and_saveexec_b64 s[6:7], s[0:1]
	s_cbranch_execz .LBB547_11
; %bb.10:
	v_mov_b32_e32 v2, s27
	v_add_co_u32_e32 v3, vcc, s26, v1
	v_addc_co_u32_e32 v2, vcc, 0, v2, vcc
	v_subrev_co_u32_e32 v1, vcc, s15, v1
	v_mov_b32_e32 v4, s28
	v_add_co_u32_e64 v1, s[0:1], s25, v1
	v_addc_co_u32_e64 v4, s[0:1], 0, v4, s[0:1]
	v_cndmask_b32_e32 v2, v4, v2, vcc
	v_cndmask_b32_e32 v1, v1, v3, vcc
	global_load_ubyte v1, v[1:2], off
	s_mov_b32 s0, 0x60504
	s_waitcnt vmcnt(0)
	v_perm_b32 v14, v14, v1, s0
.LBB547_11:
	s_or_b64 exec, exec, s[6:7]
	s_lshl_b64 s[0:1], s[2:3], 3
	s_add_u32 s22, s10, s0
	s_addc_u32 s23, s11, s1
	s_lshl_b64 s[0:1], s[20:21], 3
	s_add_u32 s6, s10, s0
	s_waitcnt vmcnt(0)
	v_lshrrev_b32_e32 v16, 16, v14
	v_mov_b32_e32 v8, 0
	v_lshrrev_b32_e32 v17, 8, v14
	v_lshrrev_b32_e32 v18, 24, v14
	s_addc_u32 s7, s11, s1
	s_andn2_b64 vcc, exec, s[18:19]
	v_lshlrev_b32_e32 v13, 3, v0
	ds_write_b8 v0, v14
	ds_write_b8 v0, v17 offset:256
	ds_write_b8 v0, v16 offset:512
	;; [unrolled: 1-line block ×3, first 2 shown]
	s_cbranch_vccnz .LBB547_13
; %bb.12:
	v_mov_b32_e32 v1, s23
	v_add_co_u32_e32 v3, vcc, s22, v13
	v_addc_co_u32_e32 v4, vcc, 0, v1, vcc
	v_subrev_co_u32_e32 v7, vcc, s15, v0
	v_lshlrev_b64 v[1:2], 3, v[7:8]
	v_mov_b32_e32 v5, s7
	v_add_co_u32_e64 v1, s[0:1], s6, v1
	v_addc_co_u32_e64 v2, s[0:1], v5, v2, s[0:1]
	v_mov_b32_e32 v12, v8
	v_cndmask_b32_e32 v2, v2, v4, vcc
	v_cndmask_b32_e32 v1, v1, v3, vcc
	v_lshlrev_b64 v[3:4], 3, v[11:12]
	v_mov_b32_e32 v5, s23
	v_add_co_u32_e32 v6, vcc, s22, v3
	v_addc_co_u32_e32 v5, vcc, v5, v4, vcc
	v_subrev_co_u32_e32 v7, vcc, s15, v11
	v_lshlrev_b64 v[3:4], 3, v[7:8]
	v_mov_b32_e32 v7, s7
	v_add_co_u32_e64 v3, s[0:1], s6, v3
	v_addc_co_u32_e64 v4, s[0:1], v7, v4, s[0:1]
	v_mov_b32_e32 v10, v8
	v_cndmask_b32_e32 v4, v4, v5, vcc
	v_cndmask_b32_e32 v3, v3, v6, vcc
	v_lshlrev_b64 v[5:6], 3, v[9:10]
	v_mov_b32_e32 v7, s23
	v_add_co_u32_e32 v10, vcc, s22, v5
	v_addc_co_u32_e32 v12, vcc, v7, v6, vcc
	v_subrev_co_u32_e32 v7, vcc, s15, v9
	v_lshlrev_b64 v[5:6], 3, v[7:8]
	v_mov_b32_e32 v7, s7
	v_add_co_u32_e64 v5, s[0:1], s6, v5
	v_addc_co_u32_e64 v6, s[0:1], v7, v6, s[0:1]
	v_add_u32_e32 v7, v9, v15
	v_lshlrev_b64 v[19:20], 3, v[7:8]
	v_cndmask_b32_e32 v6, v6, v12, vcc
	v_cndmask_b32_e32 v5, v5, v10, vcc
	v_mov_b32_e32 v10, s23
	v_add_co_u32_e32 v12, vcc, s22, v19
	v_addc_co_u32_e32 v10, vcc, v10, v20, vcc
	v_subrev_co_u32_e32 v7, vcc, s15, v7
	v_lshlrev_b64 v[7:8], 3, v[7:8]
	v_mov_b32_e32 v19, s7
	v_add_co_u32_e64 v7, s[0:1], s6, v7
	v_addc_co_u32_e64 v8, s[0:1], v19, v8, s[0:1]
	v_cndmask_b32_e32 v8, v8, v10, vcc
	v_cndmask_b32_e32 v7, v7, v12, vcc
	global_load_dwordx2 v[1:2], v[1:2], off
	s_add_i32 s10, s17, s15
	global_load_dwordx2 v[3:4], v[3:4], off
	s_nop 0
	global_load_dwordx2 v[5:6], v[5:6], off
	s_nop 0
	global_load_dwordx2 v[7:8], v[7:8], off
	s_cbranch_execz .LBB547_14
	s_branch .LBB547_21
.LBB547_13:
                                        ; implicit-def: $vgpr1_vgpr2_vgpr3_vgpr4_vgpr5_vgpr6_vgpr7_vgpr8
                                        ; implicit-def: $sgpr10
.LBB547_14:
	s_add_i32 s10, s17, s15
	s_waitcnt vmcnt(3)
	v_mov_b32_e32 v1, 0
	v_cmp_gt_u32_e32 vcc, s10, v0
	v_mov_b32_e32 v2, v1
	s_waitcnt vmcnt(2)
	v_mov_b32_e32 v3, v1
	v_mov_b32_e32 v4, v1
	s_waitcnt vmcnt(1)
	v_mov_b32_e32 v5, v1
	;; [unrolled: 3-line block ×3, first 2 shown]
	v_mov_b32_e32 v8, v1
	s_and_saveexec_b64 s[2:3], vcc
	s_cbranch_execnz .LBB547_49
; %bb.15:
	s_or_b64 exec, exec, s[2:3]
	v_cmp_gt_u32_e32 vcc, s10, v11
	s_and_saveexec_b64 s[2:3], vcc
	s_cbranch_execnz .LBB547_50
.LBB547_16:
	s_or_b64 exec, exec, s[2:3]
	v_cmp_gt_u32_e32 vcc, s10, v9
	s_and_saveexec_b64 s[2:3], vcc
	s_cbranch_execz .LBB547_18
.LBB547_17:
	v_mov_b32_e32 v10, 0
	v_lshlrev_b64 v[5:6], 3, v[9:10]
	v_mov_b32_e32 v11, s23
	v_add_co_u32_e32 v12, vcc, s22, v5
	v_addc_co_u32_e32 v11, vcc, v11, v6, vcc
	v_subrev_co_u32_e32 v5, vcc, s15, v9
	v_mov_b32_e32 v6, v10
	v_lshlrev_b64 v[5:6], 3, v[5:6]
	v_mov_b32_e32 v10, s7
	v_add_co_u32_e64 v5, s[0:1], s6, v5
	v_addc_co_u32_e64 v6, s[0:1], v10, v6, s[0:1]
	v_cndmask_b32_e32 v6, v6, v11, vcc
	v_cndmask_b32_e32 v5, v5, v12, vcc
	global_load_dwordx2 v[5:6], v[5:6], off
.LBB547_18:
	s_or_b64 exec, exec, s[2:3]
	v_add_u32_e32 v9, v9, v15
	v_cmp_gt_u32_e32 vcc, s10, v9
	s_and_saveexec_b64 s[2:3], vcc
	s_cbranch_execz .LBB547_20
; %bb.19:
	v_mov_b32_e32 v10, 0
	v_lshlrev_b64 v[7:8], 3, v[9:10]
	v_mov_b32_e32 v11, s23
	v_add_co_u32_e32 v12, vcc, s22, v7
	v_addc_co_u32_e32 v11, vcc, v11, v8, vcc
	v_subrev_co_u32_e32 v9, vcc, s15, v9
	v_lshlrev_b64 v[7:8], 3, v[9:10]
	v_mov_b32_e32 v9, s7
	v_add_co_u32_e64 v7, s[0:1], s6, v7
	v_addc_co_u32_e64 v8, s[0:1], v9, v8, s[0:1]
	v_cndmask_b32_e32 v8, v8, v11, vcc
	v_cndmask_b32_e32 v7, v7, v12, vcc
	global_load_dwordx2 v[7:8], v[7:8], off
.LBB547_20:
	s_or_b64 exec, exec, s[2:3]
.LBB547_21:
	s_load_dword s11, s[4:5], 0x34
	v_lshlrev_b32_e32 v11, 2, v0
	v_min_u32_e32 v10, s10, v11
	v_sub_u32_e64 v9, v10, s17 clamp
	v_min_u32_e32 v12, s15, v10
	v_cmp_lt_u32_e32 vcc, v9, v12
	s_waitcnt vmcnt(0) lgkmcnt(0)
	s_barrier
	s_and_saveexec_b64 s[0:1], vcc
	s_cbranch_execz .LBB547_25
; %bb.22:
	v_add_u32_e32 v15, s15, v10
	s_mov_b64 s[2:3], 0
.LBB547_23:                             ; =>This Inner Loop Header: Depth=1
	v_add_u32_e32 v19, v12, v9
	v_lshrrev_b32_e32 v19, 1, v19
	v_xad_u32 v20, v19, -1, v15
	ds_read_u8 v21, v19
	ds_read_u8 v20, v20
	v_add_u32_e32 v22, 1, v19
	s_waitcnt lgkmcnt(1)
	v_and_b32_e32 v21, s11, v21
	s_waitcnt lgkmcnt(0)
	v_and_b32_e32 v20, s11, v20
	v_cmp_gt_i16_sdwa vcc, sext(v21), sext(v20) src0_sel:BYTE_0 src1_sel:BYTE_0
	v_cndmask_b32_e32 v12, v12, v19, vcc
	v_cndmask_b32_e32 v9, v22, v9, vcc
	v_cmp_ge_u32_e32 vcc, v9, v12
	s_or_b64 s[2:3], vcc, s[2:3]
	s_andn2_b64 exec, exec, s[2:3]
	s_cbranch_execnz .LBB547_23
; %bb.24:
	s_or_b64 exec, exec, s[2:3]
.LBB547_25:
	s_or_b64 exec, exec, s[0:1]
	v_sub_u32_e32 v10, v10, v9
	v_add_u32_e32 v19, s15, v10
	v_cmp_ge_u32_e32 vcc, s15, v9
	v_cmp_ge_u32_e64 s[0:1], s10, v19
	s_or_b64 s[0:1], vcc, s[0:1]
	v_mov_b32_e32 v20, 0
	v_mov_b32_e32 v15, 0
	;; [unrolled: 1-line block ×4, first 2 shown]
	s_and_saveexec_b64 s[6:7], s[0:1]
	s_cbranch_execz .LBB547_31
; %bb.26:
	v_cmp_gt_u32_e32 vcc, s15, v9
                                        ; implicit-def: $vgpr14
	s_and_saveexec_b64 s[0:1], vcc
; %bb.27:
	ds_read_u8 v14, v9
; %bb.28:
	s_or_b64 exec, exec, s[0:1]
	v_cmp_le_u32_e64 s[0:1], s10, v19
	v_cmp_gt_u32_e64 s[2:3], s10, v19
                                        ; implicit-def: $vgpr16
	s_and_saveexec_b64 s[4:5], s[2:3]
; %bb.29:
	ds_read_u8 v16, v19
; %bb.30:
	s_or_b64 exec, exec, s[4:5]
	s_waitcnt lgkmcnt(0)
	v_and_b32_e32 v10, s11, v16
	v_and_b32_e32 v12, s11, v14
	v_cmp_le_i16_sdwa s[2:3], sext(v12), sext(v10) src0_sel:BYTE_0 src1_sel:BYTE_0
	s_and_b64 s[2:3], vcc, s[2:3]
	s_or_b64 vcc, s[0:1], s[2:3]
	v_mov_b32_e32 v17, s10
	v_mov_b32_e32 v18, s15
	v_cndmask_b32_e32 v10, v19, v9, vcc
	v_cndmask_b32_e32 v12, v17, v18, vcc
	v_add_u32_e32 v15, 1, v10
	v_add_u32_e32 v12, -1, v12
	v_min_u32_e32 v12, v15, v12
	ds_read_u8 v12, v12
	v_cndmask_b32_e32 v19, v15, v19, vcc
	v_cndmask_b32_e32 v9, v9, v15, vcc
	v_cmp_gt_u32_e64 s[2:3], s15, v9
	v_cmp_le_u32_e64 s[0:1], s10, v19
	s_waitcnt lgkmcnt(0)
	v_cndmask_b32_e32 v20, v12, v16, vcc
	v_cndmask_b32_e32 v21, v14, v12, vcc
	v_and_b32_e32 v12, s11, v20
	v_and_b32_e32 v15, s11, v21
	v_cmp_le_i16_sdwa s[4:5], sext(v15), sext(v12) src0_sel:BYTE_0 src1_sel:BYTE_0
	s_and_b64 s[2:3], s[2:3], s[4:5]
	s_or_b64 s[0:1], s[0:1], s[2:3]
	v_cndmask_b32_e64 v12, v19, v9, s[0:1]
	v_cndmask_b32_e64 v15, v17, v18, s[0:1]
	v_add_u32_e32 v22, 1, v12
	v_add_u32_e32 v15, -1, v15
	v_min_u32_e32 v15, v22, v15
	ds_read_u8 v15, v15
	v_cndmask_b32_e64 v19, v22, v19, s[0:1]
	v_cndmask_b32_e64 v9, v9, v22, s[0:1]
	v_cmp_gt_u32_e64 s[4:5], s15, v9
	v_cmp_le_u32_e64 s[2:3], s10, v19
	s_waitcnt lgkmcnt(0)
	v_cndmask_b32_e64 v23, v15, v20, s[0:1]
	v_cndmask_b32_e64 v24, v21, v15, s[0:1]
	v_and_b32_e32 v15, s11, v23
	v_and_b32_e32 v22, s11, v24
	v_cmp_le_i16_sdwa s[20:21], sext(v22), sext(v15) src0_sel:BYTE_0 src1_sel:BYTE_0
	s_and_b64 s[4:5], s[4:5], s[20:21]
	s_or_b64 s[2:3], s[2:3], s[4:5]
	v_cndmask_b32_e64 v15, v19, v9, s[2:3]
	v_cndmask_b32_e64 v17, v17, v18, s[2:3]
	v_add_u32_e32 v18, 1, v15
	v_add_u32_e32 v17, -1, v17
	v_min_u32_e32 v17, v18, v17
	ds_read_u8 v22, v17
	v_cndmask_b32_e64 v17, v20, v21, s[0:1]
	v_cndmask_b32_e64 v19, v18, v19, s[2:3]
	;; [unrolled: 1-line block ×3, first 2 shown]
	v_cndmask_b32_e32 v14, v16, v14, vcc
	s_waitcnt lgkmcnt(0)
	v_cndmask_b32_e64 v21, v22, v23, s[2:3]
	v_cndmask_b32_e64 v22, v24, v22, s[2:3]
	v_and_b32_e32 v18, s11, v21
	v_and_b32_e32 v20, s11, v22
	v_cndmask_b32_e64 v16, v23, v24, s[2:3]
	v_cmp_gt_u32_e64 s[0:1], s15, v9
	v_cmp_le_i16_sdwa s[2:3], sext(v20), sext(v18) src0_sel:BYTE_0 src1_sel:BYTE_0
	v_cmp_le_u32_e32 vcc, s10, v19
	s_and_b64 s[0:1], s[0:1], s[2:3]
	s_or_b64 vcc, vcc, s[0:1]
	v_cndmask_b32_e32 v20, v19, v9, vcc
	v_cndmask_b32_e32 v18, v21, v22, vcc
.LBB547_31:
	s_or_b64 exec, exec, s[6:7]
	v_mad_u32_u24 v9, v0, 7, v0
	s_barrier
	ds_write2st64_b64 v9, v[1:2], v[3:4] offset1:4
	ds_write2st64_b64 v9, v[5:6], v[7:8] offset0:8 offset1:12
	v_lshlrev_b32_e32 v1, 3, v10
	v_lshlrev_b32_e32 v2, 3, v12
	;; [unrolled: 1-line block ×4, first 2 shown]
	s_waitcnt lgkmcnt(0)
	s_barrier
	ds_read_b64 v[5:6], v1
	ds_read_b64 v[7:8], v2
	;; [unrolled: 1-line block ×4, first 2 shown]
	v_lshrrev_b32_e32 v19, 3, v0
	s_mov_b32 s2, 0xc0c0004
	s_add_u32 s0, s8, s16
	v_and_b32_e32 v9, 28, v19
	v_perm_b32 v10, v14, v17, s2
	v_perm_b32 v12, v16, v18, s2
	s_addc_u32 s1, s9, 0
	v_add_u32_e32 v9, v9, v11
	v_lshl_or_b32 v10, v12, 16, v10
	v_or_b32_e32 v22, 0x100, v0
	v_or_b32_e32 v21, 0x200, v0
	;; [unrolled: 1-line block ×3, first 2 shown]
	s_waitcnt lgkmcnt(0)
	s_barrier
	s_barrier
	ds_write_b32 v9, v10
	v_lshrrev_b32_e32 v15, 5, v22
	v_lshrrev_b32_e32 v16, 5, v21
	;; [unrolled: 1-line block ×3, first 2 shown]
	v_mov_b32_e32 v10, s1
	v_add_co_u32_e32 v9, vcc, s0, v0
	v_lshrrev_b32_e32 v14, 5, v0
	v_and_b32_e32 v12, 12, v15
	v_and_b32_e32 v18, 20, v16
	;; [unrolled: 1-line block ×3, first 2 shown]
	v_addc_co_u32_e32 v10, vcc, 0, v10, vcc
	s_mov_b32 s17, 0
	v_and_b32_e32 v23, 4, v14
	s_and_b64 vcc, exec, s[18:19]
	v_add_u32_e32 v24, v12, v0
	v_add_u32_e32 v25, v18, v0
	;; [unrolled: 1-line block ×3, first 2 shown]
	v_lshlrev_b32_e32 v18, 3, v11
	s_waitcnt lgkmcnt(0)
	s_cbranch_vccz .LBB547_33
; %bb.32:
	v_add_u32_e32 v11, v23, v0
	s_barrier
	ds_read_u8 v11, v11
	ds_read_u8 v12, v24 offset:256
	ds_read_u8 v27, v25 offset:512
	;; [unrolled: 1-line block ×3, first 2 shown]
	s_lshl_b64 s[0:1], s[16:17], 3
	s_add_u32 s0, s12, s0
	s_waitcnt lgkmcnt(3)
	global_store_byte v[9:10], v11, off
	s_waitcnt lgkmcnt(2)
	global_store_byte v[9:10], v12, off offset:256
	s_waitcnt lgkmcnt(1)
	global_store_byte v[9:10], v27, off offset:512
	;; [unrolled: 2-line block ×3, first 2 shown]
	v_lshl_add_u32 v11, v19, 3, v18
	s_waitcnt vmcnt(0)
	s_barrier
	ds_write2_b64 v11, v[5:6], v[7:8] offset1:1
	ds_write2_b64 v11, v[1:2], v[3:4] offset0:2 offset1:3
	v_lshl_add_u32 v11, v14, 3, v13
	v_lshl_add_u32 v12, v15, 3, v13
	v_lshl_add_u32 v31, v16, 3, v13
	s_addc_u32 s1, s13, s1
	s_waitcnt lgkmcnt(0)
	s_barrier
	v_lshl_add_u32 v33, v17, 3, v13
	ds_read_b64 v[27:28], v11
	ds_read_b64 v[29:30], v12 offset:2048
	ds_read_b64 v[31:32], v31 offset:4096
	;; [unrolled: 1-line block ×3, first 2 shown]
	v_mov_b32_e32 v33, s1
	v_add_co_u32_e32 v34, vcc, s0, v13
	v_addc_co_u32_e32 v33, vcc, 0, v33, vcc
	s_waitcnt lgkmcnt(3)
	global_store_dwordx2 v13, v[27:28], s[0:1]
	s_waitcnt lgkmcnt(2)
	global_store_dwordx2 v13, v[29:30], s[0:1] offset:2048
	v_add_co_u32_e32 v27, vcc, 0x1000, v34
	v_addc_co_u32_e32 v28, vcc, 0, v33, vcc
	s_waitcnt lgkmcnt(1)
	global_store_dwordx2 v[27:28], v[31:32], off
	s_mov_b64 s[6:7], -1
	s_cbranch_execz .LBB547_34
	s_branch .LBB547_44
.LBB547_33:
	s_mov_b64 s[6:7], 0
                                        ; implicit-def: $vgpr11_vgpr12
.LBB547_34:
	s_waitcnt vmcnt(0) lgkmcnt(0)
	s_barrier
	ds_read_u8 v24, v24 offset:256
	ds_read_u8 v12, v25 offset:512
	;; [unrolled: 1-line block ×3, first 2 shown]
	s_sub_i32 s6, s14, s16
	v_cmp_gt_u32_e32 vcc, s6, v0
	s_and_saveexec_b64 s[0:1], vcc
	s_cbranch_execnz .LBB547_51
; %bb.35:
	s_or_b64 exec, exec, s[0:1]
	v_cmp_gt_u32_e64 s[0:1], s6, v22
	s_and_saveexec_b64 s[2:3], s[0:1]
	s_cbranch_execnz .LBB547_52
.LBB547_36:
	s_or_b64 exec, exec, s[2:3]
	v_cmp_gt_u32_e64 s[2:3], s6, v21
	s_and_saveexec_b64 s[4:5], s[2:3]
	s_cbranch_execnz .LBB547_53
.LBB547_37:
	s_or_b64 exec, exec, s[4:5]
	v_cmp_gt_u32_e64 s[6:7], s6, v20
	s_and_saveexec_b64 s[4:5], s[6:7]
	s_cbranch_execz .LBB547_39
.LBB547_38:
	s_waitcnt lgkmcnt(0)
	global_store_byte v[9:10], v11, off offset:768
.LBB547_39:
	s_or_b64 exec, exec, s[4:5]
	v_lshl_add_u32 v0, v19, 3, v18
	s_waitcnt vmcnt(0) lgkmcnt(0)
	s_barrier
	ds_write2_b64 v0, v[5:6], v[7:8] offset1:1
	ds_write2_b64 v0, v[1:2], v[3:4] offset0:2 offset1:3
	v_lshl_add_u32 v0, v15, 3, v13
	v_lshl_add_u32 v1, v16, 3, v13
	s_waitcnt lgkmcnt(0)
	s_barrier
	v_lshl_add_u32 v2, v17, 3, v13
	ds_read_b64 v[4:5], v0 offset:2048
	ds_read_b64 v[0:1], v1 offset:4096
	ds_read_b64 v[11:12], v2 offset:6144
	s_lshl_b64 s[4:5], s[16:17], 3
	s_add_u32 s4, s12, s4
	s_addc_u32 s5, s13, s5
	v_mov_b32_e32 v3, s5
	v_add_co_u32_e64 v2, s[4:5], s4, v13
	v_addc_co_u32_e64 v3, s[4:5], 0, v3, s[4:5]
	s_and_saveexec_b64 s[4:5], vcc
	s_cbranch_execnz .LBB547_54
; %bb.40:
	s_or_b64 exec, exec, s[4:5]
	s_and_saveexec_b64 s[4:5], s[0:1]
	s_cbranch_execnz .LBB547_55
.LBB547_41:
	s_or_b64 exec, exec, s[4:5]
	s_and_saveexec_b64 s[0:1], s[2:3]
	s_cbranch_execz .LBB547_43
.LBB547_42:
	v_add_co_u32_e32 v2, vcc, 0x1000, v2
	v_addc_co_u32_e32 v3, vcc, 0, v3, vcc
	s_waitcnt lgkmcnt(1)
	global_store_dwordx2 v[2:3], v[0:1], off
.LBB547_43:
	s_or_b64 exec, exec, s[0:1]
.LBB547_44:
	s_and_saveexec_b64 s[0:1], s[6:7]
	s_cbranch_execz .LBB547_46
; %bb.45:
	s_lshl_b64 s[0:1], s[16:17], 3
	s_add_u32 s0, s12, s0
	s_addc_u32 s1, s13, s1
	s_waitcnt lgkmcnt(1)
	v_mov_b32_e32 v0, s1
	v_add_co_u32_e32 v1, vcc, s0, v13
	v_addc_co_u32_e32 v2, vcc, 0, v0, vcc
	v_add_co_u32_e32 v0, vcc, 0x1000, v1
	v_addc_co_u32_e32 v1, vcc, 0, v2, vcc
	s_waitcnt lgkmcnt(0)
	global_store_dwordx2 v[0:1], v[11:12], off offset:2048
.LBB547_46:
	s_endpgm
.LBB547_47:
	v_mov_b32_e32 v1, s27
	v_add_co_u32_e32 v3, vcc, s26, v0
	v_addc_co_u32_e32 v1, vcc, 0, v1, vcc
	v_subrev_co_u32_e32 v2, vcc, s15, v0
	v_mov_b32_e32 v4, s28
	v_add_co_u32_e64 v5, s[0:1], s25, v2
	v_addc_co_u32_e64 v2, s[0:1], 0, v4, s[0:1]
	v_cndmask_b32_e32 v2, v2, v1, vcc
	v_cndmask_b32_e32 v1, v5, v3, vcc
	global_load_ubyte v14, v[1:2], off
	s_or_b64 exec, exec, s[6:7]
	v_cmp_gt_u32_e32 vcc, s22, v11
	s_and_saveexec_b64 s[6:7], vcc
	s_cbranch_execz .LBB547_6
.LBB547_48:
	v_mov_b32_e32 v1, s27
	v_add_co_u32_e32 v3, vcc, s26, v11
	v_addc_co_u32_e32 v1, vcc, 0, v1, vcc
	v_subrev_co_u32_e32 v2, vcc, s15, v11
	v_mov_b32_e32 v4, s28
	v_add_co_u32_e64 v5, s[0:1], s25, v2
	v_addc_co_u32_e64 v2, s[0:1], 0, v4, s[0:1]
	v_cndmask_b32_e32 v2, v2, v1, vcc
	v_cndmask_b32_e32 v1, v5, v3, vcc
	global_load_ubyte v1, v[1:2], off
	s_waitcnt vmcnt(0)
	v_lshlrev_b16_e32 v1, 8, v1
	v_or_b32_e32 v1, v14, v1
	v_and_b32_e32 v14, 0xffff, v1
	s_or_b64 exec, exec, s[6:7]
	v_cmp_gt_u32_e32 vcc, s22, v9
	s_and_saveexec_b64 s[6:7], vcc
	s_cbranch_execnz .LBB547_7
	s_branch .LBB547_8
.LBB547_49:
	v_mov_b32_e32 v2, s23
	v_add_co_u32_e32 v4, vcc, s22, v13
	v_addc_co_u32_e32 v5, vcc, 0, v2, vcc
	v_subrev_co_u32_e32 v2, vcc, s15, v0
	v_mov_b32_e32 v3, v1
	v_lshlrev_b64 v[2:3], 3, v[2:3]
	v_mov_b32_e32 v6, s7
	v_add_co_u32_e64 v2, s[0:1], s6, v2
	v_addc_co_u32_e64 v3, s[0:1], v6, v3, s[0:1]
	v_cndmask_b32_e32 v3, v3, v5, vcc
	v_cndmask_b32_e32 v2, v2, v4, vcc
	global_load_dwordx2 v[19:20], v[2:3], off
	v_mov_b32_e32 v21, v1
	v_mov_b32_e32 v22, v1
	;; [unrolled: 1-line block ×6, first 2 shown]
	s_waitcnt vmcnt(0)
	v_mov_b32_e32 v1, v19
	v_mov_b32_e32 v2, v20
	v_mov_b32_e32 v3, v21
	v_mov_b32_e32 v4, v22
	v_mov_b32_e32 v5, v23
	v_mov_b32_e32 v6, v24
	v_mov_b32_e32 v7, v25
	v_mov_b32_e32 v8, v26
	s_or_b64 exec, exec, s[2:3]
	v_cmp_gt_u32_e32 vcc, s10, v11
	s_and_saveexec_b64 s[2:3], vcc
	s_cbranch_execz .LBB547_16
.LBB547_50:
	v_mov_b32_e32 v12, 0
	v_lshlrev_b64 v[3:4], 3, v[11:12]
	v_mov_b32_e32 v10, s23
	v_add_co_u32_e32 v19, vcc, s22, v3
	v_addc_co_u32_e32 v10, vcc, v10, v4, vcc
	v_subrev_co_u32_e32 v11, vcc, s15, v11
	v_lshlrev_b64 v[3:4], 3, v[11:12]
	v_mov_b32_e32 v11, s7
	v_add_co_u32_e64 v3, s[0:1], s6, v3
	v_addc_co_u32_e64 v4, s[0:1], v11, v4, s[0:1]
	v_cndmask_b32_e32 v4, v4, v10, vcc
	v_cndmask_b32_e32 v3, v3, v19, vcc
	global_load_dwordx2 v[3:4], v[3:4], off
	s_or_b64 exec, exec, s[2:3]
	v_cmp_gt_u32_e32 vcc, s10, v9
	s_and_saveexec_b64 s[2:3], vcc
	s_cbranch_execnz .LBB547_17
	s_branch .LBB547_18
.LBB547_51:
	v_add_u32_e32 v0, v23, v0
	ds_read_u8 v0, v0
	s_waitcnt lgkmcnt(0)
	global_store_byte v[9:10], v0, off
	s_or_b64 exec, exec, s[0:1]
	v_cmp_gt_u32_e64 s[0:1], s6, v22
	s_and_saveexec_b64 s[2:3], s[0:1]
	s_cbranch_execz .LBB547_36
.LBB547_52:
	s_waitcnt lgkmcnt(2)
	global_store_byte v[9:10], v24, off offset:256
	s_or_b64 exec, exec, s[2:3]
	v_cmp_gt_u32_e64 s[2:3], s6, v21
	s_and_saveexec_b64 s[4:5], s[2:3]
	s_cbranch_execz .LBB547_37
.LBB547_53:
	s_waitcnt lgkmcnt(1)
	global_store_byte v[9:10], v12, off offset:512
	s_or_b64 exec, exec, s[4:5]
	v_cmp_gt_u32_e64 s[6:7], s6, v20
	s_and_saveexec_b64 s[4:5], s[6:7]
	s_cbranch_execnz .LBB547_38
	s_branch .LBB547_39
.LBB547_54:
	v_lshl_add_u32 v6, v14, 3, v13
	ds_read_b64 v[6:7], v6
	s_waitcnt lgkmcnt(0)
	global_store_dwordx2 v[2:3], v[6:7], off
	s_or_b64 exec, exec, s[4:5]
	s_and_saveexec_b64 s[4:5], s[0:1]
	s_cbranch_execz .LBB547_41
.LBB547_55:
	s_waitcnt lgkmcnt(2)
	global_store_dwordx2 v[2:3], v[4:5], off offset:2048
	s_or_b64 exec, exec, s[4:5]
	s_and_saveexec_b64 s[0:1], s[2:3]
	s_cbranch_execnz .LBB547_42
	s_branch .LBB547_43
	.section	.rodata,"a",@progbits
	.p2align	6, 0x0
	.amdhsa_kernel _ZN7rocprim17ROCPRIM_400000_NS6detail17trampoline_kernelINS0_14default_configENS1_38merge_sort_block_merge_config_selectorIalEEZZNS1_27merge_sort_block_merge_implIS3_PaN6thrust23THRUST_200600_302600_NS10device_ptrIlEEjNS1_19radix_merge_compareILb0ELb1EaNS0_19identity_decomposerEEEEE10hipError_tT0_T1_T2_jT3_P12ihipStream_tbPNSt15iterator_traitsISG_E10value_typeEPNSM_ISH_E10value_typeEPSI_NS1_7vsmem_tEENKUlT_SG_SH_SI_E_clIS7_S7_PlSB_EESF_SV_SG_SH_SI_EUlSV_E0_NS1_11comp_targetILNS1_3genE2ELNS1_11target_archE906ELNS1_3gpuE6ELNS1_3repE0EEENS1_38merge_mergepath_config_static_selectorELNS0_4arch9wavefront6targetE1EEEvSH_
		.amdhsa_group_segment_fixed_size 8448
		.amdhsa_private_segment_fixed_size 0
		.amdhsa_kernarg_size 320
		.amdhsa_user_sgpr_count 6
		.amdhsa_user_sgpr_private_segment_buffer 1
		.amdhsa_user_sgpr_dispatch_ptr 0
		.amdhsa_user_sgpr_queue_ptr 0
		.amdhsa_user_sgpr_kernarg_segment_ptr 1
		.amdhsa_user_sgpr_dispatch_id 0
		.amdhsa_user_sgpr_flat_scratch_init 0
		.amdhsa_user_sgpr_private_segment_size 0
		.amdhsa_uses_dynamic_stack 0
		.amdhsa_system_sgpr_private_segment_wavefront_offset 0
		.amdhsa_system_sgpr_workgroup_id_x 1
		.amdhsa_system_sgpr_workgroup_id_y 1
		.amdhsa_system_sgpr_workgroup_id_z 1
		.amdhsa_system_sgpr_workgroup_info 0
		.amdhsa_system_vgpr_workitem_id 0
		.amdhsa_next_free_vgpr 35
		.amdhsa_next_free_sgpr 77
		.amdhsa_reserve_vcc 1
		.amdhsa_reserve_flat_scratch 0
		.amdhsa_float_round_mode_32 0
		.amdhsa_float_round_mode_16_64 0
		.amdhsa_float_denorm_mode_32 3
		.amdhsa_float_denorm_mode_16_64 3
		.amdhsa_dx10_clamp 1
		.amdhsa_ieee_mode 1
		.amdhsa_fp16_overflow 0
		.amdhsa_exception_fp_ieee_invalid_op 0
		.amdhsa_exception_fp_denorm_src 0
		.amdhsa_exception_fp_ieee_div_zero 0
		.amdhsa_exception_fp_ieee_overflow 0
		.amdhsa_exception_fp_ieee_underflow 0
		.amdhsa_exception_fp_ieee_inexact 0
		.amdhsa_exception_int_div_zero 0
	.end_amdhsa_kernel
	.section	.text._ZN7rocprim17ROCPRIM_400000_NS6detail17trampoline_kernelINS0_14default_configENS1_38merge_sort_block_merge_config_selectorIalEEZZNS1_27merge_sort_block_merge_implIS3_PaN6thrust23THRUST_200600_302600_NS10device_ptrIlEEjNS1_19radix_merge_compareILb0ELb1EaNS0_19identity_decomposerEEEEE10hipError_tT0_T1_T2_jT3_P12ihipStream_tbPNSt15iterator_traitsISG_E10value_typeEPNSM_ISH_E10value_typeEPSI_NS1_7vsmem_tEENKUlT_SG_SH_SI_E_clIS7_S7_PlSB_EESF_SV_SG_SH_SI_EUlSV_E0_NS1_11comp_targetILNS1_3genE2ELNS1_11target_archE906ELNS1_3gpuE6ELNS1_3repE0EEENS1_38merge_mergepath_config_static_selectorELNS0_4arch9wavefront6targetE1EEEvSH_,"axG",@progbits,_ZN7rocprim17ROCPRIM_400000_NS6detail17trampoline_kernelINS0_14default_configENS1_38merge_sort_block_merge_config_selectorIalEEZZNS1_27merge_sort_block_merge_implIS3_PaN6thrust23THRUST_200600_302600_NS10device_ptrIlEEjNS1_19radix_merge_compareILb0ELb1EaNS0_19identity_decomposerEEEEE10hipError_tT0_T1_T2_jT3_P12ihipStream_tbPNSt15iterator_traitsISG_E10value_typeEPNSM_ISH_E10value_typeEPSI_NS1_7vsmem_tEENKUlT_SG_SH_SI_E_clIS7_S7_PlSB_EESF_SV_SG_SH_SI_EUlSV_E0_NS1_11comp_targetILNS1_3genE2ELNS1_11target_archE906ELNS1_3gpuE6ELNS1_3repE0EEENS1_38merge_mergepath_config_static_selectorELNS0_4arch9wavefront6targetE1EEEvSH_,comdat
.Lfunc_end547:
	.size	_ZN7rocprim17ROCPRIM_400000_NS6detail17trampoline_kernelINS0_14default_configENS1_38merge_sort_block_merge_config_selectorIalEEZZNS1_27merge_sort_block_merge_implIS3_PaN6thrust23THRUST_200600_302600_NS10device_ptrIlEEjNS1_19radix_merge_compareILb0ELb1EaNS0_19identity_decomposerEEEEE10hipError_tT0_T1_T2_jT3_P12ihipStream_tbPNSt15iterator_traitsISG_E10value_typeEPNSM_ISH_E10value_typeEPSI_NS1_7vsmem_tEENKUlT_SG_SH_SI_E_clIS7_S7_PlSB_EESF_SV_SG_SH_SI_EUlSV_E0_NS1_11comp_targetILNS1_3genE2ELNS1_11target_archE906ELNS1_3gpuE6ELNS1_3repE0EEENS1_38merge_mergepath_config_static_selectorELNS0_4arch9wavefront6targetE1EEEvSH_, .Lfunc_end547-_ZN7rocprim17ROCPRIM_400000_NS6detail17trampoline_kernelINS0_14default_configENS1_38merge_sort_block_merge_config_selectorIalEEZZNS1_27merge_sort_block_merge_implIS3_PaN6thrust23THRUST_200600_302600_NS10device_ptrIlEEjNS1_19radix_merge_compareILb0ELb1EaNS0_19identity_decomposerEEEEE10hipError_tT0_T1_T2_jT3_P12ihipStream_tbPNSt15iterator_traitsISG_E10value_typeEPNSM_ISH_E10value_typeEPSI_NS1_7vsmem_tEENKUlT_SG_SH_SI_E_clIS7_S7_PlSB_EESF_SV_SG_SH_SI_EUlSV_E0_NS1_11comp_targetILNS1_3genE2ELNS1_11target_archE906ELNS1_3gpuE6ELNS1_3repE0EEENS1_38merge_mergepath_config_static_selectorELNS0_4arch9wavefront6targetE1EEEvSH_
                                        ; -- End function
	.set _ZN7rocprim17ROCPRIM_400000_NS6detail17trampoline_kernelINS0_14default_configENS1_38merge_sort_block_merge_config_selectorIalEEZZNS1_27merge_sort_block_merge_implIS3_PaN6thrust23THRUST_200600_302600_NS10device_ptrIlEEjNS1_19radix_merge_compareILb0ELb1EaNS0_19identity_decomposerEEEEE10hipError_tT0_T1_T2_jT3_P12ihipStream_tbPNSt15iterator_traitsISG_E10value_typeEPNSM_ISH_E10value_typeEPSI_NS1_7vsmem_tEENKUlT_SG_SH_SI_E_clIS7_S7_PlSB_EESF_SV_SG_SH_SI_EUlSV_E0_NS1_11comp_targetILNS1_3genE2ELNS1_11target_archE906ELNS1_3gpuE6ELNS1_3repE0EEENS1_38merge_mergepath_config_static_selectorELNS0_4arch9wavefront6targetE1EEEvSH_.num_vgpr, 35
	.set _ZN7rocprim17ROCPRIM_400000_NS6detail17trampoline_kernelINS0_14default_configENS1_38merge_sort_block_merge_config_selectorIalEEZZNS1_27merge_sort_block_merge_implIS3_PaN6thrust23THRUST_200600_302600_NS10device_ptrIlEEjNS1_19radix_merge_compareILb0ELb1EaNS0_19identity_decomposerEEEEE10hipError_tT0_T1_T2_jT3_P12ihipStream_tbPNSt15iterator_traitsISG_E10value_typeEPNSM_ISH_E10value_typeEPSI_NS1_7vsmem_tEENKUlT_SG_SH_SI_E_clIS7_S7_PlSB_EESF_SV_SG_SH_SI_EUlSV_E0_NS1_11comp_targetILNS1_3genE2ELNS1_11target_archE906ELNS1_3gpuE6ELNS1_3repE0EEENS1_38merge_mergepath_config_static_selectorELNS0_4arch9wavefront6targetE1EEEvSH_.num_agpr, 0
	.set _ZN7rocprim17ROCPRIM_400000_NS6detail17trampoline_kernelINS0_14default_configENS1_38merge_sort_block_merge_config_selectorIalEEZZNS1_27merge_sort_block_merge_implIS3_PaN6thrust23THRUST_200600_302600_NS10device_ptrIlEEjNS1_19radix_merge_compareILb0ELb1EaNS0_19identity_decomposerEEEEE10hipError_tT0_T1_T2_jT3_P12ihipStream_tbPNSt15iterator_traitsISG_E10value_typeEPNSM_ISH_E10value_typeEPSI_NS1_7vsmem_tEENKUlT_SG_SH_SI_E_clIS7_S7_PlSB_EESF_SV_SG_SH_SI_EUlSV_E0_NS1_11comp_targetILNS1_3genE2ELNS1_11target_archE906ELNS1_3gpuE6ELNS1_3repE0EEENS1_38merge_mergepath_config_static_selectorELNS0_4arch9wavefront6targetE1EEEvSH_.numbered_sgpr, 31
	.set _ZN7rocprim17ROCPRIM_400000_NS6detail17trampoline_kernelINS0_14default_configENS1_38merge_sort_block_merge_config_selectorIalEEZZNS1_27merge_sort_block_merge_implIS3_PaN6thrust23THRUST_200600_302600_NS10device_ptrIlEEjNS1_19radix_merge_compareILb0ELb1EaNS0_19identity_decomposerEEEEE10hipError_tT0_T1_T2_jT3_P12ihipStream_tbPNSt15iterator_traitsISG_E10value_typeEPNSM_ISH_E10value_typeEPSI_NS1_7vsmem_tEENKUlT_SG_SH_SI_E_clIS7_S7_PlSB_EESF_SV_SG_SH_SI_EUlSV_E0_NS1_11comp_targetILNS1_3genE2ELNS1_11target_archE906ELNS1_3gpuE6ELNS1_3repE0EEENS1_38merge_mergepath_config_static_selectorELNS0_4arch9wavefront6targetE1EEEvSH_.num_named_barrier, 0
	.set _ZN7rocprim17ROCPRIM_400000_NS6detail17trampoline_kernelINS0_14default_configENS1_38merge_sort_block_merge_config_selectorIalEEZZNS1_27merge_sort_block_merge_implIS3_PaN6thrust23THRUST_200600_302600_NS10device_ptrIlEEjNS1_19radix_merge_compareILb0ELb1EaNS0_19identity_decomposerEEEEE10hipError_tT0_T1_T2_jT3_P12ihipStream_tbPNSt15iterator_traitsISG_E10value_typeEPNSM_ISH_E10value_typeEPSI_NS1_7vsmem_tEENKUlT_SG_SH_SI_E_clIS7_S7_PlSB_EESF_SV_SG_SH_SI_EUlSV_E0_NS1_11comp_targetILNS1_3genE2ELNS1_11target_archE906ELNS1_3gpuE6ELNS1_3repE0EEENS1_38merge_mergepath_config_static_selectorELNS0_4arch9wavefront6targetE1EEEvSH_.private_seg_size, 0
	.set _ZN7rocprim17ROCPRIM_400000_NS6detail17trampoline_kernelINS0_14default_configENS1_38merge_sort_block_merge_config_selectorIalEEZZNS1_27merge_sort_block_merge_implIS3_PaN6thrust23THRUST_200600_302600_NS10device_ptrIlEEjNS1_19radix_merge_compareILb0ELb1EaNS0_19identity_decomposerEEEEE10hipError_tT0_T1_T2_jT3_P12ihipStream_tbPNSt15iterator_traitsISG_E10value_typeEPNSM_ISH_E10value_typeEPSI_NS1_7vsmem_tEENKUlT_SG_SH_SI_E_clIS7_S7_PlSB_EESF_SV_SG_SH_SI_EUlSV_E0_NS1_11comp_targetILNS1_3genE2ELNS1_11target_archE906ELNS1_3gpuE6ELNS1_3repE0EEENS1_38merge_mergepath_config_static_selectorELNS0_4arch9wavefront6targetE1EEEvSH_.uses_vcc, 1
	.set _ZN7rocprim17ROCPRIM_400000_NS6detail17trampoline_kernelINS0_14default_configENS1_38merge_sort_block_merge_config_selectorIalEEZZNS1_27merge_sort_block_merge_implIS3_PaN6thrust23THRUST_200600_302600_NS10device_ptrIlEEjNS1_19radix_merge_compareILb0ELb1EaNS0_19identity_decomposerEEEEE10hipError_tT0_T1_T2_jT3_P12ihipStream_tbPNSt15iterator_traitsISG_E10value_typeEPNSM_ISH_E10value_typeEPSI_NS1_7vsmem_tEENKUlT_SG_SH_SI_E_clIS7_S7_PlSB_EESF_SV_SG_SH_SI_EUlSV_E0_NS1_11comp_targetILNS1_3genE2ELNS1_11target_archE906ELNS1_3gpuE6ELNS1_3repE0EEENS1_38merge_mergepath_config_static_selectorELNS0_4arch9wavefront6targetE1EEEvSH_.uses_flat_scratch, 0
	.set _ZN7rocprim17ROCPRIM_400000_NS6detail17trampoline_kernelINS0_14default_configENS1_38merge_sort_block_merge_config_selectorIalEEZZNS1_27merge_sort_block_merge_implIS3_PaN6thrust23THRUST_200600_302600_NS10device_ptrIlEEjNS1_19radix_merge_compareILb0ELb1EaNS0_19identity_decomposerEEEEE10hipError_tT0_T1_T2_jT3_P12ihipStream_tbPNSt15iterator_traitsISG_E10value_typeEPNSM_ISH_E10value_typeEPSI_NS1_7vsmem_tEENKUlT_SG_SH_SI_E_clIS7_S7_PlSB_EESF_SV_SG_SH_SI_EUlSV_E0_NS1_11comp_targetILNS1_3genE2ELNS1_11target_archE906ELNS1_3gpuE6ELNS1_3repE0EEENS1_38merge_mergepath_config_static_selectorELNS0_4arch9wavefront6targetE1EEEvSH_.has_dyn_sized_stack, 0
	.set _ZN7rocprim17ROCPRIM_400000_NS6detail17trampoline_kernelINS0_14default_configENS1_38merge_sort_block_merge_config_selectorIalEEZZNS1_27merge_sort_block_merge_implIS3_PaN6thrust23THRUST_200600_302600_NS10device_ptrIlEEjNS1_19radix_merge_compareILb0ELb1EaNS0_19identity_decomposerEEEEE10hipError_tT0_T1_T2_jT3_P12ihipStream_tbPNSt15iterator_traitsISG_E10value_typeEPNSM_ISH_E10value_typeEPSI_NS1_7vsmem_tEENKUlT_SG_SH_SI_E_clIS7_S7_PlSB_EESF_SV_SG_SH_SI_EUlSV_E0_NS1_11comp_targetILNS1_3genE2ELNS1_11target_archE906ELNS1_3gpuE6ELNS1_3repE0EEENS1_38merge_mergepath_config_static_selectorELNS0_4arch9wavefront6targetE1EEEvSH_.has_recursion, 0
	.set _ZN7rocprim17ROCPRIM_400000_NS6detail17trampoline_kernelINS0_14default_configENS1_38merge_sort_block_merge_config_selectorIalEEZZNS1_27merge_sort_block_merge_implIS3_PaN6thrust23THRUST_200600_302600_NS10device_ptrIlEEjNS1_19radix_merge_compareILb0ELb1EaNS0_19identity_decomposerEEEEE10hipError_tT0_T1_T2_jT3_P12ihipStream_tbPNSt15iterator_traitsISG_E10value_typeEPNSM_ISH_E10value_typeEPSI_NS1_7vsmem_tEENKUlT_SG_SH_SI_E_clIS7_S7_PlSB_EESF_SV_SG_SH_SI_EUlSV_E0_NS1_11comp_targetILNS1_3genE2ELNS1_11target_archE906ELNS1_3gpuE6ELNS1_3repE0EEENS1_38merge_mergepath_config_static_selectorELNS0_4arch9wavefront6targetE1EEEvSH_.has_indirect_call, 0
	.section	.AMDGPU.csdata,"",@progbits
; Kernel info:
; codeLenInByte = 3512
; TotalNumSgprs: 35
; NumVgprs: 35
; ScratchSize: 0
; MemoryBound: 0
; FloatMode: 240
; IeeeMode: 1
; LDSByteSize: 8448 bytes/workgroup (compile time only)
; SGPRBlocks: 10
; VGPRBlocks: 8
; NumSGPRsForWavesPerEU: 81
; NumVGPRsForWavesPerEU: 35
; Occupancy: 7
; WaveLimiterHint : 1
; COMPUTE_PGM_RSRC2:SCRATCH_EN: 0
; COMPUTE_PGM_RSRC2:USER_SGPR: 6
; COMPUTE_PGM_RSRC2:TRAP_HANDLER: 0
; COMPUTE_PGM_RSRC2:TGID_X_EN: 1
; COMPUTE_PGM_RSRC2:TGID_Y_EN: 1
; COMPUTE_PGM_RSRC2:TGID_Z_EN: 1
; COMPUTE_PGM_RSRC2:TIDIG_COMP_CNT: 0
	.section	.text._ZN7rocprim17ROCPRIM_400000_NS6detail17trampoline_kernelINS0_14default_configENS1_38merge_sort_block_merge_config_selectorIalEEZZNS1_27merge_sort_block_merge_implIS3_PaN6thrust23THRUST_200600_302600_NS10device_ptrIlEEjNS1_19radix_merge_compareILb0ELb1EaNS0_19identity_decomposerEEEEE10hipError_tT0_T1_T2_jT3_P12ihipStream_tbPNSt15iterator_traitsISG_E10value_typeEPNSM_ISH_E10value_typeEPSI_NS1_7vsmem_tEENKUlT_SG_SH_SI_E_clIS7_S7_PlSB_EESF_SV_SG_SH_SI_EUlSV_E0_NS1_11comp_targetILNS1_3genE9ELNS1_11target_archE1100ELNS1_3gpuE3ELNS1_3repE0EEENS1_38merge_mergepath_config_static_selectorELNS0_4arch9wavefront6targetE1EEEvSH_,"axG",@progbits,_ZN7rocprim17ROCPRIM_400000_NS6detail17trampoline_kernelINS0_14default_configENS1_38merge_sort_block_merge_config_selectorIalEEZZNS1_27merge_sort_block_merge_implIS3_PaN6thrust23THRUST_200600_302600_NS10device_ptrIlEEjNS1_19radix_merge_compareILb0ELb1EaNS0_19identity_decomposerEEEEE10hipError_tT0_T1_T2_jT3_P12ihipStream_tbPNSt15iterator_traitsISG_E10value_typeEPNSM_ISH_E10value_typeEPSI_NS1_7vsmem_tEENKUlT_SG_SH_SI_E_clIS7_S7_PlSB_EESF_SV_SG_SH_SI_EUlSV_E0_NS1_11comp_targetILNS1_3genE9ELNS1_11target_archE1100ELNS1_3gpuE3ELNS1_3repE0EEENS1_38merge_mergepath_config_static_selectorELNS0_4arch9wavefront6targetE1EEEvSH_,comdat
	.protected	_ZN7rocprim17ROCPRIM_400000_NS6detail17trampoline_kernelINS0_14default_configENS1_38merge_sort_block_merge_config_selectorIalEEZZNS1_27merge_sort_block_merge_implIS3_PaN6thrust23THRUST_200600_302600_NS10device_ptrIlEEjNS1_19radix_merge_compareILb0ELb1EaNS0_19identity_decomposerEEEEE10hipError_tT0_T1_T2_jT3_P12ihipStream_tbPNSt15iterator_traitsISG_E10value_typeEPNSM_ISH_E10value_typeEPSI_NS1_7vsmem_tEENKUlT_SG_SH_SI_E_clIS7_S7_PlSB_EESF_SV_SG_SH_SI_EUlSV_E0_NS1_11comp_targetILNS1_3genE9ELNS1_11target_archE1100ELNS1_3gpuE3ELNS1_3repE0EEENS1_38merge_mergepath_config_static_selectorELNS0_4arch9wavefront6targetE1EEEvSH_ ; -- Begin function _ZN7rocprim17ROCPRIM_400000_NS6detail17trampoline_kernelINS0_14default_configENS1_38merge_sort_block_merge_config_selectorIalEEZZNS1_27merge_sort_block_merge_implIS3_PaN6thrust23THRUST_200600_302600_NS10device_ptrIlEEjNS1_19radix_merge_compareILb0ELb1EaNS0_19identity_decomposerEEEEE10hipError_tT0_T1_T2_jT3_P12ihipStream_tbPNSt15iterator_traitsISG_E10value_typeEPNSM_ISH_E10value_typeEPSI_NS1_7vsmem_tEENKUlT_SG_SH_SI_E_clIS7_S7_PlSB_EESF_SV_SG_SH_SI_EUlSV_E0_NS1_11comp_targetILNS1_3genE9ELNS1_11target_archE1100ELNS1_3gpuE3ELNS1_3repE0EEENS1_38merge_mergepath_config_static_selectorELNS0_4arch9wavefront6targetE1EEEvSH_
	.globl	_ZN7rocprim17ROCPRIM_400000_NS6detail17trampoline_kernelINS0_14default_configENS1_38merge_sort_block_merge_config_selectorIalEEZZNS1_27merge_sort_block_merge_implIS3_PaN6thrust23THRUST_200600_302600_NS10device_ptrIlEEjNS1_19radix_merge_compareILb0ELb1EaNS0_19identity_decomposerEEEEE10hipError_tT0_T1_T2_jT3_P12ihipStream_tbPNSt15iterator_traitsISG_E10value_typeEPNSM_ISH_E10value_typeEPSI_NS1_7vsmem_tEENKUlT_SG_SH_SI_E_clIS7_S7_PlSB_EESF_SV_SG_SH_SI_EUlSV_E0_NS1_11comp_targetILNS1_3genE9ELNS1_11target_archE1100ELNS1_3gpuE3ELNS1_3repE0EEENS1_38merge_mergepath_config_static_selectorELNS0_4arch9wavefront6targetE1EEEvSH_
	.p2align	8
	.type	_ZN7rocprim17ROCPRIM_400000_NS6detail17trampoline_kernelINS0_14default_configENS1_38merge_sort_block_merge_config_selectorIalEEZZNS1_27merge_sort_block_merge_implIS3_PaN6thrust23THRUST_200600_302600_NS10device_ptrIlEEjNS1_19radix_merge_compareILb0ELb1EaNS0_19identity_decomposerEEEEE10hipError_tT0_T1_T2_jT3_P12ihipStream_tbPNSt15iterator_traitsISG_E10value_typeEPNSM_ISH_E10value_typeEPSI_NS1_7vsmem_tEENKUlT_SG_SH_SI_E_clIS7_S7_PlSB_EESF_SV_SG_SH_SI_EUlSV_E0_NS1_11comp_targetILNS1_3genE9ELNS1_11target_archE1100ELNS1_3gpuE3ELNS1_3repE0EEENS1_38merge_mergepath_config_static_selectorELNS0_4arch9wavefront6targetE1EEEvSH_,@function
_ZN7rocprim17ROCPRIM_400000_NS6detail17trampoline_kernelINS0_14default_configENS1_38merge_sort_block_merge_config_selectorIalEEZZNS1_27merge_sort_block_merge_implIS3_PaN6thrust23THRUST_200600_302600_NS10device_ptrIlEEjNS1_19radix_merge_compareILb0ELb1EaNS0_19identity_decomposerEEEEE10hipError_tT0_T1_T2_jT3_P12ihipStream_tbPNSt15iterator_traitsISG_E10value_typeEPNSM_ISH_E10value_typeEPSI_NS1_7vsmem_tEENKUlT_SG_SH_SI_E_clIS7_S7_PlSB_EESF_SV_SG_SH_SI_EUlSV_E0_NS1_11comp_targetILNS1_3genE9ELNS1_11target_archE1100ELNS1_3gpuE3ELNS1_3repE0EEENS1_38merge_mergepath_config_static_selectorELNS0_4arch9wavefront6targetE1EEEvSH_: ; @_ZN7rocprim17ROCPRIM_400000_NS6detail17trampoline_kernelINS0_14default_configENS1_38merge_sort_block_merge_config_selectorIalEEZZNS1_27merge_sort_block_merge_implIS3_PaN6thrust23THRUST_200600_302600_NS10device_ptrIlEEjNS1_19radix_merge_compareILb0ELb1EaNS0_19identity_decomposerEEEEE10hipError_tT0_T1_T2_jT3_P12ihipStream_tbPNSt15iterator_traitsISG_E10value_typeEPNSM_ISH_E10value_typeEPSI_NS1_7vsmem_tEENKUlT_SG_SH_SI_E_clIS7_S7_PlSB_EESF_SV_SG_SH_SI_EUlSV_E0_NS1_11comp_targetILNS1_3genE9ELNS1_11target_archE1100ELNS1_3gpuE3ELNS1_3repE0EEENS1_38merge_mergepath_config_static_selectorELNS0_4arch9wavefront6targetE1EEEvSH_
; %bb.0:
	.section	.rodata,"a",@progbits
	.p2align	6, 0x0
	.amdhsa_kernel _ZN7rocprim17ROCPRIM_400000_NS6detail17trampoline_kernelINS0_14default_configENS1_38merge_sort_block_merge_config_selectorIalEEZZNS1_27merge_sort_block_merge_implIS3_PaN6thrust23THRUST_200600_302600_NS10device_ptrIlEEjNS1_19radix_merge_compareILb0ELb1EaNS0_19identity_decomposerEEEEE10hipError_tT0_T1_T2_jT3_P12ihipStream_tbPNSt15iterator_traitsISG_E10value_typeEPNSM_ISH_E10value_typeEPSI_NS1_7vsmem_tEENKUlT_SG_SH_SI_E_clIS7_S7_PlSB_EESF_SV_SG_SH_SI_EUlSV_E0_NS1_11comp_targetILNS1_3genE9ELNS1_11target_archE1100ELNS1_3gpuE3ELNS1_3repE0EEENS1_38merge_mergepath_config_static_selectorELNS0_4arch9wavefront6targetE1EEEvSH_
		.amdhsa_group_segment_fixed_size 0
		.amdhsa_private_segment_fixed_size 0
		.amdhsa_kernarg_size 64
		.amdhsa_user_sgpr_count 6
		.amdhsa_user_sgpr_private_segment_buffer 1
		.amdhsa_user_sgpr_dispatch_ptr 0
		.amdhsa_user_sgpr_queue_ptr 0
		.amdhsa_user_sgpr_kernarg_segment_ptr 1
		.amdhsa_user_sgpr_dispatch_id 0
		.amdhsa_user_sgpr_flat_scratch_init 0
		.amdhsa_user_sgpr_private_segment_size 0
		.amdhsa_uses_dynamic_stack 0
		.amdhsa_system_sgpr_private_segment_wavefront_offset 0
		.amdhsa_system_sgpr_workgroup_id_x 1
		.amdhsa_system_sgpr_workgroup_id_y 0
		.amdhsa_system_sgpr_workgroup_id_z 0
		.amdhsa_system_sgpr_workgroup_info 0
		.amdhsa_system_vgpr_workitem_id 0
		.amdhsa_next_free_vgpr 1
		.amdhsa_next_free_sgpr 0
		.amdhsa_reserve_vcc 0
		.amdhsa_reserve_flat_scratch 0
		.amdhsa_float_round_mode_32 0
		.amdhsa_float_round_mode_16_64 0
		.amdhsa_float_denorm_mode_32 3
		.amdhsa_float_denorm_mode_16_64 3
		.amdhsa_dx10_clamp 1
		.amdhsa_ieee_mode 1
		.amdhsa_fp16_overflow 0
		.amdhsa_exception_fp_ieee_invalid_op 0
		.amdhsa_exception_fp_denorm_src 0
		.amdhsa_exception_fp_ieee_div_zero 0
		.amdhsa_exception_fp_ieee_overflow 0
		.amdhsa_exception_fp_ieee_underflow 0
		.amdhsa_exception_fp_ieee_inexact 0
		.amdhsa_exception_int_div_zero 0
	.end_amdhsa_kernel
	.section	.text._ZN7rocprim17ROCPRIM_400000_NS6detail17trampoline_kernelINS0_14default_configENS1_38merge_sort_block_merge_config_selectorIalEEZZNS1_27merge_sort_block_merge_implIS3_PaN6thrust23THRUST_200600_302600_NS10device_ptrIlEEjNS1_19radix_merge_compareILb0ELb1EaNS0_19identity_decomposerEEEEE10hipError_tT0_T1_T2_jT3_P12ihipStream_tbPNSt15iterator_traitsISG_E10value_typeEPNSM_ISH_E10value_typeEPSI_NS1_7vsmem_tEENKUlT_SG_SH_SI_E_clIS7_S7_PlSB_EESF_SV_SG_SH_SI_EUlSV_E0_NS1_11comp_targetILNS1_3genE9ELNS1_11target_archE1100ELNS1_3gpuE3ELNS1_3repE0EEENS1_38merge_mergepath_config_static_selectorELNS0_4arch9wavefront6targetE1EEEvSH_,"axG",@progbits,_ZN7rocprim17ROCPRIM_400000_NS6detail17trampoline_kernelINS0_14default_configENS1_38merge_sort_block_merge_config_selectorIalEEZZNS1_27merge_sort_block_merge_implIS3_PaN6thrust23THRUST_200600_302600_NS10device_ptrIlEEjNS1_19radix_merge_compareILb0ELb1EaNS0_19identity_decomposerEEEEE10hipError_tT0_T1_T2_jT3_P12ihipStream_tbPNSt15iterator_traitsISG_E10value_typeEPNSM_ISH_E10value_typeEPSI_NS1_7vsmem_tEENKUlT_SG_SH_SI_E_clIS7_S7_PlSB_EESF_SV_SG_SH_SI_EUlSV_E0_NS1_11comp_targetILNS1_3genE9ELNS1_11target_archE1100ELNS1_3gpuE3ELNS1_3repE0EEENS1_38merge_mergepath_config_static_selectorELNS0_4arch9wavefront6targetE1EEEvSH_,comdat
.Lfunc_end548:
	.size	_ZN7rocprim17ROCPRIM_400000_NS6detail17trampoline_kernelINS0_14default_configENS1_38merge_sort_block_merge_config_selectorIalEEZZNS1_27merge_sort_block_merge_implIS3_PaN6thrust23THRUST_200600_302600_NS10device_ptrIlEEjNS1_19radix_merge_compareILb0ELb1EaNS0_19identity_decomposerEEEEE10hipError_tT0_T1_T2_jT3_P12ihipStream_tbPNSt15iterator_traitsISG_E10value_typeEPNSM_ISH_E10value_typeEPSI_NS1_7vsmem_tEENKUlT_SG_SH_SI_E_clIS7_S7_PlSB_EESF_SV_SG_SH_SI_EUlSV_E0_NS1_11comp_targetILNS1_3genE9ELNS1_11target_archE1100ELNS1_3gpuE3ELNS1_3repE0EEENS1_38merge_mergepath_config_static_selectorELNS0_4arch9wavefront6targetE1EEEvSH_, .Lfunc_end548-_ZN7rocprim17ROCPRIM_400000_NS6detail17trampoline_kernelINS0_14default_configENS1_38merge_sort_block_merge_config_selectorIalEEZZNS1_27merge_sort_block_merge_implIS3_PaN6thrust23THRUST_200600_302600_NS10device_ptrIlEEjNS1_19radix_merge_compareILb0ELb1EaNS0_19identity_decomposerEEEEE10hipError_tT0_T1_T2_jT3_P12ihipStream_tbPNSt15iterator_traitsISG_E10value_typeEPNSM_ISH_E10value_typeEPSI_NS1_7vsmem_tEENKUlT_SG_SH_SI_E_clIS7_S7_PlSB_EESF_SV_SG_SH_SI_EUlSV_E0_NS1_11comp_targetILNS1_3genE9ELNS1_11target_archE1100ELNS1_3gpuE3ELNS1_3repE0EEENS1_38merge_mergepath_config_static_selectorELNS0_4arch9wavefront6targetE1EEEvSH_
                                        ; -- End function
	.set _ZN7rocprim17ROCPRIM_400000_NS6detail17trampoline_kernelINS0_14default_configENS1_38merge_sort_block_merge_config_selectorIalEEZZNS1_27merge_sort_block_merge_implIS3_PaN6thrust23THRUST_200600_302600_NS10device_ptrIlEEjNS1_19radix_merge_compareILb0ELb1EaNS0_19identity_decomposerEEEEE10hipError_tT0_T1_T2_jT3_P12ihipStream_tbPNSt15iterator_traitsISG_E10value_typeEPNSM_ISH_E10value_typeEPSI_NS1_7vsmem_tEENKUlT_SG_SH_SI_E_clIS7_S7_PlSB_EESF_SV_SG_SH_SI_EUlSV_E0_NS1_11comp_targetILNS1_3genE9ELNS1_11target_archE1100ELNS1_3gpuE3ELNS1_3repE0EEENS1_38merge_mergepath_config_static_selectorELNS0_4arch9wavefront6targetE1EEEvSH_.num_vgpr, 0
	.set _ZN7rocprim17ROCPRIM_400000_NS6detail17trampoline_kernelINS0_14default_configENS1_38merge_sort_block_merge_config_selectorIalEEZZNS1_27merge_sort_block_merge_implIS3_PaN6thrust23THRUST_200600_302600_NS10device_ptrIlEEjNS1_19radix_merge_compareILb0ELb1EaNS0_19identity_decomposerEEEEE10hipError_tT0_T1_T2_jT3_P12ihipStream_tbPNSt15iterator_traitsISG_E10value_typeEPNSM_ISH_E10value_typeEPSI_NS1_7vsmem_tEENKUlT_SG_SH_SI_E_clIS7_S7_PlSB_EESF_SV_SG_SH_SI_EUlSV_E0_NS1_11comp_targetILNS1_3genE9ELNS1_11target_archE1100ELNS1_3gpuE3ELNS1_3repE0EEENS1_38merge_mergepath_config_static_selectorELNS0_4arch9wavefront6targetE1EEEvSH_.num_agpr, 0
	.set _ZN7rocprim17ROCPRIM_400000_NS6detail17trampoline_kernelINS0_14default_configENS1_38merge_sort_block_merge_config_selectorIalEEZZNS1_27merge_sort_block_merge_implIS3_PaN6thrust23THRUST_200600_302600_NS10device_ptrIlEEjNS1_19radix_merge_compareILb0ELb1EaNS0_19identity_decomposerEEEEE10hipError_tT0_T1_T2_jT3_P12ihipStream_tbPNSt15iterator_traitsISG_E10value_typeEPNSM_ISH_E10value_typeEPSI_NS1_7vsmem_tEENKUlT_SG_SH_SI_E_clIS7_S7_PlSB_EESF_SV_SG_SH_SI_EUlSV_E0_NS1_11comp_targetILNS1_3genE9ELNS1_11target_archE1100ELNS1_3gpuE3ELNS1_3repE0EEENS1_38merge_mergepath_config_static_selectorELNS0_4arch9wavefront6targetE1EEEvSH_.numbered_sgpr, 0
	.set _ZN7rocprim17ROCPRIM_400000_NS6detail17trampoline_kernelINS0_14default_configENS1_38merge_sort_block_merge_config_selectorIalEEZZNS1_27merge_sort_block_merge_implIS3_PaN6thrust23THRUST_200600_302600_NS10device_ptrIlEEjNS1_19radix_merge_compareILb0ELb1EaNS0_19identity_decomposerEEEEE10hipError_tT0_T1_T2_jT3_P12ihipStream_tbPNSt15iterator_traitsISG_E10value_typeEPNSM_ISH_E10value_typeEPSI_NS1_7vsmem_tEENKUlT_SG_SH_SI_E_clIS7_S7_PlSB_EESF_SV_SG_SH_SI_EUlSV_E0_NS1_11comp_targetILNS1_3genE9ELNS1_11target_archE1100ELNS1_3gpuE3ELNS1_3repE0EEENS1_38merge_mergepath_config_static_selectorELNS0_4arch9wavefront6targetE1EEEvSH_.num_named_barrier, 0
	.set _ZN7rocprim17ROCPRIM_400000_NS6detail17trampoline_kernelINS0_14default_configENS1_38merge_sort_block_merge_config_selectorIalEEZZNS1_27merge_sort_block_merge_implIS3_PaN6thrust23THRUST_200600_302600_NS10device_ptrIlEEjNS1_19radix_merge_compareILb0ELb1EaNS0_19identity_decomposerEEEEE10hipError_tT0_T1_T2_jT3_P12ihipStream_tbPNSt15iterator_traitsISG_E10value_typeEPNSM_ISH_E10value_typeEPSI_NS1_7vsmem_tEENKUlT_SG_SH_SI_E_clIS7_S7_PlSB_EESF_SV_SG_SH_SI_EUlSV_E0_NS1_11comp_targetILNS1_3genE9ELNS1_11target_archE1100ELNS1_3gpuE3ELNS1_3repE0EEENS1_38merge_mergepath_config_static_selectorELNS0_4arch9wavefront6targetE1EEEvSH_.private_seg_size, 0
	.set _ZN7rocprim17ROCPRIM_400000_NS6detail17trampoline_kernelINS0_14default_configENS1_38merge_sort_block_merge_config_selectorIalEEZZNS1_27merge_sort_block_merge_implIS3_PaN6thrust23THRUST_200600_302600_NS10device_ptrIlEEjNS1_19radix_merge_compareILb0ELb1EaNS0_19identity_decomposerEEEEE10hipError_tT0_T1_T2_jT3_P12ihipStream_tbPNSt15iterator_traitsISG_E10value_typeEPNSM_ISH_E10value_typeEPSI_NS1_7vsmem_tEENKUlT_SG_SH_SI_E_clIS7_S7_PlSB_EESF_SV_SG_SH_SI_EUlSV_E0_NS1_11comp_targetILNS1_3genE9ELNS1_11target_archE1100ELNS1_3gpuE3ELNS1_3repE0EEENS1_38merge_mergepath_config_static_selectorELNS0_4arch9wavefront6targetE1EEEvSH_.uses_vcc, 0
	.set _ZN7rocprim17ROCPRIM_400000_NS6detail17trampoline_kernelINS0_14default_configENS1_38merge_sort_block_merge_config_selectorIalEEZZNS1_27merge_sort_block_merge_implIS3_PaN6thrust23THRUST_200600_302600_NS10device_ptrIlEEjNS1_19radix_merge_compareILb0ELb1EaNS0_19identity_decomposerEEEEE10hipError_tT0_T1_T2_jT3_P12ihipStream_tbPNSt15iterator_traitsISG_E10value_typeEPNSM_ISH_E10value_typeEPSI_NS1_7vsmem_tEENKUlT_SG_SH_SI_E_clIS7_S7_PlSB_EESF_SV_SG_SH_SI_EUlSV_E0_NS1_11comp_targetILNS1_3genE9ELNS1_11target_archE1100ELNS1_3gpuE3ELNS1_3repE0EEENS1_38merge_mergepath_config_static_selectorELNS0_4arch9wavefront6targetE1EEEvSH_.uses_flat_scratch, 0
	.set _ZN7rocprim17ROCPRIM_400000_NS6detail17trampoline_kernelINS0_14default_configENS1_38merge_sort_block_merge_config_selectorIalEEZZNS1_27merge_sort_block_merge_implIS3_PaN6thrust23THRUST_200600_302600_NS10device_ptrIlEEjNS1_19radix_merge_compareILb0ELb1EaNS0_19identity_decomposerEEEEE10hipError_tT0_T1_T2_jT3_P12ihipStream_tbPNSt15iterator_traitsISG_E10value_typeEPNSM_ISH_E10value_typeEPSI_NS1_7vsmem_tEENKUlT_SG_SH_SI_E_clIS7_S7_PlSB_EESF_SV_SG_SH_SI_EUlSV_E0_NS1_11comp_targetILNS1_3genE9ELNS1_11target_archE1100ELNS1_3gpuE3ELNS1_3repE0EEENS1_38merge_mergepath_config_static_selectorELNS0_4arch9wavefront6targetE1EEEvSH_.has_dyn_sized_stack, 0
	.set _ZN7rocprim17ROCPRIM_400000_NS6detail17trampoline_kernelINS0_14default_configENS1_38merge_sort_block_merge_config_selectorIalEEZZNS1_27merge_sort_block_merge_implIS3_PaN6thrust23THRUST_200600_302600_NS10device_ptrIlEEjNS1_19radix_merge_compareILb0ELb1EaNS0_19identity_decomposerEEEEE10hipError_tT0_T1_T2_jT3_P12ihipStream_tbPNSt15iterator_traitsISG_E10value_typeEPNSM_ISH_E10value_typeEPSI_NS1_7vsmem_tEENKUlT_SG_SH_SI_E_clIS7_S7_PlSB_EESF_SV_SG_SH_SI_EUlSV_E0_NS1_11comp_targetILNS1_3genE9ELNS1_11target_archE1100ELNS1_3gpuE3ELNS1_3repE0EEENS1_38merge_mergepath_config_static_selectorELNS0_4arch9wavefront6targetE1EEEvSH_.has_recursion, 0
	.set _ZN7rocprim17ROCPRIM_400000_NS6detail17trampoline_kernelINS0_14default_configENS1_38merge_sort_block_merge_config_selectorIalEEZZNS1_27merge_sort_block_merge_implIS3_PaN6thrust23THRUST_200600_302600_NS10device_ptrIlEEjNS1_19radix_merge_compareILb0ELb1EaNS0_19identity_decomposerEEEEE10hipError_tT0_T1_T2_jT3_P12ihipStream_tbPNSt15iterator_traitsISG_E10value_typeEPNSM_ISH_E10value_typeEPSI_NS1_7vsmem_tEENKUlT_SG_SH_SI_E_clIS7_S7_PlSB_EESF_SV_SG_SH_SI_EUlSV_E0_NS1_11comp_targetILNS1_3genE9ELNS1_11target_archE1100ELNS1_3gpuE3ELNS1_3repE0EEENS1_38merge_mergepath_config_static_selectorELNS0_4arch9wavefront6targetE1EEEvSH_.has_indirect_call, 0
	.section	.AMDGPU.csdata,"",@progbits
; Kernel info:
; codeLenInByte = 0
; TotalNumSgprs: 4
; NumVgprs: 0
; ScratchSize: 0
; MemoryBound: 0
; FloatMode: 240
; IeeeMode: 1
; LDSByteSize: 0 bytes/workgroup (compile time only)
; SGPRBlocks: 0
; VGPRBlocks: 0
; NumSGPRsForWavesPerEU: 4
; NumVGPRsForWavesPerEU: 1
; Occupancy: 10
; WaveLimiterHint : 0
; COMPUTE_PGM_RSRC2:SCRATCH_EN: 0
; COMPUTE_PGM_RSRC2:USER_SGPR: 6
; COMPUTE_PGM_RSRC2:TRAP_HANDLER: 0
; COMPUTE_PGM_RSRC2:TGID_X_EN: 1
; COMPUTE_PGM_RSRC2:TGID_Y_EN: 0
; COMPUTE_PGM_RSRC2:TGID_Z_EN: 0
; COMPUTE_PGM_RSRC2:TIDIG_COMP_CNT: 0
	.section	.text._ZN7rocprim17ROCPRIM_400000_NS6detail17trampoline_kernelINS0_14default_configENS1_38merge_sort_block_merge_config_selectorIalEEZZNS1_27merge_sort_block_merge_implIS3_PaN6thrust23THRUST_200600_302600_NS10device_ptrIlEEjNS1_19radix_merge_compareILb0ELb1EaNS0_19identity_decomposerEEEEE10hipError_tT0_T1_T2_jT3_P12ihipStream_tbPNSt15iterator_traitsISG_E10value_typeEPNSM_ISH_E10value_typeEPSI_NS1_7vsmem_tEENKUlT_SG_SH_SI_E_clIS7_S7_PlSB_EESF_SV_SG_SH_SI_EUlSV_E0_NS1_11comp_targetILNS1_3genE8ELNS1_11target_archE1030ELNS1_3gpuE2ELNS1_3repE0EEENS1_38merge_mergepath_config_static_selectorELNS0_4arch9wavefront6targetE1EEEvSH_,"axG",@progbits,_ZN7rocprim17ROCPRIM_400000_NS6detail17trampoline_kernelINS0_14default_configENS1_38merge_sort_block_merge_config_selectorIalEEZZNS1_27merge_sort_block_merge_implIS3_PaN6thrust23THRUST_200600_302600_NS10device_ptrIlEEjNS1_19radix_merge_compareILb0ELb1EaNS0_19identity_decomposerEEEEE10hipError_tT0_T1_T2_jT3_P12ihipStream_tbPNSt15iterator_traitsISG_E10value_typeEPNSM_ISH_E10value_typeEPSI_NS1_7vsmem_tEENKUlT_SG_SH_SI_E_clIS7_S7_PlSB_EESF_SV_SG_SH_SI_EUlSV_E0_NS1_11comp_targetILNS1_3genE8ELNS1_11target_archE1030ELNS1_3gpuE2ELNS1_3repE0EEENS1_38merge_mergepath_config_static_selectorELNS0_4arch9wavefront6targetE1EEEvSH_,comdat
	.protected	_ZN7rocprim17ROCPRIM_400000_NS6detail17trampoline_kernelINS0_14default_configENS1_38merge_sort_block_merge_config_selectorIalEEZZNS1_27merge_sort_block_merge_implIS3_PaN6thrust23THRUST_200600_302600_NS10device_ptrIlEEjNS1_19radix_merge_compareILb0ELb1EaNS0_19identity_decomposerEEEEE10hipError_tT0_T1_T2_jT3_P12ihipStream_tbPNSt15iterator_traitsISG_E10value_typeEPNSM_ISH_E10value_typeEPSI_NS1_7vsmem_tEENKUlT_SG_SH_SI_E_clIS7_S7_PlSB_EESF_SV_SG_SH_SI_EUlSV_E0_NS1_11comp_targetILNS1_3genE8ELNS1_11target_archE1030ELNS1_3gpuE2ELNS1_3repE0EEENS1_38merge_mergepath_config_static_selectorELNS0_4arch9wavefront6targetE1EEEvSH_ ; -- Begin function _ZN7rocprim17ROCPRIM_400000_NS6detail17trampoline_kernelINS0_14default_configENS1_38merge_sort_block_merge_config_selectorIalEEZZNS1_27merge_sort_block_merge_implIS3_PaN6thrust23THRUST_200600_302600_NS10device_ptrIlEEjNS1_19radix_merge_compareILb0ELb1EaNS0_19identity_decomposerEEEEE10hipError_tT0_T1_T2_jT3_P12ihipStream_tbPNSt15iterator_traitsISG_E10value_typeEPNSM_ISH_E10value_typeEPSI_NS1_7vsmem_tEENKUlT_SG_SH_SI_E_clIS7_S7_PlSB_EESF_SV_SG_SH_SI_EUlSV_E0_NS1_11comp_targetILNS1_3genE8ELNS1_11target_archE1030ELNS1_3gpuE2ELNS1_3repE0EEENS1_38merge_mergepath_config_static_selectorELNS0_4arch9wavefront6targetE1EEEvSH_
	.globl	_ZN7rocprim17ROCPRIM_400000_NS6detail17trampoline_kernelINS0_14default_configENS1_38merge_sort_block_merge_config_selectorIalEEZZNS1_27merge_sort_block_merge_implIS3_PaN6thrust23THRUST_200600_302600_NS10device_ptrIlEEjNS1_19radix_merge_compareILb0ELb1EaNS0_19identity_decomposerEEEEE10hipError_tT0_T1_T2_jT3_P12ihipStream_tbPNSt15iterator_traitsISG_E10value_typeEPNSM_ISH_E10value_typeEPSI_NS1_7vsmem_tEENKUlT_SG_SH_SI_E_clIS7_S7_PlSB_EESF_SV_SG_SH_SI_EUlSV_E0_NS1_11comp_targetILNS1_3genE8ELNS1_11target_archE1030ELNS1_3gpuE2ELNS1_3repE0EEENS1_38merge_mergepath_config_static_selectorELNS0_4arch9wavefront6targetE1EEEvSH_
	.p2align	8
	.type	_ZN7rocprim17ROCPRIM_400000_NS6detail17trampoline_kernelINS0_14default_configENS1_38merge_sort_block_merge_config_selectorIalEEZZNS1_27merge_sort_block_merge_implIS3_PaN6thrust23THRUST_200600_302600_NS10device_ptrIlEEjNS1_19radix_merge_compareILb0ELb1EaNS0_19identity_decomposerEEEEE10hipError_tT0_T1_T2_jT3_P12ihipStream_tbPNSt15iterator_traitsISG_E10value_typeEPNSM_ISH_E10value_typeEPSI_NS1_7vsmem_tEENKUlT_SG_SH_SI_E_clIS7_S7_PlSB_EESF_SV_SG_SH_SI_EUlSV_E0_NS1_11comp_targetILNS1_3genE8ELNS1_11target_archE1030ELNS1_3gpuE2ELNS1_3repE0EEENS1_38merge_mergepath_config_static_selectorELNS0_4arch9wavefront6targetE1EEEvSH_,@function
_ZN7rocprim17ROCPRIM_400000_NS6detail17trampoline_kernelINS0_14default_configENS1_38merge_sort_block_merge_config_selectorIalEEZZNS1_27merge_sort_block_merge_implIS3_PaN6thrust23THRUST_200600_302600_NS10device_ptrIlEEjNS1_19radix_merge_compareILb0ELb1EaNS0_19identity_decomposerEEEEE10hipError_tT0_T1_T2_jT3_P12ihipStream_tbPNSt15iterator_traitsISG_E10value_typeEPNSM_ISH_E10value_typeEPSI_NS1_7vsmem_tEENKUlT_SG_SH_SI_E_clIS7_S7_PlSB_EESF_SV_SG_SH_SI_EUlSV_E0_NS1_11comp_targetILNS1_3genE8ELNS1_11target_archE1030ELNS1_3gpuE2ELNS1_3repE0EEENS1_38merge_mergepath_config_static_selectorELNS0_4arch9wavefront6targetE1EEEvSH_: ; @_ZN7rocprim17ROCPRIM_400000_NS6detail17trampoline_kernelINS0_14default_configENS1_38merge_sort_block_merge_config_selectorIalEEZZNS1_27merge_sort_block_merge_implIS3_PaN6thrust23THRUST_200600_302600_NS10device_ptrIlEEjNS1_19radix_merge_compareILb0ELb1EaNS0_19identity_decomposerEEEEE10hipError_tT0_T1_T2_jT3_P12ihipStream_tbPNSt15iterator_traitsISG_E10value_typeEPNSM_ISH_E10value_typeEPSI_NS1_7vsmem_tEENKUlT_SG_SH_SI_E_clIS7_S7_PlSB_EESF_SV_SG_SH_SI_EUlSV_E0_NS1_11comp_targetILNS1_3genE8ELNS1_11target_archE1030ELNS1_3gpuE2ELNS1_3repE0EEENS1_38merge_mergepath_config_static_selectorELNS0_4arch9wavefront6targetE1EEEvSH_
; %bb.0:
	.section	.rodata,"a",@progbits
	.p2align	6, 0x0
	.amdhsa_kernel _ZN7rocprim17ROCPRIM_400000_NS6detail17trampoline_kernelINS0_14default_configENS1_38merge_sort_block_merge_config_selectorIalEEZZNS1_27merge_sort_block_merge_implIS3_PaN6thrust23THRUST_200600_302600_NS10device_ptrIlEEjNS1_19radix_merge_compareILb0ELb1EaNS0_19identity_decomposerEEEEE10hipError_tT0_T1_T2_jT3_P12ihipStream_tbPNSt15iterator_traitsISG_E10value_typeEPNSM_ISH_E10value_typeEPSI_NS1_7vsmem_tEENKUlT_SG_SH_SI_E_clIS7_S7_PlSB_EESF_SV_SG_SH_SI_EUlSV_E0_NS1_11comp_targetILNS1_3genE8ELNS1_11target_archE1030ELNS1_3gpuE2ELNS1_3repE0EEENS1_38merge_mergepath_config_static_selectorELNS0_4arch9wavefront6targetE1EEEvSH_
		.amdhsa_group_segment_fixed_size 0
		.amdhsa_private_segment_fixed_size 0
		.amdhsa_kernarg_size 64
		.amdhsa_user_sgpr_count 6
		.amdhsa_user_sgpr_private_segment_buffer 1
		.amdhsa_user_sgpr_dispatch_ptr 0
		.amdhsa_user_sgpr_queue_ptr 0
		.amdhsa_user_sgpr_kernarg_segment_ptr 1
		.amdhsa_user_sgpr_dispatch_id 0
		.amdhsa_user_sgpr_flat_scratch_init 0
		.amdhsa_user_sgpr_private_segment_size 0
		.amdhsa_uses_dynamic_stack 0
		.amdhsa_system_sgpr_private_segment_wavefront_offset 0
		.amdhsa_system_sgpr_workgroup_id_x 1
		.amdhsa_system_sgpr_workgroup_id_y 0
		.amdhsa_system_sgpr_workgroup_id_z 0
		.amdhsa_system_sgpr_workgroup_info 0
		.amdhsa_system_vgpr_workitem_id 0
		.amdhsa_next_free_vgpr 1
		.amdhsa_next_free_sgpr 0
		.amdhsa_reserve_vcc 0
		.amdhsa_reserve_flat_scratch 0
		.amdhsa_float_round_mode_32 0
		.amdhsa_float_round_mode_16_64 0
		.amdhsa_float_denorm_mode_32 3
		.amdhsa_float_denorm_mode_16_64 3
		.amdhsa_dx10_clamp 1
		.amdhsa_ieee_mode 1
		.amdhsa_fp16_overflow 0
		.amdhsa_exception_fp_ieee_invalid_op 0
		.amdhsa_exception_fp_denorm_src 0
		.amdhsa_exception_fp_ieee_div_zero 0
		.amdhsa_exception_fp_ieee_overflow 0
		.amdhsa_exception_fp_ieee_underflow 0
		.amdhsa_exception_fp_ieee_inexact 0
		.amdhsa_exception_int_div_zero 0
	.end_amdhsa_kernel
	.section	.text._ZN7rocprim17ROCPRIM_400000_NS6detail17trampoline_kernelINS0_14default_configENS1_38merge_sort_block_merge_config_selectorIalEEZZNS1_27merge_sort_block_merge_implIS3_PaN6thrust23THRUST_200600_302600_NS10device_ptrIlEEjNS1_19radix_merge_compareILb0ELb1EaNS0_19identity_decomposerEEEEE10hipError_tT0_T1_T2_jT3_P12ihipStream_tbPNSt15iterator_traitsISG_E10value_typeEPNSM_ISH_E10value_typeEPSI_NS1_7vsmem_tEENKUlT_SG_SH_SI_E_clIS7_S7_PlSB_EESF_SV_SG_SH_SI_EUlSV_E0_NS1_11comp_targetILNS1_3genE8ELNS1_11target_archE1030ELNS1_3gpuE2ELNS1_3repE0EEENS1_38merge_mergepath_config_static_selectorELNS0_4arch9wavefront6targetE1EEEvSH_,"axG",@progbits,_ZN7rocprim17ROCPRIM_400000_NS6detail17trampoline_kernelINS0_14default_configENS1_38merge_sort_block_merge_config_selectorIalEEZZNS1_27merge_sort_block_merge_implIS3_PaN6thrust23THRUST_200600_302600_NS10device_ptrIlEEjNS1_19radix_merge_compareILb0ELb1EaNS0_19identity_decomposerEEEEE10hipError_tT0_T1_T2_jT3_P12ihipStream_tbPNSt15iterator_traitsISG_E10value_typeEPNSM_ISH_E10value_typeEPSI_NS1_7vsmem_tEENKUlT_SG_SH_SI_E_clIS7_S7_PlSB_EESF_SV_SG_SH_SI_EUlSV_E0_NS1_11comp_targetILNS1_3genE8ELNS1_11target_archE1030ELNS1_3gpuE2ELNS1_3repE0EEENS1_38merge_mergepath_config_static_selectorELNS0_4arch9wavefront6targetE1EEEvSH_,comdat
.Lfunc_end549:
	.size	_ZN7rocprim17ROCPRIM_400000_NS6detail17trampoline_kernelINS0_14default_configENS1_38merge_sort_block_merge_config_selectorIalEEZZNS1_27merge_sort_block_merge_implIS3_PaN6thrust23THRUST_200600_302600_NS10device_ptrIlEEjNS1_19radix_merge_compareILb0ELb1EaNS0_19identity_decomposerEEEEE10hipError_tT0_T1_T2_jT3_P12ihipStream_tbPNSt15iterator_traitsISG_E10value_typeEPNSM_ISH_E10value_typeEPSI_NS1_7vsmem_tEENKUlT_SG_SH_SI_E_clIS7_S7_PlSB_EESF_SV_SG_SH_SI_EUlSV_E0_NS1_11comp_targetILNS1_3genE8ELNS1_11target_archE1030ELNS1_3gpuE2ELNS1_3repE0EEENS1_38merge_mergepath_config_static_selectorELNS0_4arch9wavefront6targetE1EEEvSH_, .Lfunc_end549-_ZN7rocprim17ROCPRIM_400000_NS6detail17trampoline_kernelINS0_14default_configENS1_38merge_sort_block_merge_config_selectorIalEEZZNS1_27merge_sort_block_merge_implIS3_PaN6thrust23THRUST_200600_302600_NS10device_ptrIlEEjNS1_19radix_merge_compareILb0ELb1EaNS0_19identity_decomposerEEEEE10hipError_tT0_T1_T2_jT3_P12ihipStream_tbPNSt15iterator_traitsISG_E10value_typeEPNSM_ISH_E10value_typeEPSI_NS1_7vsmem_tEENKUlT_SG_SH_SI_E_clIS7_S7_PlSB_EESF_SV_SG_SH_SI_EUlSV_E0_NS1_11comp_targetILNS1_3genE8ELNS1_11target_archE1030ELNS1_3gpuE2ELNS1_3repE0EEENS1_38merge_mergepath_config_static_selectorELNS0_4arch9wavefront6targetE1EEEvSH_
                                        ; -- End function
	.set _ZN7rocprim17ROCPRIM_400000_NS6detail17trampoline_kernelINS0_14default_configENS1_38merge_sort_block_merge_config_selectorIalEEZZNS1_27merge_sort_block_merge_implIS3_PaN6thrust23THRUST_200600_302600_NS10device_ptrIlEEjNS1_19radix_merge_compareILb0ELb1EaNS0_19identity_decomposerEEEEE10hipError_tT0_T1_T2_jT3_P12ihipStream_tbPNSt15iterator_traitsISG_E10value_typeEPNSM_ISH_E10value_typeEPSI_NS1_7vsmem_tEENKUlT_SG_SH_SI_E_clIS7_S7_PlSB_EESF_SV_SG_SH_SI_EUlSV_E0_NS1_11comp_targetILNS1_3genE8ELNS1_11target_archE1030ELNS1_3gpuE2ELNS1_3repE0EEENS1_38merge_mergepath_config_static_selectorELNS0_4arch9wavefront6targetE1EEEvSH_.num_vgpr, 0
	.set _ZN7rocprim17ROCPRIM_400000_NS6detail17trampoline_kernelINS0_14default_configENS1_38merge_sort_block_merge_config_selectorIalEEZZNS1_27merge_sort_block_merge_implIS3_PaN6thrust23THRUST_200600_302600_NS10device_ptrIlEEjNS1_19radix_merge_compareILb0ELb1EaNS0_19identity_decomposerEEEEE10hipError_tT0_T1_T2_jT3_P12ihipStream_tbPNSt15iterator_traitsISG_E10value_typeEPNSM_ISH_E10value_typeEPSI_NS1_7vsmem_tEENKUlT_SG_SH_SI_E_clIS7_S7_PlSB_EESF_SV_SG_SH_SI_EUlSV_E0_NS1_11comp_targetILNS1_3genE8ELNS1_11target_archE1030ELNS1_3gpuE2ELNS1_3repE0EEENS1_38merge_mergepath_config_static_selectorELNS0_4arch9wavefront6targetE1EEEvSH_.num_agpr, 0
	.set _ZN7rocprim17ROCPRIM_400000_NS6detail17trampoline_kernelINS0_14default_configENS1_38merge_sort_block_merge_config_selectorIalEEZZNS1_27merge_sort_block_merge_implIS3_PaN6thrust23THRUST_200600_302600_NS10device_ptrIlEEjNS1_19radix_merge_compareILb0ELb1EaNS0_19identity_decomposerEEEEE10hipError_tT0_T1_T2_jT3_P12ihipStream_tbPNSt15iterator_traitsISG_E10value_typeEPNSM_ISH_E10value_typeEPSI_NS1_7vsmem_tEENKUlT_SG_SH_SI_E_clIS7_S7_PlSB_EESF_SV_SG_SH_SI_EUlSV_E0_NS1_11comp_targetILNS1_3genE8ELNS1_11target_archE1030ELNS1_3gpuE2ELNS1_3repE0EEENS1_38merge_mergepath_config_static_selectorELNS0_4arch9wavefront6targetE1EEEvSH_.numbered_sgpr, 0
	.set _ZN7rocprim17ROCPRIM_400000_NS6detail17trampoline_kernelINS0_14default_configENS1_38merge_sort_block_merge_config_selectorIalEEZZNS1_27merge_sort_block_merge_implIS3_PaN6thrust23THRUST_200600_302600_NS10device_ptrIlEEjNS1_19radix_merge_compareILb0ELb1EaNS0_19identity_decomposerEEEEE10hipError_tT0_T1_T2_jT3_P12ihipStream_tbPNSt15iterator_traitsISG_E10value_typeEPNSM_ISH_E10value_typeEPSI_NS1_7vsmem_tEENKUlT_SG_SH_SI_E_clIS7_S7_PlSB_EESF_SV_SG_SH_SI_EUlSV_E0_NS1_11comp_targetILNS1_3genE8ELNS1_11target_archE1030ELNS1_3gpuE2ELNS1_3repE0EEENS1_38merge_mergepath_config_static_selectorELNS0_4arch9wavefront6targetE1EEEvSH_.num_named_barrier, 0
	.set _ZN7rocprim17ROCPRIM_400000_NS6detail17trampoline_kernelINS0_14default_configENS1_38merge_sort_block_merge_config_selectorIalEEZZNS1_27merge_sort_block_merge_implIS3_PaN6thrust23THRUST_200600_302600_NS10device_ptrIlEEjNS1_19radix_merge_compareILb0ELb1EaNS0_19identity_decomposerEEEEE10hipError_tT0_T1_T2_jT3_P12ihipStream_tbPNSt15iterator_traitsISG_E10value_typeEPNSM_ISH_E10value_typeEPSI_NS1_7vsmem_tEENKUlT_SG_SH_SI_E_clIS7_S7_PlSB_EESF_SV_SG_SH_SI_EUlSV_E0_NS1_11comp_targetILNS1_3genE8ELNS1_11target_archE1030ELNS1_3gpuE2ELNS1_3repE0EEENS1_38merge_mergepath_config_static_selectorELNS0_4arch9wavefront6targetE1EEEvSH_.private_seg_size, 0
	.set _ZN7rocprim17ROCPRIM_400000_NS6detail17trampoline_kernelINS0_14default_configENS1_38merge_sort_block_merge_config_selectorIalEEZZNS1_27merge_sort_block_merge_implIS3_PaN6thrust23THRUST_200600_302600_NS10device_ptrIlEEjNS1_19radix_merge_compareILb0ELb1EaNS0_19identity_decomposerEEEEE10hipError_tT0_T1_T2_jT3_P12ihipStream_tbPNSt15iterator_traitsISG_E10value_typeEPNSM_ISH_E10value_typeEPSI_NS1_7vsmem_tEENKUlT_SG_SH_SI_E_clIS7_S7_PlSB_EESF_SV_SG_SH_SI_EUlSV_E0_NS1_11comp_targetILNS1_3genE8ELNS1_11target_archE1030ELNS1_3gpuE2ELNS1_3repE0EEENS1_38merge_mergepath_config_static_selectorELNS0_4arch9wavefront6targetE1EEEvSH_.uses_vcc, 0
	.set _ZN7rocprim17ROCPRIM_400000_NS6detail17trampoline_kernelINS0_14default_configENS1_38merge_sort_block_merge_config_selectorIalEEZZNS1_27merge_sort_block_merge_implIS3_PaN6thrust23THRUST_200600_302600_NS10device_ptrIlEEjNS1_19radix_merge_compareILb0ELb1EaNS0_19identity_decomposerEEEEE10hipError_tT0_T1_T2_jT3_P12ihipStream_tbPNSt15iterator_traitsISG_E10value_typeEPNSM_ISH_E10value_typeEPSI_NS1_7vsmem_tEENKUlT_SG_SH_SI_E_clIS7_S7_PlSB_EESF_SV_SG_SH_SI_EUlSV_E0_NS1_11comp_targetILNS1_3genE8ELNS1_11target_archE1030ELNS1_3gpuE2ELNS1_3repE0EEENS1_38merge_mergepath_config_static_selectorELNS0_4arch9wavefront6targetE1EEEvSH_.uses_flat_scratch, 0
	.set _ZN7rocprim17ROCPRIM_400000_NS6detail17trampoline_kernelINS0_14default_configENS1_38merge_sort_block_merge_config_selectorIalEEZZNS1_27merge_sort_block_merge_implIS3_PaN6thrust23THRUST_200600_302600_NS10device_ptrIlEEjNS1_19radix_merge_compareILb0ELb1EaNS0_19identity_decomposerEEEEE10hipError_tT0_T1_T2_jT3_P12ihipStream_tbPNSt15iterator_traitsISG_E10value_typeEPNSM_ISH_E10value_typeEPSI_NS1_7vsmem_tEENKUlT_SG_SH_SI_E_clIS7_S7_PlSB_EESF_SV_SG_SH_SI_EUlSV_E0_NS1_11comp_targetILNS1_3genE8ELNS1_11target_archE1030ELNS1_3gpuE2ELNS1_3repE0EEENS1_38merge_mergepath_config_static_selectorELNS0_4arch9wavefront6targetE1EEEvSH_.has_dyn_sized_stack, 0
	.set _ZN7rocprim17ROCPRIM_400000_NS6detail17trampoline_kernelINS0_14default_configENS1_38merge_sort_block_merge_config_selectorIalEEZZNS1_27merge_sort_block_merge_implIS3_PaN6thrust23THRUST_200600_302600_NS10device_ptrIlEEjNS1_19radix_merge_compareILb0ELb1EaNS0_19identity_decomposerEEEEE10hipError_tT0_T1_T2_jT3_P12ihipStream_tbPNSt15iterator_traitsISG_E10value_typeEPNSM_ISH_E10value_typeEPSI_NS1_7vsmem_tEENKUlT_SG_SH_SI_E_clIS7_S7_PlSB_EESF_SV_SG_SH_SI_EUlSV_E0_NS1_11comp_targetILNS1_3genE8ELNS1_11target_archE1030ELNS1_3gpuE2ELNS1_3repE0EEENS1_38merge_mergepath_config_static_selectorELNS0_4arch9wavefront6targetE1EEEvSH_.has_recursion, 0
	.set _ZN7rocprim17ROCPRIM_400000_NS6detail17trampoline_kernelINS0_14default_configENS1_38merge_sort_block_merge_config_selectorIalEEZZNS1_27merge_sort_block_merge_implIS3_PaN6thrust23THRUST_200600_302600_NS10device_ptrIlEEjNS1_19radix_merge_compareILb0ELb1EaNS0_19identity_decomposerEEEEE10hipError_tT0_T1_T2_jT3_P12ihipStream_tbPNSt15iterator_traitsISG_E10value_typeEPNSM_ISH_E10value_typeEPSI_NS1_7vsmem_tEENKUlT_SG_SH_SI_E_clIS7_S7_PlSB_EESF_SV_SG_SH_SI_EUlSV_E0_NS1_11comp_targetILNS1_3genE8ELNS1_11target_archE1030ELNS1_3gpuE2ELNS1_3repE0EEENS1_38merge_mergepath_config_static_selectorELNS0_4arch9wavefront6targetE1EEEvSH_.has_indirect_call, 0
	.section	.AMDGPU.csdata,"",@progbits
; Kernel info:
; codeLenInByte = 0
; TotalNumSgprs: 4
; NumVgprs: 0
; ScratchSize: 0
; MemoryBound: 0
; FloatMode: 240
; IeeeMode: 1
; LDSByteSize: 0 bytes/workgroup (compile time only)
; SGPRBlocks: 0
; VGPRBlocks: 0
; NumSGPRsForWavesPerEU: 4
; NumVGPRsForWavesPerEU: 1
; Occupancy: 10
; WaveLimiterHint : 0
; COMPUTE_PGM_RSRC2:SCRATCH_EN: 0
; COMPUTE_PGM_RSRC2:USER_SGPR: 6
; COMPUTE_PGM_RSRC2:TRAP_HANDLER: 0
; COMPUTE_PGM_RSRC2:TGID_X_EN: 1
; COMPUTE_PGM_RSRC2:TGID_Y_EN: 0
; COMPUTE_PGM_RSRC2:TGID_Z_EN: 0
; COMPUTE_PGM_RSRC2:TIDIG_COMP_CNT: 0
	.section	.text._ZN7rocprim17ROCPRIM_400000_NS6detail17trampoline_kernelINS0_14default_configENS1_38merge_sort_block_merge_config_selectorIalEEZZNS1_27merge_sort_block_merge_implIS3_PaN6thrust23THRUST_200600_302600_NS10device_ptrIlEEjNS1_19radix_merge_compareILb0ELb1EaNS0_19identity_decomposerEEEEE10hipError_tT0_T1_T2_jT3_P12ihipStream_tbPNSt15iterator_traitsISG_E10value_typeEPNSM_ISH_E10value_typeEPSI_NS1_7vsmem_tEENKUlT_SG_SH_SI_E_clIS7_S7_PlSB_EESF_SV_SG_SH_SI_EUlSV_E1_NS1_11comp_targetILNS1_3genE0ELNS1_11target_archE4294967295ELNS1_3gpuE0ELNS1_3repE0EEENS1_36merge_oddeven_config_static_selectorELNS0_4arch9wavefront6targetE1EEEvSH_,"axG",@progbits,_ZN7rocprim17ROCPRIM_400000_NS6detail17trampoline_kernelINS0_14default_configENS1_38merge_sort_block_merge_config_selectorIalEEZZNS1_27merge_sort_block_merge_implIS3_PaN6thrust23THRUST_200600_302600_NS10device_ptrIlEEjNS1_19radix_merge_compareILb0ELb1EaNS0_19identity_decomposerEEEEE10hipError_tT0_T1_T2_jT3_P12ihipStream_tbPNSt15iterator_traitsISG_E10value_typeEPNSM_ISH_E10value_typeEPSI_NS1_7vsmem_tEENKUlT_SG_SH_SI_E_clIS7_S7_PlSB_EESF_SV_SG_SH_SI_EUlSV_E1_NS1_11comp_targetILNS1_3genE0ELNS1_11target_archE4294967295ELNS1_3gpuE0ELNS1_3repE0EEENS1_36merge_oddeven_config_static_selectorELNS0_4arch9wavefront6targetE1EEEvSH_,comdat
	.protected	_ZN7rocprim17ROCPRIM_400000_NS6detail17trampoline_kernelINS0_14default_configENS1_38merge_sort_block_merge_config_selectorIalEEZZNS1_27merge_sort_block_merge_implIS3_PaN6thrust23THRUST_200600_302600_NS10device_ptrIlEEjNS1_19radix_merge_compareILb0ELb1EaNS0_19identity_decomposerEEEEE10hipError_tT0_T1_T2_jT3_P12ihipStream_tbPNSt15iterator_traitsISG_E10value_typeEPNSM_ISH_E10value_typeEPSI_NS1_7vsmem_tEENKUlT_SG_SH_SI_E_clIS7_S7_PlSB_EESF_SV_SG_SH_SI_EUlSV_E1_NS1_11comp_targetILNS1_3genE0ELNS1_11target_archE4294967295ELNS1_3gpuE0ELNS1_3repE0EEENS1_36merge_oddeven_config_static_selectorELNS0_4arch9wavefront6targetE1EEEvSH_ ; -- Begin function _ZN7rocprim17ROCPRIM_400000_NS6detail17trampoline_kernelINS0_14default_configENS1_38merge_sort_block_merge_config_selectorIalEEZZNS1_27merge_sort_block_merge_implIS3_PaN6thrust23THRUST_200600_302600_NS10device_ptrIlEEjNS1_19radix_merge_compareILb0ELb1EaNS0_19identity_decomposerEEEEE10hipError_tT0_T1_T2_jT3_P12ihipStream_tbPNSt15iterator_traitsISG_E10value_typeEPNSM_ISH_E10value_typeEPSI_NS1_7vsmem_tEENKUlT_SG_SH_SI_E_clIS7_S7_PlSB_EESF_SV_SG_SH_SI_EUlSV_E1_NS1_11comp_targetILNS1_3genE0ELNS1_11target_archE4294967295ELNS1_3gpuE0ELNS1_3repE0EEENS1_36merge_oddeven_config_static_selectorELNS0_4arch9wavefront6targetE1EEEvSH_
	.globl	_ZN7rocprim17ROCPRIM_400000_NS6detail17trampoline_kernelINS0_14default_configENS1_38merge_sort_block_merge_config_selectorIalEEZZNS1_27merge_sort_block_merge_implIS3_PaN6thrust23THRUST_200600_302600_NS10device_ptrIlEEjNS1_19radix_merge_compareILb0ELb1EaNS0_19identity_decomposerEEEEE10hipError_tT0_T1_T2_jT3_P12ihipStream_tbPNSt15iterator_traitsISG_E10value_typeEPNSM_ISH_E10value_typeEPSI_NS1_7vsmem_tEENKUlT_SG_SH_SI_E_clIS7_S7_PlSB_EESF_SV_SG_SH_SI_EUlSV_E1_NS1_11comp_targetILNS1_3genE0ELNS1_11target_archE4294967295ELNS1_3gpuE0ELNS1_3repE0EEENS1_36merge_oddeven_config_static_selectorELNS0_4arch9wavefront6targetE1EEEvSH_
	.p2align	8
	.type	_ZN7rocprim17ROCPRIM_400000_NS6detail17trampoline_kernelINS0_14default_configENS1_38merge_sort_block_merge_config_selectorIalEEZZNS1_27merge_sort_block_merge_implIS3_PaN6thrust23THRUST_200600_302600_NS10device_ptrIlEEjNS1_19radix_merge_compareILb0ELb1EaNS0_19identity_decomposerEEEEE10hipError_tT0_T1_T2_jT3_P12ihipStream_tbPNSt15iterator_traitsISG_E10value_typeEPNSM_ISH_E10value_typeEPSI_NS1_7vsmem_tEENKUlT_SG_SH_SI_E_clIS7_S7_PlSB_EESF_SV_SG_SH_SI_EUlSV_E1_NS1_11comp_targetILNS1_3genE0ELNS1_11target_archE4294967295ELNS1_3gpuE0ELNS1_3repE0EEENS1_36merge_oddeven_config_static_selectorELNS0_4arch9wavefront6targetE1EEEvSH_,@function
_ZN7rocprim17ROCPRIM_400000_NS6detail17trampoline_kernelINS0_14default_configENS1_38merge_sort_block_merge_config_selectorIalEEZZNS1_27merge_sort_block_merge_implIS3_PaN6thrust23THRUST_200600_302600_NS10device_ptrIlEEjNS1_19radix_merge_compareILb0ELb1EaNS0_19identity_decomposerEEEEE10hipError_tT0_T1_T2_jT3_P12ihipStream_tbPNSt15iterator_traitsISG_E10value_typeEPNSM_ISH_E10value_typeEPSI_NS1_7vsmem_tEENKUlT_SG_SH_SI_E_clIS7_S7_PlSB_EESF_SV_SG_SH_SI_EUlSV_E1_NS1_11comp_targetILNS1_3genE0ELNS1_11target_archE4294967295ELNS1_3gpuE0ELNS1_3repE0EEENS1_36merge_oddeven_config_static_selectorELNS0_4arch9wavefront6targetE1EEEvSH_: ; @_ZN7rocprim17ROCPRIM_400000_NS6detail17trampoline_kernelINS0_14default_configENS1_38merge_sort_block_merge_config_selectorIalEEZZNS1_27merge_sort_block_merge_implIS3_PaN6thrust23THRUST_200600_302600_NS10device_ptrIlEEjNS1_19radix_merge_compareILb0ELb1EaNS0_19identity_decomposerEEEEE10hipError_tT0_T1_T2_jT3_P12ihipStream_tbPNSt15iterator_traitsISG_E10value_typeEPNSM_ISH_E10value_typeEPSI_NS1_7vsmem_tEENKUlT_SG_SH_SI_E_clIS7_S7_PlSB_EESF_SV_SG_SH_SI_EUlSV_E1_NS1_11comp_targetILNS1_3genE0ELNS1_11target_archE4294967295ELNS1_3gpuE0ELNS1_3repE0EEENS1_36merge_oddeven_config_static_selectorELNS0_4arch9wavefront6targetE1EEEvSH_
; %bb.0:
	.section	.rodata,"a",@progbits
	.p2align	6, 0x0
	.amdhsa_kernel _ZN7rocprim17ROCPRIM_400000_NS6detail17trampoline_kernelINS0_14default_configENS1_38merge_sort_block_merge_config_selectorIalEEZZNS1_27merge_sort_block_merge_implIS3_PaN6thrust23THRUST_200600_302600_NS10device_ptrIlEEjNS1_19radix_merge_compareILb0ELb1EaNS0_19identity_decomposerEEEEE10hipError_tT0_T1_T2_jT3_P12ihipStream_tbPNSt15iterator_traitsISG_E10value_typeEPNSM_ISH_E10value_typeEPSI_NS1_7vsmem_tEENKUlT_SG_SH_SI_E_clIS7_S7_PlSB_EESF_SV_SG_SH_SI_EUlSV_E1_NS1_11comp_targetILNS1_3genE0ELNS1_11target_archE4294967295ELNS1_3gpuE0ELNS1_3repE0EEENS1_36merge_oddeven_config_static_selectorELNS0_4arch9wavefront6targetE1EEEvSH_
		.amdhsa_group_segment_fixed_size 0
		.amdhsa_private_segment_fixed_size 0
		.amdhsa_kernarg_size 48
		.amdhsa_user_sgpr_count 6
		.amdhsa_user_sgpr_private_segment_buffer 1
		.amdhsa_user_sgpr_dispatch_ptr 0
		.amdhsa_user_sgpr_queue_ptr 0
		.amdhsa_user_sgpr_kernarg_segment_ptr 1
		.amdhsa_user_sgpr_dispatch_id 0
		.amdhsa_user_sgpr_flat_scratch_init 0
		.amdhsa_user_sgpr_private_segment_size 0
		.amdhsa_uses_dynamic_stack 0
		.amdhsa_system_sgpr_private_segment_wavefront_offset 0
		.amdhsa_system_sgpr_workgroup_id_x 1
		.amdhsa_system_sgpr_workgroup_id_y 0
		.amdhsa_system_sgpr_workgroup_id_z 0
		.amdhsa_system_sgpr_workgroup_info 0
		.amdhsa_system_vgpr_workitem_id 0
		.amdhsa_next_free_vgpr 1
		.amdhsa_next_free_sgpr 0
		.amdhsa_reserve_vcc 0
		.amdhsa_reserve_flat_scratch 0
		.amdhsa_float_round_mode_32 0
		.amdhsa_float_round_mode_16_64 0
		.amdhsa_float_denorm_mode_32 3
		.amdhsa_float_denorm_mode_16_64 3
		.amdhsa_dx10_clamp 1
		.amdhsa_ieee_mode 1
		.amdhsa_fp16_overflow 0
		.amdhsa_exception_fp_ieee_invalid_op 0
		.amdhsa_exception_fp_denorm_src 0
		.amdhsa_exception_fp_ieee_div_zero 0
		.amdhsa_exception_fp_ieee_overflow 0
		.amdhsa_exception_fp_ieee_underflow 0
		.amdhsa_exception_fp_ieee_inexact 0
		.amdhsa_exception_int_div_zero 0
	.end_amdhsa_kernel
	.section	.text._ZN7rocprim17ROCPRIM_400000_NS6detail17trampoline_kernelINS0_14default_configENS1_38merge_sort_block_merge_config_selectorIalEEZZNS1_27merge_sort_block_merge_implIS3_PaN6thrust23THRUST_200600_302600_NS10device_ptrIlEEjNS1_19radix_merge_compareILb0ELb1EaNS0_19identity_decomposerEEEEE10hipError_tT0_T1_T2_jT3_P12ihipStream_tbPNSt15iterator_traitsISG_E10value_typeEPNSM_ISH_E10value_typeEPSI_NS1_7vsmem_tEENKUlT_SG_SH_SI_E_clIS7_S7_PlSB_EESF_SV_SG_SH_SI_EUlSV_E1_NS1_11comp_targetILNS1_3genE0ELNS1_11target_archE4294967295ELNS1_3gpuE0ELNS1_3repE0EEENS1_36merge_oddeven_config_static_selectorELNS0_4arch9wavefront6targetE1EEEvSH_,"axG",@progbits,_ZN7rocprim17ROCPRIM_400000_NS6detail17trampoline_kernelINS0_14default_configENS1_38merge_sort_block_merge_config_selectorIalEEZZNS1_27merge_sort_block_merge_implIS3_PaN6thrust23THRUST_200600_302600_NS10device_ptrIlEEjNS1_19radix_merge_compareILb0ELb1EaNS0_19identity_decomposerEEEEE10hipError_tT0_T1_T2_jT3_P12ihipStream_tbPNSt15iterator_traitsISG_E10value_typeEPNSM_ISH_E10value_typeEPSI_NS1_7vsmem_tEENKUlT_SG_SH_SI_E_clIS7_S7_PlSB_EESF_SV_SG_SH_SI_EUlSV_E1_NS1_11comp_targetILNS1_3genE0ELNS1_11target_archE4294967295ELNS1_3gpuE0ELNS1_3repE0EEENS1_36merge_oddeven_config_static_selectorELNS0_4arch9wavefront6targetE1EEEvSH_,comdat
.Lfunc_end550:
	.size	_ZN7rocprim17ROCPRIM_400000_NS6detail17trampoline_kernelINS0_14default_configENS1_38merge_sort_block_merge_config_selectorIalEEZZNS1_27merge_sort_block_merge_implIS3_PaN6thrust23THRUST_200600_302600_NS10device_ptrIlEEjNS1_19radix_merge_compareILb0ELb1EaNS0_19identity_decomposerEEEEE10hipError_tT0_T1_T2_jT3_P12ihipStream_tbPNSt15iterator_traitsISG_E10value_typeEPNSM_ISH_E10value_typeEPSI_NS1_7vsmem_tEENKUlT_SG_SH_SI_E_clIS7_S7_PlSB_EESF_SV_SG_SH_SI_EUlSV_E1_NS1_11comp_targetILNS1_3genE0ELNS1_11target_archE4294967295ELNS1_3gpuE0ELNS1_3repE0EEENS1_36merge_oddeven_config_static_selectorELNS0_4arch9wavefront6targetE1EEEvSH_, .Lfunc_end550-_ZN7rocprim17ROCPRIM_400000_NS6detail17trampoline_kernelINS0_14default_configENS1_38merge_sort_block_merge_config_selectorIalEEZZNS1_27merge_sort_block_merge_implIS3_PaN6thrust23THRUST_200600_302600_NS10device_ptrIlEEjNS1_19radix_merge_compareILb0ELb1EaNS0_19identity_decomposerEEEEE10hipError_tT0_T1_T2_jT3_P12ihipStream_tbPNSt15iterator_traitsISG_E10value_typeEPNSM_ISH_E10value_typeEPSI_NS1_7vsmem_tEENKUlT_SG_SH_SI_E_clIS7_S7_PlSB_EESF_SV_SG_SH_SI_EUlSV_E1_NS1_11comp_targetILNS1_3genE0ELNS1_11target_archE4294967295ELNS1_3gpuE0ELNS1_3repE0EEENS1_36merge_oddeven_config_static_selectorELNS0_4arch9wavefront6targetE1EEEvSH_
                                        ; -- End function
	.set _ZN7rocprim17ROCPRIM_400000_NS6detail17trampoline_kernelINS0_14default_configENS1_38merge_sort_block_merge_config_selectorIalEEZZNS1_27merge_sort_block_merge_implIS3_PaN6thrust23THRUST_200600_302600_NS10device_ptrIlEEjNS1_19radix_merge_compareILb0ELb1EaNS0_19identity_decomposerEEEEE10hipError_tT0_T1_T2_jT3_P12ihipStream_tbPNSt15iterator_traitsISG_E10value_typeEPNSM_ISH_E10value_typeEPSI_NS1_7vsmem_tEENKUlT_SG_SH_SI_E_clIS7_S7_PlSB_EESF_SV_SG_SH_SI_EUlSV_E1_NS1_11comp_targetILNS1_3genE0ELNS1_11target_archE4294967295ELNS1_3gpuE0ELNS1_3repE0EEENS1_36merge_oddeven_config_static_selectorELNS0_4arch9wavefront6targetE1EEEvSH_.num_vgpr, 0
	.set _ZN7rocprim17ROCPRIM_400000_NS6detail17trampoline_kernelINS0_14default_configENS1_38merge_sort_block_merge_config_selectorIalEEZZNS1_27merge_sort_block_merge_implIS3_PaN6thrust23THRUST_200600_302600_NS10device_ptrIlEEjNS1_19radix_merge_compareILb0ELb1EaNS0_19identity_decomposerEEEEE10hipError_tT0_T1_T2_jT3_P12ihipStream_tbPNSt15iterator_traitsISG_E10value_typeEPNSM_ISH_E10value_typeEPSI_NS1_7vsmem_tEENKUlT_SG_SH_SI_E_clIS7_S7_PlSB_EESF_SV_SG_SH_SI_EUlSV_E1_NS1_11comp_targetILNS1_3genE0ELNS1_11target_archE4294967295ELNS1_3gpuE0ELNS1_3repE0EEENS1_36merge_oddeven_config_static_selectorELNS0_4arch9wavefront6targetE1EEEvSH_.num_agpr, 0
	.set _ZN7rocprim17ROCPRIM_400000_NS6detail17trampoline_kernelINS0_14default_configENS1_38merge_sort_block_merge_config_selectorIalEEZZNS1_27merge_sort_block_merge_implIS3_PaN6thrust23THRUST_200600_302600_NS10device_ptrIlEEjNS1_19radix_merge_compareILb0ELb1EaNS0_19identity_decomposerEEEEE10hipError_tT0_T1_T2_jT3_P12ihipStream_tbPNSt15iterator_traitsISG_E10value_typeEPNSM_ISH_E10value_typeEPSI_NS1_7vsmem_tEENKUlT_SG_SH_SI_E_clIS7_S7_PlSB_EESF_SV_SG_SH_SI_EUlSV_E1_NS1_11comp_targetILNS1_3genE0ELNS1_11target_archE4294967295ELNS1_3gpuE0ELNS1_3repE0EEENS1_36merge_oddeven_config_static_selectorELNS0_4arch9wavefront6targetE1EEEvSH_.numbered_sgpr, 0
	.set _ZN7rocprim17ROCPRIM_400000_NS6detail17trampoline_kernelINS0_14default_configENS1_38merge_sort_block_merge_config_selectorIalEEZZNS1_27merge_sort_block_merge_implIS3_PaN6thrust23THRUST_200600_302600_NS10device_ptrIlEEjNS1_19radix_merge_compareILb0ELb1EaNS0_19identity_decomposerEEEEE10hipError_tT0_T1_T2_jT3_P12ihipStream_tbPNSt15iterator_traitsISG_E10value_typeEPNSM_ISH_E10value_typeEPSI_NS1_7vsmem_tEENKUlT_SG_SH_SI_E_clIS7_S7_PlSB_EESF_SV_SG_SH_SI_EUlSV_E1_NS1_11comp_targetILNS1_3genE0ELNS1_11target_archE4294967295ELNS1_3gpuE0ELNS1_3repE0EEENS1_36merge_oddeven_config_static_selectorELNS0_4arch9wavefront6targetE1EEEvSH_.num_named_barrier, 0
	.set _ZN7rocprim17ROCPRIM_400000_NS6detail17trampoline_kernelINS0_14default_configENS1_38merge_sort_block_merge_config_selectorIalEEZZNS1_27merge_sort_block_merge_implIS3_PaN6thrust23THRUST_200600_302600_NS10device_ptrIlEEjNS1_19radix_merge_compareILb0ELb1EaNS0_19identity_decomposerEEEEE10hipError_tT0_T1_T2_jT3_P12ihipStream_tbPNSt15iterator_traitsISG_E10value_typeEPNSM_ISH_E10value_typeEPSI_NS1_7vsmem_tEENKUlT_SG_SH_SI_E_clIS7_S7_PlSB_EESF_SV_SG_SH_SI_EUlSV_E1_NS1_11comp_targetILNS1_3genE0ELNS1_11target_archE4294967295ELNS1_3gpuE0ELNS1_3repE0EEENS1_36merge_oddeven_config_static_selectorELNS0_4arch9wavefront6targetE1EEEvSH_.private_seg_size, 0
	.set _ZN7rocprim17ROCPRIM_400000_NS6detail17trampoline_kernelINS0_14default_configENS1_38merge_sort_block_merge_config_selectorIalEEZZNS1_27merge_sort_block_merge_implIS3_PaN6thrust23THRUST_200600_302600_NS10device_ptrIlEEjNS1_19radix_merge_compareILb0ELb1EaNS0_19identity_decomposerEEEEE10hipError_tT0_T1_T2_jT3_P12ihipStream_tbPNSt15iterator_traitsISG_E10value_typeEPNSM_ISH_E10value_typeEPSI_NS1_7vsmem_tEENKUlT_SG_SH_SI_E_clIS7_S7_PlSB_EESF_SV_SG_SH_SI_EUlSV_E1_NS1_11comp_targetILNS1_3genE0ELNS1_11target_archE4294967295ELNS1_3gpuE0ELNS1_3repE0EEENS1_36merge_oddeven_config_static_selectorELNS0_4arch9wavefront6targetE1EEEvSH_.uses_vcc, 0
	.set _ZN7rocprim17ROCPRIM_400000_NS6detail17trampoline_kernelINS0_14default_configENS1_38merge_sort_block_merge_config_selectorIalEEZZNS1_27merge_sort_block_merge_implIS3_PaN6thrust23THRUST_200600_302600_NS10device_ptrIlEEjNS1_19radix_merge_compareILb0ELb1EaNS0_19identity_decomposerEEEEE10hipError_tT0_T1_T2_jT3_P12ihipStream_tbPNSt15iterator_traitsISG_E10value_typeEPNSM_ISH_E10value_typeEPSI_NS1_7vsmem_tEENKUlT_SG_SH_SI_E_clIS7_S7_PlSB_EESF_SV_SG_SH_SI_EUlSV_E1_NS1_11comp_targetILNS1_3genE0ELNS1_11target_archE4294967295ELNS1_3gpuE0ELNS1_3repE0EEENS1_36merge_oddeven_config_static_selectorELNS0_4arch9wavefront6targetE1EEEvSH_.uses_flat_scratch, 0
	.set _ZN7rocprim17ROCPRIM_400000_NS6detail17trampoline_kernelINS0_14default_configENS1_38merge_sort_block_merge_config_selectorIalEEZZNS1_27merge_sort_block_merge_implIS3_PaN6thrust23THRUST_200600_302600_NS10device_ptrIlEEjNS1_19radix_merge_compareILb0ELb1EaNS0_19identity_decomposerEEEEE10hipError_tT0_T1_T2_jT3_P12ihipStream_tbPNSt15iterator_traitsISG_E10value_typeEPNSM_ISH_E10value_typeEPSI_NS1_7vsmem_tEENKUlT_SG_SH_SI_E_clIS7_S7_PlSB_EESF_SV_SG_SH_SI_EUlSV_E1_NS1_11comp_targetILNS1_3genE0ELNS1_11target_archE4294967295ELNS1_3gpuE0ELNS1_3repE0EEENS1_36merge_oddeven_config_static_selectorELNS0_4arch9wavefront6targetE1EEEvSH_.has_dyn_sized_stack, 0
	.set _ZN7rocprim17ROCPRIM_400000_NS6detail17trampoline_kernelINS0_14default_configENS1_38merge_sort_block_merge_config_selectorIalEEZZNS1_27merge_sort_block_merge_implIS3_PaN6thrust23THRUST_200600_302600_NS10device_ptrIlEEjNS1_19radix_merge_compareILb0ELb1EaNS0_19identity_decomposerEEEEE10hipError_tT0_T1_T2_jT3_P12ihipStream_tbPNSt15iterator_traitsISG_E10value_typeEPNSM_ISH_E10value_typeEPSI_NS1_7vsmem_tEENKUlT_SG_SH_SI_E_clIS7_S7_PlSB_EESF_SV_SG_SH_SI_EUlSV_E1_NS1_11comp_targetILNS1_3genE0ELNS1_11target_archE4294967295ELNS1_3gpuE0ELNS1_3repE0EEENS1_36merge_oddeven_config_static_selectorELNS0_4arch9wavefront6targetE1EEEvSH_.has_recursion, 0
	.set _ZN7rocprim17ROCPRIM_400000_NS6detail17trampoline_kernelINS0_14default_configENS1_38merge_sort_block_merge_config_selectorIalEEZZNS1_27merge_sort_block_merge_implIS3_PaN6thrust23THRUST_200600_302600_NS10device_ptrIlEEjNS1_19radix_merge_compareILb0ELb1EaNS0_19identity_decomposerEEEEE10hipError_tT0_T1_T2_jT3_P12ihipStream_tbPNSt15iterator_traitsISG_E10value_typeEPNSM_ISH_E10value_typeEPSI_NS1_7vsmem_tEENKUlT_SG_SH_SI_E_clIS7_S7_PlSB_EESF_SV_SG_SH_SI_EUlSV_E1_NS1_11comp_targetILNS1_3genE0ELNS1_11target_archE4294967295ELNS1_3gpuE0ELNS1_3repE0EEENS1_36merge_oddeven_config_static_selectorELNS0_4arch9wavefront6targetE1EEEvSH_.has_indirect_call, 0
	.section	.AMDGPU.csdata,"",@progbits
; Kernel info:
; codeLenInByte = 0
; TotalNumSgprs: 4
; NumVgprs: 0
; ScratchSize: 0
; MemoryBound: 0
; FloatMode: 240
; IeeeMode: 1
; LDSByteSize: 0 bytes/workgroup (compile time only)
; SGPRBlocks: 0
; VGPRBlocks: 0
; NumSGPRsForWavesPerEU: 4
; NumVGPRsForWavesPerEU: 1
; Occupancy: 10
; WaveLimiterHint : 0
; COMPUTE_PGM_RSRC2:SCRATCH_EN: 0
; COMPUTE_PGM_RSRC2:USER_SGPR: 6
; COMPUTE_PGM_RSRC2:TRAP_HANDLER: 0
; COMPUTE_PGM_RSRC2:TGID_X_EN: 1
; COMPUTE_PGM_RSRC2:TGID_Y_EN: 0
; COMPUTE_PGM_RSRC2:TGID_Z_EN: 0
; COMPUTE_PGM_RSRC2:TIDIG_COMP_CNT: 0
	.section	.text._ZN7rocprim17ROCPRIM_400000_NS6detail17trampoline_kernelINS0_14default_configENS1_38merge_sort_block_merge_config_selectorIalEEZZNS1_27merge_sort_block_merge_implIS3_PaN6thrust23THRUST_200600_302600_NS10device_ptrIlEEjNS1_19radix_merge_compareILb0ELb1EaNS0_19identity_decomposerEEEEE10hipError_tT0_T1_T2_jT3_P12ihipStream_tbPNSt15iterator_traitsISG_E10value_typeEPNSM_ISH_E10value_typeEPSI_NS1_7vsmem_tEENKUlT_SG_SH_SI_E_clIS7_S7_PlSB_EESF_SV_SG_SH_SI_EUlSV_E1_NS1_11comp_targetILNS1_3genE10ELNS1_11target_archE1201ELNS1_3gpuE5ELNS1_3repE0EEENS1_36merge_oddeven_config_static_selectorELNS0_4arch9wavefront6targetE1EEEvSH_,"axG",@progbits,_ZN7rocprim17ROCPRIM_400000_NS6detail17trampoline_kernelINS0_14default_configENS1_38merge_sort_block_merge_config_selectorIalEEZZNS1_27merge_sort_block_merge_implIS3_PaN6thrust23THRUST_200600_302600_NS10device_ptrIlEEjNS1_19radix_merge_compareILb0ELb1EaNS0_19identity_decomposerEEEEE10hipError_tT0_T1_T2_jT3_P12ihipStream_tbPNSt15iterator_traitsISG_E10value_typeEPNSM_ISH_E10value_typeEPSI_NS1_7vsmem_tEENKUlT_SG_SH_SI_E_clIS7_S7_PlSB_EESF_SV_SG_SH_SI_EUlSV_E1_NS1_11comp_targetILNS1_3genE10ELNS1_11target_archE1201ELNS1_3gpuE5ELNS1_3repE0EEENS1_36merge_oddeven_config_static_selectorELNS0_4arch9wavefront6targetE1EEEvSH_,comdat
	.protected	_ZN7rocprim17ROCPRIM_400000_NS6detail17trampoline_kernelINS0_14default_configENS1_38merge_sort_block_merge_config_selectorIalEEZZNS1_27merge_sort_block_merge_implIS3_PaN6thrust23THRUST_200600_302600_NS10device_ptrIlEEjNS1_19radix_merge_compareILb0ELb1EaNS0_19identity_decomposerEEEEE10hipError_tT0_T1_T2_jT3_P12ihipStream_tbPNSt15iterator_traitsISG_E10value_typeEPNSM_ISH_E10value_typeEPSI_NS1_7vsmem_tEENKUlT_SG_SH_SI_E_clIS7_S7_PlSB_EESF_SV_SG_SH_SI_EUlSV_E1_NS1_11comp_targetILNS1_3genE10ELNS1_11target_archE1201ELNS1_3gpuE5ELNS1_3repE0EEENS1_36merge_oddeven_config_static_selectorELNS0_4arch9wavefront6targetE1EEEvSH_ ; -- Begin function _ZN7rocprim17ROCPRIM_400000_NS6detail17trampoline_kernelINS0_14default_configENS1_38merge_sort_block_merge_config_selectorIalEEZZNS1_27merge_sort_block_merge_implIS3_PaN6thrust23THRUST_200600_302600_NS10device_ptrIlEEjNS1_19radix_merge_compareILb0ELb1EaNS0_19identity_decomposerEEEEE10hipError_tT0_T1_T2_jT3_P12ihipStream_tbPNSt15iterator_traitsISG_E10value_typeEPNSM_ISH_E10value_typeEPSI_NS1_7vsmem_tEENKUlT_SG_SH_SI_E_clIS7_S7_PlSB_EESF_SV_SG_SH_SI_EUlSV_E1_NS1_11comp_targetILNS1_3genE10ELNS1_11target_archE1201ELNS1_3gpuE5ELNS1_3repE0EEENS1_36merge_oddeven_config_static_selectorELNS0_4arch9wavefront6targetE1EEEvSH_
	.globl	_ZN7rocprim17ROCPRIM_400000_NS6detail17trampoline_kernelINS0_14default_configENS1_38merge_sort_block_merge_config_selectorIalEEZZNS1_27merge_sort_block_merge_implIS3_PaN6thrust23THRUST_200600_302600_NS10device_ptrIlEEjNS1_19radix_merge_compareILb0ELb1EaNS0_19identity_decomposerEEEEE10hipError_tT0_T1_T2_jT3_P12ihipStream_tbPNSt15iterator_traitsISG_E10value_typeEPNSM_ISH_E10value_typeEPSI_NS1_7vsmem_tEENKUlT_SG_SH_SI_E_clIS7_S7_PlSB_EESF_SV_SG_SH_SI_EUlSV_E1_NS1_11comp_targetILNS1_3genE10ELNS1_11target_archE1201ELNS1_3gpuE5ELNS1_3repE0EEENS1_36merge_oddeven_config_static_selectorELNS0_4arch9wavefront6targetE1EEEvSH_
	.p2align	8
	.type	_ZN7rocprim17ROCPRIM_400000_NS6detail17trampoline_kernelINS0_14default_configENS1_38merge_sort_block_merge_config_selectorIalEEZZNS1_27merge_sort_block_merge_implIS3_PaN6thrust23THRUST_200600_302600_NS10device_ptrIlEEjNS1_19radix_merge_compareILb0ELb1EaNS0_19identity_decomposerEEEEE10hipError_tT0_T1_T2_jT3_P12ihipStream_tbPNSt15iterator_traitsISG_E10value_typeEPNSM_ISH_E10value_typeEPSI_NS1_7vsmem_tEENKUlT_SG_SH_SI_E_clIS7_S7_PlSB_EESF_SV_SG_SH_SI_EUlSV_E1_NS1_11comp_targetILNS1_3genE10ELNS1_11target_archE1201ELNS1_3gpuE5ELNS1_3repE0EEENS1_36merge_oddeven_config_static_selectorELNS0_4arch9wavefront6targetE1EEEvSH_,@function
_ZN7rocprim17ROCPRIM_400000_NS6detail17trampoline_kernelINS0_14default_configENS1_38merge_sort_block_merge_config_selectorIalEEZZNS1_27merge_sort_block_merge_implIS3_PaN6thrust23THRUST_200600_302600_NS10device_ptrIlEEjNS1_19radix_merge_compareILb0ELb1EaNS0_19identity_decomposerEEEEE10hipError_tT0_T1_T2_jT3_P12ihipStream_tbPNSt15iterator_traitsISG_E10value_typeEPNSM_ISH_E10value_typeEPSI_NS1_7vsmem_tEENKUlT_SG_SH_SI_E_clIS7_S7_PlSB_EESF_SV_SG_SH_SI_EUlSV_E1_NS1_11comp_targetILNS1_3genE10ELNS1_11target_archE1201ELNS1_3gpuE5ELNS1_3repE0EEENS1_36merge_oddeven_config_static_selectorELNS0_4arch9wavefront6targetE1EEEvSH_: ; @_ZN7rocprim17ROCPRIM_400000_NS6detail17trampoline_kernelINS0_14default_configENS1_38merge_sort_block_merge_config_selectorIalEEZZNS1_27merge_sort_block_merge_implIS3_PaN6thrust23THRUST_200600_302600_NS10device_ptrIlEEjNS1_19radix_merge_compareILb0ELb1EaNS0_19identity_decomposerEEEEE10hipError_tT0_T1_T2_jT3_P12ihipStream_tbPNSt15iterator_traitsISG_E10value_typeEPNSM_ISH_E10value_typeEPSI_NS1_7vsmem_tEENKUlT_SG_SH_SI_E_clIS7_S7_PlSB_EESF_SV_SG_SH_SI_EUlSV_E1_NS1_11comp_targetILNS1_3genE10ELNS1_11target_archE1201ELNS1_3gpuE5ELNS1_3repE0EEENS1_36merge_oddeven_config_static_selectorELNS0_4arch9wavefront6targetE1EEEvSH_
; %bb.0:
	.section	.rodata,"a",@progbits
	.p2align	6, 0x0
	.amdhsa_kernel _ZN7rocprim17ROCPRIM_400000_NS6detail17trampoline_kernelINS0_14default_configENS1_38merge_sort_block_merge_config_selectorIalEEZZNS1_27merge_sort_block_merge_implIS3_PaN6thrust23THRUST_200600_302600_NS10device_ptrIlEEjNS1_19radix_merge_compareILb0ELb1EaNS0_19identity_decomposerEEEEE10hipError_tT0_T1_T2_jT3_P12ihipStream_tbPNSt15iterator_traitsISG_E10value_typeEPNSM_ISH_E10value_typeEPSI_NS1_7vsmem_tEENKUlT_SG_SH_SI_E_clIS7_S7_PlSB_EESF_SV_SG_SH_SI_EUlSV_E1_NS1_11comp_targetILNS1_3genE10ELNS1_11target_archE1201ELNS1_3gpuE5ELNS1_3repE0EEENS1_36merge_oddeven_config_static_selectorELNS0_4arch9wavefront6targetE1EEEvSH_
		.amdhsa_group_segment_fixed_size 0
		.amdhsa_private_segment_fixed_size 0
		.amdhsa_kernarg_size 48
		.amdhsa_user_sgpr_count 6
		.amdhsa_user_sgpr_private_segment_buffer 1
		.amdhsa_user_sgpr_dispatch_ptr 0
		.amdhsa_user_sgpr_queue_ptr 0
		.amdhsa_user_sgpr_kernarg_segment_ptr 1
		.amdhsa_user_sgpr_dispatch_id 0
		.amdhsa_user_sgpr_flat_scratch_init 0
		.amdhsa_user_sgpr_private_segment_size 0
		.amdhsa_uses_dynamic_stack 0
		.amdhsa_system_sgpr_private_segment_wavefront_offset 0
		.amdhsa_system_sgpr_workgroup_id_x 1
		.amdhsa_system_sgpr_workgroup_id_y 0
		.amdhsa_system_sgpr_workgroup_id_z 0
		.amdhsa_system_sgpr_workgroup_info 0
		.amdhsa_system_vgpr_workitem_id 0
		.amdhsa_next_free_vgpr 1
		.amdhsa_next_free_sgpr 0
		.amdhsa_reserve_vcc 0
		.amdhsa_reserve_flat_scratch 0
		.amdhsa_float_round_mode_32 0
		.amdhsa_float_round_mode_16_64 0
		.amdhsa_float_denorm_mode_32 3
		.amdhsa_float_denorm_mode_16_64 3
		.amdhsa_dx10_clamp 1
		.amdhsa_ieee_mode 1
		.amdhsa_fp16_overflow 0
		.amdhsa_exception_fp_ieee_invalid_op 0
		.amdhsa_exception_fp_denorm_src 0
		.amdhsa_exception_fp_ieee_div_zero 0
		.amdhsa_exception_fp_ieee_overflow 0
		.amdhsa_exception_fp_ieee_underflow 0
		.amdhsa_exception_fp_ieee_inexact 0
		.amdhsa_exception_int_div_zero 0
	.end_amdhsa_kernel
	.section	.text._ZN7rocprim17ROCPRIM_400000_NS6detail17trampoline_kernelINS0_14default_configENS1_38merge_sort_block_merge_config_selectorIalEEZZNS1_27merge_sort_block_merge_implIS3_PaN6thrust23THRUST_200600_302600_NS10device_ptrIlEEjNS1_19radix_merge_compareILb0ELb1EaNS0_19identity_decomposerEEEEE10hipError_tT0_T1_T2_jT3_P12ihipStream_tbPNSt15iterator_traitsISG_E10value_typeEPNSM_ISH_E10value_typeEPSI_NS1_7vsmem_tEENKUlT_SG_SH_SI_E_clIS7_S7_PlSB_EESF_SV_SG_SH_SI_EUlSV_E1_NS1_11comp_targetILNS1_3genE10ELNS1_11target_archE1201ELNS1_3gpuE5ELNS1_3repE0EEENS1_36merge_oddeven_config_static_selectorELNS0_4arch9wavefront6targetE1EEEvSH_,"axG",@progbits,_ZN7rocprim17ROCPRIM_400000_NS6detail17trampoline_kernelINS0_14default_configENS1_38merge_sort_block_merge_config_selectorIalEEZZNS1_27merge_sort_block_merge_implIS3_PaN6thrust23THRUST_200600_302600_NS10device_ptrIlEEjNS1_19radix_merge_compareILb0ELb1EaNS0_19identity_decomposerEEEEE10hipError_tT0_T1_T2_jT3_P12ihipStream_tbPNSt15iterator_traitsISG_E10value_typeEPNSM_ISH_E10value_typeEPSI_NS1_7vsmem_tEENKUlT_SG_SH_SI_E_clIS7_S7_PlSB_EESF_SV_SG_SH_SI_EUlSV_E1_NS1_11comp_targetILNS1_3genE10ELNS1_11target_archE1201ELNS1_3gpuE5ELNS1_3repE0EEENS1_36merge_oddeven_config_static_selectorELNS0_4arch9wavefront6targetE1EEEvSH_,comdat
.Lfunc_end551:
	.size	_ZN7rocprim17ROCPRIM_400000_NS6detail17trampoline_kernelINS0_14default_configENS1_38merge_sort_block_merge_config_selectorIalEEZZNS1_27merge_sort_block_merge_implIS3_PaN6thrust23THRUST_200600_302600_NS10device_ptrIlEEjNS1_19radix_merge_compareILb0ELb1EaNS0_19identity_decomposerEEEEE10hipError_tT0_T1_T2_jT3_P12ihipStream_tbPNSt15iterator_traitsISG_E10value_typeEPNSM_ISH_E10value_typeEPSI_NS1_7vsmem_tEENKUlT_SG_SH_SI_E_clIS7_S7_PlSB_EESF_SV_SG_SH_SI_EUlSV_E1_NS1_11comp_targetILNS1_3genE10ELNS1_11target_archE1201ELNS1_3gpuE5ELNS1_3repE0EEENS1_36merge_oddeven_config_static_selectorELNS0_4arch9wavefront6targetE1EEEvSH_, .Lfunc_end551-_ZN7rocprim17ROCPRIM_400000_NS6detail17trampoline_kernelINS0_14default_configENS1_38merge_sort_block_merge_config_selectorIalEEZZNS1_27merge_sort_block_merge_implIS3_PaN6thrust23THRUST_200600_302600_NS10device_ptrIlEEjNS1_19radix_merge_compareILb0ELb1EaNS0_19identity_decomposerEEEEE10hipError_tT0_T1_T2_jT3_P12ihipStream_tbPNSt15iterator_traitsISG_E10value_typeEPNSM_ISH_E10value_typeEPSI_NS1_7vsmem_tEENKUlT_SG_SH_SI_E_clIS7_S7_PlSB_EESF_SV_SG_SH_SI_EUlSV_E1_NS1_11comp_targetILNS1_3genE10ELNS1_11target_archE1201ELNS1_3gpuE5ELNS1_3repE0EEENS1_36merge_oddeven_config_static_selectorELNS0_4arch9wavefront6targetE1EEEvSH_
                                        ; -- End function
	.set _ZN7rocprim17ROCPRIM_400000_NS6detail17trampoline_kernelINS0_14default_configENS1_38merge_sort_block_merge_config_selectorIalEEZZNS1_27merge_sort_block_merge_implIS3_PaN6thrust23THRUST_200600_302600_NS10device_ptrIlEEjNS1_19radix_merge_compareILb0ELb1EaNS0_19identity_decomposerEEEEE10hipError_tT0_T1_T2_jT3_P12ihipStream_tbPNSt15iterator_traitsISG_E10value_typeEPNSM_ISH_E10value_typeEPSI_NS1_7vsmem_tEENKUlT_SG_SH_SI_E_clIS7_S7_PlSB_EESF_SV_SG_SH_SI_EUlSV_E1_NS1_11comp_targetILNS1_3genE10ELNS1_11target_archE1201ELNS1_3gpuE5ELNS1_3repE0EEENS1_36merge_oddeven_config_static_selectorELNS0_4arch9wavefront6targetE1EEEvSH_.num_vgpr, 0
	.set _ZN7rocprim17ROCPRIM_400000_NS6detail17trampoline_kernelINS0_14default_configENS1_38merge_sort_block_merge_config_selectorIalEEZZNS1_27merge_sort_block_merge_implIS3_PaN6thrust23THRUST_200600_302600_NS10device_ptrIlEEjNS1_19radix_merge_compareILb0ELb1EaNS0_19identity_decomposerEEEEE10hipError_tT0_T1_T2_jT3_P12ihipStream_tbPNSt15iterator_traitsISG_E10value_typeEPNSM_ISH_E10value_typeEPSI_NS1_7vsmem_tEENKUlT_SG_SH_SI_E_clIS7_S7_PlSB_EESF_SV_SG_SH_SI_EUlSV_E1_NS1_11comp_targetILNS1_3genE10ELNS1_11target_archE1201ELNS1_3gpuE5ELNS1_3repE0EEENS1_36merge_oddeven_config_static_selectorELNS0_4arch9wavefront6targetE1EEEvSH_.num_agpr, 0
	.set _ZN7rocprim17ROCPRIM_400000_NS6detail17trampoline_kernelINS0_14default_configENS1_38merge_sort_block_merge_config_selectorIalEEZZNS1_27merge_sort_block_merge_implIS3_PaN6thrust23THRUST_200600_302600_NS10device_ptrIlEEjNS1_19radix_merge_compareILb0ELb1EaNS0_19identity_decomposerEEEEE10hipError_tT0_T1_T2_jT3_P12ihipStream_tbPNSt15iterator_traitsISG_E10value_typeEPNSM_ISH_E10value_typeEPSI_NS1_7vsmem_tEENKUlT_SG_SH_SI_E_clIS7_S7_PlSB_EESF_SV_SG_SH_SI_EUlSV_E1_NS1_11comp_targetILNS1_3genE10ELNS1_11target_archE1201ELNS1_3gpuE5ELNS1_3repE0EEENS1_36merge_oddeven_config_static_selectorELNS0_4arch9wavefront6targetE1EEEvSH_.numbered_sgpr, 0
	.set _ZN7rocprim17ROCPRIM_400000_NS6detail17trampoline_kernelINS0_14default_configENS1_38merge_sort_block_merge_config_selectorIalEEZZNS1_27merge_sort_block_merge_implIS3_PaN6thrust23THRUST_200600_302600_NS10device_ptrIlEEjNS1_19radix_merge_compareILb0ELb1EaNS0_19identity_decomposerEEEEE10hipError_tT0_T1_T2_jT3_P12ihipStream_tbPNSt15iterator_traitsISG_E10value_typeEPNSM_ISH_E10value_typeEPSI_NS1_7vsmem_tEENKUlT_SG_SH_SI_E_clIS7_S7_PlSB_EESF_SV_SG_SH_SI_EUlSV_E1_NS1_11comp_targetILNS1_3genE10ELNS1_11target_archE1201ELNS1_3gpuE5ELNS1_3repE0EEENS1_36merge_oddeven_config_static_selectorELNS0_4arch9wavefront6targetE1EEEvSH_.num_named_barrier, 0
	.set _ZN7rocprim17ROCPRIM_400000_NS6detail17trampoline_kernelINS0_14default_configENS1_38merge_sort_block_merge_config_selectorIalEEZZNS1_27merge_sort_block_merge_implIS3_PaN6thrust23THRUST_200600_302600_NS10device_ptrIlEEjNS1_19radix_merge_compareILb0ELb1EaNS0_19identity_decomposerEEEEE10hipError_tT0_T1_T2_jT3_P12ihipStream_tbPNSt15iterator_traitsISG_E10value_typeEPNSM_ISH_E10value_typeEPSI_NS1_7vsmem_tEENKUlT_SG_SH_SI_E_clIS7_S7_PlSB_EESF_SV_SG_SH_SI_EUlSV_E1_NS1_11comp_targetILNS1_3genE10ELNS1_11target_archE1201ELNS1_3gpuE5ELNS1_3repE0EEENS1_36merge_oddeven_config_static_selectorELNS0_4arch9wavefront6targetE1EEEvSH_.private_seg_size, 0
	.set _ZN7rocprim17ROCPRIM_400000_NS6detail17trampoline_kernelINS0_14default_configENS1_38merge_sort_block_merge_config_selectorIalEEZZNS1_27merge_sort_block_merge_implIS3_PaN6thrust23THRUST_200600_302600_NS10device_ptrIlEEjNS1_19radix_merge_compareILb0ELb1EaNS0_19identity_decomposerEEEEE10hipError_tT0_T1_T2_jT3_P12ihipStream_tbPNSt15iterator_traitsISG_E10value_typeEPNSM_ISH_E10value_typeEPSI_NS1_7vsmem_tEENKUlT_SG_SH_SI_E_clIS7_S7_PlSB_EESF_SV_SG_SH_SI_EUlSV_E1_NS1_11comp_targetILNS1_3genE10ELNS1_11target_archE1201ELNS1_3gpuE5ELNS1_3repE0EEENS1_36merge_oddeven_config_static_selectorELNS0_4arch9wavefront6targetE1EEEvSH_.uses_vcc, 0
	.set _ZN7rocprim17ROCPRIM_400000_NS6detail17trampoline_kernelINS0_14default_configENS1_38merge_sort_block_merge_config_selectorIalEEZZNS1_27merge_sort_block_merge_implIS3_PaN6thrust23THRUST_200600_302600_NS10device_ptrIlEEjNS1_19radix_merge_compareILb0ELb1EaNS0_19identity_decomposerEEEEE10hipError_tT0_T1_T2_jT3_P12ihipStream_tbPNSt15iterator_traitsISG_E10value_typeEPNSM_ISH_E10value_typeEPSI_NS1_7vsmem_tEENKUlT_SG_SH_SI_E_clIS7_S7_PlSB_EESF_SV_SG_SH_SI_EUlSV_E1_NS1_11comp_targetILNS1_3genE10ELNS1_11target_archE1201ELNS1_3gpuE5ELNS1_3repE0EEENS1_36merge_oddeven_config_static_selectorELNS0_4arch9wavefront6targetE1EEEvSH_.uses_flat_scratch, 0
	.set _ZN7rocprim17ROCPRIM_400000_NS6detail17trampoline_kernelINS0_14default_configENS1_38merge_sort_block_merge_config_selectorIalEEZZNS1_27merge_sort_block_merge_implIS3_PaN6thrust23THRUST_200600_302600_NS10device_ptrIlEEjNS1_19radix_merge_compareILb0ELb1EaNS0_19identity_decomposerEEEEE10hipError_tT0_T1_T2_jT3_P12ihipStream_tbPNSt15iterator_traitsISG_E10value_typeEPNSM_ISH_E10value_typeEPSI_NS1_7vsmem_tEENKUlT_SG_SH_SI_E_clIS7_S7_PlSB_EESF_SV_SG_SH_SI_EUlSV_E1_NS1_11comp_targetILNS1_3genE10ELNS1_11target_archE1201ELNS1_3gpuE5ELNS1_3repE0EEENS1_36merge_oddeven_config_static_selectorELNS0_4arch9wavefront6targetE1EEEvSH_.has_dyn_sized_stack, 0
	.set _ZN7rocprim17ROCPRIM_400000_NS6detail17trampoline_kernelINS0_14default_configENS1_38merge_sort_block_merge_config_selectorIalEEZZNS1_27merge_sort_block_merge_implIS3_PaN6thrust23THRUST_200600_302600_NS10device_ptrIlEEjNS1_19radix_merge_compareILb0ELb1EaNS0_19identity_decomposerEEEEE10hipError_tT0_T1_T2_jT3_P12ihipStream_tbPNSt15iterator_traitsISG_E10value_typeEPNSM_ISH_E10value_typeEPSI_NS1_7vsmem_tEENKUlT_SG_SH_SI_E_clIS7_S7_PlSB_EESF_SV_SG_SH_SI_EUlSV_E1_NS1_11comp_targetILNS1_3genE10ELNS1_11target_archE1201ELNS1_3gpuE5ELNS1_3repE0EEENS1_36merge_oddeven_config_static_selectorELNS0_4arch9wavefront6targetE1EEEvSH_.has_recursion, 0
	.set _ZN7rocprim17ROCPRIM_400000_NS6detail17trampoline_kernelINS0_14default_configENS1_38merge_sort_block_merge_config_selectorIalEEZZNS1_27merge_sort_block_merge_implIS3_PaN6thrust23THRUST_200600_302600_NS10device_ptrIlEEjNS1_19radix_merge_compareILb0ELb1EaNS0_19identity_decomposerEEEEE10hipError_tT0_T1_T2_jT3_P12ihipStream_tbPNSt15iterator_traitsISG_E10value_typeEPNSM_ISH_E10value_typeEPSI_NS1_7vsmem_tEENKUlT_SG_SH_SI_E_clIS7_S7_PlSB_EESF_SV_SG_SH_SI_EUlSV_E1_NS1_11comp_targetILNS1_3genE10ELNS1_11target_archE1201ELNS1_3gpuE5ELNS1_3repE0EEENS1_36merge_oddeven_config_static_selectorELNS0_4arch9wavefront6targetE1EEEvSH_.has_indirect_call, 0
	.section	.AMDGPU.csdata,"",@progbits
; Kernel info:
; codeLenInByte = 0
; TotalNumSgprs: 4
; NumVgprs: 0
; ScratchSize: 0
; MemoryBound: 0
; FloatMode: 240
; IeeeMode: 1
; LDSByteSize: 0 bytes/workgroup (compile time only)
; SGPRBlocks: 0
; VGPRBlocks: 0
; NumSGPRsForWavesPerEU: 4
; NumVGPRsForWavesPerEU: 1
; Occupancy: 10
; WaveLimiterHint : 0
; COMPUTE_PGM_RSRC2:SCRATCH_EN: 0
; COMPUTE_PGM_RSRC2:USER_SGPR: 6
; COMPUTE_PGM_RSRC2:TRAP_HANDLER: 0
; COMPUTE_PGM_RSRC2:TGID_X_EN: 1
; COMPUTE_PGM_RSRC2:TGID_Y_EN: 0
; COMPUTE_PGM_RSRC2:TGID_Z_EN: 0
; COMPUTE_PGM_RSRC2:TIDIG_COMP_CNT: 0
	.section	.text._ZN7rocprim17ROCPRIM_400000_NS6detail17trampoline_kernelINS0_14default_configENS1_38merge_sort_block_merge_config_selectorIalEEZZNS1_27merge_sort_block_merge_implIS3_PaN6thrust23THRUST_200600_302600_NS10device_ptrIlEEjNS1_19radix_merge_compareILb0ELb1EaNS0_19identity_decomposerEEEEE10hipError_tT0_T1_T2_jT3_P12ihipStream_tbPNSt15iterator_traitsISG_E10value_typeEPNSM_ISH_E10value_typeEPSI_NS1_7vsmem_tEENKUlT_SG_SH_SI_E_clIS7_S7_PlSB_EESF_SV_SG_SH_SI_EUlSV_E1_NS1_11comp_targetILNS1_3genE5ELNS1_11target_archE942ELNS1_3gpuE9ELNS1_3repE0EEENS1_36merge_oddeven_config_static_selectorELNS0_4arch9wavefront6targetE1EEEvSH_,"axG",@progbits,_ZN7rocprim17ROCPRIM_400000_NS6detail17trampoline_kernelINS0_14default_configENS1_38merge_sort_block_merge_config_selectorIalEEZZNS1_27merge_sort_block_merge_implIS3_PaN6thrust23THRUST_200600_302600_NS10device_ptrIlEEjNS1_19radix_merge_compareILb0ELb1EaNS0_19identity_decomposerEEEEE10hipError_tT0_T1_T2_jT3_P12ihipStream_tbPNSt15iterator_traitsISG_E10value_typeEPNSM_ISH_E10value_typeEPSI_NS1_7vsmem_tEENKUlT_SG_SH_SI_E_clIS7_S7_PlSB_EESF_SV_SG_SH_SI_EUlSV_E1_NS1_11comp_targetILNS1_3genE5ELNS1_11target_archE942ELNS1_3gpuE9ELNS1_3repE0EEENS1_36merge_oddeven_config_static_selectorELNS0_4arch9wavefront6targetE1EEEvSH_,comdat
	.protected	_ZN7rocprim17ROCPRIM_400000_NS6detail17trampoline_kernelINS0_14default_configENS1_38merge_sort_block_merge_config_selectorIalEEZZNS1_27merge_sort_block_merge_implIS3_PaN6thrust23THRUST_200600_302600_NS10device_ptrIlEEjNS1_19radix_merge_compareILb0ELb1EaNS0_19identity_decomposerEEEEE10hipError_tT0_T1_T2_jT3_P12ihipStream_tbPNSt15iterator_traitsISG_E10value_typeEPNSM_ISH_E10value_typeEPSI_NS1_7vsmem_tEENKUlT_SG_SH_SI_E_clIS7_S7_PlSB_EESF_SV_SG_SH_SI_EUlSV_E1_NS1_11comp_targetILNS1_3genE5ELNS1_11target_archE942ELNS1_3gpuE9ELNS1_3repE0EEENS1_36merge_oddeven_config_static_selectorELNS0_4arch9wavefront6targetE1EEEvSH_ ; -- Begin function _ZN7rocprim17ROCPRIM_400000_NS6detail17trampoline_kernelINS0_14default_configENS1_38merge_sort_block_merge_config_selectorIalEEZZNS1_27merge_sort_block_merge_implIS3_PaN6thrust23THRUST_200600_302600_NS10device_ptrIlEEjNS1_19radix_merge_compareILb0ELb1EaNS0_19identity_decomposerEEEEE10hipError_tT0_T1_T2_jT3_P12ihipStream_tbPNSt15iterator_traitsISG_E10value_typeEPNSM_ISH_E10value_typeEPSI_NS1_7vsmem_tEENKUlT_SG_SH_SI_E_clIS7_S7_PlSB_EESF_SV_SG_SH_SI_EUlSV_E1_NS1_11comp_targetILNS1_3genE5ELNS1_11target_archE942ELNS1_3gpuE9ELNS1_3repE0EEENS1_36merge_oddeven_config_static_selectorELNS0_4arch9wavefront6targetE1EEEvSH_
	.globl	_ZN7rocprim17ROCPRIM_400000_NS6detail17trampoline_kernelINS0_14default_configENS1_38merge_sort_block_merge_config_selectorIalEEZZNS1_27merge_sort_block_merge_implIS3_PaN6thrust23THRUST_200600_302600_NS10device_ptrIlEEjNS1_19radix_merge_compareILb0ELb1EaNS0_19identity_decomposerEEEEE10hipError_tT0_T1_T2_jT3_P12ihipStream_tbPNSt15iterator_traitsISG_E10value_typeEPNSM_ISH_E10value_typeEPSI_NS1_7vsmem_tEENKUlT_SG_SH_SI_E_clIS7_S7_PlSB_EESF_SV_SG_SH_SI_EUlSV_E1_NS1_11comp_targetILNS1_3genE5ELNS1_11target_archE942ELNS1_3gpuE9ELNS1_3repE0EEENS1_36merge_oddeven_config_static_selectorELNS0_4arch9wavefront6targetE1EEEvSH_
	.p2align	8
	.type	_ZN7rocprim17ROCPRIM_400000_NS6detail17trampoline_kernelINS0_14default_configENS1_38merge_sort_block_merge_config_selectorIalEEZZNS1_27merge_sort_block_merge_implIS3_PaN6thrust23THRUST_200600_302600_NS10device_ptrIlEEjNS1_19radix_merge_compareILb0ELb1EaNS0_19identity_decomposerEEEEE10hipError_tT0_T1_T2_jT3_P12ihipStream_tbPNSt15iterator_traitsISG_E10value_typeEPNSM_ISH_E10value_typeEPSI_NS1_7vsmem_tEENKUlT_SG_SH_SI_E_clIS7_S7_PlSB_EESF_SV_SG_SH_SI_EUlSV_E1_NS1_11comp_targetILNS1_3genE5ELNS1_11target_archE942ELNS1_3gpuE9ELNS1_3repE0EEENS1_36merge_oddeven_config_static_selectorELNS0_4arch9wavefront6targetE1EEEvSH_,@function
_ZN7rocprim17ROCPRIM_400000_NS6detail17trampoline_kernelINS0_14default_configENS1_38merge_sort_block_merge_config_selectorIalEEZZNS1_27merge_sort_block_merge_implIS3_PaN6thrust23THRUST_200600_302600_NS10device_ptrIlEEjNS1_19radix_merge_compareILb0ELb1EaNS0_19identity_decomposerEEEEE10hipError_tT0_T1_T2_jT3_P12ihipStream_tbPNSt15iterator_traitsISG_E10value_typeEPNSM_ISH_E10value_typeEPSI_NS1_7vsmem_tEENKUlT_SG_SH_SI_E_clIS7_S7_PlSB_EESF_SV_SG_SH_SI_EUlSV_E1_NS1_11comp_targetILNS1_3genE5ELNS1_11target_archE942ELNS1_3gpuE9ELNS1_3repE0EEENS1_36merge_oddeven_config_static_selectorELNS0_4arch9wavefront6targetE1EEEvSH_: ; @_ZN7rocprim17ROCPRIM_400000_NS6detail17trampoline_kernelINS0_14default_configENS1_38merge_sort_block_merge_config_selectorIalEEZZNS1_27merge_sort_block_merge_implIS3_PaN6thrust23THRUST_200600_302600_NS10device_ptrIlEEjNS1_19radix_merge_compareILb0ELb1EaNS0_19identity_decomposerEEEEE10hipError_tT0_T1_T2_jT3_P12ihipStream_tbPNSt15iterator_traitsISG_E10value_typeEPNSM_ISH_E10value_typeEPSI_NS1_7vsmem_tEENKUlT_SG_SH_SI_E_clIS7_S7_PlSB_EESF_SV_SG_SH_SI_EUlSV_E1_NS1_11comp_targetILNS1_3genE5ELNS1_11target_archE942ELNS1_3gpuE9ELNS1_3repE0EEENS1_36merge_oddeven_config_static_selectorELNS0_4arch9wavefront6targetE1EEEvSH_
; %bb.0:
	.section	.rodata,"a",@progbits
	.p2align	6, 0x0
	.amdhsa_kernel _ZN7rocprim17ROCPRIM_400000_NS6detail17trampoline_kernelINS0_14default_configENS1_38merge_sort_block_merge_config_selectorIalEEZZNS1_27merge_sort_block_merge_implIS3_PaN6thrust23THRUST_200600_302600_NS10device_ptrIlEEjNS1_19radix_merge_compareILb0ELb1EaNS0_19identity_decomposerEEEEE10hipError_tT0_T1_T2_jT3_P12ihipStream_tbPNSt15iterator_traitsISG_E10value_typeEPNSM_ISH_E10value_typeEPSI_NS1_7vsmem_tEENKUlT_SG_SH_SI_E_clIS7_S7_PlSB_EESF_SV_SG_SH_SI_EUlSV_E1_NS1_11comp_targetILNS1_3genE5ELNS1_11target_archE942ELNS1_3gpuE9ELNS1_3repE0EEENS1_36merge_oddeven_config_static_selectorELNS0_4arch9wavefront6targetE1EEEvSH_
		.amdhsa_group_segment_fixed_size 0
		.amdhsa_private_segment_fixed_size 0
		.amdhsa_kernarg_size 48
		.amdhsa_user_sgpr_count 6
		.amdhsa_user_sgpr_private_segment_buffer 1
		.amdhsa_user_sgpr_dispatch_ptr 0
		.amdhsa_user_sgpr_queue_ptr 0
		.amdhsa_user_sgpr_kernarg_segment_ptr 1
		.amdhsa_user_sgpr_dispatch_id 0
		.amdhsa_user_sgpr_flat_scratch_init 0
		.amdhsa_user_sgpr_private_segment_size 0
		.amdhsa_uses_dynamic_stack 0
		.amdhsa_system_sgpr_private_segment_wavefront_offset 0
		.amdhsa_system_sgpr_workgroup_id_x 1
		.amdhsa_system_sgpr_workgroup_id_y 0
		.amdhsa_system_sgpr_workgroup_id_z 0
		.amdhsa_system_sgpr_workgroup_info 0
		.amdhsa_system_vgpr_workitem_id 0
		.amdhsa_next_free_vgpr 1
		.amdhsa_next_free_sgpr 0
		.amdhsa_reserve_vcc 0
		.amdhsa_reserve_flat_scratch 0
		.amdhsa_float_round_mode_32 0
		.amdhsa_float_round_mode_16_64 0
		.amdhsa_float_denorm_mode_32 3
		.amdhsa_float_denorm_mode_16_64 3
		.amdhsa_dx10_clamp 1
		.amdhsa_ieee_mode 1
		.amdhsa_fp16_overflow 0
		.amdhsa_exception_fp_ieee_invalid_op 0
		.amdhsa_exception_fp_denorm_src 0
		.amdhsa_exception_fp_ieee_div_zero 0
		.amdhsa_exception_fp_ieee_overflow 0
		.amdhsa_exception_fp_ieee_underflow 0
		.amdhsa_exception_fp_ieee_inexact 0
		.amdhsa_exception_int_div_zero 0
	.end_amdhsa_kernel
	.section	.text._ZN7rocprim17ROCPRIM_400000_NS6detail17trampoline_kernelINS0_14default_configENS1_38merge_sort_block_merge_config_selectorIalEEZZNS1_27merge_sort_block_merge_implIS3_PaN6thrust23THRUST_200600_302600_NS10device_ptrIlEEjNS1_19radix_merge_compareILb0ELb1EaNS0_19identity_decomposerEEEEE10hipError_tT0_T1_T2_jT3_P12ihipStream_tbPNSt15iterator_traitsISG_E10value_typeEPNSM_ISH_E10value_typeEPSI_NS1_7vsmem_tEENKUlT_SG_SH_SI_E_clIS7_S7_PlSB_EESF_SV_SG_SH_SI_EUlSV_E1_NS1_11comp_targetILNS1_3genE5ELNS1_11target_archE942ELNS1_3gpuE9ELNS1_3repE0EEENS1_36merge_oddeven_config_static_selectorELNS0_4arch9wavefront6targetE1EEEvSH_,"axG",@progbits,_ZN7rocprim17ROCPRIM_400000_NS6detail17trampoline_kernelINS0_14default_configENS1_38merge_sort_block_merge_config_selectorIalEEZZNS1_27merge_sort_block_merge_implIS3_PaN6thrust23THRUST_200600_302600_NS10device_ptrIlEEjNS1_19radix_merge_compareILb0ELb1EaNS0_19identity_decomposerEEEEE10hipError_tT0_T1_T2_jT3_P12ihipStream_tbPNSt15iterator_traitsISG_E10value_typeEPNSM_ISH_E10value_typeEPSI_NS1_7vsmem_tEENKUlT_SG_SH_SI_E_clIS7_S7_PlSB_EESF_SV_SG_SH_SI_EUlSV_E1_NS1_11comp_targetILNS1_3genE5ELNS1_11target_archE942ELNS1_3gpuE9ELNS1_3repE0EEENS1_36merge_oddeven_config_static_selectorELNS0_4arch9wavefront6targetE1EEEvSH_,comdat
.Lfunc_end552:
	.size	_ZN7rocprim17ROCPRIM_400000_NS6detail17trampoline_kernelINS0_14default_configENS1_38merge_sort_block_merge_config_selectorIalEEZZNS1_27merge_sort_block_merge_implIS3_PaN6thrust23THRUST_200600_302600_NS10device_ptrIlEEjNS1_19radix_merge_compareILb0ELb1EaNS0_19identity_decomposerEEEEE10hipError_tT0_T1_T2_jT3_P12ihipStream_tbPNSt15iterator_traitsISG_E10value_typeEPNSM_ISH_E10value_typeEPSI_NS1_7vsmem_tEENKUlT_SG_SH_SI_E_clIS7_S7_PlSB_EESF_SV_SG_SH_SI_EUlSV_E1_NS1_11comp_targetILNS1_3genE5ELNS1_11target_archE942ELNS1_3gpuE9ELNS1_3repE0EEENS1_36merge_oddeven_config_static_selectorELNS0_4arch9wavefront6targetE1EEEvSH_, .Lfunc_end552-_ZN7rocprim17ROCPRIM_400000_NS6detail17trampoline_kernelINS0_14default_configENS1_38merge_sort_block_merge_config_selectorIalEEZZNS1_27merge_sort_block_merge_implIS3_PaN6thrust23THRUST_200600_302600_NS10device_ptrIlEEjNS1_19radix_merge_compareILb0ELb1EaNS0_19identity_decomposerEEEEE10hipError_tT0_T1_T2_jT3_P12ihipStream_tbPNSt15iterator_traitsISG_E10value_typeEPNSM_ISH_E10value_typeEPSI_NS1_7vsmem_tEENKUlT_SG_SH_SI_E_clIS7_S7_PlSB_EESF_SV_SG_SH_SI_EUlSV_E1_NS1_11comp_targetILNS1_3genE5ELNS1_11target_archE942ELNS1_3gpuE9ELNS1_3repE0EEENS1_36merge_oddeven_config_static_selectorELNS0_4arch9wavefront6targetE1EEEvSH_
                                        ; -- End function
	.set _ZN7rocprim17ROCPRIM_400000_NS6detail17trampoline_kernelINS0_14default_configENS1_38merge_sort_block_merge_config_selectorIalEEZZNS1_27merge_sort_block_merge_implIS3_PaN6thrust23THRUST_200600_302600_NS10device_ptrIlEEjNS1_19radix_merge_compareILb0ELb1EaNS0_19identity_decomposerEEEEE10hipError_tT0_T1_T2_jT3_P12ihipStream_tbPNSt15iterator_traitsISG_E10value_typeEPNSM_ISH_E10value_typeEPSI_NS1_7vsmem_tEENKUlT_SG_SH_SI_E_clIS7_S7_PlSB_EESF_SV_SG_SH_SI_EUlSV_E1_NS1_11comp_targetILNS1_3genE5ELNS1_11target_archE942ELNS1_3gpuE9ELNS1_3repE0EEENS1_36merge_oddeven_config_static_selectorELNS0_4arch9wavefront6targetE1EEEvSH_.num_vgpr, 0
	.set _ZN7rocprim17ROCPRIM_400000_NS6detail17trampoline_kernelINS0_14default_configENS1_38merge_sort_block_merge_config_selectorIalEEZZNS1_27merge_sort_block_merge_implIS3_PaN6thrust23THRUST_200600_302600_NS10device_ptrIlEEjNS1_19radix_merge_compareILb0ELb1EaNS0_19identity_decomposerEEEEE10hipError_tT0_T1_T2_jT3_P12ihipStream_tbPNSt15iterator_traitsISG_E10value_typeEPNSM_ISH_E10value_typeEPSI_NS1_7vsmem_tEENKUlT_SG_SH_SI_E_clIS7_S7_PlSB_EESF_SV_SG_SH_SI_EUlSV_E1_NS1_11comp_targetILNS1_3genE5ELNS1_11target_archE942ELNS1_3gpuE9ELNS1_3repE0EEENS1_36merge_oddeven_config_static_selectorELNS0_4arch9wavefront6targetE1EEEvSH_.num_agpr, 0
	.set _ZN7rocprim17ROCPRIM_400000_NS6detail17trampoline_kernelINS0_14default_configENS1_38merge_sort_block_merge_config_selectorIalEEZZNS1_27merge_sort_block_merge_implIS3_PaN6thrust23THRUST_200600_302600_NS10device_ptrIlEEjNS1_19radix_merge_compareILb0ELb1EaNS0_19identity_decomposerEEEEE10hipError_tT0_T1_T2_jT3_P12ihipStream_tbPNSt15iterator_traitsISG_E10value_typeEPNSM_ISH_E10value_typeEPSI_NS1_7vsmem_tEENKUlT_SG_SH_SI_E_clIS7_S7_PlSB_EESF_SV_SG_SH_SI_EUlSV_E1_NS1_11comp_targetILNS1_3genE5ELNS1_11target_archE942ELNS1_3gpuE9ELNS1_3repE0EEENS1_36merge_oddeven_config_static_selectorELNS0_4arch9wavefront6targetE1EEEvSH_.numbered_sgpr, 0
	.set _ZN7rocprim17ROCPRIM_400000_NS6detail17trampoline_kernelINS0_14default_configENS1_38merge_sort_block_merge_config_selectorIalEEZZNS1_27merge_sort_block_merge_implIS3_PaN6thrust23THRUST_200600_302600_NS10device_ptrIlEEjNS1_19radix_merge_compareILb0ELb1EaNS0_19identity_decomposerEEEEE10hipError_tT0_T1_T2_jT3_P12ihipStream_tbPNSt15iterator_traitsISG_E10value_typeEPNSM_ISH_E10value_typeEPSI_NS1_7vsmem_tEENKUlT_SG_SH_SI_E_clIS7_S7_PlSB_EESF_SV_SG_SH_SI_EUlSV_E1_NS1_11comp_targetILNS1_3genE5ELNS1_11target_archE942ELNS1_3gpuE9ELNS1_3repE0EEENS1_36merge_oddeven_config_static_selectorELNS0_4arch9wavefront6targetE1EEEvSH_.num_named_barrier, 0
	.set _ZN7rocprim17ROCPRIM_400000_NS6detail17trampoline_kernelINS0_14default_configENS1_38merge_sort_block_merge_config_selectorIalEEZZNS1_27merge_sort_block_merge_implIS3_PaN6thrust23THRUST_200600_302600_NS10device_ptrIlEEjNS1_19radix_merge_compareILb0ELb1EaNS0_19identity_decomposerEEEEE10hipError_tT0_T1_T2_jT3_P12ihipStream_tbPNSt15iterator_traitsISG_E10value_typeEPNSM_ISH_E10value_typeEPSI_NS1_7vsmem_tEENKUlT_SG_SH_SI_E_clIS7_S7_PlSB_EESF_SV_SG_SH_SI_EUlSV_E1_NS1_11comp_targetILNS1_3genE5ELNS1_11target_archE942ELNS1_3gpuE9ELNS1_3repE0EEENS1_36merge_oddeven_config_static_selectorELNS0_4arch9wavefront6targetE1EEEvSH_.private_seg_size, 0
	.set _ZN7rocprim17ROCPRIM_400000_NS6detail17trampoline_kernelINS0_14default_configENS1_38merge_sort_block_merge_config_selectorIalEEZZNS1_27merge_sort_block_merge_implIS3_PaN6thrust23THRUST_200600_302600_NS10device_ptrIlEEjNS1_19radix_merge_compareILb0ELb1EaNS0_19identity_decomposerEEEEE10hipError_tT0_T1_T2_jT3_P12ihipStream_tbPNSt15iterator_traitsISG_E10value_typeEPNSM_ISH_E10value_typeEPSI_NS1_7vsmem_tEENKUlT_SG_SH_SI_E_clIS7_S7_PlSB_EESF_SV_SG_SH_SI_EUlSV_E1_NS1_11comp_targetILNS1_3genE5ELNS1_11target_archE942ELNS1_3gpuE9ELNS1_3repE0EEENS1_36merge_oddeven_config_static_selectorELNS0_4arch9wavefront6targetE1EEEvSH_.uses_vcc, 0
	.set _ZN7rocprim17ROCPRIM_400000_NS6detail17trampoline_kernelINS0_14default_configENS1_38merge_sort_block_merge_config_selectorIalEEZZNS1_27merge_sort_block_merge_implIS3_PaN6thrust23THRUST_200600_302600_NS10device_ptrIlEEjNS1_19radix_merge_compareILb0ELb1EaNS0_19identity_decomposerEEEEE10hipError_tT0_T1_T2_jT3_P12ihipStream_tbPNSt15iterator_traitsISG_E10value_typeEPNSM_ISH_E10value_typeEPSI_NS1_7vsmem_tEENKUlT_SG_SH_SI_E_clIS7_S7_PlSB_EESF_SV_SG_SH_SI_EUlSV_E1_NS1_11comp_targetILNS1_3genE5ELNS1_11target_archE942ELNS1_3gpuE9ELNS1_3repE0EEENS1_36merge_oddeven_config_static_selectorELNS0_4arch9wavefront6targetE1EEEvSH_.uses_flat_scratch, 0
	.set _ZN7rocprim17ROCPRIM_400000_NS6detail17trampoline_kernelINS0_14default_configENS1_38merge_sort_block_merge_config_selectorIalEEZZNS1_27merge_sort_block_merge_implIS3_PaN6thrust23THRUST_200600_302600_NS10device_ptrIlEEjNS1_19radix_merge_compareILb0ELb1EaNS0_19identity_decomposerEEEEE10hipError_tT0_T1_T2_jT3_P12ihipStream_tbPNSt15iterator_traitsISG_E10value_typeEPNSM_ISH_E10value_typeEPSI_NS1_7vsmem_tEENKUlT_SG_SH_SI_E_clIS7_S7_PlSB_EESF_SV_SG_SH_SI_EUlSV_E1_NS1_11comp_targetILNS1_3genE5ELNS1_11target_archE942ELNS1_3gpuE9ELNS1_3repE0EEENS1_36merge_oddeven_config_static_selectorELNS0_4arch9wavefront6targetE1EEEvSH_.has_dyn_sized_stack, 0
	.set _ZN7rocprim17ROCPRIM_400000_NS6detail17trampoline_kernelINS0_14default_configENS1_38merge_sort_block_merge_config_selectorIalEEZZNS1_27merge_sort_block_merge_implIS3_PaN6thrust23THRUST_200600_302600_NS10device_ptrIlEEjNS1_19radix_merge_compareILb0ELb1EaNS0_19identity_decomposerEEEEE10hipError_tT0_T1_T2_jT3_P12ihipStream_tbPNSt15iterator_traitsISG_E10value_typeEPNSM_ISH_E10value_typeEPSI_NS1_7vsmem_tEENKUlT_SG_SH_SI_E_clIS7_S7_PlSB_EESF_SV_SG_SH_SI_EUlSV_E1_NS1_11comp_targetILNS1_3genE5ELNS1_11target_archE942ELNS1_3gpuE9ELNS1_3repE0EEENS1_36merge_oddeven_config_static_selectorELNS0_4arch9wavefront6targetE1EEEvSH_.has_recursion, 0
	.set _ZN7rocprim17ROCPRIM_400000_NS6detail17trampoline_kernelINS0_14default_configENS1_38merge_sort_block_merge_config_selectorIalEEZZNS1_27merge_sort_block_merge_implIS3_PaN6thrust23THRUST_200600_302600_NS10device_ptrIlEEjNS1_19radix_merge_compareILb0ELb1EaNS0_19identity_decomposerEEEEE10hipError_tT0_T1_T2_jT3_P12ihipStream_tbPNSt15iterator_traitsISG_E10value_typeEPNSM_ISH_E10value_typeEPSI_NS1_7vsmem_tEENKUlT_SG_SH_SI_E_clIS7_S7_PlSB_EESF_SV_SG_SH_SI_EUlSV_E1_NS1_11comp_targetILNS1_3genE5ELNS1_11target_archE942ELNS1_3gpuE9ELNS1_3repE0EEENS1_36merge_oddeven_config_static_selectorELNS0_4arch9wavefront6targetE1EEEvSH_.has_indirect_call, 0
	.section	.AMDGPU.csdata,"",@progbits
; Kernel info:
; codeLenInByte = 0
; TotalNumSgprs: 4
; NumVgprs: 0
; ScratchSize: 0
; MemoryBound: 0
; FloatMode: 240
; IeeeMode: 1
; LDSByteSize: 0 bytes/workgroup (compile time only)
; SGPRBlocks: 0
; VGPRBlocks: 0
; NumSGPRsForWavesPerEU: 4
; NumVGPRsForWavesPerEU: 1
; Occupancy: 10
; WaveLimiterHint : 0
; COMPUTE_PGM_RSRC2:SCRATCH_EN: 0
; COMPUTE_PGM_RSRC2:USER_SGPR: 6
; COMPUTE_PGM_RSRC2:TRAP_HANDLER: 0
; COMPUTE_PGM_RSRC2:TGID_X_EN: 1
; COMPUTE_PGM_RSRC2:TGID_Y_EN: 0
; COMPUTE_PGM_RSRC2:TGID_Z_EN: 0
; COMPUTE_PGM_RSRC2:TIDIG_COMP_CNT: 0
	.section	.text._ZN7rocprim17ROCPRIM_400000_NS6detail17trampoline_kernelINS0_14default_configENS1_38merge_sort_block_merge_config_selectorIalEEZZNS1_27merge_sort_block_merge_implIS3_PaN6thrust23THRUST_200600_302600_NS10device_ptrIlEEjNS1_19radix_merge_compareILb0ELb1EaNS0_19identity_decomposerEEEEE10hipError_tT0_T1_T2_jT3_P12ihipStream_tbPNSt15iterator_traitsISG_E10value_typeEPNSM_ISH_E10value_typeEPSI_NS1_7vsmem_tEENKUlT_SG_SH_SI_E_clIS7_S7_PlSB_EESF_SV_SG_SH_SI_EUlSV_E1_NS1_11comp_targetILNS1_3genE4ELNS1_11target_archE910ELNS1_3gpuE8ELNS1_3repE0EEENS1_36merge_oddeven_config_static_selectorELNS0_4arch9wavefront6targetE1EEEvSH_,"axG",@progbits,_ZN7rocprim17ROCPRIM_400000_NS6detail17trampoline_kernelINS0_14default_configENS1_38merge_sort_block_merge_config_selectorIalEEZZNS1_27merge_sort_block_merge_implIS3_PaN6thrust23THRUST_200600_302600_NS10device_ptrIlEEjNS1_19radix_merge_compareILb0ELb1EaNS0_19identity_decomposerEEEEE10hipError_tT0_T1_T2_jT3_P12ihipStream_tbPNSt15iterator_traitsISG_E10value_typeEPNSM_ISH_E10value_typeEPSI_NS1_7vsmem_tEENKUlT_SG_SH_SI_E_clIS7_S7_PlSB_EESF_SV_SG_SH_SI_EUlSV_E1_NS1_11comp_targetILNS1_3genE4ELNS1_11target_archE910ELNS1_3gpuE8ELNS1_3repE0EEENS1_36merge_oddeven_config_static_selectorELNS0_4arch9wavefront6targetE1EEEvSH_,comdat
	.protected	_ZN7rocprim17ROCPRIM_400000_NS6detail17trampoline_kernelINS0_14default_configENS1_38merge_sort_block_merge_config_selectorIalEEZZNS1_27merge_sort_block_merge_implIS3_PaN6thrust23THRUST_200600_302600_NS10device_ptrIlEEjNS1_19radix_merge_compareILb0ELb1EaNS0_19identity_decomposerEEEEE10hipError_tT0_T1_T2_jT3_P12ihipStream_tbPNSt15iterator_traitsISG_E10value_typeEPNSM_ISH_E10value_typeEPSI_NS1_7vsmem_tEENKUlT_SG_SH_SI_E_clIS7_S7_PlSB_EESF_SV_SG_SH_SI_EUlSV_E1_NS1_11comp_targetILNS1_3genE4ELNS1_11target_archE910ELNS1_3gpuE8ELNS1_3repE0EEENS1_36merge_oddeven_config_static_selectorELNS0_4arch9wavefront6targetE1EEEvSH_ ; -- Begin function _ZN7rocprim17ROCPRIM_400000_NS6detail17trampoline_kernelINS0_14default_configENS1_38merge_sort_block_merge_config_selectorIalEEZZNS1_27merge_sort_block_merge_implIS3_PaN6thrust23THRUST_200600_302600_NS10device_ptrIlEEjNS1_19radix_merge_compareILb0ELb1EaNS0_19identity_decomposerEEEEE10hipError_tT0_T1_T2_jT3_P12ihipStream_tbPNSt15iterator_traitsISG_E10value_typeEPNSM_ISH_E10value_typeEPSI_NS1_7vsmem_tEENKUlT_SG_SH_SI_E_clIS7_S7_PlSB_EESF_SV_SG_SH_SI_EUlSV_E1_NS1_11comp_targetILNS1_3genE4ELNS1_11target_archE910ELNS1_3gpuE8ELNS1_3repE0EEENS1_36merge_oddeven_config_static_selectorELNS0_4arch9wavefront6targetE1EEEvSH_
	.globl	_ZN7rocprim17ROCPRIM_400000_NS6detail17trampoline_kernelINS0_14default_configENS1_38merge_sort_block_merge_config_selectorIalEEZZNS1_27merge_sort_block_merge_implIS3_PaN6thrust23THRUST_200600_302600_NS10device_ptrIlEEjNS1_19radix_merge_compareILb0ELb1EaNS0_19identity_decomposerEEEEE10hipError_tT0_T1_T2_jT3_P12ihipStream_tbPNSt15iterator_traitsISG_E10value_typeEPNSM_ISH_E10value_typeEPSI_NS1_7vsmem_tEENKUlT_SG_SH_SI_E_clIS7_S7_PlSB_EESF_SV_SG_SH_SI_EUlSV_E1_NS1_11comp_targetILNS1_3genE4ELNS1_11target_archE910ELNS1_3gpuE8ELNS1_3repE0EEENS1_36merge_oddeven_config_static_selectorELNS0_4arch9wavefront6targetE1EEEvSH_
	.p2align	8
	.type	_ZN7rocprim17ROCPRIM_400000_NS6detail17trampoline_kernelINS0_14default_configENS1_38merge_sort_block_merge_config_selectorIalEEZZNS1_27merge_sort_block_merge_implIS3_PaN6thrust23THRUST_200600_302600_NS10device_ptrIlEEjNS1_19radix_merge_compareILb0ELb1EaNS0_19identity_decomposerEEEEE10hipError_tT0_T1_T2_jT3_P12ihipStream_tbPNSt15iterator_traitsISG_E10value_typeEPNSM_ISH_E10value_typeEPSI_NS1_7vsmem_tEENKUlT_SG_SH_SI_E_clIS7_S7_PlSB_EESF_SV_SG_SH_SI_EUlSV_E1_NS1_11comp_targetILNS1_3genE4ELNS1_11target_archE910ELNS1_3gpuE8ELNS1_3repE0EEENS1_36merge_oddeven_config_static_selectorELNS0_4arch9wavefront6targetE1EEEvSH_,@function
_ZN7rocprim17ROCPRIM_400000_NS6detail17trampoline_kernelINS0_14default_configENS1_38merge_sort_block_merge_config_selectorIalEEZZNS1_27merge_sort_block_merge_implIS3_PaN6thrust23THRUST_200600_302600_NS10device_ptrIlEEjNS1_19radix_merge_compareILb0ELb1EaNS0_19identity_decomposerEEEEE10hipError_tT0_T1_T2_jT3_P12ihipStream_tbPNSt15iterator_traitsISG_E10value_typeEPNSM_ISH_E10value_typeEPSI_NS1_7vsmem_tEENKUlT_SG_SH_SI_E_clIS7_S7_PlSB_EESF_SV_SG_SH_SI_EUlSV_E1_NS1_11comp_targetILNS1_3genE4ELNS1_11target_archE910ELNS1_3gpuE8ELNS1_3repE0EEENS1_36merge_oddeven_config_static_selectorELNS0_4arch9wavefront6targetE1EEEvSH_: ; @_ZN7rocprim17ROCPRIM_400000_NS6detail17trampoline_kernelINS0_14default_configENS1_38merge_sort_block_merge_config_selectorIalEEZZNS1_27merge_sort_block_merge_implIS3_PaN6thrust23THRUST_200600_302600_NS10device_ptrIlEEjNS1_19radix_merge_compareILb0ELb1EaNS0_19identity_decomposerEEEEE10hipError_tT0_T1_T2_jT3_P12ihipStream_tbPNSt15iterator_traitsISG_E10value_typeEPNSM_ISH_E10value_typeEPSI_NS1_7vsmem_tEENKUlT_SG_SH_SI_E_clIS7_S7_PlSB_EESF_SV_SG_SH_SI_EUlSV_E1_NS1_11comp_targetILNS1_3genE4ELNS1_11target_archE910ELNS1_3gpuE8ELNS1_3repE0EEENS1_36merge_oddeven_config_static_selectorELNS0_4arch9wavefront6targetE1EEEvSH_
; %bb.0:
	.section	.rodata,"a",@progbits
	.p2align	6, 0x0
	.amdhsa_kernel _ZN7rocprim17ROCPRIM_400000_NS6detail17trampoline_kernelINS0_14default_configENS1_38merge_sort_block_merge_config_selectorIalEEZZNS1_27merge_sort_block_merge_implIS3_PaN6thrust23THRUST_200600_302600_NS10device_ptrIlEEjNS1_19radix_merge_compareILb0ELb1EaNS0_19identity_decomposerEEEEE10hipError_tT0_T1_T2_jT3_P12ihipStream_tbPNSt15iterator_traitsISG_E10value_typeEPNSM_ISH_E10value_typeEPSI_NS1_7vsmem_tEENKUlT_SG_SH_SI_E_clIS7_S7_PlSB_EESF_SV_SG_SH_SI_EUlSV_E1_NS1_11comp_targetILNS1_3genE4ELNS1_11target_archE910ELNS1_3gpuE8ELNS1_3repE0EEENS1_36merge_oddeven_config_static_selectorELNS0_4arch9wavefront6targetE1EEEvSH_
		.amdhsa_group_segment_fixed_size 0
		.amdhsa_private_segment_fixed_size 0
		.amdhsa_kernarg_size 48
		.amdhsa_user_sgpr_count 6
		.amdhsa_user_sgpr_private_segment_buffer 1
		.amdhsa_user_sgpr_dispatch_ptr 0
		.amdhsa_user_sgpr_queue_ptr 0
		.amdhsa_user_sgpr_kernarg_segment_ptr 1
		.amdhsa_user_sgpr_dispatch_id 0
		.amdhsa_user_sgpr_flat_scratch_init 0
		.amdhsa_user_sgpr_private_segment_size 0
		.amdhsa_uses_dynamic_stack 0
		.amdhsa_system_sgpr_private_segment_wavefront_offset 0
		.amdhsa_system_sgpr_workgroup_id_x 1
		.amdhsa_system_sgpr_workgroup_id_y 0
		.amdhsa_system_sgpr_workgroup_id_z 0
		.amdhsa_system_sgpr_workgroup_info 0
		.amdhsa_system_vgpr_workitem_id 0
		.amdhsa_next_free_vgpr 1
		.amdhsa_next_free_sgpr 0
		.amdhsa_reserve_vcc 0
		.amdhsa_reserve_flat_scratch 0
		.amdhsa_float_round_mode_32 0
		.amdhsa_float_round_mode_16_64 0
		.amdhsa_float_denorm_mode_32 3
		.amdhsa_float_denorm_mode_16_64 3
		.amdhsa_dx10_clamp 1
		.amdhsa_ieee_mode 1
		.amdhsa_fp16_overflow 0
		.amdhsa_exception_fp_ieee_invalid_op 0
		.amdhsa_exception_fp_denorm_src 0
		.amdhsa_exception_fp_ieee_div_zero 0
		.amdhsa_exception_fp_ieee_overflow 0
		.amdhsa_exception_fp_ieee_underflow 0
		.amdhsa_exception_fp_ieee_inexact 0
		.amdhsa_exception_int_div_zero 0
	.end_amdhsa_kernel
	.section	.text._ZN7rocprim17ROCPRIM_400000_NS6detail17trampoline_kernelINS0_14default_configENS1_38merge_sort_block_merge_config_selectorIalEEZZNS1_27merge_sort_block_merge_implIS3_PaN6thrust23THRUST_200600_302600_NS10device_ptrIlEEjNS1_19radix_merge_compareILb0ELb1EaNS0_19identity_decomposerEEEEE10hipError_tT0_T1_T2_jT3_P12ihipStream_tbPNSt15iterator_traitsISG_E10value_typeEPNSM_ISH_E10value_typeEPSI_NS1_7vsmem_tEENKUlT_SG_SH_SI_E_clIS7_S7_PlSB_EESF_SV_SG_SH_SI_EUlSV_E1_NS1_11comp_targetILNS1_3genE4ELNS1_11target_archE910ELNS1_3gpuE8ELNS1_3repE0EEENS1_36merge_oddeven_config_static_selectorELNS0_4arch9wavefront6targetE1EEEvSH_,"axG",@progbits,_ZN7rocprim17ROCPRIM_400000_NS6detail17trampoline_kernelINS0_14default_configENS1_38merge_sort_block_merge_config_selectorIalEEZZNS1_27merge_sort_block_merge_implIS3_PaN6thrust23THRUST_200600_302600_NS10device_ptrIlEEjNS1_19radix_merge_compareILb0ELb1EaNS0_19identity_decomposerEEEEE10hipError_tT0_T1_T2_jT3_P12ihipStream_tbPNSt15iterator_traitsISG_E10value_typeEPNSM_ISH_E10value_typeEPSI_NS1_7vsmem_tEENKUlT_SG_SH_SI_E_clIS7_S7_PlSB_EESF_SV_SG_SH_SI_EUlSV_E1_NS1_11comp_targetILNS1_3genE4ELNS1_11target_archE910ELNS1_3gpuE8ELNS1_3repE0EEENS1_36merge_oddeven_config_static_selectorELNS0_4arch9wavefront6targetE1EEEvSH_,comdat
.Lfunc_end553:
	.size	_ZN7rocprim17ROCPRIM_400000_NS6detail17trampoline_kernelINS0_14default_configENS1_38merge_sort_block_merge_config_selectorIalEEZZNS1_27merge_sort_block_merge_implIS3_PaN6thrust23THRUST_200600_302600_NS10device_ptrIlEEjNS1_19radix_merge_compareILb0ELb1EaNS0_19identity_decomposerEEEEE10hipError_tT0_T1_T2_jT3_P12ihipStream_tbPNSt15iterator_traitsISG_E10value_typeEPNSM_ISH_E10value_typeEPSI_NS1_7vsmem_tEENKUlT_SG_SH_SI_E_clIS7_S7_PlSB_EESF_SV_SG_SH_SI_EUlSV_E1_NS1_11comp_targetILNS1_3genE4ELNS1_11target_archE910ELNS1_3gpuE8ELNS1_3repE0EEENS1_36merge_oddeven_config_static_selectorELNS0_4arch9wavefront6targetE1EEEvSH_, .Lfunc_end553-_ZN7rocprim17ROCPRIM_400000_NS6detail17trampoline_kernelINS0_14default_configENS1_38merge_sort_block_merge_config_selectorIalEEZZNS1_27merge_sort_block_merge_implIS3_PaN6thrust23THRUST_200600_302600_NS10device_ptrIlEEjNS1_19radix_merge_compareILb0ELb1EaNS0_19identity_decomposerEEEEE10hipError_tT0_T1_T2_jT3_P12ihipStream_tbPNSt15iterator_traitsISG_E10value_typeEPNSM_ISH_E10value_typeEPSI_NS1_7vsmem_tEENKUlT_SG_SH_SI_E_clIS7_S7_PlSB_EESF_SV_SG_SH_SI_EUlSV_E1_NS1_11comp_targetILNS1_3genE4ELNS1_11target_archE910ELNS1_3gpuE8ELNS1_3repE0EEENS1_36merge_oddeven_config_static_selectorELNS0_4arch9wavefront6targetE1EEEvSH_
                                        ; -- End function
	.set _ZN7rocprim17ROCPRIM_400000_NS6detail17trampoline_kernelINS0_14default_configENS1_38merge_sort_block_merge_config_selectorIalEEZZNS1_27merge_sort_block_merge_implIS3_PaN6thrust23THRUST_200600_302600_NS10device_ptrIlEEjNS1_19radix_merge_compareILb0ELb1EaNS0_19identity_decomposerEEEEE10hipError_tT0_T1_T2_jT3_P12ihipStream_tbPNSt15iterator_traitsISG_E10value_typeEPNSM_ISH_E10value_typeEPSI_NS1_7vsmem_tEENKUlT_SG_SH_SI_E_clIS7_S7_PlSB_EESF_SV_SG_SH_SI_EUlSV_E1_NS1_11comp_targetILNS1_3genE4ELNS1_11target_archE910ELNS1_3gpuE8ELNS1_3repE0EEENS1_36merge_oddeven_config_static_selectorELNS0_4arch9wavefront6targetE1EEEvSH_.num_vgpr, 0
	.set _ZN7rocprim17ROCPRIM_400000_NS6detail17trampoline_kernelINS0_14default_configENS1_38merge_sort_block_merge_config_selectorIalEEZZNS1_27merge_sort_block_merge_implIS3_PaN6thrust23THRUST_200600_302600_NS10device_ptrIlEEjNS1_19radix_merge_compareILb0ELb1EaNS0_19identity_decomposerEEEEE10hipError_tT0_T1_T2_jT3_P12ihipStream_tbPNSt15iterator_traitsISG_E10value_typeEPNSM_ISH_E10value_typeEPSI_NS1_7vsmem_tEENKUlT_SG_SH_SI_E_clIS7_S7_PlSB_EESF_SV_SG_SH_SI_EUlSV_E1_NS1_11comp_targetILNS1_3genE4ELNS1_11target_archE910ELNS1_3gpuE8ELNS1_3repE0EEENS1_36merge_oddeven_config_static_selectorELNS0_4arch9wavefront6targetE1EEEvSH_.num_agpr, 0
	.set _ZN7rocprim17ROCPRIM_400000_NS6detail17trampoline_kernelINS0_14default_configENS1_38merge_sort_block_merge_config_selectorIalEEZZNS1_27merge_sort_block_merge_implIS3_PaN6thrust23THRUST_200600_302600_NS10device_ptrIlEEjNS1_19radix_merge_compareILb0ELb1EaNS0_19identity_decomposerEEEEE10hipError_tT0_T1_T2_jT3_P12ihipStream_tbPNSt15iterator_traitsISG_E10value_typeEPNSM_ISH_E10value_typeEPSI_NS1_7vsmem_tEENKUlT_SG_SH_SI_E_clIS7_S7_PlSB_EESF_SV_SG_SH_SI_EUlSV_E1_NS1_11comp_targetILNS1_3genE4ELNS1_11target_archE910ELNS1_3gpuE8ELNS1_3repE0EEENS1_36merge_oddeven_config_static_selectorELNS0_4arch9wavefront6targetE1EEEvSH_.numbered_sgpr, 0
	.set _ZN7rocprim17ROCPRIM_400000_NS6detail17trampoline_kernelINS0_14default_configENS1_38merge_sort_block_merge_config_selectorIalEEZZNS1_27merge_sort_block_merge_implIS3_PaN6thrust23THRUST_200600_302600_NS10device_ptrIlEEjNS1_19radix_merge_compareILb0ELb1EaNS0_19identity_decomposerEEEEE10hipError_tT0_T1_T2_jT3_P12ihipStream_tbPNSt15iterator_traitsISG_E10value_typeEPNSM_ISH_E10value_typeEPSI_NS1_7vsmem_tEENKUlT_SG_SH_SI_E_clIS7_S7_PlSB_EESF_SV_SG_SH_SI_EUlSV_E1_NS1_11comp_targetILNS1_3genE4ELNS1_11target_archE910ELNS1_3gpuE8ELNS1_3repE0EEENS1_36merge_oddeven_config_static_selectorELNS0_4arch9wavefront6targetE1EEEvSH_.num_named_barrier, 0
	.set _ZN7rocprim17ROCPRIM_400000_NS6detail17trampoline_kernelINS0_14default_configENS1_38merge_sort_block_merge_config_selectorIalEEZZNS1_27merge_sort_block_merge_implIS3_PaN6thrust23THRUST_200600_302600_NS10device_ptrIlEEjNS1_19radix_merge_compareILb0ELb1EaNS0_19identity_decomposerEEEEE10hipError_tT0_T1_T2_jT3_P12ihipStream_tbPNSt15iterator_traitsISG_E10value_typeEPNSM_ISH_E10value_typeEPSI_NS1_7vsmem_tEENKUlT_SG_SH_SI_E_clIS7_S7_PlSB_EESF_SV_SG_SH_SI_EUlSV_E1_NS1_11comp_targetILNS1_3genE4ELNS1_11target_archE910ELNS1_3gpuE8ELNS1_3repE0EEENS1_36merge_oddeven_config_static_selectorELNS0_4arch9wavefront6targetE1EEEvSH_.private_seg_size, 0
	.set _ZN7rocprim17ROCPRIM_400000_NS6detail17trampoline_kernelINS0_14default_configENS1_38merge_sort_block_merge_config_selectorIalEEZZNS1_27merge_sort_block_merge_implIS3_PaN6thrust23THRUST_200600_302600_NS10device_ptrIlEEjNS1_19radix_merge_compareILb0ELb1EaNS0_19identity_decomposerEEEEE10hipError_tT0_T1_T2_jT3_P12ihipStream_tbPNSt15iterator_traitsISG_E10value_typeEPNSM_ISH_E10value_typeEPSI_NS1_7vsmem_tEENKUlT_SG_SH_SI_E_clIS7_S7_PlSB_EESF_SV_SG_SH_SI_EUlSV_E1_NS1_11comp_targetILNS1_3genE4ELNS1_11target_archE910ELNS1_3gpuE8ELNS1_3repE0EEENS1_36merge_oddeven_config_static_selectorELNS0_4arch9wavefront6targetE1EEEvSH_.uses_vcc, 0
	.set _ZN7rocprim17ROCPRIM_400000_NS6detail17trampoline_kernelINS0_14default_configENS1_38merge_sort_block_merge_config_selectorIalEEZZNS1_27merge_sort_block_merge_implIS3_PaN6thrust23THRUST_200600_302600_NS10device_ptrIlEEjNS1_19radix_merge_compareILb0ELb1EaNS0_19identity_decomposerEEEEE10hipError_tT0_T1_T2_jT3_P12ihipStream_tbPNSt15iterator_traitsISG_E10value_typeEPNSM_ISH_E10value_typeEPSI_NS1_7vsmem_tEENKUlT_SG_SH_SI_E_clIS7_S7_PlSB_EESF_SV_SG_SH_SI_EUlSV_E1_NS1_11comp_targetILNS1_3genE4ELNS1_11target_archE910ELNS1_3gpuE8ELNS1_3repE0EEENS1_36merge_oddeven_config_static_selectorELNS0_4arch9wavefront6targetE1EEEvSH_.uses_flat_scratch, 0
	.set _ZN7rocprim17ROCPRIM_400000_NS6detail17trampoline_kernelINS0_14default_configENS1_38merge_sort_block_merge_config_selectorIalEEZZNS1_27merge_sort_block_merge_implIS3_PaN6thrust23THRUST_200600_302600_NS10device_ptrIlEEjNS1_19radix_merge_compareILb0ELb1EaNS0_19identity_decomposerEEEEE10hipError_tT0_T1_T2_jT3_P12ihipStream_tbPNSt15iterator_traitsISG_E10value_typeEPNSM_ISH_E10value_typeEPSI_NS1_7vsmem_tEENKUlT_SG_SH_SI_E_clIS7_S7_PlSB_EESF_SV_SG_SH_SI_EUlSV_E1_NS1_11comp_targetILNS1_3genE4ELNS1_11target_archE910ELNS1_3gpuE8ELNS1_3repE0EEENS1_36merge_oddeven_config_static_selectorELNS0_4arch9wavefront6targetE1EEEvSH_.has_dyn_sized_stack, 0
	.set _ZN7rocprim17ROCPRIM_400000_NS6detail17trampoline_kernelINS0_14default_configENS1_38merge_sort_block_merge_config_selectorIalEEZZNS1_27merge_sort_block_merge_implIS3_PaN6thrust23THRUST_200600_302600_NS10device_ptrIlEEjNS1_19radix_merge_compareILb0ELb1EaNS0_19identity_decomposerEEEEE10hipError_tT0_T1_T2_jT3_P12ihipStream_tbPNSt15iterator_traitsISG_E10value_typeEPNSM_ISH_E10value_typeEPSI_NS1_7vsmem_tEENKUlT_SG_SH_SI_E_clIS7_S7_PlSB_EESF_SV_SG_SH_SI_EUlSV_E1_NS1_11comp_targetILNS1_3genE4ELNS1_11target_archE910ELNS1_3gpuE8ELNS1_3repE0EEENS1_36merge_oddeven_config_static_selectorELNS0_4arch9wavefront6targetE1EEEvSH_.has_recursion, 0
	.set _ZN7rocprim17ROCPRIM_400000_NS6detail17trampoline_kernelINS0_14default_configENS1_38merge_sort_block_merge_config_selectorIalEEZZNS1_27merge_sort_block_merge_implIS3_PaN6thrust23THRUST_200600_302600_NS10device_ptrIlEEjNS1_19radix_merge_compareILb0ELb1EaNS0_19identity_decomposerEEEEE10hipError_tT0_T1_T2_jT3_P12ihipStream_tbPNSt15iterator_traitsISG_E10value_typeEPNSM_ISH_E10value_typeEPSI_NS1_7vsmem_tEENKUlT_SG_SH_SI_E_clIS7_S7_PlSB_EESF_SV_SG_SH_SI_EUlSV_E1_NS1_11comp_targetILNS1_3genE4ELNS1_11target_archE910ELNS1_3gpuE8ELNS1_3repE0EEENS1_36merge_oddeven_config_static_selectorELNS0_4arch9wavefront6targetE1EEEvSH_.has_indirect_call, 0
	.section	.AMDGPU.csdata,"",@progbits
; Kernel info:
; codeLenInByte = 0
; TotalNumSgprs: 4
; NumVgprs: 0
; ScratchSize: 0
; MemoryBound: 0
; FloatMode: 240
; IeeeMode: 1
; LDSByteSize: 0 bytes/workgroup (compile time only)
; SGPRBlocks: 0
; VGPRBlocks: 0
; NumSGPRsForWavesPerEU: 4
; NumVGPRsForWavesPerEU: 1
; Occupancy: 10
; WaveLimiterHint : 0
; COMPUTE_PGM_RSRC2:SCRATCH_EN: 0
; COMPUTE_PGM_RSRC2:USER_SGPR: 6
; COMPUTE_PGM_RSRC2:TRAP_HANDLER: 0
; COMPUTE_PGM_RSRC2:TGID_X_EN: 1
; COMPUTE_PGM_RSRC2:TGID_Y_EN: 0
; COMPUTE_PGM_RSRC2:TGID_Z_EN: 0
; COMPUTE_PGM_RSRC2:TIDIG_COMP_CNT: 0
	.section	.text._ZN7rocprim17ROCPRIM_400000_NS6detail17trampoline_kernelINS0_14default_configENS1_38merge_sort_block_merge_config_selectorIalEEZZNS1_27merge_sort_block_merge_implIS3_PaN6thrust23THRUST_200600_302600_NS10device_ptrIlEEjNS1_19radix_merge_compareILb0ELb1EaNS0_19identity_decomposerEEEEE10hipError_tT0_T1_T2_jT3_P12ihipStream_tbPNSt15iterator_traitsISG_E10value_typeEPNSM_ISH_E10value_typeEPSI_NS1_7vsmem_tEENKUlT_SG_SH_SI_E_clIS7_S7_PlSB_EESF_SV_SG_SH_SI_EUlSV_E1_NS1_11comp_targetILNS1_3genE3ELNS1_11target_archE908ELNS1_3gpuE7ELNS1_3repE0EEENS1_36merge_oddeven_config_static_selectorELNS0_4arch9wavefront6targetE1EEEvSH_,"axG",@progbits,_ZN7rocprim17ROCPRIM_400000_NS6detail17trampoline_kernelINS0_14default_configENS1_38merge_sort_block_merge_config_selectorIalEEZZNS1_27merge_sort_block_merge_implIS3_PaN6thrust23THRUST_200600_302600_NS10device_ptrIlEEjNS1_19radix_merge_compareILb0ELb1EaNS0_19identity_decomposerEEEEE10hipError_tT0_T1_T2_jT3_P12ihipStream_tbPNSt15iterator_traitsISG_E10value_typeEPNSM_ISH_E10value_typeEPSI_NS1_7vsmem_tEENKUlT_SG_SH_SI_E_clIS7_S7_PlSB_EESF_SV_SG_SH_SI_EUlSV_E1_NS1_11comp_targetILNS1_3genE3ELNS1_11target_archE908ELNS1_3gpuE7ELNS1_3repE0EEENS1_36merge_oddeven_config_static_selectorELNS0_4arch9wavefront6targetE1EEEvSH_,comdat
	.protected	_ZN7rocprim17ROCPRIM_400000_NS6detail17trampoline_kernelINS0_14default_configENS1_38merge_sort_block_merge_config_selectorIalEEZZNS1_27merge_sort_block_merge_implIS3_PaN6thrust23THRUST_200600_302600_NS10device_ptrIlEEjNS1_19radix_merge_compareILb0ELb1EaNS0_19identity_decomposerEEEEE10hipError_tT0_T1_T2_jT3_P12ihipStream_tbPNSt15iterator_traitsISG_E10value_typeEPNSM_ISH_E10value_typeEPSI_NS1_7vsmem_tEENKUlT_SG_SH_SI_E_clIS7_S7_PlSB_EESF_SV_SG_SH_SI_EUlSV_E1_NS1_11comp_targetILNS1_3genE3ELNS1_11target_archE908ELNS1_3gpuE7ELNS1_3repE0EEENS1_36merge_oddeven_config_static_selectorELNS0_4arch9wavefront6targetE1EEEvSH_ ; -- Begin function _ZN7rocprim17ROCPRIM_400000_NS6detail17trampoline_kernelINS0_14default_configENS1_38merge_sort_block_merge_config_selectorIalEEZZNS1_27merge_sort_block_merge_implIS3_PaN6thrust23THRUST_200600_302600_NS10device_ptrIlEEjNS1_19radix_merge_compareILb0ELb1EaNS0_19identity_decomposerEEEEE10hipError_tT0_T1_T2_jT3_P12ihipStream_tbPNSt15iterator_traitsISG_E10value_typeEPNSM_ISH_E10value_typeEPSI_NS1_7vsmem_tEENKUlT_SG_SH_SI_E_clIS7_S7_PlSB_EESF_SV_SG_SH_SI_EUlSV_E1_NS1_11comp_targetILNS1_3genE3ELNS1_11target_archE908ELNS1_3gpuE7ELNS1_3repE0EEENS1_36merge_oddeven_config_static_selectorELNS0_4arch9wavefront6targetE1EEEvSH_
	.globl	_ZN7rocprim17ROCPRIM_400000_NS6detail17trampoline_kernelINS0_14default_configENS1_38merge_sort_block_merge_config_selectorIalEEZZNS1_27merge_sort_block_merge_implIS3_PaN6thrust23THRUST_200600_302600_NS10device_ptrIlEEjNS1_19radix_merge_compareILb0ELb1EaNS0_19identity_decomposerEEEEE10hipError_tT0_T1_T2_jT3_P12ihipStream_tbPNSt15iterator_traitsISG_E10value_typeEPNSM_ISH_E10value_typeEPSI_NS1_7vsmem_tEENKUlT_SG_SH_SI_E_clIS7_S7_PlSB_EESF_SV_SG_SH_SI_EUlSV_E1_NS1_11comp_targetILNS1_3genE3ELNS1_11target_archE908ELNS1_3gpuE7ELNS1_3repE0EEENS1_36merge_oddeven_config_static_selectorELNS0_4arch9wavefront6targetE1EEEvSH_
	.p2align	8
	.type	_ZN7rocprim17ROCPRIM_400000_NS6detail17trampoline_kernelINS0_14default_configENS1_38merge_sort_block_merge_config_selectorIalEEZZNS1_27merge_sort_block_merge_implIS3_PaN6thrust23THRUST_200600_302600_NS10device_ptrIlEEjNS1_19radix_merge_compareILb0ELb1EaNS0_19identity_decomposerEEEEE10hipError_tT0_T1_T2_jT3_P12ihipStream_tbPNSt15iterator_traitsISG_E10value_typeEPNSM_ISH_E10value_typeEPSI_NS1_7vsmem_tEENKUlT_SG_SH_SI_E_clIS7_S7_PlSB_EESF_SV_SG_SH_SI_EUlSV_E1_NS1_11comp_targetILNS1_3genE3ELNS1_11target_archE908ELNS1_3gpuE7ELNS1_3repE0EEENS1_36merge_oddeven_config_static_selectorELNS0_4arch9wavefront6targetE1EEEvSH_,@function
_ZN7rocprim17ROCPRIM_400000_NS6detail17trampoline_kernelINS0_14default_configENS1_38merge_sort_block_merge_config_selectorIalEEZZNS1_27merge_sort_block_merge_implIS3_PaN6thrust23THRUST_200600_302600_NS10device_ptrIlEEjNS1_19radix_merge_compareILb0ELb1EaNS0_19identity_decomposerEEEEE10hipError_tT0_T1_T2_jT3_P12ihipStream_tbPNSt15iterator_traitsISG_E10value_typeEPNSM_ISH_E10value_typeEPSI_NS1_7vsmem_tEENKUlT_SG_SH_SI_E_clIS7_S7_PlSB_EESF_SV_SG_SH_SI_EUlSV_E1_NS1_11comp_targetILNS1_3genE3ELNS1_11target_archE908ELNS1_3gpuE7ELNS1_3repE0EEENS1_36merge_oddeven_config_static_selectorELNS0_4arch9wavefront6targetE1EEEvSH_: ; @_ZN7rocprim17ROCPRIM_400000_NS6detail17trampoline_kernelINS0_14default_configENS1_38merge_sort_block_merge_config_selectorIalEEZZNS1_27merge_sort_block_merge_implIS3_PaN6thrust23THRUST_200600_302600_NS10device_ptrIlEEjNS1_19radix_merge_compareILb0ELb1EaNS0_19identity_decomposerEEEEE10hipError_tT0_T1_T2_jT3_P12ihipStream_tbPNSt15iterator_traitsISG_E10value_typeEPNSM_ISH_E10value_typeEPSI_NS1_7vsmem_tEENKUlT_SG_SH_SI_E_clIS7_S7_PlSB_EESF_SV_SG_SH_SI_EUlSV_E1_NS1_11comp_targetILNS1_3genE3ELNS1_11target_archE908ELNS1_3gpuE7ELNS1_3repE0EEENS1_36merge_oddeven_config_static_selectorELNS0_4arch9wavefront6targetE1EEEvSH_
; %bb.0:
	.section	.rodata,"a",@progbits
	.p2align	6, 0x0
	.amdhsa_kernel _ZN7rocprim17ROCPRIM_400000_NS6detail17trampoline_kernelINS0_14default_configENS1_38merge_sort_block_merge_config_selectorIalEEZZNS1_27merge_sort_block_merge_implIS3_PaN6thrust23THRUST_200600_302600_NS10device_ptrIlEEjNS1_19radix_merge_compareILb0ELb1EaNS0_19identity_decomposerEEEEE10hipError_tT0_T1_T2_jT3_P12ihipStream_tbPNSt15iterator_traitsISG_E10value_typeEPNSM_ISH_E10value_typeEPSI_NS1_7vsmem_tEENKUlT_SG_SH_SI_E_clIS7_S7_PlSB_EESF_SV_SG_SH_SI_EUlSV_E1_NS1_11comp_targetILNS1_3genE3ELNS1_11target_archE908ELNS1_3gpuE7ELNS1_3repE0EEENS1_36merge_oddeven_config_static_selectorELNS0_4arch9wavefront6targetE1EEEvSH_
		.amdhsa_group_segment_fixed_size 0
		.amdhsa_private_segment_fixed_size 0
		.amdhsa_kernarg_size 48
		.amdhsa_user_sgpr_count 6
		.amdhsa_user_sgpr_private_segment_buffer 1
		.amdhsa_user_sgpr_dispatch_ptr 0
		.amdhsa_user_sgpr_queue_ptr 0
		.amdhsa_user_sgpr_kernarg_segment_ptr 1
		.amdhsa_user_sgpr_dispatch_id 0
		.amdhsa_user_sgpr_flat_scratch_init 0
		.amdhsa_user_sgpr_private_segment_size 0
		.amdhsa_uses_dynamic_stack 0
		.amdhsa_system_sgpr_private_segment_wavefront_offset 0
		.amdhsa_system_sgpr_workgroup_id_x 1
		.amdhsa_system_sgpr_workgroup_id_y 0
		.amdhsa_system_sgpr_workgroup_id_z 0
		.amdhsa_system_sgpr_workgroup_info 0
		.amdhsa_system_vgpr_workitem_id 0
		.amdhsa_next_free_vgpr 1
		.amdhsa_next_free_sgpr 0
		.amdhsa_reserve_vcc 0
		.amdhsa_reserve_flat_scratch 0
		.amdhsa_float_round_mode_32 0
		.amdhsa_float_round_mode_16_64 0
		.amdhsa_float_denorm_mode_32 3
		.amdhsa_float_denorm_mode_16_64 3
		.amdhsa_dx10_clamp 1
		.amdhsa_ieee_mode 1
		.amdhsa_fp16_overflow 0
		.amdhsa_exception_fp_ieee_invalid_op 0
		.amdhsa_exception_fp_denorm_src 0
		.amdhsa_exception_fp_ieee_div_zero 0
		.amdhsa_exception_fp_ieee_overflow 0
		.amdhsa_exception_fp_ieee_underflow 0
		.amdhsa_exception_fp_ieee_inexact 0
		.amdhsa_exception_int_div_zero 0
	.end_amdhsa_kernel
	.section	.text._ZN7rocprim17ROCPRIM_400000_NS6detail17trampoline_kernelINS0_14default_configENS1_38merge_sort_block_merge_config_selectorIalEEZZNS1_27merge_sort_block_merge_implIS3_PaN6thrust23THRUST_200600_302600_NS10device_ptrIlEEjNS1_19radix_merge_compareILb0ELb1EaNS0_19identity_decomposerEEEEE10hipError_tT0_T1_T2_jT3_P12ihipStream_tbPNSt15iterator_traitsISG_E10value_typeEPNSM_ISH_E10value_typeEPSI_NS1_7vsmem_tEENKUlT_SG_SH_SI_E_clIS7_S7_PlSB_EESF_SV_SG_SH_SI_EUlSV_E1_NS1_11comp_targetILNS1_3genE3ELNS1_11target_archE908ELNS1_3gpuE7ELNS1_3repE0EEENS1_36merge_oddeven_config_static_selectorELNS0_4arch9wavefront6targetE1EEEvSH_,"axG",@progbits,_ZN7rocprim17ROCPRIM_400000_NS6detail17trampoline_kernelINS0_14default_configENS1_38merge_sort_block_merge_config_selectorIalEEZZNS1_27merge_sort_block_merge_implIS3_PaN6thrust23THRUST_200600_302600_NS10device_ptrIlEEjNS1_19radix_merge_compareILb0ELb1EaNS0_19identity_decomposerEEEEE10hipError_tT0_T1_T2_jT3_P12ihipStream_tbPNSt15iterator_traitsISG_E10value_typeEPNSM_ISH_E10value_typeEPSI_NS1_7vsmem_tEENKUlT_SG_SH_SI_E_clIS7_S7_PlSB_EESF_SV_SG_SH_SI_EUlSV_E1_NS1_11comp_targetILNS1_3genE3ELNS1_11target_archE908ELNS1_3gpuE7ELNS1_3repE0EEENS1_36merge_oddeven_config_static_selectorELNS0_4arch9wavefront6targetE1EEEvSH_,comdat
.Lfunc_end554:
	.size	_ZN7rocprim17ROCPRIM_400000_NS6detail17trampoline_kernelINS0_14default_configENS1_38merge_sort_block_merge_config_selectorIalEEZZNS1_27merge_sort_block_merge_implIS3_PaN6thrust23THRUST_200600_302600_NS10device_ptrIlEEjNS1_19radix_merge_compareILb0ELb1EaNS0_19identity_decomposerEEEEE10hipError_tT0_T1_T2_jT3_P12ihipStream_tbPNSt15iterator_traitsISG_E10value_typeEPNSM_ISH_E10value_typeEPSI_NS1_7vsmem_tEENKUlT_SG_SH_SI_E_clIS7_S7_PlSB_EESF_SV_SG_SH_SI_EUlSV_E1_NS1_11comp_targetILNS1_3genE3ELNS1_11target_archE908ELNS1_3gpuE7ELNS1_3repE0EEENS1_36merge_oddeven_config_static_selectorELNS0_4arch9wavefront6targetE1EEEvSH_, .Lfunc_end554-_ZN7rocprim17ROCPRIM_400000_NS6detail17trampoline_kernelINS0_14default_configENS1_38merge_sort_block_merge_config_selectorIalEEZZNS1_27merge_sort_block_merge_implIS3_PaN6thrust23THRUST_200600_302600_NS10device_ptrIlEEjNS1_19radix_merge_compareILb0ELb1EaNS0_19identity_decomposerEEEEE10hipError_tT0_T1_T2_jT3_P12ihipStream_tbPNSt15iterator_traitsISG_E10value_typeEPNSM_ISH_E10value_typeEPSI_NS1_7vsmem_tEENKUlT_SG_SH_SI_E_clIS7_S7_PlSB_EESF_SV_SG_SH_SI_EUlSV_E1_NS1_11comp_targetILNS1_3genE3ELNS1_11target_archE908ELNS1_3gpuE7ELNS1_3repE0EEENS1_36merge_oddeven_config_static_selectorELNS0_4arch9wavefront6targetE1EEEvSH_
                                        ; -- End function
	.set _ZN7rocprim17ROCPRIM_400000_NS6detail17trampoline_kernelINS0_14default_configENS1_38merge_sort_block_merge_config_selectorIalEEZZNS1_27merge_sort_block_merge_implIS3_PaN6thrust23THRUST_200600_302600_NS10device_ptrIlEEjNS1_19radix_merge_compareILb0ELb1EaNS0_19identity_decomposerEEEEE10hipError_tT0_T1_T2_jT3_P12ihipStream_tbPNSt15iterator_traitsISG_E10value_typeEPNSM_ISH_E10value_typeEPSI_NS1_7vsmem_tEENKUlT_SG_SH_SI_E_clIS7_S7_PlSB_EESF_SV_SG_SH_SI_EUlSV_E1_NS1_11comp_targetILNS1_3genE3ELNS1_11target_archE908ELNS1_3gpuE7ELNS1_3repE0EEENS1_36merge_oddeven_config_static_selectorELNS0_4arch9wavefront6targetE1EEEvSH_.num_vgpr, 0
	.set _ZN7rocprim17ROCPRIM_400000_NS6detail17trampoline_kernelINS0_14default_configENS1_38merge_sort_block_merge_config_selectorIalEEZZNS1_27merge_sort_block_merge_implIS3_PaN6thrust23THRUST_200600_302600_NS10device_ptrIlEEjNS1_19radix_merge_compareILb0ELb1EaNS0_19identity_decomposerEEEEE10hipError_tT0_T1_T2_jT3_P12ihipStream_tbPNSt15iterator_traitsISG_E10value_typeEPNSM_ISH_E10value_typeEPSI_NS1_7vsmem_tEENKUlT_SG_SH_SI_E_clIS7_S7_PlSB_EESF_SV_SG_SH_SI_EUlSV_E1_NS1_11comp_targetILNS1_3genE3ELNS1_11target_archE908ELNS1_3gpuE7ELNS1_3repE0EEENS1_36merge_oddeven_config_static_selectorELNS0_4arch9wavefront6targetE1EEEvSH_.num_agpr, 0
	.set _ZN7rocprim17ROCPRIM_400000_NS6detail17trampoline_kernelINS0_14default_configENS1_38merge_sort_block_merge_config_selectorIalEEZZNS1_27merge_sort_block_merge_implIS3_PaN6thrust23THRUST_200600_302600_NS10device_ptrIlEEjNS1_19radix_merge_compareILb0ELb1EaNS0_19identity_decomposerEEEEE10hipError_tT0_T1_T2_jT3_P12ihipStream_tbPNSt15iterator_traitsISG_E10value_typeEPNSM_ISH_E10value_typeEPSI_NS1_7vsmem_tEENKUlT_SG_SH_SI_E_clIS7_S7_PlSB_EESF_SV_SG_SH_SI_EUlSV_E1_NS1_11comp_targetILNS1_3genE3ELNS1_11target_archE908ELNS1_3gpuE7ELNS1_3repE0EEENS1_36merge_oddeven_config_static_selectorELNS0_4arch9wavefront6targetE1EEEvSH_.numbered_sgpr, 0
	.set _ZN7rocprim17ROCPRIM_400000_NS6detail17trampoline_kernelINS0_14default_configENS1_38merge_sort_block_merge_config_selectorIalEEZZNS1_27merge_sort_block_merge_implIS3_PaN6thrust23THRUST_200600_302600_NS10device_ptrIlEEjNS1_19radix_merge_compareILb0ELb1EaNS0_19identity_decomposerEEEEE10hipError_tT0_T1_T2_jT3_P12ihipStream_tbPNSt15iterator_traitsISG_E10value_typeEPNSM_ISH_E10value_typeEPSI_NS1_7vsmem_tEENKUlT_SG_SH_SI_E_clIS7_S7_PlSB_EESF_SV_SG_SH_SI_EUlSV_E1_NS1_11comp_targetILNS1_3genE3ELNS1_11target_archE908ELNS1_3gpuE7ELNS1_3repE0EEENS1_36merge_oddeven_config_static_selectorELNS0_4arch9wavefront6targetE1EEEvSH_.num_named_barrier, 0
	.set _ZN7rocprim17ROCPRIM_400000_NS6detail17trampoline_kernelINS0_14default_configENS1_38merge_sort_block_merge_config_selectorIalEEZZNS1_27merge_sort_block_merge_implIS3_PaN6thrust23THRUST_200600_302600_NS10device_ptrIlEEjNS1_19radix_merge_compareILb0ELb1EaNS0_19identity_decomposerEEEEE10hipError_tT0_T1_T2_jT3_P12ihipStream_tbPNSt15iterator_traitsISG_E10value_typeEPNSM_ISH_E10value_typeEPSI_NS1_7vsmem_tEENKUlT_SG_SH_SI_E_clIS7_S7_PlSB_EESF_SV_SG_SH_SI_EUlSV_E1_NS1_11comp_targetILNS1_3genE3ELNS1_11target_archE908ELNS1_3gpuE7ELNS1_3repE0EEENS1_36merge_oddeven_config_static_selectorELNS0_4arch9wavefront6targetE1EEEvSH_.private_seg_size, 0
	.set _ZN7rocprim17ROCPRIM_400000_NS6detail17trampoline_kernelINS0_14default_configENS1_38merge_sort_block_merge_config_selectorIalEEZZNS1_27merge_sort_block_merge_implIS3_PaN6thrust23THRUST_200600_302600_NS10device_ptrIlEEjNS1_19radix_merge_compareILb0ELb1EaNS0_19identity_decomposerEEEEE10hipError_tT0_T1_T2_jT3_P12ihipStream_tbPNSt15iterator_traitsISG_E10value_typeEPNSM_ISH_E10value_typeEPSI_NS1_7vsmem_tEENKUlT_SG_SH_SI_E_clIS7_S7_PlSB_EESF_SV_SG_SH_SI_EUlSV_E1_NS1_11comp_targetILNS1_3genE3ELNS1_11target_archE908ELNS1_3gpuE7ELNS1_3repE0EEENS1_36merge_oddeven_config_static_selectorELNS0_4arch9wavefront6targetE1EEEvSH_.uses_vcc, 0
	.set _ZN7rocprim17ROCPRIM_400000_NS6detail17trampoline_kernelINS0_14default_configENS1_38merge_sort_block_merge_config_selectorIalEEZZNS1_27merge_sort_block_merge_implIS3_PaN6thrust23THRUST_200600_302600_NS10device_ptrIlEEjNS1_19radix_merge_compareILb0ELb1EaNS0_19identity_decomposerEEEEE10hipError_tT0_T1_T2_jT3_P12ihipStream_tbPNSt15iterator_traitsISG_E10value_typeEPNSM_ISH_E10value_typeEPSI_NS1_7vsmem_tEENKUlT_SG_SH_SI_E_clIS7_S7_PlSB_EESF_SV_SG_SH_SI_EUlSV_E1_NS1_11comp_targetILNS1_3genE3ELNS1_11target_archE908ELNS1_3gpuE7ELNS1_3repE0EEENS1_36merge_oddeven_config_static_selectorELNS0_4arch9wavefront6targetE1EEEvSH_.uses_flat_scratch, 0
	.set _ZN7rocprim17ROCPRIM_400000_NS6detail17trampoline_kernelINS0_14default_configENS1_38merge_sort_block_merge_config_selectorIalEEZZNS1_27merge_sort_block_merge_implIS3_PaN6thrust23THRUST_200600_302600_NS10device_ptrIlEEjNS1_19radix_merge_compareILb0ELb1EaNS0_19identity_decomposerEEEEE10hipError_tT0_T1_T2_jT3_P12ihipStream_tbPNSt15iterator_traitsISG_E10value_typeEPNSM_ISH_E10value_typeEPSI_NS1_7vsmem_tEENKUlT_SG_SH_SI_E_clIS7_S7_PlSB_EESF_SV_SG_SH_SI_EUlSV_E1_NS1_11comp_targetILNS1_3genE3ELNS1_11target_archE908ELNS1_3gpuE7ELNS1_3repE0EEENS1_36merge_oddeven_config_static_selectorELNS0_4arch9wavefront6targetE1EEEvSH_.has_dyn_sized_stack, 0
	.set _ZN7rocprim17ROCPRIM_400000_NS6detail17trampoline_kernelINS0_14default_configENS1_38merge_sort_block_merge_config_selectorIalEEZZNS1_27merge_sort_block_merge_implIS3_PaN6thrust23THRUST_200600_302600_NS10device_ptrIlEEjNS1_19radix_merge_compareILb0ELb1EaNS0_19identity_decomposerEEEEE10hipError_tT0_T1_T2_jT3_P12ihipStream_tbPNSt15iterator_traitsISG_E10value_typeEPNSM_ISH_E10value_typeEPSI_NS1_7vsmem_tEENKUlT_SG_SH_SI_E_clIS7_S7_PlSB_EESF_SV_SG_SH_SI_EUlSV_E1_NS1_11comp_targetILNS1_3genE3ELNS1_11target_archE908ELNS1_3gpuE7ELNS1_3repE0EEENS1_36merge_oddeven_config_static_selectorELNS0_4arch9wavefront6targetE1EEEvSH_.has_recursion, 0
	.set _ZN7rocprim17ROCPRIM_400000_NS6detail17trampoline_kernelINS0_14default_configENS1_38merge_sort_block_merge_config_selectorIalEEZZNS1_27merge_sort_block_merge_implIS3_PaN6thrust23THRUST_200600_302600_NS10device_ptrIlEEjNS1_19radix_merge_compareILb0ELb1EaNS0_19identity_decomposerEEEEE10hipError_tT0_T1_T2_jT3_P12ihipStream_tbPNSt15iterator_traitsISG_E10value_typeEPNSM_ISH_E10value_typeEPSI_NS1_7vsmem_tEENKUlT_SG_SH_SI_E_clIS7_S7_PlSB_EESF_SV_SG_SH_SI_EUlSV_E1_NS1_11comp_targetILNS1_3genE3ELNS1_11target_archE908ELNS1_3gpuE7ELNS1_3repE0EEENS1_36merge_oddeven_config_static_selectorELNS0_4arch9wavefront6targetE1EEEvSH_.has_indirect_call, 0
	.section	.AMDGPU.csdata,"",@progbits
; Kernel info:
; codeLenInByte = 0
; TotalNumSgprs: 4
; NumVgprs: 0
; ScratchSize: 0
; MemoryBound: 0
; FloatMode: 240
; IeeeMode: 1
; LDSByteSize: 0 bytes/workgroup (compile time only)
; SGPRBlocks: 0
; VGPRBlocks: 0
; NumSGPRsForWavesPerEU: 4
; NumVGPRsForWavesPerEU: 1
; Occupancy: 10
; WaveLimiterHint : 0
; COMPUTE_PGM_RSRC2:SCRATCH_EN: 0
; COMPUTE_PGM_RSRC2:USER_SGPR: 6
; COMPUTE_PGM_RSRC2:TRAP_HANDLER: 0
; COMPUTE_PGM_RSRC2:TGID_X_EN: 1
; COMPUTE_PGM_RSRC2:TGID_Y_EN: 0
; COMPUTE_PGM_RSRC2:TGID_Z_EN: 0
; COMPUTE_PGM_RSRC2:TIDIG_COMP_CNT: 0
	.section	.text._ZN7rocprim17ROCPRIM_400000_NS6detail17trampoline_kernelINS0_14default_configENS1_38merge_sort_block_merge_config_selectorIalEEZZNS1_27merge_sort_block_merge_implIS3_PaN6thrust23THRUST_200600_302600_NS10device_ptrIlEEjNS1_19radix_merge_compareILb0ELb1EaNS0_19identity_decomposerEEEEE10hipError_tT0_T1_T2_jT3_P12ihipStream_tbPNSt15iterator_traitsISG_E10value_typeEPNSM_ISH_E10value_typeEPSI_NS1_7vsmem_tEENKUlT_SG_SH_SI_E_clIS7_S7_PlSB_EESF_SV_SG_SH_SI_EUlSV_E1_NS1_11comp_targetILNS1_3genE2ELNS1_11target_archE906ELNS1_3gpuE6ELNS1_3repE0EEENS1_36merge_oddeven_config_static_selectorELNS0_4arch9wavefront6targetE1EEEvSH_,"axG",@progbits,_ZN7rocprim17ROCPRIM_400000_NS6detail17trampoline_kernelINS0_14default_configENS1_38merge_sort_block_merge_config_selectorIalEEZZNS1_27merge_sort_block_merge_implIS3_PaN6thrust23THRUST_200600_302600_NS10device_ptrIlEEjNS1_19radix_merge_compareILb0ELb1EaNS0_19identity_decomposerEEEEE10hipError_tT0_T1_T2_jT3_P12ihipStream_tbPNSt15iterator_traitsISG_E10value_typeEPNSM_ISH_E10value_typeEPSI_NS1_7vsmem_tEENKUlT_SG_SH_SI_E_clIS7_S7_PlSB_EESF_SV_SG_SH_SI_EUlSV_E1_NS1_11comp_targetILNS1_3genE2ELNS1_11target_archE906ELNS1_3gpuE6ELNS1_3repE0EEENS1_36merge_oddeven_config_static_selectorELNS0_4arch9wavefront6targetE1EEEvSH_,comdat
	.protected	_ZN7rocprim17ROCPRIM_400000_NS6detail17trampoline_kernelINS0_14default_configENS1_38merge_sort_block_merge_config_selectorIalEEZZNS1_27merge_sort_block_merge_implIS3_PaN6thrust23THRUST_200600_302600_NS10device_ptrIlEEjNS1_19radix_merge_compareILb0ELb1EaNS0_19identity_decomposerEEEEE10hipError_tT0_T1_T2_jT3_P12ihipStream_tbPNSt15iterator_traitsISG_E10value_typeEPNSM_ISH_E10value_typeEPSI_NS1_7vsmem_tEENKUlT_SG_SH_SI_E_clIS7_S7_PlSB_EESF_SV_SG_SH_SI_EUlSV_E1_NS1_11comp_targetILNS1_3genE2ELNS1_11target_archE906ELNS1_3gpuE6ELNS1_3repE0EEENS1_36merge_oddeven_config_static_selectorELNS0_4arch9wavefront6targetE1EEEvSH_ ; -- Begin function _ZN7rocprim17ROCPRIM_400000_NS6detail17trampoline_kernelINS0_14default_configENS1_38merge_sort_block_merge_config_selectorIalEEZZNS1_27merge_sort_block_merge_implIS3_PaN6thrust23THRUST_200600_302600_NS10device_ptrIlEEjNS1_19radix_merge_compareILb0ELb1EaNS0_19identity_decomposerEEEEE10hipError_tT0_T1_T2_jT3_P12ihipStream_tbPNSt15iterator_traitsISG_E10value_typeEPNSM_ISH_E10value_typeEPSI_NS1_7vsmem_tEENKUlT_SG_SH_SI_E_clIS7_S7_PlSB_EESF_SV_SG_SH_SI_EUlSV_E1_NS1_11comp_targetILNS1_3genE2ELNS1_11target_archE906ELNS1_3gpuE6ELNS1_3repE0EEENS1_36merge_oddeven_config_static_selectorELNS0_4arch9wavefront6targetE1EEEvSH_
	.globl	_ZN7rocprim17ROCPRIM_400000_NS6detail17trampoline_kernelINS0_14default_configENS1_38merge_sort_block_merge_config_selectorIalEEZZNS1_27merge_sort_block_merge_implIS3_PaN6thrust23THRUST_200600_302600_NS10device_ptrIlEEjNS1_19radix_merge_compareILb0ELb1EaNS0_19identity_decomposerEEEEE10hipError_tT0_T1_T2_jT3_P12ihipStream_tbPNSt15iterator_traitsISG_E10value_typeEPNSM_ISH_E10value_typeEPSI_NS1_7vsmem_tEENKUlT_SG_SH_SI_E_clIS7_S7_PlSB_EESF_SV_SG_SH_SI_EUlSV_E1_NS1_11comp_targetILNS1_3genE2ELNS1_11target_archE906ELNS1_3gpuE6ELNS1_3repE0EEENS1_36merge_oddeven_config_static_selectorELNS0_4arch9wavefront6targetE1EEEvSH_
	.p2align	8
	.type	_ZN7rocprim17ROCPRIM_400000_NS6detail17trampoline_kernelINS0_14default_configENS1_38merge_sort_block_merge_config_selectorIalEEZZNS1_27merge_sort_block_merge_implIS3_PaN6thrust23THRUST_200600_302600_NS10device_ptrIlEEjNS1_19radix_merge_compareILb0ELb1EaNS0_19identity_decomposerEEEEE10hipError_tT0_T1_T2_jT3_P12ihipStream_tbPNSt15iterator_traitsISG_E10value_typeEPNSM_ISH_E10value_typeEPSI_NS1_7vsmem_tEENKUlT_SG_SH_SI_E_clIS7_S7_PlSB_EESF_SV_SG_SH_SI_EUlSV_E1_NS1_11comp_targetILNS1_3genE2ELNS1_11target_archE906ELNS1_3gpuE6ELNS1_3repE0EEENS1_36merge_oddeven_config_static_selectorELNS0_4arch9wavefront6targetE1EEEvSH_,@function
_ZN7rocprim17ROCPRIM_400000_NS6detail17trampoline_kernelINS0_14default_configENS1_38merge_sort_block_merge_config_selectorIalEEZZNS1_27merge_sort_block_merge_implIS3_PaN6thrust23THRUST_200600_302600_NS10device_ptrIlEEjNS1_19radix_merge_compareILb0ELb1EaNS0_19identity_decomposerEEEEE10hipError_tT0_T1_T2_jT3_P12ihipStream_tbPNSt15iterator_traitsISG_E10value_typeEPNSM_ISH_E10value_typeEPSI_NS1_7vsmem_tEENKUlT_SG_SH_SI_E_clIS7_S7_PlSB_EESF_SV_SG_SH_SI_EUlSV_E1_NS1_11comp_targetILNS1_3genE2ELNS1_11target_archE906ELNS1_3gpuE6ELNS1_3repE0EEENS1_36merge_oddeven_config_static_selectorELNS0_4arch9wavefront6targetE1EEEvSH_: ; @_ZN7rocprim17ROCPRIM_400000_NS6detail17trampoline_kernelINS0_14default_configENS1_38merge_sort_block_merge_config_selectorIalEEZZNS1_27merge_sort_block_merge_implIS3_PaN6thrust23THRUST_200600_302600_NS10device_ptrIlEEjNS1_19radix_merge_compareILb0ELb1EaNS0_19identity_decomposerEEEEE10hipError_tT0_T1_T2_jT3_P12ihipStream_tbPNSt15iterator_traitsISG_E10value_typeEPNSM_ISH_E10value_typeEPSI_NS1_7vsmem_tEENKUlT_SG_SH_SI_E_clIS7_S7_PlSB_EESF_SV_SG_SH_SI_EUlSV_E1_NS1_11comp_targetILNS1_3genE2ELNS1_11target_archE906ELNS1_3gpuE6ELNS1_3repE0EEENS1_36merge_oddeven_config_static_selectorELNS0_4arch9wavefront6targetE1EEEvSH_
; %bb.0:
	s_load_dword s20, s[4:5], 0x20
	s_waitcnt lgkmcnt(0)
	s_lshr_b32 s0, s20, 8
	s_cmp_eq_u32 s6, s0
	s_cselect_b64 s[16:17], -1, 0
	s_cmp_lg_u32 s6, s0
	s_cselect_b64 s[0:1], -1, 0
	s_lshl_b32 s18, s6, 8
	s_sub_i32 s2, s20, s18
	v_cmp_gt_u32_e64 s[2:3], s2, v0
	s_or_b64 s[0:1], s[0:1], s[2:3]
	s_and_saveexec_b64 s[8:9], s[0:1]
	s_cbranch_execz .LBB555_24
; %bb.1:
	s_load_dwordx8 s[8:15], s[4:5], 0x0
	s_mov_b32 s19, 0
	v_lshlrev_b32_e32 v3, 3, v0
	s_waitcnt lgkmcnt(0)
	s_add_u32 s0, s8, s18
	s_addc_u32 s1, s9, 0
	s_lshl_b64 s[22:23], s[18:19], 3
	s_add_u32 s12, s12, s22
	s_addc_u32 s13, s13, s23
	global_load_dwordx2 v[1:2], v3, s[12:13]
	global_load_ubyte v5, v0, s[0:1]
	s_load_dword s13, s[4:5], 0x24
	v_add_u32_e32 v3, s18, v0
	s_waitcnt lgkmcnt(0)
	s_lshr_b32 s0, s13, 8
	s_sub_i32 s1, 0, s0
	s_and_b32 s1, s6, s1
	s_and_b32 s0, s1, s0
	s_lshl_b32 s19, s1, 8
	s_sub_i32 s12, 0, s13
	s_cmp_eq_u32 s0, 0
	s_cselect_b64 s[0:1], -1, 0
	s_and_b64 s[6:7], s[0:1], exec
	s_cselect_b32 s12, s13, s12
	s_add_i32 s12, s12, s19
	s_mov_b64 s[6:7], -1
	s_cmp_gt_u32 s20, s12
	s_cbranch_scc1 .LBB555_9
; %bb.2:
	s_and_b64 vcc, exec, s[16:17]
	s_cbranch_vccz .LBB555_6
; %bb.3:
	v_cmp_gt_u32_e32 vcc, s20, v3
	s_and_saveexec_b64 s[6:7], vcc
	s_cbranch_execz .LBB555_5
; %bb.4:
	v_mov_b32_e32 v4, 0
	v_lshlrev_b64 v[6:7], 3, v[3:4]
	v_mov_b32_e32 v0, s15
	v_add_co_u32_e32 v6, vcc, s14, v6
	v_addc_co_u32_e32 v7, vcc, v0, v7, vcc
	s_waitcnt vmcnt(0)
	global_store_byte v3, v5, s[10:11]
	global_store_dwordx2 v[6:7], v[1:2], off
.LBB555_5:
	s_or_b64 exec, exec, s[6:7]
	s_mov_b64 s[6:7], 0
.LBB555_6:
	s_andn2_b64 vcc, exec, s[6:7]
	s_cbranch_vccnz .LBB555_8
; %bb.7:
	v_mov_b32_e32 v4, 0
	v_lshlrev_b64 v[6:7], 3, v[3:4]
	v_mov_b32_e32 v0, s15
	v_add_co_u32_e32 v6, vcc, s14, v6
	v_addc_co_u32_e32 v7, vcc, v0, v7, vcc
	s_waitcnt vmcnt(0)
	global_store_byte v3, v5, s[10:11]
	global_store_dwordx2 v[6:7], v[1:2], off
.LBB555_8:
	s_mov_b64 s[6:7], 0
.LBB555_9:
	s_andn2_b64 vcc, exec, s[6:7]
	s_cbranch_vccnz .LBB555_24
; %bb.10:
	s_load_dword s6, s[4:5], 0x28
	s_min_u32 s7, s12, s20
	s_add_i32 s4, s7, s13
	s_min_u32 s13, s4, s20
	s_min_u32 s4, s19, s7
	s_add_i32 s19, s19, s7
	v_subrev_u32_e32 v0, s19, v3
	v_add_u32_e32 v0, s4, v0
	s_waitcnt vmcnt(0) lgkmcnt(0)
	v_and_b32_e32 v3, s6, v5
	s_mov_b64 s[4:5], -1
	s_and_b64 vcc, exec, s[16:17]
	s_cbranch_vccz .LBB555_18
; %bb.11:
	s_and_saveexec_b64 s[4:5], s[2:3]
	s_cbranch_execz .LBB555_17
; %bb.12:
	s_cmp_ge_u32 s12, s13
	v_mov_b32_e32 v4, s7
	s_cbranch_scc1 .LBB555_16
; %bb.13:
	s_mov_b64 s[2:3], 0
	v_mov_b32_e32 v6, s13
	v_mov_b32_e32 v4, s7
.LBB555_14:                             ; =>This Inner Loop Header: Depth=1
	v_add_u32_e32 v7, v4, v6
	v_lshrrev_b32_e32 v7, 1, v7
	global_load_ubyte v8, v7, s[8:9]
	v_add_u32_e32 v9, 1, v7
	s_waitcnt vmcnt(0)
	v_and_b32_e32 v8, s6, v8
	v_cmp_gt_i16_sdwa s[16:17], sext(v3), sext(v8) src0_sel:BYTE_0 src1_sel:BYTE_0
	v_cndmask_b32_e64 v10, 0, 1, s[16:17]
	v_cmp_le_i16_sdwa s[16:17], sext(v8), sext(v3) src0_sel:BYTE_0 src1_sel:BYTE_0
	v_cndmask_b32_e64 v8, 0, 1, s[16:17]
	v_cndmask_b32_e64 v8, v8, v10, s[0:1]
	v_and_b32_e32 v8, 1, v8
	v_cmp_eq_u32_e32 vcc, 1, v8
	v_cndmask_b32_e32 v6, v7, v6, vcc
	v_cndmask_b32_e32 v4, v4, v9, vcc
	v_cmp_ge_u32_e32 vcc, v4, v6
	s_or_b64 s[2:3], vcc, s[2:3]
	s_andn2_b64 exec, exec, s[2:3]
	s_cbranch_execnz .LBB555_14
; %bb.15:
	s_or_b64 exec, exec, s[2:3]
.LBB555_16:
	v_add_u32_e32 v6, v4, v0
	v_mov_b32_e32 v7, 0
	global_store_byte v6, v5, s[10:11]
	v_lshlrev_b64 v[6:7], 3, v[6:7]
	v_mov_b32_e32 v4, s15
	v_add_co_u32_e32 v6, vcc, s14, v6
	v_addc_co_u32_e32 v7, vcc, v4, v7, vcc
	global_store_dwordx2 v[6:7], v[1:2], off
.LBB555_17:
	s_or_b64 exec, exec, s[4:5]
	s_mov_b64 s[4:5], 0
.LBB555_18:
	s_andn2_b64 vcc, exec, s[4:5]
	s_cbranch_vccnz .LBB555_24
; %bb.19:
	s_cmp_ge_u32 s12, s13
	v_mov_b32_e32 v4, s7
	s_cbranch_scc1 .LBB555_23
; %bb.20:
	s_mov_b64 s[2:3], 0
	v_mov_b32_e32 v6, s13
	v_mov_b32_e32 v4, s7
.LBB555_21:                             ; =>This Inner Loop Header: Depth=1
	v_add_u32_e32 v7, v4, v6
	v_lshrrev_b32_e32 v7, 1, v7
	global_load_ubyte v8, v7, s[8:9]
	v_add_u32_e32 v9, 1, v7
	s_waitcnt vmcnt(0)
	v_and_b32_e32 v8, s6, v8
	v_cmp_gt_i16_sdwa s[4:5], sext(v3), sext(v8) src0_sel:BYTE_0 src1_sel:BYTE_0
	v_cndmask_b32_e64 v10, 0, 1, s[4:5]
	v_cmp_le_i16_sdwa s[4:5], sext(v8), sext(v3) src0_sel:BYTE_0 src1_sel:BYTE_0
	v_cndmask_b32_e64 v8, 0, 1, s[4:5]
	v_cndmask_b32_e64 v8, v8, v10, s[0:1]
	v_and_b32_e32 v8, 1, v8
	v_cmp_eq_u32_e32 vcc, 1, v8
	v_cndmask_b32_e32 v6, v7, v6, vcc
	v_cndmask_b32_e32 v4, v4, v9, vcc
	v_cmp_ge_u32_e32 vcc, v4, v6
	s_or_b64 s[2:3], vcc, s[2:3]
	s_andn2_b64 exec, exec, s[2:3]
	s_cbranch_execnz .LBB555_21
; %bb.22:
	s_or_b64 exec, exec, s[2:3]
.LBB555_23:
	v_add_u32_e32 v3, v4, v0
	v_mov_b32_e32 v4, 0
	global_store_byte v3, v5, s[10:11]
	v_lshlrev_b64 v[3:4], 3, v[3:4]
	v_mov_b32_e32 v0, s15
	v_add_co_u32_e32 v3, vcc, s14, v3
	v_addc_co_u32_e32 v4, vcc, v0, v4, vcc
	global_store_dwordx2 v[3:4], v[1:2], off
.LBB555_24:
	s_endpgm
	.section	.rodata,"a",@progbits
	.p2align	6, 0x0
	.amdhsa_kernel _ZN7rocprim17ROCPRIM_400000_NS6detail17trampoline_kernelINS0_14default_configENS1_38merge_sort_block_merge_config_selectorIalEEZZNS1_27merge_sort_block_merge_implIS3_PaN6thrust23THRUST_200600_302600_NS10device_ptrIlEEjNS1_19radix_merge_compareILb0ELb1EaNS0_19identity_decomposerEEEEE10hipError_tT0_T1_T2_jT3_P12ihipStream_tbPNSt15iterator_traitsISG_E10value_typeEPNSM_ISH_E10value_typeEPSI_NS1_7vsmem_tEENKUlT_SG_SH_SI_E_clIS7_S7_PlSB_EESF_SV_SG_SH_SI_EUlSV_E1_NS1_11comp_targetILNS1_3genE2ELNS1_11target_archE906ELNS1_3gpuE6ELNS1_3repE0EEENS1_36merge_oddeven_config_static_selectorELNS0_4arch9wavefront6targetE1EEEvSH_
		.amdhsa_group_segment_fixed_size 0
		.amdhsa_private_segment_fixed_size 0
		.amdhsa_kernarg_size 48
		.amdhsa_user_sgpr_count 6
		.amdhsa_user_sgpr_private_segment_buffer 1
		.amdhsa_user_sgpr_dispatch_ptr 0
		.amdhsa_user_sgpr_queue_ptr 0
		.amdhsa_user_sgpr_kernarg_segment_ptr 1
		.amdhsa_user_sgpr_dispatch_id 0
		.amdhsa_user_sgpr_flat_scratch_init 0
		.amdhsa_user_sgpr_private_segment_size 0
		.amdhsa_uses_dynamic_stack 0
		.amdhsa_system_sgpr_private_segment_wavefront_offset 0
		.amdhsa_system_sgpr_workgroup_id_x 1
		.amdhsa_system_sgpr_workgroup_id_y 0
		.amdhsa_system_sgpr_workgroup_id_z 0
		.amdhsa_system_sgpr_workgroup_info 0
		.amdhsa_system_vgpr_workitem_id 0
		.amdhsa_next_free_vgpr 11
		.amdhsa_next_free_sgpr 24
		.amdhsa_reserve_vcc 1
		.amdhsa_reserve_flat_scratch 0
		.amdhsa_float_round_mode_32 0
		.amdhsa_float_round_mode_16_64 0
		.amdhsa_float_denorm_mode_32 3
		.amdhsa_float_denorm_mode_16_64 3
		.amdhsa_dx10_clamp 1
		.amdhsa_ieee_mode 1
		.amdhsa_fp16_overflow 0
		.amdhsa_exception_fp_ieee_invalid_op 0
		.amdhsa_exception_fp_denorm_src 0
		.amdhsa_exception_fp_ieee_div_zero 0
		.amdhsa_exception_fp_ieee_overflow 0
		.amdhsa_exception_fp_ieee_underflow 0
		.amdhsa_exception_fp_ieee_inexact 0
		.amdhsa_exception_int_div_zero 0
	.end_amdhsa_kernel
	.section	.text._ZN7rocprim17ROCPRIM_400000_NS6detail17trampoline_kernelINS0_14default_configENS1_38merge_sort_block_merge_config_selectorIalEEZZNS1_27merge_sort_block_merge_implIS3_PaN6thrust23THRUST_200600_302600_NS10device_ptrIlEEjNS1_19radix_merge_compareILb0ELb1EaNS0_19identity_decomposerEEEEE10hipError_tT0_T1_T2_jT3_P12ihipStream_tbPNSt15iterator_traitsISG_E10value_typeEPNSM_ISH_E10value_typeEPSI_NS1_7vsmem_tEENKUlT_SG_SH_SI_E_clIS7_S7_PlSB_EESF_SV_SG_SH_SI_EUlSV_E1_NS1_11comp_targetILNS1_3genE2ELNS1_11target_archE906ELNS1_3gpuE6ELNS1_3repE0EEENS1_36merge_oddeven_config_static_selectorELNS0_4arch9wavefront6targetE1EEEvSH_,"axG",@progbits,_ZN7rocprim17ROCPRIM_400000_NS6detail17trampoline_kernelINS0_14default_configENS1_38merge_sort_block_merge_config_selectorIalEEZZNS1_27merge_sort_block_merge_implIS3_PaN6thrust23THRUST_200600_302600_NS10device_ptrIlEEjNS1_19radix_merge_compareILb0ELb1EaNS0_19identity_decomposerEEEEE10hipError_tT0_T1_T2_jT3_P12ihipStream_tbPNSt15iterator_traitsISG_E10value_typeEPNSM_ISH_E10value_typeEPSI_NS1_7vsmem_tEENKUlT_SG_SH_SI_E_clIS7_S7_PlSB_EESF_SV_SG_SH_SI_EUlSV_E1_NS1_11comp_targetILNS1_3genE2ELNS1_11target_archE906ELNS1_3gpuE6ELNS1_3repE0EEENS1_36merge_oddeven_config_static_selectorELNS0_4arch9wavefront6targetE1EEEvSH_,comdat
.Lfunc_end555:
	.size	_ZN7rocprim17ROCPRIM_400000_NS6detail17trampoline_kernelINS0_14default_configENS1_38merge_sort_block_merge_config_selectorIalEEZZNS1_27merge_sort_block_merge_implIS3_PaN6thrust23THRUST_200600_302600_NS10device_ptrIlEEjNS1_19radix_merge_compareILb0ELb1EaNS0_19identity_decomposerEEEEE10hipError_tT0_T1_T2_jT3_P12ihipStream_tbPNSt15iterator_traitsISG_E10value_typeEPNSM_ISH_E10value_typeEPSI_NS1_7vsmem_tEENKUlT_SG_SH_SI_E_clIS7_S7_PlSB_EESF_SV_SG_SH_SI_EUlSV_E1_NS1_11comp_targetILNS1_3genE2ELNS1_11target_archE906ELNS1_3gpuE6ELNS1_3repE0EEENS1_36merge_oddeven_config_static_selectorELNS0_4arch9wavefront6targetE1EEEvSH_, .Lfunc_end555-_ZN7rocprim17ROCPRIM_400000_NS6detail17trampoline_kernelINS0_14default_configENS1_38merge_sort_block_merge_config_selectorIalEEZZNS1_27merge_sort_block_merge_implIS3_PaN6thrust23THRUST_200600_302600_NS10device_ptrIlEEjNS1_19radix_merge_compareILb0ELb1EaNS0_19identity_decomposerEEEEE10hipError_tT0_T1_T2_jT3_P12ihipStream_tbPNSt15iterator_traitsISG_E10value_typeEPNSM_ISH_E10value_typeEPSI_NS1_7vsmem_tEENKUlT_SG_SH_SI_E_clIS7_S7_PlSB_EESF_SV_SG_SH_SI_EUlSV_E1_NS1_11comp_targetILNS1_3genE2ELNS1_11target_archE906ELNS1_3gpuE6ELNS1_3repE0EEENS1_36merge_oddeven_config_static_selectorELNS0_4arch9wavefront6targetE1EEEvSH_
                                        ; -- End function
	.set _ZN7rocprim17ROCPRIM_400000_NS6detail17trampoline_kernelINS0_14default_configENS1_38merge_sort_block_merge_config_selectorIalEEZZNS1_27merge_sort_block_merge_implIS3_PaN6thrust23THRUST_200600_302600_NS10device_ptrIlEEjNS1_19radix_merge_compareILb0ELb1EaNS0_19identity_decomposerEEEEE10hipError_tT0_T1_T2_jT3_P12ihipStream_tbPNSt15iterator_traitsISG_E10value_typeEPNSM_ISH_E10value_typeEPSI_NS1_7vsmem_tEENKUlT_SG_SH_SI_E_clIS7_S7_PlSB_EESF_SV_SG_SH_SI_EUlSV_E1_NS1_11comp_targetILNS1_3genE2ELNS1_11target_archE906ELNS1_3gpuE6ELNS1_3repE0EEENS1_36merge_oddeven_config_static_selectorELNS0_4arch9wavefront6targetE1EEEvSH_.num_vgpr, 11
	.set _ZN7rocprim17ROCPRIM_400000_NS6detail17trampoline_kernelINS0_14default_configENS1_38merge_sort_block_merge_config_selectorIalEEZZNS1_27merge_sort_block_merge_implIS3_PaN6thrust23THRUST_200600_302600_NS10device_ptrIlEEjNS1_19radix_merge_compareILb0ELb1EaNS0_19identity_decomposerEEEEE10hipError_tT0_T1_T2_jT3_P12ihipStream_tbPNSt15iterator_traitsISG_E10value_typeEPNSM_ISH_E10value_typeEPSI_NS1_7vsmem_tEENKUlT_SG_SH_SI_E_clIS7_S7_PlSB_EESF_SV_SG_SH_SI_EUlSV_E1_NS1_11comp_targetILNS1_3genE2ELNS1_11target_archE906ELNS1_3gpuE6ELNS1_3repE0EEENS1_36merge_oddeven_config_static_selectorELNS0_4arch9wavefront6targetE1EEEvSH_.num_agpr, 0
	.set _ZN7rocprim17ROCPRIM_400000_NS6detail17trampoline_kernelINS0_14default_configENS1_38merge_sort_block_merge_config_selectorIalEEZZNS1_27merge_sort_block_merge_implIS3_PaN6thrust23THRUST_200600_302600_NS10device_ptrIlEEjNS1_19radix_merge_compareILb0ELb1EaNS0_19identity_decomposerEEEEE10hipError_tT0_T1_T2_jT3_P12ihipStream_tbPNSt15iterator_traitsISG_E10value_typeEPNSM_ISH_E10value_typeEPSI_NS1_7vsmem_tEENKUlT_SG_SH_SI_E_clIS7_S7_PlSB_EESF_SV_SG_SH_SI_EUlSV_E1_NS1_11comp_targetILNS1_3genE2ELNS1_11target_archE906ELNS1_3gpuE6ELNS1_3repE0EEENS1_36merge_oddeven_config_static_selectorELNS0_4arch9wavefront6targetE1EEEvSH_.numbered_sgpr, 24
	.set _ZN7rocprim17ROCPRIM_400000_NS6detail17trampoline_kernelINS0_14default_configENS1_38merge_sort_block_merge_config_selectorIalEEZZNS1_27merge_sort_block_merge_implIS3_PaN6thrust23THRUST_200600_302600_NS10device_ptrIlEEjNS1_19radix_merge_compareILb0ELb1EaNS0_19identity_decomposerEEEEE10hipError_tT0_T1_T2_jT3_P12ihipStream_tbPNSt15iterator_traitsISG_E10value_typeEPNSM_ISH_E10value_typeEPSI_NS1_7vsmem_tEENKUlT_SG_SH_SI_E_clIS7_S7_PlSB_EESF_SV_SG_SH_SI_EUlSV_E1_NS1_11comp_targetILNS1_3genE2ELNS1_11target_archE906ELNS1_3gpuE6ELNS1_3repE0EEENS1_36merge_oddeven_config_static_selectorELNS0_4arch9wavefront6targetE1EEEvSH_.num_named_barrier, 0
	.set _ZN7rocprim17ROCPRIM_400000_NS6detail17trampoline_kernelINS0_14default_configENS1_38merge_sort_block_merge_config_selectorIalEEZZNS1_27merge_sort_block_merge_implIS3_PaN6thrust23THRUST_200600_302600_NS10device_ptrIlEEjNS1_19radix_merge_compareILb0ELb1EaNS0_19identity_decomposerEEEEE10hipError_tT0_T1_T2_jT3_P12ihipStream_tbPNSt15iterator_traitsISG_E10value_typeEPNSM_ISH_E10value_typeEPSI_NS1_7vsmem_tEENKUlT_SG_SH_SI_E_clIS7_S7_PlSB_EESF_SV_SG_SH_SI_EUlSV_E1_NS1_11comp_targetILNS1_3genE2ELNS1_11target_archE906ELNS1_3gpuE6ELNS1_3repE0EEENS1_36merge_oddeven_config_static_selectorELNS0_4arch9wavefront6targetE1EEEvSH_.private_seg_size, 0
	.set _ZN7rocprim17ROCPRIM_400000_NS6detail17trampoline_kernelINS0_14default_configENS1_38merge_sort_block_merge_config_selectorIalEEZZNS1_27merge_sort_block_merge_implIS3_PaN6thrust23THRUST_200600_302600_NS10device_ptrIlEEjNS1_19radix_merge_compareILb0ELb1EaNS0_19identity_decomposerEEEEE10hipError_tT0_T1_T2_jT3_P12ihipStream_tbPNSt15iterator_traitsISG_E10value_typeEPNSM_ISH_E10value_typeEPSI_NS1_7vsmem_tEENKUlT_SG_SH_SI_E_clIS7_S7_PlSB_EESF_SV_SG_SH_SI_EUlSV_E1_NS1_11comp_targetILNS1_3genE2ELNS1_11target_archE906ELNS1_3gpuE6ELNS1_3repE0EEENS1_36merge_oddeven_config_static_selectorELNS0_4arch9wavefront6targetE1EEEvSH_.uses_vcc, 1
	.set _ZN7rocprim17ROCPRIM_400000_NS6detail17trampoline_kernelINS0_14default_configENS1_38merge_sort_block_merge_config_selectorIalEEZZNS1_27merge_sort_block_merge_implIS3_PaN6thrust23THRUST_200600_302600_NS10device_ptrIlEEjNS1_19radix_merge_compareILb0ELb1EaNS0_19identity_decomposerEEEEE10hipError_tT0_T1_T2_jT3_P12ihipStream_tbPNSt15iterator_traitsISG_E10value_typeEPNSM_ISH_E10value_typeEPSI_NS1_7vsmem_tEENKUlT_SG_SH_SI_E_clIS7_S7_PlSB_EESF_SV_SG_SH_SI_EUlSV_E1_NS1_11comp_targetILNS1_3genE2ELNS1_11target_archE906ELNS1_3gpuE6ELNS1_3repE0EEENS1_36merge_oddeven_config_static_selectorELNS0_4arch9wavefront6targetE1EEEvSH_.uses_flat_scratch, 0
	.set _ZN7rocprim17ROCPRIM_400000_NS6detail17trampoline_kernelINS0_14default_configENS1_38merge_sort_block_merge_config_selectorIalEEZZNS1_27merge_sort_block_merge_implIS3_PaN6thrust23THRUST_200600_302600_NS10device_ptrIlEEjNS1_19radix_merge_compareILb0ELb1EaNS0_19identity_decomposerEEEEE10hipError_tT0_T1_T2_jT3_P12ihipStream_tbPNSt15iterator_traitsISG_E10value_typeEPNSM_ISH_E10value_typeEPSI_NS1_7vsmem_tEENKUlT_SG_SH_SI_E_clIS7_S7_PlSB_EESF_SV_SG_SH_SI_EUlSV_E1_NS1_11comp_targetILNS1_3genE2ELNS1_11target_archE906ELNS1_3gpuE6ELNS1_3repE0EEENS1_36merge_oddeven_config_static_selectorELNS0_4arch9wavefront6targetE1EEEvSH_.has_dyn_sized_stack, 0
	.set _ZN7rocprim17ROCPRIM_400000_NS6detail17trampoline_kernelINS0_14default_configENS1_38merge_sort_block_merge_config_selectorIalEEZZNS1_27merge_sort_block_merge_implIS3_PaN6thrust23THRUST_200600_302600_NS10device_ptrIlEEjNS1_19radix_merge_compareILb0ELb1EaNS0_19identity_decomposerEEEEE10hipError_tT0_T1_T2_jT3_P12ihipStream_tbPNSt15iterator_traitsISG_E10value_typeEPNSM_ISH_E10value_typeEPSI_NS1_7vsmem_tEENKUlT_SG_SH_SI_E_clIS7_S7_PlSB_EESF_SV_SG_SH_SI_EUlSV_E1_NS1_11comp_targetILNS1_3genE2ELNS1_11target_archE906ELNS1_3gpuE6ELNS1_3repE0EEENS1_36merge_oddeven_config_static_selectorELNS0_4arch9wavefront6targetE1EEEvSH_.has_recursion, 0
	.set _ZN7rocprim17ROCPRIM_400000_NS6detail17trampoline_kernelINS0_14default_configENS1_38merge_sort_block_merge_config_selectorIalEEZZNS1_27merge_sort_block_merge_implIS3_PaN6thrust23THRUST_200600_302600_NS10device_ptrIlEEjNS1_19radix_merge_compareILb0ELb1EaNS0_19identity_decomposerEEEEE10hipError_tT0_T1_T2_jT3_P12ihipStream_tbPNSt15iterator_traitsISG_E10value_typeEPNSM_ISH_E10value_typeEPSI_NS1_7vsmem_tEENKUlT_SG_SH_SI_E_clIS7_S7_PlSB_EESF_SV_SG_SH_SI_EUlSV_E1_NS1_11comp_targetILNS1_3genE2ELNS1_11target_archE906ELNS1_3gpuE6ELNS1_3repE0EEENS1_36merge_oddeven_config_static_selectorELNS0_4arch9wavefront6targetE1EEEvSH_.has_indirect_call, 0
	.section	.AMDGPU.csdata,"",@progbits
; Kernel info:
; codeLenInByte = 752
; TotalNumSgprs: 28
; NumVgprs: 11
; ScratchSize: 0
; MemoryBound: 0
; FloatMode: 240
; IeeeMode: 1
; LDSByteSize: 0 bytes/workgroup (compile time only)
; SGPRBlocks: 3
; VGPRBlocks: 2
; NumSGPRsForWavesPerEU: 28
; NumVGPRsForWavesPerEU: 11
; Occupancy: 10
; WaveLimiterHint : 0
; COMPUTE_PGM_RSRC2:SCRATCH_EN: 0
; COMPUTE_PGM_RSRC2:USER_SGPR: 6
; COMPUTE_PGM_RSRC2:TRAP_HANDLER: 0
; COMPUTE_PGM_RSRC2:TGID_X_EN: 1
; COMPUTE_PGM_RSRC2:TGID_Y_EN: 0
; COMPUTE_PGM_RSRC2:TGID_Z_EN: 0
; COMPUTE_PGM_RSRC2:TIDIG_COMP_CNT: 0
	.section	.text._ZN7rocprim17ROCPRIM_400000_NS6detail17trampoline_kernelINS0_14default_configENS1_38merge_sort_block_merge_config_selectorIalEEZZNS1_27merge_sort_block_merge_implIS3_PaN6thrust23THRUST_200600_302600_NS10device_ptrIlEEjNS1_19radix_merge_compareILb0ELb1EaNS0_19identity_decomposerEEEEE10hipError_tT0_T1_T2_jT3_P12ihipStream_tbPNSt15iterator_traitsISG_E10value_typeEPNSM_ISH_E10value_typeEPSI_NS1_7vsmem_tEENKUlT_SG_SH_SI_E_clIS7_S7_PlSB_EESF_SV_SG_SH_SI_EUlSV_E1_NS1_11comp_targetILNS1_3genE9ELNS1_11target_archE1100ELNS1_3gpuE3ELNS1_3repE0EEENS1_36merge_oddeven_config_static_selectorELNS0_4arch9wavefront6targetE1EEEvSH_,"axG",@progbits,_ZN7rocprim17ROCPRIM_400000_NS6detail17trampoline_kernelINS0_14default_configENS1_38merge_sort_block_merge_config_selectorIalEEZZNS1_27merge_sort_block_merge_implIS3_PaN6thrust23THRUST_200600_302600_NS10device_ptrIlEEjNS1_19radix_merge_compareILb0ELb1EaNS0_19identity_decomposerEEEEE10hipError_tT0_T1_T2_jT3_P12ihipStream_tbPNSt15iterator_traitsISG_E10value_typeEPNSM_ISH_E10value_typeEPSI_NS1_7vsmem_tEENKUlT_SG_SH_SI_E_clIS7_S7_PlSB_EESF_SV_SG_SH_SI_EUlSV_E1_NS1_11comp_targetILNS1_3genE9ELNS1_11target_archE1100ELNS1_3gpuE3ELNS1_3repE0EEENS1_36merge_oddeven_config_static_selectorELNS0_4arch9wavefront6targetE1EEEvSH_,comdat
	.protected	_ZN7rocprim17ROCPRIM_400000_NS6detail17trampoline_kernelINS0_14default_configENS1_38merge_sort_block_merge_config_selectorIalEEZZNS1_27merge_sort_block_merge_implIS3_PaN6thrust23THRUST_200600_302600_NS10device_ptrIlEEjNS1_19radix_merge_compareILb0ELb1EaNS0_19identity_decomposerEEEEE10hipError_tT0_T1_T2_jT3_P12ihipStream_tbPNSt15iterator_traitsISG_E10value_typeEPNSM_ISH_E10value_typeEPSI_NS1_7vsmem_tEENKUlT_SG_SH_SI_E_clIS7_S7_PlSB_EESF_SV_SG_SH_SI_EUlSV_E1_NS1_11comp_targetILNS1_3genE9ELNS1_11target_archE1100ELNS1_3gpuE3ELNS1_3repE0EEENS1_36merge_oddeven_config_static_selectorELNS0_4arch9wavefront6targetE1EEEvSH_ ; -- Begin function _ZN7rocprim17ROCPRIM_400000_NS6detail17trampoline_kernelINS0_14default_configENS1_38merge_sort_block_merge_config_selectorIalEEZZNS1_27merge_sort_block_merge_implIS3_PaN6thrust23THRUST_200600_302600_NS10device_ptrIlEEjNS1_19radix_merge_compareILb0ELb1EaNS0_19identity_decomposerEEEEE10hipError_tT0_T1_T2_jT3_P12ihipStream_tbPNSt15iterator_traitsISG_E10value_typeEPNSM_ISH_E10value_typeEPSI_NS1_7vsmem_tEENKUlT_SG_SH_SI_E_clIS7_S7_PlSB_EESF_SV_SG_SH_SI_EUlSV_E1_NS1_11comp_targetILNS1_3genE9ELNS1_11target_archE1100ELNS1_3gpuE3ELNS1_3repE0EEENS1_36merge_oddeven_config_static_selectorELNS0_4arch9wavefront6targetE1EEEvSH_
	.globl	_ZN7rocprim17ROCPRIM_400000_NS6detail17trampoline_kernelINS0_14default_configENS1_38merge_sort_block_merge_config_selectorIalEEZZNS1_27merge_sort_block_merge_implIS3_PaN6thrust23THRUST_200600_302600_NS10device_ptrIlEEjNS1_19radix_merge_compareILb0ELb1EaNS0_19identity_decomposerEEEEE10hipError_tT0_T1_T2_jT3_P12ihipStream_tbPNSt15iterator_traitsISG_E10value_typeEPNSM_ISH_E10value_typeEPSI_NS1_7vsmem_tEENKUlT_SG_SH_SI_E_clIS7_S7_PlSB_EESF_SV_SG_SH_SI_EUlSV_E1_NS1_11comp_targetILNS1_3genE9ELNS1_11target_archE1100ELNS1_3gpuE3ELNS1_3repE0EEENS1_36merge_oddeven_config_static_selectorELNS0_4arch9wavefront6targetE1EEEvSH_
	.p2align	8
	.type	_ZN7rocprim17ROCPRIM_400000_NS6detail17trampoline_kernelINS0_14default_configENS1_38merge_sort_block_merge_config_selectorIalEEZZNS1_27merge_sort_block_merge_implIS3_PaN6thrust23THRUST_200600_302600_NS10device_ptrIlEEjNS1_19radix_merge_compareILb0ELb1EaNS0_19identity_decomposerEEEEE10hipError_tT0_T1_T2_jT3_P12ihipStream_tbPNSt15iterator_traitsISG_E10value_typeEPNSM_ISH_E10value_typeEPSI_NS1_7vsmem_tEENKUlT_SG_SH_SI_E_clIS7_S7_PlSB_EESF_SV_SG_SH_SI_EUlSV_E1_NS1_11comp_targetILNS1_3genE9ELNS1_11target_archE1100ELNS1_3gpuE3ELNS1_3repE0EEENS1_36merge_oddeven_config_static_selectorELNS0_4arch9wavefront6targetE1EEEvSH_,@function
_ZN7rocprim17ROCPRIM_400000_NS6detail17trampoline_kernelINS0_14default_configENS1_38merge_sort_block_merge_config_selectorIalEEZZNS1_27merge_sort_block_merge_implIS3_PaN6thrust23THRUST_200600_302600_NS10device_ptrIlEEjNS1_19radix_merge_compareILb0ELb1EaNS0_19identity_decomposerEEEEE10hipError_tT0_T1_T2_jT3_P12ihipStream_tbPNSt15iterator_traitsISG_E10value_typeEPNSM_ISH_E10value_typeEPSI_NS1_7vsmem_tEENKUlT_SG_SH_SI_E_clIS7_S7_PlSB_EESF_SV_SG_SH_SI_EUlSV_E1_NS1_11comp_targetILNS1_3genE9ELNS1_11target_archE1100ELNS1_3gpuE3ELNS1_3repE0EEENS1_36merge_oddeven_config_static_selectorELNS0_4arch9wavefront6targetE1EEEvSH_: ; @_ZN7rocprim17ROCPRIM_400000_NS6detail17trampoline_kernelINS0_14default_configENS1_38merge_sort_block_merge_config_selectorIalEEZZNS1_27merge_sort_block_merge_implIS3_PaN6thrust23THRUST_200600_302600_NS10device_ptrIlEEjNS1_19radix_merge_compareILb0ELb1EaNS0_19identity_decomposerEEEEE10hipError_tT0_T1_T2_jT3_P12ihipStream_tbPNSt15iterator_traitsISG_E10value_typeEPNSM_ISH_E10value_typeEPSI_NS1_7vsmem_tEENKUlT_SG_SH_SI_E_clIS7_S7_PlSB_EESF_SV_SG_SH_SI_EUlSV_E1_NS1_11comp_targetILNS1_3genE9ELNS1_11target_archE1100ELNS1_3gpuE3ELNS1_3repE0EEENS1_36merge_oddeven_config_static_selectorELNS0_4arch9wavefront6targetE1EEEvSH_
; %bb.0:
	.section	.rodata,"a",@progbits
	.p2align	6, 0x0
	.amdhsa_kernel _ZN7rocprim17ROCPRIM_400000_NS6detail17trampoline_kernelINS0_14default_configENS1_38merge_sort_block_merge_config_selectorIalEEZZNS1_27merge_sort_block_merge_implIS3_PaN6thrust23THRUST_200600_302600_NS10device_ptrIlEEjNS1_19radix_merge_compareILb0ELb1EaNS0_19identity_decomposerEEEEE10hipError_tT0_T1_T2_jT3_P12ihipStream_tbPNSt15iterator_traitsISG_E10value_typeEPNSM_ISH_E10value_typeEPSI_NS1_7vsmem_tEENKUlT_SG_SH_SI_E_clIS7_S7_PlSB_EESF_SV_SG_SH_SI_EUlSV_E1_NS1_11comp_targetILNS1_3genE9ELNS1_11target_archE1100ELNS1_3gpuE3ELNS1_3repE0EEENS1_36merge_oddeven_config_static_selectorELNS0_4arch9wavefront6targetE1EEEvSH_
		.amdhsa_group_segment_fixed_size 0
		.amdhsa_private_segment_fixed_size 0
		.amdhsa_kernarg_size 48
		.amdhsa_user_sgpr_count 6
		.amdhsa_user_sgpr_private_segment_buffer 1
		.amdhsa_user_sgpr_dispatch_ptr 0
		.amdhsa_user_sgpr_queue_ptr 0
		.amdhsa_user_sgpr_kernarg_segment_ptr 1
		.amdhsa_user_sgpr_dispatch_id 0
		.amdhsa_user_sgpr_flat_scratch_init 0
		.amdhsa_user_sgpr_private_segment_size 0
		.amdhsa_uses_dynamic_stack 0
		.amdhsa_system_sgpr_private_segment_wavefront_offset 0
		.amdhsa_system_sgpr_workgroup_id_x 1
		.amdhsa_system_sgpr_workgroup_id_y 0
		.amdhsa_system_sgpr_workgroup_id_z 0
		.amdhsa_system_sgpr_workgroup_info 0
		.amdhsa_system_vgpr_workitem_id 0
		.amdhsa_next_free_vgpr 1
		.amdhsa_next_free_sgpr 0
		.amdhsa_reserve_vcc 0
		.amdhsa_reserve_flat_scratch 0
		.amdhsa_float_round_mode_32 0
		.amdhsa_float_round_mode_16_64 0
		.amdhsa_float_denorm_mode_32 3
		.amdhsa_float_denorm_mode_16_64 3
		.amdhsa_dx10_clamp 1
		.amdhsa_ieee_mode 1
		.amdhsa_fp16_overflow 0
		.amdhsa_exception_fp_ieee_invalid_op 0
		.amdhsa_exception_fp_denorm_src 0
		.amdhsa_exception_fp_ieee_div_zero 0
		.amdhsa_exception_fp_ieee_overflow 0
		.amdhsa_exception_fp_ieee_underflow 0
		.amdhsa_exception_fp_ieee_inexact 0
		.amdhsa_exception_int_div_zero 0
	.end_amdhsa_kernel
	.section	.text._ZN7rocprim17ROCPRIM_400000_NS6detail17trampoline_kernelINS0_14default_configENS1_38merge_sort_block_merge_config_selectorIalEEZZNS1_27merge_sort_block_merge_implIS3_PaN6thrust23THRUST_200600_302600_NS10device_ptrIlEEjNS1_19radix_merge_compareILb0ELb1EaNS0_19identity_decomposerEEEEE10hipError_tT0_T1_T2_jT3_P12ihipStream_tbPNSt15iterator_traitsISG_E10value_typeEPNSM_ISH_E10value_typeEPSI_NS1_7vsmem_tEENKUlT_SG_SH_SI_E_clIS7_S7_PlSB_EESF_SV_SG_SH_SI_EUlSV_E1_NS1_11comp_targetILNS1_3genE9ELNS1_11target_archE1100ELNS1_3gpuE3ELNS1_3repE0EEENS1_36merge_oddeven_config_static_selectorELNS0_4arch9wavefront6targetE1EEEvSH_,"axG",@progbits,_ZN7rocprim17ROCPRIM_400000_NS6detail17trampoline_kernelINS0_14default_configENS1_38merge_sort_block_merge_config_selectorIalEEZZNS1_27merge_sort_block_merge_implIS3_PaN6thrust23THRUST_200600_302600_NS10device_ptrIlEEjNS1_19radix_merge_compareILb0ELb1EaNS0_19identity_decomposerEEEEE10hipError_tT0_T1_T2_jT3_P12ihipStream_tbPNSt15iterator_traitsISG_E10value_typeEPNSM_ISH_E10value_typeEPSI_NS1_7vsmem_tEENKUlT_SG_SH_SI_E_clIS7_S7_PlSB_EESF_SV_SG_SH_SI_EUlSV_E1_NS1_11comp_targetILNS1_3genE9ELNS1_11target_archE1100ELNS1_3gpuE3ELNS1_3repE0EEENS1_36merge_oddeven_config_static_selectorELNS0_4arch9wavefront6targetE1EEEvSH_,comdat
.Lfunc_end556:
	.size	_ZN7rocprim17ROCPRIM_400000_NS6detail17trampoline_kernelINS0_14default_configENS1_38merge_sort_block_merge_config_selectorIalEEZZNS1_27merge_sort_block_merge_implIS3_PaN6thrust23THRUST_200600_302600_NS10device_ptrIlEEjNS1_19radix_merge_compareILb0ELb1EaNS0_19identity_decomposerEEEEE10hipError_tT0_T1_T2_jT3_P12ihipStream_tbPNSt15iterator_traitsISG_E10value_typeEPNSM_ISH_E10value_typeEPSI_NS1_7vsmem_tEENKUlT_SG_SH_SI_E_clIS7_S7_PlSB_EESF_SV_SG_SH_SI_EUlSV_E1_NS1_11comp_targetILNS1_3genE9ELNS1_11target_archE1100ELNS1_3gpuE3ELNS1_3repE0EEENS1_36merge_oddeven_config_static_selectorELNS0_4arch9wavefront6targetE1EEEvSH_, .Lfunc_end556-_ZN7rocprim17ROCPRIM_400000_NS6detail17trampoline_kernelINS0_14default_configENS1_38merge_sort_block_merge_config_selectorIalEEZZNS1_27merge_sort_block_merge_implIS3_PaN6thrust23THRUST_200600_302600_NS10device_ptrIlEEjNS1_19radix_merge_compareILb0ELb1EaNS0_19identity_decomposerEEEEE10hipError_tT0_T1_T2_jT3_P12ihipStream_tbPNSt15iterator_traitsISG_E10value_typeEPNSM_ISH_E10value_typeEPSI_NS1_7vsmem_tEENKUlT_SG_SH_SI_E_clIS7_S7_PlSB_EESF_SV_SG_SH_SI_EUlSV_E1_NS1_11comp_targetILNS1_3genE9ELNS1_11target_archE1100ELNS1_3gpuE3ELNS1_3repE0EEENS1_36merge_oddeven_config_static_selectorELNS0_4arch9wavefront6targetE1EEEvSH_
                                        ; -- End function
	.set _ZN7rocprim17ROCPRIM_400000_NS6detail17trampoline_kernelINS0_14default_configENS1_38merge_sort_block_merge_config_selectorIalEEZZNS1_27merge_sort_block_merge_implIS3_PaN6thrust23THRUST_200600_302600_NS10device_ptrIlEEjNS1_19radix_merge_compareILb0ELb1EaNS0_19identity_decomposerEEEEE10hipError_tT0_T1_T2_jT3_P12ihipStream_tbPNSt15iterator_traitsISG_E10value_typeEPNSM_ISH_E10value_typeEPSI_NS1_7vsmem_tEENKUlT_SG_SH_SI_E_clIS7_S7_PlSB_EESF_SV_SG_SH_SI_EUlSV_E1_NS1_11comp_targetILNS1_3genE9ELNS1_11target_archE1100ELNS1_3gpuE3ELNS1_3repE0EEENS1_36merge_oddeven_config_static_selectorELNS0_4arch9wavefront6targetE1EEEvSH_.num_vgpr, 0
	.set _ZN7rocprim17ROCPRIM_400000_NS6detail17trampoline_kernelINS0_14default_configENS1_38merge_sort_block_merge_config_selectorIalEEZZNS1_27merge_sort_block_merge_implIS3_PaN6thrust23THRUST_200600_302600_NS10device_ptrIlEEjNS1_19radix_merge_compareILb0ELb1EaNS0_19identity_decomposerEEEEE10hipError_tT0_T1_T2_jT3_P12ihipStream_tbPNSt15iterator_traitsISG_E10value_typeEPNSM_ISH_E10value_typeEPSI_NS1_7vsmem_tEENKUlT_SG_SH_SI_E_clIS7_S7_PlSB_EESF_SV_SG_SH_SI_EUlSV_E1_NS1_11comp_targetILNS1_3genE9ELNS1_11target_archE1100ELNS1_3gpuE3ELNS1_3repE0EEENS1_36merge_oddeven_config_static_selectorELNS0_4arch9wavefront6targetE1EEEvSH_.num_agpr, 0
	.set _ZN7rocprim17ROCPRIM_400000_NS6detail17trampoline_kernelINS0_14default_configENS1_38merge_sort_block_merge_config_selectorIalEEZZNS1_27merge_sort_block_merge_implIS3_PaN6thrust23THRUST_200600_302600_NS10device_ptrIlEEjNS1_19radix_merge_compareILb0ELb1EaNS0_19identity_decomposerEEEEE10hipError_tT0_T1_T2_jT3_P12ihipStream_tbPNSt15iterator_traitsISG_E10value_typeEPNSM_ISH_E10value_typeEPSI_NS1_7vsmem_tEENKUlT_SG_SH_SI_E_clIS7_S7_PlSB_EESF_SV_SG_SH_SI_EUlSV_E1_NS1_11comp_targetILNS1_3genE9ELNS1_11target_archE1100ELNS1_3gpuE3ELNS1_3repE0EEENS1_36merge_oddeven_config_static_selectorELNS0_4arch9wavefront6targetE1EEEvSH_.numbered_sgpr, 0
	.set _ZN7rocprim17ROCPRIM_400000_NS6detail17trampoline_kernelINS0_14default_configENS1_38merge_sort_block_merge_config_selectorIalEEZZNS1_27merge_sort_block_merge_implIS3_PaN6thrust23THRUST_200600_302600_NS10device_ptrIlEEjNS1_19radix_merge_compareILb0ELb1EaNS0_19identity_decomposerEEEEE10hipError_tT0_T1_T2_jT3_P12ihipStream_tbPNSt15iterator_traitsISG_E10value_typeEPNSM_ISH_E10value_typeEPSI_NS1_7vsmem_tEENKUlT_SG_SH_SI_E_clIS7_S7_PlSB_EESF_SV_SG_SH_SI_EUlSV_E1_NS1_11comp_targetILNS1_3genE9ELNS1_11target_archE1100ELNS1_3gpuE3ELNS1_3repE0EEENS1_36merge_oddeven_config_static_selectorELNS0_4arch9wavefront6targetE1EEEvSH_.num_named_barrier, 0
	.set _ZN7rocprim17ROCPRIM_400000_NS6detail17trampoline_kernelINS0_14default_configENS1_38merge_sort_block_merge_config_selectorIalEEZZNS1_27merge_sort_block_merge_implIS3_PaN6thrust23THRUST_200600_302600_NS10device_ptrIlEEjNS1_19radix_merge_compareILb0ELb1EaNS0_19identity_decomposerEEEEE10hipError_tT0_T1_T2_jT3_P12ihipStream_tbPNSt15iterator_traitsISG_E10value_typeEPNSM_ISH_E10value_typeEPSI_NS1_7vsmem_tEENKUlT_SG_SH_SI_E_clIS7_S7_PlSB_EESF_SV_SG_SH_SI_EUlSV_E1_NS1_11comp_targetILNS1_3genE9ELNS1_11target_archE1100ELNS1_3gpuE3ELNS1_3repE0EEENS1_36merge_oddeven_config_static_selectorELNS0_4arch9wavefront6targetE1EEEvSH_.private_seg_size, 0
	.set _ZN7rocprim17ROCPRIM_400000_NS6detail17trampoline_kernelINS0_14default_configENS1_38merge_sort_block_merge_config_selectorIalEEZZNS1_27merge_sort_block_merge_implIS3_PaN6thrust23THRUST_200600_302600_NS10device_ptrIlEEjNS1_19radix_merge_compareILb0ELb1EaNS0_19identity_decomposerEEEEE10hipError_tT0_T1_T2_jT3_P12ihipStream_tbPNSt15iterator_traitsISG_E10value_typeEPNSM_ISH_E10value_typeEPSI_NS1_7vsmem_tEENKUlT_SG_SH_SI_E_clIS7_S7_PlSB_EESF_SV_SG_SH_SI_EUlSV_E1_NS1_11comp_targetILNS1_3genE9ELNS1_11target_archE1100ELNS1_3gpuE3ELNS1_3repE0EEENS1_36merge_oddeven_config_static_selectorELNS0_4arch9wavefront6targetE1EEEvSH_.uses_vcc, 0
	.set _ZN7rocprim17ROCPRIM_400000_NS6detail17trampoline_kernelINS0_14default_configENS1_38merge_sort_block_merge_config_selectorIalEEZZNS1_27merge_sort_block_merge_implIS3_PaN6thrust23THRUST_200600_302600_NS10device_ptrIlEEjNS1_19radix_merge_compareILb0ELb1EaNS0_19identity_decomposerEEEEE10hipError_tT0_T1_T2_jT3_P12ihipStream_tbPNSt15iterator_traitsISG_E10value_typeEPNSM_ISH_E10value_typeEPSI_NS1_7vsmem_tEENKUlT_SG_SH_SI_E_clIS7_S7_PlSB_EESF_SV_SG_SH_SI_EUlSV_E1_NS1_11comp_targetILNS1_3genE9ELNS1_11target_archE1100ELNS1_3gpuE3ELNS1_3repE0EEENS1_36merge_oddeven_config_static_selectorELNS0_4arch9wavefront6targetE1EEEvSH_.uses_flat_scratch, 0
	.set _ZN7rocprim17ROCPRIM_400000_NS6detail17trampoline_kernelINS0_14default_configENS1_38merge_sort_block_merge_config_selectorIalEEZZNS1_27merge_sort_block_merge_implIS3_PaN6thrust23THRUST_200600_302600_NS10device_ptrIlEEjNS1_19radix_merge_compareILb0ELb1EaNS0_19identity_decomposerEEEEE10hipError_tT0_T1_T2_jT3_P12ihipStream_tbPNSt15iterator_traitsISG_E10value_typeEPNSM_ISH_E10value_typeEPSI_NS1_7vsmem_tEENKUlT_SG_SH_SI_E_clIS7_S7_PlSB_EESF_SV_SG_SH_SI_EUlSV_E1_NS1_11comp_targetILNS1_3genE9ELNS1_11target_archE1100ELNS1_3gpuE3ELNS1_3repE0EEENS1_36merge_oddeven_config_static_selectorELNS0_4arch9wavefront6targetE1EEEvSH_.has_dyn_sized_stack, 0
	.set _ZN7rocprim17ROCPRIM_400000_NS6detail17trampoline_kernelINS0_14default_configENS1_38merge_sort_block_merge_config_selectorIalEEZZNS1_27merge_sort_block_merge_implIS3_PaN6thrust23THRUST_200600_302600_NS10device_ptrIlEEjNS1_19radix_merge_compareILb0ELb1EaNS0_19identity_decomposerEEEEE10hipError_tT0_T1_T2_jT3_P12ihipStream_tbPNSt15iterator_traitsISG_E10value_typeEPNSM_ISH_E10value_typeEPSI_NS1_7vsmem_tEENKUlT_SG_SH_SI_E_clIS7_S7_PlSB_EESF_SV_SG_SH_SI_EUlSV_E1_NS1_11comp_targetILNS1_3genE9ELNS1_11target_archE1100ELNS1_3gpuE3ELNS1_3repE0EEENS1_36merge_oddeven_config_static_selectorELNS0_4arch9wavefront6targetE1EEEvSH_.has_recursion, 0
	.set _ZN7rocprim17ROCPRIM_400000_NS6detail17trampoline_kernelINS0_14default_configENS1_38merge_sort_block_merge_config_selectorIalEEZZNS1_27merge_sort_block_merge_implIS3_PaN6thrust23THRUST_200600_302600_NS10device_ptrIlEEjNS1_19radix_merge_compareILb0ELb1EaNS0_19identity_decomposerEEEEE10hipError_tT0_T1_T2_jT3_P12ihipStream_tbPNSt15iterator_traitsISG_E10value_typeEPNSM_ISH_E10value_typeEPSI_NS1_7vsmem_tEENKUlT_SG_SH_SI_E_clIS7_S7_PlSB_EESF_SV_SG_SH_SI_EUlSV_E1_NS1_11comp_targetILNS1_3genE9ELNS1_11target_archE1100ELNS1_3gpuE3ELNS1_3repE0EEENS1_36merge_oddeven_config_static_selectorELNS0_4arch9wavefront6targetE1EEEvSH_.has_indirect_call, 0
	.section	.AMDGPU.csdata,"",@progbits
; Kernel info:
; codeLenInByte = 0
; TotalNumSgprs: 4
; NumVgprs: 0
; ScratchSize: 0
; MemoryBound: 0
; FloatMode: 240
; IeeeMode: 1
; LDSByteSize: 0 bytes/workgroup (compile time only)
; SGPRBlocks: 0
; VGPRBlocks: 0
; NumSGPRsForWavesPerEU: 4
; NumVGPRsForWavesPerEU: 1
; Occupancy: 10
; WaveLimiterHint : 0
; COMPUTE_PGM_RSRC2:SCRATCH_EN: 0
; COMPUTE_PGM_RSRC2:USER_SGPR: 6
; COMPUTE_PGM_RSRC2:TRAP_HANDLER: 0
; COMPUTE_PGM_RSRC2:TGID_X_EN: 1
; COMPUTE_PGM_RSRC2:TGID_Y_EN: 0
; COMPUTE_PGM_RSRC2:TGID_Z_EN: 0
; COMPUTE_PGM_RSRC2:TIDIG_COMP_CNT: 0
	.section	.text._ZN7rocprim17ROCPRIM_400000_NS6detail17trampoline_kernelINS0_14default_configENS1_38merge_sort_block_merge_config_selectorIalEEZZNS1_27merge_sort_block_merge_implIS3_PaN6thrust23THRUST_200600_302600_NS10device_ptrIlEEjNS1_19radix_merge_compareILb0ELb1EaNS0_19identity_decomposerEEEEE10hipError_tT0_T1_T2_jT3_P12ihipStream_tbPNSt15iterator_traitsISG_E10value_typeEPNSM_ISH_E10value_typeEPSI_NS1_7vsmem_tEENKUlT_SG_SH_SI_E_clIS7_S7_PlSB_EESF_SV_SG_SH_SI_EUlSV_E1_NS1_11comp_targetILNS1_3genE8ELNS1_11target_archE1030ELNS1_3gpuE2ELNS1_3repE0EEENS1_36merge_oddeven_config_static_selectorELNS0_4arch9wavefront6targetE1EEEvSH_,"axG",@progbits,_ZN7rocprim17ROCPRIM_400000_NS6detail17trampoline_kernelINS0_14default_configENS1_38merge_sort_block_merge_config_selectorIalEEZZNS1_27merge_sort_block_merge_implIS3_PaN6thrust23THRUST_200600_302600_NS10device_ptrIlEEjNS1_19radix_merge_compareILb0ELb1EaNS0_19identity_decomposerEEEEE10hipError_tT0_T1_T2_jT3_P12ihipStream_tbPNSt15iterator_traitsISG_E10value_typeEPNSM_ISH_E10value_typeEPSI_NS1_7vsmem_tEENKUlT_SG_SH_SI_E_clIS7_S7_PlSB_EESF_SV_SG_SH_SI_EUlSV_E1_NS1_11comp_targetILNS1_3genE8ELNS1_11target_archE1030ELNS1_3gpuE2ELNS1_3repE0EEENS1_36merge_oddeven_config_static_selectorELNS0_4arch9wavefront6targetE1EEEvSH_,comdat
	.protected	_ZN7rocprim17ROCPRIM_400000_NS6detail17trampoline_kernelINS0_14default_configENS1_38merge_sort_block_merge_config_selectorIalEEZZNS1_27merge_sort_block_merge_implIS3_PaN6thrust23THRUST_200600_302600_NS10device_ptrIlEEjNS1_19radix_merge_compareILb0ELb1EaNS0_19identity_decomposerEEEEE10hipError_tT0_T1_T2_jT3_P12ihipStream_tbPNSt15iterator_traitsISG_E10value_typeEPNSM_ISH_E10value_typeEPSI_NS1_7vsmem_tEENKUlT_SG_SH_SI_E_clIS7_S7_PlSB_EESF_SV_SG_SH_SI_EUlSV_E1_NS1_11comp_targetILNS1_3genE8ELNS1_11target_archE1030ELNS1_3gpuE2ELNS1_3repE0EEENS1_36merge_oddeven_config_static_selectorELNS0_4arch9wavefront6targetE1EEEvSH_ ; -- Begin function _ZN7rocprim17ROCPRIM_400000_NS6detail17trampoline_kernelINS0_14default_configENS1_38merge_sort_block_merge_config_selectorIalEEZZNS1_27merge_sort_block_merge_implIS3_PaN6thrust23THRUST_200600_302600_NS10device_ptrIlEEjNS1_19radix_merge_compareILb0ELb1EaNS0_19identity_decomposerEEEEE10hipError_tT0_T1_T2_jT3_P12ihipStream_tbPNSt15iterator_traitsISG_E10value_typeEPNSM_ISH_E10value_typeEPSI_NS1_7vsmem_tEENKUlT_SG_SH_SI_E_clIS7_S7_PlSB_EESF_SV_SG_SH_SI_EUlSV_E1_NS1_11comp_targetILNS1_3genE8ELNS1_11target_archE1030ELNS1_3gpuE2ELNS1_3repE0EEENS1_36merge_oddeven_config_static_selectorELNS0_4arch9wavefront6targetE1EEEvSH_
	.globl	_ZN7rocprim17ROCPRIM_400000_NS6detail17trampoline_kernelINS0_14default_configENS1_38merge_sort_block_merge_config_selectorIalEEZZNS1_27merge_sort_block_merge_implIS3_PaN6thrust23THRUST_200600_302600_NS10device_ptrIlEEjNS1_19radix_merge_compareILb0ELb1EaNS0_19identity_decomposerEEEEE10hipError_tT0_T1_T2_jT3_P12ihipStream_tbPNSt15iterator_traitsISG_E10value_typeEPNSM_ISH_E10value_typeEPSI_NS1_7vsmem_tEENKUlT_SG_SH_SI_E_clIS7_S7_PlSB_EESF_SV_SG_SH_SI_EUlSV_E1_NS1_11comp_targetILNS1_3genE8ELNS1_11target_archE1030ELNS1_3gpuE2ELNS1_3repE0EEENS1_36merge_oddeven_config_static_selectorELNS0_4arch9wavefront6targetE1EEEvSH_
	.p2align	8
	.type	_ZN7rocprim17ROCPRIM_400000_NS6detail17trampoline_kernelINS0_14default_configENS1_38merge_sort_block_merge_config_selectorIalEEZZNS1_27merge_sort_block_merge_implIS3_PaN6thrust23THRUST_200600_302600_NS10device_ptrIlEEjNS1_19radix_merge_compareILb0ELb1EaNS0_19identity_decomposerEEEEE10hipError_tT0_T1_T2_jT3_P12ihipStream_tbPNSt15iterator_traitsISG_E10value_typeEPNSM_ISH_E10value_typeEPSI_NS1_7vsmem_tEENKUlT_SG_SH_SI_E_clIS7_S7_PlSB_EESF_SV_SG_SH_SI_EUlSV_E1_NS1_11comp_targetILNS1_3genE8ELNS1_11target_archE1030ELNS1_3gpuE2ELNS1_3repE0EEENS1_36merge_oddeven_config_static_selectorELNS0_4arch9wavefront6targetE1EEEvSH_,@function
_ZN7rocprim17ROCPRIM_400000_NS6detail17trampoline_kernelINS0_14default_configENS1_38merge_sort_block_merge_config_selectorIalEEZZNS1_27merge_sort_block_merge_implIS3_PaN6thrust23THRUST_200600_302600_NS10device_ptrIlEEjNS1_19radix_merge_compareILb0ELb1EaNS0_19identity_decomposerEEEEE10hipError_tT0_T1_T2_jT3_P12ihipStream_tbPNSt15iterator_traitsISG_E10value_typeEPNSM_ISH_E10value_typeEPSI_NS1_7vsmem_tEENKUlT_SG_SH_SI_E_clIS7_S7_PlSB_EESF_SV_SG_SH_SI_EUlSV_E1_NS1_11comp_targetILNS1_3genE8ELNS1_11target_archE1030ELNS1_3gpuE2ELNS1_3repE0EEENS1_36merge_oddeven_config_static_selectorELNS0_4arch9wavefront6targetE1EEEvSH_: ; @_ZN7rocprim17ROCPRIM_400000_NS6detail17trampoline_kernelINS0_14default_configENS1_38merge_sort_block_merge_config_selectorIalEEZZNS1_27merge_sort_block_merge_implIS3_PaN6thrust23THRUST_200600_302600_NS10device_ptrIlEEjNS1_19radix_merge_compareILb0ELb1EaNS0_19identity_decomposerEEEEE10hipError_tT0_T1_T2_jT3_P12ihipStream_tbPNSt15iterator_traitsISG_E10value_typeEPNSM_ISH_E10value_typeEPSI_NS1_7vsmem_tEENKUlT_SG_SH_SI_E_clIS7_S7_PlSB_EESF_SV_SG_SH_SI_EUlSV_E1_NS1_11comp_targetILNS1_3genE8ELNS1_11target_archE1030ELNS1_3gpuE2ELNS1_3repE0EEENS1_36merge_oddeven_config_static_selectorELNS0_4arch9wavefront6targetE1EEEvSH_
; %bb.0:
	.section	.rodata,"a",@progbits
	.p2align	6, 0x0
	.amdhsa_kernel _ZN7rocprim17ROCPRIM_400000_NS6detail17trampoline_kernelINS0_14default_configENS1_38merge_sort_block_merge_config_selectorIalEEZZNS1_27merge_sort_block_merge_implIS3_PaN6thrust23THRUST_200600_302600_NS10device_ptrIlEEjNS1_19radix_merge_compareILb0ELb1EaNS0_19identity_decomposerEEEEE10hipError_tT0_T1_T2_jT3_P12ihipStream_tbPNSt15iterator_traitsISG_E10value_typeEPNSM_ISH_E10value_typeEPSI_NS1_7vsmem_tEENKUlT_SG_SH_SI_E_clIS7_S7_PlSB_EESF_SV_SG_SH_SI_EUlSV_E1_NS1_11comp_targetILNS1_3genE8ELNS1_11target_archE1030ELNS1_3gpuE2ELNS1_3repE0EEENS1_36merge_oddeven_config_static_selectorELNS0_4arch9wavefront6targetE1EEEvSH_
		.amdhsa_group_segment_fixed_size 0
		.amdhsa_private_segment_fixed_size 0
		.amdhsa_kernarg_size 48
		.amdhsa_user_sgpr_count 6
		.amdhsa_user_sgpr_private_segment_buffer 1
		.amdhsa_user_sgpr_dispatch_ptr 0
		.amdhsa_user_sgpr_queue_ptr 0
		.amdhsa_user_sgpr_kernarg_segment_ptr 1
		.amdhsa_user_sgpr_dispatch_id 0
		.amdhsa_user_sgpr_flat_scratch_init 0
		.amdhsa_user_sgpr_private_segment_size 0
		.amdhsa_uses_dynamic_stack 0
		.amdhsa_system_sgpr_private_segment_wavefront_offset 0
		.amdhsa_system_sgpr_workgroup_id_x 1
		.amdhsa_system_sgpr_workgroup_id_y 0
		.amdhsa_system_sgpr_workgroup_id_z 0
		.amdhsa_system_sgpr_workgroup_info 0
		.amdhsa_system_vgpr_workitem_id 0
		.amdhsa_next_free_vgpr 1
		.amdhsa_next_free_sgpr 0
		.amdhsa_reserve_vcc 0
		.amdhsa_reserve_flat_scratch 0
		.amdhsa_float_round_mode_32 0
		.amdhsa_float_round_mode_16_64 0
		.amdhsa_float_denorm_mode_32 3
		.amdhsa_float_denorm_mode_16_64 3
		.amdhsa_dx10_clamp 1
		.amdhsa_ieee_mode 1
		.amdhsa_fp16_overflow 0
		.amdhsa_exception_fp_ieee_invalid_op 0
		.amdhsa_exception_fp_denorm_src 0
		.amdhsa_exception_fp_ieee_div_zero 0
		.amdhsa_exception_fp_ieee_overflow 0
		.amdhsa_exception_fp_ieee_underflow 0
		.amdhsa_exception_fp_ieee_inexact 0
		.amdhsa_exception_int_div_zero 0
	.end_amdhsa_kernel
	.section	.text._ZN7rocprim17ROCPRIM_400000_NS6detail17trampoline_kernelINS0_14default_configENS1_38merge_sort_block_merge_config_selectorIalEEZZNS1_27merge_sort_block_merge_implIS3_PaN6thrust23THRUST_200600_302600_NS10device_ptrIlEEjNS1_19radix_merge_compareILb0ELb1EaNS0_19identity_decomposerEEEEE10hipError_tT0_T1_T2_jT3_P12ihipStream_tbPNSt15iterator_traitsISG_E10value_typeEPNSM_ISH_E10value_typeEPSI_NS1_7vsmem_tEENKUlT_SG_SH_SI_E_clIS7_S7_PlSB_EESF_SV_SG_SH_SI_EUlSV_E1_NS1_11comp_targetILNS1_3genE8ELNS1_11target_archE1030ELNS1_3gpuE2ELNS1_3repE0EEENS1_36merge_oddeven_config_static_selectorELNS0_4arch9wavefront6targetE1EEEvSH_,"axG",@progbits,_ZN7rocprim17ROCPRIM_400000_NS6detail17trampoline_kernelINS0_14default_configENS1_38merge_sort_block_merge_config_selectorIalEEZZNS1_27merge_sort_block_merge_implIS3_PaN6thrust23THRUST_200600_302600_NS10device_ptrIlEEjNS1_19radix_merge_compareILb0ELb1EaNS0_19identity_decomposerEEEEE10hipError_tT0_T1_T2_jT3_P12ihipStream_tbPNSt15iterator_traitsISG_E10value_typeEPNSM_ISH_E10value_typeEPSI_NS1_7vsmem_tEENKUlT_SG_SH_SI_E_clIS7_S7_PlSB_EESF_SV_SG_SH_SI_EUlSV_E1_NS1_11comp_targetILNS1_3genE8ELNS1_11target_archE1030ELNS1_3gpuE2ELNS1_3repE0EEENS1_36merge_oddeven_config_static_selectorELNS0_4arch9wavefront6targetE1EEEvSH_,comdat
.Lfunc_end557:
	.size	_ZN7rocprim17ROCPRIM_400000_NS6detail17trampoline_kernelINS0_14default_configENS1_38merge_sort_block_merge_config_selectorIalEEZZNS1_27merge_sort_block_merge_implIS3_PaN6thrust23THRUST_200600_302600_NS10device_ptrIlEEjNS1_19radix_merge_compareILb0ELb1EaNS0_19identity_decomposerEEEEE10hipError_tT0_T1_T2_jT3_P12ihipStream_tbPNSt15iterator_traitsISG_E10value_typeEPNSM_ISH_E10value_typeEPSI_NS1_7vsmem_tEENKUlT_SG_SH_SI_E_clIS7_S7_PlSB_EESF_SV_SG_SH_SI_EUlSV_E1_NS1_11comp_targetILNS1_3genE8ELNS1_11target_archE1030ELNS1_3gpuE2ELNS1_3repE0EEENS1_36merge_oddeven_config_static_selectorELNS0_4arch9wavefront6targetE1EEEvSH_, .Lfunc_end557-_ZN7rocprim17ROCPRIM_400000_NS6detail17trampoline_kernelINS0_14default_configENS1_38merge_sort_block_merge_config_selectorIalEEZZNS1_27merge_sort_block_merge_implIS3_PaN6thrust23THRUST_200600_302600_NS10device_ptrIlEEjNS1_19radix_merge_compareILb0ELb1EaNS0_19identity_decomposerEEEEE10hipError_tT0_T1_T2_jT3_P12ihipStream_tbPNSt15iterator_traitsISG_E10value_typeEPNSM_ISH_E10value_typeEPSI_NS1_7vsmem_tEENKUlT_SG_SH_SI_E_clIS7_S7_PlSB_EESF_SV_SG_SH_SI_EUlSV_E1_NS1_11comp_targetILNS1_3genE8ELNS1_11target_archE1030ELNS1_3gpuE2ELNS1_3repE0EEENS1_36merge_oddeven_config_static_selectorELNS0_4arch9wavefront6targetE1EEEvSH_
                                        ; -- End function
	.set _ZN7rocprim17ROCPRIM_400000_NS6detail17trampoline_kernelINS0_14default_configENS1_38merge_sort_block_merge_config_selectorIalEEZZNS1_27merge_sort_block_merge_implIS3_PaN6thrust23THRUST_200600_302600_NS10device_ptrIlEEjNS1_19radix_merge_compareILb0ELb1EaNS0_19identity_decomposerEEEEE10hipError_tT0_T1_T2_jT3_P12ihipStream_tbPNSt15iterator_traitsISG_E10value_typeEPNSM_ISH_E10value_typeEPSI_NS1_7vsmem_tEENKUlT_SG_SH_SI_E_clIS7_S7_PlSB_EESF_SV_SG_SH_SI_EUlSV_E1_NS1_11comp_targetILNS1_3genE8ELNS1_11target_archE1030ELNS1_3gpuE2ELNS1_3repE0EEENS1_36merge_oddeven_config_static_selectorELNS0_4arch9wavefront6targetE1EEEvSH_.num_vgpr, 0
	.set _ZN7rocprim17ROCPRIM_400000_NS6detail17trampoline_kernelINS0_14default_configENS1_38merge_sort_block_merge_config_selectorIalEEZZNS1_27merge_sort_block_merge_implIS3_PaN6thrust23THRUST_200600_302600_NS10device_ptrIlEEjNS1_19radix_merge_compareILb0ELb1EaNS0_19identity_decomposerEEEEE10hipError_tT0_T1_T2_jT3_P12ihipStream_tbPNSt15iterator_traitsISG_E10value_typeEPNSM_ISH_E10value_typeEPSI_NS1_7vsmem_tEENKUlT_SG_SH_SI_E_clIS7_S7_PlSB_EESF_SV_SG_SH_SI_EUlSV_E1_NS1_11comp_targetILNS1_3genE8ELNS1_11target_archE1030ELNS1_3gpuE2ELNS1_3repE0EEENS1_36merge_oddeven_config_static_selectorELNS0_4arch9wavefront6targetE1EEEvSH_.num_agpr, 0
	.set _ZN7rocprim17ROCPRIM_400000_NS6detail17trampoline_kernelINS0_14default_configENS1_38merge_sort_block_merge_config_selectorIalEEZZNS1_27merge_sort_block_merge_implIS3_PaN6thrust23THRUST_200600_302600_NS10device_ptrIlEEjNS1_19radix_merge_compareILb0ELb1EaNS0_19identity_decomposerEEEEE10hipError_tT0_T1_T2_jT3_P12ihipStream_tbPNSt15iterator_traitsISG_E10value_typeEPNSM_ISH_E10value_typeEPSI_NS1_7vsmem_tEENKUlT_SG_SH_SI_E_clIS7_S7_PlSB_EESF_SV_SG_SH_SI_EUlSV_E1_NS1_11comp_targetILNS1_3genE8ELNS1_11target_archE1030ELNS1_3gpuE2ELNS1_3repE0EEENS1_36merge_oddeven_config_static_selectorELNS0_4arch9wavefront6targetE1EEEvSH_.numbered_sgpr, 0
	.set _ZN7rocprim17ROCPRIM_400000_NS6detail17trampoline_kernelINS0_14default_configENS1_38merge_sort_block_merge_config_selectorIalEEZZNS1_27merge_sort_block_merge_implIS3_PaN6thrust23THRUST_200600_302600_NS10device_ptrIlEEjNS1_19radix_merge_compareILb0ELb1EaNS0_19identity_decomposerEEEEE10hipError_tT0_T1_T2_jT3_P12ihipStream_tbPNSt15iterator_traitsISG_E10value_typeEPNSM_ISH_E10value_typeEPSI_NS1_7vsmem_tEENKUlT_SG_SH_SI_E_clIS7_S7_PlSB_EESF_SV_SG_SH_SI_EUlSV_E1_NS1_11comp_targetILNS1_3genE8ELNS1_11target_archE1030ELNS1_3gpuE2ELNS1_3repE0EEENS1_36merge_oddeven_config_static_selectorELNS0_4arch9wavefront6targetE1EEEvSH_.num_named_barrier, 0
	.set _ZN7rocprim17ROCPRIM_400000_NS6detail17trampoline_kernelINS0_14default_configENS1_38merge_sort_block_merge_config_selectorIalEEZZNS1_27merge_sort_block_merge_implIS3_PaN6thrust23THRUST_200600_302600_NS10device_ptrIlEEjNS1_19radix_merge_compareILb0ELb1EaNS0_19identity_decomposerEEEEE10hipError_tT0_T1_T2_jT3_P12ihipStream_tbPNSt15iterator_traitsISG_E10value_typeEPNSM_ISH_E10value_typeEPSI_NS1_7vsmem_tEENKUlT_SG_SH_SI_E_clIS7_S7_PlSB_EESF_SV_SG_SH_SI_EUlSV_E1_NS1_11comp_targetILNS1_3genE8ELNS1_11target_archE1030ELNS1_3gpuE2ELNS1_3repE0EEENS1_36merge_oddeven_config_static_selectorELNS0_4arch9wavefront6targetE1EEEvSH_.private_seg_size, 0
	.set _ZN7rocprim17ROCPRIM_400000_NS6detail17trampoline_kernelINS0_14default_configENS1_38merge_sort_block_merge_config_selectorIalEEZZNS1_27merge_sort_block_merge_implIS3_PaN6thrust23THRUST_200600_302600_NS10device_ptrIlEEjNS1_19radix_merge_compareILb0ELb1EaNS0_19identity_decomposerEEEEE10hipError_tT0_T1_T2_jT3_P12ihipStream_tbPNSt15iterator_traitsISG_E10value_typeEPNSM_ISH_E10value_typeEPSI_NS1_7vsmem_tEENKUlT_SG_SH_SI_E_clIS7_S7_PlSB_EESF_SV_SG_SH_SI_EUlSV_E1_NS1_11comp_targetILNS1_3genE8ELNS1_11target_archE1030ELNS1_3gpuE2ELNS1_3repE0EEENS1_36merge_oddeven_config_static_selectorELNS0_4arch9wavefront6targetE1EEEvSH_.uses_vcc, 0
	.set _ZN7rocprim17ROCPRIM_400000_NS6detail17trampoline_kernelINS0_14default_configENS1_38merge_sort_block_merge_config_selectorIalEEZZNS1_27merge_sort_block_merge_implIS3_PaN6thrust23THRUST_200600_302600_NS10device_ptrIlEEjNS1_19radix_merge_compareILb0ELb1EaNS0_19identity_decomposerEEEEE10hipError_tT0_T1_T2_jT3_P12ihipStream_tbPNSt15iterator_traitsISG_E10value_typeEPNSM_ISH_E10value_typeEPSI_NS1_7vsmem_tEENKUlT_SG_SH_SI_E_clIS7_S7_PlSB_EESF_SV_SG_SH_SI_EUlSV_E1_NS1_11comp_targetILNS1_3genE8ELNS1_11target_archE1030ELNS1_3gpuE2ELNS1_3repE0EEENS1_36merge_oddeven_config_static_selectorELNS0_4arch9wavefront6targetE1EEEvSH_.uses_flat_scratch, 0
	.set _ZN7rocprim17ROCPRIM_400000_NS6detail17trampoline_kernelINS0_14default_configENS1_38merge_sort_block_merge_config_selectorIalEEZZNS1_27merge_sort_block_merge_implIS3_PaN6thrust23THRUST_200600_302600_NS10device_ptrIlEEjNS1_19radix_merge_compareILb0ELb1EaNS0_19identity_decomposerEEEEE10hipError_tT0_T1_T2_jT3_P12ihipStream_tbPNSt15iterator_traitsISG_E10value_typeEPNSM_ISH_E10value_typeEPSI_NS1_7vsmem_tEENKUlT_SG_SH_SI_E_clIS7_S7_PlSB_EESF_SV_SG_SH_SI_EUlSV_E1_NS1_11comp_targetILNS1_3genE8ELNS1_11target_archE1030ELNS1_3gpuE2ELNS1_3repE0EEENS1_36merge_oddeven_config_static_selectorELNS0_4arch9wavefront6targetE1EEEvSH_.has_dyn_sized_stack, 0
	.set _ZN7rocprim17ROCPRIM_400000_NS6detail17trampoline_kernelINS0_14default_configENS1_38merge_sort_block_merge_config_selectorIalEEZZNS1_27merge_sort_block_merge_implIS3_PaN6thrust23THRUST_200600_302600_NS10device_ptrIlEEjNS1_19radix_merge_compareILb0ELb1EaNS0_19identity_decomposerEEEEE10hipError_tT0_T1_T2_jT3_P12ihipStream_tbPNSt15iterator_traitsISG_E10value_typeEPNSM_ISH_E10value_typeEPSI_NS1_7vsmem_tEENKUlT_SG_SH_SI_E_clIS7_S7_PlSB_EESF_SV_SG_SH_SI_EUlSV_E1_NS1_11comp_targetILNS1_3genE8ELNS1_11target_archE1030ELNS1_3gpuE2ELNS1_3repE0EEENS1_36merge_oddeven_config_static_selectorELNS0_4arch9wavefront6targetE1EEEvSH_.has_recursion, 0
	.set _ZN7rocprim17ROCPRIM_400000_NS6detail17trampoline_kernelINS0_14default_configENS1_38merge_sort_block_merge_config_selectorIalEEZZNS1_27merge_sort_block_merge_implIS3_PaN6thrust23THRUST_200600_302600_NS10device_ptrIlEEjNS1_19radix_merge_compareILb0ELb1EaNS0_19identity_decomposerEEEEE10hipError_tT0_T1_T2_jT3_P12ihipStream_tbPNSt15iterator_traitsISG_E10value_typeEPNSM_ISH_E10value_typeEPSI_NS1_7vsmem_tEENKUlT_SG_SH_SI_E_clIS7_S7_PlSB_EESF_SV_SG_SH_SI_EUlSV_E1_NS1_11comp_targetILNS1_3genE8ELNS1_11target_archE1030ELNS1_3gpuE2ELNS1_3repE0EEENS1_36merge_oddeven_config_static_selectorELNS0_4arch9wavefront6targetE1EEEvSH_.has_indirect_call, 0
	.section	.AMDGPU.csdata,"",@progbits
; Kernel info:
; codeLenInByte = 0
; TotalNumSgprs: 4
; NumVgprs: 0
; ScratchSize: 0
; MemoryBound: 0
; FloatMode: 240
; IeeeMode: 1
; LDSByteSize: 0 bytes/workgroup (compile time only)
; SGPRBlocks: 0
; VGPRBlocks: 0
; NumSGPRsForWavesPerEU: 4
; NumVGPRsForWavesPerEU: 1
; Occupancy: 10
; WaveLimiterHint : 0
; COMPUTE_PGM_RSRC2:SCRATCH_EN: 0
; COMPUTE_PGM_RSRC2:USER_SGPR: 6
; COMPUTE_PGM_RSRC2:TRAP_HANDLER: 0
; COMPUTE_PGM_RSRC2:TGID_X_EN: 1
; COMPUTE_PGM_RSRC2:TGID_Y_EN: 0
; COMPUTE_PGM_RSRC2:TGID_Z_EN: 0
; COMPUTE_PGM_RSRC2:TIDIG_COMP_CNT: 0
	.section	.text._ZN7rocprim17ROCPRIM_400000_NS6detail17trampoline_kernelINS0_14default_configENS1_38merge_sort_block_merge_config_selectorIalEEZZNS1_27merge_sort_block_merge_implIS3_PaN6thrust23THRUST_200600_302600_NS10device_ptrIlEEjNS1_19radix_merge_compareILb0ELb1EaNS0_19identity_decomposerEEEEE10hipError_tT0_T1_T2_jT3_P12ihipStream_tbPNSt15iterator_traitsISG_E10value_typeEPNSM_ISH_E10value_typeEPSI_NS1_7vsmem_tEENKUlT_SG_SH_SI_E_clIS7_S7_SB_PlEESF_SV_SG_SH_SI_EUlSV_E_NS1_11comp_targetILNS1_3genE0ELNS1_11target_archE4294967295ELNS1_3gpuE0ELNS1_3repE0EEENS1_48merge_mergepath_partition_config_static_selectorELNS0_4arch9wavefront6targetE1EEEvSH_,"axG",@progbits,_ZN7rocprim17ROCPRIM_400000_NS6detail17trampoline_kernelINS0_14default_configENS1_38merge_sort_block_merge_config_selectorIalEEZZNS1_27merge_sort_block_merge_implIS3_PaN6thrust23THRUST_200600_302600_NS10device_ptrIlEEjNS1_19radix_merge_compareILb0ELb1EaNS0_19identity_decomposerEEEEE10hipError_tT0_T1_T2_jT3_P12ihipStream_tbPNSt15iterator_traitsISG_E10value_typeEPNSM_ISH_E10value_typeEPSI_NS1_7vsmem_tEENKUlT_SG_SH_SI_E_clIS7_S7_SB_PlEESF_SV_SG_SH_SI_EUlSV_E_NS1_11comp_targetILNS1_3genE0ELNS1_11target_archE4294967295ELNS1_3gpuE0ELNS1_3repE0EEENS1_48merge_mergepath_partition_config_static_selectorELNS0_4arch9wavefront6targetE1EEEvSH_,comdat
	.protected	_ZN7rocprim17ROCPRIM_400000_NS6detail17trampoline_kernelINS0_14default_configENS1_38merge_sort_block_merge_config_selectorIalEEZZNS1_27merge_sort_block_merge_implIS3_PaN6thrust23THRUST_200600_302600_NS10device_ptrIlEEjNS1_19radix_merge_compareILb0ELb1EaNS0_19identity_decomposerEEEEE10hipError_tT0_T1_T2_jT3_P12ihipStream_tbPNSt15iterator_traitsISG_E10value_typeEPNSM_ISH_E10value_typeEPSI_NS1_7vsmem_tEENKUlT_SG_SH_SI_E_clIS7_S7_SB_PlEESF_SV_SG_SH_SI_EUlSV_E_NS1_11comp_targetILNS1_3genE0ELNS1_11target_archE4294967295ELNS1_3gpuE0ELNS1_3repE0EEENS1_48merge_mergepath_partition_config_static_selectorELNS0_4arch9wavefront6targetE1EEEvSH_ ; -- Begin function _ZN7rocprim17ROCPRIM_400000_NS6detail17trampoline_kernelINS0_14default_configENS1_38merge_sort_block_merge_config_selectorIalEEZZNS1_27merge_sort_block_merge_implIS3_PaN6thrust23THRUST_200600_302600_NS10device_ptrIlEEjNS1_19radix_merge_compareILb0ELb1EaNS0_19identity_decomposerEEEEE10hipError_tT0_T1_T2_jT3_P12ihipStream_tbPNSt15iterator_traitsISG_E10value_typeEPNSM_ISH_E10value_typeEPSI_NS1_7vsmem_tEENKUlT_SG_SH_SI_E_clIS7_S7_SB_PlEESF_SV_SG_SH_SI_EUlSV_E_NS1_11comp_targetILNS1_3genE0ELNS1_11target_archE4294967295ELNS1_3gpuE0ELNS1_3repE0EEENS1_48merge_mergepath_partition_config_static_selectorELNS0_4arch9wavefront6targetE1EEEvSH_
	.globl	_ZN7rocprim17ROCPRIM_400000_NS6detail17trampoline_kernelINS0_14default_configENS1_38merge_sort_block_merge_config_selectorIalEEZZNS1_27merge_sort_block_merge_implIS3_PaN6thrust23THRUST_200600_302600_NS10device_ptrIlEEjNS1_19radix_merge_compareILb0ELb1EaNS0_19identity_decomposerEEEEE10hipError_tT0_T1_T2_jT3_P12ihipStream_tbPNSt15iterator_traitsISG_E10value_typeEPNSM_ISH_E10value_typeEPSI_NS1_7vsmem_tEENKUlT_SG_SH_SI_E_clIS7_S7_SB_PlEESF_SV_SG_SH_SI_EUlSV_E_NS1_11comp_targetILNS1_3genE0ELNS1_11target_archE4294967295ELNS1_3gpuE0ELNS1_3repE0EEENS1_48merge_mergepath_partition_config_static_selectorELNS0_4arch9wavefront6targetE1EEEvSH_
	.p2align	8
	.type	_ZN7rocprim17ROCPRIM_400000_NS6detail17trampoline_kernelINS0_14default_configENS1_38merge_sort_block_merge_config_selectorIalEEZZNS1_27merge_sort_block_merge_implIS3_PaN6thrust23THRUST_200600_302600_NS10device_ptrIlEEjNS1_19radix_merge_compareILb0ELb1EaNS0_19identity_decomposerEEEEE10hipError_tT0_T1_T2_jT3_P12ihipStream_tbPNSt15iterator_traitsISG_E10value_typeEPNSM_ISH_E10value_typeEPSI_NS1_7vsmem_tEENKUlT_SG_SH_SI_E_clIS7_S7_SB_PlEESF_SV_SG_SH_SI_EUlSV_E_NS1_11comp_targetILNS1_3genE0ELNS1_11target_archE4294967295ELNS1_3gpuE0ELNS1_3repE0EEENS1_48merge_mergepath_partition_config_static_selectorELNS0_4arch9wavefront6targetE1EEEvSH_,@function
_ZN7rocprim17ROCPRIM_400000_NS6detail17trampoline_kernelINS0_14default_configENS1_38merge_sort_block_merge_config_selectorIalEEZZNS1_27merge_sort_block_merge_implIS3_PaN6thrust23THRUST_200600_302600_NS10device_ptrIlEEjNS1_19radix_merge_compareILb0ELb1EaNS0_19identity_decomposerEEEEE10hipError_tT0_T1_T2_jT3_P12ihipStream_tbPNSt15iterator_traitsISG_E10value_typeEPNSM_ISH_E10value_typeEPSI_NS1_7vsmem_tEENKUlT_SG_SH_SI_E_clIS7_S7_SB_PlEESF_SV_SG_SH_SI_EUlSV_E_NS1_11comp_targetILNS1_3genE0ELNS1_11target_archE4294967295ELNS1_3gpuE0ELNS1_3repE0EEENS1_48merge_mergepath_partition_config_static_selectorELNS0_4arch9wavefront6targetE1EEEvSH_: ; @_ZN7rocprim17ROCPRIM_400000_NS6detail17trampoline_kernelINS0_14default_configENS1_38merge_sort_block_merge_config_selectorIalEEZZNS1_27merge_sort_block_merge_implIS3_PaN6thrust23THRUST_200600_302600_NS10device_ptrIlEEjNS1_19radix_merge_compareILb0ELb1EaNS0_19identity_decomposerEEEEE10hipError_tT0_T1_T2_jT3_P12ihipStream_tbPNSt15iterator_traitsISG_E10value_typeEPNSM_ISH_E10value_typeEPSI_NS1_7vsmem_tEENKUlT_SG_SH_SI_E_clIS7_S7_SB_PlEESF_SV_SG_SH_SI_EUlSV_E_NS1_11comp_targetILNS1_3genE0ELNS1_11target_archE4294967295ELNS1_3gpuE0ELNS1_3repE0EEENS1_48merge_mergepath_partition_config_static_selectorELNS0_4arch9wavefront6targetE1EEEvSH_
; %bb.0:
	.section	.rodata,"a",@progbits
	.p2align	6, 0x0
	.amdhsa_kernel _ZN7rocprim17ROCPRIM_400000_NS6detail17trampoline_kernelINS0_14default_configENS1_38merge_sort_block_merge_config_selectorIalEEZZNS1_27merge_sort_block_merge_implIS3_PaN6thrust23THRUST_200600_302600_NS10device_ptrIlEEjNS1_19radix_merge_compareILb0ELb1EaNS0_19identity_decomposerEEEEE10hipError_tT0_T1_T2_jT3_P12ihipStream_tbPNSt15iterator_traitsISG_E10value_typeEPNSM_ISH_E10value_typeEPSI_NS1_7vsmem_tEENKUlT_SG_SH_SI_E_clIS7_S7_SB_PlEESF_SV_SG_SH_SI_EUlSV_E_NS1_11comp_targetILNS1_3genE0ELNS1_11target_archE4294967295ELNS1_3gpuE0ELNS1_3repE0EEENS1_48merge_mergepath_partition_config_static_selectorELNS0_4arch9wavefront6targetE1EEEvSH_
		.amdhsa_group_segment_fixed_size 0
		.amdhsa_private_segment_fixed_size 0
		.amdhsa_kernarg_size 40
		.amdhsa_user_sgpr_count 6
		.amdhsa_user_sgpr_private_segment_buffer 1
		.amdhsa_user_sgpr_dispatch_ptr 0
		.amdhsa_user_sgpr_queue_ptr 0
		.amdhsa_user_sgpr_kernarg_segment_ptr 1
		.amdhsa_user_sgpr_dispatch_id 0
		.amdhsa_user_sgpr_flat_scratch_init 0
		.amdhsa_user_sgpr_private_segment_size 0
		.amdhsa_uses_dynamic_stack 0
		.amdhsa_system_sgpr_private_segment_wavefront_offset 0
		.amdhsa_system_sgpr_workgroup_id_x 1
		.amdhsa_system_sgpr_workgroup_id_y 0
		.amdhsa_system_sgpr_workgroup_id_z 0
		.amdhsa_system_sgpr_workgroup_info 0
		.amdhsa_system_vgpr_workitem_id 0
		.amdhsa_next_free_vgpr 1
		.amdhsa_next_free_sgpr 0
		.amdhsa_reserve_vcc 0
		.amdhsa_reserve_flat_scratch 0
		.amdhsa_float_round_mode_32 0
		.amdhsa_float_round_mode_16_64 0
		.amdhsa_float_denorm_mode_32 3
		.amdhsa_float_denorm_mode_16_64 3
		.amdhsa_dx10_clamp 1
		.amdhsa_ieee_mode 1
		.amdhsa_fp16_overflow 0
		.amdhsa_exception_fp_ieee_invalid_op 0
		.amdhsa_exception_fp_denorm_src 0
		.amdhsa_exception_fp_ieee_div_zero 0
		.amdhsa_exception_fp_ieee_overflow 0
		.amdhsa_exception_fp_ieee_underflow 0
		.amdhsa_exception_fp_ieee_inexact 0
		.amdhsa_exception_int_div_zero 0
	.end_amdhsa_kernel
	.section	.text._ZN7rocprim17ROCPRIM_400000_NS6detail17trampoline_kernelINS0_14default_configENS1_38merge_sort_block_merge_config_selectorIalEEZZNS1_27merge_sort_block_merge_implIS3_PaN6thrust23THRUST_200600_302600_NS10device_ptrIlEEjNS1_19radix_merge_compareILb0ELb1EaNS0_19identity_decomposerEEEEE10hipError_tT0_T1_T2_jT3_P12ihipStream_tbPNSt15iterator_traitsISG_E10value_typeEPNSM_ISH_E10value_typeEPSI_NS1_7vsmem_tEENKUlT_SG_SH_SI_E_clIS7_S7_SB_PlEESF_SV_SG_SH_SI_EUlSV_E_NS1_11comp_targetILNS1_3genE0ELNS1_11target_archE4294967295ELNS1_3gpuE0ELNS1_3repE0EEENS1_48merge_mergepath_partition_config_static_selectorELNS0_4arch9wavefront6targetE1EEEvSH_,"axG",@progbits,_ZN7rocprim17ROCPRIM_400000_NS6detail17trampoline_kernelINS0_14default_configENS1_38merge_sort_block_merge_config_selectorIalEEZZNS1_27merge_sort_block_merge_implIS3_PaN6thrust23THRUST_200600_302600_NS10device_ptrIlEEjNS1_19radix_merge_compareILb0ELb1EaNS0_19identity_decomposerEEEEE10hipError_tT0_T1_T2_jT3_P12ihipStream_tbPNSt15iterator_traitsISG_E10value_typeEPNSM_ISH_E10value_typeEPSI_NS1_7vsmem_tEENKUlT_SG_SH_SI_E_clIS7_S7_SB_PlEESF_SV_SG_SH_SI_EUlSV_E_NS1_11comp_targetILNS1_3genE0ELNS1_11target_archE4294967295ELNS1_3gpuE0ELNS1_3repE0EEENS1_48merge_mergepath_partition_config_static_selectorELNS0_4arch9wavefront6targetE1EEEvSH_,comdat
.Lfunc_end558:
	.size	_ZN7rocprim17ROCPRIM_400000_NS6detail17trampoline_kernelINS0_14default_configENS1_38merge_sort_block_merge_config_selectorIalEEZZNS1_27merge_sort_block_merge_implIS3_PaN6thrust23THRUST_200600_302600_NS10device_ptrIlEEjNS1_19radix_merge_compareILb0ELb1EaNS0_19identity_decomposerEEEEE10hipError_tT0_T1_T2_jT3_P12ihipStream_tbPNSt15iterator_traitsISG_E10value_typeEPNSM_ISH_E10value_typeEPSI_NS1_7vsmem_tEENKUlT_SG_SH_SI_E_clIS7_S7_SB_PlEESF_SV_SG_SH_SI_EUlSV_E_NS1_11comp_targetILNS1_3genE0ELNS1_11target_archE4294967295ELNS1_3gpuE0ELNS1_3repE0EEENS1_48merge_mergepath_partition_config_static_selectorELNS0_4arch9wavefront6targetE1EEEvSH_, .Lfunc_end558-_ZN7rocprim17ROCPRIM_400000_NS6detail17trampoline_kernelINS0_14default_configENS1_38merge_sort_block_merge_config_selectorIalEEZZNS1_27merge_sort_block_merge_implIS3_PaN6thrust23THRUST_200600_302600_NS10device_ptrIlEEjNS1_19radix_merge_compareILb0ELb1EaNS0_19identity_decomposerEEEEE10hipError_tT0_T1_T2_jT3_P12ihipStream_tbPNSt15iterator_traitsISG_E10value_typeEPNSM_ISH_E10value_typeEPSI_NS1_7vsmem_tEENKUlT_SG_SH_SI_E_clIS7_S7_SB_PlEESF_SV_SG_SH_SI_EUlSV_E_NS1_11comp_targetILNS1_3genE0ELNS1_11target_archE4294967295ELNS1_3gpuE0ELNS1_3repE0EEENS1_48merge_mergepath_partition_config_static_selectorELNS0_4arch9wavefront6targetE1EEEvSH_
                                        ; -- End function
	.set _ZN7rocprim17ROCPRIM_400000_NS6detail17trampoline_kernelINS0_14default_configENS1_38merge_sort_block_merge_config_selectorIalEEZZNS1_27merge_sort_block_merge_implIS3_PaN6thrust23THRUST_200600_302600_NS10device_ptrIlEEjNS1_19radix_merge_compareILb0ELb1EaNS0_19identity_decomposerEEEEE10hipError_tT0_T1_T2_jT3_P12ihipStream_tbPNSt15iterator_traitsISG_E10value_typeEPNSM_ISH_E10value_typeEPSI_NS1_7vsmem_tEENKUlT_SG_SH_SI_E_clIS7_S7_SB_PlEESF_SV_SG_SH_SI_EUlSV_E_NS1_11comp_targetILNS1_3genE0ELNS1_11target_archE4294967295ELNS1_3gpuE0ELNS1_3repE0EEENS1_48merge_mergepath_partition_config_static_selectorELNS0_4arch9wavefront6targetE1EEEvSH_.num_vgpr, 0
	.set _ZN7rocprim17ROCPRIM_400000_NS6detail17trampoline_kernelINS0_14default_configENS1_38merge_sort_block_merge_config_selectorIalEEZZNS1_27merge_sort_block_merge_implIS3_PaN6thrust23THRUST_200600_302600_NS10device_ptrIlEEjNS1_19radix_merge_compareILb0ELb1EaNS0_19identity_decomposerEEEEE10hipError_tT0_T1_T2_jT3_P12ihipStream_tbPNSt15iterator_traitsISG_E10value_typeEPNSM_ISH_E10value_typeEPSI_NS1_7vsmem_tEENKUlT_SG_SH_SI_E_clIS7_S7_SB_PlEESF_SV_SG_SH_SI_EUlSV_E_NS1_11comp_targetILNS1_3genE0ELNS1_11target_archE4294967295ELNS1_3gpuE0ELNS1_3repE0EEENS1_48merge_mergepath_partition_config_static_selectorELNS0_4arch9wavefront6targetE1EEEvSH_.num_agpr, 0
	.set _ZN7rocprim17ROCPRIM_400000_NS6detail17trampoline_kernelINS0_14default_configENS1_38merge_sort_block_merge_config_selectorIalEEZZNS1_27merge_sort_block_merge_implIS3_PaN6thrust23THRUST_200600_302600_NS10device_ptrIlEEjNS1_19radix_merge_compareILb0ELb1EaNS0_19identity_decomposerEEEEE10hipError_tT0_T1_T2_jT3_P12ihipStream_tbPNSt15iterator_traitsISG_E10value_typeEPNSM_ISH_E10value_typeEPSI_NS1_7vsmem_tEENKUlT_SG_SH_SI_E_clIS7_S7_SB_PlEESF_SV_SG_SH_SI_EUlSV_E_NS1_11comp_targetILNS1_3genE0ELNS1_11target_archE4294967295ELNS1_3gpuE0ELNS1_3repE0EEENS1_48merge_mergepath_partition_config_static_selectorELNS0_4arch9wavefront6targetE1EEEvSH_.numbered_sgpr, 0
	.set _ZN7rocprim17ROCPRIM_400000_NS6detail17trampoline_kernelINS0_14default_configENS1_38merge_sort_block_merge_config_selectorIalEEZZNS1_27merge_sort_block_merge_implIS3_PaN6thrust23THRUST_200600_302600_NS10device_ptrIlEEjNS1_19radix_merge_compareILb0ELb1EaNS0_19identity_decomposerEEEEE10hipError_tT0_T1_T2_jT3_P12ihipStream_tbPNSt15iterator_traitsISG_E10value_typeEPNSM_ISH_E10value_typeEPSI_NS1_7vsmem_tEENKUlT_SG_SH_SI_E_clIS7_S7_SB_PlEESF_SV_SG_SH_SI_EUlSV_E_NS1_11comp_targetILNS1_3genE0ELNS1_11target_archE4294967295ELNS1_3gpuE0ELNS1_3repE0EEENS1_48merge_mergepath_partition_config_static_selectorELNS0_4arch9wavefront6targetE1EEEvSH_.num_named_barrier, 0
	.set _ZN7rocprim17ROCPRIM_400000_NS6detail17trampoline_kernelINS0_14default_configENS1_38merge_sort_block_merge_config_selectorIalEEZZNS1_27merge_sort_block_merge_implIS3_PaN6thrust23THRUST_200600_302600_NS10device_ptrIlEEjNS1_19radix_merge_compareILb0ELb1EaNS0_19identity_decomposerEEEEE10hipError_tT0_T1_T2_jT3_P12ihipStream_tbPNSt15iterator_traitsISG_E10value_typeEPNSM_ISH_E10value_typeEPSI_NS1_7vsmem_tEENKUlT_SG_SH_SI_E_clIS7_S7_SB_PlEESF_SV_SG_SH_SI_EUlSV_E_NS1_11comp_targetILNS1_3genE0ELNS1_11target_archE4294967295ELNS1_3gpuE0ELNS1_3repE0EEENS1_48merge_mergepath_partition_config_static_selectorELNS0_4arch9wavefront6targetE1EEEvSH_.private_seg_size, 0
	.set _ZN7rocprim17ROCPRIM_400000_NS6detail17trampoline_kernelINS0_14default_configENS1_38merge_sort_block_merge_config_selectorIalEEZZNS1_27merge_sort_block_merge_implIS3_PaN6thrust23THRUST_200600_302600_NS10device_ptrIlEEjNS1_19radix_merge_compareILb0ELb1EaNS0_19identity_decomposerEEEEE10hipError_tT0_T1_T2_jT3_P12ihipStream_tbPNSt15iterator_traitsISG_E10value_typeEPNSM_ISH_E10value_typeEPSI_NS1_7vsmem_tEENKUlT_SG_SH_SI_E_clIS7_S7_SB_PlEESF_SV_SG_SH_SI_EUlSV_E_NS1_11comp_targetILNS1_3genE0ELNS1_11target_archE4294967295ELNS1_3gpuE0ELNS1_3repE0EEENS1_48merge_mergepath_partition_config_static_selectorELNS0_4arch9wavefront6targetE1EEEvSH_.uses_vcc, 0
	.set _ZN7rocprim17ROCPRIM_400000_NS6detail17trampoline_kernelINS0_14default_configENS1_38merge_sort_block_merge_config_selectorIalEEZZNS1_27merge_sort_block_merge_implIS3_PaN6thrust23THRUST_200600_302600_NS10device_ptrIlEEjNS1_19radix_merge_compareILb0ELb1EaNS0_19identity_decomposerEEEEE10hipError_tT0_T1_T2_jT3_P12ihipStream_tbPNSt15iterator_traitsISG_E10value_typeEPNSM_ISH_E10value_typeEPSI_NS1_7vsmem_tEENKUlT_SG_SH_SI_E_clIS7_S7_SB_PlEESF_SV_SG_SH_SI_EUlSV_E_NS1_11comp_targetILNS1_3genE0ELNS1_11target_archE4294967295ELNS1_3gpuE0ELNS1_3repE0EEENS1_48merge_mergepath_partition_config_static_selectorELNS0_4arch9wavefront6targetE1EEEvSH_.uses_flat_scratch, 0
	.set _ZN7rocprim17ROCPRIM_400000_NS6detail17trampoline_kernelINS0_14default_configENS1_38merge_sort_block_merge_config_selectorIalEEZZNS1_27merge_sort_block_merge_implIS3_PaN6thrust23THRUST_200600_302600_NS10device_ptrIlEEjNS1_19radix_merge_compareILb0ELb1EaNS0_19identity_decomposerEEEEE10hipError_tT0_T1_T2_jT3_P12ihipStream_tbPNSt15iterator_traitsISG_E10value_typeEPNSM_ISH_E10value_typeEPSI_NS1_7vsmem_tEENKUlT_SG_SH_SI_E_clIS7_S7_SB_PlEESF_SV_SG_SH_SI_EUlSV_E_NS1_11comp_targetILNS1_3genE0ELNS1_11target_archE4294967295ELNS1_3gpuE0ELNS1_3repE0EEENS1_48merge_mergepath_partition_config_static_selectorELNS0_4arch9wavefront6targetE1EEEvSH_.has_dyn_sized_stack, 0
	.set _ZN7rocprim17ROCPRIM_400000_NS6detail17trampoline_kernelINS0_14default_configENS1_38merge_sort_block_merge_config_selectorIalEEZZNS1_27merge_sort_block_merge_implIS3_PaN6thrust23THRUST_200600_302600_NS10device_ptrIlEEjNS1_19radix_merge_compareILb0ELb1EaNS0_19identity_decomposerEEEEE10hipError_tT0_T1_T2_jT3_P12ihipStream_tbPNSt15iterator_traitsISG_E10value_typeEPNSM_ISH_E10value_typeEPSI_NS1_7vsmem_tEENKUlT_SG_SH_SI_E_clIS7_S7_SB_PlEESF_SV_SG_SH_SI_EUlSV_E_NS1_11comp_targetILNS1_3genE0ELNS1_11target_archE4294967295ELNS1_3gpuE0ELNS1_3repE0EEENS1_48merge_mergepath_partition_config_static_selectorELNS0_4arch9wavefront6targetE1EEEvSH_.has_recursion, 0
	.set _ZN7rocprim17ROCPRIM_400000_NS6detail17trampoline_kernelINS0_14default_configENS1_38merge_sort_block_merge_config_selectorIalEEZZNS1_27merge_sort_block_merge_implIS3_PaN6thrust23THRUST_200600_302600_NS10device_ptrIlEEjNS1_19radix_merge_compareILb0ELb1EaNS0_19identity_decomposerEEEEE10hipError_tT0_T1_T2_jT3_P12ihipStream_tbPNSt15iterator_traitsISG_E10value_typeEPNSM_ISH_E10value_typeEPSI_NS1_7vsmem_tEENKUlT_SG_SH_SI_E_clIS7_S7_SB_PlEESF_SV_SG_SH_SI_EUlSV_E_NS1_11comp_targetILNS1_3genE0ELNS1_11target_archE4294967295ELNS1_3gpuE0ELNS1_3repE0EEENS1_48merge_mergepath_partition_config_static_selectorELNS0_4arch9wavefront6targetE1EEEvSH_.has_indirect_call, 0
	.section	.AMDGPU.csdata,"",@progbits
; Kernel info:
; codeLenInByte = 0
; TotalNumSgprs: 4
; NumVgprs: 0
; ScratchSize: 0
; MemoryBound: 0
; FloatMode: 240
; IeeeMode: 1
; LDSByteSize: 0 bytes/workgroup (compile time only)
; SGPRBlocks: 0
; VGPRBlocks: 0
; NumSGPRsForWavesPerEU: 4
; NumVGPRsForWavesPerEU: 1
; Occupancy: 10
; WaveLimiterHint : 0
; COMPUTE_PGM_RSRC2:SCRATCH_EN: 0
; COMPUTE_PGM_RSRC2:USER_SGPR: 6
; COMPUTE_PGM_RSRC2:TRAP_HANDLER: 0
; COMPUTE_PGM_RSRC2:TGID_X_EN: 1
; COMPUTE_PGM_RSRC2:TGID_Y_EN: 0
; COMPUTE_PGM_RSRC2:TGID_Z_EN: 0
; COMPUTE_PGM_RSRC2:TIDIG_COMP_CNT: 0
	.section	.text._ZN7rocprim17ROCPRIM_400000_NS6detail17trampoline_kernelINS0_14default_configENS1_38merge_sort_block_merge_config_selectorIalEEZZNS1_27merge_sort_block_merge_implIS3_PaN6thrust23THRUST_200600_302600_NS10device_ptrIlEEjNS1_19radix_merge_compareILb0ELb1EaNS0_19identity_decomposerEEEEE10hipError_tT0_T1_T2_jT3_P12ihipStream_tbPNSt15iterator_traitsISG_E10value_typeEPNSM_ISH_E10value_typeEPSI_NS1_7vsmem_tEENKUlT_SG_SH_SI_E_clIS7_S7_SB_PlEESF_SV_SG_SH_SI_EUlSV_E_NS1_11comp_targetILNS1_3genE10ELNS1_11target_archE1201ELNS1_3gpuE5ELNS1_3repE0EEENS1_48merge_mergepath_partition_config_static_selectorELNS0_4arch9wavefront6targetE1EEEvSH_,"axG",@progbits,_ZN7rocprim17ROCPRIM_400000_NS6detail17trampoline_kernelINS0_14default_configENS1_38merge_sort_block_merge_config_selectorIalEEZZNS1_27merge_sort_block_merge_implIS3_PaN6thrust23THRUST_200600_302600_NS10device_ptrIlEEjNS1_19radix_merge_compareILb0ELb1EaNS0_19identity_decomposerEEEEE10hipError_tT0_T1_T2_jT3_P12ihipStream_tbPNSt15iterator_traitsISG_E10value_typeEPNSM_ISH_E10value_typeEPSI_NS1_7vsmem_tEENKUlT_SG_SH_SI_E_clIS7_S7_SB_PlEESF_SV_SG_SH_SI_EUlSV_E_NS1_11comp_targetILNS1_3genE10ELNS1_11target_archE1201ELNS1_3gpuE5ELNS1_3repE0EEENS1_48merge_mergepath_partition_config_static_selectorELNS0_4arch9wavefront6targetE1EEEvSH_,comdat
	.protected	_ZN7rocprim17ROCPRIM_400000_NS6detail17trampoline_kernelINS0_14default_configENS1_38merge_sort_block_merge_config_selectorIalEEZZNS1_27merge_sort_block_merge_implIS3_PaN6thrust23THRUST_200600_302600_NS10device_ptrIlEEjNS1_19radix_merge_compareILb0ELb1EaNS0_19identity_decomposerEEEEE10hipError_tT0_T1_T2_jT3_P12ihipStream_tbPNSt15iterator_traitsISG_E10value_typeEPNSM_ISH_E10value_typeEPSI_NS1_7vsmem_tEENKUlT_SG_SH_SI_E_clIS7_S7_SB_PlEESF_SV_SG_SH_SI_EUlSV_E_NS1_11comp_targetILNS1_3genE10ELNS1_11target_archE1201ELNS1_3gpuE5ELNS1_3repE0EEENS1_48merge_mergepath_partition_config_static_selectorELNS0_4arch9wavefront6targetE1EEEvSH_ ; -- Begin function _ZN7rocprim17ROCPRIM_400000_NS6detail17trampoline_kernelINS0_14default_configENS1_38merge_sort_block_merge_config_selectorIalEEZZNS1_27merge_sort_block_merge_implIS3_PaN6thrust23THRUST_200600_302600_NS10device_ptrIlEEjNS1_19radix_merge_compareILb0ELb1EaNS0_19identity_decomposerEEEEE10hipError_tT0_T1_T2_jT3_P12ihipStream_tbPNSt15iterator_traitsISG_E10value_typeEPNSM_ISH_E10value_typeEPSI_NS1_7vsmem_tEENKUlT_SG_SH_SI_E_clIS7_S7_SB_PlEESF_SV_SG_SH_SI_EUlSV_E_NS1_11comp_targetILNS1_3genE10ELNS1_11target_archE1201ELNS1_3gpuE5ELNS1_3repE0EEENS1_48merge_mergepath_partition_config_static_selectorELNS0_4arch9wavefront6targetE1EEEvSH_
	.globl	_ZN7rocprim17ROCPRIM_400000_NS6detail17trampoline_kernelINS0_14default_configENS1_38merge_sort_block_merge_config_selectorIalEEZZNS1_27merge_sort_block_merge_implIS3_PaN6thrust23THRUST_200600_302600_NS10device_ptrIlEEjNS1_19radix_merge_compareILb0ELb1EaNS0_19identity_decomposerEEEEE10hipError_tT0_T1_T2_jT3_P12ihipStream_tbPNSt15iterator_traitsISG_E10value_typeEPNSM_ISH_E10value_typeEPSI_NS1_7vsmem_tEENKUlT_SG_SH_SI_E_clIS7_S7_SB_PlEESF_SV_SG_SH_SI_EUlSV_E_NS1_11comp_targetILNS1_3genE10ELNS1_11target_archE1201ELNS1_3gpuE5ELNS1_3repE0EEENS1_48merge_mergepath_partition_config_static_selectorELNS0_4arch9wavefront6targetE1EEEvSH_
	.p2align	8
	.type	_ZN7rocprim17ROCPRIM_400000_NS6detail17trampoline_kernelINS0_14default_configENS1_38merge_sort_block_merge_config_selectorIalEEZZNS1_27merge_sort_block_merge_implIS3_PaN6thrust23THRUST_200600_302600_NS10device_ptrIlEEjNS1_19radix_merge_compareILb0ELb1EaNS0_19identity_decomposerEEEEE10hipError_tT0_T1_T2_jT3_P12ihipStream_tbPNSt15iterator_traitsISG_E10value_typeEPNSM_ISH_E10value_typeEPSI_NS1_7vsmem_tEENKUlT_SG_SH_SI_E_clIS7_S7_SB_PlEESF_SV_SG_SH_SI_EUlSV_E_NS1_11comp_targetILNS1_3genE10ELNS1_11target_archE1201ELNS1_3gpuE5ELNS1_3repE0EEENS1_48merge_mergepath_partition_config_static_selectorELNS0_4arch9wavefront6targetE1EEEvSH_,@function
_ZN7rocprim17ROCPRIM_400000_NS6detail17trampoline_kernelINS0_14default_configENS1_38merge_sort_block_merge_config_selectorIalEEZZNS1_27merge_sort_block_merge_implIS3_PaN6thrust23THRUST_200600_302600_NS10device_ptrIlEEjNS1_19radix_merge_compareILb0ELb1EaNS0_19identity_decomposerEEEEE10hipError_tT0_T1_T2_jT3_P12ihipStream_tbPNSt15iterator_traitsISG_E10value_typeEPNSM_ISH_E10value_typeEPSI_NS1_7vsmem_tEENKUlT_SG_SH_SI_E_clIS7_S7_SB_PlEESF_SV_SG_SH_SI_EUlSV_E_NS1_11comp_targetILNS1_3genE10ELNS1_11target_archE1201ELNS1_3gpuE5ELNS1_3repE0EEENS1_48merge_mergepath_partition_config_static_selectorELNS0_4arch9wavefront6targetE1EEEvSH_: ; @_ZN7rocprim17ROCPRIM_400000_NS6detail17trampoline_kernelINS0_14default_configENS1_38merge_sort_block_merge_config_selectorIalEEZZNS1_27merge_sort_block_merge_implIS3_PaN6thrust23THRUST_200600_302600_NS10device_ptrIlEEjNS1_19radix_merge_compareILb0ELb1EaNS0_19identity_decomposerEEEEE10hipError_tT0_T1_T2_jT3_P12ihipStream_tbPNSt15iterator_traitsISG_E10value_typeEPNSM_ISH_E10value_typeEPSI_NS1_7vsmem_tEENKUlT_SG_SH_SI_E_clIS7_S7_SB_PlEESF_SV_SG_SH_SI_EUlSV_E_NS1_11comp_targetILNS1_3genE10ELNS1_11target_archE1201ELNS1_3gpuE5ELNS1_3repE0EEENS1_48merge_mergepath_partition_config_static_selectorELNS0_4arch9wavefront6targetE1EEEvSH_
; %bb.0:
	.section	.rodata,"a",@progbits
	.p2align	6, 0x0
	.amdhsa_kernel _ZN7rocprim17ROCPRIM_400000_NS6detail17trampoline_kernelINS0_14default_configENS1_38merge_sort_block_merge_config_selectorIalEEZZNS1_27merge_sort_block_merge_implIS3_PaN6thrust23THRUST_200600_302600_NS10device_ptrIlEEjNS1_19radix_merge_compareILb0ELb1EaNS0_19identity_decomposerEEEEE10hipError_tT0_T1_T2_jT3_P12ihipStream_tbPNSt15iterator_traitsISG_E10value_typeEPNSM_ISH_E10value_typeEPSI_NS1_7vsmem_tEENKUlT_SG_SH_SI_E_clIS7_S7_SB_PlEESF_SV_SG_SH_SI_EUlSV_E_NS1_11comp_targetILNS1_3genE10ELNS1_11target_archE1201ELNS1_3gpuE5ELNS1_3repE0EEENS1_48merge_mergepath_partition_config_static_selectorELNS0_4arch9wavefront6targetE1EEEvSH_
		.amdhsa_group_segment_fixed_size 0
		.amdhsa_private_segment_fixed_size 0
		.amdhsa_kernarg_size 40
		.amdhsa_user_sgpr_count 6
		.amdhsa_user_sgpr_private_segment_buffer 1
		.amdhsa_user_sgpr_dispatch_ptr 0
		.amdhsa_user_sgpr_queue_ptr 0
		.amdhsa_user_sgpr_kernarg_segment_ptr 1
		.amdhsa_user_sgpr_dispatch_id 0
		.amdhsa_user_sgpr_flat_scratch_init 0
		.amdhsa_user_sgpr_private_segment_size 0
		.amdhsa_uses_dynamic_stack 0
		.amdhsa_system_sgpr_private_segment_wavefront_offset 0
		.amdhsa_system_sgpr_workgroup_id_x 1
		.amdhsa_system_sgpr_workgroup_id_y 0
		.amdhsa_system_sgpr_workgroup_id_z 0
		.amdhsa_system_sgpr_workgroup_info 0
		.amdhsa_system_vgpr_workitem_id 0
		.amdhsa_next_free_vgpr 1
		.amdhsa_next_free_sgpr 0
		.amdhsa_reserve_vcc 0
		.amdhsa_reserve_flat_scratch 0
		.amdhsa_float_round_mode_32 0
		.amdhsa_float_round_mode_16_64 0
		.amdhsa_float_denorm_mode_32 3
		.amdhsa_float_denorm_mode_16_64 3
		.amdhsa_dx10_clamp 1
		.amdhsa_ieee_mode 1
		.amdhsa_fp16_overflow 0
		.amdhsa_exception_fp_ieee_invalid_op 0
		.amdhsa_exception_fp_denorm_src 0
		.amdhsa_exception_fp_ieee_div_zero 0
		.amdhsa_exception_fp_ieee_overflow 0
		.amdhsa_exception_fp_ieee_underflow 0
		.amdhsa_exception_fp_ieee_inexact 0
		.amdhsa_exception_int_div_zero 0
	.end_amdhsa_kernel
	.section	.text._ZN7rocprim17ROCPRIM_400000_NS6detail17trampoline_kernelINS0_14default_configENS1_38merge_sort_block_merge_config_selectorIalEEZZNS1_27merge_sort_block_merge_implIS3_PaN6thrust23THRUST_200600_302600_NS10device_ptrIlEEjNS1_19radix_merge_compareILb0ELb1EaNS0_19identity_decomposerEEEEE10hipError_tT0_T1_T2_jT3_P12ihipStream_tbPNSt15iterator_traitsISG_E10value_typeEPNSM_ISH_E10value_typeEPSI_NS1_7vsmem_tEENKUlT_SG_SH_SI_E_clIS7_S7_SB_PlEESF_SV_SG_SH_SI_EUlSV_E_NS1_11comp_targetILNS1_3genE10ELNS1_11target_archE1201ELNS1_3gpuE5ELNS1_3repE0EEENS1_48merge_mergepath_partition_config_static_selectorELNS0_4arch9wavefront6targetE1EEEvSH_,"axG",@progbits,_ZN7rocprim17ROCPRIM_400000_NS6detail17trampoline_kernelINS0_14default_configENS1_38merge_sort_block_merge_config_selectorIalEEZZNS1_27merge_sort_block_merge_implIS3_PaN6thrust23THRUST_200600_302600_NS10device_ptrIlEEjNS1_19radix_merge_compareILb0ELb1EaNS0_19identity_decomposerEEEEE10hipError_tT0_T1_T2_jT3_P12ihipStream_tbPNSt15iterator_traitsISG_E10value_typeEPNSM_ISH_E10value_typeEPSI_NS1_7vsmem_tEENKUlT_SG_SH_SI_E_clIS7_S7_SB_PlEESF_SV_SG_SH_SI_EUlSV_E_NS1_11comp_targetILNS1_3genE10ELNS1_11target_archE1201ELNS1_3gpuE5ELNS1_3repE0EEENS1_48merge_mergepath_partition_config_static_selectorELNS0_4arch9wavefront6targetE1EEEvSH_,comdat
.Lfunc_end559:
	.size	_ZN7rocprim17ROCPRIM_400000_NS6detail17trampoline_kernelINS0_14default_configENS1_38merge_sort_block_merge_config_selectorIalEEZZNS1_27merge_sort_block_merge_implIS3_PaN6thrust23THRUST_200600_302600_NS10device_ptrIlEEjNS1_19radix_merge_compareILb0ELb1EaNS0_19identity_decomposerEEEEE10hipError_tT0_T1_T2_jT3_P12ihipStream_tbPNSt15iterator_traitsISG_E10value_typeEPNSM_ISH_E10value_typeEPSI_NS1_7vsmem_tEENKUlT_SG_SH_SI_E_clIS7_S7_SB_PlEESF_SV_SG_SH_SI_EUlSV_E_NS1_11comp_targetILNS1_3genE10ELNS1_11target_archE1201ELNS1_3gpuE5ELNS1_3repE0EEENS1_48merge_mergepath_partition_config_static_selectorELNS0_4arch9wavefront6targetE1EEEvSH_, .Lfunc_end559-_ZN7rocprim17ROCPRIM_400000_NS6detail17trampoline_kernelINS0_14default_configENS1_38merge_sort_block_merge_config_selectorIalEEZZNS1_27merge_sort_block_merge_implIS3_PaN6thrust23THRUST_200600_302600_NS10device_ptrIlEEjNS1_19radix_merge_compareILb0ELb1EaNS0_19identity_decomposerEEEEE10hipError_tT0_T1_T2_jT3_P12ihipStream_tbPNSt15iterator_traitsISG_E10value_typeEPNSM_ISH_E10value_typeEPSI_NS1_7vsmem_tEENKUlT_SG_SH_SI_E_clIS7_S7_SB_PlEESF_SV_SG_SH_SI_EUlSV_E_NS1_11comp_targetILNS1_3genE10ELNS1_11target_archE1201ELNS1_3gpuE5ELNS1_3repE0EEENS1_48merge_mergepath_partition_config_static_selectorELNS0_4arch9wavefront6targetE1EEEvSH_
                                        ; -- End function
	.set _ZN7rocprim17ROCPRIM_400000_NS6detail17trampoline_kernelINS0_14default_configENS1_38merge_sort_block_merge_config_selectorIalEEZZNS1_27merge_sort_block_merge_implIS3_PaN6thrust23THRUST_200600_302600_NS10device_ptrIlEEjNS1_19radix_merge_compareILb0ELb1EaNS0_19identity_decomposerEEEEE10hipError_tT0_T1_T2_jT3_P12ihipStream_tbPNSt15iterator_traitsISG_E10value_typeEPNSM_ISH_E10value_typeEPSI_NS1_7vsmem_tEENKUlT_SG_SH_SI_E_clIS7_S7_SB_PlEESF_SV_SG_SH_SI_EUlSV_E_NS1_11comp_targetILNS1_3genE10ELNS1_11target_archE1201ELNS1_3gpuE5ELNS1_3repE0EEENS1_48merge_mergepath_partition_config_static_selectorELNS0_4arch9wavefront6targetE1EEEvSH_.num_vgpr, 0
	.set _ZN7rocprim17ROCPRIM_400000_NS6detail17trampoline_kernelINS0_14default_configENS1_38merge_sort_block_merge_config_selectorIalEEZZNS1_27merge_sort_block_merge_implIS3_PaN6thrust23THRUST_200600_302600_NS10device_ptrIlEEjNS1_19radix_merge_compareILb0ELb1EaNS0_19identity_decomposerEEEEE10hipError_tT0_T1_T2_jT3_P12ihipStream_tbPNSt15iterator_traitsISG_E10value_typeEPNSM_ISH_E10value_typeEPSI_NS1_7vsmem_tEENKUlT_SG_SH_SI_E_clIS7_S7_SB_PlEESF_SV_SG_SH_SI_EUlSV_E_NS1_11comp_targetILNS1_3genE10ELNS1_11target_archE1201ELNS1_3gpuE5ELNS1_3repE0EEENS1_48merge_mergepath_partition_config_static_selectorELNS0_4arch9wavefront6targetE1EEEvSH_.num_agpr, 0
	.set _ZN7rocprim17ROCPRIM_400000_NS6detail17trampoline_kernelINS0_14default_configENS1_38merge_sort_block_merge_config_selectorIalEEZZNS1_27merge_sort_block_merge_implIS3_PaN6thrust23THRUST_200600_302600_NS10device_ptrIlEEjNS1_19radix_merge_compareILb0ELb1EaNS0_19identity_decomposerEEEEE10hipError_tT0_T1_T2_jT3_P12ihipStream_tbPNSt15iterator_traitsISG_E10value_typeEPNSM_ISH_E10value_typeEPSI_NS1_7vsmem_tEENKUlT_SG_SH_SI_E_clIS7_S7_SB_PlEESF_SV_SG_SH_SI_EUlSV_E_NS1_11comp_targetILNS1_3genE10ELNS1_11target_archE1201ELNS1_3gpuE5ELNS1_3repE0EEENS1_48merge_mergepath_partition_config_static_selectorELNS0_4arch9wavefront6targetE1EEEvSH_.numbered_sgpr, 0
	.set _ZN7rocprim17ROCPRIM_400000_NS6detail17trampoline_kernelINS0_14default_configENS1_38merge_sort_block_merge_config_selectorIalEEZZNS1_27merge_sort_block_merge_implIS3_PaN6thrust23THRUST_200600_302600_NS10device_ptrIlEEjNS1_19radix_merge_compareILb0ELb1EaNS0_19identity_decomposerEEEEE10hipError_tT0_T1_T2_jT3_P12ihipStream_tbPNSt15iterator_traitsISG_E10value_typeEPNSM_ISH_E10value_typeEPSI_NS1_7vsmem_tEENKUlT_SG_SH_SI_E_clIS7_S7_SB_PlEESF_SV_SG_SH_SI_EUlSV_E_NS1_11comp_targetILNS1_3genE10ELNS1_11target_archE1201ELNS1_3gpuE5ELNS1_3repE0EEENS1_48merge_mergepath_partition_config_static_selectorELNS0_4arch9wavefront6targetE1EEEvSH_.num_named_barrier, 0
	.set _ZN7rocprim17ROCPRIM_400000_NS6detail17trampoline_kernelINS0_14default_configENS1_38merge_sort_block_merge_config_selectorIalEEZZNS1_27merge_sort_block_merge_implIS3_PaN6thrust23THRUST_200600_302600_NS10device_ptrIlEEjNS1_19radix_merge_compareILb0ELb1EaNS0_19identity_decomposerEEEEE10hipError_tT0_T1_T2_jT3_P12ihipStream_tbPNSt15iterator_traitsISG_E10value_typeEPNSM_ISH_E10value_typeEPSI_NS1_7vsmem_tEENKUlT_SG_SH_SI_E_clIS7_S7_SB_PlEESF_SV_SG_SH_SI_EUlSV_E_NS1_11comp_targetILNS1_3genE10ELNS1_11target_archE1201ELNS1_3gpuE5ELNS1_3repE0EEENS1_48merge_mergepath_partition_config_static_selectorELNS0_4arch9wavefront6targetE1EEEvSH_.private_seg_size, 0
	.set _ZN7rocprim17ROCPRIM_400000_NS6detail17trampoline_kernelINS0_14default_configENS1_38merge_sort_block_merge_config_selectorIalEEZZNS1_27merge_sort_block_merge_implIS3_PaN6thrust23THRUST_200600_302600_NS10device_ptrIlEEjNS1_19radix_merge_compareILb0ELb1EaNS0_19identity_decomposerEEEEE10hipError_tT0_T1_T2_jT3_P12ihipStream_tbPNSt15iterator_traitsISG_E10value_typeEPNSM_ISH_E10value_typeEPSI_NS1_7vsmem_tEENKUlT_SG_SH_SI_E_clIS7_S7_SB_PlEESF_SV_SG_SH_SI_EUlSV_E_NS1_11comp_targetILNS1_3genE10ELNS1_11target_archE1201ELNS1_3gpuE5ELNS1_3repE0EEENS1_48merge_mergepath_partition_config_static_selectorELNS0_4arch9wavefront6targetE1EEEvSH_.uses_vcc, 0
	.set _ZN7rocprim17ROCPRIM_400000_NS6detail17trampoline_kernelINS0_14default_configENS1_38merge_sort_block_merge_config_selectorIalEEZZNS1_27merge_sort_block_merge_implIS3_PaN6thrust23THRUST_200600_302600_NS10device_ptrIlEEjNS1_19radix_merge_compareILb0ELb1EaNS0_19identity_decomposerEEEEE10hipError_tT0_T1_T2_jT3_P12ihipStream_tbPNSt15iterator_traitsISG_E10value_typeEPNSM_ISH_E10value_typeEPSI_NS1_7vsmem_tEENKUlT_SG_SH_SI_E_clIS7_S7_SB_PlEESF_SV_SG_SH_SI_EUlSV_E_NS1_11comp_targetILNS1_3genE10ELNS1_11target_archE1201ELNS1_3gpuE5ELNS1_3repE0EEENS1_48merge_mergepath_partition_config_static_selectorELNS0_4arch9wavefront6targetE1EEEvSH_.uses_flat_scratch, 0
	.set _ZN7rocprim17ROCPRIM_400000_NS6detail17trampoline_kernelINS0_14default_configENS1_38merge_sort_block_merge_config_selectorIalEEZZNS1_27merge_sort_block_merge_implIS3_PaN6thrust23THRUST_200600_302600_NS10device_ptrIlEEjNS1_19radix_merge_compareILb0ELb1EaNS0_19identity_decomposerEEEEE10hipError_tT0_T1_T2_jT3_P12ihipStream_tbPNSt15iterator_traitsISG_E10value_typeEPNSM_ISH_E10value_typeEPSI_NS1_7vsmem_tEENKUlT_SG_SH_SI_E_clIS7_S7_SB_PlEESF_SV_SG_SH_SI_EUlSV_E_NS1_11comp_targetILNS1_3genE10ELNS1_11target_archE1201ELNS1_3gpuE5ELNS1_3repE0EEENS1_48merge_mergepath_partition_config_static_selectorELNS0_4arch9wavefront6targetE1EEEvSH_.has_dyn_sized_stack, 0
	.set _ZN7rocprim17ROCPRIM_400000_NS6detail17trampoline_kernelINS0_14default_configENS1_38merge_sort_block_merge_config_selectorIalEEZZNS1_27merge_sort_block_merge_implIS3_PaN6thrust23THRUST_200600_302600_NS10device_ptrIlEEjNS1_19radix_merge_compareILb0ELb1EaNS0_19identity_decomposerEEEEE10hipError_tT0_T1_T2_jT3_P12ihipStream_tbPNSt15iterator_traitsISG_E10value_typeEPNSM_ISH_E10value_typeEPSI_NS1_7vsmem_tEENKUlT_SG_SH_SI_E_clIS7_S7_SB_PlEESF_SV_SG_SH_SI_EUlSV_E_NS1_11comp_targetILNS1_3genE10ELNS1_11target_archE1201ELNS1_3gpuE5ELNS1_3repE0EEENS1_48merge_mergepath_partition_config_static_selectorELNS0_4arch9wavefront6targetE1EEEvSH_.has_recursion, 0
	.set _ZN7rocprim17ROCPRIM_400000_NS6detail17trampoline_kernelINS0_14default_configENS1_38merge_sort_block_merge_config_selectorIalEEZZNS1_27merge_sort_block_merge_implIS3_PaN6thrust23THRUST_200600_302600_NS10device_ptrIlEEjNS1_19radix_merge_compareILb0ELb1EaNS0_19identity_decomposerEEEEE10hipError_tT0_T1_T2_jT3_P12ihipStream_tbPNSt15iterator_traitsISG_E10value_typeEPNSM_ISH_E10value_typeEPSI_NS1_7vsmem_tEENKUlT_SG_SH_SI_E_clIS7_S7_SB_PlEESF_SV_SG_SH_SI_EUlSV_E_NS1_11comp_targetILNS1_3genE10ELNS1_11target_archE1201ELNS1_3gpuE5ELNS1_3repE0EEENS1_48merge_mergepath_partition_config_static_selectorELNS0_4arch9wavefront6targetE1EEEvSH_.has_indirect_call, 0
	.section	.AMDGPU.csdata,"",@progbits
; Kernel info:
; codeLenInByte = 0
; TotalNumSgprs: 4
; NumVgprs: 0
; ScratchSize: 0
; MemoryBound: 0
; FloatMode: 240
; IeeeMode: 1
; LDSByteSize: 0 bytes/workgroup (compile time only)
; SGPRBlocks: 0
; VGPRBlocks: 0
; NumSGPRsForWavesPerEU: 4
; NumVGPRsForWavesPerEU: 1
; Occupancy: 10
; WaveLimiterHint : 0
; COMPUTE_PGM_RSRC2:SCRATCH_EN: 0
; COMPUTE_PGM_RSRC2:USER_SGPR: 6
; COMPUTE_PGM_RSRC2:TRAP_HANDLER: 0
; COMPUTE_PGM_RSRC2:TGID_X_EN: 1
; COMPUTE_PGM_RSRC2:TGID_Y_EN: 0
; COMPUTE_PGM_RSRC2:TGID_Z_EN: 0
; COMPUTE_PGM_RSRC2:TIDIG_COMP_CNT: 0
	.section	.text._ZN7rocprim17ROCPRIM_400000_NS6detail17trampoline_kernelINS0_14default_configENS1_38merge_sort_block_merge_config_selectorIalEEZZNS1_27merge_sort_block_merge_implIS3_PaN6thrust23THRUST_200600_302600_NS10device_ptrIlEEjNS1_19radix_merge_compareILb0ELb1EaNS0_19identity_decomposerEEEEE10hipError_tT0_T1_T2_jT3_P12ihipStream_tbPNSt15iterator_traitsISG_E10value_typeEPNSM_ISH_E10value_typeEPSI_NS1_7vsmem_tEENKUlT_SG_SH_SI_E_clIS7_S7_SB_PlEESF_SV_SG_SH_SI_EUlSV_E_NS1_11comp_targetILNS1_3genE5ELNS1_11target_archE942ELNS1_3gpuE9ELNS1_3repE0EEENS1_48merge_mergepath_partition_config_static_selectorELNS0_4arch9wavefront6targetE1EEEvSH_,"axG",@progbits,_ZN7rocprim17ROCPRIM_400000_NS6detail17trampoline_kernelINS0_14default_configENS1_38merge_sort_block_merge_config_selectorIalEEZZNS1_27merge_sort_block_merge_implIS3_PaN6thrust23THRUST_200600_302600_NS10device_ptrIlEEjNS1_19radix_merge_compareILb0ELb1EaNS0_19identity_decomposerEEEEE10hipError_tT0_T1_T2_jT3_P12ihipStream_tbPNSt15iterator_traitsISG_E10value_typeEPNSM_ISH_E10value_typeEPSI_NS1_7vsmem_tEENKUlT_SG_SH_SI_E_clIS7_S7_SB_PlEESF_SV_SG_SH_SI_EUlSV_E_NS1_11comp_targetILNS1_3genE5ELNS1_11target_archE942ELNS1_3gpuE9ELNS1_3repE0EEENS1_48merge_mergepath_partition_config_static_selectorELNS0_4arch9wavefront6targetE1EEEvSH_,comdat
	.protected	_ZN7rocprim17ROCPRIM_400000_NS6detail17trampoline_kernelINS0_14default_configENS1_38merge_sort_block_merge_config_selectorIalEEZZNS1_27merge_sort_block_merge_implIS3_PaN6thrust23THRUST_200600_302600_NS10device_ptrIlEEjNS1_19radix_merge_compareILb0ELb1EaNS0_19identity_decomposerEEEEE10hipError_tT0_T1_T2_jT3_P12ihipStream_tbPNSt15iterator_traitsISG_E10value_typeEPNSM_ISH_E10value_typeEPSI_NS1_7vsmem_tEENKUlT_SG_SH_SI_E_clIS7_S7_SB_PlEESF_SV_SG_SH_SI_EUlSV_E_NS1_11comp_targetILNS1_3genE5ELNS1_11target_archE942ELNS1_3gpuE9ELNS1_3repE0EEENS1_48merge_mergepath_partition_config_static_selectorELNS0_4arch9wavefront6targetE1EEEvSH_ ; -- Begin function _ZN7rocprim17ROCPRIM_400000_NS6detail17trampoline_kernelINS0_14default_configENS1_38merge_sort_block_merge_config_selectorIalEEZZNS1_27merge_sort_block_merge_implIS3_PaN6thrust23THRUST_200600_302600_NS10device_ptrIlEEjNS1_19radix_merge_compareILb0ELb1EaNS0_19identity_decomposerEEEEE10hipError_tT0_T1_T2_jT3_P12ihipStream_tbPNSt15iterator_traitsISG_E10value_typeEPNSM_ISH_E10value_typeEPSI_NS1_7vsmem_tEENKUlT_SG_SH_SI_E_clIS7_S7_SB_PlEESF_SV_SG_SH_SI_EUlSV_E_NS1_11comp_targetILNS1_3genE5ELNS1_11target_archE942ELNS1_3gpuE9ELNS1_3repE0EEENS1_48merge_mergepath_partition_config_static_selectorELNS0_4arch9wavefront6targetE1EEEvSH_
	.globl	_ZN7rocprim17ROCPRIM_400000_NS6detail17trampoline_kernelINS0_14default_configENS1_38merge_sort_block_merge_config_selectorIalEEZZNS1_27merge_sort_block_merge_implIS3_PaN6thrust23THRUST_200600_302600_NS10device_ptrIlEEjNS1_19radix_merge_compareILb0ELb1EaNS0_19identity_decomposerEEEEE10hipError_tT0_T1_T2_jT3_P12ihipStream_tbPNSt15iterator_traitsISG_E10value_typeEPNSM_ISH_E10value_typeEPSI_NS1_7vsmem_tEENKUlT_SG_SH_SI_E_clIS7_S7_SB_PlEESF_SV_SG_SH_SI_EUlSV_E_NS1_11comp_targetILNS1_3genE5ELNS1_11target_archE942ELNS1_3gpuE9ELNS1_3repE0EEENS1_48merge_mergepath_partition_config_static_selectorELNS0_4arch9wavefront6targetE1EEEvSH_
	.p2align	8
	.type	_ZN7rocprim17ROCPRIM_400000_NS6detail17trampoline_kernelINS0_14default_configENS1_38merge_sort_block_merge_config_selectorIalEEZZNS1_27merge_sort_block_merge_implIS3_PaN6thrust23THRUST_200600_302600_NS10device_ptrIlEEjNS1_19radix_merge_compareILb0ELb1EaNS0_19identity_decomposerEEEEE10hipError_tT0_T1_T2_jT3_P12ihipStream_tbPNSt15iterator_traitsISG_E10value_typeEPNSM_ISH_E10value_typeEPSI_NS1_7vsmem_tEENKUlT_SG_SH_SI_E_clIS7_S7_SB_PlEESF_SV_SG_SH_SI_EUlSV_E_NS1_11comp_targetILNS1_3genE5ELNS1_11target_archE942ELNS1_3gpuE9ELNS1_3repE0EEENS1_48merge_mergepath_partition_config_static_selectorELNS0_4arch9wavefront6targetE1EEEvSH_,@function
_ZN7rocprim17ROCPRIM_400000_NS6detail17trampoline_kernelINS0_14default_configENS1_38merge_sort_block_merge_config_selectorIalEEZZNS1_27merge_sort_block_merge_implIS3_PaN6thrust23THRUST_200600_302600_NS10device_ptrIlEEjNS1_19radix_merge_compareILb0ELb1EaNS0_19identity_decomposerEEEEE10hipError_tT0_T1_T2_jT3_P12ihipStream_tbPNSt15iterator_traitsISG_E10value_typeEPNSM_ISH_E10value_typeEPSI_NS1_7vsmem_tEENKUlT_SG_SH_SI_E_clIS7_S7_SB_PlEESF_SV_SG_SH_SI_EUlSV_E_NS1_11comp_targetILNS1_3genE5ELNS1_11target_archE942ELNS1_3gpuE9ELNS1_3repE0EEENS1_48merge_mergepath_partition_config_static_selectorELNS0_4arch9wavefront6targetE1EEEvSH_: ; @_ZN7rocprim17ROCPRIM_400000_NS6detail17trampoline_kernelINS0_14default_configENS1_38merge_sort_block_merge_config_selectorIalEEZZNS1_27merge_sort_block_merge_implIS3_PaN6thrust23THRUST_200600_302600_NS10device_ptrIlEEjNS1_19radix_merge_compareILb0ELb1EaNS0_19identity_decomposerEEEEE10hipError_tT0_T1_T2_jT3_P12ihipStream_tbPNSt15iterator_traitsISG_E10value_typeEPNSM_ISH_E10value_typeEPSI_NS1_7vsmem_tEENKUlT_SG_SH_SI_E_clIS7_S7_SB_PlEESF_SV_SG_SH_SI_EUlSV_E_NS1_11comp_targetILNS1_3genE5ELNS1_11target_archE942ELNS1_3gpuE9ELNS1_3repE0EEENS1_48merge_mergepath_partition_config_static_selectorELNS0_4arch9wavefront6targetE1EEEvSH_
; %bb.0:
	.section	.rodata,"a",@progbits
	.p2align	6, 0x0
	.amdhsa_kernel _ZN7rocprim17ROCPRIM_400000_NS6detail17trampoline_kernelINS0_14default_configENS1_38merge_sort_block_merge_config_selectorIalEEZZNS1_27merge_sort_block_merge_implIS3_PaN6thrust23THRUST_200600_302600_NS10device_ptrIlEEjNS1_19radix_merge_compareILb0ELb1EaNS0_19identity_decomposerEEEEE10hipError_tT0_T1_T2_jT3_P12ihipStream_tbPNSt15iterator_traitsISG_E10value_typeEPNSM_ISH_E10value_typeEPSI_NS1_7vsmem_tEENKUlT_SG_SH_SI_E_clIS7_S7_SB_PlEESF_SV_SG_SH_SI_EUlSV_E_NS1_11comp_targetILNS1_3genE5ELNS1_11target_archE942ELNS1_3gpuE9ELNS1_3repE0EEENS1_48merge_mergepath_partition_config_static_selectorELNS0_4arch9wavefront6targetE1EEEvSH_
		.amdhsa_group_segment_fixed_size 0
		.amdhsa_private_segment_fixed_size 0
		.amdhsa_kernarg_size 40
		.amdhsa_user_sgpr_count 6
		.amdhsa_user_sgpr_private_segment_buffer 1
		.amdhsa_user_sgpr_dispatch_ptr 0
		.amdhsa_user_sgpr_queue_ptr 0
		.amdhsa_user_sgpr_kernarg_segment_ptr 1
		.amdhsa_user_sgpr_dispatch_id 0
		.amdhsa_user_sgpr_flat_scratch_init 0
		.amdhsa_user_sgpr_private_segment_size 0
		.amdhsa_uses_dynamic_stack 0
		.amdhsa_system_sgpr_private_segment_wavefront_offset 0
		.amdhsa_system_sgpr_workgroup_id_x 1
		.amdhsa_system_sgpr_workgroup_id_y 0
		.amdhsa_system_sgpr_workgroup_id_z 0
		.amdhsa_system_sgpr_workgroup_info 0
		.amdhsa_system_vgpr_workitem_id 0
		.amdhsa_next_free_vgpr 1
		.amdhsa_next_free_sgpr 0
		.amdhsa_reserve_vcc 0
		.amdhsa_reserve_flat_scratch 0
		.amdhsa_float_round_mode_32 0
		.amdhsa_float_round_mode_16_64 0
		.amdhsa_float_denorm_mode_32 3
		.amdhsa_float_denorm_mode_16_64 3
		.amdhsa_dx10_clamp 1
		.amdhsa_ieee_mode 1
		.amdhsa_fp16_overflow 0
		.amdhsa_exception_fp_ieee_invalid_op 0
		.amdhsa_exception_fp_denorm_src 0
		.amdhsa_exception_fp_ieee_div_zero 0
		.amdhsa_exception_fp_ieee_overflow 0
		.amdhsa_exception_fp_ieee_underflow 0
		.amdhsa_exception_fp_ieee_inexact 0
		.amdhsa_exception_int_div_zero 0
	.end_amdhsa_kernel
	.section	.text._ZN7rocprim17ROCPRIM_400000_NS6detail17trampoline_kernelINS0_14default_configENS1_38merge_sort_block_merge_config_selectorIalEEZZNS1_27merge_sort_block_merge_implIS3_PaN6thrust23THRUST_200600_302600_NS10device_ptrIlEEjNS1_19radix_merge_compareILb0ELb1EaNS0_19identity_decomposerEEEEE10hipError_tT0_T1_T2_jT3_P12ihipStream_tbPNSt15iterator_traitsISG_E10value_typeEPNSM_ISH_E10value_typeEPSI_NS1_7vsmem_tEENKUlT_SG_SH_SI_E_clIS7_S7_SB_PlEESF_SV_SG_SH_SI_EUlSV_E_NS1_11comp_targetILNS1_3genE5ELNS1_11target_archE942ELNS1_3gpuE9ELNS1_3repE0EEENS1_48merge_mergepath_partition_config_static_selectorELNS0_4arch9wavefront6targetE1EEEvSH_,"axG",@progbits,_ZN7rocprim17ROCPRIM_400000_NS6detail17trampoline_kernelINS0_14default_configENS1_38merge_sort_block_merge_config_selectorIalEEZZNS1_27merge_sort_block_merge_implIS3_PaN6thrust23THRUST_200600_302600_NS10device_ptrIlEEjNS1_19radix_merge_compareILb0ELb1EaNS0_19identity_decomposerEEEEE10hipError_tT0_T1_T2_jT3_P12ihipStream_tbPNSt15iterator_traitsISG_E10value_typeEPNSM_ISH_E10value_typeEPSI_NS1_7vsmem_tEENKUlT_SG_SH_SI_E_clIS7_S7_SB_PlEESF_SV_SG_SH_SI_EUlSV_E_NS1_11comp_targetILNS1_3genE5ELNS1_11target_archE942ELNS1_3gpuE9ELNS1_3repE0EEENS1_48merge_mergepath_partition_config_static_selectorELNS0_4arch9wavefront6targetE1EEEvSH_,comdat
.Lfunc_end560:
	.size	_ZN7rocprim17ROCPRIM_400000_NS6detail17trampoline_kernelINS0_14default_configENS1_38merge_sort_block_merge_config_selectorIalEEZZNS1_27merge_sort_block_merge_implIS3_PaN6thrust23THRUST_200600_302600_NS10device_ptrIlEEjNS1_19radix_merge_compareILb0ELb1EaNS0_19identity_decomposerEEEEE10hipError_tT0_T1_T2_jT3_P12ihipStream_tbPNSt15iterator_traitsISG_E10value_typeEPNSM_ISH_E10value_typeEPSI_NS1_7vsmem_tEENKUlT_SG_SH_SI_E_clIS7_S7_SB_PlEESF_SV_SG_SH_SI_EUlSV_E_NS1_11comp_targetILNS1_3genE5ELNS1_11target_archE942ELNS1_3gpuE9ELNS1_3repE0EEENS1_48merge_mergepath_partition_config_static_selectorELNS0_4arch9wavefront6targetE1EEEvSH_, .Lfunc_end560-_ZN7rocprim17ROCPRIM_400000_NS6detail17trampoline_kernelINS0_14default_configENS1_38merge_sort_block_merge_config_selectorIalEEZZNS1_27merge_sort_block_merge_implIS3_PaN6thrust23THRUST_200600_302600_NS10device_ptrIlEEjNS1_19radix_merge_compareILb0ELb1EaNS0_19identity_decomposerEEEEE10hipError_tT0_T1_T2_jT3_P12ihipStream_tbPNSt15iterator_traitsISG_E10value_typeEPNSM_ISH_E10value_typeEPSI_NS1_7vsmem_tEENKUlT_SG_SH_SI_E_clIS7_S7_SB_PlEESF_SV_SG_SH_SI_EUlSV_E_NS1_11comp_targetILNS1_3genE5ELNS1_11target_archE942ELNS1_3gpuE9ELNS1_3repE0EEENS1_48merge_mergepath_partition_config_static_selectorELNS0_4arch9wavefront6targetE1EEEvSH_
                                        ; -- End function
	.set _ZN7rocprim17ROCPRIM_400000_NS6detail17trampoline_kernelINS0_14default_configENS1_38merge_sort_block_merge_config_selectorIalEEZZNS1_27merge_sort_block_merge_implIS3_PaN6thrust23THRUST_200600_302600_NS10device_ptrIlEEjNS1_19radix_merge_compareILb0ELb1EaNS0_19identity_decomposerEEEEE10hipError_tT0_T1_T2_jT3_P12ihipStream_tbPNSt15iterator_traitsISG_E10value_typeEPNSM_ISH_E10value_typeEPSI_NS1_7vsmem_tEENKUlT_SG_SH_SI_E_clIS7_S7_SB_PlEESF_SV_SG_SH_SI_EUlSV_E_NS1_11comp_targetILNS1_3genE5ELNS1_11target_archE942ELNS1_3gpuE9ELNS1_3repE0EEENS1_48merge_mergepath_partition_config_static_selectorELNS0_4arch9wavefront6targetE1EEEvSH_.num_vgpr, 0
	.set _ZN7rocprim17ROCPRIM_400000_NS6detail17trampoline_kernelINS0_14default_configENS1_38merge_sort_block_merge_config_selectorIalEEZZNS1_27merge_sort_block_merge_implIS3_PaN6thrust23THRUST_200600_302600_NS10device_ptrIlEEjNS1_19radix_merge_compareILb0ELb1EaNS0_19identity_decomposerEEEEE10hipError_tT0_T1_T2_jT3_P12ihipStream_tbPNSt15iterator_traitsISG_E10value_typeEPNSM_ISH_E10value_typeEPSI_NS1_7vsmem_tEENKUlT_SG_SH_SI_E_clIS7_S7_SB_PlEESF_SV_SG_SH_SI_EUlSV_E_NS1_11comp_targetILNS1_3genE5ELNS1_11target_archE942ELNS1_3gpuE9ELNS1_3repE0EEENS1_48merge_mergepath_partition_config_static_selectorELNS0_4arch9wavefront6targetE1EEEvSH_.num_agpr, 0
	.set _ZN7rocprim17ROCPRIM_400000_NS6detail17trampoline_kernelINS0_14default_configENS1_38merge_sort_block_merge_config_selectorIalEEZZNS1_27merge_sort_block_merge_implIS3_PaN6thrust23THRUST_200600_302600_NS10device_ptrIlEEjNS1_19radix_merge_compareILb0ELb1EaNS0_19identity_decomposerEEEEE10hipError_tT0_T1_T2_jT3_P12ihipStream_tbPNSt15iterator_traitsISG_E10value_typeEPNSM_ISH_E10value_typeEPSI_NS1_7vsmem_tEENKUlT_SG_SH_SI_E_clIS7_S7_SB_PlEESF_SV_SG_SH_SI_EUlSV_E_NS1_11comp_targetILNS1_3genE5ELNS1_11target_archE942ELNS1_3gpuE9ELNS1_3repE0EEENS1_48merge_mergepath_partition_config_static_selectorELNS0_4arch9wavefront6targetE1EEEvSH_.numbered_sgpr, 0
	.set _ZN7rocprim17ROCPRIM_400000_NS6detail17trampoline_kernelINS0_14default_configENS1_38merge_sort_block_merge_config_selectorIalEEZZNS1_27merge_sort_block_merge_implIS3_PaN6thrust23THRUST_200600_302600_NS10device_ptrIlEEjNS1_19radix_merge_compareILb0ELb1EaNS0_19identity_decomposerEEEEE10hipError_tT0_T1_T2_jT3_P12ihipStream_tbPNSt15iterator_traitsISG_E10value_typeEPNSM_ISH_E10value_typeEPSI_NS1_7vsmem_tEENKUlT_SG_SH_SI_E_clIS7_S7_SB_PlEESF_SV_SG_SH_SI_EUlSV_E_NS1_11comp_targetILNS1_3genE5ELNS1_11target_archE942ELNS1_3gpuE9ELNS1_3repE0EEENS1_48merge_mergepath_partition_config_static_selectorELNS0_4arch9wavefront6targetE1EEEvSH_.num_named_barrier, 0
	.set _ZN7rocprim17ROCPRIM_400000_NS6detail17trampoline_kernelINS0_14default_configENS1_38merge_sort_block_merge_config_selectorIalEEZZNS1_27merge_sort_block_merge_implIS3_PaN6thrust23THRUST_200600_302600_NS10device_ptrIlEEjNS1_19radix_merge_compareILb0ELb1EaNS0_19identity_decomposerEEEEE10hipError_tT0_T1_T2_jT3_P12ihipStream_tbPNSt15iterator_traitsISG_E10value_typeEPNSM_ISH_E10value_typeEPSI_NS1_7vsmem_tEENKUlT_SG_SH_SI_E_clIS7_S7_SB_PlEESF_SV_SG_SH_SI_EUlSV_E_NS1_11comp_targetILNS1_3genE5ELNS1_11target_archE942ELNS1_3gpuE9ELNS1_3repE0EEENS1_48merge_mergepath_partition_config_static_selectorELNS0_4arch9wavefront6targetE1EEEvSH_.private_seg_size, 0
	.set _ZN7rocprim17ROCPRIM_400000_NS6detail17trampoline_kernelINS0_14default_configENS1_38merge_sort_block_merge_config_selectorIalEEZZNS1_27merge_sort_block_merge_implIS3_PaN6thrust23THRUST_200600_302600_NS10device_ptrIlEEjNS1_19radix_merge_compareILb0ELb1EaNS0_19identity_decomposerEEEEE10hipError_tT0_T1_T2_jT3_P12ihipStream_tbPNSt15iterator_traitsISG_E10value_typeEPNSM_ISH_E10value_typeEPSI_NS1_7vsmem_tEENKUlT_SG_SH_SI_E_clIS7_S7_SB_PlEESF_SV_SG_SH_SI_EUlSV_E_NS1_11comp_targetILNS1_3genE5ELNS1_11target_archE942ELNS1_3gpuE9ELNS1_3repE0EEENS1_48merge_mergepath_partition_config_static_selectorELNS0_4arch9wavefront6targetE1EEEvSH_.uses_vcc, 0
	.set _ZN7rocprim17ROCPRIM_400000_NS6detail17trampoline_kernelINS0_14default_configENS1_38merge_sort_block_merge_config_selectorIalEEZZNS1_27merge_sort_block_merge_implIS3_PaN6thrust23THRUST_200600_302600_NS10device_ptrIlEEjNS1_19radix_merge_compareILb0ELb1EaNS0_19identity_decomposerEEEEE10hipError_tT0_T1_T2_jT3_P12ihipStream_tbPNSt15iterator_traitsISG_E10value_typeEPNSM_ISH_E10value_typeEPSI_NS1_7vsmem_tEENKUlT_SG_SH_SI_E_clIS7_S7_SB_PlEESF_SV_SG_SH_SI_EUlSV_E_NS1_11comp_targetILNS1_3genE5ELNS1_11target_archE942ELNS1_3gpuE9ELNS1_3repE0EEENS1_48merge_mergepath_partition_config_static_selectorELNS0_4arch9wavefront6targetE1EEEvSH_.uses_flat_scratch, 0
	.set _ZN7rocprim17ROCPRIM_400000_NS6detail17trampoline_kernelINS0_14default_configENS1_38merge_sort_block_merge_config_selectorIalEEZZNS1_27merge_sort_block_merge_implIS3_PaN6thrust23THRUST_200600_302600_NS10device_ptrIlEEjNS1_19radix_merge_compareILb0ELb1EaNS0_19identity_decomposerEEEEE10hipError_tT0_T1_T2_jT3_P12ihipStream_tbPNSt15iterator_traitsISG_E10value_typeEPNSM_ISH_E10value_typeEPSI_NS1_7vsmem_tEENKUlT_SG_SH_SI_E_clIS7_S7_SB_PlEESF_SV_SG_SH_SI_EUlSV_E_NS1_11comp_targetILNS1_3genE5ELNS1_11target_archE942ELNS1_3gpuE9ELNS1_3repE0EEENS1_48merge_mergepath_partition_config_static_selectorELNS0_4arch9wavefront6targetE1EEEvSH_.has_dyn_sized_stack, 0
	.set _ZN7rocprim17ROCPRIM_400000_NS6detail17trampoline_kernelINS0_14default_configENS1_38merge_sort_block_merge_config_selectorIalEEZZNS1_27merge_sort_block_merge_implIS3_PaN6thrust23THRUST_200600_302600_NS10device_ptrIlEEjNS1_19radix_merge_compareILb0ELb1EaNS0_19identity_decomposerEEEEE10hipError_tT0_T1_T2_jT3_P12ihipStream_tbPNSt15iterator_traitsISG_E10value_typeEPNSM_ISH_E10value_typeEPSI_NS1_7vsmem_tEENKUlT_SG_SH_SI_E_clIS7_S7_SB_PlEESF_SV_SG_SH_SI_EUlSV_E_NS1_11comp_targetILNS1_3genE5ELNS1_11target_archE942ELNS1_3gpuE9ELNS1_3repE0EEENS1_48merge_mergepath_partition_config_static_selectorELNS0_4arch9wavefront6targetE1EEEvSH_.has_recursion, 0
	.set _ZN7rocprim17ROCPRIM_400000_NS6detail17trampoline_kernelINS0_14default_configENS1_38merge_sort_block_merge_config_selectorIalEEZZNS1_27merge_sort_block_merge_implIS3_PaN6thrust23THRUST_200600_302600_NS10device_ptrIlEEjNS1_19radix_merge_compareILb0ELb1EaNS0_19identity_decomposerEEEEE10hipError_tT0_T1_T2_jT3_P12ihipStream_tbPNSt15iterator_traitsISG_E10value_typeEPNSM_ISH_E10value_typeEPSI_NS1_7vsmem_tEENKUlT_SG_SH_SI_E_clIS7_S7_SB_PlEESF_SV_SG_SH_SI_EUlSV_E_NS1_11comp_targetILNS1_3genE5ELNS1_11target_archE942ELNS1_3gpuE9ELNS1_3repE0EEENS1_48merge_mergepath_partition_config_static_selectorELNS0_4arch9wavefront6targetE1EEEvSH_.has_indirect_call, 0
	.section	.AMDGPU.csdata,"",@progbits
; Kernel info:
; codeLenInByte = 0
; TotalNumSgprs: 4
; NumVgprs: 0
; ScratchSize: 0
; MemoryBound: 0
; FloatMode: 240
; IeeeMode: 1
; LDSByteSize: 0 bytes/workgroup (compile time only)
; SGPRBlocks: 0
; VGPRBlocks: 0
; NumSGPRsForWavesPerEU: 4
; NumVGPRsForWavesPerEU: 1
; Occupancy: 10
; WaveLimiterHint : 0
; COMPUTE_PGM_RSRC2:SCRATCH_EN: 0
; COMPUTE_PGM_RSRC2:USER_SGPR: 6
; COMPUTE_PGM_RSRC2:TRAP_HANDLER: 0
; COMPUTE_PGM_RSRC2:TGID_X_EN: 1
; COMPUTE_PGM_RSRC2:TGID_Y_EN: 0
; COMPUTE_PGM_RSRC2:TGID_Z_EN: 0
; COMPUTE_PGM_RSRC2:TIDIG_COMP_CNT: 0
	.section	.text._ZN7rocprim17ROCPRIM_400000_NS6detail17trampoline_kernelINS0_14default_configENS1_38merge_sort_block_merge_config_selectorIalEEZZNS1_27merge_sort_block_merge_implIS3_PaN6thrust23THRUST_200600_302600_NS10device_ptrIlEEjNS1_19radix_merge_compareILb0ELb1EaNS0_19identity_decomposerEEEEE10hipError_tT0_T1_T2_jT3_P12ihipStream_tbPNSt15iterator_traitsISG_E10value_typeEPNSM_ISH_E10value_typeEPSI_NS1_7vsmem_tEENKUlT_SG_SH_SI_E_clIS7_S7_SB_PlEESF_SV_SG_SH_SI_EUlSV_E_NS1_11comp_targetILNS1_3genE4ELNS1_11target_archE910ELNS1_3gpuE8ELNS1_3repE0EEENS1_48merge_mergepath_partition_config_static_selectorELNS0_4arch9wavefront6targetE1EEEvSH_,"axG",@progbits,_ZN7rocprim17ROCPRIM_400000_NS6detail17trampoline_kernelINS0_14default_configENS1_38merge_sort_block_merge_config_selectorIalEEZZNS1_27merge_sort_block_merge_implIS3_PaN6thrust23THRUST_200600_302600_NS10device_ptrIlEEjNS1_19radix_merge_compareILb0ELb1EaNS0_19identity_decomposerEEEEE10hipError_tT0_T1_T2_jT3_P12ihipStream_tbPNSt15iterator_traitsISG_E10value_typeEPNSM_ISH_E10value_typeEPSI_NS1_7vsmem_tEENKUlT_SG_SH_SI_E_clIS7_S7_SB_PlEESF_SV_SG_SH_SI_EUlSV_E_NS1_11comp_targetILNS1_3genE4ELNS1_11target_archE910ELNS1_3gpuE8ELNS1_3repE0EEENS1_48merge_mergepath_partition_config_static_selectorELNS0_4arch9wavefront6targetE1EEEvSH_,comdat
	.protected	_ZN7rocprim17ROCPRIM_400000_NS6detail17trampoline_kernelINS0_14default_configENS1_38merge_sort_block_merge_config_selectorIalEEZZNS1_27merge_sort_block_merge_implIS3_PaN6thrust23THRUST_200600_302600_NS10device_ptrIlEEjNS1_19radix_merge_compareILb0ELb1EaNS0_19identity_decomposerEEEEE10hipError_tT0_T1_T2_jT3_P12ihipStream_tbPNSt15iterator_traitsISG_E10value_typeEPNSM_ISH_E10value_typeEPSI_NS1_7vsmem_tEENKUlT_SG_SH_SI_E_clIS7_S7_SB_PlEESF_SV_SG_SH_SI_EUlSV_E_NS1_11comp_targetILNS1_3genE4ELNS1_11target_archE910ELNS1_3gpuE8ELNS1_3repE0EEENS1_48merge_mergepath_partition_config_static_selectorELNS0_4arch9wavefront6targetE1EEEvSH_ ; -- Begin function _ZN7rocprim17ROCPRIM_400000_NS6detail17trampoline_kernelINS0_14default_configENS1_38merge_sort_block_merge_config_selectorIalEEZZNS1_27merge_sort_block_merge_implIS3_PaN6thrust23THRUST_200600_302600_NS10device_ptrIlEEjNS1_19radix_merge_compareILb0ELb1EaNS0_19identity_decomposerEEEEE10hipError_tT0_T1_T2_jT3_P12ihipStream_tbPNSt15iterator_traitsISG_E10value_typeEPNSM_ISH_E10value_typeEPSI_NS1_7vsmem_tEENKUlT_SG_SH_SI_E_clIS7_S7_SB_PlEESF_SV_SG_SH_SI_EUlSV_E_NS1_11comp_targetILNS1_3genE4ELNS1_11target_archE910ELNS1_3gpuE8ELNS1_3repE0EEENS1_48merge_mergepath_partition_config_static_selectorELNS0_4arch9wavefront6targetE1EEEvSH_
	.globl	_ZN7rocprim17ROCPRIM_400000_NS6detail17trampoline_kernelINS0_14default_configENS1_38merge_sort_block_merge_config_selectorIalEEZZNS1_27merge_sort_block_merge_implIS3_PaN6thrust23THRUST_200600_302600_NS10device_ptrIlEEjNS1_19radix_merge_compareILb0ELb1EaNS0_19identity_decomposerEEEEE10hipError_tT0_T1_T2_jT3_P12ihipStream_tbPNSt15iterator_traitsISG_E10value_typeEPNSM_ISH_E10value_typeEPSI_NS1_7vsmem_tEENKUlT_SG_SH_SI_E_clIS7_S7_SB_PlEESF_SV_SG_SH_SI_EUlSV_E_NS1_11comp_targetILNS1_3genE4ELNS1_11target_archE910ELNS1_3gpuE8ELNS1_3repE0EEENS1_48merge_mergepath_partition_config_static_selectorELNS0_4arch9wavefront6targetE1EEEvSH_
	.p2align	8
	.type	_ZN7rocprim17ROCPRIM_400000_NS6detail17trampoline_kernelINS0_14default_configENS1_38merge_sort_block_merge_config_selectorIalEEZZNS1_27merge_sort_block_merge_implIS3_PaN6thrust23THRUST_200600_302600_NS10device_ptrIlEEjNS1_19radix_merge_compareILb0ELb1EaNS0_19identity_decomposerEEEEE10hipError_tT0_T1_T2_jT3_P12ihipStream_tbPNSt15iterator_traitsISG_E10value_typeEPNSM_ISH_E10value_typeEPSI_NS1_7vsmem_tEENKUlT_SG_SH_SI_E_clIS7_S7_SB_PlEESF_SV_SG_SH_SI_EUlSV_E_NS1_11comp_targetILNS1_3genE4ELNS1_11target_archE910ELNS1_3gpuE8ELNS1_3repE0EEENS1_48merge_mergepath_partition_config_static_selectorELNS0_4arch9wavefront6targetE1EEEvSH_,@function
_ZN7rocprim17ROCPRIM_400000_NS6detail17trampoline_kernelINS0_14default_configENS1_38merge_sort_block_merge_config_selectorIalEEZZNS1_27merge_sort_block_merge_implIS3_PaN6thrust23THRUST_200600_302600_NS10device_ptrIlEEjNS1_19radix_merge_compareILb0ELb1EaNS0_19identity_decomposerEEEEE10hipError_tT0_T1_T2_jT3_P12ihipStream_tbPNSt15iterator_traitsISG_E10value_typeEPNSM_ISH_E10value_typeEPSI_NS1_7vsmem_tEENKUlT_SG_SH_SI_E_clIS7_S7_SB_PlEESF_SV_SG_SH_SI_EUlSV_E_NS1_11comp_targetILNS1_3genE4ELNS1_11target_archE910ELNS1_3gpuE8ELNS1_3repE0EEENS1_48merge_mergepath_partition_config_static_selectorELNS0_4arch9wavefront6targetE1EEEvSH_: ; @_ZN7rocprim17ROCPRIM_400000_NS6detail17trampoline_kernelINS0_14default_configENS1_38merge_sort_block_merge_config_selectorIalEEZZNS1_27merge_sort_block_merge_implIS3_PaN6thrust23THRUST_200600_302600_NS10device_ptrIlEEjNS1_19radix_merge_compareILb0ELb1EaNS0_19identity_decomposerEEEEE10hipError_tT0_T1_T2_jT3_P12ihipStream_tbPNSt15iterator_traitsISG_E10value_typeEPNSM_ISH_E10value_typeEPSI_NS1_7vsmem_tEENKUlT_SG_SH_SI_E_clIS7_S7_SB_PlEESF_SV_SG_SH_SI_EUlSV_E_NS1_11comp_targetILNS1_3genE4ELNS1_11target_archE910ELNS1_3gpuE8ELNS1_3repE0EEENS1_48merge_mergepath_partition_config_static_selectorELNS0_4arch9wavefront6targetE1EEEvSH_
; %bb.0:
	.section	.rodata,"a",@progbits
	.p2align	6, 0x0
	.amdhsa_kernel _ZN7rocprim17ROCPRIM_400000_NS6detail17trampoline_kernelINS0_14default_configENS1_38merge_sort_block_merge_config_selectorIalEEZZNS1_27merge_sort_block_merge_implIS3_PaN6thrust23THRUST_200600_302600_NS10device_ptrIlEEjNS1_19radix_merge_compareILb0ELb1EaNS0_19identity_decomposerEEEEE10hipError_tT0_T1_T2_jT3_P12ihipStream_tbPNSt15iterator_traitsISG_E10value_typeEPNSM_ISH_E10value_typeEPSI_NS1_7vsmem_tEENKUlT_SG_SH_SI_E_clIS7_S7_SB_PlEESF_SV_SG_SH_SI_EUlSV_E_NS1_11comp_targetILNS1_3genE4ELNS1_11target_archE910ELNS1_3gpuE8ELNS1_3repE0EEENS1_48merge_mergepath_partition_config_static_selectorELNS0_4arch9wavefront6targetE1EEEvSH_
		.amdhsa_group_segment_fixed_size 0
		.amdhsa_private_segment_fixed_size 0
		.amdhsa_kernarg_size 40
		.amdhsa_user_sgpr_count 6
		.amdhsa_user_sgpr_private_segment_buffer 1
		.amdhsa_user_sgpr_dispatch_ptr 0
		.amdhsa_user_sgpr_queue_ptr 0
		.amdhsa_user_sgpr_kernarg_segment_ptr 1
		.amdhsa_user_sgpr_dispatch_id 0
		.amdhsa_user_sgpr_flat_scratch_init 0
		.amdhsa_user_sgpr_private_segment_size 0
		.amdhsa_uses_dynamic_stack 0
		.amdhsa_system_sgpr_private_segment_wavefront_offset 0
		.amdhsa_system_sgpr_workgroup_id_x 1
		.amdhsa_system_sgpr_workgroup_id_y 0
		.amdhsa_system_sgpr_workgroup_id_z 0
		.amdhsa_system_sgpr_workgroup_info 0
		.amdhsa_system_vgpr_workitem_id 0
		.amdhsa_next_free_vgpr 1
		.amdhsa_next_free_sgpr 0
		.amdhsa_reserve_vcc 0
		.amdhsa_reserve_flat_scratch 0
		.amdhsa_float_round_mode_32 0
		.amdhsa_float_round_mode_16_64 0
		.amdhsa_float_denorm_mode_32 3
		.amdhsa_float_denorm_mode_16_64 3
		.amdhsa_dx10_clamp 1
		.amdhsa_ieee_mode 1
		.amdhsa_fp16_overflow 0
		.amdhsa_exception_fp_ieee_invalid_op 0
		.amdhsa_exception_fp_denorm_src 0
		.amdhsa_exception_fp_ieee_div_zero 0
		.amdhsa_exception_fp_ieee_overflow 0
		.amdhsa_exception_fp_ieee_underflow 0
		.amdhsa_exception_fp_ieee_inexact 0
		.amdhsa_exception_int_div_zero 0
	.end_amdhsa_kernel
	.section	.text._ZN7rocprim17ROCPRIM_400000_NS6detail17trampoline_kernelINS0_14default_configENS1_38merge_sort_block_merge_config_selectorIalEEZZNS1_27merge_sort_block_merge_implIS3_PaN6thrust23THRUST_200600_302600_NS10device_ptrIlEEjNS1_19radix_merge_compareILb0ELb1EaNS0_19identity_decomposerEEEEE10hipError_tT0_T1_T2_jT3_P12ihipStream_tbPNSt15iterator_traitsISG_E10value_typeEPNSM_ISH_E10value_typeEPSI_NS1_7vsmem_tEENKUlT_SG_SH_SI_E_clIS7_S7_SB_PlEESF_SV_SG_SH_SI_EUlSV_E_NS1_11comp_targetILNS1_3genE4ELNS1_11target_archE910ELNS1_3gpuE8ELNS1_3repE0EEENS1_48merge_mergepath_partition_config_static_selectorELNS0_4arch9wavefront6targetE1EEEvSH_,"axG",@progbits,_ZN7rocprim17ROCPRIM_400000_NS6detail17trampoline_kernelINS0_14default_configENS1_38merge_sort_block_merge_config_selectorIalEEZZNS1_27merge_sort_block_merge_implIS3_PaN6thrust23THRUST_200600_302600_NS10device_ptrIlEEjNS1_19radix_merge_compareILb0ELb1EaNS0_19identity_decomposerEEEEE10hipError_tT0_T1_T2_jT3_P12ihipStream_tbPNSt15iterator_traitsISG_E10value_typeEPNSM_ISH_E10value_typeEPSI_NS1_7vsmem_tEENKUlT_SG_SH_SI_E_clIS7_S7_SB_PlEESF_SV_SG_SH_SI_EUlSV_E_NS1_11comp_targetILNS1_3genE4ELNS1_11target_archE910ELNS1_3gpuE8ELNS1_3repE0EEENS1_48merge_mergepath_partition_config_static_selectorELNS0_4arch9wavefront6targetE1EEEvSH_,comdat
.Lfunc_end561:
	.size	_ZN7rocprim17ROCPRIM_400000_NS6detail17trampoline_kernelINS0_14default_configENS1_38merge_sort_block_merge_config_selectorIalEEZZNS1_27merge_sort_block_merge_implIS3_PaN6thrust23THRUST_200600_302600_NS10device_ptrIlEEjNS1_19radix_merge_compareILb0ELb1EaNS0_19identity_decomposerEEEEE10hipError_tT0_T1_T2_jT3_P12ihipStream_tbPNSt15iterator_traitsISG_E10value_typeEPNSM_ISH_E10value_typeEPSI_NS1_7vsmem_tEENKUlT_SG_SH_SI_E_clIS7_S7_SB_PlEESF_SV_SG_SH_SI_EUlSV_E_NS1_11comp_targetILNS1_3genE4ELNS1_11target_archE910ELNS1_3gpuE8ELNS1_3repE0EEENS1_48merge_mergepath_partition_config_static_selectorELNS0_4arch9wavefront6targetE1EEEvSH_, .Lfunc_end561-_ZN7rocprim17ROCPRIM_400000_NS6detail17trampoline_kernelINS0_14default_configENS1_38merge_sort_block_merge_config_selectorIalEEZZNS1_27merge_sort_block_merge_implIS3_PaN6thrust23THRUST_200600_302600_NS10device_ptrIlEEjNS1_19radix_merge_compareILb0ELb1EaNS0_19identity_decomposerEEEEE10hipError_tT0_T1_T2_jT3_P12ihipStream_tbPNSt15iterator_traitsISG_E10value_typeEPNSM_ISH_E10value_typeEPSI_NS1_7vsmem_tEENKUlT_SG_SH_SI_E_clIS7_S7_SB_PlEESF_SV_SG_SH_SI_EUlSV_E_NS1_11comp_targetILNS1_3genE4ELNS1_11target_archE910ELNS1_3gpuE8ELNS1_3repE0EEENS1_48merge_mergepath_partition_config_static_selectorELNS0_4arch9wavefront6targetE1EEEvSH_
                                        ; -- End function
	.set _ZN7rocprim17ROCPRIM_400000_NS6detail17trampoline_kernelINS0_14default_configENS1_38merge_sort_block_merge_config_selectorIalEEZZNS1_27merge_sort_block_merge_implIS3_PaN6thrust23THRUST_200600_302600_NS10device_ptrIlEEjNS1_19radix_merge_compareILb0ELb1EaNS0_19identity_decomposerEEEEE10hipError_tT0_T1_T2_jT3_P12ihipStream_tbPNSt15iterator_traitsISG_E10value_typeEPNSM_ISH_E10value_typeEPSI_NS1_7vsmem_tEENKUlT_SG_SH_SI_E_clIS7_S7_SB_PlEESF_SV_SG_SH_SI_EUlSV_E_NS1_11comp_targetILNS1_3genE4ELNS1_11target_archE910ELNS1_3gpuE8ELNS1_3repE0EEENS1_48merge_mergepath_partition_config_static_selectorELNS0_4arch9wavefront6targetE1EEEvSH_.num_vgpr, 0
	.set _ZN7rocprim17ROCPRIM_400000_NS6detail17trampoline_kernelINS0_14default_configENS1_38merge_sort_block_merge_config_selectorIalEEZZNS1_27merge_sort_block_merge_implIS3_PaN6thrust23THRUST_200600_302600_NS10device_ptrIlEEjNS1_19radix_merge_compareILb0ELb1EaNS0_19identity_decomposerEEEEE10hipError_tT0_T1_T2_jT3_P12ihipStream_tbPNSt15iterator_traitsISG_E10value_typeEPNSM_ISH_E10value_typeEPSI_NS1_7vsmem_tEENKUlT_SG_SH_SI_E_clIS7_S7_SB_PlEESF_SV_SG_SH_SI_EUlSV_E_NS1_11comp_targetILNS1_3genE4ELNS1_11target_archE910ELNS1_3gpuE8ELNS1_3repE0EEENS1_48merge_mergepath_partition_config_static_selectorELNS0_4arch9wavefront6targetE1EEEvSH_.num_agpr, 0
	.set _ZN7rocprim17ROCPRIM_400000_NS6detail17trampoline_kernelINS0_14default_configENS1_38merge_sort_block_merge_config_selectorIalEEZZNS1_27merge_sort_block_merge_implIS3_PaN6thrust23THRUST_200600_302600_NS10device_ptrIlEEjNS1_19radix_merge_compareILb0ELb1EaNS0_19identity_decomposerEEEEE10hipError_tT0_T1_T2_jT3_P12ihipStream_tbPNSt15iterator_traitsISG_E10value_typeEPNSM_ISH_E10value_typeEPSI_NS1_7vsmem_tEENKUlT_SG_SH_SI_E_clIS7_S7_SB_PlEESF_SV_SG_SH_SI_EUlSV_E_NS1_11comp_targetILNS1_3genE4ELNS1_11target_archE910ELNS1_3gpuE8ELNS1_3repE0EEENS1_48merge_mergepath_partition_config_static_selectorELNS0_4arch9wavefront6targetE1EEEvSH_.numbered_sgpr, 0
	.set _ZN7rocprim17ROCPRIM_400000_NS6detail17trampoline_kernelINS0_14default_configENS1_38merge_sort_block_merge_config_selectorIalEEZZNS1_27merge_sort_block_merge_implIS3_PaN6thrust23THRUST_200600_302600_NS10device_ptrIlEEjNS1_19radix_merge_compareILb0ELb1EaNS0_19identity_decomposerEEEEE10hipError_tT0_T1_T2_jT3_P12ihipStream_tbPNSt15iterator_traitsISG_E10value_typeEPNSM_ISH_E10value_typeEPSI_NS1_7vsmem_tEENKUlT_SG_SH_SI_E_clIS7_S7_SB_PlEESF_SV_SG_SH_SI_EUlSV_E_NS1_11comp_targetILNS1_3genE4ELNS1_11target_archE910ELNS1_3gpuE8ELNS1_3repE0EEENS1_48merge_mergepath_partition_config_static_selectorELNS0_4arch9wavefront6targetE1EEEvSH_.num_named_barrier, 0
	.set _ZN7rocprim17ROCPRIM_400000_NS6detail17trampoline_kernelINS0_14default_configENS1_38merge_sort_block_merge_config_selectorIalEEZZNS1_27merge_sort_block_merge_implIS3_PaN6thrust23THRUST_200600_302600_NS10device_ptrIlEEjNS1_19radix_merge_compareILb0ELb1EaNS0_19identity_decomposerEEEEE10hipError_tT0_T1_T2_jT3_P12ihipStream_tbPNSt15iterator_traitsISG_E10value_typeEPNSM_ISH_E10value_typeEPSI_NS1_7vsmem_tEENKUlT_SG_SH_SI_E_clIS7_S7_SB_PlEESF_SV_SG_SH_SI_EUlSV_E_NS1_11comp_targetILNS1_3genE4ELNS1_11target_archE910ELNS1_3gpuE8ELNS1_3repE0EEENS1_48merge_mergepath_partition_config_static_selectorELNS0_4arch9wavefront6targetE1EEEvSH_.private_seg_size, 0
	.set _ZN7rocprim17ROCPRIM_400000_NS6detail17trampoline_kernelINS0_14default_configENS1_38merge_sort_block_merge_config_selectorIalEEZZNS1_27merge_sort_block_merge_implIS3_PaN6thrust23THRUST_200600_302600_NS10device_ptrIlEEjNS1_19radix_merge_compareILb0ELb1EaNS0_19identity_decomposerEEEEE10hipError_tT0_T1_T2_jT3_P12ihipStream_tbPNSt15iterator_traitsISG_E10value_typeEPNSM_ISH_E10value_typeEPSI_NS1_7vsmem_tEENKUlT_SG_SH_SI_E_clIS7_S7_SB_PlEESF_SV_SG_SH_SI_EUlSV_E_NS1_11comp_targetILNS1_3genE4ELNS1_11target_archE910ELNS1_3gpuE8ELNS1_3repE0EEENS1_48merge_mergepath_partition_config_static_selectorELNS0_4arch9wavefront6targetE1EEEvSH_.uses_vcc, 0
	.set _ZN7rocprim17ROCPRIM_400000_NS6detail17trampoline_kernelINS0_14default_configENS1_38merge_sort_block_merge_config_selectorIalEEZZNS1_27merge_sort_block_merge_implIS3_PaN6thrust23THRUST_200600_302600_NS10device_ptrIlEEjNS1_19radix_merge_compareILb0ELb1EaNS0_19identity_decomposerEEEEE10hipError_tT0_T1_T2_jT3_P12ihipStream_tbPNSt15iterator_traitsISG_E10value_typeEPNSM_ISH_E10value_typeEPSI_NS1_7vsmem_tEENKUlT_SG_SH_SI_E_clIS7_S7_SB_PlEESF_SV_SG_SH_SI_EUlSV_E_NS1_11comp_targetILNS1_3genE4ELNS1_11target_archE910ELNS1_3gpuE8ELNS1_3repE0EEENS1_48merge_mergepath_partition_config_static_selectorELNS0_4arch9wavefront6targetE1EEEvSH_.uses_flat_scratch, 0
	.set _ZN7rocprim17ROCPRIM_400000_NS6detail17trampoline_kernelINS0_14default_configENS1_38merge_sort_block_merge_config_selectorIalEEZZNS1_27merge_sort_block_merge_implIS3_PaN6thrust23THRUST_200600_302600_NS10device_ptrIlEEjNS1_19radix_merge_compareILb0ELb1EaNS0_19identity_decomposerEEEEE10hipError_tT0_T1_T2_jT3_P12ihipStream_tbPNSt15iterator_traitsISG_E10value_typeEPNSM_ISH_E10value_typeEPSI_NS1_7vsmem_tEENKUlT_SG_SH_SI_E_clIS7_S7_SB_PlEESF_SV_SG_SH_SI_EUlSV_E_NS1_11comp_targetILNS1_3genE4ELNS1_11target_archE910ELNS1_3gpuE8ELNS1_3repE0EEENS1_48merge_mergepath_partition_config_static_selectorELNS0_4arch9wavefront6targetE1EEEvSH_.has_dyn_sized_stack, 0
	.set _ZN7rocprim17ROCPRIM_400000_NS6detail17trampoline_kernelINS0_14default_configENS1_38merge_sort_block_merge_config_selectorIalEEZZNS1_27merge_sort_block_merge_implIS3_PaN6thrust23THRUST_200600_302600_NS10device_ptrIlEEjNS1_19radix_merge_compareILb0ELb1EaNS0_19identity_decomposerEEEEE10hipError_tT0_T1_T2_jT3_P12ihipStream_tbPNSt15iterator_traitsISG_E10value_typeEPNSM_ISH_E10value_typeEPSI_NS1_7vsmem_tEENKUlT_SG_SH_SI_E_clIS7_S7_SB_PlEESF_SV_SG_SH_SI_EUlSV_E_NS1_11comp_targetILNS1_3genE4ELNS1_11target_archE910ELNS1_3gpuE8ELNS1_3repE0EEENS1_48merge_mergepath_partition_config_static_selectorELNS0_4arch9wavefront6targetE1EEEvSH_.has_recursion, 0
	.set _ZN7rocprim17ROCPRIM_400000_NS6detail17trampoline_kernelINS0_14default_configENS1_38merge_sort_block_merge_config_selectorIalEEZZNS1_27merge_sort_block_merge_implIS3_PaN6thrust23THRUST_200600_302600_NS10device_ptrIlEEjNS1_19radix_merge_compareILb0ELb1EaNS0_19identity_decomposerEEEEE10hipError_tT0_T1_T2_jT3_P12ihipStream_tbPNSt15iterator_traitsISG_E10value_typeEPNSM_ISH_E10value_typeEPSI_NS1_7vsmem_tEENKUlT_SG_SH_SI_E_clIS7_S7_SB_PlEESF_SV_SG_SH_SI_EUlSV_E_NS1_11comp_targetILNS1_3genE4ELNS1_11target_archE910ELNS1_3gpuE8ELNS1_3repE0EEENS1_48merge_mergepath_partition_config_static_selectorELNS0_4arch9wavefront6targetE1EEEvSH_.has_indirect_call, 0
	.section	.AMDGPU.csdata,"",@progbits
; Kernel info:
; codeLenInByte = 0
; TotalNumSgprs: 4
; NumVgprs: 0
; ScratchSize: 0
; MemoryBound: 0
; FloatMode: 240
; IeeeMode: 1
; LDSByteSize: 0 bytes/workgroup (compile time only)
; SGPRBlocks: 0
; VGPRBlocks: 0
; NumSGPRsForWavesPerEU: 4
; NumVGPRsForWavesPerEU: 1
; Occupancy: 10
; WaveLimiterHint : 0
; COMPUTE_PGM_RSRC2:SCRATCH_EN: 0
; COMPUTE_PGM_RSRC2:USER_SGPR: 6
; COMPUTE_PGM_RSRC2:TRAP_HANDLER: 0
; COMPUTE_PGM_RSRC2:TGID_X_EN: 1
; COMPUTE_PGM_RSRC2:TGID_Y_EN: 0
; COMPUTE_PGM_RSRC2:TGID_Z_EN: 0
; COMPUTE_PGM_RSRC2:TIDIG_COMP_CNT: 0
	.section	.text._ZN7rocprim17ROCPRIM_400000_NS6detail17trampoline_kernelINS0_14default_configENS1_38merge_sort_block_merge_config_selectorIalEEZZNS1_27merge_sort_block_merge_implIS3_PaN6thrust23THRUST_200600_302600_NS10device_ptrIlEEjNS1_19radix_merge_compareILb0ELb1EaNS0_19identity_decomposerEEEEE10hipError_tT0_T1_T2_jT3_P12ihipStream_tbPNSt15iterator_traitsISG_E10value_typeEPNSM_ISH_E10value_typeEPSI_NS1_7vsmem_tEENKUlT_SG_SH_SI_E_clIS7_S7_SB_PlEESF_SV_SG_SH_SI_EUlSV_E_NS1_11comp_targetILNS1_3genE3ELNS1_11target_archE908ELNS1_3gpuE7ELNS1_3repE0EEENS1_48merge_mergepath_partition_config_static_selectorELNS0_4arch9wavefront6targetE1EEEvSH_,"axG",@progbits,_ZN7rocprim17ROCPRIM_400000_NS6detail17trampoline_kernelINS0_14default_configENS1_38merge_sort_block_merge_config_selectorIalEEZZNS1_27merge_sort_block_merge_implIS3_PaN6thrust23THRUST_200600_302600_NS10device_ptrIlEEjNS1_19radix_merge_compareILb0ELb1EaNS0_19identity_decomposerEEEEE10hipError_tT0_T1_T2_jT3_P12ihipStream_tbPNSt15iterator_traitsISG_E10value_typeEPNSM_ISH_E10value_typeEPSI_NS1_7vsmem_tEENKUlT_SG_SH_SI_E_clIS7_S7_SB_PlEESF_SV_SG_SH_SI_EUlSV_E_NS1_11comp_targetILNS1_3genE3ELNS1_11target_archE908ELNS1_3gpuE7ELNS1_3repE0EEENS1_48merge_mergepath_partition_config_static_selectorELNS0_4arch9wavefront6targetE1EEEvSH_,comdat
	.protected	_ZN7rocprim17ROCPRIM_400000_NS6detail17trampoline_kernelINS0_14default_configENS1_38merge_sort_block_merge_config_selectorIalEEZZNS1_27merge_sort_block_merge_implIS3_PaN6thrust23THRUST_200600_302600_NS10device_ptrIlEEjNS1_19radix_merge_compareILb0ELb1EaNS0_19identity_decomposerEEEEE10hipError_tT0_T1_T2_jT3_P12ihipStream_tbPNSt15iterator_traitsISG_E10value_typeEPNSM_ISH_E10value_typeEPSI_NS1_7vsmem_tEENKUlT_SG_SH_SI_E_clIS7_S7_SB_PlEESF_SV_SG_SH_SI_EUlSV_E_NS1_11comp_targetILNS1_3genE3ELNS1_11target_archE908ELNS1_3gpuE7ELNS1_3repE0EEENS1_48merge_mergepath_partition_config_static_selectorELNS0_4arch9wavefront6targetE1EEEvSH_ ; -- Begin function _ZN7rocprim17ROCPRIM_400000_NS6detail17trampoline_kernelINS0_14default_configENS1_38merge_sort_block_merge_config_selectorIalEEZZNS1_27merge_sort_block_merge_implIS3_PaN6thrust23THRUST_200600_302600_NS10device_ptrIlEEjNS1_19radix_merge_compareILb0ELb1EaNS0_19identity_decomposerEEEEE10hipError_tT0_T1_T2_jT3_P12ihipStream_tbPNSt15iterator_traitsISG_E10value_typeEPNSM_ISH_E10value_typeEPSI_NS1_7vsmem_tEENKUlT_SG_SH_SI_E_clIS7_S7_SB_PlEESF_SV_SG_SH_SI_EUlSV_E_NS1_11comp_targetILNS1_3genE3ELNS1_11target_archE908ELNS1_3gpuE7ELNS1_3repE0EEENS1_48merge_mergepath_partition_config_static_selectorELNS0_4arch9wavefront6targetE1EEEvSH_
	.globl	_ZN7rocprim17ROCPRIM_400000_NS6detail17trampoline_kernelINS0_14default_configENS1_38merge_sort_block_merge_config_selectorIalEEZZNS1_27merge_sort_block_merge_implIS3_PaN6thrust23THRUST_200600_302600_NS10device_ptrIlEEjNS1_19radix_merge_compareILb0ELb1EaNS0_19identity_decomposerEEEEE10hipError_tT0_T1_T2_jT3_P12ihipStream_tbPNSt15iterator_traitsISG_E10value_typeEPNSM_ISH_E10value_typeEPSI_NS1_7vsmem_tEENKUlT_SG_SH_SI_E_clIS7_S7_SB_PlEESF_SV_SG_SH_SI_EUlSV_E_NS1_11comp_targetILNS1_3genE3ELNS1_11target_archE908ELNS1_3gpuE7ELNS1_3repE0EEENS1_48merge_mergepath_partition_config_static_selectorELNS0_4arch9wavefront6targetE1EEEvSH_
	.p2align	8
	.type	_ZN7rocprim17ROCPRIM_400000_NS6detail17trampoline_kernelINS0_14default_configENS1_38merge_sort_block_merge_config_selectorIalEEZZNS1_27merge_sort_block_merge_implIS3_PaN6thrust23THRUST_200600_302600_NS10device_ptrIlEEjNS1_19radix_merge_compareILb0ELb1EaNS0_19identity_decomposerEEEEE10hipError_tT0_T1_T2_jT3_P12ihipStream_tbPNSt15iterator_traitsISG_E10value_typeEPNSM_ISH_E10value_typeEPSI_NS1_7vsmem_tEENKUlT_SG_SH_SI_E_clIS7_S7_SB_PlEESF_SV_SG_SH_SI_EUlSV_E_NS1_11comp_targetILNS1_3genE3ELNS1_11target_archE908ELNS1_3gpuE7ELNS1_3repE0EEENS1_48merge_mergepath_partition_config_static_selectorELNS0_4arch9wavefront6targetE1EEEvSH_,@function
_ZN7rocprim17ROCPRIM_400000_NS6detail17trampoline_kernelINS0_14default_configENS1_38merge_sort_block_merge_config_selectorIalEEZZNS1_27merge_sort_block_merge_implIS3_PaN6thrust23THRUST_200600_302600_NS10device_ptrIlEEjNS1_19radix_merge_compareILb0ELb1EaNS0_19identity_decomposerEEEEE10hipError_tT0_T1_T2_jT3_P12ihipStream_tbPNSt15iterator_traitsISG_E10value_typeEPNSM_ISH_E10value_typeEPSI_NS1_7vsmem_tEENKUlT_SG_SH_SI_E_clIS7_S7_SB_PlEESF_SV_SG_SH_SI_EUlSV_E_NS1_11comp_targetILNS1_3genE3ELNS1_11target_archE908ELNS1_3gpuE7ELNS1_3repE0EEENS1_48merge_mergepath_partition_config_static_selectorELNS0_4arch9wavefront6targetE1EEEvSH_: ; @_ZN7rocprim17ROCPRIM_400000_NS6detail17trampoline_kernelINS0_14default_configENS1_38merge_sort_block_merge_config_selectorIalEEZZNS1_27merge_sort_block_merge_implIS3_PaN6thrust23THRUST_200600_302600_NS10device_ptrIlEEjNS1_19radix_merge_compareILb0ELb1EaNS0_19identity_decomposerEEEEE10hipError_tT0_T1_T2_jT3_P12ihipStream_tbPNSt15iterator_traitsISG_E10value_typeEPNSM_ISH_E10value_typeEPSI_NS1_7vsmem_tEENKUlT_SG_SH_SI_E_clIS7_S7_SB_PlEESF_SV_SG_SH_SI_EUlSV_E_NS1_11comp_targetILNS1_3genE3ELNS1_11target_archE908ELNS1_3gpuE7ELNS1_3repE0EEENS1_48merge_mergepath_partition_config_static_selectorELNS0_4arch9wavefront6targetE1EEEvSH_
; %bb.0:
	.section	.rodata,"a",@progbits
	.p2align	6, 0x0
	.amdhsa_kernel _ZN7rocprim17ROCPRIM_400000_NS6detail17trampoline_kernelINS0_14default_configENS1_38merge_sort_block_merge_config_selectorIalEEZZNS1_27merge_sort_block_merge_implIS3_PaN6thrust23THRUST_200600_302600_NS10device_ptrIlEEjNS1_19radix_merge_compareILb0ELb1EaNS0_19identity_decomposerEEEEE10hipError_tT0_T1_T2_jT3_P12ihipStream_tbPNSt15iterator_traitsISG_E10value_typeEPNSM_ISH_E10value_typeEPSI_NS1_7vsmem_tEENKUlT_SG_SH_SI_E_clIS7_S7_SB_PlEESF_SV_SG_SH_SI_EUlSV_E_NS1_11comp_targetILNS1_3genE3ELNS1_11target_archE908ELNS1_3gpuE7ELNS1_3repE0EEENS1_48merge_mergepath_partition_config_static_selectorELNS0_4arch9wavefront6targetE1EEEvSH_
		.amdhsa_group_segment_fixed_size 0
		.amdhsa_private_segment_fixed_size 0
		.amdhsa_kernarg_size 40
		.amdhsa_user_sgpr_count 6
		.amdhsa_user_sgpr_private_segment_buffer 1
		.amdhsa_user_sgpr_dispatch_ptr 0
		.amdhsa_user_sgpr_queue_ptr 0
		.amdhsa_user_sgpr_kernarg_segment_ptr 1
		.amdhsa_user_sgpr_dispatch_id 0
		.amdhsa_user_sgpr_flat_scratch_init 0
		.amdhsa_user_sgpr_private_segment_size 0
		.amdhsa_uses_dynamic_stack 0
		.amdhsa_system_sgpr_private_segment_wavefront_offset 0
		.amdhsa_system_sgpr_workgroup_id_x 1
		.amdhsa_system_sgpr_workgroup_id_y 0
		.amdhsa_system_sgpr_workgroup_id_z 0
		.amdhsa_system_sgpr_workgroup_info 0
		.amdhsa_system_vgpr_workitem_id 0
		.amdhsa_next_free_vgpr 1
		.amdhsa_next_free_sgpr 0
		.amdhsa_reserve_vcc 0
		.amdhsa_reserve_flat_scratch 0
		.amdhsa_float_round_mode_32 0
		.amdhsa_float_round_mode_16_64 0
		.amdhsa_float_denorm_mode_32 3
		.amdhsa_float_denorm_mode_16_64 3
		.amdhsa_dx10_clamp 1
		.amdhsa_ieee_mode 1
		.amdhsa_fp16_overflow 0
		.amdhsa_exception_fp_ieee_invalid_op 0
		.amdhsa_exception_fp_denorm_src 0
		.amdhsa_exception_fp_ieee_div_zero 0
		.amdhsa_exception_fp_ieee_overflow 0
		.amdhsa_exception_fp_ieee_underflow 0
		.amdhsa_exception_fp_ieee_inexact 0
		.amdhsa_exception_int_div_zero 0
	.end_amdhsa_kernel
	.section	.text._ZN7rocprim17ROCPRIM_400000_NS6detail17trampoline_kernelINS0_14default_configENS1_38merge_sort_block_merge_config_selectorIalEEZZNS1_27merge_sort_block_merge_implIS3_PaN6thrust23THRUST_200600_302600_NS10device_ptrIlEEjNS1_19radix_merge_compareILb0ELb1EaNS0_19identity_decomposerEEEEE10hipError_tT0_T1_T2_jT3_P12ihipStream_tbPNSt15iterator_traitsISG_E10value_typeEPNSM_ISH_E10value_typeEPSI_NS1_7vsmem_tEENKUlT_SG_SH_SI_E_clIS7_S7_SB_PlEESF_SV_SG_SH_SI_EUlSV_E_NS1_11comp_targetILNS1_3genE3ELNS1_11target_archE908ELNS1_3gpuE7ELNS1_3repE0EEENS1_48merge_mergepath_partition_config_static_selectorELNS0_4arch9wavefront6targetE1EEEvSH_,"axG",@progbits,_ZN7rocprim17ROCPRIM_400000_NS6detail17trampoline_kernelINS0_14default_configENS1_38merge_sort_block_merge_config_selectorIalEEZZNS1_27merge_sort_block_merge_implIS3_PaN6thrust23THRUST_200600_302600_NS10device_ptrIlEEjNS1_19radix_merge_compareILb0ELb1EaNS0_19identity_decomposerEEEEE10hipError_tT0_T1_T2_jT3_P12ihipStream_tbPNSt15iterator_traitsISG_E10value_typeEPNSM_ISH_E10value_typeEPSI_NS1_7vsmem_tEENKUlT_SG_SH_SI_E_clIS7_S7_SB_PlEESF_SV_SG_SH_SI_EUlSV_E_NS1_11comp_targetILNS1_3genE3ELNS1_11target_archE908ELNS1_3gpuE7ELNS1_3repE0EEENS1_48merge_mergepath_partition_config_static_selectorELNS0_4arch9wavefront6targetE1EEEvSH_,comdat
.Lfunc_end562:
	.size	_ZN7rocprim17ROCPRIM_400000_NS6detail17trampoline_kernelINS0_14default_configENS1_38merge_sort_block_merge_config_selectorIalEEZZNS1_27merge_sort_block_merge_implIS3_PaN6thrust23THRUST_200600_302600_NS10device_ptrIlEEjNS1_19radix_merge_compareILb0ELb1EaNS0_19identity_decomposerEEEEE10hipError_tT0_T1_T2_jT3_P12ihipStream_tbPNSt15iterator_traitsISG_E10value_typeEPNSM_ISH_E10value_typeEPSI_NS1_7vsmem_tEENKUlT_SG_SH_SI_E_clIS7_S7_SB_PlEESF_SV_SG_SH_SI_EUlSV_E_NS1_11comp_targetILNS1_3genE3ELNS1_11target_archE908ELNS1_3gpuE7ELNS1_3repE0EEENS1_48merge_mergepath_partition_config_static_selectorELNS0_4arch9wavefront6targetE1EEEvSH_, .Lfunc_end562-_ZN7rocprim17ROCPRIM_400000_NS6detail17trampoline_kernelINS0_14default_configENS1_38merge_sort_block_merge_config_selectorIalEEZZNS1_27merge_sort_block_merge_implIS3_PaN6thrust23THRUST_200600_302600_NS10device_ptrIlEEjNS1_19radix_merge_compareILb0ELb1EaNS0_19identity_decomposerEEEEE10hipError_tT0_T1_T2_jT3_P12ihipStream_tbPNSt15iterator_traitsISG_E10value_typeEPNSM_ISH_E10value_typeEPSI_NS1_7vsmem_tEENKUlT_SG_SH_SI_E_clIS7_S7_SB_PlEESF_SV_SG_SH_SI_EUlSV_E_NS1_11comp_targetILNS1_3genE3ELNS1_11target_archE908ELNS1_3gpuE7ELNS1_3repE0EEENS1_48merge_mergepath_partition_config_static_selectorELNS0_4arch9wavefront6targetE1EEEvSH_
                                        ; -- End function
	.set _ZN7rocprim17ROCPRIM_400000_NS6detail17trampoline_kernelINS0_14default_configENS1_38merge_sort_block_merge_config_selectorIalEEZZNS1_27merge_sort_block_merge_implIS3_PaN6thrust23THRUST_200600_302600_NS10device_ptrIlEEjNS1_19radix_merge_compareILb0ELb1EaNS0_19identity_decomposerEEEEE10hipError_tT0_T1_T2_jT3_P12ihipStream_tbPNSt15iterator_traitsISG_E10value_typeEPNSM_ISH_E10value_typeEPSI_NS1_7vsmem_tEENKUlT_SG_SH_SI_E_clIS7_S7_SB_PlEESF_SV_SG_SH_SI_EUlSV_E_NS1_11comp_targetILNS1_3genE3ELNS1_11target_archE908ELNS1_3gpuE7ELNS1_3repE0EEENS1_48merge_mergepath_partition_config_static_selectorELNS0_4arch9wavefront6targetE1EEEvSH_.num_vgpr, 0
	.set _ZN7rocprim17ROCPRIM_400000_NS6detail17trampoline_kernelINS0_14default_configENS1_38merge_sort_block_merge_config_selectorIalEEZZNS1_27merge_sort_block_merge_implIS3_PaN6thrust23THRUST_200600_302600_NS10device_ptrIlEEjNS1_19radix_merge_compareILb0ELb1EaNS0_19identity_decomposerEEEEE10hipError_tT0_T1_T2_jT3_P12ihipStream_tbPNSt15iterator_traitsISG_E10value_typeEPNSM_ISH_E10value_typeEPSI_NS1_7vsmem_tEENKUlT_SG_SH_SI_E_clIS7_S7_SB_PlEESF_SV_SG_SH_SI_EUlSV_E_NS1_11comp_targetILNS1_3genE3ELNS1_11target_archE908ELNS1_3gpuE7ELNS1_3repE0EEENS1_48merge_mergepath_partition_config_static_selectorELNS0_4arch9wavefront6targetE1EEEvSH_.num_agpr, 0
	.set _ZN7rocprim17ROCPRIM_400000_NS6detail17trampoline_kernelINS0_14default_configENS1_38merge_sort_block_merge_config_selectorIalEEZZNS1_27merge_sort_block_merge_implIS3_PaN6thrust23THRUST_200600_302600_NS10device_ptrIlEEjNS1_19radix_merge_compareILb0ELb1EaNS0_19identity_decomposerEEEEE10hipError_tT0_T1_T2_jT3_P12ihipStream_tbPNSt15iterator_traitsISG_E10value_typeEPNSM_ISH_E10value_typeEPSI_NS1_7vsmem_tEENKUlT_SG_SH_SI_E_clIS7_S7_SB_PlEESF_SV_SG_SH_SI_EUlSV_E_NS1_11comp_targetILNS1_3genE3ELNS1_11target_archE908ELNS1_3gpuE7ELNS1_3repE0EEENS1_48merge_mergepath_partition_config_static_selectorELNS0_4arch9wavefront6targetE1EEEvSH_.numbered_sgpr, 0
	.set _ZN7rocprim17ROCPRIM_400000_NS6detail17trampoline_kernelINS0_14default_configENS1_38merge_sort_block_merge_config_selectorIalEEZZNS1_27merge_sort_block_merge_implIS3_PaN6thrust23THRUST_200600_302600_NS10device_ptrIlEEjNS1_19radix_merge_compareILb0ELb1EaNS0_19identity_decomposerEEEEE10hipError_tT0_T1_T2_jT3_P12ihipStream_tbPNSt15iterator_traitsISG_E10value_typeEPNSM_ISH_E10value_typeEPSI_NS1_7vsmem_tEENKUlT_SG_SH_SI_E_clIS7_S7_SB_PlEESF_SV_SG_SH_SI_EUlSV_E_NS1_11comp_targetILNS1_3genE3ELNS1_11target_archE908ELNS1_3gpuE7ELNS1_3repE0EEENS1_48merge_mergepath_partition_config_static_selectorELNS0_4arch9wavefront6targetE1EEEvSH_.num_named_barrier, 0
	.set _ZN7rocprim17ROCPRIM_400000_NS6detail17trampoline_kernelINS0_14default_configENS1_38merge_sort_block_merge_config_selectorIalEEZZNS1_27merge_sort_block_merge_implIS3_PaN6thrust23THRUST_200600_302600_NS10device_ptrIlEEjNS1_19radix_merge_compareILb0ELb1EaNS0_19identity_decomposerEEEEE10hipError_tT0_T1_T2_jT3_P12ihipStream_tbPNSt15iterator_traitsISG_E10value_typeEPNSM_ISH_E10value_typeEPSI_NS1_7vsmem_tEENKUlT_SG_SH_SI_E_clIS7_S7_SB_PlEESF_SV_SG_SH_SI_EUlSV_E_NS1_11comp_targetILNS1_3genE3ELNS1_11target_archE908ELNS1_3gpuE7ELNS1_3repE0EEENS1_48merge_mergepath_partition_config_static_selectorELNS0_4arch9wavefront6targetE1EEEvSH_.private_seg_size, 0
	.set _ZN7rocprim17ROCPRIM_400000_NS6detail17trampoline_kernelINS0_14default_configENS1_38merge_sort_block_merge_config_selectorIalEEZZNS1_27merge_sort_block_merge_implIS3_PaN6thrust23THRUST_200600_302600_NS10device_ptrIlEEjNS1_19radix_merge_compareILb0ELb1EaNS0_19identity_decomposerEEEEE10hipError_tT0_T1_T2_jT3_P12ihipStream_tbPNSt15iterator_traitsISG_E10value_typeEPNSM_ISH_E10value_typeEPSI_NS1_7vsmem_tEENKUlT_SG_SH_SI_E_clIS7_S7_SB_PlEESF_SV_SG_SH_SI_EUlSV_E_NS1_11comp_targetILNS1_3genE3ELNS1_11target_archE908ELNS1_3gpuE7ELNS1_3repE0EEENS1_48merge_mergepath_partition_config_static_selectorELNS0_4arch9wavefront6targetE1EEEvSH_.uses_vcc, 0
	.set _ZN7rocprim17ROCPRIM_400000_NS6detail17trampoline_kernelINS0_14default_configENS1_38merge_sort_block_merge_config_selectorIalEEZZNS1_27merge_sort_block_merge_implIS3_PaN6thrust23THRUST_200600_302600_NS10device_ptrIlEEjNS1_19radix_merge_compareILb0ELb1EaNS0_19identity_decomposerEEEEE10hipError_tT0_T1_T2_jT3_P12ihipStream_tbPNSt15iterator_traitsISG_E10value_typeEPNSM_ISH_E10value_typeEPSI_NS1_7vsmem_tEENKUlT_SG_SH_SI_E_clIS7_S7_SB_PlEESF_SV_SG_SH_SI_EUlSV_E_NS1_11comp_targetILNS1_3genE3ELNS1_11target_archE908ELNS1_3gpuE7ELNS1_3repE0EEENS1_48merge_mergepath_partition_config_static_selectorELNS0_4arch9wavefront6targetE1EEEvSH_.uses_flat_scratch, 0
	.set _ZN7rocprim17ROCPRIM_400000_NS6detail17trampoline_kernelINS0_14default_configENS1_38merge_sort_block_merge_config_selectorIalEEZZNS1_27merge_sort_block_merge_implIS3_PaN6thrust23THRUST_200600_302600_NS10device_ptrIlEEjNS1_19radix_merge_compareILb0ELb1EaNS0_19identity_decomposerEEEEE10hipError_tT0_T1_T2_jT3_P12ihipStream_tbPNSt15iterator_traitsISG_E10value_typeEPNSM_ISH_E10value_typeEPSI_NS1_7vsmem_tEENKUlT_SG_SH_SI_E_clIS7_S7_SB_PlEESF_SV_SG_SH_SI_EUlSV_E_NS1_11comp_targetILNS1_3genE3ELNS1_11target_archE908ELNS1_3gpuE7ELNS1_3repE0EEENS1_48merge_mergepath_partition_config_static_selectorELNS0_4arch9wavefront6targetE1EEEvSH_.has_dyn_sized_stack, 0
	.set _ZN7rocprim17ROCPRIM_400000_NS6detail17trampoline_kernelINS0_14default_configENS1_38merge_sort_block_merge_config_selectorIalEEZZNS1_27merge_sort_block_merge_implIS3_PaN6thrust23THRUST_200600_302600_NS10device_ptrIlEEjNS1_19radix_merge_compareILb0ELb1EaNS0_19identity_decomposerEEEEE10hipError_tT0_T1_T2_jT3_P12ihipStream_tbPNSt15iterator_traitsISG_E10value_typeEPNSM_ISH_E10value_typeEPSI_NS1_7vsmem_tEENKUlT_SG_SH_SI_E_clIS7_S7_SB_PlEESF_SV_SG_SH_SI_EUlSV_E_NS1_11comp_targetILNS1_3genE3ELNS1_11target_archE908ELNS1_3gpuE7ELNS1_3repE0EEENS1_48merge_mergepath_partition_config_static_selectorELNS0_4arch9wavefront6targetE1EEEvSH_.has_recursion, 0
	.set _ZN7rocprim17ROCPRIM_400000_NS6detail17trampoline_kernelINS0_14default_configENS1_38merge_sort_block_merge_config_selectorIalEEZZNS1_27merge_sort_block_merge_implIS3_PaN6thrust23THRUST_200600_302600_NS10device_ptrIlEEjNS1_19radix_merge_compareILb0ELb1EaNS0_19identity_decomposerEEEEE10hipError_tT0_T1_T2_jT3_P12ihipStream_tbPNSt15iterator_traitsISG_E10value_typeEPNSM_ISH_E10value_typeEPSI_NS1_7vsmem_tEENKUlT_SG_SH_SI_E_clIS7_S7_SB_PlEESF_SV_SG_SH_SI_EUlSV_E_NS1_11comp_targetILNS1_3genE3ELNS1_11target_archE908ELNS1_3gpuE7ELNS1_3repE0EEENS1_48merge_mergepath_partition_config_static_selectorELNS0_4arch9wavefront6targetE1EEEvSH_.has_indirect_call, 0
	.section	.AMDGPU.csdata,"",@progbits
; Kernel info:
; codeLenInByte = 0
; TotalNumSgprs: 4
; NumVgprs: 0
; ScratchSize: 0
; MemoryBound: 0
; FloatMode: 240
; IeeeMode: 1
; LDSByteSize: 0 bytes/workgroup (compile time only)
; SGPRBlocks: 0
; VGPRBlocks: 0
; NumSGPRsForWavesPerEU: 4
; NumVGPRsForWavesPerEU: 1
; Occupancy: 10
; WaveLimiterHint : 0
; COMPUTE_PGM_RSRC2:SCRATCH_EN: 0
; COMPUTE_PGM_RSRC2:USER_SGPR: 6
; COMPUTE_PGM_RSRC2:TRAP_HANDLER: 0
; COMPUTE_PGM_RSRC2:TGID_X_EN: 1
; COMPUTE_PGM_RSRC2:TGID_Y_EN: 0
; COMPUTE_PGM_RSRC2:TGID_Z_EN: 0
; COMPUTE_PGM_RSRC2:TIDIG_COMP_CNT: 0
	.section	.text._ZN7rocprim17ROCPRIM_400000_NS6detail17trampoline_kernelINS0_14default_configENS1_38merge_sort_block_merge_config_selectorIalEEZZNS1_27merge_sort_block_merge_implIS3_PaN6thrust23THRUST_200600_302600_NS10device_ptrIlEEjNS1_19radix_merge_compareILb0ELb1EaNS0_19identity_decomposerEEEEE10hipError_tT0_T1_T2_jT3_P12ihipStream_tbPNSt15iterator_traitsISG_E10value_typeEPNSM_ISH_E10value_typeEPSI_NS1_7vsmem_tEENKUlT_SG_SH_SI_E_clIS7_S7_SB_PlEESF_SV_SG_SH_SI_EUlSV_E_NS1_11comp_targetILNS1_3genE2ELNS1_11target_archE906ELNS1_3gpuE6ELNS1_3repE0EEENS1_48merge_mergepath_partition_config_static_selectorELNS0_4arch9wavefront6targetE1EEEvSH_,"axG",@progbits,_ZN7rocprim17ROCPRIM_400000_NS6detail17trampoline_kernelINS0_14default_configENS1_38merge_sort_block_merge_config_selectorIalEEZZNS1_27merge_sort_block_merge_implIS3_PaN6thrust23THRUST_200600_302600_NS10device_ptrIlEEjNS1_19radix_merge_compareILb0ELb1EaNS0_19identity_decomposerEEEEE10hipError_tT0_T1_T2_jT3_P12ihipStream_tbPNSt15iterator_traitsISG_E10value_typeEPNSM_ISH_E10value_typeEPSI_NS1_7vsmem_tEENKUlT_SG_SH_SI_E_clIS7_S7_SB_PlEESF_SV_SG_SH_SI_EUlSV_E_NS1_11comp_targetILNS1_3genE2ELNS1_11target_archE906ELNS1_3gpuE6ELNS1_3repE0EEENS1_48merge_mergepath_partition_config_static_selectorELNS0_4arch9wavefront6targetE1EEEvSH_,comdat
	.protected	_ZN7rocprim17ROCPRIM_400000_NS6detail17trampoline_kernelINS0_14default_configENS1_38merge_sort_block_merge_config_selectorIalEEZZNS1_27merge_sort_block_merge_implIS3_PaN6thrust23THRUST_200600_302600_NS10device_ptrIlEEjNS1_19radix_merge_compareILb0ELb1EaNS0_19identity_decomposerEEEEE10hipError_tT0_T1_T2_jT3_P12ihipStream_tbPNSt15iterator_traitsISG_E10value_typeEPNSM_ISH_E10value_typeEPSI_NS1_7vsmem_tEENKUlT_SG_SH_SI_E_clIS7_S7_SB_PlEESF_SV_SG_SH_SI_EUlSV_E_NS1_11comp_targetILNS1_3genE2ELNS1_11target_archE906ELNS1_3gpuE6ELNS1_3repE0EEENS1_48merge_mergepath_partition_config_static_selectorELNS0_4arch9wavefront6targetE1EEEvSH_ ; -- Begin function _ZN7rocprim17ROCPRIM_400000_NS6detail17trampoline_kernelINS0_14default_configENS1_38merge_sort_block_merge_config_selectorIalEEZZNS1_27merge_sort_block_merge_implIS3_PaN6thrust23THRUST_200600_302600_NS10device_ptrIlEEjNS1_19radix_merge_compareILb0ELb1EaNS0_19identity_decomposerEEEEE10hipError_tT0_T1_T2_jT3_P12ihipStream_tbPNSt15iterator_traitsISG_E10value_typeEPNSM_ISH_E10value_typeEPSI_NS1_7vsmem_tEENKUlT_SG_SH_SI_E_clIS7_S7_SB_PlEESF_SV_SG_SH_SI_EUlSV_E_NS1_11comp_targetILNS1_3genE2ELNS1_11target_archE906ELNS1_3gpuE6ELNS1_3repE0EEENS1_48merge_mergepath_partition_config_static_selectorELNS0_4arch9wavefront6targetE1EEEvSH_
	.globl	_ZN7rocprim17ROCPRIM_400000_NS6detail17trampoline_kernelINS0_14default_configENS1_38merge_sort_block_merge_config_selectorIalEEZZNS1_27merge_sort_block_merge_implIS3_PaN6thrust23THRUST_200600_302600_NS10device_ptrIlEEjNS1_19radix_merge_compareILb0ELb1EaNS0_19identity_decomposerEEEEE10hipError_tT0_T1_T2_jT3_P12ihipStream_tbPNSt15iterator_traitsISG_E10value_typeEPNSM_ISH_E10value_typeEPSI_NS1_7vsmem_tEENKUlT_SG_SH_SI_E_clIS7_S7_SB_PlEESF_SV_SG_SH_SI_EUlSV_E_NS1_11comp_targetILNS1_3genE2ELNS1_11target_archE906ELNS1_3gpuE6ELNS1_3repE0EEENS1_48merge_mergepath_partition_config_static_selectorELNS0_4arch9wavefront6targetE1EEEvSH_
	.p2align	8
	.type	_ZN7rocprim17ROCPRIM_400000_NS6detail17trampoline_kernelINS0_14default_configENS1_38merge_sort_block_merge_config_selectorIalEEZZNS1_27merge_sort_block_merge_implIS3_PaN6thrust23THRUST_200600_302600_NS10device_ptrIlEEjNS1_19radix_merge_compareILb0ELb1EaNS0_19identity_decomposerEEEEE10hipError_tT0_T1_T2_jT3_P12ihipStream_tbPNSt15iterator_traitsISG_E10value_typeEPNSM_ISH_E10value_typeEPSI_NS1_7vsmem_tEENKUlT_SG_SH_SI_E_clIS7_S7_SB_PlEESF_SV_SG_SH_SI_EUlSV_E_NS1_11comp_targetILNS1_3genE2ELNS1_11target_archE906ELNS1_3gpuE6ELNS1_3repE0EEENS1_48merge_mergepath_partition_config_static_selectorELNS0_4arch9wavefront6targetE1EEEvSH_,@function
_ZN7rocprim17ROCPRIM_400000_NS6detail17trampoline_kernelINS0_14default_configENS1_38merge_sort_block_merge_config_selectorIalEEZZNS1_27merge_sort_block_merge_implIS3_PaN6thrust23THRUST_200600_302600_NS10device_ptrIlEEjNS1_19radix_merge_compareILb0ELb1EaNS0_19identity_decomposerEEEEE10hipError_tT0_T1_T2_jT3_P12ihipStream_tbPNSt15iterator_traitsISG_E10value_typeEPNSM_ISH_E10value_typeEPSI_NS1_7vsmem_tEENKUlT_SG_SH_SI_E_clIS7_S7_SB_PlEESF_SV_SG_SH_SI_EUlSV_E_NS1_11comp_targetILNS1_3genE2ELNS1_11target_archE906ELNS1_3gpuE6ELNS1_3repE0EEENS1_48merge_mergepath_partition_config_static_selectorELNS0_4arch9wavefront6targetE1EEEvSH_: ; @_ZN7rocprim17ROCPRIM_400000_NS6detail17trampoline_kernelINS0_14default_configENS1_38merge_sort_block_merge_config_selectorIalEEZZNS1_27merge_sort_block_merge_implIS3_PaN6thrust23THRUST_200600_302600_NS10device_ptrIlEEjNS1_19radix_merge_compareILb0ELb1EaNS0_19identity_decomposerEEEEE10hipError_tT0_T1_T2_jT3_P12ihipStream_tbPNSt15iterator_traitsISG_E10value_typeEPNSM_ISH_E10value_typeEPSI_NS1_7vsmem_tEENKUlT_SG_SH_SI_E_clIS7_S7_SB_PlEESF_SV_SG_SH_SI_EUlSV_E_NS1_11comp_targetILNS1_3genE2ELNS1_11target_archE906ELNS1_3gpuE6ELNS1_3repE0EEENS1_48merge_mergepath_partition_config_static_selectorELNS0_4arch9wavefront6targetE1EEEvSH_
; %bb.0:
	s_load_dword s0, s[4:5], 0x0
	v_lshl_or_b32 v0, s6, 7, v0
	s_waitcnt lgkmcnt(0)
	v_cmp_gt_u32_e32 vcc, s0, v0
	s_and_saveexec_b64 s[0:1], vcc
	s_cbranch_execz .LBB563_6
; %bb.1:
	s_load_dwordx2 s[2:3], s[4:5], 0x4
	s_load_dwordx2 s[0:1], s[4:5], 0x20
	s_waitcnt lgkmcnt(0)
	s_lshr_b32 s6, s2, 9
	s_and_b32 s6, s6, 0x7ffffe
	s_add_i32 s7, s6, -1
	s_sub_i32 s6, 0, s6
	v_and_b32_e32 v1, s6, v0
	v_lshlrev_b32_e32 v3, 10, v1
	v_min_u32_e32 v1, s3, v3
	v_add_u32_e32 v3, s2, v3
	v_min_u32_e32 v7, s3, v3
	v_add_u32_e32 v3, s2, v7
	v_and_b32_e32 v2, s7, v0
	v_min_u32_e32 v4, s3, v3
	v_sub_u32_e32 v3, v4, v1
	v_lshlrev_b32_e32 v2, 10, v2
	v_min_u32_e32 v3, v3, v2
	v_sub_u32_e32 v5, v7, v1
	v_sub_u32_e32 v2, v4, v7
	v_sub_u32_e64 v2, v3, v2 clamp
	v_min_u32_e32 v4, v3, v5
	v_cmp_lt_u32_e32 vcc, v2, v4
	s_and_saveexec_b64 s[2:3], vcc
	s_cbranch_execz .LBB563_5
; %bb.2:
	s_load_dwordx2 s[8:9], s[4:5], 0x10
	s_load_dword s6, s[4:5], 0x18
	s_mov_b64 s[4:5], 0
	s_waitcnt lgkmcnt(0)
	v_mov_b32_e32 v8, s9
	v_add_co_u32_e32 v5, vcc, s8, v1
	v_addc_co_u32_e32 v6, vcc, 0, v8, vcc
	v_add_co_u32_e32 v7, vcc, s8, v7
	v_addc_co_u32_e32 v8, vcc, 0, v8, vcc
.LBB563_3:                              ; =>This Inner Loop Header: Depth=1
	v_add_u32_e32 v9, v4, v2
	v_lshrrev_b32_e32 v13, 1, v9
	v_add_co_u32_e32 v9, vcc, v5, v13
	v_xad_u32 v11, v13, -1, v3
	v_addc_co_u32_e32 v10, vcc, 0, v6, vcc
	v_add_co_u32_e32 v11, vcc, v7, v11
	v_addc_co_u32_e32 v12, vcc, 0, v8, vcc
	global_load_ubyte v14, v[9:10], off
	global_load_ubyte v15, v[11:12], off
	v_add_u32_e32 v9, 1, v13
	s_waitcnt vmcnt(1)
	v_and_b32_e32 v10, s6, v14
	s_waitcnt vmcnt(0)
	v_and_b32_e32 v11, s6, v15
	v_cmp_gt_i16_sdwa vcc, sext(v10), sext(v11) src0_sel:BYTE_0 src1_sel:BYTE_0
	v_cndmask_b32_e32 v4, v4, v13, vcc
	v_cndmask_b32_e32 v2, v9, v2, vcc
	v_cmp_ge_u32_e32 vcc, v2, v4
	s_or_b64 s[4:5], vcc, s[4:5]
	s_andn2_b64 exec, exec, s[4:5]
	s_cbranch_execnz .LBB563_3
; %bb.4:
	s_or_b64 exec, exec, s[4:5]
.LBB563_5:
	s_or_b64 exec, exec, s[2:3]
	v_add_u32_e32 v2, v2, v1
	v_mov_b32_e32 v1, 0
	v_lshlrev_b64 v[0:1], 2, v[0:1]
	v_mov_b32_e32 v3, s1
	v_add_co_u32_e32 v0, vcc, s0, v0
	v_addc_co_u32_e32 v1, vcc, v3, v1, vcc
	global_store_dword v[0:1], v2, off
.LBB563_6:
	s_endpgm
	.section	.rodata,"a",@progbits
	.p2align	6, 0x0
	.amdhsa_kernel _ZN7rocprim17ROCPRIM_400000_NS6detail17trampoline_kernelINS0_14default_configENS1_38merge_sort_block_merge_config_selectorIalEEZZNS1_27merge_sort_block_merge_implIS3_PaN6thrust23THRUST_200600_302600_NS10device_ptrIlEEjNS1_19radix_merge_compareILb0ELb1EaNS0_19identity_decomposerEEEEE10hipError_tT0_T1_T2_jT3_P12ihipStream_tbPNSt15iterator_traitsISG_E10value_typeEPNSM_ISH_E10value_typeEPSI_NS1_7vsmem_tEENKUlT_SG_SH_SI_E_clIS7_S7_SB_PlEESF_SV_SG_SH_SI_EUlSV_E_NS1_11comp_targetILNS1_3genE2ELNS1_11target_archE906ELNS1_3gpuE6ELNS1_3repE0EEENS1_48merge_mergepath_partition_config_static_selectorELNS0_4arch9wavefront6targetE1EEEvSH_
		.amdhsa_group_segment_fixed_size 0
		.amdhsa_private_segment_fixed_size 0
		.amdhsa_kernarg_size 40
		.amdhsa_user_sgpr_count 6
		.amdhsa_user_sgpr_private_segment_buffer 1
		.amdhsa_user_sgpr_dispatch_ptr 0
		.amdhsa_user_sgpr_queue_ptr 0
		.amdhsa_user_sgpr_kernarg_segment_ptr 1
		.amdhsa_user_sgpr_dispatch_id 0
		.amdhsa_user_sgpr_flat_scratch_init 0
		.amdhsa_user_sgpr_private_segment_size 0
		.amdhsa_uses_dynamic_stack 0
		.amdhsa_system_sgpr_private_segment_wavefront_offset 0
		.amdhsa_system_sgpr_workgroup_id_x 1
		.amdhsa_system_sgpr_workgroup_id_y 0
		.amdhsa_system_sgpr_workgroup_id_z 0
		.amdhsa_system_sgpr_workgroup_info 0
		.amdhsa_system_vgpr_workitem_id 0
		.amdhsa_next_free_vgpr 16
		.amdhsa_next_free_sgpr 10
		.amdhsa_reserve_vcc 1
		.amdhsa_reserve_flat_scratch 0
		.amdhsa_float_round_mode_32 0
		.amdhsa_float_round_mode_16_64 0
		.amdhsa_float_denorm_mode_32 3
		.amdhsa_float_denorm_mode_16_64 3
		.amdhsa_dx10_clamp 1
		.amdhsa_ieee_mode 1
		.amdhsa_fp16_overflow 0
		.amdhsa_exception_fp_ieee_invalid_op 0
		.amdhsa_exception_fp_denorm_src 0
		.amdhsa_exception_fp_ieee_div_zero 0
		.amdhsa_exception_fp_ieee_overflow 0
		.amdhsa_exception_fp_ieee_underflow 0
		.amdhsa_exception_fp_ieee_inexact 0
		.amdhsa_exception_int_div_zero 0
	.end_amdhsa_kernel
	.section	.text._ZN7rocprim17ROCPRIM_400000_NS6detail17trampoline_kernelINS0_14default_configENS1_38merge_sort_block_merge_config_selectorIalEEZZNS1_27merge_sort_block_merge_implIS3_PaN6thrust23THRUST_200600_302600_NS10device_ptrIlEEjNS1_19radix_merge_compareILb0ELb1EaNS0_19identity_decomposerEEEEE10hipError_tT0_T1_T2_jT3_P12ihipStream_tbPNSt15iterator_traitsISG_E10value_typeEPNSM_ISH_E10value_typeEPSI_NS1_7vsmem_tEENKUlT_SG_SH_SI_E_clIS7_S7_SB_PlEESF_SV_SG_SH_SI_EUlSV_E_NS1_11comp_targetILNS1_3genE2ELNS1_11target_archE906ELNS1_3gpuE6ELNS1_3repE0EEENS1_48merge_mergepath_partition_config_static_selectorELNS0_4arch9wavefront6targetE1EEEvSH_,"axG",@progbits,_ZN7rocprim17ROCPRIM_400000_NS6detail17trampoline_kernelINS0_14default_configENS1_38merge_sort_block_merge_config_selectorIalEEZZNS1_27merge_sort_block_merge_implIS3_PaN6thrust23THRUST_200600_302600_NS10device_ptrIlEEjNS1_19radix_merge_compareILb0ELb1EaNS0_19identity_decomposerEEEEE10hipError_tT0_T1_T2_jT3_P12ihipStream_tbPNSt15iterator_traitsISG_E10value_typeEPNSM_ISH_E10value_typeEPSI_NS1_7vsmem_tEENKUlT_SG_SH_SI_E_clIS7_S7_SB_PlEESF_SV_SG_SH_SI_EUlSV_E_NS1_11comp_targetILNS1_3genE2ELNS1_11target_archE906ELNS1_3gpuE6ELNS1_3repE0EEENS1_48merge_mergepath_partition_config_static_selectorELNS0_4arch9wavefront6targetE1EEEvSH_,comdat
.Lfunc_end563:
	.size	_ZN7rocprim17ROCPRIM_400000_NS6detail17trampoline_kernelINS0_14default_configENS1_38merge_sort_block_merge_config_selectorIalEEZZNS1_27merge_sort_block_merge_implIS3_PaN6thrust23THRUST_200600_302600_NS10device_ptrIlEEjNS1_19radix_merge_compareILb0ELb1EaNS0_19identity_decomposerEEEEE10hipError_tT0_T1_T2_jT3_P12ihipStream_tbPNSt15iterator_traitsISG_E10value_typeEPNSM_ISH_E10value_typeEPSI_NS1_7vsmem_tEENKUlT_SG_SH_SI_E_clIS7_S7_SB_PlEESF_SV_SG_SH_SI_EUlSV_E_NS1_11comp_targetILNS1_3genE2ELNS1_11target_archE906ELNS1_3gpuE6ELNS1_3repE0EEENS1_48merge_mergepath_partition_config_static_selectorELNS0_4arch9wavefront6targetE1EEEvSH_, .Lfunc_end563-_ZN7rocprim17ROCPRIM_400000_NS6detail17trampoline_kernelINS0_14default_configENS1_38merge_sort_block_merge_config_selectorIalEEZZNS1_27merge_sort_block_merge_implIS3_PaN6thrust23THRUST_200600_302600_NS10device_ptrIlEEjNS1_19radix_merge_compareILb0ELb1EaNS0_19identity_decomposerEEEEE10hipError_tT0_T1_T2_jT3_P12ihipStream_tbPNSt15iterator_traitsISG_E10value_typeEPNSM_ISH_E10value_typeEPSI_NS1_7vsmem_tEENKUlT_SG_SH_SI_E_clIS7_S7_SB_PlEESF_SV_SG_SH_SI_EUlSV_E_NS1_11comp_targetILNS1_3genE2ELNS1_11target_archE906ELNS1_3gpuE6ELNS1_3repE0EEENS1_48merge_mergepath_partition_config_static_selectorELNS0_4arch9wavefront6targetE1EEEvSH_
                                        ; -- End function
	.set _ZN7rocprim17ROCPRIM_400000_NS6detail17trampoline_kernelINS0_14default_configENS1_38merge_sort_block_merge_config_selectorIalEEZZNS1_27merge_sort_block_merge_implIS3_PaN6thrust23THRUST_200600_302600_NS10device_ptrIlEEjNS1_19radix_merge_compareILb0ELb1EaNS0_19identity_decomposerEEEEE10hipError_tT0_T1_T2_jT3_P12ihipStream_tbPNSt15iterator_traitsISG_E10value_typeEPNSM_ISH_E10value_typeEPSI_NS1_7vsmem_tEENKUlT_SG_SH_SI_E_clIS7_S7_SB_PlEESF_SV_SG_SH_SI_EUlSV_E_NS1_11comp_targetILNS1_3genE2ELNS1_11target_archE906ELNS1_3gpuE6ELNS1_3repE0EEENS1_48merge_mergepath_partition_config_static_selectorELNS0_4arch9wavefront6targetE1EEEvSH_.num_vgpr, 16
	.set _ZN7rocprim17ROCPRIM_400000_NS6detail17trampoline_kernelINS0_14default_configENS1_38merge_sort_block_merge_config_selectorIalEEZZNS1_27merge_sort_block_merge_implIS3_PaN6thrust23THRUST_200600_302600_NS10device_ptrIlEEjNS1_19radix_merge_compareILb0ELb1EaNS0_19identity_decomposerEEEEE10hipError_tT0_T1_T2_jT3_P12ihipStream_tbPNSt15iterator_traitsISG_E10value_typeEPNSM_ISH_E10value_typeEPSI_NS1_7vsmem_tEENKUlT_SG_SH_SI_E_clIS7_S7_SB_PlEESF_SV_SG_SH_SI_EUlSV_E_NS1_11comp_targetILNS1_3genE2ELNS1_11target_archE906ELNS1_3gpuE6ELNS1_3repE0EEENS1_48merge_mergepath_partition_config_static_selectorELNS0_4arch9wavefront6targetE1EEEvSH_.num_agpr, 0
	.set _ZN7rocprim17ROCPRIM_400000_NS6detail17trampoline_kernelINS0_14default_configENS1_38merge_sort_block_merge_config_selectorIalEEZZNS1_27merge_sort_block_merge_implIS3_PaN6thrust23THRUST_200600_302600_NS10device_ptrIlEEjNS1_19radix_merge_compareILb0ELb1EaNS0_19identity_decomposerEEEEE10hipError_tT0_T1_T2_jT3_P12ihipStream_tbPNSt15iterator_traitsISG_E10value_typeEPNSM_ISH_E10value_typeEPSI_NS1_7vsmem_tEENKUlT_SG_SH_SI_E_clIS7_S7_SB_PlEESF_SV_SG_SH_SI_EUlSV_E_NS1_11comp_targetILNS1_3genE2ELNS1_11target_archE906ELNS1_3gpuE6ELNS1_3repE0EEENS1_48merge_mergepath_partition_config_static_selectorELNS0_4arch9wavefront6targetE1EEEvSH_.numbered_sgpr, 10
	.set _ZN7rocprim17ROCPRIM_400000_NS6detail17trampoline_kernelINS0_14default_configENS1_38merge_sort_block_merge_config_selectorIalEEZZNS1_27merge_sort_block_merge_implIS3_PaN6thrust23THRUST_200600_302600_NS10device_ptrIlEEjNS1_19radix_merge_compareILb0ELb1EaNS0_19identity_decomposerEEEEE10hipError_tT0_T1_T2_jT3_P12ihipStream_tbPNSt15iterator_traitsISG_E10value_typeEPNSM_ISH_E10value_typeEPSI_NS1_7vsmem_tEENKUlT_SG_SH_SI_E_clIS7_S7_SB_PlEESF_SV_SG_SH_SI_EUlSV_E_NS1_11comp_targetILNS1_3genE2ELNS1_11target_archE906ELNS1_3gpuE6ELNS1_3repE0EEENS1_48merge_mergepath_partition_config_static_selectorELNS0_4arch9wavefront6targetE1EEEvSH_.num_named_barrier, 0
	.set _ZN7rocprim17ROCPRIM_400000_NS6detail17trampoline_kernelINS0_14default_configENS1_38merge_sort_block_merge_config_selectorIalEEZZNS1_27merge_sort_block_merge_implIS3_PaN6thrust23THRUST_200600_302600_NS10device_ptrIlEEjNS1_19radix_merge_compareILb0ELb1EaNS0_19identity_decomposerEEEEE10hipError_tT0_T1_T2_jT3_P12ihipStream_tbPNSt15iterator_traitsISG_E10value_typeEPNSM_ISH_E10value_typeEPSI_NS1_7vsmem_tEENKUlT_SG_SH_SI_E_clIS7_S7_SB_PlEESF_SV_SG_SH_SI_EUlSV_E_NS1_11comp_targetILNS1_3genE2ELNS1_11target_archE906ELNS1_3gpuE6ELNS1_3repE0EEENS1_48merge_mergepath_partition_config_static_selectorELNS0_4arch9wavefront6targetE1EEEvSH_.private_seg_size, 0
	.set _ZN7rocprim17ROCPRIM_400000_NS6detail17trampoline_kernelINS0_14default_configENS1_38merge_sort_block_merge_config_selectorIalEEZZNS1_27merge_sort_block_merge_implIS3_PaN6thrust23THRUST_200600_302600_NS10device_ptrIlEEjNS1_19radix_merge_compareILb0ELb1EaNS0_19identity_decomposerEEEEE10hipError_tT0_T1_T2_jT3_P12ihipStream_tbPNSt15iterator_traitsISG_E10value_typeEPNSM_ISH_E10value_typeEPSI_NS1_7vsmem_tEENKUlT_SG_SH_SI_E_clIS7_S7_SB_PlEESF_SV_SG_SH_SI_EUlSV_E_NS1_11comp_targetILNS1_3genE2ELNS1_11target_archE906ELNS1_3gpuE6ELNS1_3repE0EEENS1_48merge_mergepath_partition_config_static_selectorELNS0_4arch9wavefront6targetE1EEEvSH_.uses_vcc, 1
	.set _ZN7rocprim17ROCPRIM_400000_NS6detail17trampoline_kernelINS0_14default_configENS1_38merge_sort_block_merge_config_selectorIalEEZZNS1_27merge_sort_block_merge_implIS3_PaN6thrust23THRUST_200600_302600_NS10device_ptrIlEEjNS1_19radix_merge_compareILb0ELb1EaNS0_19identity_decomposerEEEEE10hipError_tT0_T1_T2_jT3_P12ihipStream_tbPNSt15iterator_traitsISG_E10value_typeEPNSM_ISH_E10value_typeEPSI_NS1_7vsmem_tEENKUlT_SG_SH_SI_E_clIS7_S7_SB_PlEESF_SV_SG_SH_SI_EUlSV_E_NS1_11comp_targetILNS1_3genE2ELNS1_11target_archE906ELNS1_3gpuE6ELNS1_3repE0EEENS1_48merge_mergepath_partition_config_static_selectorELNS0_4arch9wavefront6targetE1EEEvSH_.uses_flat_scratch, 0
	.set _ZN7rocprim17ROCPRIM_400000_NS6detail17trampoline_kernelINS0_14default_configENS1_38merge_sort_block_merge_config_selectorIalEEZZNS1_27merge_sort_block_merge_implIS3_PaN6thrust23THRUST_200600_302600_NS10device_ptrIlEEjNS1_19radix_merge_compareILb0ELb1EaNS0_19identity_decomposerEEEEE10hipError_tT0_T1_T2_jT3_P12ihipStream_tbPNSt15iterator_traitsISG_E10value_typeEPNSM_ISH_E10value_typeEPSI_NS1_7vsmem_tEENKUlT_SG_SH_SI_E_clIS7_S7_SB_PlEESF_SV_SG_SH_SI_EUlSV_E_NS1_11comp_targetILNS1_3genE2ELNS1_11target_archE906ELNS1_3gpuE6ELNS1_3repE0EEENS1_48merge_mergepath_partition_config_static_selectorELNS0_4arch9wavefront6targetE1EEEvSH_.has_dyn_sized_stack, 0
	.set _ZN7rocprim17ROCPRIM_400000_NS6detail17trampoline_kernelINS0_14default_configENS1_38merge_sort_block_merge_config_selectorIalEEZZNS1_27merge_sort_block_merge_implIS3_PaN6thrust23THRUST_200600_302600_NS10device_ptrIlEEjNS1_19radix_merge_compareILb0ELb1EaNS0_19identity_decomposerEEEEE10hipError_tT0_T1_T2_jT3_P12ihipStream_tbPNSt15iterator_traitsISG_E10value_typeEPNSM_ISH_E10value_typeEPSI_NS1_7vsmem_tEENKUlT_SG_SH_SI_E_clIS7_S7_SB_PlEESF_SV_SG_SH_SI_EUlSV_E_NS1_11comp_targetILNS1_3genE2ELNS1_11target_archE906ELNS1_3gpuE6ELNS1_3repE0EEENS1_48merge_mergepath_partition_config_static_selectorELNS0_4arch9wavefront6targetE1EEEvSH_.has_recursion, 0
	.set _ZN7rocprim17ROCPRIM_400000_NS6detail17trampoline_kernelINS0_14default_configENS1_38merge_sort_block_merge_config_selectorIalEEZZNS1_27merge_sort_block_merge_implIS3_PaN6thrust23THRUST_200600_302600_NS10device_ptrIlEEjNS1_19radix_merge_compareILb0ELb1EaNS0_19identity_decomposerEEEEE10hipError_tT0_T1_T2_jT3_P12ihipStream_tbPNSt15iterator_traitsISG_E10value_typeEPNSM_ISH_E10value_typeEPSI_NS1_7vsmem_tEENKUlT_SG_SH_SI_E_clIS7_S7_SB_PlEESF_SV_SG_SH_SI_EUlSV_E_NS1_11comp_targetILNS1_3genE2ELNS1_11target_archE906ELNS1_3gpuE6ELNS1_3repE0EEENS1_48merge_mergepath_partition_config_static_selectorELNS0_4arch9wavefront6targetE1EEEvSH_.has_indirect_call, 0
	.section	.AMDGPU.csdata,"",@progbits
; Kernel info:
; codeLenInByte = 340
; TotalNumSgprs: 14
; NumVgprs: 16
; ScratchSize: 0
; MemoryBound: 0
; FloatMode: 240
; IeeeMode: 1
; LDSByteSize: 0 bytes/workgroup (compile time only)
; SGPRBlocks: 1
; VGPRBlocks: 3
; NumSGPRsForWavesPerEU: 14
; NumVGPRsForWavesPerEU: 16
; Occupancy: 10
; WaveLimiterHint : 0
; COMPUTE_PGM_RSRC2:SCRATCH_EN: 0
; COMPUTE_PGM_RSRC2:USER_SGPR: 6
; COMPUTE_PGM_RSRC2:TRAP_HANDLER: 0
; COMPUTE_PGM_RSRC2:TGID_X_EN: 1
; COMPUTE_PGM_RSRC2:TGID_Y_EN: 0
; COMPUTE_PGM_RSRC2:TGID_Z_EN: 0
; COMPUTE_PGM_RSRC2:TIDIG_COMP_CNT: 0
	.section	.text._ZN7rocprim17ROCPRIM_400000_NS6detail17trampoline_kernelINS0_14default_configENS1_38merge_sort_block_merge_config_selectorIalEEZZNS1_27merge_sort_block_merge_implIS3_PaN6thrust23THRUST_200600_302600_NS10device_ptrIlEEjNS1_19radix_merge_compareILb0ELb1EaNS0_19identity_decomposerEEEEE10hipError_tT0_T1_T2_jT3_P12ihipStream_tbPNSt15iterator_traitsISG_E10value_typeEPNSM_ISH_E10value_typeEPSI_NS1_7vsmem_tEENKUlT_SG_SH_SI_E_clIS7_S7_SB_PlEESF_SV_SG_SH_SI_EUlSV_E_NS1_11comp_targetILNS1_3genE9ELNS1_11target_archE1100ELNS1_3gpuE3ELNS1_3repE0EEENS1_48merge_mergepath_partition_config_static_selectorELNS0_4arch9wavefront6targetE1EEEvSH_,"axG",@progbits,_ZN7rocprim17ROCPRIM_400000_NS6detail17trampoline_kernelINS0_14default_configENS1_38merge_sort_block_merge_config_selectorIalEEZZNS1_27merge_sort_block_merge_implIS3_PaN6thrust23THRUST_200600_302600_NS10device_ptrIlEEjNS1_19radix_merge_compareILb0ELb1EaNS0_19identity_decomposerEEEEE10hipError_tT0_T1_T2_jT3_P12ihipStream_tbPNSt15iterator_traitsISG_E10value_typeEPNSM_ISH_E10value_typeEPSI_NS1_7vsmem_tEENKUlT_SG_SH_SI_E_clIS7_S7_SB_PlEESF_SV_SG_SH_SI_EUlSV_E_NS1_11comp_targetILNS1_3genE9ELNS1_11target_archE1100ELNS1_3gpuE3ELNS1_3repE0EEENS1_48merge_mergepath_partition_config_static_selectorELNS0_4arch9wavefront6targetE1EEEvSH_,comdat
	.protected	_ZN7rocprim17ROCPRIM_400000_NS6detail17trampoline_kernelINS0_14default_configENS1_38merge_sort_block_merge_config_selectorIalEEZZNS1_27merge_sort_block_merge_implIS3_PaN6thrust23THRUST_200600_302600_NS10device_ptrIlEEjNS1_19radix_merge_compareILb0ELb1EaNS0_19identity_decomposerEEEEE10hipError_tT0_T1_T2_jT3_P12ihipStream_tbPNSt15iterator_traitsISG_E10value_typeEPNSM_ISH_E10value_typeEPSI_NS1_7vsmem_tEENKUlT_SG_SH_SI_E_clIS7_S7_SB_PlEESF_SV_SG_SH_SI_EUlSV_E_NS1_11comp_targetILNS1_3genE9ELNS1_11target_archE1100ELNS1_3gpuE3ELNS1_3repE0EEENS1_48merge_mergepath_partition_config_static_selectorELNS0_4arch9wavefront6targetE1EEEvSH_ ; -- Begin function _ZN7rocprim17ROCPRIM_400000_NS6detail17trampoline_kernelINS0_14default_configENS1_38merge_sort_block_merge_config_selectorIalEEZZNS1_27merge_sort_block_merge_implIS3_PaN6thrust23THRUST_200600_302600_NS10device_ptrIlEEjNS1_19radix_merge_compareILb0ELb1EaNS0_19identity_decomposerEEEEE10hipError_tT0_T1_T2_jT3_P12ihipStream_tbPNSt15iterator_traitsISG_E10value_typeEPNSM_ISH_E10value_typeEPSI_NS1_7vsmem_tEENKUlT_SG_SH_SI_E_clIS7_S7_SB_PlEESF_SV_SG_SH_SI_EUlSV_E_NS1_11comp_targetILNS1_3genE9ELNS1_11target_archE1100ELNS1_3gpuE3ELNS1_3repE0EEENS1_48merge_mergepath_partition_config_static_selectorELNS0_4arch9wavefront6targetE1EEEvSH_
	.globl	_ZN7rocprim17ROCPRIM_400000_NS6detail17trampoline_kernelINS0_14default_configENS1_38merge_sort_block_merge_config_selectorIalEEZZNS1_27merge_sort_block_merge_implIS3_PaN6thrust23THRUST_200600_302600_NS10device_ptrIlEEjNS1_19radix_merge_compareILb0ELb1EaNS0_19identity_decomposerEEEEE10hipError_tT0_T1_T2_jT3_P12ihipStream_tbPNSt15iterator_traitsISG_E10value_typeEPNSM_ISH_E10value_typeEPSI_NS1_7vsmem_tEENKUlT_SG_SH_SI_E_clIS7_S7_SB_PlEESF_SV_SG_SH_SI_EUlSV_E_NS1_11comp_targetILNS1_3genE9ELNS1_11target_archE1100ELNS1_3gpuE3ELNS1_3repE0EEENS1_48merge_mergepath_partition_config_static_selectorELNS0_4arch9wavefront6targetE1EEEvSH_
	.p2align	8
	.type	_ZN7rocprim17ROCPRIM_400000_NS6detail17trampoline_kernelINS0_14default_configENS1_38merge_sort_block_merge_config_selectorIalEEZZNS1_27merge_sort_block_merge_implIS3_PaN6thrust23THRUST_200600_302600_NS10device_ptrIlEEjNS1_19radix_merge_compareILb0ELb1EaNS0_19identity_decomposerEEEEE10hipError_tT0_T1_T2_jT3_P12ihipStream_tbPNSt15iterator_traitsISG_E10value_typeEPNSM_ISH_E10value_typeEPSI_NS1_7vsmem_tEENKUlT_SG_SH_SI_E_clIS7_S7_SB_PlEESF_SV_SG_SH_SI_EUlSV_E_NS1_11comp_targetILNS1_3genE9ELNS1_11target_archE1100ELNS1_3gpuE3ELNS1_3repE0EEENS1_48merge_mergepath_partition_config_static_selectorELNS0_4arch9wavefront6targetE1EEEvSH_,@function
_ZN7rocprim17ROCPRIM_400000_NS6detail17trampoline_kernelINS0_14default_configENS1_38merge_sort_block_merge_config_selectorIalEEZZNS1_27merge_sort_block_merge_implIS3_PaN6thrust23THRUST_200600_302600_NS10device_ptrIlEEjNS1_19radix_merge_compareILb0ELb1EaNS0_19identity_decomposerEEEEE10hipError_tT0_T1_T2_jT3_P12ihipStream_tbPNSt15iterator_traitsISG_E10value_typeEPNSM_ISH_E10value_typeEPSI_NS1_7vsmem_tEENKUlT_SG_SH_SI_E_clIS7_S7_SB_PlEESF_SV_SG_SH_SI_EUlSV_E_NS1_11comp_targetILNS1_3genE9ELNS1_11target_archE1100ELNS1_3gpuE3ELNS1_3repE0EEENS1_48merge_mergepath_partition_config_static_selectorELNS0_4arch9wavefront6targetE1EEEvSH_: ; @_ZN7rocprim17ROCPRIM_400000_NS6detail17trampoline_kernelINS0_14default_configENS1_38merge_sort_block_merge_config_selectorIalEEZZNS1_27merge_sort_block_merge_implIS3_PaN6thrust23THRUST_200600_302600_NS10device_ptrIlEEjNS1_19radix_merge_compareILb0ELb1EaNS0_19identity_decomposerEEEEE10hipError_tT0_T1_T2_jT3_P12ihipStream_tbPNSt15iterator_traitsISG_E10value_typeEPNSM_ISH_E10value_typeEPSI_NS1_7vsmem_tEENKUlT_SG_SH_SI_E_clIS7_S7_SB_PlEESF_SV_SG_SH_SI_EUlSV_E_NS1_11comp_targetILNS1_3genE9ELNS1_11target_archE1100ELNS1_3gpuE3ELNS1_3repE0EEENS1_48merge_mergepath_partition_config_static_selectorELNS0_4arch9wavefront6targetE1EEEvSH_
; %bb.0:
	.section	.rodata,"a",@progbits
	.p2align	6, 0x0
	.amdhsa_kernel _ZN7rocprim17ROCPRIM_400000_NS6detail17trampoline_kernelINS0_14default_configENS1_38merge_sort_block_merge_config_selectorIalEEZZNS1_27merge_sort_block_merge_implIS3_PaN6thrust23THRUST_200600_302600_NS10device_ptrIlEEjNS1_19radix_merge_compareILb0ELb1EaNS0_19identity_decomposerEEEEE10hipError_tT0_T1_T2_jT3_P12ihipStream_tbPNSt15iterator_traitsISG_E10value_typeEPNSM_ISH_E10value_typeEPSI_NS1_7vsmem_tEENKUlT_SG_SH_SI_E_clIS7_S7_SB_PlEESF_SV_SG_SH_SI_EUlSV_E_NS1_11comp_targetILNS1_3genE9ELNS1_11target_archE1100ELNS1_3gpuE3ELNS1_3repE0EEENS1_48merge_mergepath_partition_config_static_selectorELNS0_4arch9wavefront6targetE1EEEvSH_
		.amdhsa_group_segment_fixed_size 0
		.amdhsa_private_segment_fixed_size 0
		.amdhsa_kernarg_size 40
		.amdhsa_user_sgpr_count 6
		.amdhsa_user_sgpr_private_segment_buffer 1
		.amdhsa_user_sgpr_dispatch_ptr 0
		.amdhsa_user_sgpr_queue_ptr 0
		.amdhsa_user_sgpr_kernarg_segment_ptr 1
		.amdhsa_user_sgpr_dispatch_id 0
		.amdhsa_user_sgpr_flat_scratch_init 0
		.amdhsa_user_sgpr_private_segment_size 0
		.amdhsa_uses_dynamic_stack 0
		.amdhsa_system_sgpr_private_segment_wavefront_offset 0
		.amdhsa_system_sgpr_workgroup_id_x 1
		.amdhsa_system_sgpr_workgroup_id_y 0
		.amdhsa_system_sgpr_workgroup_id_z 0
		.amdhsa_system_sgpr_workgroup_info 0
		.amdhsa_system_vgpr_workitem_id 0
		.amdhsa_next_free_vgpr 1
		.amdhsa_next_free_sgpr 0
		.amdhsa_reserve_vcc 0
		.amdhsa_reserve_flat_scratch 0
		.amdhsa_float_round_mode_32 0
		.amdhsa_float_round_mode_16_64 0
		.amdhsa_float_denorm_mode_32 3
		.amdhsa_float_denorm_mode_16_64 3
		.amdhsa_dx10_clamp 1
		.amdhsa_ieee_mode 1
		.amdhsa_fp16_overflow 0
		.amdhsa_exception_fp_ieee_invalid_op 0
		.amdhsa_exception_fp_denorm_src 0
		.amdhsa_exception_fp_ieee_div_zero 0
		.amdhsa_exception_fp_ieee_overflow 0
		.amdhsa_exception_fp_ieee_underflow 0
		.amdhsa_exception_fp_ieee_inexact 0
		.amdhsa_exception_int_div_zero 0
	.end_amdhsa_kernel
	.section	.text._ZN7rocprim17ROCPRIM_400000_NS6detail17trampoline_kernelINS0_14default_configENS1_38merge_sort_block_merge_config_selectorIalEEZZNS1_27merge_sort_block_merge_implIS3_PaN6thrust23THRUST_200600_302600_NS10device_ptrIlEEjNS1_19radix_merge_compareILb0ELb1EaNS0_19identity_decomposerEEEEE10hipError_tT0_T1_T2_jT3_P12ihipStream_tbPNSt15iterator_traitsISG_E10value_typeEPNSM_ISH_E10value_typeEPSI_NS1_7vsmem_tEENKUlT_SG_SH_SI_E_clIS7_S7_SB_PlEESF_SV_SG_SH_SI_EUlSV_E_NS1_11comp_targetILNS1_3genE9ELNS1_11target_archE1100ELNS1_3gpuE3ELNS1_3repE0EEENS1_48merge_mergepath_partition_config_static_selectorELNS0_4arch9wavefront6targetE1EEEvSH_,"axG",@progbits,_ZN7rocprim17ROCPRIM_400000_NS6detail17trampoline_kernelINS0_14default_configENS1_38merge_sort_block_merge_config_selectorIalEEZZNS1_27merge_sort_block_merge_implIS3_PaN6thrust23THRUST_200600_302600_NS10device_ptrIlEEjNS1_19radix_merge_compareILb0ELb1EaNS0_19identity_decomposerEEEEE10hipError_tT0_T1_T2_jT3_P12ihipStream_tbPNSt15iterator_traitsISG_E10value_typeEPNSM_ISH_E10value_typeEPSI_NS1_7vsmem_tEENKUlT_SG_SH_SI_E_clIS7_S7_SB_PlEESF_SV_SG_SH_SI_EUlSV_E_NS1_11comp_targetILNS1_3genE9ELNS1_11target_archE1100ELNS1_3gpuE3ELNS1_3repE0EEENS1_48merge_mergepath_partition_config_static_selectorELNS0_4arch9wavefront6targetE1EEEvSH_,comdat
.Lfunc_end564:
	.size	_ZN7rocprim17ROCPRIM_400000_NS6detail17trampoline_kernelINS0_14default_configENS1_38merge_sort_block_merge_config_selectorIalEEZZNS1_27merge_sort_block_merge_implIS3_PaN6thrust23THRUST_200600_302600_NS10device_ptrIlEEjNS1_19radix_merge_compareILb0ELb1EaNS0_19identity_decomposerEEEEE10hipError_tT0_T1_T2_jT3_P12ihipStream_tbPNSt15iterator_traitsISG_E10value_typeEPNSM_ISH_E10value_typeEPSI_NS1_7vsmem_tEENKUlT_SG_SH_SI_E_clIS7_S7_SB_PlEESF_SV_SG_SH_SI_EUlSV_E_NS1_11comp_targetILNS1_3genE9ELNS1_11target_archE1100ELNS1_3gpuE3ELNS1_3repE0EEENS1_48merge_mergepath_partition_config_static_selectorELNS0_4arch9wavefront6targetE1EEEvSH_, .Lfunc_end564-_ZN7rocprim17ROCPRIM_400000_NS6detail17trampoline_kernelINS0_14default_configENS1_38merge_sort_block_merge_config_selectorIalEEZZNS1_27merge_sort_block_merge_implIS3_PaN6thrust23THRUST_200600_302600_NS10device_ptrIlEEjNS1_19radix_merge_compareILb0ELb1EaNS0_19identity_decomposerEEEEE10hipError_tT0_T1_T2_jT3_P12ihipStream_tbPNSt15iterator_traitsISG_E10value_typeEPNSM_ISH_E10value_typeEPSI_NS1_7vsmem_tEENKUlT_SG_SH_SI_E_clIS7_S7_SB_PlEESF_SV_SG_SH_SI_EUlSV_E_NS1_11comp_targetILNS1_3genE9ELNS1_11target_archE1100ELNS1_3gpuE3ELNS1_3repE0EEENS1_48merge_mergepath_partition_config_static_selectorELNS0_4arch9wavefront6targetE1EEEvSH_
                                        ; -- End function
	.set _ZN7rocprim17ROCPRIM_400000_NS6detail17trampoline_kernelINS0_14default_configENS1_38merge_sort_block_merge_config_selectorIalEEZZNS1_27merge_sort_block_merge_implIS3_PaN6thrust23THRUST_200600_302600_NS10device_ptrIlEEjNS1_19radix_merge_compareILb0ELb1EaNS0_19identity_decomposerEEEEE10hipError_tT0_T1_T2_jT3_P12ihipStream_tbPNSt15iterator_traitsISG_E10value_typeEPNSM_ISH_E10value_typeEPSI_NS1_7vsmem_tEENKUlT_SG_SH_SI_E_clIS7_S7_SB_PlEESF_SV_SG_SH_SI_EUlSV_E_NS1_11comp_targetILNS1_3genE9ELNS1_11target_archE1100ELNS1_3gpuE3ELNS1_3repE0EEENS1_48merge_mergepath_partition_config_static_selectorELNS0_4arch9wavefront6targetE1EEEvSH_.num_vgpr, 0
	.set _ZN7rocprim17ROCPRIM_400000_NS6detail17trampoline_kernelINS0_14default_configENS1_38merge_sort_block_merge_config_selectorIalEEZZNS1_27merge_sort_block_merge_implIS3_PaN6thrust23THRUST_200600_302600_NS10device_ptrIlEEjNS1_19radix_merge_compareILb0ELb1EaNS0_19identity_decomposerEEEEE10hipError_tT0_T1_T2_jT3_P12ihipStream_tbPNSt15iterator_traitsISG_E10value_typeEPNSM_ISH_E10value_typeEPSI_NS1_7vsmem_tEENKUlT_SG_SH_SI_E_clIS7_S7_SB_PlEESF_SV_SG_SH_SI_EUlSV_E_NS1_11comp_targetILNS1_3genE9ELNS1_11target_archE1100ELNS1_3gpuE3ELNS1_3repE0EEENS1_48merge_mergepath_partition_config_static_selectorELNS0_4arch9wavefront6targetE1EEEvSH_.num_agpr, 0
	.set _ZN7rocprim17ROCPRIM_400000_NS6detail17trampoline_kernelINS0_14default_configENS1_38merge_sort_block_merge_config_selectorIalEEZZNS1_27merge_sort_block_merge_implIS3_PaN6thrust23THRUST_200600_302600_NS10device_ptrIlEEjNS1_19radix_merge_compareILb0ELb1EaNS0_19identity_decomposerEEEEE10hipError_tT0_T1_T2_jT3_P12ihipStream_tbPNSt15iterator_traitsISG_E10value_typeEPNSM_ISH_E10value_typeEPSI_NS1_7vsmem_tEENKUlT_SG_SH_SI_E_clIS7_S7_SB_PlEESF_SV_SG_SH_SI_EUlSV_E_NS1_11comp_targetILNS1_3genE9ELNS1_11target_archE1100ELNS1_3gpuE3ELNS1_3repE0EEENS1_48merge_mergepath_partition_config_static_selectorELNS0_4arch9wavefront6targetE1EEEvSH_.numbered_sgpr, 0
	.set _ZN7rocprim17ROCPRIM_400000_NS6detail17trampoline_kernelINS0_14default_configENS1_38merge_sort_block_merge_config_selectorIalEEZZNS1_27merge_sort_block_merge_implIS3_PaN6thrust23THRUST_200600_302600_NS10device_ptrIlEEjNS1_19radix_merge_compareILb0ELb1EaNS0_19identity_decomposerEEEEE10hipError_tT0_T1_T2_jT3_P12ihipStream_tbPNSt15iterator_traitsISG_E10value_typeEPNSM_ISH_E10value_typeEPSI_NS1_7vsmem_tEENKUlT_SG_SH_SI_E_clIS7_S7_SB_PlEESF_SV_SG_SH_SI_EUlSV_E_NS1_11comp_targetILNS1_3genE9ELNS1_11target_archE1100ELNS1_3gpuE3ELNS1_3repE0EEENS1_48merge_mergepath_partition_config_static_selectorELNS0_4arch9wavefront6targetE1EEEvSH_.num_named_barrier, 0
	.set _ZN7rocprim17ROCPRIM_400000_NS6detail17trampoline_kernelINS0_14default_configENS1_38merge_sort_block_merge_config_selectorIalEEZZNS1_27merge_sort_block_merge_implIS3_PaN6thrust23THRUST_200600_302600_NS10device_ptrIlEEjNS1_19radix_merge_compareILb0ELb1EaNS0_19identity_decomposerEEEEE10hipError_tT0_T1_T2_jT3_P12ihipStream_tbPNSt15iterator_traitsISG_E10value_typeEPNSM_ISH_E10value_typeEPSI_NS1_7vsmem_tEENKUlT_SG_SH_SI_E_clIS7_S7_SB_PlEESF_SV_SG_SH_SI_EUlSV_E_NS1_11comp_targetILNS1_3genE9ELNS1_11target_archE1100ELNS1_3gpuE3ELNS1_3repE0EEENS1_48merge_mergepath_partition_config_static_selectorELNS0_4arch9wavefront6targetE1EEEvSH_.private_seg_size, 0
	.set _ZN7rocprim17ROCPRIM_400000_NS6detail17trampoline_kernelINS0_14default_configENS1_38merge_sort_block_merge_config_selectorIalEEZZNS1_27merge_sort_block_merge_implIS3_PaN6thrust23THRUST_200600_302600_NS10device_ptrIlEEjNS1_19radix_merge_compareILb0ELb1EaNS0_19identity_decomposerEEEEE10hipError_tT0_T1_T2_jT3_P12ihipStream_tbPNSt15iterator_traitsISG_E10value_typeEPNSM_ISH_E10value_typeEPSI_NS1_7vsmem_tEENKUlT_SG_SH_SI_E_clIS7_S7_SB_PlEESF_SV_SG_SH_SI_EUlSV_E_NS1_11comp_targetILNS1_3genE9ELNS1_11target_archE1100ELNS1_3gpuE3ELNS1_3repE0EEENS1_48merge_mergepath_partition_config_static_selectorELNS0_4arch9wavefront6targetE1EEEvSH_.uses_vcc, 0
	.set _ZN7rocprim17ROCPRIM_400000_NS6detail17trampoline_kernelINS0_14default_configENS1_38merge_sort_block_merge_config_selectorIalEEZZNS1_27merge_sort_block_merge_implIS3_PaN6thrust23THRUST_200600_302600_NS10device_ptrIlEEjNS1_19radix_merge_compareILb0ELb1EaNS0_19identity_decomposerEEEEE10hipError_tT0_T1_T2_jT3_P12ihipStream_tbPNSt15iterator_traitsISG_E10value_typeEPNSM_ISH_E10value_typeEPSI_NS1_7vsmem_tEENKUlT_SG_SH_SI_E_clIS7_S7_SB_PlEESF_SV_SG_SH_SI_EUlSV_E_NS1_11comp_targetILNS1_3genE9ELNS1_11target_archE1100ELNS1_3gpuE3ELNS1_3repE0EEENS1_48merge_mergepath_partition_config_static_selectorELNS0_4arch9wavefront6targetE1EEEvSH_.uses_flat_scratch, 0
	.set _ZN7rocprim17ROCPRIM_400000_NS6detail17trampoline_kernelINS0_14default_configENS1_38merge_sort_block_merge_config_selectorIalEEZZNS1_27merge_sort_block_merge_implIS3_PaN6thrust23THRUST_200600_302600_NS10device_ptrIlEEjNS1_19radix_merge_compareILb0ELb1EaNS0_19identity_decomposerEEEEE10hipError_tT0_T1_T2_jT3_P12ihipStream_tbPNSt15iterator_traitsISG_E10value_typeEPNSM_ISH_E10value_typeEPSI_NS1_7vsmem_tEENKUlT_SG_SH_SI_E_clIS7_S7_SB_PlEESF_SV_SG_SH_SI_EUlSV_E_NS1_11comp_targetILNS1_3genE9ELNS1_11target_archE1100ELNS1_3gpuE3ELNS1_3repE0EEENS1_48merge_mergepath_partition_config_static_selectorELNS0_4arch9wavefront6targetE1EEEvSH_.has_dyn_sized_stack, 0
	.set _ZN7rocprim17ROCPRIM_400000_NS6detail17trampoline_kernelINS0_14default_configENS1_38merge_sort_block_merge_config_selectorIalEEZZNS1_27merge_sort_block_merge_implIS3_PaN6thrust23THRUST_200600_302600_NS10device_ptrIlEEjNS1_19radix_merge_compareILb0ELb1EaNS0_19identity_decomposerEEEEE10hipError_tT0_T1_T2_jT3_P12ihipStream_tbPNSt15iterator_traitsISG_E10value_typeEPNSM_ISH_E10value_typeEPSI_NS1_7vsmem_tEENKUlT_SG_SH_SI_E_clIS7_S7_SB_PlEESF_SV_SG_SH_SI_EUlSV_E_NS1_11comp_targetILNS1_3genE9ELNS1_11target_archE1100ELNS1_3gpuE3ELNS1_3repE0EEENS1_48merge_mergepath_partition_config_static_selectorELNS0_4arch9wavefront6targetE1EEEvSH_.has_recursion, 0
	.set _ZN7rocprim17ROCPRIM_400000_NS6detail17trampoline_kernelINS0_14default_configENS1_38merge_sort_block_merge_config_selectorIalEEZZNS1_27merge_sort_block_merge_implIS3_PaN6thrust23THRUST_200600_302600_NS10device_ptrIlEEjNS1_19radix_merge_compareILb0ELb1EaNS0_19identity_decomposerEEEEE10hipError_tT0_T1_T2_jT3_P12ihipStream_tbPNSt15iterator_traitsISG_E10value_typeEPNSM_ISH_E10value_typeEPSI_NS1_7vsmem_tEENKUlT_SG_SH_SI_E_clIS7_S7_SB_PlEESF_SV_SG_SH_SI_EUlSV_E_NS1_11comp_targetILNS1_3genE9ELNS1_11target_archE1100ELNS1_3gpuE3ELNS1_3repE0EEENS1_48merge_mergepath_partition_config_static_selectorELNS0_4arch9wavefront6targetE1EEEvSH_.has_indirect_call, 0
	.section	.AMDGPU.csdata,"",@progbits
; Kernel info:
; codeLenInByte = 0
; TotalNumSgprs: 4
; NumVgprs: 0
; ScratchSize: 0
; MemoryBound: 0
; FloatMode: 240
; IeeeMode: 1
; LDSByteSize: 0 bytes/workgroup (compile time only)
; SGPRBlocks: 0
; VGPRBlocks: 0
; NumSGPRsForWavesPerEU: 4
; NumVGPRsForWavesPerEU: 1
; Occupancy: 10
; WaveLimiterHint : 0
; COMPUTE_PGM_RSRC2:SCRATCH_EN: 0
; COMPUTE_PGM_RSRC2:USER_SGPR: 6
; COMPUTE_PGM_RSRC2:TRAP_HANDLER: 0
; COMPUTE_PGM_RSRC2:TGID_X_EN: 1
; COMPUTE_PGM_RSRC2:TGID_Y_EN: 0
; COMPUTE_PGM_RSRC2:TGID_Z_EN: 0
; COMPUTE_PGM_RSRC2:TIDIG_COMP_CNT: 0
	.section	.text._ZN7rocprim17ROCPRIM_400000_NS6detail17trampoline_kernelINS0_14default_configENS1_38merge_sort_block_merge_config_selectorIalEEZZNS1_27merge_sort_block_merge_implIS3_PaN6thrust23THRUST_200600_302600_NS10device_ptrIlEEjNS1_19radix_merge_compareILb0ELb1EaNS0_19identity_decomposerEEEEE10hipError_tT0_T1_T2_jT3_P12ihipStream_tbPNSt15iterator_traitsISG_E10value_typeEPNSM_ISH_E10value_typeEPSI_NS1_7vsmem_tEENKUlT_SG_SH_SI_E_clIS7_S7_SB_PlEESF_SV_SG_SH_SI_EUlSV_E_NS1_11comp_targetILNS1_3genE8ELNS1_11target_archE1030ELNS1_3gpuE2ELNS1_3repE0EEENS1_48merge_mergepath_partition_config_static_selectorELNS0_4arch9wavefront6targetE1EEEvSH_,"axG",@progbits,_ZN7rocprim17ROCPRIM_400000_NS6detail17trampoline_kernelINS0_14default_configENS1_38merge_sort_block_merge_config_selectorIalEEZZNS1_27merge_sort_block_merge_implIS3_PaN6thrust23THRUST_200600_302600_NS10device_ptrIlEEjNS1_19radix_merge_compareILb0ELb1EaNS0_19identity_decomposerEEEEE10hipError_tT0_T1_T2_jT3_P12ihipStream_tbPNSt15iterator_traitsISG_E10value_typeEPNSM_ISH_E10value_typeEPSI_NS1_7vsmem_tEENKUlT_SG_SH_SI_E_clIS7_S7_SB_PlEESF_SV_SG_SH_SI_EUlSV_E_NS1_11comp_targetILNS1_3genE8ELNS1_11target_archE1030ELNS1_3gpuE2ELNS1_3repE0EEENS1_48merge_mergepath_partition_config_static_selectorELNS0_4arch9wavefront6targetE1EEEvSH_,comdat
	.protected	_ZN7rocprim17ROCPRIM_400000_NS6detail17trampoline_kernelINS0_14default_configENS1_38merge_sort_block_merge_config_selectorIalEEZZNS1_27merge_sort_block_merge_implIS3_PaN6thrust23THRUST_200600_302600_NS10device_ptrIlEEjNS1_19radix_merge_compareILb0ELb1EaNS0_19identity_decomposerEEEEE10hipError_tT0_T1_T2_jT3_P12ihipStream_tbPNSt15iterator_traitsISG_E10value_typeEPNSM_ISH_E10value_typeEPSI_NS1_7vsmem_tEENKUlT_SG_SH_SI_E_clIS7_S7_SB_PlEESF_SV_SG_SH_SI_EUlSV_E_NS1_11comp_targetILNS1_3genE8ELNS1_11target_archE1030ELNS1_3gpuE2ELNS1_3repE0EEENS1_48merge_mergepath_partition_config_static_selectorELNS0_4arch9wavefront6targetE1EEEvSH_ ; -- Begin function _ZN7rocprim17ROCPRIM_400000_NS6detail17trampoline_kernelINS0_14default_configENS1_38merge_sort_block_merge_config_selectorIalEEZZNS1_27merge_sort_block_merge_implIS3_PaN6thrust23THRUST_200600_302600_NS10device_ptrIlEEjNS1_19radix_merge_compareILb0ELb1EaNS0_19identity_decomposerEEEEE10hipError_tT0_T1_T2_jT3_P12ihipStream_tbPNSt15iterator_traitsISG_E10value_typeEPNSM_ISH_E10value_typeEPSI_NS1_7vsmem_tEENKUlT_SG_SH_SI_E_clIS7_S7_SB_PlEESF_SV_SG_SH_SI_EUlSV_E_NS1_11comp_targetILNS1_3genE8ELNS1_11target_archE1030ELNS1_3gpuE2ELNS1_3repE0EEENS1_48merge_mergepath_partition_config_static_selectorELNS0_4arch9wavefront6targetE1EEEvSH_
	.globl	_ZN7rocprim17ROCPRIM_400000_NS6detail17trampoline_kernelINS0_14default_configENS1_38merge_sort_block_merge_config_selectorIalEEZZNS1_27merge_sort_block_merge_implIS3_PaN6thrust23THRUST_200600_302600_NS10device_ptrIlEEjNS1_19radix_merge_compareILb0ELb1EaNS0_19identity_decomposerEEEEE10hipError_tT0_T1_T2_jT3_P12ihipStream_tbPNSt15iterator_traitsISG_E10value_typeEPNSM_ISH_E10value_typeEPSI_NS1_7vsmem_tEENKUlT_SG_SH_SI_E_clIS7_S7_SB_PlEESF_SV_SG_SH_SI_EUlSV_E_NS1_11comp_targetILNS1_3genE8ELNS1_11target_archE1030ELNS1_3gpuE2ELNS1_3repE0EEENS1_48merge_mergepath_partition_config_static_selectorELNS0_4arch9wavefront6targetE1EEEvSH_
	.p2align	8
	.type	_ZN7rocprim17ROCPRIM_400000_NS6detail17trampoline_kernelINS0_14default_configENS1_38merge_sort_block_merge_config_selectorIalEEZZNS1_27merge_sort_block_merge_implIS3_PaN6thrust23THRUST_200600_302600_NS10device_ptrIlEEjNS1_19radix_merge_compareILb0ELb1EaNS0_19identity_decomposerEEEEE10hipError_tT0_T1_T2_jT3_P12ihipStream_tbPNSt15iterator_traitsISG_E10value_typeEPNSM_ISH_E10value_typeEPSI_NS1_7vsmem_tEENKUlT_SG_SH_SI_E_clIS7_S7_SB_PlEESF_SV_SG_SH_SI_EUlSV_E_NS1_11comp_targetILNS1_3genE8ELNS1_11target_archE1030ELNS1_3gpuE2ELNS1_3repE0EEENS1_48merge_mergepath_partition_config_static_selectorELNS0_4arch9wavefront6targetE1EEEvSH_,@function
_ZN7rocprim17ROCPRIM_400000_NS6detail17trampoline_kernelINS0_14default_configENS1_38merge_sort_block_merge_config_selectorIalEEZZNS1_27merge_sort_block_merge_implIS3_PaN6thrust23THRUST_200600_302600_NS10device_ptrIlEEjNS1_19radix_merge_compareILb0ELb1EaNS0_19identity_decomposerEEEEE10hipError_tT0_T1_T2_jT3_P12ihipStream_tbPNSt15iterator_traitsISG_E10value_typeEPNSM_ISH_E10value_typeEPSI_NS1_7vsmem_tEENKUlT_SG_SH_SI_E_clIS7_S7_SB_PlEESF_SV_SG_SH_SI_EUlSV_E_NS1_11comp_targetILNS1_3genE8ELNS1_11target_archE1030ELNS1_3gpuE2ELNS1_3repE0EEENS1_48merge_mergepath_partition_config_static_selectorELNS0_4arch9wavefront6targetE1EEEvSH_: ; @_ZN7rocprim17ROCPRIM_400000_NS6detail17trampoline_kernelINS0_14default_configENS1_38merge_sort_block_merge_config_selectorIalEEZZNS1_27merge_sort_block_merge_implIS3_PaN6thrust23THRUST_200600_302600_NS10device_ptrIlEEjNS1_19radix_merge_compareILb0ELb1EaNS0_19identity_decomposerEEEEE10hipError_tT0_T1_T2_jT3_P12ihipStream_tbPNSt15iterator_traitsISG_E10value_typeEPNSM_ISH_E10value_typeEPSI_NS1_7vsmem_tEENKUlT_SG_SH_SI_E_clIS7_S7_SB_PlEESF_SV_SG_SH_SI_EUlSV_E_NS1_11comp_targetILNS1_3genE8ELNS1_11target_archE1030ELNS1_3gpuE2ELNS1_3repE0EEENS1_48merge_mergepath_partition_config_static_selectorELNS0_4arch9wavefront6targetE1EEEvSH_
; %bb.0:
	.section	.rodata,"a",@progbits
	.p2align	6, 0x0
	.amdhsa_kernel _ZN7rocprim17ROCPRIM_400000_NS6detail17trampoline_kernelINS0_14default_configENS1_38merge_sort_block_merge_config_selectorIalEEZZNS1_27merge_sort_block_merge_implIS3_PaN6thrust23THRUST_200600_302600_NS10device_ptrIlEEjNS1_19radix_merge_compareILb0ELb1EaNS0_19identity_decomposerEEEEE10hipError_tT0_T1_T2_jT3_P12ihipStream_tbPNSt15iterator_traitsISG_E10value_typeEPNSM_ISH_E10value_typeEPSI_NS1_7vsmem_tEENKUlT_SG_SH_SI_E_clIS7_S7_SB_PlEESF_SV_SG_SH_SI_EUlSV_E_NS1_11comp_targetILNS1_3genE8ELNS1_11target_archE1030ELNS1_3gpuE2ELNS1_3repE0EEENS1_48merge_mergepath_partition_config_static_selectorELNS0_4arch9wavefront6targetE1EEEvSH_
		.amdhsa_group_segment_fixed_size 0
		.amdhsa_private_segment_fixed_size 0
		.amdhsa_kernarg_size 40
		.amdhsa_user_sgpr_count 6
		.amdhsa_user_sgpr_private_segment_buffer 1
		.amdhsa_user_sgpr_dispatch_ptr 0
		.amdhsa_user_sgpr_queue_ptr 0
		.amdhsa_user_sgpr_kernarg_segment_ptr 1
		.amdhsa_user_sgpr_dispatch_id 0
		.amdhsa_user_sgpr_flat_scratch_init 0
		.amdhsa_user_sgpr_private_segment_size 0
		.amdhsa_uses_dynamic_stack 0
		.amdhsa_system_sgpr_private_segment_wavefront_offset 0
		.amdhsa_system_sgpr_workgroup_id_x 1
		.amdhsa_system_sgpr_workgroup_id_y 0
		.amdhsa_system_sgpr_workgroup_id_z 0
		.amdhsa_system_sgpr_workgroup_info 0
		.amdhsa_system_vgpr_workitem_id 0
		.amdhsa_next_free_vgpr 1
		.amdhsa_next_free_sgpr 0
		.amdhsa_reserve_vcc 0
		.amdhsa_reserve_flat_scratch 0
		.amdhsa_float_round_mode_32 0
		.amdhsa_float_round_mode_16_64 0
		.amdhsa_float_denorm_mode_32 3
		.amdhsa_float_denorm_mode_16_64 3
		.amdhsa_dx10_clamp 1
		.amdhsa_ieee_mode 1
		.amdhsa_fp16_overflow 0
		.amdhsa_exception_fp_ieee_invalid_op 0
		.amdhsa_exception_fp_denorm_src 0
		.amdhsa_exception_fp_ieee_div_zero 0
		.amdhsa_exception_fp_ieee_overflow 0
		.amdhsa_exception_fp_ieee_underflow 0
		.amdhsa_exception_fp_ieee_inexact 0
		.amdhsa_exception_int_div_zero 0
	.end_amdhsa_kernel
	.section	.text._ZN7rocprim17ROCPRIM_400000_NS6detail17trampoline_kernelINS0_14default_configENS1_38merge_sort_block_merge_config_selectorIalEEZZNS1_27merge_sort_block_merge_implIS3_PaN6thrust23THRUST_200600_302600_NS10device_ptrIlEEjNS1_19radix_merge_compareILb0ELb1EaNS0_19identity_decomposerEEEEE10hipError_tT0_T1_T2_jT3_P12ihipStream_tbPNSt15iterator_traitsISG_E10value_typeEPNSM_ISH_E10value_typeEPSI_NS1_7vsmem_tEENKUlT_SG_SH_SI_E_clIS7_S7_SB_PlEESF_SV_SG_SH_SI_EUlSV_E_NS1_11comp_targetILNS1_3genE8ELNS1_11target_archE1030ELNS1_3gpuE2ELNS1_3repE0EEENS1_48merge_mergepath_partition_config_static_selectorELNS0_4arch9wavefront6targetE1EEEvSH_,"axG",@progbits,_ZN7rocprim17ROCPRIM_400000_NS6detail17trampoline_kernelINS0_14default_configENS1_38merge_sort_block_merge_config_selectorIalEEZZNS1_27merge_sort_block_merge_implIS3_PaN6thrust23THRUST_200600_302600_NS10device_ptrIlEEjNS1_19radix_merge_compareILb0ELb1EaNS0_19identity_decomposerEEEEE10hipError_tT0_T1_T2_jT3_P12ihipStream_tbPNSt15iterator_traitsISG_E10value_typeEPNSM_ISH_E10value_typeEPSI_NS1_7vsmem_tEENKUlT_SG_SH_SI_E_clIS7_S7_SB_PlEESF_SV_SG_SH_SI_EUlSV_E_NS1_11comp_targetILNS1_3genE8ELNS1_11target_archE1030ELNS1_3gpuE2ELNS1_3repE0EEENS1_48merge_mergepath_partition_config_static_selectorELNS0_4arch9wavefront6targetE1EEEvSH_,comdat
.Lfunc_end565:
	.size	_ZN7rocprim17ROCPRIM_400000_NS6detail17trampoline_kernelINS0_14default_configENS1_38merge_sort_block_merge_config_selectorIalEEZZNS1_27merge_sort_block_merge_implIS3_PaN6thrust23THRUST_200600_302600_NS10device_ptrIlEEjNS1_19radix_merge_compareILb0ELb1EaNS0_19identity_decomposerEEEEE10hipError_tT0_T1_T2_jT3_P12ihipStream_tbPNSt15iterator_traitsISG_E10value_typeEPNSM_ISH_E10value_typeEPSI_NS1_7vsmem_tEENKUlT_SG_SH_SI_E_clIS7_S7_SB_PlEESF_SV_SG_SH_SI_EUlSV_E_NS1_11comp_targetILNS1_3genE8ELNS1_11target_archE1030ELNS1_3gpuE2ELNS1_3repE0EEENS1_48merge_mergepath_partition_config_static_selectorELNS0_4arch9wavefront6targetE1EEEvSH_, .Lfunc_end565-_ZN7rocprim17ROCPRIM_400000_NS6detail17trampoline_kernelINS0_14default_configENS1_38merge_sort_block_merge_config_selectorIalEEZZNS1_27merge_sort_block_merge_implIS3_PaN6thrust23THRUST_200600_302600_NS10device_ptrIlEEjNS1_19radix_merge_compareILb0ELb1EaNS0_19identity_decomposerEEEEE10hipError_tT0_T1_T2_jT3_P12ihipStream_tbPNSt15iterator_traitsISG_E10value_typeEPNSM_ISH_E10value_typeEPSI_NS1_7vsmem_tEENKUlT_SG_SH_SI_E_clIS7_S7_SB_PlEESF_SV_SG_SH_SI_EUlSV_E_NS1_11comp_targetILNS1_3genE8ELNS1_11target_archE1030ELNS1_3gpuE2ELNS1_3repE0EEENS1_48merge_mergepath_partition_config_static_selectorELNS0_4arch9wavefront6targetE1EEEvSH_
                                        ; -- End function
	.set _ZN7rocprim17ROCPRIM_400000_NS6detail17trampoline_kernelINS0_14default_configENS1_38merge_sort_block_merge_config_selectorIalEEZZNS1_27merge_sort_block_merge_implIS3_PaN6thrust23THRUST_200600_302600_NS10device_ptrIlEEjNS1_19radix_merge_compareILb0ELb1EaNS0_19identity_decomposerEEEEE10hipError_tT0_T1_T2_jT3_P12ihipStream_tbPNSt15iterator_traitsISG_E10value_typeEPNSM_ISH_E10value_typeEPSI_NS1_7vsmem_tEENKUlT_SG_SH_SI_E_clIS7_S7_SB_PlEESF_SV_SG_SH_SI_EUlSV_E_NS1_11comp_targetILNS1_3genE8ELNS1_11target_archE1030ELNS1_3gpuE2ELNS1_3repE0EEENS1_48merge_mergepath_partition_config_static_selectorELNS0_4arch9wavefront6targetE1EEEvSH_.num_vgpr, 0
	.set _ZN7rocprim17ROCPRIM_400000_NS6detail17trampoline_kernelINS0_14default_configENS1_38merge_sort_block_merge_config_selectorIalEEZZNS1_27merge_sort_block_merge_implIS3_PaN6thrust23THRUST_200600_302600_NS10device_ptrIlEEjNS1_19radix_merge_compareILb0ELb1EaNS0_19identity_decomposerEEEEE10hipError_tT0_T1_T2_jT3_P12ihipStream_tbPNSt15iterator_traitsISG_E10value_typeEPNSM_ISH_E10value_typeEPSI_NS1_7vsmem_tEENKUlT_SG_SH_SI_E_clIS7_S7_SB_PlEESF_SV_SG_SH_SI_EUlSV_E_NS1_11comp_targetILNS1_3genE8ELNS1_11target_archE1030ELNS1_3gpuE2ELNS1_3repE0EEENS1_48merge_mergepath_partition_config_static_selectorELNS0_4arch9wavefront6targetE1EEEvSH_.num_agpr, 0
	.set _ZN7rocprim17ROCPRIM_400000_NS6detail17trampoline_kernelINS0_14default_configENS1_38merge_sort_block_merge_config_selectorIalEEZZNS1_27merge_sort_block_merge_implIS3_PaN6thrust23THRUST_200600_302600_NS10device_ptrIlEEjNS1_19radix_merge_compareILb0ELb1EaNS0_19identity_decomposerEEEEE10hipError_tT0_T1_T2_jT3_P12ihipStream_tbPNSt15iterator_traitsISG_E10value_typeEPNSM_ISH_E10value_typeEPSI_NS1_7vsmem_tEENKUlT_SG_SH_SI_E_clIS7_S7_SB_PlEESF_SV_SG_SH_SI_EUlSV_E_NS1_11comp_targetILNS1_3genE8ELNS1_11target_archE1030ELNS1_3gpuE2ELNS1_3repE0EEENS1_48merge_mergepath_partition_config_static_selectorELNS0_4arch9wavefront6targetE1EEEvSH_.numbered_sgpr, 0
	.set _ZN7rocprim17ROCPRIM_400000_NS6detail17trampoline_kernelINS0_14default_configENS1_38merge_sort_block_merge_config_selectorIalEEZZNS1_27merge_sort_block_merge_implIS3_PaN6thrust23THRUST_200600_302600_NS10device_ptrIlEEjNS1_19radix_merge_compareILb0ELb1EaNS0_19identity_decomposerEEEEE10hipError_tT0_T1_T2_jT3_P12ihipStream_tbPNSt15iterator_traitsISG_E10value_typeEPNSM_ISH_E10value_typeEPSI_NS1_7vsmem_tEENKUlT_SG_SH_SI_E_clIS7_S7_SB_PlEESF_SV_SG_SH_SI_EUlSV_E_NS1_11comp_targetILNS1_3genE8ELNS1_11target_archE1030ELNS1_3gpuE2ELNS1_3repE0EEENS1_48merge_mergepath_partition_config_static_selectorELNS0_4arch9wavefront6targetE1EEEvSH_.num_named_barrier, 0
	.set _ZN7rocprim17ROCPRIM_400000_NS6detail17trampoline_kernelINS0_14default_configENS1_38merge_sort_block_merge_config_selectorIalEEZZNS1_27merge_sort_block_merge_implIS3_PaN6thrust23THRUST_200600_302600_NS10device_ptrIlEEjNS1_19radix_merge_compareILb0ELb1EaNS0_19identity_decomposerEEEEE10hipError_tT0_T1_T2_jT3_P12ihipStream_tbPNSt15iterator_traitsISG_E10value_typeEPNSM_ISH_E10value_typeEPSI_NS1_7vsmem_tEENKUlT_SG_SH_SI_E_clIS7_S7_SB_PlEESF_SV_SG_SH_SI_EUlSV_E_NS1_11comp_targetILNS1_3genE8ELNS1_11target_archE1030ELNS1_3gpuE2ELNS1_3repE0EEENS1_48merge_mergepath_partition_config_static_selectorELNS0_4arch9wavefront6targetE1EEEvSH_.private_seg_size, 0
	.set _ZN7rocprim17ROCPRIM_400000_NS6detail17trampoline_kernelINS0_14default_configENS1_38merge_sort_block_merge_config_selectorIalEEZZNS1_27merge_sort_block_merge_implIS3_PaN6thrust23THRUST_200600_302600_NS10device_ptrIlEEjNS1_19radix_merge_compareILb0ELb1EaNS0_19identity_decomposerEEEEE10hipError_tT0_T1_T2_jT3_P12ihipStream_tbPNSt15iterator_traitsISG_E10value_typeEPNSM_ISH_E10value_typeEPSI_NS1_7vsmem_tEENKUlT_SG_SH_SI_E_clIS7_S7_SB_PlEESF_SV_SG_SH_SI_EUlSV_E_NS1_11comp_targetILNS1_3genE8ELNS1_11target_archE1030ELNS1_3gpuE2ELNS1_3repE0EEENS1_48merge_mergepath_partition_config_static_selectorELNS0_4arch9wavefront6targetE1EEEvSH_.uses_vcc, 0
	.set _ZN7rocprim17ROCPRIM_400000_NS6detail17trampoline_kernelINS0_14default_configENS1_38merge_sort_block_merge_config_selectorIalEEZZNS1_27merge_sort_block_merge_implIS3_PaN6thrust23THRUST_200600_302600_NS10device_ptrIlEEjNS1_19radix_merge_compareILb0ELb1EaNS0_19identity_decomposerEEEEE10hipError_tT0_T1_T2_jT3_P12ihipStream_tbPNSt15iterator_traitsISG_E10value_typeEPNSM_ISH_E10value_typeEPSI_NS1_7vsmem_tEENKUlT_SG_SH_SI_E_clIS7_S7_SB_PlEESF_SV_SG_SH_SI_EUlSV_E_NS1_11comp_targetILNS1_3genE8ELNS1_11target_archE1030ELNS1_3gpuE2ELNS1_3repE0EEENS1_48merge_mergepath_partition_config_static_selectorELNS0_4arch9wavefront6targetE1EEEvSH_.uses_flat_scratch, 0
	.set _ZN7rocprim17ROCPRIM_400000_NS6detail17trampoline_kernelINS0_14default_configENS1_38merge_sort_block_merge_config_selectorIalEEZZNS1_27merge_sort_block_merge_implIS3_PaN6thrust23THRUST_200600_302600_NS10device_ptrIlEEjNS1_19radix_merge_compareILb0ELb1EaNS0_19identity_decomposerEEEEE10hipError_tT0_T1_T2_jT3_P12ihipStream_tbPNSt15iterator_traitsISG_E10value_typeEPNSM_ISH_E10value_typeEPSI_NS1_7vsmem_tEENKUlT_SG_SH_SI_E_clIS7_S7_SB_PlEESF_SV_SG_SH_SI_EUlSV_E_NS1_11comp_targetILNS1_3genE8ELNS1_11target_archE1030ELNS1_3gpuE2ELNS1_3repE0EEENS1_48merge_mergepath_partition_config_static_selectorELNS0_4arch9wavefront6targetE1EEEvSH_.has_dyn_sized_stack, 0
	.set _ZN7rocprim17ROCPRIM_400000_NS6detail17trampoline_kernelINS0_14default_configENS1_38merge_sort_block_merge_config_selectorIalEEZZNS1_27merge_sort_block_merge_implIS3_PaN6thrust23THRUST_200600_302600_NS10device_ptrIlEEjNS1_19radix_merge_compareILb0ELb1EaNS0_19identity_decomposerEEEEE10hipError_tT0_T1_T2_jT3_P12ihipStream_tbPNSt15iterator_traitsISG_E10value_typeEPNSM_ISH_E10value_typeEPSI_NS1_7vsmem_tEENKUlT_SG_SH_SI_E_clIS7_S7_SB_PlEESF_SV_SG_SH_SI_EUlSV_E_NS1_11comp_targetILNS1_3genE8ELNS1_11target_archE1030ELNS1_3gpuE2ELNS1_3repE0EEENS1_48merge_mergepath_partition_config_static_selectorELNS0_4arch9wavefront6targetE1EEEvSH_.has_recursion, 0
	.set _ZN7rocprim17ROCPRIM_400000_NS6detail17trampoline_kernelINS0_14default_configENS1_38merge_sort_block_merge_config_selectorIalEEZZNS1_27merge_sort_block_merge_implIS3_PaN6thrust23THRUST_200600_302600_NS10device_ptrIlEEjNS1_19radix_merge_compareILb0ELb1EaNS0_19identity_decomposerEEEEE10hipError_tT0_T1_T2_jT3_P12ihipStream_tbPNSt15iterator_traitsISG_E10value_typeEPNSM_ISH_E10value_typeEPSI_NS1_7vsmem_tEENKUlT_SG_SH_SI_E_clIS7_S7_SB_PlEESF_SV_SG_SH_SI_EUlSV_E_NS1_11comp_targetILNS1_3genE8ELNS1_11target_archE1030ELNS1_3gpuE2ELNS1_3repE0EEENS1_48merge_mergepath_partition_config_static_selectorELNS0_4arch9wavefront6targetE1EEEvSH_.has_indirect_call, 0
	.section	.AMDGPU.csdata,"",@progbits
; Kernel info:
; codeLenInByte = 0
; TotalNumSgprs: 4
; NumVgprs: 0
; ScratchSize: 0
; MemoryBound: 0
; FloatMode: 240
; IeeeMode: 1
; LDSByteSize: 0 bytes/workgroup (compile time only)
; SGPRBlocks: 0
; VGPRBlocks: 0
; NumSGPRsForWavesPerEU: 4
; NumVGPRsForWavesPerEU: 1
; Occupancy: 10
; WaveLimiterHint : 0
; COMPUTE_PGM_RSRC2:SCRATCH_EN: 0
; COMPUTE_PGM_RSRC2:USER_SGPR: 6
; COMPUTE_PGM_RSRC2:TRAP_HANDLER: 0
; COMPUTE_PGM_RSRC2:TGID_X_EN: 1
; COMPUTE_PGM_RSRC2:TGID_Y_EN: 0
; COMPUTE_PGM_RSRC2:TGID_Z_EN: 0
; COMPUTE_PGM_RSRC2:TIDIG_COMP_CNT: 0
	.section	.text._ZN7rocprim17ROCPRIM_400000_NS6detail17trampoline_kernelINS0_14default_configENS1_38merge_sort_block_merge_config_selectorIalEEZZNS1_27merge_sort_block_merge_implIS3_PaN6thrust23THRUST_200600_302600_NS10device_ptrIlEEjNS1_19radix_merge_compareILb0ELb1EaNS0_19identity_decomposerEEEEE10hipError_tT0_T1_T2_jT3_P12ihipStream_tbPNSt15iterator_traitsISG_E10value_typeEPNSM_ISH_E10value_typeEPSI_NS1_7vsmem_tEENKUlT_SG_SH_SI_E_clIS7_S7_SB_PlEESF_SV_SG_SH_SI_EUlSV_E0_NS1_11comp_targetILNS1_3genE0ELNS1_11target_archE4294967295ELNS1_3gpuE0ELNS1_3repE0EEENS1_38merge_mergepath_config_static_selectorELNS0_4arch9wavefront6targetE1EEEvSH_,"axG",@progbits,_ZN7rocprim17ROCPRIM_400000_NS6detail17trampoline_kernelINS0_14default_configENS1_38merge_sort_block_merge_config_selectorIalEEZZNS1_27merge_sort_block_merge_implIS3_PaN6thrust23THRUST_200600_302600_NS10device_ptrIlEEjNS1_19radix_merge_compareILb0ELb1EaNS0_19identity_decomposerEEEEE10hipError_tT0_T1_T2_jT3_P12ihipStream_tbPNSt15iterator_traitsISG_E10value_typeEPNSM_ISH_E10value_typeEPSI_NS1_7vsmem_tEENKUlT_SG_SH_SI_E_clIS7_S7_SB_PlEESF_SV_SG_SH_SI_EUlSV_E0_NS1_11comp_targetILNS1_3genE0ELNS1_11target_archE4294967295ELNS1_3gpuE0ELNS1_3repE0EEENS1_38merge_mergepath_config_static_selectorELNS0_4arch9wavefront6targetE1EEEvSH_,comdat
	.protected	_ZN7rocprim17ROCPRIM_400000_NS6detail17trampoline_kernelINS0_14default_configENS1_38merge_sort_block_merge_config_selectorIalEEZZNS1_27merge_sort_block_merge_implIS3_PaN6thrust23THRUST_200600_302600_NS10device_ptrIlEEjNS1_19radix_merge_compareILb0ELb1EaNS0_19identity_decomposerEEEEE10hipError_tT0_T1_T2_jT3_P12ihipStream_tbPNSt15iterator_traitsISG_E10value_typeEPNSM_ISH_E10value_typeEPSI_NS1_7vsmem_tEENKUlT_SG_SH_SI_E_clIS7_S7_SB_PlEESF_SV_SG_SH_SI_EUlSV_E0_NS1_11comp_targetILNS1_3genE0ELNS1_11target_archE4294967295ELNS1_3gpuE0ELNS1_3repE0EEENS1_38merge_mergepath_config_static_selectorELNS0_4arch9wavefront6targetE1EEEvSH_ ; -- Begin function _ZN7rocprim17ROCPRIM_400000_NS6detail17trampoline_kernelINS0_14default_configENS1_38merge_sort_block_merge_config_selectorIalEEZZNS1_27merge_sort_block_merge_implIS3_PaN6thrust23THRUST_200600_302600_NS10device_ptrIlEEjNS1_19radix_merge_compareILb0ELb1EaNS0_19identity_decomposerEEEEE10hipError_tT0_T1_T2_jT3_P12ihipStream_tbPNSt15iterator_traitsISG_E10value_typeEPNSM_ISH_E10value_typeEPSI_NS1_7vsmem_tEENKUlT_SG_SH_SI_E_clIS7_S7_SB_PlEESF_SV_SG_SH_SI_EUlSV_E0_NS1_11comp_targetILNS1_3genE0ELNS1_11target_archE4294967295ELNS1_3gpuE0ELNS1_3repE0EEENS1_38merge_mergepath_config_static_selectorELNS0_4arch9wavefront6targetE1EEEvSH_
	.globl	_ZN7rocprim17ROCPRIM_400000_NS6detail17trampoline_kernelINS0_14default_configENS1_38merge_sort_block_merge_config_selectorIalEEZZNS1_27merge_sort_block_merge_implIS3_PaN6thrust23THRUST_200600_302600_NS10device_ptrIlEEjNS1_19radix_merge_compareILb0ELb1EaNS0_19identity_decomposerEEEEE10hipError_tT0_T1_T2_jT3_P12ihipStream_tbPNSt15iterator_traitsISG_E10value_typeEPNSM_ISH_E10value_typeEPSI_NS1_7vsmem_tEENKUlT_SG_SH_SI_E_clIS7_S7_SB_PlEESF_SV_SG_SH_SI_EUlSV_E0_NS1_11comp_targetILNS1_3genE0ELNS1_11target_archE4294967295ELNS1_3gpuE0ELNS1_3repE0EEENS1_38merge_mergepath_config_static_selectorELNS0_4arch9wavefront6targetE1EEEvSH_
	.p2align	8
	.type	_ZN7rocprim17ROCPRIM_400000_NS6detail17trampoline_kernelINS0_14default_configENS1_38merge_sort_block_merge_config_selectorIalEEZZNS1_27merge_sort_block_merge_implIS3_PaN6thrust23THRUST_200600_302600_NS10device_ptrIlEEjNS1_19radix_merge_compareILb0ELb1EaNS0_19identity_decomposerEEEEE10hipError_tT0_T1_T2_jT3_P12ihipStream_tbPNSt15iterator_traitsISG_E10value_typeEPNSM_ISH_E10value_typeEPSI_NS1_7vsmem_tEENKUlT_SG_SH_SI_E_clIS7_S7_SB_PlEESF_SV_SG_SH_SI_EUlSV_E0_NS1_11comp_targetILNS1_3genE0ELNS1_11target_archE4294967295ELNS1_3gpuE0ELNS1_3repE0EEENS1_38merge_mergepath_config_static_selectorELNS0_4arch9wavefront6targetE1EEEvSH_,@function
_ZN7rocprim17ROCPRIM_400000_NS6detail17trampoline_kernelINS0_14default_configENS1_38merge_sort_block_merge_config_selectorIalEEZZNS1_27merge_sort_block_merge_implIS3_PaN6thrust23THRUST_200600_302600_NS10device_ptrIlEEjNS1_19radix_merge_compareILb0ELb1EaNS0_19identity_decomposerEEEEE10hipError_tT0_T1_T2_jT3_P12ihipStream_tbPNSt15iterator_traitsISG_E10value_typeEPNSM_ISH_E10value_typeEPSI_NS1_7vsmem_tEENKUlT_SG_SH_SI_E_clIS7_S7_SB_PlEESF_SV_SG_SH_SI_EUlSV_E0_NS1_11comp_targetILNS1_3genE0ELNS1_11target_archE4294967295ELNS1_3gpuE0ELNS1_3repE0EEENS1_38merge_mergepath_config_static_selectorELNS0_4arch9wavefront6targetE1EEEvSH_: ; @_ZN7rocprim17ROCPRIM_400000_NS6detail17trampoline_kernelINS0_14default_configENS1_38merge_sort_block_merge_config_selectorIalEEZZNS1_27merge_sort_block_merge_implIS3_PaN6thrust23THRUST_200600_302600_NS10device_ptrIlEEjNS1_19radix_merge_compareILb0ELb1EaNS0_19identity_decomposerEEEEE10hipError_tT0_T1_T2_jT3_P12ihipStream_tbPNSt15iterator_traitsISG_E10value_typeEPNSM_ISH_E10value_typeEPSI_NS1_7vsmem_tEENKUlT_SG_SH_SI_E_clIS7_S7_SB_PlEESF_SV_SG_SH_SI_EUlSV_E0_NS1_11comp_targetILNS1_3genE0ELNS1_11target_archE4294967295ELNS1_3gpuE0ELNS1_3repE0EEENS1_38merge_mergepath_config_static_selectorELNS0_4arch9wavefront6targetE1EEEvSH_
; %bb.0:
	.section	.rodata,"a",@progbits
	.p2align	6, 0x0
	.amdhsa_kernel _ZN7rocprim17ROCPRIM_400000_NS6detail17trampoline_kernelINS0_14default_configENS1_38merge_sort_block_merge_config_selectorIalEEZZNS1_27merge_sort_block_merge_implIS3_PaN6thrust23THRUST_200600_302600_NS10device_ptrIlEEjNS1_19radix_merge_compareILb0ELb1EaNS0_19identity_decomposerEEEEE10hipError_tT0_T1_T2_jT3_P12ihipStream_tbPNSt15iterator_traitsISG_E10value_typeEPNSM_ISH_E10value_typeEPSI_NS1_7vsmem_tEENKUlT_SG_SH_SI_E_clIS7_S7_SB_PlEESF_SV_SG_SH_SI_EUlSV_E0_NS1_11comp_targetILNS1_3genE0ELNS1_11target_archE4294967295ELNS1_3gpuE0ELNS1_3repE0EEENS1_38merge_mergepath_config_static_selectorELNS0_4arch9wavefront6targetE1EEEvSH_
		.amdhsa_group_segment_fixed_size 0
		.amdhsa_private_segment_fixed_size 0
		.amdhsa_kernarg_size 64
		.amdhsa_user_sgpr_count 6
		.amdhsa_user_sgpr_private_segment_buffer 1
		.amdhsa_user_sgpr_dispatch_ptr 0
		.amdhsa_user_sgpr_queue_ptr 0
		.amdhsa_user_sgpr_kernarg_segment_ptr 1
		.amdhsa_user_sgpr_dispatch_id 0
		.amdhsa_user_sgpr_flat_scratch_init 0
		.amdhsa_user_sgpr_private_segment_size 0
		.amdhsa_uses_dynamic_stack 0
		.amdhsa_system_sgpr_private_segment_wavefront_offset 0
		.amdhsa_system_sgpr_workgroup_id_x 1
		.amdhsa_system_sgpr_workgroup_id_y 0
		.amdhsa_system_sgpr_workgroup_id_z 0
		.amdhsa_system_sgpr_workgroup_info 0
		.amdhsa_system_vgpr_workitem_id 0
		.amdhsa_next_free_vgpr 1
		.amdhsa_next_free_sgpr 0
		.amdhsa_reserve_vcc 0
		.amdhsa_reserve_flat_scratch 0
		.amdhsa_float_round_mode_32 0
		.amdhsa_float_round_mode_16_64 0
		.amdhsa_float_denorm_mode_32 3
		.amdhsa_float_denorm_mode_16_64 3
		.amdhsa_dx10_clamp 1
		.amdhsa_ieee_mode 1
		.amdhsa_fp16_overflow 0
		.amdhsa_exception_fp_ieee_invalid_op 0
		.amdhsa_exception_fp_denorm_src 0
		.amdhsa_exception_fp_ieee_div_zero 0
		.amdhsa_exception_fp_ieee_overflow 0
		.amdhsa_exception_fp_ieee_underflow 0
		.amdhsa_exception_fp_ieee_inexact 0
		.amdhsa_exception_int_div_zero 0
	.end_amdhsa_kernel
	.section	.text._ZN7rocprim17ROCPRIM_400000_NS6detail17trampoline_kernelINS0_14default_configENS1_38merge_sort_block_merge_config_selectorIalEEZZNS1_27merge_sort_block_merge_implIS3_PaN6thrust23THRUST_200600_302600_NS10device_ptrIlEEjNS1_19radix_merge_compareILb0ELb1EaNS0_19identity_decomposerEEEEE10hipError_tT0_T1_T2_jT3_P12ihipStream_tbPNSt15iterator_traitsISG_E10value_typeEPNSM_ISH_E10value_typeEPSI_NS1_7vsmem_tEENKUlT_SG_SH_SI_E_clIS7_S7_SB_PlEESF_SV_SG_SH_SI_EUlSV_E0_NS1_11comp_targetILNS1_3genE0ELNS1_11target_archE4294967295ELNS1_3gpuE0ELNS1_3repE0EEENS1_38merge_mergepath_config_static_selectorELNS0_4arch9wavefront6targetE1EEEvSH_,"axG",@progbits,_ZN7rocprim17ROCPRIM_400000_NS6detail17trampoline_kernelINS0_14default_configENS1_38merge_sort_block_merge_config_selectorIalEEZZNS1_27merge_sort_block_merge_implIS3_PaN6thrust23THRUST_200600_302600_NS10device_ptrIlEEjNS1_19radix_merge_compareILb0ELb1EaNS0_19identity_decomposerEEEEE10hipError_tT0_T1_T2_jT3_P12ihipStream_tbPNSt15iterator_traitsISG_E10value_typeEPNSM_ISH_E10value_typeEPSI_NS1_7vsmem_tEENKUlT_SG_SH_SI_E_clIS7_S7_SB_PlEESF_SV_SG_SH_SI_EUlSV_E0_NS1_11comp_targetILNS1_3genE0ELNS1_11target_archE4294967295ELNS1_3gpuE0ELNS1_3repE0EEENS1_38merge_mergepath_config_static_selectorELNS0_4arch9wavefront6targetE1EEEvSH_,comdat
.Lfunc_end566:
	.size	_ZN7rocprim17ROCPRIM_400000_NS6detail17trampoline_kernelINS0_14default_configENS1_38merge_sort_block_merge_config_selectorIalEEZZNS1_27merge_sort_block_merge_implIS3_PaN6thrust23THRUST_200600_302600_NS10device_ptrIlEEjNS1_19radix_merge_compareILb0ELb1EaNS0_19identity_decomposerEEEEE10hipError_tT0_T1_T2_jT3_P12ihipStream_tbPNSt15iterator_traitsISG_E10value_typeEPNSM_ISH_E10value_typeEPSI_NS1_7vsmem_tEENKUlT_SG_SH_SI_E_clIS7_S7_SB_PlEESF_SV_SG_SH_SI_EUlSV_E0_NS1_11comp_targetILNS1_3genE0ELNS1_11target_archE4294967295ELNS1_3gpuE0ELNS1_3repE0EEENS1_38merge_mergepath_config_static_selectorELNS0_4arch9wavefront6targetE1EEEvSH_, .Lfunc_end566-_ZN7rocprim17ROCPRIM_400000_NS6detail17trampoline_kernelINS0_14default_configENS1_38merge_sort_block_merge_config_selectorIalEEZZNS1_27merge_sort_block_merge_implIS3_PaN6thrust23THRUST_200600_302600_NS10device_ptrIlEEjNS1_19radix_merge_compareILb0ELb1EaNS0_19identity_decomposerEEEEE10hipError_tT0_T1_T2_jT3_P12ihipStream_tbPNSt15iterator_traitsISG_E10value_typeEPNSM_ISH_E10value_typeEPSI_NS1_7vsmem_tEENKUlT_SG_SH_SI_E_clIS7_S7_SB_PlEESF_SV_SG_SH_SI_EUlSV_E0_NS1_11comp_targetILNS1_3genE0ELNS1_11target_archE4294967295ELNS1_3gpuE0ELNS1_3repE0EEENS1_38merge_mergepath_config_static_selectorELNS0_4arch9wavefront6targetE1EEEvSH_
                                        ; -- End function
	.set _ZN7rocprim17ROCPRIM_400000_NS6detail17trampoline_kernelINS0_14default_configENS1_38merge_sort_block_merge_config_selectorIalEEZZNS1_27merge_sort_block_merge_implIS3_PaN6thrust23THRUST_200600_302600_NS10device_ptrIlEEjNS1_19radix_merge_compareILb0ELb1EaNS0_19identity_decomposerEEEEE10hipError_tT0_T1_T2_jT3_P12ihipStream_tbPNSt15iterator_traitsISG_E10value_typeEPNSM_ISH_E10value_typeEPSI_NS1_7vsmem_tEENKUlT_SG_SH_SI_E_clIS7_S7_SB_PlEESF_SV_SG_SH_SI_EUlSV_E0_NS1_11comp_targetILNS1_3genE0ELNS1_11target_archE4294967295ELNS1_3gpuE0ELNS1_3repE0EEENS1_38merge_mergepath_config_static_selectorELNS0_4arch9wavefront6targetE1EEEvSH_.num_vgpr, 0
	.set _ZN7rocprim17ROCPRIM_400000_NS6detail17trampoline_kernelINS0_14default_configENS1_38merge_sort_block_merge_config_selectorIalEEZZNS1_27merge_sort_block_merge_implIS3_PaN6thrust23THRUST_200600_302600_NS10device_ptrIlEEjNS1_19radix_merge_compareILb0ELb1EaNS0_19identity_decomposerEEEEE10hipError_tT0_T1_T2_jT3_P12ihipStream_tbPNSt15iterator_traitsISG_E10value_typeEPNSM_ISH_E10value_typeEPSI_NS1_7vsmem_tEENKUlT_SG_SH_SI_E_clIS7_S7_SB_PlEESF_SV_SG_SH_SI_EUlSV_E0_NS1_11comp_targetILNS1_3genE0ELNS1_11target_archE4294967295ELNS1_3gpuE0ELNS1_3repE0EEENS1_38merge_mergepath_config_static_selectorELNS0_4arch9wavefront6targetE1EEEvSH_.num_agpr, 0
	.set _ZN7rocprim17ROCPRIM_400000_NS6detail17trampoline_kernelINS0_14default_configENS1_38merge_sort_block_merge_config_selectorIalEEZZNS1_27merge_sort_block_merge_implIS3_PaN6thrust23THRUST_200600_302600_NS10device_ptrIlEEjNS1_19radix_merge_compareILb0ELb1EaNS0_19identity_decomposerEEEEE10hipError_tT0_T1_T2_jT3_P12ihipStream_tbPNSt15iterator_traitsISG_E10value_typeEPNSM_ISH_E10value_typeEPSI_NS1_7vsmem_tEENKUlT_SG_SH_SI_E_clIS7_S7_SB_PlEESF_SV_SG_SH_SI_EUlSV_E0_NS1_11comp_targetILNS1_3genE0ELNS1_11target_archE4294967295ELNS1_3gpuE0ELNS1_3repE0EEENS1_38merge_mergepath_config_static_selectorELNS0_4arch9wavefront6targetE1EEEvSH_.numbered_sgpr, 0
	.set _ZN7rocprim17ROCPRIM_400000_NS6detail17trampoline_kernelINS0_14default_configENS1_38merge_sort_block_merge_config_selectorIalEEZZNS1_27merge_sort_block_merge_implIS3_PaN6thrust23THRUST_200600_302600_NS10device_ptrIlEEjNS1_19radix_merge_compareILb0ELb1EaNS0_19identity_decomposerEEEEE10hipError_tT0_T1_T2_jT3_P12ihipStream_tbPNSt15iterator_traitsISG_E10value_typeEPNSM_ISH_E10value_typeEPSI_NS1_7vsmem_tEENKUlT_SG_SH_SI_E_clIS7_S7_SB_PlEESF_SV_SG_SH_SI_EUlSV_E0_NS1_11comp_targetILNS1_3genE0ELNS1_11target_archE4294967295ELNS1_3gpuE0ELNS1_3repE0EEENS1_38merge_mergepath_config_static_selectorELNS0_4arch9wavefront6targetE1EEEvSH_.num_named_barrier, 0
	.set _ZN7rocprim17ROCPRIM_400000_NS6detail17trampoline_kernelINS0_14default_configENS1_38merge_sort_block_merge_config_selectorIalEEZZNS1_27merge_sort_block_merge_implIS3_PaN6thrust23THRUST_200600_302600_NS10device_ptrIlEEjNS1_19radix_merge_compareILb0ELb1EaNS0_19identity_decomposerEEEEE10hipError_tT0_T1_T2_jT3_P12ihipStream_tbPNSt15iterator_traitsISG_E10value_typeEPNSM_ISH_E10value_typeEPSI_NS1_7vsmem_tEENKUlT_SG_SH_SI_E_clIS7_S7_SB_PlEESF_SV_SG_SH_SI_EUlSV_E0_NS1_11comp_targetILNS1_3genE0ELNS1_11target_archE4294967295ELNS1_3gpuE0ELNS1_3repE0EEENS1_38merge_mergepath_config_static_selectorELNS0_4arch9wavefront6targetE1EEEvSH_.private_seg_size, 0
	.set _ZN7rocprim17ROCPRIM_400000_NS6detail17trampoline_kernelINS0_14default_configENS1_38merge_sort_block_merge_config_selectorIalEEZZNS1_27merge_sort_block_merge_implIS3_PaN6thrust23THRUST_200600_302600_NS10device_ptrIlEEjNS1_19radix_merge_compareILb0ELb1EaNS0_19identity_decomposerEEEEE10hipError_tT0_T1_T2_jT3_P12ihipStream_tbPNSt15iterator_traitsISG_E10value_typeEPNSM_ISH_E10value_typeEPSI_NS1_7vsmem_tEENKUlT_SG_SH_SI_E_clIS7_S7_SB_PlEESF_SV_SG_SH_SI_EUlSV_E0_NS1_11comp_targetILNS1_3genE0ELNS1_11target_archE4294967295ELNS1_3gpuE0ELNS1_3repE0EEENS1_38merge_mergepath_config_static_selectorELNS0_4arch9wavefront6targetE1EEEvSH_.uses_vcc, 0
	.set _ZN7rocprim17ROCPRIM_400000_NS6detail17trampoline_kernelINS0_14default_configENS1_38merge_sort_block_merge_config_selectorIalEEZZNS1_27merge_sort_block_merge_implIS3_PaN6thrust23THRUST_200600_302600_NS10device_ptrIlEEjNS1_19radix_merge_compareILb0ELb1EaNS0_19identity_decomposerEEEEE10hipError_tT0_T1_T2_jT3_P12ihipStream_tbPNSt15iterator_traitsISG_E10value_typeEPNSM_ISH_E10value_typeEPSI_NS1_7vsmem_tEENKUlT_SG_SH_SI_E_clIS7_S7_SB_PlEESF_SV_SG_SH_SI_EUlSV_E0_NS1_11comp_targetILNS1_3genE0ELNS1_11target_archE4294967295ELNS1_3gpuE0ELNS1_3repE0EEENS1_38merge_mergepath_config_static_selectorELNS0_4arch9wavefront6targetE1EEEvSH_.uses_flat_scratch, 0
	.set _ZN7rocprim17ROCPRIM_400000_NS6detail17trampoline_kernelINS0_14default_configENS1_38merge_sort_block_merge_config_selectorIalEEZZNS1_27merge_sort_block_merge_implIS3_PaN6thrust23THRUST_200600_302600_NS10device_ptrIlEEjNS1_19radix_merge_compareILb0ELb1EaNS0_19identity_decomposerEEEEE10hipError_tT0_T1_T2_jT3_P12ihipStream_tbPNSt15iterator_traitsISG_E10value_typeEPNSM_ISH_E10value_typeEPSI_NS1_7vsmem_tEENKUlT_SG_SH_SI_E_clIS7_S7_SB_PlEESF_SV_SG_SH_SI_EUlSV_E0_NS1_11comp_targetILNS1_3genE0ELNS1_11target_archE4294967295ELNS1_3gpuE0ELNS1_3repE0EEENS1_38merge_mergepath_config_static_selectorELNS0_4arch9wavefront6targetE1EEEvSH_.has_dyn_sized_stack, 0
	.set _ZN7rocprim17ROCPRIM_400000_NS6detail17trampoline_kernelINS0_14default_configENS1_38merge_sort_block_merge_config_selectorIalEEZZNS1_27merge_sort_block_merge_implIS3_PaN6thrust23THRUST_200600_302600_NS10device_ptrIlEEjNS1_19radix_merge_compareILb0ELb1EaNS0_19identity_decomposerEEEEE10hipError_tT0_T1_T2_jT3_P12ihipStream_tbPNSt15iterator_traitsISG_E10value_typeEPNSM_ISH_E10value_typeEPSI_NS1_7vsmem_tEENKUlT_SG_SH_SI_E_clIS7_S7_SB_PlEESF_SV_SG_SH_SI_EUlSV_E0_NS1_11comp_targetILNS1_3genE0ELNS1_11target_archE4294967295ELNS1_3gpuE0ELNS1_3repE0EEENS1_38merge_mergepath_config_static_selectorELNS0_4arch9wavefront6targetE1EEEvSH_.has_recursion, 0
	.set _ZN7rocprim17ROCPRIM_400000_NS6detail17trampoline_kernelINS0_14default_configENS1_38merge_sort_block_merge_config_selectorIalEEZZNS1_27merge_sort_block_merge_implIS3_PaN6thrust23THRUST_200600_302600_NS10device_ptrIlEEjNS1_19radix_merge_compareILb0ELb1EaNS0_19identity_decomposerEEEEE10hipError_tT0_T1_T2_jT3_P12ihipStream_tbPNSt15iterator_traitsISG_E10value_typeEPNSM_ISH_E10value_typeEPSI_NS1_7vsmem_tEENKUlT_SG_SH_SI_E_clIS7_S7_SB_PlEESF_SV_SG_SH_SI_EUlSV_E0_NS1_11comp_targetILNS1_3genE0ELNS1_11target_archE4294967295ELNS1_3gpuE0ELNS1_3repE0EEENS1_38merge_mergepath_config_static_selectorELNS0_4arch9wavefront6targetE1EEEvSH_.has_indirect_call, 0
	.section	.AMDGPU.csdata,"",@progbits
; Kernel info:
; codeLenInByte = 0
; TotalNumSgprs: 4
; NumVgprs: 0
; ScratchSize: 0
; MemoryBound: 0
; FloatMode: 240
; IeeeMode: 1
; LDSByteSize: 0 bytes/workgroup (compile time only)
; SGPRBlocks: 0
; VGPRBlocks: 0
; NumSGPRsForWavesPerEU: 4
; NumVGPRsForWavesPerEU: 1
; Occupancy: 10
; WaveLimiterHint : 0
; COMPUTE_PGM_RSRC2:SCRATCH_EN: 0
; COMPUTE_PGM_RSRC2:USER_SGPR: 6
; COMPUTE_PGM_RSRC2:TRAP_HANDLER: 0
; COMPUTE_PGM_RSRC2:TGID_X_EN: 1
; COMPUTE_PGM_RSRC2:TGID_Y_EN: 0
; COMPUTE_PGM_RSRC2:TGID_Z_EN: 0
; COMPUTE_PGM_RSRC2:TIDIG_COMP_CNT: 0
	.section	.text._ZN7rocprim17ROCPRIM_400000_NS6detail17trampoline_kernelINS0_14default_configENS1_38merge_sort_block_merge_config_selectorIalEEZZNS1_27merge_sort_block_merge_implIS3_PaN6thrust23THRUST_200600_302600_NS10device_ptrIlEEjNS1_19radix_merge_compareILb0ELb1EaNS0_19identity_decomposerEEEEE10hipError_tT0_T1_T2_jT3_P12ihipStream_tbPNSt15iterator_traitsISG_E10value_typeEPNSM_ISH_E10value_typeEPSI_NS1_7vsmem_tEENKUlT_SG_SH_SI_E_clIS7_S7_SB_PlEESF_SV_SG_SH_SI_EUlSV_E0_NS1_11comp_targetILNS1_3genE10ELNS1_11target_archE1201ELNS1_3gpuE5ELNS1_3repE0EEENS1_38merge_mergepath_config_static_selectorELNS0_4arch9wavefront6targetE1EEEvSH_,"axG",@progbits,_ZN7rocprim17ROCPRIM_400000_NS6detail17trampoline_kernelINS0_14default_configENS1_38merge_sort_block_merge_config_selectorIalEEZZNS1_27merge_sort_block_merge_implIS3_PaN6thrust23THRUST_200600_302600_NS10device_ptrIlEEjNS1_19radix_merge_compareILb0ELb1EaNS0_19identity_decomposerEEEEE10hipError_tT0_T1_T2_jT3_P12ihipStream_tbPNSt15iterator_traitsISG_E10value_typeEPNSM_ISH_E10value_typeEPSI_NS1_7vsmem_tEENKUlT_SG_SH_SI_E_clIS7_S7_SB_PlEESF_SV_SG_SH_SI_EUlSV_E0_NS1_11comp_targetILNS1_3genE10ELNS1_11target_archE1201ELNS1_3gpuE5ELNS1_3repE0EEENS1_38merge_mergepath_config_static_selectorELNS0_4arch9wavefront6targetE1EEEvSH_,comdat
	.protected	_ZN7rocprim17ROCPRIM_400000_NS6detail17trampoline_kernelINS0_14default_configENS1_38merge_sort_block_merge_config_selectorIalEEZZNS1_27merge_sort_block_merge_implIS3_PaN6thrust23THRUST_200600_302600_NS10device_ptrIlEEjNS1_19radix_merge_compareILb0ELb1EaNS0_19identity_decomposerEEEEE10hipError_tT0_T1_T2_jT3_P12ihipStream_tbPNSt15iterator_traitsISG_E10value_typeEPNSM_ISH_E10value_typeEPSI_NS1_7vsmem_tEENKUlT_SG_SH_SI_E_clIS7_S7_SB_PlEESF_SV_SG_SH_SI_EUlSV_E0_NS1_11comp_targetILNS1_3genE10ELNS1_11target_archE1201ELNS1_3gpuE5ELNS1_3repE0EEENS1_38merge_mergepath_config_static_selectorELNS0_4arch9wavefront6targetE1EEEvSH_ ; -- Begin function _ZN7rocprim17ROCPRIM_400000_NS6detail17trampoline_kernelINS0_14default_configENS1_38merge_sort_block_merge_config_selectorIalEEZZNS1_27merge_sort_block_merge_implIS3_PaN6thrust23THRUST_200600_302600_NS10device_ptrIlEEjNS1_19radix_merge_compareILb0ELb1EaNS0_19identity_decomposerEEEEE10hipError_tT0_T1_T2_jT3_P12ihipStream_tbPNSt15iterator_traitsISG_E10value_typeEPNSM_ISH_E10value_typeEPSI_NS1_7vsmem_tEENKUlT_SG_SH_SI_E_clIS7_S7_SB_PlEESF_SV_SG_SH_SI_EUlSV_E0_NS1_11comp_targetILNS1_3genE10ELNS1_11target_archE1201ELNS1_3gpuE5ELNS1_3repE0EEENS1_38merge_mergepath_config_static_selectorELNS0_4arch9wavefront6targetE1EEEvSH_
	.globl	_ZN7rocprim17ROCPRIM_400000_NS6detail17trampoline_kernelINS0_14default_configENS1_38merge_sort_block_merge_config_selectorIalEEZZNS1_27merge_sort_block_merge_implIS3_PaN6thrust23THRUST_200600_302600_NS10device_ptrIlEEjNS1_19radix_merge_compareILb0ELb1EaNS0_19identity_decomposerEEEEE10hipError_tT0_T1_T2_jT3_P12ihipStream_tbPNSt15iterator_traitsISG_E10value_typeEPNSM_ISH_E10value_typeEPSI_NS1_7vsmem_tEENKUlT_SG_SH_SI_E_clIS7_S7_SB_PlEESF_SV_SG_SH_SI_EUlSV_E0_NS1_11comp_targetILNS1_3genE10ELNS1_11target_archE1201ELNS1_3gpuE5ELNS1_3repE0EEENS1_38merge_mergepath_config_static_selectorELNS0_4arch9wavefront6targetE1EEEvSH_
	.p2align	8
	.type	_ZN7rocprim17ROCPRIM_400000_NS6detail17trampoline_kernelINS0_14default_configENS1_38merge_sort_block_merge_config_selectorIalEEZZNS1_27merge_sort_block_merge_implIS3_PaN6thrust23THRUST_200600_302600_NS10device_ptrIlEEjNS1_19radix_merge_compareILb0ELb1EaNS0_19identity_decomposerEEEEE10hipError_tT0_T1_T2_jT3_P12ihipStream_tbPNSt15iterator_traitsISG_E10value_typeEPNSM_ISH_E10value_typeEPSI_NS1_7vsmem_tEENKUlT_SG_SH_SI_E_clIS7_S7_SB_PlEESF_SV_SG_SH_SI_EUlSV_E0_NS1_11comp_targetILNS1_3genE10ELNS1_11target_archE1201ELNS1_3gpuE5ELNS1_3repE0EEENS1_38merge_mergepath_config_static_selectorELNS0_4arch9wavefront6targetE1EEEvSH_,@function
_ZN7rocprim17ROCPRIM_400000_NS6detail17trampoline_kernelINS0_14default_configENS1_38merge_sort_block_merge_config_selectorIalEEZZNS1_27merge_sort_block_merge_implIS3_PaN6thrust23THRUST_200600_302600_NS10device_ptrIlEEjNS1_19radix_merge_compareILb0ELb1EaNS0_19identity_decomposerEEEEE10hipError_tT0_T1_T2_jT3_P12ihipStream_tbPNSt15iterator_traitsISG_E10value_typeEPNSM_ISH_E10value_typeEPSI_NS1_7vsmem_tEENKUlT_SG_SH_SI_E_clIS7_S7_SB_PlEESF_SV_SG_SH_SI_EUlSV_E0_NS1_11comp_targetILNS1_3genE10ELNS1_11target_archE1201ELNS1_3gpuE5ELNS1_3repE0EEENS1_38merge_mergepath_config_static_selectorELNS0_4arch9wavefront6targetE1EEEvSH_: ; @_ZN7rocprim17ROCPRIM_400000_NS6detail17trampoline_kernelINS0_14default_configENS1_38merge_sort_block_merge_config_selectorIalEEZZNS1_27merge_sort_block_merge_implIS3_PaN6thrust23THRUST_200600_302600_NS10device_ptrIlEEjNS1_19radix_merge_compareILb0ELb1EaNS0_19identity_decomposerEEEEE10hipError_tT0_T1_T2_jT3_P12ihipStream_tbPNSt15iterator_traitsISG_E10value_typeEPNSM_ISH_E10value_typeEPSI_NS1_7vsmem_tEENKUlT_SG_SH_SI_E_clIS7_S7_SB_PlEESF_SV_SG_SH_SI_EUlSV_E0_NS1_11comp_targetILNS1_3genE10ELNS1_11target_archE1201ELNS1_3gpuE5ELNS1_3repE0EEENS1_38merge_mergepath_config_static_selectorELNS0_4arch9wavefront6targetE1EEEvSH_
; %bb.0:
	.section	.rodata,"a",@progbits
	.p2align	6, 0x0
	.amdhsa_kernel _ZN7rocprim17ROCPRIM_400000_NS6detail17trampoline_kernelINS0_14default_configENS1_38merge_sort_block_merge_config_selectorIalEEZZNS1_27merge_sort_block_merge_implIS3_PaN6thrust23THRUST_200600_302600_NS10device_ptrIlEEjNS1_19radix_merge_compareILb0ELb1EaNS0_19identity_decomposerEEEEE10hipError_tT0_T1_T2_jT3_P12ihipStream_tbPNSt15iterator_traitsISG_E10value_typeEPNSM_ISH_E10value_typeEPSI_NS1_7vsmem_tEENKUlT_SG_SH_SI_E_clIS7_S7_SB_PlEESF_SV_SG_SH_SI_EUlSV_E0_NS1_11comp_targetILNS1_3genE10ELNS1_11target_archE1201ELNS1_3gpuE5ELNS1_3repE0EEENS1_38merge_mergepath_config_static_selectorELNS0_4arch9wavefront6targetE1EEEvSH_
		.amdhsa_group_segment_fixed_size 0
		.amdhsa_private_segment_fixed_size 0
		.amdhsa_kernarg_size 64
		.amdhsa_user_sgpr_count 6
		.amdhsa_user_sgpr_private_segment_buffer 1
		.amdhsa_user_sgpr_dispatch_ptr 0
		.amdhsa_user_sgpr_queue_ptr 0
		.amdhsa_user_sgpr_kernarg_segment_ptr 1
		.amdhsa_user_sgpr_dispatch_id 0
		.amdhsa_user_sgpr_flat_scratch_init 0
		.amdhsa_user_sgpr_private_segment_size 0
		.amdhsa_uses_dynamic_stack 0
		.amdhsa_system_sgpr_private_segment_wavefront_offset 0
		.amdhsa_system_sgpr_workgroup_id_x 1
		.amdhsa_system_sgpr_workgroup_id_y 0
		.amdhsa_system_sgpr_workgroup_id_z 0
		.amdhsa_system_sgpr_workgroup_info 0
		.amdhsa_system_vgpr_workitem_id 0
		.amdhsa_next_free_vgpr 1
		.amdhsa_next_free_sgpr 0
		.amdhsa_reserve_vcc 0
		.amdhsa_reserve_flat_scratch 0
		.amdhsa_float_round_mode_32 0
		.amdhsa_float_round_mode_16_64 0
		.amdhsa_float_denorm_mode_32 3
		.amdhsa_float_denorm_mode_16_64 3
		.amdhsa_dx10_clamp 1
		.amdhsa_ieee_mode 1
		.amdhsa_fp16_overflow 0
		.amdhsa_exception_fp_ieee_invalid_op 0
		.amdhsa_exception_fp_denorm_src 0
		.amdhsa_exception_fp_ieee_div_zero 0
		.amdhsa_exception_fp_ieee_overflow 0
		.amdhsa_exception_fp_ieee_underflow 0
		.amdhsa_exception_fp_ieee_inexact 0
		.amdhsa_exception_int_div_zero 0
	.end_amdhsa_kernel
	.section	.text._ZN7rocprim17ROCPRIM_400000_NS6detail17trampoline_kernelINS0_14default_configENS1_38merge_sort_block_merge_config_selectorIalEEZZNS1_27merge_sort_block_merge_implIS3_PaN6thrust23THRUST_200600_302600_NS10device_ptrIlEEjNS1_19radix_merge_compareILb0ELb1EaNS0_19identity_decomposerEEEEE10hipError_tT0_T1_T2_jT3_P12ihipStream_tbPNSt15iterator_traitsISG_E10value_typeEPNSM_ISH_E10value_typeEPSI_NS1_7vsmem_tEENKUlT_SG_SH_SI_E_clIS7_S7_SB_PlEESF_SV_SG_SH_SI_EUlSV_E0_NS1_11comp_targetILNS1_3genE10ELNS1_11target_archE1201ELNS1_3gpuE5ELNS1_3repE0EEENS1_38merge_mergepath_config_static_selectorELNS0_4arch9wavefront6targetE1EEEvSH_,"axG",@progbits,_ZN7rocprim17ROCPRIM_400000_NS6detail17trampoline_kernelINS0_14default_configENS1_38merge_sort_block_merge_config_selectorIalEEZZNS1_27merge_sort_block_merge_implIS3_PaN6thrust23THRUST_200600_302600_NS10device_ptrIlEEjNS1_19radix_merge_compareILb0ELb1EaNS0_19identity_decomposerEEEEE10hipError_tT0_T1_T2_jT3_P12ihipStream_tbPNSt15iterator_traitsISG_E10value_typeEPNSM_ISH_E10value_typeEPSI_NS1_7vsmem_tEENKUlT_SG_SH_SI_E_clIS7_S7_SB_PlEESF_SV_SG_SH_SI_EUlSV_E0_NS1_11comp_targetILNS1_3genE10ELNS1_11target_archE1201ELNS1_3gpuE5ELNS1_3repE0EEENS1_38merge_mergepath_config_static_selectorELNS0_4arch9wavefront6targetE1EEEvSH_,comdat
.Lfunc_end567:
	.size	_ZN7rocprim17ROCPRIM_400000_NS6detail17trampoline_kernelINS0_14default_configENS1_38merge_sort_block_merge_config_selectorIalEEZZNS1_27merge_sort_block_merge_implIS3_PaN6thrust23THRUST_200600_302600_NS10device_ptrIlEEjNS1_19radix_merge_compareILb0ELb1EaNS0_19identity_decomposerEEEEE10hipError_tT0_T1_T2_jT3_P12ihipStream_tbPNSt15iterator_traitsISG_E10value_typeEPNSM_ISH_E10value_typeEPSI_NS1_7vsmem_tEENKUlT_SG_SH_SI_E_clIS7_S7_SB_PlEESF_SV_SG_SH_SI_EUlSV_E0_NS1_11comp_targetILNS1_3genE10ELNS1_11target_archE1201ELNS1_3gpuE5ELNS1_3repE0EEENS1_38merge_mergepath_config_static_selectorELNS0_4arch9wavefront6targetE1EEEvSH_, .Lfunc_end567-_ZN7rocprim17ROCPRIM_400000_NS6detail17trampoline_kernelINS0_14default_configENS1_38merge_sort_block_merge_config_selectorIalEEZZNS1_27merge_sort_block_merge_implIS3_PaN6thrust23THRUST_200600_302600_NS10device_ptrIlEEjNS1_19radix_merge_compareILb0ELb1EaNS0_19identity_decomposerEEEEE10hipError_tT0_T1_T2_jT3_P12ihipStream_tbPNSt15iterator_traitsISG_E10value_typeEPNSM_ISH_E10value_typeEPSI_NS1_7vsmem_tEENKUlT_SG_SH_SI_E_clIS7_S7_SB_PlEESF_SV_SG_SH_SI_EUlSV_E0_NS1_11comp_targetILNS1_3genE10ELNS1_11target_archE1201ELNS1_3gpuE5ELNS1_3repE0EEENS1_38merge_mergepath_config_static_selectorELNS0_4arch9wavefront6targetE1EEEvSH_
                                        ; -- End function
	.set _ZN7rocprim17ROCPRIM_400000_NS6detail17trampoline_kernelINS0_14default_configENS1_38merge_sort_block_merge_config_selectorIalEEZZNS1_27merge_sort_block_merge_implIS3_PaN6thrust23THRUST_200600_302600_NS10device_ptrIlEEjNS1_19radix_merge_compareILb0ELb1EaNS0_19identity_decomposerEEEEE10hipError_tT0_T1_T2_jT3_P12ihipStream_tbPNSt15iterator_traitsISG_E10value_typeEPNSM_ISH_E10value_typeEPSI_NS1_7vsmem_tEENKUlT_SG_SH_SI_E_clIS7_S7_SB_PlEESF_SV_SG_SH_SI_EUlSV_E0_NS1_11comp_targetILNS1_3genE10ELNS1_11target_archE1201ELNS1_3gpuE5ELNS1_3repE0EEENS1_38merge_mergepath_config_static_selectorELNS0_4arch9wavefront6targetE1EEEvSH_.num_vgpr, 0
	.set _ZN7rocprim17ROCPRIM_400000_NS6detail17trampoline_kernelINS0_14default_configENS1_38merge_sort_block_merge_config_selectorIalEEZZNS1_27merge_sort_block_merge_implIS3_PaN6thrust23THRUST_200600_302600_NS10device_ptrIlEEjNS1_19radix_merge_compareILb0ELb1EaNS0_19identity_decomposerEEEEE10hipError_tT0_T1_T2_jT3_P12ihipStream_tbPNSt15iterator_traitsISG_E10value_typeEPNSM_ISH_E10value_typeEPSI_NS1_7vsmem_tEENKUlT_SG_SH_SI_E_clIS7_S7_SB_PlEESF_SV_SG_SH_SI_EUlSV_E0_NS1_11comp_targetILNS1_3genE10ELNS1_11target_archE1201ELNS1_3gpuE5ELNS1_3repE0EEENS1_38merge_mergepath_config_static_selectorELNS0_4arch9wavefront6targetE1EEEvSH_.num_agpr, 0
	.set _ZN7rocprim17ROCPRIM_400000_NS6detail17trampoline_kernelINS0_14default_configENS1_38merge_sort_block_merge_config_selectorIalEEZZNS1_27merge_sort_block_merge_implIS3_PaN6thrust23THRUST_200600_302600_NS10device_ptrIlEEjNS1_19radix_merge_compareILb0ELb1EaNS0_19identity_decomposerEEEEE10hipError_tT0_T1_T2_jT3_P12ihipStream_tbPNSt15iterator_traitsISG_E10value_typeEPNSM_ISH_E10value_typeEPSI_NS1_7vsmem_tEENKUlT_SG_SH_SI_E_clIS7_S7_SB_PlEESF_SV_SG_SH_SI_EUlSV_E0_NS1_11comp_targetILNS1_3genE10ELNS1_11target_archE1201ELNS1_3gpuE5ELNS1_3repE0EEENS1_38merge_mergepath_config_static_selectorELNS0_4arch9wavefront6targetE1EEEvSH_.numbered_sgpr, 0
	.set _ZN7rocprim17ROCPRIM_400000_NS6detail17trampoline_kernelINS0_14default_configENS1_38merge_sort_block_merge_config_selectorIalEEZZNS1_27merge_sort_block_merge_implIS3_PaN6thrust23THRUST_200600_302600_NS10device_ptrIlEEjNS1_19radix_merge_compareILb0ELb1EaNS0_19identity_decomposerEEEEE10hipError_tT0_T1_T2_jT3_P12ihipStream_tbPNSt15iterator_traitsISG_E10value_typeEPNSM_ISH_E10value_typeEPSI_NS1_7vsmem_tEENKUlT_SG_SH_SI_E_clIS7_S7_SB_PlEESF_SV_SG_SH_SI_EUlSV_E0_NS1_11comp_targetILNS1_3genE10ELNS1_11target_archE1201ELNS1_3gpuE5ELNS1_3repE0EEENS1_38merge_mergepath_config_static_selectorELNS0_4arch9wavefront6targetE1EEEvSH_.num_named_barrier, 0
	.set _ZN7rocprim17ROCPRIM_400000_NS6detail17trampoline_kernelINS0_14default_configENS1_38merge_sort_block_merge_config_selectorIalEEZZNS1_27merge_sort_block_merge_implIS3_PaN6thrust23THRUST_200600_302600_NS10device_ptrIlEEjNS1_19radix_merge_compareILb0ELb1EaNS0_19identity_decomposerEEEEE10hipError_tT0_T1_T2_jT3_P12ihipStream_tbPNSt15iterator_traitsISG_E10value_typeEPNSM_ISH_E10value_typeEPSI_NS1_7vsmem_tEENKUlT_SG_SH_SI_E_clIS7_S7_SB_PlEESF_SV_SG_SH_SI_EUlSV_E0_NS1_11comp_targetILNS1_3genE10ELNS1_11target_archE1201ELNS1_3gpuE5ELNS1_3repE0EEENS1_38merge_mergepath_config_static_selectorELNS0_4arch9wavefront6targetE1EEEvSH_.private_seg_size, 0
	.set _ZN7rocprim17ROCPRIM_400000_NS6detail17trampoline_kernelINS0_14default_configENS1_38merge_sort_block_merge_config_selectorIalEEZZNS1_27merge_sort_block_merge_implIS3_PaN6thrust23THRUST_200600_302600_NS10device_ptrIlEEjNS1_19radix_merge_compareILb0ELb1EaNS0_19identity_decomposerEEEEE10hipError_tT0_T1_T2_jT3_P12ihipStream_tbPNSt15iterator_traitsISG_E10value_typeEPNSM_ISH_E10value_typeEPSI_NS1_7vsmem_tEENKUlT_SG_SH_SI_E_clIS7_S7_SB_PlEESF_SV_SG_SH_SI_EUlSV_E0_NS1_11comp_targetILNS1_3genE10ELNS1_11target_archE1201ELNS1_3gpuE5ELNS1_3repE0EEENS1_38merge_mergepath_config_static_selectorELNS0_4arch9wavefront6targetE1EEEvSH_.uses_vcc, 0
	.set _ZN7rocprim17ROCPRIM_400000_NS6detail17trampoline_kernelINS0_14default_configENS1_38merge_sort_block_merge_config_selectorIalEEZZNS1_27merge_sort_block_merge_implIS3_PaN6thrust23THRUST_200600_302600_NS10device_ptrIlEEjNS1_19radix_merge_compareILb0ELb1EaNS0_19identity_decomposerEEEEE10hipError_tT0_T1_T2_jT3_P12ihipStream_tbPNSt15iterator_traitsISG_E10value_typeEPNSM_ISH_E10value_typeEPSI_NS1_7vsmem_tEENKUlT_SG_SH_SI_E_clIS7_S7_SB_PlEESF_SV_SG_SH_SI_EUlSV_E0_NS1_11comp_targetILNS1_3genE10ELNS1_11target_archE1201ELNS1_3gpuE5ELNS1_3repE0EEENS1_38merge_mergepath_config_static_selectorELNS0_4arch9wavefront6targetE1EEEvSH_.uses_flat_scratch, 0
	.set _ZN7rocprim17ROCPRIM_400000_NS6detail17trampoline_kernelINS0_14default_configENS1_38merge_sort_block_merge_config_selectorIalEEZZNS1_27merge_sort_block_merge_implIS3_PaN6thrust23THRUST_200600_302600_NS10device_ptrIlEEjNS1_19radix_merge_compareILb0ELb1EaNS0_19identity_decomposerEEEEE10hipError_tT0_T1_T2_jT3_P12ihipStream_tbPNSt15iterator_traitsISG_E10value_typeEPNSM_ISH_E10value_typeEPSI_NS1_7vsmem_tEENKUlT_SG_SH_SI_E_clIS7_S7_SB_PlEESF_SV_SG_SH_SI_EUlSV_E0_NS1_11comp_targetILNS1_3genE10ELNS1_11target_archE1201ELNS1_3gpuE5ELNS1_3repE0EEENS1_38merge_mergepath_config_static_selectorELNS0_4arch9wavefront6targetE1EEEvSH_.has_dyn_sized_stack, 0
	.set _ZN7rocprim17ROCPRIM_400000_NS6detail17trampoline_kernelINS0_14default_configENS1_38merge_sort_block_merge_config_selectorIalEEZZNS1_27merge_sort_block_merge_implIS3_PaN6thrust23THRUST_200600_302600_NS10device_ptrIlEEjNS1_19radix_merge_compareILb0ELb1EaNS0_19identity_decomposerEEEEE10hipError_tT0_T1_T2_jT3_P12ihipStream_tbPNSt15iterator_traitsISG_E10value_typeEPNSM_ISH_E10value_typeEPSI_NS1_7vsmem_tEENKUlT_SG_SH_SI_E_clIS7_S7_SB_PlEESF_SV_SG_SH_SI_EUlSV_E0_NS1_11comp_targetILNS1_3genE10ELNS1_11target_archE1201ELNS1_3gpuE5ELNS1_3repE0EEENS1_38merge_mergepath_config_static_selectorELNS0_4arch9wavefront6targetE1EEEvSH_.has_recursion, 0
	.set _ZN7rocprim17ROCPRIM_400000_NS6detail17trampoline_kernelINS0_14default_configENS1_38merge_sort_block_merge_config_selectorIalEEZZNS1_27merge_sort_block_merge_implIS3_PaN6thrust23THRUST_200600_302600_NS10device_ptrIlEEjNS1_19radix_merge_compareILb0ELb1EaNS0_19identity_decomposerEEEEE10hipError_tT0_T1_T2_jT3_P12ihipStream_tbPNSt15iterator_traitsISG_E10value_typeEPNSM_ISH_E10value_typeEPSI_NS1_7vsmem_tEENKUlT_SG_SH_SI_E_clIS7_S7_SB_PlEESF_SV_SG_SH_SI_EUlSV_E0_NS1_11comp_targetILNS1_3genE10ELNS1_11target_archE1201ELNS1_3gpuE5ELNS1_3repE0EEENS1_38merge_mergepath_config_static_selectorELNS0_4arch9wavefront6targetE1EEEvSH_.has_indirect_call, 0
	.section	.AMDGPU.csdata,"",@progbits
; Kernel info:
; codeLenInByte = 0
; TotalNumSgprs: 4
; NumVgprs: 0
; ScratchSize: 0
; MemoryBound: 0
; FloatMode: 240
; IeeeMode: 1
; LDSByteSize: 0 bytes/workgroup (compile time only)
; SGPRBlocks: 0
; VGPRBlocks: 0
; NumSGPRsForWavesPerEU: 4
; NumVGPRsForWavesPerEU: 1
; Occupancy: 10
; WaveLimiterHint : 0
; COMPUTE_PGM_RSRC2:SCRATCH_EN: 0
; COMPUTE_PGM_RSRC2:USER_SGPR: 6
; COMPUTE_PGM_RSRC2:TRAP_HANDLER: 0
; COMPUTE_PGM_RSRC2:TGID_X_EN: 1
; COMPUTE_PGM_RSRC2:TGID_Y_EN: 0
; COMPUTE_PGM_RSRC2:TGID_Z_EN: 0
; COMPUTE_PGM_RSRC2:TIDIG_COMP_CNT: 0
	.section	.text._ZN7rocprim17ROCPRIM_400000_NS6detail17trampoline_kernelINS0_14default_configENS1_38merge_sort_block_merge_config_selectorIalEEZZNS1_27merge_sort_block_merge_implIS3_PaN6thrust23THRUST_200600_302600_NS10device_ptrIlEEjNS1_19radix_merge_compareILb0ELb1EaNS0_19identity_decomposerEEEEE10hipError_tT0_T1_T2_jT3_P12ihipStream_tbPNSt15iterator_traitsISG_E10value_typeEPNSM_ISH_E10value_typeEPSI_NS1_7vsmem_tEENKUlT_SG_SH_SI_E_clIS7_S7_SB_PlEESF_SV_SG_SH_SI_EUlSV_E0_NS1_11comp_targetILNS1_3genE5ELNS1_11target_archE942ELNS1_3gpuE9ELNS1_3repE0EEENS1_38merge_mergepath_config_static_selectorELNS0_4arch9wavefront6targetE1EEEvSH_,"axG",@progbits,_ZN7rocprim17ROCPRIM_400000_NS6detail17trampoline_kernelINS0_14default_configENS1_38merge_sort_block_merge_config_selectorIalEEZZNS1_27merge_sort_block_merge_implIS3_PaN6thrust23THRUST_200600_302600_NS10device_ptrIlEEjNS1_19radix_merge_compareILb0ELb1EaNS0_19identity_decomposerEEEEE10hipError_tT0_T1_T2_jT3_P12ihipStream_tbPNSt15iterator_traitsISG_E10value_typeEPNSM_ISH_E10value_typeEPSI_NS1_7vsmem_tEENKUlT_SG_SH_SI_E_clIS7_S7_SB_PlEESF_SV_SG_SH_SI_EUlSV_E0_NS1_11comp_targetILNS1_3genE5ELNS1_11target_archE942ELNS1_3gpuE9ELNS1_3repE0EEENS1_38merge_mergepath_config_static_selectorELNS0_4arch9wavefront6targetE1EEEvSH_,comdat
	.protected	_ZN7rocprim17ROCPRIM_400000_NS6detail17trampoline_kernelINS0_14default_configENS1_38merge_sort_block_merge_config_selectorIalEEZZNS1_27merge_sort_block_merge_implIS3_PaN6thrust23THRUST_200600_302600_NS10device_ptrIlEEjNS1_19radix_merge_compareILb0ELb1EaNS0_19identity_decomposerEEEEE10hipError_tT0_T1_T2_jT3_P12ihipStream_tbPNSt15iterator_traitsISG_E10value_typeEPNSM_ISH_E10value_typeEPSI_NS1_7vsmem_tEENKUlT_SG_SH_SI_E_clIS7_S7_SB_PlEESF_SV_SG_SH_SI_EUlSV_E0_NS1_11comp_targetILNS1_3genE5ELNS1_11target_archE942ELNS1_3gpuE9ELNS1_3repE0EEENS1_38merge_mergepath_config_static_selectorELNS0_4arch9wavefront6targetE1EEEvSH_ ; -- Begin function _ZN7rocprim17ROCPRIM_400000_NS6detail17trampoline_kernelINS0_14default_configENS1_38merge_sort_block_merge_config_selectorIalEEZZNS1_27merge_sort_block_merge_implIS3_PaN6thrust23THRUST_200600_302600_NS10device_ptrIlEEjNS1_19radix_merge_compareILb0ELb1EaNS0_19identity_decomposerEEEEE10hipError_tT0_T1_T2_jT3_P12ihipStream_tbPNSt15iterator_traitsISG_E10value_typeEPNSM_ISH_E10value_typeEPSI_NS1_7vsmem_tEENKUlT_SG_SH_SI_E_clIS7_S7_SB_PlEESF_SV_SG_SH_SI_EUlSV_E0_NS1_11comp_targetILNS1_3genE5ELNS1_11target_archE942ELNS1_3gpuE9ELNS1_3repE0EEENS1_38merge_mergepath_config_static_selectorELNS0_4arch9wavefront6targetE1EEEvSH_
	.globl	_ZN7rocprim17ROCPRIM_400000_NS6detail17trampoline_kernelINS0_14default_configENS1_38merge_sort_block_merge_config_selectorIalEEZZNS1_27merge_sort_block_merge_implIS3_PaN6thrust23THRUST_200600_302600_NS10device_ptrIlEEjNS1_19radix_merge_compareILb0ELb1EaNS0_19identity_decomposerEEEEE10hipError_tT0_T1_T2_jT3_P12ihipStream_tbPNSt15iterator_traitsISG_E10value_typeEPNSM_ISH_E10value_typeEPSI_NS1_7vsmem_tEENKUlT_SG_SH_SI_E_clIS7_S7_SB_PlEESF_SV_SG_SH_SI_EUlSV_E0_NS1_11comp_targetILNS1_3genE5ELNS1_11target_archE942ELNS1_3gpuE9ELNS1_3repE0EEENS1_38merge_mergepath_config_static_selectorELNS0_4arch9wavefront6targetE1EEEvSH_
	.p2align	8
	.type	_ZN7rocprim17ROCPRIM_400000_NS6detail17trampoline_kernelINS0_14default_configENS1_38merge_sort_block_merge_config_selectorIalEEZZNS1_27merge_sort_block_merge_implIS3_PaN6thrust23THRUST_200600_302600_NS10device_ptrIlEEjNS1_19radix_merge_compareILb0ELb1EaNS0_19identity_decomposerEEEEE10hipError_tT0_T1_T2_jT3_P12ihipStream_tbPNSt15iterator_traitsISG_E10value_typeEPNSM_ISH_E10value_typeEPSI_NS1_7vsmem_tEENKUlT_SG_SH_SI_E_clIS7_S7_SB_PlEESF_SV_SG_SH_SI_EUlSV_E0_NS1_11comp_targetILNS1_3genE5ELNS1_11target_archE942ELNS1_3gpuE9ELNS1_3repE0EEENS1_38merge_mergepath_config_static_selectorELNS0_4arch9wavefront6targetE1EEEvSH_,@function
_ZN7rocprim17ROCPRIM_400000_NS6detail17trampoline_kernelINS0_14default_configENS1_38merge_sort_block_merge_config_selectorIalEEZZNS1_27merge_sort_block_merge_implIS3_PaN6thrust23THRUST_200600_302600_NS10device_ptrIlEEjNS1_19radix_merge_compareILb0ELb1EaNS0_19identity_decomposerEEEEE10hipError_tT0_T1_T2_jT3_P12ihipStream_tbPNSt15iterator_traitsISG_E10value_typeEPNSM_ISH_E10value_typeEPSI_NS1_7vsmem_tEENKUlT_SG_SH_SI_E_clIS7_S7_SB_PlEESF_SV_SG_SH_SI_EUlSV_E0_NS1_11comp_targetILNS1_3genE5ELNS1_11target_archE942ELNS1_3gpuE9ELNS1_3repE0EEENS1_38merge_mergepath_config_static_selectorELNS0_4arch9wavefront6targetE1EEEvSH_: ; @_ZN7rocprim17ROCPRIM_400000_NS6detail17trampoline_kernelINS0_14default_configENS1_38merge_sort_block_merge_config_selectorIalEEZZNS1_27merge_sort_block_merge_implIS3_PaN6thrust23THRUST_200600_302600_NS10device_ptrIlEEjNS1_19radix_merge_compareILb0ELb1EaNS0_19identity_decomposerEEEEE10hipError_tT0_T1_T2_jT3_P12ihipStream_tbPNSt15iterator_traitsISG_E10value_typeEPNSM_ISH_E10value_typeEPSI_NS1_7vsmem_tEENKUlT_SG_SH_SI_E_clIS7_S7_SB_PlEESF_SV_SG_SH_SI_EUlSV_E0_NS1_11comp_targetILNS1_3genE5ELNS1_11target_archE942ELNS1_3gpuE9ELNS1_3repE0EEENS1_38merge_mergepath_config_static_selectorELNS0_4arch9wavefront6targetE1EEEvSH_
; %bb.0:
	.section	.rodata,"a",@progbits
	.p2align	6, 0x0
	.amdhsa_kernel _ZN7rocprim17ROCPRIM_400000_NS6detail17trampoline_kernelINS0_14default_configENS1_38merge_sort_block_merge_config_selectorIalEEZZNS1_27merge_sort_block_merge_implIS3_PaN6thrust23THRUST_200600_302600_NS10device_ptrIlEEjNS1_19radix_merge_compareILb0ELb1EaNS0_19identity_decomposerEEEEE10hipError_tT0_T1_T2_jT3_P12ihipStream_tbPNSt15iterator_traitsISG_E10value_typeEPNSM_ISH_E10value_typeEPSI_NS1_7vsmem_tEENKUlT_SG_SH_SI_E_clIS7_S7_SB_PlEESF_SV_SG_SH_SI_EUlSV_E0_NS1_11comp_targetILNS1_3genE5ELNS1_11target_archE942ELNS1_3gpuE9ELNS1_3repE0EEENS1_38merge_mergepath_config_static_selectorELNS0_4arch9wavefront6targetE1EEEvSH_
		.amdhsa_group_segment_fixed_size 0
		.amdhsa_private_segment_fixed_size 0
		.amdhsa_kernarg_size 64
		.amdhsa_user_sgpr_count 6
		.amdhsa_user_sgpr_private_segment_buffer 1
		.amdhsa_user_sgpr_dispatch_ptr 0
		.amdhsa_user_sgpr_queue_ptr 0
		.amdhsa_user_sgpr_kernarg_segment_ptr 1
		.amdhsa_user_sgpr_dispatch_id 0
		.amdhsa_user_sgpr_flat_scratch_init 0
		.amdhsa_user_sgpr_private_segment_size 0
		.amdhsa_uses_dynamic_stack 0
		.amdhsa_system_sgpr_private_segment_wavefront_offset 0
		.amdhsa_system_sgpr_workgroup_id_x 1
		.amdhsa_system_sgpr_workgroup_id_y 0
		.amdhsa_system_sgpr_workgroup_id_z 0
		.amdhsa_system_sgpr_workgroup_info 0
		.amdhsa_system_vgpr_workitem_id 0
		.amdhsa_next_free_vgpr 1
		.amdhsa_next_free_sgpr 0
		.amdhsa_reserve_vcc 0
		.amdhsa_reserve_flat_scratch 0
		.amdhsa_float_round_mode_32 0
		.amdhsa_float_round_mode_16_64 0
		.amdhsa_float_denorm_mode_32 3
		.amdhsa_float_denorm_mode_16_64 3
		.amdhsa_dx10_clamp 1
		.amdhsa_ieee_mode 1
		.amdhsa_fp16_overflow 0
		.amdhsa_exception_fp_ieee_invalid_op 0
		.amdhsa_exception_fp_denorm_src 0
		.amdhsa_exception_fp_ieee_div_zero 0
		.amdhsa_exception_fp_ieee_overflow 0
		.amdhsa_exception_fp_ieee_underflow 0
		.amdhsa_exception_fp_ieee_inexact 0
		.amdhsa_exception_int_div_zero 0
	.end_amdhsa_kernel
	.section	.text._ZN7rocprim17ROCPRIM_400000_NS6detail17trampoline_kernelINS0_14default_configENS1_38merge_sort_block_merge_config_selectorIalEEZZNS1_27merge_sort_block_merge_implIS3_PaN6thrust23THRUST_200600_302600_NS10device_ptrIlEEjNS1_19radix_merge_compareILb0ELb1EaNS0_19identity_decomposerEEEEE10hipError_tT0_T1_T2_jT3_P12ihipStream_tbPNSt15iterator_traitsISG_E10value_typeEPNSM_ISH_E10value_typeEPSI_NS1_7vsmem_tEENKUlT_SG_SH_SI_E_clIS7_S7_SB_PlEESF_SV_SG_SH_SI_EUlSV_E0_NS1_11comp_targetILNS1_3genE5ELNS1_11target_archE942ELNS1_3gpuE9ELNS1_3repE0EEENS1_38merge_mergepath_config_static_selectorELNS0_4arch9wavefront6targetE1EEEvSH_,"axG",@progbits,_ZN7rocprim17ROCPRIM_400000_NS6detail17trampoline_kernelINS0_14default_configENS1_38merge_sort_block_merge_config_selectorIalEEZZNS1_27merge_sort_block_merge_implIS3_PaN6thrust23THRUST_200600_302600_NS10device_ptrIlEEjNS1_19radix_merge_compareILb0ELb1EaNS0_19identity_decomposerEEEEE10hipError_tT0_T1_T2_jT3_P12ihipStream_tbPNSt15iterator_traitsISG_E10value_typeEPNSM_ISH_E10value_typeEPSI_NS1_7vsmem_tEENKUlT_SG_SH_SI_E_clIS7_S7_SB_PlEESF_SV_SG_SH_SI_EUlSV_E0_NS1_11comp_targetILNS1_3genE5ELNS1_11target_archE942ELNS1_3gpuE9ELNS1_3repE0EEENS1_38merge_mergepath_config_static_selectorELNS0_4arch9wavefront6targetE1EEEvSH_,comdat
.Lfunc_end568:
	.size	_ZN7rocprim17ROCPRIM_400000_NS6detail17trampoline_kernelINS0_14default_configENS1_38merge_sort_block_merge_config_selectorIalEEZZNS1_27merge_sort_block_merge_implIS3_PaN6thrust23THRUST_200600_302600_NS10device_ptrIlEEjNS1_19radix_merge_compareILb0ELb1EaNS0_19identity_decomposerEEEEE10hipError_tT0_T1_T2_jT3_P12ihipStream_tbPNSt15iterator_traitsISG_E10value_typeEPNSM_ISH_E10value_typeEPSI_NS1_7vsmem_tEENKUlT_SG_SH_SI_E_clIS7_S7_SB_PlEESF_SV_SG_SH_SI_EUlSV_E0_NS1_11comp_targetILNS1_3genE5ELNS1_11target_archE942ELNS1_3gpuE9ELNS1_3repE0EEENS1_38merge_mergepath_config_static_selectorELNS0_4arch9wavefront6targetE1EEEvSH_, .Lfunc_end568-_ZN7rocprim17ROCPRIM_400000_NS6detail17trampoline_kernelINS0_14default_configENS1_38merge_sort_block_merge_config_selectorIalEEZZNS1_27merge_sort_block_merge_implIS3_PaN6thrust23THRUST_200600_302600_NS10device_ptrIlEEjNS1_19radix_merge_compareILb0ELb1EaNS0_19identity_decomposerEEEEE10hipError_tT0_T1_T2_jT3_P12ihipStream_tbPNSt15iterator_traitsISG_E10value_typeEPNSM_ISH_E10value_typeEPSI_NS1_7vsmem_tEENKUlT_SG_SH_SI_E_clIS7_S7_SB_PlEESF_SV_SG_SH_SI_EUlSV_E0_NS1_11comp_targetILNS1_3genE5ELNS1_11target_archE942ELNS1_3gpuE9ELNS1_3repE0EEENS1_38merge_mergepath_config_static_selectorELNS0_4arch9wavefront6targetE1EEEvSH_
                                        ; -- End function
	.set _ZN7rocprim17ROCPRIM_400000_NS6detail17trampoline_kernelINS0_14default_configENS1_38merge_sort_block_merge_config_selectorIalEEZZNS1_27merge_sort_block_merge_implIS3_PaN6thrust23THRUST_200600_302600_NS10device_ptrIlEEjNS1_19radix_merge_compareILb0ELb1EaNS0_19identity_decomposerEEEEE10hipError_tT0_T1_T2_jT3_P12ihipStream_tbPNSt15iterator_traitsISG_E10value_typeEPNSM_ISH_E10value_typeEPSI_NS1_7vsmem_tEENKUlT_SG_SH_SI_E_clIS7_S7_SB_PlEESF_SV_SG_SH_SI_EUlSV_E0_NS1_11comp_targetILNS1_3genE5ELNS1_11target_archE942ELNS1_3gpuE9ELNS1_3repE0EEENS1_38merge_mergepath_config_static_selectorELNS0_4arch9wavefront6targetE1EEEvSH_.num_vgpr, 0
	.set _ZN7rocprim17ROCPRIM_400000_NS6detail17trampoline_kernelINS0_14default_configENS1_38merge_sort_block_merge_config_selectorIalEEZZNS1_27merge_sort_block_merge_implIS3_PaN6thrust23THRUST_200600_302600_NS10device_ptrIlEEjNS1_19radix_merge_compareILb0ELb1EaNS0_19identity_decomposerEEEEE10hipError_tT0_T1_T2_jT3_P12ihipStream_tbPNSt15iterator_traitsISG_E10value_typeEPNSM_ISH_E10value_typeEPSI_NS1_7vsmem_tEENKUlT_SG_SH_SI_E_clIS7_S7_SB_PlEESF_SV_SG_SH_SI_EUlSV_E0_NS1_11comp_targetILNS1_3genE5ELNS1_11target_archE942ELNS1_3gpuE9ELNS1_3repE0EEENS1_38merge_mergepath_config_static_selectorELNS0_4arch9wavefront6targetE1EEEvSH_.num_agpr, 0
	.set _ZN7rocprim17ROCPRIM_400000_NS6detail17trampoline_kernelINS0_14default_configENS1_38merge_sort_block_merge_config_selectorIalEEZZNS1_27merge_sort_block_merge_implIS3_PaN6thrust23THRUST_200600_302600_NS10device_ptrIlEEjNS1_19radix_merge_compareILb0ELb1EaNS0_19identity_decomposerEEEEE10hipError_tT0_T1_T2_jT3_P12ihipStream_tbPNSt15iterator_traitsISG_E10value_typeEPNSM_ISH_E10value_typeEPSI_NS1_7vsmem_tEENKUlT_SG_SH_SI_E_clIS7_S7_SB_PlEESF_SV_SG_SH_SI_EUlSV_E0_NS1_11comp_targetILNS1_3genE5ELNS1_11target_archE942ELNS1_3gpuE9ELNS1_3repE0EEENS1_38merge_mergepath_config_static_selectorELNS0_4arch9wavefront6targetE1EEEvSH_.numbered_sgpr, 0
	.set _ZN7rocprim17ROCPRIM_400000_NS6detail17trampoline_kernelINS0_14default_configENS1_38merge_sort_block_merge_config_selectorIalEEZZNS1_27merge_sort_block_merge_implIS3_PaN6thrust23THRUST_200600_302600_NS10device_ptrIlEEjNS1_19radix_merge_compareILb0ELb1EaNS0_19identity_decomposerEEEEE10hipError_tT0_T1_T2_jT3_P12ihipStream_tbPNSt15iterator_traitsISG_E10value_typeEPNSM_ISH_E10value_typeEPSI_NS1_7vsmem_tEENKUlT_SG_SH_SI_E_clIS7_S7_SB_PlEESF_SV_SG_SH_SI_EUlSV_E0_NS1_11comp_targetILNS1_3genE5ELNS1_11target_archE942ELNS1_3gpuE9ELNS1_3repE0EEENS1_38merge_mergepath_config_static_selectorELNS0_4arch9wavefront6targetE1EEEvSH_.num_named_barrier, 0
	.set _ZN7rocprim17ROCPRIM_400000_NS6detail17trampoline_kernelINS0_14default_configENS1_38merge_sort_block_merge_config_selectorIalEEZZNS1_27merge_sort_block_merge_implIS3_PaN6thrust23THRUST_200600_302600_NS10device_ptrIlEEjNS1_19radix_merge_compareILb0ELb1EaNS0_19identity_decomposerEEEEE10hipError_tT0_T1_T2_jT3_P12ihipStream_tbPNSt15iterator_traitsISG_E10value_typeEPNSM_ISH_E10value_typeEPSI_NS1_7vsmem_tEENKUlT_SG_SH_SI_E_clIS7_S7_SB_PlEESF_SV_SG_SH_SI_EUlSV_E0_NS1_11comp_targetILNS1_3genE5ELNS1_11target_archE942ELNS1_3gpuE9ELNS1_3repE0EEENS1_38merge_mergepath_config_static_selectorELNS0_4arch9wavefront6targetE1EEEvSH_.private_seg_size, 0
	.set _ZN7rocprim17ROCPRIM_400000_NS6detail17trampoline_kernelINS0_14default_configENS1_38merge_sort_block_merge_config_selectorIalEEZZNS1_27merge_sort_block_merge_implIS3_PaN6thrust23THRUST_200600_302600_NS10device_ptrIlEEjNS1_19radix_merge_compareILb0ELb1EaNS0_19identity_decomposerEEEEE10hipError_tT0_T1_T2_jT3_P12ihipStream_tbPNSt15iterator_traitsISG_E10value_typeEPNSM_ISH_E10value_typeEPSI_NS1_7vsmem_tEENKUlT_SG_SH_SI_E_clIS7_S7_SB_PlEESF_SV_SG_SH_SI_EUlSV_E0_NS1_11comp_targetILNS1_3genE5ELNS1_11target_archE942ELNS1_3gpuE9ELNS1_3repE0EEENS1_38merge_mergepath_config_static_selectorELNS0_4arch9wavefront6targetE1EEEvSH_.uses_vcc, 0
	.set _ZN7rocprim17ROCPRIM_400000_NS6detail17trampoline_kernelINS0_14default_configENS1_38merge_sort_block_merge_config_selectorIalEEZZNS1_27merge_sort_block_merge_implIS3_PaN6thrust23THRUST_200600_302600_NS10device_ptrIlEEjNS1_19radix_merge_compareILb0ELb1EaNS0_19identity_decomposerEEEEE10hipError_tT0_T1_T2_jT3_P12ihipStream_tbPNSt15iterator_traitsISG_E10value_typeEPNSM_ISH_E10value_typeEPSI_NS1_7vsmem_tEENKUlT_SG_SH_SI_E_clIS7_S7_SB_PlEESF_SV_SG_SH_SI_EUlSV_E0_NS1_11comp_targetILNS1_3genE5ELNS1_11target_archE942ELNS1_3gpuE9ELNS1_3repE0EEENS1_38merge_mergepath_config_static_selectorELNS0_4arch9wavefront6targetE1EEEvSH_.uses_flat_scratch, 0
	.set _ZN7rocprim17ROCPRIM_400000_NS6detail17trampoline_kernelINS0_14default_configENS1_38merge_sort_block_merge_config_selectorIalEEZZNS1_27merge_sort_block_merge_implIS3_PaN6thrust23THRUST_200600_302600_NS10device_ptrIlEEjNS1_19radix_merge_compareILb0ELb1EaNS0_19identity_decomposerEEEEE10hipError_tT0_T1_T2_jT3_P12ihipStream_tbPNSt15iterator_traitsISG_E10value_typeEPNSM_ISH_E10value_typeEPSI_NS1_7vsmem_tEENKUlT_SG_SH_SI_E_clIS7_S7_SB_PlEESF_SV_SG_SH_SI_EUlSV_E0_NS1_11comp_targetILNS1_3genE5ELNS1_11target_archE942ELNS1_3gpuE9ELNS1_3repE0EEENS1_38merge_mergepath_config_static_selectorELNS0_4arch9wavefront6targetE1EEEvSH_.has_dyn_sized_stack, 0
	.set _ZN7rocprim17ROCPRIM_400000_NS6detail17trampoline_kernelINS0_14default_configENS1_38merge_sort_block_merge_config_selectorIalEEZZNS1_27merge_sort_block_merge_implIS3_PaN6thrust23THRUST_200600_302600_NS10device_ptrIlEEjNS1_19radix_merge_compareILb0ELb1EaNS0_19identity_decomposerEEEEE10hipError_tT0_T1_T2_jT3_P12ihipStream_tbPNSt15iterator_traitsISG_E10value_typeEPNSM_ISH_E10value_typeEPSI_NS1_7vsmem_tEENKUlT_SG_SH_SI_E_clIS7_S7_SB_PlEESF_SV_SG_SH_SI_EUlSV_E0_NS1_11comp_targetILNS1_3genE5ELNS1_11target_archE942ELNS1_3gpuE9ELNS1_3repE0EEENS1_38merge_mergepath_config_static_selectorELNS0_4arch9wavefront6targetE1EEEvSH_.has_recursion, 0
	.set _ZN7rocprim17ROCPRIM_400000_NS6detail17trampoline_kernelINS0_14default_configENS1_38merge_sort_block_merge_config_selectorIalEEZZNS1_27merge_sort_block_merge_implIS3_PaN6thrust23THRUST_200600_302600_NS10device_ptrIlEEjNS1_19radix_merge_compareILb0ELb1EaNS0_19identity_decomposerEEEEE10hipError_tT0_T1_T2_jT3_P12ihipStream_tbPNSt15iterator_traitsISG_E10value_typeEPNSM_ISH_E10value_typeEPSI_NS1_7vsmem_tEENKUlT_SG_SH_SI_E_clIS7_S7_SB_PlEESF_SV_SG_SH_SI_EUlSV_E0_NS1_11comp_targetILNS1_3genE5ELNS1_11target_archE942ELNS1_3gpuE9ELNS1_3repE0EEENS1_38merge_mergepath_config_static_selectorELNS0_4arch9wavefront6targetE1EEEvSH_.has_indirect_call, 0
	.section	.AMDGPU.csdata,"",@progbits
; Kernel info:
; codeLenInByte = 0
; TotalNumSgprs: 4
; NumVgprs: 0
; ScratchSize: 0
; MemoryBound: 0
; FloatMode: 240
; IeeeMode: 1
; LDSByteSize: 0 bytes/workgroup (compile time only)
; SGPRBlocks: 0
; VGPRBlocks: 0
; NumSGPRsForWavesPerEU: 4
; NumVGPRsForWavesPerEU: 1
; Occupancy: 10
; WaveLimiterHint : 0
; COMPUTE_PGM_RSRC2:SCRATCH_EN: 0
; COMPUTE_PGM_RSRC2:USER_SGPR: 6
; COMPUTE_PGM_RSRC2:TRAP_HANDLER: 0
; COMPUTE_PGM_RSRC2:TGID_X_EN: 1
; COMPUTE_PGM_RSRC2:TGID_Y_EN: 0
; COMPUTE_PGM_RSRC2:TGID_Z_EN: 0
; COMPUTE_PGM_RSRC2:TIDIG_COMP_CNT: 0
	.section	.text._ZN7rocprim17ROCPRIM_400000_NS6detail17trampoline_kernelINS0_14default_configENS1_38merge_sort_block_merge_config_selectorIalEEZZNS1_27merge_sort_block_merge_implIS3_PaN6thrust23THRUST_200600_302600_NS10device_ptrIlEEjNS1_19radix_merge_compareILb0ELb1EaNS0_19identity_decomposerEEEEE10hipError_tT0_T1_T2_jT3_P12ihipStream_tbPNSt15iterator_traitsISG_E10value_typeEPNSM_ISH_E10value_typeEPSI_NS1_7vsmem_tEENKUlT_SG_SH_SI_E_clIS7_S7_SB_PlEESF_SV_SG_SH_SI_EUlSV_E0_NS1_11comp_targetILNS1_3genE4ELNS1_11target_archE910ELNS1_3gpuE8ELNS1_3repE0EEENS1_38merge_mergepath_config_static_selectorELNS0_4arch9wavefront6targetE1EEEvSH_,"axG",@progbits,_ZN7rocprim17ROCPRIM_400000_NS6detail17trampoline_kernelINS0_14default_configENS1_38merge_sort_block_merge_config_selectorIalEEZZNS1_27merge_sort_block_merge_implIS3_PaN6thrust23THRUST_200600_302600_NS10device_ptrIlEEjNS1_19radix_merge_compareILb0ELb1EaNS0_19identity_decomposerEEEEE10hipError_tT0_T1_T2_jT3_P12ihipStream_tbPNSt15iterator_traitsISG_E10value_typeEPNSM_ISH_E10value_typeEPSI_NS1_7vsmem_tEENKUlT_SG_SH_SI_E_clIS7_S7_SB_PlEESF_SV_SG_SH_SI_EUlSV_E0_NS1_11comp_targetILNS1_3genE4ELNS1_11target_archE910ELNS1_3gpuE8ELNS1_3repE0EEENS1_38merge_mergepath_config_static_selectorELNS0_4arch9wavefront6targetE1EEEvSH_,comdat
	.protected	_ZN7rocprim17ROCPRIM_400000_NS6detail17trampoline_kernelINS0_14default_configENS1_38merge_sort_block_merge_config_selectorIalEEZZNS1_27merge_sort_block_merge_implIS3_PaN6thrust23THRUST_200600_302600_NS10device_ptrIlEEjNS1_19radix_merge_compareILb0ELb1EaNS0_19identity_decomposerEEEEE10hipError_tT0_T1_T2_jT3_P12ihipStream_tbPNSt15iterator_traitsISG_E10value_typeEPNSM_ISH_E10value_typeEPSI_NS1_7vsmem_tEENKUlT_SG_SH_SI_E_clIS7_S7_SB_PlEESF_SV_SG_SH_SI_EUlSV_E0_NS1_11comp_targetILNS1_3genE4ELNS1_11target_archE910ELNS1_3gpuE8ELNS1_3repE0EEENS1_38merge_mergepath_config_static_selectorELNS0_4arch9wavefront6targetE1EEEvSH_ ; -- Begin function _ZN7rocprim17ROCPRIM_400000_NS6detail17trampoline_kernelINS0_14default_configENS1_38merge_sort_block_merge_config_selectorIalEEZZNS1_27merge_sort_block_merge_implIS3_PaN6thrust23THRUST_200600_302600_NS10device_ptrIlEEjNS1_19radix_merge_compareILb0ELb1EaNS0_19identity_decomposerEEEEE10hipError_tT0_T1_T2_jT3_P12ihipStream_tbPNSt15iterator_traitsISG_E10value_typeEPNSM_ISH_E10value_typeEPSI_NS1_7vsmem_tEENKUlT_SG_SH_SI_E_clIS7_S7_SB_PlEESF_SV_SG_SH_SI_EUlSV_E0_NS1_11comp_targetILNS1_3genE4ELNS1_11target_archE910ELNS1_3gpuE8ELNS1_3repE0EEENS1_38merge_mergepath_config_static_selectorELNS0_4arch9wavefront6targetE1EEEvSH_
	.globl	_ZN7rocprim17ROCPRIM_400000_NS6detail17trampoline_kernelINS0_14default_configENS1_38merge_sort_block_merge_config_selectorIalEEZZNS1_27merge_sort_block_merge_implIS3_PaN6thrust23THRUST_200600_302600_NS10device_ptrIlEEjNS1_19radix_merge_compareILb0ELb1EaNS0_19identity_decomposerEEEEE10hipError_tT0_T1_T2_jT3_P12ihipStream_tbPNSt15iterator_traitsISG_E10value_typeEPNSM_ISH_E10value_typeEPSI_NS1_7vsmem_tEENKUlT_SG_SH_SI_E_clIS7_S7_SB_PlEESF_SV_SG_SH_SI_EUlSV_E0_NS1_11comp_targetILNS1_3genE4ELNS1_11target_archE910ELNS1_3gpuE8ELNS1_3repE0EEENS1_38merge_mergepath_config_static_selectorELNS0_4arch9wavefront6targetE1EEEvSH_
	.p2align	8
	.type	_ZN7rocprim17ROCPRIM_400000_NS6detail17trampoline_kernelINS0_14default_configENS1_38merge_sort_block_merge_config_selectorIalEEZZNS1_27merge_sort_block_merge_implIS3_PaN6thrust23THRUST_200600_302600_NS10device_ptrIlEEjNS1_19radix_merge_compareILb0ELb1EaNS0_19identity_decomposerEEEEE10hipError_tT0_T1_T2_jT3_P12ihipStream_tbPNSt15iterator_traitsISG_E10value_typeEPNSM_ISH_E10value_typeEPSI_NS1_7vsmem_tEENKUlT_SG_SH_SI_E_clIS7_S7_SB_PlEESF_SV_SG_SH_SI_EUlSV_E0_NS1_11comp_targetILNS1_3genE4ELNS1_11target_archE910ELNS1_3gpuE8ELNS1_3repE0EEENS1_38merge_mergepath_config_static_selectorELNS0_4arch9wavefront6targetE1EEEvSH_,@function
_ZN7rocprim17ROCPRIM_400000_NS6detail17trampoline_kernelINS0_14default_configENS1_38merge_sort_block_merge_config_selectorIalEEZZNS1_27merge_sort_block_merge_implIS3_PaN6thrust23THRUST_200600_302600_NS10device_ptrIlEEjNS1_19radix_merge_compareILb0ELb1EaNS0_19identity_decomposerEEEEE10hipError_tT0_T1_T2_jT3_P12ihipStream_tbPNSt15iterator_traitsISG_E10value_typeEPNSM_ISH_E10value_typeEPSI_NS1_7vsmem_tEENKUlT_SG_SH_SI_E_clIS7_S7_SB_PlEESF_SV_SG_SH_SI_EUlSV_E0_NS1_11comp_targetILNS1_3genE4ELNS1_11target_archE910ELNS1_3gpuE8ELNS1_3repE0EEENS1_38merge_mergepath_config_static_selectorELNS0_4arch9wavefront6targetE1EEEvSH_: ; @_ZN7rocprim17ROCPRIM_400000_NS6detail17trampoline_kernelINS0_14default_configENS1_38merge_sort_block_merge_config_selectorIalEEZZNS1_27merge_sort_block_merge_implIS3_PaN6thrust23THRUST_200600_302600_NS10device_ptrIlEEjNS1_19radix_merge_compareILb0ELb1EaNS0_19identity_decomposerEEEEE10hipError_tT0_T1_T2_jT3_P12ihipStream_tbPNSt15iterator_traitsISG_E10value_typeEPNSM_ISH_E10value_typeEPSI_NS1_7vsmem_tEENKUlT_SG_SH_SI_E_clIS7_S7_SB_PlEESF_SV_SG_SH_SI_EUlSV_E0_NS1_11comp_targetILNS1_3genE4ELNS1_11target_archE910ELNS1_3gpuE8ELNS1_3repE0EEENS1_38merge_mergepath_config_static_selectorELNS0_4arch9wavefront6targetE1EEEvSH_
; %bb.0:
	.section	.rodata,"a",@progbits
	.p2align	6, 0x0
	.amdhsa_kernel _ZN7rocprim17ROCPRIM_400000_NS6detail17trampoline_kernelINS0_14default_configENS1_38merge_sort_block_merge_config_selectorIalEEZZNS1_27merge_sort_block_merge_implIS3_PaN6thrust23THRUST_200600_302600_NS10device_ptrIlEEjNS1_19radix_merge_compareILb0ELb1EaNS0_19identity_decomposerEEEEE10hipError_tT0_T1_T2_jT3_P12ihipStream_tbPNSt15iterator_traitsISG_E10value_typeEPNSM_ISH_E10value_typeEPSI_NS1_7vsmem_tEENKUlT_SG_SH_SI_E_clIS7_S7_SB_PlEESF_SV_SG_SH_SI_EUlSV_E0_NS1_11comp_targetILNS1_3genE4ELNS1_11target_archE910ELNS1_3gpuE8ELNS1_3repE0EEENS1_38merge_mergepath_config_static_selectorELNS0_4arch9wavefront6targetE1EEEvSH_
		.amdhsa_group_segment_fixed_size 0
		.amdhsa_private_segment_fixed_size 0
		.amdhsa_kernarg_size 64
		.amdhsa_user_sgpr_count 6
		.amdhsa_user_sgpr_private_segment_buffer 1
		.amdhsa_user_sgpr_dispatch_ptr 0
		.amdhsa_user_sgpr_queue_ptr 0
		.amdhsa_user_sgpr_kernarg_segment_ptr 1
		.amdhsa_user_sgpr_dispatch_id 0
		.amdhsa_user_sgpr_flat_scratch_init 0
		.amdhsa_user_sgpr_private_segment_size 0
		.amdhsa_uses_dynamic_stack 0
		.amdhsa_system_sgpr_private_segment_wavefront_offset 0
		.amdhsa_system_sgpr_workgroup_id_x 1
		.amdhsa_system_sgpr_workgroup_id_y 0
		.amdhsa_system_sgpr_workgroup_id_z 0
		.amdhsa_system_sgpr_workgroup_info 0
		.amdhsa_system_vgpr_workitem_id 0
		.amdhsa_next_free_vgpr 1
		.amdhsa_next_free_sgpr 0
		.amdhsa_reserve_vcc 0
		.amdhsa_reserve_flat_scratch 0
		.amdhsa_float_round_mode_32 0
		.amdhsa_float_round_mode_16_64 0
		.amdhsa_float_denorm_mode_32 3
		.amdhsa_float_denorm_mode_16_64 3
		.amdhsa_dx10_clamp 1
		.amdhsa_ieee_mode 1
		.amdhsa_fp16_overflow 0
		.amdhsa_exception_fp_ieee_invalid_op 0
		.amdhsa_exception_fp_denorm_src 0
		.amdhsa_exception_fp_ieee_div_zero 0
		.amdhsa_exception_fp_ieee_overflow 0
		.amdhsa_exception_fp_ieee_underflow 0
		.amdhsa_exception_fp_ieee_inexact 0
		.amdhsa_exception_int_div_zero 0
	.end_amdhsa_kernel
	.section	.text._ZN7rocprim17ROCPRIM_400000_NS6detail17trampoline_kernelINS0_14default_configENS1_38merge_sort_block_merge_config_selectorIalEEZZNS1_27merge_sort_block_merge_implIS3_PaN6thrust23THRUST_200600_302600_NS10device_ptrIlEEjNS1_19radix_merge_compareILb0ELb1EaNS0_19identity_decomposerEEEEE10hipError_tT0_T1_T2_jT3_P12ihipStream_tbPNSt15iterator_traitsISG_E10value_typeEPNSM_ISH_E10value_typeEPSI_NS1_7vsmem_tEENKUlT_SG_SH_SI_E_clIS7_S7_SB_PlEESF_SV_SG_SH_SI_EUlSV_E0_NS1_11comp_targetILNS1_3genE4ELNS1_11target_archE910ELNS1_3gpuE8ELNS1_3repE0EEENS1_38merge_mergepath_config_static_selectorELNS0_4arch9wavefront6targetE1EEEvSH_,"axG",@progbits,_ZN7rocprim17ROCPRIM_400000_NS6detail17trampoline_kernelINS0_14default_configENS1_38merge_sort_block_merge_config_selectorIalEEZZNS1_27merge_sort_block_merge_implIS3_PaN6thrust23THRUST_200600_302600_NS10device_ptrIlEEjNS1_19radix_merge_compareILb0ELb1EaNS0_19identity_decomposerEEEEE10hipError_tT0_T1_T2_jT3_P12ihipStream_tbPNSt15iterator_traitsISG_E10value_typeEPNSM_ISH_E10value_typeEPSI_NS1_7vsmem_tEENKUlT_SG_SH_SI_E_clIS7_S7_SB_PlEESF_SV_SG_SH_SI_EUlSV_E0_NS1_11comp_targetILNS1_3genE4ELNS1_11target_archE910ELNS1_3gpuE8ELNS1_3repE0EEENS1_38merge_mergepath_config_static_selectorELNS0_4arch9wavefront6targetE1EEEvSH_,comdat
.Lfunc_end569:
	.size	_ZN7rocprim17ROCPRIM_400000_NS6detail17trampoline_kernelINS0_14default_configENS1_38merge_sort_block_merge_config_selectorIalEEZZNS1_27merge_sort_block_merge_implIS3_PaN6thrust23THRUST_200600_302600_NS10device_ptrIlEEjNS1_19radix_merge_compareILb0ELb1EaNS0_19identity_decomposerEEEEE10hipError_tT0_T1_T2_jT3_P12ihipStream_tbPNSt15iterator_traitsISG_E10value_typeEPNSM_ISH_E10value_typeEPSI_NS1_7vsmem_tEENKUlT_SG_SH_SI_E_clIS7_S7_SB_PlEESF_SV_SG_SH_SI_EUlSV_E0_NS1_11comp_targetILNS1_3genE4ELNS1_11target_archE910ELNS1_3gpuE8ELNS1_3repE0EEENS1_38merge_mergepath_config_static_selectorELNS0_4arch9wavefront6targetE1EEEvSH_, .Lfunc_end569-_ZN7rocprim17ROCPRIM_400000_NS6detail17trampoline_kernelINS0_14default_configENS1_38merge_sort_block_merge_config_selectorIalEEZZNS1_27merge_sort_block_merge_implIS3_PaN6thrust23THRUST_200600_302600_NS10device_ptrIlEEjNS1_19radix_merge_compareILb0ELb1EaNS0_19identity_decomposerEEEEE10hipError_tT0_T1_T2_jT3_P12ihipStream_tbPNSt15iterator_traitsISG_E10value_typeEPNSM_ISH_E10value_typeEPSI_NS1_7vsmem_tEENKUlT_SG_SH_SI_E_clIS7_S7_SB_PlEESF_SV_SG_SH_SI_EUlSV_E0_NS1_11comp_targetILNS1_3genE4ELNS1_11target_archE910ELNS1_3gpuE8ELNS1_3repE0EEENS1_38merge_mergepath_config_static_selectorELNS0_4arch9wavefront6targetE1EEEvSH_
                                        ; -- End function
	.set _ZN7rocprim17ROCPRIM_400000_NS6detail17trampoline_kernelINS0_14default_configENS1_38merge_sort_block_merge_config_selectorIalEEZZNS1_27merge_sort_block_merge_implIS3_PaN6thrust23THRUST_200600_302600_NS10device_ptrIlEEjNS1_19radix_merge_compareILb0ELb1EaNS0_19identity_decomposerEEEEE10hipError_tT0_T1_T2_jT3_P12ihipStream_tbPNSt15iterator_traitsISG_E10value_typeEPNSM_ISH_E10value_typeEPSI_NS1_7vsmem_tEENKUlT_SG_SH_SI_E_clIS7_S7_SB_PlEESF_SV_SG_SH_SI_EUlSV_E0_NS1_11comp_targetILNS1_3genE4ELNS1_11target_archE910ELNS1_3gpuE8ELNS1_3repE0EEENS1_38merge_mergepath_config_static_selectorELNS0_4arch9wavefront6targetE1EEEvSH_.num_vgpr, 0
	.set _ZN7rocprim17ROCPRIM_400000_NS6detail17trampoline_kernelINS0_14default_configENS1_38merge_sort_block_merge_config_selectorIalEEZZNS1_27merge_sort_block_merge_implIS3_PaN6thrust23THRUST_200600_302600_NS10device_ptrIlEEjNS1_19radix_merge_compareILb0ELb1EaNS0_19identity_decomposerEEEEE10hipError_tT0_T1_T2_jT3_P12ihipStream_tbPNSt15iterator_traitsISG_E10value_typeEPNSM_ISH_E10value_typeEPSI_NS1_7vsmem_tEENKUlT_SG_SH_SI_E_clIS7_S7_SB_PlEESF_SV_SG_SH_SI_EUlSV_E0_NS1_11comp_targetILNS1_3genE4ELNS1_11target_archE910ELNS1_3gpuE8ELNS1_3repE0EEENS1_38merge_mergepath_config_static_selectorELNS0_4arch9wavefront6targetE1EEEvSH_.num_agpr, 0
	.set _ZN7rocprim17ROCPRIM_400000_NS6detail17trampoline_kernelINS0_14default_configENS1_38merge_sort_block_merge_config_selectorIalEEZZNS1_27merge_sort_block_merge_implIS3_PaN6thrust23THRUST_200600_302600_NS10device_ptrIlEEjNS1_19radix_merge_compareILb0ELb1EaNS0_19identity_decomposerEEEEE10hipError_tT0_T1_T2_jT3_P12ihipStream_tbPNSt15iterator_traitsISG_E10value_typeEPNSM_ISH_E10value_typeEPSI_NS1_7vsmem_tEENKUlT_SG_SH_SI_E_clIS7_S7_SB_PlEESF_SV_SG_SH_SI_EUlSV_E0_NS1_11comp_targetILNS1_3genE4ELNS1_11target_archE910ELNS1_3gpuE8ELNS1_3repE0EEENS1_38merge_mergepath_config_static_selectorELNS0_4arch9wavefront6targetE1EEEvSH_.numbered_sgpr, 0
	.set _ZN7rocprim17ROCPRIM_400000_NS6detail17trampoline_kernelINS0_14default_configENS1_38merge_sort_block_merge_config_selectorIalEEZZNS1_27merge_sort_block_merge_implIS3_PaN6thrust23THRUST_200600_302600_NS10device_ptrIlEEjNS1_19radix_merge_compareILb0ELb1EaNS0_19identity_decomposerEEEEE10hipError_tT0_T1_T2_jT3_P12ihipStream_tbPNSt15iterator_traitsISG_E10value_typeEPNSM_ISH_E10value_typeEPSI_NS1_7vsmem_tEENKUlT_SG_SH_SI_E_clIS7_S7_SB_PlEESF_SV_SG_SH_SI_EUlSV_E0_NS1_11comp_targetILNS1_3genE4ELNS1_11target_archE910ELNS1_3gpuE8ELNS1_3repE0EEENS1_38merge_mergepath_config_static_selectorELNS0_4arch9wavefront6targetE1EEEvSH_.num_named_barrier, 0
	.set _ZN7rocprim17ROCPRIM_400000_NS6detail17trampoline_kernelINS0_14default_configENS1_38merge_sort_block_merge_config_selectorIalEEZZNS1_27merge_sort_block_merge_implIS3_PaN6thrust23THRUST_200600_302600_NS10device_ptrIlEEjNS1_19radix_merge_compareILb0ELb1EaNS0_19identity_decomposerEEEEE10hipError_tT0_T1_T2_jT3_P12ihipStream_tbPNSt15iterator_traitsISG_E10value_typeEPNSM_ISH_E10value_typeEPSI_NS1_7vsmem_tEENKUlT_SG_SH_SI_E_clIS7_S7_SB_PlEESF_SV_SG_SH_SI_EUlSV_E0_NS1_11comp_targetILNS1_3genE4ELNS1_11target_archE910ELNS1_3gpuE8ELNS1_3repE0EEENS1_38merge_mergepath_config_static_selectorELNS0_4arch9wavefront6targetE1EEEvSH_.private_seg_size, 0
	.set _ZN7rocprim17ROCPRIM_400000_NS6detail17trampoline_kernelINS0_14default_configENS1_38merge_sort_block_merge_config_selectorIalEEZZNS1_27merge_sort_block_merge_implIS3_PaN6thrust23THRUST_200600_302600_NS10device_ptrIlEEjNS1_19radix_merge_compareILb0ELb1EaNS0_19identity_decomposerEEEEE10hipError_tT0_T1_T2_jT3_P12ihipStream_tbPNSt15iterator_traitsISG_E10value_typeEPNSM_ISH_E10value_typeEPSI_NS1_7vsmem_tEENKUlT_SG_SH_SI_E_clIS7_S7_SB_PlEESF_SV_SG_SH_SI_EUlSV_E0_NS1_11comp_targetILNS1_3genE4ELNS1_11target_archE910ELNS1_3gpuE8ELNS1_3repE0EEENS1_38merge_mergepath_config_static_selectorELNS0_4arch9wavefront6targetE1EEEvSH_.uses_vcc, 0
	.set _ZN7rocprim17ROCPRIM_400000_NS6detail17trampoline_kernelINS0_14default_configENS1_38merge_sort_block_merge_config_selectorIalEEZZNS1_27merge_sort_block_merge_implIS3_PaN6thrust23THRUST_200600_302600_NS10device_ptrIlEEjNS1_19radix_merge_compareILb0ELb1EaNS0_19identity_decomposerEEEEE10hipError_tT0_T1_T2_jT3_P12ihipStream_tbPNSt15iterator_traitsISG_E10value_typeEPNSM_ISH_E10value_typeEPSI_NS1_7vsmem_tEENKUlT_SG_SH_SI_E_clIS7_S7_SB_PlEESF_SV_SG_SH_SI_EUlSV_E0_NS1_11comp_targetILNS1_3genE4ELNS1_11target_archE910ELNS1_3gpuE8ELNS1_3repE0EEENS1_38merge_mergepath_config_static_selectorELNS0_4arch9wavefront6targetE1EEEvSH_.uses_flat_scratch, 0
	.set _ZN7rocprim17ROCPRIM_400000_NS6detail17trampoline_kernelINS0_14default_configENS1_38merge_sort_block_merge_config_selectorIalEEZZNS1_27merge_sort_block_merge_implIS3_PaN6thrust23THRUST_200600_302600_NS10device_ptrIlEEjNS1_19radix_merge_compareILb0ELb1EaNS0_19identity_decomposerEEEEE10hipError_tT0_T1_T2_jT3_P12ihipStream_tbPNSt15iterator_traitsISG_E10value_typeEPNSM_ISH_E10value_typeEPSI_NS1_7vsmem_tEENKUlT_SG_SH_SI_E_clIS7_S7_SB_PlEESF_SV_SG_SH_SI_EUlSV_E0_NS1_11comp_targetILNS1_3genE4ELNS1_11target_archE910ELNS1_3gpuE8ELNS1_3repE0EEENS1_38merge_mergepath_config_static_selectorELNS0_4arch9wavefront6targetE1EEEvSH_.has_dyn_sized_stack, 0
	.set _ZN7rocprim17ROCPRIM_400000_NS6detail17trampoline_kernelINS0_14default_configENS1_38merge_sort_block_merge_config_selectorIalEEZZNS1_27merge_sort_block_merge_implIS3_PaN6thrust23THRUST_200600_302600_NS10device_ptrIlEEjNS1_19radix_merge_compareILb0ELb1EaNS0_19identity_decomposerEEEEE10hipError_tT0_T1_T2_jT3_P12ihipStream_tbPNSt15iterator_traitsISG_E10value_typeEPNSM_ISH_E10value_typeEPSI_NS1_7vsmem_tEENKUlT_SG_SH_SI_E_clIS7_S7_SB_PlEESF_SV_SG_SH_SI_EUlSV_E0_NS1_11comp_targetILNS1_3genE4ELNS1_11target_archE910ELNS1_3gpuE8ELNS1_3repE0EEENS1_38merge_mergepath_config_static_selectorELNS0_4arch9wavefront6targetE1EEEvSH_.has_recursion, 0
	.set _ZN7rocprim17ROCPRIM_400000_NS6detail17trampoline_kernelINS0_14default_configENS1_38merge_sort_block_merge_config_selectorIalEEZZNS1_27merge_sort_block_merge_implIS3_PaN6thrust23THRUST_200600_302600_NS10device_ptrIlEEjNS1_19radix_merge_compareILb0ELb1EaNS0_19identity_decomposerEEEEE10hipError_tT0_T1_T2_jT3_P12ihipStream_tbPNSt15iterator_traitsISG_E10value_typeEPNSM_ISH_E10value_typeEPSI_NS1_7vsmem_tEENKUlT_SG_SH_SI_E_clIS7_S7_SB_PlEESF_SV_SG_SH_SI_EUlSV_E0_NS1_11comp_targetILNS1_3genE4ELNS1_11target_archE910ELNS1_3gpuE8ELNS1_3repE0EEENS1_38merge_mergepath_config_static_selectorELNS0_4arch9wavefront6targetE1EEEvSH_.has_indirect_call, 0
	.section	.AMDGPU.csdata,"",@progbits
; Kernel info:
; codeLenInByte = 0
; TotalNumSgprs: 4
; NumVgprs: 0
; ScratchSize: 0
; MemoryBound: 0
; FloatMode: 240
; IeeeMode: 1
; LDSByteSize: 0 bytes/workgroup (compile time only)
; SGPRBlocks: 0
; VGPRBlocks: 0
; NumSGPRsForWavesPerEU: 4
; NumVGPRsForWavesPerEU: 1
; Occupancy: 10
; WaveLimiterHint : 0
; COMPUTE_PGM_RSRC2:SCRATCH_EN: 0
; COMPUTE_PGM_RSRC2:USER_SGPR: 6
; COMPUTE_PGM_RSRC2:TRAP_HANDLER: 0
; COMPUTE_PGM_RSRC2:TGID_X_EN: 1
; COMPUTE_PGM_RSRC2:TGID_Y_EN: 0
; COMPUTE_PGM_RSRC2:TGID_Z_EN: 0
; COMPUTE_PGM_RSRC2:TIDIG_COMP_CNT: 0
	.section	.text._ZN7rocprim17ROCPRIM_400000_NS6detail17trampoline_kernelINS0_14default_configENS1_38merge_sort_block_merge_config_selectorIalEEZZNS1_27merge_sort_block_merge_implIS3_PaN6thrust23THRUST_200600_302600_NS10device_ptrIlEEjNS1_19radix_merge_compareILb0ELb1EaNS0_19identity_decomposerEEEEE10hipError_tT0_T1_T2_jT3_P12ihipStream_tbPNSt15iterator_traitsISG_E10value_typeEPNSM_ISH_E10value_typeEPSI_NS1_7vsmem_tEENKUlT_SG_SH_SI_E_clIS7_S7_SB_PlEESF_SV_SG_SH_SI_EUlSV_E0_NS1_11comp_targetILNS1_3genE3ELNS1_11target_archE908ELNS1_3gpuE7ELNS1_3repE0EEENS1_38merge_mergepath_config_static_selectorELNS0_4arch9wavefront6targetE1EEEvSH_,"axG",@progbits,_ZN7rocprim17ROCPRIM_400000_NS6detail17trampoline_kernelINS0_14default_configENS1_38merge_sort_block_merge_config_selectorIalEEZZNS1_27merge_sort_block_merge_implIS3_PaN6thrust23THRUST_200600_302600_NS10device_ptrIlEEjNS1_19radix_merge_compareILb0ELb1EaNS0_19identity_decomposerEEEEE10hipError_tT0_T1_T2_jT3_P12ihipStream_tbPNSt15iterator_traitsISG_E10value_typeEPNSM_ISH_E10value_typeEPSI_NS1_7vsmem_tEENKUlT_SG_SH_SI_E_clIS7_S7_SB_PlEESF_SV_SG_SH_SI_EUlSV_E0_NS1_11comp_targetILNS1_3genE3ELNS1_11target_archE908ELNS1_3gpuE7ELNS1_3repE0EEENS1_38merge_mergepath_config_static_selectorELNS0_4arch9wavefront6targetE1EEEvSH_,comdat
	.protected	_ZN7rocprim17ROCPRIM_400000_NS6detail17trampoline_kernelINS0_14default_configENS1_38merge_sort_block_merge_config_selectorIalEEZZNS1_27merge_sort_block_merge_implIS3_PaN6thrust23THRUST_200600_302600_NS10device_ptrIlEEjNS1_19radix_merge_compareILb0ELb1EaNS0_19identity_decomposerEEEEE10hipError_tT0_T1_T2_jT3_P12ihipStream_tbPNSt15iterator_traitsISG_E10value_typeEPNSM_ISH_E10value_typeEPSI_NS1_7vsmem_tEENKUlT_SG_SH_SI_E_clIS7_S7_SB_PlEESF_SV_SG_SH_SI_EUlSV_E0_NS1_11comp_targetILNS1_3genE3ELNS1_11target_archE908ELNS1_3gpuE7ELNS1_3repE0EEENS1_38merge_mergepath_config_static_selectorELNS0_4arch9wavefront6targetE1EEEvSH_ ; -- Begin function _ZN7rocprim17ROCPRIM_400000_NS6detail17trampoline_kernelINS0_14default_configENS1_38merge_sort_block_merge_config_selectorIalEEZZNS1_27merge_sort_block_merge_implIS3_PaN6thrust23THRUST_200600_302600_NS10device_ptrIlEEjNS1_19radix_merge_compareILb0ELb1EaNS0_19identity_decomposerEEEEE10hipError_tT0_T1_T2_jT3_P12ihipStream_tbPNSt15iterator_traitsISG_E10value_typeEPNSM_ISH_E10value_typeEPSI_NS1_7vsmem_tEENKUlT_SG_SH_SI_E_clIS7_S7_SB_PlEESF_SV_SG_SH_SI_EUlSV_E0_NS1_11comp_targetILNS1_3genE3ELNS1_11target_archE908ELNS1_3gpuE7ELNS1_3repE0EEENS1_38merge_mergepath_config_static_selectorELNS0_4arch9wavefront6targetE1EEEvSH_
	.globl	_ZN7rocprim17ROCPRIM_400000_NS6detail17trampoline_kernelINS0_14default_configENS1_38merge_sort_block_merge_config_selectorIalEEZZNS1_27merge_sort_block_merge_implIS3_PaN6thrust23THRUST_200600_302600_NS10device_ptrIlEEjNS1_19radix_merge_compareILb0ELb1EaNS0_19identity_decomposerEEEEE10hipError_tT0_T1_T2_jT3_P12ihipStream_tbPNSt15iterator_traitsISG_E10value_typeEPNSM_ISH_E10value_typeEPSI_NS1_7vsmem_tEENKUlT_SG_SH_SI_E_clIS7_S7_SB_PlEESF_SV_SG_SH_SI_EUlSV_E0_NS1_11comp_targetILNS1_3genE3ELNS1_11target_archE908ELNS1_3gpuE7ELNS1_3repE0EEENS1_38merge_mergepath_config_static_selectorELNS0_4arch9wavefront6targetE1EEEvSH_
	.p2align	8
	.type	_ZN7rocprim17ROCPRIM_400000_NS6detail17trampoline_kernelINS0_14default_configENS1_38merge_sort_block_merge_config_selectorIalEEZZNS1_27merge_sort_block_merge_implIS3_PaN6thrust23THRUST_200600_302600_NS10device_ptrIlEEjNS1_19radix_merge_compareILb0ELb1EaNS0_19identity_decomposerEEEEE10hipError_tT0_T1_T2_jT3_P12ihipStream_tbPNSt15iterator_traitsISG_E10value_typeEPNSM_ISH_E10value_typeEPSI_NS1_7vsmem_tEENKUlT_SG_SH_SI_E_clIS7_S7_SB_PlEESF_SV_SG_SH_SI_EUlSV_E0_NS1_11comp_targetILNS1_3genE3ELNS1_11target_archE908ELNS1_3gpuE7ELNS1_3repE0EEENS1_38merge_mergepath_config_static_selectorELNS0_4arch9wavefront6targetE1EEEvSH_,@function
_ZN7rocprim17ROCPRIM_400000_NS6detail17trampoline_kernelINS0_14default_configENS1_38merge_sort_block_merge_config_selectorIalEEZZNS1_27merge_sort_block_merge_implIS3_PaN6thrust23THRUST_200600_302600_NS10device_ptrIlEEjNS1_19radix_merge_compareILb0ELb1EaNS0_19identity_decomposerEEEEE10hipError_tT0_T1_T2_jT3_P12ihipStream_tbPNSt15iterator_traitsISG_E10value_typeEPNSM_ISH_E10value_typeEPSI_NS1_7vsmem_tEENKUlT_SG_SH_SI_E_clIS7_S7_SB_PlEESF_SV_SG_SH_SI_EUlSV_E0_NS1_11comp_targetILNS1_3genE3ELNS1_11target_archE908ELNS1_3gpuE7ELNS1_3repE0EEENS1_38merge_mergepath_config_static_selectorELNS0_4arch9wavefront6targetE1EEEvSH_: ; @_ZN7rocprim17ROCPRIM_400000_NS6detail17trampoline_kernelINS0_14default_configENS1_38merge_sort_block_merge_config_selectorIalEEZZNS1_27merge_sort_block_merge_implIS3_PaN6thrust23THRUST_200600_302600_NS10device_ptrIlEEjNS1_19radix_merge_compareILb0ELb1EaNS0_19identity_decomposerEEEEE10hipError_tT0_T1_T2_jT3_P12ihipStream_tbPNSt15iterator_traitsISG_E10value_typeEPNSM_ISH_E10value_typeEPSI_NS1_7vsmem_tEENKUlT_SG_SH_SI_E_clIS7_S7_SB_PlEESF_SV_SG_SH_SI_EUlSV_E0_NS1_11comp_targetILNS1_3genE3ELNS1_11target_archE908ELNS1_3gpuE7ELNS1_3repE0EEENS1_38merge_mergepath_config_static_selectorELNS0_4arch9wavefront6targetE1EEEvSH_
; %bb.0:
	.section	.rodata,"a",@progbits
	.p2align	6, 0x0
	.amdhsa_kernel _ZN7rocprim17ROCPRIM_400000_NS6detail17trampoline_kernelINS0_14default_configENS1_38merge_sort_block_merge_config_selectorIalEEZZNS1_27merge_sort_block_merge_implIS3_PaN6thrust23THRUST_200600_302600_NS10device_ptrIlEEjNS1_19radix_merge_compareILb0ELb1EaNS0_19identity_decomposerEEEEE10hipError_tT0_T1_T2_jT3_P12ihipStream_tbPNSt15iterator_traitsISG_E10value_typeEPNSM_ISH_E10value_typeEPSI_NS1_7vsmem_tEENKUlT_SG_SH_SI_E_clIS7_S7_SB_PlEESF_SV_SG_SH_SI_EUlSV_E0_NS1_11comp_targetILNS1_3genE3ELNS1_11target_archE908ELNS1_3gpuE7ELNS1_3repE0EEENS1_38merge_mergepath_config_static_selectorELNS0_4arch9wavefront6targetE1EEEvSH_
		.amdhsa_group_segment_fixed_size 0
		.amdhsa_private_segment_fixed_size 0
		.amdhsa_kernarg_size 64
		.amdhsa_user_sgpr_count 6
		.amdhsa_user_sgpr_private_segment_buffer 1
		.amdhsa_user_sgpr_dispatch_ptr 0
		.amdhsa_user_sgpr_queue_ptr 0
		.amdhsa_user_sgpr_kernarg_segment_ptr 1
		.amdhsa_user_sgpr_dispatch_id 0
		.amdhsa_user_sgpr_flat_scratch_init 0
		.amdhsa_user_sgpr_private_segment_size 0
		.amdhsa_uses_dynamic_stack 0
		.amdhsa_system_sgpr_private_segment_wavefront_offset 0
		.amdhsa_system_sgpr_workgroup_id_x 1
		.amdhsa_system_sgpr_workgroup_id_y 0
		.amdhsa_system_sgpr_workgroup_id_z 0
		.amdhsa_system_sgpr_workgroup_info 0
		.amdhsa_system_vgpr_workitem_id 0
		.amdhsa_next_free_vgpr 1
		.amdhsa_next_free_sgpr 0
		.amdhsa_reserve_vcc 0
		.amdhsa_reserve_flat_scratch 0
		.amdhsa_float_round_mode_32 0
		.amdhsa_float_round_mode_16_64 0
		.amdhsa_float_denorm_mode_32 3
		.amdhsa_float_denorm_mode_16_64 3
		.amdhsa_dx10_clamp 1
		.amdhsa_ieee_mode 1
		.amdhsa_fp16_overflow 0
		.amdhsa_exception_fp_ieee_invalid_op 0
		.amdhsa_exception_fp_denorm_src 0
		.amdhsa_exception_fp_ieee_div_zero 0
		.amdhsa_exception_fp_ieee_overflow 0
		.amdhsa_exception_fp_ieee_underflow 0
		.amdhsa_exception_fp_ieee_inexact 0
		.amdhsa_exception_int_div_zero 0
	.end_amdhsa_kernel
	.section	.text._ZN7rocprim17ROCPRIM_400000_NS6detail17trampoline_kernelINS0_14default_configENS1_38merge_sort_block_merge_config_selectorIalEEZZNS1_27merge_sort_block_merge_implIS3_PaN6thrust23THRUST_200600_302600_NS10device_ptrIlEEjNS1_19radix_merge_compareILb0ELb1EaNS0_19identity_decomposerEEEEE10hipError_tT0_T1_T2_jT3_P12ihipStream_tbPNSt15iterator_traitsISG_E10value_typeEPNSM_ISH_E10value_typeEPSI_NS1_7vsmem_tEENKUlT_SG_SH_SI_E_clIS7_S7_SB_PlEESF_SV_SG_SH_SI_EUlSV_E0_NS1_11comp_targetILNS1_3genE3ELNS1_11target_archE908ELNS1_3gpuE7ELNS1_3repE0EEENS1_38merge_mergepath_config_static_selectorELNS0_4arch9wavefront6targetE1EEEvSH_,"axG",@progbits,_ZN7rocprim17ROCPRIM_400000_NS6detail17trampoline_kernelINS0_14default_configENS1_38merge_sort_block_merge_config_selectorIalEEZZNS1_27merge_sort_block_merge_implIS3_PaN6thrust23THRUST_200600_302600_NS10device_ptrIlEEjNS1_19radix_merge_compareILb0ELb1EaNS0_19identity_decomposerEEEEE10hipError_tT0_T1_T2_jT3_P12ihipStream_tbPNSt15iterator_traitsISG_E10value_typeEPNSM_ISH_E10value_typeEPSI_NS1_7vsmem_tEENKUlT_SG_SH_SI_E_clIS7_S7_SB_PlEESF_SV_SG_SH_SI_EUlSV_E0_NS1_11comp_targetILNS1_3genE3ELNS1_11target_archE908ELNS1_3gpuE7ELNS1_3repE0EEENS1_38merge_mergepath_config_static_selectorELNS0_4arch9wavefront6targetE1EEEvSH_,comdat
.Lfunc_end570:
	.size	_ZN7rocprim17ROCPRIM_400000_NS6detail17trampoline_kernelINS0_14default_configENS1_38merge_sort_block_merge_config_selectorIalEEZZNS1_27merge_sort_block_merge_implIS3_PaN6thrust23THRUST_200600_302600_NS10device_ptrIlEEjNS1_19radix_merge_compareILb0ELb1EaNS0_19identity_decomposerEEEEE10hipError_tT0_T1_T2_jT3_P12ihipStream_tbPNSt15iterator_traitsISG_E10value_typeEPNSM_ISH_E10value_typeEPSI_NS1_7vsmem_tEENKUlT_SG_SH_SI_E_clIS7_S7_SB_PlEESF_SV_SG_SH_SI_EUlSV_E0_NS1_11comp_targetILNS1_3genE3ELNS1_11target_archE908ELNS1_3gpuE7ELNS1_3repE0EEENS1_38merge_mergepath_config_static_selectorELNS0_4arch9wavefront6targetE1EEEvSH_, .Lfunc_end570-_ZN7rocprim17ROCPRIM_400000_NS6detail17trampoline_kernelINS0_14default_configENS1_38merge_sort_block_merge_config_selectorIalEEZZNS1_27merge_sort_block_merge_implIS3_PaN6thrust23THRUST_200600_302600_NS10device_ptrIlEEjNS1_19radix_merge_compareILb0ELb1EaNS0_19identity_decomposerEEEEE10hipError_tT0_T1_T2_jT3_P12ihipStream_tbPNSt15iterator_traitsISG_E10value_typeEPNSM_ISH_E10value_typeEPSI_NS1_7vsmem_tEENKUlT_SG_SH_SI_E_clIS7_S7_SB_PlEESF_SV_SG_SH_SI_EUlSV_E0_NS1_11comp_targetILNS1_3genE3ELNS1_11target_archE908ELNS1_3gpuE7ELNS1_3repE0EEENS1_38merge_mergepath_config_static_selectorELNS0_4arch9wavefront6targetE1EEEvSH_
                                        ; -- End function
	.set _ZN7rocprim17ROCPRIM_400000_NS6detail17trampoline_kernelINS0_14default_configENS1_38merge_sort_block_merge_config_selectorIalEEZZNS1_27merge_sort_block_merge_implIS3_PaN6thrust23THRUST_200600_302600_NS10device_ptrIlEEjNS1_19radix_merge_compareILb0ELb1EaNS0_19identity_decomposerEEEEE10hipError_tT0_T1_T2_jT3_P12ihipStream_tbPNSt15iterator_traitsISG_E10value_typeEPNSM_ISH_E10value_typeEPSI_NS1_7vsmem_tEENKUlT_SG_SH_SI_E_clIS7_S7_SB_PlEESF_SV_SG_SH_SI_EUlSV_E0_NS1_11comp_targetILNS1_3genE3ELNS1_11target_archE908ELNS1_3gpuE7ELNS1_3repE0EEENS1_38merge_mergepath_config_static_selectorELNS0_4arch9wavefront6targetE1EEEvSH_.num_vgpr, 0
	.set _ZN7rocprim17ROCPRIM_400000_NS6detail17trampoline_kernelINS0_14default_configENS1_38merge_sort_block_merge_config_selectorIalEEZZNS1_27merge_sort_block_merge_implIS3_PaN6thrust23THRUST_200600_302600_NS10device_ptrIlEEjNS1_19radix_merge_compareILb0ELb1EaNS0_19identity_decomposerEEEEE10hipError_tT0_T1_T2_jT3_P12ihipStream_tbPNSt15iterator_traitsISG_E10value_typeEPNSM_ISH_E10value_typeEPSI_NS1_7vsmem_tEENKUlT_SG_SH_SI_E_clIS7_S7_SB_PlEESF_SV_SG_SH_SI_EUlSV_E0_NS1_11comp_targetILNS1_3genE3ELNS1_11target_archE908ELNS1_3gpuE7ELNS1_3repE0EEENS1_38merge_mergepath_config_static_selectorELNS0_4arch9wavefront6targetE1EEEvSH_.num_agpr, 0
	.set _ZN7rocprim17ROCPRIM_400000_NS6detail17trampoline_kernelINS0_14default_configENS1_38merge_sort_block_merge_config_selectorIalEEZZNS1_27merge_sort_block_merge_implIS3_PaN6thrust23THRUST_200600_302600_NS10device_ptrIlEEjNS1_19radix_merge_compareILb0ELb1EaNS0_19identity_decomposerEEEEE10hipError_tT0_T1_T2_jT3_P12ihipStream_tbPNSt15iterator_traitsISG_E10value_typeEPNSM_ISH_E10value_typeEPSI_NS1_7vsmem_tEENKUlT_SG_SH_SI_E_clIS7_S7_SB_PlEESF_SV_SG_SH_SI_EUlSV_E0_NS1_11comp_targetILNS1_3genE3ELNS1_11target_archE908ELNS1_3gpuE7ELNS1_3repE0EEENS1_38merge_mergepath_config_static_selectorELNS0_4arch9wavefront6targetE1EEEvSH_.numbered_sgpr, 0
	.set _ZN7rocprim17ROCPRIM_400000_NS6detail17trampoline_kernelINS0_14default_configENS1_38merge_sort_block_merge_config_selectorIalEEZZNS1_27merge_sort_block_merge_implIS3_PaN6thrust23THRUST_200600_302600_NS10device_ptrIlEEjNS1_19radix_merge_compareILb0ELb1EaNS0_19identity_decomposerEEEEE10hipError_tT0_T1_T2_jT3_P12ihipStream_tbPNSt15iterator_traitsISG_E10value_typeEPNSM_ISH_E10value_typeEPSI_NS1_7vsmem_tEENKUlT_SG_SH_SI_E_clIS7_S7_SB_PlEESF_SV_SG_SH_SI_EUlSV_E0_NS1_11comp_targetILNS1_3genE3ELNS1_11target_archE908ELNS1_3gpuE7ELNS1_3repE0EEENS1_38merge_mergepath_config_static_selectorELNS0_4arch9wavefront6targetE1EEEvSH_.num_named_barrier, 0
	.set _ZN7rocprim17ROCPRIM_400000_NS6detail17trampoline_kernelINS0_14default_configENS1_38merge_sort_block_merge_config_selectorIalEEZZNS1_27merge_sort_block_merge_implIS3_PaN6thrust23THRUST_200600_302600_NS10device_ptrIlEEjNS1_19radix_merge_compareILb0ELb1EaNS0_19identity_decomposerEEEEE10hipError_tT0_T1_T2_jT3_P12ihipStream_tbPNSt15iterator_traitsISG_E10value_typeEPNSM_ISH_E10value_typeEPSI_NS1_7vsmem_tEENKUlT_SG_SH_SI_E_clIS7_S7_SB_PlEESF_SV_SG_SH_SI_EUlSV_E0_NS1_11comp_targetILNS1_3genE3ELNS1_11target_archE908ELNS1_3gpuE7ELNS1_3repE0EEENS1_38merge_mergepath_config_static_selectorELNS0_4arch9wavefront6targetE1EEEvSH_.private_seg_size, 0
	.set _ZN7rocprim17ROCPRIM_400000_NS6detail17trampoline_kernelINS0_14default_configENS1_38merge_sort_block_merge_config_selectorIalEEZZNS1_27merge_sort_block_merge_implIS3_PaN6thrust23THRUST_200600_302600_NS10device_ptrIlEEjNS1_19radix_merge_compareILb0ELb1EaNS0_19identity_decomposerEEEEE10hipError_tT0_T1_T2_jT3_P12ihipStream_tbPNSt15iterator_traitsISG_E10value_typeEPNSM_ISH_E10value_typeEPSI_NS1_7vsmem_tEENKUlT_SG_SH_SI_E_clIS7_S7_SB_PlEESF_SV_SG_SH_SI_EUlSV_E0_NS1_11comp_targetILNS1_3genE3ELNS1_11target_archE908ELNS1_3gpuE7ELNS1_3repE0EEENS1_38merge_mergepath_config_static_selectorELNS0_4arch9wavefront6targetE1EEEvSH_.uses_vcc, 0
	.set _ZN7rocprim17ROCPRIM_400000_NS6detail17trampoline_kernelINS0_14default_configENS1_38merge_sort_block_merge_config_selectorIalEEZZNS1_27merge_sort_block_merge_implIS3_PaN6thrust23THRUST_200600_302600_NS10device_ptrIlEEjNS1_19radix_merge_compareILb0ELb1EaNS0_19identity_decomposerEEEEE10hipError_tT0_T1_T2_jT3_P12ihipStream_tbPNSt15iterator_traitsISG_E10value_typeEPNSM_ISH_E10value_typeEPSI_NS1_7vsmem_tEENKUlT_SG_SH_SI_E_clIS7_S7_SB_PlEESF_SV_SG_SH_SI_EUlSV_E0_NS1_11comp_targetILNS1_3genE3ELNS1_11target_archE908ELNS1_3gpuE7ELNS1_3repE0EEENS1_38merge_mergepath_config_static_selectorELNS0_4arch9wavefront6targetE1EEEvSH_.uses_flat_scratch, 0
	.set _ZN7rocprim17ROCPRIM_400000_NS6detail17trampoline_kernelINS0_14default_configENS1_38merge_sort_block_merge_config_selectorIalEEZZNS1_27merge_sort_block_merge_implIS3_PaN6thrust23THRUST_200600_302600_NS10device_ptrIlEEjNS1_19radix_merge_compareILb0ELb1EaNS0_19identity_decomposerEEEEE10hipError_tT0_T1_T2_jT3_P12ihipStream_tbPNSt15iterator_traitsISG_E10value_typeEPNSM_ISH_E10value_typeEPSI_NS1_7vsmem_tEENKUlT_SG_SH_SI_E_clIS7_S7_SB_PlEESF_SV_SG_SH_SI_EUlSV_E0_NS1_11comp_targetILNS1_3genE3ELNS1_11target_archE908ELNS1_3gpuE7ELNS1_3repE0EEENS1_38merge_mergepath_config_static_selectorELNS0_4arch9wavefront6targetE1EEEvSH_.has_dyn_sized_stack, 0
	.set _ZN7rocprim17ROCPRIM_400000_NS6detail17trampoline_kernelINS0_14default_configENS1_38merge_sort_block_merge_config_selectorIalEEZZNS1_27merge_sort_block_merge_implIS3_PaN6thrust23THRUST_200600_302600_NS10device_ptrIlEEjNS1_19radix_merge_compareILb0ELb1EaNS0_19identity_decomposerEEEEE10hipError_tT0_T1_T2_jT3_P12ihipStream_tbPNSt15iterator_traitsISG_E10value_typeEPNSM_ISH_E10value_typeEPSI_NS1_7vsmem_tEENKUlT_SG_SH_SI_E_clIS7_S7_SB_PlEESF_SV_SG_SH_SI_EUlSV_E0_NS1_11comp_targetILNS1_3genE3ELNS1_11target_archE908ELNS1_3gpuE7ELNS1_3repE0EEENS1_38merge_mergepath_config_static_selectorELNS0_4arch9wavefront6targetE1EEEvSH_.has_recursion, 0
	.set _ZN7rocprim17ROCPRIM_400000_NS6detail17trampoline_kernelINS0_14default_configENS1_38merge_sort_block_merge_config_selectorIalEEZZNS1_27merge_sort_block_merge_implIS3_PaN6thrust23THRUST_200600_302600_NS10device_ptrIlEEjNS1_19radix_merge_compareILb0ELb1EaNS0_19identity_decomposerEEEEE10hipError_tT0_T1_T2_jT3_P12ihipStream_tbPNSt15iterator_traitsISG_E10value_typeEPNSM_ISH_E10value_typeEPSI_NS1_7vsmem_tEENKUlT_SG_SH_SI_E_clIS7_S7_SB_PlEESF_SV_SG_SH_SI_EUlSV_E0_NS1_11comp_targetILNS1_3genE3ELNS1_11target_archE908ELNS1_3gpuE7ELNS1_3repE0EEENS1_38merge_mergepath_config_static_selectorELNS0_4arch9wavefront6targetE1EEEvSH_.has_indirect_call, 0
	.section	.AMDGPU.csdata,"",@progbits
; Kernel info:
; codeLenInByte = 0
; TotalNumSgprs: 4
; NumVgprs: 0
; ScratchSize: 0
; MemoryBound: 0
; FloatMode: 240
; IeeeMode: 1
; LDSByteSize: 0 bytes/workgroup (compile time only)
; SGPRBlocks: 0
; VGPRBlocks: 0
; NumSGPRsForWavesPerEU: 4
; NumVGPRsForWavesPerEU: 1
; Occupancy: 10
; WaveLimiterHint : 0
; COMPUTE_PGM_RSRC2:SCRATCH_EN: 0
; COMPUTE_PGM_RSRC2:USER_SGPR: 6
; COMPUTE_PGM_RSRC2:TRAP_HANDLER: 0
; COMPUTE_PGM_RSRC2:TGID_X_EN: 1
; COMPUTE_PGM_RSRC2:TGID_Y_EN: 0
; COMPUTE_PGM_RSRC2:TGID_Z_EN: 0
; COMPUTE_PGM_RSRC2:TIDIG_COMP_CNT: 0
	.section	.text._ZN7rocprim17ROCPRIM_400000_NS6detail17trampoline_kernelINS0_14default_configENS1_38merge_sort_block_merge_config_selectorIalEEZZNS1_27merge_sort_block_merge_implIS3_PaN6thrust23THRUST_200600_302600_NS10device_ptrIlEEjNS1_19radix_merge_compareILb0ELb1EaNS0_19identity_decomposerEEEEE10hipError_tT0_T1_T2_jT3_P12ihipStream_tbPNSt15iterator_traitsISG_E10value_typeEPNSM_ISH_E10value_typeEPSI_NS1_7vsmem_tEENKUlT_SG_SH_SI_E_clIS7_S7_SB_PlEESF_SV_SG_SH_SI_EUlSV_E0_NS1_11comp_targetILNS1_3genE2ELNS1_11target_archE906ELNS1_3gpuE6ELNS1_3repE0EEENS1_38merge_mergepath_config_static_selectorELNS0_4arch9wavefront6targetE1EEEvSH_,"axG",@progbits,_ZN7rocprim17ROCPRIM_400000_NS6detail17trampoline_kernelINS0_14default_configENS1_38merge_sort_block_merge_config_selectorIalEEZZNS1_27merge_sort_block_merge_implIS3_PaN6thrust23THRUST_200600_302600_NS10device_ptrIlEEjNS1_19radix_merge_compareILb0ELb1EaNS0_19identity_decomposerEEEEE10hipError_tT0_T1_T2_jT3_P12ihipStream_tbPNSt15iterator_traitsISG_E10value_typeEPNSM_ISH_E10value_typeEPSI_NS1_7vsmem_tEENKUlT_SG_SH_SI_E_clIS7_S7_SB_PlEESF_SV_SG_SH_SI_EUlSV_E0_NS1_11comp_targetILNS1_3genE2ELNS1_11target_archE906ELNS1_3gpuE6ELNS1_3repE0EEENS1_38merge_mergepath_config_static_selectorELNS0_4arch9wavefront6targetE1EEEvSH_,comdat
	.protected	_ZN7rocprim17ROCPRIM_400000_NS6detail17trampoline_kernelINS0_14default_configENS1_38merge_sort_block_merge_config_selectorIalEEZZNS1_27merge_sort_block_merge_implIS3_PaN6thrust23THRUST_200600_302600_NS10device_ptrIlEEjNS1_19radix_merge_compareILb0ELb1EaNS0_19identity_decomposerEEEEE10hipError_tT0_T1_T2_jT3_P12ihipStream_tbPNSt15iterator_traitsISG_E10value_typeEPNSM_ISH_E10value_typeEPSI_NS1_7vsmem_tEENKUlT_SG_SH_SI_E_clIS7_S7_SB_PlEESF_SV_SG_SH_SI_EUlSV_E0_NS1_11comp_targetILNS1_3genE2ELNS1_11target_archE906ELNS1_3gpuE6ELNS1_3repE0EEENS1_38merge_mergepath_config_static_selectorELNS0_4arch9wavefront6targetE1EEEvSH_ ; -- Begin function _ZN7rocprim17ROCPRIM_400000_NS6detail17trampoline_kernelINS0_14default_configENS1_38merge_sort_block_merge_config_selectorIalEEZZNS1_27merge_sort_block_merge_implIS3_PaN6thrust23THRUST_200600_302600_NS10device_ptrIlEEjNS1_19radix_merge_compareILb0ELb1EaNS0_19identity_decomposerEEEEE10hipError_tT0_T1_T2_jT3_P12ihipStream_tbPNSt15iterator_traitsISG_E10value_typeEPNSM_ISH_E10value_typeEPSI_NS1_7vsmem_tEENKUlT_SG_SH_SI_E_clIS7_S7_SB_PlEESF_SV_SG_SH_SI_EUlSV_E0_NS1_11comp_targetILNS1_3genE2ELNS1_11target_archE906ELNS1_3gpuE6ELNS1_3repE0EEENS1_38merge_mergepath_config_static_selectorELNS0_4arch9wavefront6targetE1EEEvSH_
	.globl	_ZN7rocprim17ROCPRIM_400000_NS6detail17trampoline_kernelINS0_14default_configENS1_38merge_sort_block_merge_config_selectorIalEEZZNS1_27merge_sort_block_merge_implIS3_PaN6thrust23THRUST_200600_302600_NS10device_ptrIlEEjNS1_19radix_merge_compareILb0ELb1EaNS0_19identity_decomposerEEEEE10hipError_tT0_T1_T2_jT3_P12ihipStream_tbPNSt15iterator_traitsISG_E10value_typeEPNSM_ISH_E10value_typeEPSI_NS1_7vsmem_tEENKUlT_SG_SH_SI_E_clIS7_S7_SB_PlEESF_SV_SG_SH_SI_EUlSV_E0_NS1_11comp_targetILNS1_3genE2ELNS1_11target_archE906ELNS1_3gpuE6ELNS1_3repE0EEENS1_38merge_mergepath_config_static_selectorELNS0_4arch9wavefront6targetE1EEEvSH_
	.p2align	8
	.type	_ZN7rocprim17ROCPRIM_400000_NS6detail17trampoline_kernelINS0_14default_configENS1_38merge_sort_block_merge_config_selectorIalEEZZNS1_27merge_sort_block_merge_implIS3_PaN6thrust23THRUST_200600_302600_NS10device_ptrIlEEjNS1_19radix_merge_compareILb0ELb1EaNS0_19identity_decomposerEEEEE10hipError_tT0_T1_T2_jT3_P12ihipStream_tbPNSt15iterator_traitsISG_E10value_typeEPNSM_ISH_E10value_typeEPSI_NS1_7vsmem_tEENKUlT_SG_SH_SI_E_clIS7_S7_SB_PlEESF_SV_SG_SH_SI_EUlSV_E0_NS1_11comp_targetILNS1_3genE2ELNS1_11target_archE906ELNS1_3gpuE6ELNS1_3repE0EEENS1_38merge_mergepath_config_static_selectorELNS0_4arch9wavefront6targetE1EEEvSH_,@function
_ZN7rocprim17ROCPRIM_400000_NS6detail17trampoline_kernelINS0_14default_configENS1_38merge_sort_block_merge_config_selectorIalEEZZNS1_27merge_sort_block_merge_implIS3_PaN6thrust23THRUST_200600_302600_NS10device_ptrIlEEjNS1_19radix_merge_compareILb0ELb1EaNS0_19identity_decomposerEEEEE10hipError_tT0_T1_T2_jT3_P12ihipStream_tbPNSt15iterator_traitsISG_E10value_typeEPNSM_ISH_E10value_typeEPSI_NS1_7vsmem_tEENKUlT_SG_SH_SI_E_clIS7_S7_SB_PlEESF_SV_SG_SH_SI_EUlSV_E0_NS1_11comp_targetILNS1_3genE2ELNS1_11target_archE906ELNS1_3gpuE6ELNS1_3repE0EEENS1_38merge_mergepath_config_static_selectorELNS0_4arch9wavefront6targetE1EEEvSH_: ; @_ZN7rocprim17ROCPRIM_400000_NS6detail17trampoline_kernelINS0_14default_configENS1_38merge_sort_block_merge_config_selectorIalEEZZNS1_27merge_sort_block_merge_implIS3_PaN6thrust23THRUST_200600_302600_NS10device_ptrIlEEjNS1_19radix_merge_compareILb0ELb1EaNS0_19identity_decomposerEEEEE10hipError_tT0_T1_T2_jT3_P12ihipStream_tbPNSt15iterator_traitsISG_E10value_typeEPNSM_ISH_E10value_typeEPSI_NS1_7vsmem_tEENKUlT_SG_SH_SI_E_clIS7_S7_SB_PlEESF_SV_SG_SH_SI_EUlSV_E0_NS1_11comp_targetILNS1_3genE2ELNS1_11target_archE906ELNS1_3gpuE6ELNS1_3repE0EEENS1_38merge_mergepath_config_static_selectorELNS0_4arch9wavefront6targetE1EEEvSH_
; %bb.0:
	s_load_dwordx2 s[24:25], s[4:5], 0x40
	s_load_dword s1, s[4:5], 0x30
	s_add_u32 s22, s4, 64
	s_addc_u32 s23, s5, 0
	s_waitcnt lgkmcnt(0)
	s_mul_i32 s0, s25, s8
	s_add_i32 s0, s0, s7
	s_mul_i32 s0, s0, s24
	s_add_i32 s0, s0, s6
	s_cmp_ge_u32 s0, s1
	s_cbranch_scc1 .LBB571_46
; %bb.1:
	s_load_dwordx8 s[8:15], s[4:5], 0x10
	s_load_dwordx2 s[28:29], s[4:5], 0x8
	s_load_dwordx2 s[2:3], s[4:5], 0x38
	s_mov_b32 s1, 0
	v_mov_b32_e32 v1, 0
	s_waitcnt lgkmcnt(0)
	s_lshr_b32 s30, s14, 10
	s_cmp_lg_u32 s0, s30
	s_cselect_b64 s[18:19], -1, 0
	s_lshl_b64 s[16:17], s[0:1], 2
	s_add_u32 s16, s2, s16
	s_addc_u32 s17, s3, s17
	s_lshr_b32 s7, s15, 9
	s_and_b32 s7, s7, 0x7ffffe
	s_load_dwordx2 s[2:3], s[16:17], 0x0
	s_sub_i32 s7, 0, s7
	s_and_b32 s17, s0, s7
	s_lshl_b32 s21, s17, 10
	s_lshl_b32 s16, s0, 10
	;; [unrolled: 1-line block ×3, first 2 shown]
	s_sub_i32 s20, s16, s21
	s_add_i32 s17, s17, s15
	s_add_i32 s25, s17, s20
	s_waitcnt lgkmcnt(0)
	s_sub_i32 s20, s25, s2
	s_sub_i32 s25, s25, s3
	;; [unrolled: 1-line block ×3, first 2 shown]
	s_min_u32 s20, s14, s20
	s_addk_i32 s25, 0x400
	s_or_b32 s7, s0, s7
	s_min_u32 s21, s14, s17
	s_add_i32 s17, s17, s15
	s_cmp_eq_u32 s7, -1
	s_cselect_b32 s7, s17, s25
	s_cselect_b32 s3, s21, s3
	s_min_u32 s17, s7, s14
	s_sub_i32 s15, s3, s2
	s_add_u32 s26, s28, s2
	s_addc_u32 s27, s29, 0
	s_add_u32 s25, s28, s20
	global_load_dword v2, v1, s[22:23] offset:14
	s_addc_u32 s28, s29, 0
	s_cmp_lt_u32 s6, s24
	s_cselect_b32 s3, 12, 18
	s_add_u32 s6, s22, s3
	s_addc_u32 s7, s23, 0
	global_load_ushort v1, v1, s[6:7]
	s_mov_b32 s3, s1
	s_mov_b32 s21, s1
	s_cmp_eq_u32 s0, s30
	s_waitcnt vmcnt(1)
	v_lshrrev_b32_e32 v3, 16, v2
	v_and_b32_e32 v2, 0xffff, v2
	v_mul_lo_u32 v2, v2, v3
	s_waitcnt vmcnt(0)
	v_mul_lo_u32 v15, v2, v1
	v_add_u32_e32 v11, v15, v0
	v_add_u32_e32 v9, v11, v15
	s_cbranch_scc1 .LBB571_3
; %bb.2:
	v_mov_b32_e32 v1, s27
	v_add_co_u32_e32 v3, vcc, s26, v0
	v_addc_co_u32_e32 v1, vcc, 0, v1, vcc
	v_subrev_co_u32_e32 v2, vcc, s15, v0
	v_mov_b32_e32 v4, s28
	v_add_co_u32_e64 v5, s[0:1], s25, v2
	v_addc_co_u32_e64 v2, s[0:1], 0, v4, s[0:1]
	v_cndmask_b32_e32 v2, v2, v1, vcc
	v_cndmask_b32_e32 v1, v5, v3, vcc
	v_mov_b32_e32 v3, s27
	v_add_co_u32_e32 v5, vcc, s26, v11
	v_addc_co_u32_e32 v3, vcc, 0, v3, vcc
	v_subrev_co_u32_e32 v4, vcc, s15, v11
	v_mov_b32_e32 v6, s28
	v_add_co_u32_e64 v7, s[0:1], s25, v4
	v_addc_co_u32_e64 v4, s[0:1], 0, v6, s[0:1]
	v_cndmask_b32_e32 v4, v4, v3, vcc
	v_cndmask_b32_e32 v3, v7, v5, vcc
	v_mov_b32_e32 v5, s27
	v_add_co_u32_e32 v7, vcc, s26, v9
	v_addc_co_u32_e32 v5, vcc, 0, v5, vcc
	v_subrev_co_u32_e32 v6, vcc, s15, v9
	v_mov_b32_e32 v8, s28
	v_add_co_u32_e64 v10, s[0:1], s25, v6
	v_addc_co_u32_e64 v6, s[0:1], 0, v8, s[0:1]
	v_cndmask_b32_e32 v6, v6, v5, vcc
	v_cndmask_b32_e32 v5, v10, v7, vcc
	global_load_ubyte v7, v[1:2], off
	global_load_ubyte v8, v[3:4], off
	global_load_ubyte v10, v[5:6], off
	s_mov_b32 s0, 0xc0c0004
	v_add_u32_e32 v1, v9, v15
	s_waitcnt vmcnt(1)
	v_perm_b32 v2, v7, v8, s0
	s_waitcnt vmcnt(0)
	v_lshl_or_b32 v14, v10, 16, v2
	s_mov_b64 s[0:1], -1
	s_sub_i32 s17, s17, s20
	s_cbranch_execz .LBB571_4
	s_branch .LBB571_9
.LBB571_3:
	s_mov_b64 s[0:1], 0
                                        ; implicit-def: $vgpr1
                                        ; implicit-def: $vgpr14
	s_sub_i32 s17, s17, s20
.LBB571_4:
	s_add_i32 s22, s17, s15
	v_cmp_gt_u32_e32 vcc, s22, v0
	v_mov_b32_e32 v14, 0
	s_and_saveexec_b64 s[6:7], vcc
	s_cbranch_execnz .LBB571_47
; %bb.5:
	s_or_b64 exec, exec, s[6:7]
	v_cmp_gt_u32_e32 vcc, s22, v11
	s_and_saveexec_b64 s[6:7], vcc
	s_cbranch_execnz .LBB571_48
.LBB571_6:
	s_or_b64 exec, exec, s[6:7]
	v_cmp_gt_u32_e32 vcc, s22, v9
	s_and_saveexec_b64 s[6:7], vcc
	s_cbranch_execz .LBB571_8
.LBB571_7:
	v_mov_b32_e32 v1, s27
	v_add_co_u32_e32 v3, vcc, s26, v9
	v_addc_co_u32_e32 v1, vcc, 0, v1, vcc
	v_subrev_co_u32_e32 v2, vcc, s15, v9
	v_mov_b32_e32 v4, s28
	v_add_co_u32_e64 v5, s[0:1], s25, v2
	v_addc_co_u32_e64 v2, s[0:1], 0, v4, s[0:1]
	v_cndmask_b32_e32 v2, v2, v1, vcc
	v_cndmask_b32_e32 v1, v5, v3, vcc
	global_load_ubyte v1, v[1:2], off
	s_waitcnt vmcnt(0)
	v_lshl_or_b32 v14, v1, 16, v14
.LBB571_8:
	s_or_b64 exec, exec, s[6:7]
	v_add_u32_e32 v1, v9, v15
	v_cmp_gt_u32_e64 s[0:1], s22, v1
.LBB571_9:
	s_and_saveexec_b64 s[6:7], s[0:1]
	s_cbranch_execz .LBB571_11
; %bb.10:
	v_mov_b32_e32 v2, s27
	v_add_co_u32_e32 v3, vcc, s26, v1
	v_addc_co_u32_e32 v2, vcc, 0, v2, vcc
	v_subrev_co_u32_e32 v1, vcc, s15, v1
	v_mov_b32_e32 v4, s28
	v_add_co_u32_e64 v1, s[0:1], s25, v1
	v_addc_co_u32_e64 v4, s[0:1], 0, v4, s[0:1]
	v_cndmask_b32_e32 v2, v4, v2, vcc
	v_cndmask_b32_e32 v1, v1, v3, vcc
	global_load_ubyte v1, v[1:2], off
	s_mov_b32 s0, 0x60504
	s_waitcnt vmcnt(0)
	v_perm_b32 v14, v14, v1, s0
.LBB571_11:
	s_or_b64 exec, exec, s[6:7]
	s_lshl_b64 s[0:1], s[2:3], 3
	s_add_u32 s7, s10, s0
	s_addc_u32 s22, s11, s1
	s_lshl_b64 s[0:1], s[20:21], 3
	s_add_u32 s6, s10, s0
	s_waitcnt vmcnt(0)
	v_lshrrev_b32_e32 v16, 16, v14
	v_mov_b32_e32 v7, 0
	v_lshrrev_b32_e32 v17, 8, v14
	v_lshrrev_b32_e32 v18, 24, v14
	s_addc_u32 s10, s11, s1
	s_andn2_b64 vcc, exec, s[18:19]
	v_lshlrev_b32_e32 v13, 3, v0
	ds_write_b8 v0, v14
	ds_write_b8 v0, v17 offset:256
	ds_write_b8 v0, v16 offset:512
	;; [unrolled: 1-line block ×3, first 2 shown]
	s_cbranch_vccnz .LBB571_13
; %bb.12:
	v_mov_b32_e32 v1, s22
	v_add_co_u32_e32 v3, vcc, s7, v13
	v_addc_co_u32_e32 v4, vcc, 0, v1, vcc
	v_subrev_co_u32_e32 v6, vcc, s15, v0
	v_lshlrev_b64 v[1:2], 3, v[6:7]
	v_mov_b32_e32 v5, s10
	v_add_co_u32_e64 v1, s[0:1], s6, v1
	v_addc_co_u32_e64 v2, s[0:1], v5, v2, s[0:1]
	v_mov_b32_e32 v12, v7
	v_cndmask_b32_e32 v2, v2, v4, vcc
	v_cndmask_b32_e32 v1, v1, v3, vcc
	v_lshlrev_b64 v[3:4], 3, v[11:12]
	v_mov_b32_e32 v5, s22
	v_add_co_u32_e32 v8, vcc, s7, v3
	v_addc_co_u32_e32 v5, vcc, v5, v4, vcc
	v_subrev_co_u32_e32 v6, vcc, s15, v11
	v_lshlrev_b64 v[3:4], 3, v[6:7]
	v_mov_b32_e32 v6, s10
	v_add_co_u32_e64 v3, s[0:1], s6, v3
	v_addc_co_u32_e64 v4, s[0:1], v6, v4, s[0:1]
	v_mov_b32_e32 v10, v7
	v_cndmask_b32_e32 v4, v4, v5, vcc
	v_lshlrev_b64 v[5:6], 3, v[9:10]
	v_cndmask_b32_e32 v3, v3, v8, vcc
	v_mov_b32_e32 v8, s22
	v_add_co_u32_e32 v10, vcc, s7, v5
	v_addc_co_u32_e32 v8, vcc, v8, v6, vcc
	v_subrev_co_u32_e32 v6, vcc, s15, v9
	v_lshlrev_b64 v[5:6], 3, v[6:7]
	v_mov_b32_e32 v12, s10
	v_add_co_u32_e64 v5, s[0:1], s6, v5
	v_addc_co_u32_e64 v6, s[0:1], v12, v6, s[0:1]
	v_cndmask_b32_e32 v6, v6, v8, vcc
	v_cndmask_b32_e32 v5, v5, v10, vcc
	global_load_dwordx2 v[1:2], v[1:2], off
	s_add_i32 s11, s17, s15
	global_load_dwordx2 v[3:4], v[3:4], off
	v_mov_b32_e32 v8, v7
	global_load_dwordx2 v[5:6], v[5:6], off
	v_add_u32_e32 v10, v9, v15
	s_mov_b64 s[0:1], -1
	v_mov_b32_e32 v12, s11
	s_cbranch_execz .LBB571_14
	s_branch .LBB571_19
.LBB571_13:
	s_mov_b64 s[0:1], 0
                                        ; implicit-def: $vgpr10
                                        ; implicit-def: $vgpr1_vgpr2_vgpr3_vgpr4_vgpr5_vgpr6_vgpr7_vgpr8
                                        ; implicit-def: $vgpr12
.LBB571_14:
	s_add_i32 s11, s17, s15
	s_waitcnt vmcnt(2)
	v_mov_b32_e32 v1, 0
	v_cmp_gt_u32_e32 vcc, s11, v0
	v_mov_b32_e32 v2, v1
	s_waitcnt vmcnt(1)
	v_mov_b32_e32 v3, v1
	v_mov_b32_e32 v4, v1
	s_waitcnt vmcnt(0)
	v_mov_b32_e32 v5, v1
	v_mov_b32_e32 v6, v1
	;; [unrolled: 1-line block ×4, first 2 shown]
	s_and_saveexec_b64 s[2:3], vcc
	s_cbranch_execnz .LBB571_49
; %bb.15:
	s_or_b64 exec, exec, s[2:3]
	v_cmp_gt_u32_e32 vcc, s11, v11
	s_and_saveexec_b64 s[2:3], vcc
	s_cbranch_execnz .LBB571_50
.LBB571_16:
	s_or_b64 exec, exec, s[2:3]
	v_cmp_gt_u32_e32 vcc, s11, v9
	s_and_saveexec_b64 s[2:3], vcc
	s_cbranch_execz .LBB571_18
.LBB571_17:
	v_mov_b32_e32 v10, 0
	v_lshlrev_b64 v[5:6], 3, v[9:10]
	v_mov_b32_e32 v11, s22
	v_add_co_u32_e32 v12, vcc, s7, v5
	v_addc_co_u32_e32 v11, vcc, v11, v6, vcc
	v_subrev_co_u32_e32 v5, vcc, s15, v9
	v_mov_b32_e32 v6, v10
	v_lshlrev_b64 v[5:6], 3, v[5:6]
	v_mov_b32_e32 v10, s10
	v_add_co_u32_e64 v5, s[0:1], s6, v5
	v_addc_co_u32_e64 v6, s[0:1], v10, v6, s[0:1]
	v_cndmask_b32_e32 v6, v6, v11, vcc
	v_cndmask_b32_e32 v5, v5, v12, vcc
	global_load_dwordx2 v[5:6], v[5:6], off
.LBB571_18:
	s_or_b64 exec, exec, s[2:3]
	v_add_u32_e32 v10, v9, v15
	v_cmp_gt_u32_e64 s[0:1], s11, v10
	v_mov_b32_e32 v12, s11
.LBB571_19:
	s_and_saveexec_b64 s[2:3], s[0:1]
	s_cbranch_execz .LBB571_21
; %bb.20:
	v_mov_b32_e32 v8, 0
	v_mov_b32_e32 v11, v8
	v_lshlrev_b64 v[19:20], 3, v[10:11]
	v_mov_b32_e32 v7, s22
	v_add_co_u32_e32 v9, vcc, s7, v19
	v_addc_co_u32_e32 v11, vcc, v7, v20, vcc
	v_subrev_co_u32_e32 v7, vcc, s15, v10
	v_lshlrev_b64 v[7:8], 3, v[7:8]
	v_mov_b32_e32 v10, s10
	v_add_co_u32_e64 v7, s[0:1], s6, v7
	v_addc_co_u32_e64 v8, s[0:1], v10, v8, s[0:1]
	v_cndmask_b32_e32 v8, v8, v11, vcc
	v_cndmask_b32_e32 v7, v7, v9, vcc
	global_load_dwordx2 v[7:8], v[7:8], off
.LBB571_21:
	s_or_b64 exec, exec, s[2:3]
	s_load_dword s10, s[4:5], 0x34
	v_lshlrev_b32_e32 v11, 2, v0
	v_min_u32_e32 v10, v12, v11
	v_sub_u32_e64 v9, v10, s17 clamp
	v_min_u32_e32 v15, s15, v10
	v_cmp_lt_u32_e32 vcc, v9, v15
	s_waitcnt vmcnt(0) lgkmcnt(0)
	s_barrier
	s_and_saveexec_b64 s[0:1], vcc
	s_cbranch_execz .LBB571_25
; %bb.22:
	v_add_u32_e32 v19, s15, v10
	s_mov_b64 s[2:3], 0
.LBB571_23:                             ; =>This Inner Loop Header: Depth=1
	v_add_u32_e32 v20, v15, v9
	v_lshrrev_b32_e32 v20, 1, v20
	v_xad_u32 v21, v20, -1, v19
	ds_read_u8 v22, v20
	ds_read_u8 v21, v21
	v_add_u32_e32 v23, 1, v20
	s_waitcnt lgkmcnt(1)
	v_and_b32_e32 v22, s10, v22
	s_waitcnt lgkmcnt(0)
	v_and_b32_e32 v21, s10, v21
	v_cmp_gt_i16_sdwa vcc, sext(v22), sext(v21) src0_sel:BYTE_0 src1_sel:BYTE_0
	v_cndmask_b32_e32 v15, v15, v20, vcc
	v_cndmask_b32_e32 v9, v23, v9, vcc
	v_cmp_ge_u32_e32 vcc, v9, v15
	s_or_b64 s[2:3], vcc, s[2:3]
	s_andn2_b64 exec, exec, s[2:3]
	s_cbranch_execnz .LBB571_23
; %bb.24:
	s_or_b64 exec, exec, s[2:3]
.LBB571_25:
	s_or_b64 exec, exec, s[0:1]
	v_sub_u32_e32 v10, v10, v9
	v_add_u32_e32 v20, s15, v10
	v_cmp_ge_u32_e32 vcc, s15, v9
	v_cmp_le_u32_e64 s[0:1], v20, v12
	s_or_b64 s[0:1], vcc, s[0:1]
	v_mov_b32_e32 v21, 0
	v_mov_b32_e32 v19, 0
	;; [unrolled: 1-line block ×4, first 2 shown]
	s_and_saveexec_b64 s[6:7], s[0:1]
	s_cbranch_execz .LBB571_31
; %bb.26:
	v_cmp_gt_u32_e32 vcc, s15, v9
                                        ; implicit-def: $vgpr14
	s_and_saveexec_b64 s[0:1], vcc
; %bb.27:
	ds_read_u8 v14, v9
; %bb.28:
	s_or_b64 exec, exec, s[0:1]
	v_cmp_ge_u32_e64 s[0:1], v20, v12
	v_cmp_lt_u32_e64 s[2:3], v20, v12
                                        ; implicit-def: $vgpr16
	s_and_saveexec_b64 s[4:5], s[2:3]
; %bb.29:
	ds_read_u8 v16, v20
; %bb.30:
	s_or_b64 exec, exec, s[4:5]
	s_waitcnt lgkmcnt(0)
	v_and_b32_e32 v10, s10, v16
	v_and_b32_e32 v15, s10, v14
	v_cmp_le_i16_sdwa s[2:3], sext(v15), sext(v10) src0_sel:BYTE_0 src1_sel:BYTE_0
	s_and_b64 s[2:3], vcc, s[2:3]
	s_or_b64 vcc, s[0:1], s[2:3]
	v_mov_b32_e32 v17, s15
	v_cndmask_b32_e32 v10, v20, v9, vcc
	v_cndmask_b32_e32 v15, v12, v17, vcc
	v_add_u32_e32 v18, 1, v10
	v_add_u32_e32 v15, -1, v15
	v_min_u32_e32 v15, v18, v15
	ds_read_u8 v15, v15
	v_cndmask_b32_e32 v19, v18, v20, vcc
	v_cndmask_b32_e32 v9, v9, v18, vcc
	v_cmp_gt_u32_e64 s[2:3], s15, v9
	v_cmp_ge_u32_e64 s[0:1], v19, v12
	s_waitcnt lgkmcnt(0)
	v_cndmask_b32_e32 v21, v15, v16, vcc
	v_cndmask_b32_e32 v22, v14, v15, vcc
	v_and_b32_e32 v15, s10, v21
	v_and_b32_e32 v18, s10, v22
	v_cmp_le_i16_sdwa s[4:5], sext(v18), sext(v15) src0_sel:BYTE_0 src1_sel:BYTE_0
	s_and_b64 s[2:3], s[2:3], s[4:5]
	s_or_b64 s[0:1], s[0:1], s[2:3]
	v_cndmask_b32_e64 v15, v19, v9, s[0:1]
	v_cndmask_b32_e64 v18, v12, v17, s[0:1]
	v_add_u32_e32 v20, 1, v15
	v_add_u32_e32 v18, -1, v18
	v_min_u32_e32 v18, v20, v18
	ds_read_u8 v18, v18
	v_cndmask_b32_e64 v24, v20, v19, s[0:1]
	v_cndmask_b32_e64 v9, v9, v20, s[0:1]
	v_cmp_gt_u32_e64 s[4:5], s15, v9
	v_cmp_ge_u32_e64 s[2:3], v24, v12
	s_waitcnt lgkmcnt(0)
	v_cndmask_b32_e64 v23, v18, v21, s[0:1]
	v_cndmask_b32_e64 v18, v22, v18, s[0:1]
	v_and_b32_e32 v19, s10, v23
	v_and_b32_e32 v20, s10, v18
	v_cmp_le_i16_sdwa s[20:21], sext(v20), sext(v19) src0_sel:BYTE_0 src1_sel:BYTE_0
	s_and_b64 s[4:5], s[4:5], s[20:21]
	s_or_b64 s[2:3], s[2:3], s[4:5]
	v_cndmask_b32_e64 v19, v24, v9, s[2:3]
	v_cndmask_b32_e64 v17, v12, v17, s[2:3]
	v_add_u32_e32 v20, 1, v19
	v_add_u32_e32 v17, -1, v17
	v_min_u32_e32 v17, v20, v17
	ds_read_u8 v25, v17
	v_cndmask_b32_e32 v14, v16, v14, vcc
	v_cndmask_b32_e64 v17, v21, v22, s[0:1]
	v_cndmask_b32_e64 v16, v23, v18, s[2:3]
	;; [unrolled: 1-line block ×3, first 2 shown]
	s_waitcnt lgkmcnt(0)
	v_cndmask_b32_e64 v22, v25, v23, s[2:3]
	v_cndmask_b32_e64 v18, v18, v25, s[2:3]
	;; [unrolled: 1-line block ×3, first 2 shown]
	v_cmp_ge_u32_e32 vcc, v21, v12
	v_and_b32_e32 v12, s10, v22
	v_and_b32_e32 v20, s10, v18
	v_cmp_gt_u32_e64 s[0:1], s15, v9
	v_cmp_le_i16_sdwa s[2:3], sext(v20), sext(v12) src0_sel:BYTE_0 src1_sel:BYTE_0
	s_and_b64 s[0:1], s[0:1], s[2:3]
	s_or_b64 vcc, vcc, s[0:1]
	v_cndmask_b32_e32 v21, v21, v9, vcc
	v_cndmask_b32_e32 v18, v22, v18, vcc
.LBB571_31:
	s_or_b64 exec, exec, s[6:7]
	v_mad_u32_u24 v9, v0, 7, v0
	s_barrier
	ds_write2st64_b64 v9, v[1:2], v[3:4] offset1:4
	ds_write2st64_b64 v9, v[5:6], v[7:8] offset0:8 offset1:12
	v_lshlrev_b32_e32 v1, 3, v10
	v_lshlrev_b32_e32 v2, 3, v15
	v_lshlrev_b32_e32 v3, 3, v19
	v_lshlrev_b32_e32 v4, 3, v21
	s_waitcnt lgkmcnt(0)
	s_barrier
	ds_read_b64 v[5:6], v1
	ds_read_b64 v[7:8], v2
	;; [unrolled: 1-line block ×4, first 2 shown]
	v_lshrrev_b32_e32 v19, 3, v0
	s_mov_b32 s2, 0xc0c0004
	s_add_u32 s0, s8, s16
	v_and_b32_e32 v9, 28, v19
	v_perm_b32 v10, v14, v17, s2
	v_perm_b32 v12, v16, v18, s2
	s_addc_u32 s1, s9, 0
	v_add_u32_e32 v9, v9, v11
	v_lshl_or_b32 v10, v12, 16, v10
	v_or_b32_e32 v22, 0x100, v0
	v_or_b32_e32 v21, 0x200, v0
	;; [unrolled: 1-line block ×3, first 2 shown]
	s_waitcnt lgkmcnt(0)
	s_barrier
	s_barrier
	ds_write_b32 v9, v10
	v_lshrrev_b32_e32 v15, 5, v22
	v_lshrrev_b32_e32 v16, 5, v21
	;; [unrolled: 1-line block ×3, first 2 shown]
	v_mov_b32_e32 v10, s1
	v_add_co_u32_e32 v9, vcc, s0, v0
	v_lshrrev_b32_e32 v14, 5, v0
	v_and_b32_e32 v12, 12, v15
	v_and_b32_e32 v18, 20, v16
	v_and_b32_e32 v26, 28, v17
	v_addc_co_u32_e32 v10, vcc, 0, v10, vcc
	s_mov_b32 s17, 0
	v_and_b32_e32 v23, 4, v14
	s_and_b64 vcc, exec, s[18:19]
	v_add_u32_e32 v24, v12, v0
	v_add_u32_e32 v25, v18, v0
	;; [unrolled: 1-line block ×3, first 2 shown]
	v_lshlrev_b32_e32 v18, 3, v11
	s_waitcnt lgkmcnt(0)
	s_cbranch_vccz .LBB571_33
; %bb.32:
	v_add_u32_e32 v11, v23, v0
	s_barrier
	ds_read_u8 v11, v11
	ds_read_u8 v12, v24 offset:256
	ds_read_u8 v27, v25 offset:512
	;; [unrolled: 1-line block ×3, first 2 shown]
	s_lshl_b64 s[0:1], s[16:17], 3
	s_add_u32 s0, s12, s0
	s_waitcnt lgkmcnt(3)
	global_store_byte v[9:10], v11, off
	s_waitcnt lgkmcnt(2)
	global_store_byte v[9:10], v12, off offset:256
	s_waitcnt lgkmcnt(1)
	global_store_byte v[9:10], v27, off offset:512
	;; [unrolled: 2-line block ×3, first 2 shown]
	v_lshl_add_u32 v11, v19, 3, v18
	s_waitcnt vmcnt(0)
	s_barrier
	ds_write2_b64 v11, v[5:6], v[7:8] offset1:1
	ds_write2_b64 v11, v[1:2], v[3:4] offset0:2 offset1:3
	v_lshl_add_u32 v11, v14, 3, v13
	v_lshl_add_u32 v12, v15, 3, v13
	;; [unrolled: 1-line block ×3, first 2 shown]
	s_addc_u32 s1, s13, s1
	s_waitcnt lgkmcnt(0)
	s_barrier
	v_lshl_add_u32 v33, v17, 3, v13
	ds_read_b64 v[27:28], v11
	ds_read_b64 v[29:30], v12 offset:2048
	ds_read_b64 v[31:32], v31 offset:4096
	;; [unrolled: 1-line block ×3, first 2 shown]
	v_mov_b32_e32 v33, s1
	v_add_co_u32_e32 v34, vcc, s0, v13
	v_addc_co_u32_e32 v33, vcc, 0, v33, vcc
	s_waitcnt lgkmcnt(3)
	global_store_dwordx2 v13, v[27:28], s[0:1]
	s_waitcnt lgkmcnt(2)
	global_store_dwordx2 v13, v[29:30], s[0:1] offset:2048
	v_add_co_u32_e32 v27, vcc, 0x1000, v34
	v_addc_co_u32_e32 v28, vcc, 0, v33, vcc
	s_waitcnt lgkmcnt(1)
	global_store_dwordx2 v[27:28], v[31:32], off
	s_mov_b64 s[6:7], -1
	s_cbranch_execz .LBB571_34
	s_branch .LBB571_44
.LBB571_33:
	s_mov_b64 s[6:7], 0
                                        ; implicit-def: $vgpr11_vgpr12
.LBB571_34:
	s_waitcnt vmcnt(0) lgkmcnt(0)
	s_barrier
	ds_read_u8 v24, v24 offset:256
	ds_read_u8 v12, v25 offset:512
	;; [unrolled: 1-line block ×3, first 2 shown]
	s_sub_i32 s6, s14, s16
	v_cmp_gt_u32_e32 vcc, s6, v0
	s_and_saveexec_b64 s[0:1], vcc
	s_cbranch_execnz .LBB571_51
; %bb.35:
	s_or_b64 exec, exec, s[0:1]
	v_cmp_gt_u32_e64 s[0:1], s6, v22
	s_and_saveexec_b64 s[2:3], s[0:1]
	s_cbranch_execnz .LBB571_52
.LBB571_36:
	s_or_b64 exec, exec, s[2:3]
	v_cmp_gt_u32_e64 s[2:3], s6, v21
	s_and_saveexec_b64 s[4:5], s[2:3]
	s_cbranch_execnz .LBB571_53
.LBB571_37:
	s_or_b64 exec, exec, s[4:5]
	v_cmp_gt_u32_e64 s[6:7], s6, v20
	s_and_saveexec_b64 s[4:5], s[6:7]
	s_cbranch_execz .LBB571_39
.LBB571_38:
	s_waitcnt lgkmcnt(0)
	global_store_byte v[9:10], v11, off offset:768
.LBB571_39:
	s_or_b64 exec, exec, s[4:5]
	v_lshl_add_u32 v0, v19, 3, v18
	s_waitcnt vmcnt(0) lgkmcnt(0)
	s_barrier
	ds_write2_b64 v0, v[5:6], v[7:8] offset1:1
	ds_write2_b64 v0, v[1:2], v[3:4] offset0:2 offset1:3
	v_lshl_add_u32 v0, v15, 3, v13
	v_lshl_add_u32 v1, v16, 3, v13
	s_waitcnt lgkmcnt(0)
	s_barrier
	v_lshl_add_u32 v2, v17, 3, v13
	ds_read_b64 v[4:5], v0 offset:2048
	ds_read_b64 v[0:1], v1 offset:4096
	;; [unrolled: 1-line block ×3, first 2 shown]
	s_lshl_b64 s[4:5], s[16:17], 3
	s_add_u32 s4, s12, s4
	s_addc_u32 s5, s13, s5
	v_mov_b32_e32 v3, s5
	v_add_co_u32_e64 v2, s[4:5], s4, v13
	v_addc_co_u32_e64 v3, s[4:5], 0, v3, s[4:5]
	s_and_saveexec_b64 s[4:5], vcc
	s_cbranch_execnz .LBB571_54
; %bb.40:
	s_or_b64 exec, exec, s[4:5]
	s_and_saveexec_b64 s[4:5], s[0:1]
	s_cbranch_execnz .LBB571_55
.LBB571_41:
	s_or_b64 exec, exec, s[4:5]
	s_and_saveexec_b64 s[0:1], s[2:3]
	s_cbranch_execz .LBB571_43
.LBB571_42:
	v_add_co_u32_e32 v2, vcc, 0x1000, v2
	v_addc_co_u32_e32 v3, vcc, 0, v3, vcc
	s_waitcnt lgkmcnt(1)
	global_store_dwordx2 v[2:3], v[0:1], off
.LBB571_43:
	s_or_b64 exec, exec, s[0:1]
.LBB571_44:
	s_and_saveexec_b64 s[0:1], s[6:7]
	s_cbranch_execz .LBB571_46
; %bb.45:
	s_lshl_b64 s[0:1], s[16:17], 3
	s_add_u32 s0, s12, s0
	s_addc_u32 s1, s13, s1
	s_waitcnt lgkmcnt(1)
	v_mov_b32_e32 v0, s1
	v_add_co_u32_e32 v1, vcc, s0, v13
	v_addc_co_u32_e32 v2, vcc, 0, v0, vcc
	v_add_co_u32_e32 v0, vcc, 0x1000, v1
	v_addc_co_u32_e32 v1, vcc, 0, v2, vcc
	s_waitcnt lgkmcnt(0)
	global_store_dwordx2 v[0:1], v[11:12], off offset:2048
.LBB571_46:
	s_endpgm
.LBB571_47:
	v_mov_b32_e32 v1, s27
	v_add_co_u32_e32 v3, vcc, s26, v0
	v_addc_co_u32_e32 v1, vcc, 0, v1, vcc
	v_subrev_co_u32_e32 v2, vcc, s15, v0
	v_mov_b32_e32 v4, s28
	v_add_co_u32_e64 v5, s[0:1], s25, v2
	v_addc_co_u32_e64 v2, s[0:1], 0, v4, s[0:1]
	v_cndmask_b32_e32 v2, v2, v1, vcc
	v_cndmask_b32_e32 v1, v5, v3, vcc
	global_load_ubyte v14, v[1:2], off
	s_or_b64 exec, exec, s[6:7]
	v_cmp_gt_u32_e32 vcc, s22, v11
	s_and_saveexec_b64 s[6:7], vcc
	s_cbranch_execz .LBB571_6
.LBB571_48:
	v_mov_b32_e32 v1, s27
	v_add_co_u32_e32 v3, vcc, s26, v11
	v_addc_co_u32_e32 v1, vcc, 0, v1, vcc
	v_subrev_co_u32_e32 v2, vcc, s15, v11
	v_mov_b32_e32 v4, s28
	v_add_co_u32_e64 v5, s[0:1], s25, v2
	v_addc_co_u32_e64 v2, s[0:1], 0, v4, s[0:1]
	v_cndmask_b32_e32 v2, v2, v1, vcc
	v_cndmask_b32_e32 v1, v5, v3, vcc
	global_load_ubyte v1, v[1:2], off
	s_waitcnt vmcnt(0)
	v_lshlrev_b16_e32 v1, 8, v1
	v_or_b32_e32 v1, v14, v1
	v_and_b32_e32 v14, 0xffff, v1
	s_or_b64 exec, exec, s[6:7]
	v_cmp_gt_u32_e32 vcc, s22, v9
	s_and_saveexec_b64 s[6:7], vcc
	s_cbranch_execnz .LBB571_7
	s_branch .LBB571_8
.LBB571_49:
	v_mov_b32_e32 v2, s22
	v_add_co_u32_e32 v4, vcc, s7, v13
	v_addc_co_u32_e32 v5, vcc, 0, v2, vcc
	v_subrev_co_u32_e32 v2, vcc, s15, v0
	v_mov_b32_e32 v3, v1
	v_lshlrev_b64 v[2:3], 3, v[2:3]
	v_mov_b32_e32 v6, s10
	v_add_co_u32_e64 v2, s[0:1], s6, v2
	v_addc_co_u32_e64 v3, s[0:1], v6, v3, s[0:1]
	v_cndmask_b32_e32 v3, v3, v5, vcc
	v_cndmask_b32_e32 v2, v2, v4, vcc
	global_load_dwordx2 v[19:20], v[2:3], off
	v_mov_b32_e32 v21, v1
	v_mov_b32_e32 v22, v1
	;; [unrolled: 1-line block ×6, first 2 shown]
	s_waitcnt vmcnt(0)
	v_mov_b32_e32 v1, v19
	v_mov_b32_e32 v2, v20
	v_mov_b32_e32 v3, v21
	v_mov_b32_e32 v4, v22
	v_mov_b32_e32 v5, v23
	v_mov_b32_e32 v6, v24
	v_mov_b32_e32 v7, v25
	v_mov_b32_e32 v8, v26
	s_or_b64 exec, exec, s[2:3]
	v_cmp_gt_u32_e32 vcc, s11, v11
	s_and_saveexec_b64 s[2:3], vcc
	s_cbranch_execz .LBB571_16
.LBB571_50:
	v_mov_b32_e32 v12, 0
	v_lshlrev_b64 v[3:4], 3, v[11:12]
	v_mov_b32_e32 v10, s22
	v_add_co_u32_e32 v19, vcc, s7, v3
	v_addc_co_u32_e32 v10, vcc, v10, v4, vcc
	v_subrev_co_u32_e32 v11, vcc, s15, v11
	v_lshlrev_b64 v[3:4], 3, v[11:12]
	v_mov_b32_e32 v11, s10
	v_add_co_u32_e64 v3, s[0:1], s6, v3
	v_addc_co_u32_e64 v4, s[0:1], v11, v4, s[0:1]
	v_cndmask_b32_e32 v4, v4, v10, vcc
	v_cndmask_b32_e32 v3, v3, v19, vcc
	global_load_dwordx2 v[3:4], v[3:4], off
	s_or_b64 exec, exec, s[2:3]
	v_cmp_gt_u32_e32 vcc, s11, v9
	s_and_saveexec_b64 s[2:3], vcc
	s_cbranch_execnz .LBB571_17
	s_branch .LBB571_18
.LBB571_51:
	v_add_u32_e32 v0, v23, v0
	ds_read_u8 v0, v0
	s_waitcnt lgkmcnt(0)
	global_store_byte v[9:10], v0, off
	s_or_b64 exec, exec, s[0:1]
	v_cmp_gt_u32_e64 s[0:1], s6, v22
	s_and_saveexec_b64 s[2:3], s[0:1]
	s_cbranch_execz .LBB571_36
.LBB571_52:
	s_waitcnt lgkmcnt(2)
	global_store_byte v[9:10], v24, off offset:256
	s_or_b64 exec, exec, s[2:3]
	v_cmp_gt_u32_e64 s[2:3], s6, v21
	s_and_saveexec_b64 s[4:5], s[2:3]
	s_cbranch_execz .LBB571_37
.LBB571_53:
	s_waitcnt lgkmcnt(1)
	global_store_byte v[9:10], v12, off offset:512
	s_or_b64 exec, exec, s[4:5]
	v_cmp_gt_u32_e64 s[6:7], s6, v20
	s_and_saveexec_b64 s[4:5], s[6:7]
	s_cbranch_execnz .LBB571_38
	s_branch .LBB571_39
.LBB571_54:
	v_lshl_add_u32 v6, v14, 3, v13
	ds_read_b64 v[6:7], v6
	s_waitcnt lgkmcnt(0)
	global_store_dwordx2 v[2:3], v[6:7], off
	s_or_b64 exec, exec, s[4:5]
	s_and_saveexec_b64 s[4:5], s[0:1]
	s_cbranch_execz .LBB571_41
.LBB571_55:
	s_waitcnt lgkmcnt(2)
	global_store_dwordx2 v[2:3], v[4:5], off offset:2048
	s_or_b64 exec, exec, s[4:5]
	s_and_saveexec_b64 s[0:1], s[2:3]
	s_cbranch_execnz .LBB571_42
	s_branch .LBB571_43
	.section	.rodata,"a",@progbits
	.p2align	6, 0x0
	.amdhsa_kernel _ZN7rocprim17ROCPRIM_400000_NS6detail17trampoline_kernelINS0_14default_configENS1_38merge_sort_block_merge_config_selectorIalEEZZNS1_27merge_sort_block_merge_implIS3_PaN6thrust23THRUST_200600_302600_NS10device_ptrIlEEjNS1_19radix_merge_compareILb0ELb1EaNS0_19identity_decomposerEEEEE10hipError_tT0_T1_T2_jT3_P12ihipStream_tbPNSt15iterator_traitsISG_E10value_typeEPNSM_ISH_E10value_typeEPSI_NS1_7vsmem_tEENKUlT_SG_SH_SI_E_clIS7_S7_SB_PlEESF_SV_SG_SH_SI_EUlSV_E0_NS1_11comp_targetILNS1_3genE2ELNS1_11target_archE906ELNS1_3gpuE6ELNS1_3repE0EEENS1_38merge_mergepath_config_static_selectorELNS0_4arch9wavefront6targetE1EEEvSH_
		.amdhsa_group_segment_fixed_size 8448
		.amdhsa_private_segment_fixed_size 0
		.amdhsa_kernarg_size 320
		.amdhsa_user_sgpr_count 6
		.amdhsa_user_sgpr_private_segment_buffer 1
		.amdhsa_user_sgpr_dispatch_ptr 0
		.amdhsa_user_sgpr_queue_ptr 0
		.amdhsa_user_sgpr_kernarg_segment_ptr 1
		.amdhsa_user_sgpr_dispatch_id 0
		.amdhsa_user_sgpr_flat_scratch_init 0
		.amdhsa_user_sgpr_private_segment_size 0
		.amdhsa_uses_dynamic_stack 0
		.amdhsa_system_sgpr_private_segment_wavefront_offset 0
		.amdhsa_system_sgpr_workgroup_id_x 1
		.amdhsa_system_sgpr_workgroup_id_y 1
		.amdhsa_system_sgpr_workgroup_id_z 1
		.amdhsa_system_sgpr_workgroup_info 0
		.amdhsa_system_vgpr_workitem_id 0
		.amdhsa_next_free_vgpr 35
		.amdhsa_next_free_sgpr 77
		.amdhsa_reserve_vcc 1
		.amdhsa_reserve_flat_scratch 0
		.amdhsa_float_round_mode_32 0
		.amdhsa_float_round_mode_16_64 0
		.amdhsa_float_denorm_mode_32 3
		.amdhsa_float_denorm_mode_16_64 3
		.amdhsa_dx10_clamp 1
		.amdhsa_ieee_mode 1
		.amdhsa_fp16_overflow 0
		.amdhsa_exception_fp_ieee_invalid_op 0
		.amdhsa_exception_fp_denorm_src 0
		.amdhsa_exception_fp_ieee_div_zero 0
		.amdhsa_exception_fp_ieee_overflow 0
		.amdhsa_exception_fp_ieee_underflow 0
		.amdhsa_exception_fp_ieee_inexact 0
		.amdhsa_exception_int_div_zero 0
	.end_amdhsa_kernel
	.section	.text._ZN7rocprim17ROCPRIM_400000_NS6detail17trampoline_kernelINS0_14default_configENS1_38merge_sort_block_merge_config_selectorIalEEZZNS1_27merge_sort_block_merge_implIS3_PaN6thrust23THRUST_200600_302600_NS10device_ptrIlEEjNS1_19radix_merge_compareILb0ELb1EaNS0_19identity_decomposerEEEEE10hipError_tT0_T1_T2_jT3_P12ihipStream_tbPNSt15iterator_traitsISG_E10value_typeEPNSM_ISH_E10value_typeEPSI_NS1_7vsmem_tEENKUlT_SG_SH_SI_E_clIS7_S7_SB_PlEESF_SV_SG_SH_SI_EUlSV_E0_NS1_11comp_targetILNS1_3genE2ELNS1_11target_archE906ELNS1_3gpuE6ELNS1_3repE0EEENS1_38merge_mergepath_config_static_selectorELNS0_4arch9wavefront6targetE1EEEvSH_,"axG",@progbits,_ZN7rocprim17ROCPRIM_400000_NS6detail17trampoline_kernelINS0_14default_configENS1_38merge_sort_block_merge_config_selectorIalEEZZNS1_27merge_sort_block_merge_implIS3_PaN6thrust23THRUST_200600_302600_NS10device_ptrIlEEjNS1_19radix_merge_compareILb0ELb1EaNS0_19identity_decomposerEEEEE10hipError_tT0_T1_T2_jT3_P12ihipStream_tbPNSt15iterator_traitsISG_E10value_typeEPNSM_ISH_E10value_typeEPSI_NS1_7vsmem_tEENKUlT_SG_SH_SI_E_clIS7_S7_SB_PlEESF_SV_SG_SH_SI_EUlSV_E0_NS1_11comp_targetILNS1_3genE2ELNS1_11target_archE906ELNS1_3gpuE6ELNS1_3repE0EEENS1_38merge_mergepath_config_static_selectorELNS0_4arch9wavefront6targetE1EEEvSH_,comdat
.Lfunc_end571:
	.size	_ZN7rocprim17ROCPRIM_400000_NS6detail17trampoline_kernelINS0_14default_configENS1_38merge_sort_block_merge_config_selectorIalEEZZNS1_27merge_sort_block_merge_implIS3_PaN6thrust23THRUST_200600_302600_NS10device_ptrIlEEjNS1_19radix_merge_compareILb0ELb1EaNS0_19identity_decomposerEEEEE10hipError_tT0_T1_T2_jT3_P12ihipStream_tbPNSt15iterator_traitsISG_E10value_typeEPNSM_ISH_E10value_typeEPSI_NS1_7vsmem_tEENKUlT_SG_SH_SI_E_clIS7_S7_SB_PlEESF_SV_SG_SH_SI_EUlSV_E0_NS1_11comp_targetILNS1_3genE2ELNS1_11target_archE906ELNS1_3gpuE6ELNS1_3repE0EEENS1_38merge_mergepath_config_static_selectorELNS0_4arch9wavefront6targetE1EEEvSH_, .Lfunc_end571-_ZN7rocprim17ROCPRIM_400000_NS6detail17trampoline_kernelINS0_14default_configENS1_38merge_sort_block_merge_config_selectorIalEEZZNS1_27merge_sort_block_merge_implIS3_PaN6thrust23THRUST_200600_302600_NS10device_ptrIlEEjNS1_19radix_merge_compareILb0ELb1EaNS0_19identity_decomposerEEEEE10hipError_tT0_T1_T2_jT3_P12ihipStream_tbPNSt15iterator_traitsISG_E10value_typeEPNSM_ISH_E10value_typeEPSI_NS1_7vsmem_tEENKUlT_SG_SH_SI_E_clIS7_S7_SB_PlEESF_SV_SG_SH_SI_EUlSV_E0_NS1_11comp_targetILNS1_3genE2ELNS1_11target_archE906ELNS1_3gpuE6ELNS1_3repE0EEENS1_38merge_mergepath_config_static_selectorELNS0_4arch9wavefront6targetE1EEEvSH_
                                        ; -- End function
	.set _ZN7rocprim17ROCPRIM_400000_NS6detail17trampoline_kernelINS0_14default_configENS1_38merge_sort_block_merge_config_selectorIalEEZZNS1_27merge_sort_block_merge_implIS3_PaN6thrust23THRUST_200600_302600_NS10device_ptrIlEEjNS1_19radix_merge_compareILb0ELb1EaNS0_19identity_decomposerEEEEE10hipError_tT0_T1_T2_jT3_P12ihipStream_tbPNSt15iterator_traitsISG_E10value_typeEPNSM_ISH_E10value_typeEPSI_NS1_7vsmem_tEENKUlT_SG_SH_SI_E_clIS7_S7_SB_PlEESF_SV_SG_SH_SI_EUlSV_E0_NS1_11comp_targetILNS1_3genE2ELNS1_11target_archE906ELNS1_3gpuE6ELNS1_3repE0EEENS1_38merge_mergepath_config_static_selectorELNS0_4arch9wavefront6targetE1EEEvSH_.num_vgpr, 35
	.set _ZN7rocprim17ROCPRIM_400000_NS6detail17trampoline_kernelINS0_14default_configENS1_38merge_sort_block_merge_config_selectorIalEEZZNS1_27merge_sort_block_merge_implIS3_PaN6thrust23THRUST_200600_302600_NS10device_ptrIlEEjNS1_19radix_merge_compareILb0ELb1EaNS0_19identity_decomposerEEEEE10hipError_tT0_T1_T2_jT3_P12ihipStream_tbPNSt15iterator_traitsISG_E10value_typeEPNSM_ISH_E10value_typeEPSI_NS1_7vsmem_tEENKUlT_SG_SH_SI_E_clIS7_S7_SB_PlEESF_SV_SG_SH_SI_EUlSV_E0_NS1_11comp_targetILNS1_3genE2ELNS1_11target_archE906ELNS1_3gpuE6ELNS1_3repE0EEENS1_38merge_mergepath_config_static_selectorELNS0_4arch9wavefront6targetE1EEEvSH_.num_agpr, 0
	.set _ZN7rocprim17ROCPRIM_400000_NS6detail17trampoline_kernelINS0_14default_configENS1_38merge_sort_block_merge_config_selectorIalEEZZNS1_27merge_sort_block_merge_implIS3_PaN6thrust23THRUST_200600_302600_NS10device_ptrIlEEjNS1_19radix_merge_compareILb0ELb1EaNS0_19identity_decomposerEEEEE10hipError_tT0_T1_T2_jT3_P12ihipStream_tbPNSt15iterator_traitsISG_E10value_typeEPNSM_ISH_E10value_typeEPSI_NS1_7vsmem_tEENKUlT_SG_SH_SI_E_clIS7_S7_SB_PlEESF_SV_SG_SH_SI_EUlSV_E0_NS1_11comp_targetILNS1_3genE2ELNS1_11target_archE906ELNS1_3gpuE6ELNS1_3repE0EEENS1_38merge_mergepath_config_static_selectorELNS0_4arch9wavefront6targetE1EEEvSH_.numbered_sgpr, 31
	.set _ZN7rocprim17ROCPRIM_400000_NS6detail17trampoline_kernelINS0_14default_configENS1_38merge_sort_block_merge_config_selectorIalEEZZNS1_27merge_sort_block_merge_implIS3_PaN6thrust23THRUST_200600_302600_NS10device_ptrIlEEjNS1_19radix_merge_compareILb0ELb1EaNS0_19identity_decomposerEEEEE10hipError_tT0_T1_T2_jT3_P12ihipStream_tbPNSt15iterator_traitsISG_E10value_typeEPNSM_ISH_E10value_typeEPSI_NS1_7vsmem_tEENKUlT_SG_SH_SI_E_clIS7_S7_SB_PlEESF_SV_SG_SH_SI_EUlSV_E0_NS1_11comp_targetILNS1_3genE2ELNS1_11target_archE906ELNS1_3gpuE6ELNS1_3repE0EEENS1_38merge_mergepath_config_static_selectorELNS0_4arch9wavefront6targetE1EEEvSH_.num_named_barrier, 0
	.set _ZN7rocprim17ROCPRIM_400000_NS6detail17trampoline_kernelINS0_14default_configENS1_38merge_sort_block_merge_config_selectorIalEEZZNS1_27merge_sort_block_merge_implIS3_PaN6thrust23THRUST_200600_302600_NS10device_ptrIlEEjNS1_19radix_merge_compareILb0ELb1EaNS0_19identity_decomposerEEEEE10hipError_tT0_T1_T2_jT3_P12ihipStream_tbPNSt15iterator_traitsISG_E10value_typeEPNSM_ISH_E10value_typeEPSI_NS1_7vsmem_tEENKUlT_SG_SH_SI_E_clIS7_S7_SB_PlEESF_SV_SG_SH_SI_EUlSV_E0_NS1_11comp_targetILNS1_3genE2ELNS1_11target_archE906ELNS1_3gpuE6ELNS1_3repE0EEENS1_38merge_mergepath_config_static_selectorELNS0_4arch9wavefront6targetE1EEEvSH_.private_seg_size, 0
	.set _ZN7rocprim17ROCPRIM_400000_NS6detail17trampoline_kernelINS0_14default_configENS1_38merge_sort_block_merge_config_selectorIalEEZZNS1_27merge_sort_block_merge_implIS3_PaN6thrust23THRUST_200600_302600_NS10device_ptrIlEEjNS1_19radix_merge_compareILb0ELb1EaNS0_19identity_decomposerEEEEE10hipError_tT0_T1_T2_jT3_P12ihipStream_tbPNSt15iterator_traitsISG_E10value_typeEPNSM_ISH_E10value_typeEPSI_NS1_7vsmem_tEENKUlT_SG_SH_SI_E_clIS7_S7_SB_PlEESF_SV_SG_SH_SI_EUlSV_E0_NS1_11comp_targetILNS1_3genE2ELNS1_11target_archE906ELNS1_3gpuE6ELNS1_3repE0EEENS1_38merge_mergepath_config_static_selectorELNS0_4arch9wavefront6targetE1EEEvSH_.uses_vcc, 1
	.set _ZN7rocprim17ROCPRIM_400000_NS6detail17trampoline_kernelINS0_14default_configENS1_38merge_sort_block_merge_config_selectorIalEEZZNS1_27merge_sort_block_merge_implIS3_PaN6thrust23THRUST_200600_302600_NS10device_ptrIlEEjNS1_19radix_merge_compareILb0ELb1EaNS0_19identity_decomposerEEEEE10hipError_tT0_T1_T2_jT3_P12ihipStream_tbPNSt15iterator_traitsISG_E10value_typeEPNSM_ISH_E10value_typeEPSI_NS1_7vsmem_tEENKUlT_SG_SH_SI_E_clIS7_S7_SB_PlEESF_SV_SG_SH_SI_EUlSV_E0_NS1_11comp_targetILNS1_3genE2ELNS1_11target_archE906ELNS1_3gpuE6ELNS1_3repE0EEENS1_38merge_mergepath_config_static_selectorELNS0_4arch9wavefront6targetE1EEEvSH_.uses_flat_scratch, 0
	.set _ZN7rocprim17ROCPRIM_400000_NS6detail17trampoline_kernelINS0_14default_configENS1_38merge_sort_block_merge_config_selectorIalEEZZNS1_27merge_sort_block_merge_implIS3_PaN6thrust23THRUST_200600_302600_NS10device_ptrIlEEjNS1_19radix_merge_compareILb0ELb1EaNS0_19identity_decomposerEEEEE10hipError_tT0_T1_T2_jT3_P12ihipStream_tbPNSt15iterator_traitsISG_E10value_typeEPNSM_ISH_E10value_typeEPSI_NS1_7vsmem_tEENKUlT_SG_SH_SI_E_clIS7_S7_SB_PlEESF_SV_SG_SH_SI_EUlSV_E0_NS1_11comp_targetILNS1_3genE2ELNS1_11target_archE906ELNS1_3gpuE6ELNS1_3repE0EEENS1_38merge_mergepath_config_static_selectorELNS0_4arch9wavefront6targetE1EEEvSH_.has_dyn_sized_stack, 0
	.set _ZN7rocprim17ROCPRIM_400000_NS6detail17trampoline_kernelINS0_14default_configENS1_38merge_sort_block_merge_config_selectorIalEEZZNS1_27merge_sort_block_merge_implIS3_PaN6thrust23THRUST_200600_302600_NS10device_ptrIlEEjNS1_19radix_merge_compareILb0ELb1EaNS0_19identity_decomposerEEEEE10hipError_tT0_T1_T2_jT3_P12ihipStream_tbPNSt15iterator_traitsISG_E10value_typeEPNSM_ISH_E10value_typeEPSI_NS1_7vsmem_tEENKUlT_SG_SH_SI_E_clIS7_S7_SB_PlEESF_SV_SG_SH_SI_EUlSV_E0_NS1_11comp_targetILNS1_3genE2ELNS1_11target_archE906ELNS1_3gpuE6ELNS1_3repE0EEENS1_38merge_mergepath_config_static_selectorELNS0_4arch9wavefront6targetE1EEEvSH_.has_recursion, 0
	.set _ZN7rocprim17ROCPRIM_400000_NS6detail17trampoline_kernelINS0_14default_configENS1_38merge_sort_block_merge_config_selectorIalEEZZNS1_27merge_sort_block_merge_implIS3_PaN6thrust23THRUST_200600_302600_NS10device_ptrIlEEjNS1_19radix_merge_compareILb0ELb1EaNS0_19identity_decomposerEEEEE10hipError_tT0_T1_T2_jT3_P12ihipStream_tbPNSt15iterator_traitsISG_E10value_typeEPNSM_ISH_E10value_typeEPSI_NS1_7vsmem_tEENKUlT_SG_SH_SI_E_clIS7_S7_SB_PlEESF_SV_SG_SH_SI_EUlSV_E0_NS1_11comp_targetILNS1_3genE2ELNS1_11target_archE906ELNS1_3gpuE6ELNS1_3repE0EEENS1_38merge_mergepath_config_static_selectorELNS0_4arch9wavefront6targetE1EEEvSH_.has_indirect_call, 0
	.section	.AMDGPU.csdata,"",@progbits
; Kernel info:
; codeLenInByte = 3456
; TotalNumSgprs: 35
; NumVgprs: 35
; ScratchSize: 0
; MemoryBound: 0
; FloatMode: 240
; IeeeMode: 1
; LDSByteSize: 8448 bytes/workgroup (compile time only)
; SGPRBlocks: 10
; VGPRBlocks: 8
; NumSGPRsForWavesPerEU: 81
; NumVGPRsForWavesPerEU: 35
; Occupancy: 7
; WaveLimiterHint : 1
; COMPUTE_PGM_RSRC2:SCRATCH_EN: 0
; COMPUTE_PGM_RSRC2:USER_SGPR: 6
; COMPUTE_PGM_RSRC2:TRAP_HANDLER: 0
; COMPUTE_PGM_RSRC2:TGID_X_EN: 1
; COMPUTE_PGM_RSRC2:TGID_Y_EN: 1
; COMPUTE_PGM_RSRC2:TGID_Z_EN: 1
; COMPUTE_PGM_RSRC2:TIDIG_COMP_CNT: 0
	.section	.text._ZN7rocprim17ROCPRIM_400000_NS6detail17trampoline_kernelINS0_14default_configENS1_38merge_sort_block_merge_config_selectorIalEEZZNS1_27merge_sort_block_merge_implIS3_PaN6thrust23THRUST_200600_302600_NS10device_ptrIlEEjNS1_19radix_merge_compareILb0ELb1EaNS0_19identity_decomposerEEEEE10hipError_tT0_T1_T2_jT3_P12ihipStream_tbPNSt15iterator_traitsISG_E10value_typeEPNSM_ISH_E10value_typeEPSI_NS1_7vsmem_tEENKUlT_SG_SH_SI_E_clIS7_S7_SB_PlEESF_SV_SG_SH_SI_EUlSV_E0_NS1_11comp_targetILNS1_3genE9ELNS1_11target_archE1100ELNS1_3gpuE3ELNS1_3repE0EEENS1_38merge_mergepath_config_static_selectorELNS0_4arch9wavefront6targetE1EEEvSH_,"axG",@progbits,_ZN7rocprim17ROCPRIM_400000_NS6detail17trampoline_kernelINS0_14default_configENS1_38merge_sort_block_merge_config_selectorIalEEZZNS1_27merge_sort_block_merge_implIS3_PaN6thrust23THRUST_200600_302600_NS10device_ptrIlEEjNS1_19radix_merge_compareILb0ELb1EaNS0_19identity_decomposerEEEEE10hipError_tT0_T1_T2_jT3_P12ihipStream_tbPNSt15iterator_traitsISG_E10value_typeEPNSM_ISH_E10value_typeEPSI_NS1_7vsmem_tEENKUlT_SG_SH_SI_E_clIS7_S7_SB_PlEESF_SV_SG_SH_SI_EUlSV_E0_NS1_11comp_targetILNS1_3genE9ELNS1_11target_archE1100ELNS1_3gpuE3ELNS1_3repE0EEENS1_38merge_mergepath_config_static_selectorELNS0_4arch9wavefront6targetE1EEEvSH_,comdat
	.protected	_ZN7rocprim17ROCPRIM_400000_NS6detail17trampoline_kernelINS0_14default_configENS1_38merge_sort_block_merge_config_selectorIalEEZZNS1_27merge_sort_block_merge_implIS3_PaN6thrust23THRUST_200600_302600_NS10device_ptrIlEEjNS1_19radix_merge_compareILb0ELb1EaNS0_19identity_decomposerEEEEE10hipError_tT0_T1_T2_jT3_P12ihipStream_tbPNSt15iterator_traitsISG_E10value_typeEPNSM_ISH_E10value_typeEPSI_NS1_7vsmem_tEENKUlT_SG_SH_SI_E_clIS7_S7_SB_PlEESF_SV_SG_SH_SI_EUlSV_E0_NS1_11comp_targetILNS1_3genE9ELNS1_11target_archE1100ELNS1_3gpuE3ELNS1_3repE0EEENS1_38merge_mergepath_config_static_selectorELNS0_4arch9wavefront6targetE1EEEvSH_ ; -- Begin function _ZN7rocprim17ROCPRIM_400000_NS6detail17trampoline_kernelINS0_14default_configENS1_38merge_sort_block_merge_config_selectorIalEEZZNS1_27merge_sort_block_merge_implIS3_PaN6thrust23THRUST_200600_302600_NS10device_ptrIlEEjNS1_19radix_merge_compareILb0ELb1EaNS0_19identity_decomposerEEEEE10hipError_tT0_T1_T2_jT3_P12ihipStream_tbPNSt15iterator_traitsISG_E10value_typeEPNSM_ISH_E10value_typeEPSI_NS1_7vsmem_tEENKUlT_SG_SH_SI_E_clIS7_S7_SB_PlEESF_SV_SG_SH_SI_EUlSV_E0_NS1_11comp_targetILNS1_3genE9ELNS1_11target_archE1100ELNS1_3gpuE3ELNS1_3repE0EEENS1_38merge_mergepath_config_static_selectorELNS0_4arch9wavefront6targetE1EEEvSH_
	.globl	_ZN7rocprim17ROCPRIM_400000_NS6detail17trampoline_kernelINS0_14default_configENS1_38merge_sort_block_merge_config_selectorIalEEZZNS1_27merge_sort_block_merge_implIS3_PaN6thrust23THRUST_200600_302600_NS10device_ptrIlEEjNS1_19radix_merge_compareILb0ELb1EaNS0_19identity_decomposerEEEEE10hipError_tT0_T1_T2_jT3_P12ihipStream_tbPNSt15iterator_traitsISG_E10value_typeEPNSM_ISH_E10value_typeEPSI_NS1_7vsmem_tEENKUlT_SG_SH_SI_E_clIS7_S7_SB_PlEESF_SV_SG_SH_SI_EUlSV_E0_NS1_11comp_targetILNS1_3genE9ELNS1_11target_archE1100ELNS1_3gpuE3ELNS1_3repE0EEENS1_38merge_mergepath_config_static_selectorELNS0_4arch9wavefront6targetE1EEEvSH_
	.p2align	8
	.type	_ZN7rocprim17ROCPRIM_400000_NS6detail17trampoline_kernelINS0_14default_configENS1_38merge_sort_block_merge_config_selectorIalEEZZNS1_27merge_sort_block_merge_implIS3_PaN6thrust23THRUST_200600_302600_NS10device_ptrIlEEjNS1_19radix_merge_compareILb0ELb1EaNS0_19identity_decomposerEEEEE10hipError_tT0_T1_T2_jT3_P12ihipStream_tbPNSt15iterator_traitsISG_E10value_typeEPNSM_ISH_E10value_typeEPSI_NS1_7vsmem_tEENKUlT_SG_SH_SI_E_clIS7_S7_SB_PlEESF_SV_SG_SH_SI_EUlSV_E0_NS1_11comp_targetILNS1_3genE9ELNS1_11target_archE1100ELNS1_3gpuE3ELNS1_3repE0EEENS1_38merge_mergepath_config_static_selectorELNS0_4arch9wavefront6targetE1EEEvSH_,@function
_ZN7rocprim17ROCPRIM_400000_NS6detail17trampoline_kernelINS0_14default_configENS1_38merge_sort_block_merge_config_selectorIalEEZZNS1_27merge_sort_block_merge_implIS3_PaN6thrust23THRUST_200600_302600_NS10device_ptrIlEEjNS1_19radix_merge_compareILb0ELb1EaNS0_19identity_decomposerEEEEE10hipError_tT0_T1_T2_jT3_P12ihipStream_tbPNSt15iterator_traitsISG_E10value_typeEPNSM_ISH_E10value_typeEPSI_NS1_7vsmem_tEENKUlT_SG_SH_SI_E_clIS7_S7_SB_PlEESF_SV_SG_SH_SI_EUlSV_E0_NS1_11comp_targetILNS1_3genE9ELNS1_11target_archE1100ELNS1_3gpuE3ELNS1_3repE0EEENS1_38merge_mergepath_config_static_selectorELNS0_4arch9wavefront6targetE1EEEvSH_: ; @_ZN7rocprim17ROCPRIM_400000_NS6detail17trampoline_kernelINS0_14default_configENS1_38merge_sort_block_merge_config_selectorIalEEZZNS1_27merge_sort_block_merge_implIS3_PaN6thrust23THRUST_200600_302600_NS10device_ptrIlEEjNS1_19radix_merge_compareILb0ELb1EaNS0_19identity_decomposerEEEEE10hipError_tT0_T1_T2_jT3_P12ihipStream_tbPNSt15iterator_traitsISG_E10value_typeEPNSM_ISH_E10value_typeEPSI_NS1_7vsmem_tEENKUlT_SG_SH_SI_E_clIS7_S7_SB_PlEESF_SV_SG_SH_SI_EUlSV_E0_NS1_11comp_targetILNS1_3genE9ELNS1_11target_archE1100ELNS1_3gpuE3ELNS1_3repE0EEENS1_38merge_mergepath_config_static_selectorELNS0_4arch9wavefront6targetE1EEEvSH_
; %bb.0:
	.section	.rodata,"a",@progbits
	.p2align	6, 0x0
	.amdhsa_kernel _ZN7rocprim17ROCPRIM_400000_NS6detail17trampoline_kernelINS0_14default_configENS1_38merge_sort_block_merge_config_selectorIalEEZZNS1_27merge_sort_block_merge_implIS3_PaN6thrust23THRUST_200600_302600_NS10device_ptrIlEEjNS1_19radix_merge_compareILb0ELb1EaNS0_19identity_decomposerEEEEE10hipError_tT0_T1_T2_jT3_P12ihipStream_tbPNSt15iterator_traitsISG_E10value_typeEPNSM_ISH_E10value_typeEPSI_NS1_7vsmem_tEENKUlT_SG_SH_SI_E_clIS7_S7_SB_PlEESF_SV_SG_SH_SI_EUlSV_E0_NS1_11comp_targetILNS1_3genE9ELNS1_11target_archE1100ELNS1_3gpuE3ELNS1_3repE0EEENS1_38merge_mergepath_config_static_selectorELNS0_4arch9wavefront6targetE1EEEvSH_
		.amdhsa_group_segment_fixed_size 0
		.amdhsa_private_segment_fixed_size 0
		.amdhsa_kernarg_size 64
		.amdhsa_user_sgpr_count 6
		.amdhsa_user_sgpr_private_segment_buffer 1
		.amdhsa_user_sgpr_dispatch_ptr 0
		.amdhsa_user_sgpr_queue_ptr 0
		.amdhsa_user_sgpr_kernarg_segment_ptr 1
		.amdhsa_user_sgpr_dispatch_id 0
		.amdhsa_user_sgpr_flat_scratch_init 0
		.amdhsa_user_sgpr_private_segment_size 0
		.amdhsa_uses_dynamic_stack 0
		.amdhsa_system_sgpr_private_segment_wavefront_offset 0
		.amdhsa_system_sgpr_workgroup_id_x 1
		.amdhsa_system_sgpr_workgroup_id_y 0
		.amdhsa_system_sgpr_workgroup_id_z 0
		.amdhsa_system_sgpr_workgroup_info 0
		.amdhsa_system_vgpr_workitem_id 0
		.amdhsa_next_free_vgpr 1
		.amdhsa_next_free_sgpr 0
		.amdhsa_reserve_vcc 0
		.amdhsa_reserve_flat_scratch 0
		.amdhsa_float_round_mode_32 0
		.amdhsa_float_round_mode_16_64 0
		.amdhsa_float_denorm_mode_32 3
		.amdhsa_float_denorm_mode_16_64 3
		.amdhsa_dx10_clamp 1
		.amdhsa_ieee_mode 1
		.amdhsa_fp16_overflow 0
		.amdhsa_exception_fp_ieee_invalid_op 0
		.amdhsa_exception_fp_denorm_src 0
		.amdhsa_exception_fp_ieee_div_zero 0
		.amdhsa_exception_fp_ieee_overflow 0
		.amdhsa_exception_fp_ieee_underflow 0
		.amdhsa_exception_fp_ieee_inexact 0
		.amdhsa_exception_int_div_zero 0
	.end_amdhsa_kernel
	.section	.text._ZN7rocprim17ROCPRIM_400000_NS6detail17trampoline_kernelINS0_14default_configENS1_38merge_sort_block_merge_config_selectorIalEEZZNS1_27merge_sort_block_merge_implIS3_PaN6thrust23THRUST_200600_302600_NS10device_ptrIlEEjNS1_19radix_merge_compareILb0ELb1EaNS0_19identity_decomposerEEEEE10hipError_tT0_T1_T2_jT3_P12ihipStream_tbPNSt15iterator_traitsISG_E10value_typeEPNSM_ISH_E10value_typeEPSI_NS1_7vsmem_tEENKUlT_SG_SH_SI_E_clIS7_S7_SB_PlEESF_SV_SG_SH_SI_EUlSV_E0_NS1_11comp_targetILNS1_3genE9ELNS1_11target_archE1100ELNS1_3gpuE3ELNS1_3repE0EEENS1_38merge_mergepath_config_static_selectorELNS0_4arch9wavefront6targetE1EEEvSH_,"axG",@progbits,_ZN7rocprim17ROCPRIM_400000_NS6detail17trampoline_kernelINS0_14default_configENS1_38merge_sort_block_merge_config_selectorIalEEZZNS1_27merge_sort_block_merge_implIS3_PaN6thrust23THRUST_200600_302600_NS10device_ptrIlEEjNS1_19radix_merge_compareILb0ELb1EaNS0_19identity_decomposerEEEEE10hipError_tT0_T1_T2_jT3_P12ihipStream_tbPNSt15iterator_traitsISG_E10value_typeEPNSM_ISH_E10value_typeEPSI_NS1_7vsmem_tEENKUlT_SG_SH_SI_E_clIS7_S7_SB_PlEESF_SV_SG_SH_SI_EUlSV_E0_NS1_11comp_targetILNS1_3genE9ELNS1_11target_archE1100ELNS1_3gpuE3ELNS1_3repE0EEENS1_38merge_mergepath_config_static_selectorELNS0_4arch9wavefront6targetE1EEEvSH_,comdat
.Lfunc_end572:
	.size	_ZN7rocprim17ROCPRIM_400000_NS6detail17trampoline_kernelINS0_14default_configENS1_38merge_sort_block_merge_config_selectorIalEEZZNS1_27merge_sort_block_merge_implIS3_PaN6thrust23THRUST_200600_302600_NS10device_ptrIlEEjNS1_19radix_merge_compareILb0ELb1EaNS0_19identity_decomposerEEEEE10hipError_tT0_T1_T2_jT3_P12ihipStream_tbPNSt15iterator_traitsISG_E10value_typeEPNSM_ISH_E10value_typeEPSI_NS1_7vsmem_tEENKUlT_SG_SH_SI_E_clIS7_S7_SB_PlEESF_SV_SG_SH_SI_EUlSV_E0_NS1_11comp_targetILNS1_3genE9ELNS1_11target_archE1100ELNS1_3gpuE3ELNS1_3repE0EEENS1_38merge_mergepath_config_static_selectorELNS0_4arch9wavefront6targetE1EEEvSH_, .Lfunc_end572-_ZN7rocprim17ROCPRIM_400000_NS6detail17trampoline_kernelINS0_14default_configENS1_38merge_sort_block_merge_config_selectorIalEEZZNS1_27merge_sort_block_merge_implIS3_PaN6thrust23THRUST_200600_302600_NS10device_ptrIlEEjNS1_19radix_merge_compareILb0ELb1EaNS0_19identity_decomposerEEEEE10hipError_tT0_T1_T2_jT3_P12ihipStream_tbPNSt15iterator_traitsISG_E10value_typeEPNSM_ISH_E10value_typeEPSI_NS1_7vsmem_tEENKUlT_SG_SH_SI_E_clIS7_S7_SB_PlEESF_SV_SG_SH_SI_EUlSV_E0_NS1_11comp_targetILNS1_3genE9ELNS1_11target_archE1100ELNS1_3gpuE3ELNS1_3repE0EEENS1_38merge_mergepath_config_static_selectorELNS0_4arch9wavefront6targetE1EEEvSH_
                                        ; -- End function
	.set _ZN7rocprim17ROCPRIM_400000_NS6detail17trampoline_kernelINS0_14default_configENS1_38merge_sort_block_merge_config_selectorIalEEZZNS1_27merge_sort_block_merge_implIS3_PaN6thrust23THRUST_200600_302600_NS10device_ptrIlEEjNS1_19radix_merge_compareILb0ELb1EaNS0_19identity_decomposerEEEEE10hipError_tT0_T1_T2_jT3_P12ihipStream_tbPNSt15iterator_traitsISG_E10value_typeEPNSM_ISH_E10value_typeEPSI_NS1_7vsmem_tEENKUlT_SG_SH_SI_E_clIS7_S7_SB_PlEESF_SV_SG_SH_SI_EUlSV_E0_NS1_11comp_targetILNS1_3genE9ELNS1_11target_archE1100ELNS1_3gpuE3ELNS1_3repE0EEENS1_38merge_mergepath_config_static_selectorELNS0_4arch9wavefront6targetE1EEEvSH_.num_vgpr, 0
	.set _ZN7rocprim17ROCPRIM_400000_NS6detail17trampoline_kernelINS0_14default_configENS1_38merge_sort_block_merge_config_selectorIalEEZZNS1_27merge_sort_block_merge_implIS3_PaN6thrust23THRUST_200600_302600_NS10device_ptrIlEEjNS1_19radix_merge_compareILb0ELb1EaNS0_19identity_decomposerEEEEE10hipError_tT0_T1_T2_jT3_P12ihipStream_tbPNSt15iterator_traitsISG_E10value_typeEPNSM_ISH_E10value_typeEPSI_NS1_7vsmem_tEENKUlT_SG_SH_SI_E_clIS7_S7_SB_PlEESF_SV_SG_SH_SI_EUlSV_E0_NS1_11comp_targetILNS1_3genE9ELNS1_11target_archE1100ELNS1_3gpuE3ELNS1_3repE0EEENS1_38merge_mergepath_config_static_selectorELNS0_4arch9wavefront6targetE1EEEvSH_.num_agpr, 0
	.set _ZN7rocprim17ROCPRIM_400000_NS6detail17trampoline_kernelINS0_14default_configENS1_38merge_sort_block_merge_config_selectorIalEEZZNS1_27merge_sort_block_merge_implIS3_PaN6thrust23THRUST_200600_302600_NS10device_ptrIlEEjNS1_19radix_merge_compareILb0ELb1EaNS0_19identity_decomposerEEEEE10hipError_tT0_T1_T2_jT3_P12ihipStream_tbPNSt15iterator_traitsISG_E10value_typeEPNSM_ISH_E10value_typeEPSI_NS1_7vsmem_tEENKUlT_SG_SH_SI_E_clIS7_S7_SB_PlEESF_SV_SG_SH_SI_EUlSV_E0_NS1_11comp_targetILNS1_3genE9ELNS1_11target_archE1100ELNS1_3gpuE3ELNS1_3repE0EEENS1_38merge_mergepath_config_static_selectorELNS0_4arch9wavefront6targetE1EEEvSH_.numbered_sgpr, 0
	.set _ZN7rocprim17ROCPRIM_400000_NS6detail17trampoline_kernelINS0_14default_configENS1_38merge_sort_block_merge_config_selectorIalEEZZNS1_27merge_sort_block_merge_implIS3_PaN6thrust23THRUST_200600_302600_NS10device_ptrIlEEjNS1_19radix_merge_compareILb0ELb1EaNS0_19identity_decomposerEEEEE10hipError_tT0_T1_T2_jT3_P12ihipStream_tbPNSt15iterator_traitsISG_E10value_typeEPNSM_ISH_E10value_typeEPSI_NS1_7vsmem_tEENKUlT_SG_SH_SI_E_clIS7_S7_SB_PlEESF_SV_SG_SH_SI_EUlSV_E0_NS1_11comp_targetILNS1_3genE9ELNS1_11target_archE1100ELNS1_3gpuE3ELNS1_3repE0EEENS1_38merge_mergepath_config_static_selectorELNS0_4arch9wavefront6targetE1EEEvSH_.num_named_barrier, 0
	.set _ZN7rocprim17ROCPRIM_400000_NS6detail17trampoline_kernelINS0_14default_configENS1_38merge_sort_block_merge_config_selectorIalEEZZNS1_27merge_sort_block_merge_implIS3_PaN6thrust23THRUST_200600_302600_NS10device_ptrIlEEjNS1_19radix_merge_compareILb0ELb1EaNS0_19identity_decomposerEEEEE10hipError_tT0_T1_T2_jT3_P12ihipStream_tbPNSt15iterator_traitsISG_E10value_typeEPNSM_ISH_E10value_typeEPSI_NS1_7vsmem_tEENKUlT_SG_SH_SI_E_clIS7_S7_SB_PlEESF_SV_SG_SH_SI_EUlSV_E0_NS1_11comp_targetILNS1_3genE9ELNS1_11target_archE1100ELNS1_3gpuE3ELNS1_3repE0EEENS1_38merge_mergepath_config_static_selectorELNS0_4arch9wavefront6targetE1EEEvSH_.private_seg_size, 0
	.set _ZN7rocprim17ROCPRIM_400000_NS6detail17trampoline_kernelINS0_14default_configENS1_38merge_sort_block_merge_config_selectorIalEEZZNS1_27merge_sort_block_merge_implIS3_PaN6thrust23THRUST_200600_302600_NS10device_ptrIlEEjNS1_19radix_merge_compareILb0ELb1EaNS0_19identity_decomposerEEEEE10hipError_tT0_T1_T2_jT3_P12ihipStream_tbPNSt15iterator_traitsISG_E10value_typeEPNSM_ISH_E10value_typeEPSI_NS1_7vsmem_tEENKUlT_SG_SH_SI_E_clIS7_S7_SB_PlEESF_SV_SG_SH_SI_EUlSV_E0_NS1_11comp_targetILNS1_3genE9ELNS1_11target_archE1100ELNS1_3gpuE3ELNS1_3repE0EEENS1_38merge_mergepath_config_static_selectorELNS0_4arch9wavefront6targetE1EEEvSH_.uses_vcc, 0
	.set _ZN7rocprim17ROCPRIM_400000_NS6detail17trampoline_kernelINS0_14default_configENS1_38merge_sort_block_merge_config_selectorIalEEZZNS1_27merge_sort_block_merge_implIS3_PaN6thrust23THRUST_200600_302600_NS10device_ptrIlEEjNS1_19radix_merge_compareILb0ELb1EaNS0_19identity_decomposerEEEEE10hipError_tT0_T1_T2_jT3_P12ihipStream_tbPNSt15iterator_traitsISG_E10value_typeEPNSM_ISH_E10value_typeEPSI_NS1_7vsmem_tEENKUlT_SG_SH_SI_E_clIS7_S7_SB_PlEESF_SV_SG_SH_SI_EUlSV_E0_NS1_11comp_targetILNS1_3genE9ELNS1_11target_archE1100ELNS1_3gpuE3ELNS1_3repE0EEENS1_38merge_mergepath_config_static_selectorELNS0_4arch9wavefront6targetE1EEEvSH_.uses_flat_scratch, 0
	.set _ZN7rocprim17ROCPRIM_400000_NS6detail17trampoline_kernelINS0_14default_configENS1_38merge_sort_block_merge_config_selectorIalEEZZNS1_27merge_sort_block_merge_implIS3_PaN6thrust23THRUST_200600_302600_NS10device_ptrIlEEjNS1_19radix_merge_compareILb0ELb1EaNS0_19identity_decomposerEEEEE10hipError_tT0_T1_T2_jT3_P12ihipStream_tbPNSt15iterator_traitsISG_E10value_typeEPNSM_ISH_E10value_typeEPSI_NS1_7vsmem_tEENKUlT_SG_SH_SI_E_clIS7_S7_SB_PlEESF_SV_SG_SH_SI_EUlSV_E0_NS1_11comp_targetILNS1_3genE9ELNS1_11target_archE1100ELNS1_3gpuE3ELNS1_3repE0EEENS1_38merge_mergepath_config_static_selectorELNS0_4arch9wavefront6targetE1EEEvSH_.has_dyn_sized_stack, 0
	.set _ZN7rocprim17ROCPRIM_400000_NS6detail17trampoline_kernelINS0_14default_configENS1_38merge_sort_block_merge_config_selectorIalEEZZNS1_27merge_sort_block_merge_implIS3_PaN6thrust23THRUST_200600_302600_NS10device_ptrIlEEjNS1_19radix_merge_compareILb0ELb1EaNS0_19identity_decomposerEEEEE10hipError_tT0_T1_T2_jT3_P12ihipStream_tbPNSt15iterator_traitsISG_E10value_typeEPNSM_ISH_E10value_typeEPSI_NS1_7vsmem_tEENKUlT_SG_SH_SI_E_clIS7_S7_SB_PlEESF_SV_SG_SH_SI_EUlSV_E0_NS1_11comp_targetILNS1_3genE9ELNS1_11target_archE1100ELNS1_3gpuE3ELNS1_3repE0EEENS1_38merge_mergepath_config_static_selectorELNS0_4arch9wavefront6targetE1EEEvSH_.has_recursion, 0
	.set _ZN7rocprim17ROCPRIM_400000_NS6detail17trampoline_kernelINS0_14default_configENS1_38merge_sort_block_merge_config_selectorIalEEZZNS1_27merge_sort_block_merge_implIS3_PaN6thrust23THRUST_200600_302600_NS10device_ptrIlEEjNS1_19radix_merge_compareILb0ELb1EaNS0_19identity_decomposerEEEEE10hipError_tT0_T1_T2_jT3_P12ihipStream_tbPNSt15iterator_traitsISG_E10value_typeEPNSM_ISH_E10value_typeEPSI_NS1_7vsmem_tEENKUlT_SG_SH_SI_E_clIS7_S7_SB_PlEESF_SV_SG_SH_SI_EUlSV_E0_NS1_11comp_targetILNS1_3genE9ELNS1_11target_archE1100ELNS1_3gpuE3ELNS1_3repE0EEENS1_38merge_mergepath_config_static_selectorELNS0_4arch9wavefront6targetE1EEEvSH_.has_indirect_call, 0
	.section	.AMDGPU.csdata,"",@progbits
; Kernel info:
; codeLenInByte = 0
; TotalNumSgprs: 4
; NumVgprs: 0
; ScratchSize: 0
; MemoryBound: 0
; FloatMode: 240
; IeeeMode: 1
; LDSByteSize: 0 bytes/workgroup (compile time only)
; SGPRBlocks: 0
; VGPRBlocks: 0
; NumSGPRsForWavesPerEU: 4
; NumVGPRsForWavesPerEU: 1
; Occupancy: 10
; WaveLimiterHint : 0
; COMPUTE_PGM_RSRC2:SCRATCH_EN: 0
; COMPUTE_PGM_RSRC2:USER_SGPR: 6
; COMPUTE_PGM_RSRC2:TRAP_HANDLER: 0
; COMPUTE_PGM_RSRC2:TGID_X_EN: 1
; COMPUTE_PGM_RSRC2:TGID_Y_EN: 0
; COMPUTE_PGM_RSRC2:TGID_Z_EN: 0
; COMPUTE_PGM_RSRC2:TIDIG_COMP_CNT: 0
	.section	.text._ZN7rocprim17ROCPRIM_400000_NS6detail17trampoline_kernelINS0_14default_configENS1_38merge_sort_block_merge_config_selectorIalEEZZNS1_27merge_sort_block_merge_implIS3_PaN6thrust23THRUST_200600_302600_NS10device_ptrIlEEjNS1_19radix_merge_compareILb0ELb1EaNS0_19identity_decomposerEEEEE10hipError_tT0_T1_T2_jT3_P12ihipStream_tbPNSt15iterator_traitsISG_E10value_typeEPNSM_ISH_E10value_typeEPSI_NS1_7vsmem_tEENKUlT_SG_SH_SI_E_clIS7_S7_SB_PlEESF_SV_SG_SH_SI_EUlSV_E0_NS1_11comp_targetILNS1_3genE8ELNS1_11target_archE1030ELNS1_3gpuE2ELNS1_3repE0EEENS1_38merge_mergepath_config_static_selectorELNS0_4arch9wavefront6targetE1EEEvSH_,"axG",@progbits,_ZN7rocprim17ROCPRIM_400000_NS6detail17trampoline_kernelINS0_14default_configENS1_38merge_sort_block_merge_config_selectorIalEEZZNS1_27merge_sort_block_merge_implIS3_PaN6thrust23THRUST_200600_302600_NS10device_ptrIlEEjNS1_19radix_merge_compareILb0ELb1EaNS0_19identity_decomposerEEEEE10hipError_tT0_T1_T2_jT3_P12ihipStream_tbPNSt15iterator_traitsISG_E10value_typeEPNSM_ISH_E10value_typeEPSI_NS1_7vsmem_tEENKUlT_SG_SH_SI_E_clIS7_S7_SB_PlEESF_SV_SG_SH_SI_EUlSV_E0_NS1_11comp_targetILNS1_3genE8ELNS1_11target_archE1030ELNS1_3gpuE2ELNS1_3repE0EEENS1_38merge_mergepath_config_static_selectorELNS0_4arch9wavefront6targetE1EEEvSH_,comdat
	.protected	_ZN7rocprim17ROCPRIM_400000_NS6detail17trampoline_kernelINS0_14default_configENS1_38merge_sort_block_merge_config_selectorIalEEZZNS1_27merge_sort_block_merge_implIS3_PaN6thrust23THRUST_200600_302600_NS10device_ptrIlEEjNS1_19radix_merge_compareILb0ELb1EaNS0_19identity_decomposerEEEEE10hipError_tT0_T1_T2_jT3_P12ihipStream_tbPNSt15iterator_traitsISG_E10value_typeEPNSM_ISH_E10value_typeEPSI_NS1_7vsmem_tEENKUlT_SG_SH_SI_E_clIS7_S7_SB_PlEESF_SV_SG_SH_SI_EUlSV_E0_NS1_11comp_targetILNS1_3genE8ELNS1_11target_archE1030ELNS1_3gpuE2ELNS1_3repE0EEENS1_38merge_mergepath_config_static_selectorELNS0_4arch9wavefront6targetE1EEEvSH_ ; -- Begin function _ZN7rocprim17ROCPRIM_400000_NS6detail17trampoline_kernelINS0_14default_configENS1_38merge_sort_block_merge_config_selectorIalEEZZNS1_27merge_sort_block_merge_implIS3_PaN6thrust23THRUST_200600_302600_NS10device_ptrIlEEjNS1_19radix_merge_compareILb0ELb1EaNS0_19identity_decomposerEEEEE10hipError_tT0_T1_T2_jT3_P12ihipStream_tbPNSt15iterator_traitsISG_E10value_typeEPNSM_ISH_E10value_typeEPSI_NS1_7vsmem_tEENKUlT_SG_SH_SI_E_clIS7_S7_SB_PlEESF_SV_SG_SH_SI_EUlSV_E0_NS1_11comp_targetILNS1_3genE8ELNS1_11target_archE1030ELNS1_3gpuE2ELNS1_3repE0EEENS1_38merge_mergepath_config_static_selectorELNS0_4arch9wavefront6targetE1EEEvSH_
	.globl	_ZN7rocprim17ROCPRIM_400000_NS6detail17trampoline_kernelINS0_14default_configENS1_38merge_sort_block_merge_config_selectorIalEEZZNS1_27merge_sort_block_merge_implIS3_PaN6thrust23THRUST_200600_302600_NS10device_ptrIlEEjNS1_19radix_merge_compareILb0ELb1EaNS0_19identity_decomposerEEEEE10hipError_tT0_T1_T2_jT3_P12ihipStream_tbPNSt15iterator_traitsISG_E10value_typeEPNSM_ISH_E10value_typeEPSI_NS1_7vsmem_tEENKUlT_SG_SH_SI_E_clIS7_S7_SB_PlEESF_SV_SG_SH_SI_EUlSV_E0_NS1_11comp_targetILNS1_3genE8ELNS1_11target_archE1030ELNS1_3gpuE2ELNS1_3repE0EEENS1_38merge_mergepath_config_static_selectorELNS0_4arch9wavefront6targetE1EEEvSH_
	.p2align	8
	.type	_ZN7rocprim17ROCPRIM_400000_NS6detail17trampoline_kernelINS0_14default_configENS1_38merge_sort_block_merge_config_selectorIalEEZZNS1_27merge_sort_block_merge_implIS3_PaN6thrust23THRUST_200600_302600_NS10device_ptrIlEEjNS1_19radix_merge_compareILb0ELb1EaNS0_19identity_decomposerEEEEE10hipError_tT0_T1_T2_jT3_P12ihipStream_tbPNSt15iterator_traitsISG_E10value_typeEPNSM_ISH_E10value_typeEPSI_NS1_7vsmem_tEENKUlT_SG_SH_SI_E_clIS7_S7_SB_PlEESF_SV_SG_SH_SI_EUlSV_E0_NS1_11comp_targetILNS1_3genE8ELNS1_11target_archE1030ELNS1_3gpuE2ELNS1_3repE0EEENS1_38merge_mergepath_config_static_selectorELNS0_4arch9wavefront6targetE1EEEvSH_,@function
_ZN7rocprim17ROCPRIM_400000_NS6detail17trampoline_kernelINS0_14default_configENS1_38merge_sort_block_merge_config_selectorIalEEZZNS1_27merge_sort_block_merge_implIS3_PaN6thrust23THRUST_200600_302600_NS10device_ptrIlEEjNS1_19radix_merge_compareILb0ELb1EaNS0_19identity_decomposerEEEEE10hipError_tT0_T1_T2_jT3_P12ihipStream_tbPNSt15iterator_traitsISG_E10value_typeEPNSM_ISH_E10value_typeEPSI_NS1_7vsmem_tEENKUlT_SG_SH_SI_E_clIS7_S7_SB_PlEESF_SV_SG_SH_SI_EUlSV_E0_NS1_11comp_targetILNS1_3genE8ELNS1_11target_archE1030ELNS1_3gpuE2ELNS1_3repE0EEENS1_38merge_mergepath_config_static_selectorELNS0_4arch9wavefront6targetE1EEEvSH_: ; @_ZN7rocprim17ROCPRIM_400000_NS6detail17trampoline_kernelINS0_14default_configENS1_38merge_sort_block_merge_config_selectorIalEEZZNS1_27merge_sort_block_merge_implIS3_PaN6thrust23THRUST_200600_302600_NS10device_ptrIlEEjNS1_19radix_merge_compareILb0ELb1EaNS0_19identity_decomposerEEEEE10hipError_tT0_T1_T2_jT3_P12ihipStream_tbPNSt15iterator_traitsISG_E10value_typeEPNSM_ISH_E10value_typeEPSI_NS1_7vsmem_tEENKUlT_SG_SH_SI_E_clIS7_S7_SB_PlEESF_SV_SG_SH_SI_EUlSV_E0_NS1_11comp_targetILNS1_3genE8ELNS1_11target_archE1030ELNS1_3gpuE2ELNS1_3repE0EEENS1_38merge_mergepath_config_static_selectorELNS0_4arch9wavefront6targetE1EEEvSH_
; %bb.0:
	.section	.rodata,"a",@progbits
	.p2align	6, 0x0
	.amdhsa_kernel _ZN7rocprim17ROCPRIM_400000_NS6detail17trampoline_kernelINS0_14default_configENS1_38merge_sort_block_merge_config_selectorIalEEZZNS1_27merge_sort_block_merge_implIS3_PaN6thrust23THRUST_200600_302600_NS10device_ptrIlEEjNS1_19radix_merge_compareILb0ELb1EaNS0_19identity_decomposerEEEEE10hipError_tT0_T1_T2_jT3_P12ihipStream_tbPNSt15iterator_traitsISG_E10value_typeEPNSM_ISH_E10value_typeEPSI_NS1_7vsmem_tEENKUlT_SG_SH_SI_E_clIS7_S7_SB_PlEESF_SV_SG_SH_SI_EUlSV_E0_NS1_11comp_targetILNS1_3genE8ELNS1_11target_archE1030ELNS1_3gpuE2ELNS1_3repE0EEENS1_38merge_mergepath_config_static_selectorELNS0_4arch9wavefront6targetE1EEEvSH_
		.amdhsa_group_segment_fixed_size 0
		.amdhsa_private_segment_fixed_size 0
		.amdhsa_kernarg_size 64
		.amdhsa_user_sgpr_count 6
		.amdhsa_user_sgpr_private_segment_buffer 1
		.amdhsa_user_sgpr_dispatch_ptr 0
		.amdhsa_user_sgpr_queue_ptr 0
		.amdhsa_user_sgpr_kernarg_segment_ptr 1
		.amdhsa_user_sgpr_dispatch_id 0
		.amdhsa_user_sgpr_flat_scratch_init 0
		.amdhsa_user_sgpr_private_segment_size 0
		.amdhsa_uses_dynamic_stack 0
		.amdhsa_system_sgpr_private_segment_wavefront_offset 0
		.amdhsa_system_sgpr_workgroup_id_x 1
		.amdhsa_system_sgpr_workgroup_id_y 0
		.amdhsa_system_sgpr_workgroup_id_z 0
		.amdhsa_system_sgpr_workgroup_info 0
		.amdhsa_system_vgpr_workitem_id 0
		.amdhsa_next_free_vgpr 1
		.amdhsa_next_free_sgpr 0
		.amdhsa_reserve_vcc 0
		.amdhsa_reserve_flat_scratch 0
		.amdhsa_float_round_mode_32 0
		.amdhsa_float_round_mode_16_64 0
		.amdhsa_float_denorm_mode_32 3
		.amdhsa_float_denorm_mode_16_64 3
		.amdhsa_dx10_clamp 1
		.amdhsa_ieee_mode 1
		.amdhsa_fp16_overflow 0
		.amdhsa_exception_fp_ieee_invalid_op 0
		.amdhsa_exception_fp_denorm_src 0
		.amdhsa_exception_fp_ieee_div_zero 0
		.amdhsa_exception_fp_ieee_overflow 0
		.amdhsa_exception_fp_ieee_underflow 0
		.amdhsa_exception_fp_ieee_inexact 0
		.amdhsa_exception_int_div_zero 0
	.end_amdhsa_kernel
	.section	.text._ZN7rocprim17ROCPRIM_400000_NS6detail17trampoline_kernelINS0_14default_configENS1_38merge_sort_block_merge_config_selectorIalEEZZNS1_27merge_sort_block_merge_implIS3_PaN6thrust23THRUST_200600_302600_NS10device_ptrIlEEjNS1_19radix_merge_compareILb0ELb1EaNS0_19identity_decomposerEEEEE10hipError_tT0_T1_T2_jT3_P12ihipStream_tbPNSt15iterator_traitsISG_E10value_typeEPNSM_ISH_E10value_typeEPSI_NS1_7vsmem_tEENKUlT_SG_SH_SI_E_clIS7_S7_SB_PlEESF_SV_SG_SH_SI_EUlSV_E0_NS1_11comp_targetILNS1_3genE8ELNS1_11target_archE1030ELNS1_3gpuE2ELNS1_3repE0EEENS1_38merge_mergepath_config_static_selectorELNS0_4arch9wavefront6targetE1EEEvSH_,"axG",@progbits,_ZN7rocprim17ROCPRIM_400000_NS6detail17trampoline_kernelINS0_14default_configENS1_38merge_sort_block_merge_config_selectorIalEEZZNS1_27merge_sort_block_merge_implIS3_PaN6thrust23THRUST_200600_302600_NS10device_ptrIlEEjNS1_19radix_merge_compareILb0ELb1EaNS0_19identity_decomposerEEEEE10hipError_tT0_T1_T2_jT3_P12ihipStream_tbPNSt15iterator_traitsISG_E10value_typeEPNSM_ISH_E10value_typeEPSI_NS1_7vsmem_tEENKUlT_SG_SH_SI_E_clIS7_S7_SB_PlEESF_SV_SG_SH_SI_EUlSV_E0_NS1_11comp_targetILNS1_3genE8ELNS1_11target_archE1030ELNS1_3gpuE2ELNS1_3repE0EEENS1_38merge_mergepath_config_static_selectorELNS0_4arch9wavefront6targetE1EEEvSH_,comdat
.Lfunc_end573:
	.size	_ZN7rocprim17ROCPRIM_400000_NS6detail17trampoline_kernelINS0_14default_configENS1_38merge_sort_block_merge_config_selectorIalEEZZNS1_27merge_sort_block_merge_implIS3_PaN6thrust23THRUST_200600_302600_NS10device_ptrIlEEjNS1_19radix_merge_compareILb0ELb1EaNS0_19identity_decomposerEEEEE10hipError_tT0_T1_T2_jT3_P12ihipStream_tbPNSt15iterator_traitsISG_E10value_typeEPNSM_ISH_E10value_typeEPSI_NS1_7vsmem_tEENKUlT_SG_SH_SI_E_clIS7_S7_SB_PlEESF_SV_SG_SH_SI_EUlSV_E0_NS1_11comp_targetILNS1_3genE8ELNS1_11target_archE1030ELNS1_3gpuE2ELNS1_3repE0EEENS1_38merge_mergepath_config_static_selectorELNS0_4arch9wavefront6targetE1EEEvSH_, .Lfunc_end573-_ZN7rocprim17ROCPRIM_400000_NS6detail17trampoline_kernelINS0_14default_configENS1_38merge_sort_block_merge_config_selectorIalEEZZNS1_27merge_sort_block_merge_implIS3_PaN6thrust23THRUST_200600_302600_NS10device_ptrIlEEjNS1_19radix_merge_compareILb0ELb1EaNS0_19identity_decomposerEEEEE10hipError_tT0_T1_T2_jT3_P12ihipStream_tbPNSt15iterator_traitsISG_E10value_typeEPNSM_ISH_E10value_typeEPSI_NS1_7vsmem_tEENKUlT_SG_SH_SI_E_clIS7_S7_SB_PlEESF_SV_SG_SH_SI_EUlSV_E0_NS1_11comp_targetILNS1_3genE8ELNS1_11target_archE1030ELNS1_3gpuE2ELNS1_3repE0EEENS1_38merge_mergepath_config_static_selectorELNS0_4arch9wavefront6targetE1EEEvSH_
                                        ; -- End function
	.set _ZN7rocprim17ROCPRIM_400000_NS6detail17trampoline_kernelINS0_14default_configENS1_38merge_sort_block_merge_config_selectorIalEEZZNS1_27merge_sort_block_merge_implIS3_PaN6thrust23THRUST_200600_302600_NS10device_ptrIlEEjNS1_19radix_merge_compareILb0ELb1EaNS0_19identity_decomposerEEEEE10hipError_tT0_T1_T2_jT3_P12ihipStream_tbPNSt15iterator_traitsISG_E10value_typeEPNSM_ISH_E10value_typeEPSI_NS1_7vsmem_tEENKUlT_SG_SH_SI_E_clIS7_S7_SB_PlEESF_SV_SG_SH_SI_EUlSV_E0_NS1_11comp_targetILNS1_3genE8ELNS1_11target_archE1030ELNS1_3gpuE2ELNS1_3repE0EEENS1_38merge_mergepath_config_static_selectorELNS0_4arch9wavefront6targetE1EEEvSH_.num_vgpr, 0
	.set _ZN7rocprim17ROCPRIM_400000_NS6detail17trampoline_kernelINS0_14default_configENS1_38merge_sort_block_merge_config_selectorIalEEZZNS1_27merge_sort_block_merge_implIS3_PaN6thrust23THRUST_200600_302600_NS10device_ptrIlEEjNS1_19radix_merge_compareILb0ELb1EaNS0_19identity_decomposerEEEEE10hipError_tT0_T1_T2_jT3_P12ihipStream_tbPNSt15iterator_traitsISG_E10value_typeEPNSM_ISH_E10value_typeEPSI_NS1_7vsmem_tEENKUlT_SG_SH_SI_E_clIS7_S7_SB_PlEESF_SV_SG_SH_SI_EUlSV_E0_NS1_11comp_targetILNS1_3genE8ELNS1_11target_archE1030ELNS1_3gpuE2ELNS1_3repE0EEENS1_38merge_mergepath_config_static_selectorELNS0_4arch9wavefront6targetE1EEEvSH_.num_agpr, 0
	.set _ZN7rocprim17ROCPRIM_400000_NS6detail17trampoline_kernelINS0_14default_configENS1_38merge_sort_block_merge_config_selectorIalEEZZNS1_27merge_sort_block_merge_implIS3_PaN6thrust23THRUST_200600_302600_NS10device_ptrIlEEjNS1_19radix_merge_compareILb0ELb1EaNS0_19identity_decomposerEEEEE10hipError_tT0_T1_T2_jT3_P12ihipStream_tbPNSt15iterator_traitsISG_E10value_typeEPNSM_ISH_E10value_typeEPSI_NS1_7vsmem_tEENKUlT_SG_SH_SI_E_clIS7_S7_SB_PlEESF_SV_SG_SH_SI_EUlSV_E0_NS1_11comp_targetILNS1_3genE8ELNS1_11target_archE1030ELNS1_3gpuE2ELNS1_3repE0EEENS1_38merge_mergepath_config_static_selectorELNS0_4arch9wavefront6targetE1EEEvSH_.numbered_sgpr, 0
	.set _ZN7rocprim17ROCPRIM_400000_NS6detail17trampoline_kernelINS0_14default_configENS1_38merge_sort_block_merge_config_selectorIalEEZZNS1_27merge_sort_block_merge_implIS3_PaN6thrust23THRUST_200600_302600_NS10device_ptrIlEEjNS1_19radix_merge_compareILb0ELb1EaNS0_19identity_decomposerEEEEE10hipError_tT0_T1_T2_jT3_P12ihipStream_tbPNSt15iterator_traitsISG_E10value_typeEPNSM_ISH_E10value_typeEPSI_NS1_7vsmem_tEENKUlT_SG_SH_SI_E_clIS7_S7_SB_PlEESF_SV_SG_SH_SI_EUlSV_E0_NS1_11comp_targetILNS1_3genE8ELNS1_11target_archE1030ELNS1_3gpuE2ELNS1_3repE0EEENS1_38merge_mergepath_config_static_selectorELNS0_4arch9wavefront6targetE1EEEvSH_.num_named_barrier, 0
	.set _ZN7rocprim17ROCPRIM_400000_NS6detail17trampoline_kernelINS0_14default_configENS1_38merge_sort_block_merge_config_selectorIalEEZZNS1_27merge_sort_block_merge_implIS3_PaN6thrust23THRUST_200600_302600_NS10device_ptrIlEEjNS1_19radix_merge_compareILb0ELb1EaNS0_19identity_decomposerEEEEE10hipError_tT0_T1_T2_jT3_P12ihipStream_tbPNSt15iterator_traitsISG_E10value_typeEPNSM_ISH_E10value_typeEPSI_NS1_7vsmem_tEENKUlT_SG_SH_SI_E_clIS7_S7_SB_PlEESF_SV_SG_SH_SI_EUlSV_E0_NS1_11comp_targetILNS1_3genE8ELNS1_11target_archE1030ELNS1_3gpuE2ELNS1_3repE0EEENS1_38merge_mergepath_config_static_selectorELNS0_4arch9wavefront6targetE1EEEvSH_.private_seg_size, 0
	.set _ZN7rocprim17ROCPRIM_400000_NS6detail17trampoline_kernelINS0_14default_configENS1_38merge_sort_block_merge_config_selectorIalEEZZNS1_27merge_sort_block_merge_implIS3_PaN6thrust23THRUST_200600_302600_NS10device_ptrIlEEjNS1_19radix_merge_compareILb0ELb1EaNS0_19identity_decomposerEEEEE10hipError_tT0_T1_T2_jT3_P12ihipStream_tbPNSt15iterator_traitsISG_E10value_typeEPNSM_ISH_E10value_typeEPSI_NS1_7vsmem_tEENKUlT_SG_SH_SI_E_clIS7_S7_SB_PlEESF_SV_SG_SH_SI_EUlSV_E0_NS1_11comp_targetILNS1_3genE8ELNS1_11target_archE1030ELNS1_3gpuE2ELNS1_3repE0EEENS1_38merge_mergepath_config_static_selectorELNS0_4arch9wavefront6targetE1EEEvSH_.uses_vcc, 0
	.set _ZN7rocprim17ROCPRIM_400000_NS6detail17trampoline_kernelINS0_14default_configENS1_38merge_sort_block_merge_config_selectorIalEEZZNS1_27merge_sort_block_merge_implIS3_PaN6thrust23THRUST_200600_302600_NS10device_ptrIlEEjNS1_19radix_merge_compareILb0ELb1EaNS0_19identity_decomposerEEEEE10hipError_tT0_T1_T2_jT3_P12ihipStream_tbPNSt15iterator_traitsISG_E10value_typeEPNSM_ISH_E10value_typeEPSI_NS1_7vsmem_tEENKUlT_SG_SH_SI_E_clIS7_S7_SB_PlEESF_SV_SG_SH_SI_EUlSV_E0_NS1_11comp_targetILNS1_3genE8ELNS1_11target_archE1030ELNS1_3gpuE2ELNS1_3repE0EEENS1_38merge_mergepath_config_static_selectorELNS0_4arch9wavefront6targetE1EEEvSH_.uses_flat_scratch, 0
	.set _ZN7rocprim17ROCPRIM_400000_NS6detail17trampoline_kernelINS0_14default_configENS1_38merge_sort_block_merge_config_selectorIalEEZZNS1_27merge_sort_block_merge_implIS3_PaN6thrust23THRUST_200600_302600_NS10device_ptrIlEEjNS1_19radix_merge_compareILb0ELb1EaNS0_19identity_decomposerEEEEE10hipError_tT0_T1_T2_jT3_P12ihipStream_tbPNSt15iterator_traitsISG_E10value_typeEPNSM_ISH_E10value_typeEPSI_NS1_7vsmem_tEENKUlT_SG_SH_SI_E_clIS7_S7_SB_PlEESF_SV_SG_SH_SI_EUlSV_E0_NS1_11comp_targetILNS1_3genE8ELNS1_11target_archE1030ELNS1_3gpuE2ELNS1_3repE0EEENS1_38merge_mergepath_config_static_selectorELNS0_4arch9wavefront6targetE1EEEvSH_.has_dyn_sized_stack, 0
	.set _ZN7rocprim17ROCPRIM_400000_NS6detail17trampoline_kernelINS0_14default_configENS1_38merge_sort_block_merge_config_selectorIalEEZZNS1_27merge_sort_block_merge_implIS3_PaN6thrust23THRUST_200600_302600_NS10device_ptrIlEEjNS1_19radix_merge_compareILb0ELb1EaNS0_19identity_decomposerEEEEE10hipError_tT0_T1_T2_jT3_P12ihipStream_tbPNSt15iterator_traitsISG_E10value_typeEPNSM_ISH_E10value_typeEPSI_NS1_7vsmem_tEENKUlT_SG_SH_SI_E_clIS7_S7_SB_PlEESF_SV_SG_SH_SI_EUlSV_E0_NS1_11comp_targetILNS1_3genE8ELNS1_11target_archE1030ELNS1_3gpuE2ELNS1_3repE0EEENS1_38merge_mergepath_config_static_selectorELNS0_4arch9wavefront6targetE1EEEvSH_.has_recursion, 0
	.set _ZN7rocprim17ROCPRIM_400000_NS6detail17trampoline_kernelINS0_14default_configENS1_38merge_sort_block_merge_config_selectorIalEEZZNS1_27merge_sort_block_merge_implIS3_PaN6thrust23THRUST_200600_302600_NS10device_ptrIlEEjNS1_19radix_merge_compareILb0ELb1EaNS0_19identity_decomposerEEEEE10hipError_tT0_T1_T2_jT3_P12ihipStream_tbPNSt15iterator_traitsISG_E10value_typeEPNSM_ISH_E10value_typeEPSI_NS1_7vsmem_tEENKUlT_SG_SH_SI_E_clIS7_S7_SB_PlEESF_SV_SG_SH_SI_EUlSV_E0_NS1_11comp_targetILNS1_3genE8ELNS1_11target_archE1030ELNS1_3gpuE2ELNS1_3repE0EEENS1_38merge_mergepath_config_static_selectorELNS0_4arch9wavefront6targetE1EEEvSH_.has_indirect_call, 0
	.section	.AMDGPU.csdata,"",@progbits
; Kernel info:
; codeLenInByte = 0
; TotalNumSgprs: 4
; NumVgprs: 0
; ScratchSize: 0
; MemoryBound: 0
; FloatMode: 240
; IeeeMode: 1
; LDSByteSize: 0 bytes/workgroup (compile time only)
; SGPRBlocks: 0
; VGPRBlocks: 0
; NumSGPRsForWavesPerEU: 4
; NumVGPRsForWavesPerEU: 1
; Occupancy: 10
; WaveLimiterHint : 0
; COMPUTE_PGM_RSRC2:SCRATCH_EN: 0
; COMPUTE_PGM_RSRC2:USER_SGPR: 6
; COMPUTE_PGM_RSRC2:TRAP_HANDLER: 0
; COMPUTE_PGM_RSRC2:TGID_X_EN: 1
; COMPUTE_PGM_RSRC2:TGID_Y_EN: 0
; COMPUTE_PGM_RSRC2:TGID_Z_EN: 0
; COMPUTE_PGM_RSRC2:TIDIG_COMP_CNT: 0
	.section	.text._ZN7rocprim17ROCPRIM_400000_NS6detail17trampoline_kernelINS0_14default_configENS1_38merge_sort_block_merge_config_selectorIalEEZZNS1_27merge_sort_block_merge_implIS3_PaN6thrust23THRUST_200600_302600_NS10device_ptrIlEEjNS1_19radix_merge_compareILb0ELb1EaNS0_19identity_decomposerEEEEE10hipError_tT0_T1_T2_jT3_P12ihipStream_tbPNSt15iterator_traitsISG_E10value_typeEPNSM_ISH_E10value_typeEPSI_NS1_7vsmem_tEENKUlT_SG_SH_SI_E_clIS7_S7_SB_PlEESF_SV_SG_SH_SI_EUlSV_E1_NS1_11comp_targetILNS1_3genE0ELNS1_11target_archE4294967295ELNS1_3gpuE0ELNS1_3repE0EEENS1_36merge_oddeven_config_static_selectorELNS0_4arch9wavefront6targetE1EEEvSH_,"axG",@progbits,_ZN7rocprim17ROCPRIM_400000_NS6detail17trampoline_kernelINS0_14default_configENS1_38merge_sort_block_merge_config_selectorIalEEZZNS1_27merge_sort_block_merge_implIS3_PaN6thrust23THRUST_200600_302600_NS10device_ptrIlEEjNS1_19radix_merge_compareILb0ELb1EaNS0_19identity_decomposerEEEEE10hipError_tT0_T1_T2_jT3_P12ihipStream_tbPNSt15iterator_traitsISG_E10value_typeEPNSM_ISH_E10value_typeEPSI_NS1_7vsmem_tEENKUlT_SG_SH_SI_E_clIS7_S7_SB_PlEESF_SV_SG_SH_SI_EUlSV_E1_NS1_11comp_targetILNS1_3genE0ELNS1_11target_archE4294967295ELNS1_3gpuE0ELNS1_3repE0EEENS1_36merge_oddeven_config_static_selectorELNS0_4arch9wavefront6targetE1EEEvSH_,comdat
	.protected	_ZN7rocprim17ROCPRIM_400000_NS6detail17trampoline_kernelINS0_14default_configENS1_38merge_sort_block_merge_config_selectorIalEEZZNS1_27merge_sort_block_merge_implIS3_PaN6thrust23THRUST_200600_302600_NS10device_ptrIlEEjNS1_19radix_merge_compareILb0ELb1EaNS0_19identity_decomposerEEEEE10hipError_tT0_T1_T2_jT3_P12ihipStream_tbPNSt15iterator_traitsISG_E10value_typeEPNSM_ISH_E10value_typeEPSI_NS1_7vsmem_tEENKUlT_SG_SH_SI_E_clIS7_S7_SB_PlEESF_SV_SG_SH_SI_EUlSV_E1_NS1_11comp_targetILNS1_3genE0ELNS1_11target_archE4294967295ELNS1_3gpuE0ELNS1_3repE0EEENS1_36merge_oddeven_config_static_selectorELNS0_4arch9wavefront6targetE1EEEvSH_ ; -- Begin function _ZN7rocprim17ROCPRIM_400000_NS6detail17trampoline_kernelINS0_14default_configENS1_38merge_sort_block_merge_config_selectorIalEEZZNS1_27merge_sort_block_merge_implIS3_PaN6thrust23THRUST_200600_302600_NS10device_ptrIlEEjNS1_19radix_merge_compareILb0ELb1EaNS0_19identity_decomposerEEEEE10hipError_tT0_T1_T2_jT3_P12ihipStream_tbPNSt15iterator_traitsISG_E10value_typeEPNSM_ISH_E10value_typeEPSI_NS1_7vsmem_tEENKUlT_SG_SH_SI_E_clIS7_S7_SB_PlEESF_SV_SG_SH_SI_EUlSV_E1_NS1_11comp_targetILNS1_3genE0ELNS1_11target_archE4294967295ELNS1_3gpuE0ELNS1_3repE0EEENS1_36merge_oddeven_config_static_selectorELNS0_4arch9wavefront6targetE1EEEvSH_
	.globl	_ZN7rocprim17ROCPRIM_400000_NS6detail17trampoline_kernelINS0_14default_configENS1_38merge_sort_block_merge_config_selectorIalEEZZNS1_27merge_sort_block_merge_implIS3_PaN6thrust23THRUST_200600_302600_NS10device_ptrIlEEjNS1_19radix_merge_compareILb0ELb1EaNS0_19identity_decomposerEEEEE10hipError_tT0_T1_T2_jT3_P12ihipStream_tbPNSt15iterator_traitsISG_E10value_typeEPNSM_ISH_E10value_typeEPSI_NS1_7vsmem_tEENKUlT_SG_SH_SI_E_clIS7_S7_SB_PlEESF_SV_SG_SH_SI_EUlSV_E1_NS1_11comp_targetILNS1_3genE0ELNS1_11target_archE4294967295ELNS1_3gpuE0ELNS1_3repE0EEENS1_36merge_oddeven_config_static_selectorELNS0_4arch9wavefront6targetE1EEEvSH_
	.p2align	8
	.type	_ZN7rocprim17ROCPRIM_400000_NS6detail17trampoline_kernelINS0_14default_configENS1_38merge_sort_block_merge_config_selectorIalEEZZNS1_27merge_sort_block_merge_implIS3_PaN6thrust23THRUST_200600_302600_NS10device_ptrIlEEjNS1_19radix_merge_compareILb0ELb1EaNS0_19identity_decomposerEEEEE10hipError_tT0_T1_T2_jT3_P12ihipStream_tbPNSt15iterator_traitsISG_E10value_typeEPNSM_ISH_E10value_typeEPSI_NS1_7vsmem_tEENKUlT_SG_SH_SI_E_clIS7_S7_SB_PlEESF_SV_SG_SH_SI_EUlSV_E1_NS1_11comp_targetILNS1_3genE0ELNS1_11target_archE4294967295ELNS1_3gpuE0ELNS1_3repE0EEENS1_36merge_oddeven_config_static_selectorELNS0_4arch9wavefront6targetE1EEEvSH_,@function
_ZN7rocprim17ROCPRIM_400000_NS6detail17trampoline_kernelINS0_14default_configENS1_38merge_sort_block_merge_config_selectorIalEEZZNS1_27merge_sort_block_merge_implIS3_PaN6thrust23THRUST_200600_302600_NS10device_ptrIlEEjNS1_19radix_merge_compareILb0ELb1EaNS0_19identity_decomposerEEEEE10hipError_tT0_T1_T2_jT3_P12ihipStream_tbPNSt15iterator_traitsISG_E10value_typeEPNSM_ISH_E10value_typeEPSI_NS1_7vsmem_tEENKUlT_SG_SH_SI_E_clIS7_S7_SB_PlEESF_SV_SG_SH_SI_EUlSV_E1_NS1_11comp_targetILNS1_3genE0ELNS1_11target_archE4294967295ELNS1_3gpuE0ELNS1_3repE0EEENS1_36merge_oddeven_config_static_selectorELNS0_4arch9wavefront6targetE1EEEvSH_: ; @_ZN7rocprim17ROCPRIM_400000_NS6detail17trampoline_kernelINS0_14default_configENS1_38merge_sort_block_merge_config_selectorIalEEZZNS1_27merge_sort_block_merge_implIS3_PaN6thrust23THRUST_200600_302600_NS10device_ptrIlEEjNS1_19radix_merge_compareILb0ELb1EaNS0_19identity_decomposerEEEEE10hipError_tT0_T1_T2_jT3_P12ihipStream_tbPNSt15iterator_traitsISG_E10value_typeEPNSM_ISH_E10value_typeEPSI_NS1_7vsmem_tEENKUlT_SG_SH_SI_E_clIS7_S7_SB_PlEESF_SV_SG_SH_SI_EUlSV_E1_NS1_11comp_targetILNS1_3genE0ELNS1_11target_archE4294967295ELNS1_3gpuE0ELNS1_3repE0EEENS1_36merge_oddeven_config_static_selectorELNS0_4arch9wavefront6targetE1EEEvSH_
; %bb.0:
	.section	.rodata,"a",@progbits
	.p2align	6, 0x0
	.amdhsa_kernel _ZN7rocprim17ROCPRIM_400000_NS6detail17trampoline_kernelINS0_14default_configENS1_38merge_sort_block_merge_config_selectorIalEEZZNS1_27merge_sort_block_merge_implIS3_PaN6thrust23THRUST_200600_302600_NS10device_ptrIlEEjNS1_19radix_merge_compareILb0ELb1EaNS0_19identity_decomposerEEEEE10hipError_tT0_T1_T2_jT3_P12ihipStream_tbPNSt15iterator_traitsISG_E10value_typeEPNSM_ISH_E10value_typeEPSI_NS1_7vsmem_tEENKUlT_SG_SH_SI_E_clIS7_S7_SB_PlEESF_SV_SG_SH_SI_EUlSV_E1_NS1_11comp_targetILNS1_3genE0ELNS1_11target_archE4294967295ELNS1_3gpuE0ELNS1_3repE0EEENS1_36merge_oddeven_config_static_selectorELNS0_4arch9wavefront6targetE1EEEvSH_
		.amdhsa_group_segment_fixed_size 0
		.amdhsa_private_segment_fixed_size 0
		.amdhsa_kernarg_size 48
		.amdhsa_user_sgpr_count 6
		.amdhsa_user_sgpr_private_segment_buffer 1
		.amdhsa_user_sgpr_dispatch_ptr 0
		.amdhsa_user_sgpr_queue_ptr 0
		.amdhsa_user_sgpr_kernarg_segment_ptr 1
		.amdhsa_user_sgpr_dispatch_id 0
		.amdhsa_user_sgpr_flat_scratch_init 0
		.amdhsa_user_sgpr_private_segment_size 0
		.amdhsa_uses_dynamic_stack 0
		.amdhsa_system_sgpr_private_segment_wavefront_offset 0
		.amdhsa_system_sgpr_workgroup_id_x 1
		.amdhsa_system_sgpr_workgroup_id_y 0
		.amdhsa_system_sgpr_workgroup_id_z 0
		.amdhsa_system_sgpr_workgroup_info 0
		.amdhsa_system_vgpr_workitem_id 0
		.amdhsa_next_free_vgpr 1
		.amdhsa_next_free_sgpr 0
		.amdhsa_reserve_vcc 0
		.amdhsa_reserve_flat_scratch 0
		.amdhsa_float_round_mode_32 0
		.amdhsa_float_round_mode_16_64 0
		.amdhsa_float_denorm_mode_32 3
		.amdhsa_float_denorm_mode_16_64 3
		.amdhsa_dx10_clamp 1
		.amdhsa_ieee_mode 1
		.amdhsa_fp16_overflow 0
		.amdhsa_exception_fp_ieee_invalid_op 0
		.amdhsa_exception_fp_denorm_src 0
		.amdhsa_exception_fp_ieee_div_zero 0
		.amdhsa_exception_fp_ieee_overflow 0
		.amdhsa_exception_fp_ieee_underflow 0
		.amdhsa_exception_fp_ieee_inexact 0
		.amdhsa_exception_int_div_zero 0
	.end_amdhsa_kernel
	.section	.text._ZN7rocprim17ROCPRIM_400000_NS6detail17trampoline_kernelINS0_14default_configENS1_38merge_sort_block_merge_config_selectorIalEEZZNS1_27merge_sort_block_merge_implIS3_PaN6thrust23THRUST_200600_302600_NS10device_ptrIlEEjNS1_19radix_merge_compareILb0ELb1EaNS0_19identity_decomposerEEEEE10hipError_tT0_T1_T2_jT3_P12ihipStream_tbPNSt15iterator_traitsISG_E10value_typeEPNSM_ISH_E10value_typeEPSI_NS1_7vsmem_tEENKUlT_SG_SH_SI_E_clIS7_S7_SB_PlEESF_SV_SG_SH_SI_EUlSV_E1_NS1_11comp_targetILNS1_3genE0ELNS1_11target_archE4294967295ELNS1_3gpuE0ELNS1_3repE0EEENS1_36merge_oddeven_config_static_selectorELNS0_4arch9wavefront6targetE1EEEvSH_,"axG",@progbits,_ZN7rocprim17ROCPRIM_400000_NS6detail17trampoline_kernelINS0_14default_configENS1_38merge_sort_block_merge_config_selectorIalEEZZNS1_27merge_sort_block_merge_implIS3_PaN6thrust23THRUST_200600_302600_NS10device_ptrIlEEjNS1_19radix_merge_compareILb0ELb1EaNS0_19identity_decomposerEEEEE10hipError_tT0_T1_T2_jT3_P12ihipStream_tbPNSt15iterator_traitsISG_E10value_typeEPNSM_ISH_E10value_typeEPSI_NS1_7vsmem_tEENKUlT_SG_SH_SI_E_clIS7_S7_SB_PlEESF_SV_SG_SH_SI_EUlSV_E1_NS1_11comp_targetILNS1_3genE0ELNS1_11target_archE4294967295ELNS1_3gpuE0ELNS1_3repE0EEENS1_36merge_oddeven_config_static_selectorELNS0_4arch9wavefront6targetE1EEEvSH_,comdat
.Lfunc_end574:
	.size	_ZN7rocprim17ROCPRIM_400000_NS6detail17trampoline_kernelINS0_14default_configENS1_38merge_sort_block_merge_config_selectorIalEEZZNS1_27merge_sort_block_merge_implIS3_PaN6thrust23THRUST_200600_302600_NS10device_ptrIlEEjNS1_19radix_merge_compareILb0ELb1EaNS0_19identity_decomposerEEEEE10hipError_tT0_T1_T2_jT3_P12ihipStream_tbPNSt15iterator_traitsISG_E10value_typeEPNSM_ISH_E10value_typeEPSI_NS1_7vsmem_tEENKUlT_SG_SH_SI_E_clIS7_S7_SB_PlEESF_SV_SG_SH_SI_EUlSV_E1_NS1_11comp_targetILNS1_3genE0ELNS1_11target_archE4294967295ELNS1_3gpuE0ELNS1_3repE0EEENS1_36merge_oddeven_config_static_selectorELNS0_4arch9wavefront6targetE1EEEvSH_, .Lfunc_end574-_ZN7rocprim17ROCPRIM_400000_NS6detail17trampoline_kernelINS0_14default_configENS1_38merge_sort_block_merge_config_selectorIalEEZZNS1_27merge_sort_block_merge_implIS3_PaN6thrust23THRUST_200600_302600_NS10device_ptrIlEEjNS1_19radix_merge_compareILb0ELb1EaNS0_19identity_decomposerEEEEE10hipError_tT0_T1_T2_jT3_P12ihipStream_tbPNSt15iterator_traitsISG_E10value_typeEPNSM_ISH_E10value_typeEPSI_NS1_7vsmem_tEENKUlT_SG_SH_SI_E_clIS7_S7_SB_PlEESF_SV_SG_SH_SI_EUlSV_E1_NS1_11comp_targetILNS1_3genE0ELNS1_11target_archE4294967295ELNS1_3gpuE0ELNS1_3repE0EEENS1_36merge_oddeven_config_static_selectorELNS0_4arch9wavefront6targetE1EEEvSH_
                                        ; -- End function
	.set _ZN7rocprim17ROCPRIM_400000_NS6detail17trampoline_kernelINS0_14default_configENS1_38merge_sort_block_merge_config_selectorIalEEZZNS1_27merge_sort_block_merge_implIS3_PaN6thrust23THRUST_200600_302600_NS10device_ptrIlEEjNS1_19radix_merge_compareILb0ELb1EaNS0_19identity_decomposerEEEEE10hipError_tT0_T1_T2_jT3_P12ihipStream_tbPNSt15iterator_traitsISG_E10value_typeEPNSM_ISH_E10value_typeEPSI_NS1_7vsmem_tEENKUlT_SG_SH_SI_E_clIS7_S7_SB_PlEESF_SV_SG_SH_SI_EUlSV_E1_NS1_11comp_targetILNS1_3genE0ELNS1_11target_archE4294967295ELNS1_3gpuE0ELNS1_3repE0EEENS1_36merge_oddeven_config_static_selectorELNS0_4arch9wavefront6targetE1EEEvSH_.num_vgpr, 0
	.set _ZN7rocprim17ROCPRIM_400000_NS6detail17trampoline_kernelINS0_14default_configENS1_38merge_sort_block_merge_config_selectorIalEEZZNS1_27merge_sort_block_merge_implIS3_PaN6thrust23THRUST_200600_302600_NS10device_ptrIlEEjNS1_19radix_merge_compareILb0ELb1EaNS0_19identity_decomposerEEEEE10hipError_tT0_T1_T2_jT3_P12ihipStream_tbPNSt15iterator_traitsISG_E10value_typeEPNSM_ISH_E10value_typeEPSI_NS1_7vsmem_tEENKUlT_SG_SH_SI_E_clIS7_S7_SB_PlEESF_SV_SG_SH_SI_EUlSV_E1_NS1_11comp_targetILNS1_3genE0ELNS1_11target_archE4294967295ELNS1_3gpuE0ELNS1_3repE0EEENS1_36merge_oddeven_config_static_selectorELNS0_4arch9wavefront6targetE1EEEvSH_.num_agpr, 0
	.set _ZN7rocprim17ROCPRIM_400000_NS6detail17trampoline_kernelINS0_14default_configENS1_38merge_sort_block_merge_config_selectorIalEEZZNS1_27merge_sort_block_merge_implIS3_PaN6thrust23THRUST_200600_302600_NS10device_ptrIlEEjNS1_19radix_merge_compareILb0ELb1EaNS0_19identity_decomposerEEEEE10hipError_tT0_T1_T2_jT3_P12ihipStream_tbPNSt15iterator_traitsISG_E10value_typeEPNSM_ISH_E10value_typeEPSI_NS1_7vsmem_tEENKUlT_SG_SH_SI_E_clIS7_S7_SB_PlEESF_SV_SG_SH_SI_EUlSV_E1_NS1_11comp_targetILNS1_3genE0ELNS1_11target_archE4294967295ELNS1_3gpuE0ELNS1_3repE0EEENS1_36merge_oddeven_config_static_selectorELNS0_4arch9wavefront6targetE1EEEvSH_.numbered_sgpr, 0
	.set _ZN7rocprim17ROCPRIM_400000_NS6detail17trampoline_kernelINS0_14default_configENS1_38merge_sort_block_merge_config_selectorIalEEZZNS1_27merge_sort_block_merge_implIS3_PaN6thrust23THRUST_200600_302600_NS10device_ptrIlEEjNS1_19radix_merge_compareILb0ELb1EaNS0_19identity_decomposerEEEEE10hipError_tT0_T1_T2_jT3_P12ihipStream_tbPNSt15iterator_traitsISG_E10value_typeEPNSM_ISH_E10value_typeEPSI_NS1_7vsmem_tEENKUlT_SG_SH_SI_E_clIS7_S7_SB_PlEESF_SV_SG_SH_SI_EUlSV_E1_NS1_11comp_targetILNS1_3genE0ELNS1_11target_archE4294967295ELNS1_3gpuE0ELNS1_3repE0EEENS1_36merge_oddeven_config_static_selectorELNS0_4arch9wavefront6targetE1EEEvSH_.num_named_barrier, 0
	.set _ZN7rocprim17ROCPRIM_400000_NS6detail17trampoline_kernelINS0_14default_configENS1_38merge_sort_block_merge_config_selectorIalEEZZNS1_27merge_sort_block_merge_implIS3_PaN6thrust23THRUST_200600_302600_NS10device_ptrIlEEjNS1_19radix_merge_compareILb0ELb1EaNS0_19identity_decomposerEEEEE10hipError_tT0_T1_T2_jT3_P12ihipStream_tbPNSt15iterator_traitsISG_E10value_typeEPNSM_ISH_E10value_typeEPSI_NS1_7vsmem_tEENKUlT_SG_SH_SI_E_clIS7_S7_SB_PlEESF_SV_SG_SH_SI_EUlSV_E1_NS1_11comp_targetILNS1_3genE0ELNS1_11target_archE4294967295ELNS1_3gpuE0ELNS1_3repE0EEENS1_36merge_oddeven_config_static_selectorELNS0_4arch9wavefront6targetE1EEEvSH_.private_seg_size, 0
	.set _ZN7rocprim17ROCPRIM_400000_NS6detail17trampoline_kernelINS0_14default_configENS1_38merge_sort_block_merge_config_selectorIalEEZZNS1_27merge_sort_block_merge_implIS3_PaN6thrust23THRUST_200600_302600_NS10device_ptrIlEEjNS1_19radix_merge_compareILb0ELb1EaNS0_19identity_decomposerEEEEE10hipError_tT0_T1_T2_jT3_P12ihipStream_tbPNSt15iterator_traitsISG_E10value_typeEPNSM_ISH_E10value_typeEPSI_NS1_7vsmem_tEENKUlT_SG_SH_SI_E_clIS7_S7_SB_PlEESF_SV_SG_SH_SI_EUlSV_E1_NS1_11comp_targetILNS1_3genE0ELNS1_11target_archE4294967295ELNS1_3gpuE0ELNS1_3repE0EEENS1_36merge_oddeven_config_static_selectorELNS0_4arch9wavefront6targetE1EEEvSH_.uses_vcc, 0
	.set _ZN7rocprim17ROCPRIM_400000_NS6detail17trampoline_kernelINS0_14default_configENS1_38merge_sort_block_merge_config_selectorIalEEZZNS1_27merge_sort_block_merge_implIS3_PaN6thrust23THRUST_200600_302600_NS10device_ptrIlEEjNS1_19radix_merge_compareILb0ELb1EaNS0_19identity_decomposerEEEEE10hipError_tT0_T1_T2_jT3_P12ihipStream_tbPNSt15iterator_traitsISG_E10value_typeEPNSM_ISH_E10value_typeEPSI_NS1_7vsmem_tEENKUlT_SG_SH_SI_E_clIS7_S7_SB_PlEESF_SV_SG_SH_SI_EUlSV_E1_NS1_11comp_targetILNS1_3genE0ELNS1_11target_archE4294967295ELNS1_3gpuE0ELNS1_3repE0EEENS1_36merge_oddeven_config_static_selectorELNS0_4arch9wavefront6targetE1EEEvSH_.uses_flat_scratch, 0
	.set _ZN7rocprim17ROCPRIM_400000_NS6detail17trampoline_kernelINS0_14default_configENS1_38merge_sort_block_merge_config_selectorIalEEZZNS1_27merge_sort_block_merge_implIS3_PaN6thrust23THRUST_200600_302600_NS10device_ptrIlEEjNS1_19radix_merge_compareILb0ELb1EaNS0_19identity_decomposerEEEEE10hipError_tT0_T1_T2_jT3_P12ihipStream_tbPNSt15iterator_traitsISG_E10value_typeEPNSM_ISH_E10value_typeEPSI_NS1_7vsmem_tEENKUlT_SG_SH_SI_E_clIS7_S7_SB_PlEESF_SV_SG_SH_SI_EUlSV_E1_NS1_11comp_targetILNS1_3genE0ELNS1_11target_archE4294967295ELNS1_3gpuE0ELNS1_3repE0EEENS1_36merge_oddeven_config_static_selectorELNS0_4arch9wavefront6targetE1EEEvSH_.has_dyn_sized_stack, 0
	.set _ZN7rocprim17ROCPRIM_400000_NS6detail17trampoline_kernelINS0_14default_configENS1_38merge_sort_block_merge_config_selectorIalEEZZNS1_27merge_sort_block_merge_implIS3_PaN6thrust23THRUST_200600_302600_NS10device_ptrIlEEjNS1_19radix_merge_compareILb0ELb1EaNS0_19identity_decomposerEEEEE10hipError_tT0_T1_T2_jT3_P12ihipStream_tbPNSt15iterator_traitsISG_E10value_typeEPNSM_ISH_E10value_typeEPSI_NS1_7vsmem_tEENKUlT_SG_SH_SI_E_clIS7_S7_SB_PlEESF_SV_SG_SH_SI_EUlSV_E1_NS1_11comp_targetILNS1_3genE0ELNS1_11target_archE4294967295ELNS1_3gpuE0ELNS1_3repE0EEENS1_36merge_oddeven_config_static_selectorELNS0_4arch9wavefront6targetE1EEEvSH_.has_recursion, 0
	.set _ZN7rocprim17ROCPRIM_400000_NS6detail17trampoline_kernelINS0_14default_configENS1_38merge_sort_block_merge_config_selectorIalEEZZNS1_27merge_sort_block_merge_implIS3_PaN6thrust23THRUST_200600_302600_NS10device_ptrIlEEjNS1_19radix_merge_compareILb0ELb1EaNS0_19identity_decomposerEEEEE10hipError_tT0_T1_T2_jT3_P12ihipStream_tbPNSt15iterator_traitsISG_E10value_typeEPNSM_ISH_E10value_typeEPSI_NS1_7vsmem_tEENKUlT_SG_SH_SI_E_clIS7_S7_SB_PlEESF_SV_SG_SH_SI_EUlSV_E1_NS1_11comp_targetILNS1_3genE0ELNS1_11target_archE4294967295ELNS1_3gpuE0ELNS1_3repE0EEENS1_36merge_oddeven_config_static_selectorELNS0_4arch9wavefront6targetE1EEEvSH_.has_indirect_call, 0
	.section	.AMDGPU.csdata,"",@progbits
; Kernel info:
; codeLenInByte = 0
; TotalNumSgprs: 4
; NumVgprs: 0
; ScratchSize: 0
; MemoryBound: 0
; FloatMode: 240
; IeeeMode: 1
; LDSByteSize: 0 bytes/workgroup (compile time only)
; SGPRBlocks: 0
; VGPRBlocks: 0
; NumSGPRsForWavesPerEU: 4
; NumVGPRsForWavesPerEU: 1
; Occupancy: 10
; WaveLimiterHint : 0
; COMPUTE_PGM_RSRC2:SCRATCH_EN: 0
; COMPUTE_PGM_RSRC2:USER_SGPR: 6
; COMPUTE_PGM_RSRC2:TRAP_HANDLER: 0
; COMPUTE_PGM_RSRC2:TGID_X_EN: 1
; COMPUTE_PGM_RSRC2:TGID_Y_EN: 0
; COMPUTE_PGM_RSRC2:TGID_Z_EN: 0
; COMPUTE_PGM_RSRC2:TIDIG_COMP_CNT: 0
	.section	.text._ZN7rocprim17ROCPRIM_400000_NS6detail17trampoline_kernelINS0_14default_configENS1_38merge_sort_block_merge_config_selectorIalEEZZNS1_27merge_sort_block_merge_implIS3_PaN6thrust23THRUST_200600_302600_NS10device_ptrIlEEjNS1_19radix_merge_compareILb0ELb1EaNS0_19identity_decomposerEEEEE10hipError_tT0_T1_T2_jT3_P12ihipStream_tbPNSt15iterator_traitsISG_E10value_typeEPNSM_ISH_E10value_typeEPSI_NS1_7vsmem_tEENKUlT_SG_SH_SI_E_clIS7_S7_SB_PlEESF_SV_SG_SH_SI_EUlSV_E1_NS1_11comp_targetILNS1_3genE10ELNS1_11target_archE1201ELNS1_3gpuE5ELNS1_3repE0EEENS1_36merge_oddeven_config_static_selectorELNS0_4arch9wavefront6targetE1EEEvSH_,"axG",@progbits,_ZN7rocprim17ROCPRIM_400000_NS6detail17trampoline_kernelINS0_14default_configENS1_38merge_sort_block_merge_config_selectorIalEEZZNS1_27merge_sort_block_merge_implIS3_PaN6thrust23THRUST_200600_302600_NS10device_ptrIlEEjNS1_19radix_merge_compareILb0ELb1EaNS0_19identity_decomposerEEEEE10hipError_tT0_T1_T2_jT3_P12ihipStream_tbPNSt15iterator_traitsISG_E10value_typeEPNSM_ISH_E10value_typeEPSI_NS1_7vsmem_tEENKUlT_SG_SH_SI_E_clIS7_S7_SB_PlEESF_SV_SG_SH_SI_EUlSV_E1_NS1_11comp_targetILNS1_3genE10ELNS1_11target_archE1201ELNS1_3gpuE5ELNS1_3repE0EEENS1_36merge_oddeven_config_static_selectorELNS0_4arch9wavefront6targetE1EEEvSH_,comdat
	.protected	_ZN7rocprim17ROCPRIM_400000_NS6detail17trampoline_kernelINS0_14default_configENS1_38merge_sort_block_merge_config_selectorIalEEZZNS1_27merge_sort_block_merge_implIS3_PaN6thrust23THRUST_200600_302600_NS10device_ptrIlEEjNS1_19radix_merge_compareILb0ELb1EaNS0_19identity_decomposerEEEEE10hipError_tT0_T1_T2_jT3_P12ihipStream_tbPNSt15iterator_traitsISG_E10value_typeEPNSM_ISH_E10value_typeEPSI_NS1_7vsmem_tEENKUlT_SG_SH_SI_E_clIS7_S7_SB_PlEESF_SV_SG_SH_SI_EUlSV_E1_NS1_11comp_targetILNS1_3genE10ELNS1_11target_archE1201ELNS1_3gpuE5ELNS1_3repE0EEENS1_36merge_oddeven_config_static_selectorELNS0_4arch9wavefront6targetE1EEEvSH_ ; -- Begin function _ZN7rocprim17ROCPRIM_400000_NS6detail17trampoline_kernelINS0_14default_configENS1_38merge_sort_block_merge_config_selectorIalEEZZNS1_27merge_sort_block_merge_implIS3_PaN6thrust23THRUST_200600_302600_NS10device_ptrIlEEjNS1_19radix_merge_compareILb0ELb1EaNS0_19identity_decomposerEEEEE10hipError_tT0_T1_T2_jT3_P12ihipStream_tbPNSt15iterator_traitsISG_E10value_typeEPNSM_ISH_E10value_typeEPSI_NS1_7vsmem_tEENKUlT_SG_SH_SI_E_clIS7_S7_SB_PlEESF_SV_SG_SH_SI_EUlSV_E1_NS1_11comp_targetILNS1_3genE10ELNS1_11target_archE1201ELNS1_3gpuE5ELNS1_3repE0EEENS1_36merge_oddeven_config_static_selectorELNS0_4arch9wavefront6targetE1EEEvSH_
	.globl	_ZN7rocprim17ROCPRIM_400000_NS6detail17trampoline_kernelINS0_14default_configENS1_38merge_sort_block_merge_config_selectorIalEEZZNS1_27merge_sort_block_merge_implIS3_PaN6thrust23THRUST_200600_302600_NS10device_ptrIlEEjNS1_19radix_merge_compareILb0ELb1EaNS0_19identity_decomposerEEEEE10hipError_tT0_T1_T2_jT3_P12ihipStream_tbPNSt15iterator_traitsISG_E10value_typeEPNSM_ISH_E10value_typeEPSI_NS1_7vsmem_tEENKUlT_SG_SH_SI_E_clIS7_S7_SB_PlEESF_SV_SG_SH_SI_EUlSV_E1_NS1_11comp_targetILNS1_3genE10ELNS1_11target_archE1201ELNS1_3gpuE5ELNS1_3repE0EEENS1_36merge_oddeven_config_static_selectorELNS0_4arch9wavefront6targetE1EEEvSH_
	.p2align	8
	.type	_ZN7rocprim17ROCPRIM_400000_NS6detail17trampoline_kernelINS0_14default_configENS1_38merge_sort_block_merge_config_selectorIalEEZZNS1_27merge_sort_block_merge_implIS3_PaN6thrust23THRUST_200600_302600_NS10device_ptrIlEEjNS1_19radix_merge_compareILb0ELb1EaNS0_19identity_decomposerEEEEE10hipError_tT0_T1_T2_jT3_P12ihipStream_tbPNSt15iterator_traitsISG_E10value_typeEPNSM_ISH_E10value_typeEPSI_NS1_7vsmem_tEENKUlT_SG_SH_SI_E_clIS7_S7_SB_PlEESF_SV_SG_SH_SI_EUlSV_E1_NS1_11comp_targetILNS1_3genE10ELNS1_11target_archE1201ELNS1_3gpuE5ELNS1_3repE0EEENS1_36merge_oddeven_config_static_selectorELNS0_4arch9wavefront6targetE1EEEvSH_,@function
_ZN7rocprim17ROCPRIM_400000_NS6detail17trampoline_kernelINS0_14default_configENS1_38merge_sort_block_merge_config_selectorIalEEZZNS1_27merge_sort_block_merge_implIS3_PaN6thrust23THRUST_200600_302600_NS10device_ptrIlEEjNS1_19radix_merge_compareILb0ELb1EaNS0_19identity_decomposerEEEEE10hipError_tT0_T1_T2_jT3_P12ihipStream_tbPNSt15iterator_traitsISG_E10value_typeEPNSM_ISH_E10value_typeEPSI_NS1_7vsmem_tEENKUlT_SG_SH_SI_E_clIS7_S7_SB_PlEESF_SV_SG_SH_SI_EUlSV_E1_NS1_11comp_targetILNS1_3genE10ELNS1_11target_archE1201ELNS1_3gpuE5ELNS1_3repE0EEENS1_36merge_oddeven_config_static_selectorELNS0_4arch9wavefront6targetE1EEEvSH_: ; @_ZN7rocprim17ROCPRIM_400000_NS6detail17trampoline_kernelINS0_14default_configENS1_38merge_sort_block_merge_config_selectorIalEEZZNS1_27merge_sort_block_merge_implIS3_PaN6thrust23THRUST_200600_302600_NS10device_ptrIlEEjNS1_19radix_merge_compareILb0ELb1EaNS0_19identity_decomposerEEEEE10hipError_tT0_T1_T2_jT3_P12ihipStream_tbPNSt15iterator_traitsISG_E10value_typeEPNSM_ISH_E10value_typeEPSI_NS1_7vsmem_tEENKUlT_SG_SH_SI_E_clIS7_S7_SB_PlEESF_SV_SG_SH_SI_EUlSV_E1_NS1_11comp_targetILNS1_3genE10ELNS1_11target_archE1201ELNS1_3gpuE5ELNS1_3repE0EEENS1_36merge_oddeven_config_static_selectorELNS0_4arch9wavefront6targetE1EEEvSH_
; %bb.0:
	.section	.rodata,"a",@progbits
	.p2align	6, 0x0
	.amdhsa_kernel _ZN7rocprim17ROCPRIM_400000_NS6detail17trampoline_kernelINS0_14default_configENS1_38merge_sort_block_merge_config_selectorIalEEZZNS1_27merge_sort_block_merge_implIS3_PaN6thrust23THRUST_200600_302600_NS10device_ptrIlEEjNS1_19radix_merge_compareILb0ELb1EaNS0_19identity_decomposerEEEEE10hipError_tT0_T1_T2_jT3_P12ihipStream_tbPNSt15iterator_traitsISG_E10value_typeEPNSM_ISH_E10value_typeEPSI_NS1_7vsmem_tEENKUlT_SG_SH_SI_E_clIS7_S7_SB_PlEESF_SV_SG_SH_SI_EUlSV_E1_NS1_11comp_targetILNS1_3genE10ELNS1_11target_archE1201ELNS1_3gpuE5ELNS1_3repE0EEENS1_36merge_oddeven_config_static_selectorELNS0_4arch9wavefront6targetE1EEEvSH_
		.amdhsa_group_segment_fixed_size 0
		.amdhsa_private_segment_fixed_size 0
		.amdhsa_kernarg_size 48
		.amdhsa_user_sgpr_count 6
		.amdhsa_user_sgpr_private_segment_buffer 1
		.amdhsa_user_sgpr_dispatch_ptr 0
		.amdhsa_user_sgpr_queue_ptr 0
		.amdhsa_user_sgpr_kernarg_segment_ptr 1
		.amdhsa_user_sgpr_dispatch_id 0
		.amdhsa_user_sgpr_flat_scratch_init 0
		.amdhsa_user_sgpr_private_segment_size 0
		.amdhsa_uses_dynamic_stack 0
		.amdhsa_system_sgpr_private_segment_wavefront_offset 0
		.amdhsa_system_sgpr_workgroup_id_x 1
		.amdhsa_system_sgpr_workgroup_id_y 0
		.amdhsa_system_sgpr_workgroup_id_z 0
		.amdhsa_system_sgpr_workgroup_info 0
		.amdhsa_system_vgpr_workitem_id 0
		.amdhsa_next_free_vgpr 1
		.amdhsa_next_free_sgpr 0
		.amdhsa_reserve_vcc 0
		.amdhsa_reserve_flat_scratch 0
		.amdhsa_float_round_mode_32 0
		.amdhsa_float_round_mode_16_64 0
		.amdhsa_float_denorm_mode_32 3
		.amdhsa_float_denorm_mode_16_64 3
		.amdhsa_dx10_clamp 1
		.amdhsa_ieee_mode 1
		.amdhsa_fp16_overflow 0
		.amdhsa_exception_fp_ieee_invalid_op 0
		.amdhsa_exception_fp_denorm_src 0
		.amdhsa_exception_fp_ieee_div_zero 0
		.amdhsa_exception_fp_ieee_overflow 0
		.amdhsa_exception_fp_ieee_underflow 0
		.amdhsa_exception_fp_ieee_inexact 0
		.amdhsa_exception_int_div_zero 0
	.end_amdhsa_kernel
	.section	.text._ZN7rocprim17ROCPRIM_400000_NS6detail17trampoline_kernelINS0_14default_configENS1_38merge_sort_block_merge_config_selectorIalEEZZNS1_27merge_sort_block_merge_implIS3_PaN6thrust23THRUST_200600_302600_NS10device_ptrIlEEjNS1_19radix_merge_compareILb0ELb1EaNS0_19identity_decomposerEEEEE10hipError_tT0_T1_T2_jT3_P12ihipStream_tbPNSt15iterator_traitsISG_E10value_typeEPNSM_ISH_E10value_typeEPSI_NS1_7vsmem_tEENKUlT_SG_SH_SI_E_clIS7_S7_SB_PlEESF_SV_SG_SH_SI_EUlSV_E1_NS1_11comp_targetILNS1_3genE10ELNS1_11target_archE1201ELNS1_3gpuE5ELNS1_3repE0EEENS1_36merge_oddeven_config_static_selectorELNS0_4arch9wavefront6targetE1EEEvSH_,"axG",@progbits,_ZN7rocprim17ROCPRIM_400000_NS6detail17trampoline_kernelINS0_14default_configENS1_38merge_sort_block_merge_config_selectorIalEEZZNS1_27merge_sort_block_merge_implIS3_PaN6thrust23THRUST_200600_302600_NS10device_ptrIlEEjNS1_19radix_merge_compareILb0ELb1EaNS0_19identity_decomposerEEEEE10hipError_tT0_T1_T2_jT3_P12ihipStream_tbPNSt15iterator_traitsISG_E10value_typeEPNSM_ISH_E10value_typeEPSI_NS1_7vsmem_tEENKUlT_SG_SH_SI_E_clIS7_S7_SB_PlEESF_SV_SG_SH_SI_EUlSV_E1_NS1_11comp_targetILNS1_3genE10ELNS1_11target_archE1201ELNS1_3gpuE5ELNS1_3repE0EEENS1_36merge_oddeven_config_static_selectorELNS0_4arch9wavefront6targetE1EEEvSH_,comdat
.Lfunc_end575:
	.size	_ZN7rocprim17ROCPRIM_400000_NS6detail17trampoline_kernelINS0_14default_configENS1_38merge_sort_block_merge_config_selectorIalEEZZNS1_27merge_sort_block_merge_implIS3_PaN6thrust23THRUST_200600_302600_NS10device_ptrIlEEjNS1_19radix_merge_compareILb0ELb1EaNS0_19identity_decomposerEEEEE10hipError_tT0_T1_T2_jT3_P12ihipStream_tbPNSt15iterator_traitsISG_E10value_typeEPNSM_ISH_E10value_typeEPSI_NS1_7vsmem_tEENKUlT_SG_SH_SI_E_clIS7_S7_SB_PlEESF_SV_SG_SH_SI_EUlSV_E1_NS1_11comp_targetILNS1_3genE10ELNS1_11target_archE1201ELNS1_3gpuE5ELNS1_3repE0EEENS1_36merge_oddeven_config_static_selectorELNS0_4arch9wavefront6targetE1EEEvSH_, .Lfunc_end575-_ZN7rocprim17ROCPRIM_400000_NS6detail17trampoline_kernelINS0_14default_configENS1_38merge_sort_block_merge_config_selectorIalEEZZNS1_27merge_sort_block_merge_implIS3_PaN6thrust23THRUST_200600_302600_NS10device_ptrIlEEjNS1_19radix_merge_compareILb0ELb1EaNS0_19identity_decomposerEEEEE10hipError_tT0_T1_T2_jT3_P12ihipStream_tbPNSt15iterator_traitsISG_E10value_typeEPNSM_ISH_E10value_typeEPSI_NS1_7vsmem_tEENKUlT_SG_SH_SI_E_clIS7_S7_SB_PlEESF_SV_SG_SH_SI_EUlSV_E1_NS1_11comp_targetILNS1_3genE10ELNS1_11target_archE1201ELNS1_3gpuE5ELNS1_3repE0EEENS1_36merge_oddeven_config_static_selectorELNS0_4arch9wavefront6targetE1EEEvSH_
                                        ; -- End function
	.set _ZN7rocprim17ROCPRIM_400000_NS6detail17trampoline_kernelINS0_14default_configENS1_38merge_sort_block_merge_config_selectorIalEEZZNS1_27merge_sort_block_merge_implIS3_PaN6thrust23THRUST_200600_302600_NS10device_ptrIlEEjNS1_19radix_merge_compareILb0ELb1EaNS0_19identity_decomposerEEEEE10hipError_tT0_T1_T2_jT3_P12ihipStream_tbPNSt15iterator_traitsISG_E10value_typeEPNSM_ISH_E10value_typeEPSI_NS1_7vsmem_tEENKUlT_SG_SH_SI_E_clIS7_S7_SB_PlEESF_SV_SG_SH_SI_EUlSV_E1_NS1_11comp_targetILNS1_3genE10ELNS1_11target_archE1201ELNS1_3gpuE5ELNS1_3repE0EEENS1_36merge_oddeven_config_static_selectorELNS0_4arch9wavefront6targetE1EEEvSH_.num_vgpr, 0
	.set _ZN7rocprim17ROCPRIM_400000_NS6detail17trampoline_kernelINS0_14default_configENS1_38merge_sort_block_merge_config_selectorIalEEZZNS1_27merge_sort_block_merge_implIS3_PaN6thrust23THRUST_200600_302600_NS10device_ptrIlEEjNS1_19radix_merge_compareILb0ELb1EaNS0_19identity_decomposerEEEEE10hipError_tT0_T1_T2_jT3_P12ihipStream_tbPNSt15iterator_traitsISG_E10value_typeEPNSM_ISH_E10value_typeEPSI_NS1_7vsmem_tEENKUlT_SG_SH_SI_E_clIS7_S7_SB_PlEESF_SV_SG_SH_SI_EUlSV_E1_NS1_11comp_targetILNS1_3genE10ELNS1_11target_archE1201ELNS1_3gpuE5ELNS1_3repE0EEENS1_36merge_oddeven_config_static_selectorELNS0_4arch9wavefront6targetE1EEEvSH_.num_agpr, 0
	.set _ZN7rocprim17ROCPRIM_400000_NS6detail17trampoline_kernelINS0_14default_configENS1_38merge_sort_block_merge_config_selectorIalEEZZNS1_27merge_sort_block_merge_implIS3_PaN6thrust23THRUST_200600_302600_NS10device_ptrIlEEjNS1_19radix_merge_compareILb0ELb1EaNS0_19identity_decomposerEEEEE10hipError_tT0_T1_T2_jT3_P12ihipStream_tbPNSt15iterator_traitsISG_E10value_typeEPNSM_ISH_E10value_typeEPSI_NS1_7vsmem_tEENKUlT_SG_SH_SI_E_clIS7_S7_SB_PlEESF_SV_SG_SH_SI_EUlSV_E1_NS1_11comp_targetILNS1_3genE10ELNS1_11target_archE1201ELNS1_3gpuE5ELNS1_3repE0EEENS1_36merge_oddeven_config_static_selectorELNS0_4arch9wavefront6targetE1EEEvSH_.numbered_sgpr, 0
	.set _ZN7rocprim17ROCPRIM_400000_NS6detail17trampoline_kernelINS0_14default_configENS1_38merge_sort_block_merge_config_selectorIalEEZZNS1_27merge_sort_block_merge_implIS3_PaN6thrust23THRUST_200600_302600_NS10device_ptrIlEEjNS1_19radix_merge_compareILb0ELb1EaNS0_19identity_decomposerEEEEE10hipError_tT0_T1_T2_jT3_P12ihipStream_tbPNSt15iterator_traitsISG_E10value_typeEPNSM_ISH_E10value_typeEPSI_NS1_7vsmem_tEENKUlT_SG_SH_SI_E_clIS7_S7_SB_PlEESF_SV_SG_SH_SI_EUlSV_E1_NS1_11comp_targetILNS1_3genE10ELNS1_11target_archE1201ELNS1_3gpuE5ELNS1_3repE0EEENS1_36merge_oddeven_config_static_selectorELNS0_4arch9wavefront6targetE1EEEvSH_.num_named_barrier, 0
	.set _ZN7rocprim17ROCPRIM_400000_NS6detail17trampoline_kernelINS0_14default_configENS1_38merge_sort_block_merge_config_selectorIalEEZZNS1_27merge_sort_block_merge_implIS3_PaN6thrust23THRUST_200600_302600_NS10device_ptrIlEEjNS1_19radix_merge_compareILb0ELb1EaNS0_19identity_decomposerEEEEE10hipError_tT0_T1_T2_jT3_P12ihipStream_tbPNSt15iterator_traitsISG_E10value_typeEPNSM_ISH_E10value_typeEPSI_NS1_7vsmem_tEENKUlT_SG_SH_SI_E_clIS7_S7_SB_PlEESF_SV_SG_SH_SI_EUlSV_E1_NS1_11comp_targetILNS1_3genE10ELNS1_11target_archE1201ELNS1_3gpuE5ELNS1_3repE0EEENS1_36merge_oddeven_config_static_selectorELNS0_4arch9wavefront6targetE1EEEvSH_.private_seg_size, 0
	.set _ZN7rocprim17ROCPRIM_400000_NS6detail17trampoline_kernelINS0_14default_configENS1_38merge_sort_block_merge_config_selectorIalEEZZNS1_27merge_sort_block_merge_implIS3_PaN6thrust23THRUST_200600_302600_NS10device_ptrIlEEjNS1_19radix_merge_compareILb0ELb1EaNS0_19identity_decomposerEEEEE10hipError_tT0_T1_T2_jT3_P12ihipStream_tbPNSt15iterator_traitsISG_E10value_typeEPNSM_ISH_E10value_typeEPSI_NS1_7vsmem_tEENKUlT_SG_SH_SI_E_clIS7_S7_SB_PlEESF_SV_SG_SH_SI_EUlSV_E1_NS1_11comp_targetILNS1_3genE10ELNS1_11target_archE1201ELNS1_3gpuE5ELNS1_3repE0EEENS1_36merge_oddeven_config_static_selectorELNS0_4arch9wavefront6targetE1EEEvSH_.uses_vcc, 0
	.set _ZN7rocprim17ROCPRIM_400000_NS6detail17trampoline_kernelINS0_14default_configENS1_38merge_sort_block_merge_config_selectorIalEEZZNS1_27merge_sort_block_merge_implIS3_PaN6thrust23THRUST_200600_302600_NS10device_ptrIlEEjNS1_19radix_merge_compareILb0ELb1EaNS0_19identity_decomposerEEEEE10hipError_tT0_T1_T2_jT3_P12ihipStream_tbPNSt15iterator_traitsISG_E10value_typeEPNSM_ISH_E10value_typeEPSI_NS1_7vsmem_tEENKUlT_SG_SH_SI_E_clIS7_S7_SB_PlEESF_SV_SG_SH_SI_EUlSV_E1_NS1_11comp_targetILNS1_3genE10ELNS1_11target_archE1201ELNS1_3gpuE5ELNS1_3repE0EEENS1_36merge_oddeven_config_static_selectorELNS0_4arch9wavefront6targetE1EEEvSH_.uses_flat_scratch, 0
	.set _ZN7rocprim17ROCPRIM_400000_NS6detail17trampoline_kernelINS0_14default_configENS1_38merge_sort_block_merge_config_selectorIalEEZZNS1_27merge_sort_block_merge_implIS3_PaN6thrust23THRUST_200600_302600_NS10device_ptrIlEEjNS1_19radix_merge_compareILb0ELb1EaNS0_19identity_decomposerEEEEE10hipError_tT0_T1_T2_jT3_P12ihipStream_tbPNSt15iterator_traitsISG_E10value_typeEPNSM_ISH_E10value_typeEPSI_NS1_7vsmem_tEENKUlT_SG_SH_SI_E_clIS7_S7_SB_PlEESF_SV_SG_SH_SI_EUlSV_E1_NS1_11comp_targetILNS1_3genE10ELNS1_11target_archE1201ELNS1_3gpuE5ELNS1_3repE0EEENS1_36merge_oddeven_config_static_selectorELNS0_4arch9wavefront6targetE1EEEvSH_.has_dyn_sized_stack, 0
	.set _ZN7rocprim17ROCPRIM_400000_NS6detail17trampoline_kernelINS0_14default_configENS1_38merge_sort_block_merge_config_selectorIalEEZZNS1_27merge_sort_block_merge_implIS3_PaN6thrust23THRUST_200600_302600_NS10device_ptrIlEEjNS1_19radix_merge_compareILb0ELb1EaNS0_19identity_decomposerEEEEE10hipError_tT0_T1_T2_jT3_P12ihipStream_tbPNSt15iterator_traitsISG_E10value_typeEPNSM_ISH_E10value_typeEPSI_NS1_7vsmem_tEENKUlT_SG_SH_SI_E_clIS7_S7_SB_PlEESF_SV_SG_SH_SI_EUlSV_E1_NS1_11comp_targetILNS1_3genE10ELNS1_11target_archE1201ELNS1_3gpuE5ELNS1_3repE0EEENS1_36merge_oddeven_config_static_selectorELNS0_4arch9wavefront6targetE1EEEvSH_.has_recursion, 0
	.set _ZN7rocprim17ROCPRIM_400000_NS6detail17trampoline_kernelINS0_14default_configENS1_38merge_sort_block_merge_config_selectorIalEEZZNS1_27merge_sort_block_merge_implIS3_PaN6thrust23THRUST_200600_302600_NS10device_ptrIlEEjNS1_19radix_merge_compareILb0ELb1EaNS0_19identity_decomposerEEEEE10hipError_tT0_T1_T2_jT3_P12ihipStream_tbPNSt15iterator_traitsISG_E10value_typeEPNSM_ISH_E10value_typeEPSI_NS1_7vsmem_tEENKUlT_SG_SH_SI_E_clIS7_S7_SB_PlEESF_SV_SG_SH_SI_EUlSV_E1_NS1_11comp_targetILNS1_3genE10ELNS1_11target_archE1201ELNS1_3gpuE5ELNS1_3repE0EEENS1_36merge_oddeven_config_static_selectorELNS0_4arch9wavefront6targetE1EEEvSH_.has_indirect_call, 0
	.section	.AMDGPU.csdata,"",@progbits
; Kernel info:
; codeLenInByte = 0
; TotalNumSgprs: 4
; NumVgprs: 0
; ScratchSize: 0
; MemoryBound: 0
; FloatMode: 240
; IeeeMode: 1
; LDSByteSize: 0 bytes/workgroup (compile time only)
; SGPRBlocks: 0
; VGPRBlocks: 0
; NumSGPRsForWavesPerEU: 4
; NumVGPRsForWavesPerEU: 1
; Occupancy: 10
; WaveLimiterHint : 0
; COMPUTE_PGM_RSRC2:SCRATCH_EN: 0
; COMPUTE_PGM_RSRC2:USER_SGPR: 6
; COMPUTE_PGM_RSRC2:TRAP_HANDLER: 0
; COMPUTE_PGM_RSRC2:TGID_X_EN: 1
; COMPUTE_PGM_RSRC2:TGID_Y_EN: 0
; COMPUTE_PGM_RSRC2:TGID_Z_EN: 0
; COMPUTE_PGM_RSRC2:TIDIG_COMP_CNT: 0
	.section	.text._ZN7rocprim17ROCPRIM_400000_NS6detail17trampoline_kernelINS0_14default_configENS1_38merge_sort_block_merge_config_selectorIalEEZZNS1_27merge_sort_block_merge_implIS3_PaN6thrust23THRUST_200600_302600_NS10device_ptrIlEEjNS1_19radix_merge_compareILb0ELb1EaNS0_19identity_decomposerEEEEE10hipError_tT0_T1_T2_jT3_P12ihipStream_tbPNSt15iterator_traitsISG_E10value_typeEPNSM_ISH_E10value_typeEPSI_NS1_7vsmem_tEENKUlT_SG_SH_SI_E_clIS7_S7_SB_PlEESF_SV_SG_SH_SI_EUlSV_E1_NS1_11comp_targetILNS1_3genE5ELNS1_11target_archE942ELNS1_3gpuE9ELNS1_3repE0EEENS1_36merge_oddeven_config_static_selectorELNS0_4arch9wavefront6targetE1EEEvSH_,"axG",@progbits,_ZN7rocprim17ROCPRIM_400000_NS6detail17trampoline_kernelINS0_14default_configENS1_38merge_sort_block_merge_config_selectorIalEEZZNS1_27merge_sort_block_merge_implIS3_PaN6thrust23THRUST_200600_302600_NS10device_ptrIlEEjNS1_19radix_merge_compareILb0ELb1EaNS0_19identity_decomposerEEEEE10hipError_tT0_T1_T2_jT3_P12ihipStream_tbPNSt15iterator_traitsISG_E10value_typeEPNSM_ISH_E10value_typeEPSI_NS1_7vsmem_tEENKUlT_SG_SH_SI_E_clIS7_S7_SB_PlEESF_SV_SG_SH_SI_EUlSV_E1_NS1_11comp_targetILNS1_3genE5ELNS1_11target_archE942ELNS1_3gpuE9ELNS1_3repE0EEENS1_36merge_oddeven_config_static_selectorELNS0_4arch9wavefront6targetE1EEEvSH_,comdat
	.protected	_ZN7rocprim17ROCPRIM_400000_NS6detail17trampoline_kernelINS0_14default_configENS1_38merge_sort_block_merge_config_selectorIalEEZZNS1_27merge_sort_block_merge_implIS3_PaN6thrust23THRUST_200600_302600_NS10device_ptrIlEEjNS1_19radix_merge_compareILb0ELb1EaNS0_19identity_decomposerEEEEE10hipError_tT0_T1_T2_jT3_P12ihipStream_tbPNSt15iterator_traitsISG_E10value_typeEPNSM_ISH_E10value_typeEPSI_NS1_7vsmem_tEENKUlT_SG_SH_SI_E_clIS7_S7_SB_PlEESF_SV_SG_SH_SI_EUlSV_E1_NS1_11comp_targetILNS1_3genE5ELNS1_11target_archE942ELNS1_3gpuE9ELNS1_3repE0EEENS1_36merge_oddeven_config_static_selectorELNS0_4arch9wavefront6targetE1EEEvSH_ ; -- Begin function _ZN7rocprim17ROCPRIM_400000_NS6detail17trampoline_kernelINS0_14default_configENS1_38merge_sort_block_merge_config_selectorIalEEZZNS1_27merge_sort_block_merge_implIS3_PaN6thrust23THRUST_200600_302600_NS10device_ptrIlEEjNS1_19radix_merge_compareILb0ELb1EaNS0_19identity_decomposerEEEEE10hipError_tT0_T1_T2_jT3_P12ihipStream_tbPNSt15iterator_traitsISG_E10value_typeEPNSM_ISH_E10value_typeEPSI_NS1_7vsmem_tEENKUlT_SG_SH_SI_E_clIS7_S7_SB_PlEESF_SV_SG_SH_SI_EUlSV_E1_NS1_11comp_targetILNS1_3genE5ELNS1_11target_archE942ELNS1_3gpuE9ELNS1_3repE0EEENS1_36merge_oddeven_config_static_selectorELNS0_4arch9wavefront6targetE1EEEvSH_
	.globl	_ZN7rocprim17ROCPRIM_400000_NS6detail17trampoline_kernelINS0_14default_configENS1_38merge_sort_block_merge_config_selectorIalEEZZNS1_27merge_sort_block_merge_implIS3_PaN6thrust23THRUST_200600_302600_NS10device_ptrIlEEjNS1_19radix_merge_compareILb0ELb1EaNS0_19identity_decomposerEEEEE10hipError_tT0_T1_T2_jT3_P12ihipStream_tbPNSt15iterator_traitsISG_E10value_typeEPNSM_ISH_E10value_typeEPSI_NS1_7vsmem_tEENKUlT_SG_SH_SI_E_clIS7_S7_SB_PlEESF_SV_SG_SH_SI_EUlSV_E1_NS1_11comp_targetILNS1_3genE5ELNS1_11target_archE942ELNS1_3gpuE9ELNS1_3repE0EEENS1_36merge_oddeven_config_static_selectorELNS0_4arch9wavefront6targetE1EEEvSH_
	.p2align	8
	.type	_ZN7rocprim17ROCPRIM_400000_NS6detail17trampoline_kernelINS0_14default_configENS1_38merge_sort_block_merge_config_selectorIalEEZZNS1_27merge_sort_block_merge_implIS3_PaN6thrust23THRUST_200600_302600_NS10device_ptrIlEEjNS1_19radix_merge_compareILb0ELb1EaNS0_19identity_decomposerEEEEE10hipError_tT0_T1_T2_jT3_P12ihipStream_tbPNSt15iterator_traitsISG_E10value_typeEPNSM_ISH_E10value_typeEPSI_NS1_7vsmem_tEENKUlT_SG_SH_SI_E_clIS7_S7_SB_PlEESF_SV_SG_SH_SI_EUlSV_E1_NS1_11comp_targetILNS1_3genE5ELNS1_11target_archE942ELNS1_3gpuE9ELNS1_3repE0EEENS1_36merge_oddeven_config_static_selectorELNS0_4arch9wavefront6targetE1EEEvSH_,@function
_ZN7rocprim17ROCPRIM_400000_NS6detail17trampoline_kernelINS0_14default_configENS1_38merge_sort_block_merge_config_selectorIalEEZZNS1_27merge_sort_block_merge_implIS3_PaN6thrust23THRUST_200600_302600_NS10device_ptrIlEEjNS1_19radix_merge_compareILb0ELb1EaNS0_19identity_decomposerEEEEE10hipError_tT0_T1_T2_jT3_P12ihipStream_tbPNSt15iterator_traitsISG_E10value_typeEPNSM_ISH_E10value_typeEPSI_NS1_7vsmem_tEENKUlT_SG_SH_SI_E_clIS7_S7_SB_PlEESF_SV_SG_SH_SI_EUlSV_E1_NS1_11comp_targetILNS1_3genE5ELNS1_11target_archE942ELNS1_3gpuE9ELNS1_3repE0EEENS1_36merge_oddeven_config_static_selectorELNS0_4arch9wavefront6targetE1EEEvSH_: ; @_ZN7rocprim17ROCPRIM_400000_NS6detail17trampoline_kernelINS0_14default_configENS1_38merge_sort_block_merge_config_selectorIalEEZZNS1_27merge_sort_block_merge_implIS3_PaN6thrust23THRUST_200600_302600_NS10device_ptrIlEEjNS1_19radix_merge_compareILb0ELb1EaNS0_19identity_decomposerEEEEE10hipError_tT0_T1_T2_jT3_P12ihipStream_tbPNSt15iterator_traitsISG_E10value_typeEPNSM_ISH_E10value_typeEPSI_NS1_7vsmem_tEENKUlT_SG_SH_SI_E_clIS7_S7_SB_PlEESF_SV_SG_SH_SI_EUlSV_E1_NS1_11comp_targetILNS1_3genE5ELNS1_11target_archE942ELNS1_3gpuE9ELNS1_3repE0EEENS1_36merge_oddeven_config_static_selectorELNS0_4arch9wavefront6targetE1EEEvSH_
; %bb.0:
	.section	.rodata,"a",@progbits
	.p2align	6, 0x0
	.amdhsa_kernel _ZN7rocprim17ROCPRIM_400000_NS6detail17trampoline_kernelINS0_14default_configENS1_38merge_sort_block_merge_config_selectorIalEEZZNS1_27merge_sort_block_merge_implIS3_PaN6thrust23THRUST_200600_302600_NS10device_ptrIlEEjNS1_19radix_merge_compareILb0ELb1EaNS0_19identity_decomposerEEEEE10hipError_tT0_T1_T2_jT3_P12ihipStream_tbPNSt15iterator_traitsISG_E10value_typeEPNSM_ISH_E10value_typeEPSI_NS1_7vsmem_tEENKUlT_SG_SH_SI_E_clIS7_S7_SB_PlEESF_SV_SG_SH_SI_EUlSV_E1_NS1_11comp_targetILNS1_3genE5ELNS1_11target_archE942ELNS1_3gpuE9ELNS1_3repE0EEENS1_36merge_oddeven_config_static_selectorELNS0_4arch9wavefront6targetE1EEEvSH_
		.amdhsa_group_segment_fixed_size 0
		.amdhsa_private_segment_fixed_size 0
		.amdhsa_kernarg_size 48
		.amdhsa_user_sgpr_count 6
		.amdhsa_user_sgpr_private_segment_buffer 1
		.amdhsa_user_sgpr_dispatch_ptr 0
		.amdhsa_user_sgpr_queue_ptr 0
		.amdhsa_user_sgpr_kernarg_segment_ptr 1
		.amdhsa_user_sgpr_dispatch_id 0
		.amdhsa_user_sgpr_flat_scratch_init 0
		.amdhsa_user_sgpr_private_segment_size 0
		.amdhsa_uses_dynamic_stack 0
		.amdhsa_system_sgpr_private_segment_wavefront_offset 0
		.amdhsa_system_sgpr_workgroup_id_x 1
		.amdhsa_system_sgpr_workgroup_id_y 0
		.amdhsa_system_sgpr_workgroup_id_z 0
		.amdhsa_system_sgpr_workgroup_info 0
		.amdhsa_system_vgpr_workitem_id 0
		.amdhsa_next_free_vgpr 1
		.amdhsa_next_free_sgpr 0
		.amdhsa_reserve_vcc 0
		.amdhsa_reserve_flat_scratch 0
		.amdhsa_float_round_mode_32 0
		.amdhsa_float_round_mode_16_64 0
		.amdhsa_float_denorm_mode_32 3
		.amdhsa_float_denorm_mode_16_64 3
		.amdhsa_dx10_clamp 1
		.amdhsa_ieee_mode 1
		.amdhsa_fp16_overflow 0
		.amdhsa_exception_fp_ieee_invalid_op 0
		.amdhsa_exception_fp_denorm_src 0
		.amdhsa_exception_fp_ieee_div_zero 0
		.amdhsa_exception_fp_ieee_overflow 0
		.amdhsa_exception_fp_ieee_underflow 0
		.amdhsa_exception_fp_ieee_inexact 0
		.amdhsa_exception_int_div_zero 0
	.end_amdhsa_kernel
	.section	.text._ZN7rocprim17ROCPRIM_400000_NS6detail17trampoline_kernelINS0_14default_configENS1_38merge_sort_block_merge_config_selectorIalEEZZNS1_27merge_sort_block_merge_implIS3_PaN6thrust23THRUST_200600_302600_NS10device_ptrIlEEjNS1_19radix_merge_compareILb0ELb1EaNS0_19identity_decomposerEEEEE10hipError_tT0_T1_T2_jT3_P12ihipStream_tbPNSt15iterator_traitsISG_E10value_typeEPNSM_ISH_E10value_typeEPSI_NS1_7vsmem_tEENKUlT_SG_SH_SI_E_clIS7_S7_SB_PlEESF_SV_SG_SH_SI_EUlSV_E1_NS1_11comp_targetILNS1_3genE5ELNS1_11target_archE942ELNS1_3gpuE9ELNS1_3repE0EEENS1_36merge_oddeven_config_static_selectorELNS0_4arch9wavefront6targetE1EEEvSH_,"axG",@progbits,_ZN7rocprim17ROCPRIM_400000_NS6detail17trampoline_kernelINS0_14default_configENS1_38merge_sort_block_merge_config_selectorIalEEZZNS1_27merge_sort_block_merge_implIS3_PaN6thrust23THRUST_200600_302600_NS10device_ptrIlEEjNS1_19radix_merge_compareILb0ELb1EaNS0_19identity_decomposerEEEEE10hipError_tT0_T1_T2_jT3_P12ihipStream_tbPNSt15iterator_traitsISG_E10value_typeEPNSM_ISH_E10value_typeEPSI_NS1_7vsmem_tEENKUlT_SG_SH_SI_E_clIS7_S7_SB_PlEESF_SV_SG_SH_SI_EUlSV_E1_NS1_11comp_targetILNS1_3genE5ELNS1_11target_archE942ELNS1_3gpuE9ELNS1_3repE0EEENS1_36merge_oddeven_config_static_selectorELNS0_4arch9wavefront6targetE1EEEvSH_,comdat
.Lfunc_end576:
	.size	_ZN7rocprim17ROCPRIM_400000_NS6detail17trampoline_kernelINS0_14default_configENS1_38merge_sort_block_merge_config_selectorIalEEZZNS1_27merge_sort_block_merge_implIS3_PaN6thrust23THRUST_200600_302600_NS10device_ptrIlEEjNS1_19radix_merge_compareILb0ELb1EaNS0_19identity_decomposerEEEEE10hipError_tT0_T1_T2_jT3_P12ihipStream_tbPNSt15iterator_traitsISG_E10value_typeEPNSM_ISH_E10value_typeEPSI_NS1_7vsmem_tEENKUlT_SG_SH_SI_E_clIS7_S7_SB_PlEESF_SV_SG_SH_SI_EUlSV_E1_NS1_11comp_targetILNS1_3genE5ELNS1_11target_archE942ELNS1_3gpuE9ELNS1_3repE0EEENS1_36merge_oddeven_config_static_selectorELNS0_4arch9wavefront6targetE1EEEvSH_, .Lfunc_end576-_ZN7rocprim17ROCPRIM_400000_NS6detail17trampoline_kernelINS0_14default_configENS1_38merge_sort_block_merge_config_selectorIalEEZZNS1_27merge_sort_block_merge_implIS3_PaN6thrust23THRUST_200600_302600_NS10device_ptrIlEEjNS1_19radix_merge_compareILb0ELb1EaNS0_19identity_decomposerEEEEE10hipError_tT0_T1_T2_jT3_P12ihipStream_tbPNSt15iterator_traitsISG_E10value_typeEPNSM_ISH_E10value_typeEPSI_NS1_7vsmem_tEENKUlT_SG_SH_SI_E_clIS7_S7_SB_PlEESF_SV_SG_SH_SI_EUlSV_E1_NS1_11comp_targetILNS1_3genE5ELNS1_11target_archE942ELNS1_3gpuE9ELNS1_3repE0EEENS1_36merge_oddeven_config_static_selectorELNS0_4arch9wavefront6targetE1EEEvSH_
                                        ; -- End function
	.set _ZN7rocprim17ROCPRIM_400000_NS6detail17trampoline_kernelINS0_14default_configENS1_38merge_sort_block_merge_config_selectorIalEEZZNS1_27merge_sort_block_merge_implIS3_PaN6thrust23THRUST_200600_302600_NS10device_ptrIlEEjNS1_19radix_merge_compareILb0ELb1EaNS0_19identity_decomposerEEEEE10hipError_tT0_T1_T2_jT3_P12ihipStream_tbPNSt15iterator_traitsISG_E10value_typeEPNSM_ISH_E10value_typeEPSI_NS1_7vsmem_tEENKUlT_SG_SH_SI_E_clIS7_S7_SB_PlEESF_SV_SG_SH_SI_EUlSV_E1_NS1_11comp_targetILNS1_3genE5ELNS1_11target_archE942ELNS1_3gpuE9ELNS1_3repE0EEENS1_36merge_oddeven_config_static_selectorELNS0_4arch9wavefront6targetE1EEEvSH_.num_vgpr, 0
	.set _ZN7rocprim17ROCPRIM_400000_NS6detail17trampoline_kernelINS0_14default_configENS1_38merge_sort_block_merge_config_selectorIalEEZZNS1_27merge_sort_block_merge_implIS3_PaN6thrust23THRUST_200600_302600_NS10device_ptrIlEEjNS1_19radix_merge_compareILb0ELb1EaNS0_19identity_decomposerEEEEE10hipError_tT0_T1_T2_jT3_P12ihipStream_tbPNSt15iterator_traitsISG_E10value_typeEPNSM_ISH_E10value_typeEPSI_NS1_7vsmem_tEENKUlT_SG_SH_SI_E_clIS7_S7_SB_PlEESF_SV_SG_SH_SI_EUlSV_E1_NS1_11comp_targetILNS1_3genE5ELNS1_11target_archE942ELNS1_3gpuE9ELNS1_3repE0EEENS1_36merge_oddeven_config_static_selectorELNS0_4arch9wavefront6targetE1EEEvSH_.num_agpr, 0
	.set _ZN7rocprim17ROCPRIM_400000_NS6detail17trampoline_kernelINS0_14default_configENS1_38merge_sort_block_merge_config_selectorIalEEZZNS1_27merge_sort_block_merge_implIS3_PaN6thrust23THRUST_200600_302600_NS10device_ptrIlEEjNS1_19radix_merge_compareILb0ELb1EaNS0_19identity_decomposerEEEEE10hipError_tT0_T1_T2_jT3_P12ihipStream_tbPNSt15iterator_traitsISG_E10value_typeEPNSM_ISH_E10value_typeEPSI_NS1_7vsmem_tEENKUlT_SG_SH_SI_E_clIS7_S7_SB_PlEESF_SV_SG_SH_SI_EUlSV_E1_NS1_11comp_targetILNS1_3genE5ELNS1_11target_archE942ELNS1_3gpuE9ELNS1_3repE0EEENS1_36merge_oddeven_config_static_selectorELNS0_4arch9wavefront6targetE1EEEvSH_.numbered_sgpr, 0
	.set _ZN7rocprim17ROCPRIM_400000_NS6detail17trampoline_kernelINS0_14default_configENS1_38merge_sort_block_merge_config_selectorIalEEZZNS1_27merge_sort_block_merge_implIS3_PaN6thrust23THRUST_200600_302600_NS10device_ptrIlEEjNS1_19radix_merge_compareILb0ELb1EaNS0_19identity_decomposerEEEEE10hipError_tT0_T1_T2_jT3_P12ihipStream_tbPNSt15iterator_traitsISG_E10value_typeEPNSM_ISH_E10value_typeEPSI_NS1_7vsmem_tEENKUlT_SG_SH_SI_E_clIS7_S7_SB_PlEESF_SV_SG_SH_SI_EUlSV_E1_NS1_11comp_targetILNS1_3genE5ELNS1_11target_archE942ELNS1_3gpuE9ELNS1_3repE0EEENS1_36merge_oddeven_config_static_selectorELNS0_4arch9wavefront6targetE1EEEvSH_.num_named_barrier, 0
	.set _ZN7rocprim17ROCPRIM_400000_NS6detail17trampoline_kernelINS0_14default_configENS1_38merge_sort_block_merge_config_selectorIalEEZZNS1_27merge_sort_block_merge_implIS3_PaN6thrust23THRUST_200600_302600_NS10device_ptrIlEEjNS1_19radix_merge_compareILb0ELb1EaNS0_19identity_decomposerEEEEE10hipError_tT0_T1_T2_jT3_P12ihipStream_tbPNSt15iterator_traitsISG_E10value_typeEPNSM_ISH_E10value_typeEPSI_NS1_7vsmem_tEENKUlT_SG_SH_SI_E_clIS7_S7_SB_PlEESF_SV_SG_SH_SI_EUlSV_E1_NS1_11comp_targetILNS1_3genE5ELNS1_11target_archE942ELNS1_3gpuE9ELNS1_3repE0EEENS1_36merge_oddeven_config_static_selectorELNS0_4arch9wavefront6targetE1EEEvSH_.private_seg_size, 0
	.set _ZN7rocprim17ROCPRIM_400000_NS6detail17trampoline_kernelINS0_14default_configENS1_38merge_sort_block_merge_config_selectorIalEEZZNS1_27merge_sort_block_merge_implIS3_PaN6thrust23THRUST_200600_302600_NS10device_ptrIlEEjNS1_19radix_merge_compareILb0ELb1EaNS0_19identity_decomposerEEEEE10hipError_tT0_T1_T2_jT3_P12ihipStream_tbPNSt15iterator_traitsISG_E10value_typeEPNSM_ISH_E10value_typeEPSI_NS1_7vsmem_tEENKUlT_SG_SH_SI_E_clIS7_S7_SB_PlEESF_SV_SG_SH_SI_EUlSV_E1_NS1_11comp_targetILNS1_3genE5ELNS1_11target_archE942ELNS1_3gpuE9ELNS1_3repE0EEENS1_36merge_oddeven_config_static_selectorELNS0_4arch9wavefront6targetE1EEEvSH_.uses_vcc, 0
	.set _ZN7rocprim17ROCPRIM_400000_NS6detail17trampoline_kernelINS0_14default_configENS1_38merge_sort_block_merge_config_selectorIalEEZZNS1_27merge_sort_block_merge_implIS3_PaN6thrust23THRUST_200600_302600_NS10device_ptrIlEEjNS1_19radix_merge_compareILb0ELb1EaNS0_19identity_decomposerEEEEE10hipError_tT0_T1_T2_jT3_P12ihipStream_tbPNSt15iterator_traitsISG_E10value_typeEPNSM_ISH_E10value_typeEPSI_NS1_7vsmem_tEENKUlT_SG_SH_SI_E_clIS7_S7_SB_PlEESF_SV_SG_SH_SI_EUlSV_E1_NS1_11comp_targetILNS1_3genE5ELNS1_11target_archE942ELNS1_3gpuE9ELNS1_3repE0EEENS1_36merge_oddeven_config_static_selectorELNS0_4arch9wavefront6targetE1EEEvSH_.uses_flat_scratch, 0
	.set _ZN7rocprim17ROCPRIM_400000_NS6detail17trampoline_kernelINS0_14default_configENS1_38merge_sort_block_merge_config_selectorIalEEZZNS1_27merge_sort_block_merge_implIS3_PaN6thrust23THRUST_200600_302600_NS10device_ptrIlEEjNS1_19radix_merge_compareILb0ELb1EaNS0_19identity_decomposerEEEEE10hipError_tT0_T1_T2_jT3_P12ihipStream_tbPNSt15iterator_traitsISG_E10value_typeEPNSM_ISH_E10value_typeEPSI_NS1_7vsmem_tEENKUlT_SG_SH_SI_E_clIS7_S7_SB_PlEESF_SV_SG_SH_SI_EUlSV_E1_NS1_11comp_targetILNS1_3genE5ELNS1_11target_archE942ELNS1_3gpuE9ELNS1_3repE0EEENS1_36merge_oddeven_config_static_selectorELNS0_4arch9wavefront6targetE1EEEvSH_.has_dyn_sized_stack, 0
	.set _ZN7rocprim17ROCPRIM_400000_NS6detail17trampoline_kernelINS0_14default_configENS1_38merge_sort_block_merge_config_selectorIalEEZZNS1_27merge_sort_block_merge_implIS3_PaN6thrust23THRUST_200600_302600_NS10device_ptrIlEEjNS1_19radix_merge_compareILb0ELb1EaNS0_19identity_decomposerEEEEE10hipError_tT0_T1_T2_jT3_P12ihipStream_tbPNSt15iterator_traitsISG_E10value_typeEPNSM_ISH_E10value_typeEPSI_NS1_7vsmem_tEENKUlT_SG_SH_SI_E_clIS7_S7_SB_PlEESF_SV_SG_SH_SI_EUlSV_E1_NS1_11comp_targetILNS1_3genE5ELNS1_11target_archE942ELNS1_3gpuE9ELNS1_3repE0EEENS1_36merge_oddeven_config_static_selectorELNS0_4arch9wavefront6targetE1EEEvSH_.has_recursion, 0
	.set _ZN7rocprim17ROCPRIM_400000_NS6detail17trampoline_kernelINS0_14default_configENS1_38merge_sort_block_merge_config_selectorIalEEZZNS1_27merge_sort_block_merge_implIS3_PaN6thrust23THRUST_200600_302600_NS10device_ptrIlEEjNS1_19radix_merge_compareILb0ELb1EaNS0_19identity_decomposerEEEEE10hipError_tT0_T1_T2_jT3_P12ihipStream_tbPNSt15iterator_traitsISG_E10value_typeEPNSM_ISH_E10value_typeEPSI_NS1_7vsmem_tEENKUlT_SG_SH_SI_E_clIS7_S7_SB_PlEESF_SV_SG_SH_SI_EUlSV_E1_NS1_11comp_targetILNS1_3genE5ELNS1_11target_archE942ELNS1_3gpuE9ELNS1_3repE0EEENS1_36merge_oddeven_config_static_selectorELNS0_4arch9wavefront6targetE1EEEvSH_.has_indirect_call, 0
	.section	.AMDGPU.csdata,"",@progbits
; Kernel info:
; codeLenInByte = 0
; TotalNumSgprs: 4
; NumVgprs: 0
; ScratchSize: 0
; MemoryBound: 0
; FloatMode: 240
; IeeeMode: 1
; LDSByteSize: 0 bytes/workgroup (compile time only)
; SGPRBlocks: 0
; VGPRBlocks: 0
; NumSGPRsForWavesPerEU: 4
; NumVGPRsForWavesPerEU: 1
; Occupancy: 10
; WaveLimiterHint : 0
; COMPUTE_PGM_RSRC2:SCRATCH_EN: 0
; COMPUTE_PGM_RSRC2:USER_SGPR: 6
; COMPUTE_PGM_RSRC2:TRAP_HANDLER: 0
; COMPUTE_PGM_RSRC2:TGID_X_EN: 1
; COMPUTE_PGM_RSRC2:TGID_Y_EN: 0
; COMPUTE_PGM_RSRC2:TGID_Z_EN: 0
; COMPUTE_PGM_RSRC2:TIDIG_COMP_CNT: 0
	.section	.text._ZN7rocprim17ROCPRIM_400000_NS6detail17trampoline_kernelINS0_14default_configENS1_38merge_sort_block_merge_config_selectorIalEEZZNS1_27merge_sort_block_merge_implIS3_PaN6thrust23THRUST_200600_302600_NS10device_ptrIlEEjNS1_19radix_merge_compareILb0ELb1EaNS0_19identity_decomposerEEEEE10hipError_tT0_T1_T2_jT3_P12ihipStream_tbPNSt15iterator_traitsISG_E10value_typeEPNSM_ISH_E10value_typeEPSI_NS1_7vsmem_tEENKUlT_SG_SH_SI_E_clIS7_S7_SB_PlEESF_SV_SG_SH_SI_EUlSV_E1_NS1_11comp_targetILNS1_3genE4ELNS1_11target_archE910ELNS1_3gpuE8ELNS1_3repE0EEENS1_36merge_oddeven_config_static_selectorELNS0_4arch9wavefront6targetE1EEEvSH_,"axG",@progbits,_ZN7rocprim17ROCPRIM_400000_NS6detail17trampoline_kernelINS0_14default_configENS1_38merge_sort_block_merge_config_selectorIalEEZZNS1_27merge_sort_block_merge_implIS3_PaN6thrust23THRUST_200600_302600_NS10device_ptrIlEEjNS1_19radix_merge_compareILb0ELb1EaNS0_19identity_decomposerEEEEE10hipError_tT0_T1_T2_jT3_P12ihipStream_tbPNSt15iterator_traitsISG_E10value_typeEPNSM_ISH_E10value_typeEPSI_NS1_7vsmem_tEENKUlT_SG_SH_SI_E_clIS7_S7_SB_PlEESF_SV_SG_SH_SI_EUlSV_E1_NS1_11comp_targetILNS1_3genE4ELNS1_11target_archE910ELNS1_3gpuE8ELNS1_3repE0EEENS1_36merge_oddeven_config_static_selectorELNS0_4arch9wavefront6targetE1EEEvSH_,comdat
	.protected	_ZN7rocprim17ROCPRIM_400000_NS6detail17trampoline_kernelINS0_14default_configENS1_38merge_sort_block_merge_config_selectorIalEEZZNS1_27merge_sort_block_merge_implIS3_PaN6thrust23THRUST_200600_302600_NS10device_ptrIlEEjNS1_19radix_merge_compareILb0ELb1EaNS0_19identity_decomposerEEEEE10hipError_tT0_T1_T2_jT3_P12ihipStream_tbPNSt15iterator_traitsISG_E10value_typeEPNSM_ISH_E10value_typeEPSI_NS1_7vsmem_tEENKUlT_SG_SH_SI_E_clIS7_S7_SB_PlEESF_SV_SG_SH_SI_EUlSV_E1_NS1_11comp_targetILNS1_3genE4ELNS1_11target_archE910ELNS1_3gpuE8ELNS1_3repE0EEENS1_36merge_oddeven_config_static_selectorELNS0_4arch9wavefront6targetE1EEEvSH_ ; -- Begin function _ZN7rocprim17ROCPRIM_400000_NS6detail17trampoline_kernelINS0_14default_configENS1_38merge_sort_block_merge_config_selectorIalEEZZNS1_27merge_sort_block_merge_implIS3_PaN6thrust23THRUST_200600_302600_NS10device_ptrIlEEjNS1_19radix_merge_compareILb0ELb1EaNS0_19identity_decomposerEEEEE10hipError_tT0_T1_T2_jT3_P12ihipStream_tbPNSt15iterator_traitsISG_E10value_typeEPNSM_ISH_E10value_typeEPSI_NS1_7vsmem_tEENKUlT_SG_SH_SI_E_clIS7_S7_SB_PlEESF_SV_SG_SH_SI_EUlSV_E1_NS1_11comp_targetILNS1_3genE4ELNS1_11target_archE910ELNS1_3gpuE8ELNS1_3repE0EEENS1_36merge_oddeven_config_static_selectorELNS0_4arch9wavefront6targetE1EEEvSH_
	.globl	_ZN7rocprim17ROCPRIM_400000_NS6detail17trampoline_kernelINS0_14default_configENS1_38merge_sort_block_merge_config_selectorIalEEZZNS1_27merge_sort_block_merge_implIS3_PaN6thrust23THRUST_200600_302600_NS10device_ptrIlEEjNS1_19radix_merge_compareILb0ELb1EaNS0_19identity_decomposerEEEEE10hipError_tT0_T1_T2_jT3_P12ihipStream_tbPNSt15iterator_traitsISG_E10value_typeEPNSM_ISH_E10value_typeEPSI_NS1_7vsmem_tEENKUlT_SG_SH_SI_E_clIS7_S7_SB_PlEESF_SV_SG_SH_SI_EUlSV_E1_NS1_11comp_targetILNS1_3genE4ELNS1_11target_archE910ELNS1_3gpuE8ELNS1_3repE0EEENS1_36merge_oddeven_config_static_selectorELNS0_4arch9wavefront6targetE1EEEvSH_
	.p2align	8
	.type	_ZN7rocprim17ROCPRIM_400000_NS6detail17trampoline_kernelINS0_14default_configENS1_38merge_sort_block_merge_config_selectorIalEEZZNS1_27merge_sort_block_merge_implIS3_PaN6thrust23THRUST_200600_302600_NS10device_ptrIlEEjNS1_19radix_merge_compareILb0ELb1EaNS0_19identity_decomposerEEEEE10hipError_tT0_T1_T2_jT3_P12ihipStream_tbPNSt15iterator_traitsISG_E10value_typeEPNSM_ISH_E10value_typeEPSI_NS1_7vsmem_tEENKUlT_SG_SH_SI_E_clIS7_S7_SB_PlEESF_SV_SG_SH_SI_EUlSV_E1_NS1_11comp_targetILNS1_3genE4ELNS1_11target_archE910ELNS1_3gpuE8ELNS1_3repE0EEENS1_36merge_oddeven_config_static_selectorELNS0_4arch9wavefront6targetE1EEEvSH_,@function
_ZN7rocprim17ROCPRIM_400000_NS6detail17trampoline_kernelINS0_14default_configENS1_38merge_sort_block_merge_config_selectorIalEEZZNS1_27merge_sort_block_merge_implIS3_PaN6thrust23THRUST_200600_302600_NS10device_ptrIlEEjNS1_19radix_merge_compareILb0ELb1EaNS0_19identity_decomposerEEEEE10hipError_tT0_T1_T2_jT3_P12ihipStream_tbPNSt15iterator_traitsISG_E10value_typeEPNSM_ISH_E10value_typeEPSI_NS1_7vsmem_tEENKUlT_SG_SH_SI_E_clIS7_S7_SB_PlEESF_SV_SG_SH_SI_EUlSV_E1_NS1_11comp_targetILNS1_3genE4ELNS1_11target_archE910ELNS1_3gpuE8ELNS1_3repE0EEENS1_36merge_oddeven_config_static_selectorELNS0_4arch9wavefront6targetE1EEEvSH_: ; @_ZN7rocprim17ROCPRIM_400000_NS6detail17trampoline_kernelINS0_14default_configENS1_38merge_sort_block_merge_config_selectorIalEEZZNS1_27merge_sort_block_merge_implIS3_PaN6thrust23THRUST_200600_302600_NS10device_ptrIlEEjNS1_19radix_merge_compareILb0ELb1EaNS0_19identity_decomposerEEEEE10hipError_tT0_T1_T2_jT3_P12ihipStream_tbPNSt15iterator_traitsISG_E10value_typeEPNSM_ISH_E10value_typeEPSI_NS1_7vsmem_tEENKUlT_SG_SH_SI_E_clIS7_S7_SB_PlEESF_SV_SG_SH_SI_EUlSV_E1_NS1_11comp_targetILNS1_3genE4ELNS1_11target_archE910ELNS1_3gpuE8ELNS1_3repE0EEENS1_36merge_oddeven_config_static_selectorELNS0_4arch9wavefront6targetE1EEEvSH_
; %bb.0:
	.section	.rodata,"a",@progbits
	.p2align	6, 0x0
	.amdhsa_kernel _ZN7rocprim17ROCPRIM_400000_NS6detail17trampoline_kernelINS0_14default_configENS1_38merge_sort_block_merge_config_selectorIalEEZZNS1_27merge_sort_block_merge_implIS3_PaN6thrust23THRUST_200600_302600_NS10device_ptrIlEEjNS1_19radix_merge_compareILb0ELb1EaNS0_19identity_decomposerEEEEE10hipError_tT0_T1_T2_jT3_P12ihipStream_tbPNSt15iterator_traitsISG_E10value_typeEPNSM_ISH_E10value_typeEPSI_NS1_7vsmem_tEENKUlT_SG_SH_SI_E_clIS7_S7_SB_PlEESF_SV_SG_SH_SI_EUlSV_E1_NS1_11comp_targetILNS1_3genE4ELNS1_11target_archE910ELNS1_3gpuE8ELNS1_3repE0EEENS1_36merge_oddeven_config_static_selectorELNS0_4arch9wavefront6targetE1EEEvSH_
		.amdhsa_group_segment_fixed_size 0
		.amdhsa_private_segment_fixed_size 0
		.amdhsa_kernarg_size 48
		.amdhsa_user_sgpr_count 6
		.amdhsa_user_sgpr_private_segment_buffer 1
		.amdhsa_user_sgpr_dispatch_ptr 0
		.amdhsa_user_sgpr_queue_ptr 0
		.amdhsa_user_sgpr_kernarg_segment_ptr 1
		.amdhsa_user_sgpr_dispatch_id 0
		.amdhsa_user_sgpr_flat_scratch_init 0
		.amdhsa_user_sgpr_private_segment_size 0
		.amdhsa_uses_dynamic_stack 0
		.amdhsa_system_sgpr_private_segment_wavefront_offset 0
		.amdhsa_system_sgpr_workgroup_id_x 1
		.amdhsa_system_sgpr_workgroup_id_y 0
		.amdhsa_system_sgpr_workgroup_id_z 0
		.amdhsa_system_sgpr_workgroup_info 0
		.amdhsa_system_vgpr_workitem_id 0
		.amdhsa_next_free_vgpr 1
		.amdhsa_next_free_sgpr 0
		.amdhsa_reserve_vcc 0
		.amdhsa_reserve_flat_scratch 0
		.amdhsa_float_round_mode_32 0
		.amdhsa_float_round_mode_16_64 0
		.amdhsa_float_denorm_mode_32 3
		.amdhsa_float_denorm_mode_16_64 3
		.amdhsa_dx10_clamp 1
		.amdhsa_ieee_mode 1
		.amdhsa_fp16_overflow 0
		.amdhsa_exception_fp_ieee_invalid_op 0
		.amdhsa_exception_fp_denorm_src 0
		.amdhsa_exception_fp_ieee_div_zero 0
		.amdhsa_exception_fp_ieee_overflow 0
		.amdhsa_exception_fp_ieee_underflow 0
		.amdhsa_exception_fp_ieee_inexact 0
		.amdhsa_exception_int_div_zero 0
	.end_amdhsa_kernel
	.section	.text._ZN7rocprim17ROCPRIM_400000_NS6detail17trampoline_kernelINS0_14default_configENS1_38merge_sort_block_merge_config_selectorIalEEZZNS1_27merge_sort_block_merge_implIS3_PaN6thrust23THRUST_200600_302600_NS10device_ptrIlEEjNS1_19radix_merge_compareILb0ELb1EaNS0_19identity_decomposerEEEEE10hipError_tT0_T1_T2_jT3_P12ihipStream_tbPNSt15iterator_traitsISG_E10value_typeEPNSM_ISH_E10value_typeEPSI_NS1_7vsmem_tEENKUlT_SG_SH_SI_E_clIS7_S7_SB_PlEESF_SV_SG_SH_SI_EUlSV_E1_NS1_11comp_targetILNS1_3genE4ELNS1_11target_archE910ELNS1_3gpuE8ELNS1_3repE0EEENS1_36merge_oddeven_config_static_selectorELNS0_4arch9wavefront6targetE1EEEvSH_,"axG",@progbits,_ZN7rocprim17ROCPRIM_400000_NS6detail17trampoline_kernelINS0_14default_configENS1_38merge_sort_block_merge_config_selectorIalEEZZNS1_27merge_sort_block_merge_implIS3_PaN6thrust23THRUST_200600_302600_NS10device_ptrIlEEjNS1_19radix_merge_compareILb0ELb1EaNS0_19identity_decomposerEEEEE10hipError_tT0_T1_T2_jT3_P12ihipStream_tbPNSt15iterator_traitsISG_E10value_typeEPNSM_ISH_E10value_typeEPSI_NS1_7vsmem_tEENKUlT_SG_SH_SI_E_clIS7_S7_SB_PlEESF_SV_SG_SH_SI_EUlSV_E1_NS1_11comp_targetILNS1_3genE4ELNS1_11target_archE910ELNS1_3gpuE8ELNS1_3repE0EEENS1_36merge_oddeven_config_static_selectorELNS0_4arch9wavefront6targetE1EEEvSH_,comdat
.Lfunc_end577:
	.size	_ZN7rocprim17ROCPRIM_400000_NS6detail17trampoline_kernelINS0_14default_configENS1_38merge_sort_block_merge_config_selectorIalEEZZNS1_27merge_sort_block_merge_implIS3_PaN6thrust23THRUST_200600_302600_NS10device_ptrIlEEjNS1_19radix_merge_compareILb0ELb1EaNS0_19identity_decomposerEEEEE10hipError_tT0_T1_T2_jT3_P12ihipStream_tbPNSt15iterator_traitsISG_E10value_typeEPNSM_ISH_E10value_typeEPSI_NS1_7vsmem_tEENKUlT_SG_SH_SI_E_clIS7_S7_SB_PlEESF_SV_SG_SH_SI_EUlSV_E1_NS1_11comp_targetILNS1_3genE4ELNS1_11target_archE910ELNS1_3gpuE8ELNS1_3repE0EEENS1_36merge_oddeven_config_static_selectorELNS0_4arch9wavefront6targetE1EEEvSH_, .Lfunc_end577-_ZN7rocprim17ROCPRIM_400000_NS6detail17trampoline_kernelINS0_14default_configENS1_38merge_sort_block_merge_config_selectorIalEEZZNS1_27merge_sort_block_merge_implIS3_PaN6thrust23THRUST_200600_302600_NS10device_ptrIlEEjNS1_19radix_merge_compareILb0ELb1EaNS0_19identity_decomposerEEEEE10hipError_tT0_T1_T2_jT3_P12ihipStream_tbPNSt15iterator_traitsISG_E10value_typeEPNSM_ISH_E10value_typeEPSI_NS1_7vsmem_tEENKUlT_SG_SH_SI_E_clIS7_S7_SB_PlEESF_SV_SG_SH_SI_EUlSV_E1_NS1_11comp_targetILNS1_3genE4ELNS1_11target_archE910ELNS1_3gpuE8ELNS1_3repE0EEENS1_36merge_oddeven_config_static_selectorELNS0_4arch9wavefront6targetE1EEEvSH_
                                        ; -- End function
	.set _ZN7rocprim17ROCPRIM_400000_NS6detail17trampoline_kernelINS0_14default_configENS1_38merge_sort_block_merge_config_selectorIalEEZZNS1_27merge_sort_block_merge_implIS3_PaN6thrust23THRUST_200600_302600_NS10device_ptrIlEEjNS1_19radix_merge_compareILb0ELb1EaNS0_19identity_decomposerEEEEE10hipError_tT0_T1_T2_jT3_P12ihipStream_tbPNSt15iterator_traitsISG_E10value_typeEPNSM_ISH_E10value_typeEPSI_NS1_7vsmem_tEENKUlT_SG_SH_SI_E_clIS7_S7_SB_PlEESF_SV_SG_SH_SI_EUlSV_E1_NS1_11comp_targetILNS1_3genE4ELNS1_11target_archE910ELNS1_3gpuE8ELNS1_3repE0EEENS1_36merge_oddeven_config_static_selectorELNS0_4arch9wavefront6targetE1EEEvSH_.num_vgpr, 0
	.set _ZN7rocprim17ROCPRIM_400000_NS6detail17trampoline_kernelINS0_14default_configENS1_38merge_sort_block_merge_config_selectorIalEEZZNS1_27merge_sort_block_merge_implIS3_PaN6thrust23THRUST_200600_302600_NS10device_ptrIlEEjNS1_19radix_merge_compareILb0ELb1EaNS0_19identity_decomposerEEEEE10hipError_tT0_T1_T2_jT3_P12ihipStream_tbPNSt15iterator_traitsISG_E10value_typeEPNSM_ISH_E10value_typeEPSI_NS1_7vsmem_tEENKUlT_SG_SH_SI_E_clIS7_S7_SB_PlEESF_SV_SG_SH_SI_EUlSV_E1_NS1_11comp_targetILNS1_3genE4ELNS1_11target_archE910ELNS1_3gpuE8ELNS1_3repE0EEENS1_36merge_oddeven_config_static_selectorELNS0_4arch9wavefront6targetE1EEEvSH_.num_agpr, 0
	.set _ZN7rocprim17ROCPRIM_400000_NS6detail17trampoline_kernelINS0_14default_configENS1_38merge_sort_block_merge_config_selectorIalEEZZNS1_27merge_sort_block_merge_implIS3_PaN6thrust23THRUST_200600_302600_NS10device_ptrIlEEjNS1_19radix_merge_compareILb0ELb1EaNS0_19identity_decomposerEEEEE10hipError_tT0_T1_T2_jT3_P12ihipStream_tbPNSt15iterator_traitsISG_E10value_typeEPNSM_ISH_E10value_typeEPSI_NS1_7vsmem_tEENKUlT_SG_SH_SI_E_clIS7_S7_SB_PlEESF_SV_SG_SH_SI_EUlSV_E1_NS1_11comp_targetILNS1_3genE4ELNS1_11target_archE910ELNS1_3gpuE8ELNS1_3repE0EEENS1_36merge_oddeven_config_static_selectorELNS0_4arch9wavefront6targetE1EEEvSH_.numbered_sgpr, 0
	.set _ZN7rocprim17ROCPRIM_400000_NS6detail17trampoline_kernelINS0_14default_configENS1_38merge_sort_block_merge_config_selectorIalEEZZNS1_27merge_sort_block_merge_implIS3_PaN6thrust23THRUST_200600_302600_NS10device_ptrIlEEjNS1_19radix_merge_compareILb0ELb1EaNS0_19identity_decomposerEEEEE10hipError_tT0_T1_T2_jT3_P12ihipStream_tbPNSt15iterator_traitsISG_E10value_typeEPNSM_ISH_E10value_typeEPSI_NS1_7vsmem_tEENKUlT_SG_SH_SI_E_clIS7_S7_SB_PlEESF_SV_SG_SH_SI_EUlSV_E1_NS1_11comp_targetILNS1_3genE4ELNS1_11target_archE910ELNS1_3gpuE8ELNS1_3repE0EEENS1_36merge_oddeven_config_static_selectorELNS0_4arch9wavefront6targetE1EEEvSH_.num_named_barrier, 0
	.set _ZN7rocprim17ROCPRIM_400000_NS6detail17trampoline_kernelINS0_14default_configENS1_38merge_sort_block_merge_config_selectorIalEEZZNS1_27merge_sort_block_merge_implIS3_PaN6thrust23THRUST_200600_302600_NS10device_ptrIlEEjNS1_19radix_merge_compareILb0ELb1EaNS0_19identity_decomposerEEEEE10hipError_tT0_T1_T2_jT3_P12ihipStream_tbPNSt15iterator_traitsISG_E10value_typeEPNSM_ISH_E10value_typeEPSI_NS1_7vsmem_tEENKUlT_SG_SH_SI_E_clIS7_S7_SB_PlEESF_SV_SG_SH_SI_EUlSV_E1_NS1_11comp_targetILNS1_3genE4ELNS1_11target_archE910ELNS1_3gpuE8ELNS1_3repE0EEENS1_36merge_oddeven_config_static_selectorELNS0_4arch9wavefront6targetE1EEEvSH_.private_seg_size, 0
	.set _ZN7rocprim17ROCPRIM_400000_NS6detail17trampoline_kernelINS0_14default_configENS1_38merge_sort_block_merge_config_selectorIalEEZZNS1_27merge_sort_block_merge_implIS3_PaN6thrust23THRUST_200600_302600_NS10device_ptrIlEEjNS1_19radix_merge_compareILb0ELb1EaNS0_19identity_decomposerEEEEE10hipError_tT0_T1_T2_jT3_P12ihipStream_tbPNSt15iterator_traitsISG_E10value_typeEPNSM_ISH_E10value_typeEPSI_NS1_7vsmem_tEENKUlT_SG_SH_SI_E_clIS7_S7_SB_PlEESF_SV_SG_SH_SI_EUlSV_E1_NS1_11comp_targetILNS1_3genE4ELNS1_11target_archE910ELNS1_3gpuE8ELNS1_3repE0EEENS1_36merge_oddeven_config_static_selectorELNS0_4arch9wavefront6targetE1EEEvSH_.uses_vcc, 0
	.set _ZN7rocprim17ROCPRIM_400000_NS6detail17trampoline_kernelINS0_14default_configENS1_38merge_sort_block_merge_config_selectorIalEEZZNS1_27merge_sort_block_merge_implIS3_PaN6thrust23THRUST_200600_302600_NS10device_ptrIlEEjNS1_19radix_merge_compareILb0ELb1EaNS0_19identity_decomposerEEEEE10hipError_tT0_T1_T2_jT3_P12ihipStream_tbPNSt15iterator_traitsISG_E10value_typeEPNSM_ISH_E10value_typeEPSI_NS1_7vsmem_tEENKUlT_SG_SH_SI_E_clIS7_S7_SB_PlEESF_SV_SG_SH_SI_EUlSV_E1_NS1_11comp_targetILNS1_3genE4ELNS1_11target_archE910ELNS1_3gpuE8ELNS1_3repE0EEENS1_36merge_oddeven_config_static_selectorELNS0_4arch9wavefront6targetE1EEEvSH_.uses_flat_scratch, 0
	.set _ZN7rocprim17ROCPRIM_400000_NS6detail17trampoline_kernelINS0_14default_configENS1_38merge_sort_block_merge_config_selectorIalEEZZNS1_27merge_sort_block_merge_implIS3_PaN6thrust23THRUST_200600_302600_NS10device_ptrIlEEjNS1_19radix_merge_compareILb0ELb1EaNS0_19identity_decomposerEEEEE10hipError_tT0_T1_T2_jT3_P12ihipStream_tbPNSt15iterator_traitsISG_E10value_typeEPNSM_ISH_E10value_typeEPSI_NS1_7vsmem_tEENKUlT_SG_SH_SI_E_clIS7_S7_SB_PlEESF_SV_SG_SH_SI_EUlSV_E1_NS1_11comp_targetILNS1_3genE4ELNS1_11target_archE910ELNS1_3gpuE8ELNS1_3repE0EEENS1_36merge_oddeven_config_static_selectorELNS0_4arch9wavefront6targetE1EEEvSH_.has_dyn_sized_stack, 0
	.set _ZN7rocprim17ROCPRIM_400000_NS6detail17trampoline_kernelINS0_14default_configENS1_38merge_sort_block_merge_config_selectorIalEEZZNS1_27merge_sort_block_merge_implIS3_PaN6thrust23THRUST_200600_302600_NS10device_ptrIlEEjNS1_19radix_merge_compareILb0ELb1EaNS0_19identity_decomposerEEEEE10hipError_tT0_T1_T2_jT3_P12ihipStream_tbPNSt15iterator_traitsISG_E10value_typeEPNSM_ISH_E10value_typeEPSI_NS1_7vsmem_tEENKUlT_SG_SH_SI_E_clIS7_S7_SB_PlEESF_SV_SG_SH_SI_EUlSV_E1_NS1_11comp_targetILNS1_3genE4ELNS1_11target_archE910ELNS1_3gpuE8ELNS1_3repE0EEENS1_36merge_oddeven_config_static_selectorELNS0_4arch9wavefront6targetE1EEEvSH_.has_recursion, 0
	.set _ZN7rocprim17ROCPRIM_400000_NS6detail17trampoline_kernelINS0_14default_configENS1_38merge_sort_block_merge_config_selectorIalEEZZNS1_27merge_sort_block_merge_implIS3_PaN6thrust23THRUST_200600_302600_NS10device_ptrIlEEjNS1_19radix_merge_compareILb0ELb1EaNS0_19identity_decomposerEEEEE10hipError_tT0_T1_T2_jT3_P12ihipStream_tbPNSt15iterator_traitsISG_E10value_typeEPNSM_ISH_E10value_typeEPSI_NS1_7vsmem_tEENKUlT_SG_SH_SI_E_clIS7_S7_SB_PlEESF_SV_SG_SH_SI_EUlSV_E1_NS1_11comp_targetILNS1_3genE4ELNS1_11target_archE910ELNS1_3gpuE8ELNS1_3repE0EEENS1_36merge_oddeven_config_static_selectorELNS0_4arch9wavefront6targetE1EEEvSH_.has_indirect_call, 0
	.section	.AMDGPU.csdata,"",@progbits
; Kernel info:
; codeLenInByte = 0
; TotalNumSgprs: 4
; NumVgprs: 0
; ScratchSize: 0
; MemoryBound: 0
; FloatMode: 240
; IeeeMode: 1
; LDSByteSize: 0 bytes/workgroup (compile time only)
; SGPRBlocks: 0
; VGPRBlocks: 0
; NumSGPRsForWavesPerEU: 4
; NumVGPRsForWavesPerEU: 1
; Occupancy: 10
; WaveLimiterHint : 0
; COMPUTE_PGM_RSRC2:SCRATCH_EN: 0
; COMPUTE_PGM_RSRC2:USER_SGPR: 6
; COMPUTE_PGM_RSRC2:TRAP_HANDLER: 0
; COMPUTE_PGM_RSRC2:TGID_X_EN: 1
; COMPUTE_PGM_RSRC2:TGID_Y_EN: 0
; COMPUTE_PGM_RSRC2:TGID_Z_EN: 0
; COMPUTE_PGM_RSRC2:TIDIG_COMP_CNT: 0
	.section	.text._ZN7rocprim17ROCPRIM_400000_NS6detail17trampoline_kernelINS0_14default_configENS1_38merge_sort_block_merge_config_selectorIalEEZZNS1_27merge_sort_block_merge_implIS3_PaN6thrust23THRUST_200600_302600_NS10device_ptrIlEEjNS1_19radix_merge_compareILb0ELb1EaNS0_19identity_decomposerEEEEE10hipError_tT0_T1_T2_jT3_P12ihipStream_tbPNSt15iterator_traitsISG_E10value_typeEPNSM_ISH_E10value_typeEPSI_NS1_7vsmem_tEENKUlT_SG_SH_SI_E_clIS7_S7_SB_PlEESF_SV_SG_SH_SI_EUlSV_E1_NS1_11comp_targetILNS1_3genE3ELNS1_11target_archE908ELNS1_3gpuE7ELNS1_3repE0EEENS1_36merge_oddeven_config_static_selectorELNS0_4arch9wavefront6targetE1EEEvSH_,"axG",@progbits,_ZN7rocprim17ROCPRIM_400000_NS6detail17trampoline_kernelINS0_14default_configENS1_38merge_sort_block_merge_config_selectorIalEEZZNS1_27merge_sort_block_merge_implIS3_PaN6thrust23THRUST_200600_302600_NS10device_ptrIlEEjNS1_19radix_merge_compareILb0ELb1EaNS0_19identity_decomposerEEEEE10hipError_tT0_T1_T2_jT3_P12ihipStream_tbPNSt15iterator_traitsISG_E10value_typeEPNSM_ISH_E10value_typeEPSI_NS1_7vsmem_tEENKUlT_SG_SH_SI_E_clIS7_S7_SB_PlEESF_SV_SG_SH_SI_EUlSV_E1_NS1_11comp_targetILNS1_3genE3ELNS1_11target_archE908ELNS1_3gpuE7ELNS1_3repE0EEENS1_36merge_oddeven_config_static_selectorELNS0_4arch9wavefront6targetE1EEEvSH_,comdat
	.protected	_ZN7rocprim17ROCPRIM_400000_NS6detail17trampoline_kernelINS0_14default_configENS1_38merge_sort_block_merge_config_selectorIalEEZZNS1_27merge_sort_block_merge_implIS3_PaN6thrust23THRUST_200600_302600_NS10device_ptrIlEEjNS1_19radix_merge_compareILb0ELb1EaNS0_19identity_decomposerEEEEE10hipError_tT0_T1_T2_jT3_P12ihipStream_tbPNSt15iterator_traitsISG_E10value_typeEPNSM_ISH_E10value_typeEPSI_NS1_7vsmem_tEENKUlT_SG_SH_SI_E_clIS7_S7_SB_PlEESF_SV_SG_SH_SI_EUlSV_E1_NS1_11comp_targetILNS1_3genE3ELNS1_11target_archE908ELNS1_3gpuE7ELNS1_3repE0EEENS1_36merge_oddeven_config_static_selectorELNS0_4arch9wavefront6targetE1EEEvSH_ ; -- Begin function _ZN7rocprim17ROCPRIM_400000_NS6detail17trampoline_kernelINS0_14default_configENS1_38merge_sort_block_merge_config_selectorIalEEZZNS1_27merge_sort_block_merge_implIS3_PaN6thrust23THRUST_200600_302600_NS10device_ptrIlEEjNS1_19radix_merge_compareILb0ELb1EaNS0_19identity_decomposerEEEEE10hipError_tT0_T1_T2_jT3_P12ihipStream_tbPNSt15iterator_traitsISG_E10value_typeEPNSM_ISH_E10value_typeEPSI_NS1_7vsmem_tEENKUlT_SG_SH_SI_E_clIS7_S7_SB_PlEESF_SV_SG_SH_SI_EUlSV_E1_NS1_11comp_targetILNS1_3genE3ELNS1_11target_archE908ELNS1_3gpuE7ELNS1_3repE0EEENS1_36merge_oddeven_config_static_selectorELNS0_4arch9wavefront6targetE1EEEvSH_
	.globl	_ZN7rocprim17ROCPRIM_400000_NS6detail17trampoline_kernelINS0_14default_configENS1_38merge_sort_block_merge_config_selectorIalEEZZNS1_27merge_sort_block_merge_implIS3_PaN6thrust23THRUST_200600_302600_NS10device_ptrIlEEjNS1_19radix_merge_compareILb0ELb1EaNS0_19identity_decomposerEEEEE10hipError_tT0_T1_T2_jT3_P12ihipStream_tbPNSt15iterator_traitsISG_E10value_typeEPNSM_ISH_E10value_typeEPSI_NS1_7vsmem_tEENKUlT_SG_SH_SI_E_clIS7_S7_SB_PlEESF_SV_SG_SH_SI_EUlSV_E1_NS1_11comp_targetILNS1_3genE3ELNS1_11target_archE908ELNS1_3gpuE7ELNS1_3repE0EEENS1_36merge_oddeven_config_static_selectorELNS0_4arch9wavefront6targetE1EEEvSH_
	.p2align	8
	.type	_ZN7rocprim17ROCPRIM_400000_NS6detail17trampoline_kernelINS0_14default_configENS1_38merge_sort_block_merge_config_selectorIalEEZZNS1_27merge_sort_block_merge_implIS3_PaN6thrust23THRUST_200600_302600_NS10device_ptrIlEEjNS1_19radix_merge_compareILb0ELb1EaNS0_19identity_decomposerEEEEE10hipError_tT0_T1_T2_jT3_P12ihipStream_tbPNSt15iterator_traitsISG_E10value_typeEPNSM_ISH_E10value_typeEPSI_NS1_7vsmem_tEENKUlT_SG_SH_SI_E_clIS7_S7_SB_PlEESF_SV_SG_SH_SI_EUlSV_E1_NS1_11comp_targetILNS1_3genE3ELNS1_11target_archE908ELNS1_3gpuE7ELNS1_3repE0EEENS1_36merge_oddeven_config_static_selectorELNS0_4arch9wavefront6targetE1EEEvSH_,@function
_ZN7rocprim17ROCPRIM_400000_NS6detail17trampoline_kernelINS0_14default_configENS1_38merge_sort_block_merge_config_selectorIalEEZZNS1_27merge_sort_block_merge_implIS3_PaN6thrust23THRUST_200600_302600_NS10device_ptrIlEEjNS1_19radix_merge_compareILb0ELb1EaNS0_19identity_decomposerEEEEE10hipError_tT0_T1_T2_jT3_P12ihipStream_tbPNSt15iterator_traitsISG_E10value_typeEPNSM_ISH_E10value_typeEPSI_NS1_7vsmem_tEENKUlT_SG_SH_SI_E_clIS7_S7_SB_PlEESF_SV_SG_SH_SI_EUlSV_E1_NS1_11comp_targetILNS1_3genE3ELNS1_11target_archE908ELNS1_3gpuE7ELNS1_3repE0EEENS1_36merge_oddeven_config_static_selectorELNS0_4arch9wavefront6targetE1EEEvSH_: ; @_ZN7rocprim17ROCPRIM_400000_NS6detail17trampoline_kernelINS0_14default_configENS1_38merge_sort_block_merge_config_selectorIalEEZZNS1_27merge_sort_block_merge_implIS3_PaN6thrust23THRUST_200600_302600_NS10device_ptrIlEEjNS1_19radix_merge_compareILb0ELb1EaNS0_19identity_decomposerEEEEE10hipError_tT0_T1_T2_jT3_P12ihipStream_tbPNSt15iterator_traitsISG_E10value_typeEPNSM_ISH_E10value_typeEPSI_NS1_7vsmem_tEENKUlT_SG_SH_SI_E_clIS7_S7_SB_PlEESF_SV_SG_SH_SI_EUlSV_E1_NS1_11comp_targetILNS1_3genE3ELNS1_11target_archE908ELNS1_3gpuE7ELNS1_3repE0EEENS1_36merge_oddeven_config_static_selectorELNS0_4arch9wavefront6targetE1EEEvSH_
; %bb.0:
	.section	.rodata,"a",@progbits
	.p2align	6, 0x0
	.amdhsa_kernel _ZN7rocprim17ROCPRIM_400000_NS6detail17trampoline_kernelINS0_14default_configENS1_38merge_sort_block_merge_config_selectorIalEEZZNS1_27merge_sort_block_merge_implIS3_PaN6thrust23THRUST_200600_302600_NS10device_ptrIlEEjNS1_19radix_merge_compareILb0ELb1EaNS0_19identity_decomposerEEEEE10hipError_tT0_T1_T2_jT3_P12ihipStream_tbPNSt15iterator_traitsISG_E10value_typeEPNSM_ISH_E10value_typeEPSI_NS1_7vsmem_tEENKUlT_SG_SH_SI_E_clIS7_S7_SB_PlEESF_SV_SG_SH_SI_EUlSV_E1_NS1_11comp_targetILNS1_3genE3ELNS1_11target_archE908ELNS1_3gpuE7ELNS1_3repE0EEENS1_36merge_oddeven_config_static_selectorELNS0_4arch9wavefront6targetE1EEEvSH_
		.amdhsa_group_segment_fixed_size 0
		.amdhsa_private_segment_fixed_size 0
		.amdhsa_kernarg_size 48
		.amdhsa_user_sgpr_count 6
		.amdhsa_user_sgpr_private_segment_buffer 1
		.amdhsa_user_sgpr_dispatch_ptr 0
		.amdhsa_user_sgpr_queue_ptr 0
		.amdhsa_user_sgpr_kernarg_segment_ptr 1
		.amdhsa_user_sgpr_dispatch_id 0
		.amdhsa_user_sgpr_flat_scratch_init 0
		.amdhsa_user_sgpr_private_segment_size 0
		.amdhsa_uses_dynamic_stack 0
		.amdhsa_system_sgpr_private_segment_wavefront_offset 0
		.amdhsa_system_sgpr_workgroup_id_x 1
		.amdhsa_system_sgpr_workgroup_id_y 0
		.amdhsa_system_sgpr_workgroup_id_z 0
		.amdhsa_system_sgpr_workgroup_info 0
		.amdhsa_system_vgpr_workitem_id 0
		.amdhsa_next_free_vgpr 1
		.amdhsa_next_free_sgpr 0
		.amdhsa_reserve_vcc 0
		.amdhsa_reserve_flat_scratch 0
		.amdhsa_float_round_mode_32 0
		.amdhsa_float_round_mode_16_64 0
		.amdhsa_float_denorm_mode_32 3
		.amdhsa_float_denorm_mode_16_64 3
		.amdhsa_dx10_clamp 1
		.amdhsa_ieee_mode 1
		.amdhsa_fp16_overflow 0
		.amdhsa_exception_fp_ieee_invalid_op 0
		.amdhsa_exception_fp_denorm_src 0
		.amdhsa_exception_fp_ieee_div_zero 0
		.amdhsa_exception_fp_ieee_overflow 0
		.amdhsa_exception_fp_ieee_underflow 0
		.amdhsa_exception_fp_ieee_inexact 0
		.amdhsa_exception_int_div_zero 0
	.end_amdhsa_kernel
	.section	.text._ZN7rocprim17ROCPRIM_400000_NS6detail17trampoline_kernelINS0_14default_configENS1_38merge_sort_block_merge_config_selectorIalEEZZNS1_27merge_sort_block_merge_implIS3_PaN6thrust23THRUST_200600_302600_NS10device_ptrIlEEjNS1_19radix_merge_compareILb0ELb1EaNS0_19identity_decomposerEEEEE10hipError_tT0_T1_T2_jT3_P12ihipStream_tbPNSt15iterator_traitsISG_E10value_typeEPNSM_ISH_E10value_typeEPSI_NS1_7vsmem_tEENKUlT_SG_SH_SI_E_clIS7_S7_SB_PlEESF_SV_SG_SH_SI_EUlSV_E1_NS1_11comp_targetILNS1_3genE3ELNS1_11target_archE908ELNS1_3gpuE7ELNS1_3repE0EEENS1_36merge_oddeven_config_static_selectorELNS0_4arch9wavefront6targetE1EEEvSH_,"axG",@progbits,_ZN7rocprim17ROCPRIM_400000_NS6detail17trampoline_kernelINS0_14default_configENS1_38merge_sort_block_merge_config_selectorIalEEZZNS1_27merge_sort_block_merge_implIS3_PaN6thrust23THRUST_200600_302600_NS10device_ptrIlEEjNS1_19radix_merge_compareILb0ELb1EaNS0_19identity_decomposerEEEEE10hipError_tT0_T1_T2_jT3_P12ihipStream_tbPNSt15iterator_traitsISG_E10value_typeEPNSM_ISH_E10value_typeEPSI_NS1_7vsmem_tEENKUlT_SG_SH_SI_E_clIS7_S7_SB_PlEESF_SV_SG_SH_SI_EUlSV_E1_NS1_11comp_targetILNS1_3genE3ELNS1_11target_archE908ELNS1_3gpuE7ELNS1_3repE0EEENS1_36merge_oddeven_config_static_selectorELNS0_4arch9wavefront6targetE1EEEvSH_,comdat
.Lfunc_end578:
	.size	_ZN7rocprim17ROCPRIM_400000_NS6detail17trampoline_kernelINS0_14default_configENS1_38merge_sort_block_merge_config_selectorIalEEZZNS1_27merge_sort_block_merge_implIS3_PaN6thrust23THRUST_200600_302600_NS10device_ptrIlEEjNS1_19radix_merge_compareILb0ELb1EaNS0_19identity_decomposerEEEEE10hipError_tT0_T1_T2_jT3_P12ihipStream_tbPNSt15iterator_traitsISG_E10value_typeEPNSM_ISH_E10value_typeEPSI_NS1_7vsmem_tEENKUlT_SG_SH_SI_E_clIS7_S7_SB_PlEESF_SV_SG_SH_SI_EUlSV_E1_NS1_11comp_targetILNS1_3genE3ELNS1_11target_archE908ELNS1_3gpuE7ELNS1_3repE0EEENS1_36merge_oddeven_config_static_selectorELNS0_4arch9wavefront6targetE1EEEvSH_, .Lfunc_end578-_ZN7rocprim17ROCPRIM_400000_NS6detail17trampoline_kernelINS0_14default_configENS1_38merge_sort_block_merge_config_selectorIalEEZZNS1_27merge_sort_block_merge_implIS3_PaN6thrust23THRUST_200600_302600_NS10device_ptrIlEEjNS1_19radix_merge_compareILb0ELb1EaNS0_19identity_decomposerEEEEE10hipError_tT0_T1_T2_jT3_P12ihipStream_tbPNSt15iterator_traitsISG_E10value_typeEPNSM_ISH_E10value_typeEPSI_NS1_7vsmem_tEENKUlT_SG_SH_SI_E_clIS7_S7_SB_PlEESF_SV_SG_SH_SI_EUlSV_E1_NS1_11comp_targetILNS1_3genE3ELNS1_11target_archE908ELNS1_3gpuE7ELNS1_3repE0EEENS1_36merge_oddeven_config_static_selectorELNS0_4arch9wavefront6targetE1EEEvSH_
                                        ; -- End function
	.set _ZN7rocprim17ROCPRIM_400000_NS6detail17trampoline_kernelINS0_14default_configENS1_38merge_sort_block_merge_config_selectorIalEEZZNS1_27merge_sort_block_merge_implIS3_PaN6thrust23THRUST_200600_302600_NS10device_ptrIlEEjNS1_19radix_merge_compareILb0ELb1EaNS0_19identity_decomposerEEEEE10hipError_tT0_T1_T2_jT3_P12ihipStream_tbPNSt15iterator_traitsISG_E10value_typeEPNSM_ISH_E10value_typeEPSI_NS1_7vsmem_tEENKUlT_SG_SH_SI_E_clIS7_S7_SB_PlEESF_SV_SG_SH_SI_EUlSV_E1_NS1_11comp_targetILNS1_3genE3ELNS1_11target_archE908ELNS1_3gpuE7ELNS1_3repE0EEENS1_36merge_oddeven_config_static_selectorELNS0_4arch9wavefront6targetE1EEEvSH_.num_vgpr, 0
	.set _ZN7rocprim17ROCPRIM_400000_NS6detail17trampoline_kernelINS0_14default_configENS1_38merge_sort_block_merge_config_selectorIalEEZZNS1_27merge_sort_block_merge_implIS3_PaN6thrust23THRUST_200600_302600_NS10device_ptrIlEEjNS1_19radix_merge_compareILb0ELb1EaNS0_19identity_decomposerEEEEE10hipError_tT0_T1_T2_jT3_P12ihipStream_tbPNSt15iterator_traitsISG_E10value_typeEPNSM_ISH_E10value_typeEPSI_NS1_7vsmem_tEENKUlT_SG_SH_SI_E_clIS7_S7_SB_PlEESF_SV_SG_SH_SI_EUlSV_E1_NS1_11comp_targetILNS1_3genE3ELNS1_11target_archE908ELNS1_3gpuE7ELNS1_3repE0EEENS1_36merge_oddeven_config_static_selectorELNS0_4arch9wavefront6targetE1EEEvSH_.num_agpr, 0
	.set _ZN7rocprim17ROCPRIM_400000_NS6detail17trampoline_kernelINS0_14default_configENS1_38merge_sort_block_merge_config_selectorIalEEZZNS1_27merge_sort_block_merge_implIS3_PaN6thrust23THRUST_200600_302600_NS10device_ptrIlEEjNS1_19radix_merge_compareILb0ELb1EaNS0_19identity_decomposerEEEEE10hipError_tT0_T1_T2_jT3_P12ihipStream_tbPNSt15iterator_traitsISG_E10value_typeEPNSM_ISH_E10value_typeEPSI_NS1_7vsmem_tEENKUlT_SG_SH_SI_E_clIS7_S7_SB_PlEESF_SV_SG_SH_SI_EUlSV_E1_NS1_11comp_targetILNS1_3genE3ELNS1_11target_archE908ELNS1_3gpuE7ELNS1_3repE0EEENS1_36merge_oddeven_config_static_selectorELNS0_4arch9wavefront6targetE1EEEvSH_.numbered_sgpr, 0
	.set _ZN7rocprim17ROCPRIM_400000_NS6detail17trampoline_kernelINS0_14default_configENS1_38merge_sort_block_merge_config_selectorIalEEZZNS1_27merge_sort_block_merge_implIS3_PaN6thrust23THRUST_200600_302600_NS10device_ptrIlEEjNS1_19radix_merge_compareILb0ELb1EaNS0_19identity_decomposerEEEEE10hipError_tT0_T1_T2_jT3_P12ihipStream_tbPNSt15iterator_traitsISG_E10value_typeEPNSM_ISH_E10value_typeEPSI_NS1_7vsmem_tEENKUlT_SG_SH_SI_E_clIS7_S7_SB_PlEESF_SV_SG_SH_SI_EUlSV_E1_NS1_11comp_targetILNS1_3genE3ELNS1_11target_archE908ELNS1_3gpuE7ELNS1_3repE0EEENS1_36merge_oddeven_config_static_selectorELNS0_4arch9wavefront6targetE1EEEvSH_.num_named_barrier, 0
	.set _ZN7rocprim17ROCPRIM_400000_NS6detail17trampoline_kernelINS0_14default_configENS1_38merge_sort_block_merge_config_selectorIalEEZZNS1_27merge_sort_block_merge_implIS3_PaN6thrust23THRUST_200600_302600_NS10device_ptrIlEEjNS1_19radix_merge_compareILb0ELb1EaNS0_19identity_decomposerEEEEE10hipError_tT0_T1_T2_jT3_P12ihipStream_tbPNSt15iterator_traitsISG_E10value_typeEPNSM_ISH_E10value_typeEPSI_NS1_7vsmem_tEENKUlT_SG_SH_SI_E_clIS7_S7_SB_PlEESF_SV_SG_SH_SI_EUlSV_E1_NS1_11comp_targetILNS1_3genE3ELNS1_11target_archE908ELNS1_3gpuE7ELNS1_3repE0EEENS1_36merge_oddeven_config_static_selectorELNS0_4arch9wavefront6targetE1EEEvSH_.private_seg_size, 0
	.set _ZN7rocprim17ROCPRIM_400000_NS6detail17trampoline_kernelINS0_14default_configENS1_38merge_sort_block_merge_config_selectorIalEEZZNS1_27merge_sort_block_merge_implIS3_PaN6thrust23THRUST_200600_302600_NS10device_ptrIlEEjNS1_19radix_merge_compareILb0ELb1EaNS0_19identity_decomposerEEEEE10hipError_tT0_T1_T2_jT3_P12ihipStream_tbPNSt15iterator_traitsISG_E10value_typeEPNSM_ISH_E10value_typeEPSI_NS1_7vsmem_tEENKUlT_SG_SH_SI_E_clIS7_S7_SB_PlEESF_SV_SG_SH_SI_EUlSV_E1_NS1_11comp_targetILNS1_3genE3ELNS1_11target_archE908ELNS1_3gpuE7ELNS1_3repE0EEENS1_36merge_oddeven_config_static_selectorELNS0_4arch9wavefront6targetE1EEEvSH_.uses_vcc, 0
	.set _ZN7rocprim17ROCPRIM_400000_NS6detail17trampoline_kernelINS0_14default_configENS1_38merge_sort_block_merge_config_selectorIalEEZZNS1_27merge_sort_block_merge_implIS3_PaN6thrust23THRUST_200600_302600_NS10device_ptrIlEEjNS1_19radix_merge_compareILb0ELb1EaNS0_19identity_decomposerEEEEE10hipError_tT0_T1_T2_jT3_P12ihipStream_tbPNSt15iterator_traitsISG_E10value_typeEPNSM_ISH_E10value_typeEPSI_NS1_7vsmem_tEENKUlT_SG_SH_SI_E_clIS7_S7_SB_PlEESF_SV_SG_SH_SI_EUlSV_E1_NS1_11comp_targetILNS1_3genE3ELNS1_11target_archE908ELNS1_3gpuE7ELNS1_3repE0EEENS1_36merge_oddeven_config_static_selectorELNS0_4arch9wavefront6targetE1EEEvSH_.uses_flat_scratch, 0
	.set _ZN7rocprim17ROCPRIM_400000_NS6detail17trampoline_kernelINS0_14default_configENS1_38merge_sort_block_merge_config_selectorIalEEZZNS1_27merge_sort_block_merge_implIS3_PaN6thrust23THRUST_200600_302600_NS10device_ptrIlEEjNS1_19radix_merge_compareILb0ELb1EaNS0_19identity_decomposerEEEEE10hipError_tT0_T1_T2_jT3_P12ihipStream_tbPNSt15iterator_traitsISG_E10value_typeEPNSM_ISH_E10value_typeEPSI_NS1_7vsmem_tEENKUlT_SG_SH_SI_E_clIS7_S7_SB_PlEESF_SV_SG_SH_SI_EUlSV_E1_NS1_11comp_targetILNS1_3genE3ELNS1_11target_archE908ELNS1_3gpuE7ELNS1_3repE0EEENS1_36merge_oddeven_config_static_selectorELNS0_4arch9wavefront6targetE1EEEvSH_.has_dyn_sized_stack, 0
	.set _ZN7rocprim17ROCPRIM_400000_NS6detail17trampoline_kernelINS0_14default_configENS1_38merge_sort_block_merge_config_selectorIalEEZZNS1_27merge_sort_block_merge_implIS3_PaN6thrust23THRUST_200600_302600_NS10device_ptrIlEEjNS1_19radix_merge_compareILb0ELb1EaNS0_19identity_decomposerEEEEE10hipError_tT0_T1_T2_jT3_P12ihipStream_tbPNSt15iterator_traitsISG_E10value_typeEPNSM_ISH_E10value_typeEPSI_NS1_7vsmem_tEENKUlT_SG_SH_SI_E_clIS7_S7_SB_PlEESF_SV_SG_SH_SI_EUlSV_E1_NS1_11comp_targetILNS1_3genE3ELNS1_11target_archE908ELNS1_3gpuE7ELNS1_3repE0EEENS1_36merge_oddeven_config_static_selectorELNS0_4arch9wavefront6targetE1EEEvSH_.has_recursion, 0
	.set _ZN7rocprim17ROCPRIM_400000_NS6detail17trampoline_kernelINS0_14default_configENS1_38merge_sort_block_merge_config_selectorIalEEZZNS1_27merge_sort_block_merge_implIS3_PaN6thrust23THRUST_200600_302600_NS10device_ptrIlEEjNS1_19radix_merge_compareILb0ELb1EaNS0_19identity_decomposerEEEEE10hipError_tT0_T1_T2_jT3_P12ihipStream_tbPNSt15iterator_traitsISG_E10value_typeEPNSM_ISH_E10value_typeEPSI_NS1_7vsmem_tEENKUlT_SG_SH_SI_E_clIS7_S7_SB_PlEESF_SV_SG_SH_SI_EUlSV_E1_NS1_11comp_targetILNS1_3genE3ELNS1_11target_archE908ELNS1_3gpuE7ELNS1_3repE0EEENS1_36merge_oddeven_config_static_selectorELNS0_4arch9wavefront6targetE1EEEvSH_.has_indirect_call, 0
	.section	.AMDGPU.csdata,"",@progbits
; Kernel info:
; codeLenInByte = 0
; TotalNumSgprs: 4
; NumVgprs: 0
; ScratchSize: 0
; MemoryBound: 0
; FloatMode: 240
; IeeeMode: 1
; LDSByteSize: 0 bytes/workgroup (compile time only)
; SGPRBlocks: 0
; VGPRBlocks: 0
; NumSGPRsForWavesPerEU: 4
; NumVGPRsForWavesPerEU: 1
; Occupancy: 10
; WaveLimiterHint : 0
; COMPUTE_PGM_RSRC2:SCRATCH_EN: 0
; COMPUTE_PGM_RSRC2:USER_SGPR: 6
; COMPUTE_PGM_RSRC2:TRAP_HANDLER: 0
; COMPUTE_PGM_RSRC2:TGID_X_EN: 1
; COMPUTE_PGM_RSRC2:TGID_Y_EN: 0
; COMPUTE_PGM_RSRC2:TGID_Z_EN: 0
; COMPUTE_PGM_RSRC2:TIDIG_COMP_CNT: 0
	.section	.text._ZN7rocprim17ROCPRIM_400000_NS6detail17trampoline_kernelINS0_14default_configENS1_38merge_sort_block_merge_config_selectorIalEEZZNS1_27merge_sort_block_merge_implIS3_PaN6thrust23THRUST_200600_302600_NS10device_ptrIlEEjNS1_19radix_merge_compareILb0ELb1EaNS0_19identity_decomposerEEEEE10hipError_tT0_T1_T2_jT3_P12ihipStream_tbPNSt15iterator_traitsISG_E10value_typeEPNSM_ISH_E10value_typeEPSI_NS1_7vsmem_tEENKUlT_SG_SH_SI_E_clIS7_S7_SB_PlEESF_SV_SG_SH_SI_EUlSV_E1_NS1_11comp_targetILNS1_3genE2ELNS1_11target_archE906ELNS1_3gpuE6ELNS1_3repE0EEENS1_36merge_oddeven_config_static_selectorELNS0_4arch9wavefront6targetE1EEEvSH_,"axG",@progbits,_ZN7rocprim17ROCPRIM_400000_NS6detail17trampoline_kernelINS0_14default_configENS1_38merge_sort_block_merge_config_selectorIalEEZZNS1_27merge_sort_block_merge_implIS3_PaN6thrust23THRUST_200600_302600_NS10device_ptrIlEEjNS1_19radix_merge_compareILb0ELb1EaNS0_19identity_decomposerEEEEE10hipError_tT0_T1_T2_jT3_P12ihipStream_tbPNSt15iterator_traitsISG_E10value_typeEPNSM_ISH_E10value_typeEPSI_NS1_7vsmem_tEENKUlT_SG_SH_SI_E_clIS7_S7_SB_PlEESF_SV_SG_SH_SI_EUlSV_E1_NS1_11comp_targetILNS1_3genE2ELNS1_11target_archE906ELNS1_3gpuE6ELNS1_3repE0EEENS1_36merge_oddeven_config_static_selectorELNS0_4arch9wavefront6targetE1EEEvSH_,comdat
	.protected	_ZN7rocprim17ROCPRIM_400000_NS6detail17trampoline_kernelINS0_14default_configENS1_38merge_sort_block_merge_config_selectorIalEEZZNS1_27merge_sort_block_merge_implIS3_PaN6thrust23THRUST_200600_302600_NS10device_ptrIlEEjNS1_19radix_merge_compareILb0ELb1EaNS0_19identity_decomposerEEEEE10hipError_tT0_T1_T2_jT3_P12ihipStream_tbPNSt15iterator_traitsISG_E10value_typeEPNSM_ISH_E10value_typeEPSI_NS1_7vsmem_tEENKUlT_SG_SH_SI_E_clIS7_S7_SB_PlEESF_SV_SG_SH_SI_EUlSV_E1_NS1_11comp_targetILNS1_3genE2ELNS1_11target_archE906ELNS1_3gpuE6ELNS1_3repE0EEENS1_36merge_oddeven_config_static_selectorELNS0_4arch9wavefront6targetE1EEEvSH_ ; -- Begin function _ZN7rocprim17ROCPRIM_400000_NS6detail17trampoline_kernelINS0_14default_configENS1_38merge_sort_block_merge_config_selectorIalEEZZNS1_27merge_sort_block_merge_implIS3_PaN6thrust23THRUST_200600_302600_NS10device_ptrIlEEjNS1_19radix_merge_compareILb0ELb1EaNS0_19identity_decomposerEEEEE10hipError_tT0_T1_T2_jT3_P12ihipStream_tbPNSt15iterator_traitsISG_E10value_typeEPNSM_ISH_E10value_typeEPSI_NS1_7vsmem_tEENKUlT_SG_SH_SI_E_clIS7_S7_SB_PlEESF_SV_SG_SH_SI_EUlSV_E1_NS1_11comp_targetILNS1_3genE2ELNS1_11target_archE906ELNS1_3gpuE6ELNS1_3repE0EEENS1_36merge_oddeven_config_static_selectorELNS0_4arch9wavefront6targetE1EEEvSH_
	.globl	_ZN7rocprim17ROCPRIM_400000_NS6detail17trampoline_kernelINS0_14default_configENS1_38merge_sort_block_merge_config_selectorIalEEZZNS1_27merge_sort_block_merge_implIS3_PaN6thrust23THRUST_200600_302600_NS10device_ptrIlEEjNS1_19radix_merge_compareILb0ELb1EaNS0_19identity_decomposerEEEEE10hipError_tT0_T1_T2_jT3_P12ihipStream_tbPNSt15iterator_traitsISG_E10value_typeEPNSM_ISH_E10value_typeEPSI_NS1_7vsmem_tEENKUlT_SG_SH_SI_E_clIS7_S7_SB_PlEESF_SV_SG_SH_SI_EUlSV_E1_NS1_11comp_targetILNS1_3genE2ELNS1_11target_archE906ELNS1_3gpuE6ELNS1_3repE0EEENS1_36merge_oddeven_config_static_selectorELNS0_4arch9wavefront6targetE1EEEvSH_
	.p2align	8
	.type	_ZN7rocprim17ROCPRIM_400000_NS6detail17trampoline_kernelINS0_14default_configENS1_38merge_sort_block_merge_config_selectorIalEEZZNS1_27merge_sort_block_merge_implIS3_PaN6thrust23THRUST_200600_302600_NS10device_ptrIlEEjNS1_19radix_merge_compareILb0ELb1EaNS0_19identity_decomposerEEEEE10hipError_tT0_T1_T2_jT3_P12ihipStream_tbPNSt15iterator_traitsISG_E10value_typeEPNSM_ISH_E10value_typeEPSI_NS1_7vsmem_tEENKUlT_SG_SH_SI_E_clIS7_S7_SB_PlEESF_SV_SG_SH_SI_EUlSV_E1_NS1_11comp_targetILNS1_3genE2ELNS1_11target_archE906ELNS1_3gpuE6ELNS1_3repE0EEENS1_36merge_oddeven_config_static_selectorELNS0_4arch9wavefront6targetE1EEEvSH_,@function
_ZN7rocprim17ROCPRIM_400000_NS6detail17trampoline_kernelINS0_14default_configENS1_38merge_sort_block_merge_config_selectorIalEEZZNS1_27merge_sort_block_merge_implIS3_PaN6thrust23THRUST_200600_302600_NS10device_ptrIlEEjNS1_19radix_merge_compareILb0ELb1EaNS0_19identity_decomposerEEEEE10hipError_tT0_T1_T2_jT3_P12ihipStream_tbPNSt15iterator_traitsISG_E10value_typeEPNSM_ISH_E10value_typeEPSI_NS1_7vsmem_tEENKUlT_SG_SH_SI_E_clIS7_S7_SB_PlEESF_SV_SG_SH_SI_EUlSV_E1_NS1_11comp_targetILNS1_3genE2ELNS1_11target_archE906ELNS1_3gpuE6ELNS1_3repE0EEENS1_36merge_oddeven_config_static_selectorELNS0_4arch9wavefront6targetE1EEEvSH_: ; @_ZN7rocprim17ROCPRIM_400000_NS6detail17trampoline_kernelINS0_14default_configENS1_38merge_sort_block_merge_config_selectorIalEEZZNS1_27merge_sort_block_merge_implIS3_PaN6thrust23THRUST_200600_302600_NS10device_ptrIlEEjNS1_19radix_merge_compareILb0ELb1EaNS0_19identity_decomposerEEEEE10hipError_tT0_T1_T2_jT3_P12ihipStream_tbPNSt15iterator_traitsISG_E10value_typeEPNSM_ISH_E10value_typeEPSI_NS1_7vsmem_tEENKUlT_SG_SH_SI_E_clIS7_S7_SB_PlEESF_SV_SG_SH_SI_EUlSV_E1_NS1_11comp_targetILNS1_3genE2ELNS1_11target_archE906ELNS1_3gpuE6ELNS1_3repE0EEENS1_36merge_oddeven_config_static_selectorELNS0_4arch9wavefront6targetE1EEEvSH_
; %bb.0:
	s_load_dword s20, s[4:5], 0x20
	s_waitcnt lgkmcnt(0)
	s_lshr_b32 s0, s20, 8
	s_cmp_eq_u32 s6, s0
	s_cselect_b64 s[16:17], -1, 0
	s_cmp_lg_u32 s6, s0
	s_cselect_b64 s[0:1], -1, 0
	s_lshl_b32 s18, s6, 8
	s_sub_i32 s2, s20, s18
	v_cmp_gt_u32_e64 s[2:3], s2, v0
	s_or_b64 s[0:1], s[0:1], s[2:3]
	s_and_saveexec_b64 s[8:9], s[0:1]
	s_cbranch_execz .LBB579_24
; %bb.1:
	s_load_dwordx8 s[8:15], s[4:5], 0x0
	s_mov_b32 s19, 0
	v_lshlrev_b32_e32 v3, 3, v0
	s_waitcnt lgkmcnt(0)
	s_add_u32 s0, s8, s18
	s_addc_u32 s1, s9, 0
	s_lshl_b64 s[22:23], s[18:19], 3
	s_add_u32 s12, s12, s22
	s_addc_u32 s13, s13, s23
	global_load_dwordx2 v[1:2], v3, s[12:13]
	global_load_ubyte v5, v0, s[0:1]
	s_load_dword s13, s[4:5], 0x24
	v_add_u32_e32 v3, s18, v0
	s_waitcnt lgkmcnt(0)
	s_lshr_b32 s0, s13, 8
	s_sub_i32 s1, 0, s0
	s_and_b32 s1, s6, s1
	s_and_b32 s0, s1, s0
	s_lshl_b32 s19, s1, 8
	s_sub_i32 s12, 0, s13
	s_cmp_eq_u32 s0, 0
	s_cselect_b64 s[0:1], -1, 0
	s_and_b64 s[6:7], s[0:1], exec
	s_cselect_b32 s12, s13, s12
	s_add_i32 s12, s12, s19
	s_mov_b64 s[6:7], -1
	s_cmp_gt_u32 s20, s12
	s_cbranch_scc1 .LBB579_9
; %bb.2:
	s_and_b64 vcc, exec, s[16:17]
	s_cbranch_vccz .LBB579_6
; %bb.3:
	v_cmp_gt_u32_e32 vcc, s20, v3
	s_and_saveexec_b64 s[6:7], vcc
	s_cbranch_execz .LBB579_5
; %bb.4:
	v_mov_b32_e32 v4, 0
	v_lshlrev_b64 v[6:7], 3, v[3:4]
	v_mov_b32_e32 v0, s15
	v_add_co_u32_e32 v6, vcc, s14, v6
	v_addc_co_u32_e32 v7, vcc, v0, v7, vcc
	s_waitcnt vmcnt(0)
	global_store_byte v3, v5, s[10:11]
	global_store_dwordx2 v[6:7], v[1:2], off
.LBB579_5:
	s_or_b64 exec, exec, s[6:7]
	s_mov_b64 s[6:7], 0
.LBB579_6:
	s_andn2_b64 vcc, exec, s[6:7]
	s_cbranch_vccnz .LBB579_8
; %bb.7:
	v_mov_b32_e32 v4, 0
	v_lshlrev_b64 v[6:7], 3, v[3:4]
	v_mov_b32_e32 v0, s15
	v_add_co_u32_e32 v6, vcc, s14, v6
	v_addc_co_u32_e32 v7, vcc, v0, v7, vcc
	s_waitcnt vmcnt(0)
	global_store_byte v3, v5, s[10:11]
	global_store_dwordx2 v[6:7], v[1:2], off
.LBB579_8:
	s_mov_b64 s[6:7], 0
.LBB579_9:
	s_andn2_b64 vcc, exec, s[6:7]
	s_cbranch_vccnz .LBB579_24
; %bb.10:
	s_load_dword s6, s[4:5], 0x28
	s_min_u32 s7, s12, s20
	s_add_i32 s4, s7, s13
	s_min_u32 s13, s4, s20
	s_min_u32 s4, s19, s7
	s_add_i32 s19, s19, s7
	v_subrev_u32_e32 v0, s19, v3
	v_add_u32_e32 v0, s4, v0
	s_waitcnt vmcnt(0) lgkmcnt(0)
	v_and_b32_e32 v3, s6, v5
	s_mov_b64 s[4:5], -1
	s_and_b64 vcc, exec, s[16:17]
	s_cbranch_vccz .LBB579_18
; %bb.11:
	s_and_saveexec_b64 s[4:5], s[2:3]
	s_cbranch_execz .LBB579_17
; %bb.12:
	s_cmp_ge_u32 s12, s13
	v_mov_b32_e32 v4, s7
	s_cbranch_scc1 .LBB579_16
; %bb.13:
	s_mov_b64 s[2:3], 0
	v_mov_b32_e32 v6, s13
	v_mov_b32_e32 v4, s7
.LBB579_14:                             ; =>This Inner Loop Header: Depth=1
	v_add_u32_e32 v7, v4, v6
	v_lshrrev_b32_e32 v7, 1, v7
	global_load_ubyte v8, v7, s[8:9]
	v_add_u32_e32 v9, 1, v7
	s_waitcnt vmcnt(0)
	v_and_b32_e32 v8, s6, v8
	v_cmp_gt_i16_sdwa s[16:17], sext(v3), sext(v8) src0_sel:BYTE_0 src1_sel:BYTE_0
	v_cndmask_b32_e64 v10, 0, 1, s[16:17]
	v_cmp_le_i16_sdwa s[16:17], sext(v8), sext(v3) src0_sel:BYTE_0 src1_sel:BYTE_0
	v_cndmask_b32_e64 v8, 0, 1, s[16:17]
	v_cndmask_b32_e64 v8, v8, v10, s[0:1]
	v_and_b32_e32 v8, 1, v8
	v_cmp_eq_u32_e32 vcc, 1, v8
	v_cndmask_b32_e32 v6, v7, v6, vcc
	v_cndmask_b32_e32 v4, v4, v9, vcc
	v_cmp_ge_u32_e32 vcc, v4, v6
	s_or_b64 s[2:3], vcc, s[2:3]
	s_andn2_b64 exec, exec, s[2:3]
	s_cbranch_execnz .LBB579_14
; %bb.15:
	s_or_b64 exec, exec, s[2:3]
.LBB579_16:
	v_add_u32_e32 v6, v4, v0
	v_mov_b32_e32 v7, 0
	global_store_byte v6, v5, s[10:11]
	v_lshlrev_b64 v[6:7], 3, v[6:7]
	v_mov_b32_e32 v4, s15
	v_add_co_u32_e32 v6, vcc, s14, v6
	v_addc_co_u32_e32 v7, vcc, v4, v7, vcc
	global_store_dwordx2 v[6:7], v[1:2], off
.LBB579_17:
	s_or_b64 exec, exec, s[4:5]
	s_mov_b64 s[4:5], 0
.LBB579_18:
	s_andn2_b64 vcc, exec, s[4:5]
	s_cbranch_vccnz .LBB579_24
; %bb.19:
	s_cmp_ge_u32 s12, s13
	v_mov_b32_e32 v4, s7
	s_cbranch_scc1 .LBB579_23
; %bb.20:
	s_mov_b64 s[2:3], 0
	v_mov_b32_e32 v6, s13
	v_mov_b32_e32 v4, s7
.LBB579_21:                             ; =>This Inner Loop Header: Depth=1
	v_add_u32_e32 v7, v4, v6
	v_lshrrev_b32_e32 v7, 1, v7
	global_load_ubyte v8, v7, s[8:9]
	v_add_u32_e32 v9, 1, v7
	s_waitcnt vmcnt(0)
	v_and_b32_e32 v8, s6, v8
	v_cmp_gt_i16_sdwa s[4:5], sext(v3), sext(v8) src0_sel:BYTE_0 src1_sel:BYTE_0
	v_cndmask_b32_e64 v10, 0, 1, s[4:5]
	v_cmp_le_i16_sdwa s[4:5], sext(v8), sext(v3) src0_sel:BYTE_0 src1_sel:BYTE_0
	v_cndmask_b32_e64 v8, 0, 1, s[4:5]
	v_cndmask_b32_e64 v8, v8, v10, s[0:1]
	v_and_b32_e32 v8, 1, v8
	v_cmp_eq_u32_e32 vcc, 1, v8
	v_cndmask_b32_e32 v6, v7, v6, vcc
	v_cndmask_b32_e32 v4, v4, v9, vcc
	v_cmp_ge_u32_e32 vcc, v4, v6
	s_or_b64 s[2:3], vcc, s[2:3]
	s_andn2_b64 exec, exec, s[2:3]
	s_cbranch_execnz .LBB579_21
; %bb.22:
	s_or_b64 exec, exec, s[2:3]
.LBB579_23:
	v_add_u32_e32 v3, v4, v0
	v_mov_b32_e32 v4, 0
	global_store_byte v3, v5, s[10:11]
	v_lshlrev_b64 v[3:4], 3, v[3:4]
	v_mov_b32_e32 v0, s15
	v_add_co_u32_e32 v3, vcc, s14, v3
	v_addc_co_u32_e32 v4, vcc, v0, v4, vcc
	global_store_dwordx2 v[3:4], v[1:2], off
.LBB579_24:
	s_endpgm
	.section	.rodata,"a",@progbits
	.p2align	6, 0x0
	.amdhsa_kernel _ZN7rocprim17ROCPRIM_400000_NS6detail17trampoline_kernelINS0_14default_configENS1_38merge_sort_block_merge_config_selectorIalEEZZNS1_27merge_sort_block_merge_implIS3_PaN6thrust23THRUST_200600_302600_NS10device_ptrIlEEjNS1_19radix_merge_compareILb0ELb1EaNS0_19identity_decomposerEEEEE10hipError_tT0_T1_T2_jT3_P12ihipStream_tbPNSt15iterator_traitsISG_E10value_typeEPNSM_ISH_E10value_typeEPSI_NS1_7vsmem_tEENKUlT_SG_SH_SI_E_clIS7_S7_SB_PlEESF_SV_SG_SH_SI_EUlSV_E1_NS1_11comp_targetILNS1_3genE2ELNS1_11target_archE906ELNS1_3gpuE6ELNS1_3repE0EEENS1_36merge_oddeven_config_static_selectorELNS0_4arch9wavefront6targetE1EEEvSH_
		.amdhsa_group_segment_fixed_size 0
		.amdhsa_private_segment_fixed_size 0
		.amdhsa_kernarg_size 48
		.amdhsa_user_sgpr_count 6
		.amdhsa_user_sgpr_private_segment_buffer 1
		.amdhsa_user_sgpr_dispatch_ptr 0
		.amdhsa_user_sgpr_queue_ptr 0
		.amdhsa_user_sgpr_kernarg_segment_ptr 1
		.amdhsa_user_sgpr_dispatch_id 0
		.amdhsa_user_sgpr_flat_scratch_init 0
		.amdhsa_user_sgpr_private_segment_size 0
		.amdhsa_uses_dynamic_stack 0
		.amdhsa_system_sgpr_private_segment_wavefront_offset 0
		.amdhsa_system_sgpr_workgroup_id_x 1
		.amdhsa_system_sgpr_workgroup_id_y 0
		.amdhsa_system_sgpr_workgroup_id_z 0
		.amdhsa_system_sgpr_workgroup_info 0
		.amdhsa_system_vgpr_workitem_id 0
		.amdhsa_next_free_vgpr 11
		.amdhsa_next_free_sgpr 24
		.amdhsa_reserve_vcc 1
		.amdhsa_reserve_flat_scratch 0
		.amdhsa_float_round_mode_32 0
		.amdhsa_float_round_mode_16_64 0
		.amdhsa_float_denorm_mode_32 3
		.amdhsa_float_denorm_mode_16_64 3
		.amdhsa_dx10_clamp 1
		.amdhsa_ieee_mode 1
		.amdhsa_fp16_overflow 0
		.amdhsa_exception_fp_ieee_invalid_op 0
		.amdhsa_exception_fp_denorm_src 0
		.amdhsa_exception_fp_ieee_div_zero 0
		.amdhsa_exception_fp_ieee_overflow 0
		.amdhsa_exception_fp_ieee_underflow 0
		.amdhsa_exception_fp_ieee_inexact 0
		.amdhsa_exception_int_div_zero 0
	.end_amdhsa_kernel
	.section	.text._ZN7rocprim17ROCPRIM_400000_NS6detail17trampoline_kernelINS0_14default_configENS1_38merge_sort_block_merge_config_selectorIalEEZZNS1_27merge_sort_block_merge_implIS3_PaN6thrust23THRUST_200600_302600_NS10device_ptrIlEEjNS1_19radix_merge_compareILb0ELb1EaNS0_19identity_decomposerEEEEE10hipError_tT0_T1_T2_jT3_P12ihipStream_tbPNSt15iterator_traitsISG_E10value_typeEPNSM_ISH_E10value_typeEPSI_NS1_7vsmem_tEENKUlT_SG_SH_SI_E_clIS7_S7_SB_PlEESF_SV_SG_SH_SI_EUlSV_E1_NS1_11comp_targetILNS1_3genE2ELNS1_11target_archE906ELNS1_3gpuE6ELNS1_3repE0EEENS1_36merge_oddeven_config_static_selectorELNS0_4arch9wavefront6targetE1EEEvSH_,"axG",@progbits,_ZN7rocprim17ROCPRIM_400000_NS6detail17trampoline_kernelINS0_14default_configENS1_38merge_sort_block_merge_config_selectorIalEEZZNS1_27merge_sort_block_merge_implIS3_PaN6thrust23THRUST_200600_302600_NS10device_ptrIlEEjNS1_19radix_merge_compareILb0ELb1EaNS0_19identity_decomposerEEEEE10hipError_tT0_T1_T2_jT3_P12ihipStream_tbPNSt15iterator_traitsISG_E10value_typeEPNSM_ISH_E10value_typeEPSI_NS1_7vsmem_tEENKUlT_SG_SH_SI_E_clIS7_S7_SB_PlEESF_SV_SG_SH_SI_EUlSV_E1_NS1_11comp_targetILNS1_3genE2ELNS1_11target_archE906ELNS1_3gpuE6ELNS1_3repE0EEENS1_36merge_oddeven_config_static_selectorELNS0_4arch9wavefront6targetE1EEEvSH_,comdat
.Lfunc_end579:
	.size	_ZN7rocprim17ROCPRIM_400000_NS6detail17trampoline_kernelINS0_14default_configENS1_38merge_sort_block_merge_config_selectorIalEEZZNS1_27merge_sort_block_merge_implIS3_PaN6thrust23THRUST_200600_302600_NS10device_ptrIlEEjNS1_19radix_merge_compareILb0ELb1EaNS0_19identity_decomposerEEEEE10hipError_tT0_T1_T2_jT3_P12ihipStream_tbPNSt15iterator_traitsISG_E10value_typeEPNSM_ISH_E10value_typeEPSI_NS1_7vsmem_tEENKUlT_SG_SH_SI_E_clIS7_S7_SB_PlEESF_SV_SG_SH_SI_EUlSV_E1_NS1_11comp_targetILNS1_3genE2ELNS1_11target_archE906ELNS1_3gpuE6ELNS1_3repE0EEENS1_36merge_oddeven_config_static_selectorELNS0_4arch9wavefront6targetE1EEEvSH_, .Lfunc_end579-_ZN7rocprim17ROCPRIM_400000_NS6detail17trampoline_kernelINS0_14default_configENS1_38merge_sort_block_merge_config_selectorIalEEZZNS1_27merge_sort_block_merge_implIS3_PaN6thrust23THRUST_200600_302600_NS10device_ptrIlEEjNS1_19radix_merge_compareILb0ELb1EaNS0_19identity_decomposerEEEEE10hipError_tT0_T1_T2_jT3_P12ihipStream_tbPNSt15iterator_traitsISG_E10value_typeEPNSM_ISH_E10value_typeEPSI_NS1_7vsmem_tEENKUlT_SG_SH_SI_E_clIS7_S7_SB_PlEESF_SV_SG_SH_SI_EUlSV_E1_NS1_11comp_targetILNS1_3genE2ELNS1_11target_archE906ELNS1_3gpuE6ELNS1_3repE0EEENS1_36merge_oddeven_config_static_selectorELNS0_4arch9wavefront6targetE1EEEvSH_
                                        ; -- End function
	.set _ZN7rocprim17ROCPRIM_400000_NS6detail17trampoline_kernelINS0_14default_configENS1_38merge_sort_block_merge_config_selectorIalEEZZNS1_27merge_sort_block_merge_implIS3_PaN6thrust23THRUST_200600_302600_NS10device_ptrIlEEjNS1_19radix_merge_compareILb0ELb1EaNS0_19identity_decomposerEEEEE10hipError_tT0_T1_T2_jT3_P12ihipStream_tbPNSt15iterator_traitsISG_E10value_typeEPNSM_ISH_E10value_typeEPSI_NS1_7vsmem_tEENKUlT_SG_SH_SI_E_clIS7_S7_SB_PlEESF_SV_SG_SH_SI_EUlSV_E1_NS1_11comp_targetILNS1_3genE2ELNS1_11target_archE906ELNS1_3gpuE6ELNS1_3repE0EEENS1_36merge_oddeven_config_static_selectorELNS0_4arch9wavefront6targetE1EEEvSH_.num_vgpr, 11
	.set _ZN7rocprim17ROCPRIM_400000_NS6detail17trampoline_kernelINS0_14default_configENS1_38merge_sort_block_merge_config_selectorIalEEZZNS1_27merge_sort_block_merge_implIS3_PaN6thrust23THRUST_200600_302600_NS10device_ptrIlEEjNS1_19radix_merge_compareILb0ELb1EaNS0_19identity_decomposerEEEEE10hipError_tT0_T1_T2_jT3_P12ihipStream_tbPNSt15iterator_traitsISG_E10value_typeEPNSM_ISH_E10value_typeEPSI_NS1_7vsmem_tEENKUlT_SG_SH_SI_E_clIS7_S7_SB_PlEESF_SV_SG_SH_SI_EUlSV_E1_NS1_11comp_targetILNS1_3genE2ELNS1_11target_archE906ELNS1_3gpuE6ELNS1_3repE0EEENS1_36merge_oddeven_config_static_selectorELNS0_4arch9wavefront6targetE1EEEvSH_.num_agpr, 0
	.set _ZN7rocprim17ROCPRIM_400000_NS6detail17trampoline_kernelINS0_14default_configENS1_38merge_sort_block_merge_config_selectorIalEEZZNS1_27merge_sort_block_merge_implIS3_PaN6thrust23THRUST_200600_302600_NS10device_ptrIlEEjNS1_19radix_merge_compareILb0ELb1EaNS0_19identity_decomposerEEEEE10hipError_tT0_T1_T2_jT3_P12ihipStream_tbPNSt15iterator_traitsISG_E10value_typeEPNSM_ISH_E10value_typeEPSI_NS1_7vsmem_tEENKUlT_SG_SH_SI_E_clIS7_S7_SB_PlEESF_SV_SG_SH_SI_EUlSV_E1_NS1_11comp_targetILNS1_3genE2ELNS1_11target_archE906ELNS1_3gpuE6ELNS1_3repE0EEENS1_36merge_oddeven_config_static_selectorELNS0_4arch9wavefront6targetE1EEEvSH_.numbered_sgpr, 24
	.set _ZN7rocprim17ROCPRIM_400000_NS6detail17trampoline_kernelINS0_14default_configENS1_38merge_sort_block_merge_config_selectorIalEEZZNS1_27merge_sort_block_merge_implIS3_PaN6thrust23THRUST_200600_302600_NS10device_ptrIlEEjNS1_19radix_merge_compareILb0ELb1EaNS0_19identity_decomposerEEEEE10hipError_tT0_T1_T2_jT3_P12ihipStream_tbPNSt15iterator_traitsISG_E10value_typeEPNSM_ISH_E10value_typeEPSI_NS1_7vsmem_tEENKUlT_SG_SH_SI_E_clIS7_S7_SB_PlEESF_SV_SG_SH_SI_EUlSV_E1_NS1_11comp_targetILNS1_3genE2ELNS1_11target_archE906ELNS1_3gpuE6ELNS1_3repE0EEENS1_36merge_oddeven_config_static_selectorELNS0_4arch9wavefront6targetE1EEEvSH_.num_named_barrier, 0
	.set _ZN7rocprim17ROCPRIM_400000_NS6detail17trampoline_kernelINS0_14default_configENS1_38merge_sort_block_merge_config_selectorIalEEZZNS1_27merge_sort_block_merge_implIS3_PaN6thrust23THRUST_200600_302600_NS10device_ptrIlEEjNS1_19radix_merge_compareILb0ELb1EaNS0_19identity_decomposerEEEEE10hipError_tT0_T1_T2_jT3_P12ihipStream_tbPNSt15iterator_traitsISG_E10value_typeEPNSM_ISH_E10value_typeEPSI_NS1_7vsmem_tEENKUlT_SG_SH_SI_E_clIS7_S7_SB_PlEESF_SV_SG_SH_SI_EUlSV_E1_NS1_11comp_targetILNS1_3genE2ELNS1_11target_archE906ELNS1_3gpuE6ELNS1_3repE0EEENS1_36merge_oddeven_config_static_selectorELNS0_4arch9wavefront6targetE1EEEvSH_.private_seg_size, 0
	.set _ZN7rocprim17ROCPRIM_400000_NS6detail17trampoline_kernelINS0_14default_configENS1_38merge_sort_block_merge_config_selectorIalEEZZNS1_27merge_sort_block_merge_implIS3_PaN6thrust23THRUST_200600_302600_NS10device_ptrIlEEjNS1_19radix_merge_compareILb0ELb1EaNS0_19identity_decomposerEEEEE10hipError_tT0_T1_T2_jT3_P12ihipStream_tbPNSt15iterator_traitsISG_E10value_typeEPNSM_ISH_E10value_typeEPSI_NS1_7vsmem_tEENKUlT_SG_SH_SI_E_clIS7_S7_SB_PlEESF_SV_SG_SH_SI_EUlSV_E1_NS1_11comp_targetILNS1_3genE2ELNS1_11target_archE906ELNS1_3gpuE6ELNS1_3repE0EEENS1_36merge_oddeven_config_static_selectorELNS0_4arch9wavefront6targetE1EEEvSH_.uses_vcc, 1
	.set _ZN7rocprim17ROCPRIM_400000_NS6detail17trampoline_kernelINS0_14default_configENS1_38merge_sort_block_merge_config_selectorIalEEZZNS1_27merge_sort_block_merge_implIS3_PaN6thrust23THRUST_200600_302600_NS10device_ptrIlEEjNS1_19radix_merge_compareILb0ELb1EaNS0_19identity_decomposerEEEEE10hipError_tT0_T1_T2_jT3_P12ihipStream_tbPNSt15iterator_traitsISG_E10value_typeEPNSM_ISH_E10value_typeEPSI_NS1_7vsmem_tEENKUlT_SG_SH_SI_E_clIS7_S7_SB_PlEESF_SV_SG_SH_SI_EUlSV_E1_NS1_11comp_targetILNS1_3genE2ELNS1_11target_archE906ELNS1_3gpuE6ELNS1_3repE0EEENS1_36merge_oddeven_config_static_selectorELNS0_4arch9wavefront6targetE1EEEvSH_.uses_flat_scratch, 0
	.set _ZN7rocprim17ROCPRIM_400000_NS6detail17trampoline_kernelINS0_14default_configENS1_38merge_sort_block_merge_config_selectorIalEEZZNS1_27merge_sort_block_merge_implIS3_PaN6thrust23THRUST_200600_302600_NS10device_ptrIlEEjNS1_19radix_merge_compareILb0ELb1EaNS0_19identity_decomposerEEEEE10hipError_tT0_T1_T2_jT3_P12ihipStream_tbPNSt15iterator_traitsISG_E10value_typeEPNSM_ISH_E10value_typeEPSI_NS1_7vsmem_tEENKUlT_SG_SH_SI_E_clIS7_S7_SB_PlEESF_SV_SG_SH_SI_EUlSV_E1_NS1_11comp_targetILNS1_3genE2ELNS1_11target_archE906ELNS1_3gpuE6ELNS1_3repE0EEENS1_36merge_oddeven_config_static_selectorELNS0_4arch9wavefront6targetE1EEEvSH_.has_dyn_sized_stack, 0
	.set _ZN7rocprim17ROCPRIM_400000_NS6detail17trampoline_kernelINS0_14default_configENS1_38merge_sort_block_merge_config_selectorIalEEZZNS1_27merge_sort_block_merge_implIS3_PaN6thrust23THRUST_200600_302600_NS10device_ptrIlEEjNS1_19radix_merge_compareILb0ELb1EaNS0_19identity_decomposerEEEEE10hipError_tT0_T1_T2_jT3_P12ihipStream_tbPNSt15iterator_traitsISG_E10value_typeEPNSM_ISH_E10value_typeEPSI_NS1_7vsmem_tEENKUlT_SG_SH_SI_E_clIS7_S7_SB_PlEESF_SV_SG_SH_SI_EUlSV_E1_NS1_11comp_targetILNS1_3genE2ELNS1_11target_archE906ELNS1_3gpuE6ELNS1_3repE0EEENS1_36merge_oddeven_config_static_selectorELNS0_4arch9wavefront6targetE1EEEvSH_.has_recursion, 0
	.set _ZN7rocprim17ROCPRIM_400000_NS6detail17trampoline_kernelINS0_14default_configENS1_38merge_sort_block_merge_config_selectorIalEEZZNS1_27merge_sort_block_merge_implIS3_PaN6thrust23THRUST_200600_302600_NS10device_ptrIlEEjNS1_19radix_merge_compareILb0ELb1EaNS0_19identity_decomposerEEEEE10hipError_tT0_T1_T2_jT3_P12ihipStream_tbPNSt15iterator_traitsISG_E10value_typeEPNSM_ISH_E10value_typeEPSI_NS1_7vsmem_tEENKUlT_SG_SH_SI_E_clIS7_S7_SB_PlEESF_SV_SG_SH_SI_EUlSV_E1_NS1_11comp_targetILNS1_3genE2ELNS1_11target_archE906ELNS1_3gpuE6ELNS1_3repE0EEENS1_36merge_oddeven_config_static_selectorELNS0_4arch9wavefront6targetE1EEEvSH_.has_indirect_call, 0
	.section	.AMDGPU.csdata,"",@progbits
; Kernel info:
; codeLenInByte = 752
; TotalNumSgprs: 28
; NumVgprs: 11
; ScratchSize: 0
; MemoryBound: 0
; FloatMode: 240
; IeeeMode: 1
; LDSByteSize: 0 bytes/workgroup (compile time only)
; SGPRBlocks: 3
; VGPRBlocks: 2
; NumSGPRsForWavesPerEU: 28
; NumVGPRsForWavesPerEU: 11
; Occupancy: 10
; WaveLimiterHint : 0
; COMPUTE_PGM_RSRC2:SCRATCH_EN: 0
; COMPUTE_PGM_RSRC2:USER_SGPR: 6
; COMPUTE_PGM_RSRC2:TRAP_HANDLER: 0
; COMPUTE_PGM_RSRC2:TGID_X_EN: 1
; COMPUTE_PGM_RSRC2:TGID_Y_EN: 0
; COMPUTE_PGM_RSRC2:TGID_Z_EN: 0
; COMPUTE_PGM_RSRC2:TIDIG_COMP_CNT: 0
	.section	.text._ZN7rocprim17ROCPRIM_400000_NS6detail17trampoline_kernelINS0_14default_configENS1_38merge_sort_block_merge_config_selectorIalEEZZNS1_27merge_sort_block_merge_implIS3_PaN6thrust23THRUST_200600_302600_NS10device_ptrIlEEjNS1_19radix_merge_compareILb0ELb1EaNS0_19identity_decomposerEEEEE10hipError_tT0_T1_T2_jT3_P12ihipStream_tbPNSt15iterator_traitsISG_E10value_typeEPNSM_ISH_E10value_typeEPSI_NS1_7vsmem_tEENKUlT_SG_SH_SI_E_clIS7_S7_SB_PlEESF_SV_SG_SH_SI_EUlSV_E1_NS1_11comp_targetILNS1_3genE9ELNS1_11target_archE1100ELNS1_3gpuE3ELNS1_3repE0EEENS1_36merge_oddeven_config_static_selectorELNS0_4arch9wavefront6targetE1EEEvSH_,"axG",@progbits,_ZN7rocprim17ROCPRIM_400000_NS6detail17trampoline_kernelINS0_14default_configENS1_38merge_sort_block_merge_config_selectorIalEEZZNS1_27merge_sort_block_merge_implIS3_PaN6thrust23THRUST_200600_302600_NS10device_ptrIlEEjNS1_19radix_merge_compareILb0ELb1EaNS0_19identity_decomposerEEEEE10hipError_tT0_T1_T2_jT3_P12ihipStream_tbPNSt15iterator_traitsISG_E10value_typeEPNSM_ISH_E10value_typeEPSI_NS1_7vsmem_tEENKUlT_SG_SH_SI_E_clIS7_S7_SB_PlEESF_SV_SG_SH_SI_EUlSV_E1_NS1_11comp_targetILNS1_3genE9ELNS1_11target_archE1100ELNS1_3gpuE3ELNS1_3repE0EEENS1_36merge_oddeven_config_static_selectorELNS0_4arch9wavefront6targetE1EEEvSH_,comdat
	.protected	_ZN7rocprim17ROCPRIM_400000_NS6detail17trampoline_kernelINS0_14default_configENS1_38merge_sort_block_merge_config_selectorIalEEZZNS1_27merge_sort_block_merge_implIS3_PaN6thrust23THRUST_200600_302600_NS10device_ptrIlEEjNS1_19radix_merge_compareILb0ELb1EaNS0_19identity_decomposerEEEEE10hipError_tT0_T1_T2_jT3_P12ihipStream_tbPNSt15iterator_traitsISG_E10value_typeEPNSM_ISH_E10value_typeEPSI_NS1_7vsmem_tEENKUlT_SG_SH_SI_E_clIS7_S7_SB_PlEESF_SV_SG_SH_SI_EUlSV_E1_NS1_11comp_targetILNS1_3genE9ELNS1_11target_archE1100ELNS1_3gpuE3ELNS1_3repE0EEENS1_36merge_oddeven_config_static_selectorELNS0_4arch9wavefront6targetE1EEEvSH_ ; -- Begin function _ZN7rocprim17ROCPRIM_400000_NS6detail17trampoline_kernelINS0_14default_configENS1_38merge_sort_block_merge_config_selectorIalEEZZNS1_27merge_sort_block_merge_implIS3_PaN6thrust23THRUST_200600_302600_NS10device_ptrIlEEjNS1_19radix_merge_compareILb0ELb1EaNS0_19identity_decomposerEEEEE10hipError_tT0_T1_T2_jT3_P12ihipStream_tbPNSt15iterator_traitsISG_E10value_typeEPNSM_ISH_E10value_typeEPSI_NS1_7vsmem_tEENKUlT_SG_SH_SI_E_clIS7_S7_SB_PlEESF_SV_SG_SH_SI_EUlSV_E1_NS1_11comp_targetILNS1_3genE9ELNS1_11target_archE1100ELNS1_3gpuE3ELNS1_3repE0EEENS1_36merge_oddeven_config_static_selectorELNS0_4arch9wavefront6targetE1EEEvSH_
	.globl	_ZN7rocprim17ROCPRIM_400000_NS6detail17trampoline_kernelINS0_14default_configENS1_38merge_sort_block_merge_config_selectorIalEEZZNS1_27merge_sort_block_merge_implIS3_PaN6thrust23THRUST_200600_302600_NS10device_ptrIlEEjNS1_19radix_merge_compareILb0ELb1EaNS0_19identity_decomposerEEEEE10hipError_tT0_T1_T2_jT3_P12ihipStream_tbPNSt15iterator_traitsISG_E10value_typeEPNSM_ISH_E10value_typeEPSI_NS1_7vsmem_tEENKUlT_SG_SH_SI_E_clIS7_S7_SB_PlEESF_SV_SG_SH_SI_EUlSV_E1_NS1_11comp_targetILNS1_3genE9ELNS1_11target_archE1100ELNS1_3gpuE3ELNS1_3repE0EEENS1_36merge_oddeven_config_static_selectorELNS0_4arch9wavefront6targetE1EEEvSH_
	.p2align	8
	.type	_ZN7rocprim17ROCPRIM_400000_NS6detail17trampoline_kernelINS0_14default_configENS1_38merge_sort_block_merge_config_selectorIalEEZZNS1_27merge_sort_block_merge_implIS3_PaN6thrust23THRUST_200600_302600_NS10device_ptrIlEEjNS1_19radix_merge_compareILb0ELb1EaNS0_19identity_decomposerEEEEE10hipError_tT0_T1_T2_jT3_P12ihipStream_tbPNSt15iterator_traitsISG_E10value_typeEPNSM_ISH_E10value_typeEPSI_NS1_7vsmem_tEENKUlT_SG_SH_SI_E_clIS7_S7_SB_PlEESF_SV_SG_SH_SI_EUlSV_E1_NS1_11comp_targetILNS1_3genE9ELNS1_11target_archE1100ELNS1_3gpuE3ELNS1_3repE0EEENS1_36merge_oddeven_config_static_selectorELNS0_4arch9wavefront6targetE1EEEvSH_,@function
_ZN7rocprim17ROCPRIM_400000_NS6detail17trampoline_kernelINS0_14default_configENS1_38merge_sort_block_merge_config_selectorIalEEZZNS1_27merge_sort_block_merge_implIS3_PaN6thrust23THRUST_200600_302600_NS10device_ptrIlEEjNS1_19radix_merge_compareILb0ELb1EaNS0_19identity_decomposerEEEEE10hipError_tT0_T1_T2_jT3_P12ihipStream_tbPNSt15iterator_traitsISG_E10value_typeEPNSM_ISH_E10value_typeEPSI_NS1_7vsmem_tEENKUlT_SG_SH_SI_E_clIS7_S7_SB_PlEESF_SV_SG_SH_SI_EUlSV_E1_NS1_11comp_targetILNS1_3genE9ELNS1_11target_archE1100ELNS1_3gpuE3ELNS1_3repE0EEENS1_36merge_oddeven_config_static_selectorELNS0_4arch9wavefront6targetE1EEEvSH_: ; @_ZN7rocprim17ROCPRIM_400000_NS6detail17trampoline_kernelINS0_14default_configENS1_38merge_sort_block_merge_config_selectorIalEEZZNS1_27merge_sort_block_merge_implIS3_PaN6thrust23THRUST_200600_302600_NS10device_ptrIlEEjNS1_19radix_merge_compareILb0ELb1EaNS0_19identity_decomposerEEEEE10hipError_tT0_T1_T2_jT3_P12ihipStream_tbPNSt15iterator_traitsISG_E10value_typeEPNSM_ISH_E10value_typeEPSI_NS1_7vsmem_tEENKUlT_SG_SH_SI_E_clIS7_S7_SB_PlEESF_SV_SG_SH_SI_EUlSV_E1_NS1_11comp_targetILNS1_3genE9ELNS1_11target_archE1100ELNS1_3gpuE3ELNS1_3repE0EEENS1_36merge_oddeven_config_static_selectorELNS0_4arch9wavefront6targetE1EEEvSH_
; %bb.0:
	.section	.rodata,"a",@progbits
	.p2align	6, 0x0
	.amdhsa_kernel _ZN7rocprim17ROCPRIM_400000_NS6detail17trampoline_kernelINS0_14default_configENS1_38merge_sort_block_merge_config_selectorIalEEZZNS1_27merge_sort_block_merge_implIS3_PaN6thrust23THRUST_200600_302600_NS10device_ptrIlEEjNS1_19radix_merge_compareILb0ELb1EaNS0_19identity_decomposerEEEEE10hipError_tT0_T1_T2_jT3_P12ihipStream_tbPNSt15iterator_traitsISG_E10value_typeEPNSM_ISH_E10value_typeEPSI_NS1_7vsmem_tEENKUlT_SG_SH_SI_E_clIS7_S7_SB_PlEESF_SV_SG_SH_SI_EUlSV_E1_NS1_11comp_targetILNS1_3genE9ELNS1_11target_archE1100ELNS1_3gpuE3ELNS1_3repE0EEENS1_36merge_oddeven_config_static_selectorELNS0_4arch9wavefront6targetE1EEEvSH_
		.amdhsa_group_segment_fixed_size 0
		.amdhsa_private_segment_fixed_size 0
		.amdhsa_kernarg_size 48
		.amdhsa_user_sgpr_count 6
		.amdhsa_user_sgpr_private_segment_buffer 1
		.amdhsa_user_sgpr_dispatch_ptr 0
		.amdhsa_user_sgpr_queue_ptr 0
		.amdhsa_user_sgpr_kernarg_segment_ptr 1
		.amdhsa_user_sgpr_dispatch_id 0
		.amdhsa_user_sgpr_flat_scratch_init 0
		.amdhsa_user_sgpr_private_segment_size 0
		.amdhsa_uses_dynamic_stack 0
		.amdhsa_system_sgpr_private_segment_wavefront_offset 0
		.amdhsa_system_sgpr_workgroup_id_x 1
		.amdhsa_system_sgpr_workgroup_id_y 0
		.amdhsa_system_sgpr_workgroup_id_z 0
		.amdhsa_system_sgpr_workgroup_info 0
		.amdhsa_system_vgpr_workitem_id 0
		.amdhsa_next_free_vgpr 1
		.amdhsa_next_free_sgpr 0
		.amdhsa_reserve_vcc 0
		.amdhsa_reserve_flat_scratch 0
		.amdhsa_float_round_mode_32 0
		.amdhsa_float_round_mode_16_64 0
		.amdhsa_float_denorm_mode_32 3
		.amdhsa_float_denorm_mode_16_64 3
		.amdhsa_dx10_clamp 1
		.amdhsa_ieee_mode 1
		.amdhsa_fp16_overflow 0
		.amdhsa_exception_fp_ieee_invalid_op 0
		.amdhsa_exception_fp_denorm_src 0
		.amdhsa_exception_fp_ieee_div_zero 0
		.amdhsa_exception_fp_ieee_overflow 0
		.amdhsa_exception_fp_ieee_underflow 0
		.amdhsa_exception_fp_ieee_inexact 0
		.amdhsa_exception_int_div_zero 0
	.end_amdhsa_kernel
	.section	.text._ZN7rocprim17ROCPRIM_400000_NS6detail17trampoline_kernelINS0_14default_configENS1_38merge_sort_block_merge_config_selectorIalEEZZNS1_27merge_sort_block_merge_implIS3_PaN6thrust23THRUST_200600_302600_NS10device_ptrIlEEjNS1_19radix_merge_compareILb0ELb1EaNS0_19identity_decomposerEEEEE10hipError_tT0_T1_T2_jT3_P12ihipStream_tbPNSt15iterator_traitsISG_E10value_typeEPNSM_ISH_E10value_typeEPSI_NS1_7vsmem_tEENKUlT_SG_SH_SI_E_clIS7_S7_SB_PlEESF_SV_SG_SH_SI_EUlSV_E1_NS1_11comp_targetILNS1_3genE9ELNS1_11target_archE1100ELNS1_3gpuE3ELNS1_3repE0EEENS1_36merge_oddeven_config_static_selectorELNS0_4arch9wavefront6targetE1EEEvSH_,"axG",@progbits,_ZN7rocprim17ROCPRIM_400000_NS6detail17trampoline_kernelINS0_14default_configENS1_38merge_sort_block_merge_config_selectorIalEEZZNS1_27merge_sort_block_merge_implIS3_PaN6thrust23THRUST_200600_302600_NS10device_ptrIlEEjNS1_19radix_merge_compareILb0ELb1EaNS0_19identity_decomposerEEEEE10hipError_tT0_T1_T2_jT3_P12ihipStream_tbPNSt15iterator_traitsISG_E10value_typeEPNSM_ISH_E10value_typeEPSI_NS1_7vsmem_tEENKUlT_SG_SH_SI_E_clIS7_S7_SB_PlEESF_SV_SG_SH_SI_EUlSV_E1_NS1_11comp_targetILNS1_3genE9ELNS1_11target_archE1100ELNS1_3gpuE3ELNS1_3repE0EEENS1_36merge_oddeven_config_static_selectorELNS0_4arch9wavefront6targetE1EEEvSH_,comdat
.Lfunc_end580:
	.size	_ZN7rocprim17ROCPRIM_400000_NS6detail17trampoline_kernelINS0_14default_configENS1_38merge_sort_block_merge_config_selectorIalEEZZNS1_27merge_sort_block_merge_implIS3_PaN6thrust23THRUST_200600_302600_NS10device_ptrIlEEjNS1_19radix_merge_compareILb0ELb1EaNS0_19identity_decomposerEEEEE10hipError_tT0_T1_T2_jT3_P12ihipStream_tbPNSt15iterator_traitsISG_E10value_typeEPNSM_ISH_E10value_typeEPSI_NS1_7vsmem_tEENKUlT_SG_SH_SI_E_clIS7_S7_SB_PlEESF_SV_SG_SH_SI_EUlSV_E1_NS1_11comp_targetILNS1_3genE9ELNS1_11target_archE1100ELNS1_3gpuE3ELNS1_3repE0EEENS1_36merge_oddeven_config_static_selectorELNS0_4arch9wavefront6targetE1EEEvSH_, .Lfunc_end580-_ZN7rocprim17ROCPRIM_400000_NS6detail17trampoline_kernelINS0_14default_configENS1_38merge_sort_block_merge_config_selectorIalEEZZNS1_27merge_sort_block_merge_implIS3_PaN6thrust23THRUST_200600_302600_NS10device_ptrIlEEjNS1_19radix_merge_compareILb0ELb1EaNS0_19identity_decomposerEEEEE10hipError_tT0_T1_T2_jT3_P12ihipStream_tbPNSt15iterator_traitsISG_E10value_typeEPNSM_ISH_E10value_typeEPSI_NS1_7vsmem_tEENKUlT_SG_SH_SI_E_clIS7_S7_SB_PlEESF_SV_SG_SH_SI_EUlSV_E1_NS1_11comp_targetILNS1_3genE9ELNS1_11target_archE1100ELNS1_3gpuE3ELNS1_3repE0EEENS1_36merge_oddeven_config_static_selectorELNS0_4arch9wavefront6targetE1EEEvSH_
                                        ; -- End function
	.set _ZN7rocprim17ROCPRIM_400000_NS6detail17trampoline_kernelINS0_14default_configENS1_38merge_sort_block_merge_config_selectorIalEEZZNS1_27merge_sort_block_merge_implIS3_PaN6thrust23THRUST_200600_302600_NS10device_ptrIlEEjNS1_19radix_merge_compareILb0ELb1EaNS0_19identity_decomposerEEEEE10hipError_tT0_T1_T2_jT3_P12ihipStream_tbPNSt15iterator_traitsISG_E10value_typeEPNSM_ISH_E10value_typeEPSI_NS1_7vsmem_tEENKUlT_SG_SH_SI_E_clIS7_S7_SB_PlEESF_SV_SG_SH_SI_EUlSV_E1_NS1_11comp_targetILNS1_3genE9ELNS1_11target_archE1100ELNS1_3gpuE3ELNS1_3repE0EEENS1_36merge_oddeven_config_static_selectorELNS0_4arch9wavefront6targetE1EEEvSH_.num_vgpr, 0
	.set _ZN7rocprim17ROCPRIM_400000_NS6detail17trampoline_kernelINS0_14default_configENS1_38merge_sort_block_merge_config_selectorIalEEZZNS1_27merge_sort_block_merge_implIS3_PaN6thrust23THRUST_200600_302600_NS10device_ptrIlEEjNS1_19radix_merge_compareILb0ELb1EaNS0_19identity_decomposerEEEEE10hipError_tT0_T1_T2_jT3_P12ihipStream_tbPNSt15iterator_traitsISG_E10value_typeEPNSM_ISH_E10value_typeEPSI_NS1_7vsmem_tEENKUlT_SG_SH_SI_E_clIS7_S7_SB_PlEESF_SV_SG_SH_SI_EUlSV_E1_NS1_11comp_targetILNS1_3genE9ELNS1_11target_archE1100ELNS1_3gpuE3ELNS1_3repE0EEENS1_36merge_oddeven_config_static_selectorELNS0_4arch9wavefront6targetE1EEEvSH_.num_agpr, 0
	.set _ZN7rocprim17ROCPRIM_400000_NS6detail17trampoline_kernelINS0_14default_configENS1_38merge_sort_block_merge_config_selectorIalEEZZNS1_27merge_sort_block_merge_implIS3_PaN6thrust23THRUST_200600_302600_NS10device_ptrIlEEjNS1_19radix_merge_compareILb0ELb1EaNS0_19identity_decomposerEEEEE10hipError_tT0_T1_T2_jT3_P12ihipStream_tbPNSt15iterator_traitsISG_E10value_typeEPNSM_ISH_E10value_typeEPSI_NS1_7vsmem_tEENKUlT_SG_SH_SI_E_clIS7_S7_SB_PlEESF_SV_SG_SH_SI_EUlSV_E1_NS1_11comp_targetILNS1_3genE9ELNS1_11target_archE1100ELNS1_3gpuE3ELNS1_3repE0EEENS1_36merge_oddeven_config_static_selectorELNS0_4arch9wavefront6targetE1EEEvSH_.numbered_sgpr, 0
	.set _ZN7rocprim17ROCPRIM_400000_NS6detail17trampoline_kernelINS0_14default_configENS1_38merge_sort_block_merge_config_selectorIalEEZZNS1_27merge_sort_block_merge_implIS3_PaN6thrust23THRUST_200600_302600_NS10device_ptrIlEEjNS1_19radix_merge_compareILb0ELb1EaNS0_19identity_decomposerEEEEE10hipError_tT0_T1_T2_jT3_P12ihipStream_tbPNSt15iterator_traitsISG_E10value_typeEPNSM_ISH_E10value_typeEPSI_NS1_7vsmem_tEENKUlT_SG_SH_SI_E_clIS7_S7_SB_PlEESF_SV_SG_SH_SI_EUlSV_E1_NS1_11comp_targetILNS1_3genE9ELNS1_11target_archE1100ELNS1_3gpuE3ELNS1_3repE0EEENS1_36merge_oddeven_config_static_selectorELNS0_4arch9wavefront6targetE1EEEvSH_.num_named_barrier, 0
	.set _ZN7rocprim17ROCPRIM_400000_NS6detail17trampoline_kernelINS0_14default_configENS1_38merge_sort_block_merge_config_selectorIalEEZZNS1_27merge_sort_block_merge_implIS3_PaN6thrust23THRUST_200600_302600_NS10device_ptrIlEEjNS1_19radix_merge_compareILb0ELb1EaNS0_19identity_decomposerEEEEE10hipError_tT0_T1_T2_jT3_P12ihipStream_tbPNSt15iterator_traitsISG_E10value_typeEPNSM_ISH_E10value_typeEPSI_NS1_7vsmem_tEENKUlT_SG_SH_SI_E_clIS7_S7_SB_PlEESF_SV_SG_SH_SI_EUlSV_E1_NS1_11comp_targetILNS1_3genE9ELNS1_11target_archE1100ELNS1_3gpuE3ELNS1_3repE0EEENS1_36merge_oddeven_config_static_selectorELNS0_4arch9wavefront6targetE1EEEvSH_.private_seg_size, 0
	.set _ZN7rocprim17ROCPRIM_400000_NS6detail17trampoline_kernelINS0_14default_configENS1_38merge_sort_block_merge_config_selectorIalEEZZNS1_27merge_sort_block_merge_implIS3_PaN6thrust23THRUST_200600_302600_NS10device_ptrIlEEjNS1_19radix_merge_compareILb0ELb1EaNS0_19identity_decomposerEEEEE10hipError_tT0_T1_T2_jT3_P12ihipStream_tbPNSt15iterator_traitsISG_E10value_typeEPNSM_ISH_E10value_typeEPSI_NS1_7vsmem_tEENKUlT_SG_SH_SI_E_clIS7_S7_SB_PlEESF_SV_SG_SH_SI_EUlSV_E1_NS1_11comp_targetILNS1_3genE9ELNS1_11target_archE1100ELNS1_3gpuE3ELNS1_3repE0EEENS1_36merge_oddeven_config_static_selectorELNS0_4arch9wavefront6targetE1EEEvSH_.uses_vcc, 0
	.set _ZN7rocprim17ROCPRIM_400000_NS6detail17trampoline_kernelINS0_14default_configENS1_38merge_sort_block_merge_config_selectorIalEEZZNS1_27merge_sort_block_merge_implIS3_PaN6thrust23THRUST_200600_302600_NS10device_ptrIlEEjNS1_19radix_merge_compareILb0ELb1EaNS0_19identity_decomposerEEEEE10hipError_tT0_T1_T2_jT3_P12ihipStream_tbPNSt15iterator_traitsISG_E10value_typeEPNSM_ISH_E10value_typeEPSI_NS1_7vsmem_tEENKUlT_SG_SH_SI_E_clIS7_S7_SB_PlEESF_SV_SG_SH_SI_EUlSV_E1_NS1_11comp_targetILNS1_3genE9ELNS1_11target_archE1100ELNS1_3gpuE3ELNS1_3repE0EEENS1_36merge_oddeven_config_static_selectorELNS0_4arch9wavefront6targetE1EEEvSH_.uses_flat_scratch, 0
	.set _ZN7rocprim17ROCPRIM_400000_NS6detail17trampoline_kernelINS0_14default_configENS1_38merge_sort_block_merge_config_selectorIalEEZZNS1_27merge_sort_block_merge_implIS3_PaN6thrust23THRUST_200600_302600_NS10device_ptrIlEEjNS1_19radix_merge_compareILb0ELb1EaNS0_19identity_decomposerEEEEE10hipError_tT0_T1_T2_jT3_P12ihipStream_tbPNSt15iterator_traitsISG_E10value_typeEPNSM_ISH_E10value_typeEPSI_NS1_7vsmem_tEENKUlT_SG_SH_SI_E_clIS7_S7_SB_PlEESF_SV_SG_SH_SI_EUlSV_E1_NS1_11comp_targetILNS1_3genE9ELNS1_11target_archE1100ELNS1_3gpuE3ELNS1_3repE0EEENS1_36merge_oddeven_config_static_selectorELNS0_4arch9wavefront6targetE1EEEvSH_.has_dyn_sized_stack, 0
	.set _ZN7rocprim17ROCPRIM_400000_NS6detail17trampoline_kernelINS0_14default_configENS1_38merge_sort_block_merge_config_selectorIalEEZZNS1_27merge_sort_block_merge_implIS3_PaN6thrust23THRUST_200600_302600_NS10device_ptrIlEEjNS1_19radix_merge_compareILb0ELb1EaNS0_19identity_decomposerEEEEE10hipError_tT0_T1_T2_jT3_P12ihipStream_tbPNSt15iterator_traitsISG_E10value_typeEPNSM_ISH_E10value_typeEPSI_NS1_7vsmem_tEENKUlT_SG_SH_SI_E_clIS7_S7_SB_PlEESF_SV_SG_SH_SI_EUlSV_E1_NS1_11comp_targetILNS1_3genE9ELNS1_11target_archE1100ELNS1_3gpuE3ELNS1_3repE0EEENS1_36merge_oddeven_config_static_selectorELNS0_4arch9wavefront6targetE1EEEvSH_.has_recursion, 0
	.set _ZN7rocprim17ROCPRIM_400000_NS6detail17trampoline_kernelINS0_14default_configENS1_38merge_sort_block_merge_config_selectorIalEEZZNS1_27merge_sort_block_merge_implIS3_PaN6thrust23THRUST_200600_302600_NS10device_ptrIlEEjNS1_19radix_merge_compareILb0ELb1EaNS0_19identity_decomposerEEEEE10hipError_tT0_T1_T2_jT3_P12ihipStream_tbPNSt15iterator_traitsISG_E10value_typeEPNSM_ISH_E10value_typeEPSI_NS1_7vsmem_tEENKUlT_SG_SH_SI_E_clIS7_S7_SB_PlEESF_SV_SG_SH_SI_EUlSV_E1_NS1_11comp_targetILNS1_3genE9ELNS1_11target_archE1100ELNS1_3gpuE3ELNS1_3repE0EEENS1_36merge_oddeven_config_static_selectorELNS0_4arch9wavefront6targetE1EEEvSH_.has_indirect_call, 0
	.section	.AMDGPU.csdata,"",@progbits
; Kernel info:
; codeLenInByte = 0
; TotalNumSgprs: 4
; NumVgprs: 0
; ScratchSize: 0
; MemoryBound: 0
; FloatMode: 240
; IeeeMode: 1
; LDSByteSize: 0 bytes/workgroup (compile time only)
; SGPRBlocks: 0
; VGPRBlocks: 0
; NumSGPRsForWavesPerEU: 4
; NumVGPRsForWavesPerEU: 1
; Occupancy: 10
; WaveLimiterHint : 0
; COMPUTE_PGM_RSRC2:SCRATCH_EN: 0
; COMPUTE_PGM_RSRC2:USER_SGPR: 6
; COMPUTE_PGM_RSRC2:TRAP_HANDLER: 0
; COMPUTE_PGM_RSRC2:TGID_X_EN: 1
; COMPUTE_PGM_RSRC2:TGID_Y_EN: 0
; COMPUTE_PGM_RSRC2:TGID_Z_EN: 0
; COMPUTE_PGM_RSRC2:TIDIG_COMP_CNT: 0
	.section	.text._ZN7rocprim17ROCPRIM_400000_NS6detail17trampoline_kernelINS0_14default_configENS1_38merge_sort_block_merge_config_selectorIalEEZZNS1_27merge_sort_block_merge_implIS3_PaN6thrust23THRUST_200600_302600_NS10device_ptrIlEEjNS1_19radix_merge_compareILb0ELb1EaNS0_19identity_decomposerEEEEE10hipError_tT0_T1_T2_jT3_P12ihipStream_tbPNSt15iterator_traitsISG_E10value_typeEPNSM_ISH_E10value_typeEPSI_NS1_7vsmem_tEENKUlT_SG_SH_SI_E_clIS7_S7_SB_PlEESF_SV_SG_SH_SI_EUlSV_E1_NS1_11comp_targetILNS1_3genE8ELNS1_11target_archE1030ELNS1_3gpuE2ELNS1_3repE0EEENS1_36merge_oddeven_config_static_selectorELNS0_4arch9wavefront6targetE1EEEvSH_,"axG",@progbits,_ZN7rocprim17ROCPRIM_400000_NS6detail17trampoline_kernelINS0_14default_configENS1_38merge_sort_block_merge_config_selectorIalEEZZNS1_27merge_sort_block_merge_implIS3_PaN6thrust23THRUST_200600_302600_NS10device_ptrIlEEjNS1_19radix_merge_compareILb0ELb1EaNS0_19identity_decomposerEEEEE10hipError_tT0_T1_T2_jT3_P12ihipStream_tbPNSt15iterator_traitsISG_E10value_typeEPNSM_ISH_E10value_typeEPSI_NS1_7vsmem_tEENKUlT_SG_SH_SI_E_clIS7_S7_SB_PlEESF_SV_SG_SH_SI_EUlSV_E1_NS1_11comp_targetILNS1_3genE8ELNS1_11target_archE1030ELNS1_3gpuE2ELNS1_3repE0EEENS1_36merge_oddeven_config_static_selectorELNS0_4arch9wavefront6targetE1EEEvSH_,comdat
	.protected	_ZN7rocprim17ROCPRIM_400000_NS6detail17trampoline_kernelINS0_14default_configENS1_38merge_sort_block_merge_config_selectorIalEEZZNS1_27merge_sort_block_merge_implIS3_PaN6thrust23THRUST_200600_302600_NS10device_ptrIlEEjNS1_19radix_merge_compareILb0ELb1EaNS0_19identity_decomposerEEEEE10hipError_tT0_T1_T2_jT3_P12ihipStream_tbPNSt15iterator_traitsISG_E10value_typeEPNSM_ISH_E10value_typeEPSI_NS1_7vsmem_tEENKUlT_SG_SH_SI_E_clIS7_S7_SB_PlEESF_SV_SG_SH_SI_EUlSV_E1_NS1_11comp_targetILNS1_3genE8ELNS1_11target_archE1030ELNS1_3gpuE2ELNS1_3repE0EEENS1_36merge_oddeven_config_static_selectorELNS0_4arch9wavefront6targetE1EEEvSH_ ; -- Begin function _ZN7rocprim17ROCPRIM_400000_NS6detail17trampoline_kernelINS0_14default_configENS1_38merge_sort_block_merge_config_selectorIalEEZZNS1_27merge_sort_block_merge_implIS3_PaN6thrust23THRUST_200600_302600_NS10device_ptrIlEEjNS1_19radix_merge_compareILb0ELb1EaNS0_19identity_decomposerEEEEE10hipError_tT0_T1_T2_jT3_P12ihipStream_tbPNSt15iterator_traitsISG_E10value_typeEPNSM_ISH_E10value_typeEPSI_NS1_7vsmem_tEENKUlT_SG_SH_SI_E_clIS7_S7_SB_PlEESF_SV_SG_SH_SI_EUlSV_E1_NS1_11comp_targetILNS1_3genE8ELNS1_11target_archE1030ELNS1_3gpuE2ELNS1_3repE0EEENS1_36merge_oddeven_config_static_selectorELNS0_4arch9wavefront6targetE1EEEvSH_
	.globl	_ZN7rocprim17ROCPRIM_400000_NS6detail17trampoline_kernelINS0_14default_configENS1_38merge_sort_block_merge_config_selectorIalEEZZNS1_27merge_sort_block_merge_implIS3_PaN6thrust23THRUST_200600_302600_NS10device_ptrIlEEjNS1_19radix_merge_compareILb0ELb1EaNS0_19identity_decomposerEEEEE10hipError_tT0_T1_T2_jT3_P12ihipStream_tbPNSt15iterator_traitsISG_E10value_typeEPNSM_ISH_E10value_typeEPSI_NS1_7vsmem_tEENKUlT_SG_SH_SI_E_clIS7_S7_SB_PlEESF_SV_SG_SH_SI_EUlSV_E1_NS1_11comp_targetILNS1_3genE8ELNS1_11target_archE1030ELNS1_3gpuE2ELNS1_3repE0EEENS1_36merge_oddeven_config_static_selectorELNS0_4arch9wavefront6targetE1EEEvSH_
	.p2align	8
	.type	_ZN7rocprim17ROCPRIM_400000_NS6detail17trampoline_kernelINS0_14default_configENS1_38merge_sort_block_merge_config_selectorIalEEZZNS1_27merge_sort_block_merge_implIS3_PaN6thrust23THRUST_200600_302600_NS10device_ptrIlEEjNS1_19radix_merge_compareILb0ELb1EaNS0_19identity_decomposerEEEEE10hipError_tT0_T1_T2_jT3_P12ihipStream_tbPNSt15iterator_traitsISG_E10value_typeEPNSM_ISH_E10value_typeEPSI_NS1_7vsmem_tEENKUlT_SG_SH_SI_E_clIS7_S7_SB_PlEESF_SV_SG_SH_SI_EUlSV_E1_NS1_11comp_targetILNS1_3genE8ELNS1_11target_archE1030ELNS1_3gpuE2ELNS1_3repE0EEENS1_36merge_oddeven_config_static_selectorELNS0_4arch9wavefront6targetE1EEEvSH_,@function
_ZN7rocprim17ROCPRIM_400000_NS6detail17trampoline_kernelINS0_14default_configENS1_38merge_sort_block_merge_config_selectorIalEEZZNS1_27merge_sort_block_merge_implIS3_PaN6thrust23THRUST_200600_302600_NS10device_ptrIlEEjNS1_19radix_merge_compareILb0ELb1EaNS0_19identity_decomposerEEEEE10hipError_tT0_T1_T2_jT3_P12ihipStream_tbPNSt15iterator_traitsISG_E10value_typeEPNSM_ISH_E10value_typeEPSI_NS1_7vsmem_tEENKUlT_SG_SH_SI_E_clIS7_S7_SB_PlEESF_SV_SG_SH_SI_EUlSV_E1_NS1_11comp_targetILNS1_3genE8ELNS1_11target_archE1030ELNS1_3gpuE2ELNS1_3repE0EEENS1_36merge_oddeven_config_static_selectorELNS0_4arch9wavefront6targetE1EEEvSH_: ; @_ZN7rocprim17ROCPRIM_400000_NS6detail17trampoline_kernelINS0_14default_configENS1_38merge_sort_block_merge_config_selectorIalEEZZNS1_27merge_sort_block_merge_implIS3_PaN6thrust23THRUST_200600_302600_NS10device_ptrIlEEjNS1_19radix_merge_compareILb0ELb1EaNS0_19identity_decomposerEEEEE10hipError_tT0_T1_T2_jT3_P12ihipStream_tbPNSt15iterator_traitsISG_E10value_typeEPNSM_ISH_E10value_typeEPSI_NS1_7vsmem_tEENKUlT_SG_SH_SI_E_clIS7_S7_SB_PlEESF_SV_SG_SH_SI_EUlSV_E1_NS1_11comp_targetILNS1_3genE8ELNS1_11target_archE1030ELNS1_3gpuE2ELNS1_3repE0EEENS1_36merge_oddeven_config_static_selectorELNS0_4arch9wavefront6targetE1EEEvSH_
; %bb.0:
	.section	.rodata,"a",@progbits
	.p2align	6, 0x0
	.amdhsa_kernel _ZN7rocprim17ROCPRIM_400000_NS6detail17trampoline_kernelINS0_14default_configENS1_38merge_sort_block_merge_config_selectorIalEEZZNS1_27merge_sort_block_merge_implIS3_PaN6thrust23THRUST_200600_302600_NS10device_ptrIlEEjNS1_19radix_merge_compareILb0ELb1EaNS0_19identity_decomposerEEEEE10hipError_tT0_T1_T2_jT3_P12ihipStream_tbPNSt15iterator_traitsISG_E10value_typeEPNSM_ISH_E10value_typeEPSI_NS1_7vsmem_tEENKUlT_SG_SH_SI_E_clIS7_S7_SB_PlEESF_SV_SG_SH_SI_EUlSV_E1_NS1_11comp_targetILNS1_3genE8ELNS1_11target_archE1030ELNS1_3gpuE2ELNS1_3repE0EEENS1_36merge_oddeven_config_static_selectorELNS0_4arch9wavefront6targetE1EEEvSH_
		.amdhsa_group_segment_fixed_size 0
		.amdhsa_private_segment_fixed_size 0
		.amdhsa_kernarg_size 48
		.amdhsa_user_sgpr_count 6
		.amdhsa_user_sgpr_private_segment_buffer 1
		.amdhsa_user_sgpr_dispatch_ptr 0
		.amdhsa_user_sgpr_queue_ptr 0
		.amdhsa_user_sgpr_kernarg_segment_ptr 1
		.amdhsa_user_sgpr_dispatch_id 0
		.amdhsa_user_sgpr_flat_scratch_init 0
		.amdhsa_user_sgpr_private_segment_size 0
		.amdhsa_uses_dynamic_stack 0
		.amdhsa_system_sgpr_private_segment_wavefront_offset 0
		.amdhsa_system_sgpr_workgroup_id_x 1
		.amdhsa_system_sgpr_workgroup_id_y 0
		.amdhsa_system_sgpr_workgroup_id_z 0
		.amdhsa_system_sgpr_workgroup_info 0
		.amdhsa_system_vgpr_workitem_id 0
		.amdhsa_next_free_vgpr 1
		.amdhsa_next_free_sgpr 0
		.amdhsa_reserve_vcc 0
		.amdhsa_reserve_flat_scratch 0
		.amdhsa_float_round_mode_32 0
		.amdhsa_float_round_mode_16_64 0
		.amdhsa_float_denorm_mode_32 3
		.amdhsa_float_denorm_mode_16_64 3
		.amdhsa_dx10_clamp 1
		.amdhsa_ieee_mode 1
		.amdhsa_fp16_overflow 0
		.amdhsa_exception_fp_ieee_invalid_op 0
		.amdhsa_exception_fp_denorm_src 0
		.amdhsa_exception_fp_ieee_div_zero 0
		.amdhsa_exception_fp_ieee_overflow 0
		.amdhsa_exception_fp_ieee_underflow 0
		.amdhsa_exception_fp_ieee_inexact 0
		.amdhsa_exception_int_div_zero 0
	.end_amdhsa_kernel
	.section	.text._ZN7rocprim17ROCPRIM_400000_NS6detail17trampoline_kernelINS0_14default_configENS1_38merge_sort_block_merge_config_selectorIalEEZZNS1_27merge_sort_block_merge_implIS3_PaN6thrust23THRUST_200600_302600_NS10device_ptrIlEEjNS1_19radix_merge_compareILb0ELb1EaNS0_19identity_decomposerEEEEE10hipError_tT0_T1_T2_jT3_P12ihipStream_tbPNSt15iterator_traitsISG_E10value_typeEPNSM_ISH_E10value_typeEPSI_NS1_7vsmem_tEENKUlT_SG_SH_SI_E_clIS7_S7_SB_PlEESF_SV_SG_SH_SI_EUlSV_E1_NS1_11comp_targetILNS1_3genE8ELNS1_11target_archE1030ELNS1_3gpuE2ELNS1_3repE0EEENS1_36merge_oddeven_config_static_selectorELNS0_4arch9wavefront6targetE1EEEvSH_,"axG",@progbits,_ZN7rocprim17ROCPRIM_400000_NS6detail17trampoline_kernelINS0_14default_configENS1_38merge_sort_block_merge_config_selectorIalEEZZNS1_27merge_sort_block_merge_implIS3_PaN6thrust23THRUST_200600_302600_NS10device_ptrIlEEjNS1_19radix_merge_compareILb0ELb1EaNS0_19identity_decomposerEEEEE10hipError_tT0_T1_T2_jT3_P12ihipStream_tbPNSt15iterator_traitsISG_E10value_typeEPNSM_ISH_E10value_typeEPSI_NS1_7vsmem_tEENKUlT_SG_SH_SI_E_clIS7_S7_SB_PlEESF_SV_SG_SH_SI_EUlSV_E1_NS1_11comp_targetILNS1_3genE8ELNS1_11target_archE1030ELNS1_3gpuE2ELNS1_3repE0EEENS1_36merge_oddeven_config_static_selectorELNS0_4arch9wavefront6targetE1EEEvSH_,comdat
.Lfunc_end581:
	.size	_ZN7rocprim17ROCPRIM_400000_NS6detail17trampoline_kernelINS0_14default_configENS1_38merge_sort_block_merge_config_selectorIalEEZZNS1_27merge_sort_block_merge_implIS3_PaN6thrust23THRUST_200600_302600_NS10device_ptrIlEEjNS1_19radix_merge_compareILb0ELb1EaNS0_19identity_decomposerEEEEE10hipError_tT0_T1_T2_jT3_P12ihipStream_tbPNSt15iterator_traitsISG_E10value_typeEPNSM_ISH_E10value_typeEPSI_NS1_7vsmem_tEENKUlT_SG_SH_SI_E_clIS7_S7_SB_PlEESF_SV_SG_SH_SI_EUlSV_E1_NS1_11comp_targetILNS1_3genE8ELNS1_11target_archE1030ELNS1_3gpuE2ELNS1_3repE0EEENS1_36merge_oddeven_config_static_selectorELNS0_4arch9wavefront6targetE1EEEvSH_, .Lfunc_end581-_ZN7rocprim17ROCPRIM_400000_NS6detail17trampoline_kernelINS0_14default_configENS1_38merge_sort_block_merge_config_selectorIalEEZZNS1_27merge_sort_block_merge_implIS3_PaN6thrust23THRUST_200600_302600_NS10device_ptrIlEEjNS1_19radix_merge_compareILb0ELb1EaNS0_19identity_decomposerEEEEE10hipError_tT0_T1_T2_jT3_P12ihipStream_tbPNSt15iterator_traitsISG_E10value_typeEPNSM_ISH_E10value_typeEPSI_NS1_7vsmem_tEENKUlT_SG_SH_SI_E_clIS7_S7_SB_PlEESF_SV_SG_SH_SI_EUlSV_E1_NS1_11comp_targetILNS1_3genE8ELNS1_11target_archE1030ELNS1_3gpuE2ELNS1_3repE0EEENS1_36merge_oddeven_config_static_selectorELNS0_4arch9wavefront6targetE1EEEvSH_
                                        ; -- End function
	.set _ZN7rocprim17ROCPRIM_400000_NS6detail17trampoline_kernelINS0_14default_configENS1_38merge_sort_block_merge_config_selectorIalEEZZNS1_27merge_sort_block_merge_implIS3_PaN6thrust23THRUST_200600_302600_NS10device_ptrIlEEjNS1_19radix_merge_compareILb0ELb1EaNS0_19identity_decomposerEEEEE10hipError_tT0_T1_T2_jT3_P12ihipStream_tbPNSt15iterator_traitsISG_E10value_typeEPNSM_ISH_E10value_typeEPSI_NS1_7vsmem_tEENKUlT_SG_SH_SI_E_clIS7_S7_SB_PlEESF_SV_SG_SH_SI_EUlSV_E1_NS1_11comp_targetILNS1_3genE8ELNS1_11target_archE1030ELNS1_3gpuE2ELNS1_3repE0EEENS1_36merge_oddeven_config_static_selectorELNS0_4arch9wavefront6targetE1EEEvSH_.num_vgpr, 0
	.set _ZN7rocprim17ROCPRIM_400000_NS6detail17trampoline_kernelINS0_14default_configENS1_38merge_sort_block_merge_config_selectorIalEEZZNS1_27merge_sort_block_merge_implIS3_PaN6thrust23THRUST_200600_302600_NS10device_ptrIlEEjNS1_19radix_merge_compareILb0ELb1EaNS0_19identity_decomposerEEEEE10hipError_tT0_T1_T2_jT3_P12ihipStream_tbPNSt15iterator_traitsISG_E10value_typeEPNSM_ISH_E10value_typeEPSI_NS1_7vsmem_tEENKUlT_SG_SH_SI_E_clIS7_S7_SB_PlEESF_SV_SG_SH_SI_EUlSV_E1_NS1_11comp_targetILNS1_3genE8ELNS1_11target_archE1030ELNS1_3gpuE2ELNS1_3repE0EEENS1_36merge_oddeven_config_static_selectorELNS0_4arch9wavefront6targetE1EEEvSH_.num_agpr, 0
	.set _ZN7rocprim17ROCPRIM_400000_NS6detail17trampoline_kernelINS0_14default_configENS1_38merge_sort_block_merge_config_selectorIalEEZZNS1_27merge_sort_block_merge_implIS3_PaN6thrust23THRUST_200600_302600_NS10device_ptrIlEEjNS1_19radix_merge_compareILb0ELb1EaNS0_19identity_decomposerEEEEE10hipError_tT0_T1_T2_jT3_P12ihipStream_tbPNSt15iterator_traitsISG_E10value_typeEPNSM_ISH_E10value_typeEPSI_NS1_7vsmem_tEENKUlT_SG_SH_SI_E_clIS7_S7_SB_PlEESF_SV_SG_SH_SI_EUlSV_E1_NS1_11comp_targetILNS1_3genE8ELNS1_11target_archE1030ELNS1_3gpuE2ELNS1_3repE0EEENS1_36merge_oddeven_config_static_selectorELNS0_4arch9wavefront6targetE1EEEvSH_.numbered_sgpr, 0
	.set _ZN7rocprim17ROCPRIM_400000_NS6detail17trampoline_kernelINS0_14default_configENS1_38merge_sort_block_merge_config_selectorIalEEZZNS1_27merge_sort_block_merge_implIS3_PaN6thrust23THRUST_200600_302600_NS10device_ptrIlEEjNS1_19radix_merge_compareILb0ELb1EaNS0_19identity_decomposerEEEEE10hipError_tT0_T1_T2_jT3_P12ihipStream_tbPNSt15iterator_traitsISG_E10value_typeEPNSM_ISH_E10value_typeEPSI_NS1_7vsmem_tEENKUlT_SG_SH_SI_E_clIS7_S7_SB_PlEESF_SV_SG_SH_SI_EUlSV_E1_NS1_11comp_targetILNS1_3genE8ELNS1_11target_archE1030ELNS1_3gpuE2ELNS1_3repE0EEENS1_36merge_oddeven_config_static_selectorELNS0_4arch9wavefront6targetE1EEEvSH_.num_named_barrier, 0
	.set _ZN7rocprim17ROCPRIM_400000_NS6detail17trampoline_kernelINS0_14default_configENS1_38merge_sort_block_merge_config_selectorIalEEZZNS1_27merge_sort_block_merge_implIS3_PaN6thrust23THRUST_200600_302600_NS10device_ptrIlEEjNS1_19radix_merge_compareILb0ELb1EaNS0_19identity_decomposerEEEEE10hipError_tT0_T1_T2_jT3_P12ihipStream_tbPNSt15iterator_traitsISG_E10value_typeEPNSM_ISH_E10value_typeEPSI_NS1_7vsmem_tEENKUlT_SG_SH_SI_E_clIS7_S7_SB_PlEESF_SV_SG_SH_SI_EUlSV_E1_NS1_11comp_targetILNS1_3genE8ELNS1_11target_archE1030ELNS1_3gpuE2ELNS1_3repE0EEENS1_36merge_oddeven_config_static_selectorELNS0_4arch9wavefront6targetE1EEEvSH_.private_seg_size, 0
	.set _ZN7rocprim17ROCPRIM_400000_NS6detail17trampoline_kernelINS0_14default_configENS1_38merge_sort_block_merge_config_selectorIalEEZZNS1_27merge_sort_block_merge_implIS3_PaN6thrust23THRUST_200600_302600_NS10device_ptrIlEEjNS1_19radix_merge_compareILb0ELb1EaNS0_19identity_decomposerEEEEE10hipError_tT0_T1_T2_jT3_P12ihipStream_tbPNSt15iterator_traitsISG_E10value_typeEPNSM_ISH_E10value_typeEPSI_NS1_7vsmem_tEENKUlT_SG_SH_SI_E_clIS7_S7_SB_PlEESF_SV_SG_SH_SI_EUlSV_E1_NS1_11comp_targetILNS1_3genE8ELNS1_11target_archE1030ELNS1_3gpuE2ELNS1_3repE0EEENS1_36merge_oddeven_config_static_selectorELNS0_4arch9wavefront6targetE1EEEvSH_.uses_vcc, 0
	.set _ZN7rocprim17ROCPRIM_400000_NS6detail17trampoline_kernelINS0_14default_configENS1_38merge_sort_block_merge_config_selectorIalEEZZNS1_27merge_sort_block_merge_implIS3_PaN6thrust23THRUST_200600_302600_NS10device_ptrIlEEjNS1_19radix_merge_compareILb0ELb1EaNS0_19identity_decomposerEEEEE10hipError_tT0_T1_T2_jT3_P12ihipStream_tbPNSt15iterator_traitsISG_E10value_typeEPNSM_ISH_E10value_typeEPSI_NS1_7vsmem_tEENKUlT_SG_SH_SI_E_clIS7_S7_SB_PlEESF_SV_SG_SH_SI_EUlSV_E1_NS1_11comp_targetILNS1_3genE8ELNS1_11target_archE1030ELNS1_3gpuE2ELNS1_3repE0EEENS1_36merge_oddeven_config_static_selectorELNS0_4arch9wavefront6targetE1EEEvSH_.uses_flat_scratch, 0
	.set _ZN7rocprim17ROCPRIM_400000_NS6detail17trampoline_kernelINS0_14default_configENS1_38merge_sort_block_merge_config_selectorIalEEZZNS1_27merge_sort_block_merge_implIS3_PaN6thrust23THRUST_200600_302600_NS10device_ptrIlEEjNS1_19radix_merge_compareILb0ELb1EaNS0_19identity_decomposerEEEEE10hipError_tT0_T1_T2_jT3_P12ihipStream_tbPNSt15iterator_traitsISG_E10value_typeEPNSM_ISH_E10value_typeEPSI_NS1_7vsmem_tEENKUlT_SG_SH_SI_E_clIS7_S7_SB_PlEESF_SV_SG_SH_SI_EUlSV_E1_NS1_11comp_targetILNS1_3genE8ELNS1_11target_archE1030ELNS1_3gpuE2ELNS1_3repE0EEENS1_36merge_oddeven_config_static_selectorELNS0_4arch9wavefront6targetE1EEEvSH_.has_dyn_sized_stack, 0
	.set _ZN7rocprim17ROCPRIM_400000_NS6detail17trampoline_kernelINS0_14default_configENS1_38merge_sort_block_merge_config_selectorIalEEZZNS1_27merge_sort_block_merge_implIS3_PaN6thrust23THRUST_200600_302600_NS10device_ptrIlEEjNS1_19radix_merge_compareILb0ELb1EaNS0_19identity_decomposerEEEEE10hipError_tT0_T1_T2_jT3_P12ihipStream_tbPNSt15iterator_traitsISG_E10value_typeEPNSM_ISH_E10value_typeEPSI_NS1_7vsmem_tEENKUlT_SG_SH_SI_E_clIS7_S7_SB_PlEESF_SV_SG_SH_SI_EUlSV_E1_NS1_11comp_targetILNS1_3genE8ELNS1_11target_archE1030ELNS1_3gpuE2ELNS1_3repE0EEENS1_36merge_oddeven_config_static_selectorELNS0_4arch9wavefront6targetE1EEEvSH_.has_recursion, 0
	.set _ZN7rocprim17ROCPRIM_400000_NS6detail17trampoline_kernelINS0_14default_configENS1_38merge_sort_block_merge_config_selectorIalEEZZNS1_27merge_sort_block_merge_implIS3_PaN6thrust23THRUST_200600_302600_NS10device_ptrIlEEjNS1_19radix_merge_compareILb0ELb1EaNS0_19identity_decomposerEEEEE10hipError_tT0_T1_T2_jT3_P12ihipStream_tbPNSt15iterator_traitsISG_E10value_typeEPNSM_ISH_E10value_typeEPSI_NS1_7vsmem_tEENKUlT_SG_SH_SI_E_clIS7_S7_SB_PlEESF_SV_SG_SH_SI_EUlSV_E1_NS1_11comp_targetILNS1_3genE8ELNS1_11target_archE1030ELNS1_3gpuE2ELNS1_3repE0EEENS1_36merge_oddeven_config_static_selectorELNS0_4arch9wavefront6targetE1EEEvSH_.has_indirect_call, 0
	.section	.AMDGPU.csdata,"",@progbits
; Kernel info:
; codeLenInByte = 0
; TotalNumSgprs: 4
; NumVgprs: 0
; ScratchSize: 0
; MemoryBound: 0
; FloatMode: 240
; IeeeMode: 1
; LDSByteSize: 0 bytes/workgroup (compile time only)
; SGPRBlocks: 0
; VGPRBlocks: 0
; NumSGPRsForWavesPerEU: 4
; NumVGPRsForWavesPerEU: 1
; Occupancy: 10
; WaveLimiterHint : 0
; COMPUTE_PGM_RSRC2:SCRATCH_EN: 0
; COMPUTE_PGM_RSRC2:USER_SGPR: 6
; COMPUTE_PGM_RSRC2:TRAP_HANDLER: 0
; COMPUTE_PGM_RSRC2:TGID_X_EN: 1
; COMPUTE_PGM_RSRC2:TGID_Y_EN: 0
; COMPUTE_PGM_RSRC2:TGID_Z_EN: 0
; COMPUTE_PGM_RSRC2:TIDIG_COMP_CNT: 0
	.section	.text._ZN7rocprim17ROCPRIM_400000_NS6detail17trampoline_kernelINS0_14default_configENS1_35radix_sort_onesweep_config_selectorIalEEZNS1_34radix_sort_onesweep_global_offsetsIS3_Lb0EPaN6thrust23THRUST_200600_302600_NS10device_ptrIlEEjNS0_19identity_decomposerEEE10hipError_tT1_T2_PT3_SG_jT4_jjP12ihipStream_tbEUlT_E_NS1_11comp_targetILNS1_3genE0ELNS1_11target_archE4294967295ELNS1_3gpuE0ELNS1_3repE0EEENS1_52radix_sort_onesweep_histogram_config_static_selectorELNS0_4arch9wavefront6targetE1EEEvSE_,"axG",@progbits,_ZN7rocprim17ROCPRIM_400000_NS6detail17trampoline_kernelINS0_14default_configENS1_35radix_sort_onesweep_config_selectorIalEEZNS1_34radix_sort_onesweep_global_offsetsIS3_Lb0EPaN6thrust23THRUST_200600_302600_NS10device_ptrIlEEjNS0_19identity_decomposerEEE10hipError_tT1_T2_PT3_SG_jT4_jjP12ihipStream_tbEUlT_E_NS1_11comp_targetILNS1_3genE0ELNS1_11target_archE4294967295ELNS1_3gpuE0ELNS1_3repE0EEENS1_52radix_sort_onesweep_histogram_config_static_selectorELNS0_4arch9wavefront6targetE1EEEvSE_,comdat
	.protected	_ZN7rocprim17ROCPRIM_400000_NS6detail17trampoline_kernelINS0_14default_configENS1_35radix_sort_onesweep_config_selectorIalEEZNS1_34radix_sort_onesweep_global_offsetsIS3_Lb0EPaN6thrust23THRUST_200600_302600_NS10device_ptrIlEEjNS0_19identity_decomposerEEE10hipError_tT1_T2_PT3_SG_jT4_jjP12ihipStream_tbEUlT_E_NS1_11comp_targetILNS1_3genE0ELNS1_11target_archE4294967295ELNS1_3gpuE0ELNS1_3repE0EEENS1_52radix_sort_onesweep_histogram_config_static_selectorELNS0_4arch9wavefront6targetE1EEEvSE_ ; -- Begin function _ZN7rocprim17ROCPRIM_400000_NS6detail17trampoline_kernelINS0_14default_configENS1_35radix_sort_onesweep_config_selectorIalEEZNS1_34radix_sort_onesweep_global_offsetsIS3_Lb0EPaN6thrust23THRUST_200600_302600_NS10device_ptrIlEEjNS0_19identity_decomposerEEE10hipError_tT1_T2_PT3_SG_jT4_jjP12ihipStream_tbEUlT_E_NS1_11comp_targetILNS1_3genE0ELNS1_11target_archE4294967295ELNS1_3gpuE0ELNS1_3repE0EEENS1_52radix_sort_onesweep_histogram_config_static_selectorELNS0_4arch9wavefront6targetE1EEEvSE_
	.globl	_ZN7rocprim17ROCPRIM_400000_NS6detail17trampoline_kernelINS0_14default_configENS1_35radix_sort_onesweep_config_selectorIalEEZNS1_34radix_sort_onesweep_global_offsetsIS3_Lb0EPaN6thrust23THRUST_200600_302600_NS10device_ptrIlEEjNS0_19identity_decomposerEEE10hipError_tT1_T2_PT3_SG_jT4_jjP12ihipStream_tbEUlT_E_NS1_11comp_targetILNS1_3genE0ELNS1_11target_archE4294967295ELNS1_3gpuE0ELNS1_3repE0EEENS1_52radix_sort_onesweep_histogram_config_static_selectorELNS0_4arch9wavefront6targetE1EEEvSE_
	.p2align	8
	.type	_ZN7rocprim17ROCPRIM_400000_NS6detail17trampoline_kernelINS0_14default_configENS1_35radix_sort_onesweep_config_selectorIalEEZNS1_34radix_sort_onesweep_global_offsetsIS3_Lb0EPaN6thrust23THRUST_200600_302600_NS10device_ptrIlEEjNS0_19identity_decomposerEEE10hipError_tT1_T2_PT3_SG_jT4_jjP12ihipStream_tbEUlT_E_NS1_11comp_targetILNS1_3genE0ELNS1_11target_archE4294967295ELNS1_3gpuE0ELNS1_3repE0EEENS1_52radix_sort_onesweep_histogram_config_static_selectorELNS0_4arch9wavefront6targetE1EEEvSE_,@function
_ZN7rocprim17ROCPRIM_400000_NS6detail17trampoline_kernelINS0_14default_configENS1_35radix_sort_onesweep_config_selectorIalEEZNS1_34radix_sort_onesweep_global_offsetsIS3_Lb0EPaN6thrust23THRUST_200600_302600_NS10device_ptrIlEEjNS0_19identity_decomposerEEE10hipError_tT1_T2_PT3_SG_jT4_jjP12ihipStream_tbEUlT_E_NS1_11comp_targetILNS1_3genE0ELNS1_11target_archE4294967295ELNS1_3gpuE0ELNS1_3repE0EEENS1_52radix_sort_onesweep_histogram_config_static_selectorELNS0_4arch9wavefront6targetE1EEEvSE_: ; @_ZN7rocprim17ROCPRIM_400000_NS6detail17trampoline_kernelINS0_14default_configENS1_35radix_sort_onesweep_config_selectorIalEEZNS1_34radix_sort_onesweep_global_offsetsIS3_Lb0EPaN6thrust23THRUST_200600_302600_NS10device_ptrIlEEjNS0_19identity_decomposerEEE10hipError_tT1_T2_PT3_SG_jT4_jjP12ihipStream_tbEUlT_E_NS1_11comp_targetILNS1_3genE0ELNS1_11target_archE4294967295ELNS1_3gpuE0ELNS1_3repE0EEENS1_52radix_sort_onesweep_histogram_config_static_selectorELNS0_4arch9wavefront6targetE1EEEvSE_
; %bb.0:
	.section	.rodata,"a",@progbits
	.p2align	6, 0x0
	.amdhsa_kernel _ZN7rocprim17ROCPRIM_400000_NS6detail17trampoline_kernelINS0_14default_configENS1_35radix_sort_onesweep_config_selectorIalEEZNS1_34radix_sort_onesweep_global_offsetsIS3_Lb0EPaN6thrust23THRUST_200600_302600_NS10device_ptrIlEEjNS0_19identity_decomposerEEE10hipError_tT1_T2_PT3_SG_jT4_jjP12ihipStream_tbEUlT_E_NS1_11comp_targetILNS1_3genE0ELNS1_11target_archE4294967295ELNS1_3gpuE0ELNS1_3repE0EEENS1_52radix_sort_onesweep_histogram_config_static_selectorELNS0_4arch9wavefront6targetE1EEEvSE_
		.amdhsa_group_segment_fixed_size 0
		.amdhsa_private_segment_fixed_size 0
		.amdhsa_kernarg_size 40
		.amdhsa_user_sgpr_count 6
		.amdhsa_user_sgpr_private_segment_buffer 1
		.amdhsa_user_sgpr_dispatch_ptr 0
		.amdhsa_user_sgpr_queue_ptr 0
		.amdhsa_user_sgpr_kernarg_segment_ptr 1
		.amdhsa_user_sgpr_dispatch_id 0
		.amdhsa_user_sgpr_flat_scratch_init 0
		.amdhsa_user_sgpr_private_segment_size 0
		.amdhsa_uses_dynamic_stack 0
		.amdhsa_system_sgpr_private_segment_wavefront_offset 0
		.amdhsa_system_sgpr_workgroup_id_x 1
		.amdhsa_system_sgpr_workgroup_id_y 0
		.amdhsa_system_sgpr_workgroup_id_z 0
		.amdhsa_system_sgpr_workgroup_info 0
		.amdhsa_system_vgpr_workitem_id 0
		.amdhsa_next_free_vgpr 1
		.amdhsa_next_free_sgpr 0
		.amdhsa_reserve_vcc 0
		.amdhsa_reserve_flat_scratch 0
		.amdhsa_float_round_mode_32 0
		.amdhsa_float_round_mode_16_64 0
		.amdhsa_float_denorm_mode_32 3
		.amdhsa_float_denorm_mode_16_64 3
		.amdhsa_dx10_clamp 1
		.amdhsa_ieee_mode 1
		.amdhsa_fp16_overflow 0
		.amdhsa_exception_fp_ieee_invalid_op 0
		.amdhsa_exception_fp_denorm_src 0
		.amdhsa_exception_fp_ieee_div_zero 0
		.amdhsa_exception_fp_ieee_overflow 0
		.amdhsa_exception_fp_ieee_underflow 0
		.amdhsa_exception_fp_ieee_inexact 0
		.amdhsa_exception_int_div_zero 0
	.end_amdhsa_kernel
	.section	.text._ZN7rocprim17ROCPRIM_400000_NS6detail17trampoline_kernelINS0_14default_configENS1_35radix_sort_onesweep_config_selectorIalEEZNS1_34radix_sort_onesweep_global_offsetsIS3_Lb0EPaN6thrust23THRUST_200600_302600_NS10device_ptrIlEEjNS0_19identity_decomposerEEE10hipError_tT1_T2_PT3_SG_jT4_jjP12ihipStream_tbEUlT_E_NS1_11comp_targetILNS1_3genE0ELNS1_11target_archE4294967295ELNS1_3gpuE0ELNS1_3repE0EEENS1_52radix_sort_onesweep_histogram_config_static_selectorELNS0_4arch9wavefront6targetE1EEEvSE_,"axG",@progbits,_ZN7rocprim17ROCPRIM_400000_NS6detail17trampoline_kernelINS0_14default_configENS1_35radix_sort_onesweep_config_selectorIalEEZNS1_34radix_sort_onesweep_global_offsetsIS3_Lb0EPaN6thrust23THRUST_200600_302600_NS10device_ptrIlEEjNS0_19identity_decomposerEEE10hipError_tT1_T2_PT3_SG_jT4_jjP12ihipStream_tbEUlT_E_NS1_11comp_targetILNS1_3genE0ELNS1_11target_archE4294967295ELNS1_3gpuE0ELNS1_3repE0EEENS1_52radix_sort_onesweep_histogram_config_static_selectorELNS0_4arch9wavefront6targetE1EEEvSE_,comdat
.Lfunc_end582:
	.size	_ZN7rocprim17ROCPRIM_400000_NS6detail17trampoline_kernelINS0_14default_configENS1_35radix_sort_onesweep_config_selectorIalEEZNS1_34radix_sort_onesweep_global_offsetsIS3_Lb0EPaN6thrust23THRUST_200600_302600_NS10device_ptrIlEEjNS0_19identity_decomposerEEE10hipError_tT1_T2_PT3_SG_jT4_jjP12ihipStream_tbEUlT_E_NS1_11comp_targetILNS1_3genE0ELNS1_11target_archE4294967295ELNS1_3gpuE0ELNS1_3repE0EEENS1_52radix_sort_onesweep_histogram_config_static_selectorELNS0_4arch9wavefront6targetE1EEEvSE_, .Lfunc_end582-_ZN7rocprim17ROCPRIM_400000_NS6detail17trampoline_kernelINS0_14default_configENS1_35radix_sort_onesweep_config_selectorIalEEZNS1_34radix_sort_onesweep_global_offsetsIS3_Lb0EPaN6thrust23THRUST_200600_302600_NS10device_ptrIlEEjNS0_19identity_decomposerEEE10hipError_tT1_T2_PT3_SG_jT4_jjP12ihipStream_tbEUlT_E_NS1_11comp_targetILNS1_3genE0ELNS1_11target_archE4294967295ELNS1_3gpuE0ELNS1_3repE0EEENS1_52radix_sort_onesweep_histogram_config_static_selectorELNS0_4arch9wavefront6targetE1EEEvSE_
                                        ; -- End function
	.set _ZN7rocprim17ROCPRIM_400000_NS6detail17trampoline_kernelINS0_14default_configENS1_35radix_sort_onesweep_config_selectorIalEEZNS1_34radix_sort_onesweep_global_offsetsIS3_Lb0EPaN6thrust23THRUST_200600_302600_NS10device_ptrIlEEjNS0_19identity_decomposerEEE10hipError_tT1_T2_PT3_SG_jT4_jjP12ihipStream_tbEUlT_E_NS1_11comp_targetILNS1_3genE0ELNS1_11target_archE4294967295ELNS1_3gpuE0ELNS1_3repE0EEENS1_52radix_sort_onesweep_histogram_config_static_selectorELNS0_4arch9wavefront6targetE1EEEvSE_.num_vgpr, 0
	.set _ZN7rocprim17ROCPRIM_400000_NS6detail17trampoline_kernelINS0_14default_configENS1_35radix_sort_onesweep_config_selectorIalEEZNS1_34radix_sort_onesweep_global_offsetsIS3_Lb0EPaN6thrust23THRUST_200600_302600_NS10device_ptrIlEEjNS0_19identity_decomposerEEE10hipError_tT1_T2_PT3_SG_jT4_jjP12ihipStream_tbEUlT_E_NS1_11comp_targetILNS1_3genE0ELNS1_11target_archE4294967295ELNS1_3gpuE0ELNS1_3repE0EEENS1_52radix_sort_onesweep_histogram_config_static_selectorELNS0_4arch9wavefront6targetE1EEEvSE_.num_agpr, 0
	.set _ZN7rocprim17ROCPRIM_400000_NS6detail17trampoline_kernelINS0_14default_configENS1_35radix_sort_onesweep_config_selectorIalEEZNS1_34radix_sort_onesweep_global_offsetsIS3_Lb0EPaN6thrust23THRUST_200600_302600_NS10device_ptrIlEEjNS0_19identity_decomposerEEE10hipError_tT1_T2_PT3_SG_jT4_jjP12ihipStream_tbEUlT_E_NS1_11comp_targetILNS1_3genE0ELNS1_11target_archE4294967295ELNS1_3gpuE0ELNS1_3repE0EEENS1_52radix_sort_onesweep_histogram_config_static_selectorELNS0_4arch9wavefront6targetE1EEEvSE_.numbered_sgpr, 0
	.set _ZN7rocprim17ROCPRIM_400000_NS6detail17trampoline_kernelINS0_14default_configENS1_35radix_sort_onesweep_config_selectorIalEEZNS1_34radix_sort_onesweep_global_offsetsIS3_Lb0EPaN6thrust23THRUST_200600_302600_NS10device_ptrIlEEjNS0_19identity_decomposerEEE10hipError_tT1_T2_PT3_SG_jT4_jjP12ihipStream_tbEUlT_E_NS1_11comp_targetILNS1_3genE0ELNS1_11target_archE4294967295ELNS1_3gpuE0ELNS1_3repE0EEENS1_52radix_sort_onesweep_histogram_config_static_selectorELNS0_4arch9wavefront6targetE1EEEvSE_.num_named_barrier, 0
	.set _ZN7rocprim17ROCPRIM_400000_NS6detail17trampoline_kernelINS0_14default_configENS1_35radix_sort_onesweep_config_selectorIalEEZNS1_34radix_sort_onesweep_global_offsetsIS3_Lb0EPaN6thrust23THRUST_200600_302600_NS10device_ptrIlEEjNS0_19identity_decomposerEEE10hipError_tT1_T2_PT3_SG_jT4_jjP12ihipStream_tbEUlT_E_NS1_11comp_targetILNS1_3genE0ELNS1_11target_archE4294967295ELNS1_3gpuE0ELNS1_3repE0EEENS1_52radix_sort_onesweep_histogram_config_static_selectorELNS0_4arch9wavefront6targetE1EEEvSE_.private_seg_size, 0
	.set _ZN7rocprim17ROCPRIM_400000_NS6detail17trampoline_kernelINS0_14default_configENS1_35radix_sort_onesweep_config_selectorIalEEZNS1_34radix_sort_onesweep_global_offsetsIS3_Lb0EPaN6thrust23THRUST_200600_302600_NS10device_ptrIlEEjNS0_19identity_decomposerEEE10hipError_tT1_T2_PT3_SG_jT4_jjP12ihipStream_tbEUlT_E_NS1_11comp_targetILNS1_3genE0ELNS1_11target_archE4294967295ELNS1_3gpuE0ELNS1_3repE0EEENS1_52radix_sort_onesweep_histogram_config_static_selectorELNS0_4arch9wavefront6targetE1EEEvSE_.uses_vcc, 0
	.set _ZN7rocprim17ROCPRIM_400000_NS6detail17trampoline_kernelINS0_14default_configENS1_35radix_sort_onesweep_config_selectorIalEEZNS1_34radix_sort_onesweep_global_offsetsIS3_Lb0EPaN6thrust23THRUST_200600_302600_NS10device_ptrIlEEjNS0_19identity_decomposerEEE10hipError_tT1_T2_PT3_SG_jT4_jjP12ihipStream_tbEUlT_E_NS1_11comp_targetILNS1_3genE0ELNS1_11target_archE4294967295ELNS1_3gpuE0ELNS1_3repE0EEENS1_52radix_sort_onesweep_histogram_config_static_selectorELNS0_4arch9wavefront6targetE1EEEvSE_.uses_flat_scratch, 0
	.set _ZN7rocprim17ROCPRIM_400000_NS6detail17trampoline_kernelINS0_14default_configENS1_35radix_sort_onesweep_config_selectorIalEEZNS1_34radix_sort_onesweep_global_offsetsIS3_Lb0EPaN6thrust23THRUST_200600_302600_NS10device_ptrIlEEjNS0_19identity_decomposerEEE10hipError_tT1_T2_PT3_SG_jT4_jjP12ihipStream_tbEUlT_E_NS1_11comp_targetILNS1_3genE0ELNS1_11target_archE4294967295ELNS1_3gpuE0ELNS1_3repE0EEENS1_52radix_sort_onesweep_histogram_config_static_selectorELNS0_4arch9wavefront6targetE1EEEvSE_.has_dyn_sized_stack, 0
	.set _ZN7rocprim17ROCPRIM_400000_NS6detail17trampoline_kernelINS0_14default_configENS1_35radix_sort_onesweep_config_selectorIalEEZNS1_34radix_sort_onesweep_global_offsetsIS3_Lb0EPaN6thrust23THRUST_200600_302600_NS10device_ptrIlEEjNS0_19identity_decomposerEEE10hipError_tT1_T2_PT3_SG_jT4_jjP12ihipStream_tbEUlT_E_NS1_11comp_targetILNS1_3genE0ELNS1_11target_archE4294967295ELNS1_3gpuE0ELNS1_3repE0EEENS1_52radix_sort_onesweep_histogram_config_static_selectorELNS0_4arch9wavefront6targetE1EEEvSE_.has_recursion, 0
	.set _ZN7rocprim17ROCPRIM_400000_NS6detail17trampoline_kernelINS0_14default_configENS1_35radix_sort_onesweep_config_selectorIalEEZNS1_34radix_sort_onesweep_global_offsetsIS3_Lb0EPaN6thrust23THRUST_200600_302600_NS10device_ptrIlEEjNS0_19identity_decomposerEEE10hipError_tT1_T2_PT3_SG_jT4_jjP12ihipStream_tbEUlT_E_NS1_11comp_targetILNS1_3genE0ELNS1_11target_archE4294967295ELNS1_3gpuE0ELNS1_3repE0EEENS1_52radix_sort_onesweep_histogram_config_static_selectorELNS0_4arch9wavefront6targetE1EEEvSE_.has_indirect_call, 0
	.section	.AMDGPU.csdata,"",@progbits
; Kernel info:
; codeLenInByte = 0
; TotalNumSgprs: 4
; NumVgprs: 0
; ScratchSize: 0
; MemoryBound: 0
; FloatMode: 240
; IeeeMode: 1
; LDSByteSize: 0 bytes/workgroup (compile time only)
; SGPRBlocks: 0
; VGPRBlocks: 0
; NumSGPRsForWavesPerEU: 4
; NumVGPRsForWavesPerEU: 1
; Occupancy: 10
; WaveLimiterHint : 0
; COMPUTE_PGM_RSRC2:SCRATCH_EN: 0
; COMPUTE_PGM_RSRC2:USER_SGPR: 6
; COMPUTE_PGM_RSRC2:TRAP_HANDLER: 0
; COMPUTE_PGM_RSRC2:TGID_X_EN: 1
; COMPUTE_PGM_RSRC2:TGID_Y_EN: 0
; COMPUTE_PGM_RSRC2:TGID_Z_EN: 0
; COMPUTE_PGM_RSRC2:TIDIG_COMP_CNT: 0
	.section	.text._ZN7rocprim17ROCPRIM_400000_NS6detail17trampoline_kernelINS0_14default_configENS1_35radix_sort_onesweep_config_selectorIalEEZNS1_34radix_sort_onesweep_global_offsetsIS3_Lb0EPaN6thrust23THRUST_200600_302600_NS10device_ptrIlEEjNS0_19identity_decomposerEEE10hipError_tT1_T2_PT3_SG_jT4_jjP12ihipStream_tbEUlT_E_NS1_11comp_targetILNS1_3genE6ELNS1_11target_archE950ELNS1_3gpuE13ELNS1_3repE0EEENS1_52radix_sort_onesweep_histogram_config_static_selectorELNS0_4arch9wavefront6targetE1EEEvSE_,"axG",@progbits,_ZN7rocprim17ROCPRIM_400000_NS6detail17trampoline_kernelINS0_14default_configENS1_35radix_sort_onesweep_config_selectorIalEEZNS1_34radix_sort_onesweep_global_offsetsIS3_Lb0EPaN6thrust23THRUST_200600_302600_NS10device_ptrIlEEjNS0_19identity_decomposerEEE10hipError_tT1_T2_PT3_SG_jT4_jjP12ihipStream_tbEUlT_E_NS1_11comp_targetILNS1_3genE6ELNS1_11target_archE950ELNS1_3gpuE13ELNS1_3repE0EEENS1_52radix_sort_onesweep_histogram_config_static_selectorELNS0_4arch9wavefront6targetE1EEEvSE_,comdat
	.protected	_ZN7rocprim17ROCPRIM_400000_NS6detail17trampoline_kernelINS0_14default_configENS1_35radix_sort_onesweep_config_selectorIalEEZNS1_34radix_sort_onesweep_global_offsetsIS3_Lb0EPaN6thrust23THRUST_200600_302600_NS10device_ptrIlEEjNS0_19identity_decomposerEEE10hipError_tT1_T2_PT3_SG_jT4_jjP12ihipStream_tbEUlT_E_NS1_11comp_targetILNS1_3genE6ELNS1_11target_archE950ELNS1_3gpuE13ELNS1_3repE0EEENS1_52radix_sort_onesweep_histogram_config_static_selectorELNS0_4arch9wavefront6targetE1EEEvSE_ ; -- Begin function _ZN7rocprim17ROCPRIM_400000_NS6detail17trampoline_kernelINS0_14default_configENS1_35radix_sort_onesweep_config_selectorIalEEZNS1_34radix_sort_onesweep_global_offsetsIS3_Lb0EPaN6thrust23THRUST_200600_302600_NS10device_ptrIlEEjNS0_19identity_decomposerEEE10hipError_tT1_T2_PT3_SG_jT4_jjP12ihipStream_tbEUlT_E_NS1_11comp_targetILNS1_3genE6ELNS1_11target_archE950ELNS1_3gpuE13ELNS1_3repE0EEENS1_52radix_sort_onesweep_histogram_config_static_selectorELNS0_4arch9wavefront6targetE1EEEvSE_
	.globl	_ZN7rocprim17ROCPRIM_400000_NS6detail17trampoline_kernelINS0_14default_configENS1_35radix_sort_onesweep_config_selectorIalEEZNS1_34radix_sort_onesweep_global_offsetsIS3_Lb0EPaN6thrust23THRUST_200600_302600_NS10device_ptrIlEEjNS0_19identity_decomposerEEE10hipError_tT1_T2_PT3_SG_jT4_jjP12ihipStream_tbEUlT_E_NS1_11comp_targetILNS1_3genE6ELNS1_11target_archE950ELNS1_3gpuE13ELNS1_3repE0EEENS1_52radix_sort_onesweep_histogram_config_static_selectorELNS0_4arch9wavefront6targetE1EEEvSE_
	.p2align	8
	.type	_ZN7rocprim17ROCPRIM_400000_NS6detail17trampoline_kernelINS0_14default_configENS1_35radix_sort_onesweep_config_selectorIalEEZNS1_34radix_sort_onesweep_global_offsetsIS3_Lb0EPaN6thrust23THRUST_200600_302600_NS10device_ptrIlEEjNS0_19identity_decomposerEEE10hipError_tT1_T2_PT3_SG_jT4_jjP12ihipStream_tbEUlT_E_NS1_11comp_targetILNS1_3genE6ELNS1_11target_archE950ELNS1_3gpuE13ELNS1_3repE0EEENS1_52radix_sort_onesweep_histogram_config_static_selectorELNS0_4arch9wavefront6targetE1EEEvSE_,@function
_ZN7rocprim17ROCPRIM_400000_NS6detail17trampoline_kernelINS0_14default_configENS1_35radix_sort_onesweep_config_selectorIalEEZNS1_34radix_sort_onesweep_global_offsetsIS3_Lb0EPaN6thrust23THRUST_200600_302600_NS10device_ptrIlEEjNS0_19identity_decomposerEEE10hipError_tT1_T2_PT3_SG_jT4_jjP12ihipStream_tbEUlT_E_NS1_11comp_targetILNS1_3genE6ELNS1_11target_archE950ELNS1_3gpuE13ELNS1_3repE0EEENS1_52radix_sort_onesweep_histogram_config_static_selectorELNS0_4arch9wavefront6targetE1EEEvSE_: ; @_ZN7rocprim17ROCPRIM_400000_NS6detail17trampoline_kernelINS0_14default_configENS1_35radix_sort_onesweep_config_selectorIalEEZNS1_34radix_sort_onesweep_global_offsetsIS3_Lb0EPaN6thrust23THRUST_200600_302600_NS10device_ptrIlEEjNS0_19identity_decomposerEEE10hipError_tT1_T2_PT3_SG_jT4_jjP12ihipStream_tbEUlT_E_NS1_11comp_targetILNS1_3genE6ELNS1_11target_archE950ELNS1_3gpuE13ELNS1_3repE0EEENS1_52radix_sort_onesweep_histogram_config_static_selectorELNS0_4arch9wavefront6targetE1EEEvSE_
; %bb.0:
	.section	.rodata,"a",@progbits
	.p2align	6, 0x0
	.amdhsa_kernel _ZN7rocprim17ROCPRIM_400000_NS6detail17trampoline_kernelINS0_14default_configENS1_35radix_sort_onesweep_config_selectorIalEEZNS1_34radix_sort_onesweep_global_offsetsIS3_Lb0EPaN6thrust23THRUST_200600_302600_NS10device_ptrIlEEjNS0_19identity_decomposerEEE10hipError_tT1_T2_PT3_SG_jT4_jjP12ihipStream_tbEUlT_E_NS1_11comp_targetILNS1_3genE6ELNS1_11target_archE950ELNS1_3gpuE13ELNS1_3repE0EEENS1_52radix_sort_onesweep_histogram_config_static_selectorELNS0_4arch9wavefront6targetE1EEEvSE_
		.amdhsa_group_segment_fixed_size 0
		.amdhsa_private_segment_fixed_size 0
		.amdhsa_kernarg_size 40
		.amdhsa_user_sgpr_count 6
		.amdhsa_user_sgpr_private_segment_buffer 1
		.amdhsa_user_sgpr_dispatch_ptr 0
		.amdhsa_user_sgpr_queue_ptr 0
		.amdhsa_user_sgpr_kernarg_segment_ptr 1
		.amdhsa_user_sgpr_dispatch_id 0
		.amdhsa_user_sgpr_flat_scratch_init 0
		.amdhsa_user_sgpr_private_segment_size 0
		.amdhsa_uses_dynamic_stack 0
		.amdhsa_system_sgpr_private_segment_wavefront_offset 0
		.amdhsa_system_sgpr_workgroup_id_x 1
		.amdhsa_system_sgpr_workgroup_id_y 0
		.amdhsa_system_sgpr_workgroup_id_z 0
		.amdhsa_system_sgpr_workgroup_info 0
		.amdhsa_system_vgpr_workitem_id 0
		.amdhsa_next_free_vgpr 1
		.amdhsa_next_free_sgpr 0
		.amdhsa_reserve_vcc 0
		.amdhsa_reserve_flat_scratch 0
		.amdhsa_float_round_mode_32 0
		.amdhsa_float_round_mode_16_64 0
		.amdhsa_float_denorm_mode_32 3
		.amdhsa_float_denorm_mode_16_64 3
		.amdhsa_dx10_clamp 1
		.amdhsa_ieee_mode 1
		.amdhsa_fp16_overflow 0
		.amdhsa_exception_fp_ieee_invalid_op 0
		.amdhsa_exception_fp_denorm_src 0
		.amdhsa_exception_fp_ieee_div_zero 0
		.amdhsa_exception_fp_ieee_overflow 0
		.amdhsa_exception_fp_ieee_underflow 0
		.amdhsa_exception_fp_ieee_inexact 0
		.amdhsa_exception_int_div_zero 0
	.end_amdhsa_kernel
	.section	.text._ZN7rocprim17ROCPRIM_400000_NS6detail17trampoline_kernelINS0_14default_configENS1_35radix_sort_onesweep_config_selectorIalEEZNS1_34radix_sort_onesweep_global_offsetsIS3_Lb0EPaN6thrust23THRUST_200600_302600_NS10device_ptrIlEEjNS0_19identity_decomposerEEE10hipError_tT1_T2_PT3_SG_jT4_jjP12ihipStream_tbEUlT_E_NS1_11comp_targetILNS1_3genE6ELNS1_11target_archE950ELNS1_3gpuE13ELNS1_3repE0EEENS1_52radix_sort_onesweep_histogram_config_static_selectorELNS0_4arch9wavefront6targetE1EEEvSE_,"axG",@progbits,_ZN7rocprim17ROCPRIM_400000_NS6detail17trampoline_kernelINS0_14default_configENS1_35radix_sort_onesweep_config_selectorIalEEZNS1_34radix_sort_onesweep_global_offsetsIS3_Lb0EPaN6thrust23THRUST_200600_302600_NS10device_ptrIlEEjNS0_19identity_decomposerEEE10hipError_tT1_T2_PT3_SG_jT4_jjP12ihipStream_tbEUlT_E_NS1_11comp_targetILNS1_3genE6ELNS1_11target_archE950ELNS1_3gpuE13ELNS1_3repE0EEENS1_52radix_sort_onesweep_histogram_config_static_selectorELNS0_4arch9wavefront6targetE1EEEvSE_,comdat
.Lfunc_end583:
	.size	_ZN7rocprim17ROCPRIM_400000_NS6detail17trampoline_kernelINS0_14default_configENS1_35radix_sort_onesweep_config_selectorIalEEZNS1_34radix_sort_onesweep_global_offsetsIS3_Lb0EPaN6thrust23THRUST_200600_302600_NS10device_ptrIlEEjNS0_19identity_decomposerEEE10hipError_tT1_T2_PT3_SG_jT4_jjP12ihipStream_tbEUlT_E_NS1_11comp_targetILNS1_3genE6ELNS1_11target_archE950ELNS1_3gpuE13ELNS1_3repE0EEENS1_52radix_sort_onesweep_histogram_config_static_selectorELNS0_4arch9wavefront6targetE1EEEvSE_, .Lfunc_end583-_ZN7rocprim17ROCPRIM_400000_NS6detail17trampoline_kernelINS0_14default_configENS1_35radix_sort_onesweep_config_selectorIalEEZNS1_34radix_sort_onesweep_global_offsetsIS3_Lb0EPaN6thrust23THRUST_200600_302600_NS10device_ptrIlEEjNS0_19identity_decomposerEEE10hipError_tT1_T2_PT3_SG_jT4_jjP12ihipStream_tbEUlT_E_NS1_11comp_targetILNS1_3genE6ELNS1_11target_archE950ELNS1_3gpuE13ELNS1_3repE0EEENS1_52radix_sort_onesweep_histogram_config_static_selectorELNS0_4arch9wavefront6targetE1EEEvSE_
                                        ; -- End function
	.set _ZN7rocprim17ROCPRIM_400000_NS6detail17trampoline_kernelINS0_14default_configENS1_35radix_sort_onesweep_config_selectorIalEEZNS1_34radix_sort_onesweep_global_offsetsIS3_Lb0EPaN6thrust23THRUST_200600_302600_NS10device_ptrIlEEjNS0_19identity_decomposerEEE10hipError_tT1_T2_PT3_SG_jT4_jjP12ihipStream_tbEUlT_E_NS1_11comp_targetILNS1_3genE6ELNS1_11target_archE950ELNS1_3gpuE13ELNS1_3repE0EEENS1_52radix_sort_onesweep_histogram_config_static_selectorELNS0_4arch9wavefront6targetE1EEEvSE_.num_vgpr, 0
	.set _ZN7rocprim17ROCPRIM_400000_NS6detail17trampoline_kernelINS0_14default_configENS1_35radix_sort_onesweep_config_selectorIalEEZNS1_34radix_sort_onesweep_global_offsetsIS3_Lb0EPaN6thrust23THRUST_200600_302600_NS10device_ptrIlEEjNS0_19identity_decomposerEEE10hipError_tT1_T2_PT3_SG_jT4_jjP12ihipStream_tbEUlT_E_NS1_11comp_targetILNS1_3genE6ELNS1_11target_archE950ELNS1_3gpuE13ELNS1_3repE0EEENS1_52radix_sort_onesweep_histogram_config_static_selectorELNS0_4arch9wavefront6targetE1EEEvSE_.num_agpr, 0
	.set _ZN7rocprim17ROCPRIM_400000_NS6detail17trampoline_kernelINS0_14default_configENS1_35radix_sort_onesweep_config_selectorIalEEZNS1_34radix_sort_onesweep_global_offsetsIS3_Lb0EPaN6thrust23THRUST_200600_302600_NS10device_ptrIlEEjNS0_19identity_decomposerEEE10hipError_tT1_T2_PT3_SG_jT4_jjP12ihipStream_tbEUlT_E_NS1_11comp_targetILNS1_3genE6ELNS1_11target_archE950ELNS1_3gpuE13ELNS1_3repE0EEENS1_52radix_sort_onesweep_histogram_config_static_selectorELNS0_4arch9wavefront6targetE1EEEvSE_.numbered_sgpr, 0
	.set _ZN7rocprim17ROCPRIM_400000_NS6detail17trampoline_kernelINS0_14default_configENS1_35radix_sort_onesweep_config_selectorIalEEZNS1_34radix_sort_onesweep_global_offsetsIS3_Lb0EPaN6thrust23THRUST_200600_302600_NS10device_ptrIlEEjNS0_19identity_decomposerEEE10hipError_tT1_T2_PT3_SG_jT4_jjP12ihipStream_tbEUlT_E_NS1_11comp_targetILNS1_3genE6ELNS1_11target_archE950ELNS1_3gpuE13ELNS1_3repE0EEENS1_52radix_sort_onesweep_histogram_config_static_selectorELNS0_4arch9wavefront6targetE1EEEvSE_.num_named_barrier, 0
	.set _ZN7rocprim17ROCPRIM_400000_NS6detail17trampoline_kernelINS0_14default_configENS1_35radix_sort_onesweep_config_selectorIalEEZNS1_34radix_sort_onesweep_global_offsetsIS3_Lb0EPaN6thrust23THRUST_200600_302600_NS10device_ptrIlEEjNS0_19identity_decomposerEEE10hipError_tT1_T2_PT3_SG_jT4_jjP12ihipStream_tbEUlT_E_NS1_11comp_targetILNS1_3genE6ELNS1_11target_archE950ELNS1_3gpuE13ELNS1_3repE0EEENS1_52radix_sort_onesweep_histogram_config_static_selectorELNS0_4arch9wavefront6targetE1EEEvSE_.private_seg_size, 0
	.set _ZN7rocprim17ROCPRIM_400000_NS6detail17trampoline_kernelINS0_14default_configENS1_35radix_sort_onesweep_config_selectorIalEEZNS1_34radix_sort_onesweep_global_offsetsIS3_Lb0EPaN6thrust23THRUST_200600_302600_NS10device_ptrIlEEjNS0_19identity_decomposerEEE10hipError_tT1_T2_PT3_SG_jT4_jjP12ihipStream_tbEUlT_E_NS1_11comp_targetILNS1_3genE6ELNS1_11target_archE950ELNS1_3gpuE13ELNS1_3repE0EEENS1_52radix_sort_onesweep_histogram_config_static_selectorELNS0_4arch9wavefront6targetE1EEEvSE_.uses_vcc, 0
	.set _ZN7rocprim17ROCPRIM_400000_NS6detail17trampoline_kernelINS0_14default_configENS1_35radix_sort_onesweep_config_selectorIalEEZNS1_34radix_sort_onesweep_global_offsetsIS3_Lb0EPaN6thrust23THRUST_200600_302600_NS10device_ptrIlEEjNS0_19identity_decomposerEEE10hipError_tT1_T2_PT3_SG_jT4_jjP12ihipStream_tbEUlT_E_NS1_11comp_targetILNS1_3genE6ELNS1_11target_archE950ELNS1_3gpuE13ELNS1_3repE0EEENS1_52radix_sort_onesweep_histogram_config_static_selectorELNS0_4arch9wavefront6targetE1EEEvSE_.uses_flat_scratch, 0
	.set _ZN7rocprim17ROCPRIM_400000_NS6detail17trampoline_kernelINS0_14default_configENS1_35radix_sort_onesweep_config_selectorIalEEZNS1_34radix_sort_onesweep_global_offsetsIS3_Lb0EPaN6thrust23THRUST_200600_302600_NS10device_ptrIlEEjNS0_19identity_decomposerEEE10hipError_tT1_T2_PT3_SG_jT4_jjP12ihipStream_tbEUlT_E_NS1_11comp_targetILNS1_3genE6ELNS1_11target_archE950ELNS1_3gpuE13ELNS1_3repE0EEENS1_52radix_sort_onesweep_histogram_config_static_selectorELNS0_4arch9wavefront6targetE1EEEvSE_.has_dyn_sized_stack, 0
	.set _ZN7rocprim17ROCPRIM_400000_NS6detail17trampoline_kernelINS0_14default_configENS1_35radix_sort_onesweep_config_selectorIalEEZNS1_34radix_sort_onesweep_global_offsetsIS3_Lb0EPaN6thrust23THRUST_200600_302600_NS10device_ptrIlEEjNS0_19identity_decomposerEEE10hipError_tT1_T2_PT3_SG_jT4_jjP12ihipStream_tbEUlT_E_NS1_11comp_targetILNS1_3genE6ELNS1_11target_archE950ELNS1_3gpuE13ELNS1_3repE0EEENS1_52radix_sort_onesweep_histogram_config_static_selectorELNS0_4arch9wavefront6targetE1EEEvSE_.has_recursion, 0
	.set _ZN7rocprim17ROCPRIM_400000_NS6detail17trampoline_kernelINS0_14default_configENS1_35radix_sort_onesweep_config_selectorIalEEZNS1_34radix_sort_onesweep_global_offsetsIS3_Lb0EPaN6thrust23THRUST_200600_302600_NS10device_ptrIlEEjNS0_19identity_decomposerEEE10hipError_tT1_T2_PT3_SG_jT4_jjP12ihipStream_tbEUlT_E_NS1_11comp_targetILNS1_3genE6ELNS1_11target_archE950ELNS1_3gpuE13ELNS1_3repE0EEENS1_52radix_sort_onesweep_histogram_config_static_selectorELNS0_4arch9wavefront6targetE1EEEvSE_.has_indirect_call, 0
	.section	.AMDGPU.csdata,"",@progbits
; Kernel info:
; codeLenInByte = 0
; TotalNumSgprs: 4
; NumVgprs: 0
; ScratchSize: 0
; MemoryBound: 0
; FloatMode: 240
; IeeeMode: 1
; LDSByteSize: 0 bytes/workgroup (compile time only)
; SGPRBlocks: 0
; VGPRBlocks: 0
; NumSGPRsForWavesPerEU: 4
; NumVGPRsForWavesPerEU: 1
; Occupancy: 10
; WaveLimiterHint : 0
; COMPUTE_PGM_RSRC2:SCRATCH_EN: 0
; COMPUTE_PGM_RSRC2:USER_SGPR: 6
; COMPUTE_PGM_RSRC2:TRAP_HANDLER: 0
; COMPUTE_PGM_RSRC2:TGID_X_EN: 1
; COMPUTE_PGM_RSRC2:TGID_Y_EN: 0
; COMPUTE_PGM_RSRC2:TGID_Z_EN: 0
; COMPUTE_PGM_RSRC2:TIDIG_COMP_CNT: 0
	.section	.text._ZN7rocprim17ROCPRIM_400000_NS6detail17trampoline_kernelINS0_14default_configENS1_35radix_sort_onesweep_config_selectorIalEEZNS1_34radix_sort_onesweep_global_offsetsIS3_Lb0EPaN6thrust23THRUST_200600_302600_NS10device_ptrIlEEjNS0_19identity_decomposerEEE10hipError_tT1_T2_PT3_SG_jT4_jjP12ihipStream_tbEUlT_E_NS1_11comp_targetILNS1_3genE5ELNS1_11target_archE942ELNS1_3gpuE9ELNS1_3repE0EEENS1_52radix_sort_onesweep_histogram_config_static_selectorELNS0_4arch9wavefront6targetE1EEEvSE_,"axG",@progbits,_ZN7rocprim17ROCPRIM_400000_NS6detail17trampoline_kernelINS0_14default_configENS1_35radix_sort_onesweep_config_selectorIalEEZNS1_34radix_sort_onesweep_global_offsetsIS3_Lb0EPaN6thrust23THRUST_200600_302600_NS10device_ptrIlEEjNS0_19identity_decomposerEEE10hipError_tT1_T2_PT3_SG_jT4_jjP12ihipStream_tbEUlT_E_NS1_11comp_targetILNS1_3genE5ELNS1_11target_archE942ELNS1_3gpuE9ELNS1_3repE0EEENS1_52radix_sort_onesweep_histogram_config_static_selectorELNS0_4arch9wavefront6targetE1EEEvSE_,comdat
	.protected	_ZN7rocprim17ROCPRIM_400000_NS6detail17trampoline_kernelINS0_14default_configENS1_35radix_sort_onesweep_config_selectorIalEEZNS1_34radix_sort_onesweep_global_offsetsIS3_Lb0EPaN6thrust23THRUST_200600_302600_NS10device_ptrIlEEjNS0_19identity_decomposerEEE10hipError_tT1_T2_PT3_SG_jT4_jjP12ihipStream_tbEUlT_E_NS1_11comp_targetILNS1_3genE5ELNS1_11target_archE942ELNS1_3gpuE9ELNS1_3repE0EEENS1_52radix_sort_onesweep_histogram_config_static_selectorELNS0_4arch9wavefront6targetE1EEEvSE_ ; -- Begin function _ZN7rocprim17ROCPRIM_400000_NS6detail17trampoline_kernelINS0_14default_configENS1_35radix_sort_onesweep_config_selectorIalEEZNS1_34radix_sort_onesweep_global_offsetsIS3_Lb0EPaN6thrust23THRUST_200600_302600_NS10device_ptrIlEEjNS0_19identity_decomposerEEE10hipError_tT1_T2_PT3_SG_jT4_jjP12ihipStream_tbEUlT_E_NS1_11comp_targetILNS1_3genE5ELNS1_11target_archE942ELNS1_3gpuE9ELNS1_3repE0EEENS1_52radix_sort_onesweep_histogram_config_static_selectorELNS0_4arch9wavefront6targetE1EEEvSE_
	.globl	_ZN7rocprim17ROCPRIM_400000_NS6detail17trampoline_kernelINS0_14default_configENS1_35radix_sort_onesweep_config_selectorIalEEZNS1_34radix_sort_onesweep_global_offsetsIS3_Lb0EPaN6thrust23THRUST_200600_302600_NS10device_ptrIlEEjNS0_19identity_decomposerEEE10hipError_tT1_T2_PT3_SG_jT4_jjP12ihipStream_tbEUlT_E_NS1_11comp_targetILNS1_3genE5ELNS1_11target_archE942ELNS1_3gpuE9ELNS1_3repE0EEENS1_52radix_sort_onesweep_histogram_config_static_selectorELNS0_4arch9wavefront6targetE1EEEvSE_
	.p2align	8
	.type	_ZN7rocprim17ROCPRIM_400000_NS6detail17trampoline_kernelINS0_14default_configENS1_35radix_sort_onesweep_config_selectorIalEEZNS1_34radix_sort_onesweep_global_offsetsIS3_Lb0EPaN6thrust23THRUST_200600_302600_NS10device_ptrIlEEjNS0_19identity_decomposerEEE10hipError_tT1_T2_PT3_SG_jT4_jjP12ihipStream_tbEUlT_E_NS1_11comp_targetILNS1_3genE5ELNS1_11target_archE942ELNS1_3gpuE9ELNS1_3repE0EEENS1_52radix_sort_onesweep_histogram_config_static_selectorELNS0_4arch9wavefront6targetE1EEEvSE_,@function
_ZN7rocprim17ROCPRIM_400000_NS6detail17trampoline_kernelINS0_14default_configENS1_35radix_sort_onesweep_config_selectorIalEEZNS1_34radix_sort_onesweep_global_offsetsIS3_Lb0EPaN6thrust23THRUST_200600_302600_NS10device_ptrIlEEjNS0_19identity_decomposerEEE10hipError_tT1_T2_PT3_SG_jT4_jjP12ihipStream_tbEUlT_E_NS1_11comp_targetILNS1_3genE5ELNS1_11target_archE942ELNS1_3gpuE9ELNS1_3repE0EEENS1_52radix_sort_onesweep_histogram_config_static_selectorELNS0_4arch9wavefront6targetE1EEEvSE_: ; @_ZN7rocprim17ROCPRIM_400000_NS6detail17trampoline_kernelINS0_14default_configENS1_35radix_sort_onesweep_config_selectorIalEEZNS1_34radix_sort_onesweep_global_offsetsIS3_Lb0EPaN6thrust23THRUST_200600_302600_NS10device_ptrIlEEjNS0_19identity_decomposerEEE10hipError_tT1_T2_PT3_SG_jT4_jjP12ihipStream_tbEUlT_E_NS1_11comp_targetILNS1_3genE5ELNS1_11target_archE942ELNS1_3gpuE9ELNS1_3repE0EEENS1_52radix_sort_onesweep_histogram_config_static_selectorELNS0_4arch9wavefront6targetE1EEEvSE_
; %bb.0:
	.section	.rodata,"a",@progbits
	.p2align	6, 0x0
	.amdhsa_kernel _ZN7rocprim17ROCPRIM_400000_NS6detail17trampoline_kernelINS0_14default_configENS1_35radix_sort_onesweep_config_selectorIalEEZNS1_34radix_sort_onesweep_global_offsetsIS3_Lb0EPaN6thrust23THRUST_200600_302600_NS10device_ptrIlEEjNS0_19identity_decomposerEEE10hipError_tT1_T2_PT3_SG_jT4_jjP12ihipStream_tbEUlT_E_NS1_11comp_targetILNS1_3genE5ELNS1_11target_archE942ELNS1_3gpuE9ELNS1_3repE0EEENS1_52radix_sort_onesweep_histogram_config_static_selectorELNS0_4arch9wavefront6targetE1EEEvSE_
		.amdhsa_group_segment_fixed_size 0
		.amdhsa_private_segment_fixed_size 0
		.amdhsa_kernarg_size 40
		.amdhsa_user_sgpr_count 6
		.amdhsa_user_sgpr_private_segment_buffer 1
		.amdhsa_user_sgpr_dispatch_ptr 0
		.amdhsa_user_sgpr_queue_ptr 0
		.amdhsa_user_sgpr_kernarg_segment_ptr 1
		.amdhsa_user_sgpr_dispatch_id 0
		.amdhsa_user_sgpr_flat_scratch_init 0
		.amdhsa_user_sgpr_private_segment_size 0
		.amdhsa_uses_dynamic_stack 0
		.amdhsa_system_sgpr_private_segment_wavefront_offset 0
		.amdhsa_system_sgpr_workgroup_id_x 1
		.amdhsa_system_sgpr_workgroup_id_y 0
		.amdhsa_system_sgpr_workgroup_id_z 0
		.amdhsa_system_sgpr_workgroup_info 0
		.amdhsa_system_vgpr_workitem_id 0
		.amdhsa_next_free_vgpr 1
		.amdhsa_next_free_sgpr 0
		.amdhsa_reserve_vcc 0
		.amdhsa_reserve_flat_scratch 0
		.amdhsa_float_round_mode_32 0
		.amdhsa_float_round_mode_16_64 0
		.amdhsa_float_denorm_mode_32 3
		.amdhsa_float_denorm_mode_16_64 3
		.amdhsa_dx10_clamp 1
		.amdhsa_ieee_mode 1
		.amdhsa_fp16_overflow 0
		.amdhsa_exception_fp_ieee_invalid_op 0
		.amdhsa_exception_fp_denorm_src 0
		.amdhsa_exception_fp_ieee_div_zero 0
		.amdhsa_exception_fp_ieee_overflow 0
		.amdhsa_exception_fp_ieee_underflow 0
		.amdhsa_exception_fp_ieee_inexact 0
		.amdhsa_exception_int_div_zero 0
	.end_amdhsa_kernel
	.section	.text._ZN7rocprim17ROCPRIM_400000_NS6detail17trampoline_kernelINS0_14default_configENS1_35radix_sort_onesweep_config_selectorIalEEZNS1_34radix_sort_onesweep_global_offsetsIS3_Lb0EPaN6thrust23THRUST_200600_302600_NS10device_ptrIlEEjNS0_19identity_decomposerEEE10hipError_tT1_T2_PT3_SG_jT4_jjP12ihipStream_tbEUlT_E_NS1_11comp_targetILNS1_3genE5ELNS1_11target_archE942ELNS1_3gpuE9ELNS1_3repE0EEENS1_52radix_sort_onesweep_histogram_config_static_selectorELNS0_4arch9wavefront6targetE1EEEvSE_,"axG",@progbits,_ZN7rocprim17ROCPRIM_400000_NS6detail17trampoline_kernelINS0_14default_configENS1_35radix_sort_onesweep_config_selectorIalEEZNS1_34radix_sort_onesweep_global_offsetsIS3_Lb0EPaN6thrust23THRUST_200600_302600_NS10device_ptrIlEEjNS0_19identity_decomposerEEE10hipError_tT1_T2_PT3_SG_jT4_jjP12ihipStream_tbEUlT_E_NS1_11comp_targetILNS1_3genE5ELNS1_11target_archE942ELNS1_3gpuE9ELNS1_3repE0EEENS1_52radix_sort_onesweep_histogram_config_static_selectorELNS0_4arch9wavefront6targetE1EEEvSE_,comdat
.Lfunc_end584:
	.size	_ZN7rocprim17ROCPRIM_400000_NS6detail17trampoline_kernelINS0_14default_configENS1_35radix_sort_onesweep_config_selectorIalEEZNS1_34radix_sort_onesweep_global_offsetsIS3_Lb0EPaN6thrust23THRUST_200600_302600_NS10device_ptrIlEEjNS0_19identity_decomposerEEE10hipError_tT1_T2_PT3_SG_jT4_jjP12ihipStream_tbEUlT_E_NS1_11comp_targetILNS1_3genE5ELNS1_11target_archE942ELNS1_3gpuE9ELNS1_3repE0EEENS1_52radix_sort_onesweep_histogram_config_static_selectorELNS0_4arch9wavefront6targetE1EEEvSE_, .Lfunc_end584-_ZN7rocprim17ROCPRIM_400000_NS6detail17trampoline_kernelINS0_14default_configENS1_35radix_sort_onesweep_config_selectorIalEEZNS1_34radix_sort_onesweep_global_offsetsIS3_Lb0EPaN6thrust23THRUST_200600_302600_NS10device_ptrIlEEjNS0_19identity_decomposerEEE10hipError_tT1_T2_PT3_SG_jT4_jjP12ihipStream_tbEUlT_E_NS1_11comp_targetILNS1_3genE5ELNS1_11target_archE942ELNS1_3gpuE9ELNS1_3repE0EEENS1_52radix_sort_onesweep_histogram_config_static_selectorELNS0_4arch9wavefront6targetE1EEEvSE_
                                        ; -- End function
	.set _ZN7rocprim17ROCPRIM_400000_NS6detail17trampoline_kernelINS0_14default_configENS1_35radix_sort_onesweep_config_selectorIalEEZNS1_34radix_sort_onesweep_global_offsetsIS3_Lb0EPaN6thrust23THRUST_200600_302600_NS10device_ptrIlEEjNS0_19identity_decomposerEEE10hipError_tT1_T2_PT3_SG_jT4_jjP12ihipStream_tbEUlT_E_NS1_11comp_targetILNS1_3genE5ELNS1_11target_archE942ELNS1_3gpuE9ELNS1_3repE0EEENS1_52radix_sort_onesweep_histogram_config_static_selectorELNS0_4arch9wavefront6targetE1EEEvSE_.num_vgpr, 0
	.set _ZN7rocprim17ROCPRIM_400000_NS6detail17trampoline_kernelINS0_14default_configENS1_35radix_sort_onesweep_config_selectorIalEEZNS1_34radix_sort_onesweep_global_offsetsIS3_Lb0EPaN6thrust23THRUST_200600_302600_NS10device_ptrIlEEjNS0_19identity_decomposerEEE10hipError_tT1_T2_PT3_SG_jT4_jjP12ihipStream_tbEUlT_E_NS1_11comp_targetILNS1_3genE5ELNS1_11target_archE942ELNS1_3gpuE9ELNS1_3repE0EEENS1_52radix_sort_onesweep_histogram_config_static_selectorELNS0_4arch9wavefront6targetE1EEEvSE_.num_agpr, 0
	.set _ZN7rocprim17ROCPRIM_400000_NS6detail17trampoline_kernelINS0_14default_configENS1_35radix_sort_onesweep_config_selectorIalEEZNS1_34radix_sort_onesweep_global_offsetsIS3_Lb0EPaN6thrust23THRUST_200600_302600_NS10device_ptrIlEEjNS0_19identity_decomposerEEE10hipError_tT1_T2_PT3_SG_jT4_jjP12ihipStream_tbEUlT_E_NS1_11comp_targetILNS1_3genE5ELNS1_11target_archE942ELNS1_3gpuE9ELNS1_3repE0EEENS1_52radix_sort_onesweep_histogram_config_static_selectorELNS0_4arch9wavefront6targetE1EEEvSE_.numbered_sgpr, 0
	.set _ZN7rocprim17ROCPRIM_400000_NS6detail17trampoline_kernelINS0_14default_configENS1_35radix_sort_onesweep_config_selectorIalEEZNS1_34radix_sort_onesweep_global_offsetsIS3_Lb0EPaN6thrust23THRUST_200600_302600_NS10device_ptrIlEEjNS0_19identity_decomposerEEE10hipError_tT1_T2_PT3_SG_jT4_jjP12ihipStream_tbEUlT_E_NS1_11comp_targetILNS1_3genE5ELNS1_11target_archE942ELNS1_3gpuE9ELNS1_3repE0EEENS1_52radix_sort_onesweep_histogram_config_static_selectorELNS0_4arch9wavefront6targetE1EEEvSE_.num_named_barrier, 0
	.set _ZN7rocprim17ROCPRIM_400000_NS6detail17trampoline_kernelINS0_14default_configENS1_35radix_sort_onesweep_config_selectorIalEEZNS1_34radix_sort_onesweep_global_offsetsIS3_Lb0EPaN6thrust23THRUST_200600_302600_NS10device_ptrIlEEjNS0_19identity_decomposerEEE10hipError_tT1_T2_PT3_SG_jT4_jjP12ihipStream_tbEUlT_E_NS1_11comp_targetILNS1_3genE5ELNS1_11target_archE942ELNS1_3gpuE9ELNS1_3repE0EEENS1_52radix_sort_onesweep_histogram_config_static_selectorELNS0_4arch9wavefront6targetE1EEEvSE_.private_seg_size, 0
	.set _ZN7rocprim17ROCPRIM_400000_NS6detail17trampoline_kernelINS0_14default_configENS1_35radix_sort_onesweep_config_selectorIalEEZNS1_34radix_sort_onesweep_global_offsetsIS3_Lb0EPaN6thrust23THRUST_200600_302600_NS10device_ptrIlEEjNS0_19identity_decomposerEEE10hipError_tT1_T2_PT3_SG_jT4_jjP12ihipStream_tbEUlT_E_NS1_11comp_targetILNS1_3genE5ELNS1_11target_archE942ELNS1_3gpuE9ELNS1_3repE0EEENS1_52radix_sort_onesweep_histogram_config_static_selectorELNS0_4arch9wavefront6targetE1EEEvSE_.uses_vcc, 0
	.set _ZN7rocprim17ROCPRIM_400000_NS6detail17trampoline_kernelINS0_14default_configENS1_35radix_sort_onesweep_config_selectorIalEEZNS1_34radix_sort_onesweep_global_offsetsIS3_Lb0EPaN6thrust23THRUST_200600_302600_NS10device_ptrIlEEjNS0_19identity_decomposerEEE10hipError_tT1_T2_PT3_SG_jT4_jjP12ihipStream_tbEUlT_E_NS1_11comp_targetILNS1_3genE5ELNS1_11target_archE942ELNS1_3gpuE9ELNS1_3repE0EEENS1_52radix_sort_onesweep_histogram_config_static_selectorELNS0_4arch9wavefront6targetE1EEEvSE_.uses_flat_scratch, 0
	.set _ZN7rocprim17ROCPRIM_400000_NS6detail17trampoline_kernelINS0_14default_configENS1_35radix_sort_onesweep_config_selectorIalEEZNS1_34radix_sort_onesweep_global_offsetsIS3_Lb0EPaN6thrust23THRUST_200600_302600_NS10device_ptrIlEEjNS0_19identity_decomposerEEE10hipError_tT1_T2_PT3_SG_jT4_jjP12ihipStream_tbEUlT_E_NS1_11comp_targetILNS1_3genE5ELNS1_11target_archE942ELNS1_3gpuE9ELNS1_3repE0EEENS1_52radix_sort_onesweep_histogram_config_static_selectorELNS0_4arch9wavefront6targetE1EEEvSE_.has_dyn_sized_stack, 0
	.set _ZN7rocprim17ROCPRIM_400000_NS6detail17trampoline_kernelINS0_14default_configENS1_35radix_sort_onesweep_config_selectorIalEEZNS1_34radix_sort_onesweep_global_offsetsIS3_Lb0EPaN6thrust23THRUST_200600_302600_NS10device_ptrIlEEjNS0_19identity_decomposerEEE10hipError_tT1_T2_PT3_SG_jT4_jjP12ihipStream_tbEUlT_E_NS1_11comp_targetILNS1_3genE5ELNS1_11target_archE942ELNS1_3gpuE9ELNS1_3repE0EEENS1_52radix_sort_onesweep_histogram_config_static_selectorELNS0_4arch9wavefront6targetE1EEEvSE_.has_recursion, 0
	.set _ZN7rocprim17ROCPRIM_400000_NS6detail17trampoline_kernelINS0_14default_configENS1_35radix_sort_onesweep_config_selectorIalEEZNS1_34radix_sort_onesweep_global_offsetsIS3_Lb0EPaN6thrust23THRUST_200600_302600_NS10device_ptrIlEEjNS0_19identity_decomposerEEE10hipError_tT1_T2_PT3_SG_jT4_jjP12ihipStream_tbEUlT_E_NS1_11comp_targetILNS1_3genE5ELNS1_11target_archE942ELNS1_3gpuE9ELNS1_3repE0EEENS1_52radix_sort_onesweep_histogram_config_static_selectorELNS0_4arch9wavefront6targetE1EEEvSE_.has_indirect_call, 0
	.section	.AMDGPU.csdata,"",@progbits
; Kernel info:
; codeLenInByte = 0
; TotalNumSgprs: 4
; NumVgprs: 0
; ScratchSize: 0
; MemoryBound: 0
; FloatMode: 240
; IeeeMode: 1
; LDSByteSize: 0 bytes/workgroup (compile time only)
; SGPRBlocks: 0
; VGPRBlocks: 0
; NumSGPRsForWavesPerEU: 4
; NumVGPRsForWavesPerEU: 1
; Occupancy: 10
; WaveLimiterHint : 0
; COMPUTE_PGM_RSRC2:SCRATCH_EN: 0
; COMPUTE_PGM_RSRC2:USER_SGPR: 6
; COMPUTE_PGM_RSRC2:TRAP_HANDLER: 0
; COMPUTE_PGM_RSRC2:TGID_X_EN: 1
; COMPUTE_PGM_RSRC2:TGID_Y_EN: 0
; COMPUTE_PGM_RSRC2:TGID_Z_EN: 0
; COMPUTE_PGM_RSRC2:TIDIG_COMP_CNT: 0
	.section	.text._ZN7rocprim17ROCPRIM_400000_NS6detail17trampoline_kernelINS0_14default_configENS1_35radix_sort_onesweep_config_selectorIalEEZNS1_34radix_sort_onesweep_global_offsetsIS3_Lb0EPaN6thrust23THRUST_200600_302600_NS10device_ptrIlEEjNS0_19identity_decomposerEEE10hipError_tT1_T2_PT3_SG_jT4_jjP12ihipStream_tbEUlT_E_NS1_11comp_targetILNS1_3genE2ELNS1_11target_archE906ELNS1_3gpuE6ELNS1_3repE0EEENS1_52radix_sort_onesweep_histogram_config_static_selectorELNS0_4arch9wavefront6targetE1EEEvSE_,"axG",@progbits,_ZN7rocprim17ROCPRIM_400000_NS6detail17trampoline_kernelINS0_14default_configENS1_35radix_sort_onesweep_config_selectorIalEEZNS1_34radix_sort_onesweep_global_offsetsIS3_Lb0EPaN6thrust23THRUST_200600_302600_NS10device_ptrIlEEjNS0_19identity_decomposerEEE10hipError_tT1_T2_PT3_SG_jT4_jjP12ihipStream_tbEUlT_E_NS1_11comp_targetILNS1_3genE2ELNS1_11target_archE906ELNS1_3gpuE6ELNS1_3repE0EEENS1_52radix_sort_onesweep_histogram_config_static_selectorELNS0_4arch9wavefront6targetE1EEEvSE_,comdat
	.protected	_ZN7rocprim17ROCPRIM_400000_NS6detail17trampoline_kernelINS0_14default_configENS1_35radix_sort_onesweep_config_selectorIalEEZNS1_34radix_sort_onesweep_global_offsetsIS3_Lb0EPaN6thrust23THRUST_200600_302600_NS10device_ptrIlEEjNS0_19identity_decomposerEEE10hipError_tT1_T2_PT3_SG_jT4_jjP12ihipStream_tbEUlT_E_NS1_11comp_targetILNS1_3genE2ELNS1_11target_archE906ELNS1_3gpuE6ELNS1_3repE0EEENS1_52radix_sort_onesweep_histogram_config_static_selectorELNS0_4arch9wavefront6targetE1EEEvSE_ ; -- Begin function _ZN7rocprim17ROCPRIM_400000_NS6detail17trampoline_kernelINS0_14default_configENS1_35radix_sort_onesweep_config_selectorIalEEZNS1_34radix_sort_onesweep_global_offsetsIS3_Lb0EPaN6thrust23THRUST_200600_302600_NS10device_ptrIlEEjNS0_19identity_decomposerEEE10hipError_tT1_T2_PT3_SG_jT4_jjP12ihipStream_tbEUlT_E_NS1_11comp_targetILNS1_3genE2ELNS1_11target_archE906ELNS1_3gpuE6ELNS1_3repE0EEENS1_52radix_sort_onesweep_histogram_config_static_selectorELNS0_4arch9wavefront6targetE1EEEvSE_
	.globl	_ZN7rocprim17ROCPRIM_400000_NS6detail17trampoline_kernelINS0_14default_configENS1_35radix_sort_onesweep_config_selectorIalEEZNS1_34radix_sort_onesweep_global_offsetsIS3_Lb0EPaN6thrust23THRUST_200600_302600_NS10device_ptrIlEEjNS0_19identity_decomposerEEE10hipError_tT1_T2_PT3_SG_jT4_jjP12ihipStream_tbEUlT_E_NS1_11comp_targetILNS1_3genE2ELNS1_11target_archE906ELNS1_3gpuE6ELNS1_3repE0EEENS1_52radix_sort_onesweep_histogram_config_static_selectorELNS0_4arch9wavefront6targetE1EEEvSE_
	.p2align	8
	.type	_ZN7rocprim17ROCPRIM_400000_NS6detail17trampoline_kernelINS0_14default_configENS1_35radix_sort_onesweep_config_selectorIalEEZNS1_34radix_sort_onesweep_global_offsetsIS3_Lb0EPaN6thrust23THRUST_200600_302600_NS10device_ptrIlEEjNS0_19identity_decomposerEEE10hipError_tT1_T2_PT3_SG_jT4_jjP12ihipStream_tbEUlT_E_NS1_11comp_targetILNS1_3genE2ELNS1_11target_archE906ELNS1_3gpuE6ELNS1_3repE0EEENS1_52radix_sort_onesweep_histogram_config_static_selectorELNS0_4arch9wavefront6targetE1EEEvSE_,@function
_ZN7rocprim17ROCPRIM_400000_NS6detail17trampoline_kernelINS0_14default_configENS1_35radix_sort_onesweep_config_selectorIalEEZNS1_34radix_sort_onesweep_global_offsetsIS3_Lb0EPaN6thrust23THRUST_200600_302600_NS10device_ptrIlEEjNS0_19identity_decomposerEEE10hipError_tT1_T2_PT3_SG_jT4_jjP12ihipStream_tbEUlT_E_NS1_11comp_targetILNS1_3genE2ELNS1_11target_archE906ELNS1_3gpuE6ELNS1_3repE0EEENS1_52radix_sort_onesweep_histogram_config_static_selectorELNS0_4arch9wavefront6targetE1EEEvSE_: ; @_ZN7rocprim17ROCPRIM_400000_NS6detail17trampoline_kernelINS0_14default_configENS1_35radix_sort_onesweep_config_selectorIalEEZNS1_34radix_sort_onesweep_global_offsetsIS3_Lb0EPaN6thrust23THRUST_200600_302600_NS10device_ptrIlEEjNS0_19identity_decomposerEEE10hipError_tT1_T2_PT3_SG_jT4_jjP12ihipStream_tbEUlT_E_NS1_11comp_targetILNS1_3genE2ELNS1_11target_archE906ELNS1_3gpuE6ELNS1_3repE0EEENS1_52radix_sort_onesweep_histogram_config_static_selectorELNS0_4arch9wavefront6targetE1EEEvSE_
; %bb.0:
	s_load_dword s12, s[4:5], 0x14
	s_load_dwordx4 s[8:11], s[4:5], 0x0
	s_load_dwordx2 s[2:3], s[4:5], 0x1c
	s_mul_i32 s7, s6, 0xc00
	s_mov_b64 s[0:1], -1
	s_waitcnt lgkmcnt(0)
	s_cmp_ge_u32 s6, s12
	s_cbranch_scc0 .LBB585_33
; %bb.1:
	s_load_dword s6, s[4:5], 0x10
	s_mulk_i32 s12, 0xf400
	v_mov_b32_e32 v4, 0
	v_mov_b32_e32 v5, 0
	;; [unrolled: 1-line block ×3, first 2 shown]
	s_waitcnt lgkmcnt(0)
	s_add_i32 s6, s6, s12
	s_add_u32 s0, s8, s7
	v_cmp_gt_u32_e32 vcc, s6, v0
	s_addc_u32 s1, s9, 0
	v_mov_b32_e32 v2, 0
	v_mov_b32_e32 v1, 0
	s_and_saveexec_b64 s[4:5], vcc
	s_cbranch_execz .LBB585_3
; %bb.2:
	global_load_ubyte v5, v0, s[0:1]
	v_mov_b32_e32 v3, 0
	v_mov_b32_e32 v2, 0
	;; [unrolled: 1-line block ×3, first 2 shown]
.LBB585_3:
	s_or_b64 exec, exec, s[4:5]
	v_or_b32_e32 v7, 0x200, v0
	v_cmp_gt_u32_e32 vcc, s6, v7
	v_mov_b32_e32 v6, v4
	s_and_saveexec_b64 s[4:5], vcc
	s_cbranch_execz .LBB585_5
; %bb.4:
	global_load_ubyte v6, v0, s[0:1] offset:512
.LBB585_5:
	s_or_b64 exec, exec, s[4:5]
	v_or_b32_e32 v8, 0x400, v0
	v_cmp_gt_u32_e32 vcc, s6, v8
	s_and_saveexec_b64 s[4:5], vcc
	s_cbranch_execz .LBB585_7
; %bb.6:
	global_load_ubyte v4, v0, s[0:1] offset:1024
.LBB585_7:
	s_or_b64 exec, exec, s[4:5]
	v_or_b32_e32 v9, 0x600, v0
	v_cmp_gt_u32_e32 vcc, s6, v9
	;; [unrolled: 8-line block ×4, first 2 shown]
	s_and_saveexec_b64 s[4:5], vcc
	s_cbranch_execz .LBB585_13
; %bb.12:
	global_load_ubyte v1, v0, s[0:1] offset:2560
.LBB585_13:
	s_or_b64 exec, exec, s[4:5]
	v_or_b32_e32 v12, 0xfffffe00, v0
	v_lshlrev_b32_e32 v13, 2, v0
	s_mov_b64 s[0:1], 0
	v_mov_b32_e32 v14, 0
.LBB585_14:                             ; =>This Inner Loop Header: Depth=1
	v_add_co_u32_e32 v12, vcc, 0x200, v12
	s_xor_b64 s[4:5], vcc, -1
	s_and_b64 s[4:5], exec, s[4:5]
	ds_write_b32 v13, v14
	s_or_b64 s[0:1], s[4:5], s[0:1]
	v_add_u32_e32 v13, 0x800, v13
	s_andn2_b64 exec, exec, s[0:1]
	s_cbranch_execnz .LBB585_14
; %bb.15:
	s_or_b64 exec, exec, s[0:1]
	s_cmp_le_u32 s3, s2
	s_cselect_b64 s[0:1], -1, 0
	s_cmp_gt_u32 s3, s2
	s_cselect_b64 s[4:5], -1, 0
	s_sub_i32 s12, s3, s2
	s_min_u32 s12, s12, 8
	v_and_b32_e32 v12, 3, v0
	s_lshl_b32 s12, -1, s12
	v_cmp_gt_u32_e32 vcc, s6, v0
	v_lshlrev_b32_e32 v12, 2, v12
	s_not_b32 s12, s12
	s_and_b64 s[14:15], s[4:5], vcc
	s_waitcnt vmcnt(0) lgkmcnt(0)
	s_barrier
	s_and_saveexec_b64 s[4:5], s[14:15]
	s_cbranch_execz .LBB585_17
; %bb.16:
	v_xor_b32_e32 v5, 0x80, v5
	v_lshrrev_b32_sdwa v5, s2, v5 dst_sel:DWORD dst_unused:UNUSED_PAD src0_sel:DWORD src1_sel:BYTE_0
	v_and_b32_e32 v5, s12, v5
	v_lshl_or_b32 v5, v5, 4, v12
	v_mov_b32_e32 v13, 1
	ds_add_u32 v5, v13
.LBB585_17:
	s_or_b64 exec, exec, s[4:5]
	v_cmp_gt_u32_e32 vcc, s6, v7
	s_xor_b64 s[0:1], s[0:1], -1
	s_and_b64 s[14:15], s[0:1], vcc
	s_and_saveexec_b64 s[4:5], s[14:15]
	s_cbranch_execz .LBB585_19
; %bb.18:
	v_xor_b32_e32 v5, 0x80, v6
	v_lshrrev_b32_sdwa v5, s2, v5 dst_sel:DWORD dst_unused:UNUSED_PAD src0_sel:DWORD src1_sel:BYTE_0
	v_and_b32_e32 v5, s12, v5
	v_lshl_or_b32 v5, v5, 4, v12
	v_mov_b32_e32 v6, 1
	ds_add_u32 v5, v6
.LBB585_19:
	s_or_b64 exec, exec, s[4:5]
	v_cmp_gt_u32_e32 vcc, s6, v8
	s_and_b64 s[14:15], s[0:1], vcc
	s_and_saveexec_b64 s[4:5], s[14:15]
	s_cbranch_execz .LBB585_21
; %bb.20:
	v_xor_b32_e32 v4, 0x80, v4
	v_lshrrev_b32_sdwa v4, s2, v4 dst_sel:DWORD dst_unused:UNUSED_PAD src0_sel:DWORD src1_sel:BYTE_0
	v_and_b32_e32 v4, s12, v4
	v_lshl_or_b32 v4, v4, 4, v12
	v_mov_b32_e32 v5, 1
	ds_add_u32 v4, v5
.LBB585_21:
	s_or_b64 exec, exec, s[4:5]
	v_cmp_gt_u32_e32 vcc, s6, v9
	;; [unrolled: 13-line block ×4, first 2 shown]
	s_and_b64 s[4:5], s[0:1], vcc
	s_and_saveexec_b64 s[0:1], s[4:5]
	s_cbranch_execz .LBB585_27
; %bb.26:
	v_xor_b32_e32 v1, 0x80, v1
	v_lshrrev_b32_sdwa v1, s2, v1 dst_sel:DWORD dst_unused:UNUSED_PAD src0_sel:DWORD src1_sel:BYTE_0
	v_and_b32_e32 v1, s12, v1
	v_lshl_or_b32 v1, v1, 4, v12
	v_mov_b32_e32 v2, 1
	ds_add_u32 v1, v2
.LBB585_27:
	s_or_b64 exec, exec, s[0:1]
	s_cmp_gt_u32 s3, s2
	s_waitcnt lgkmcnt(0)
	s_barrier
	s_cbranch_scc0 .LBB585_32
; %bb.28:
	s_movk_i32 s0, 0x100
	v_cmp_gt_u32_e32 vcc, s0, v0
	v_lshlrev_b32_e32 v3, 4, v0
	v_mov_b32_e32 v2, 0
	v_mov_b32_e32 v1, v0
	s_mov_b32 s6, s2
	s_branch .LBB585_30
.LBB585_29:                             ;   in Loop: Header=BB585_30 Depth=1
	s_or_b64 exec, exec, s[4:5]
	s_add_i32 s6, s6, 8
	v_add_u32_e32 v1, 0x100, v1
	s_cmp_lt_u32 s6, s3
	v_add_u32_e32 v3, 0x1000, v3
	s_cbranch_scc0 .LBB585_32
.LBB585_30:                             ; =>This Inner Loop Header: Depth=1
	s_and_saveexec_b64 s[4:5], vcc
	s_cbranch_execz .LBB585_29
; %bb.31:                               ;   in Loop: Header=BB585_30 Depth=1
	ds_read2_b32 v[4:5], v3 offset1:1
	ds_read2_b32 v[6:7], v3 offset0:2 offset1:3
	v_lshlrev_b64 v[8:9], 2, v[1:2]
	v_mov_b32_e32 v10, s11
	s_waitcnt lgkmcnt(1)
	v_add_u32_e32 v4, v5, v4
	s_waitcnt lgkmcnt(0)
	v_add3_u32 v6, v4, v6, v7
	v_add_co_u32_e64 v4, s[0:1], s10, v8
	v_addc_co_u32_e64 v5, s[0:1], v10, v9, s[0:1]
	global_atomic_add v[4:5], v6, off
	s_branch .LBB585_29
.LBB585_32:
	s_mov_b64 s[0:1], 0
.LBB585_33:
	s_and_b64 vcc, exec, s[0:1]
	s_cbranch_vccz .LBB585_50
; %bb.34:
	s_cmp_eq_u32 s2, 0
	s_cselect_b64 s[0:1], -1, 0
	s_cmp_eq_u32 s3, 8
	s_cselect_b64 s[4:5], -1, 0
	s_and_b64 s[4:5], s[0:1], s[4:5]
	s_add_u32 s0, s8, s7
	s_addc_u32 s1, s9, 0
	global_load_ubyte v3, v0, s[0:1]
	global_load_ubyte v4, v0, s[0:1] offset:512
	global_load_ubyte v5, v0, s[0:1] offset:1024
	;; [unrolled: 1-line block ×5, first 2 shown]
	v_mov_b32_e32 v1, 0
	s_mov_b64 s[0:1], -1
	s_and_b64 vcc, exec, s[4:5]
	v_lshlrev_b32_e32 v9, 2, v0
	s_cbranch_vccnz .LBB585_45
; %bb.35:
	v_or_b32_e32 v2, 0xfffffe00, v0
	v_lshlrev_b32_e32 v10, 2, v0
	s_mov_b64 s[0:1], 0
.LBB585_36:                             ; =>This Inner Loop Header: Depth=1
	v_add_co_u32_e32 v2, vcc, 0x200, v2
	s_xor_b64 s[4:5], vcc, -1
	s_and_b64 s[4:5], exec, s[4:5]
	ds_write_b32 v10, v1
	s_or_b64 s[0:1], s[4:5], s[0:1]
	v_add_u32_e32 v10, 0x800, v10
	s_andn2_b64 exec, exec, s[0:1]
	s_cbranch_execnz .LBB585_36
; %bb.37:
	s_or_b64 exec, exec, s[0:1]
	s_cmp_gt_u32 s3, s2
	s_cselect_b64 s[0:1], -1, 0
	s_cmp_le_u32 s3, s2
	s_waitcnt vmcnt(0) lgkmcnt(0)
	s_barrier
	s_cbranch_scc1 .LBB585_39
; %bb.38:
	s_sub_i32 s4, s3, s2
	s_min_u32 s4, s4, 8
	s_lshl_b32 s4, -1, s4
	v_xor_b32_e32 v14, 0x80, v3
	s_not_b32 s4, s4
	v_and_b32_e32 v1, 3, v0
	v_xor_b32_e32 v13, 0x80, v4
	v_lshrrev_b32_sdwa v14, s2, v14 dst_sel:DWORD dst_unused:UNUSED_PAD src0_sel:DWORD src1_sel:BYTE_0
	v_lshlrev_b32_e32 v1, 2, v1
	v_xor_b32_e32 v12, 0x80, v5
	v_and_b32_e32 v14, s4, v14
	v_lshrrev_b32_sdwa v13, s2, v13 dst_sel:DWORD dst_unused:UNUSED_PAD src0_sel:DWORD src1_sel:BYTE_0
	v_xor_b32_e32 v11, 0x80, v6
	v_lshl_or_b32 v14, v14, 4, v1
	v_mov_b32_e32 v15, 1
	v_and_b32_e32 v13, s4, v13
	v_lshrrev_b32_sdwa v12, s2, v12 dst_sel:DWORD dst_unused:UNUSED_PAD src0_sel:DWORD src1_sel:BYTE_0
	v_xor_b32_e32 v10, 0x80, v7
	ds_add_u32 v14, v15
	v_lshl_or_b32 v13, v13, 4, v1
	v_and_b32_e32 v12, s4, v12
	v_lshrrev_b32_sdwa v11, s2, v11 dst_sel:DWORD dst_unused:UNUSED_PAD src0_sel:DWORD src1_sel:BYTE_0
	v_xor_b32_e32 v2, 0x80, v8
	ds_add_u32 v13, v15
	v_lshl_or_b32 v12, v12, 4, v1
	v_and_b32_e32 v11, s4, v11
	v_lshrrev_b32_sdwa v10, s2, v10 dst_sel:DWORD dst_unused:UNUSED_PAD src0_sel:DWORD src1_sel:BYTE_0
	ds_add_u32 v12, v15
	v_lshl_or_b32 v11, v11, 4, v1
	v_and_b32_e32 v10, s4, v10
	v_lshrrev_b32_sdwa v2, s2, v2 dst_sel:DWORD dst_unused:UNUSED_PAD src0_sel:DWORD src1_sel:BYTE_0
	ds_add_u32 v11, v15
	v_lshl_or_b32 v10, v10, 4, v1
	v_and_b32_e32 v2, s4, v2
	ds_add_u32 v10, v15
	v_lshl_or_b32 v1, v2, 4, v1
	ds_add_u32 v1, v15
.LBB585_39:
	s_and_b64 vcc, exec, s[0:1]
	s_waitcnt lgkmcnt(0)
	s_barrier
	s_cbranch_vccz .LBB585_44
; %bb.40:
	s_movk_i32 s0, 0x100
	v_cmp_gt_u32_e32 vcc, s0, v0
	v_lshlrev_b32_e32 v10, 4, v0
	v_mov_b32_e32 v2, 0
	v_mov_b32_e32 v1, v0
	s_branch .LBB585_42
.LBB585_41:                             ;   in Loop: Header=BB585_42 Depth=1
	s_or_b64 exec, exec, s[4:5]
	s_add_i32 s2, s2, 8
	v_add_u32_e32 v1, 0x100, v1
	s_cmp_ge_u32 s2, s3
	v_add_u32_e32 v10, 0x1000, v10
	s_cbranch_scc1 .LBB585_44
.LBB585_42:                             ; =>This Inner Loop Header: Depth=1
	s_and_saveexec_b64 s[4:5], vcc
	s_cbranch_execz .LBB585_41
; %bb.43:                               ;   in Loop: Header=BB585_42 Depth=1
	ds_read2_b32 v[11:12], v10 offset1:1
	ds_read2_b32 v[13:14], v10 offset0:2 offset1:3
	v_lshlrev_b64 v[15:16], 2, v[1:2]
	v_mov_b32_e32 v17, s11
	s_waitcnt lgkmcnt(1)
	v_add_u32_e32 v11, v12, v11
	s_waitcnt lgkmcnt(0)
	v_add3_u32 v13, v11, v13, v14
	v_add_co_u32_e64 v11, s[0:1], s10, v15
	v_addc_co_u32_e64 v12, s[0:1], v17, v16, s[0:1]
	global_atomic_add v[11:12], v13, off
	s_branch .LBB585_41
.LBB585_44:
	s_mov_b64 s[0:1], 0
.LBB585_45:
	s_and_b64 vcc, exec, s[0:1]
	s_cbranch_vccz .LBB585_50
; %bb.46:
	v_or_b32_e32 v1, 0xfffffe00, v0
	s_mov_b64 s[0:1], 0
	v_mov_b32_e32 v2, 0
.LBB585_47:                             ; =>This Inner Loop Header: Depth=1
	v_add_co_u32_e32 v1, vcc, 0x200, v1
	s_xor_b64 s[2:3], vcc, -1
	s_and_b64 s[2:3], exec, s[2:3]
	ds_write_b32 v9, v2
	s_or_b64 s[0:1], s[2:3], s[0:1]
	v_add_u32_e32 v9, 0x800, v9
	s_andn2_b64 exec, exec, s[0:1]
	s_cbranch_execnz .LBB585_47
; %bb.48:
	s_or_b64 exec, exec, s[0:1]
	s_waitcnt vmcnt(5)
	v_xor_b32_e32 v1, 0x80, v3
	s_waitcnt vmcnt(3)
	v_xor_b32_e32 v3, 0x80, v5
	;; [unrolled: 2-line block ×3, first 2 shown]
	v_and_b32_e32 v7, 3, v0
	v_lshlrev_b32_e32 v7, 2, v7
	v_and_b32_e32 v1, 0xff, v1
	v_xor_b32_e32 v2, 0x80, v4
	v_xor_b32_e32 v4, 0x80, v6
	s_waitcnt vmcnt(0)
	v_xor_b32_e32 v6, 0x80, v8
	v_lshl_or_b32 v1, v1, 4, v7
	v_mov_b32_e32 v8, 1
	s_waitcnt lgkmcnt(0)
	s_barrier
	ds_add_u32 v1, v8
	v_and_b32_e32 v1, 0xff, v2
	v_lshl_or_b32 v1, v1, 4, v7
	ds_add_u32 v1, v8
	v_and_b32_e32 v1, 0xff, v3
	v_lshl_or_b32 v1, v1, 4, v7
	;; [unrolled: 3-line block ×5, first 2 shown]
	ds_add_u32 v1, v8
	s_movk_i32 s0, 0x100
	v_cmp_gt_u32_e32 vcc, s0, v0
	s_waitcnt lgkmcnt(0)
	s_barrier
	s_and_saveexec_b64 s[0:1], vcc
	s_cbranch_execz .LBB585_50
; %bb.49:
	v_lshlrev_b32_e32 v3, 4, v0
	ds_read2_b32 v[1:2], v3 offset1:1
	ds_read2_b32 v[3:4], v3 offset0:2 offset1:3
	v_lshlrev_b32_e32 v0, 2, v0
	s_waitcnt lgkmcnt(1)
	v_add_u32_e32 v1, v2, v1
	s_waitcnt lgkmcnt(0)
	v_add3_u32 v1, v1, v3, v4
	global_atomic_add v0, v1, s[10:11]
.LBB585_50:
	s_endpgm
	.section	.rodata,"a",@progbits
	.p2align	6, 0x0
	.amdhsa_kernel _ZN7rocprim17ROCPRIM_400000_NS6detail17trampoline_kernelINS0_14default_configENS1_35radix_sort_onesweep_config_selectorIalEEZNS1_34radix_sort_onesweep_global_offsetsIS3_Lb0EPaN6thrust23THRUST_200600_302600_NS10device_ptrIlEEjNS0_19identity_decomposerEEE10hipError_tT1_T2_PT3_SG_jT4_jjP12ihipStream_tbEUlT_E_NS1_11comp_targetILNS1_3genE2ELNS1_11target_archE906ELNS1_3gpuE6ELNS1_3repE0EEENS1_52radix_sort_onesweep_histogram_config_static_selectorELNS0_4arch9wavefront6targetE1EEEvSE_
		.amdhsa_group_segment_fixed_size 4096
		.amdhsa_private_segment_fixed_size 0
		.amdhsa_kernarg_size 40
		.amdhsa_user_sgpr_count 6
		.amdhsa_user_sgpr_private_segment_buffer 1
		.amdhsa_user_sgpr_dispatch_ptr 0
		.amdhsa_user_sgpr_queue_ptr 0
		.amdhsa_user_sgpr_kernarg_segment_ptr 1
		.amdhsa_user_sgpr_dispatch_id 0
		.amdhsa_user_sgpr_flat_scratch_init 0
		.amdhsa_user_sgpr_private_segment_size 0
		.amdhsa_uses_dynamic_stack 0
		.amdhsa_system_sgpr_private_segment_wavefront_offset 0
		.amdhsa_system_sgpr_workgroup_id_x 1
		.amdhsa_system_sgpr_workgroup_id_y 0
		.amdhsa_system_sgpr_workgroup_id_z 0
		.amdhsa_system_sgpr_workgroup_info 0
		.amdhsa_system_vgpr_workitem_id 0
		.amdhsa_next_free_vgpr 18
		.amdhsa_next_free_sgpr 16
		.amdhsa_reserve_vcc 1
		.amdhsa_reserve_flat_scratch 0
		.amdhsa_float_round_mode_32 0
		.amdhsa_float_round_mode_16_64 0
		.amdhsa_float_denorm_mode_32 3
		.amdhsa_float_denorm_mode_16_64 3
		.amdhsa_dx10_clamp 1
		.amdhsa_ieee_mode 1
		.amdhsa_fp16_overflow 0
		.amdhsa_exception_fp_ieee_invalid_op 0
		.amdhsa_exception_fp_denorm_src 0
		.amdhsa_exception_fp_ieee_div_zero 0
		.amdhsa_exception_fp_ieee_overflow 0
		.amdhsa_exception_fp_ieee_underflow 0
		.amdhsa_exception_fp_ieee_inexact 0
		.amdhsa_exception_int_div_zero 0
	.end_amdhsa_kernel
	.section	.text._ZN7rocprim17ROCPRIM_400000_NS6detail17trampoline_kernelINS0_14default_configENS1_35radix_sort_onesweep_config_selectorIalEEZNS1_34radix_sort_onesweep_global_offsetsIS3_Lb0EPaN6thrust23THRUST_200600_302600_NS10device_ptrIlEEjNS0_19identity_decomposerEEE10hipError_tT1_T2_PT3_SG_jT4_jjP12ihipStream_tbEUlT_E_NS1_11comp_targetILNS1_3genE2ELNS1_11target_archE906ELNS1_3gpuE6ELNS1_3repE0EEENS1_52radix_sort_onesweep_histogram_config_static_selectorELNS0_4arch9wavefront6targetE1EEEvSE_,"axG",@progbits,_ZN7rocprim17ROCPRIM_400000_NS6detail17trampoline_kernelINS0_14default_configENS1_35radix_sort_onesweep_config_selectorIalEEZNS1_34radix_sort_onesweep_global_offsetsIS3_Lb0EPaN6thrust23THRUST_200600_302600_NS10device_ptrIlEEjNS0_19identity_decomposerEEE10hipError_tT1_T2_PT3_SG_jT4_jjP12ihipStream_tbEUlT_E_NS1_11comp_targetILNS1_3genE2ELNS1_11target_archE906ELNS1_3gpuE6ELNS1_3repE0EEENS1_52radix_sort_onesweep_histogram_config_static_selectorELNS0_4arch9wavefront6targetE1EEEvSE_,comdat
.Lfunc_end585:
	.size	_ZN7rocprim17ROCPRIM_400000_NS6detail17trampoline_kernelINS0_14default_configENS1_35radix_sort_onesweep_config_selectorIalEEZNS1_34radix_sort_onesweep_global_offsetsIS3_Lb0EPaN6thrust23THRUST_200600_302600_NS10device_ptrIlEEjNS0_19identity_decomposerEEE10hipError_tT1_T2_PT3_SG_jT4_jjP12ihipStream_tbEUlT_E_NS1_11comp_targetILNS1_3genE2ELNS1_11target_archE906ELNS1_3gpuE6ELNS1_3repE0EEENS1_52radix_sort_onesweep_histogram_config_static_selectorELNS0_4arch9wavefront6targetE1EEEvSE_, .Lfunc_end585-_ZN7rocprim17ROCPRIM_400000_NS6detail17trampoline_kernelINS0_14default_configENS1_35radix_sort_onesweep_config_selectorIalEEZNS1_34radix_sort_onesweep_global_offsetsIS3_Lb0EPaN6thrust23THRUST_200600_302600_NS10device_ptrIlEEjNS0_19identity_decomposerEEE10hipError_tT1_T2_PT3_SG_jT4_jjP12ihipStream_tbEUlT_E_NS1_11comp_targetILNS1_3genE2ELNS1_11target_archE906ELNS1_3gpuE6ELNS1_3repE0EEENS1_52radix_sort_onesweep_histogram_config_static_selectorELNS0_4arch9wavefront6targetE1EEEvSE_
                                        ; -- End function
	.set _ZN7rocprim17ROCPRIM_400000_NS6detail17trampoline_kernelINS0_14default_configENS1_35radix_sort_onesweep_config_selectorIalEEZNS1_34radix_sort_onesweep_global_offsetsIS3_Lb0EPaN6thrust23THRUST_200600_302600_NS10device_ptrIlEEjNS0_19identity_decomposerEEE10hipError_tT1_T2_PT3_SG_jT4_jjP12ihipStream_tbEUlT_E_NS1_11comp_targetILNS1_3genE2ELNS1_11target_archE906ELNS1_3gpuE6ELNS1_3repE0EEENS1_52radix_sort_onesweep_histogram_config_static_selectorELNS0_4arch9wavefront6targetE1EEEvSE_.num_vgpr, 18
	.set _ZN7rocprim17ROCPRIM_400000_NS6detail17trampoline_kernelINS0_14default_configENS1_35radix_sort_onesweep_config_selectorIalEEZNS1_34radix_sort_onesweep_global_offsetsIS3_Lb0EPaN6thrust23THRUST_200600_302600_NS10device_ptrIlEEjNS0_19identity_decomposerEEE10hipError_tT1_T2_PT3_SG_jT4_jjP12ihipStream_tbEUlT_E_NS1_11comp_targetILNS1_3genE2ELNS1_11target_archE906ELNS1_3gpuE6ELNS1_3repE0EEENS1_52radix_sort_onesweep_histogram_config_static_selectorELNS0_4arch9wavefront6targetE1EEEvSE_.num_agpr, 0
	.set _ZN7rocprim17ROCPRIM_400000_NS6detail17trampoline_kernelINS0_14default_configENS1_35radix_sort_onesweep_config_selectorIalEEZNS1_34radix_sort_onesweep_global_offsetsIS3_Lb0EPaN6thrust23THRUST_200600_302600_NS10device_ptrIlEEjNS0_19identity_decomposerEEE10hipError_tT1_T2_PT3_SG_jT4_jjP12ihipStream_tbEUlT_E_NS1_11comp_targetILNS1_3genE2ELNS1_11target_archE906ELNS1_3gpuE6ELNS1_3repE0EEENS1_52radix_sort_onesweep_histogram_config_static_selectorELNS0_4arch9wavefront6targetE1EEEvSE_.numbered_sgpr, 16
	.set _ZN7rocprim17ROCPRIM_400000_NS6detail17trampoline_kernelINS0_14default_configENS1_35radix_sort_onesweep_config_selectorIalEEZNS1_34radix_sort_onesweep_global_offsetsIS3_Lb0EPaN6thrust23THRUST_200600_302600_NS10device_ptrIlEEjNS0_19identity_decomposerEEE10hipError_tT1_T2_PT3_SG_jT4_jjP12ihipStream_tbEUlT_E_NS1_11comp_targetILNS1_3genE2ELNS1_11target_archE906ELNS1_3gpuE6ELNS1_3repE0EEENS1_52radix_sort_onesweep_histogram_config_static_selectorELNS0_4arch9wavefront6targetE1EEEvSE_.num_named_barrier, 0
	.set _ZN7rocprim17ROCPRIM_400000_NS6detail17trampoline_kernelINS0_14default_configENS1_35radix_sort_onesweep_config_selectorIalEEZNS1_34radix_sort_onesweep_global_offsetsIS3_Lb0EPaN6thrust23THRUST_200600_302600_NS10device_ptrIlEEjNS0_19identity_decomposerEEE10hipError_tT1_T2_PT3_SG_jT4_jjP12ihipStream_tbEUlT_E_NS1_11comp_targetILNS1_3genE2ELNS1_11target_archE906ELNS1_3gpuE6ELNS1_3repE0EEENS1_52radix_sort_onesweep_histogram_config_static_selectorELNS0_4arch9wavefront6targetE1EEEvSE_.private_seg_size, 0
	.set _ZN7rocprim17ROCPRIM_400000_NS6detail17trampoline_kernelINS0_14default_configENS1_35radix_sort_onesweep_config_selectorIalEEZNS1_34radix_sort_onesweep_global_offsetsIS3_Lb0EPaN6thrust23THRUST_200600_302600_NS10device_ptrIlEEjNS0_19identity_decomposerEEE10hipError_tT1_T2_PT3_SG_jT4_jjP12ihipStream_tbEUlT_E_NS1_11comp_targetILNS1_3genE2ELNS1_11target_archE906ELNS1_3gpuE6ELNS1_3repE0EEENS1_52radix_sort_onesweep_histogram_config_static_selectorELNS0_4arch9wavefront6targetE1EEEvSE_.uses_vcc, 1
	.set _ZN7rocprim17ROCPRIM_400000_NS6detail17trampoline_kernelINS0_14default_configENS1_35radix_sort_onesweep_config_selectorIalEEZNS1_34radix_sort_onesweep_global_offsetsIS3_Lb0EPaN6thrust23THRUST_200600_302600_NS10device_ptrIlEEjNS0_19identity_decomposerEEE10hipError_tT1_T2_PT3_SG_jT4_jjP12ihipStream_tbEUlT_E_NS1_11comp_targetILNS1_3genE2ELNS1_11target_archE906ELNS1_3gpuE6ELNS1_3repE0EEENS1_52radix_sort_onesweep_histogram_config_static_selectorELNS0_4arch9wavefront6targetE1EEEvSE_.uses_flat_scratch, 0
	.set _ZN7rocprim17ROCPRIM_400000_NS6detail17trampoline_kernelINS0_14default_configENS1_35radix_sort_onesweep_config_selectorIalEEZNS1_34radix_sort_onesweep_global_offsetsIS3_Lb0EPaN6thrust23THRUST_200600_302600_NS10device_ptrIlEEjNS0_19identity_decomposerEEE10hipError_tT1_T2_PT3_SG_jT4_jjP12ihipStream_tbEUlT_E_NS1_11comp_targetILNS1_3genE2ELNS1_11target_archE906ELNS1_3gpuE6ELNS1_3repE0EEENS1_52radix_sort_onesweep_histogram_config_static_selectorELNS0_4arch9wavefront6targetE1EEEvSE_.has_dyn_sized_stack, 0
	.set _ZN7rocprim17ROCPRIM_400000_NS6detail17trampoline_kernelINS0_14default_configENS1_35radix_sort_onesweep_config_selectorIalEEZNS1_34radix_sort_onesweep_global_offsetsIS3_Lb0EPaN6thrust23THRUST_200600_302600_NS10device_ptrIlEEjNS0_19identity_decomposerEEE10hipError_tT1_T2_PT3_SG_jT4_jjP12ihipStream_tbEUlT_E_NS1_11comp_targetILNS1_3genE2ELNS1_11target_archE906ELNS1_3gpuE6ELNS1_3repE0EEENS1_52radix_sort_onesweep_histogram_config_static_selectorELNS0_4arch9wavefront6targetE1EEEvSE_.has_recursion, 0
	.set _ZN7rocprim17ROCPRIM_400000_NS6detail17trampoline_kernelINS0_14default_configENS1_35radix_sort_onesweep_config_selectorIalEEZNS1_34radix_sort_onesweep_global_offsetsIS3_Lb0EPaN6thrust23THRUST_200600_302600_NS10device_ptrIlEEjNS0_19identity_decomposerEEE10hipError_tT1_T2_PT3_SG_jT4_jjP12ihipStream_tbEUlT_E_NS1_11comp_targetILNS1_3genE2ELNS1_11target_archE906ELNS1_3gpuE6ELNS1_3repE0EEENS1_52radix_sort_onesweep_histogram_config_static_selectorELNS0_4arch9wavefront6targetE1EEEvSE_.has_indirect_call, 0
	.section	.AMDGPU.csdata,"",@progbits
; Kernel info:
; codeLenInByte = 1916
; TotalNumSgprs: 20
; NumVgprs: 18
; ScratchSize: 0
; MemoryBound: 0
; FloatMode: 240
; IeeeMode: 1
; LDSByteSize: 4096 bytes/workgroup (compile time only)
; SGPRBlocks: 2
; VGPRBlocks: 4
; NumSGPRsForWavesPerEU: 20
; NumVGPRsForWavesPerEU: 18
; Occupancy: 10
; WaveLimiterHint : 1
; COMPUTE_PGM_RSRC2:SCRATCH_EN: 0
; COMPUTE_PGM_RSRC2:USER_SGPR: 6
; COMPUTE_PGM_RSRC2:TRAP_HANDLER: 0
; COMPUTE_PGM_RSRC2:TGID_X_EN: 1
; COMPUTE_PGM_RSRC2:TGID_Y_EN: 0
; COMPUTE_PGM_RSRC2:TGID_Z_EN: 0
; COMPUTE_PGM_RSRC2:TIDIG_COMP_CNT: 0
	.section	.text._ZN7rocprim17ROCPRIM_400000_NS6detail17trampoline_kernelINS0_14default_configENS1_35radix_sort_onesweep_config_selectorIalEEZNS1_34radix_sort_onesweep_global_offsetsIS3_Lb0EPaN6thrust23THRUST_200600_302600_NS10device_ptrIlEEjNS0_19identity_decomposerEEE10hipError_tT1_T2_PT3_SG_jT4_jjP12ihipStream_tbEUlT_E_NS1_11comp_targetILNS1_3genE4ELNS1_11target_archE910ELNS1_3gpuE8ELNS1_3repE0EEENS1_52radix_sort_onesweep_histogram_config_static_selectorELNS0_4arch9wavefront6targetE1EEEvSE_,"axG",@progbits,_ZN7rocprim17ROCPRIM_400000_NS6detail17trampoline_kernelINS0_14default_configENS1_35radix_sort_onesweep_config_selectorIalEEZNS1_34radix_sort_onesweep_global_offsetsIS3_Lb0EPaN6thrust23THRUST_200600_302600_NS10device_ptrIlEEjNS0_19identity_decomposerEEE10hipError_tT1_T2_PT3_SG_jT4_jjP12ihipStream_tbEUlT_E_NS1_11comp_targetILNS1_3genE4ELNS1_11target_archE910ELNS1_3gpuE8ELNS1_3repE0EEENS1_52radix_sort_onesweep_histogram_config_static_selectorELNS0_4arch9wavefront6targetE1EEEvSE_,comdat
	.protected	_ZN7rocprim17ROCPRIM_400000_NS6detail17trampoline_kernelINS0_14default_configENS1_35radix_sort_onesweep_config_selectorIalEEZNS1_34radix_sort_onesweep_global_offsetsIS3_Lb0EPaN6thrust23THRUST_200600_302600_NS10device_ptrIlEEjNS0_19identity_decomposerEEE10hipError_tT1_T2_PT3_SG_jT4_jjP12ihipStream_tbEUlT_E_NS1_11comp_targetILNS1_3genE4ELNS1_11target_archE910ELNS1_3gpuE8ELNS1_3repE0EEENS1_52radix_sort_onesweep_histogram_config_static_selectorELNS0_4arch9wavefront6targetE1EEEvSE_ ; -- Begin function _ZN7rocprim17ROCPRIM_400000_NS6detail17trampoline_kernelINS0_14default_configENS1_35radix_sort_onesweep_config_selectorIalEEZNS1_34radix_sort_onesweep_global_offsetsIS3_Lb0EPaN6thrust23THRUST_200600_302600_NS10device_ptrIlEEjNS0_19identity_decomposerEEE10hipError_tT1_T2_PT3_SG_jT4_jjP12ihipStream_tbEUlT_E_NS1_11comp_targetILNS1_3genE4ELNS1_11target_archE910ELNS1_3gpuE8ELNS1_3repE0EEENS1_52radix_sort_onesweep_histogram_config_static_selectorELNS0_4arch9wavefront6targetE1EEEvSE_
	.globl	_ZN7rocprim17ROCPRIM_400000_NS6detail17trampoline_kernelINS0_14default_configENS1_35radix_sort_onesweep_config_selectorIalEEZNS1_34radix_sort_onesweep_global_offsetsIS3_Lb0EPaN6thrust23THRUST_200600_302600_NS10device_ptrIlEEjNS0_19identity_decomposerEEE10hipError_tT1_T2_PT3_SG_jT4_jjP12ihipStream_tbEUlT_E_NS1_11comp_targetILNS1_3genE4ELNS1_11target_archE910ELNS1_3gpuE8ELNS1_3repE0EEENS1_52radix_sort_onesweep_histogram_config_static_selectorELNS0_4arch9wavefront6targetE1EEEvSE_
	.p2align	8
	.type	_ZN7rocprim17ROCPRIM_400000_NS6detail17trampoline_kernelINS0_14default_configENS1_35radix_sort_onesweep_config_selectorIalEEZNS1_34radix_sort_onesweep_global_offsetsIS3_Lb0EPaN6thrust23THRUST_200600_302600_NS10device_ptrIlEEjNS0_19identity_decomposerEEE10hipError_tT1_T2_PT3_SG_jT4_jjP12ihipStream_tbEUlT_E_NS1_11comp_targetILNS1_3genE4ELNS1_11target_archE910ELNS1_3gpuE8ELNS1_3repE0EEENS1_52radix_sort_onesweep_histogram_config_static_selectorELNS0_4arch9wavefront6targetE1EEEvSE_,@function
_ZN7rocprim17ROCPRIM_400000_NS6detail17trampoline_kernelINS0_14default_configENS1_35radix_sort_onesweep_config_selectorIalEEZNS1_34radix_sort_onesweep_global_offsetsIS3_Lb0EPaN6thrust23THRUST_200600_302600_NS10device_ptrIlEEjNS0_19identity_decomposerEEE10hipError_tT1_T2_PT3_SG_jT4_jjP12ihipStream_tbEUlT_E_NS1_11comp_targetILNS1_3genE4ELNS1_11target_archE910ELNS1_3gpuE8ELNS1_3repE0EEENS1_52radix_sort_onesweep_histogram_config_static_selectorELNS0_4arch9wavefront6targetE1EEEvSE_: ; @_ZN7rocprim17ROCPRIM_400000_NS6detail17trampoline_kernelINS0_14default_configENS1_35radix_sort_onesweep_config_selectorIalEEZNS1_34radix_sort_onesweep_global_offsetsIS3_Lb0EPaN6thrust23THRUST_200600_302600_NS10device_ptrIlEEjNS0_19identity_decomposerEEE10hipError_tT1_T2_PT3_SG_jT4_jjP12ihipStream_tbEUlT_E_NS1_11comp_targetILNS1_3genE4ELNS1_11target_archE910ELNS1_3gpuE8ELNS1_3repE0EEENS1_52radix_sort_onesweep_histogram_config_static_selectorELNS0_4arch9wavefront6targetE1EEEvSE_
; %bb.0:
	.section	.rodata,"a",@progbits
	.p2align	6, 0x0
	.amdhsa_kernel _ZN7rocprim17ROCPRIM_400000_NS6detail17trampoline_kernelINS0_14default_configENS1_35radix_sort_onesweep_config_selectorIalEEZNS1_34radix_sort_onesweep_global_offsetsIS3_Lb0EPaN6thrust23THRUST_200600_302600_NS10device_ptrIlEEjNS0_19identity_decomposerEEE10hipError_tT1_T2_PT3_SG_jT4_jjP12ihipStream_tbEUlT_E_NS1_11comp_targetILNS1_3genE4ELNS1_11target_archE910ELNS1_3gpuE8ELNS1_3repE0EEENS1_52radix_sort_onesweep_histogram_config_static_selectorELNS0_4arch9wavefront6targetE1EEEvSE_
		.amdhsa_group_segment_fixed_size 0
		.amdhsa_private_segment_fixed_size 0
		.amdhsa_kernarg_size 40
		.amdhsa_user_sgpr_count 6
		.amdhsa_user_sgpr_private_segment_buffer 1
		.amdhsa_user_sgpr_dispatch_ptr 0
		.amdhsa_user_sgpr_queue_ptr 0
		.amdhsa_user_sgpr_kernarg_segment_ptr 1
		.amdhsa_user_sgpr_dispatch_id 0
		.amdhsa_user_sgpr_flat_scratch_init 0
		.amdhsa_user_sgpr_private_segment_size 0
		.amdhsa_uses_dynamic_stack 0
		.amdhsa_system_sgpr_private_segment_wavefront_offset 0
		.amdhsa_system_sgpr_workgroup_id_x 1
		.amdhsa_system_sgpr_workgroup_id_y 0
		.amdhsa_system_sgpr_workgroup_id_z 0
		.amdhsa_system_sgpr_workgroup_info 0
		.amdhsa_system_vgpr_workitem_id 0
		.amdhsa_next_free_vgpr 1
		.amdhsa_next_free_sgpr 0
		.amdhsa_reserve_vcc 0
		.amdhsa_reserve_flat_scratch 0
		.amdhsa_float_round_mode_32 0
		.amdhsa_float_round_mode_16_64 0
		.amdhsa_float_denorm_mode_32 3
		.amdhsa_float_denorm_mode_16_64 3
		.amdhsa_dx10_clamp 1
		.amdhsa_ieee_mode 1
		.amdhsa_fp16_overflow 0
		.amdhsa_exception_fp_ieee_invalid_op 0
		.amdhsa_exception_fp_denorm_src 0
		.amdhsa_exception_fp_ieee_div_zero 0
		.amdhsa_exception_fp_ieee_overflow 0
		.amdhsa_exception_fp_ieee_underflow 0
		.amdhsa_exception_fp_ieee_inexact 0
		.amdhsa_exception_int_div_zero 0
	.end_amdhsa_kernel
	.section	.text._ZN7rocprim17ROCPRIM_400000_NS6detail17trampoline_kernelINS0_14default_configENS1_35radix_sort_onesweep_config_selectorIalEEZNS1_34radix_sort_onesweep_global_offsetsIS3_Lb0EPaN6thrust23THRUST_200600_302600_NS10device_ptrIlEEjNS0_19identity_decomposerEEE10hipError_tT1_T2_PT3_SG_jT4_jjP12ihipStream_tbEUlT_E_NS1_11comp_targetILNS1_3genE4ELNS1_11target_archE910ELNS1_3gpuE8ELNS1_3repE0EEENS1_52radix_sort_onesweep_histogram_config_static_selectorELNS0_4arch9wavefront6targetE1EEEvSE_,"axG",@progbits,_ZN7rocprim17ROCPRIM_400000_NS6detail17trampoline_kernelINS0_14default_configENS1_35radix_sort_onesweep_config_selectorIalEEZNS1_34radix_sort_onesweep_global_offsetsIS3_Lb0EPaN6thrust23THRUST_200600_302600_NS10device_ptrIlEEjNS0_19identity_decomposerEEE10hipError_tT1_T2_PT3_SG_jT4_jjP12ihipStream_tbEUlT_E_NS1_11comp_targetILNS1_3genE4ELNS1_11target_archE910ELNS1_3gpuE8ELNS1_3repE0EEENS1_52radix_sort_onesweep_histogram_config_static_selectorELNS0_4arch9wavefront6targetE1EEEvSE_,comdat
.Lfunc_end586:
	.size	_ZN7rocprim17ROCPRIM_400000_NS6detail17trampoline_kernelINS0_14default_configENS1_35radix_sort_onesweep_config_selectorIalEEZNS1_34radix_sort_onesweep_global_offsetsIS3_Lb0EPaN6thrust23THRUST_200600_302600_NS10device_ptrIlEEjNS0_19identity_decomposerEEE10hipError_tT1_T2_PT3_SG_jT4_jjP12ihipStream_tbEUlT_E_NS1_11comp_targetILNS1_3genE4ELNS1_11target_archE910ELNS1_3gpuE8ELNS1_3repE0EEENS1_52radix_sort_onesweep_histogram_config_static_selectorELNS0_4arch9wavefront6targetE1EEEvSE_, .Lfunc_end586-_ZN7rocprim17ROCPRIM_400000_NS6detail17trampoline_kernelINS0_14default_configENS1_35radix_sort_onesweep_config_selectorIalEEZNS1_34radix_sort_onesweep_global_offsetsIS3_Lb0EPaN6thrust23THRUST_200600_302600_NS10device_ptrIlEEjNS0_19identity_decomposerEEE10hipError_tT1_T2_PT3_SG_jT4_jjP12ihipStream_tbEUlT_E_NS1_11comp_targetILNS1_3genE4ELNS1_11target_archE910ELNS1_3gpuE8ELNS1_3repE0EEENS1_52radix_sort_onesweep_histogram_config_static_selectorELNS0_4arch9wavefront6targetE1EEEvSE_
                                        ; -- End function
	.set _ZN7rocprim17ROCPRIM_400000_NS6detail17trampoline_kernelINS0_14default_configENS1_35radix_sort_onesweep_config_selectorIalEEZNS1_34radix_sort_onesweep_global_offsetsIS3_Lb0EPaN6thrust23THRUST_200600_302600_NS10device_ptrIlEEjNS0_19identity_decomposerEEE10hipError_tT1_T2_PT3_SG_jT4_jjP12ihipStream_tbEUlT_E_NS1_11comp_targetILNS1_3genE4ELNS1_11target_archE910ELNS1_3gpuE8ELNS1_3repE0EEENS1_52radix_sort_onesweep_histogram_config_static_selectorELNS0_4arch9wavefront6targetE1EEEvSE_.num_vgpr, 0
	.set _ZN7rocprim17ROCPRIM_400000_NS6detail17trampoline_kernelINS0_14default_configENS1_35radix_sort_onesweep_config_selectorIalEEZNS1_34radix_sort_onesweep_global_offsetsIS3_Lb0EPaN6thrust23THRUST_200600_302600_NS10device_ptrIlEEjNS0_19identity_decomposerEEE10hipError_tT1_T2_PT3_SG_jT4_jjP12ihipStream_tbEUlT_E_NS1_11comp_targetILNS1_3genE4ELNS1_11target_archE910ELNS1_3gpuE8ELNS1_3repE0EEENS1_52radix_sort_onesweep_histogram_config_static_selectorELNS0_4arch9wavefront6targetE1EEEvSE_.num_agpr, 0
	.set _ZN7rocprim17ROCPRIM_400000_NS6detail17trampoline_kernelINS0_14default_configENS1_35radix_sort_onesweep_config_selectorIalEEZNS1_34radix_sort_onesweep_global_offsetsIS3_Lb0EPaN6thrust23THRUST_200600_302600_NS10device_ptrIlEEjNS0_19identity_decomposerEEE10hipError_tT1_T2_PT3_SG_jT4_jjP12ihipStream_tbEUlT_E_NS1_11comp_targetILNS1_3genE4ELNS1_11target_archE910ELNS1_3gpuE8ELNS1_3repE0EEENS1_52radix_sort_onesweep_histogram_config_static_selectorELNS0_4arch9wavefront6targetE1EEEvSE_.numbered_sgpr, 0
	.set _ZN7rocprim17ROCPRIM_400000_NS6detail17trampoline_kernelINS0_14default_configENS1_35radix_sort_onesweep_config_selectorIalEEZNS1_34radix_sort_onesweep_global_offsetsIS3_Lb0EPaN6thrust23THRUST_200600_302600_NS10device_ptrIlEEjNS0_19identity_decomposerEEE10hipError_tT1_T2_PT3_SG_jT4_jjP12ihipStream_tbEUlT_E_NS1_11comp_targetILNS1_3genE4ELNS1_11target_archE910ELNS1_3gpuE8ELNS1_3repE0EEENS1_52radix_sort_onesweep_histogram_config_static_selectorELNS0_4arch9wavefront6targetE1EEEvSE_.num_named_barrier, 0
	.set _ZN7rocprim17ROCPRIM_400000_NS6detail17trampoline_kernelINS0_14default_configENS1_35radix_sort_onesweep_config_selectorIalEEZNS1_34radix_sort_onesweep_global_offsetsIS3_Lb0EPaN6thrust23THRUST_200600_302600_NS10device_ptrIlEEjNS0_19identity_decomposerEEE10hipError_tT1_T2_PT3_SG_jT4_jjP12ihipStream_tbEUlT_E_NS1_11comp_targetILNS1_3genE4ELNS1_11target_archE910ELNS1_3gpuE8ELNS1_3repE0EEENS1_52radix_sort_onesweep_histogram_config_static_selectorELNS0_4arch9wavefront6targetE1EEEvSE_.private_seg_size, 0
	.set _ZN7rocprim17ROCPRIM_400000_NS6detail17trampoline_kernelINS0_14default_configENS1_35radix_sort_onesweep_config_selectorIalEEZNS1_34radix_sort_onesweep_global_offsetsIS3_Lb0EPaN6thrust23THRUST_200600_302600_NS10device_ptrIlEEjNS0_19identity_decomposerEEE10hipError_tT1_T2_PT3_SG_jT4_jjP12ihipStream_tbEUlT_E_NS1_11comp_targetILNS1_3genE4ELNS1_11target_archE910ELNS1_3gpuE8ELNS1_3repE0EEENS1_52radix_sort_onesweep_histogram_config_static_selectorELNS0_4arch9wavefront6targetE1EEEvSE_.uses_vcc, 0
	.set _ZN7rocprim17ROCPRIM_400000_NS6detail17trampoline_kernelINS0_14default_configENS1_35radix_sort_onesweep_config_selectorIalEEZNS1_34radix_sort_onesweep_global_offsetsIS3_Lb0EPaN6thrust23THRUST_200600_302600_NS10device_ptrIlEEjNS0_19identity_decomposerEEE10hipError_tT1_T2_PT3_SG_jT4_jjP12ihipStream_tbEUlT_E_NS1_11comp_targetILNS1_3genE4ELNS1_11target_archE910ELNS1_3gpuE8ELNS1_3repE0EEENS1_52radix_sort_onesweep_histogram_config_static_selectorELNS0_4arch9wavefront6targetE1EEEvSE_.uses_flat_scratch, 0
	.set _ZN7rocprim17ROCPRIM_400000_NS6detail17trampoline_kernelINS0_14default_configENS1_35radix_sort_onesweep_config_selectorIalEEZNS1_34radix_sort_onesweep_global_offsetsIS3_Lb0EPaN6thrust23THRUST_200600_302600_NS10device_ptrIlEEjNS0_19identity_decomposerEEE10hipError_tT1_T2_PT3_SG_jT4_jjP12ihipStream_tbEUlT_E_NS1_11comp_targetILNS1_3genE4ELNS1_11target_archE910ELNS1_3gpuE8ELNS1_3repE0EEENS1_52radix_sort_onesweep_histogram_config_static_selectorELNS0_4arch9wavefront6targetE1EEEvSE_.has_dyn_sized_stack, 0
	.set _ZN7rocprim17ROCPRIM_400000_NS6detail17trampoline_kernelINS0_14default_configENS1_35radix_sort_onesweep_config_selectorIalEEZNS1_34radix_sort_onesweep_global_offsetsIS3_Lb0EPaN6thrust23THRUST_200600_302600_NS10device_ptrIlEEjNS0_19identity_decomposerEEE10hipError_tT1_T2_PT3_SG_jT4_jjP12ihipStream_tbEUlT_E_NS1_11comp_targetILNS1_3genE4ELNS1_11target_archE910ELNS1_3gpuE8ELNS1_3repE0EEENS1_52radix_sort_onesweep_histogram_config_static_selectorELNS0_4arch9wavefront6targetE1EEEvSE_.has_recursion, 0
	.set _ZN7rocprim17ROCPRIM_400000_NS6detail17trampoline_kernelINS0_14default_configENS1_35radix_sort_onesweep_config_selectorIalEEZNS1_34radix_sort_onesweep_global_offsetsIS3_Lb0EPaN6thrust23THRUST_200600_302600_NS10device_ptrIlEEjNS0_19identity_decomposerEEE10hipError_tT1_T2_PT3_SG_jT4_jjP12ihipStream_tbEUlT_E_NS1_11comp_targetILNS1_3genE4ELNS1_11target_archE910ELNS1_3gpuE8ELNS1_3repE0EEENS1_52radix_sort_onesweep_histogram_config_static_selectorELNS0_4arch9wavefront6targetE1EEEvSE_.has_indirect_call, 0
	.section	.AMDGPU.csdata,"",@progbits
; Kernel info:
; codeLenInByte = 0
; TotalNumSgprs: 4
; NumVgprs: 0
; ScratchSize: 0
; MemoryBound: 0
; FloatMode: 240
; IeeeMode: 1
; LDSByteSize: 0 bytes/workgroup (compile time only)
; SGPRBlocks: 0
; VGPRBlocks: 0
; NumSGPRsForWavesPerEU: 4
; NumVGPRsForWavesPerEU: 1
; Occupancy: 10
; WaveLimiterHint : 0
; COMPUTE_PGM_RSRC2:SCRATCH_EN: 0
; COMPUTE_PGM_RSRC2:USER_SGPR: 6
; COMPUTE_PGM_RSRC2:TRAP_HANDLER: 0
; COMPUTE_PGM_RSRC2:TGID_X_EN: 1
; COMPUTE_PGM_RSRC2:TGID_Y_EN: 0
; COMPUTE_PGM_RSRC2:TGID_Z_EN: 0
; COMPUTE_PGM_RSRC2:TIDIG_COMP_CNT: 0
	.section	.text._ZN7rocprim17ROCPRIM_400000_NS6detail17trampoline_kernelINS0_14default_configENS1_35radix_sort_onesweep_config_selectorIalEEZNS1_34radix_sort_onesweep_global_offsetsIS3_Lb0EPaN6thrust23THRUST_200600_302600_NS10device_ptrIlEEjNS0_19identity_decomposerEEE10hipError_tT1_T2_PT3_SG_jT4_jjP12ihipStream_tbEUlT_E_NS1_11comp_targetILNS1_3genE3ELNS1_11target_archE908ELNS1_3gpuE7ELNS1_3repE0EEENS1_52radix_sort_onesweep_histogram_config_static_selectorELNS0_4arch9wavefront6targetE1EEEvSE_,"axG",@progbits,_ZN7rocprim17ROCPRIM_400000_NS6detail17trampoline_kernelINS0_14default_configENS1_35radix_sort_onesweep_config_selectorIalEEZNS1_34radix_sort_onesweep_global_offsetsIS3_Lb0EPaN6thrust23THRUST_200600_302600_NS10device_ptrIlEEjNS0_19identity_decomposerEEE10hipError_tT1_T2_PT3_SG_jT4_jjP12ihipStream_tbEUlT_E_NS1_11comp_targetILNS1_3genE3ELNS1_11target_archE908ELNS1_3gpuE7ELNS1_3repE0EEENS1_52radix_sort_onesweep_histogram_config_static_selectorELNS0_4arch9wavefront6targetE1EEEvSE_,comdat
	.protected	_ZN7rocprim17ROCPRIM_400000_NS6detail17trampoline_kernelINS0_14default_configENS1_35radix_sort_onesweep_config_selectorIalEEZNS1_34radix_sort_onesweep_global_offsetsIS3_Lb0EPaN6thrust23THRUST_200600_302600_NS10device_ptrIlEEjNS0_19identity_decomposerEEE10hipError_tT1_T2_PT3_SG_jT4_jjP12ihipStream_tbEUlT_E_NS1_11comp_targetILNS1_3genE3ELNS1_11target_archE908ELNS1_3gpuE7ELNS1_3repE0EEENS1_52radix_sort_onesweep_histogram_config_static_selectorELNS0_4arch9wavefront6targetE1EEEvSE_ ; -- Begin function _ZN7rocprim17ROCPRIM_400000_NS6detail17trampoline_kernelINS0_14default_configENS1_35radix_sort_onesweep_config_selectorIalEEZNS1_34radix_sort_onesweep_global_offsetsIS3_Lb0EPaN6thrust23THRUST_200600_302600_NS10device_ptrIlEEjNS0_19identity_decomposerEEE10hipError_tT1_T2_PT3_SG_jT4_jjP12ihipStream_tbEUlT_E_NS1_11comp_targetILNS1_3genE3ELNS1_11target_archE908ELNS1_3gpuE7ELNS1_3repE0EEENS1_52radix_sort_onesweep_histogram_config_static_selectorELNS0_4arch9wavefront6targetE1EEEvSE_
	.globl	_ZN7rocprim17ROCPRIM_400000_NS6detail17trampoline_kernelINS0_14default_configENS1_35radix_sort_onesweep_config_selectorIalEEZNS1_34radix_sort_onesweep_global_offsetsIS3_Lb0EPaN6thrust23THRUST_200600_302600_NS10device_ptrIlEEjNS0_19identity_decomposerEEE10hipError_tT1_T2_PT3_SG_jT4_jjP12ihipStream_tbEUlT_E_NS1_11comp_targetILNS1_3genE3ELNS1_11target_archE908ELNS1_3gpuE7ELNS1_3repE0EEENS1_52radix_sort_onesweep_histogram_config_static_selectorELNS0_4arch9wavefront6targetE1EEEvSE_
	.p2align	8
	.type	_ZN7rocprim17ROCPRIM_400000_NS6detail17trampoline_kernelINS0_14default_configENS1_35radix_sort_onesweep_config_selectorIalEEZNS1_34radix_sort_onesweep_global_offsetsIS3_Lb0EPaN6thrust23THRUST_200600_302600_NS10device_ptrIlEEjNS0_19identity_decomposerEEE10hipError_tT1_T2_PT3_SG_jT4_jjP12ihipStream_tbEUlT_E_NS1_11comp_targetILNS1_3genE3ELNS1_11target_archE908ELNS1_3gpuE7ELNS1_3repE0EEENS1_52radix_sort_onesweep_histogram_config_static_selectorELNS0_4arch9wavefront6targetE1EEEvSE_,@function
_ZN7rocprim17ROCPRIM_400000_NS6detail17trampoline_kernelINS0_14default_configENS1_35radix_sort_onesweep_config_selectorIalEEZNS1_34radix_sort_onesweep_global_offsetsIS3_Lb0EPaN6thrust23THRUST_200600_302600_NS10device_ptrIlEEjNS0_19identity_decomposerEEE10hipError_tT1_T2_PT3_SG_jT4_jjP12ihipStream_tbEUlT_E_NS1_11comp_targetILNS1_3genE3ELNS1_11target_archE908ELNS1_3gpuE7ELNS1_3repE0EEENS1_52radix_sort_onesweep_histogram_config_static_selectorELNS0_4arch9wavefront6targetE1EEEvSE_: ; @_ZN7rocprim17ROCPRIM_400000_NS6detail17trampoline_kernelINS0_14default_configENS1_35radix_sort_onesweep_config_selectorIalEEZNS1_34radix_sort_onesweep_global_offsetsIS3_Lb0EPaN6thrust23THRUST_200600_302600_NS10device_ptrIlEEjNS0_19identity_decomposerEEE10hipError_tT1_T2_PT3_SG_jT4_jjP12ihipStream_tbEUlT_E_NS1_11comp_targetILNS1_3genE3ELNS1_11target_archE908ELNS1_3gpuE7ELNS1_3repE0EEENS1_52radix_sort_onesweep_histogram_config_static_selectorELNS0_4arch9wavefront6targetE1EEEvSE_
; %bb.0:
	.section	.rodata,"a",@progbits
	.p2align	6, 0x0
	.amdhsa_kernel _ZN7rocprim17ROCPRIM_400000_NS6detail17trampoline_kernelINS0_14default_configENS1_35radix_sort_onesweep_config_selectorIalEEZNS1_34radix_sort_onesweep_global_offsetsIS3_Lb0EPaN6thrust23THRUST_200600_302600_NS10device_ptrIlEEjNS0_19identity_decomposerEEE10hipError_tT1_T2_PT3_SG_jT4_jjP12ihipStream_tbEUlT_E_NS1_11comp_targetILNS1_3genE3ELNS1_11target_archE908ELNS1_3gpuE7ELNS1_3repE0EEENS1_52radix_sort_onesweep_histogram_config_static_selectorELNS0_4arch9wavefront6targetE1EEEvSE_
		.amdhsa_group_segment_fixed_size 0
		.amdhsa_private_segment_fixed_size 0
		.amdhsa_kernarg_size 40
		.amdhsa_user_sgpr_count 6
		.amdhsa_user_sgpr_private_segment_buffer 1
		.amdhsa_user_sgpr_dispatch_ptr 0
		.amdhsa_user_sgpr_queue_ptr 0
		.amdhsa_user_sgpr_kernarg_segment_ptr 1
		.amdhsa_user_sgpr_dispatch_id 0
		.amdhsa_user_sgpr_flat_scratch_init 0
		.amdhsa_user_sgpr_private_segment_size 0
		.amdhsa_uses_dynamic_stack 0
		.amdhsa_system_sgpr_private_segment_wavefront_offset 0
		.amdhsa_system_sgpr_workgroup_id_x 1
		.amdhsa_system_sgpr_workgroup_id_y 0
		.amdhsa_system_sgpr_workgroup_id_z 0
		.amdhsa_system_sgpr_workgroup_info 0
		.amdhsa_system_vgpr_workitem_id 0
		.amdhsa_next_free_vgpr 1
		.amdhsa_next_free_sgpr 0
		.amdhsa_reserve_vcc 0
		.amdhsa_reserve_flat_scratch 0
		.amdhsa_float_round_mode_32 0
		.amdhsa_float_round_mode_16_64 0
		.amdhsa_float_denorm_mode_32 3
		.amdhsa_float_denorm_mode_16_64 3
		.amdhsa_dx10_clamp 1
		.amdhsa_ieee_mode 1
		.amdhsa_fp16_overflow 0
		.amdhsa_exception_fp_ieee_invalid_op 0
		.amdhsa_exception_fp_denorm_src 0
		.amdhsa_exception_fp_ieee_div_zero 0
		.amdhsa_exception_fp_ieee_overflow 0
		.amdhsa_exception_fp_ieee_underflow 0
		.amdhsa_exception_fp_ieee_inexact 0
		.amdhsa_exception_int_div_zero 0
	.end_amdhsa_kernel
	.section	.text._ZN7rocprim17ROCPRIM_400000_NS6detail17trampoline_kernelINS0_14default_configENS1_35radix_sort_onesweep_config_selectorIalEEZNS1_34radix_sort_onesweep_global_offsetsIS3_Lb0EPaN6thrust23THRUST_200600_302600_NS10device_ptrIlEEjNS0_19identity_decomposerEEE10hipError_tT1_T2_PT3_SG_jT4_jjP12ihipStream_tbEUlT_E_NS1_11comp_targetILNS1_3genE3ELNS1_11target_archE908ELNS1_3gpuE7ELNS1_3repE0EEENS1_52radix_sort_onesweep_histogram_config_static_selectorELNS0_4arch9wavefront6targetE1EEEvSE_,"axG",@progbits,_ZN7rocprim17ROCPRIM_400000_NS6detail17trampoline_kernelINS0_14default_configENS1_35radix_sort_onesweep_config_selectorIalEEZNS1_34radix_sort_onesweep_global_offsetsIS3_Lb0EPaN6thrust23THRUST_200600_302600_NS10device_ptrIlEEjNS0_19identity_decomposerEEE10hipError_tT1_T2_PT3_SG_jT4_jjP12ihipStream_tbEUlT_E_NS1_11comp_targetILNS1_3genE3ELNS1_11target_archE908ELNS1_3gpuE7ELNS1_3repE0EEENS1_52radix_sort_onesweep_histogram_config_static_selectorELNS0_4arch9wavefront6targetE1EEEvSE_,comdat
.Lfunc_end587:
	.size	_ZN7rocprim17ROCPRIM_400000_NS6detail17trampoline_kernelINS0_14default_configENS1_35radix_sort_onesweep_config_selectorIalEEZNS1_34radix_sort_onesweep_global_offsetsIS3_Lb0EPaN6thrust23THRUST_200600_302600_NS10device_ptrIlEEjNS0_19identity_decomposerEEE10hipError_tT1_T2_PT3_SG_jT4_jjP12ihipStream_tbEUlT_E_NS1_11comp_targetILNS1_3genE3ELNS1_11target_archE908ELNS1_3gpuE7ELNS1_3repE0EEENS1_52radix_sort_onesweep_histogram_config_static_selectorELNS0_4arch9wavefront6targetE1EEEvSE_, .Lfunc_end587-_ZN7rocprim17ROCPRIM_400000_NS6detail17trampoline_kernelINS0_14default_configENS1_35radix_sort_onesweep_config_selectorIalEEZNS1_34radix_sort_onesweep_global_offsetsIS3_Lb0EPaN6thrust23THRUST_200600_302600_NS10device_ptrIlEEjNS0_19identity_decomposerEEE10hipError_tT1_T2_PT3_SG_jT4_jjP12ihipStream_tbEUlT_E_NS1_11comp_targetILNS1_3genE3ELNS1_11target_archE908ELNS1_3gpuE7ELNS1_3repE0EEENS1_52radix_sort_onesweep_histogram_config_static_selectorELNS0_4arch9wavefront6targetE1EEEvSE_
                                        ; -- End function
	.set _ZN7rocprim17ROCPRIM_400000_NS6detail17trampoline_kernelINS0_14default_configENS1_35radix_sort_onesweep_config_selectorIalEEZNS1_34radix_sort_onesweep_global_offsetsIS3_Lb0EPaN6thrust23THRUST_200600_302600_NS10device_ptrIlEEjNS0_19identity_decomposerEEE10hipError_tT1_T2_PT3_SG_jT4_jjP12ihipStream_tbEUlT_E_NS1_11comp_targetILNS1_3genE3ELNS1_11target_archE908ELNS1_3gpuE7ELNS1_3repE0EEENS1_52radix_sort_onesweep_histogram_config_static_selectorELNS0_4arch9wavefront6targetE1EEEvSE_.num_vgpr, 0
	.set _ZN7rocprim17ROCPRIM_400000_NS6detail17trampoline_kernelINS0_14default_configENS1_35radix_sort_onesweep_config_selectorIalEEZNS1_34radix_sort_onesweep_global_offsetsIS3_Lb0EPaN6thrust23THRUST_200600_302600_NS10device_ptrIlEEjNS0_19identity_decomposerEEE10hipError_tT1_T2_PT3_SG_jT4_jjP12ihipStream_tbEUlT_E_NS1_11comp_targetILNS1_3genE3ELNS1_11target_archE908ELNS1_3gpuE7ELNS1_3repE0EEENS1_52radix_sort_onesweep_histogram_config_static_selectorELNS0_4arch9wavefront6targetE1EEEvSE_.num_agpr, 0
	.set _ZN7rocprim17ROCPRIM_400000_NS6detail17trampoline_kernelINS0_14default_configENS1_35radix_sort_onesweep_config_selectorIalEEZNS1_34radix_sort_onesweep_global_offsetsIS3_Lb0EPaN6thrust23THRUST_200600_302600_NS10device_ptrIlEEjNS0_19identity_decomposerEEE10hipError_tT1_T2_PT3_SG_jT4_jjP12ihipStream_tbEUlT_E_NS1_11comp_targetILNS1_3genE3ELNS1_11target_archE908ELNS1_3gpuE7ELNS1_3repE0EEENS1_52radix_sort_onesweep_histogram_config_static_selectorELNS0_4arch9wavefront6targetE1EEEvSE_.numbered_sgpr, 0
	.set _ZN7rocprim17ROCPRIM_400000_NS6detail17trampoline_kernelINS0_14default_configENS1_35radix_sort_onesweep_config_selectorIalEEZNS1_34radix_sort_onesweep_global_offsetsIS3_Lb0EPaN6thrust23THRUST_200600_302600_NS10device_ptrIlEEjNS0_19identity_decomposerEEE10hipError_tT1_T2_PT3_SG_jT4_jjP12ihipStream_tbEUlT_E_NS1_11comp_targetILNS1_3genE3ELNS1_11target_archE908ELNS1_3gpuE7ELNS1_3repE0EEENS1_52radix_sort_onesweep_histogram_config_static_selectorELNS0_4arch9wavefront6targetE1EEEvSE_.num_named_barrier, 0
	.set _ZN7rocprim17ROCPRIM_400000_NS6detail17trampoline_kernelINS0_14default_configENS1_35radix_sort_onesweep_config_selectorIalEEZNS1_34radix_sort_onesweep_global_offsetsIS3_Lb0EPaN6thrust23THRUST_200600_302600_NS10device_ptrIlEEjNS0_19identity_decomposerEEE10hipError_tT1_T2_PT3_SG_jT4_jjP12ihipStream_tbEUlT_E_NS1_11comp_targetILNS1_3genE3ELNS1_11target_archE908ELNS1_3gpuE7ELNS1_3repE0EEENS1_52radix_sort_onesweep_histogram_config_static_selectorELNS0_4arch9wavefront6targetE1EEEvSE_.private_seg_size, 0
	.set _ZN7rocprim17ROCPRIM_400000_NS6detail17trampoline_kernelINS0_14default_configENS1_35radix_sort_onesweep_config_selectorIalEEZNS1_34radix_sort_onesweep_global_offsetsIS3_Lb0EPaN6thrust23THRUST_200600_302600_NS10device_ptrIlEEjNS0_19identity_decomposerEEE10hipError_tT1_T2_PT3_SG_jT4_jjP12ihipStream_tbEUlT_E_NS1_11comp_targetILNS1_3genE3ELNS1_11target_archE908ELNS1_3gpuE7ELNS1_3repE0EEENS1_52radix_sort_onesweep_histogram_config_static_selectorELNS0_4arch9wavefront6targetE1EEEvSE_.uses_vcc, 0
	.set _ZN7rocprim17ROCPRIM_400000_NS6detail17trampoline_kernelINS0_14default_configENS1_35radix_sort_onesweep_config_selectorIalEEZNS1_34radix_sort_onesweep_global_offsetsIS3_Lb0EPaN6thrust23THRUST_200600_302600_NS10device_ptrIlEEjNS0_19identity_decomposerEEE10hipError_tT1_T2_PT3_SG_jT4_jjP12ihipStream_tbEUlT_E_NS1_11comp_targetILNS1_3genE3ELNS1_11target_archE908ELNS1_3gpuE7ELNS1_3repE0EEENS1_52radix_sort_onesweep_histogram_config_static_selectorELNS0_4arch9wavefront6targetE1EEEvSE_.uses_flat_scratch, 0
	.set _ZN7rocprim17ROCPRIM_400000_NS6detail17trampoline_kernelINS0_14default_configENS1_35radix_sort_onesweep_config_selectorIalEEZNS1_34radix_sort_onesweep_global_offsetsIS3_Lb0EPaN6thrust23THRUST_200600_302600_NS10device_ptrIlEEjNS0_19identity_decomposerEEE10hipError_tT1_T2_PT3_SG_jT4_jjP12ihipStream_tbEUlT_E_NS1_11comp_targetILNS1_3genE3ELNS1_11target_archE908ELNS1_3gpuE7ELNS1_3repE0EEENS1_52radix_sort_onesweep_histogram_config_static_selectorELNS0_4arch9wavefront6targetE1EEEvSE_.has_dyn_sized_stack, 0
	.set _ZN7rocprim17ROCPRIM_400000_NS6detail17trampoline_kernelINS0_14default_configENS1_35radix_sort_onesweep_config_selectorIalEEZNS1_34radix_sort_onesweep_global_offsetsIS3_Lb0EPaN6thrust23THRUST_200600_302600_NS10device_ptrIlEEjNS0_19identity_decomposerEEE10hipError_tT1_T2_PT3_SG_jT4_jjP12ihipStream_tbEUlT_E_NS1_11comp_targetILNS1_3genE3ELNS1_11target_archE908ELNS1_3gpuE7ELNS1_3repE0EEENS1_52radix_sort_onesweep_histogram_config_static_selectorELNS0_4arch9wavefront6targetE1EEEvSE_.has_recursion, 0
	.set _ZN7rocprim17ROCPRIM_400000_NS6detail17trampoline_kernelINS0_14default_configENS1_35radix_sort_onesweep_config_selectorIalEEZNS1_34radix_sort_onesweep_global_offsetsIS3_Lb0EPaN6thrust23THRUST_200600_302600_NS10device_ptrIlEEjNS0_19identity_decomposerEEE10hipError_tT1_T2_PT3_SG_jT4_jjP12ihipStream_tbEUlT_E_NS1_11comp_targetILNS1_3genE3ELNS1_11target_archE908ELNS1_3gpuE7ELNS1_3repE0EEENS1_52radix_sort_onesweep_histogram_config_static_selectorELNS0_4arch9wavefront6targetE1EEEvSE_.has_indirect_call, 0
	.section	.AMDGPU.csdata,"",@progbits
; Kernel info:
; codeLenInByte = 0
; TotalNumSgprs: 4
; NumVgprs: 0
; ScratchSize: 0
; MemoryBound: 0
; FloatMode: 240
; IeeeMode: 1
; LDSByteSize: 0 bytes/workgroup (compile time only)
; SGPRBlocks: 0
; VGPRBlocks: 0
; NumSGPRsForWavesPerEU: 4
; NumVGPRsForWavesPerEU: 1
; Occupancy: 10
; WaveLimiterHint : 0
; COMPUTE_PGM_RSRC2:SCRATCH_EN: 0
; COMPUTE_PGM_RSRC2:USER_SGPR: 6
; COMPUTE_PGM_RSRC2:TRAP_HANDLER: 0
; COMPUTE_PGM_RSRC2:TGID_X_EN: 1
; COMPUTE_PGM_RSRC2:TGID_Y_EN: 0
; COMPUTE_PGM_RSRC2:TGID_Z_EN: 0
; COMPUTE_PGM_RSRC2:TIDIG_COMP_CNT: 0
	.section	.text._ZN7rocprim17ROCPRIM_400000_NS6detail17trampoline_kernelINS0_14default_configENS1_35radix_sort_onesweep_config_selectorIalEEZNS1_34radix_sort_onesweep_global_offsetsIS3_Lb0EPaN6thrust23THRUST_200600_302600_NS10device_ptrIlEEjNS0_19identity_decomposerEEE10hipError_tT1_T2_PT3_SG_jT4_jjP12ihipStream_tbEUlT_E_NS1_11comp_targetILNS1_3genE10ELNS1_11target_archE1201ELNS1_3gpuE5ELNS1_3repE0EEENS1_52radix_sort_onesweep_histogram_config_static_selectorELNS0_4arch9wavefront6targetE1EEEvSE_,"axG",@progbits,_ZN7rocprim17ROCPRIM_400000_NS6detail17trampoline_kernelINS0_14default_configENS1_35radix_sort_onesweep_config_selectorIalEEZNS1_34radix_sort_onesweep_global_offsetsIS3_Lb0EPaN6thrust23THRUST_200600_302600_NS10device_ptrIlEEjNS0_19identity_decomposerEEE10hipError_tT1_T2_PT3_SG_jT4_jjP12ihipStream_tbEUlT_E_NS1_11comp_targetILNS1_3genE10ELNS1_11target_archE1201ELNS1_3gpuE5ELNS1_3repE0EEENS1_52radix_sort_onesweep_histogram_config_static_selectorELNS0_4arch9wavefront6targetE1EEEvSE_,comdat
	.protected	_ZN7rocprim17ROCPRIM_400000_NS6detail17trampoline_kernelINS0_14default_configENS1_35radix_sort_onesweep_config_selectorIalEEZNS1_34radix_sort_onesweep_global_offsetsIS3_Lb0EPaN6thrust23THRUST_200600_302600_NS10device_ptrIlEEjNS0_19identity_decomposerEEE10hipError_tT1_T2_PT3_SG_jT4_jjP12ihipStream_tbEUlT_E_NS1_11comp_targetILNS1_3genE10ELNS1_11target_archE1201ELNS1_3gpuE5ELNS1_3repE0EEENS1_52radix_sort_onesweep_histogram_config_static_selectorELNS0_4arch9wavefront6targetE1EEEvSE_ ; -- Begin function _ZN7rocprim17ROCPRIM_400000_NS6detail17trampoline_kernelINS0_14default_configENS1_35radix_sort_onesweep_config_selectorIalEEZNS1_34radix_sort_onesweep_global_offsetsIS3_Lb0EPaN6thrust23THRUST_200600_302600_NS10device_ptrIlEEjNS0_19identity_decomposerEEE10hipError_tT1_T2_PT3_SG_jT4_jjP12ihipStream_tbEUlT_E_NS1_11comp_targetILNS1_3genE10ELNS1_11target_archE1201ELNS1_3gpuE5ELNS1_3repE0EEENS1_52radix_sort_onesweep_histogram_config_static_selectorELNS0_4arch9wavefront6targetE1EEEvSE_
	.globl	_ZN7rocprim17ROCPRIM_400000_NS6detail17trampoline_kernelINS0_14default_configENS1_35radix_sort_onesweep_config_selectorIalEEZNS1_34radix_sort_onesweep_global_offsetsIS3_Lb0EPaN6thrust23THRUST_200600_302600_NS10device_ptrIlEEjNS0_19identity_decomposerEEE10hipError_tT1_T2_PT3_SG_jT4_jjP12ihipStream_tbEUlT_E_NS1_11comp_targetILNS1_3genE10ELNS1_11target_archE1201ELNS1_3gpuE5ELNS1_3repE0EEENS1_52radix_sort_onesweep_histogram_config_static_selectorELNS0_4arch9wavefront6targetE1EEEvSE_
	.p2align	8
	.type	_ZN7rocprim17ROCPRIM_400000_NS6detail17trampoline_kernelINS0_14default_configENS1_35radix_sort_onesweep_config_selectorIalEEZNS1_34radix_sort_onesweep_global_offsetsIS3_Lb0EPaN6thrust23THRUST_200600_302600_NS10device_ptrIlEEjNS0_19identity_decomposerEEE10hipError_tT1_T2_PT3_SG_jT4_jjP12ihipStream_tbEUlT_E_NS1_11comp_targetILNS1_3genE10ELNS1_11target_archE1201ELNS1_3gpuE5ELNS1_3repE0EEENS1_52radix_sort_onesweep_histogram_config_static_selectorELNS0_4arch9wavefront6targetE1EEEvSE_,@function
_ZN7rocprim17ROCPRIM_400000_NS6detail17trampoline_kernelINS0_14default_configENS1_35radix_sort_onesweep_config_selectorIalEEZNS1_34radix_sort_onesweep_global_offsetsIS3_Lb0EPaN6thrust23THRUST_200600_302600_NS10device_ptrIlEEjNS0_19identity_decomposerEEE10hipError_tT1_T2_PT3_SG_jT4_jjP12ihipStream_tbEUlT_E_NS1_11comp_targetILNS1_3genE10ELNS1_11target_archE1201ELNS1_3gpuE5ELNS1_3repE0EEENS1_52radix_sort_onesweep_histogram_config_static_selectorELNS0_4arch9wavefront6targetE1EEEvSE_: ; @_ZN7rocprim17ROCPRIM_400000_NS6detail17trampoline_kernelINS0_14default_configENS1_35radix_sort_onesweep_config_selectorIalEEZNS1_34radix_sort_onesweep_global_offsetsIS3_Lb0EPaN6thrust23THRUST_200600_302600_NS10device_ptrIlEEjNS0_19identity_decomposerEEE10hipError_tT1_T2_PT3_SG_jT4_jjP12ihipStream_tbEUlT_E_NS1_11comp_targetILNS1_3genE10ELNS1_11target_archE1201ELNS1_3gpuE5ELNS1_3repE0EEENS1_52radix_sort_onesweep_histogram_config_static_selectorELNS0_4arch9wavefront6targetE1EEEvSE_
; %bb.0:
	.section	.rodata,"a",@progbits
	.p2align	6, 0x0
	.amdhsa_kernel _ZN7rocprim17ROCPRIM_400000_NS6detail17trampoline_kernelINS0_14default_configENS1_35radix_sort_onesweep_config_selectorIalEEZNS1_34radix_sort_onesweep_global_offsetsIS3_Lb0EPaN6thrust23THRUST_200600_302600_NS10device_ptrIlEEjNS0_19identity_decomposerEEE10hipError_tT1_T2_PT3_SG_jT4_jjP12ihipStream_tbEUlT_E_NS1_11comp_targetILNS1_3genE10ELNS1_11target_archE1201ELNS1_3gpuE5ELNS1_3repE0EEENS1_52radix_sort_onesweep_histogram_config_static_selectorELNS0_4arch9wavefront6targetE1EEEvSE_
		.amdhsa_group_segment_fixed_size 0
		.amdhsa_private_segment_fixed_size 0
		.amdhsa_kernarg_size 40
		.amdhsa_user_sgpr_count 6
		.amdhsa_user_sgpr_private_segment_buffer 1
		.amdhsa_user_sgpr_dispatch_ptr 0
		.amdhsa_user_sgpr_queue_ptr 0
		.amdhsa_user_sgpr_kernarg_segment_ptr 1
		.amdhsa_user_sgpr_dispatch_id 0
		.amdhsa_user_sgpr_flat_scratch_init 0
		.amdhsa_user_sgpr_private_segment_size 0
		.amdhsa_uses_dynamic_stack 0
		.amdhsa_system_sgpr_private_segment_wavefront_offset 0
		.amdhsa_system_sgpr_workgroup_id_x 1
		.amdhsa_system_sgpr_workgroup_id_y 0
		.amdhsa_system_sgpr_workgroup_id_z 0
		.amdhsa_system_sgpr_workgroup_info 0
		.amdhsa_system_vgpr_workitem_id 0
		.amdhsa_next_free_vgpr 1
		.amdhsa_next_free_sgpr 0
		.amdhsa_reserve_vcc 0
		.amdhsa_reserve_flat_scratch 0
		.amdhsa_float_round_mode_32 0
		.amdhsa_float_round_mode_16_64 0
		.amdhsa_float_denorm_mode_32 3
		.amdhsa_float_denorm_mode_16_64 3
		.amdhsa_dx10_clamp 1
		.amdhsa_ieee_mode 1
		.amdhsa_fp16_overflow 0
		.amdhsa_exception_fp_ieee_invalid_op 0
		.amdhsa_exception_fp_denorm_src 0
		.amdhsa_exception_fp_ieee_div_zero 0
		.amdhsa_exception_fp_ieee_overflow 0
		.amdhsa_exception_fp_ieee_underflow 0
		.amdhsa_exception_fp_ieee_inexact 0
		.amdhsa_exception_int_div_zero 0
	.end_amdhsa_kernel
	.section	.text._ZN7rocprim17ROCPRIM_400000_NS6detail17trampoline_kernelINS0_14default_configENS1_35radix_sort_onesweep_config_selectorIalEEZNS1_34radix_sort_onesweep_global_offsetsIS3_Lb0EPaN6thrust23THRUST_200600_302600_NS10device_ptrIlEEjNS0_19identity_decomposerEEE10hipError_tT1_T2_PT3_SG_jT4_jjP12ihipStream_tbEUlT_E_NS1_11comp_targetILNS1_3genE10ELNS1_11target_archE1201ELNS1_3gpuE5ELNS1_3repE0EEENS1_52radix_sort_onesweep_histogram_config_static_selectorELNS0_4arch9wavefront6targetE1EEEvSE_,"axG",@progbits,_ZN7rocprim17ROCPRIM_400000_NS6detail17trampoline_kernelINS0_14default_configENS1_35radix_sort_onesweep_config_selectorIalEEZNS1_34radix_sort_onesweep_global_offsetsIS3_Lb0EPaN6thrust23THRUST_200600_302600_NS10device_ptrIlEEjNS0_19identity_decomposerEEE10hipError_tT1_T2_PT3_SG_jT4_jjP12ihipStream_tbEUlT_E_NS1_11comp_targetILNS1_3genE10ELNS1_11target_archE1201ELNS1_3gpuE5ELNS1_3repE0EEENS1_52radix_sort_onesweep_histogram_config_static_selectorELNS0_4arch9wavefront6targetE1EEEvSE_,comdat
.Lfunc_end588:
	.size	_ZN7rocprim17ROCPRIM_400000_NS6detail17trampoline_kernelINS0_14default_configENS1_35radix_sort_onesweep_config_selectorIalEEZNS1_34radix_sort_onesweep_global_offsetsIS3_Lb0EPaN6thrust23THRUST_200600_302600_NS10device_ptrIlEEjNS0_19identity_decomposerEEE10hipError_tT1_T2_PT3_SG_jT4_jjP12ihipStream_tbEUlT_E_NS1_11comp_targetILNS1_3genE10ELNS1_11target_archE1201ELNS1_3gpuE5ELNS1_3repE0EEENS1_52radix_sort_onesweep_histogram_config_static_selectorELNS0_4arch9wavefront6targetE1EEEvSE_, .Lfunc_end588-_ZN7rocprim17ROCPRIM_400000_NS6detail17trampoline_kernelINS0_14default_configENS1_35radix_sort_onesweep_config_selectorIalEEZNS1_34radix_sort_onesweep_global_offsetsIS3_Lb0EPaN6thrust23THRUST_200600_302600_NS10device_ptrIlEEjNS0_19identity_decomposerEEE10hipError_tT1_T2_PT3_SG_jT4_jjP12ihipStream_tbEUlT_E_NS1_11comp_targetILNS1_3genE10ELNS1_11target_archE1201ELNS1_3gpuE5ELNS1_3repE0EEENS1_52radix_sort_onesweep_histogram_config_static_selectorELNS0_4arch9wavefront6targetE1EEEvSE_
                                        ; -- End function
	.set _ZN7rocprim17ROCPRIM_400000_NS6detail17trampoline_kernelINS0_14default_configENS1_35radix_sort_onesweep_config_selectorIalEEZNS1_34radix_sort_onesweep_global_offsetsIS3_Lb0EPaN6thrust23THRUST_200600_302600_NS10device_ptrIlEEjNS0_19identity_decomposerEEE10hipError_tT1_T2_PT3_SG_jT4_jjP12ihipStream_tbEUlT_E_NS1_11comp_targetILNS1_3genE10ELNS1_11target_archE1201ELNS1_3gpuE5ELNS1_3repE0EEENS1_52radix_sort_onesweep_histogram_config_static_selectorELNS0_4arch9wavefront6targetE1EEEvSE_.num_vgpr, 0
	.set _ZN7rocprim17ROCPRIM_400000_NS6detail17trampoline_kernelINS0_14default_configENS1_35radix_sort_onesweep_config_selectorIalEEZNS1_34radix_sort_onesweep_global_offsetsIS3_Lb0EPaN6thrust23THRUST_200600_302600_NS10device_ptrIlEEjNS0_19identity_decomposerEEE10hipError_tT1_T2_PT3_SG_jT4_jjP12ihipStream_tbEUlT_E_NS1_11comp_targetILNS1_3genE10ELNS1_11target_archE1201ELNS1_3gpuE5ELNS1_3repE0EEENS1_52radix_sort_onesweep_histogram_config_static_selectorELNS0_4arch9wavefront6targetE1EEEvSE_.num_agpr, 0
	.set _ZN7rocprim17ROCPRIM_400000_NS6detail17trampoline_kernelINS0_14default_configENS1_35radix_sort_onesweep_config_selectorIalEEZNS1_34radix_sort_onesweep_global_offsetsIS3_Lb0EPaN6thrust23THRUST_200600_302600_NS10device_ptrIlEEjNS0_19identity_decomposerEEE10hipError_tT1_T2_PT3_SG_jT4_jjP12ihipStream_tbEUlT_E_NS1_11comp_targetILNS1_3genE10ELNS1_11target_archE1201ELNS1_3gpuE5ELNS1_3repE0EEENS1_52radix_sort_onesweep_histogram_config_static_selectorELNS0_4arch9wavefront6targetE1EEEvSE_.numbered_sgpr, 0
	.set _ZN7rocprim17ROCPRIM_400000_NS6detail17trampoline_kernelINS0_14default_configENS1_35radix_sort_onesweep_config_selectorIalEEZNS1_34radix_sort_onesweep_global_offsetsIS3_Lb0EPaN6thrust23THRUST_200600_302600_NS10device_ptrIlEEjNS0_19identity_decomposerEEE10hipError_tT1_T2_PT3_SG_jT4_jjP12ihipStream_tbEUlT_E_NS1_11comp_targetILNS1_3genE10ELNS1_11target_archE1201ELNS1_3gpuE5ELNS1_3repE0EEENS1_52radix_sort_onesweep_histogram_config_static_selectorELNS0_4arch9wavefront6targetE1EEEvSE_.num_named_barrier, 0
	.set _ZN7rocprim17ROCPRIM_400000_NS6detail17trampoline_kernelINS0_14default_configENS1_35radix_sort_onesweep_config_selectorIalEEZNS1_34radix_sort_onesweep_global_offsetsIS3_Lb0EPaN6thrust23THRUST_200600_302600_NS10device_ptrIlEEjNS0_19identity_decomposerEEE10hipError_tT1_T2_PT3_SG_jT4_jjP12ihipStream_tbEUlT_E_NS1_11comp_targetILNS1_3genE10ELNS1_11target_archE1201ELNS1_3gpuE5ELNS1_3repE0EEENS1_52radix_sort_onesweep_histogram_config_static_selectorELNS0_4arch9wavefront6targetE1EEEvSE_.private_seg_size, 0
	.set _ZN7rocprim17ROCPRIM_400000_NS6detail17trampoline_kernelINS0_14default_configENS1_35radix_sort_onesweep_config_selectorIalEEZNS1_34radix_sort_onesweep_global_offsetsIS3_Lb0EPaN6thrust23THRUST_200600_302600_NS10device_ptrIlEEjNS0_19identity_decomposerEEE10hipError_tT1_T2_PT3_SG_jT4_jjP12ihipStream_tbEUlT_E_NS1_11comp_targetILNS1_3genE10ELNS1_11target_archE1201ELNS1_3gpuE5ELNS1_3repE0EEENS1_52radix_sort_onesweep_histogram_config_static_selectorELNS0_4arch9wavefront6targetE1EEEvSE_.uses_vcc, 0
	.set _ZN7rocprim17ROCPRIM_400000_NS6detail17trampoline_kernelINS0_14default_configENS1_35radix_sort_onesweep_config_selectorIalEEZNS1_34radix_sort_onesweep_global_offsetsIS3_Lb0EPaN6thrust23THRUST_200600_302600_NS10device_ptrIlEEjNS0_19identity_decomposerEEE10hipError_tT1_T2_PT3_SG_jT4_jjP12ihipStream_tbEUlT_E_NS1_11comp_targetILNS1_3genE10ELNS1_11target_archE1201ELNS1_3gpuE5ELNS1_3repE0EEENS1_52radix_sort_onesweep_histogram_config_static_selectorELNS0_4arch9wavefront6targetE1EEEvSE_.uses_flat_scratch, 0
	.set _ZN7rocprim17ROCPRIM_400000_NS6detail17trampoline_kernelINS0_14default_configENS1_35radix_sort_onesweep_config_selectorIalEEZNS1_34radix_sort_onesweep_global_offsetsIS3_Lb0EPaN6thrust23THRUST_200600_302600_NS10device_ptrIlEEjNS0_19identity_decomposerEEE10hipError_tT1_T2_PT3_SG_jT4_jjP12ihipStream_tbEUlT_E_NS1_11comp_targetILNS1_3genE10ELNS1_11target_archE1201ELNS1_3gpuE5ELNS1_3repE0EEENS1_52radix_sort_onesweep_histogram_config_static_selectorELNS0_4arch9wavefront6targetE1EEEvSE_.has_dyn_sized_stack, 0
	.set _ZN7rocprim17ROCPRIM_400000_NS6detail17trampoline_kernelINS0_14default_configENS1_35radix_sort_onesweep_config_selectorIalEEZNS1_34radix_sort_onesweep_global_offsetsIS3_Lb0EPaN6thrust23THRUST_200600_302600_NS10device_ptrIlEEjNS0_19identity_decomposerEEE10hipError_tT1_T2_PT3_SG_jT4_jjP12ihipStream_tbEUlT_E_NS1_11comp_targetILNS1_3genE10ELNS1_11target_archE1201ELNS1_3gpuE5ELNS1_3repE0EEENS1_52radix_sort_onesweep_histogram_config_static_selectorELNS0_4arch9wavefront6targetE1EEEvSE_.has_recursion, 0
	.set _ZN7rocprim17ROCPRIM_400000_NS6detail17trampoline_kernelINS0_14default_configENS1_35radix_sort_onesweep_config_selectorIalEEZNS1_34radix_sort_onesweep_global_offsetsIS3_Lb0EPaN6thrust23THRUST_200600_302600_NS10device_ptrIlEEjNS0_19identity_decomposerEEE10hipError_tT1_T2_PT3_SG_jT4_jjP12ihipStream_tbEUlT_E_NS1_11comp_targetILNS1_3genE10ELNS1_11target_archE1201ELNS1_3gpuE5ELNS1_3repE0EEENS1_52radix_sort_onesweep_histogram_config_static_selectorELNS0_4arch9wavefront6targetE1EEEvSE_.has_indirect_call, 0
	.section	.AMDGPU.csdata,"",@progbits
; Kernel info:
; codeLenInByte = 0
; TotalNumSgprs: 4
; NumVgprs: 0
; ScratchSize: 0
; MemoryBound: 0
; FloatMode: 240
; IeeeMode: 1
; LDSByteSize: 0 bytes/workgroup (compile time only)
; SGPRBlocks: 0
; VGPRBlocks: 0
; NumSGPRsForWavesPerEU: 4
; NumVGPRsForWavesPerEU: 1
; Occupancy: 10
; WaveLimiterHint : 0
; COMPUTE_PGM_RSRC2:SCRATCH_EN: 0
; COMPUTE_PGM_RSRC2:USER_SGPR: 6
; COMPUTE_PGM_RSRC2:TRAP_HANDLER: 0
; COMPUTE_PGM_RSRC2:TGID_X_EN: 1
; COMPUTE_PGM_RSRC2:TGID_Y_EN: 0
; COMPUTE_PGM_RSRC2:TGID_Z_EN: 0
; COMPUTE_PGM_RSRC2:TIDIG_COMP_CNT: 0
	.section	.text._ZN7rocprim17ROCPRIM_400000_NS6detail17trampoline_kernelINS0_14default_configENS1_35radix_sort_onesweep_config_selectorIalEEZNS1_34radix_sort_onesweep_global_offsetsIS3_Lb0EPaN6thrust23THRUST_200600_302600_NS10device_ptrIlEEjNS0_19identity_decomposerEEE10hipError_tT1_T2_PT3_SG_jT4_jjP12ihipStream_tbEUlT_E_NS1_11comp_targetILNS1_3genE9ELNS1_11target_archE1100ELNS1_3gpuE3ELNS1_3repE0EEENS1_52radix_sort_onesweep_histogram_config_static_selectorELNS0_4arch9wavefront6targetE1EEEvSE_,"axG",@progbits,_ZN7rocprim17ROCPRIM_400000_NS6detail17trampoline_kernelINS0_14default_configENS1_35radix_sort_onesweep_config_selectorIalEEZNS1_34radix_sort_onesweep_global_offsetsIS3_Lb0EPaN6thrust23THRUST_200600_302600_NS10device_ptrIlEEjNS0_19identity_decomposerEEE10hipError_tT1_T2_PT3_SG_jT4_jjP12ihipStream_tbEUlT_E_NS1_11comp_targetILNS1_3genE9ELNS1_11target_archE1100ELNS1_3gpuE3ELNS1_3repE0EEENS1_52radix_sort_onesweep_histogram_config_static_selectorELNS0_4arch9wavefront6targetE1EEEvSE_,comdat
	.protected	_ZN7rocprim17ROCPRIM_400000_NS6detail17trampoline_kernelINS0_14default_configENS1_35radix_sort_onesweep_config_selectorIalEEZNS1_34radix_sort_onesweep_global_offsetsIS3_Lb0EPaN6thrust23THRUST_200600_302600_NS10device_ptrIlEEjNS0_19identity_decomposerEEE10hipError_tT1_T2_PT3_SG_jT4_jjP12ihipStream_tbEUlT_E_NS1_11comp_targetILNS1_3genE9ELNS1_11target_archE1100ELNS1_3gpuE3ELNS1_3repE0EEENS1_52radix_sort_onesweep_histogram_config_static_selectorELNS0_4arch9wavefront6targetE1EEEvSE_ ; -- Begin function _ZN7rocprim17ROCPRIM_400000_NS6detail17trampoline_kernelINS0_14default_configENS1_35radix_sort_onesweep_config_selectorIalEEZNS1_34radix_sort_onesweep_global_offsetsIS3_Lb0EPaN6thrust23THRUST_200600_302600_NS10device_ptrIlEEjNS0_19identity_decomposerEEE10hipError_tT1_T2_PT3_SG_jT4_jjP12ihipStream_tbEUlT_E_NS1_11comp_targetILNS1_3genE9ELNS1_11target_archE1100ELNS1_3gpuE3ELNS1_3repE0EEENS1_52radix_sort_onesweep_histogram_config_static_selectorELNS0_4arch9wavefront6targetE1EEEvSE_
	.globl	_ZN7rocprim17ROCPRIM_400000_NS6detail17trampoline_kernelINS0_14default_configENS1_35radix_sort_onesweep_config_selectorIalEEZNS1_34radix_sort_onesweep_global_offsetsIS3_Lb0EPaN6thrust23THRUST_200600_302600_NS10device_ptrIlEEjNS0_19identity_decomposerEEE10hipError_tT1_T2_PT3_SG_jT4_jjP12ihipStream_tbEUlT_E_NS1_11comp_targetILNS1_3genE9ELNS1_11target_archE1100ELNS1_3gpuE3ELNS1_3repE0EEENS1_52radix_sort_onesweep_histogram_config_static_selectorELNS0_4arch9wavefront6targetE1EEEvSE_
	.p2align	8
	.type	_ZN7rocprim17ROCPRIM_400000_NS6detail17trampoline_kernelINS0_14default_configENS1_35radix_sort_onesweep_config_selectorIalEEZNS1_34radix_sort_onesweep_global_offsetsIS3_Lb0EPaN6thrust23THRUST_200600_302600_NS10device_ptrIlEEjNS0_19identity_decomposerEEE10hipError_tT1_T2_PT3_SG_jT4_jjP12ihipStream_tbEUlT_E_NS1_11comp_targetILNS1_3genE9ELNS1_11target_archE1100ELNS1_3gpuE3ELNS1_3repE0EEENS1_52radix_sort_onesweep_histogram_config_static_selectorELNS0_4arch9wavefront6targetE1EEEvSE_,@function
_ZN7rocprim17ROCPRIM_400000_NS6detail17trampoline_kernelINS0_14default_configENS1_35radix_sort_onesweep_config_selectorIalEEZNS1_34radix_sort_onesweep_global_offsetsIS3_Lb0EPaN6thrust23THRUST_200600_302600_NS10device_ptrIlEEjNS0_19identity_decomposerEEE10hipError_tT1_T2_PT3_SG_jT4_jjP12ihipStream_tbEUlT_E_NS1_11comp_targetILNS1_3genE9ELNS1_11target_archE1100ELNS1_3gpuE3ELNS1_3repE0EEENS1_52radix_sort_onesweep_histogram_config_static_selectorELNS0_4arch9wavefront6targetE1EEEvSE_: ; @_ZN7rocprim17ROCPRIM_400000_NS6detail17trampoline_kernelINS0_14default_configENS1_35radix_sort_onesweep_config_selectorIalEEZNS1_34radix_sort_onesweep_global_offsetsIS3_Lb0EPaN6thrust23THRUST_200600_302600_NS10device_ptrIlEEjNS0_19identity_decomposerEEE10hipError_tT1_T2_PT3_SG_jT4_jjP12ihipStream_tbEUlT_E_NS1_11comp_targetILNS1_3genE9ELNS1_11target_archE1100ELNS1_3gpuE3ELNS1_3repE0EEENS1_52radix_sort_onesweep_histogram_config_static_selectorELNS0_4arch9wavefront6targetE1EEEvSE_
; %bb.0:
	.section	.rodata,"a",@progbits
	.p2align	6, 0x0
	.amdhsa_kernel _ZN7rocprim17ROCPRIM_400000_NS6detail17trampoline_kernelINS0_14default_configENS1_35radix_sort_onesweep_config_selectorIalEEZNS1_34radix_sort_onesweep_global_offsetsIS3_Lb0EPaN6thrust23THRUST_200600_302600_NS10device_ptrIlEEjNS0_19identity_decomposerEEE10hipError_tT1_T2_PT3_SG_jT4_jjP12ihipStream_tbEUlT_E_NS1_11comp_targetILNS1_3genE9ELNS1_11target_archE1100ELNS1_3gpuE3ELNS1_3repE0EEENS1_52radix_sort_onesweep_histogram_config_static_selectorELNS0_4arch9wavefront6targetE1EEEvSE_
		.amdhsa_group_segment_fixed_size 0
		.amdhsa_private_segment_fixed_size 0
		.amdhsa_kernarg_size 40
		.amdhsa_user_sgpr_count 6
		.amdhsa_user_sgpr_private_segment_buffer 1
		.amdhsa_user_sgpr_dispatch_ptr 0
		.amdhsa_user_sgpr_queue_ptr 0
		.amdhsa_user_sgpr_kernarg_segment_ptr 1
		.amdhsa_user_sgpr_dispatch_id 0
		.amdhsa_user_sgpr_flat_scratch_init 0
		.amdhsa_user_sgpr_private_segment_size 0
		.amdhsa_uses_dynamic_stack 0
		.amdhsa_system_sgpr_private_segment_wavefront_offset 0
		.amdhsa_system_sgpr_workgroup_id_x 1
		.amdhsa_system_sgpr_workgroup_id_y 0
		.amdhsa_system_sgpr_workgroup_id_z 0
		.amdhsa_system_sgpr_workgroup_info 0
		.amdhsa_system_vgpr_workitem_id 0
		.amdhsa_next_free_vgpr 1
		.amdhsa_next_free_sgpr 0
		.amdhsa_reserve_vcc 0
		.amdhsa_reserve_flat_scratch 0
		.amdhsa_float_round_mode_32 0
		.amdhsa_float_round_mode_16_64 0
		.amdhsa_float_denorm_mode_32 3
		.amdhsa_float_denorm_mode_16_64 3
		.amdhsa_dx10_clamp 1
		.amdhsa_ieee_mode 1
		.amdhsa_fp16_overflow 0
		.amdhsa_exception_fp_ieee_invalid_op 0
		.amdhsa_exception_fp_denorm_src 0
		.amdhsa_exception_fp_ieee_div_zero 0
		.amdhsa_exception_fp_ieee_overflow 0
		.amdhsa_exception_fp_ieee_underflow 0
		.amdhsa_exception_fp_ieee_inexact 0
		.amdhsa_exception_int_div_zero 0
	.end_amdhsa_kernel
	.section	.text._ZN7rocprim17ROCPRIM_400000_NS6detail17trampoline_kernelINS0_14default_configENS1_35radix_sort_onesweep_config_selectorIalEEZNS1_34radix_sort_onesweep_global_offsetsIS3_Lb0EPaN6thrust23THRUST_200600_302600_NS10device_ptrIlEEjNS0_19identity_decomposerEEE10hipError_tT1_T2_PT3_SG_jT4_jjP12ihipStream_tbEUlT_E_NS1_11comp_targetILNS1_3genE9ELNS1_11target_archE1100ELNS1_3gpuE3ELNS1_3repE0EEENS1_52radix_sort_onesweep_histogram_config_static_selectorELNS0_4arch9wavefront6targetE1EEEvSE_,"axG",@progbits,_ZN7rocprim17ROCPRIM_400000_NS6detail17trampoline_kernelINS0_14default_configENS1_35radix_sort_onesweep_config_selectorIalEEZNS1_34radix_sort_onesweep_global_offsetsIS3_Lb0EPaN6thrust23THRUST_200600_302600_NS10device_ptrIlEEjNS0_19identity_decomposerEEE10hipError_tT1_T2_PT3_SG_jT4_jjP12ihipStream_tbEUlT_E_NS1_11comp_targetILNS1_3genE9ELNS1_11target_archE1100ELNS1_3gpuE3ELNS1_3repE0EEENS1_52radix_sort_onesweep_histogram_config_static_selectorELNS0_4arch9wavefront6targetE1EEEvSE_,comdat
.Lfunc_end589:
	.size	_ZN7rocprim17ROCPRIM_400000_NS6detail17trampoline_kernelINS0_14default_configENS1_35radix_sort_onesweep_config_selectorIalEEZNS1_34radix_sort_onesweep_global_offsetsIS3_Lb0EPaN6thrust23THRUST_200600_302600_NS10device_ptrIlEEjNS0_19identity_decomposerEEE10hipError_tT1_T2_PT3_SG_jT4_jjP12ihipStream_tbEUlT_E_NS1_11comp_targetILNS1_3genE9ELNS1_11target_archE1100ELNS1_3gpuE3ELNS1_3repE0EEENS1_52radix_sort_onesweep_histogram_config_static_selectorELNS0_4arch9wavefront6targetE1EEEvSE_, .Lfunc_end589-_ZN7rocprim17ROCPRIM_400000_NS6detail17trampoline_kernelINS0_14default_configENS1_35radix_sort_onesweep_config_selectorIalEEZNS1_34radix_sort_onesweep_global_offsetsIS3_Lb0EPaN6thrust23THRUST_200600_302600_NS10device_ptrIlEEjNS0_19identity_decomposerEEE10hipError_tT1_T2_PT3_SG_jT4_jjP12ihipStream_tbEUlT_E_NS1_11comp_targetILNS1_3genE9ELNS1_11target_archE1100ELNS1_3gpuE3ELNS1_3repE0EEENS1_52radix_sort_onesweep_histogram_config_static_selectorELNS0_4arch9wavefront6targetE1EEEvSE_
                                        ; -- End function
	.set _ZN7rocprim17ROCPRIM_400000_NS6detail17trampoline_kernelINS0_14default_configENS1_35radix_sort_onesweep_config_selectorIalEEZNS1_34radix_sort_onesweep_global_offsetsIS3_Lb0EPaN6thrust23THRUST_200600_302600_NS10device_ptrIlEEjNS0_19identity_decomposerEEE10hipError_tT1_T2_PT3_SG_jT4_jjP12ihipStream_tbEUlT_E_NS1_11comp_targetILNS1_3genE9ELNS1_11target_archE1100ELNS1_3gpuE3ELNS1_3repE0EEENS1_52radix_sort_onesweep_histogram_config_static_selectorELNS0_4arch9wavefront6targetE1EEEvSE_.num_vgpr, 0
	.set _ZN7rocprim17ROCPRIM_400000_NS6detail17trampoline_kernelINS0_14default_configENS1_35radix_sort_onesweep_config_selectorIalEEZNS1_34radix_sort_onesweep_global_offsetsIS3_Lb0EPaN6thrust23THRUST_200600_302600_NS10device_ptrIlEEjNS0_19identity_decomposerEEE10hipError_tT1_T2_PT3_SG_jT4_jjP12ihipStream_tbEUlT_E_NS1_11comp_targetILNS1_3genE9ELNS1_11target_archE1100ELNS1_3gpuE3ELNS1_3repE0EEENS1_52radix_sort_onesweep_histogram_config_static_selectorELNS0_4arch9wavefront6targetE1EEEvSE_.num_agpr, 0
	.set _ZN7rocprim17ROCPRIM_400000_NS6detail17trampoline_kernelINS0_14default_configENS1_35radix_sort_onesweep_config_selectorIalEEZNS1_34radix_sort_onesweep_global_offsetsIS3_Lb0EPaN6thrust23THRUST_200600_302600_NS10device_ptrIlEEjNS0_19identity_decomposerEEE10hipError_tT1_T2_PT3_SG_jT4_jjP12ihipStream_tbEUlT_E_NS1_11comp_targetILNS1_3genE9ELNS1_11target_archE1100ELNS1_3gpuE3ELNS1_3repE0EEENS1_52radix_sort_onesweep_histogram_config_static_selectorELNS0_4arch9wavefront6targetE1EEEvSE_.numbered_sgpr, 0
	.set _ZN7rocprim17ROCPRIM_400000_NS6detail17trampoline_kernelINS0_14default_configENS1_35radix_sort_onesweep_config_selectorIalEEZNS1_34radix_sort_onesweep_global_offsetsIS3_Lb0EPaN6thrust23THRUST_200600_302600_NS10device_ptrIlEEjNS0_19identity_decomposerEEE10hipError_tT1_T2_PT3_SG_jT4_jjP12ihipStream_tbEUlT_E_NS1_11comp_targetILNS1_3genE9ELNS1_11target_archE1100ELNS1_3gpuE3ELNS1_3repE0EEENS1_52radix_sort_onesweep_histogram_config_static_selectorELNS0_4arch9wavefront6targetE1EEEvSE_.num_named_barrier, 0
	.set _ZN7rocprim17ROCPRIM_400000_NS6detail17trampoline_kernelINS0_14default_configENS1_35radix_sort_onesweep_config_selectorIalEEZNS1_34radix_sort_onesweep_global_offsetsIS3_Lb0EPaN6thrust23THRUST_200600_302600_NS10device_ptrIlEEjNS0_19identity_decomposerEEE10hipError_tT1_T2_PT3_SG_jT4_jjP12ihipStream_tbEUlT_E_NS1_11comp_targetILNS1_3genE9ELNS1_11target_archE1100ELNS1_3gpuE3ELNS1_3repE0EEENS1_52radix_sort_onesweep_histogram_config_static_selectorELNS0_4arch9wavefront6targetE1EEEvSE_.private_seg_size, 0
	.set _ZN7rocprim17ROCPRIM_400000_NS6detail17trampoline_kernelINS0_14default_configENS1_35radix_sort_onesweep_config_selectorIalEEZNS1_34radix_sort_onesweep_global_offsetsIS3_Lb0EPaN6thrust23THRUST_200600_302600_NS10device_ptrIlEEjNS0_19identity_decomposerEEE10hipError_tT1_T2_PT3_SG_jT4_jjP12ihipStream_tbEUlT_E_NS1_11comp_targetILNS1_3genE9ELNS1_11target_archE1100ELNS1_3gpuE3ELNS1_3repE0EEENS1_52radix_sort_onesweep_histogram_config_static_selectorELNS0_4arch9wavefront6targetE1EEEvSE_.uses_vcc, 0
	.set _ZN7rocprim17ROCPRIM_400000_NS6detail17trampoline_kernelINS0_14default_configENS1_35radix_sort_onesweep_config_selectorIalEEZNS1_34radix_sort_onesweep_global_offsetsIS3_Lb0EPaN6thrust23THRUST_200600_302600_NS10device_ptrIlEEjNS0_19identity_decomposerEEE10hipError_tT1_T2_PT3_SG_jT4_jjP12ihipStream_tbEUlT_E_NS1_11comp_targetILNS1_3genE9ELNS1_11target_archE1100ELNS1_3gpuE3ELNS1_3repE0EEENS1_52radix_sort_onesweep_histogram_config_static_selectorELNS0_4arch9wavefront6targetE1EEEvSE_.uses_flat_scratch, 0
	.set _ZN7rocprim17ROCPRIM_400000_NS6detail17trampoline_kernelINS0_14default_configENS1_35radix_sort_onesweep_config_selectorIalEEZNS1_34radix_sort_onesweep_global_offsetsIS3_Lb0EPaN6thrust23THRUST_200600_302600_NS10device_ptrIlEEjNS0_19identity_decomposerEEE10hipError_tT1_T2_PT3_SG_jT4_jjP12ihipStream_tbEUlT_E_NS1_11comp_targetILNS1_3genE9ELNS1_11target_archE1100ELNS1_3gpuE3ELNS1_3repE0EEENS1_52radix_sort_onesweep_histogram_config_static_selectorELNS0_4arch9wavefront6targetE1EEEvSE_.has_dyn_sized_stack, 0
	.set _ZN7rocprim17ROCPRIM_400000_NS6detail17trampoline_kernelINS0_14default_configENS1_35radix_sort_onesweep_config_selectorIalEEZNS1_34radix_sort_onesweep_global_offsetsIS3_Lb0EPaN6thrust23THRUST_200600_302600_NS10device_ptrIlEEjNS0_19identity_decomposerEEE10hipError_tT1_T2_PT3_SG_jT4_jjP12ihipStream_tbEUlT_E_NS1_11comp_targetILNS1_3genE9ELNS1_11target_archE1100ELNS1_3gpuE3ELNS1_3repE0EEENS1_52radix_sort_onesweep_histogram_config_static_selectorELNS0_4arch9wavefront6targetE1EEEvSE_.has_recursion, 0
	.set _ZN7rocprim17ROCPRIM_400000_NS6detail17trampoline_kernelINS0_14default_configENS1_35radix_sort_onesweep_config_selectorIalEEZNS1_34radix_sort_onesweep_global_offsetsIS3_Lb0EPaN6thrust23THRUST_200600_302600_NS10device_ptrIlEEjNS0_19identity_decomposerEEE10hipError_tT1_T2_PT3_SG_jT4_jjP12ihipStream_tbEUlT_E_NS1_11comp_targetILNS1_3genE9ELNS1_11target_archE1100ELNS1_3gpuE3ELNS1_3repE0EEENS1_52radix_sort_onesweep_histogram_config_static_selectorELNS0_4arch9wavefront6targetE1EEEvSE_.has_indirect_call, 0
	.section	.AMDGPU.csdata,"",@progbits
; Kernel info:
; codeLenInByte = 0
; TotalNumSgprs: 4
; NumVgprs: 0
; ScratchSize: 0
; MemoryBound: 0
; FloatMode: 240
; IeeeMode: 1
; LDSByteSize: 0 bytes/workgroup (compile time only)
; SGPRBlocks: 0
; VGPRBlocks: 0
; NumSGPRsForWavesPerEU: 4
; NumVGPRsForWavesPerEU: 1
; Occupancy: 10
; WaveLimiterHint : 0
; COMPUTE_PGM_RSRC2:SCRATCH_EN: 0
; COMPUTE_PGM_RSRC2:USER_SGPR: 6
; COMPUTE_PGM_RSRC2:TRAP_HANDLER: 0
; COMPUTE_PGM_RSRC2:TGID_X_EN: 1
; COMPUTE_PGM_RSRC2:TGID_Y_EN: 0
; COMPUTE_PGM_RSRC2:TGID_Z_EN: 0
; COMPUTE_PGM_RSRC2:TIDIG_COMP_CNT: 0
	.section	.text._ZN7rocprim17ROCPRIM_400000_NS6detail17trampoline_kernelINS0_14default_configENS1_35radix_sort_onesweep_config_selectorIalEEZNS1_34radix_sort_onesweep_global_offsetsIS3_Lb0EPaN6thrust23THRUST_200600_302600_NS10device_ptrIlEEjNS0_19identity_decomposerEEE10hipError_tT1_T2_PT3_SG_jT4_jjP12ihipStream_tbEUlT_E_NS1_11comp_targetILNS1_3genE8ELNS1_11target_archE1030ELNS1_3gpuE2ELNS1_3repE0EEENS1_52radix_sort_onesweep_histogram_config_static_selectorELNS0_4arch9wavefront6targetE1EEEvSE_,"axG",@progbits,_ZN7rocprim17ROCPRIM_400000_NS6detail17trampoline_kernelINS0_14default_configENS1_35radix_sort_onesweep_config_selectorIalEEZNS1_34radix_sort_onesweep_global_offsetsIS3_Lb0EPaN6thrust23THRUST_200600_302600_NS10device_ptrIlEEjNS0_19identity_decomposerEEE10hipError_tT1_T2_PT3_SG_jT4_jjP12ihipStream_tbEUlT_E_NS1_11comp_targetILNS1_3genE8ELNS1_11target_archE1030ELNS1_3gpuE2ELNS1_3repE0EEENS1_52radix_sort_onesweep_histogram_config_static_selectorELNS0_4arch9wavefront6targetE1EEEvSE_,comdat
	.protected	_ZN7rocprim17ROCPRIM_400000_NS6detail17trampoline_kernelINS0_14default_configENS1_35radix_sort_onesweep_config_selectorIalEEZNS1_34radix_sort_onesweep_global_offsetsIS3_Lb0EPaN6thrust23THRUST_200600_302600_NS10device_ptrIlEEjNS0_19identity_decomposerEEE10hipError_tT1_T2_PT3_SG_jT4_jjP12ihipStream_tbEUlT_E_NS1_11comp_targetILNS1_3genE8ELNS1_11target_archE1030ELNS1_3gpuE2ELNS1_3repE0EEENS1_52radix_sort_onesweep_histogram_config_static_selectorELNS0_4arch9wavefront6targetE1EEEvSE_ ; -- Begin function _ZN7rocprim17ROCPRIM_400000_NS6detail17trampoline_kernelINS0_14default_configENS1_35radix_sort_onesweep_config_selectorIalEEZNS1_34radix_sort_onesweep_global_offsetsIS3_Lb0EPaN6thrust23THRUST_200600_302600_NS10device_ptrIlEEjNS0_19identity_decomposerEEE10hipError_tT1_T2_PT3_SG_jT4_jjP12ihipStream_tbEUlT_E_NS1_11comp_targetILNS1_3genE8ELNS1_11target_archE1030ELNS1_3gpuE2ELNS1_3repE0EEENS1_52radix_sort_onesweep_histogram_config_static_selectorELNS0_4arch9wavefront6targetE1EEEvSE_
	.globl	_ZN7rocprim17ROCPRIM_400000_NS6detail17trampoline_kernelINS0_14default_configENS1_35radix_sort_onesweep_config_selectorIalEEZNS1_34radix_sort_onesweep_global_offsetsIS3_Lb0EPaN6thrust23THRUST_200600_302600_NS10device_ptrIlEEjNS0_19identity_decomposerEEE10hipError_tT1_T2_PT3_SG_jT4_jjP12ihipStream_tbEUlT_E_NS1_11comp_targetILNS1_3genE8ELNS1_11target_archE1030ELNS1_3gpuE2ELNS1_3repE0EEENS1_52radix_sort_onesweep_histogram_config_static_selectorELNS0_4arch9wavefront6targetE1EEEvSE_
	.p2align	8
	.type	_ZN7rocprim17ROCPRIM_400000_NS6detail17trampoline_kernelINS0_14default_configENS1_35radix_sort_onesweep_config_selectorIalEEZNS1_34radix_sort_onesweep_global_offsetsIS3_Lb0EPaN6thrust23THRUST_200600_302600_NS10device_ptrIlEEjNS0_19identity_decomposerEEE10hipError_tT1_T2_PT3_SG_jT4_jjP12ihipStream_tbEUlT_E_NS1_11comp_targetILNS1_3genE8ELNS1_11target_archE1030ELNS1_3gpuE2ELNS1_3repE0EEENS1_52radix_sort_onesweep_histogram_config_static_selectorELNS0_4arch9wavefront6targetE1EEEvSE_,@function
_ZN7rocprim17ROCPRIM_400000_NS6detail17trampoline_kernelINS0_14default_configENS1_35radix_sort_onesweep_config_selectorIalEEZNS1_34radix_sort_onesweep_global_offsetsIS3_Lb0EPaN6thrust23THRUST_200600_302600_NS10device_ptrIlEEjNS0_19identity_decomposerEEE10hipError_tT1_T2_PT3_SG_jT4_jjP12ihipStream_tbEUlT_E_NS1_11comp_targetILNS1_3genE8ELNS1_11target_archE1030ELNS1_3gpuE2ELNS1_3repE0EEENS1_52radix_sort_onesweep_histogram_config_static_selectorELNS0_4arch9wavefront6targetE1EEEvSE_: ; @_ZN7rocprim17ROCPRIM_400000_NS6detail17trampoline_kernelINS0_14default_configENS1_35radix_sort_onesweep_config_selectorIalEEZNS1_34radix_sort_onesweep_global_offsetsIS3_Lb0EPaN6thrust23THRUST_200600_302600_NS10device_ptrIlEEjNS0_19identity_decomposerEEE10hipError_tT1_T2_PT3_SG_jT4_jjP12ihipStream_tbEUlT_E_NS1_11comp_targetILNS1_3genE8ELNS1_11target_archE1030ELNS1_3gpuE2ELNS1_3repE0EEENS1_52radix_sort_onesweep_histogram_config_static_selectorELNS0_4arch9wavefront6targetE1EEEvSE_
; %bb.0:
	.section	.rodata,"a",@progbits
	.p2align	6, 0x0
	.amdhsa_kernel _ZN7rocprim17ROCPRIM_400000_NS6detail17trampoline_kernelINS0_14default_configENS1_35radix_sort_onesweep_config_selectorIalEEZNS1_34radix_sort_onesweep_global_offsetsIS3_Lb0EPaN6thrust23THRUST_200600_302600_NS10device_ptrIlEEjNS0_19identity_decomposerEEE10hipError_tT1_T2_PT3_SG_jT4_jjP12ihipStream_tbEUlT_E_NS1_11comp_targetILNS1_3genE8ELNS1_11target_archE1030ELNS1_3gpuE2ELNS1_3repE0EEENS1_52radix_sort_onesweep_histogram_config_static_selectorELNS0_4arch9wavefront6targetE1EEEvSE_
		.amdhsa_group_segment_fixed_size 0
		.amdhsa_private_segment_fixed_size 0
		.amdhsa_kernarg_size 40
		.amdhsa_user_sgpr_count 6
		.amdhsa_user_sgpr_private_segment_buffer 1
		.amdhsa_user_sgpr_dispatch_ptr 0
		.amdhsa_user_sgpr_queue_ptr 0
		.amdhsa_user_sgpr_kernarg_segment_ptr 1
		.amdhsa_user_sgpr_dispatch_id 0
		.amdhsa_user_sgpr_flat_scratch_init 0
		.amdhsa_user_sgpr_private_segment_size 0
		.amdhsa_uses_dynamic_stack 0
		.amdhsa_system_sgpr_private_segment_wavefront_offset 0
		.amdhsa_system_sgpr_workgroup_id_x 1
		.amdhsa_system_sgpr_workgroup_id_y 0
		.amdhsa_system_sgpr_workgroup_id_z 0
		.amdhsa_system_sgpr_workgroup_info 0
		.amdhsa_system_vgpr_workitem_id 0
		.amdhsa_next_free_vgpr 1
		.amdhsa_next_free_sgpr 0
		.amdhsa_reserve_vcc 0
		.amdhsa_reserve_flat_scratch 0
		.amdhsa_float_round_mode_32 0
		.amdhsa_float_round_mode_16_64 0
		.amdhsa_float_denorm_mode_32 3
		.amdhsa_float_denorm_mode_16_64 3
		.amdhsa_dx10_clamp 1
		.amdhsa_ieee_mode 1
		.amdhsa_fp16_overflow 0
		.amdhsa_exception_fp_ieee_invalid_op 0
		.amdhsa_exception_fp_denorm_src 0
		.amdhsa_exception_fp_ieee_div_zero 0
		.amdhsa_exception_fp_ieee_overflow 0
		.amdhsa_exception_fp_ieee_underflow 0
		.amdhsa_exception_fp_ieee_inexact 0
		.amdhsa_exception_int_div_zero 0
	.end_amdhsa_kernel
	.section	.text._ZN7rocprim17ROCPRIM_400000_NS6detail17trampoline_kernelINS0_14default_configENS1_35radix_sort_onesweep_config_selectorIalEEZNS1_34radix_sort_onesweep_global_offsetsIS3_Lb0EPaN6thrust23THRUST_200600_302600_NS10device_ptrIlEEjNS0_19identity_decomposerEEE10hipError_tT1_T2_PT3_SG_jT4_jjP12ihipStream_tbEUlT_E_NS1_11comp_targetILNS1_3genE8ELNS1_11target_archE1030ELNS1_3gpuE2ELNS1_3repE0EEENS1_52radix_sort_onesweep_histogram_config_static_selectorELNS0_4arch9wavefront6targetE1EEEvSE_,"axG",@progbits,_ZN7rocprim17ROCPRIM_400000_NS6detail17trampoline_kernelINS0_14default_configENS1_35radix_sort_onesweep_config_selectorIalEEZNS1_34radix_sort_onesweep_global_offsetsIS3_Lb0EPaN6thrust23THRUST_200600_302600_NS10device_ptrIlEEjNS0_19identity_decomposerEEE10hipError_tT1_T2_PT3_SG_jT4_jjP12ihipStream_tbEUlT_E_NS1_11comp_targetILNS1_3genE8ELNS1_11target_archE1030ELNS1_3gpuE2ELNS1_3repE0EEENS1_52radix_sort_onesweep_histogram_config_static_selectorELNS0_4arch9wavefront6targetE1EEEvSE_,comdat
.Lfunc_end590:
	.size	_ZN7rocprim17ROCPRIM_400000_NS6detail17trampoline_kernelINS0_14default_configENS1_35radix_sort_onesweep_config_selectorIalEEZNS1_34radix_sort_onesweep_global_offsetsIS3_Lb0EPaN6thrust23THRUST_200600_302600_NS10device_ptrIlEEjNS0_19identity_decomposerEEE10hipError_tT1_T2_PT3_SG_jT4_jjP12ihipStream_tbEUlT_E_NS1_11comp_targetILNS1_3genE8ELNS1_11target_archE1030ELNS1_3gpuE2ELNS1_3repE0EEENS1_52radix_sort_onesweep_histogram_config_static_selectorELNS0_4arch9wavefront6targetE1EEEvSE_, .Lfunc_end590-_ZN7rocprim17ROCPRIM_400000_NS6detail17trampoline_kernelINS0_14default_configENS1_35radix_sort_onesweep_config_selectorIalEEZNS1_34radix_sort_onesweep_global_offsetsIS3_Lb0EPaN6thrust23THRUST_200600_302600_NS10device_ptrIlEEjNS0_19identity_decomposerEEE10hipError_tT1_T2_PT3_SG_jT4_jjP12ihipStream_tbEUlT_E_NS1_11comp_targetILNS1_3genE8ELNS1_11target_archE1030ELNS1_3gpuE2ELNS1_3repE0EEENS1_52radix_sort_onesweep_histogram_config_static_selectorELNS0_4arch9wavefront6targetE1EEEvSE_
                                        ; -- End function
	.set _ZN7rocprim17ROCPRIM_400000_NS6detail17trampoline_kernelINS0_14default_configENS1_35radix_sort_onesweep_config_selectorIalEEZNS1_34radix_sort_onesweep_global_offsetsIS3_Lb0EPaN6thrust23THRUST_200600_302600_NS10device_ptrIlEEjNS0_19identity_decomposerEEE10hipError_tT1_T2_PT3_SG_jT4_jjP12ihipStream_tbEUlT_E_NS1_11comp_targetILNS1_3genE8ELNS1_11target_archE1030ELNS1_3gpuE2ELNS1_3repE0EEENS1_52radix_sort_onesweep_histogram_config_static_selectorELNS0_4arch9wavefront6targetE1EEEvSE_.num_vgpr, 0
	.set _ZN7rocprim17ROCPRIM_400000_NS6detail17trampoline_kernelINS0_14default_configENS1_35radix_sort_onesweep_config_selectorIalEEZNS1_34radix_sort_onesweep_global_offsetsIS3_Lb0EPaN6thrust23THRUST_200600_302600_NS10device_ptrIlEEjNS0_19identity_decomposerEEE10hipError_tT1_T2_PT3_SG_jT4_jjP12ihipStream_tbEUlT_E_NS1_11comp_targetILNS1_3genE8ELNS1_11target_archE1030ELNS1_3gpuE2ELNS1_3repE0EEENS1_52radix_sort_onesweep_histogram_config_static_selectorELNS0_4arch9wavefront6targetE1EEEvSE_.num_agpr, 0
	.set _ZN7rocprim17ROCPRIM_400000_NS6detail17trampoline_kernelINS0_14default_configENS1_35radix_sort_onesweep_config_selectorIalEEZNS1_34radix_sort_onesweep_global_offsetsIS3_Lb0EPaN6thrust23THRUST_200600_302600_NS10device_ptrIlEEjNS0_19identity_decomposerEEE10hipError_tT1_T2_PT3_SG_jT4_jjP12ihipStream_tbEUlT_E_NS1_11comp_targetILNS1_3genE8ELNS1_11target_archE1030ELNS1_3gpuE2ELNS1_3repE0EEENS1_52radix_sort_onesweep_histogram_config_static_selectorELNS0_4arch9wavefront6targetE1EEEvSE_.numbered_sgpr, 0
	.set _ZN7rocprim17ROCPRIM_400000_NS6detail17trampoline_kernelINS0_14default_configENS1_35radix_sort_onesweep_config_selectorIalEEZNS1_34radix_sort_onesweep_global_offsetsIS3_Lb0EPaN6thrust23THRUST_200600_302600_NS10device_ptrIlEEjNS0_19identity_decomposerEEE10hipError_tT1_T2_PT3_SG_jT4_jjP12ihipStream_tbEUlT_E_NS1_11comp_targetILNS1_3genE8ELNS1_11target_archE1030ELNS1_3gpuE2ELNS1_3repE0EEENS1_52radix_sort_onesweep_histogram_config_static_selectorELNS0_4arch9wavefront6targetE1EEEvSE_.num_named_barrier, 0
	.set _ZN7rocprim17ROCPRIM_400000_NS6detail17trampoline_kernelINS0_14default_configENS1_35radix_sort_onesweep_config_selectorIalEEZNS1_34radix_sort_onesweep_global_offsetsIS3_Lb0EPaN6thrust23THRUST_200600_302600_NS10device_ptrIlEEjNS0_19identity_decomposerEEE10hipError_tT1_T2_PT3_SG_jT4_jjP12ihipStream_tbEUlT_E_NS1_11comp_targetILNS1_3genE8ELNS1_11target_archE1030ELNS1_3gpuE2ELNS1_3repE0EEENS1_52radix_sort_onesweep_histogram_config_static_selectorELNS0_4arch9wavefront6targetE1EEEvSE_.private_seg_size, 0
	.set _ZN7rocprim17ROCPRIM_400000_NS6detail17trampoline_kernelINS0_14default_configENS1_35radix_sort_onesweep_config_selectorIalEEZNS1_34radix_sort_onesweep_global_offsetsIS3_Lb0EPaN6thrust23THRUST_200600_302600_NS10device_ptrIlEEjNS0_19identity_decomposerEEE10hipError_tT1_T2_PT3_SG_jT4_jjP12ihipStream_tbEUlT_E_NS1_11comp_targetILNS1_3genE8ELNS1_11target_archE1030ELNS1_3gpuE2ELNS1_3repE0EEENS1_52radix_sort_onesweep_histogram_config_static_selectorELNS0_4arch9wavefront6targetE1EEEvSE_.uses_vcc, 0
	.set _ZN7rocprim17ROCPRIM_400000_NS6detail17trampoline_kernelINS0_14default_configENS1_35radix_sort_onesweep_config_selectorIalEEZNS1_34radix_sort_onesweep_global_offsetsIS3_Lb0EPaN6thrust23THRUST_200600_302600_NS10device_ptrIlEEjNS0_19identity_decomposerEEE10hipError_tT1_T2_PT3_SG_jT4_jjP12ihipStream_tbEUlT_E_NS1_11comp_targetILNS1_3genE8ELNS1_11target_archE1030ELNS1_3gpuE2ELNS1_3repE0EEENS1_52radix_sort_onesweep_histogram_config_static_selectorELNS0_4arch9wavefront6targetE1EEEvSE_.uses_flat_scratch, 0
	.set _ZN7rocprim17ROCPRIM_400000_NS6detail17trampoline_kernelINS0_14default_configENS1_35radix_sort_onesweep_config_selectorIalEEZNS1_34radix_sort_onesweep_global_offsetsIS3_Lb0EPaN6thrust23THRUST_200600_302600_NS10device_ptrIlEEjNS0_19identity_decomposerEEE10hipError_tT1_T2_PT3_SG_jT4_jjP12ihipStream_tbEUlT_E_NS1_11comp_targetILNS1_3genE8ELNS1_11target_archE1030ELNS1_3gpuE2ELNS1_3repE0EEENS1_52radix_sort_onesweep_histogram_config_static_selectorELNS0_4arch9wavefront6targetE1EEEvSE_.has_dyn_sized_stack, 0
	.set _ZN7rocprim17ROCPRIM_400000_NS6detail17trampoline_kernelINS0_14default_configENS1_35radix_sort_onesweep_config_selectorIalEEZNS1_34radix_sort_onesweep_global_offsetsIS3_Lb0EPaN6thrust23THRUST_200600_302600_NS10device_ptrIlEEjNS0_19identity_decomposerEEE10hipError_tT1_T2_PT3_SG_jT4_jjP12ihipStream_tbEUlT_E_NS1_11comp_targetILNS1_3genE8ELNS1_11target_archE1030ELNS1_3gpuE2ELNS1_3repE0EEENS1_52radix_sort_onesweep_histogram_config_static_selectorELNS0_4arch9wavefront6targetE1EEEvSE_.has_recursion, 0
	.set _ZN7rocprim17ROCPRIM_400000_NS6detail17trampoline_kernelINS0_14default_configENS1_35radix_sort_onesweep_config_selectorIalEEZNS1_34radix_sort_onesweep_global_offsetsIS3_Lb0EPaN6thrust23THRUST_200600_302600_NS10device_ptrIlEEjNS0_19identity_decomposerEEE10hipError_tT1_T2_PT3_SG_jT4_jjP12ihipStream_tbEUlT_E_NS1_11comp_targetILNS1_3genE8ELNS1_11target_archE1030ELNS1_3gpuE2ELNS1_3repE0EEENS1_52radix_sort_onesweep_histogram_config_static_selectorELNS0_4arch9wavefront6targetE1EEEvSE_.has_indirect_call, 0
	.section	.AMDGPU.csdata,"",@progbits
; Kernel info:
; codeLenInByte = 0
; TotalNumSgprs: 4
; NumVgprs: 0
; ScratchSize: 0
; MemoryBound: 0
; FloatMode: 240
; IeeeMode: 1
; LDSByteSize: 0 bytes/workgroup (compile time only)
; SGPRBlocks: 0
; VGPRBlocks: 0
; NumSGPRsForWavesPerEU: 4
; NumVGPRsForWavesPerEU: 1
; Occupancy: 10
; WaveLimiterHint : 0
; COMPUTE_PGM_RSRC2:SCRATCH_EN: 0
; COMPUTE_PGM_RSRC2:USER_SGPR: 6
; COMPUTE_PGM_RSRC2:TRAP_HANDLER: 0
; COMPUTE_PGM_RSRC2:TGID_X_EN: 1
; COMPUTE_PGM_RSRC2:TGID_Y_EN: 0
; COMPUTE_PGM_RSRC2:TGID_Z_EN: 0
; COMPUTE_PGM_RSRC2:TIDIG_COMP_CNT: 0
	.section	.text._ZN7rocprim17ROCPRIM_400000_NS6detail17trampoline_kernelINS0_14default_configENS1_35radix_sort_onesweep_config_selectorIalEEZNS1_34radix_sort_onesweep_global_offsetsIS3_Lb0EPaN6thrust23THRUST_200600_302600_NS10device_ptrIlEEjNS0_19identity_decomposerEEE10hipError_tT1_T2_PT3_SG_jT4_jjP12ihipStream_tbEUlT_E0_NS1_11comp_targetILNS1_3genE0ELNS1_11target_archE4294967295ELNS1_3gpuE0ELNS1_3repE0EEENS1_52radix_sort_onesweep_histogram_config_static_selectorELNS0_4arch9wavefront6targetE1EEEvSE_,"axG",@progbits,_ZN7rocprim17ROCPRIM_400000_NS6detail17trampoline_kernelINS0_14default_configENS1_35radix_sort_onesweep_config_selectorIalEEZNS1_34radix_sort_onesweep_global_offsetsIS3_Lb0EPaN6thrust23THRUST_200600_302600_NS10device_ptrIlEEjNS0_19identity_decomposerEEE10hipError_tT1_T2_PT3_SG_jT4_jjP12ihipStream_tbEUlT_E0_NS1_11comp_targetILNS1_3genE0ELNS1_11target_archE4294967295ELNS1_3gpuE0ELNS1_3repE0EEENS1_52radix_sort_onesweep_histogram_config_static_selectorELNS0_4arch9wavefront6targetE1EEEvSE_,comdat
	.protected	_ZN7rocprim17ROCPRIM_400000_NS6detail17trampoline_kernelINS0_14default_configENS1_35radix_sort_onesweep_config_selectorIalEEZNS1_34radix_sort_onesweep_global_offsetsIS3_Lb0EPaN6thrust23THRUST_200600_302600_NS10device_ptrIlEEjNS0_19identity_decomposerEEE10hipError_tT1_T2_PT3_SG_jT4_jjP12ihipStream_tbEUlT_E0_NS1_11comp_targetILNS1_3genE0ELNS1_11target_archE4294967295ELNS1_3gpuE0ELNS1_3repE0EEENS1_52radix_sort_onesweep_histogram_config_static_selectorELNS0_4arch9wavefront6targetE1EEEvSE_ ; -- Begin function _ZN7rocprim17ROCPRIM_400000_NS6detail17trampoline_kernelINS0_14default_configENS1_35radix_sort_onesweep_config_selectorIalEEZNS1_34radix_sort_onesweep_global_offsetsIS3_Lb0EPaN6thrust23THRUST_200600_302600_NS10device_ptrIlEEjNS0_19identity_decomposerEEE10hipError_tT1_T2_PT3_SG_jT4_jjP12ihipStream_tbEUlT_E0_NS1_11comp_targetILNS1_3genE0ELNS1_11target_archE4294967295ELNS1_3gpuE0ELNS1_3repE0EEENS1_52radix_sort_onesweep_histogram_config_static_selectorELNS0_4arch9wavefront6targetE1EEEvSE_
	.globl	_ZN7rocprim17ROCPRIM_400000_NS6detail17trampoline_kernelINS0_14default_configENS1_35radix_sort_onesweep_config_selectorIalEEZNS1_34radix_sort_onesweep_global_offsetsIS3_Lb0EPaN6thrust23THRUST_200600_302600_NS10device_ptrIlEEjNS0_19identity_decomposerEEE10hipError_tT1_T2_PT3_SG_jT4_jjP12ihipStream_tbEUlT_E0_NS1_11comp_targetILNS1_3genE0ELNS1_11target_archE4294967295ELNS1_3gpuE0ELNS1_3repE0EEENS1_52radix_sort_onesweep_histogram_config_static_selectorELNS0_4arch9wavefront6targetE1EEEvSE_
	.p2align	8
	.type	_ZN7rocprim17ROCPRIM_400000_NS6detail17trampoline_kernelINS0_14default_configENS1_35radix_sort_onesweep_config_selectorIalEEZNS1_34radix_sort_onesweep_global_offsetsIS3_Lb0EPaN6thrust23THRUST_200600_302600_NS10device_ptrIlEEjNS0_19identity_decomposerEEE10hipError_tT1_T2_PT3_SG_jT4_jjP12ihipStream_tbEUlT_E0_NS1_11comp_targetILNS1_3genE0ELNS1_11target_archE4294967295ELNS1_3gpuE0ELNS1_3repE0EEENS1_52radix_sort_onesweep_histogram_config_static_selectorELNS0_4arch9wavefront6targetE1EEEvSE_,@function
_ZN7rocprim17ROCPRIM_400000_NS6detail17trampoline_kernelINS0_14default_configENS1_35radix_sort_onesweep_config_selectorIalEEZNS1_34radix_sort_onesweep_global_offsetsIS3_Lb0EPaN6thrust23THRUST_200600_302600_NS10device_ptrIlEEjNS0_19identity_decomposerEEE10hipError_tT1_T2_PT3_SG_jT4_jjP12ihipStream_tbEUlT_E0_NS1_11comp_targetILNS1_3genE0ELNS1_11target_archE4294967295ELNS1_3gpuE0ELNS1_3repE0EEENS1_52radix_sort_onesweep_histogram_config_static_selectorELNS0_4arch9wavefront6targetE1EEEvSE_: ; @_ZN7rocprim17ROCPRIM_400000_NS6detail17trampoline_kernelINS0_14default_configENS1_35radix_sort_onesweep_config_selectorIalEEZNS1_34radix_sort_onesweep_global_offsetsIS3_Lb0EPaN6thrust23THRUST_200600_302600_NS10device_ptrIlEEjNS0_19identity_decomposerEEE10hipError_tT1_T2_PT3_SG_jT4_jjP12ihipStream_tbEUlT_E0_NS1_11comp_targetILNS1_3genE0ELNS1_11target_archE4294967295ELNS1_3gpuE0ELNS1_3repE0EEENS1_52radix_sort_onesweep_histogram_config_static_selectorELNS0_4arch9wavefront6targetE1EEEvSE_
; %bb.0:
	.section	.rodata,"a",@progbits
	.p2align	6, 0x0
	.amdhsa_kernel _ZN7rocprim17ROCPRIM_400000_NS6detail17trampoline_kernelINS0_14default_configENS1_35radix_sort_onesweep_config_selectorIalEEZNS1_34radix_sort_onesweep_global_offsetsIS3_Lb0EPaN6thrust23THRUST_200600_302600_NS10device_ptrIlEEjNS0_19identity_decomposerEEE10hipError_tT1_T2_PT3_SG_jT4_jjP12ihipStream_tbEUlT_E0_NS1_11comp_targetILNS1_3genE0ELNS1_11target_archE4294967295ELNS1_3gpuE0ELNS1_3repE0EEENS1_52radix_sort_onesweep_histogram_config_static_selectorELNS0_4arch9wavefront6targetE1EEEvSE_
		.amdhsa_group_segment_fixed_size 0
		.amdhsa_private_segment_fixed_size 0
		.amdhsa_kernarg_size 8
		.amdhsa_user_sgpr_count 6
		.amdhsa_user_sgpr_private_segment_buffer 1
		.amdhsa_user_sgpr_dispatch_ptr 0
		.amdhsa_user_sgpr_queue_ptr 0
		.amdhsa_user_sgpr_kernarg_segment_ptr 1
		.amdhsa_user_sgpr_dispatch_id 0
		.amdhsa_user_sgpr_flat_scratch_init 0
		.amdhsa_user_sgpr_private_segment_size 0
		.amdhsa_uses_dynamic_stack 0
		.amdhsa_system_sgpr_private_segment_wavefront_offset 0
		.amdhsa_system_sgpr_workgroup_id_x 1
		.amdhsa_system_sgpr_workgroup_id_y 0
		.amdhsa_system_sgpr_workgroup_id_z 0
		.amdhsa_system_sgpr_workgroup_info 0
		.amdhsa_system_vgpr_workitem_id 0
		.amdhsa_next_free_vgpr 1
		.amdhsa_next_free_sgpr 0
		.amdhsa_reserve_vcc 0
		.amdhsa_reserve_flat_scratch 0
		.amdhsa_float_round_mode_32 0
		.amdhsa_float_round_mode_16_64 0
		.amdhsa_float_denorm_mode_32 3
		.amdhsa_float_denorm_mode_16_64 3
		.amdhsa_dx10_clamp 1
		.amdhsa_ieee_mode 1
		.amdhsa_fp16_overflow 0
		.amdhsa_exception_fp_ieee_invalid_op 0
		.amdhsa_exception_fp_denorm_src 0
		.amdhsa_exception_fp_ieee_div_zero 0
		.amdhsa_exception_fp_ieee_overflow 0
		.amdhsa_exception_fp_ieee_underflow 0
		.amdhsa_exception_fp_ieee_inexact 0
		.amdhsa_exception_int_div_zero 0
	.end_amdhsa_kernel
	.section	.text._ZN7rocprim17ROCPRIM_400000_NS6detail17trampoline_kernelINS0_14default_configENS1_35radix_sort_onesweep_config_selectorIalEEZNS1_34radix_sort_onesweep_global_offsetsIS3_Lb0EPaN6thrust23THRUST_200600_302600_NS10device_ptrIlEEjNS0_19identity_decomposerEEE10hipError_tT1_T2_PT3_SG_jT4_jjP12ihipStream_tbEUlT_E0_NS1_11comp_targetILNS1_3genE0ELNS1_11target_archE4294967295ELNS1_3gpuE0ELNS1_3repE0EEENS1_52radix_sort_onesweep_histogram_config_static_selectorELNS0_4arch9wavefront6targetE1EEEvSE_,"axG",@progbits,_ZN7rocprim17ROCPRIM_400000_NS6detail17trampoline_kernelINS0_14default_configENS1_35radix_sort_onesweep_config_selectorIalEEZNS1_34radix_sort_onesweep_global_offsetsIS3_Lb0EPaN6thrust23THRUST_200600_302600_NS10device_ptrIlEEjNS0_19identity_decomposerEEE10hipError_tT1_T2_PT3_SG_jT4_jjP12ihipStream_tbEUlT_E0_NS1_11comp_targetILNS1_3genE0ELNS1_11target_archE4294967295ELNS1_3gpuE0ELNS1_3repE0EEENS1_52radix_sort_onesweep_histogram_config_static_selectorELNS0_4arch9wavefront6targetE1EEEvSE_,comdat
.Lfunc_end591:
	.size	_ZN7rocprim17ROCPRIM_400000_NS6detail17trampoline_kernelINS0_14default_configENS1_35radix_sort_onesweep_config_selectorIalEEZNS1_34radix_sort_onesweep_global_offsetsIS3_Lb0EPaN6thrust23THRUST_200600_302600_NS10device_ptrIlEEjNS0_19identity_decomposerEEE10hipError_tT1_T2_PT3_SG_jT4_jjP12ihipStream_tbEUlT_E0_NS1_11comp_targetILNS1_3genE0ELNS1_11target_archE4294967295ELNS1_3gpuE0ELNS1_3repE0EEENS1_52radix_sort_onesweep_histogram_config_static_selectorELNS0_4arch9wavefront6targetE1EEEvSE_, .Lfunc_end591-_ZN7rocprim17ROCPRIM_400000_NS6detail17trampoline_kernelINS0_14default_configENS1_35radix_sort_onesweep_config_selectorIalEEZNS1_34radix_sort_onesweep_global_offsetsIS3_Lb0EPaN6thrust23THRUST_200600_302600_NS10device_ptrIlEEjNS0_19identity_decomposerEEE10hipError_tT1_T2_PT3_SG_jT4_jjP12ihipStream_tbEUlT_E0_NS1_11comp_targetILNS1_3genE0ELNS1_11target_archE4294967295ELNS1_3gpuE0ELNS1_3repE0EEENS1_52radix_sort_onesweep_histogram_config_static_selectorELNS0_4arch9wavefront6targetE1EEEvSE_
                                        ; -- End function
	.set _ZN7rocprim17ROCPRIM_400000_NS6detail17trampoline_kernelINS0_14default_configENS1_35radix_sort_onesweep_config_selectorIalEEZNS1_34radix_sort_onesweep_global_offsetsIS3_Lb0EPaN6thrust23THRUST_200600_302600_NS10device_ptrIlEEjNS0_19identity_decomposerEEE10hipError_tT1_T2_PT3_SG_jT4_jjP12ihipStream_tbEUlT_E0_NS1_11comp_targetILNS1_3genE0ELNS1_11target_archE4294967295ELNS1_3gpuE0ELNS1_3repE0EEENS1_52radix_sort_onesweep_histogram_config_static_selectorELNS0_4arch9wavefront6targetE1EEEvSE_.num_vgpr, 0
	.set _ZN7rocprim17ROCPRIM_400000_NS6detail17trampoline_kernelINS0_14default_configENS1_35radix_sort_onesweep_config_selectorIalEEZNS1_34radix_sort_onesweep_global_offsetsIS3_Lb0EPaN6thrust23THRUST_200600_302600_NS10device_ptrIlEEjNS0_19identity_decomposerEEE10hipError_tT1_T2_PT3_SG_jT4_jjP12ihipStream_tbEUlT_E0_NS1_11comp_targetILNS1_3genE0ELNS1_11target_archE4294967295ELNS1_3gpuE0ELNS1_3repE0EEENS1_52radix_sort_onesweep_histogram_config_static_selectorELNS0_4arch9wavefront6targetE1EEEvSE_.num_agpr, 0
	.set _ZN7rocprim17ROCPRIM_400000_NS6detail17trampoline_kernelINS0_14default_configENS1_35radix_sort_onesweep_config_selectorIalEEZNS1_34radix_sort_onesweep_global_offsetsIS3_Lb0EPaN6thrust23THRUST_200600_302600_NS10device_ptrIlEEjNS0_19identity_decomposerEEE10hipError_tT1_T2_PT3_SG_jT4_jjP12ihipStream_tbEUlT_E0_NS1_11comp_targetILNS1_3genE0ELNS1_11target_archE4294967295ELNS1_3gpuE0ELNS1_3repE0EEENS1_52radix_sort_onesweep_histogram_config_static_selectorELNS0_4arch9wavefront6targetE1EEEvSE_.numbered_sgpr, 0
	.set _ZN7rocprim17ROCPRIM_400000_NS6detail17trampoline_kernelINS0_14default_configENS1_35radix_sort_onesweep_config_selectorIalEEZNS1_34radix_sort_onesweep_global_offsetsIS3_Lb0EPaN6thrust23THRUST_200600_302600_NS10device_ptrIlEEjNS0_19identity_decomposerEEE10hipError_tT1_T2_PT3_SG_jT4_jjP12ihipStream_tbEUlT_E0_NS1_11comp_targetILNS1_3genE0ELNS1_11target_archE4294967295ELNS1_3gpuE0ELNS1_3repE0EEENS1_52radix_sort_onesweep_histogram_config_static_selectorELNS0_4arch9wavefront6targetE1EEEvSE_.num_named_barrier, 0
	.set _ZN7rocprim17ROCPRIM_400000_NS6detail17trampoline_kernelINS0_14default_configENS1_35radix_sort_onesweep_config_selectorIalEEZNS1_34radix_sort_onesweep_global_offsetsIS3_Lb0EPaN6thrust23THRUST_200600_302600_NS10device_ptrIlEEjNS0_19identity_decomposerEEE10hipError_tT1_T2_PT3_SG_jT4_jjP12ihipStream_tbEUlT_E0_NS1_11comp_targetILNS1_3genE0ELNS1_11target_archE4294967295ELNS1_3gpuE0ELNS1_3repE0EEENS1_52radix_sort_onesweep_histogram_config_static_selectorELNS0_4arch9wavefront6targetE1EEEvSE_.private_seg_size, 0
	.set _ZN7rocprim17ROCPRIM_400000_NS6detail17trampoline_kernelINS0_14default_configENS1_35radix_sort_onesweep_config_selectorIalEEZNS1_34radix_sort_onesweep_global_offsetsIS3_Lb0EPaN6thrust23THRUST_200600_302600_NS10device_ptrIlEEjNS0_19identity_decomposerEEE10hipError_tT1_T2_PT3_SG_jT4_jjP12ihipStream_tbEUlT_E0_NS1_11comp_targetILNS1_3genE0ELNS1_11target_archE4294967295ELNS1_3gpuE0ELNS1_3repE0EEENS1_52radix_sort_onesweep_histogram_config_static_selectorELNS0_4arch9wavefront6targetE1EEEvSE_.uses_vcc, 0
	.set _ZN7rocprim17ROCPRIM_400000_NS6detail17trampoline_kernelINS0_14default_configENS1_35radix_sort_onesweep_config_selectorIalEEZNS1_34radix_sort_onesweep_global_offsetsIS3_Lb0EPaN6thrust23THRUST_200600_302600_NS10device_ptrIlEEjNS0_19identity_decomposerEEE10hipError_tT1_T2_PT3_SG_jT4_jjP12ihipStream_tbEUlT_E0_NS1_11comp_targetILNS1_3genE0ELNS1_11target_archE4294967295ELNS1_3gpuE0ELNS1_3repE0EEENS1_52radix_sort_onesweep_histogram_config_static_selectorELNS0_4arch9wavefront6targetE1EEEvSE_.uses_flat_scratch, 0
	.set _ZN7rocprim17ROCPRIM_400000_NS6detail17trampoline_kernelINS0_14default_configENS1_35radix_sort_onesweep_config_selectorIalEEZNS1_34radix_sort_onesweep_global_offsetsIS3_Lb0EPaN6thrust23THRUST_200600_302600_NS10device_ptrIlEEjNS0_19identity_decomposerEEE10hipError_tT1_T2_PT3_SG_jT4_jjP12ihipStream_tbEUlT_E0_NS1_11comp_targetILNS1_3genE0ELNS1_11target_archE4294967295ELNS1_3gpuE0ELNS1_3repE0EEENS1_52radix_sort_onesweep_histogram_config_static_selectorELNS0_4arch9wavefront6targetE1EEEvSE_.has_dyn_sized_stack, 0
	.set _ZN7rocprim17ROCPRIM_400000_NS6detail17trampoline_kernelINS0_14default_configENS1_35radix_sort_onesweep_config_selectorIalEEZNS1_34radix_sort_onesweep_global_offsetsIS3_Lb0EPaN6thrust23THRUST_200600_302600_NS10device_ptrIlEEjNS0_19identity_decomposerEEE10hipError_tT1_T2_PT3_SG_jT4_jjP12ihipStream_tbEUlT_E0_NS1_11comp_targetILNS1_3genE0ELNS1_11target_archE4294967295ELNS1_3gpuE0ELNS1_3repE0EEENS1_52radix_sort_onesweep_histogram_config_static_selectorELNS0_4arch9wavefront6targetE1EEEvSE_.has_recursion, 0
	.set _ZN7rocprim17ROCPRIM_400000_NS6detail17trampoline_kernelINS0_14default_configENS1_35radix_sort_onesweep_config_selectorIalEEZNS1_34radix_sort_onesweep_global_offsetsIS3_Lb0EPaN6thrust23THRUST_200600_302600_NS10device_ptrIlEEjNS0_19identity_decomposerEEE10hipError_tT1_T2_PT3_SG_jT4_jjP12ihipStream_tbEUlT_E0_NS1_11comp_targetILNS1_3genE0ELNS1_11target_archE4294967295ELNS1_3gpuE0ELNS1_3repE0EEENS1_52radix_sort_onesweep_histogram_config_static_selectorELNS0_4arch9wavefront6targetE1EEEvSE_.has_indirect_call, 0
	.section	.AMDGPU.csdata,"",@progbits
; Kernel info:
; codeLenInByte = 0
; TotalNumSgprs: 4
; NumVgprs: 0
; ScratchSize: 0
; MemoryBound: 0
; FloatMode: 240
; IeeeMode: 1
; LDSByteSize: 0 bytes/workgroup (compile time only)
; SGPRBlocks: 0
; VGPRBlocks: 0
; NumSGPRsForWavesPerEU: 4
; NumVGPRsForWavesPerEU: 1
; Occupancy: 10
; WaveLimiterHint : 0
; COMPUTE_PGM_RSRC2:SCRATCH_EN: 0
; COMPUTE_PGM_RSRC2:USER_SGPR: 6
; COMPUTE_PGM_RSRC2:TRAP_HANDLER: 0
; COMPUTE_PGM_RSRC2:TGID_X_EN: 1
; COMPUTE_PGM_RSRC2:TGID_Y_EN: 0
; COMPUTE_PGM_RSRC2:TGID_Z_EN: 0
; COMPUTE_PGM_RSRC2:TIDIG_COMP_CNT: 0
	.section	.text._ZN7rocprim17ROCPRIM_400000_NS6detail17trampoline_kernelINS0_14default_configENS1_35radix_sort_onesweep_config_selectorIalEEZNS1_34radix_sort_onesweep_global_offsetsIS3_Lb0EPaN6thrust23THRUST_200600_302600_NS10device_ptrIlEEjNS0_19identity_decomposerEEE10hipError_tT1_T2_PT3_SG_jT4_jjP12ihipStream_tbEUlT_E0_NS1_11comp_targetILNS1_3genE6ELNS1_11target_archE950ELNS1_3gpuE13ELNS1_3repE0EEENS1_52radix_sort_onesweep_histogram_config_static_selectorELNS0_4arch9wavefront6targetE1EEEvSE_,"axG",@progbits,_ZN7rocprim17ROCPRIM_400000_NS6detail17trampoline_kernelINS0_14default_configENS1_35radix_sort_onesweep_config_selectorIalEEZNS1_34radix_sort_onesweep_global_offsetsIS3_Lb0EPaN6thrust23THRUST_200600_302600_NS10device_ptrIlEEjNS0_19identity_decomposerEEE10hipError_tT1_T2_PT3_SG_jT4_jjP12ihipStream_tbEUlT_E0_NS1_11comp_targetILNS1_3genE6ELNS1_11target_archE950ELNS1_3gpuE13ELNS1_3repE0EEENS1_52radix_sort_onesweep_histogram_config_static_selectorELNS0_4arch9wavefront6targetE1EEEvSE_,comdat
	.protected	_ZN7rocprim17ROCPRIM_400000_NS6detail17trampoline_kernelINS0_14default_configENS1_35radix_sort_onesweep_config_selectorIalEEZNS1_34radix_sort_onesweep_global_offsetsIS3_Lb0EPaN6thrust23THRUST_200600_302600_NS10device_ptrIlEEjNS0_19identity_decomposerEEE10hipError_tT1_T2_PT3_SG_jT4_jjP12ihipStream_tbEUlT_E0_NS1_11comp_targetILNS1_3genE6ELNS1_11target_archE950ELNS1_3gpuE13ELNS1_3repE0EEENS1_52radix_sort_onesweep_histogram_config_static_selectorELNS0_4arch9wavefront6targetE1EEEvSE_ ; -- Begin function _ZN7rocprim17ROCPRIM_400000_NS6detail17trampoline_kernelINS0_14default_configENS1_35radix_sort_onesweep_config_selectorIalEEZNS1_34radix_sort_onesweep_global_offsetsIS3_Lb0EPaN6thrust23THRUST_200600_302600_NS10device_ptrIlEEjNS0_19identity_decomposerEEE10hipError_tT1_T2_PT3_SG_jT4_jjP12ihipStream_tbEUlT_E0_NS1_11comp_targetILNS1_3genE6ELNS1_11target_archE950ELNS1_3gpuE13ELNS1_3repE0EEENS1_52radix_sort_onesweep_histogram_config_static_selectorELNS0_4arch9wavefront6targetE1EEEvSE_
	.globl	_ZN7rocprim17ROCPRIM_400000_NS6detail17trampoline_kernelINS0_14default_configENS1_35radix_sort_onesweep_config_selectorIalEEZNS1_34radix_sort_onesweep_global_offsetsIS3_Lb0EPaN6thrust23THRUST_200600_302600_NS10device_ptrIlEEjNS0_19identity_decomposerEEE10hipError_tT1_T2_PT3_SG_jT4_jjP12ihipStream_tbEUlT_E0_NS1_11comp_targetILNS1_3genE6ELNS1_11target_archE950ELNS1_3gpuE13ELNS1_3repE0EEENS1_52radix_sort_onesweep_histogram_config_static_selectorELNS0_4arch9wavefront6targetE1EEEvSE_
	.p2align	8
	.type	_ZN7rocprim17ROCPRIM_400000_NS6detail17trampoline_kernelINS0_14default_configENS1_35radix_sort_onesweep_config_selectorIalEEZNS1_34radix_sort_onesweep_global_offsetsIS3_Lb0EPaN6thrust23THRUST_200600_302600_NS10device_ptrIlEEjNS0_19identity_decomposerEEE10hipError_tT1_T2_PT3_SG_jT4_jjP12ihipStream_tbEUlT_E0_NS1_11comp_targetILNS1_3genE6ELNS1_11target_archE950ELNS1_3gpuE13ELNS1_3repE0EEENS1_52radix_sort_onesweep_histogram_config_static_selectorELNS0_4arch9wavefront6targetE1EEEvSE_,@function
_ZN7rocprim17ROCPRIM_400000_NS6detail17trampoline_kernelINS0_14default_configENS1_35radix_sort_onesweep_config_selectorIalEEZNS1_34radix_sort_onesweep_global_offsetsIS3_Lb0EPaN6thrust23THRUST_200600_302600_NS10device_ptrIlEEjNS0_19identity_decomposerEEE10hipError_tT1_T2_PT3_SG_jT4_jjP12ihipStream_tbEUlT_E0_NS1_11comp_targetILNS1_3genE6ELNS1_11target_archE950ELNS1_3gpuE13ELNS1_3repE0EEENS1_52radix_sort_onesweep_histogram_config_static_selectorELNS0_4arch9wavefront6targetE1EEEvSE_: ; @_ZN7rocprim17ROCPRIM_400000_NS6detail17trampoline_kernelINS0_14default_configENS1_35radix_sort_onesweep_config_selectorIalEEZNS1_34radix_sort_onesweep_global_offsetsIS3_Lb0EPaN6thrust23THRUST_200600_302600_NS10device_ptrIlEEjNS0_19identity_decomposerEEE10hipError_tT1_T2_PT3_SG_jT4_jjP12ihipStream_tbEUlT_E0_NS1_11comp_targetILNS1_3genE6ELNS1_11target_archE950ELNS1_3gpuE13ELNS1_3repE0EEENS1_52radix_sort_onesweep_histogram_config_static_selectorELNS0_4arch9wavefront6targetE1EEEvSE_
; %bb.0:
	.section	.rodata,"a",@progbits
	.p2align	6, 0x0
	.amdhsa_kernel _ZN7rocprim17ROCPRIM_400000_NS6detail17trampoline_kernelINS0_14default_configENS1_35radix_sort_onesweep_config_selectorIalEEZNS1_34radix_sort_onesweep_global_offsetsIS3_Lb0EPaN6thrust23THRUST_200600_302600_NS10device_ptrIlEEjNS0_19identity_decomposerEEE10hipError_tT1_T2_PT3_SG_jT4_jjP12ihipStream_tbEUlT_E0_NS1_11comp_targetILNS1_3genE6ELNS1_11target_archE950ELNS1_3gpuE13ELNS1_3repE0EEENS1_52radix_sort_onesweep_histogram_config_static_selectorELNS0_4arch9wavefront6targetE1EEEvSE_
		.amdhsa_group_segment_fixed_size 0
		.amdhsa_private_segment_fixed_size 0
		.amdhsa_kernarg_size 8
		.amdhsa_user_sgpr_count 6
		.amdhsa_user_sgpr_private_segment_buffer 1
		.amdhsa_user_sgpr_dispatch_ptr 0
		.amdhsa_user_sgpr_queue_ptr 0
		.amdhsa_user_sgpr_kernarg_segment_ptr 1
		.amdhsa_user_sgpr_dispatch_id 0
		.amdhsa_user_sgpr_flat_scratch_init 0
		.amdhsa_user_sgpr_private_segment_size 0
		.amdhsa_uses_dynamic_stack 0
		.amdhsa_system_sgpr_private_segment_wavefront_offset 0
		.amdhsa_system_sgpr_workgroup_id_x 1
		.amdhsa_system_sgpr_workgroup_id_y 0
		.amdhsa_system_sgpr_workgroup_id_z 0
		.amdhsa_system_sgpr_workgroup_info 0
		.amdhsa_system_vgpr_workitem_id 0
		.amdhsa_next_free_vgpr 1
		.amdhsa_next_free_sgpr 0
		.amdhsa_reserve_vcc 0
		.amdhsa_reserve_flat_scratch 0
		.amdhsa_float_round_mode_32 0
		.amdhsa_float_round_mode_16_64 0
		.amdhsa_float_denorm_mode_32 3
		.amdhsa_float_denorm_mode_16_64 3
		.amdhsa_dx10_clamp 1
		.amdhsa_ieee_mode 1
		.amdhsa_fp16_overflow 0
		.amdhsa_exception_fp_ieee_invalid_op 0
		.amdhsa_exception_fp_denorm_src 0
		.amdhsa_exception_fp_ieee_div_zero 0
		.amdhsa_exception_fp_ieee_overflow 0
		.amdhsa_exception_fp_ieee_underflow 0
		.amdhsa_exception_fp_ieee_inexact 0
		.amdhsa_exception_int_div_zero 0
	.end_amdhsa_kernel
	.section	.text._ZN7rocprim17ROCPRIM_400000_NS6detail17trampoline_kernelINS0_14default_configENS1_35radix_sort_onesweep_config_selectorIalEEZNS1_34radix_sort_onesweep_global_offsetsIS3_Lb0EPaN6thrust23THRUST_200600_302600_NS10device_ptrIlEEjNS0_19identity_decomposerEEE10hipError_tT1_T2_PT3_SG_jT4_jjP12ihipStream_tbEUlT_E0_NS1_11comp_targetILNS1_3genE6ELNS1_11target_archE950ELNS1_3gpuE13ELNS1_3repE0EEENS1_52radix_sort_onesweep_histogram_config_static_selectorELNS0_4arch9wavefront6targetE1EEEvSE_,"axG",@progbits,_ZN7rocprim17ROCPRIM_400000_NS6detail17trampoline_kernelINS0_14default_configENS1_35radix_sort_onesweep_config_selectorIalEEZNS1_34radix_sort_onesweep_global_offsetsIS3_Lb0EPaN6thrust23THRUST_200600_302600_NS10device_ptrIlEEjNS0_19identity_decomposerEEE10hipError_tT1_T2_PT3_SG_jT4_jjP12ihipStream_tbEUlT_E0_NS1_11comp_targetILNS1_3genE6ELNS1_11target_archE950ELNS1_3gpuE13ELNS1_3repE0EEENS1_52radix_sort_onesweep_histogram_config_static_selectorELNS0_4arch9wavefront6targetE1EEEvSE_,comdat
.Lfunc_end592:
	.size	_ZN7rocprim17ROCPRIM_400000_NS6detail17trampoline_kernelINS0_14default_configENS1_35radix_sort_onesweep_config_selectorIalEEZNS1_34radix_sort_onesweep_global_offsetsIS3_Lb0EPaN6thrust23THRUST_200600_302600_NS10device_ptrIlEEjNS0_19identity_decomposerEEE10hipError_tT1_T2_PT3_SG_jT4_jjP12ihipStream_tbEUlT_E0_NS1_11comp_targetILNS1_3genE6ELNS1_11target_archE950ELNS1_3gpuE13ELNS1_3repE0EEENS1_52radix_sort_onesweep_histogram_config_static_selectorELNS0_4arch9wavefront6targetE1EEEvSE_, .Lfunc_end592-_ZN7rocprim17ROCPRIM_400000_NS6detail17trampoline_kernelINS0_14default_configENS1_35radix_sort_onesweep_config_selectorIalEEZNS1_34radix_sort_onesweep_global_offsetsIS3_Lb0EPaN6thrust23THRUST_200600_302600_NS10device_ptrIlEEjNS0_19identity_decomposerEEE10hipError_tT1_T2_PT3_SG_jT4_jjP12ihipStream_tbEUlT_E0_NS1_11comp_targetILNS1_3genE6ELNS1_11target_archE950ELNS1_3gpuE13ELNS1_3repE0EEENS1_52radix_sort_onesweep_histogram_config_static_selectorELNS0_4arch9wavefront6targetE1EEEvSE_
                                        ; -- End function
	.set _ZN7rocprim17ROCPRIM_400000_NS6detail17trampoline_kernelINS0_14default_configENS1_35radix_sort_onesweep_config_selectorIalEEZNS1_34radix_sort_onesweep_global_offsetsIS3_Lb0EPaN6thrust23THRUST_200600_302600_NS10device_ptrIlEEjNS0_19identity_decomposerEEE10hipError_tT1_T2_PT3_SG_jT4_jjP12ihipStream_tbEUlT_E0_NS1_11comp_targetILNS1_3genE6ELNS1_11target_archE950ELNS1_3gpuE13ELNS1_3repE0EEENS1_52radix_sort_onesweep_histogram_config_static_selectorELNS0_4arch9wavefront6targetE1EEEvSE_.num_vgpr, 0
	.set _ZN7rocprim17ROCPRIM_400000_NS6detail17trampoline_kernelINS0_14default_configENS1_35radix_sort_onesweep_config_selectorIalEEZNS1_34radix_sort_onesweep_global_offsetsIS3_Lb0EPaN6thrust23THRUST_200600_302600_NS10device_ptrIlEEjNS0_19identity_decomposerEEE10hipError_tT1_T2_PT3_SG_jT4_jjP12ihipStream_tbEUlT_E0_NS1_11comp_targetILNS1_3genE6ELNS1_11target_archE950ELNS1_3gpuE13ELNS1_3repE0EEENS1_52radix_sort_onesweep_histogram_config_static_selectorELNS0_4arch9wavefront6targetE1EEEvSE_.num_agpr, 0
	.set _ZN7rocprim17ROCPRIM_400000_NS6detail17trampoline_kernelINS0_14default_configENS1_35radix_sort_onesweep_config_selectorIalEEZNS1_34radix_sort_onesweep_global_offsetsIS3_Lb0EPaN6thrust23THRUST_200600_302600_NS10device_ptrIlEEjNS0_19identity_decomposerEEE10hipError_tT1_T2_PT3_SG_jT4_jjP12ihipStream_tbEUlT_E0_NS1_11comp_targetILNS1_3genE6ELNS1_11target_archE950ELNS1_3gpuE13ELNS1_3repE0EEENS1_52radix_sort_onesweep_histogram_config_static_selectorELNS0_4arch9wavefront6targetE1EEEvSE_.numbered_sgpr, 0
	.set _ZN7rocprim17ROCPRIM_400000_NS6detail17trampoline_kernelINS0_14default_configENS1_35radix_sort_onesweep_config_selectorIalEEZNS1_34radix_sort_onesweep_global_offsetsIS3_Lb0EPaN6thrust23THRUST_200600_302600_NS10device_ptrIlEEjNS0_19identity_decomposerEEE10hipError_tT1_T2_PT3_SG_jT4_jjP12ihipStream_tbEUlT_E0_NS1_11comp_targetILNS1_3genE6ELNS1_11target_archE950ELNS1_3gpuE13ELNS1_3repE0EEENS1_52radix_sort_onesweep_histogram_config_static_selectorELNS0_4arch9wavefront6targetE1EEEvSE_.num_named_barrier, 0
	.set _ZN7rocprim17ROCPRIM_400000_NS6detail17trampoline_kernelINS0_14default_configENS1_35radix_sort_onesweep_config_selectorIalEEZNS1_34radix_sort_onesweep_global_offsetsIS3_Lb0EPaN6thrust23THRUST_200600_302600_NS10device_ptrIlEEjNS0_19identity_decomposerEEE10hipError_tT1_T2_PT3_SG_jT4_jjP12ihipStream_tbEUlT_E0_NS1_11comp_targetILNS1_3genE6ELNS1_11target_archE950ELNS1_3gpuE13ELNS1_3repE0EEENS1_52radix_sort_onesweep_histogram_config_static_selectorELNS0_4arch9wavefront6targetE1EEEvSE_.private_seg_size, 0
	.set _ZN7rocprim17ROCPRIM_400000_NS6detail17trampoline_kernelINS0_14default_configENS1_35radix_sort_onesweep_config_selectorIalEEZNS1_34radix_sort_onesweep_global_offsetsIS3_Lb0EPaN6thrust23THRUST_200600_302600_NS10device_ptrIlEEjNS0_19identity_decomposerEEE10hipError_tT1_T2_PT3_SG_jT4_jjP12ihipStream_tbEUlT_E0_NS1_11comp_targetILNS1_3genE6ELNS1_11target_archE950ELNS1_3gpuE13ELNS1_3repE0EEENS1_52radix_sort_onesweep_histogram_config_static_selectorELNS0_4arch9wavefront6targetE1EEEvSE_.uses_vcc, 0
	.set _ZN7rocprim17ROCPRIM_400000_NS6detail17trampoline_kernelINS0_14default_configENS1_35radix_sort_onesweep_config_selectorIalEEZNS1_34radix_sort_onesweep_global_offsetsIS3_Lb0EPaN6thrust23THRUST_200600_302600_NS10device_ptrIlEEjNS0_19identity_decomposerEEE10hipError_tT1_T2_PT3_SG_jT4_jjP12ihipStream_tbEUlT_E0_NS1_11comp_targetILNS1_3genE6ELNS1_11target_archE950ELNS1_3gpuE13ELNS1_3repE0EEENS1_52radix_sort_onesweep_histogram_config_static_selectorELNS0_4arch9wavefront6targetE1EEEvSE_.uses_flat_scratch, 0
	.set _ZN7rocprim17ROCPRIM_400000_NS6detail17trampoline_kernelINS0_14default_configENS1_35radix_sort_onesweep_config_selectorIalEEZNS1_34radix_sort_onesweep_global_offsetsIS3_Lb0EPaN6thrust23THRUST_200600_302600_NS10device_ptrIlEEjNS0_19identity_decomposerEEE10hipError_tT1_T2_PT3_SG_jT4_jjP12ihipStream_tbEUlT_E0_NS1_11comp_targetILNS1_3genE6ELNS1_11target_archE950ELNS1_3gpuE13ELNS1_3repE0EEENS1_52radix_sort_onesweep_histogram_config_static_selectorELNS0_4arch9wavefront6targetE1EEEvSE_.has_dyn_sized_stack, 0
	.set _ZN7rocprim17ROCPRIM_400000_NS6detail17trampoline_kernelINS0_14default_configENS1_35radix_sort_onesweep_config_selectorIalEEZNS1_34radix_sort_onesweep_global_offsetsIS3_Lb0EPaN6thrust23THRUST_200600_302600_NS10device_ptrIlEEjNS0_19identity_decomposerEEE10hipError_tT1_T2_PT3_SG_jT4_jjP12ihipStream_tbEUlT_E0_NS1_11comp_targetILNS1_3genE6ELNS1_11target_archE950ELNS1_3gpuE13ELNS1_3repE0EEENS1_52radix_sort_onesweep_histogram_config_static_selectorELNS0_4arch9wavefront6targetE1EEEvSE_.has_recursion, 0
	.set _ZN7rocprim17ROCPRIM_400000_NS6detail17trampoline_kernelINS0_14default_configENS1_35radix_sort_onesweep_config_selectorIalEEZNS1_34radix_sort_onesweep_global_offsetsIS3_Lb0EPaN6thrust23THRUST_200600_302600_NS10device_ptrIlEEjNS0_19identity_decomposerEEE10hipError_tT1_T2_PT3_SG_jT4_jjP12ihipStream_tbEUlT_E0_NS1_11comp_targetILNS1_3genE6ELNS1_11target_archE950ELNS1_3gpuE13ELNS1_3repE0EEENS1_52radix_sort_onesweep_histogram_config_static_selectorELNS0_4arch9wavefront6targetE1EEEvSE_.has_indirect_call, 0
	.section	.AMDGPU.csdata,"",@progbits
; Kernel info:
; codeLenInByte = 0
; TotalNumSgprs: 4
; NumVgprs: 0
; ScratchSize: 0
; MemoryBound: 0
; FloatMode: 240
; IeeeMode: 1
; LDSByteSize: 0 bytes/workgroup (compile time only)
; SGPRBlocks: 0
; VGPRBlocks: 0
; NumSGPRsForWavesPerEU: 4
; NumVGPRsForWavesPerEU: 1
; Occupancy: 10
; WaveLimiterHint : 0
; COMPUTE_PGM_RSRC2:SCRATCH_EN: 0
; COMPUTE_PGM_RSRC2:USER_SGPR: 6
; COMPUTE_PGM_RSRC2:TRAP_HANDLER: 0
; COMPUTE_PGM_RSRC2:TGID_X_EN: 1
; COMPUTE_PGM_RSRC2:TGID_Y_EN: 0
; COMPUTE_PGM_RSRC2:TGID_Z_EN: 0
; COMPUTE_PGM_RSRC2:TIDIG_COMP_CNT: 0
	.section	.text._ZN7rocprim17ROCPRIM_400000_NS6detail17trampoline_kernelINS0_14default_configENS1_35radix_sort_onesweep_config_selectorIalEEZNS1_34radix_sort_onesweep_global_offsetsIS3_Lb0EPaN6thrust23THRUST_200600_302600_NS10device_ptrIlEEjNS0_19identity_decomposerEEE10hipError_tT1_T2_PT3_SG_jT4_jjP12ihipStream_tbEUlT_E0_NS1_11comp_targetILNS1_3genE5ELNS1_11target_archE942ELNS1_3gpuE9ELNS1_3repE0EEENS1_52radix_sort_onesweep_histogram_config_static_selectorELNS0_4arch9wavefront6targetE1EEEvSE_,"axG",@progbits,_ZN7rocprim17ROCPRIM_400000_NS6detail17trampoline_kernelINS0_14default_configENS1_35radix_sort_onesweep_config_selectorIalEEZNS1_34radix_sort_onesweep_global_offsetsIS3_Lb0EPaN6thrust23THRUST_200600_302600_NS10device_ptrIlEEjNS0_19identity_decomposerEEE10hipError_tT1_T2_PT3_SG_jT4_jjP12ihipStream_tbEUlT_E0_NS1_11comp_targetILNS1_3genE5ELNS1_11target_archE942ELNS1_3gpuE9ELNS1_3repE0EEENS1_52radix_sort_onesweep_histogram_config_static_selectorELNS0_4arch9wavefront6targetE1EEEvSE_,comdat
	.protected	_ZN7rocprim17ROCPRIM_400000_NS6detail17trampoline_kernelINS0_14default_configENS1_35radix_sort_onesweep_config_selectorIalEEZNS1_34radix_sort_onesweep_global_offsetsIS3_Lb0EPaN6thrust23THRUST_200600_302600_NS10device_ptrIlEEjNS0_19identity_decomposerEEE10hipError_tT1_T2_PT3_SG_jT4_jjP12ihipStream_tbEUlT_E0_NS1_11comp_targetILNS1_3genE5ELNS1_11target_archE942ELNS1_3gpuE9ELNS1_3repE0EEENS1_52radix_sort_onesweep_histogram_config_static_selectorELNS0_4arch9wavefront6targetE1EEEvSE_ ; -- Begin function _ZN7rocprim17ROCPRIM_400000_NS6detail17trampoline_kernelINS0_14default_configENS1_35radix_sort_onesweep_config_selectorIalEEZNS1_34radix_sort_onesweep_global_offsetsIS3_Lb0EPaN6thrust23THRUST_200600_302600_NS10device_ptrIlEEjNS0_19identity_decomposerEEE10hipError_tT1_T2_PT3_SG_jT4_jjP12ihipStream_tbEUlT_E0_NS1_11comp_targetILNS1_3genE5ELNS1_11target_archE942ELNS1_3gpuE9ELNS1_3repE0EEENS1_52radix_sort_onesweep_histogram_config_static_selectorELNS0_4arch9wavefront6targetE1EEEvSE_
	.globl	_ZN7rocprim17ROCPRIM_400000_NS6detail17trampoline_kernelINS0_14default_configENS1_35radix_sort_onesweep_config_selectorIalEEZNS1_34radix_sort_onesweep_global_offsetsIS3_Lb0EPaN6thrust23THRUST_200600_302600_NS10device_ptrIlEEjNS0_19identity_decomposerEEE10hipError_tT1_T2_PT3_SG_jT4_jjP12ihipStream_tbEUlT_E0_NS1_11comp_targetILNS1_3genE5ELNS1_11target_archE942ELNS1_3gpuE9ELNS1_3repE0EEENS1_52radix_sort_onesweep_histogram_config_static_selectorELNS0_4arch9wavefront6targetE1EEEvSE_
	.p2align	8
	.type	_ZN7rocprim17ROCPRIM_400000_NS6detail17trampoline_kernelINS0_14default_configENS1_35radix_sort_onesweep_config_selectorIalEEZNS1_34radix_sort_onesweep_global_offsetsIS3_Lb0EPaN6thrust23THRUST_200600_302600_NS10device_ptrIlEEjNS0_19identity_decomposerEEE10hipError_tT1_T2_PT3_SG_jT4_jjP12ihipStream_tbEUlT_E0_NS1_11comp_targetILNS1_3genE5ELNS1_11target_archE942ELNS1_3gpuE9ELNS1_3repE0EEENS1_52radix_sort_onesweep_histogram_config_static_selectorELNS0_4arch9wavefront6targetE1EEEvSE_,@function
_ZN7rocprim17ROCPRIM_400000_NS6detail17trampoline_kernelINS0_14default_configENS1_35radix_sort_onesweep_config_selectorIalEEZNS1_34radix_sort_onesweep_global_offsetsIS3_Lb0EPaN6thrust23THRUST_200600_302600_NS10device_ptrIlEEjNS0_19identity_decomposerEEE10hipError_tT1_T2_PT3_SG_jT4_jjP12ihipStream_tbEUlT_E0_NS1_11comp_targetILNS1_3genE5ELNS1_11target_archE942ELNS1_3gpuE9ELNS1_3repE0EEENS1_52radix_sort_onesweep_histogram_config_static_selectorELNS0_4arch9wavefront6targetE1EEEvSE_: ; @_ZN7rocprim17ROCPRIM_400000_NS6detail17trampoline_kernelINS0_14default_configENS1_35radix_sort_onesweep_config_selectorIalEEZNS1_34radix_sort_onesweep_global_offsetsIS3_Lb0EPaN6thrust23THRUST_200600_302600_NS10device_ptrIlEEjNS0_19identity_decomposerEEE10hipError_tT1_T2_PT3_SG_jT4_jjP12ihipStream_tbEUlT_E0_NS1_11comp_targetILNS1_3genE5ELNS1_11target_archE942ELNS1_3gpuE9ELNS1_3repE0EEENS1_52radix_sort_onesweep_histogram_config_static_selectorELNS0_4arch9wavefront6targetE1EEEvSE_
; %bb.0:
	.section	.rodata,"a",@progbits
	.p2align	6, 0x0
	.amdhsa_kernel _ZN7rocprim17ROCPRIM_400000_NS6detail17trampoline_kernelINS0_14default_configENS1_35radix_sort_onesweep_config_selectorIalEEZNS1_34radix_sort_onesweep_global_offsetsIS3_Lb0EPaN6thrust23THRUST_200600_302600_NS10device_ptrIlEEjNS0_19identity_decomposerEEE10hipError_tT1_T2_PT3_SG_jT4_jjP12ihipStream_tbEUlT_E0_NS1_11comp_targetILNS1_3genE5ELNS1_11target_archE942ELNS1_3gpuE9ELNS1_3repE0EEENS1_52radix_sort_onesweep_histogram_config_static_selectorELNS0_4arch9wavefront6targetE1EEEvSE_
		.amdhsa_group_segment_fixed_size 0
		.amdhsa_private_segment_fixed_size 0
		.amdhsa_kernarg_size 8
		.amdhsa_user_sgpr_count 6
		.amdhsa_user_sgpr_private_segment_buffer 1
		.amdhsa_user_sgpr_dispatch_ptr 0
		.amdhsa_user_sgpr_queue_ptr 0
		.amdhsa_user_sgpr_kernarg_segment_ptr 1
		.amdhsa_user_sgpr_dispatch_id 0
		.amdhsa_user_sgpr_flat_scratch_init 0
		.amdhsa_user_sgpr_private_segment_size 0
		.amdhsa_uses_dynamic_stack 0
		.amdhsa_system_sgpr_private_segment_wavefront_offset 0
		.amdhsa_system_sgpr_workgroup_id_x 1
		.amdhsa_system_sgpr_workgroup_id_y 0
		.amdhsa_system_sgpr_workgroup_id_z 0
		.amdhsa_system_sgpr_workgroup_info 0
		.amdhsa_system_vgpr_workitem_id 0
		.amdhsa_next_free_vgpr 1
		.amdhsa_next_free_sgpr 0
		.amdhsa_reserve_vcc 0
		.amdhsa_reserve_flat_scratch 0
		.amdhsa_float_round_mode_32 0
		.amdhsa_float_round_mode_16_64 0
		.amdhsa_float_denorm_mode_32 3
		.amdhsa_float_denorm_mode_16_64 3
		.amdhsa_dx10_clamp 1
		.amdhsa_ieee_mode 1
		.amdhsa_fp16_overflow 0
		.amdhsa_exception_fp_ieee_invalid_op 0
		.amdhsa_exception_fp_denorm_src 0
		.amdhsa_exception_fp_ieee_div_zero 0
		.amdhsa_exception_fp_ieee_overflow 0
		.amdhsa_exception_fp_ieee_underflow 0
		.amdhsa_exception_fp_ieee_inexact 0
		.amdhsa_exception_int_div_zero 0
	.end_amdhsa_kernel
	.section	.text._ZN7rocprim17ROCPRIM_400000_NS6detail17trampoline_kernelINS0_14default_configENS1_35radix_sort_onesweep_config_selectorIalEEZNS1_34radix_sort_onesweep_global_offsetsIS3_Lb0EPaN6thrust23THRUST_200600_302600_NS10device_ptrIlEEjNS0_19identity_decomposerEEE10hipError_tT1_T2_PT3_SG_jT4_jjP12ihipStream_tbEUlT_E0_NS1_11comp_targetILNS1_3genE5ELNS1_11target_archE942ELNS1_3gpuE9ELNS1_3repE0EEENS1_52radix_sort_onesweep_histogram_config_static_selectorELNS0_4arch9wavefront6targetE1EEEvSE_,"axG",@progbits,_ZN7rocprim17ROCPRIM_400000_NS6detail17trampoline_kernelINS0_14default_configENS1_35radix_sort_onesweep_config_selectorIalEEZNS1_34radix_sort_onesweep_global_offsetsIS3_Lb0EPaN6thrust23THRUST_200600_302600_NS10device_ptrIlEEjNS0_19identity_decomposerEEE10hipError_tT1_T2_PT3_SG_jT4_jjP12ihipStream_tbEUlT_E0_NS1_11comp_targetILNS1_3genE5ELNS1_11target_archE942ELNS1_3gpuE9ELNS1_3repE0EEENS1_52radix_sort_onesweep_histogram_config_static_selectorELNS0_4arch9wavefront6targetE1EEEvSE_,comdat
.Lfunc_end593:
	.size	_ZN7rocprim17ROCPRIM_400000_NS6detail17trampoline_kernelINS0_14default_configENS1_35radix_sort_onesweep_config_selectorIalEEZNS1_34radix_sort_onesweep_global_offsetsIS3_Lb0EPaN6thrust23THRUST_200600_302600_NS10device_ptrIlEEjNS0_19identity_decomposerEEE10hipError_tT1_T2_PT3_SG_jT4_jjP12ihipStream_tbEUlT_E0_NS1_11comp_targetILNS1_3genE5ELNS1_11target_archE942ELNS1_3gpuE9ELNS1_3repE0EEENS1_52radix_sort_onesweep_histogram_config_static_selectorELNS0_4arch9wavefront6targetE1EEEvSE_, .Lfunc_end593-_ZN7rocprim17ROCPRIM_400000_NS6detail17trampoline_kernelINS0_14default_configENS1_35radix_sort_onesweep_config_selectorIalEEZNS1_34radix_sort_onesweep_global_offsetsIS3_Lb0EPaN6thrust23THRUST_200600_302600_NS10device_ptrIlEEjNS0_19identity_decomposerEEE10hipError_tT1_T2_PT3_SG_jT4_jjP12ihipStream_tbEUlT_E0_NS1_11comp_targetILNS1_3genE5ELNS1_11target_archE942ELNS1_3gpuE9ELNS1_3repE0EEENS1_52radix_sort_onesweep_histogram_config_static_selectorELNS0_4arch9wavefront6targetE1EEEvSE_
                                        ; -- End function
	.set _ZN7rocprim17ROCPRIM_400000_NS6detail17trampoline_kernelINS0_14default_configENS1_35radix_sort_onesweep_config_selectorIalEEZNS1_34radix_sort_onesweep_global_offsetsIS3_Lb0EPaN6thrust23THRUST_200600_302600_NS10device_ptrIlEEjNS0_19identity_decomposerEEE10hipError_tT1_T2_PT3_SG_jT4_jjP12ihipStream_tbEUlT_E0_NS1_11comp_targetILNS1_3genE5ELNS1_11target_archE942ELNS1_3gpuE9ELNS1_3repE0EEENS1_52radix_sort_onesweep_histogram_config_static_selectorELNS0_4arch9wavefront6targetE1EEEvSE_.num_vgpr, 0
	.set _ZN7rocprim17ROCPRIM_400000_NS6detail17trampoline_kernelINS0_14default_configENS1_35radix_sort_onesweep_config_selectorIalEEZNS1_34radix_sort_onesweep_global_offsetsIS3_Lb0EPaN6thrust23THRUST_200600_302600_NS10device_ptrIlEEjNS0_19identity_decomposerEEE10hipError_tT1_T2_PT3_SG_jT4_jjP12ihipStream_tbEUlT_E0_NS1_11comp_targetILNS1_3genE5ELNS1_11target_archE942ELNS1_3gpuE9ELNS1_3repE0EEENS1_52radix_sort_onesweep_histogram_config_static_selectorELNS0_4arch9wavefront6targetE1EEEvSE_.num_agpr, 0
	.set _ZN7rocprim17ROCPRIM_400000_NS6detail17trampoline_kernelINS0_14default_configENS1_35radix_sort_onesweep_config_selectorIalEEZNS1_34radix_sort_onesweep_global_offsetsIS3_Lb0EPaN6thrust23THRUST_200600_302600_NS10device_ptrIlEEjNS0_19identity_decomposerEEE10hipError_tT1_T2_PT3_SG_jT4_jjP12ihipStream_tbEUlT_E0_NS1_11comp_targetILNS1_3genE5ELNS1_11target_archE942ELNS1_3gpuE9ELNS1_3repE0EEENS1_52radix_sort_onesweep_histogram_config_static_selectorELNS0_4arch9wavefront6targetE1EEEvSE_.numbered_sgpr, 0
	.set _ZN7rocprim17ROCPRIM_400000_NS6detail17trampoline_kernelINS0_14default_configENS1_35radix_sort_onesweep_config_selectorIalEEZNS1_34radix_sort_onesweep_global_offsetsIS3_Lb0EPaN6thrust23THRUST_200600_302600_NS10device_ptrIlEEjNS0_19identity_decomposerEEE10hipError_tT1_T2_PT3_SG_jT4_jjP12ihipStream_tbEUlT_E0_NS1_11comp_targetILNS1_3genE5ELNS1_11target_archE942ELNS1_3gpuE9ELNS1_3repE0EEENS1_52radix_sort_onesweep_histogram_config_static_selectorELNS0_4arch9wavefront6targetE1EEEvSE_.num_named_barrier, 0
	.set _ZN7rocprim17ROCPRIM_400000_NS6detail17trampoline_kernelINS0_14default_configENS1_35radix_sort_onesweep_config_selectorIalEEZNS1_34radix_sort_onesweep_global_offsetsIS3_Lb0EPaN6thrust23THRUST_200600_302600_NS10device_ptrIlEEjNS0_19identity_decomposerEEE10hipError_tT1_T2_PT3_SG_jT4_jjP12ihipStream_tbEUlT_E0_NS1_11comp_targetILNS1_3genE5ELNS1_11target_archE942ELNS1_3gpuE9ELNS1_3repE0EEENS1_52radix_sort_onesweep_histogram_config_static_selectorELNS0_4arch9wavefront6targetE1EEEvSE_.private_seg_size, 0
	.set _ZN7rocprim17ROCPRIM_400000_NS6detail17trampoline_kernelINS0_14default_configENS1_35radix_sort_onesweep_config_selectorIalEEZNS1_34radix_sort_onesweep_global_offsetsIS3_Lb0EPaN6thrust23THRUST_200600_302600_NS10device_ptrIlEEjNS0_19identity_decomposerEEE10hipError_tT1_T2_PT3_SG_jT4_jjP12ihipStream_tbEUlT_E0_NS1_11comp_targetILNS1_3genE5ELNS1_11target_archE942ELNS1_3gpuE9ELNS1_3repE0EEENS1_52radix_sort_onesweep_histogram_config_static_selectorELNS0_4arch9wavefront6targetE1EEEvSE_.uses_vcc, 0
	.set _ZN7rocprim17ROCPRIM_400000_NS6detail17trampoline_kernelINS0_14default_configENS1_35radix_sort_onesweep_config_selectorIalEEZNS1_34radix_sort_onesweep_global_offsetsIS3_Lb0EPaN6thrust23THRUST_200600_302600_NS10device_ptrIlEEjNS0_19identity_decomposerEEE10hipError_tT1_T2_PT3_SG_jT4_jjP12ihipStream_tbEUlT_E0_NS1_11comp_targetILNS1_3genE5ELNS1_11target_archE942ELNS1_3gpuE9ELNS1_3repE0EEENS1_52radix_sort_onesweep_histogram_config_static_selectorELNS0_4arch9wavefront6targetE1EEEvSE_.uses_flat_scratch, 0
	.set _ZN7rocprim17ROCPRIM_400000_NS6detail17trampoline_kernelINS0_14default_configENS1_35radix_sort_onesweep_config_selectorIalEEZNS1_34radix_sort_onesweep_global_offsetsIS3_Lb0EPaN6thrust23THRUST_200600_302600_NS10device_ptrIlEEjNS0_19identity_decomposerEEE10hipError_tT1_T2_PT3_SG_jT4_jjP12ihipStream_tbEUlT_E0_NS1_11comp_targetILNS1_3genE5ELNS1_11target_archE942ELNS1_3gpuE9ELNS1_3repE0EEENS1_52radix_sort_onesweep_histogram_config_static_selectorELNS0_4arch9wavefront6targetE1EEEvSE_.has_dyn_sized_stack, 0
	.set _ZN7rocprim17ROCPRIM_400000_NS6detail17trampoline_kernelINS0_14default_configENS1_35radix_sort_onesweep_config_selectorIalEEZNS1_34radix_sort_onesweep_global_offsetsIS3_Lb0EPaN6thrust23THRUST_200600_302600_NS10device_ptrIlEEjNS0_19identity_decomposerEEE10hipError_tT1_T2_PT3_SG_jT4_jjP12ihipStream_tbEUlT_E0_NS1_11comp_targetILNS1_3genE5ELNS1_11target_archE942ELNS1_3gpuE9ELNS1_3repE0EEENS1_52radix_sort_onesweep_histogram_config_static_selectorELNS0_4arch9wavefront6targetE1EEEvSE_.has_recursion, 0
	.set _ZN7rocprim17ROCPRIM_400000_NS6detail17trampoline_kernelINS0_14default_configENS1_35radix_sort_onesweep_config_selectorIalEEZNS1_34radix_sort_onesweep_global_offsetsIS3_Lb0EPaN6thrust23THRUST_200600_302600_NS10device_ptrIlEEjNS0_19identity_decomposerEEE10hipError_tT1_T2_PT3_SG_jT4_jjP12ihipStream_tbEUlT_E0_NS1_11comp_targetILNS1_3genE5ELNS1_11target_archE942ELNS1_3gpuE9ELNS1_3repE0EEENS1_52radix_sort_onesweep_histogram_config_static_selectorELNS0_4arch9wavefront6targetE1EEEvSE_.has_indirect_call, 0
	.section	.AMDGPU.csdata,"",@progbits
; Kernel info:
; codeLenInByte = 0
; TotalNumSgprs: 4
; NumVgprs: 0
; ScratchSize: 0
; MemoryBound: 0
; FloatMode: 240
; IeeeMode: 1
; LDSByteSize: 0 bytes/workgroup (compile time only)
; SGPRBlocks: 0
; VGPRBlocks: 0
; NumSGPRsForWavesPerEU: 4
; NumVGPRsForWavesPerEU: 1
; Occupancy: 10
; WaveLimiterHint : 0
; COMPUTE_PGM_RSRC2:SCRATCH_EN: 0
; COMPUTE_PGM_RSRC2:USER_SGPR: 6
; COMPUTE_PGM_RSRC2:TRAP_HANDLER: 0
; COMPUTE_PGM_RSRC2:TGID_X_EN: 1
; COMPUTE_PGM_RSRC2:TGID_Y_EN: 0
; COMPUTE_PGM_RSRC2:TGID_Z_EN: 0
; COMPUTE_PGM_RSRC2:TIDIG_COMP_CNT: 0
	.section	.text._ZN7rocprim17ROCPRIM_400000_NS6detail17trampoline_kernelINS0_14default_configENS1_35radix_sort_onesweep_config_selectorIalEEZNS1_34radix_sort_onesweep_global_offsetsIS3_Lb0EPaN6thrust23THRUST_200600_302600_NS10device_ptrIlEEjNS0_19identity_decomposerEEE10hipError_tT1_T2_PT3_SG_jT4_jjP12ihipStream_tbEUlT_E0_NS1_11comp_targetILNS1_3genE2ELNS1_11target_archE906ELNS1_3gpuE6ELNS1_3repE0EEENS1_52radix_sort_onesweep_histogram_config_static_selectorELNS0_4arch9wavefront6targetE1EEEvSE_,"axG",@progbits,_ZN7rocprim17ROCPRIM_400000_NS6detail17trampoline_kernelINS0_14default_configENS1_35radix_sort_onesweep_config_selectorIalEEZNS1_34radix_sort_onesweep_global_offsetsIS3_Lb0EPaN6thrust23THRUST_200600_302600_NS10device_ptrIlEEjNS0_19identity_decomposerEEE10hipError_tT1_T2_PT3_SG_jT4_jjP12ihipStream_tbEUlT_E0_NS1_11comp_targetILNS1_3genE2ELNS1_11target_archE906ELNS1_3gpuE6ELNS1_3repE0EEENS1_52radix_sort_onesweep_histogram_config_static_selectorELNS0_4arch9wavefront6targetE1EEEvSE_,comdat
	.protected	_ZN7rocprim17ROCPRIM_400000_NS6detail17trampoline_kernelINS0_14default_configENS1_35radix_sort_onesweep_config_selectorIalEEZNS1_34radix_sort_onesweep_global_offsetsIS3_Lb0EPaN6thrust23THRUST_200600_302600_NS10device_ptrIlEEjNS0_19identity_decomposerEEE10hipError_tT1_T2_PT3_SG_jT4_jjP12ihipStream_tbEUlT_E0_NS1_11comp_targetILNS1_3genE2ELNS1_11target_archE906ELNS1_3gpuE6ELNS1_3repE0EEENS1_52radix_sort_onesweep_histogram_config_static_selectorELNS0_4arch9wavefront6targetE1EEEvSE_ ; -- Begin function _ZN7rocprim17ROCPRIM_400000_NS6detail17trampoline_kernelINS0_14default_configENS1_35radix_sort_onesweep_config_selectorIalEEZNS1_34radix_sort_onesweep_global_offsetsIS3_Lb0EPaN6thrust23THRUST_200600_302600_NS10device_ptrIlEEjNS0_19identity_decomposerEEE10hipError_tT1_T2_PT3_SG_jT4_jjP12ihipStream_tbEUlT_E0_NS1_11comp_targetILNS1_3genE2ELNS1_11target_archE906ELNS1_3gpuE6ELNS1_3repE0EEENS1_52radix_sort_onesweep_histogram_config_static_selectorELNS0_4arch9wavefront6targetE1EEEvSE_
	.globl	_ZN7rocprim17ROCPRIM_400000_NS6detail17trampoline_kernelINS0_14default_configENS1_35radix_sort_onesweep_config_selectorIalEEZNS1_34radix_sort_onesweep_global_offsetsIS3_Lb0EPaN6thrust23THRUST_200600_302600_NS10device_ptrIlEEjNS0_19identity_decomposerEEE10hipError_tT1_T2_PT3_SG_jT4_jjP12ihipStream_tbEUlT_E0_NS1_11comp_targetILNS1_3genE2ELNS1_11target_archE906ELNS1_3gpuE6ELNS1_3repE0EEENS1_52radix_sort_onesweep_histogram_config_static_selectorELNS0_4arch9wavefront6targetE1EEEvSE_
	.p2align	8
	.type	_ZN7rocprim17ROCPRIM_400000_NS6detail17trampoline_kernelINS0_14default_configENS1_35radix_sort_onesweep_config_selectorIalEEZNS1_34radix_sort_onesweep_global_offsetsIS3_Lb0EPaN6thrust23THRUST_200600_302600_NS10device_ptrIlEEjNS0_19identity_decomposerEEE10hipError_tT1_T2_PT3_SG_jT4_jjP12ihipStream_tbEUlT_E0_NS1_11comp_targetILNS1_3genE2ELNS1_11target_archE906ELNS1_3gpuE6ELNS1_3repE0EEENS1_52radix_sort_onesweep_histogram_config_static_selectorELNS0_4arch9wavefront6targetE1EEEvSE_,@function
_ZN7rocprim17ROCPRIM_400000_NS6detail17trampoline_kernelINS0_14default_configENS1_35radix_sort_onesweep_config_selectorIalEEZNS1_34radix_sort_onesweep_global_offsetsIS3_Lb0EPaN6thrust23THRUST_200600_302600_NS10device_ptrIlEEjNS0_19identity_decomposerEEE10hipError_tT1_T2_PT3_SG_jT4_jjP12ihipStream_tbEUlT_E0_NS1_11comp_targetILNS1_3genE2ELNS1_11target_archE906ELNS1_3gpuE6ELNS1_3repE0EEENS1_52radix_sort_onesweep_histogram_config_static_selectorELNS0_4arch9wavefront6targetE1EEEvSE_: ; @_ZN7rocprim17ROCPRIM_400000_NS6detail17trampoline_kernelINS0_14default_configENS1_35radix_sort_onesweep_config_selectorIalEEZNS1_34radix_sort_onesweep_global_offsetsIS3_Lb0EPaN6thrust23THRUST_200600_302600_NS10device_ptrIlEEjNS0_19identity_decomposerEEE10hipError_tT1_T2_PT3_SG_jT4_jjP12ihipStream_tbEUlT_E0_NS1_11comp_targetILNS1_3genE2ELNS1_11target_archE906ELNS1_3gpuE6ELNS1_3repE0EEENS1_52radix_sort_onesweep_histogram_config_static_selectorELNS0_4arch9wavefront6targetE1EEEvSE_
; %bb.0:
	s_load_dwordx2 s[0:1], s[4:5], 0x0
	s_lshl_b32 s2, s6, 8
	s_mov_b32 s3, 0
	s_lshl_b64 s[2:3], s[2:3], 2
	v_lshlrev_b32_e32 v1, 2, v0
	s_waitcnt lgkmcnt(0)
	s_add_u32 s2, s0, s2
	s_movk_i32 s0, 0x100
	s_addc_u32 s3, s1, s3
	v_cmp_gt_u32_e32 vcc, s0, v0
                                        ; implicit-def: $vgpr3
	s_and_saveexec_b64 s[0:1], vcc
	s_cbranch_execz .LBB594_2
; %bb.1:
	global_load_dword v3, v1, s[2:3]
.LBB594_2:
	s_or_b64 exec, exec, s[0:1]
	v_mbcnt_lo_u32_b32 v2, -1, 0
	v_mbcnt_hi_u32_b32 v2, -1, v2
	v_and_b32_e32 v4, 15, v2
	s_waitcnt vmcnt(0)
	v_mov_b32_dpp v5, v3 row_shr:1 row_mask:0xf bank_mask:0xf
	v_cmp_ne_u32_e64 s[0:1], 0, v4
	v_cndmask_b32_e64 v5, 0, v5, s[0:1]
	v_add_u32_e32 v3, v5, v3
	v_cmp_lt_u32_e64 s[0:1], 1, v4
	s_nop 0
	v_mov_b32_dpp v5, v3 row_shr:2 row_mask:0xf bank_mask:0xf
	v_cndmask_b32_e64 v5, 0, v5, s[0:1]
	v_add_u32_e32 v3, v3, v5
	v_cmp_lt_u32_e64 s[0:1], 3, v4
	s_nop 0
	v_mov_b32_dpp v5, v3 row_shr:4 row_mask:0xf bank_mask:0xf
	;; [unrolled: 5-line block ×3, first 2 shown]
	v_cndmask_b32_e64 v4, 0, v5, s[0:1]
	v_add_u32_e32 v3, v3, v4
	v_bfe_i32 v5, v2, 4, 1
	v_cmp_lt_u32_e64 s[0:1], 31, v2
	v_mov_b32_dpp v4, v3 row_bcast:15 row_mask:0xf bank_mask:0xf
	v_and_b32_e32 v4, v5, v4
	v_add_u32_e32 v3, v3, v4
	v_or_b32_e32 v5, 63, v0
	s_nop 0
	v_mov_b32_dpp v4, v3 row_bcast:31 row_mask:0xf bank_mask:0xf
	v_cndmask_b32_e64 v4, 0, v4, s[0:1]
	v_add_u32_e32 v3, v3, v4
	v_lshrrev_b32_e32 v4, 6, v0
	v_cmp_eq_u32_e64 s[0:1], v0, v5
	s_and_saveexec_b64 s[4:5], s[0:1]
; %bb.3:
	v_lshlrev_b32_e32 v5, 2, v4
	ds_write_b32 v5, v3
; %bb.4:
	s_or_b64 exec, exec, s[4:5]
	v_cmp_gt_u32_e64 s[0:1], 8, v0
	s_waitcnt lgkmcnt(0)
	s_barrier
	s_and_saveexec_b64 s[4:5], s[0:1]
	s_cbranch_execz .LBB594_6
; %bb.5:
	ds_read_b32 v5, v1
	v_and_b32_e32 v6, 7, v2
	v_cmp_ne_u32_e64 s[0:1], 0, v6
	s_waitcnt lgkmcnt(0)
	v_mov_b32_dpp v7, v5 row_shr:1 row_mask:0xf bank_mask:0xf
	v_cndmask_b32_e64 v7, 0, v7, s[0:1]
	v_add_u32_e32 v5, v7, v5
	v_cmp_lt_u32_e64 s[0:1], 1, v6
	s_nop 0
	v_mov_b32_dpp v7, v5 row_shr:2 row_mask:0xf bank_mask:0xf
	v_cndmask_b32_e64 v7, 0, v7, s[0:1]
	v_add_u32_e32 v5, v5, v7
	v_cmp_lt_u32_e64 s[0:1], 3, v6
	s_nop 0
	v_mov_b32_dpp v7, v5 row_shr:4 row_mask:0xf bank_mask:0xf
	v_cndmask_b32_e64 v6, 0, v7, s[0:1]
	v_add_u32_e32 v5, v5, v6
	ds_write_b32 v1, v5
.LBB594_6:
	s_or_b64 exec, exec, s[4:5]
	v_cmp_lt_u32_e64 s[0:1], 63, v0
	v_mov_b32_e32 v0, 0
	s_waitcnt lgkmcnt(0)
	s_barrier
	s_and_saveexec_b64 s[4:5], s[0:1]
; %bb.7:
	v_lshl_add_u32 v0, v4, 2, -4
	ds_read_b32 v0, v0
; %bb.8:
	s_or_b64 exec, exec, s[4:5]
	v_add_u32_e32 v4, -1, v2
	v_and_b32_e32 v5, 64, v2
	v_cmp_lt_i32_e64 s[0:1], v4, v5
	v_cndmask_b32_e64 v4, v4, v2, s[0:1]
	s_waitcnt lgkmcnt(0)
	v_add_u32_e32 v3, v0, v3
	v_lshlrev_b32_e32 v4, 2, v4
	ds_bpermute_b32 v3, v4, v3
	s_and_saveexec_b64 s[0:1], vcc
	s_cbranch_execz .LBB594_10
; %bb.9:
	v_cmp_eq_u32_e32 vcc, 0, v2
	s_waitcnt lgkmcnt(0)
	v_cndmask_b32_e32 v0, v3, v0, vcc
	global_store_dword v1, v0, s[2:3]
.LBB594_10:
	s_endpgm
	.section	.rodata,"a",@progbits
	.p2align	6, 0x0
	.amdhsa_kernel _ZN7rocprim17ROCPRIM_400000_NS6detail17trampoline_kernelINS0_14default_configENS1_35radix_sort_onesweep_config_selectorIalEEZNS1_34radix_sort_onesweep_global_offsetsIS3_Lb0EPaN6thrust23THRUST_200600_302600_NS10device_ptrIlEEjNS0_19identity_decomposerEEE10hipError_tT1_T2_PT3_SG_jT4_jjP12ihipStream_tbEUlT_E0_NS1_11comp_targetILNS1_3genE2ELNS1_11target_archE906ELNS1_3gpuE6ELNS1_3repE0EEENS1_52radix_sort_onesweep_histogram_config_static_selectorELNS0_4arch9wavefront6targetE1EEEvSE_
		.amdhsa_group_segment_fixed_size 32
		.amdhsa_private_segment_fixed_size 0
		.amdhsa_kernarg_size 8
		.amdhsa_user_sgpr_count 6
		.amdhsa_user_sgpr_private_segment_buffer 1
		.amdhsa_user_sgpr_dispatch_ptr 0
		.amdhsa_user_sgpr_queue_ptr 0
		.amdhsa_user_sgpr_kernarg_segment_ptr 1
		.amdhsa_user_sgpr_dispatch_id 0
		.amdhsa_user_sgpr_flat_scratch_init 0
		.amdhsa_user_sgpr_private_segment_size 0
		.amdhsa_uses_dynamic_stack 0
		.amdhsa_system_sgpr_private_segment_wavefront_offset 0
		.amdhsa_system_sgpr_workgroup_id_x 1
		.amdhsa_system_sgpr_workgroup_id_y 0
		.amdhsa_system_sgpr_workgroup_id_z 0
		.amdhsa_system_sgpr_workgroup_info 0
		.amdhsa_system_vgpr_workitem_id 0
		.amdhsa_next_free_vgpr 8
		.amdhsa_next_free_sgpr 7
		.amdhsa_reserve_vcc 1
		.amdhsa_reserve_flat_scratch 0
		.amdhsa_float_round_mode_32 0
		.amdhsa_float_round_mode_16_64 0
		.amdhsa_float_denorm_mode_32 3
		.amdhsa_float_denorm_mode_16_64 3
		.amdhsa_dx10_clamp 1
		.amdhsa_ieee_mode 1
		.amdhsa_fp16_overflow 0
		.amdhsa_exception_fp_ieee_invalid_op 0
		.amdhsa_exception_fp_denorm_src 0
		.amdhsa_exception_fp_ieee_div_zero 0
		.amdhsa_exception_fp_ieee_overflow 0
		.amdhsa_exception_fp_ieee_underflow 0
		.amdhsa_exception_fp_ieee_inexact 0
		.amdhsa_exception_int_div_zero 0
	.end_amdhsa_kernel
	.section	.text._ZN7rocprim17ROCPRIM_400000_NS6detail17trampoline_kernelINS0_14default_configENS1_35radix_sort_onesweep_config_selectorIalEEZNS1_34radix_sort_onesweep_global_offsetsIS3_Lb0EPaN6thrust23THRUST_200600_302600_NS10device_ptrIlEEjNS0_19identity_decomposerEEE10hipError_tT1_T2_PT3_SG_jT4_jjP12ihipStream_tbEUlT_E0_NS1_11comp_targetILNS1_3genE2ELNS1_11target_archE906ELNS1_3gpuE6ELNS1_3repE0EEENS1_52radix_sort_onesweep_histogram_config_static_selectorELNS0_4arch9wavefront6targetE1EEEvSE_,"axG",@progbits,_ZN7rocprim17ROCPRIM_400000_NS6detail17trampoline_kernelINS0_14default_configENS1_35radix_sort_onesweep_config_selectorIalEEZNS1_34radix_sort_onesweep_global_offsetsIS3_Lb0EPaN6thrust23THRUST_200600_302600_NS10device_ptrIlEEjNS0_19identity_decomposerEEE10hipError_tT1_T2_PT3_SG_jT4_jjP12ihipStream_tbEUlT_E0_NS1_11comp_targetILNS1_3genE2ELNS1_11target_archE906ELNS1_3gpuE6ELNS1_3repE0EEENS1_52radix_sort_onesweep_histogram_config_static_selectorELNS0_4arch9wavefront6targetE1EEEvSE_,comdat
.Lfunc_end594:
	.size	_ZN7rocprim17ROCPRIM_400000_NS6detail17trampoline_kernelINS0_14default_configENS1_35radix_sort_onesweep_config_selectorIalEEZNS1_34radix_sort_onesweep_global_offsetsIS3_Lb0EPaN6thrust23THRUST_200600_302600_NS10device_ptrIlEEjNS0_19identity_decomposerEEE10hipError_tT1_T2_PT3_SG_jT4_jjP12ihipStream_tbEUlT_E0_NS1_11comp_targetILNS1_3genE2ELNS1_11target_archE906ELNS1_3gpuE6ELNS1_3repE0EEENS1_52radix_sort_onesweep_histogram_config_static_selectorELNS0_4arch9wavefront6targetE1EEEvSE_, .Lfunc_end594-_ZN7rocprim17ROCPRIM_400000_NS6detail17trampoline_kernelINS0_14default_configENS1_35radix_sort_onesweep_config_selectorIalEEZNS1_34radix_sort_onesweep_global_offsetsIS3_Lb0EPaN6thrust23THRUST_200600_302600_NS10device_ptrIlEEjNS0_19identity_decomposerEEE10hipError_tT1_T2_PT3_SG_jT4_jjP12ihipStream_tbEUlT_E0_NS1_11comp_targetILNS1_3genE2ELNS1_11target_archE906ELNS1_3gpuE6ELNS1_3repE0EEENS1_52radix_sort_onesweep_histogram_config_static_selectorELNS0_4arch9wavefront6targetE1EEEvSE_
                                        ; -- End function
	.set _ZN7rocprim17ROCPRIM_400000_NS6detail17trampoline_kernelINS0_14default_configENS1_35radix_sort_onesweep_config_selectorIalEEZNS1_34radix_sort_onesweep_global_offsetsIS3_Lb0EPaN6thrust23THRUST_200600_302600_NS10device_ptrIlEEjNS0_19identity_decomposerEEE10hipError_tT1_T2_PT3_SG_jT4_jjP12ihipStream_tbEUlT_E0_NS1_11comp_targetILNS1_3genE2ELNS1_11target_archE906ELNS1_3gpuE6ELNS1_3repE0EEENS1_52radix_sort_onesweep_histogram_config_static_selectorELNS0_4arch9wavefront6targetE1EEEvSE_.num_vgpr, 8
	.set _ZN7rocprim17ROCPRIM_400000_NS6detail17trampoline_kernelINS0_14default_configENS1_35radix_sort_onesweep_config_selectorIalEEZNS1_34radix_sort_onesweep_global_offsetsIS3_Lb0EPaN6thrust23THRUST_200600_302600_NS10device_ptrIlEEjNS0_19identity_decomposerEEE10hipError_tT1_T2_PT3_SG_jT4_jjP12ihipStream_tbEUlT_E0_NS1_11comp_targetILNS1_3genE2ELNS1_11target_archE906ELNS1_3gpuE6ELNS1_3repE0EEENS1_52radix_sort_onesweep_histogram_config_static_selectorELNS0_4arch9wavefront6targetE1EEEvSE_.num_agpr, 0
	.set _ZN7rocprim17ROCPRIM_400000_NS6detail17trampoline_kernelINS0_14default_configENS1_35radix_sort_onesweep_config_selectorIalEEZNS1_34radix_sort_onesweep_global_offsetsIS3_Lb0EPaN6thrust23THRUST_200600_302600_NS10device_ptrIlEEjNS0_19identity_decomposerEEE10hipError_tT1_T2_PT3_SG_jT4_jjP12ihipStream_tbEUlT_E0_NS1_11comp_targetILNS1_3genE2ELNS1_11target_archE906ELNS1_3gpuE6ELNS1_3repE0EEENS1_52radix_sort_onesweep_histogram_config_static_selectorELNS0_4arch9wavefront6targetE1EEEvSE_.numbered_sgpr, 7
	.set _ZN7rocprim17ROCPRIM_400000_NS6detail17trampoline_kernelINS0_14default_configENS1_35radix_sort_onesweep_config_selectorIalEEZNS1_34radix_sort_onesweep_global_offsetsIS3_Lb0EPaN6thrust23THRUST_200600_302600_NS10device_ptrIlEEjNS0_19identity_decomposerEEE10hipError_tT1_T2_PT3_SG_jT4_jjP12ihipStream_tbEUlT_E0_NS1_11comp_targetILNS1_3genE2ELNS1_11target_archE906ELNS1_3gpuE6ELNS1_3repE0EEENS1_52radix_sort_onesweep_histogram_config_static_selectorELNS0_4arch9wavefront6targetE1EEEvSE_.num_named_barrier, 0
	.set _ZN7rocprim17ROCPRIM_400000_NS6detail17trampoline_kernelINS0_14default_configENS1_35radix_sort_onesweep_config_selectorIalEEZNS1_34radix_sort_onesweep_global_offsetsIS3_Lb0EPaN6thrust23THRUST_200600_302600_NS10device_ptrIlEEjNS0_19identity_decomposerEEE10hipError_tT1_T2_PT3_SG_jT4_jjP12ihipStream_tbEUlT_E0_NS1_11comp_targetILNS1_3genE2ELNS1_11target_archE906ELNS1_3gpuE6ELNS1_3repE0EEENS1_52radix_sort_onesweep_histogram_config_static_selectorELNS0_4arch9wavefront6targetE1EEEvSE_.private_seg_size, 0
	.set _ZN7rocprim17ROCPRIM_400000_NS6detail17trampoline_kernelINS0_14default_configENS1_35radix_sort_onesweep_config_selectorIalEEZNS1_34radix_sort_onesweep_global_offsetsIS3_Lb0EPaN6thrust23THRUST_200600_302600_NS10device_ptrIlEEjNS0_19identity_decomposerEEE10hipError_tT1_T2_PT3_SG_jT4_jjP12ihipStream_tbEUlT_E0_NS1_11comp_targetILNS1_3genE2ELNS1_11target_archE906ELNS1_3gpuE6ELNS1_3repE0EEENS1_52radix_sort_onesweep_histogram_config_static_selectorELNS0_4arch9wavefront6targetE1EEEvSE_.uses_vcc, 1
	.set _ZN7rocprim17ROCPRIM_400000_NS6detail17trampoline_kernelINS0_14default_configENS1_35radix_sort_onesweep_config_selectorIalEEZNS1_34radix_sort_onesweep_global_offsetsIS3_Lb0EPaN6thrust23THRUST_200600_302600_NS10device_ptrIlEEjNS0_19identity_decomposerEEE10hipError_tT1_T2_PT3_SG_jT4_jjP12ihipStream_tbEUlT_E0_NS1_11comp_targetILNS1_3genE2ELNS1_11target_archE906ELNS1_3gpuE6ELNS1_3repE0EEENS1_52radix_sort_onesweep_histogram_config_static_selectorELNS0_4arch9wavefront6targetE1EEEvSE_.uses_flat_scratch, 0
	.set _ZN7rocprim17ROCPRIM_400000_NS6detail17trampoline_kernelINS0_14default_configENS1_35radix_sort_onesweep_config_selectorIalEEZNS1_34radix_sort_onesweep_global_offsetsIS3_Lb0EPaN6thrust23THRUST_200600_302600_NS10device_ptrIlEEjNS0_19identity_decomposerEEE10hipError_tT1_T2_PT3_SG_jT4_jjP12ihipStream_tbEUlT_E0_NS1_11comp_targetILNS1_3genE2ELNS1_11target_archE906ELNS1_3gpuE6ELNS1_3repE0EEENS1_52radix_sort_onesweep_histogram_config_static_selectorELNS0_4arch9wavefront6targetE1EEEvSE_.has_dyn_sized_stack, 0
	.set _ZN7rocprim17ROCPRIM_400000_NS6detail17trampoline_kernelINS0_14default_configENS1_35radix_sort_onesweep_config_selectorIalEEZNS1_34radix_sort_onesweep_global_offsetsIS3_Lb0EPaN6thrust23THRUST_200600_302600_NS10device_ptrIlEEjNS0_19identity_decomposerEEE10hipError_tT1_T2_PT3_SG_jT4_jjP12ihipStream_tbEUlT_E0_NS1_11comp_targetILNS1_3genE2ELNS1_11target_archE906ELNS1_3gpuE6ELNS1_3repE0EEENS1_52radix_sort_onesweep_histogram_config_static_selectorELNS0_4arch9wavefront6targetE1EEEvSE_.has_recursion, 0
	.set _ZN7rocprim17ROCPRIM_400000_NS6detail17trampoline_kernelINS0_14default_configENS1_35radix_sort_onesweep_config_selectorIalEEZNS1_34radix_sort_onesweep_global_offsetsIS3_Lb0EPaN6thrust23THRUST_200600_302600_NS10device_ptrIlEEjNS0_19identity_decomposerEEE10hipError_tT1_T2_PT3_SG_jT4_jjP12ihipStream_tbEUlT_E0_NS1_11comp_targetILNS1_3genE2ELNS1_11target_archE906ELNS1_3gpuE6ELNS1_3repE0EEENS1_52radix_sort_onesweep_histogram_config_static_selectorELNS0_4arch9wavefront6targetE1EEEvSE_.has_indirect_call, 0
	.section	.AMDGPU.csdata,"",@progbits
; Kernel info:
; codeLenInByte = 568
; TotalNumSgprs: 11
; NumVgprs: 8
; ScratchSize: 0
; MemoryBound: 0
; FloatMode: 240
; IeeeMode: 1
; LDSByteSize: 32 bytes/workgroup (compile time only)
; SGPRBlocks: 1
; VGPRBlocks: 1
; NumSGPRsForWavesPerEU: 11
; NumVGPRsForWavesPerEU: 8
; Occupancy: 10
; WaveLimiterHint : 0
; COMPUTE_PGM_RSRC2:SCRATCH_EN: 0
; COMPUTE_PGM_RSRC2:USER_SGPR: 6
; COMPUTE_PGM_RSRC2:TRAP_HANDLER: 0
; COMPUTE_PGM_RSRC2:TGID_X_EN: 1
; COMPUTE_PGM_RSRC2:TGID_Y_EN: 0
; COMPUTE_PGM_RSRC2:TGID_Z_EN: 0
; COMPUTE_PGM_RSRC2:TIDIG_COMP_CNT: 0
	.section	.text._ZN7rocprim17ROCPRIM_400000_NS6detail17trampoline_kernelINS0_14default_configENS1_35radix_sort_onesweep_config_selectorIalEEZNS1_34radix_sort_onesweep_global_offsetsIS3_Lb0EPaN6thrust23THRUST_200600_302600_NS10device_ptrIlEEjNS0_19identity_decomposerEEE10hipError_tT1_T2_PT3_SG_jT4_jjP12ihipStream_tbEUlT_E0_NS1_11comp_targetILNS1_3genE4ELNS1_11target_archE910ELNS1_3gpuE8ELNS1_3repE0EEENS1_52radix_sort_onesweep_histogram_config_static_selectorELNS0_4arch9wavefront6targetE1EEEvSE_,"axG",@progbits,_ZN7rocprim17ROCPRIM_400000_NS6detail17trampoline_kernelINS0_14default_configENS1_35radix_sort_onesweep_config_selectorIalEEZNS1_34radix_sort_onesweep_global_offsetsIS3_Lb0EPaN6thrust23THRUST_200600_302600_NS10device_ptrIlEEjNS0_19identity_decomposerEEE10hipError_tT1_T2_PT3_SG_jT4_jjP12ihipStream_tbEUlT_E0_NS1_11comp_targetILNS1_3genE4ELNS1_11target_archE910ELNS1_3gpuE8ELNS1_3repE0EEENS1_52radix_sort_onesweep_histogram_config_static_selectorELNS0_4arch9wavefront6targetE1EEEvSE_,comdat
	.protected	_ZN7rocprim17ROCPRIM_400000_NS6detail17trampoline_kernelINS0_14default_configENS1_35radix_sort_onesweep_config_selectorIalEEZNS1_34radix_sort_onesweep_global_offsetsIS3_Lb0EPaN6thrust23THRUST_200600_302600_NS10device_ptrIlEEjNS0_19identity_decomposerEEE10hipError_tT1_T2_PT3_SG_jT4_jjP12ihipStream_tbEUlT_E0_NS1_11comp_targetILNS1_3genE4ELNS1_11target_archE910ELNS1_3gpuE8ELNS1_3repE0EEENS1_52radix_sort_onesweep_histogram_config_static_selectorELNS0_4arch9wavefront6targetE1EEEvSE_ ; -- Begin function _ZN7rocprim17ROCPRIM_400000_NS6detail17trampoline_kernelINS0_14default_configENS1_35radix_sort_onesweep_config_selectorIalEEZNS1_34radix_sort_onesweep_global_offsetsIS3_Lb0EPaN6thrust23THRUST_200600_302600_NS10device_ptrIlEEjNS0_19identity_decomposerEEE10hipError_tT1_T2_PT3_SG_jT4_jjP12ihipStream_tbEUlT_E0_NS1_11comp_targetILNS1_3genE4ELNS1_11target_archE910ELNS1_3gpuE8ELNS1_3repE0EEENS1_52radix_sort_onesweep_histogram_config_static_selectorELNS0_4arch9wavefront6targetE1EEEvSE_
	.globl	_ZN7rocprim17ROCPRIM_400000_NS6detail17trampoline_kernelINS0_14default_configENS1_35radix_sort_onesweep_config_selectorIalEEZNS1_34radix_sort_onesweep_global_offsetsIS3_Lb0EPaN6thrust23THRUST_200600_302600_NS10device_ptrIlEEjNS0_19identity_decomposerEEE10hipError_tT1_T2_PT3_SG_jT4_jjP12ihipStream_tbEUlT_E0_NS1_11comp_targetILNS1_3genE4ELNS1_11target_archE910ELNS1_3gpuE8ELNS1_3repE0EEENS1_52radix_sort_onesweep_histogram_config_static_selectorELNS0_4arch9wavefront6targetE1EEEvSE_
	.p2align	8
	.type	_ZN7rocprim17ROCPRIM_400000_NS6detail17trampoline_kernelINS0_14default_configENS1_35radix_sort_onesweep_config_selectorIalEEZNS1_34radix_sort_onesweep_global_offsetsIS3_Lb0EPaN6thrust23THRUST_200600_302600_NS10device_ptrIlEEjNS0_19identity_decomposerEEE10hipError_tT1_T2_PT3_SG_jT4_jjP12ihipStream_tbEUlT_E0_NS1_11comp_targetILNS1_3genE4ELNS1_11target_archE910ELNS1_3gpuE8ELNS1_3repE0EEENS1_52radix_sort_onesweep_histogram_config_static_selectorELNS0_4arch9wavefront6targetE1EEEvSE_,@function
_ZN7rocprim17ROCPRIM_400000_NS6detail17trampoline_kernelINS0_14default_configENS1_35radix_sort_onesweep_config_selectorIalEEZNS1_34radix_sort_onesweep_global_offsetsIS3_Lb0EPaN6thrust23THRUST_200600_302600_NS10device_ptrIlEEjNS0_19identity_decomposerEEE10hipError_tT1_T2_PT3_SG_jT4_jjP12ihipStream_tbEUlT_E0_NS1_11comp_targetILNS1_3genE4ELNS1_11target_archE910ELNS1_3gpuE8ELNS1_3repE0EEENS1_52radix_sort_onesweep_histogram_config_static_selectorELNS0_4arch9wavefront6targetE1EEEvSE_: ; @_ZN7rocprim17ROCPRIM_400000_NS6detail17trampoline_kernelINS0_14default_configENS1_35radix_sort_onesweep_config_selectorIalEEZNS1_34radix_sort_onesweep_global_offsetsIS3_Lb0EPaN6thrust23THRUST_200600_302600_NS10device_ptrIlEEjNS0_19identity_decomposerEEE10hipError_tT1_T2_PT3_SG_jT4_jjP12ihipStream_tbEUlT_E0_NS1_11comp_targetILNS1_3genE4ELNS1_11target_archE910ELNS1_3gpuE8ELNS1_3repE0EEENS1_52radix_sort_onesweep_histogram_config_static_selectorELNS0_4arch9wavefront6targetE1EEEvSE_
; %bb.0:
	.section	.rodata,"a",@progbits
	.p2align	6, 0x0
	.amdhsa_kernel _ZN7rocprim17ROCPRIM_400000_NS6detail17trampoline_kernelINS0_14default_configENS1_35radix_sort_onesweep_config_selectorIalEEZNS1_34radix_sort_onesweep_global_offsetsIS3_Lb0EPaN6thrust23THRUST_200600_302600_NS10device_ptrIlEEjNS0_19identity_decomposerEEE10hipError_tT1_T2_PT3_SG_jT4_jjP12ihipStream_tbEUlT_E0_NS1_11comp_targetILNS1_3genE4ELNS1_11target_archE910ELNS1_3gpuE8ELNS1_3repE0EEENS1_52radix_sort_onesweep_histogram_config_static_selectorELNS0_4arch9wavefront6targetE1EEEvSE_
		.amdhsa_group_segment_fixed_size 0
		.amdhsa_private_segment_fixed_size 0
		.amdhsa_kernarg_size 8
		.amdhsa_user_sgpr_count 6
		.amdhsa_user_sgpr_private_segment_buffer 1
		.amdhsa_user_sgpr_dispatch_ptr 0
		.amdhsa_user_sgpr_queue_ptr 0
		.amdhsa_user_sgpr_kernarg_segment_ptr 1
		.amdhsa_user_sgpr_dispatch_id 0
		.amdhsa_user_sgpr_flat_scratch_init 0
		.amdhsa_user_sgpr_private_segment_size 0
		.amdhsa_uses_dynamic_stack 0
		.amdhsa_system_sgpr_private_segment_wavefront_offset 0
		.amdhsa_system_sgpr_workgroup_id_x 1
		.amdhsa_system_sgpr_workgroup_id_y 0
		.amdhsa_system_sgpr_workgroup_id_z 0
		.amdhsa_system_sgpr_workgroup_info 0
		.amdhsa_system_vgpr_workitem_id 0
		.amdhsa_next_free_vgpr 1
		.amdhsa_next_free_sgpr 0
		.amdhsa_reserve_vcc 0
		.amdhsa_reserve_flat_scratch 0
		.amdhsa_float_round_mode_32 0
		.amdhsa_float_round_mode_16_64 0
		.amdhsa_float_denorm_mode_32 3
		.amdhsa_float_denorm_mode_16_64 3
		.amdhsa_dx10_clamp 1
		.amdhsa_ieee_mode 1
		.amdhsa_fp16_overflow 0
		.amdhsa_exception_fp_ieee_invalid_op 0
		.amdhsa_exception_fp_denorm_src 0
		.amdhsa_exception_fp_ieee_div_zero 0
		.amdhsa_exception_fp_ieee_overflow 0
		.amdhsa_exception_fp_ieee_underflow 0
		.amdhsa_exception_fp_ieee_inexact 0
		.amdhsa_exception_int_div_zero 0
	.end_amdhsa_kernel
	.section	.text._ZN7rocprim17ROCPRIM_400000_NS6detail17trampoline_kernelINS0_14default_configENS1_35radix_sort_onesweep_config_selectorIalEEZNS1_34radix_sort_onesweep_global_offsetsIS3_Lb0EPaN6thrust23THRUST_200600_302600_NS10device_ptrIlEEjNS0_19identity_decomposerEEE10hipError_tT1_T2_PT3_SG_jT4_jjP12ihipStream_tbEUlT_E0_NS1_11comp_targetILNS1_3genE4ELNS1_11target_archE910ELNS1_3gpuE8ELNS1_3repE0EEENS1_52radix_sort_onesweep_histogram_config_static_selectorELNS0_4arch9wavefront6targetE1EEEvSE_,"axG",@progbits,_ZN7rocprim17ROCPRIM_400000_NS6detail17trampoline_kernelINS0_14default_configENS1_35radix_sort_onesweep_config_selectorIalEEZNS1_34radix_sort_onesweep_global_offsetsIS3_Lb0EPaN6thrust23THRUST_200600_302600_NS10device_ptrIlEEjNS0_19identity_decomposerEEE10hipError_tT1_T2_PT3_SG_jT4_jjP12ihipStream_tbEUlT_E0_NS1_11comp_targetILNS1_3genE4ELNS1_11target_archE910ELNS1_3gpuE8ELNS1_3repE0EEENS1_52radix_sort_onesweep_histogram_config_static_selectorELNS0_4arch9wavefront6targetE1EEEvSE_,comdat
.Lfunc_end595:
	.size	_ZN7rocprim17ROCPRIM_400000_NS6detail17trampoline_kernelINS0_14default_configENS1_35radix_sort_onesweep_config_selectorIalEEZNS1_34radix_sort_onesweep_global_offsetsIS3_Lb0EPaN6thrust23THRUST_200600_302600_NS10device_ptrIlEEjNS0_19identity_decomposerEEE10hipError_tT1_T2_PT3_SG_jT4_jjP12ihipStream_tbEUlT_E0_NS1_11comp_targetILNS1_3genE4ELNS1_11target_archE910ELNS1_3gpuE8ELNS1_3repE0EEENS1_52radix_sort_onesweep_histogram_config_static_selectorELNS0_4arch9wavefront6targetE1EEEvSE_, .Lfunc_end595-_ZN7rocprim17ROCPRIM_400000_NS6detail17trampoline_kernelINS0_14default_configENS1_35radix_sort_onesweep_config_selectorIalEEZNS1_34radix_sort_onesweep_global_offsetsIS3_Lb0EPaN6thrust23THRUST_200600_302600_NS10device_ptrIlEEjNS0_19identity_decomposerEEE10hipError_tT1_T2_PT3_SG_jT4_jjP12ihipStream_tbEUlT_E0_NS1_11comp_targetILNS1_3genE4ELNS1_11target_archE910ELNS1_3gpuE8ELNS1_3repE0EEENS1_52radix_sort_onesweep_histogram_config_static_selectorELNS0_4arch9wavefront6targetE1EEEvSE_
                                        ; -- End function
	.set _ZN7rocprim17ROCPRIM_400000_NS6detail17trampoline_kernelINS0_14default_configENS1_35radix_sort_onesweep_config_selectorIalEEZNS1_34radix_sort_onesweep_global_offsetsIS3_Lb0EPaN6thrust23THRUST_200600_302600_NS10device_ptrIlEEjNS0_19identity_decomposerEEE10hipError_tT1_T2_PT3_SG_jT4_jjP12ihipStream_tbEUlT_E0_NS1_11comp_targetILNS1_3genE4ELNS1_11target_archE910ELNS1_3gpuE8ELNS1_3repE0EEENS1_52radix_sort_onesweep_histogram_config_static_selectorELNS0_4arch9wavefront6targetE1EEEvSE_.num_vgpr, 0
	.set _ZN7rocprim17ROCPRIM_400000_NS6detail17trampoline_kernelINS0_14default_configENS1_35radix_sort_onesweep_config_selectorIalEEZNS1_34radix_sort_onesweep_global_offsetsIS3_Lb0EPaN6thrust23THRUST_200600_302600_NS10device_ptrIlEEjNS0_19identity_decomposerEEE10hipError_tT1_T2_PT3_SG_jT4_jjP12ihipStream_tbEUlT_E0_NS1_11comp_targetILNS1_3genE4ELNS1_11target_archE910ELNS1_3gpuE8ELNS1_3repE0EEENS1_52radix_sort_onesweep_histogram_config_static_selectorELNS0_4arch9wavefront6targetE1EEEvSE_.num_agpr, 0
	.set _ZN7rocprim17ROCPRIM_400000_NS6detail17trampoline_kernelINS0_14default_configENS1_35radix_sort_onesweep_config_selectorIalEEZNS1_34radix_sort_onesweep_global_offsetsIS3_Lb0EPaN6thrust23THRUST_200600_302600_NS10device_ptrIlEEjNS0_19identity_decomposerEEE10hipError_tT1_T2_PT3_SG_jT4_jjP12ihipStream_tbEUlT_E0_NS1_11comp_targetILNS1_3genE4ELNS1_11target_archE910ELNS1_3gpuE8ELNS1_3repE0EEENS1_52radix_sort_onesweep_histogram_config_static_selectorELNS0_4arch9wavefront6targetE1EEEvSE_.numbered_sgpr, 0
	.set _ZN7rocprim17ROCPRIM_400000_NS6detail17trampoline_kernelINS0_14default_configENS1_35radix_sort_onesweep_config_selectorIalEEZNS1_34radix_sort_onesweep_global_offsetsIS3_Lb0EPaN6thrust23THRUST_200600_302600_NS10device_ptrIlEEjNS0_19identity_decomposerEEE10hipError_tT1_T2_PT3_SG_jT4_jjP12ihipStream_tbEUlT_E0_NS1_11comp_targetILNS1_3genE4ELNS1_11target_archE910ELNS1_3gpuE8ELNS1_3repE0EEENS1_52radix_sort_onesweep_histogram_config_static_selectorELNS0_4arch9wavefront6targetE1EEEvSE_.num_named_barrier, 0
	.set _ZN7rocprim17ROCPRIM_400000_NS6detail17trampoline_kernelINS0_14default_configENS1_35radix_sort_onesweep_config_selectorIalEEZNS1_34radix_sort_onesweep_global_offsetsIS3_Lb0EPaN6thrust23THRUST_200600_302600_NS10device_ptrIlEEjNS0_19identity_decomposerEEE10hipError_tT1_T2_PT3_SG_jT4_jjP12ihipStream_tbEUlT_E0_NS1_11comp_targetILNS1_3genE4ELNS1_11target_archE910ELNS1_3gpuE8ELNS1_3repE0EEENS1_52radix_sort_onesweep_histogram_config_static_selectorELNS0_4arch9wavefront6targetE1EEEvSE_.private_seg_size, 0
	.set _ZN7rocprim17ROCPRIM_400000_NS6detail17trampoline_kernelINS0_14default_configENS1_35radix_sort_onesweep_config_selectorIalEEZNS1_34radix_sort_onesweep_global_offsetsIS3_Lb0EPaN6thrust23THRUST_200600_302600_NS10device_ptrIlEEjNS0_19identity_decomposerEEE10hipError_tT1_T2_PT3_SG_jT4_jjP12ihipStream_tbEUlT_E0_NS1_11comp_targetILNS1_3genE4ELNS1_11target_archE910ELNS1_3gpuE8ELNS1_3repE0EEENS1_52radix_sort_onesweep_histogram_config_static_selectorELNS0_4arch9wavefront6targetE1EEEvSE_.uses_vcc, 0
	.set _ZN7rocprim17ROCPRIM_400000_NS6detail17trampoline_kernelINS0_14default_configENS1_35radix_sort_onesweep_config_selectorIalEEZNS1_34radix_sort_onesweep_global_offsetsIS3_Lb0EPaN6thrust23THRUST_200600_302600_NS10device_ptrIlEEjNS0_19identity_decomposerEEE10hipError_tT1_T2_PT3_SG_jT4_jjP12ihipStream_tbEUlT_E0_NS1_11comp_targetILNS1_3genE4ELNS1_11target_archE910ELNS1_3gpuE8ELNS1_3repE0EEENS1_52radix_sort_onesweep_histogram_config_static_selectorELNS0_4arch9wavefront6targetE1EEEvSE_.uses_flat_scratch, 0
	.set _ZN7rocprim17ROCPRIM_400000_NS6detail17trampoline_kernelINS0_14default_configENS1_35radix_sort_onesweep_config_selectorIalEEZNS1_34radix_sort_onesweep_global_offsetsIS3_Lb0EPaN6thrust23THRUST_200600_302600_NS10device_ptrIlEEjNS0_19identity_decomposerEEE10hipError_tT1_T2_PT3_SG_jT4_jjP12ihipStream_tbEUlT_E0_NS1_11comp_targetILNS1_3genE4ELNS1_11target_archE910ELNS1_3gpuE8ELNS1_3repE0EEENS1_52radix_sort_onesweep_histogram_config_static_selectorELNS0_4arch9wavefront6targetE1EEEvSE_.has_dyn_sized_stack, 0
	.set _ZN7rocprim17ROCPRIM_400000_NS6detail17trampoline_kernelINS0_14default_configENS1_35radix_sort_onesweep_config_selectorIalEEZNS1_34radix_sort_onesweep_global_offsetsIS3_Lb0EPaN6thrust23THRUST_200600_302600_NS10device_ptrIlEEjNS0_19identity_decomposerEEE10hipError_tT1_T2_PT3_SG_jT4_jjP12ihipStream_tbEUlT_E0_NS1_11comp_targetILNS1_3genE4ELNS1_11target_archE910ELNS1_3gpuE8ELNS1_3repE0EEENS1_52radix_sort_onesweep_histogram_config_static_selectorELNS0_4arch9wavefront6targetE1EEEvSE_.has_recursion, 0
	.set _ZN7rocprim17ROCPRIM_400000_NS6detail17trampoline_kernelINS0_14default_configENS1_35radix_sort_onesweep_config_selectorIalEEZNS1_34radix_sort_onesweep_global_offsetsIS3_Lb0EPaN6thrust23THRUST_200600_302600_NS10device_ptrIlEEjNS0_19identity_decomposerEEE10hipError_tT1_T2_PT3_SG_jT4_jjP12ihipStream_tbEUlT_E0_NS1_11comp_targetILNS1_3genE4ELNS1_11target_archE910ELNS1_3gpuE8ELNS1_3repE0EEENS1_52radix_sort_onesweep_histogram_config_static_selectorELNS0_4arch9wavefront6targetE1EEEvSE_.has_indirect_call, 0
	.section	.AMDGPU.csdata,"",@progbits
; Kernel info:
; codeLenInByte = 0
; TotalNumSgprs: 4
; NumVgprs: 0
; ScratchSize: 0
; MemoryBound: 0
; FloatMode: 240
; IeeeMode: 1
; LDSByteSize: 0 bytes/workgroup (compile time only)
; SGPRBlocks: 0
; VGPRBlocks: 0
; NumSGPRsForWavesPerEU: 4
; NumVGPRsForWavesPerEU: 1
; Occupancy: 10
; WaveLimiterHint : 0
; COMPUTE_PGM_RSRC2:SCRATCH_EN: 0
; COMPUTE_PGM_RSRC2:USER_SGPR: 6
; COMPUTE_PGM_RSRC2:TRAP_HANDLER: 0
; COMPUTE_PGM_RSRC2:TGID_X_EN: 1
; COMPUTE_PGM_RSRC2:TGID_Y_EN: 0
; COMPUTE_PGM_RSRC2:TGID_Z_EN: 0
; COMPUTE_PGM_RSRC2:TIDIG_COMP_CNT: 0
	.section	.text._ZN7rocprim17ROCPRIM_400000_NS6detail17trampoline_kernelINS0_14default_configENS1_35radix_sort_onesweep_config_selectorIalEEZNS1_34radix_sort_onesweep_global_offsetsIS3_Lb0EPaN6thrust23THRUST_200600_302600_NS10device_ptrIlEEjNS0_19identity_decomposerEEE10hipError_tT1_T2_PT3_SG_jT4_jjP12ihipStream_tbEUlT_E0_NS1_11comp_targetILNS1_3genE3ELNS1_11target_archE908ELNS1_3gpuE7ELNS1_3repE0EEENS1_52radix_sort_onesweep_histogram_config_static_selectorELNS0_4arch9wavefront6targetE1EEEvSE_,"axG",@progbits,_ZN7rocprim17ROCPRIM_400000_NS6detail17trampoline_kernelINS0_14default_configENS1_35radix_sort_onesweep_config_selectorIalEEZNS1_34radix_sort_onesweep_global_offsetsIS3_Lb0EPaN6thrust23THRUST_200600_302600_NS10device_ptrIlEEjNS0_19identity_decomposerEEE10hipError_tT1_T2_PT3_SG_jT4_jjP12ihipStream_tbEUlT_E0_NS1_11comp_targetILNS1_3genE3ELNS1_11target_archE908ELNS1_3gpuE7ELNS1_3repE0EEENS1_52radix_sort_onesweep_histogram_config_static_selectorELNS0_4arch9wavefront6targetE1EEEvSE_,comdat
	.protected	_ZN7rocprim17ROCPRIM_400000_NS6detail17trampoline_kernelINS0_14default_configENS1_35radix_sort_onesweep_config_selectorIalEEZNS1_34radix_sort_onesweep_global_offsetsIS3_Lb0EPaN6thrust23THRUST_200600_302600_NS10device_ptrIlEEjNS0_19identity_decomposerEEE10hipError_tT1_T2_PT3_SG_jT4_jjP12ihipStream_tbEUlT_E0_NS1_11comp_targetILNS1_3genE3ELNS1_11target_archE908ELNS1_3gpuE7ELNS1_3repE0EEENS1_52radix_sort_onesweep_histogram_config_static_selectorELNS0_4arch9wavefront6targetE1EEEvSE_ ; -- Begin function _ZN7rocprim17ROCPRIM_400000_NS6detail17trampoline_kernelINS0_14default_configENS1_35radix_sort_onesweep_config_selectorIalEEZNS1_34radix_sort_onesweep_global_offsetsIS3_Lb0EPaN6thrust23THRUST_200600_302600_NS10device_ptrIlEEjNS0_19identity_decomposerEEE10hipError_tT1_T2_PT3_SG_jT4_jjP12ihipStream_tbEUlT_E0_NS1_11comp_targetILNS1_3genE3ELNS1_11target_archE908ELNS1_3gpuE7ELNS1_3repE0EEENS1_52radix_sort_onesweep_histogram_config_static_selectorELNS0_4arch9wavefront6targetE1EEEvSE_
	.globl	_ZN7rocprim17ROCPRIM_400000_NS6detail17trampoline_kernelINS0_14default_configENS1_35radix_sort_onesweep_config_selectorIalEEZNS1_34radix_sort_onesweep_global_offsetsIS3_Lb0EPaN6thrust23THRUST_200600_302600_NS10device_ptrIlEEjNS0_19identity_decomposerEEE10hipError_tT1_T2_PT3_SG_jT4_jjP12ihipStream_tbEUlT_E0_NS1_11comp_targetILNS1_3genE3ELNS1_11target_archE908ELNS1_3gpuE7ELNS1_3repE0EEENS1_52radix_sort_onesweep_histogram_config_static_selectorELNS0_4arch9wavefront6targetE1EEEvSE_
	.p2align	8
	.type	_ZN7rocprim17ROCPRIM_400000_NS6detail17trampoline_kernelINS0_14default_configENS1_35radix_sort_onesweep_config_selectorIalEEZNS1_34radix_sort_onesweep_global_offsetsIS3_Lb0EPaN6thrust23THRUST_200600_302600_NS10device_ptrIlEEjNS0_19identity_decomposerEEE10hipError_tT1_T2_PT3_SG_jT4_jjP12ihipStream_tbEUlT_E0_NS1_11comp_targetILNS1_3genE3ELNS1_11target_archE908ELNS1_3gpuE7ELNS1_3repE0EEENS1_52radix_sort_onesweep_histogram_config_static_selectorELNS0_4arch9wavefront6targetE1EEEvSE_,@function
_ZN7rocprim17ROCPRIM_400000_NS6detail17trampoline_kernelINS0_14default_configENS1_35radix_sort_onesweep_config_selectorIalEEZNS1_34radix_sort_onesweep_global_offsetsIS3_Lb0EPaN6thrust23THRUST_200600_302600_NS10device_ptrIlEEjNS0_19identity_decomposerEEE10hipError_tT1_T2_PT3_SG_jT4_jjP12ihipStream_tbEUlT_E0_NS1_11comp_targetILNS1_3genE3ELNS1_11target_archE908ELNS1_3gpuE7ELNS1_3repE0EEENS1_52radix_sort_onesweep_histogram_config_static_selectorELNS0_4arch9wavefront6targetE1EEEvSE_: ; @_ZN7rocprim17ROCPRIM_400000_NS6detail17trampoline_kernelINS0_14default_configENS1_35radix_sort_onesweep_config_selectorIalEEZNS1_34radix_sort_onesweep_global_offsetsIS3_Lb0EPaN6thrust23THRUST_200600_302600_NS10device_ptrIlEEjNS0_19identity_decomposerEEE10hipError_tT1_T2_PT3_SG_jT4_jjP12ihipStream_tbEUlT_E0_NS1_11comp_targetILNS1_3genE3ELNS1_11target_archE908ELNS1_3gpuE7ELNS1_3repE0EEENS1_52radix_sort_onesweep_histogram_config_static_selectorELNS0_4arch9wavefront6targetE1EEEvSE_
; %bb.0:
	.section	.rodata,"a",@progbits
	.p2align	6, 0x0
	.amdhsa_kernel _ZN7rocprim17ROCPRIM_400000_NS6detail17trampoline_kernelINS0_14default_configENS1_35radix_sort_onesweep_config_selectorIalEEZNS1_34radix_sort_onesweep_global_offsetsIS3_Lb0EPaN6thrust23THRUST_200600_302600_NS10device_ptrIlEEjNS0_19identity_decomposerEEE10hipError_tT1_T2_PT3_SG_jT4_jjP12ihipStream_tbEUlT_E0_NS1_11comp_targetILNS1_3genE3ELNS1_11target_archE908ELNS1_3gpuE7ELNS1_3repE0EEENS1_52radix_sort_onesweep_histogram_config_static_selectorELNS0_4arch9wavefront6targetE1EEEvSE_
		.amdhsa_group_segment_fixed_size 0
		.amdhsa_private_segment_fixed_size 0
		.amdhsa_kernarg_size 8
		.amdhsa_user_sgpr_count 6
		.amdhsa_user_sgpr_private_segment_buffer 1
		.amdhsa_user_sgpr_dispatch_ptr 0
		.amdhsa_user_sgpr_queue_ptr 0
		.amdhsa_user_sgpr_kernarg_segment_ptr 1
		.amdhsa_user_sgpr_dispatch_id 0
		.amdhsa_user_sgpr_flat_scratch_init 0
		.amdhsa_user_sgpr_private_segment_size 0
		.amdhsa_uses_dynamic_stack 0
		.amdhsa_system_sgpr_private_segment_wavefront_offset 0
		.amdhsa_system_sgpr_workgroup_id_x 1
		.amdhsa_system_sgpr_workgroup_id_y 0
		.amdhsa_system_sgpr_workgroup_id_z 0
		.amdhsa_system_sgpr_workgroup_info 0
		.amdhsa_system_vgpr_workitem_id 0
		.amdhsa_next_free_vgpr 1
		.amdhsa_next_free_sgpr 0
		.amdhsa_reserve_vcc 0
		.amdhsa_reserve_flat_scratch 0
		.amdhsa_float_round_mode_32 0
		.amdhsa_float_round_mode_16_64 0
		.amdhsa_float_denorm_mode_32 3
		.amdhsa_float_denorm_mode_16_64 3
		.amdhsa_dx10_clamp 1
		.amdhsa_ieee_mode 1
		.amdhsa_fp16_overflow 0
		.amdhsa_exception_fp_ieee_invalid_op 0
		.amdhsa_exception_fp_denorm_src 0
		.amdhsa_exception_fp_ieee_div_zero 0
		.amdhsa_exception_fp_ieee_overflow 0
		.amdhsa_exception_fp_ieee_underflow 0
		.amdhsa_exception_fp_ieee_inexact 0
		.amdhsa_exception_int_div_zero 0
	.end_amdhsa_kernel
	.section	.text._ZN7rocprim17ROCPRIM_400000_NS6detail17trampoline_kernelINS0_14default_configENS1_35radix_sort_onesweep_config_selectorIalEEZNS1_34radix_sort_onesweep_global_offsetsIS3_Lb0EPaN6thrust23THRUST_200600_302600_NS10device_ptrIlEEjNS0_19identity_decomposerEEE10hipError_tT1_T2_PT3_SG_jT4_jjP12ihipStream_tbEUlT_E0_NS1_11comp_targetILNS1_3genE3ELNS1_11target_archE908ELNS1_3gpuE7ELNS1_3repE0EEENS1_52radix_sort_onesweep_histogram_config_static_selectorELNS0_4arch9wavefront6targetE1EEEvSE_,"axG",@progbits,_ZN7rocprim17ROCPRIM_400000_NS6detail17trampoline_kernelINS0_14default_configENS1_35radix_sort_onesweep_config_selectorIalEEZNS1_34radix_sort_onesweep_global_offsetsIS3_Lb0EPaN6thrust23THRUST_200600_302600_NS10device_ptrIlEEjNS0_19identity_decomposerEEE10hipError_tT1_T2_PT3_SG_jT4_jjP12ihipStream_tbEUlT_E0_NS1_11comp_targetILNS1_3genE3ELNS1_11target_archE908ELNS1_3gpuE7ELNS1_3repE0EEENS1_52radix_sort_onesweep_histogram_config_static_selectorELNS0_4arch9wavefront6targetE1EEEvSE_,comdat
.Lfunc_end596:
	.size	_ZN7rocprim17ROCPRIM_400000_NS6detail17trampoline_kernelINS0_14default_configENS1_35radix_sort_onesweep_config_selectorIalEEZNS1_34radix_sort_onesweep_global_offsetsIS3_Lb0EPaN6thrust23THRUST_200600_302600_NS10device_ptrIlEEjNS0_19identity_decomposerEEE10hipError_tT1_T2_PT3_SG_jT4_jjP12ihipStream_tbEUlT_E0_NS1_11comp_targetILNS1_3genE3ELNS1_11target_archE908ELNS1_3gpuE7ELNS1_3repE0EEENS1_52radix_sort_onesweep_histogram_config_static_selectorELNS0_4arch9wavefront6targetE1EEEvSE_, .Lfunc_end596-_ZN7rocprim17ROCPRIM_400000_NS6detail17trampoline_kernelINS0_14default_configENS1_35radix_sort_onesweep_config_selectorIalEEZNS1_34radix_sort_onesweep_global_offsetsIS3_Lb0EPaN6thrust23THRUST_200600_302600_NS10device_ptrIlEEjNS0_19identity_decomposerEEE10hipError_tT1_T2_PT3_SG_jT4_jjP12ihipStream_tbEUlT_E0_NS1_11comp_targetILNS1_3genE3ELNS1_11target_archE908ELNS1_3gpuE7ELNS1_3repE0EEENS1_52radix_sort_onesweep_histogram_config_static_selectorELNS0_4arch9wavefront6targetE1EEEvSE_
                                        ; -- End function
	.set _ZN7rocprim17ROCPRIM_400000_NS6detail17trampoline_kernelINS0_14default_configENS1_35radix_sort_onesweep_config_selectorIalEEZNS1_34radix_sort_onesweep_global_offsetsIS3_Lb0EPaN6thrust23THRUST_200600_302600_NS10device_ptrIlEEjNS0_19identity_decomposerEEE10hipError_tT1_T2_PT3_SG_jT4_jjP12ihipStream_tbEUlT_E0_NS1_11comp_targetILNS1_3genE3ELNS1_11target_archE908ELNS1_3gpuE7ELNS1_3repE0EEENS1_52radix_sort_onesweep_histogram_config_static_selectorELNS0_4arch9wavefront6targetE1EEEvSE_.num_vgpr, 0
	.set _ZN7rocprim17ROCPRIM_400000_NS6detail17trampoline_kernelINS0_14default_configENS1_35radix_sort_onesweep_config_selectorIalEEZNS1_34radix_sort_onesweep_global_offsetsIS3_Lb0EPaN6thrust23THRUST_200600_302600_NS10device_ptrIlEEjNS0_19identity_decomposerEEE10hipError_tT1_T2_PT3_SG_jT4_jjP12ihipStream_tbEUlT_E0_NS1_11comp_targetILNS1_3genE3ELNS1_11target_archE908ELNS1_3gpuE7ELNS1_3repE0EEENS1_52radix_sort_onesweep_histogram_config_static_selectorELNS0_4arch9wavefront6targetE1EEEvSE_.num_agpr, 0
	.set _ZN7rocprim17ROCPRIM_400000_NS6detail17trampoline_kernelINS0_14default_configENS1_35radix_sort_onesweep_config_selectorIalEEZNS1_34radix_sort_onesweep_global_offsetsIS3_Lb0EPaN6thrust23THRUST_200600_302600_NS10device_ptrIlEEjNS0_19identity_decomposerEEE10hipError_tT1_T2_PT3_SG_jT4_jjP12ihipStream_tbEUlT_E0_NS1_11comp_targetILNS1_3genE3ELNS1_11target_archE908ELNS1_3gpuE7ELNS1_3repE0EEENS1_52radix_sort_onesweep_histogram_config_static_selectorELNS0_4arch9wavefront6targetE1EEEvSE_.numbered_sgpr, 0
	.set _ZN7rocprim17ROCPRIM_400000_NS6detail17trampoline_kernelINS0_14default_configENS1_35radix_sort_onesweep_config_selectorIalEEZNS1_34radix_sort_onesweep_global_offsetsIS3_Lb0EPaN6thrust23THRUST_200600_302600_NS10device_ptrIlEEjNS0_19identity_decomposerEEE10hipError_tT1_T2_PT3_SG_jT4_jjP12ihipStream_tbEUlT_E0_NS1_11comp_targetILNS1_3genE3ELNS1_11target_archE908ELNS1_3gpuE7ELNS1_3repE0EEENS1_52radix_sort_onesweep_histogram_config_static_selectorELNS0_4arch9wavefront6targetE1EEEvSE_.num_named_barrier, 0
	.set _ZN7rocprim17ROCPRIM_400000_NS6detail17trampoline_kernelINS0_14default_configENS1_35radix_sort_onesweep_config_selectorIalEEZNS1_34radix_sort_onesweep_global_offsetsIS3_Lb0EPaN6thrust23THRUST_200600_302600_NS10device_ptrIlEEjNS0_19identity_decomposerEEE10hipError_tT1_T2_PT3_SG_jT4_jjP12ihipStream_tbEUlT_E0_NS1_11comp_targetILNS1_3genE3ELNS1_11target_archE908ELNS1_3gpuE7ELNS1_3repE0EEENS1_52radix_sort_onesweep_histogram_config_static_selectorELNS0_4arch9wavefront6targetE1EEEvSE_.private_seg_size, 0
	.set _ZN7rocprim17ROCPRIM_400000_NS6detail17trampoline_kernelINS0_14default_configENS1_35radix_sort_onesweep_config_selectorIalEEZNS1_34radix_sort_onesweep_global_offsetsIS3_Lb0EPaN6thrust23THRUST_200600_302600_NS10device_ptrIlEEjNS0_19identity_decomposerEEE10hipError_tT1_T2_PT3_SG_jT4_jjP12ihipStream_tbEUlT_E0_NS1_11comp_targetILNS1_3genE3ELNS1_11target_archE908ELNS1_3gpuE7ELNS1_3repE0EEENS1_52radix_sort_onesweep_histogram_config_static_selectorELNS0_4arch9wavefront6targetE1EEEvSE_.uses_vcc, 0
	.set _ZN7rocprim17ROCPRIM_400000_NS6detail17trampoline_kernelINS0_14default_configENS1_35radix_sort_onesweep_config_selectorIalEEZNS1_34radix_sort_onesweep_global_offsetsIS3_Lb0EPaN6thrust23THRUST_200600_302600_NS10device_ptrIlEEjNS0_19identity_decomposerEEE10hipError_tT1_T2_PT3_SG_jT4_jjP12ihipStream_tbEUlT_E0_NS1_11comp_targetILNS1_3genE3ELNS1_11target_archE908ELNS1_3gpuE7ELNS1_3repE0EEENS1_52radix_sort_onesweep_histogram_config_static_selectorELNS0_4arch9wavefront6targetE1EEEvSE_.uses_flat_scratch, 0
	.set _ZN7rocprim17ROCPRIM_400000_NS6detail17trampoline_kernelINS0_14default_configENS1_35radix_sort_onesweep_config_selectorIalEEZNS1_34radix_sort_onesweep_global_offsetsIS3_Lb0EPaN6thrust23THRUST_200600_302600_NS10device_ptrIlEEjNS0_19identity_decomposerEEE10hipError_tT1_T2_PT3_SG_jT4_jjP12ihipStream_tbEUlT_E0_NS1_11comp_targetILNS1_3genE3ELNS1_11target_archE908ELNS1_3gpuE7ELNS1_3repE0EEENS1_52radix_sort_onesweep_histogram_config_static_selectorELNS0_4arch9wavefront6targetE1EEEvSE_.has_dyn_sized_stack, 0
	.set _ZN7rocprim17ROCPRIM_400000_NS6detail17trampoline_kernelINS0_14default_configENS1_35radix_sort_onesweep_config_selectorIalEEZNS1_34radix_sort_onesweep_global_offsetsIS3_Lb0EPaN6thrust23THRUST_200600_302600_NS10device_ptrIlEEjNS0_19identity_decomposerEEE10hipError_tT1_T2_PT3_SG_jT4_jjP12ihipStream_tbEUlT_E0_NS1_11comp_targetILNS1_3genE3ELNS1_11target_archE908ELNS1_3gpuE7ELNS1_3repE0EEENS1_52radix_sort_onesweep_histogram_config_static_selectorELNS0_4arch9wavefront6targetE1EEEvSE_.has_recursion, 0
	.set _ZN7rocprim17ROCPRIM_400000_NS6detail17trampoline_kernelINS0_14default_configENS1_35radix_sort_onesweep_config_selectorIalEEZNS1_34radix_sort_onesweep_global_offsetsIS3_Lb0EPaN6thrust23THRUST_200600_302600_NS10device_ptrIlEEjNS0_19identity_decomposerEEE10hipError_tT1_T2_PT3_SG_jT4_jjP12ihipStream_tbEUlT_E0_NS1_11comp_targetILNS1_3genE3ELNS1_11target_archE908ELNS1_3gpuE7ELNS1_3repE0EEENS1_52radix_sort_onesweep_histogram_config_static_selectorELNS0_4arch9wavefront6targetE1EEEvSE_.has_indirect_call, 0
	.section	.AMDGPU.csdata,"",@progbits
; Kernel info:
; codeLenInByte = 0
; TotalNumSgprs: 4
; NumVgprs: 0
; ScratchSize: 0
; MemoryBound: 0
; FloatMode: 240
; IeeeMode: 1
; LDSByteSize: 0 bytes/workgroup (compile time only)
; SGPRBlocks: 0
; VGPRBlocks: 0
; NumSGPRsForWavesPerEU: 4
; NumVGPRsForWavesPerEU: 1
; Occupancy: 10
; WaveLimiterHint : 0
; COMPUTE_PGM_RSRC2:SCRATCH_EN: 0
; COMPUTE_PGM_RSRC2:USER_SGPR: 6
; COMPUTE_PGM_RSRC2:TRAP_HANDLER: 0
; COMPUTE_PGM_RSRC2:TGID_X_EN: 1
; COMPUTE_PGM_RSRC2:TGID_Y_EN: 0
; COMPUTE_PGM_RSRC2:TGID_Z_EN: 0
; COMPUTE_PGM_RSRC2:TIDIG_COMP_CNT: 0
	.section	.text._ZN7rocprim17ROCPRIM_400000_NS6detail17trampoline_kernelINS0_14default_configENS1_35radix_sort_onesweep_config_selectorIalEEZNS1_34radix_sort_onesweep_global_offsetsIS3_Lb0EPaN6thrust23THRUST_200600_302600_NS10device_ptrIlEEjNS0_19identity_decomposerEEE10hipError_tT1_T2_PT3_SG_jT4_jjP12ihipStream_tbEUlT_E0_NS1_11comp_targetILNS1_3genE10ELNS1_11target_archE1201ELNS1_3gpuE5ELNS1_3repE0EEENS1_52radix_sort_onesweep_histogram_config_static_selectorELNS0_4arch9wavefront6targetE1EEEvSE_,"axG",@progbits,_ZN7rocprim17ROCPRIM_400000_NS6detail17trampoline_kernelINS0_14default_configENS1_35radix_sort_onesweep_config_selectorIalEEZNS1_34radix_sort_onesweep_global_offsetsIS3_Lb0EPaN6thrust23THRUST_200600_302600_NS10device_ptrIlEEjNS0_19identity_decomposerEEE10hipError_tT1_T2_PT3_SG_jT4_jjP12ihipStream_tbEUlT_E0_NS1_11comp_targetILNS1_3genE10ELNS1_11target_archE1201ELNS1_3gpuE5ELNS1_3repE0EEENS1_52radix_sort_onesweep_histogram_config_static_selectorELNS0_4arch9wavefront6targetE1EEEvSE_,comdat
	.protected	_ZN7rocprim17ROCPRIM_400000_NS6detail17trampoline_kernelINS0_14default_configENS1_35radix_sort_onesweep_config_selectorIalEEZNS1_34radix_sort_onesweep_global_offsetsIS3_Lb0EPaN6thrust23THRUST_200600_302600_NS10device_ptrIlEEjNS0_19identity_decomposerEEE10hipError_tT1_T2_PT3_SG_jT4_jjP12ihipStream_tbEUlT_E0_NS1_11comp_targetILNS1_3genE10ELNS1_11target_archE1201ELNS1_3gpuE5ELNS1_3repE0EEENS1_52radix_sort_onesweep_histogram_config_static_selectorELNS0_4arch9wavefront6targetE1EEEvSE_ ; -- Begin function _ZN7rocprim17ROCPRIM_400000_NS6detail17trampoline_kernelINS0_14default_configENS1_35radix_sort_onesweep_config_selectorIalEEZNS1_34radix_sort_onesweep_global_offsetsIS3_Lb0EPaN6thrust23THRUST_200600_302600_NS10device_ptrIlEEjNS0_19identity_decomposerEEE10hipError_tT1_T2_PT3_SG_jT4_jjP12ihipStream_tbEUlT_E0_NS1_11comp_targetILNS1_3genE10ELNS1_11target_archE1201ELNS1_3gpuE5ELNS1_3repE0EEENS1_52radix_sort_onesweep_histogram_config_static_selectorELNS0_4arch9wavefront6targetE1EEEvSE_
	.globl	_ZN7rocprim17ROCPRIM_400000_NS6detail17trampoline_kernelINS0_14default_configENS1_35radix_sort_onesweep_config_selectorIalEEZNS1_34radix_sort_onesweep_global_offsetsIS3_Lb0EPaN6thrust23THRUST_200600_302600_NS10device_ptrIlEEjNS0_19identity_decomposerEEE10hipError_tT1_T2_PT3_SG_jT4_jjP12ihipStream_tbEUlT_E0_NS1_11comp_targetILNS1_3genE10ELNS1_11target_archE1201ELNS1_3gpuE5ELNS1_3repE0EEENS1_52radix_sort_onesweep_histogram_config_static_selectorELNS0_4arch9wavefront6targetE1EEEvSE_
	.p2align	8
	.type	_ZN7rocprim17ROCPRIM_400000_NS6detail17trampoline_kernelINS0_14default_configENS1_35radix_sort_onesweep_config_selectorIalEEZNS1_34radix_sort_onesweep_global_offsetsIS3_Lb0EPaN6thrust23THRUST_200600_302600_NS10device_ptrIlEEjNS0_19identity_decomposerEEE10hipError_tT1_T2_PT3_SG_jT4_jjP12ihipStream_tbEUlT_E0_NS1_11comp_targetILNS1_3genE10ELNS1_11target_archE1201ELNS1_3gpuE5ELNS1_3repE0EEENS1_52radix_sort_onesweep_histogram_config_static_selectorELNS0_4arch9wavefront6targetE1EEEvSE_,@function
_ZN7rocprim17ROCPRIM_400000_NS6detail17trampoline_kernelINS0_14default_configENS1_35radix_sort_onesweep_config_selectorIalEEZNS1_34radix_sort_onesweep_global_offsetsIS3_Lb0EPaN6thrust23THRUST_200600_302600_NS10device_ptrIlEEjNS0_19identity_decomposerEEE10hipError_tT1_T2_PT3_SG_jT4_jjP12ihipStream_tbEUlT_E0_NS1_11comp_targetILNS1_3genE10ELNS1_11target_archE1201ELNS1_3gpuE5ELNS1_3repE0EEENS1_52radix_sort_onesweep_histogram_config_static_selectorELNS0_4arch9wavefront6targetE1EEEvSE_: ; @_ZN7rocprim17ROCPRIM_400000_NS6detail17trampoline_kernelINS0_14default_configENS1_35radix_sort_onesweep_config_selectorIalEEZNS1_34radix_sort_onesweep_global_offsetsIS3_Lb0EPaN6thrust23THRUST_200600_302600_NS10device_ptrIlEEjNS0_19identity_decomposerEEE10hipError_tT1_T2_PT3_SG_jT4_jjP12ihipStream_tbEUlT_E0_NS1_11comp_targetILNS1_3genE10ELNS1_11target_archE1201ELNS1_3gpuE5ELNS1_3repE0EEENS1_52radix_sort_onesweep_histogram_config_static_selectorELNS0_4arch9wavefront6targetE1EEEvSE_
; %bb.0:
	.section	.rodata,"a",@progbits
	.p2align	6, 0x0
	.amdhsa_kernel _ZN7rocprim17ROCPRIM_400000_NS6detail17trampoline_kernelINS0_14default_configENS1_35radix_sort_onesweep_config_selectorIalEEZNS1_34radix_sort_onesweep_global_offsetsIS3_Lb0EPaN6thrust23THRUST_200600_302600_NS10device_ptrIlEEjNS0_19identity_decomposerEEE10hipError_tT1_T2_PT3_SG_jT4_jjP12ihipStream_tbEUlT_E0_NS1_11comp_targetILNS1_3genE10ELNS1_11target_archE1201ELNS1_3gpuE5ELNS1_3repE0EEENS1_52radix_sort_onesweep_histogram_config_static_selectorELNS0_4arch9wavefront6targetE1EEEvSE_
		.amdhsa_group_segment_fixed_size 0
		.amdhsa_private_segment_fixed_size 0
		.amdhsa_kernarg_size 8
		.amdhsa_user_sgpr_count 6
		.amdhsa_user_sgpr_private_segment_buffer 1
		.amdhsa_user_sgpr_dispatch_ptr 0
		.amdhsa_user_sgpr_queue_ptr 0
		.amdhsa_user_sgpr_kernarg_segment_ptr 1
		.amdhsa_user_sgpr_dispatch_id 0
		.amdhsa_user_sgpr_flat_scratch_init 0
		.amdhsa_user_sgpr_private_segment_size 0
		.amdhsa_uses_dynamic_stack 0
		.amdhsa_system_sgpr_private_segment_wavefront_offset 0
		.amdhsa_system_sgpr_workgroup_id_x 1
		.amdhsa_system_sgpr_workgroup_id_y 0
		.amdhsa_system_sgpr_workgroup_id_z 0
		.amdhsa_system_sgpr_workgroup_info 0
		.amdhsa_system_vgpr_workitem_id 0
		.amdhsa_next_free_vgpr 1
		.amdhsa_next_free_sgpr 0
		.amdhsa_reserve_vcc 0
		.amdhsa_reserve_flat_scratch 0
		.amdhsa_float_round_mode_32 0
		.amdhsa_float_round_mode_16_64 0
		.amdhsa_float_denorm_mode_32 3
		.amdhsa_float_denorm_mode_16_64 3
		.amdhsa_dx10_clamp 1
		.amdhsa_ieee_mode 1
		.amdhsa_fp16_overflow 0
		.amdhsa_exception_fp_ieee_invalid_op 0
		.amdhsa_exception_fp_denorm_src 0
		.amdhsa_exception_fp_ieee_div_zero 0
		.amdhsa_exception_fp_ieee_overflow 0
		.amdhsa_exception_fp_ieee_underflow 0
		.amdhsa_exception_fp_ieee_inexact 0
		.amdhsa_exception_int_div_zero 0
	.end_amdhsa_kernel
	.section	.text._ZN7rocprim17ROCPRIM_400000_NS6detail17trampoline_kernelINS0_14default_configENS1_35radix_sort_onesweep_config_selectorIalEEZNS1_34radix_sort_onesweep_global_offsetsIS3_Lb0EPaN6thrust23THRUST_200600_302600_NS10device_ptrIlEEjNS0_19identity_decomposerEEE10hipError_tT1_T2_PT3_SG_jT4_jjP12ihipStream_tbEUlT_E0_NS1_11comp_targetILNS1_3genE10ELNS1_11target_archE1201ELNS1_3gpuE5ELNS1_3repE0EEENS1_52radix_sort_onesweep_histogram_config_static_selectorELNS0_4arch9wavefront6targetE1EEEvSE_,"axG",@progbits,_ZN7rocprim17ROCPRIM_400000_NS6detail17trampoline_kernelINS0_14default_configENS1_35radix_sort_onesweep_config_selectorIalEEZNS1_34radix_sort_onesweep_global_offsetsIS3_Lb0EPaN6thrust23THRUST_200600_302600_NS10device_ptrIlEEjNS0_19identity_decomposerEEE10hipError_tT1_T2_PT3_SG_jT4_jjP12ihipStream_tbEUlT_E0_NS1_11comp_targetILNS1_3genE10ELNS1_11target_archE1201ELNS1_3gpuE5ELNS1_3repE0EEENS1_52radix_sort_onesweep_histogram_config_static_selectorELNS0_4arch9wavefront6targetE1EEEvSE_,comdat
.Lfunc_end597:
	.size	_ZN7rocprim17ROCPRIM_400000_NS6detail17trampoline_kernelINS0_14default_configENS1_35radix_sort_onesweep_config_selectorIalEEZNS1_34radix_sort_onesweep_global_offsetsIS3_Lb0EPaN6thrust23THRUST_200600_302600_NS10device_ptrIlEEjNS0_19identity_decomposerEEE10hipError_tT1_T2_PT3_SG_jT4_jjP12ihipStream_tbEUlT_E0_NS1_11comp_targetILNS1_3genE10ELNS1_11target_archE1201ELNS1_3gpuE5ELNS1_3repE0EEENS1_52radix_sort_onesweep_histogram_config_static_selectorELNS0_4arch9wavefront6targetE1EEEvSE_, .Lfunc_end597-_ZN7rocprim17ROCPRIM_400000_NS6detail17trampoline_kernelINS0_14default_configENS1_35radix_sort_onesweep_config_selectorIalEEZNS1_34radix_sort_onesweep_global_offsetsIS3_Lb0EPaN6thrust23THRUST_200600_302600_NS10device_ptrIlEEjNS0_19identity_decomposerEEE10hipError_tT1_T2_PT3_SG_jT4_jjP12ihipStream_tbEUlT_E0_NS1_11comp_targetILNS1_3genE10ELNS1_11target_archE1201ELNS1_3gpuE5ELNS1_3repE0EEENS1_52radix_sort_onesweep_histogram_config_static_selectorELNS0_4arch9wavefront6targetE1EEEvSE_
                                        ; -- End function
	.set _ZN7rocprim17ROCPRIM_400000_NS6detail17trampoline_kernelINS0_14default_configENS1_35radix_sort_onesweep_config_selectorIalEEZNS1_34radix_sort_onesweep_global_offsetsIS3_Lb0EPaN6thrust23THRUST_200600_302600_NS10device_ptrIlEEjNS0_19identity_decomposerEEE10hipError_tT1_T2_PT3_SG_jT4_jjP12ihipStream_tbEUlT_E0_NS1_11comp_targetILNS1_3genE10ELNS1_11target_archE1201ELNS1_3gpuE5ELNS1_3repE0EEENS1_52radix_sort_onesweep_histogram_config_static_selectorELNS0_4arch9wavefront6targetE1EEEvSE_.num_vgpr, 0
	.set _ZN7rocprim17ROCPRIM_400000_NS6detail17trampoline_kernelINS0_14default_configENS1_35radix_sort_onesweep_config_selectorIalEEZNS1_34radix_sort_onesweep_global_offsetsIS3_Lb0EPaN6thrust23THRUST_200600_302600_NS10device_ptrIlEEjNS0_19identity_decomposerEEE10hipError_tT1_T2_PT3_SG_jT4_jjP12ihipStream_tbEUlT_E0_NS1_11comp_targetILNS1_3genE10ELNS1_11target_archE1201ELNS1_3gpuE5ELNS1_3repE0EEENS1_52radix_sort_onesweep_histogram_config_static_selectorELNS0_4arch9wavefront6targetE1EEEvSE_.num_agpr, 0
	.set _ZN7rocprim17ROCPRIM_400000_NS6detail17trampoline_kernelINS0_14default_configENS1_35radix_sort_onesweep_config_selectorIalEEZNS1_34radix_sort_onesweep_global_offsetsIS3_Lb0EPaN6thrust23THRUST_200600_302600_NS10device_ptrIlEEjNS0_19identity_decomposerEEE10hipError_tT1_T2_PT3_SG_jT4_jjP12ihipStream_tbEUlT_E0_NS1_11comp_targetILNS1_3genE10ELNS1_11target_archE1201ELNS1_3gpuE5ELNS1_3repE0EEENS1_52radix_sort_onesweep_histogram_config_static_selectorELNS0_4arch9wavefront6targetE1EEEvSE_.numbered_sgpr, 0
	.set _ZN7rocprim17ROCPRIM_400000_NS6detail17trampoline_kernelINS0_14default_configENS1_35radix_sort_onesweep_config_selectorIalEEZNS1_34radix_sort_onesweep_global_offsetsIS3_Lb0EPaN6thrust23THRUST_200600_302600_NS10device_ptrIlEEjNS0_19identity_decomposerEEE10hipError_tT1_T2_PT3_SG_jT4_jjP12ihipStream_tbEUlT_E0_NS1_11comp_targetILNS1_3genE10ELNS1_11target_archE1201ELNS1_3gpuE5ELNS1_3repE0EEENS1_52radix_sort_onesweep_histogram_config_static_selectorELNS0_4arch9wavefront6targetE1EEEvSE_.num_named_barrier, 0
	.set _ZN7rocprim17ROCPRIM_400000_NS6detail17trampoline_kernelINS0_14default_configENS1_35radix_sort_onesweep_config_selectorIalEEZNS1_34radix_sort_onesweep_global_offsetsIS3_Lb0EPaN6thrust23THRUST_200600_302600_NS10device_ptrIlEEjNS0_19identity_decomposerEEE10hipError_tT1_T2_PT3_SG_jT4_jjP12ihipStream_tbEUlT_E0_NS1_11comp_targetILNS1_3genE10ELNS1_11target_archE1201ELNS1_3gpuE5ELNS1_3repE0EEENS1_52radix_sort_onesweep_histogram_config_static_selectorELNS0_4arch9wavefront6targetE1EEEvSE_.private_seg_size, 0
	.set _ZN7rocprim17ROCPRIM_400000_NS6detail17trampoline_kernelINS0_14default_configENS1_35radix_sort_onesweep_config_selectorIalEEZNS1_34radix_sort_onesweep_global_offsetsIS3_Lb0EPaN6thrust23THRUST_200600_302600_NS10device_ptrIlEEjNS0_19identity_decomposerEEE10hipError_tT1_T2_PT3_SG_jT4_jjP12ihipStream_tbEUlT_E0_NS1_11comp_targetILNS1_3genE10ELNS1_11target_archE1201ELNS1_3gpuE5ELNS1_3repE0EEENS1_52radix_sort_onesweep_histogram_config_static_selectorELNS0_4arch9wavefront6targetE1EEEvSE_.uses_vcc, 0
	.set _ZN7rocprim17ROCPRIM_400000_NS6detail17trampoline_kernelINS0_14default_configENS1_35radix_sort_onesweep_config_selectorIalEEZNS1_34radix_sort_onesweep_global_offsetsIS3_Lb0EPaN6thrust23THRUST_200600_302600_NS10device_ptrIlEEjNS0_19identity_decomposerEEE10hipError_tT1_T2_PT3_SG_jT4_jjP12ihipStream_tbEUlT_E0_NS1_11comp_targetILNS1_3genE10ELNS1_11target_archE1201ELNS1_3gpuE5ELNS1_3repE0EEENS1_52radix_sort_onesweep_histogram_config_static_selectorELNS0_4arch9wavefront6targetE1EEEvSE_.uses_flat_scratch, 0
	.set _ZN7rocprim17ROCPRIM_400000_NS6detail17trampoline_kernelINS0_14default_configENS1_35radix_sort_onesweep_config_selectorIalEEZNS1_34radix_sort_onesweep_global_offsetsIS3_Lb0EPaN6thrust23THRUST_200600_302600_NS10device_ptrIlEEjNS0_19identity_decomposerEEE10hipError_tT1_T2_PT3_SG_jT4_jjP12ihipStream_tbEUlT_E0_NS1_11comp_targetILNS1_3genE10ELNS1_11target_archE1201ELNS1_3gpuE5ELNS1_3repE0EEENS1_52radix_sort_onesweep_histogram_config_static_selectorELNS0_4arch9wavefront6targetE1EEEvSE_.has_dyn_sized_stack, 0
	.set _ZN7rocprim17ROCPRIM_400000_NS6detail17trampoline_kernelINS0_14default_configENS1_35radix_sort_onesweep_config_selectorIalEEZNS1_34radix_sort_onesweep_global_offsetsIS3_Lb0EPaN6thrust23THRUST_200600_302600_NS10device_ptrIlEEjNS0_19identity_decomposerEEE10hipError_tT1_T2_PT3_SG_jT4_jjP12ihipStream_tbEUlT_E0_NS1_11comp_targetILNS1_3genE10ELNS1_11target_archE1201ELNS1_3gpuE5ELNS1_3repE0EEENS1_52radix_sort_onesweep_histogram_config_static_selectorELNS0_4arch9wavefront6targetE1EEEvSE_.has_recursion, 0
	.set _ZN7rocprim17ROCPRIM_400000_NS6detail17trampoline_kernelINS0_14default_configENS1_35radix_sort_onesweep_config_selectorIalEEZNS1_34radix_sort_onesweep_global_offsetsIS3_Lb0EPaN6thrust23THRUST_200600_302600_NS10device_ptrIlEEjNS0_19identity_decomposerEEE10hipError_tT1_T2_PT3_SG_jT4_jjP12ihipStream_tbEUlT_E0_NS1_11comp_targetILNS1_3genE10ELNS1_11target_archE1201ELNS1_3gpuE5ELNS1_3repE0EEENS1_52radix_sort_onesweep_histogram_config_static_selectorELNS0_4arch9wavefront6targetE1EEEvSE_.has_indirect_call, 0
	.section	.AMDGPU.csdata,"",@progbits
; Kernel info:
; codeLenInByte = 0
; TotalNumSgprs: 4
; NumVgprs: 0
; ScratchSize: 0
; MemoryBound: 0
; FloatMode: 240
; IeeeMode: 1
; LDSByteSize: 0 bytes/workgroup (compile time only)
; SGPRBlocks: 0
; VGPRBlocks: 0
; NumSGPRsForWavesPerEU: 4
; NumVGPRsForWavesPerEU: 1
; Occupancy: 10
; WaveLimiterHint : 0
; COMPUTE_PGM_RSRC2:SCRATCH_EN: 0
; COMPUTE_PGM_RSRC2:USER_SGPR: 6
; COMPUTE_PGM_RSRC2:TRAP_HANDLER: 0
; COMPUTE_PGM_RSRC2:TGID_X_EN: 1
; COMPUTE_PGM_RSRC2:TGID_Y_EN: 0
; COMPUTE_PGM_RSRC2:TGID_Z_EN: 0
; COMPUTE_PGM_RSRC2:TIDIG_COMP_CNT: 0
	.section	.text._ZN7rocprim17ROCPRIM_400000_NS6detail17trampoline_kernelINS0_14default_configENS1_35radix_sort_onesweep_config_selectorIalEEZNS1_34radix_sort_onesweep_global_offsetsIS3_Lb0EPaN6thrust23THRUST_200600_302600_NS10device_ptrIlEEjNS0_19identity_decomposerEEE10hipError_tT1_T2_PT3_SG_jT4_jjP12ihipStream_tbEUlT_E0_NS1_11comp_targetILNS1_3genE9ELNS1_11target_archE1100ELNS1_3gpuE3ELNS1_3repE0EEENS1_52radix_sort_onesweep_histogram_config_static_selectorELNS0_4arch9wavefront6targetE1EEEvSE_,"axG",@progbits,_ZN7rocprim17ROCPRIM_400000_NS6detail17trampoline_kernelINS0_14default_configENS1_35radix_sort_onesweep_config_selectorIalEEZNS1_34radix_sort_onesweep_global_offsetsIS3_Lb0EPaN6thrust23THRUST_200600_302600_NS10device_ptrIlEEjNS0_19identity_decomposerEEE10hipError_tT1_T2_PT3_SG_jT4_jjP12ihipStream_tbEUlT_E0_NS1_11comp_targetILNS1_3genE9ELNS1_11target_archE1100ELNS1_3gpuE3ELNS1_3repE0EEENS1_52radix_sort_onesweep_histogram_config_static_selectorELNS0_4arch9wavefront6targetE1EEEvSE_,comdat
	.protected	_ZN7rocprim17ROCPRIM_400000_NS6detail17trampoline_kernelINS0_14default_configENS1_35radix_sort_onesweep_config_selectorIalEEZNS1_34radix_sort_onesweep_global_offsetsIS3_Lb0EPaN6thrust23THRUST_200600_302600_NS10device_ptrIlEEjNS0_19identity_decomposerEEE10hipError_tT1_T2_PT3_SG_jT4_jjP12ihipStream_tbEUlT_E0_NS1_11comp_targetILNS1_3genE9ELNS1_11target_archE1100ELNS1_3gpuE3ELNS1_3repE0EEENS1_52radix_sort_onesweep_histogram_config_static_selectorELNS0_4arch9wavefront6targetE1EEEvSE_ ; -- Begin function _ZN7rocprim17ROCPRIM_400000_NS6detail17trampoline_kernelINS0_14default_configENS1_35radix_sort_onesweep_config_selectorIalEEZNS1_34radix_sort_onesweep_global_offsetsIS3_Lb0EPaN6thrust23THRUST_200600_302600_NS10device_ptrIlEEjNS0_19identity_decomposerEEE10hipError_tT1_T2_PT3_SG_jT4_jjP12ihipStream_tbEUlT_E0_NS1_11comp_targetILNS1_3genE9ELNS1_11target_archE1100ELNS1_3gpuE3ELNS1_3repE0EEENS1_52radix_sort_onesweep_histogram_config_static_selectorELNS0_4arch9wavefront6targetE1EEEvSE_
	.globl	_ZN7rocprim17ROCPRIM_400000_NS6detail17trampoline_kernelINS0_14default_configENS1_35radix_sort_onesweep_config_selectorIalEEZNS1_34radix_sort_onesweep_global_offsetsIS3_Lb0EPaN6thrust23THRUST_200600_302600_NS10device_ptrIlEEjNS0_19identity_decomposerEEE10hipError_tT1_T2_PT3_SG_jT4_jjP12ihipStream_tbEUlT_E0_NS1_11comp_targetILNS1_3genE9ELNS1_11target_archE1100ELNS1_3gpuE3ELNS1_3repE0EEENS1_52radix_sort_onesweep_histogram_config_static_selectorELNS0_4arch9wavefront6targetE1EEEvSE_
	.p2align	8
	.type	_ZN7rocprim17ROCPRIM_400000_NS6detail17trampoline_kernelINS0_14default_configENS1_35radix_sort_onesweep_config_selectorIalEEZNS1_34radix_sort_onesweep_global_offsetsIS3_Lb0EPaN6thrust23THRUST_200600_302600_NS10device_ptrIlEEjNS0_19identity_decomposerEEE10hipError_tT1_T2_PT3_SG_jT4_jjP12ihipStream_tbEUlT_E0_NS1_11comp_targetILNS1_3genE9ELNS1_11target_archE1100ELNS1_3gpuE3ELNS1_3repE0EEENS1_52radix_sort_onesweep_histogram_config_static_selectorELNS0_4arch9wavefront6targetE1EEEvSE_,@function
_ZN7rocprim17ROCPRIM_400000_NS6detail17trampoline_kernelINS0_14default_configENS1_35radix_sort_onesweep_config_selectorIalEEZNS1_34radix_sort_onesweep_global_offsetsIS3_Lb0EPaN6thrust23THRUST_200600_302600_NS10device_ptrIlEEjNS0_19identity_decomposerEEE10hipError_tT1_T2_PT3_SG_jT4_jjP12ihipStream_tbEUlT_E0_NS1_11comp_targetILNS1_3genE9ELNS1_11target_archE1100ELNS1_3gpuE3ELNS1_3repE0EEENS1_52radix_sort_onesweep_histogram_config_static_selectorELNS0_4arch9wavefront6targetE1EEEvSE_: ; @_ZN7rocprim17ROCPRIM_400000_NS6detail17trampoline_kernelINS0_14default_configENS1_35radix_sort_onesweep_config_selectorIalEEZNS1_34radix_sort_onesweep_global_offsetsIS3_Lb0EPaN6thrust23THRUST_200600_302600_NS10device_ptrIlEEjNS0_19identity_decomposerEEE10hipError_tT1_T2_PT3_SG_jT4_jjP12ihipStream_tbEUlT_E0_NS1_11comp_targetILNS1_3genE9ELNS1_11target_archE1100ELNS1_3gpuE3ELNS1_3repE0EEENS1_52radix_sort_onesweep_histogram_config_static_selectorELNS0_4arch9wavefront6targetE1EEEvSE_
; %bb.0:
	.section	.rodata,"a",@progbits
	.p2align	6, 0x0
	.amdhsa_kernel _ZN7rocprim17ROCPRIM_400000_NS6detail17trampoline_kernelINS0_14default_configENS1_35radix_sort_onesweep_config_selectorIalEEZNS1_34radix_sort_onesweep_global_offsetsIS3_Lb0EPaN6thrust23THRUST_200600_302600_NS10device_ptrIlEEjNS0_19identity_decomposerEEE10hipError_tT1_T2_PT3_SG_jT4_jjP12ihipStream_tbEUlT_E0_NS1_11comp_targetILNS1_3genE9ELNS1_11target_archE1100ELNS1_3gpuE3ELNS1_3repE0EEENS1_52radix_sort_onesweep_histogram_config_static_selectorELNS0_4arch9wavefront6targetE1EEEvSE_
		.amdhsa_group_segment_fixed_size 0
		.amdhsa_private_segment_fixed_size 0
		.amdhsa_kernarg_size 8
		.amdhsa_user_sgpr_count 6
		.amdhsa_user_sgpr_private_segment_buffer 1
		.amdhsa_user_sgpr_dispatch_ptr 0
		.amdhsa_user_sgpr_queue_ptr 0
		.amdhsa_user_sgpr_kernarg_segment_ptr 1
		.amdhsa_user_sgpr_dispatch_id 0
		.amdhsa_user_sgpr_flat_scratch_init 0
		.amdhsa_user_sgpr_private_segment_size 0
		.amdhsa_uses_dynamic_stack 0
		.amdhsa_system_sgpr_private_segment_wavefront_offset 0
		.amdhsa_system_sgpr_workgroup_id_x 1
		.amdhsa_system_sgpr_workgroup_id_y 0
		.amdhsa_system_sgpr_workgroup_id_z 0
		.amdhsa_system_sgpr_workgroup_info 0
		.amdhsa_system_vgpr_workitem_id 0
		.amdhsa_next_free_vgpr 1
		.amdhsa_next_free_sgpr 0
		.amdhsa_reserve_vcc 0
		.amdhsa_reserve_flat_scratch 0
		.amdhsa_float_round_mode_32 0
		.amdhsa_float_round_mode_16_64 0
		.amdhsa_float_denorm_mode_32 3
		.amdhsa_float_denorm_mode_16_64 3
		.amdhsa_dx10_clamp 1
		.amdhsa_ieee_mode 1
		.amdhsa_fp16_overflow 0
		.amdhsa_exception_fp_ieee_invalid_op 0
		.amdhsa_exception_fp_denorm_src 0
		.amdhsa_exception_fp_ieee_div_zero 0
		.amdhsa_exception_fp_ieee_overflow 0
		.amdhsa_exception_fp_ieee_underflow 0
		.amdhsa_exception_fp_ieee_inexact 0
		.amdhsa_exception_int_div_zero 0
	.end_amdhsa_kernel
	.section	.text._ZN7rocprim17ROCPRIM_400000_NS6detail17trampoline_kernelINS0_14default_configENS1_35radix_sort_onesweep_config_selectorIalEEZNS1_34radix_sort_onesweep_global_offsetsIS3_Lb0EPaN6thrust23THRUST_200600_302600_NS10device_ptrIlEEjNS0_19identity_decomposerEEE10hipError_tT1_T2_PT3_SG_jT4_jjP12ihipStream_tbEUlT_E0_NS1_11comp_targetILNS1_3genE9ELNS1_11target_archE1100ELNS1_3gpuE3ELNS1_3repE0EEENS1_52radix_sort_onesweep_histogram_config_static_selectorELNS0_4arch9wavefront6targetE1EEEvSE_,"axG",@progbits,_ZN7rocprim17ROCPRIM_400000_NS6detail17trampoline_kernelINS0_14default_configENS1_35radix_sort_onesweep_config_selectorIalEEZNS1_34radix_sort_onesweep_global_offsetsIS3_Lb0EPaN6thrust23THRUST_200600_302600_NS10device_ptrIlEEjNS0_19identity_decomposerEEE10hipError_tT1_T2_PT3_SG_jT4_jjP12ihipStream_tbEUlT_E0_NS1_11comp_targetILNS1_3genE9ELNS1_11target_archE1100ELNS1_3gpuE3ELNS1_3repE0EEENS1_52radix_sort_onesweep_histogram_config_static_selectorELNS0_4arch9wavefront6targetE1EEEvSE_,comdat
.Lfunc_end598:
	.size	_ZN7rocprim17ROCPRIM_400000_NS6detail17trampoline_kernelINS0_14default_configENS1_35radix_sort_onesweep_config_selectorIalEEZNS1_34radix_sort_onesweep_global_offsetsIS3_Lb0EPaN6thrust23THRUST_200600_302600_NS10device_ptrIlEEjNS0_19identity_decomposerEEE10hipError_tT1_T2_PT3_SG_jT4_jjP12ihipStream_tbEUlT_E0_NS1_11comp_targetILNS1_3genE9ELNS1_11target_archE1100ELNS1_3gpuE3ELNS1_3repE0EEENS1_52radix_sort_onesweep_histogram_config_static_selectorELNS0_4arch9wavefront6targetE1EEEvSE_, .Lfunc_end598-_ZN7rocprim17ROCPRIM_400000_NS6detail17trampoline_kernelINS0_14default_configENS1_35radix_sort_onesweep_config_selectorIalEEZNS1_34radix_sort_onesweep_global_offsetsIS3_Lb0EPaN6thrust23THRUST_200600_302600_NS10device_ptrIlEEjNS0_19identity_decomposerEEE10hipError_tT1_T2_PT3_SG_jT4_jjP12ihipStream_tbEUlT_E0_NS1_11comp_targetILNS1_3genE9ELNS1_11target_archE1100ELNS1_3gpuE3ELNS1_3repE0EEENS1_52radix_sort_onesweep_histogram_config_static_selectorELNS0_4arch9wavefront6targetE1EEEvSE_
                                        ; -- End function
	.set _ZN7rocprim17ROCPRIM_400000_NS6detail17trampoline_kernelINS0_14default_configENS1_35radix_sort_onesweep_config_selectorIalEEZNS1_34radix_sort_onesweep_global_offsetsIS3_Lb0EPaN6thrust23THRUST_200600_302600_NS10device_ptrIlEEjNS0_19identity_decomposerEEE10hipError_tT1_T2_PT3_SG_jT4_jjP12ihipStream_tbEUlT_E0_NS1_11comp_targetILNS1_3genE9ELNS1_11target_archE1100ELNS1_3gpuE3ELNS1_3repE0EEENS1_52radix_sort_onesweep_histogram_config_static_selectorELNS0_4arch9wavefront6targetE1EEEvSE_.num_vgpr, 0
	.set _ZN7rocprim17ROCPRIM_400000_NS6detail17trampoline_kernelINS0_14default_configENS1_35radix_sort_onesweep_config_selectorIalEEZNS1_34radix_sort_onesweep_global_offsetsIS3_Lb0EPaN6thrust23THRUST_200600_302600_NS10device_ptrIlEEjNS0_19identity_decomposerEEE10hipError_tT1_T2_PT3_SG_jT4_jjP12ihipStream_tbEUlT_E0_NS1_11comp_targetILNS1_3genE9ELNS1_11target_archE1100ELNS1_3gpuE3ELNS1_3repE0EEENS1_52radix_sort_onesweep_histogram_config_static_selectorELNS0_4arch9wavefront6targetE1EEEvSE_.num_agpr, 0
	.set _ZN7rocprim17ROCPRIM_400000_NS6detail17trampoline_kernelINS0_14default_configENS1_35radix_sort_onesweep_config_selectorIalEEZNS1_34radix_sort_onesweep_global_offsetsIS3_Lb0EPaN6thrust23THRUST_200600_302600_NS10device_ptrIlEEjNS0_19identity_decomposerEEE10hipError_tT1_T2_PT3_SG_jT4_jjP12ihipStream_tbEUlT_E0_NS1_11comp_targetILNS1_3genE9ELNS1_11target_archE1100ELNS1_3gpuE3ELNS1_3repE0EEENS1_52radix_sort_onesweep_histogram_config_static_selectorELNS0_4arch9wavefront6targetE1EEEvSE_.numbered_sgpr, 0
	.set _ZN7rocprim17ROCPRIM_400000_NS6detail17trampoline_kernelINS0_14default_configENS1_35radix_sort_onesweep_config_selectorIalEEZNS1_34radix_sort_onesweep_global_offsetsIS3_Lb0EPaN6thrust23THRUST_200600_302600_NS10device_ptrIlEEjNS0_19identity_decomposerEEE10hipError_tT1_T2_PT3_SG_jT4_jjP12ihipStream_tbEUlT_E0_NS1_11comp_targetILNS1_3genE9ELNS1_11target_archE1100ELNS1_3gpuE3ELNS1_3repE0EEENS1_52radix_sort_onesweep_histogram_config_static_selectorELNS0_4arch9wavefront6targetE1EEEvSE_.num_named_barrier, 0
	.set _ZN7rocprim17ROCPRIM_400000_NS6detail17trampoline_kernelINS0_14default_configENS1_35radix_sort_onesweep_config_selectorIalEEZNS1_34radix_sort_onesweep_global_offsetsIS3_Lb0EPaN6thrust23THRUST_200600_302600_NS10device_ptrIlEEjNS0_19identity_decomposerEEE10hipError_tT1_T2_PT3_SG_jT4_jjP12ihipStream_tbEUlT_E0_NS1_11comp_targetILNS1_3genE9ELNS1_11target_archE1100ELNS1_3gpuE3ELNS1_3repE0EEENS1_52radix_sort_onesweep_histogram_config_static_selectorELNS0_4arch9wavefront6targetE1EEEvSE_.private_seg_size, 0
	.set _ZN7rocprim17ROCPRIM_400000_NS6detail17trampoline_kernelINS0_14default_configENS1_35radix_sort_onesweep_config_selectorIalEEZNS1_34radix_sort_onesweep_global_offsetsIS3_Lb0EPaN6thrust23THRUST_200600_302600_NS10device_ptrIlEEjNS0_19identity_decomposerEEE10hipError_tT1_T2_PT3_SG_jT4_jjP12ihipStream_tbEUlT_E0_NS1_11comp_targetILNS1_3genE9ELNS1_11target_archE1100ELNS1_3gpuE3ELNS1_3repE0EEENS1_52radix_sort_onesweep_histogram_config_static_selectorELNS0_4arch9wavefront6targetE1EEEvSE_.uses_vcc, 0
	.set _ZN7rocprim17ROCPRIM_400000_NS6detail17trampoline_kernelINS0_14default_configENS1_35radix_sort_onesweep_config_selectorIalEEZNS1_34radix_sort_onesweep_global_offsetsIS3_Lb0EPaN6thrust23THRUST_200600_302600_NS10device_ptrIlEEjNS0_19identity_decomposerEEE10hipError_tT1_T2_PT3_SG_jT4_jjP12ihipStream_tbEUlT_E0_NS1_11comp_targetILNS1_3genE9ELNS1_11target_archE1100ELNS1_3gpuE3ELNS1_3repE0EEENS1_52radix_sort_onesweep_histogram_config_static_selectorELNS0_4arch9wavefront6targetE1EEEvSE_.uses_flat_scratch, 0
	.set _ZN7rocprim17ROCPRIM_400000_NS6detail17trampoline_kernelINS0_14default_configENS1_35radix_sort_onesweep_config_selectorIalEEZNS1_34radix_sort_onesweep_global_offsetsIS3_Lb0EPaN6thrust23THRUST_200600_302600_NS10device_ptrIlEEjNS0_19identity_decomposerEEE10hipError_tT1_T2_PT3_SG_jT4_jjP12ihipStream_tbEUlT_E0_NS1_11comp_targetILNS1_3genE9ELNS1_11target_archE1100ELNS1_3gpuE3ELNS1_3repE0EEENS1_52radix_sort_onesweep_histogram_config_static_selectorELNS0_4arch9wavefront6targetE1EEEvSE_.has_dyn_sized_stack, 0
	.set _ZN7rocprim17ROCPRIM_400000_NS6detail17trampoline_kernelINS0_14default_configENS1_35radix_sort_onesweep_config_selectorIalEEZNS1_34radix_sort_onesweep_global_offsetsIS3_Lb0EPaN6thrust23THRUST_200600_302600_NS10device_ptrIlEEjNS0_19identity_decomposerEEE10hipError_tT1_T2_PT3_SG_jT4_jjP12ihipStream_tbEUlT_E0_NS1_11comp_targetILNS1_3genE9ELNS1_11target_archE1100ELNS1_3gpuE3ELNS1_3repE0EEENS1_52radix_sort_onesweep_histogram_config_static_selectorELNS0_4arch9wavefront6targetE1EEEvSE_.has_recursion, 0
	.set _ZN7rocprim17ROCPRIM_400000_NS6detail17trampoline_kernelINS0_14default_configENS1_35radix_sort_onesweep_config_selectorIalEEZNS1_34radix_sort_onesweep_global_offsetsIS3_Lb0EPaN6thrust23THRUST_200600_302600_NS10device_ptrIlEEjNS0_19identity_decomposerEEE10hipError_tT1_T2_PT3_SG_jT4_jjP12ihipStream_tbEUlT_E0_NS1_11comp_targetILNS1_3genE9ELNS1_11target_archE1100ELNS1_3gpuE3ELNS1_3repE0EEENS1_52radix_sort_onesweep_histogram_config_static_selectorELNS0_4arch9wavefront6targetE1EEEvSE_.has_indirect_call, 0
	.section	.AMDGPU.csdata,"",@progbits
; Kernel info:
; codeLenInByte = 0
; TotalNumSgprs: 4
; NumVgprs: 0
; ScratchSize: 0
; MemoryBound: 0
; FloatMode: 240
; IeeeMode: 1
; LDSByteSize: 0 bytes/workgroup (compile time only)
; SGPRBlocks: 0
; VGPRBlocks: 0
; NumSGPRsForWavesPerEU: 4
; NumVGPRsForWavesPerEU: 1
; Occupancy: 10
; WaveLimiterHint : 0
; COMPUTE_PGM_RSRC2:SCRATCH_EN: 0
; COMPUTE_PGM_RSRC2:USER_SGPR: 6
; COMPUTE_PGM_RSRC2:TRAP_HANDLER: 0
; COMPUTE_PGM_RSRC2:TGID_X_EN: 1
; COMPUTE_PGM_RSRC2:TGID_Y_EN: 0
; COMPUTE_PGM_RSRC2:TGID_Z_EN: 0
; COMPUTE_PGM_RSRC2:TIDIG_COMP_CNT: 0
	.section	.text._ZN7rocprim17ROCPRIM_400000_NS6detail17trampoline_kernelINS0_14default_configENS1_35radix_sort_onesweep_config_selectorIalEEZNS1_34radix_sort_onesweep_global_offsetsIS3_Lb0EPaN6thrust23THRUST_200600_302600_NS10device_ptrIlEEjNS0_19identity_decomposerEEE10hipError_tT1_T2_PT3_SG_jT4_jjP12ihipStream_tbEUlT_E0_NS1_11comp_targetILNS1_3genE8ELNS1_11target_archE1030ELNS1_3gpuE2ELNS1_3repE0EEENS1_52radix_sort_onesweep_histogram_config_static_selectorELNS0_4arch9wavefront6targetE1EEEvSE_,"axG",@progbits,_ZN7rocprim17ROCPRIM_400000_NS6detail17trampoline_kernelINS0_14default_configENS1_35radix_sort_onesweep_config_selectorIalEEZNS1_34radix_sort_onesweep_global_offsetsIS3_Lb0EPaN6thrust23THRUST_200600_302600_NS10device_ptrIlEEjNS0_19identity_decomposerEEE10hipError_tT1_T2_PT3_SG_jT4_jjP12ihipStream_tbEUlT_E0_NS1_11comp_targetILNS1_3genE8ELNS1_11target_archE1030ELNS1_3gpuE2ELNS1_3repE0EEENS1_52radix_sort_onesweep_histogram_config_static_selectorELNS0_4arch9wavefront6targetE1EEEvSE_,comdat
	.protected	_ZN7rocprim17ROCPRIM_400000_NS6detail17trampoline_kernelINS0_14default_configENS1_35radix_sort_onesweep_config_selectorIalEEZNS1_34radix_sort_onesweep_global_offsetsIS3_Lb0EPaN6thrust23THRUST_200600_302600_NS10device_ptrIlEEjNS0_19identity_decomposerEEE10hipError_tT1_T2_PT3_SG_jT4_jjP12ihipStream_tbEUlT_E0_NS1_11comp_targetILNS1_3genE8ELNS1_11target_archE1030ELNS1_3gpuE2ELNS1_3repE0EEENS1_52radix_sort_onesweep_histogram_config_static_selectorELNS0_4arch9wavefront6targetE1EEEvSE_ ; -- Begin function _ZN7rocprim17ROCPRIM_400000_NS6detail17trampoline_kernelINS0_14default_configENS1_35radix_sort_onesweep_config_selectorIalEEZNS1_34radix_sort_onesweep_global_offsetsIS3_Lb0EPaN6thrust23THRUST_200600_302600_NS10device_ptrIlEEjNS0_19identity_decomposerEEE10hipError_tT1_T2_PT3_SG_jT4_jjP12ihipStream_tbEUlT_E0_NS1_11comp_targetILNS1_3genE8ELNS1_11target_archE1030ELNS1_3gpuE2ELNS1_3repE0EEENS1_52radix_sort_onesweep_histogram_config_static_selectorELNS0_4arch9wavefront6targetE1EEEvSE_
	.globl	_ZN7rocprim17ROCPRIM_400000_NS6detail17trampoline_kernelINS0_14default_configENS1_35radix_sort_onesweep_config_selectorIalEEZNS1_34radix_sort_onesweep_global_offsetsIS3_Lb0EPaN6thrust23THRUST_200600_302600_NS10device_ptrIlEEjNS0_19identity_decomposerEEE10hipError_tT1_T2_PT3_SG_jT4_jjP12ihipStream_tbEUlT_E0_NS1_11comp_targetILNS1_3genE8ELNS1_11target_archE1030ELNS1_3gpuE2ELNS1_3repE0EEENS1_52radix_sort_onesweep_histogram_config_static_selectorELNS0_4arch9wavefront6targetE1EEEvSE_
	.p2align	8
	.type	_ZN7rocprim17ROCPRIM_400000_NS6detail17trampoline_kernelINS0_14default_configENS1_35radix_sort_onesweep_config_selectorIalEEZNS1_34radix_sort_onesweep_global_offsetsIS3_Lb0EPaN6thrust23THRUST_200600_302600_NS10device_ptrIlEEjNS0_19identity_decomposerEEE10hipError_tT1_T2_PT3_SG_jT4_jjP12ihipStream_tbEUlT_E0_NS1_11comp_targetILNS1_3genE8ELNS1_11target_archE1030ELNS1_3gpuE2ELNS1_3repE0EEENS1_52radix_sort_onesweep_histogram_config_static_selectorELNS0_4arch9wavefront6targetE1EEEvSE_,@function
_ZN7rocprim17ROCPRIM_400000_NS6detail17trampoline_kernelINS0_14default_configENS1_35radix_sort_onesweep_config_selectorIalEEZNS1_34radix_sort_onesweep_global_offsetsIS3_Lb0EPaN6thrust23THRUST_200600_302600_NS10device_ptrIlEEjNS0_19identity_decomposerEEE10hipError_tT1_T2_PT3_SG_jT4_jjP12ihipStream_tbEUlT_E0_NS1_11comp_targetILNS1_3genE8ELNS1_11target_archE1030ELNS1_3gpuE2ELNS1_3repE0EEENS1_52radix_sort_onesweep_histogram_config_static_selectorELNS0_4arch9wavefront6targetE1EEEvSE_: ; @_ZN7rocprim17ROCPRIM_400000_NS6detail17trampoline_kernelINS0_14default_configENS1_35radix_sort_onesweep_config_selectorIalEEZNS1_34radix_sort_onesweep_global_offsetsIS3_Lb0EPaN6thrust23THRUST_200600_302600_NS10device_ptrIlEEjNS0_19identity_decomposerEEE10hipError_tT1_T2_PT3_SG_jT4_jjP12ihipStream_tbEUlT_E0_NS1_11comp_targetILNS1_3genE8ELNS1_11target_archE1030ELNS1_3gpuE2ELNS1_3repE0EEENS1_52radix_sort_onesweep_histogram_config_static_selectorELNS0_4arch9wavefront6targetE1EEEvSE_
; %bb.0:
	.section	.rodata,"a",@progbits
	.p2align	6, 0x0
	.amdhsa_kernel _ZN7rocprim17ROCPRIM_400000_NS6detail17trampoline_kernelINS0_14default_configENS1_35radix_sort_onesweep_config_selectorIalEEZNS1_34radix_sort_onesweep_global_offsetsIS3_Lb0EPaN6thrust23THRUST_200600_302600_NS10device_ptrIlEEjNS0_19identity_decomposerEEE10hipError_tT1_T2_PT3_SG_jT4_jjP12ihipStream_tbEUlT_E0_NS1_11comp_targetILNS1_3genE8ELNS1_11target_archE1030ELNS1_3gpuE2ELNS1_3repE0EEENS1_52radix_sort_onesweep_histogram_config_static_selectorELNS0_4arch9wavefront6targetE1EEEvSE_
		.amdhsa_group_segment_fixed_size 0
		.amdhsa_private_segment_fixed_size 0
		.amdhsa_kernarg_size 8
		.amdhsa_user_sgpr_count 6
		.amdhsa_user_sgpr_private_segment_buffer 1
		.amdhsa_user_sgpr_dispatch_ptr 0
		.amdhsa_user_sgpr_queue_ptr 0
		.amdhsa_user_sgpr_kernarg_segment_ptr 1
		.amdhsa_user_sgpr_dispatch_id 0
		.amdhsa_user_sgpr_flat_scratch_init 0
		.amdhsa_user_sgpr_private_segment_size 0
		.amdhsa_uses_dynamic_stack 0
		.amdhsa_system_sgpr_private_segment_wavefront_offset 0
		.amdhsa_system_sgpr_workgroup_id_x 1
		.amdhsa_system_sgpr_workgroup_id_y 0
		.amdhsa_system_sgpr_workgroup_id_z 0
		.amdhsa_system_sgpr_workgroup_info 0
		.amdhsa_system_vgpr_workitem_id 0
		.amdhsa_next_free_vgpr 1
		.amdhsa_next_free_sgpr 0
		.amdhsa_reserve_vcc 0
		.amdhsa_reserve_flat_scratch 0
		.amdhsa_float_round_mode_32 0
		.amdhsa_float_round_mode_16_64 0
		.amdhsa_float_denorm_mode_32 3
		.amdhsa_float_denorm_mode_16_64 3
		.amdhsa_dx10_clamp 1
		.amdhsa_ieee_mode 1
		.amdhsa_fp16_overflow 0
		.amdhsa_exception_fp_ieee_invalid_op 0
		.amdhsa_exception_fp_denorm_src 0
		.amdhsa_exception_fp_ieee_div_zero 0
		.amdhsa_exception_fp_ieee_overflow 0
		.amdhsa_exception_fp_ieee_underflow 0
		.amdhsa_exception_fp_ieee_inexact 0
		.amdhsa_exception_int_div_zero 0
	.end_amdhsa_kernel
	.section	.text._ZN7rocprim17ROCPRIM_400000_NS6detail17trampoline_kernelINS0_14default_configENS1_35radix_sort_onesweep_config_selectorIalEEZNS1_34radix_sort_onesweep_global_offsetsIS3_Lb0EPaN6thrust23THRUST_200600_302600_NS10device_ptrIlEEjNS0_19identity_decomposerEEE10hipError_tT1_T2_PT3_SG_jT4_jjP12ihipStream_tbEUlT_E0_NS1_11comp_targetILNS1_3genE8ELNS1_11target_archE1030ELNS1_3gpuE2ELNS1_3repE0EEENS1_52radix_sort_onesweep_histogram_config_static_selectorELNS0_4arch9wavefront6targetE1EEEvSE_,"axG",@progbits,_ZN7rocprim17ROCPRIM_400000_NS6detail17trampoline_kernelINS0_14default_configENS1_35radix_sort_onesweep_config_selectorIalEEZNS1_34radix_sort_onesweep_global_offsetsIS3_Lb0EPaN6thrust23THRUST_200600_302600_NS10device_ptrIlEEjNS0_19identity_decomposerEEE10hipError_tT1_T2_PT3_SG_jT4_jjP12ihipStream_tbEUlT_E0_NS1_11comp_targetILNS1_3genE8ELNS1_11target_archE1030ELNS1_3gpuE2ELNS1_3repE0EEENS1_52radix_sort_onesweep_histogram_config_static_selectorELNS0_4arch9wavefront6targetE1EEEvSE_,comdat
.Lfunc_end599:
	.size	_ZN7rocprim17ROCPRIM_400000_NS6detail17trampoline_kernelINS0_14default_configENS1_35radix_sort_onesweep_config_selectorIalEEZNS1_34radix_sort_onesweep_global_offsetsIS3_Lb0EPaN6thrust23THRUST_200600_302600_NS10device_ptrIlEEjNS0_19identity_decomposerEEE10hipError_tT1_T2_PT3_SG_jT4_jjP12ihipStream_tbEUlT_E0_NS1_11comp_targetILNS1_3genE8ELNS1_11target_archE1030ELNS1_3gpuE2ELNS1_3repE0EEENS1_52radix_sort_onesweep_histogram_config_static_selectorELNS0_4arch9wavefront6targetE1EEEvSE_, .Lfunc_end599-_ZN7rocprim17ROCPRIM_400000_NS6detail17trampoline_kernelINS0_14default_configENS1_35radix_sort_onesweep_config_selectorIalEEZNS1_34radix_sort_onesweep_global_offsetsIS3_Lb0EPaN6thrust23THRUST_200600_302600_NS10device_ptrIlEEjNS0_19identity_decomposerEEE10hipError_tT1_T2_PT3_SG_jT4_jjP12ihipStream_tbEUlT_E0_NS1_11comp_targetILNS1_3genE8ELNS1_11target_archE1030ELNS1_3gpuE2ELNS1_3repE0EEENS1_52radix_sort_onesweep_histogram_config_static_selectorELNS0_4arch9wavefront6targetE1EEEvSE_
                                        ; -- End function
	.set _ZN7rocprim17ROCPRIM_400000_NS6detail17trampoline_kernelINS0_14default_configENS1_35radix_sort_onesweep_config_selectorIalEEZNS1_34radix_sort_onesweep_global_offsetsIS3_Lb0EPaN6thrust23THRUST_200600_302600_NS10device_ptrIlEEjNS0_19identity_decomposerEEE10hipError_tT1_T2_PT3_SG_jT4_jjP12ihipStream_tbEUlT_E0_NS1_11comp_targetILNS1_3genE8ELNS1_11target_archE1030ELNS1_3gpuE2ELNS1_3repE0EEENS1_52radix_sort_onesweep_histogram_config_static_selectorELNS0_4arch9wavefront6targetE1EEEvSE_.num_vgpr, 0
	.set _ZN7rocprim17ROCPRIM_400000_NS6detail17trampoline_kernelINS0_14default_configENS1_35radix_sort_onesweep_config_selectorIalEEZNS1_34radix_sort_onesweep_global_offsetsIS3_Lb0EPaN6thrust23THRUST_200600_302600_NS10device_ptrIlEEjNS0_19identity_decomposerEEE10hipError_tT1_T2_PT3_SG_jT4_jjP12ihipStream_tbEUlT_E0_NS1_11comp_targetILNS1_3genE8ELNS1_11target_archE1030ELNS1_3gpuE2ELNS1_3repE0EEENS1_52radix_sort_onesweep_histogram_config_static_selectorELNS0_4arch9wavefront6targetE1EEEvSE_.num_agpr, 0
	.set _ZN7rocprim17ROCPRIM_400000_NS6detail17trampoline_kernelINS0_14default_configENS1_35radix_sort_onesweep_config_selectorIalEEZNS1_34radix_sort_onesweep_global_offsetsIS3_Lb0EPaN6thrust23THRUST_200600_302600_NS10device_ptrIlEEjNS0_19identity_decomposerEEE10hipError_tT1_T2_PT3_SG_jT4_jjP12ihipStream_tbEUlT_E0_NS1_11comp_targetILNS1_3genE8ELNS1_11target_archE1030ELNS1_3gpuE2ELNS1_3repE0EEENS1_52radix_sort_onesweep_histogram_config_static_selectorELNS0_4arch9wavefront6targetE1EEEvSE_.numbered_sgpr, 0
	.set _ZN7rocprim17ROCPRIM_400000_NS6detail17trampoline_kernelINS0_14default_configENS1_35radix_sort_onesweep_config_selectorIalEEZNS1_34radix_sort_onesweep_global_offsetsIS3_Lb0EPaN6thrust23THRUST_200600_302600_NS10device_ptrIlEEjNS0_19identity_decomposerEEE10hipError_tT1_T2_PT3_SG_jT4_jjP12ihipStream_tbEUlT_E0_NS1_11comp_targetILNS1_3genE8ELNS1_11target_archE1030ELNS1_3gpuE2ELNS1_3repE0EEENS1_52radix_sort_onesweep_histogram_config_static_selectorELNS0_4arch9wavefront6targetE1EEEvSE_.num_named_barrier, 0
	.set _ZN7rocprim17ROCPRIM_400000_NS6detail17trampoline_kernelINS0_14default_configENS1_35radix_sort_onesweep_config_selectorIalEEZNS1_34radix_sort_onesweep_global_offsetsIS3_Lb0EPaN6thrust23THRUST_200600_302600_NS10device_ptrIlEEjNS0_19identity_decomposerEEE10hipError_tT1_T2_PT3_SG_jT4_jjP12ihipStream_tbEUlT_E0_NS1_11comp_targetILNS1_3genE8ELNS1_11target_archE1030ELNS1_3gpuE2ELNS1_3repE0EEENS1_52radix_sort_onesweep_histogram_config_static_selectorELNS0_4arch9wavefront6targetE1EEEvSE_.private_seg_size, 0
	.set _ZN7rocprim17ROCPRIM_400000_NS6detail17trampoline_kernelINS0_14default_configENS1_35radix_sort_onesweep_config_selectorIalEEZNS1_34radix_sort_onesweep_global_offsetsIS3_Lb0EPaN6thrust23THRUST_200600_302600_NS10device_ptrIlEEjNS0_19identity_decomposerEEE10hipError_tT1_T2_PT3_SG_jT4_jjP12ihipStream_tbEUlT_E0_NS1_11comp_targetILNS1_3genE8ELNS1_11target_archE1030ELNS1_3gpuE2ELNS1_3repE0EEENS1_52radix_sort_onesweep_histogram_config_static_selectorELNS0_4arch9wavefront6targetE1EEEvSE_.uses_vcc, 0
	.set _ZN7rocprim17ROCPRIM_400000_NS6detail17trampoline_kernelINS0_14default_configENS1_35radix_sort_onesweep_config_selectorIalEEZNS1_34radix_sort_onesweep_global_offsetsIS3_Lb0EPaN6thrust23THRUST_200600_302600_NS10device_ptrIlEEjNS0_19identity_decomposerEEE10hipError_tT1_T2_PT3_SG_jT4_jjP12ihipStream_tbEUlT_E0_NS1_11comp_targetILNS1_3genE8ELNS1_11target_archE1030ELNS1_3gpuE2ELNS1_3repE0EEENS1_52radix_sort_onesweep_histogram_config_static_selectorELNS0_4arch9wavefront6targetE1EEEvSE_.uses_flat_scratch, 0
	.set _ZN7rocprim17ROCPRIM_400000_NS6detail17trampoline_kernelINS0_14default_configENS1_35radix_sort_onesweep_config_selectorIalEEZNS1_34radix_sort_onesweep_global_offsetsIS3_Lb0EPaN6thrust23THRUST_200600_302600_NS10device_ptrIlEEjNS0_19identity_decomposerEEE10hipError_tT1_T2_PT3_SG_jT4_jjP12ihipStream_tbEUlT_E0_NS1_11comp_targetILNS1_3genE8ELNS1_11target_archE1030ELNS1_3gpuE2ELNS1_3repE0EEENS1_52radix_sort_onesweep_histogram_config_static_selectorELNS0_4arch9wavefront6targetE1EEEvSE_.has_dyn_sized_stack, 0
	.set _ZN7rocprim17ROCPRIM_400000_NS6detail17trampoline_kernelINS0_14default_configENS1_35radix_sort_onesweep_config_selectorIalEEZNS1_34radix_sort_onesweep_global_offsetsIS3_Lb0EPaN6thrust23THRUST_200600_302600_NS10device_ptrIlEEjNS0_19identity_decomposerEEE10hipError_tT1_T2_PT3_SG_jT4_jjP12ihipStream_tbEUlT_E0_NS1_11comp_targetILNS1_3genE8ELNS1_11target_archE1030ELNS1_3gpuE2ELNS1_3repE0EEENS1_52radix_sort_onesweep_histogram_config_static_selectorELNS0_4arch9wavefront6targetE1EEEvSE_.has_recursion, 0
	.set _ZN7rocprim17ROCPRIM_400000_NS6detail17trampoline_kernelINS0_14default_configENS1_35radix_sort_onesweep_config_selectorIalEEZNS1_34radix_sort_onesweep_global_offsetsIS3_Lb0EPaN6thrust23THRUST_200600_302600_NS10device_ptrIlEEjNS0_19identity_decomposerEEE10hipError_tT1_T2_PT3_SG_jT4_jjP12ihipStream_tbEUlT_E0_NS1_11comp_targetILNS1_3genE8ELNS1_11target_archE1030ELNS1_3gpuE2ELNS1_3repE0EEENS1_52radix_sort_onesweep_histogram_config_static_selectorELNS0_4arch9wavefront6targetE1EEEvSE_.has_indirect_call, 0
	.section	.AMDGPU.csdata,"",@progbits
; Kernel info:
; codeLenInByte = 0
; TotalNumSgprs: 4
; NumVgprs: 0
; ScratchSize: 0
; MemoryBound: 0
; FloatMode: 240
; IeeeMode: 1
; LDSByteSize: 0 bytes/workgroup (compile time only)
; SGPRBlocks: 0
; VGPRBlocks: 0
; NumSGPRsForWavesPerEU: 4
; NumVGPRsForWavesPerEU: 1
; Occupancy: 10
; WaveLimiterHint : 0
; COMPUTE_PGM_RSRC2:SCRATCH_EN: 0
; COMPUTE_PGM_RSRC2:USER_SGPR: 6
; COMPUTE_PGM_RSRC2:TRAP_HANDLER: 0
; COMPUTE_PGM_RSRC2:TGID_X_EN: 1
; COMPUTE_PGM_RSRC2:TGID_Y_EN: 0
; COMPUTE_PGM_RSRC2:TGID_Z_EN: 0
; COMPUTE_PGM_RSRC2:TIDIG_COMP_CNT: 0
	.section	.text._ZN7rocprim17ROCPRIM_400000_NS6detail17trampoline_kernelINS0_14default_configENS1_35radix_sort_onesweep_config_selectorIalEEZZNS1_29radix_sort_onesweep_iterationIS3_Lb0EPaS7_N6thrust23THRUST_200600_302600_NS10device_ptrIlEESB_jNS0_19identity_decomposerENS1_16block_id_wrapperIjLb1EEEEE10hipError_tT1_PNSt15iterator_traitsISG_E10value_typeET2_T3_PNSH_ISM_E10value_typeET4_T5_PSR_SS_PNS1_23onesweep_lookback_stateEbbT6_jjT7_P12ihipStream_tbENKUlT_T0_SG_SL_E_clIS7_S7_SB_SB_EEDaSZ_S10_SG_SL_EUlSZ_E_NS1_11comp_targetILNS1_3genE0ELNS1_11target_archE4294967295ELNS1_3gpuE0ELNS1_3repE0EEENS1_47radix_sort_onesweep_sort_config_static_selectorELNS0_4arch9wavefront6targetE1EEEvSG_,"axG",@progbits,_ZN7rocprim17ROCPRIM_400000_NS6detail17trampoline_kernelINS0_14default_configENS1_35radix_sort_onesweep_config_selectorIalEEZZNS1_29radix_sort_onesweep_iterationIS3_Lb0EPaS7_N6thrust23THRUST_200600_302600_NS10device_ptrIlEESB_jNS0_19identity_decomposerENS1_16block_id_wrapperIjLb1EEEEE10hipError_tT1_PNSt15iterator_traitsISG_E10value_typeET2_T3_PNSH_ISM_E10value_typeET4_T5_PSR_SS_PNS1_23onesweep_lookback_stateEbbT6_jjT7_P12ihipStream_tbENKUlT_T0_SG_SL_E_clIS7_S7_SB_SB_EEDaSZ_S10_SG_SL_EUlSZ_E_NS1_11comp_targetILNS1_3genE0ELNS1_11target_archE4294967295ELNS1_3gpuE0ELNS1_3repE0EEENS1_47radix_sort_onesweep_sort_config_static_selectorELNS0_4arch9wavefront6targetE1EEEvSG_,comdat
	.protected	_ZN7rocprim17ROCPRIM_400000_NS6detail17trampoline_kernelINS0_14default_configENS1_35radix_sort_onesweep_config_selectorIalEEZZNS1_29radix_sort_onesweep_iterationIS3_Lb0EPaS7_N6thrust23THRUST_200600_302600_NS10device_ptrIlEESB_jNS0_19identity_decomposerENS1_16block_id_wrapperIjLb1EEEEE10hipError_tT1_PNSt15iterator_traitsISG_E10value_typeET2_T3_PNSH_ISM_E10value_typeET4_T5_PSR_SS_PNS1_23onesweep_lookback_stateEbbT6_jjT7_P12ihipStream_tbENKUlT_T0_SG_SL_E_clIS7_S7_SB_SB_EEDaSZ_S10_SG_SL_EUlSZ_E_NS1_11comp_targetILNS1_3genE0ELNS1_11target_archE4294967295ELNS1_3gpuE0ELNS1_3repE0EEENS1_47radix_sort_onesweep_sort_config_static_selectorELNS0_4arch9wavefront6targetE1EEEvSG_ ; -- Begin function _ZN7rocprim17ROCPRIM_400000_NS6detail17trampoline_kernelINS0_14default_configENS1_35radix_sort_onesweep_config_selectorIalEEZZNS1_29radix_sort_onesweep_iterationIS3_Lb0EPaS7_N6thrust23THRUST_200600_302600_NS10device_ptrIlEESB_jNS0_19identity_decomposerENS1_16block_id_wrapperIjLb1EEEEE10hipError_tT1_PNSt15iterator_traitsISG_E10value_typeET2_T3_PNSH_ISM_E10value_typeET4_T5_PSR_SS_PNS1_23onesweep_lookback_stateEbbT6_jjT7_P12ihipStream_tbENKUlT_T0_SG_SL_E_clIS7_S7_SB_SB_EEDaSZ_S10_SG_SL_EUlSZ_E_NS1_11comp_targetILNS1_3genE0ELNS1_11target_archE4294967295ELNS1_3gpuE0ELNS1_3repE0EEENS1_47radix_sort_onesweep_sort_config_static_selectorELNS0_4arch9wavefront6targetE1EEEvSG_
	.globl	_ZN7rocprim17ROCPRIM_400000_NS6detail17trampoline_kernelINS0_14default_configENS1_35radix_sort_onesweep_config_selectorIalEEZZNS1_29radix_sort_onesweep_iterationIS3_Lb0EPaS7_N6thrust23THRUST_200600_302600_NS10device_ptrIlEESB_jNS0_19identity_decomposerENS1_16block_id_wrapperIjLb1EEEEE10hipError_tT1_PNSt15iterator_traitsISG_E10value_typeET2_T3_PNSH_ISM_E10value_typeET4_T5_PSR_SS_PNS1_23onesweep_lookback_stateEbbT6_jjT7_P12ihipStream_tbENKUlT_T0_SG_SL_E_clIS7_S7_SB_SB_EEDaSZ_S10_SG_SL_EUlSZ_E_NS1_11comp_targetILNS1_3genE0ELNS1_11target_archE4294967295ELNS1_3gpuE0ELNS1_3repE0EEENS1_47radix_sort_onesweep_sort_config_static_selectorELNS0_4arch9wavefront6targetE1EEEvSG_
	.p2align	8
	.type	_ZN7rocprim17ROCPRIM_400000_NS6detail17trampoline_kernelINS0_14default_configENS1_35radix_sort_onesweep_config_selectorIalEEZZNS1_29radix_sort_onesweep_iterationIS3_Lb0EPaS7_N6thrust23THRUST_200600_302600_NS10device_ptrIlEESB_jNS0_19identity_decomposerENS1_16block_id_wrapperIjLb1EEEEE10hipError_tT1_PNSt15iterator_traitsISG_E10value_typeET2_T3_PNSH_ISM_E10value_typeET4_T5_PSR_SS_PNS1_23onesweep_lookback_stateEbbT6_jjT7_P12ihipStream_tbENKUlT_T0_SG_SL_E_clIS7_S7_SB_SB_EEDaSZ_S10_SG_SL_EUlSZ_E_NS1_11comp_targetILNS1_3genE0ELNS1_11target_archE4294967295ELNS1_3gpuE0ELNS1_3repE0EEENS1_47radix_sort_onesweep_sort_config_static_selectorELNS0_4arch9wavefront6targetE1EEEvSG_,@function
_ZN7rocprim17ROCPRIM_400000_NS6detail17trampoline_kernelINS0_14default_configENS1_35radix_sort_onesweep_config_selectorIalEEZZNS1_29radix_sort_onesweep_iterationIS3_Lb0EPaS7_N6thrust23THRUST_200600_302600_NS10device_ptrIlEESB_jNS0_19identity_decomposerENS1_16block_id_wrapperIjLb1EEEEE10hipError_tT1_PNSt15iterator_traitsISG_E10value_typeET2_T3_PNSH_ISM_E10value_typeET4_T5_PSR_SS_PNS1_23onesweep_lookback_stateEbbT6_jjT7_P12ihipStream_tbENKUlT_T0_SG_SL_E_clIS7_S7_SB_SB_EEDaSZ_S10_SG_SL_EUlSZ_E_NS1_11comp_targetILNS1_3genE0ELNS1_11target_archE4294967295ELNS1_3gpuE0ELNS1_3repE0EEENS1_47radix_sort_onesweep_sort_config_static_selectorELNS0_4arch9wavefront6targetE1EEEvSG_: ; @_ZN7rocprim17ROCPRIM_400000_NS6detail17trampoline_kernelINS0_14default_configENS1_35radix_sort_onesweep_config_selectorIalEEZZNS1_29radix_sort_onesweep_iterationIS3_Lb0EPaS7_N6thrust23THRUST_200600_302600_NS10device_ptrIlEESB_jNS0_19identity_decomposerENS1_16block_id_wrapperIjLb1EEEEE10hipError_tT1_PNSt15iterator_traitsISG_E10value_typeET2_T3_PNSH_ISM_E10value_typeET4_T5_PSR_SS_PNS1_23onesweep_lookback_stateEbbT6_jjT7_P12ihipStream_tbENKUlT_T0_SG_SL_E_clIS7_S7_SB_SB_EEDaSZ_S10_SG_SL_EUlSZ_E_NS1_11comp_targetILNS1_3genE0ELNS1_11target_archE4294967295ELNS1_3gpuE0ELNS1_3repE0EEENS1_47radix_sort_onesweep_sort_config_static_selectorELNS0_4arch9wavefront6targetE1EEEvSG_
; %bb.0:
	.section	.rodata,"a",@progbits
	.p2align	6, 0x0
	.amdhsa_kernel _ZN7rocprim17ROCPRIM_400000_NS6detail17trampoline_kernelINS0_14default_configENS1_35radix_sort_onesweep_config_selectorIalEEZZNS1_29radix_sort_onesweep_iterationIS3_Lb0EPaS7_N6thrust23THRUST_200600_302600_NS10device_ptrIlEESB_jNS0_19identity_decomposerENS1_16block_id_wrapperIjLb1EEEEE10hipError_tT1_PNSt15iterator_traitsISG_E10value_typeET2_T3_PNSH_ISM_E10value_typeET4_T5_PSR_SS_PNS1_23onesweep_lookback_stateEbbT6_jjT7_P12ihipStream_tbENKUlT_T0_SG_SL_E_clIS7_S7_SB_SB_EEDaSZ_S10_SG_SL_EUlSZ_E_NS1_11comp_targetILNS1_3genE0ELNS1_11target_archE4294967295ELNS1_3gpuE0ELNS1_3repE0EEENS1_47radix_sort_onesweep_sort_config_static_selectorELNS0_4arch9wavefront6targetE1EEEvSG_
		.amdhsa_group_segment_fixed_size 0
		.amdhsa_private_segment_fixed_size 0
		.amdhsa_kernarg_size 88
		.amdhsa_user_sgpr_count 6
		.amdhsa_user_sgpr_private_segment_buffer 1
		.amdhsa_user_sgpr_dispatch_ptr 0
		.amdhsa_user_sgpr_queue_ptr 0
		.amdhsa_user_sgpr_kernarg_segment_ptr 1
		.amdhsa_user_sgpr_dispatch_id 0
		.amdhsa_user_sgpr_flat_scratch_init 0
		.amdhsa_user_sgpr_private_segment_size 0
		.amdhsa_uses_dynamic_stack 0
		.amdhsa_system_sgpr_private_segment_wavefront_offset 0
		.amdhsa_system_sgpr_workgroup_id_x 1
		.amdhsa_system_sgpr_workgroup_id_y 0
		.amdhsa_system_sgpr_workgroup_id_z 0
		.amdhsa_system_sgpr_workgroup_info 0
		.amdhsa_system_vgpr_workitem_id 0
		.amdhsa_next_free_vgpr 1
		.amdhsa_next_free_sgpr 0
		.amdhsa_reserve_vcc 0
		.amdhsa_reserve_flat_scratch 0
		.amdhsa_float_round_mode_32 0
		.amdhsa_float_round_mode_16_64 0
		.amdhsa_float_denorm_mode_32 3
		.amdhsa_float_denorm_mode_16_64 3
		.amdhsa_dx10_clamp 1
		.amdhsa_ieee_mode 1
		.amdhsa_fp16_overflow 0
		.amdhsa_exception_fp_ieee_invalid_op 0
		.amdhsa_exception_fp_denorm_src 0
		.amdhsa_exception_fp_ieee_div_zero 0
		.amdhsa_exception_fp_ieee_overflow 0
		.amdhsa_exception_fp_ieee_underflow 0
		.amdhsa_exception_fp_ieee_inexact 0
		.amdhsa_exception_int_div_zero 0
	.end_amdhsa_kernel
	.section	.text._ZN7rocprim17ROCPRIM_400000_NS6detail17trampoline_kernelINS0_14default_configENS1_35radix_sort_onesweep_config_selectorIalEEZZNS1_29radix_sort_onesweep_iterationIS3_Lb0EPaS7_N6thrust23THRUST_200600_302600_NS10device_ptrIlEESB_jNS0_19identity_decomposerENS1_16block_id_wrapperIjLb1EEEEE10hipError_tT1_PNSt15iterator_traitsISG_E10value_typeET2_T3_PNSH_ISM_E10value_typeET4_T5_PSR_SS_PNS1_23onesweep_lookback_stateEbbT6_jjT7_P12ihipStream_tbENKUlT_T0_SG_SL_E_clIS7_S7_SB_SB_EEDaSZ_S10_SG_SL_EUlSZ_E_NS1_11comp_targetILNS1_3genE0ELNS1_11target_archE4294967295ELNS1_3gpuE0ELNS1_3repE0EEENS1_47radix_sort_onesweep_sort_config_static_selectorELNS0_4arch9wavefront6targetE1EEEvSG_,"axG",@progbits,_ZN7rocprim17ROCPRIM_400000_NS6detail17trampoline_kernelINS0_14default_configENS1_35radix_sort_onesweep_config_selectorIalEEZZNS1_29radix_sort_onesweep_iterationIS3_Lb0EPaS7_N6thrust23THRUST_200600_302600_NS10device_ptrIlEESB_jNS0_19identity_decomposerENS1_16block_id_wrapperIjLb1EEEEE10hipError_tT1_PNSt15iterator_traitsISG_E10value_typeET2_T3_PNSH_ISM_E10value_typeET4_T5_PSR_SS_PNS1_23onesweep_lookback_stateEbbT6_jjT7_P12ihipStream_tbENKUlT_T0_SG_SL_E_clIS7_S7_SB_SB_EEDaSZ_S10_SG_SL_EUlSZ_E_NS1_11comp_targetILNS1_3genE0ELNS1_11target_archE4294967295ELNS1_3gpuE0ELNS1_3repE0EEENS1_47radix_sort_onesweep_sort_config_static_selectorELNS0_4arch9wavefront6targetE1EEEvSG_,comdat
.Lfunc_end600:
	.size	_ZN7rocprim17ROCPRIM_400000_NS6detail17trampoline_kernelINS0_14default_configENS1_35radix_sort_onesweep_config_selectorIalEEZZNS1_29radix_sort_onesweep_iterationIS3_Lb0EPaS7_N6thrust23THRUST_200600_302600_NS10device_ptrIlEESB_jNS0_19identity_decomposerENS1_16block_id_wrapperIjLb1EEEEE10hipError_tT1_PNSt15iterator_traitsISG_E10value_typeET2_T3_PNSH_ISM_E10value_typeET4_T5_PSR_SS_PNS1_23onesweep_lookback_stateEbbT6_jjT7_P12ihipStream_tbENKUlT_T0_SG_SL_E_clIS7_S7_SB_SB_EEDaSZ_S10_SG_SL_EUlSZ_E_NS1_11comp_targetILNS1_3genE0ELNS1_11target_archE4294967295ELNS1_3gpuE0ELNS1_3repE0EEENS1_47radix_sort_onesweep_sort_config_static_selectorELNS0_4arch9wavefront6targetE1EEEvSG_, .Lfunc_end600-_ZN7rocprim17ROCPRIM_400000_NS6detail17trampoline_kernelINS0_14default_configENS1_35radix_sort_onesweep_config_selectorIalEEZZNS1_29radix_sort_onesweep_iterationIS3_Lb0EPaS7_N6thrust23THRUST_200600_302600_NS10device_ptrIlEESB_jNS0_19identity_decomposerENS1_16block_id_wrapperIjLb1EEEEE10hipError_tT1_PNSt15iterator_traitsISG_E10value_typeET2_T3_PNSH_ISM_E10value_typeET4_T5_PSR_SS_PNS1_23onesweep_lookback_stateEbbT6_jjT7_P12ihipStream_tbENKUlT_T0_SG_SL_E_clIS7_S7_SB_SB_EEDaSZ_S10_SG_SL_EUlSZ_E_NS1_11comp_targetILNS1_3genE0ELNS1_11target_archE4294967295ELNS1_3gpuE0ELNS1_3repE0EEENS1_47radix_sort_onesweep_sort_config_static_selectorELNS0_4arch9wavefront6targetE1EEEvSG_
                                        ; -- End function
	.set _ZN7rocprim17ROCPRIM_400000_NS6detail17trampoline_kernelINS0_14default_configENS1_35radix_sort_onesweep_config_selectorIalEEZZNS1_29radix_sort_onesweep_iterationIS3_Lb0EPaS7_N6thrust23THRUST_200600_302600_NS10device_ptrIlEESB_jNS0_19identity_decomposerENS1_16block_id_wrapperIjLb1EEEEE10hipError_tT1_PNSt15iterator_traitsISG_E10value_typeET2_T3_PNSH_ISM_E10value_typeET4_T5_PSR_SS_PNS1_23onesweep_lookback_stateEbbT6_jjT7_P12ihipStream_tbENKUlT_T0_SG_SL_E_clIS7_S7_SB_SB_EEDaSZ_S10_SG_SL_EUlSZ_E_NS1_11comp_targetILNS1_3genE0ELNS1_11target_archE4294967295ELNS1_3gpuE0ELNS1_3repE0EEENS1_47radix_sort_onesweep_sort_config_static_selectorELNS0_4arch9wavefront6targetE1EEEvSG_.num_vgpr, 0
	.set _ZN7rocprim17ROCPRIM_400000_NS6detail17trampoline_kernelINS0_14default_configENS1_35radix_sort_onesweep_config_selectorIalEEZZNS1_29radix_sort_onesweep_iterationIS3_Lb0EPaS7_N6thrust23THRUST_200600_302600_NS10device_ptrIlEESB_jNS0_19identity_decomposerENS1_16block_id_wrapperIjLb1EEEEE10hipError_tT1_PNSt15iterator_traitsISG_E10value_typeET2_T3_PNSH_ISM_E10value_typeET4_T5_PSR_SS_PNS1_23onesweep_lookback_stateEbbT6_jjT7_P12ihipStream_tbENKUlT_T0_SG_SL_E_clIS7_S7_SB_SB_EEDaSZ_S10_SG_SL_EUlSZ_E_NS1_11comp_targetILNS1_3genE0ELNS1_11target_archE4294967295ELNS1_3gpuE0ELNS1_3repE0EEENS1_47radix_sort_onesweep_sort_config_static_selectorELNS0_4arch9wavefront6targetE1EEEvSG_.num_agpr, 0
	.set _ZN7rocprim17ROCPRIM_400000_NS6detail17trampoline_kernelINS0_14default_configENS1_35radix_sort_onesweep_config_selectorIalEEZZNS1_29radix_sort_onesweep_iterationIS3_Lb0EPaS7_N6thrust23THRUST_200600_302600_NS10device_ptrIlEESB_jNS0_19identity_decomposerENS1_16block_id_wrapperIjLb1EEEEE10hipError_tT1_PNSt15iterator_traitsISG_E10value_typeET2_T3_PNSH_ISM_E10value_typeET4_T5_PSR_SS_PNS1_23onesweep_lookback_stateEbbT6_jjT7_P12ihipStream_tbENKUlT_T0_SG_SL_E_clIS7_S7_SB_SB_EEDaSZ_S10_SG_SL_EUlSZ_E_NS1_11comp_targetILNS1_3genE0ELNS1_11target_archE4294967295ELNS1_3gpuE0ELNS1_3repE0EEENS1_47radix_sort_onesweep_sort_config_static_selectorELNS0_4arch9wavefront6targetE1EEEvSG_.numbered_sgpr, 0
	.set _ZN7rocprim17ROCPRIM_400000_NS6detail17trampoline_kernelINS0_14default_configENS1_35radix_sort_onesweep_config_selectorIalEEZZNS1_29radix_sort_onesweep_iterationIS3_Lb0EPaS7_N6thrust23THRUST_200600_302600_NS10device_ptrIlEESB_jNS0_19identity_decomposerENS1_16block_id_wrapperIjLb1EEEEE10hipError_tT1_PNSt15iterator_traitsISG_E10value_typeET2_T3_PNSH_ISM_E10value_typeET4_T5_PSR_SS_PNS1_23onesweep_lookback_stateEbbT6_jjT7_P12ihipStream_tbENKUlT_T0_SG_SL_E_clIS7_S7_SB_SB_EEDaSZ_S10_SG_SL_EUlSZ_E_NS1_11comp_targetILNS1_3genE0ELNS1_11target_archE4294967295ELNS1_3gpuE0ELNS1_3repE0EEENS1_47radix_sort_onesweep_sort_config_static_selectorELNS0_4arch9wavefront6targetE1EEEvSG_.num_named_barrier, 0
	.set _ZN7rocprim17ROCPRIM_400000_NS6detail17trampoline_kernelINS0_14default_configENS1_35radix_sort_onesweep_config_selectorIalEEZZNS1_29radix_sort_onesweep_iterationIS3_Lb0EPaS7_N6thrust23THRUST_200600_302600_NS10device_ptrIlEESB_jNS0_19identity_decomposerENS1_16block_id_wrapperIjLb1EEEEE10hipError_tT1_PNSt15iterator_traitsISG_E10value_typeET2_T3_PNSH_ISM_E10value_typeET4_T5_PSR_SS_PNS1_23onesweep_lookback_stateEbbT6_jjT7_P12ihipStream_tbENKUlT_T0_SG_SL_E_clIS7_S7_SB_SB_EEDaSZ_S10_SG_SL_EUlSZ_E_NS1_11comp_targetILNS1_3genE0ELNS1_11target_archE4294967295ELNS1_3gpuE0ELNS1_3repE0EEENS1_47radix_sort_onesweep_sort_config_static_selectorELNS0_4arch9wavefront6targetE1EEEvSG_.private_seg_size, 0
	.set _ZN7rocprim17ROCPRIM_400000_NS6detail17trampoline_kernelINS0_14default_configENS1_35radix_sort_onesweep_config_selectorIalEEZZNS1_29radix_sort_onesweep_iterationIS3_Lb0EPaS7_N6thrust23THRUST_200600_302600_NS10device_ptrIlEESB_jNS0_19identity_decomposerENS1_16block_id_wrapperIjLb1EEEEE10hipError_tT1_PNSt15iterator_traitsISG_E10value_typeET2_T3_PNSH_ISM_E10value_typeET4_T5_PSR_SS_PNS1_23onesweep_lookback_stateEbbT6_jjT7_P12ihipStream_tbENKUlT_T0_SG_SL_E_clIS7_S7_SB_SB_EEDaSZ_S10_SG_SL_EUlSZ_E_NS1_11comp_targetILNS1_3genE0ELNS1_11target_archE4294967295ELNS1_3gpuE0ELNS1_3repE0EEENS1_47radix_sort_onesweep_sort_config_static_selectorELNS0_4arch9wavefront6targetE1EEEvSG_.uses_vcc, 0
	.set _ZN7rocprim17ROCPRIM_400000_NS6detail17trampoline_kernelINS0_14default_configENS1_35radix_sort_onesweep_config_selectorIalEEZZNS1_29radix_sort_onesweep_iterationIS3_Lb0EPaS7_N6thrust23THRUST_200600_302600_NS10device_ptrIlEESB_jNS0_19identity_decomposerENS1_16block_id_wrapperIjLb1EEEEE10hipError_tT1_PNSt15iterator_traitsISG_E10value_typeET2_T3_PNSH_ISM_E10value_typeET4_T5_PSR_SS_PNS1_23onesweep_lookback_stateEbbT6_jjT7_P12ihipStream_tbENKUlT_T0_SG_SL_E_clIS7_S7_SB_SB_EEDaSZ_S10_SG_SL_EUlSZ_E_NS1_11comp_targetILNS1_3genE0ELNS1_11target_archE4294967295ELNS1_3gpuE0ELNS1_3repE0EEENS1_47radix_sort_onesweep_sort_config_static_selectorELNS0_4arch9wavefront6targetE1EEEvSG_.uses_flat_scratch, 0
	.set _ZN7rocprim17ROCPRIM_400000_NS6detail17trampoline_kernelINS0_14default_configENS1_35radix_sort_onesweep_config_selectorIalEEZZNS1_29radix_sort_onesweep_iterationIS3_Lb0EPaS7_N6thrust23THRUST_200600_302600_NS10device_ptrIlEESB_jNS0_19identity_decomposerENS1_16block_id_wrapperIjLb1EEEEE10hipError_tT1_PNSt15iterator_traitsISG_E10value_typeET2_T3_PNSH_ISM_E10value_typeET4_T5_PSR_SS_PNS1_23onesweep_lookback_stateEbbT6_jjT7_P12ihipStream_tbENKUlT_T0_SG_SL_E_clIS7_S7_SB_SB_EEDaSZ_S10_SG_SL_EUlSZ_E_NS1_11comp_targetILNS1_3genE0ELNS1_11target_archE4294967295ELNS1_3gpuE0ELNS1_3repE0EEENS1_47radix_sort_onesweep_sort_config_static_selectorELNS0_4arch9wavefront6targetE1EEEvSG_.has_dyn_sized_stack, 0
	.set _ZN7rocprim17ROCPRIM_400000_NS6detail17trampoline_kernelINS0_14default_configENS1_35radix_sort_onesweep_config_selectorIalEEZZNS1_29radix_sort_onesweep_iterationIS3_Lb0EPaS7_N6thrust23THRUST_200600_302600_NS10device_ptrIlEESB_jNS0_19identity_decomposerENS1_16block_id_wrapperIjLb1EEEEE10hipError_tT1_PNSt15iterator_traitsISG_E10value_typeET2_T3_PNSH_ISM_E10value_typeET4_T5_PSR_SS_PNS1_23onesweep_lookback_stateEbbT6_jjT7_P12ihipStream_tbENKUlT_T0_SG_SL_E_clIS7_S7_SB_SB_EEDaSZ_S10_SG_SL_EUlSZ_E_NS1_11comp_targetILNS1_3genE0ELNS1_11target_archE4294967295ELNS1_3gpuE0ELNS1_3repE0EEENS1_47radix_sort_onesweep_sort_config_static_selectorELNS0_4arch9wavefront6targetE1EEEvSG_.has_recursion, 0
	.set _ZN7rocprim17ROCPRIM_400000_NS6detail17trampoline_kernelINS0_14default_configENS1_35radix_sort_onesweep_config_selectorIalEEZZNS1_29radix_sort_onesweep_iterationIS3_Lb0EPaS7_N6thrust23THRUST_200600_302600_NS10device_ptrIlEESB_jNS0_19identity_decomposerENS1_16block_id_wrapperIjLb1EEEEE10hipError_tT1_PNSt15iterator_traitsISG_E10value_typeET2_T3_PNSH_ISM_E10value_typeET4_T5_PSR_SS_PNS1_23onesweep_lookback_stateEbbT6_jjT7_P12ihipStream_tbENKUlT_T0_SG_SL_E_clIS7_S7_SB_SB_EEDaSZ_S10_SG_SL_EUlSZ_E_NS1_11comp_targetILNS1_3genE0ELNS1_11target_archE4294967295ELNS1_3gpuE0ELNS1_3repE0EEENS1_47radix_sort_onesweep_sort_config_static_selectorELNS0_4arch9wavefront6targetE1EEEvSG_.has_indirect_call, 0
	.section	.AMDGPU.csdata,"",@progbits
; Kernel info:
; codeLenInByte = 0
; TotalNumSgprs: 4
; NumVgprs: 0
; ScratchSize: 0
; MemoryBound: 0
; FloatMode: 240
; IeeeMode: 1
; LDSByteSize: 0 bytes/workgroup (compile time only)
; SGPRBlocks: 0
; VGPRBlocks: 0
; NumSGPRsForWavesPerEU: 4
; NumVGPRsForWavesPerEU: 1
; Occupancy: 10
; WaveLimiterHint : 0
; COMPUTE_PGM_RSRC2:SCRATCH_EN: 0
; COMPUTE_PGM_RSRC2:USER_SGPR: 6
; COMPUTE_PGM_RSRC2:TRAP_HANDLER: 0
; COMPUTE_PGM_RSRC2:TGID_X_EN: 1
; COMPUTE_PGM_RSRC2:TGID_Y_EN: 0
; COMPUTE_PGM_RSRC2:TGID_Z_EN: 0
; COMPUTE_PGM_RSRC2:TIDIG_COMP_CNT: 0
	.section	.text._ZN7rocprim17ROCPRIM_400000_NS6detail17trampoline_kernelINS0_14default_configENS1_35radix_sort_onesweep_config_selectorIalEEZZNS1_29radix_sort_onesweep_iterationIS3_Lb0EPaS7_N6thrust23THRUST_200600_302600_NS10device_ptrIlEESB_jNS0_19identity_decomposerENS1_16block_id_wrapperIjLb1EEEEE10hipError_tT1_PNSt15iterator_traitsISG_E10value_typeET2_T3_PNSH_ISM_E10value_typeET4_T5_PSR_SS_PNS1_23onesweep_lookback_stateEbbT6_jjT7_P12ihipStream_tbENKUlT_T0_SG_SL_E_clIS7_S7_SB_SB_EEDaSZ_S10_SG_SL_EUlSZ_E_NS1_11comp_targetILNS1_3genE6ELNS1_11target_archE950ELNS1_3gpuE13ELNS1_3repE0EEENS1_47radix_sort_onesweep_sort_config_static_selectorELNS0_4arch9wavefront6targetE1EEEvSG_,"axG",@progbits,_ZN7rocprim17ROCPRIM_400000_NS6detail17trampoline_kernelINS0_14default_configENS1_35radix_sort_onesweep_config_selectorIalEEZZNS1_29radix_sort_onesweep_iterationIS3_Lb0EPaS7_N6thrust23THRUST_200600_302600_NS10device_ptrIlEESB_jNS0_19identity_decomposerENS1_16block_id_wrapperIjLb1EEEEE10hipError_tT1_PNSt15iterator_traitsISG_E10value_typeET2_T3_PNSH_ISM_E10value_typeET4_T5_PSR_SS_PNS1_23onesweep_lookback_stateEbbT6_jjT7_P12ihipStream_tbENKUlT_T0_SG_SL_E_clIS7_S7_SB_SB_EEDaSZ_S10_SG_SL_EUlSZ_E_NS1_11comp_targetILNS1_3genE6ELNS1_11target_archE950ELNS1_3gpuE13ELNS1_3repE0EEENS1_47radix_sort_onesweep_sort_config_static_selectorELNS0_4arch9wavefront6targetE1EEEvSG_,comdat
	.protected	_ZN7rocprim17ROCPRIM_400000_NS6detail17trampoline_kernelINS0_14default_configENS1_35radix_sort_onesweep_config_selectorIalEEZZNS1_29radix_sort_onesweep_iterationIS3_Lb0EPaS7_N6thrust23THRUST_200600_302600_NS10device_ptrIlEESB_jNS0_19identity_decomposerENS1_16block_id_wrapperIjLb1EEEEE10hipError_tT1_PNSt15iterator_traitsISG_E10value_typeET2_T3_PNSH_ISM_E10value_typeET4_T5_PSR_SS_PNS1_23onesweep_lookback_stateEbbT6_jjT7_P12ihipStream_tbENKUlT_T0_SG_SL_E_clIS7_S7_SB_SB_EEDaSZ_S10_SG_SL_EUlSZ_E_NS1_11comp_targetILNS1_3genE6ELNS1_11target_archE950ELNS1_3gpuE13ELNS1_3repE0EEENS1_47radix_sort_onesweep_sort_config_static_selectorELNS0_4arch9wavefront6targetE1EEEvSG_ ; -- Begin function _ZN7rocprim17ROCPRIM_400000_NS6detail17trampoline_kernelINS0_14default_configENS1_35radix_sort_onesweep_config_selectorIalEEZZNS1_29radix_sort_onesweep_iterationIS3_Lb0EPaS7_N6thrust23THRUST_200600_302600_NS10device_ptrIlEESB_jNS0_19identity_decomposerENS1_16block_id_wrapperIjLb1EEEEE10hipError_tT1_PNSt15iterator_traitsISG_E10value_typeET2_T3_PNSH_ISM_E10value_typeET4_T5_PSR_SS_PNS1_23onesweep_lookback_stateEbbT6_jjT7_P12ihipStream_tbENKUlT_T0_SG_SL_E_clIS7_S7_SB_SB_EEDaSZ_S10_SG_SL_EUlSZ_E_NS1_11comp_targetILNS1_3genE6ELNS1_11target_archE950ELNS1_3gpuE13ELNS1_3repE0EEENS1_47radix_sort_onesweep_sort_config_static_selectorELNS0_4arch9wavefront6targetE1EEEvSG_
	.globl	_ZN7rocprim17ROCPRIM_400000_NS6detail17trampoline_kernelINS0_14default_configENS1_35radix_sort_onesweep_config_selectorIalEEZZNS1_29radix_sort_onesweep_iterationIS3_Lb0EPaS7_N6thrust23THRUST_200600_302600_NS10device_ptrIlEESB_jNS0_19identity_decomposerENS1_16block_id_wrapperIjLb1EEEEE10hipError_tT1_PNSt15iterator_traitsISG_E10value_typeET2_T3_PNSH_ISM_E10value_typeET4_T5_PSR_SS_PNS1_23onesweep_lookback_stateEbbT6_jjT7_P12ihipStream_tbENKUlT_T0_SG_SL_E_clIS7_S7_SB_SB_EEDaSZ_S10_SG_SL_EUlSZ_E_NS1_11comp_targetILNS1_3genE6ELNS1_11target_archE950ELNS1_3gpuE13ELNS1_3repE0EEENS1_47radix_sort_onesweep_sort_config_static_selectorELNS0_4arch9wavefront6targetE1EEEvSG_
	.p2align	8
	.type	_ZN7rocprim17ROCPRIM_400000_NS6detail17trampoline_kernelINS0_14default_configENS1_35radix_sort_onesweep_config_selectorIalEEZZNS1_29radix_sort_onesweep_iterationIS3_Lb0EPaS7_N6thrust23THRUST_200600_302600_NS10device_ptrIlEESB_jNS0_19identity_decomposerENS1_16block_id_wrapperIjLb1EEEEE10hipError_tT1_PNSt15iterator_traitsISG_E10value_typeET2_T3_PNSH_ISM_E10value_typeET4_T5_PSR_SS_PNS1_23onesweep_lookback_stateEbbT6_jjT7_P12ihipStream_tbENKUlT_T0_SG_SL_E_clIS7_S7_SB_SB_EEDaSZ_S10_SG_SL_EUlSZ_E_NS1_11comp_targetILNS1_3genE6ELNS1_11target_archE950ELNS1_3gpuE13ELNS1_3repE0EEENS1_47radix_sort_onesweep_sort_config_static_selectorELNS0_4arch9wavefront6targetE1EEEvSG_,@function
_ZN7rocprim17ROCPRIM_400000_NS6detail17trampoline_kernelINS0_14default_configENS1_35radix_sort_onesweep_config_selectorIalEEZZNS1_29radix_sort_onesweep_iterationIS3_Lb0EPaS7_N6thrust23THRUST_200600_302600_NS10device_ptrIlEESB_jNS0_19identity_decomposerENS1_16block_id_wrapperIjLb1EEEEE10hipError_tT1_PNSt15iterator_traitsISG_E10value_typeET2_T3_PNSH_ISM_E10value_typeET4_T5_PSR_SS_PNS1_23onesweep_lookback_stateEbbT6_jjT7_P12ihipStream_tbENKUlT_T0_SG_SL_E_clIS7_S7_SB_SB_EEDaSZ_S10_SG_SL_EUlSZ_E_NS1_11comp_targetILNS1_3genE6ELNS1_11target_archE950ELNS1_3gpuE13ELNS1_3repE0EEENS1_47radix_sort_onesweep_sort_config_static_selectorELNS0_4arch9wavefront6targetE1EEEvSG_: ; @_ZN7rocprim17ROCPRIM_400000_NS6detail17trampoline_kernelINS0_14default_configENS1_35radix_sort_onesweep_config_selectorIalEEZZNS1_29radix_sort_onesweep_iterationIS3_Lb0EPaS7_N6thrust23THRUST_200600_302600_NS10device_ptrIlEESB_jNS0_19identity_decomposerENS1_16block_id_wrapperIjLb1EEEEE10hipError_tT1_PNSt15iterator_traitsISG_E10value_typeET2_T3_PNSH_ISM_E10value_typeET4_T5_PSR_SS_PNS1_23onesweep_lookback_stateEbbT6_jjT7_P12ihipStream_tbENKUlT_T0_SG_SL_E_clIS7_S7_SB_SB_EEDaSZ_S10_SG_SL_EUlSZ_E_NS1_11comp_targetILNS1_3genE6ELNS1_11target_archE950ELNS1_3gpuE13ELNS1_3repE0EEENS1_47radix_sort_onesweep_sort_config_static_selectorELNS0_4arch9wavefront6targetE1EEEvSG_
; %bb.0:
	.section	.rodata,"a",@progbits
	.p2align	6, 0x0
	.amdhsa_kernel _ZN7rocprim17ROCPRIM_400000_NS6detail17trampoline_kernelINS0_14default_configENS1_35radix_sort_onesweep_config_selectorIalEEZZNS1_29radix_sort_onesweep_iterationIS3_Lb0EPaS7_N6thrust23THRUST_200600_302600_NS10device_ptrIlEESB_jNS0_19identity_decomposerENS1_16block_id_wrapperIjLb1EEEEE10hipError_tT1_PNSt15iterator_traitsISG_E10value_typeET2_T3_PNSH_ISM_E10value_typeET4_T5_PSR_SS_PNS1_23onesweep_lookback_stateEbbT6_jjT7_P12ihipStream_tbENKUlT_T0_SG_SL_E_clIS7_S7_SB_SB_EEDaSZ_S10_SG_SL_EUlSZ_E_NS1_11comp_targetILNS1_3genE6ELNS1_11target_archE950ELNS1_3gpuE13ELNS1_3repE0EEENS1_47radix_sort_onesweep_sort_config_static_selectorELNS0_4arch9wavefront6targetE1EEEvSG_
		.amdhsa_group_segment_fixed_size 0
		.amdhsa_private_segment_fixed_size 0
		.amdhsa_kernarg_size 88
		.amdhsa_user_sgpr_count 6
		.amdhsa_user_sgpr_private_segment_buffer 1
		.amdhsa_user_sgpr_dispatch_ptr 0
		.amdhsa_user_sgpr_queue_ptr 0
		.amdhsa_user_sgpr_kernarg_segment_ptr 1
		.amdhsa_user_sgpr_dispatch_id 0
		.amdhsa_user_sgpr_flat_scratch_init 0
		.amdhsa_user_sgpr_private_segment_size 0
		.amdhsa_uses_dynamic_stack 0
		.amdhsa_system_sgpr_private_segment_wavefront_offset 0
		.amdhsa_system_sgpr_workgroup_id_x 1
		.amdhsa_system_sgpr_workgroup_id_y 0
		.amdhsa_system_sgpr_workgroup_id_z 0
		.amdhsa_system_sgpr_workgroup_info 0
		.amdhsa_system_vgpr_workitem_id 0
		.amdhsa_next_free_vgpr 1
		.amdhsa_next_free_sgpr 0
		.amdhsa_reserve_vcc 0
		.amdhsa_reserve_flat_scratch 0
		.amdhsa_float_round_mode_32 0
		.amdhsa_float_round_mode_16_64 0
		.amdhsa_float_denorm_mode_32 3
		.amdhsa_float_denorm_mode_16_64 3
		.amdhsa_dx10_clamp 1
		.amdhsa_ieee_mode 1
		.amdhsa_fp16_overflow 0
		.amdhsa_exception_fp_ieee_invalid_op 0
		.amdhsa_exception_fp_denorm_src 0
		.amdhsa_exception_fp_ieee_div_zero 0
		.amdhsa_exception_fp_ieee_overflow 0
		.amdhsa_exception_fp_ieee_underflow 0
		.amdhsa_exception_fp_ieee_inexact 0
		.amdhsa_exception_int_div_zero 0
	.end_amdhsa_kernel
	.section	.text._ZN7rocprim17ROCPRIM_400000_NS6detail17trampoline_kernelINS0_14default_configENS1_35radix_sort_onesweep_config_selectorIalEEZZNS1_29radix_sort_onesweep_iterationIS3_Lb0EPaS7_N6thrust23THRUST_200600_302600_NS10device_ptrIlEESB_jNS0_19identity_decomposerENS1_16block_id_wrapperIjLb1EEEEE10hipError_tT1_PNSt15iterator_traitsISG_E10value_typeET2_T3_PNSH_ISM_E10value_typeET4_T5_PSR_SS_PNS1_23onesweep_lookback_stateEbbT6_jjT7_P12ihipStream_tbENKUlT_T0_SG_SL_E_clIS7_S7_SB_SB_EEDaSZ_S10_SG_SL_EUlSZ_E_NS1_11comp_targetILNS1_3genE6ELNS1_11target_archE950ELNS1_3gpuE13ELNS1_3repE0EEENS1_47radix_sort_onesweep_sort_config_static_selectorELNS0_4arch9wavefront6targetE1EEEvSG_,"axG",@progbits,_ZN7rocprim17ROCPRIM_400000_NS6detail17trampoline_kernelINS0_14default_configENS1_35radix_sort_onesweep_config_selectorIalEEZZNS1_29radix_sort_onesweep_iterationIS3_Lb0EPaS7_N6thrust23THRUST_200600_302600_NS10device_ptrIlEESB_jNS0_19identity_decomposerENS1_16block_id_wrapperIjLb1EEEEE10hipError_tT1_PNSt15iterator_traitsISG_E10value_typeET2_T3_PNSH_ISM_E10value_typeET4_T5_PSR_SS_PNS1_23onesweep_lookback_stateEbbT6_jjT7_P12ihipStream_tbENKUlT_T0_SG_SL_E_clIS7_S7_SB_SB_EEDaSZ_S10_SG_SL_EUlSZ_E_NS1_11comp_targetILNS1_3genE6ELNS1_11target_archE950ELNS1_3gpuE13ELNS1_3repE0EEENS1_47radix_sort_onesweep_sort_config_static_selectorELNS0_4arch9wavefront6targetE1EEEvSG_,comdat
.Lfunc_end601:
	.size	_ZN7rocprim17ROCPRIM_400000_NS6detail17trampoline_kernelINS0_14default_configENS1_35radix_sort_onesweep_config_selectorIalEEZZNS1_29radix_sort_onesweep_iterationIS3_Lb0EPaS7_N6thrust23THRUST_200600_302600_NS10device_ptrIlEESB_jNS0_19identity_decomposerENS1_16block_id_wrapperIjLb1EEEEE10hipError_tT1_PNSt15iterator_traitsISG_E10value_typeET2_T3_PNSH_ISM_E10value_typeET4_T5_PSR_SS_PNS1_23onesweep_lookback_stateEbbT6_jjT7_P12ihipStream_tbENKUlT_T0_SG_SL_E_clIS7_S7_SB_SB_EEDaSZ_S10_SG_SL_EUlSZ_E_NS1_11comp_targetILNS1_3genE6ELNS1_11target_archE950ELNS1_3gpuE13ELNS1_3repE0EEENS1_47radix_sort_onesweep_sort_config_static_selectorELNS0_4arch9wavefront6targetE1EEEvSG_, .Lfunc_end601-_ZN7rocprim17ROCPRIM_400000_NS6detail17trampoline_kernelINS0_14default_configENS1_35radix_sort_onesweep_config_selectorIalEEZZNS1_29radix_sort_onesweep_iterationIS3_Lb0EPaS7_N6thrust23THRUST_200600_302600_NS10device_ptrIlEESB_jNS0_19identity_decomposerENS1_16block_id_wrapperIjLb1EEEEE10hipError_tT1_PNSt15iterator_traitsISG_E10value_typeET2_T3_PNSH_ISM_E10value_typeET4_T5_PSR_SS_PNS1_23onesweep_lookback_stateEbbT6_jjT7_P12ihipStream_tbENKUlT_T0_SG_SL_E_clIS7_S7_SB_SB_EEDaSZ_S10_SG_SL_EUlSZ_E_NS1_11comp_targetILNS1_3genE6ELNS1_11target_archE950ELNS1_3gpuE13ELNS1_3repE0EEENS1_47radix_sort_onesweep_sort_config_static_selectorELNS0_4arch9wavefront6targetE1EEEvSG_
                                        ; -- End function
	.set _ZN7rocprim17ROCPRIM_400000_NS6detail17trampoline_kernelINS0_14default_configENS1_35radix_sort_onesweep_config_selectorIalEEZZNS1_29radix_sort_onesweep_iterationIS3_Lb0EPaS7_N6thrust23THRUST_200600_302600_NS10device_ptrIlEESB_jNS0_19identity_decomposerENS1_16block_id_wrapperIjLb1EEEEE10hipError_tT1_PNSt15iterator_traitsISG_E10value_typeET2_T3_PNSH_ISM_E10value_typeET4_T5_PSR_SS_PNS1_23onesweep_lookback_stateEbbT6_jjT7_P12ihipStream_tbENKUlT_T0_SG_SL_E_clIS7_S7_SB_SB_EEDaSZ_S10_SG_SL_EUlSZ_E_NS1_11comp_targetILNS1_3genE6ELNS1_11target_archE950ELNS1_3gpuE13ELNS1_3repE0EEENS1_47radix_sort_onesweep_sort_config_static_selectorELNS0_4arch9wavefront6targetE1EEEvSG_.num_vgpr, 0
	.set _ZN7rocprim17ROCPRIM_400000_NS6detail17trampoline_kernelINS0_14default_configENS1_35radix_sort_onesweep_config_selectorIalEEZZNS1_29radix_sort_onesweep_iterationIS3_Lb0EPaS7_N6thrust23THRUST_200600_302600_NS10device_ptrIlEESB_jNS0_19identity_decomposerENS1_16block_id_wrapperIjLb1EEEEE10hipError_tT1_PNSt15iterator_traitsISG_E10value_typeET2_T3_PNSH_ISM_E10value_typeET4_T5_PSR_SS_PNS1_23onesweep_lookback_stateEbbT6_jjT7_P12ihipStream_tbENKUlT_T0_SG_SL_E_clIS7_S7_SB_SB_EEDaSZ_S10_SG_SL_EUlSZ_E_NS1_11comp_targetILNS1_3genE6ELNS1_11target_archE950ELNS1_3gpuE13ELNS1_3repE0EEENS1_47radix_sort_onesweep_sort_config_static_selectorELNS0_4arch9wavefront6targetE1EEEvSG_.num_agpr, 0
	.set _ZN7rocprim17ROCPRIM_400000_NS6detail17trampoline_kernelINS0_14default_configENS1_35radix_sort_onesweep_config_selectorIalEEZZNS1_29radix_sort_onesweep_iterationIS3_Lb0EPaS7_N6thrust23THRUST_200600_302600_NS10device_ptrIlEESB_jNS0_19identity_decomposerENS1_16block_id_wrapperIjLb1EEEEE10hipError_tT1_PNSt15iterator_traitsISG_E10value_typeET2_T3_PNSH_ISM_E10value_typeET4_T5_PSR_SS_PNS1_23onesweep_lookback_stateEbbT6_jjT7_P12ihipStream_tbENKUlT_T0_SG_SL_E_clIS7_S7_SB_SB_EEDaSZ_S10_SG_SL_EUlSZ_E_NS1_11comp_targetILNS1_3genE6ELNS1_11target_archE950ELNS1_3gpuE13ELNS1_3repE0EEENS1_47radix_sort_onesweep_sort_config_static_selectorELNS0_4arch9wavefront6targetE1EEEvSG_.numbered_sgpr, 0
	.set _ZN7rocprim17ROCPRIM_400000_NS6detail17trampoline_kernelINS0_14default_configENS1_35radix_sort_onesweep_config_selectorIalEEZZNS1_29radix_sort_onesweep_iterationIS3_Lb0EPaS7_N6thrust23THRUST_200600_302600_NS10device_ptrIlEESB_jNS0_19identity_decomposerENS1_16block_id_wrapperIjLb1EEEEE10hipError_tT1_PNSt15iterator_traitsISG_E10value_typeET2_T3_PNSH_ISM_E10value_typeET4_T5_PSR_SS_PNS1_23onesweep_lookback_stateEbbT6_jjT7_P12ihipStream_tbENKUlT_T0_SG_SL_E_clIS7_S7_SB_SB_EEDaSZ_S10_SG_SL_EUlSZ_E_NS1_11comp_targetILNS1_3genE6ELNS1_11target_archE950ELNS1_3gpuE13ELNS1_3repE0EEENS1_47radix_sort_onesweep_sort_config_static_selectorELNS0_4arch9wavefront6targetE1EEEvSG_.num_named_barrier, 0
	.set _ZN7rocprim17ROCPRIM_400000_NS6detail17trampoline_kernelINS0_14default_configENS1_35radix_sort_onesweep_config_selectorIalEEZZNS1_29radix_sort_onesweep_iterationIS3_Lb0EPaS7_N6thrust23THRUST_200600_302600_NS10device_ptrIlEESB_jNS0_19identity_decomposerENS1_16block_id_wrapperIjLb1EEEEE10hipError_tT1_PNSt15iterator_traitsISG_E10value_typeET2_T3_PNSH_ISM_E10value_typeET4_T5_PSR_SS_PNS1_23onesweep_lookback_stateEbbT6_jjT7_P12ihipStream_tbENKUlT_T0_SG_SL_E_clIS7_S7_SB_SB_EEDaSZ_S10_SG_SL_EUlSZ_E_NS1_11comp_targetILNS1_3genE6ELNS1_11target_archE950ELNS1_3gpuE13ELNS1_3repE0EEENS1_47radix_sort_onesweep_sort_config_static_selectorELNS0_4arch9wavefront6targetE1EEEvSG_.private_seg_size, 0
	.set _ZN7rocprim17ROCPRIM_400000_NS6detail17trampoline_kernelINS0_14default_configENS1_35radix_sort_onesweep_config_selectorIalEEZZNS1_29radix_sort_onesweep_iterationIS3_Lb0EPaS7_N6thrust23THRUST_200600_302600_NS10device_ptrIlEESB_jNS0_19identity_decomposerENS1_16block_id_wrapperIjLb1EEEEE10hipError_tT1_PNSt15iterator_traitsISG_E10value_typeET2_T3_PNSH_ISM_E10value_typeET4_T5_PSR_SS_PNS1_23onesweep_lookback_stateEbbT6_jjT7_P12ihipStream_tbENKUlT_T0_SG_SL_E_clIS7_S7_SB_SB_EEDaSZ_S10_SG_SL_EUlSZ_E_NS1_11comp_targetILNS1_3genE6ELNS1_11target_archE950ELNS1_3gpuE13ELNS1_3repE0EEENS1_47radix_sort_onesweep_sort_config_static_selectorELNS0_4arch9wavefront6targetE1EEEvSG_.uses_vcc, 0
	.set _ZN7rocprim17ROCPRIM_400000_NS6detail17trampoline_kernelINS0_14default_configENS1_35radix_sort_onesweep_config_selectorIalEEZZNS1_29radix_sort_onesweep_iterationIS3_Lb0EPaS7_N6thrust23THRUST_200600_302600_NS10device_ptrIlEESB_jNS0_19identity_decomposerENS1_16block_id_wrapperIjLb1EEEEE10hipError_tT1_PNSt15iterator_traitsISG_E10value_typeET2_T3_PNSH_ISM_E10value_typeET4_T5_PSR_SS_PNS1_23onesweep_lookback_stateEbbT6_jjT7_P12ihipStream_tbENKUlT_T0_SG_SL_E_clIS7_S7_SB_SB_EEDaSZ_S10_SG_SL_EUlSZ_E_NS1_11comp_targetILNS1_3genE6ELNS1_11target_archE950ELNS1_3gpuE13ELNS1_3repE0EEENS1_47radix_sort_onesweep_sort_config_static_selectorELNS0_4arch9wavefront6targetE1EEEvSG_.uses_flat_scratch, 0
	.set _ZN7rocprim17ROCPRIM_400000_NS6detail17trampoline_kernelINS0_14default_configENS1_35radix_sort_onesweep_config_selectorIalEEZZNS1_29radix_sort_onesweep_iterationIS3_Lb0EPaS7_N6thrust23THRUST_200600_302600_NS10device_ptrIlEESB_jNS0_19identity_decomposerENS1_16block_id_wrapperIjLb1EEEEE10hipError_tT1_PNSt15iterator_traitsISG_E10value_typeET2_T3_PNSH_ISM_E10value_typeET4_T5_PSR_SS_PNS1_23onesweep_lookback_stateEbbT6_jjT7_P12ihipStream_tbENKUlT_T0_SG_SL_E_clIS7_S7_SB_SB_EEDaSZ_S10_SG_SL_EUlSZ_E_NS1_11comp_targetILNS1_3genE6ELNS1_11target_archE950ELNS1_3gpuE13ELNS1_3repE0EEENS1_47radix_sort_onesweep_sort_config_static_selectorELNS0_4arch9wavefront6targetE1EEEvSG_.has_dyn_sized_stack, 0
	.set _ZN7rocprim17ROCPRIM_400000_NS6detail17trampoline_kernelINS0_14default_configENS1_35radix_sort_onesweep_config_selectorIalEEZZNS1_29radix_sort_onesweep_iterationIS3_Lb0EPaS7_N6thrust23THRUST_200600_302600_NS10device_ptrIlEESB_jNS0_19identity_decomposerENS1_16block_id_wrapperIjLb1EEEEE10hipError_tT1_PNSt15iterator_traitsISG_E10value_typeET2_T3_PNSH_ISM_E10value_typeET4_T5_PSR_SS_PNS1_23onesweep_lookback_stateEbbT6_jjT7_P12ihipStream_tbENKUlT_T0_SG_SL_E_clIS7_S7_SB_SB_EEDaSZ_S10_SG_SL_EUlSZ_E_NS1_11comp_targetILNS1_3genE6ELNS1_11target_archE950ELNS1_3gpuE13ELNS1_3repE0EEENS1_47radix_sort_onesweep_sort_config_static_selectorELNS0_4arch9wavefront6targetE1EEEvSG_.has_recursion, 0
	.set _ZN7rocprim17ROCPRIM_400000_NS6detail17trampoline_kernelINS0_14default_configENS1_35radix_sort_onesweep_config_selectorIalEEZZNS1_29radix_sort_onesweep_iterationIS3_Lb0EPaS7_N6thrust23THRUST_200600_302600_NS10device_ptrIlEESB_jNS0_19identity_decomposerENS1_16block_id_wrapperIjLb1EEEEE10hipError_tT1_PNSt15iterator_traitsISG_E10value_typeET2_T3_PNSH_ISM_E10value_typeET4_T5_PSR_SS_PNS1_23onesweep_lookback_stateEbbT6_jjT7_P12ihipStream_tbENKUlT_T0_SG_SL_E_clIS7_S7_SB_SB_EEDaSZ_S10_SG_SL_EUlSZ_E_NS1_11comp_targetILNS1_3genE6ELNS1_11target_archE950ELNS1_3gpuE13ELNS1_3repE0EEENS1_47radix_sort_onesweep_sort_config_static_selectorELNS0_4arch9wavefront6targetE1EEEvSG_.has_indirect_call, 0
	.section	.AMDGPU.csdata,"",@progbits
; Kernel info:
; codeLenInByte = 0
; TotalNumSgprs: 4
; NumVgprs: 0
; ScratchSize: 0
; MemoryBound: 0
; FloatMode: 240
; IeeeMode: 1
; LDSByteSize: 0 bytes/workgroup (compile time only)
; SGPRBlocks: 0
; VGPRBlocks: 0
; NumSGPRsForWavesPerEU: 4
; NumVGPRsForWavesPerEU: 1
; Occupancy: 10
; WaveLimiterHint : 0
; COMPUTE_PGM_RSRC2:SCRATCH_EN: 0
; COMPUTE_PGM_RSRC2:USER_SGPR: 6
; COMPUTE_PGM_RSRC2:TRAP_HANDLER: 0
; COMPUTE_PGM_RSRC2:TGID_X_EN: 1
; COMPUTE_PGM_RSRC2:TGID_Y_EN: 0
; COMPUTE_PGM_RSRC2:TGID_Z_EN: 0
; COMPUTE_PGM_RSRC2:TIDIG_COMP_CNT: 0
	.section	.text._ZN7rocprim17ROCPRIM_400000_NS6detail17trampoline_kernelINS0_14default_configENS1_35radix_sort_onesweep_config_selectorIalEEZZNS1_29radix_sort_onesweep_iterationIS3_Lb0EPaS7_N6thrust23THRUST_200600_302600_NS10device_ptrIlEESB_jNS0_19identity_decomposerENS1_16block_id_wrapperIjLb1EEEEE10hipError_tT1_PNSt15iterator_traitsISG_E10value_typeET2_T3_PNSH_ISM_E10value_typeET4_T5_PSR_SS_PNS1_23onesweep_lookback_stateEbbT6_jjT7_P12ihipStream_tbENKUlT_T0_SG_SL_E_clIS7_S7_SB_SB_EEDaSZ_S10_SG_SL_EUlSZ_E_NS1_11comp_targetILNS1_3genE5ELNS1_11target_archE942ELNS1_3gpuE9ELNS1_3repE0EEENS1_47radix_sort_onesweep_sort_config_static_selectorELNS0_4arch9wavefront6targetE1EEEvSG_,"axG",@progbits,_ZN7rocprim17ROCPRIM_400000_NS6detail17trampoline_kernelINS0_14default_configENS1_35radix_sort_onesweep_config_selectorIalEEZZNS1_29radix_sort_onesweep_iterationIS3_Lb0EPaS7_N6thrust23THRUST_200600_302600_NS10device_ptrIlEESB_jNS0_19identity_decomposerENS1_16block_id_wrapperIjLb1EEEEE10hipError_tT1_PNSt15iterator_traitsISG_E10value_typeET2_T3_PNSH_ISM_E10value_typeET4_T5_PSR_SS_PNS1_23onesweep_lookback_stateEbbT6_jjT7_P12ihipStream_tbENKUlT_T0_SG_SL_E_clIS7_S7_SB_SB_EEDaSZ_S10_SG_SL_EUlSZ_E_NS1_11comp_targetILNS1_3genE5ELNS1_11target_archE942ELNS1_3gpuE9ELNS1_3repE0EEENS1_47radix_sort_onesweep_sort_config_static_selectorELNS0_4arch9wavefront6targetE1EEEvSG_,comdat
	.protected	_ZN7rocprim17ROCPRIM_400000_NS6detail17trampoline_kernelINS0_14default_configENS1_35radix_sort_onesweep_config_selectorIalEEZZNS1_29radix_sort_onesweep_iterationIS3_Lb0EPaS7_N6thrust23THRUST_200600_302600_NS10device_ptrIlEESB_jNS0_19identity_decomposerENS1_16block_id_wrapperIjLb1EEEEE10hipError_tT1_PNSt15iterator_traitsISG_E10value_typeET2_T3_PNSH_ISM_E10value_typeET4_T5_PSR_SS_PNS1_23onesweep_lookback_stateEbbT6_jjT7_P12ihipStream_tbENKUlT_T0_SG_SL_E_clIS7_S7_SB_SB_EEDaSZ_S10_SG_SL_EUlSZ_E_NS1_11comp_targetILNS1_3genE5ELNS1_11target_archE942ELNS1_3gpuE9ELNS1_3repE0EEENS1_47radix_sort_onesweep_sort_config_static_selectorELNS0_4arch9wavefront6targetE1EEEvSG_ ; -- Begin function _ZN7rocprim17ROCPRIM_400000_NS6detail17trampoline_kernelINS0_14default_configENS1_35radix_sort_onesweep_config_selectorIalEEZZNS1_29radix_sort_onesweep_iterationIS3_Lb0EPaS7_N6thrust23THRUST_200600_302600_NS10device_ptrIlEESB_jNS0_19identity_decomposerENS1_16block_id_wrapperIjLb1EEEEE10hipError_tT1_PNSt15iterator_traitsISG_E10value_typeET2_T3_PNSH_ISM_E10value_typeET4_T5_PSR_SS_PNS1_23onesweep_lookback_stateEbbT6_jjT7_P12ihipStream_tbENKUlT_T0_SG_SL_E_clIS7_S7_SB_SB_EEDaSZ_S10_SG_SL_EUlSZ_E_NS1_11comp_targetILNS1_3genE5ELNS1_11target_archE942ELNS1_3gpuE9ELNS1_3repE0EEENS1_47radix_sort_onesweep_sort_config_static_selectorELNS0_4arch9wavefront6targetE1EEEvSG_
	.globl	_ZN7rocprim17ROCPRIM_400000_NS6detail17trampoline_kernelINS0_14default_configENS1_35radix_sort_onesweep_config_selectorIalEEZZNS1_29radix_sort_onesweep_iterationIS3_Lb0EPaS7_N6thrust23THRUST_200600_302600_NS10device_ptrIlEESB_jNS0_19identity_decomposerENS1_16block_id_wrapperIjLb1EEEEE10hipError_tT1_PNSt15iterator_traitsISG_E10value_typeET2_T3_PNSH_ISM_E10value_typeET4_T5_PSR_SS_PNS1_23onesweep_lookback_stateEbbT6_jjT7_P12ihipStream_tbENKUlT_T0_SG_SL_E_clIS7_S7_SB_SB_EEDaSZ_S10_SG_SL_EUlSZ_E_NS1_11comp_targetILNS1_3genE5ELNS1_11target_archE942ELNS1_3gpuE9ELNS1_3repE0EEENS1_47radix_sort_onesweep_sort_config_static_selectorELNS0_4arch9wavefront6targetE1EEEvSG_
	.p2align	8
	.type	_ZN7rocprim17ROCPRIM_400000_NS6detail17trampoline_kernelINS0_14default_configENS1_35radix_sort_onesweep_config_selectorIalEEZZNS1_29radix_sort_onesweep_iterationIS3_Lb0EPaS7_N6thrust23THRUST_200600_302600_NS10device_ptrIlEESB_jNS0_19identity_decomposerENS1_16block_id_wrapperIjLb1EEEEE10hipError_tT1_PNSt15iterator_traitsISG_E10value_typeET2_T3_PNSH_ISM_E10value_typeET4_T5_PSR_SS_PNS1_23onesweep_lookback_stateEbbT6_jjT7_P12ihipStream_tbENKUlT_T0_SG_SL_E_clIS7_S7_SB_SB_EEDaSZ_S10_SG_SL_EUlSZ_E_NS1_11comp_targetILNS1_3genE5ELNS1_11target_archE942ELNS1_3gpuE9ELNS1_3repE0EEENS1_47radix_sort_onesweep_sort_config_static_selectorELNS0_4arch9wavefront6targetE1EEEvSG_,@function
_ZN7rocprim17ROCPRIM_400000_NS6detail17trampoline_kernelINS0_14default_configENS1_35radix_sort_onesweep_config_selectorIalEEZZNS1_29radix_sort_onesweep_iterationIS3_Lb0EPaS7_N6thrust23THRUST_200600_302600_NS10device_ptrIlEESB_jNS0_19identity_decomposerENS1_16block_id_wrapperIjLb1EEEEE10hipError_tT1_PNSt15iterator_traitsISG_E10value_typeET2_T3_PNSH_ISM_E10value_typeET4_T5_PSR_SS_PNS1_23onesweep_lookback_stateEbbT6_jjT7_P12ihipStream_tbENKUlT_T0_SG_SL_E_clIS7_S7_SB_SB_EEDaSZ_S10_SG_SL_EUlSZ_E_NS1_11comp_targetILNS1_3genE5ELNS1_11target_archE942ELNS1_3gpuE9ELNS1_3repE0EEENS1_47radix_sort_onesweep_sort_config_static_selectorELNS0_4arch9wavefront6targetE1EEEvSG_: ; @_ZN7rocprim17ROCPRIM_400000_NS6detail17trampoline_kernelINS0_14default_configENS1_35radix_sort_onesweep_config_selectorIalEEZZNS1_29radix_sort_onesweep_iterationIS3_Lb0EPaS7_N6thrust23THRUST_200600_302600_NS10device_ptrIlEESB_jNS0_19identity_decomposerENS1_16block_id_wrapperIjLb1EEEEE10hipError_tT1_PNSt15iterator_traitsISG_E10value_typeET2_T3_PNSH_ISM_E10value_typeET4_T5_PSR_SS_PNS1_23onesweep_lookback_stateEbbT6_jjT7_P12ihipStream_tbENKUlT_T0_SG_SL_E_clIS7_S7_SB_SB_EEDaSZ_S10_SG_SL_EUlSZ_E_NS1_11comp_targetILNS1_3genE5ELNS1_11target_archE942ELNS1_3gpuE9ELNS1_3repE0EEENS1_47radix_sort_onesweep_sort_config_static_selectorELNS0_4arch9wavefront6targetE1EEEvSG_
; %bb.0:
	.section	.rodata,"a",@progbits
	.p2align	6, 0x0
	.amdhsa_kernel _ZN7rocprim17ROCPRIM_400000_NS6detail17trampoline_kernelINS0_14default_configENS1_35radix_sort_onesweep_config_selectorIalEEZZNS1_29radix_sort_onesweep_iterationIS3_Lb0EPaS7_N6thrust23THRUST_200600_302600_NS10device_ptrIlEESB_jNS0_19identity_decomposerENS1_16block_id_wrapperIjLb1EEEEE10hipError_tT1_PNSt15iterator_traitsISG_E10value_typeET2_T3_PNSH_ISM_E10value_typeET4_T5_PSR_SS_PNS1_23onesweep_lookback_stateEbbT6_jjT7_P12ihipStream_tbENKUlT_T0_SG_SL_E_clIS7_S7_SB_SB_EEDaSZ_S10_SG_SL_EUlSZ_E_NS1_11comp_targetILNS1_3genE5ELNS1_11target_archE942ELNS1_3gpuE9ELNS1_3repE0EEENS1_47radix_sort_onesweep_sort_config_static_selectorELNS0_4arch9wavefront6targetE1EEEvSG_
		.amdhsa_group_segment_fixed_size 0
		.amdhsa_private_segment_fixed_size 0
		.amdhsa_kernarg_size 88
		.amdhsa_user_sgpr_count 6
		.amdhsa_user_sgpr_private_segment_buffer 1
		.amdhsa_user_sgpr_dispatch_ptr 0
		.amdhsa_user_sgpr_queue_ptr 0
		.amdhsa_user_sgpr_kernarg_segment_ptr 1
		.amdhsa_user_sgpr_dispatch_id 0
		.amdhsa_user_sgpr_flat_scratch_init 0
		.amdhsa_user_sgpr_private_segment_size 0
		.amdhsa_uses_dynamic_stack 0
		.amdhsa_system_sgpr_private_segment_wavefront_offset 0
		.amdhsa_system_sgpr_workgroup_id_x 1
		.amdhsa_system_sgpr_workgroup_id_y 0
		.amdhsa_system_sgpr_workgroup_id_z 0
		.amdhsa_system_sgpr_workgroup_info 0
		.amdhsa_system_vgpr_workitem_id 0
		.amdhsa_next_free_vgpr 1
		.amdhsa_next_free_sgpr 0
		.amdhsa_reserve_vcc 0
		.amdhsa_reserve_flat_scratch 0
		.amdhsa_float_round_mode_32 0
		.amdhsa_float_round_mode_16_64 0
		.amdhsa_float_denorm_mode_32 3
		.amdhsa_float_denorm_mode_16_64 3
		.amdhsa_dx10_clamp 1
		.amdhsa_ieee_mode 1
		.amdhsa_fp16_overflow 0
		.amdhsa_exception_fp_ieee_invalid_op 0
		.amdhsa_exception_fp_denorm_src 0
		.amdhsa_exception_fp_ieee_div_zero 0
		.amdhsa_exception_fp_ieee_overflow 0
		.amdhsa_exception_fp_ieee_underflow 0
		.amdhsa_exception_fp_ieee_inexact 0
		.amdhsa_exception_int_div_zero 0
	.end_amdhsa_kernel
	.section	.text._ZN7rocprim17ROCPRIM_400000_NS6detail17trampoline_kernelINS0_14default_configENS1_35radix_sort_onesweep_config_selectorIalEEZZNS1_29radix_sort_onesweep_iterationIS3_Lb0EPaS7_N6thrust23THRUST_200600_302600_NS10device_ptrIlEESB_jNS0_19identity_decomposerENS1_16block_id_wrapperIjLb1EEEEE10hipError_tT1_PNSt15iterator_traitsISG_E10value_typeET2_T3_PNSH_ISM_E10value_typeET4_T5_PSR_SS_PNS1_23onesweep_lookback_stateEbbT6_jjT7_P12ihipStream_tbENKUlT_T0_SG_SL_E_clIS7_S7_SB_SB_EEDaSZ_S10_SG_SL_EUlSZ_E_NS1_11comp_targetILNS1_3genE5ELNS1_11target_archE942ELNS1_3gpuE9ELNS1_3repE0EEENS1_47radix_sort_onesweep_sort_config_static_selectorELNS0_4arch9wavefront6targetE1EEEvSG_,"axG",@progbits,_ZN7rocprim17ROCPRIM_400000_NS6detail17trampoline_kernelINS0_14default_configENS1_35radix_sort_onesweep_config_selectorIalEEZZNS1_29radix_sort_onesweep_iterationIS3_Lb0EPaS7_N6thrust23THRUST_200600_302600_NS10device_ptrIlEESB_jNS0_19identity_decomposerENS1_16block_id_wrapperIjLb1EEEEE10hipError_tT1_PNSt15iterator_traitsISG_E10value_typeET2_T3_PNSH_ISM_E10value_typeET4_T5_PSR_SS_PNS1_23onesweep_lookback_stateEbbT6_jjT7_P12ihipStream_tbENKUlT_T0_SG_SL_E_clIS7_S7_SB_SB_EEDaSZ_S10_SG_SL_EUlSZ_E_NS1_11comp_targetILNS1_3genE5ELNS1_11target_archE942ELNS1_3gpuE9ELNS1_3repE0EEENS1_47radix_sort_onesweep_sort_config_static_selectorELNS0_4arch9wavefront6targetE1EEEvSG_,comdat
.Lfunc_end602:
	.size	_ZN7rocprim17ROCPRIM_400000_NS6detail17trampoline_kernelINS0_14default_configENS1_35radix_sort_onesweep_config_selectorIalEEZZNS1_29radix_sort_onesweep_iterationIS3_Lb0EPaS7_N6thrust23THRUST_200600_302600_NS10device_ptrIlEESB_jNS0_19identity_decomposerENS1_16block_id_wrapperIjLb1EEEEE10hipError_tT1_PNSt15iterator_traitsISG_E10value_typeET2_T3_PNSH_ISM_E10value_typeET4_T5_PSR_SS_PNS1_23onesweep_lookback_stateEbbT6_jjT7_P12ihipStream_tbENKUlT_T0_SG_SL_E_clIS7_S7_SB_SB_EEDaSZ_S10_SG_SL_EUlSZ_E_NS1_11comp_targetILNS1_3genE5ELNS1_11target_archE942ELNS1_3gpuE9ELNS1_3repE0EEENS1_47radix_sort_onesweep_sort_config_static_selectorELNS0_4arch9wavefront6targetE1EEEvSG_, .Lfunc_end602-_ZN7rocprim17ROCPRIM_400000_NS6detail17trampoline_kernelINS0_14default_configENS1_35radix_sort_onesweep_config_selectorIalEEZZNS1_29radix_sort_onesweep_iterationIS3_Lb0EPaS7_N6thrust23THRUST_200600_302600_NS10device_ptrIlEESB_jNS0_19identity_decomposerENS1_16block_id_wrapperIjLb1EEEEE10hipError_tT1_PNSt15iterator_traitsISG_E10value_typeET2_T3_PNSH_ISM_E10value_typeET4_T5_PSR_SS_PNS1_23onesweep_lookback_stateEbbT6_jjT7_P12ihipStream_tbENKUlT_T0_SG_SL_E_clIS7_S7_SB_SB_EEDaSZ_S10_SG_SL_EUlSZ_E_NS1_11comp_targetILNS1_3genE5ELNS1_11target_archE942ELNS1_3gpuE9ELNS1_3repE0EEENS1_47radix_sort_onesweep_sort_config_static_selectorELNS0_4arch9wavefront6targetE1EEEvSG_
                                        ; -- End function
	.set _ZN7rocprim17ROCPRIM_400000_NS6detail17trampoline_kernelINS0_14default_configENS1_35radix_sort_onesweep_config_selectorIalEEZZNS1_29radix_sort_onesweep_iterationIS3_Lb0EPaS7_N6thrust23THRUST_200600_302600_NS10device_ptrIlEESB_jNS0_19identity_decomposerENS1_16block_id_wrapperIjLb1EEEEE10hipError_tT1_PNSt15iterator_traitsISG_E10value_typeET2_T3_PNSH_ISM_E10value_typeET4_T5_PSR_SS_PNS1_23onesweep_lookback_stateEbbT6_jjT7_P12ihipStream_tbENKUlT_T0_SG_SL_E_clIS7_S7_SB_SB_EEDaSZ_S10_SG_SL_EUlSZ_E_NS1_11comp_targetILNS1_3genE5ELNS1_11target_archE942ELNS1_3gpuE9ELNS1_3repE0EEENS1_47radix_sort_onesweep_sort_config_static_selectorELNS0_4arch9wavefront6targetE1EEEvSG_.num_vgpr, 0
	.set _ZN7rocprim17ROCPRIM_400000_NS6detail17trampoline_kernelINS0_14default_configENS1_35radix_sort_onesweep_config_selectorIalEEZZNS1_29radix_sort_onesweep_iterationIS3_Lb0EPaS7_N6thrust23THRUST_200600_302600_NS10device_ptrIlEESB_jNS0_19identity_decomposerENS1_16block_id_wrapperIjLb1EEEEE10hipError_tT1_PNSt15iterator_traitsISG_E10value_typeET2_T3_PNSH_ISM_E10value_typeET4_T5_PSR_SS_PNS1_23onesweep_lookback_stateEbbT6_jjT7_P12ihipStream_tbENKUlT_T0_SG_SL_E_clIS7_S7_SB_SB_EEDaSZ_S10_SG_SL_EUlSZ_E_NS1_11comp_targetILNS1_3genE5ELNS1_11target_archE942ELNS1_3gpuE9ELNS1_3repE0EEENS1_47radix_sort_onesweep_sort_config_static_selectorELNS0_4arch9wavefront6targetE1EEEvSG_.num_agpr, 0
	.set _ZN7rocprim17ROCPRIM_400000_NS6detail17trampoline_kernelINS0_14default_configENS1_35radix_sort_onesweep_config_selectorIalEEZZNS1_29radix_sort_onesweep_iterationIS3_Lb0EPaS7_N6thrust23THRUST_200600_302600_NS10device_ptrIlEESB_jNS0_19identity_decomposerENS1_16block_id_wrapperIjLb1EEEEE10hipError_tT1_PNSt15iterator_traitsISG_E10value_typeET2_T3_PNSH_ISM_E10value_typeET4_T5_PSR_SS_PNS1_23onesweep_lookback_stateEbbT6_jjT7_P12ihipStream_tbENKUlT_T0_SG_SL_E_clIS7_S7_SB_SB_EEDaSZ_S10_SG_SL_EUlSZ_E_NS1_11comp_targetILNS1_3genE5ELNS1_11target_archE942ELNS1_3gpuE9ELNS1_3repE0EEENS1_47radix_sort_onesweep_sort_config_static_selectorELNS0_4arch9wavefront6targetE1EEEvSG_.numbered_sgpr, 0
	.set _ZN7rocprim17ROCPRIM_400000_NS6detail17trampoline_kernelINS0_14default_configENS1_35radix_sort_onesweep_config_selectorIalEEZZNS1_29radix_sort_onesweep_iterationIS3_Lb0EPaS7_N6thrust23THRUST_200600_302600_NS10device_ptrIlEESB_jNS0_19identity_decomposerENS1_16block_id_wrapperIjLb1EEEEE10hipError_tT1_PNSt15iterator_traitsISG_E10value_typeET2_T3_PNSH_ISM_E10value_typeET4_T5_PSR_SS_PNS1_23onesweep_lookback_stateEbbT6_jjT7_P12ihipStream_tbENKUlT_T0_SG_SL_E_clIS7_S7_SB_SB_EEDaSZ_S10_SG_SL_EUlSZ_E_NS1_11comp_targetILNS1_3genE5ELNS1_11target_archE942ELNS1_3gpuE9ELNS1_3repE0EEENS1_47radix_sort_onesweep_sort_config_static_selectorELNS0_4arch9wavefront6targetE1EEEvSG_.num_named_barrier, 0
	.set _ZN7rocprim17ROCPRIM_400000_NS6detail17trampoline_kernelINS0_14default_configENS1_35radix_sort_onesweep_config_selectorIalEEZZNS1_29radix_sort_onesweep_iterationIS3_Lb0EPaS7_N6thrust23THRUST_200600_302600_NS10device_ptrIlEESB_jNS0_19identity_decomposerENS1_16block_id_wrapperIjLb1EEEEE10hipError_tT1_PNSt15iterator_traitsISG_E10value_typeET2_T3_PNSH_ISM_E10value_typeET4_T5_PSR_SS_PNS1_23onesweep_lookback_stateEbbT6_jjT7_P12ihipStream_tbENKUlT_T0_SG_SL_E_clIS7_S7_SB_SB_EEDaSZ_S10_SG_SL_EUlSZ_E_NS1_11comp_targetILNS1_3genE5ELNS1_11target_archE942ELNS1_3gpuE9ELNS1_3repE0EEENS1_47radix_sort_onesweep_sort_config_static_selectorELNS0_4arch9wavefront6targetE1EEEvSG_.private_seg_size, 0
	.set _ZN7rocprim17ROCPRIM_400000_NS6detail17trampoline_kernelINS0_14default_configENS1_35radix_sort_onesweep_config_selectorIalEEZZNS1_29radix_sort_onesweep_iterationIS3_Lb0EPaS7_N6thrust23THRUST_200600_302600_NS10device_ptrIlEESB_jNS0_19identity_decomposerENS1_16block_id_wrapperIjLb1EEEEE10hipError_tT1_PNSt15iterator_traitsISG_E10value_typeET2_T3_PNSH_ISM_E10value_typeET4_T5_PSR_SS_PNS1_23onesweep_lookback_stateEbbT6_jjT7_P12ihipStream_tbENKUlT_T0_SG_SL_E_clIS7_S7_SB_SB_EEDaSZ_S10_SG_SL_EUlSZ_E_NS1_11comp_targetILNS1_3genE5ELNS1_11target_archE942ELNS1_3gpuE9ELNS1_3repE0EEENS1_47radix_sort_onesweep_sort_config_static_selectorELNS0_4arch9wavefront6targetE1EEEvSG_.uses_vcc, 0
	.set _ZN7rocprim17ROCPRIM_400000_NS6detail17trampoline_kernelINS0_14default_configENS1_35radix_sort_onesweep_config_selectorIalEEZZNS1_29radix_sort_onesweep_iterationIS3_Lb0EPaS7_N6thrust23THRUST_200600_302600_NS10device_ptrIlEESB_jNS0_19identity_decomposerENS1_16block_id_wrapperIjLb1EEEEE10hipError_tT1_PNSt15iterator_traitsISG_E10value_typeET2_T3_PNSH_ISM_E10value_typeET4_T5_PSR_SS_PNS1_23onesweep_lookback_stateEbbT6_jjT7_P12ihipStream_tbENKUlT_T0_SG_SL_E_clIS7_S7_SB_SB_EEDaSZ_S10_SG_SL_EUlSZ_E_NS1_11comp_targetILNS1_3genE5ELNS1_11target_archE942ELNS1_3gpuE9ELNS1_3repE0EEENS1_47radix_sort_onesweep_sort_config_static_selectorELNS0_4arch9wavefront6targetE1EEEvSG_.uses_flat_scratch, 0
	.set _ZN7rocprim17ROCPRIM_400000_NS6detail17trampoline_kernelINS0_14default_configENS1_35radix_sort_onesweep_config_selectorIalEEZZNS1_29radix_sort_onesweep_iterationIS3_Lb0EPaS7_N6thrust23THRUST_200600_302600_NS10device_ptrIlEESB_jNS0_19identity_decomposerENS1_16block_id_wrapperIjLb1EEEEE10hipError_tT1_PNSt15iterator_traitsISG_E10value_typeET2_T3_PNSH_ISM_E10value_typeET4_T5_PSR_SS_PNS1_23onesweep_lookback_stateEbbT6_jjT7_P12ihipStream_tbENKUlT_T0_SG_SL_E_clIS7_S7_SB_SB_EEDaSZ_S10_SG_SL_EUlSZ_E_NS1_11comp_targetILNS1_3genE5ELNS1_11target_archE942ELNS1_3gpuE9ELNS1_3repE0EEENS1_47radix_sort_onesweep_sort_config_static_selectorELNS0_4arch9wavefront6targetE1EEEvSG_.has_dyn_sized_stack, 0
	.set _ZN7rocprim17ROCPRIM_400000_NS6detail17trampoline_kernelINS0_14default_configENS1_35radix_sort_onesweep_config_selectorIalEEZZNS1_29radix_sort_onesweep_iterationIS3_Lb0EPaS7_N6thrust23THRUST_200600_302600_NS10device_ptrIlEESB_jNS0_19identity_decomposerENS1_16block_id_wrapperIjLb1EEEEE10hipError_tT1_PNSt15iterator_traitsISG_E10value_typeET2_T3_PNSH_ISM_E10value_typeET4_T5_PSR_SS_PNS1_23onesweep_lookback_stateEbbT6_jjT7_P12ihipStream_tbENKUlT_T0_SG_SL_E_clIS7_S7_SB_SB_EEDaSZ_S10_SG_SL_EUlSZ_E_NS1_11comp_targetILNS1_3genE5ELNS1_11target_archE942ELNS1_3gpuE9ELNS1_3repE0EEENS1_47radix_sort_onesweep_sort_config_static_selectorELNS0_4arch9wavefront6targetE1EEEvSG_.has_recursion, 0
	.set _ZN7rocprim17ROCPRIM_400000_NS6detail17trampoline_kernelINS0_14default_configENS1_35radix_sort_onesweep_config_selectorIalEEZZNS1_29radix_sort_onesweep_iterationIS3_Lb0EPaS7_N6thrust23THRUST_200600_302600_NS10device_ptrIlEESB_jNS0_19identity_decomposerENS1_16block_id_wrapperIjLb1EEEEE10hipError_tT1_PNSt15iterator_traitsISG_E10value_typeET2_T3_PNSH_ISM_E10value_typeET4_T5_PSR_SS_PNS1_23onesweep_lookback_stateEbbT6_jjT7_P12ihipStream_tbENKUlT_T0_SG_SL_E_clIS7_S7_SB_SB_EEDaSZ_S10_SG_SL_EUlSZ_E_NS1_11comp_targetILNS1_3genE5ELNS1_11target_archE942ELNS1_3gpuE9ELNS1_3repE0EEENS1_47radix_sort_onesweep_sort_config_static_selectorELNS0_4arch9wavefront6targetE1EEEvSG_.has_indirect_call, 0
	.section	.AMDGPU.csdata,"",@progbits
; Kernel info:
; codeLenInByte = 0
; TotalNumSgprs: 4
; NumVgprs: 0
; ScratchSize: 0
; MemoryBound: 0
; FloatMode: 240
; IeeeMode: 1
; LDSByteSize: 0 bytes/workgroup (compile time only)
; SGPRBlocks: 0
; VGPRBlocks: 0
; NumSGPRsForWavesPerEU: 4
; NumVGPRsForWavesPerEU: 1
; Occupancy: 10
; WaveLimiterHint : 0
; COMPUTE_PGM_RSRC2:SCRATCH_EN: 0
; COMPUTE_PGM_RSRC2:USER_SGPR: 6
; COMPUTE_PGM_RSRC2:TRAP_HANDLER: 0
; COMPUTE_PGM_RSRC2:TGID_X_EN: 1
; COMPUTE_PGM_RSRC2:TGID_Y_EN: 0
; COMPUTE_PGM_RSRC2:TGID_Z_EN: 0
; COMPUTE_PGM_RSRC2:TIDIG_COMP_CNT: 0
	.section	.text._ZN7rocprim17ROCPRIM_400000_NS6detail17trampoline_kernelINS0_14default_configENS1_35radix_sort_onesweep_config_selectorIalEEZZNS1_29radix_sort_onesweep_iterationIS3_Lb0EPaS7_N6thrust23THRUST_200600_302600_NS10device_ptrIlEESB_jNS0_19identity_decomposerENS1_16block_id_wrapperIjLb1EEEEE10hipError_tT1_PNSt15iterator_traitsISG_E10value_typeET2_T3_PNSH_ISM_E10value_typeET4_T5_PSR_SS_PNS1_23onesweep_lookback_stateEbbT6_jjT7_P12ihipStream_tbENKUlT_T0_SG_SL_E_clIS7_S7_SB_SB_EEDaSZ_S10_SG_SL_EUlSZ_E_NS1_11comp_targetILNS1_3genE2ELNS1_11target_archE906ELNS1_3gpuE6ELNS1_3repE0EEENS1_47radix_sort_onesweep_sort_config_static_selectorELNS0_4arch9wavefront6targetE1EEEvSG_,"axG",@progbits,_ZN7rocprim17ROCPRIM_400000_NS6detail17trampoline_kernelINS0_14default_configENS1_35radix_sort_onesweep_config_selectorIalEEZZNS1_29radix_sort_onesweep_iterationIS3_Lb0EPaS7_N6thrust23THRUST_200600_302600_NS10device_ptrIlEESB_jNS0_19identity_decomposerENS1_16block_id_wrapperIjLb1EEEEE10hipError_tT1_PNSt15iterator_traitsISG_E10value_typeET2_T3_PNSH_ISM_E10value_typeET4_T5_PSR_SS_PNS1_23onesweep_lookback_stateEbbT6_jjT7_P12ihipStream_tbENKUlT_T0_SG_SL_E_clIS7_S7_SB_SB_EEDaSZ_S10_SG_SL_EUlSZ_E_NS1_11comp_targetILNS1_3genE2ELNS1_11target_archE906ELNS1_3gpuE6ELNS1_3repE0EEENS1_47radix_sort_onesweep_sort_config_static_selectorELNS0_4arch9wavefront6targetE1EEEvSG_,comdat
	.protected	_ZN7rocprim17ROCPRIM_400000_NS6detail17trampoline_kernelINS0_14default_configENS1_35radix_sort_onesweep_config_selectorIalEEZZNS1_29radix_sort_onesweep_iterationIS3_Lb0EPaS7_N6thrust23THRUST_200600_302600_NS10device_ptrIlEESB_jNS0_19identity_decomposerENS1_16block_id_wrapperIjLb1EEEEE10hipError_tT1_PNSt15iterator_traitsISG_E10value_typeET2_T3_PNSH_ISM_E10value_typeET4_T5_PSR_SS_PNS1_23onesweep_lookback_stateEbbT6_jjT7_P12ihipStream_tbENKUlT_T0_SG_SL_E_clIS7_S7_SB_SB_EEDaSZ_S10_SG_SL_EUlSZ_E_NS1_11comp_targetILNS1_3genE2ELNS1_11target_archE906ELNS1_3gpuE6ELNS1_3repE0EEENS1_47radix_sort_onesweep_sort_config_static_selectorELNS0_4arch9wavefront6targetE1EEEvSG_ ; -- Begin function _ZN7rocprim17ROCPRIM_400000_NS6detail17trampoline_kernelINS0_14default_configENS1_35radix_sort_onesweep_config_selectorIalEEZZNS1_29radix_sort_onesweep_iterationIS3_Lb0EPaS7_N6thrust23THRUST_200600_302600_NS10device_ptrIlEESB_jNS0_19identity_decomposerENS1_16block_id_wrapperIjLb1EEEEE10hipError_tT1_PNSt15iterator_traitsISG_E10value_typeET2_T3_PNSH_ISM_E10value_typeET4_T5_PSR_SS_PNS1_23onesweep_lookback_stateEbbT6_jjT7_P12ihipStream_tbENKUlT_T0_SG_SL_E_clIS7_S7_SB_SB_EEDaSZ_S10_SG_SL_EUlSZ_E_NS1_11comp_targetILNS1_3genE2ELNS1_11target_archE906ELNS1_3gpuE6ELNS1_3repE0EEENS1_47radix_sort_onesweep_sort_config_static_selectorELNS0_4arch9wavefront6targetE1EEEvSG_
	.globl	_ZN7rocprim17ROCPRIM_400000_NS6detail17trampoline_kernelINS0_14default_configENS1_35radix_sort_onesweep_config_selectorIalEEZZNS1_29radix_sort_onesweep_iterationIS3_Lb0EPaS7_N6thrust23THRUST_200600_302600_NS10device_ptrIlEESB_jNS0_19identity_decomposerENS1_16block_id_wrapperIjLb1EEEEE10hipError_tT1_PNSt15iterator_traitsISG_E10value_typeET2_T3_PNSH_ISM_E10value_typeET4_T5_PSR_SS_PNS1_23onesweep_lookback_stateEbbT6_jjT7_P12ihipStream_tbENKUlT_T0_SG_SL_E_clIS7_S7_SB_SB_EEDaSZ_S10_SG_SL_EUlSZ_E_NS1_11comp_targetILNS1_3genE2ELNS1_11target_archE906ELNS1_3gpuE6ELNS1_3repE0EEENS1_47radix_sort_onesweep_sort_config_static_selectorELNS0_4arch9wavefront6targetE1EEEvSG_
	.p2align	8
	.type	_ZN7rocprim17ROCPRIM_400000_NS6detail17trampoline_kernelINS0_14default_configENS1_35radix_sort_onesweep_config_selectorIalEEZZNS1_29radix_sort_onesweep_iterationIS3_Lb0EPaS7_N6thrust23THRUST_200600_302600_NS10device_ptrIlEESB_jNS0_19identity_decomposerENS1_16block_id_wrapperIjLb1EEEEE10hipError_tT1_PNSt15iterator_traitsISG_E10value_typeET2_T3_PNSH_ISM_E10value_typeET4_T5_PSR_SS_PNS1_23onesweep_lookback_stateEbbT6_jjT7_P12ihipStream_tbENKUlT_T0_SG_SL_E_clIS7_S7_SB_SB_EEDaSZ_S10_SG_SL_EUlSZ_E_NS1_11comp_targetILNS1_3genE2ELNS1_11target_archE906ELNS1_3gpuE6ELNS1_3repE0EEENS1_47radix_sort_onesweep_sort_config_static_selectorELNS0_4arch9wavefront6targetE1EEEvSG_,@function
_ZN7rocprim17ROCPRIM_400000_NS6detail17trampoline_kernelINS0_14default_configENS1_35radix_sort_onesweep_config_selectorIalEEZZNS1_29radix_sort_onesweep_iterationIS3_Lb0EPaS7_N6thrust23THRUST_200600_302600_NS10device_ptrIlEESB_jNS0_19identity_decomposerENS1_16block_id_wrapperIjLb1EEEEE10hipError_tT1_PNSt15iterator_traitsISG_E10value_typeET2_T3_PNSH_ISM_E10value_typeET4_T5_PSR_SS_PNS1_23onesweep_lookback_stateEbbT6_jjT7_P12ihipStream_tbENKUlT_T0_SG_SL_E_clIS7_S7_SB_SB_EEDaSZ_S10_SG_SL_EUlSZ_E_NS1_11comp_targetILNS1_3genE2ELNS1_11target_archE906ELNS1_3gpuE6ELNS1_3repE0EEENS1_47radix_sort_onesweep_sort_config_static_selectorELNS0_4arch9wavefront6targetE1EEEvSG_: ; @_ZN7rocprim17ROCPRIM_400000_NS6detail17trampoline_kernelINS0_14default_configENS1_35radix_sort_onesweep_config_selectorIalEEZZNS1_29radix_sort_onesweep_iterationIS3_Lb0EPaS7_N6thrust23THRUST_200600_302600_NS10device_ptrIlEESB_jNS0_19identity_decomposerENS1_16block_id_wrapperIjLb1EEEEE10hipError_tT1_PNSt15iterator_traitsISG_E10value_typeET2_T3_PNSH_ISM_E10value_typeET4_T5_PSR_SS_PNS1_23onesweep_lookback_stateEbbT6_jjT7_P12ihipStream_tbENKUlT_T0_SG_SL_E_clIS7_S7_SB_SB_EEDaSZ_S10_SG_SL_EUlSZ_E_NS1_11comp_targetILNS1_3genE2ELNS1_11target_archE906ELNS1_3gpuE6ELNS1_3repE0EEENS1_47radix_sort_onesweep_sort_config_static_selectorELNS0_4arch9wavefront6targetE1EEEvSG_
; %bb.0:
	s_load_dwordx4 s[28:31], s[4:5], 0x28
	s_load_dwordx2 s[34:35], s[4:5], 0x38
	s_load_dwordx4 s[44:47], s[4:5], 0x44
	s_add_u32 s0, s0, s7
	s_addc_u32 s1, s1, 0
	v_cmp_eq_u32_e64 s[22:23], 0, v0
	s_and_saveexec_b64 s[8:9], s[22:23]
	s_cbranch_execz .LBB603_4
; %bb.1:
	s_mov_b64 s[12:13], exec
	v_mbcnt_lo_u32_b32 v3, s12, 0
	v_mbcnt_hi_u32_b32 v3, s13, v3
	v_cmp_eq_u32_e32 vcc, 0, v3
                                        ; implicit-def: $vgpr4
	s_and_saveexec_b64 s[10:11], vcc
	s_cbranch_execz .LBB603_3
; %bb.2:
	s_load_dwordx2 s[14:15], s[4:5], 0x50
	s_bcnt1_i32_b64 s7, s[12:13]
	v_mov_b32_e32 v4, 0
	v_mov_b32_e32 v5, s7
	s_waitcnt lgkmcnt(0)
	global_atomic_add v4, v4, v5, s[14:15] glc
.LBB603_3:
	s_or_b64 exec, exec, s[10:11]
	s_waitcnt vmcnt(0)
	v_readfirstlane_b32 s7, v4
	v_add_u32_e32 v3, s7, v3
	v_mov_b32_e32 v4, 0
	ds_write_b32 v4, v3 offset:10272
.LBB603_4:
	s_or_b64 exec, exec, s[8:9]
	v_mov_b32_e32 v3, 0
	s_load_dwordx8 s[36:43], s[4:5], 0x0
	s_load_dword s7, s[4:5], 0x20
	s_waitcnt lgkmcnt(0)
	s_barrier
	ds_read_b32 v3, v3 offset:10272
	s_mov_b64 s[8:9], -1
	v_mbcnt_lo_u32_b32 v17, -1, 0
	s_waitcnt lgkmcnt(0)
	s_barrier
	v_readfirstlane_b32 s33, v3
	v_cmp_le_u32_e32 vcc, s46, v3
	s_mul_i32 s26, s33, 0xc00
	s_cbranch_vccz .LBB603_82
; %bb.5:
	s_mul_i32 s8, s46, 0xfffff400
	s_add_i32 s7, s8, s7
	s_add_u32 s8, s36, s26
	v_mbcnt_hi_u32_b32 v7, -1, v17
	s_addc_u32 s9, s37, 0
	v_and_b32_e32 v10, 63, v7
	v_and_b32_e32 v8, 0x1c0, v0
	v_mov_b32_e32 v3, s9
	v_add_co_u32_e32 v4, vcc, s8, v10
	v_mul_u32_u24_e32 v9, 6, v8
	v_addc_co_u32_e32 v5, vcc, 0, v3, vcc
	v_add_co_u32_e32 v3, vcc, v4, v9
	v_addc_co_u32_e32 v4, vcc, 0, v5, vcc
	v_or_b32_e32 v11, v10, v9
	s_mov_b32 s27, 0
	v_cmp_gt_u32_e32 vcc, s7, v11
	v_mov_b32_e32 v6, 0x7f
	v_mov_b32_e32 v5, 0x7f
	;; [unrolled: 1-line block ×6, first 2 shown]
	s_and_saveexec_b64 s[8:9], vcc
	s_cbranch_execz .LBB603_7
; %bb.6:
	global_load_ubyte v5, v[3:4], off
	v_mov_b32_e32 v6, 0x7f
	v_mov_b32_e32 v15, 0x7f
	;; [unrolled: 1-line block ×5, first 2 shown]
.LBB603_7:
	s_or_b64 exec, exec, s[8:9]
	v_or_b32_e32 v12, 64, v11
	v_cmp_gt_u32_e64 s[8:9], s7, v12
	s_and_saveexec_b64 s[10:11], s[8:9]
	s_cbranch_execz .LBB603_9
; %bb.8:
	global_load_ubyte v15, v[3:4], off offset:64
.LBB603_9:
	s_or_b64 exec, exec, s[10:11]
	v_add_u32_e32 v12, 0x80, v11
	v_cmp_gt_u32_e64 s[10:11], s7, v12
	s_and_saveexec_b64 s[12:13], s[10:11]
	s_cbranch_execz .LBB603_11
; %bb.10:
	global_load_ubyte v20, v[3:4], off offset:128
.LBB603_11:
	s_or_b64 exec, exec, s[12:13]
	v_add_u32_e32 v12, 0xc0, v11
	;; [unrolled: 8-line block ×4, first 2 shown]
	v_cmp_gt_u32_e64 s[16:17], s7, v11
	s_and_saveexec_b64 s[18:19], s[16:17]
	s_cbranch_execz .LBB603_17
; %bb.16:
	global_load_ubyte v6, v[3:4], off offset:320
.LBB603_17:
	s_or_b64 exec, exec, s[18:19]
	s_load_dword s18, s[4:5], 0x64
	s_load_dword s52, s[4:5], 0x58
	s_add_u32 s19, s4, 0x58
	s_addc_u32 s20, s5, 0
	v_mov_b32_e32 v3, 0
	s_waitcnt lgkmcnt(0)
	s_lshr_b32 s21, s18, 16
	s_cmp_lt_u32 s6, s52
	s_cselect_b32 s18, 12, 18
	s_add_u32 s18, s19, s18
	s_addc_u32 s19, s20, 0
	global_load_ushort v13, v3, s[18:19]
	s_waitcnt vmcnt(1)
	v_xor_b32_e32 v11, 0xffffff80, v5
	s_lshl_b32 s18, -1, s45
	v_lshrrev_b32_sdwa v4, s44, v11 dst_sel:DWORD dst_unused:UNUSED_PAD src0_sel:DWORD src1_sel:BYTE_0
	s_not_b32 s53, s18
	v_and_b32_e32 v16, s53, v4
	v_and_b32_e32 v18, 1, v16
	v_add_co_u32_e64 v19, s[18:19], -1, v18
	v_lshlrev_b32_e32 v4, 30, v16
	v_addc_co_u32_e64 v23, s[18:19], 0, -1, s[18:19]
	v_mad_u32_u24 v5, v2, s21, v1
	v_cmp_ne_u32_e64 s[18:19], 0, v18
	v_cmp_gt_i64_e64 s[20:21], 0, v[3:4]
	v_not_b32_e32 v18, v4
	v_lshlrev_b32_e32 v4, 29, v16
	v_xor_b32_e32 v23, s19, v23
	v_xor_b32_e32 v19, s18, v19
	v_ashrrev_i32_e32 v18, 31, v18
	v_cmp_gt_i64_e64 s[18:19], 0, v[3:4]
	v_not_b32_e32 v24, v4
	v_lshlrev_b32_e32 v4, 28, v16
	v_and_b32_e32 v23, exec_hi, v23
	v_and_b32_e32 v19, exec_lo, v19
	v_xor_b32_e32 v25, s21, v18
	v_xor_b32_e32 v18, s20, v18
	v_ashrrev_i32_e32 v24, 31, v24
	v_cmp_gt_i64_e64 s[20:21], 0, v[3:4]
	v_not_b32_e32 v26, v4
	v_lshlrev_b32_e32 v4, 27, v16
	v_and_b32_e32 v23, v23, v25
	v_and_b32_e32 v18, v19, v18
	v_xor_b32_e32 v19, s19, v24
	v_xor_b32_e32 v24, s18, v24
	v_ashrrev_i32_e32 v25, 31, v26
	v_cmp_gt_i64_e64 s[18:19], 0, v[3:4]
	v_not_b32_e32 v26, v4
	v_lshlrev_b32_e32 v4, 26, v16
	v_and_b32_e32 v19, v23, v19
	v_and_b32_e32 v18, v18, v24
	;; [unrolled: 8-line block ×3, first 2 shown]
	v_xor_b32_e32 v23, s19, v25
	v_xor_b32_e32 v24, s18, v25
	v_ashrrev_i32_e32 v25, 31, v26
	v_cmp_gt_i64_e64 s[18:19], 0, v[3:4]
	v_not_b32_e32 v26, v4
	v_mul_u32_u24_e32 v21, 36, v16
	v_lshlrev_b32_e32 v4, 24, v16
	v_and_b32_e32 v16, v19, v23
	v_and_b32_e32 v18, v18, v24
	v_xor_b32_e32 v19, s21, v25
	v_xor_b32_e32 v23, s20, v25
	v_ashrrev_i32_e32 v24, 31, v26
	v_and_b32_e32 v16, v16, v19
	v_and_b32_e32 v18, v18, v23
	v_xor_b32_e32 v19, s19, v24
	v_xor_b32_e32 v23, s18, v24
	v_and_b32_e32 v16, v16, v19
	v_and_b32_e32 v23, v18, v23
	v_cmp_gt_i64_e64 s[20:21], 0, v[3:4]
	v_not_b32_e32 v4, v4
	v_ashrrev_i32_e32 v4, 31, v4
	v_xor_b32_e32 v24, s21, v4
	v_xor_b32_e32 v4, s20, v4
	v_and_b32_e32 v4, v23, v4
	v_mul_u32_u24_e32 v12, 20, v0
	ds_write2_b32 v12, v3, v3 offset0:8 offset1:9
	ds_write2_b32 v12, v3, v3 offset0:10 offset1:11
	ds_write_b32 v12, v3 offset:48
	s_waitcnt vmcnt(0) lgkmcnt(0)
	s_barrier
	; wave barrier
	v_mad_u64_u32 v[18:19], s[18:19], v5, v13, v[0:1]
	v_and_b32_e32 v5, v16, v24
	v_cmp_ne_u64_e64 s[18:19], 0, v[4:5]
	v_lshrrev_b32_e32 v13, 4, v18
	v_and_b32_e32 v29, 0xffffffc, v13
	v_mbcnt_lo_u32_b32 v13, v4, 0
	v_mbcnt_hi_u32_b32 v13, v5, v13
	v_cmp_eq_u32_e64 s[20:21], 0, v13
	s_and_b64 s[20:21], s[18:19], s[20:21]
	v_add_u32_e32 v16, v29, v21
	s_and_saveexec_b64 s[18:19], s[20:21]
; %bb.18:
	v_bcnt_u32_b32 v4, v4, 0
	v_bcnt_u32_b32 v4, v5, v4
	ds_write_b32 v16, v4 offset:32
; %bb.19:
	s_or_b64 exec, exec, s[18:19]
	v_xor_b32_e32 v15, 0xffffff80, v15
	v_lshrrev_b32_sdwa v4, s44, v15 dst_sel:DWORD dst_unused:UNUSED_PAD src0_sel:DWORD src1_sel:BYTE_0
	v_and_b32_e32 v5, s53, v4
	v_mad_u32_u24 v4, v5, 36, v29
	; wave barrier
	ds_read_b32 v18, v4 offset:32
	v_and_b32_e32 v4, 1, v5
	v_add_co_u32_e64 v19, s[18:19], -1, v4
	v_addc_co_u32_e64 v23, s[18:19], 0, -1, s[18:19]
	v_cmp_ne_u32_e64 s[18:19], 0, v4
	v_xor_b32_e32 v4, s19, v23
	v_and_b32_e32 v23, exec_hi, v4
	v_lshlrev_b32_e32 v4, 30, v5
	v_xor_b32_e32 v19, s18, v19
	v_cmp_gt_i64_e64 s[18:19], 0, v[3:4]
	v_not_b32_e32 v4, v4
	v_ashrrev_i32_e32 v4, 31, v4
	v_and_b32_e32 v19, exec_lo, v19
	v_xor_b32_e32 v24, s19, v4
	v_xor_b32_e32 v4, s18, v4
	v_and_b32_e32 v19, v19, v4
	v_lshlrev_b32_e32 v4, 29, v5
	v_cmp_gt_i64_e64 s[18:19], 0, v[3:4]
	v_not_b32_e32 v4, v4
	v_ashrrev_i32_e32 v4, 31, v4
	v_and_b32_e32 v23, v23, v24
	v_xor_b32_e32 v24, s19, v4
	v_xor_b32_e32 v4, s18, v4
	v_and_b32_e32 v19, v19, v4
	v_lshlrev_b32_e32 v4, 28, v5
	v_cmp_gt_i64_e64 s[18:19], 0, v[3:4]
	v_not_b32_e32 v4, v4
	v_ashrrev_i32_e32 v4, 31, v4
	v_and_b32_e32 v23, v23, v24
	;; [unrolled: 8-line block ×5, first 2 shown]
	v_xor_b32_e32 v24, s19, v4
	v_xor_b32_e32 v4, s18, v4
	v_and_b32_e32 v19, v19, v4
	v_lshlrev_b32_e32 v4, 24, v5
	v_cmp_gt_i64_e64 s[18:19], 0, v[3:4]
	v_not_b32_e32 v3, v4
	v_ashrrev_i32_e32 v3, 31, v3
	v_xor_b32_e32 v4, s19, v3
	v_xor_b32_e32 v3, s18, v3
	v_and_b32_e32 v23, v23, v24
	v_and_b32_e32 v3, v19, v3
	v_mul_u32_u24_e32 v21, 36, v5
	v_and_b32_e32 v4, v23, v4
	v_mbcnt_lo_u32_b32 v5, v3, 0
	v_mbcnt_hi_u32_b32 v19, v4, v5
	v_cmp_ne_u64_e64 s[18:19], 0, v[3:4]
	v_cmp_eq_u32_e64 s[20:21], 0, v19
	s_and_b64 s[20:21], s[18:19], s[20:21]
	v_add_u32_e32 v28, v29, v21
	; wave barrier
	s_and_saveexec_b64 s[18:19], s[20:21]
	s_cbranch_execz .LBB603_21
; %bb.20:
	v_bcnt_u32_b32 v3, v3, 0
	v_bcnt_u32_b32 v3, v4, v3
	s_waitcnt lgkmcnt(0)
	v_add_u32_e32 v3, v18, v3
	ds_write_b32 v28, v3 offset:32
.LBB603_21:
	s_or_b64 exec, exec, s[18:19]
	v_xor_b32_e32 v26, 0xffffff80, v20
	v_lshrrev_b32_sdwa v3, s44, v26 dst_sel:DWORD dst_unused:UNUSED_PAD src0_sel:DWORD src1_sel:BYTE_0
	v_and_b32_e32 v5, s53, v3
	v_and_b32_e32 v4, 1, v5
	v_add_co_u32_e64 v21, s[18:19], -1, v4
	v_addc_co_u32_e64 v24, s[18:19], 0, -1, s[18:19]
	v_cmp_ne_u32_e64 s[18:19], 0, v4
	v_mad_u32_u24 v3, v5, 36, v29
	v_xor_b32_e32 v4, s19, v24
	; wave barrier
	ds_read_b32 v20, v3 offset:32
	v_mov_b32_e32 v3, 0
	v_and_b32_e32 v24, exec_hi, v4
	v_lshlrev_b32_e32 v4, 30, v5
	v_xor_b32_e32 v21, s18, v21
	v_cmp_gt_i64_e64 s[18:19], 0, v[3:4]
	v_not_b32_e32 v4, v4
	v_ashrrev_i32_e32 v4, 31, v4
	v_and_b32_e32 v21, exec_lo, v21
	v_xor_b32_e32 v25, s19, v4
	v_xor_b32_e32 v4, s18, v4
	v_and_b32_e32 v21, v21, v4
	v_lshlrev_b32_e32 v4, 29, v5
	v_cmp_gt_i64_e64 s[18:19], 0, v[3:4]
	v_not_b32_e32 v4, v4
	v_ashrrev_i32_e32 v4, 31, v4
	v_and_b32_e32 v24, v24, v25
	v_xor_b32_e32 v25, s19, v4
	v_xor_b32_e32 v4, s18, v4
	v_and_b32_e32 v21, v21, v4
	v_lshlrev_b32_e32 v4, 28, v5
	v_cmp_gt_i64_e64 s[18:19], 0, v[3:4]
	v_not_b32_e32 v4, v4
	v_ashrrev_i32_e32 v4, 31, v4
	v_and_b32_e32 v24, v24, v25
	;; [unrolled: 8-line block ×5, first 2 shown]
	v_xor_b32_e32 v25, s19, v4
	v_xor_b32_e32 v4, s18, v4
	v_and_b32_e32 v21, v21, v4
	v_lshlrev_b32_e32 v4, 24, v5
	v_cmp_gt_i64_e64 s[18:19], 0, v[3:4]
	v_not_b32_e32 v4, v4
	v_ashrrev_i32_e32 v4, 31, v4
	v_mul_u32_u24_e32 v23, 36, v5
	v_xor_b32_e32 v5, s19, v4
	v_xor_b32_e32 v4, s18, v4
	v_and_b32_e32 v24, v24, v25
	v_and_b32_e32 v4, v21, v4
	;; [unrolled: 1-line block ×3, first 2 shown]
	v_mbcnt_lo_u32_b32 v21, v4, 0
	v_mbcnt_hi_u32_b32 v21, v5, v21
	v_cmp_ne_u64_e64 s[18:19], 0, v[4:5]
	v_cmp_eq_u32_e64 s[20:21], 0, v21
	s_and_b64 s[20:21], s[18:19], s[20:21]
	v_add_u32_e32 v32, v29, v23
	; wave barrier
	s_and_saveexec_b64 s[18:19], s[20:21]
	s_cbranch_execz .LBB603_23
; %bb.22:
	v_bcnt_u32_b32 v4, v4, 0
	v_bcnt_u32_b32 v4, v5, v4
	s_waitcnt lgkmcnt(0)
	v_add_u32_e32 v4, v20, v4
	ds_write_b32 v32, v4 offset:32
.LBB603_23:
	s_or_b64 exec, exec, s[18:19]
	v_xor_b32_e32 v31, 0xffffff80, v22
	v_lshrrev_b32_sdwa v4, s44, v31 dst_sel:DWORD dst_unused:UNUSED_PAD src0_sel:DWORD src1_sel:BYTE_0
	v_and_b32_e32 v5, s53, v4
	v_mad_u32_u24 v4, v5, 36, v29
	; wave barrier
	ds_read_b32 v22, v4 offset:32
	v_and_b32_e32 v4, 1, v5
	v_add_co_u32_e64 v23, s[18:19], -1, v4
	v_addc_co_u32_e64 v25, s[18:19], 0, -1, s[18:19]
	v_cmp_ne_u32_e64 s[18:19], 0, v4
	v_xor_b32_e32 v4, s19, v25
	v_and_b32_e32 v25, exec_hi, v4
	v_lshlrev_b32_e32 v4, 30, v5
	v_xor_b32_e32 v23, s18, v23
	v_cmp_gt_i64_e64 s[18:19], 0, v[3:4]
	v_not_b32_e32 v4, v4
	v_ashrrev_i32_e32 v4, 31, v4
	v_and_b32_e32 v23, exec_lo, v23
	v_xor_b32_e32 v27, s19, v4
	v_xor_b32_e32 v4, s18, v4
	v_and_b32_e32 v23, v23, v4
	v_lshlrev_b32_e32 v4, 29, v5
	v_cmp_gt_i64_e64 s[18:19], 0, v[3:4]
	v_not_b32_e32 v4, v4
	v_ashrrev_i32_e32 v4, 31, v4
	v_and_b32_e32 v25, v25, v27
	v_xor_b32_e32 v27, s19, v4
	v_xor_b32_e32 v4, s18, v4
	v_and_b32_e32 v23, v23, v4
	v_lshlrev_b32_e32 v4, 28, v5
	v_cmp_gt_i64_e64 s[18:19], 0, v[3:4]
	v_not_b32_e32 v4, v4
	v_ashrrev_i32_e32 v4, 31, v4
	v_and_b32_e32 v25, v25, v27
	;; [unrolled: 8-line block ×5, first 2 shown]
	v_xor_b32_e32 v27, s19, v4
	v_xor_b32_e32 v4, s18, v4
	v_and_b32_e32 v23, v23, v4
	v_lshlrev_b32_e32 v4, 24, v5
	v_cmp_gt_i64_e64 s[18:19], 0, v[3:4]
	v_not_b32_e32 v3, v4
	v_ashrrev_i32_e32 v3, 31, v3
	v_xor_b32_e32 v4, s19, v3
	v_xor_b32_e32 v3, s18, v3
	v_and_b32_e32 v25, v25, v27
	v_and_b32_e32 v3, v23, v3
	v_mul_u32_u24_e32 v24, 36, v5
	v_and_b32_e32 v4, v25, v4
	v_mbcnt_lo_u32_b32 v5, v3, 0
	v_mbcnt_hi_u32_b32 v23, v4, v5
	v_cmp_ne_u64_e64 s[18:19], 0, v[3:4]
	v_cmp_eq_u32_e64 s[20:21], 0, v23
	s_and_b64 s[20:21], s[18:19], s[20:21]
	v_add_u32_e32 v35, v29, v24
	; wave barrier
	s_and_saveexec_b64 s[18:19], s[20:21]
	s_cbranch_execz .LBB603_25
; %bb.24:
	v_bcnt_u32_b32 v3, v3, 0
	v_bcnt_u32_b32 v3, v4, v3
	s_waitcnt lgkmcnt(0)
	v_add_u32_e32 v3, v22, v3
	ds_write_b32 v35, v3 offset:32
.LBB603_25:
	s_or_b64 exec, exec, s[18:19]
	v_xor_b32_e32 v14, 0xffffff80, v14
	v_lshrrev_b32_sdwa v3, s44, v14 dst_sel:DWORD dst_unused:UNUSED_PAD src0_sel:DWORD src1_sel:BYTE_0
	v_and_b32_e32 v5, s53, v3
	v_and_b32_e32 v4, 1, v5
	v_add_co_u32_e64 v25, s[18:19], -1, v4
	v_addc_co_u32_e64 v30, s[18:19], 0, -1, s[18:19]
	v_cmp_ne_u32_e64 s[18:19], 0, v4
	v_mad_u32_u24 v3, v5, 36, v29
	v_xor_b32_e32 v4, s19, v30
	; wave barrier
	ds_read_b32 v24, v3 offset:32
	v_mov_b32_e32 v3, 0
	v_and_b32_e32 v30, exec_hi, v4
	v_lshlrev_b32_e32 v4, 30, v5
	v_xor_b32_e32 v25, s18, v25
	v_cmp_gt_i64_e64 s[18:19], 0, v[3:4]
	v_not_b32_e32 v4, v4
	v_ashrrev_i32_e32 v4, 31, v4
	v_and_b32_e32 v25, exec_lo, v25
	v_xor_b32_e32 v33, s19, v4
	v_xor_b32_e32 v4, s18, v4
	v_and_b32_e32 v25, v25, v4
	v_lshlrev_b32_e32 v4, 29, v5
	v_cmp_gt_i64_e64 s[18:19], 0, v[3:4]
	v_not_b32_e32 v4, v4
	v_ashrrev_i32_e32 v4, 31, v4
	v_and_b32_e32 v30, v30, v33
	v_xor_b32_e32 v33, s19, v4
	v_xor_b32_e32 v4, s18, v4
	v_and_b32_e32 v25, v25, v4
	v_lshlrev_b32_e32 v4, 28, v5
	v_cmp_gt_i64_e64 s[18:19], 0, v[3:4]
	v_not_b32_e32 v4, v4
	v_ashrrev_i32_e32 v4, 31, v4
	v_and_b32_e32 v30, v30, v33
	;; [unrolled: 8-line block ×5, first 2 shown]
	v_xor_b32_e32 v33, s19, v4
	v_xor_b32_e32 v4, s18, v4
	v_and_b32_e32 v25, v25, v4
	v_lshlrev_b32_e32 v4, 24, v5
	v_cmp_gt_i64_e64 s[18:19], 0, v[3:4]
	v_not_b32_e32 v4, v4
	v_ashrrev_i32_e32 v4, 31, v4
	v_mul_u32_u24_e32 v27, 36, v5
	v_xor_b32_e32 v5, s19, v4
	v_xor_b32_e32 v4, s18, v4
	v_and_b32_e32 v30, v30, v33
	v_and_b32_e32 v4, v25, v4
	;; [unrolled: 1-line block ×3, first 2 shown]
	v_mbcnt_lo_u32_b32 v25, v4, 0
	v_mbcnt_hi_u32_b32 v25, v5, v25
	v_cmp_ne_u64_e64 s[18:19], 0, v[4:5]
	v_cmp_eq_u32_e64 s[20:21], 0, v25
	s_and_b64 s[20:21], s[18:19], s[20:21]
	v_add_u32_e32 v36, v29, v27
	; wave barrier
	s_and_saveexec_b64 s[18:19], s[20:21]
	s_cbranch_execz .LBB603_27
; %bb.26:
	v_bcnt_u32_b32 v4, v4, 0
	v_bcnt_u32_b32 v4, v5, v4
	s_waitcnt lgkmcnt(0)
	v_add_u32_e32 v4, v24, v4
	ds_write_b32 v36, v4 offset:32
.LBB603_27:
	s_or_b64 exec, exec, s[18:19]
	v_xor_b32_e32 v38, 0xffffff80, v6
	v_lshrrev_b32_sdwa v4, s44, v38 dst_sel:DWORD dst_unused:UNUSED_PAD src0_sel:DWORD src1_sel:BYTE_0
	v_and_b32_e32 v5, s53, v4
	v_mad_u32_u24 v4, v5, 36, v29
	; wave barrier
	ds_read_b32 v27, v4 offset:32
	v_and_b32_e32 v4, 1, v5
	v_add_co_u32_e64 v30, s[18:19], -1, v4
	v_addc_co_u32_e64 v33, s[18:19], 0, -1, s[18:19]
	v_cmp_ne_u32_e64 s[18:19], 0, v4
	v_xor_b32_e32 v4, s19, v33
	v_and_b32_e32 v33, exec_hi, v4
	v_lshlrev_b32_e32 v4, 30, v5
	v_xor_b32_e32 v30, s18, v30
	v_cmp_gt_i64_e64 s[18:19], 0, v[3:4]
	v_not_b32_e32 v4, v4
	v_ashrrev_i32_e32 v4, 31, v4
	v_and_b32_e32 v30, exec_lo, v30
	v_xor_b32_e32 v34, s19, v4
	v_xor_b32_e32 v4, s18, v4
	v_and_b32_e32 v30, v30, v4
	v_lshlrev_b32_e32 v4, 29, v5
	v_cmp_gt_i64_e64 s[18:19], 0, v[3:4]
	v_not_b32_e32 v4, v4
	v_ashrrev_i32_e32 v4, 31, v4
	v_and_b32_e32 v33, v33, v34
	v_xor_b32_e32 v34, s19, v4
	v_xor_b32_e32 v4, s18, v4
	v_and_b32_e32 v30, v30, v4
	v_lshlrev_b32_e32 v4, 28, v5
	v_cmp_gt_i64_e64 s[18:19], 0, v[3:4]
	v_not_b32_e32 v4, v4
	v_ashrrev_i32_e32 v4, 31, v4
	v_and_b32_e32 v33, v33, v34
	;; [unrolled: 8-line block ×5, first 2 shown]
	v_xor_b32_e32 v34, s19, v4
	v_xor_b32_e32 v4, s18, v4
	v_and_b32_e32 v30, v30, v4
	v_lshlrev_b32_e32 v4, 24, v5
	v_cmp_gt_i64_e64 s[18:19], 0, v[3:4]
	v_not_b32_e32 v3, v4
	v_ashrrev_i32_e32 v3, 31, v3
	v_xor_b32_e32 v4, s19, v3
	v_xor_b32_e32 v3, s18, v3
	v_and_b32_e32 v33, v33, v34
	v_and_b32_e32 v3, v30, v3
	v_mul_u32_u24_e32 v6, 36, v5
	v_and_b32_e32 v4, v33, v4
	v_mbcnt_lo_u32_b32 v5, v3, 0
	v_mbcnt_hi_u32_b32 v30, v4, v5
	v_cmp_ne_u64_e64 s[18:19], 0, v[3:4]
	v_cmp_eq_u32_e64 s[20:21], 0, v30
	s_and_b64 s[20:21], s[18:19], s[20:21]
	v_add_u32_e32 v29, v29, v6
	; wave barrier
	s_and_saveexec_b64 s[18:19], s[20:21]
	s_cbranch_execz .LBB603_29
; %bb.28:
	v_bcnt_u32_b32 v3, v3, 0
	v_bcnt_u32_b32 v3, v4, v3
	s_waitcnt lgkmcnt(0)
	v_add_u32_e32 v3, v27, v3
	ds_write_b32 v29, v3 offset:32
.LBB603_29:
	s_or_b64 exec, exec, s[18:19]
	; wave barrier
	s_waitcnt lgkmcnt(0)
	s_barrier
	ds_read2_b32 v[5:6], v12 offset0:8 offset1:9
	ds_read2_b32 v[3:4], v12 offset0:10 offset1:11
	ds_read_b32 v33, v12 offset:48
	v_min_u32_e32 v8, 0x1c0, v8
	v_or_b32_e32 v8, 63, v8
	s_waitcnt lgkmcnt(1)
	v_add3_u32 v34, v6, v5, v3
	s_waitcnt lgkmcnt(0)
	v_add3_u32 v33, v34, v4, v33
	v_and_b32_e32 v34, 15, v7
	v_cmp_ne_u32_e64 s[18:19], 0, v34
	v_mov_b32_dpp v37, v33 row_shr:1 row_mask:0xf bank_mask:0xf
	v_cndmask_b32_e64 v37, 0, v37, s[18:19]
	v_add_u32_e32 v33, v37, v33
	v_cmp_lt_u32_e64 s[18:19], 1, v34
	s_nop 0
	v_mov_b32_dpp v37, v33 row_shr:2 row_mask:0xf bank_mask:0xf
	v_cndmask_b32_e64 v37, 0, v37, s[18:19]
	v_add_u32_e32 v33, v33, v37
	v_cmp_lt_u32_e64 s[18:19], 3, v34
	s_nop 0
	v_mov_b32_dpp v37, v33 row_shr:4 row_mask:0xf bank_mask:0xf
	v_cndmask_b32_e64 v37, 0, v37, s[18:19]
	v_add_u32_e32 v33, v33, v37
	v_cmp_lt_u32_e64 s[18:19], 7, v34
	s_nop 0
	v_mov_b32_dpp v37, v33 row_shr:8 row_mask:0xf bank_mask:0xf
	v_cndmask_b32_e64 v34, 0, v37, s[18:19]
	v_add_u32_e32 v33, v33, v34
	v_bfe_i32 v37, v7, 4, 1
	v_cmp_lt_u32_e64 s[18:19], 31, v7
	v_mov_b32_dpp v34, v33 row_bcast:15 row_mask:0xf bank_mask:0xf
	v_and_b32_e32 v34, v37, v34
	v_add_u32_e32 v33, v33, v34
	s_nop 1
	v_mov_b32_dpp v34, v33 row_bcast:31 row_mask:0xf bank_mask:0xf
	v_cndmask_b32_e64 v34, 0, v34, s[18:19]
	v_add_u32_e32 v33, v33, v34
	v_lshrrev_b32_e32 v34, 6, v0
	v_cmp_eq_u32_e64 s[18:19], v0, v8
	s_and_saveexec_b64 s[20:21], s[18:19]
; %bb.30:
	v_lshlrev_b32_e32 v8, 2, v34
	ds_write_b32 v8, v33
; %bb.31:
	s_or_b64 exec, exec, s[20:21]
	v_cmp_gt_u32_e64 s[18:19], 8, v0
	s_waitcnt lgkmcnt(0)
	s_barrier
	s_and_saveexec_b64 s[24:25], s[18:19]
	s_cbranch_execz .LBB603_33
; %bb.32:
	v_lshlrev_b32_e32 v8, 2, v0
	ds_read_b32 v37, v8
	v_and_b32_e32 v39, 7, v7
	v_cmp_ne_u32_e64 s[18:19], 0, v39
	v_cmp_lt_u32_e64 s[20:21], 1, v39
	s_waitcnt lgkmcnt(0)
	v_mov_b32_dpp v40, v37 row_shr:1 row_mask:0xf bank_mask:0xf
	v_cndmask_b32_e64 v40, 0, v40, s[18:19]
	v_add_u32_e32 v37, v40, v37
	v_cmp_lt_u32_e64 s[18:19], 3, v39
	s_nop 0
	v_mov_b32_dpp v40, v37 row_shr:2 row_mask:0xf bank_mask:0xf
	v_cndmask_b32_e64 v40, 0, v40, s[20:21]
	v_add_u32_e32 v37, v37, v40
	s_nop 1
	v_mov_b32_dpp v40, v37 row_shr:4 row_mask:0xf bank_mask:0xf
	v_cndmask_b32_e64 v39, 0, v40, s[18:19]
	v_add_u32_e32 v37, v37, v39
	ds_write_b32 v8, v37
.LBB603_33:
	s_or_b64 exec, exec, s[24:25]
	v_cmp_lt_u32_e64 s[18:19], 63, v0
	v_mov_b32_e32 v8, 0
	s_waitcnt lgkmcnt(0)
	s_barrier
	s_and_saveexec_b64 s[20:21], s[18:19]
; %bb.34:
	v_lshl_add_u32 v8, v34, 2, -4
	ds_read_b32 v8, v8
; %bb.35:
	s_or_b64 exec, exec, s[20:21]
	v_subrev_co_u32_e64 v34, s[18:19], 1, v7
	v_and_b32_e32 v37, 64, v7
	v_cmp_lt_i32_e64 s[20:21], v34, v37
	v_cndmask_b32_e64 v7, v34, v7, s[20:21]
	s_waitcnt lgkmcnt(0)
	v_add_u32_e32 v33, v8, v33
	v_lshlrev_b32_e32 v7, 2, v7
	ds_bpermute_b32 v7, v7, v33
	s_movk_i32 s24, 0x100
	v_cmp_gt_u32_e64 s[20:21], s24, v0
	s_waitcnt lgkmcnt(0)
	v_cndmask_b32_e64 v7, v7, v8, s[18:19]
	v_cndmask_b32_e64 v7, v7, 0, s[22:23]
	v_add_u32_e32 v5, v7, v5
	v_add_u32_e32 v6, v5, v6
	;; [unrolled: 1-line block ×4, first 2 shown]
	ds_write2_b32 v12, v7, v5 offset0:8 offset1:9
	ds_write2_b32 v12, v6, v3 offset0:10 offset1:11
	ds_write_b32 v12, v4 offset:48
	s_waitcnt lgkmcnt(0)
	s_barrier
	ds_read_b32 v3, v16 offset:32
	ds_read_b32 v33, v28 offset:32
	;; [unrolled: 1-line block ×6, first 2 shown]
	s_movk_i32 s18, 0xff
	v_cmp_lt_u32_e64 s[18:19], s18, v0
                                        ; implicit-def: $vgpr28
                                        ; implicit-def: $vgpr29
	s_and_saveexec_b64 s[46:47], s[20:21]
	s_cbranch_execz .LBB603_39
; %bb.36:
	v_mul_u32_u24_e32 v4, 36, v0
	ds_read_b32 v28, v4 offset:32
	v_add_u32_e32 v5, 1, v0
	v_cmp_ne_u32_e64 s[24:25], s24, v5
	v_mov_b32_e32 v4, 0xc00
	s_and_saveexec_b64 s[48:49], s[24:25]
; %bb.37:
	v_mul_u32_u24_e32 v4, 36, v5
	ds_read_b32 v4, v4 offset:32
; %bb.38:
	s_or_b64 exec, exec, s[48:49]
	s_waitcnt lgkmcnt(0)
	v_sub_u32_e32 v29, v4, v28
.LBB603_39:
	s_or_b64 exec, exec, s[46:47]
	s_waitcnt lgkmcnt(5)
	v_add_u32_e32 v32, v3, v13
	s_waitcnt lgkmcnt(3)
	v_add3_u32 v4, v21, v20, v34
	v_add3_u32 v3, v19, v18, v33
	s_waitcnt lgkmcnt(2)
	v_add3_u32 v5, v23, v22, v35
	s_waitcnt lgkmcnt(1)
	;; [unrolled: 2-line block ×3, first 2 shown]
	v_add3_u32 v7, v30, v27, v37
	s_barrier
	ds_write_b8 v32, v11 offset:1024
	ds_write_b8 v3, v15 offset:1024
	;; [unrolled: 1-line block ×6, first 2 shown]
	v_mov_b32_e32 v4, 0
	v_lshlrev_b32_e32 v26, 2, v0
	s_and_saveexec_b64 s[24:25], s[20:21]
	s_cbranch_execz .LBB603_49
; %bb.40:
	v_lshl_add_u32 v3, s33, 8, v0
	v_lshlrev_b64 v[5:6], 2, v[3:4]
	v_mov_b32_e32 v11, s35
	v_add_co_u32_e64 v5, s[20:21], s34, v5
	v_addc_co_u32_e64 v6, s[20:21], v11, v6, s[20:21]
	v_or_b32_e32 v3, 2.0, v29
	s_mov_b64 s[46:47], 0
	s_brev_b32 s54, -4
	s_mov_b32 s55, s33
	v_mov_b32_e32 v12, 0
	global_store_dword v[5:6], v3, off
                                        ; implicit-def: $sgpr20_sgpr21
	s_branch .LBB603_43
.LBB603_41:                             ;   in Loop: Header=BB603_43 Depth=1
	s_or_b64 exec, exec, s[50:51]
.LBB603_42:                             ;   in Loop: Header=BB603_43 Depth=1
	s_or_b64 exec, exec, s[48:49]
	v_and_b32_e32 v7, 0x3fffffff, v3
	v_add_u32_e32 v12, v7, v12
	v_cmp_gt_i32_e64 s[20:21], -2.0, v3
	s_and_b64 s[48:49], exec, s[20:21]
	s_or_b64 s[46:47], s[48:49], s[46:47]
	s_andn2_b64 exec, exec, s[46:47]
	s_cbranch_execz .LBB603_48
.LBB603_43:                             ; =>This Loop Header: Depth=1
                                        ;     Child Loop BB603_46 Depth 2
	s_or_b64 s[20:21], s[20:21], exec
	s_cmp_eq_u32 s55, 0
	s_cbranch_scc1 .LBB603_47
; %bb.44:                               ;   in Loop: Header=BB603_43 Depth=1
	s_add_i32 s55, s55, -1
	v_lshl_or_b32 v3, s55, 8, v0
	v_lshlrev_b64 v[7:8], 2, v[3:4]
	v_add_co_u32_e64 v7, s[20:21], s34, v7
	v_addc_co_u32_e64 v8, s[20:21], v11, v8, s[20:21]
	global_load_dword v3, v[7:8], off glc
	s_waitcnt vmcnt(0)
	v_cmp_gt_u32_e64 s[20:21], 2.0, v3
	s_and_saveexec_b64 s[48:49], s[20:21]
	s_cbranch_execz .LBB603_42
; %bb.45:                               ;   in Loop: Header=BB603_43 Depth=1
	s_mov_b64 s[50:51], 0
.LBB603_46:                             ;   Parent Loop BB603_43 Depth=1
                                        ; =>  This Inner Loop Header: Depth=2
	global_load_dword v3, v[7:8], off glc
	s_waitcnt vmcnt(0)
	v_cmp_lt_u32_e64 s[20:21], s54, v3
	s_or_b64 s[50:51], s[20:21], s[50:51]
	s_andn2_b64 exec, exec, s[50:51]
	s_cbranch_execnz .LBB603_46
	s_branch .LBB603_41
.LBB603_47:                             ;   in Loop: Header=BB603_43 Depth=1
                                        ; implicit-def: $sgpr55
	s_and_b64 s[48:49], exec, s[20:21]
	s_or_b64 s[46:47], s[48:49], s[46:47]
	s_andn2_b64 exec, exec, s[46:47]
	s_cbranch_execnz .LBB603_43
.LBB603_48:
	s_or_b64 exec, exec, s[46:47]
	v_add_u32_e32 v3, v12, v29
	v_or_b32_e32 v3, 0x80000000, v3
	global_store_dword v[5:6], v3, off
	global_load_dword v3, v26, s[28:29]
	v_sub_u32_e32 v4, v12, v28
	s_waitcnt vmcnt(0)
	v_add_u32_e32 v3, v4, v3
	ds_write_b32 v26, v3
.LBB603_49:
	s_or_b64 exec, exec, s[24:25]
	v_cmp_gt_u32_e64 s[20:21], s7, v0
	s_waitcnt lgkmcnt(0)
	s_barrier
	s_and_saveexec_b64 s[24:25], s[20:21]
	s_cbranch_execz .LBB603_51
; %bb.50:
	ds_read_u8 v3, v0 offset:1024
	s_waitcnt lgkmcnt(0)
	v_lshrrev_b32_sdwa v4, s44, v3 dst_sel:DWORD dst_unused:UNUSED_PAD src0_sel:DWORD src1_sel:BYTE_0
	v_and_b32_e32 v4, s53, v4
	v_lshlrev_b32_e32 v5, 2, v4
	ds_read_b32 v5, v5
	v_xor_b32_e32 v3, 0x80, v3
	buffer_store_dword v4, off, s[0:3], 0
	s_waitcnt lgkmcnt(0)
	v_add_u32_e32 v5, v5, v0
	global_store_byte v5, v3, s[38:39]
.LBB603_51:
	s_or_b64 exec, exec, s[24:25]
	v_or_b32_e32 v3, 0x200, v0
	v_cmp_gt_u32_e64 s[20:21], s7, v3
	s_and_saveexec_b64 s[24:25], s[20:21]
	s_cbranch_execz .LBB603_53
; %bb.52:
	ds_read_u8 v4, v0 offset:1536
	s_waitcnt lgkmcnt(0)
	v_lshrrev_b32_sdwa v5, s44, v4 dst_sel:DWORD dst_unused:UNUSED_PAD src0_sel:DWORD src1_sel:BYTE_0
	v_and_b32_e32 v5, s53, v5
	v_lshlrev_b32_e32 v6, 2, v5
	ds_read_b32 v6, v6
	v_xor_b32_e32 v4, 0x80, v4
	buffer_store_dword v5, off, s[0:3], 0 offset:4
	s_waitcnt lgkmcnt(0)
	v_add_u32_e32 v3, v6, v3
	global_store_byte v3, v4, s[38:39]
.LBB603_53:
	s_or_b64 exec, exec, s[24:25]
	v_or_b32_e32 v3, 0x400, v0
	v_cmp_gt_u32_e64 s[20:21], s7, v3
	s_and_saveexec_b64 s[24:25], s[20:21]
	s_cbranch_execz .LBB603_55
; %bb.54:
	ds_read_u8 v4, v0 offset:2048
	s_waitcnt lgkmcnt(0)
	v_lshrrev_b32_sdwa v5, s44, v4 dst_sel:DWORD dst_unused:UNUSED_PAD src0_sel:DWORD src1_sel:BYTE_0
	v_and_b32_e32 v5, s53, v5
	v_lshlrev_b32_e32 v6, 2, v5
	ds_read_b32 v6, v6
	v_xor_b32_e32 v4, 0x80, v4
	buffer_store_dword v5, off, s[0:3], 0 offset:8
	s_waitcnt lgkmcnt(0)
	v_add_u32_e32 v3, v6, v3
	global_store_byte v3, v4, s[38:39]
.LBB603_55:
	;; [unrolled: 18-line block ×5, first 2 shown]
	s_or_b64 exec, exec, s[24:25]
	s_lshl_b64 s[20:21], s[26:27], 3
	s_add_u32 s20, s40, s20
	s_addc_u32 s21, s41, s21
	v_lshlrev_b32_e32 v3, 3, v10
	v_mov_b32_e32 v4, s21
	v_add_co_u32_e64 v3, s[20:21], s20, v3
	v_addc_co_u32_e64 v4, s[20:21], 0, v4, s[20:21]
	v_lshlrev_b32_e32 v5, 3, v9
	v_add_co_u32_e64 v15, s[20:21], v3, v5
	v_addc_co_u32_e64 v16, s[20:21], 0, v4, s[20:21]
                                        ; implicit-def: $vgpr3_vgpr4
	s_and_saveexec_b64 s[20:21], vcc
	s_xor_b64 s[20:21], exec, s[20:21]
	s_cbranch_execz .LBB603_67
; %bb.62:
	global_load_dwordx2 v[3:4], v[15:16], off
	s_or_b64 exec, exec, s[20:21]
                                        ; implicit-def: $vgpr5_vgpr6
	s_and_saveexec_b64 s[20:21], s[8:9]
	s_cbranch_execnz .LBB603_68
.LBB603_63:
	s_or_b64 exec, exec, s[20:21]
                                        ; implicit-def: $vgpr7_vgpr8
	s_and_saveexec_b64 s[8:9], s[10:11]
	s_cbranch_execz .LBB603_69
.LBB603_64:
	global_load_dwordx2 v[7:8], v[15:16], off offset:1024
	s_or_b64 exec, exec, s[8:9]
                                        ; implicit-def: $vgpr9_vgpr10
	s_and_saveexec_b64 s[8:9], s[12:13]
	s_cbranch_execnz .LBB603_70
.LBB603_65:
	s_or_b64 exec, exec, s[8:9]
                                        ; implicit-def: $vgpr11_vgpr12
	s_and_saveexec_b64 s[8:9], s[14:15]
	s_cbranch_execz .LBB603_71
.LBB603_66:
	global_load_dwordx2 v[11:12], v[15:16], off offset:2048
	s_or_b64 exec, exec, s[8:9]
                                        ; implicit-def: $vgpr13_vgpr14
	s_and_saveexec_b64 s[8:9], s[16:17]
	s_cbranch_execnz .LBB603_72
	s_branch .LBB603_73
.LBB603_67:
	s_or_b64 exec, exec, s[20:21]
                                        ; implicit-def: $vgpr5_vgpr6
	s_and_saveexec_b64 s[20:21], s[8:9]
	s_cbranch_execz .LBB603_63
.LBB603_68:
	global_load_dwordx2 v[5:6], v[15:16], off offset:512
	s_or_b64 exec, exec, s[20:21]
                                        ; implicit-def: $vgpr7_vgpr8
	s_and_saveexec_b64 s[8:9], s[10:11]
	s_cbranch_execnz .LBB603_64
.LBB603_69:
	s_or_b64 exec, exec, s[8:9]
                                        ; implicit-def: $vgpr9_vgpr10
	s_and_saveexec_b64 s[8:9], s[12:13]
	s_cbranch_execz .LBB603_65
.LBB603_70:
	global_load_dwordx2 v[9:10], v[15:16], off offset:1536
	s_or_b64 exec, exec, s[8:9]
                                        ; implicit-def: $vgpr11_vgpr12
	s_and_saveexec_b64 s[8:9], s[14:15]
	s_cbranch_execnz .LBB603_66
.LBB603_71:
	s_or_b64 exec, exec, s[8:9]
                                        ; implicit-def: $vgpr13_vgpr14
	s_and_saveexec_b64 s[8:9], s[16:17]
	s_cbranch_execz .LBB603_73
.LBB603_72:
	global_load_dwordx2 v[13:14], v[15:16], off offset:2560
.LBB603_73:
	s_or_b64 exec, exec, s[8:9]
	v_lshlrev_b32_e32 v31, 3, v0
	v_add3_u32 v27, v30, v37, v27
	v_add3_u32 v24, v25, v36, v24
	;; [unrolled: 1-line block ×5, first 2 shown]
	s_mov_b32 s10, 0
	s_mov_b32 s11, 0
	v_mov_b32_e32 v16, 0
	s_movk_i32 s12, 0x200
	v_mov_b32_e32 v19, v0
	s_waitcnt vmcnt(0)
	s_barrier
	s_branch .LBB603_75
.LBB603_74:                             ;   in Loop: Header=BB603_75 Depth=1
	s_or_b64 exec, exec, s[8:9]
	s_addk_i32 s11, 0xfc00
	s_add_i32 s10, s10, 8
	s_cmpk_eq_i32 s11, 0xf400
	v_add_u32_e32 v19, 0x400, v19
	s_waitcnt vmcnt(0)
	s_barrier
	s_cbranch_scc1 .LBB603_79
.LBB603_75:                             ; =>This Inner Loop Header: Depth=1
	v_add_u32_e32 v15, s11, v32
	v_min_u32_e32 v15, 0x400, v15
	v_lshlrev_b32_e32 v15, 3, v15
	ds_write_b64 v15, v[3:4] offset:1024
	v_add_u32_e32 v15, s11, v18
	v_min_u32_e32 v15, 0x400, v15
	v_lshlrev_b32_e32 v15, 3, v15
	ds_write_b64 v15, v[5:6] offset:1024
	;; [unrolled: 4-line block ×5, first 2 shown]
	v_add_u32_e32 v15, s11, v27
	v_min_u32_e32 v15, 0x400, v15
	v_lshlrev_b32_e32 v15, 3, v15
	v_cmp_gt_u32_e32 vcc, s7, v19
	ds_write_b64 v15, v[13:14] offset:1024
	s_waitcnt lgkmcnt(0)
	s_barrier
	s_and_saveexec_b64 s[8:9], vcc
	s_cbranch_execz .LBB603_77
; %bb.76:                               ;   in Loop: Header=BB603_75 Depth=1
	v_mov_b32_e32 v15, s10
	buffer_load_dword v15, v15, s[0:3], 0 offen
	v_mov_b32_e32 v21, s43
	s_waitcnt vmcnt(0)
	v_lshlrev_b32_e32 v15, 2, v15
	ds_read_b32 v15, v15
	ds_read_b64 v[33:34], v31 offset:1024
	s_waitcnt lgkmcnt(1)
	v_add_u32_e32 v15, v19, v15
	v_lshlrev_b64 v[35:36], 3, v[15:16]
	v_add_co_u32_e32 v35, vcc, s42, v35
	v_addc_co_u32_e32 v36, vcc, v21, v36, vcc
	s_waitcnt lgkmcnt(0)
	global_store_dwordx2 v[35:36], v[33:34], off
.LBB603_77:                             ;   in Loop: Header=BB603_75 Depth=1
	s_or_b64 exec, exec, s[8:9]
	v_add_u32_e32 v15, 0x200, v19
	v_cmp_gt_u32_e32 vcc, s7, v15
	s_and_saveexec_b64 s[8:9], vcc
	s_cbranch_execz .LBB603_74
; %bb.78:                               ;   in Loop: Header=BB603_75 Depth=1
	v_mov_b32_e32 v15, s10
	buffer_load_dword v15, v15, s[0:3], 0 offen offset:4
	v_mov_b32_e32 v21, s43
	s_waitcnt vmcnt(0)
	v_lshlrev_b32_e32 v15, 2, v15
	ds_read_b32 v15, v15
	ds_read_b64 v[33:34], v31 offset:5120
	s_waitcnt lgkmcnt(1)
	v_add3_u32 v15, v19, v15, s12
	v_lshlrev_b64 v[35:36], 3, v[15:16]
	v_add_co_u32_e32 v35, vcc, s42, v35
	v_addc_co_u32_e32 v36, vcc, v21, v36, vcc
	s_waitcnt lgkmcnt(0)
	global_store_dwordx2 v[35:36], v[33:34], off
	s_branch .LBB603_74
.LBB603_79:
	s_add_i32 s52, s52, -1
	s_cmp_eq_u32 s33, s52
	s_cselect_b64 s[8:9], -1, 0
	s_xor_b64 s[10:11], s[18:19], -1
	s_and_b64 s[10:11], s[10:11], s[8:9]
	s_and_saveexec_b64 s[8:9], s[10:11]
	s_cbranch_execz .LBB603_81
; %bb.80:
	ds_read_b32 v3, v26
	s_waitcnt lgkmcnt(0)
	v_add3_u32 v3, v28, v29, v3
	global_store_dword v26, v3, s[30:31]
.LBB603_81:
	s_or_b64 exec, exec, s[8:9]
	s_mov_b64 s[8:9], 0
.LBB603_82:
	s_and_b64 vcc, exec, s[8:9]
	s_cbranch_vccz .LBB603_119
; %bb.83:
	s_add_u32 s7, s36, s26
	v_mbcnt_hi_u32_b32 v6, -1, v17
	s_addc_u32 s8, s37, 0
	v_and_b32_e32 v8, 63, v6
	v_and_b32_e32 v9, 0x1c0, v0
	v_mov_b32_e32 v3, s8
	v_add_co_u32_e32 v4, vcc, s7, v8
	v_mul_u32_u24_e32 v7, 6, v9
	v_addc_co_u32_e32 v3, vcc, 0, v3, vcc
	v_add_co_u32_e32 v4, vcc, v4, v7
	v_addc_co_u32_e32 v5, vcc, 0, v3, vcc
	global_load_ubyte v10, v[4:5], off
	s_load_dword s7, s[4:5], 0x64
	s_load_dword s14, s[4:5], 0x58
	s_add_u32 s4, s4, 0x58
	s_addc_u32 s5, s5, 0
	v_mov_b32_e32 v3, 0
	s_waitcnt lgkmcnt(0)
	s_lshr_b32 s7, s7, 16
	s_cmp_lt_u32 s6, s14
	s_cselect_b32 s6, 12, 18
	s_add_u32 s4, s4, s6
	s_addc_u32 s5, s5, 0
	global_load_ushort v11, v3, s[4:5]
	global_load_ubyte v13, v[4:5], off offset:64
	global_load_ubyte v16, v[4:5], off offset:128
	;; [unrolled: 1-line block ×5, first 2 shown]
	s_lshl_b32 s4, -1, s45
	s_not_b32 s15, s4
	v_mad_u32_u24 v1, v2, s7, v1
	s_mov_b32 s27, 0
	s_waitcnt vmcnt(6)
	v_xor_b32_e32 v10, 0x80, v10
	v_lshrrev_b32_e32 v4, s44, v10
	v_and_b32_e32 v14, s15, v4
	v_and_b32_e32 v5, 1, v14
	v_add_co_u32_e32 v12, vcc, -1, v5
	v_lshlrev_b32_e32 v4, 30, v14
	v_addc_co_u32_e64 v15, s[4:5], 0, -1, vcc
	v_cmp_ne_u32_e32 vcc, 0, v5
	v_cmp_gt_i64_e64 s[4:5], 0, v[3:4]
	v_not_b32_e32 v5, v4
	v_lshlrev_b32_e32 v4, 29, v14
	v_xor_b32_e32 v15, vcc_hi, v15
	v_ashrrev_i32_e32 v5, 31, v5
	v_xor_b32_e32 v12, vcc_lo, v12
	v_cmp_gt_i64_e32 vcc, 0, v[3:4]
	v_not_b32_e32 v17, v4
	v_lshlrev_b32_e32 v4, 28, v14
	v_and_b32_e32 v15, exec_hi, v15
	v_xor_b32_e32 v19, s5, v5
	v_and_b32_e32 v12, exec_lo, v12
	v_xor_b32_e32 v5, s4, v5
	v_ashrrev_i32_e32 v17, 31, v17
	v_cmp_gt_i64_e64 s[4:5], 0, v[3:4]
	v_not_b32_e32 v21, v4
	v_lshlrev_b32_e32 v4, 27, v14
	v_and_b32_e32 v15, v15, v19
	v_and_b32_e32 v5, v12, v5
	v_xor_b32_e32 v12, vcc_hi, v17
	v_xor_b32_e32 v17, vcc_lo, v17
	v_ashrrev_i32_e32 v19, 31, v21
	v_cmp_gt_i64_e32 vcc, 0, v[3:4]
	v_not_b32_e32 v21, v4
	v_lshlrev_b32_e32 v4, 26, v14
	v_and_b32_e32 v12, v15, v12
	v_and_b32_e32 v5, v5, v17
	v_xor_b32_e32 v15, s5, v19
	v_xor_b32_e32 v17, s4, v19
	v_ashrrev_i32_e32 v19, 31, v21
	v_cmp_gt_i64_e64 s[4:5], 0, v[3:4]
	v_not_b32_e32 v21, v4
	v_lshlrev_b32_e32 v4, 25, v14
	v_and_b32_e32 v12, v12, v15
	v_and_b32_e32 v5, v5, v17
	v_xor_b32_e32 v15, vcc_hi, v19
	v_xor_b32_e32 v17, vcc_lo, v19
	v_ashrrev_i32_e32 v19, 31, v21
	v_cmp_gt_i64_e32 vcc, 0, v[3:4]
	v_not_b32_e32 v21, v4
	v_lshlrev_b32_e32 v4, 24, v14
	v_and_b32_e32 v12, v12, v15
	v_and_b32_e32 v5, v5, v17
	v_xor_b32_e32 v15, s5, v19
	v_xor_b32_e32 v17, s4, v19
	v_ashrrev_i32_e32 v19, 31, v21
	v_cmp_gt_i64_e64 s[4:5], 0, v[3:4]
	v_not_b32_e32 v4, v4
	v_and_b32_e32 v12, v12, v15
	v_and_b32_e32 v5, v5, v17
	v_xor_b32_e32 v15, vcc_hi, v19
	v_xor_b32_e32 v17, vcc_lo, v19
	v_ashrrev_i32_e32 v4, 31, v4
	v_and_b32_e32 v12, v12, v15
	v_and_b32_e32 v15, v5, v17
	v_xor_b32_e32 v5, s5, v4
	v_xor_b32_e32 v4, s4, v4
	s_waitcnt vmcnt(5)
	v_mad_u64_u32 v[1:2], s[4:5], v1, v11, v[0:1]
	v_and_b32_e32 v4, v15, v4
	v_and_b32_e32 v5, v12, v5
	v_mbcnt_lo_u32_b32 v2, v4, 0
	v_lshrrev_b32_e32 v1, 4, v1
	v_mbcnt_hi_u32_b32 v11, v5, v2
	v_cmp_ne_u64_e32 vcc, 0, v[4:5]
	v_and_b32_e32 v25, 0xffffffc, v1
	v_mul_u32_u24_e32 v1, 36, v14
	v_cmp_eq_u32_e64 s[4:5], 0, v11
	v_mul_u32_u24_e32 v12, 20, v0
	s_and_b64 s[6:7], vcc, s[4:5]
	v_add_u32_e32 v14, v25, v1
	ds_write2_b32 v12, v3, v3 offset0:8 offset1:9
	ds_write2_b32 v12, v3, v3 offset0:10 offset1:11
	ds_write_b32 v12, v3 offset:48
	s_waitcnt vmcnt(0) lgkmcnt(0)
	s_barrier
	; wave barrier
	s_and_saveexec_b64 s[4:5], s[6:7]
; %bb.84:
	v_bcnt_u32_b32 v1, v4, 0
	v_bcnt_u32_b32 v1, v5, v1
	ds_write_b32 v14, v1 offset:32
; %bb.85:
	s_or_b64 exec, exec, s[4:5]
	v_xor_b32_e32 v5, 0xffffff80, v13
	v_lshrrev_b32_sdwa v1, s44, v5 dst_sel:DWORD dst_unused:UNUSED_PAD src0_sel:DWORD src1_sel:BYTE_0
	v_and_b32_e32 v1, s15, v1
	v_mad_u32_u24 v2, v1, 36, v25
	; wave barrier
	ds_read_b32 v13, v2 offset:32
	v_and_b32_e32 v2, 1, v1
	v_add_co_u32_e32 v4, vcc, -1, v2
	v_addc_co_u32_e64 v15, s[4:5], 0, -1, vcc
	v_cmp_ne_u32_e32 vcc, 0, v2
	v_xor_b32_e32 v4, vcc_lo, v4
	v_xor_b32_e32 v2, vcc_hi, v15
	v_and_b32_e32 v15, exec_lo, v4
	v_lshlrev_b32_e32 v4, 30, v1
	v_cmp_gt_i64_e32 vcc, 0, v[3:4]
	v_not_b32_e32 v4, v4
	v_ashrrev_i32_e32 v4, 31, v4
	v_xor_b32_e32 v19, vcc_hi, v4
	v_xor_b32_e32 v4, vcc_lo, v4
	v_and_b32_e32 v15, v15, v4
	v_lshlrev_b32_e32 v4, 29, v1
	v_cmp_gt_i64_e32 vcc, 0, v[3:4]
	v_not_b32_e32 v4, v4
	v_and_b32_e32 v2, exec_hi, v2
	v_ashrrev_i32_e32 v4, 31, v4
	v_and_b32_e32 v2, v2, v19
	v_xor_b32_e32 v19, vcc_hi, v4
	v_xor_b32_e32 v4, vcc_lo, v4
	v_and_b32_e32 v15, v15, v4
	v_lshlrev_b32_e32 v4, 28, v1
	v_cmp_gt_i64_e32 vcc, 0, v[3:4]
	v_not_b32_e32 v4, v4
	v_ashrrev_i32_e32 v4, 31, v4
	v_and_b32_e32 v2, v2, v19
	v_xor_b32_e32 v19, vcc_hi, v4
	v_xor_b32_e32 v4, vcc_lo, v4
	v_and_b32_e32 v15, v15, v4
	v_lshlrev_b32_e32 v4, 27, v1
	v_cmp_gt_i64_e32 vcc, 0, v[3:4]
	v_not_b32_e32 v4, v4
	;; [unrolled: 8-line block ×4, first 2 shown]
	v_ashrrev_i32_e32 v4, 31, v4
	v_and_b32_e32 v2, v2, v19
	v_xor_b32_e32 v19, vcc_hi, v4
	v_xor_b32_e32 v4, vcc_lo, v4
	v_and_b32_e32 v15, v15, v4
	v_lshlrev_b32_e32 v4, 24, v1
	v_mul_u32_u24_e32 v17, 36, v1
	v_cmp_gt_i64_e32 vcc, 0, v[3:4]
	v_not_b32_e32 v1, v4
	v_ashrrev_i32_e32 v1, 31, v1
	v_xor_b32_e32 v3, vcc_hi, v1
	v_xor_b32_e32 v1, vcc_lo, v1
	v_and_b32_e32 v2, v2, v19
	v_and_b32_e32 v1, v15, v1
	;; [unrolled: 1-line block ×3, first 2 shown]
	v_mbcnt_lo_u32_b32 v3, v1, 0
	v_mbcnt_hi_u32_b32 v15, v2, v3
	v_cmp_ne_u64_e32 vcc, 0, v[1:2]
	v_cmp_eq_u32_e64 s[4:5], 0, v15
	s_and_b64 s[6:7], vcc, s[4:5]
	v_add_u32_e32 v24, v25, v17
	; wave barrier
	s_and_saveexec_b64 s[4:5], s[6:7]
	s_cbranch_execz .LBB603_87
; %bb.86:
	v_bcnt_u32_b32 v1, v1, 0
	v_bcnt_u32_b32 v1, v2, v1
	s_waitcnt lgkmcnt(0)
	v_add_u32_e32 v1, v13, v1
	ds_write_b32 v24, v1 offset:32
.LBB603_87:
	s_or_b64 exec, exec, s[4:5]
	v_xor_b32_e32 v21, 0xffffff80, v16
	v_lshrrev_b32_sdwa v1, s44, v21 dst_sel:DWORD dst_unused:UNUSED_PAD src0_sel:DWORD src1_sel:BYTE_0
	v_and_b32_e32 v3, s15, v1
	v_and_b32_e32 v2, 1, v3
	v_add_co_u32_e32 v17, vcc, -1, v2
	v_addc_co_u32_e64 v19, s[4:5], 0, -1, vcc
	v_cmp_ne_u32_e32 vcc, 0, v2
	v_mad_u32_u24 v1, v3, 36, v25
	v_xor_b32_e32 v2, vcc_hi, v19
	; wave barrier
	ds_read_b32 v16, v1 offset:32
	v_mov_b32_e32 v1, 0
	v_and_b32_e32 v19, exec_hi, v2
	v_lshlrev_b32_e32 v2, 30, v3
	v_xor_b32_e32 v17, vcc_lo, v17
	v_cmp_gt_i64_e32 vcc, 0, v[1:2]
	v_not_b32_e32 v2, v2
	v_ashrrev_i32_e32 v2, 31, v2
	v_and_b32_e32 v17, exec_lo, v17
	v_xor_b32_e32 v22, vcc_hi, v2
	v_xor_b32_e32 v2, vcc_lo, v2
	v_and_b32_e32 v17, v17, v2
	v_lshlrev_b32_e32 v2, 29, v3
	v_cmp_gt_i64_e32 vcc, 0, v[1:2]
	v_not_b32_e32 v2, v2
	v_ashrrev_i32_e32 v2, 31, v2
	v_and_b32_e32 v19, v19, v22
	v_xor_b32_e32 v22, vcc_hi, v2
	v_xor_b32_e32 v2, vcc_lo, v2
	v_and_b32_e32 v17, v17, v2
	v_lshlrev_b32_e32 v2, 28, v3
	v_cmp_gt_i64_e32 vcc, 0, v[1:2]
	v_not_b32_e32 v2, v2
	v_ashrrev_i32_e32 v2, 31, v2
	v_and_b32_e32 v19, v19, v22
	;; [unrolled: 8-line block ×5, first 2 shown]
	v_xor_b32_e32 v22, vcc_hi, v2
	v_xor_b32_e32 v2, vcc_lo, v2
	v_and_b32_e32 v17, v17, v2
	v_lshlrev_b32_e32 v2, 24, v3
	v_cmp_gt_i64_e32 vcc, 0, v[1:2]
	v_not_b32_e32 v2, v2
	v_ashrrev_i32_e32 v2, 31, v2
	v_mul_u32_u24_e32 v4, 36, v3
	v_xor_b32_e32 v3, vcc_hi, v2
	v_xor_b32_e32 v2, vcc_lo, v2
	v_and_b32_e32 v19, v19, v22
	v_and_b32_e32 v2, v17, v2
	;; [unrolled: 1-line block ×3, first 2 shown]
	v_mbcnt_lo_u32_b32 v17, v2, 0
	v_mbcnt_hi_u32_b32 v17, v3, v17
	v_cmp_ne_u64_e32 vcc, 0, v[2:3]
	v_cmp_eq_u32_e64 s[4:5], 0, v17
	s_and_b64 s[6:7], vcc, s[4:5]
	v_add_u32_e32 v28, v25, v4
	; wave barrier
	s_and_saveexec_b64 s[4:5], s[6:7]
	s_cbranch_execz .LBB603_89
; %bb.88:
	v_bcnt_u32_b32 v2, v2, 0
	v_bcnt_u32_b32 v2, v3, v2
	s_waitcnt lgkmcnt(0)
	v_add_u32_e32 v2, v16, v2
	ds_write_b32 v28, v2 offset:32
.LBB603_89:
	s_or_b64 exec, exec, s[4:5]
	v_xor_b32_e32 v26, 0xffffff80, v18
	v_lshrrev_b32_sdwa v2, s44, v26 dst_sel:DWORD dst_unused:UNUSED_PAD src0_sel:DWORD src1_sel:BYTE_0
	v_and_b32_e32 v3, s15, v2
	v_mad_u32_u24 v2, v3, 36, v25
	; wave barrier
	ds_read_b32 v18, v2 offset:32
	v_and_b32_e32 v2, 1, v3
	v_add_co_u32_e32 v19, vcc, -1, v2
	v_addc_co_u32_e64 v22, s[4:5], 0, -1, vcc
	v_cmp_ne_u32_e32 vcc, 0, v2
	v_xor_b32_e32 v2, vcc_hi, v22
	v_and_b32_e32 v22, exec_hi, v2
	v_lshlrev_b32_e32 v2, 30, v3
	v_xor_b32_e32 v19, vcc_lo, v19
	v_cmp_gt_i64_e32 vcc, 0, v[1:2]
	v_not_b32_e32 v2, v2
	v_ashrrev_i32_e32 v2, 31, v2
	v_and_b32_e32 v19, exec_lo, v19
	v_xor_b32_e32 v27, vcc_hi, v2
	v_xor_b32_e32 v2, vcc_lo, v2
	v_and_b32_e32 v19, v19, v2
	v_lshlrev_b32_e32 v2, 29, v3
	v_cmp_gt_i64_e32 vcc, 0, v[1:2]
	v_not_b32_e32 v2, v2
	v_ashrrev_i32_e32 v2, 31, v2
	v_and_b32_e32 v22, v22, v27
	v_xor_b32_e32 v27, vcc_hi, v2
	v_xor_b32_e32 v2, vcc_lo, v2
	v_and_b32_e32 v19, v19, v2
	v_lshlrev_b32_e32 v2, 28, v3
	v_cmp_gt_i64_e32 vcc, 0, v[1:2]
	v_not_b32_e32 v2, v2
	v_ashrrev_i32_e32 v2, 31, v2
	v_and_b32_e32 v22, v22, v27
	;; [unrolled: 8-line block ×5, first 2 shown]
	v_xor_b32_e32 v27, vcc_hi, v2
	v_xor_b32_e32 v2, vcc_lo, v2
	v_and_b32_e32 v19, v19, v2
	v_lshlrev_b32_e32 v2, 24, v3
	v_cmp_gt_i64_e32 vcc, 0, v[1:2]
	v_not_b32_e32 v1, v2
	v_ashrrev_i32_e32 v1, 31, v1
	v_xor_b32_e32 v2, vcc_hi, v1
	v_xor_b32_e32 v1, vcc_lo, v1
	v_and_b32_e32 v22, v22, v27
	v_and_b32_e32 v1, v19, v1
	v_mul_u32_u24_e32 v4, 36, v3
	v_and_b32_e32 v2, v22, v2
	v_mbcnt_lo_u32_b32 v3, v1, 0
	v_mbcnt_hi_u32_b32 v19, v2, v3
	v_cmp_ne_u64_e32 vcc, 0, v[1:2]
	v_cmp_eq_u32_e64 s[4:5], 0, v19
	s_and_b64 s[6:7], vcc, s[4:5]
	v_add_u32_e32 v29, v25, v4
	; wave barrier
	s_and_saveexec_b64 s[4:5], s[6:7]
	s_cbranch_execz .LBB603_91
; %bb.90:
	v_bcnt_u32_b32 v1, v1, 0
	v_bcnt_u32_b32 v1, v2, v1
	s_waitcnt lgkmcnt(0)
	v_add_u32_e32 v1, v18, v1
	ds_write_b32 v29, v1 offset:32
.LBB603_91:
	s_or_b64 exec, exec, s[4:5]
	v_xor_b32_e32 v30, 0xffffff80, v20
	v_lshrrev_b32_sdwa v1, s44, v30 dst_sel:DWORD dst_unused:UNUSED_PAD src0_sel:DWORD src1_sel:BYTE_0
	v_and_b32_e32 v3, s15, v1
	v_and_b32_e32 v2, 1, v3
	v_add_co_u32_e32 v22, vcc, -1, v2
	v_addc_co_u32_e64 v27, s[4:5], 0, -1, vcc
	v_cmp_ne_u32_e32 vcc, 0, v2
	v_mad_u32_u24 v1, v3, 36, v25
	v_xor_b32_e32 v2, vcc_hi, v27
	; wave barrier
	ds_read_b32 v20, v1 offset:32
	v_mov_b32_e32 v1, 0
	v_and_b32_e32 v27, exec_hi, v2
	v_lshlrev_b32_e32 v2, 30, v3
	v_xor_b32_e32 v22, vcc_lo, v22
	v_cmp_gt_i64_e32 vcc, 0, v[1:2]
	v_not_b32_e32 v2, v2
	v_ashrrev_i32_e32 v2, 31, v2
	v_and_b32_e32 v22, exec_lo, v22
	v_xor_b32_e32 v31, vcc_hi, v2
	v_xor_b32_e32 v2, vcc_lo, v2
	v_and_b32_e32 v22, v22, v2
	v_lshlrev_b32_e32 v2, 29, v3
	v_cmp_gt_i64_e32 vcc, 0, v[1:2]
	v_not_b32_e32 v2, v2
	v_ashrrev_i32_e32 v2, 31, v2
	v_and_b32_e32 v27, v27, v31
	v_xor_b32_e32 v31, vcc_hi, v2
	v_xor_b32_e32 v2, vcc_lo, v2
	v_and_b32_e32 v22, v22, v2
	v_lshlrev_b32_e32 v2, 28, v3
	v_cmp_gt_i64_e32 vcc, 0, v[1:2]
	v_not_b32_e32 v2, v2
	v_ashrrev_i32_e32 v2, 31, v2
	v_and_b32_e32 v27, v27, v31
	;; [unrolled: 8-line block ×5, first 2 shown]
	v_xor_b32_e32 v31, vcc_hi, v2
	v_xor_b32_e32 v2, vcc_lo, v2
	v_and_b32_e32 v22, v22, v2
	v_lshlrev_b32_e32 v2, 24, v3
	v_cmp_gt_i64_e32 vcc, 0, v[1:2]
	v_not_b32_e32 v2, v2
	v_ashrrev_i32_e32 v2, 31, v2
	v_mul_u32_u24_e32 v4, 36, v3
	v_xor_b32_e32 v3, vcc_hi, v2
	v_xor_b32_e32 v2, vcc_lo, v2
	v_and_b32_e32 v27, v27, v31
	v_and_b32_e32 v2, v22, v2
	;; [unrolled: 1-line block ×3, first 2 shown]
	v_mbcnt_lo_u32_b32 v22, v2, 0
	v_mbcnt_hi_u32_b32 v22, v3, v22
	v_cmp_ne_u64_e32 vcc, 0, v[2:3]
	v_cmp_eq_u32_e64 s[4:5], 0, v22
	s_and_b64 s[6:7], vcc, s[4:5]
	v_add_u32_e32 v34, v25, v4
	; wave barrier
	s_and_saveexec_b64 s[4:5], s[6:7]
	s_cbranch_execz .LBB603_93
; %bb.92:
	v_bcnt_u32_b32 v2, v2, 0
	v_bcnt_u32_b32 v2, v3, v2
	s_waitcnt lgkmcnt(0)
	v_add_u32_e32 v2, v20, v2
	ds_write_b32 v34, v2 offset:32
.LBB603_93:
	s_or_b64 exec, exec, s[4:5]
	v_xor_b32_e32 v35, 0xffffff80, v23
	v_lshrrev_b32_sdwa v2, s44, v35 dst_sel:DWORD dst_unused:UNUSED_PAD src0_sel:DWORD src1_sel:BYTE_0
	v_and_b32_e32 v3, s15, v2
	v_mad_u32_u24 v2, v3, 36, v25
	; wave barrier
	ds_read_b32 v23, v2 offset:32
	v_and_b32_e32 v2, 1, v3
	v_add_co_u32_e32 v27, vcc, -1, v2
	v_addc_co_u32_e64 v31, s[4:5], 0, -1, vcc
	v_cmp_ne_u32_e32 vcc, 0, v2
	v_xor_b32_e32 v2, vcc_hi, v31
	v_and_b32_e32 v31, exec_hi, v2
	v_lshlrev_b32_e32 v2, 30, v3
	v_xor_b32_e32 v27, vcc_lo, v27
	v_cmp_gt_i64_e32 vcc, 0, v[1:2]
	v_not_b32_e32 v2, v2
	v_ashrrev_i32_e32 v2, 31, v2
	v_and_b32_e32 v27, exec_lo, v27
	v_xor_b32_e32 v32, vcc_hi, v2
	v_xor_b32_e32 v2, vcc_lo, v2
	v_and_b32_e32 v27, v27, v2
	v_lshlrev_b32_e32 v2, 29, v3
	v_cmp_gt_i64_e32 vcc, 0, v[1:2]
	v_not_b32_e32 v2, v2
	v_ashrrev_i32_e32 v2, 31, v2
	v_and_b32_e32 v31, v31, v32
	v_xor_b32_e32 v32, vcc_hi, v2
	v_xor_b32_e32 v2, vcc_lo, v2
	v_and_b32_e32 v27, v27, v2
	v_lshlrev_b32_e32 v2, 28, v3
	v_cmp_gt_i64_e32 vcc, 0, v[1:2]
	v_not_b32_e32 v2, v2
	v_ashrrev_i32_e32 v2, 31, v2
	v_and_b32_e32 v31, v31, v32
	;; [unrolled: 8-line block ×5, first 2 shown]
	v_xor_b32_e32 v32, vcc_hi, v2
	v_xor_b32_e32 v2, vcc_lo, v2
	v_and_b32_e32 v27, v27, v2
	v_lshlrev_b32_e32 v2, 24, v3
	v_cmp_gt_i64_e32 vcc, 0, v[1:2]
	v_not_b32_e32 v1, v2
	v_ashrrev_i32_e32 v1, 31, v1
	v_xor_b32_e32 v2, vcc_hi, v1
	v_xor_b32_e32 v1, vcc_lo, v1
	v_and_b32_e32 v31, v31, v32
	v_and_b32_e32 v1, v27, v1
	v_mul_u32_u24_e32 v4, 36, v3
	v_and_b32_e32 v2, v31, v2
	v_mbcnt_lo_u32_b32 v3, v1, 0
	v_mbcnt_hi_u32_b32 v27, v2, v3
	v_cmp_ne_u64_e32 vcc, 0, v[1:2]
	v_cmp_eq_u32_e64 s[4:5], 0, v27
	s_and_b64 s[6:7], vcc, s[4:5]
	v_add_u32_e32 v36, v25, v4
	; wave barrier
	s_and_saveexec_b64 s[4:5], s[6:7]
	s_cbranch_execz .LBB603_95
; %bb.94:
	v_bcnt_u32_b32 v1, v1, 0
	v_bcnt_u32_b32 v1, v2, v1
	s_waitcnt lgkmcnt(0)
	v_add_u32_e32 v1, v23, v1
	ds_write_b32 v36, v1 offset:32
.LBB603_95:
	s_or_b64 exec, exec, s[4:5]
	; wave barrier
	s_waitcnt lgkmcnt(0)
	s_barrier
	ds_read2_b32 v[3:4], v12 offset0:8 offset1:9
	ds_read2_b32 v[1:2], v12 offset0:10 offset1:11
	ds_read_b32 v25, v12 offset:48
	v_min_u32_e32 v9, 0x1c0, v9
	v_or_b32_e32 v9, 63, v9
	s_waitcnt lgkmcnt(1)
	v_add3_u32 v31, v4, v3, v1
	s_waitcnt lgkmcnt(0)
	v_add3_u32 v25, v31, v2, v25
	v_and_b32_e32 v31, 15, v6
	v_cmp_ne_u32_e32 vcc, 0, v31
	v_mov_b32_dpp v32, v25 row_shr:1 row_mask:0xf bank_mask:0xf
	v_cndmask_b32_e32 v32, 0, v32, vcc
	v_add_u32_e32 v25, v32, v25
	v_cmp_lt_u32_e32 vcc, 1, v31
	s_nop 0
	v_mov_b32_dpp v32, v25 row_shr:2 row_mask:0xf bank_mask:0xf
	v_cndmask_b32_e32 v32, 0, v32, vcc
	v_add_u32_e32 v25, v25, v32
	v_cmp_lt_u32_e32 vcc, 3, v31
	s_nop 0
	v_mov_b32_dpp v32, v25 row_shr:4 row_mask:0xf bank_mask:0xf
	v_cndmask_b32_e32 v32, 0, v32, vcc
	v_add_u32_e32 v25, v25, v32
	v_cmp_lt_u32_e32 vcc, 7, v31
	s_nop 0
	v_mov_b32_dpp v32, v25 row_shr:8 row_mask:0xf bank_mask:0xf
	v_cndmask_b32_e32 v31, 0, v32, vcc
	v_add_u32_e32 v25, v25, v31
	v_bfe_i32 v32, v6, 4, 1
	v_cmp_lt_u32_e32 vcc, 31, v6
	v_mov_b32_dpp v31, v25 row_bcast:15 row_mask:0xf bank_mask:0xf
	v_and_b32_e32 v31, v32, v31
	v_add_u32_e32 v25, v25, v31
	v_lshrrev_b32_e32 v32, 6, v0
	s_nop 0
	v_mov_b32_dpp v31, v25 row_bcast:31 row_mask:0xf bank_mask:0xf
	v_cndmask_b32_e32 v31, 0, v31, vcc
	v_add_u32_e32 v31, v25, v31
	v_cmp_eq_u32_e32 vcc, v0, v9
	s_and_saveexec_b64 s[4:5], vcc
; %bb.96:
	v_lshlrev_b32_e32 v9, 2, v32
	ds_write_b32 v9, v31
; %bb.97:
	s_or_b64 exec, exec, s[4:5]
	v_cmp_gt_u32_e32 vcc, 8, v0
	v_lshlrev_b32_e32 v25, 2, v0
	s_waitcnt lgkmcnt(0)
	s_barrier
	s_and_saveexec_b64 s[4:5], vcc
	s_cbranch_execz .LBB603_99
; %bb.98:
	ds_read_b32 v9, v25
	v_and_b32_e32 v33, 7, v6
	v_cmp_ne_u32_e32 vcc, 0, v33
	s_waitcnt lgkmcnt(0)
	v_mov_b32_dpp v37, v9 row_shr:1 row_mask:0xf bank_mask:0xf
	v_cndmask_b32_e32 v37, 0, v37, vcc
	v_add_u32_e32 v9, v37, v9
	v_cmp_lt_u32_e32 vcc, 1, v33
	s_nop 0
	v_mov_b32_dpp v37, v9 row_shr:2 row_mask:0xf bank_mask:0xf
	v_cndmask_b32_e32 v37, 0, v37, vcc
	v_add_u32_e32 v9, v9, v37
	v_cmp_lt_u32_e32 vcc, 3, v33
	s_nop 0
	v_mov_b32_dpp v37, v9 row_shr:4 row_mask:0xf bank_mask:0xf
	v_cndmask_b32_e32 v33, 0, v37, vcc
	v_add_u32_e32 v9, v9, v33
	ds_write_b32 v25, v9
.LBB603_99:
	s_or_b64 exec, exec, s[4:5]
	v_cmp_lt_u32_e32 vcc, 63, v0
	v_mov_b32_e32 v9, 0
	s_waitcnt lgkmcnt(0)
	s_barrier
	s_and_saveexec_b64 s[4:5], vcc
; %bb.100:
	v_lshl_add_u32 v9, v32, 2, -4
	ds_read_b32 v9, v9
; %bb.101:
	s_or_b64 exec, exec, s[4:5]
	v_subrev_co_u32_e32 v32, vcc, 1, v6
	v_and_b32_e32 v33, 64, v6
	v_cmp_lt_i32_e64 s[4:5], v32, v33
	v_cndmask_b32_e64 v6, v32, v6, s[4:5]
	s_waitcnt lgkmcnt(0)
	v_add_u32_e32 v31, v9, v31
	v_lshlrev_b32_e32 v6, 2, v6
	ds_bpermute_b32 v6, v6, v31
	s_movk_i32 s4, 0xff
	s_movk_i32 s6, 0x100
	s_waitcnt lgkmcnt(0)
	v_cndmask_b32_e32 v6, v6, v9, vcc
	v_cndmask_b32_e64 v6, v6, 0, s[22:23]
	v_add_u32_e32 v3, v6, v3
	v_add_u32_e32 v4, v3, v4
	;; [unrolled: 1-line block ×4, first 2 shown]
	ds_write2_b32 v12, v6, v3 offset0:8 offset1:9
	ds_write2_b32 v12, v4, v1 offset0:10 offset1:11
	ds_write_b32 v12, v2 offset:48
	s_waitcnt lgkmcnt(0)
	s_barrier
	ds_read_b32 v1, v14 offset:32
	ds_read_b32 v31, v24 offset:32
	;; [unrolled: 1-line block ×6, first 2 shown]
	v_cmp_lt_u32_e32 vcc, s4, v0
	v_cmp_gt_u32_e64 s[4:5], s6, v0
                                        ; implicit-def: $vgpr24
                                        ; implicit-def: $vgpr28
	s_and_saveexec_b64 s[8:9], s[4:5]
	s_cbranch_execz .LBB603_105
; %bb.102:
	v_mul_u32_u24_e32 v2, 36, v0
	ds_read_b32 v24, v2 offset:32
	v_add_u32_e32 v3, 1, v0
	v_cmp_ne_u32_e64 s[6:7], s6, v3
	v_mov_b32_e32 v2, 0xc00
	s_and_saveexec_b64 s[10:11], s[6:7]
; %bb.103:
	v_mul_u32_u24_e32 v2, 36, v3
	ds_read_b32 v2, v2 offset:32
; %bb.104:
	s_or_b64 exec, exec, s[10:11]
	s_waitcnt lgkmcnt(0)
	v_sub_u32_e32 v28, v2, v24
.LBB603_105:
	s_or_b64 exec, exec, s[8:9]
	s_waitcnt lgkmcnt(5)
	v_add_u32_e32 v29, v1, v11
	s_waitcnt lgkmcnt(3)
	v_add3_u32 v2, v17, v16, v32
	v_add3_u32 v1, v15, v13, v31
	s_waitcnt lgkmcnt(2)
	v_add3_u32 v3, v19, v18, v33
	s_waitcnt lgkmcnt(1)
	;; [unrolled: 2-line block ×3, first 2 shown]
	v_add3_u32 v6, v27, v23, v14
	s_barrier
	ds_write_b8 v29, v10 offset:1024
	ds_write_b8 v1, v5 offset:1024
	;; [unrolled: 1-line block ×6, first 2 shown]
	v_mov_b32_e32 v2, 0
	s_and_saveexec_b64 s[6:7], s[4:5]
	s_cbranch_execz .LBB603_115
; %bb.106:
	v_lshl_add_u32 v1, s33, 8, v0
	v_lshlrev_b64 v[3:4], 2, v[1:2]
	v_mov_b32_e32 v9, s35
	v_add_co_u32_e64 v3, s[4:5], s34, v3
	v_addc_co_u32_e64 v4, s[4:5], v9, v4, s[4:5]
	v_or_b32_e32 v1, 2.0, v28
	s_mov_b64 s[8:9], 0
	s_brev_b32 s16, -4
	s_mov_b32 s17, s33
	v_mov_b32_e32 v10, 0
	global_store_dword v[3:4], v1, off
                                        ; implicit-def: $sgpr4_sgpr5
	s_branch .LBB603_109
.LBB603_107:                            ;   in Loop: Header=BB603_109 Depth=1
	s_or_b64 exec, exec, s[12:13]
.LBB603_108:                            ;   in Loop: Header=BB603_109 Depth=1
	s_or_b64 exec, exec, s[10:11]
	v_and_b32_e32 v5, 0x3fffffff, v1
	v_add_u32_e32 v10, v5, v10
	v_cmp_gt_i32_e64 s[4:5], -2.0, v1
	s_and_b64 s[10:11], exec, s[4:5]
	s_or_b64 s[8:9], s[10:11], s[8:9]
	s_andn2_b64 exec, exec, s[8:9]
	s_cbranch_execz .LBB603_114
.LBB603_109:                            ; =>This Loop Header: Depth=1
                                        ;     Child Loop BB603_112 Depth 2
	s_or_b64 s[4:5], s[4:5], exec
	s_cmp_eq_u32 s17, 0
	s_cbranch_scc1 .LBB603_113
; %bb.110:                              ;   in Loop: Header=BB603_109 Depth=1
	s_add_i32 s17, s17, -1
	v_lshl_or_b32 v1, s17, 8, v0
	v_lshlrev_b64 v[5:6], 2, v[1:2]
	v_add_co_u32_e64 v5, s[4:5], s34, v5
	v_addc_co_u32_e64 v6, s[4:5], v9, v6, s[4:5]
	global_load_dword v1, v[5:6], off glc
	s_waitcnt vmcnt(0)
	v_cmp_gt_u32_e64 s[4:5], 2.0, v1
	s_and_saveexec_b64 s[10:11], s[4:5]
	s_cbranch_execz .LBB603_108
; %bb.111:                              ;   in Loop: Header=BB603_109 Depth=1
	s_mov_b64 s[12:13], 0
.LBB603_112:                            ;   Parent Loop BB603_109 Depth=1
                                        ; =>  This Inner Loop Header: Depth=2
	global_load_dword v1, v[5:6], off glc
	s_waitcnt vmcnt(0)
	v_cmp_lt_u32_e64 s[4:5], s16, v1
	s_or_b64 s[12:13], s[4:5], s[12:13]
	s_andn2_b64 exec, exec, s[12:13]
	s_cbranch_execnz .LBB603_112
	s_branch .LBB603_107
.LBB603_113:                            ;   in Loop: Header=BB603_109 Depth=1
                                        ; implicit-def: $sgpr17
	s_and_b64 s[10:11], exec, s[4:5]
	s_or_b64 s[8:9], s[10:11], s[8:9]
	s_andn2_b64 exec, exec, s[8:9]
	s_cbranch_execnz .LBB603_109
.LBB603_114:
	s_or_b64 exec, exec, s[8:9]
	v_add_u32_e32 v1, v10, v28
	v_or_b32_e32 v1, 0x80000000, v1
	global_store_dword v[3:4], v1, off
	global_load_dword v1, v25, s[28:29]
	v_sub_u32_e32 v2, v10, v24
	s_waitcnt vmcnt(0)
	v_add_u32_e32 v1, v2, v1
	ds_write_b32 v25, v1
.LBB603_115:
	s_or_b64 exec, exec, s[6:7]
	s_waitcnt lgkmcnt(0)
	s_barrier
	ds_read_u8 v1, v0 offset:1024
	ds_read_u8 v2, v0 offset:1536
	;; [unrolled: 1-line block ×6, first 2 shown]
	s_waitcnt lgkmcnt(5)
	v_lshrrev_b32_sdwa v9, s44, v1 dst_sel:DWORD dst_unused:UNUSED_PAD src0_sel:DWORD src1_sel:BYTE_0
	s_waitcnt lgkmcnt(4)
	v_lshrrev_b32_sdwa v10, s44, v2 dst_sel:DWORD dst_unused:UNUSED_PAD src0_sel:DWORD src1_sel:BYTE_0
	;; [unrolled: 2-line block ×6, first 2 shown]
	v_and_b32_e32 v21, s15, v9
	v_and_b32_e32 v26, s15, v10
	;; [unrolled: 1-line block ×6, first 2 shown]
	v_lshlrev_b32_e32 v9, 2, v21
	v_lshlrev_b32_e32 v10, 2, v26
	;; [unrolled: 1-line block ×6, first 2 shown]
	ds_read_b32 v9, v9
	ds_read_b32 v10, v10
	;; [unrolled: 1-line block ×6, first 2 shown]
	v_xor_b32_e32 v1, 0x80, v1
	s_waitcnt lgkmcnt(5)
	v_add_u32_e32 v9, v9, v0
	s_movk_i32 s6, 0x200
	global_store_byte v9, v1, s[38:39]
	v_xor_b32_e32 v1, 0x80, v2
	s_waitcnt lgkmcnt(4)
	v_add3_u32 v2, v0, v10, s6
	s_movk_i32 s4, 0x400
	global_store_byte v2, v1, s[38:39]
	v_xor_b32_e32 v1, 0x80, v3
	s_waitcnt lgkmcnt(3)
	v_add3_u32 v2, v11, v0, s4
	;; [unrolled: 5-line block ×4, first 2 shown]
	s_movk_i32 s4, 0xa00
	global_store_byte v2, v1, s[38:39]
	s_waitcnt lgkmcnt(0)
	v_add3_u32 v2, v0, v36, s4
	s_lshl_b64 s[4:5], s[26:27], 3
	v_xor_b32_e32 v1, 0x80, v6
	s_add_u32 s4, s40, s4
	global_store_byte v2, v1, s[38:39]
	s_addc_u32 s5, s41, s5
	v_lshlrev_b32_e32 v1, 3, v8
	v_mov_b32_e32 v2, s5
	v_add_co_u32_e64 v1, s[4:5], s4, v1
	v_addc_co_u32_e64 v2, s[4:5], 0, v2, s[4:5]
	v_lshlrev_b32_e32 v3, 3, v7
	v_add_co_u32_e64 v35, s[4:5], v1, v3
	v_addc_co_u32_e64 v36, s[4:5], 0, v2, s[4:5]
	global_load_dwordx2 v[1:2], v[35:36], off
	global_load_dwordx2 v[3:4], v[35:36], off offset:512
	global_load_dwordx2 v[5:6], v[35:36], off offset:1024
	;; [unrolled: 1-line block ×5, first 2 shown]
	v_add3_u32 v20, v22, v34, v20
	v_mul_u32_u24_e32 v22, 7, v0
	buffer_store_dword v21, off, s[0:3], 0
	buffer_store_dword v26, off, s[0:3], 0 offset:4
	buffer_store_dword v30, off, s[0:3], 0 offset:8
	buffer_store_dword v37, off, s[0:3], 0 offset:12
	buffer_store_dword v38, off, s[0:3], 0 offset:16
	buffer_store_dword v39, off, s[0:3], 0 offset:20
	v_add3_u32 v21, v27, v14, v23
	v_mov_b32_e32 v14, 0
	v_add3_u32 v18, v19, v33, v18
	v_add3_u32 v16, v17, v32, v16
	;; [unrolled: 1-line block ×3, first 2 shown]
	s_mov_b32 s7, 0
	s_mov_b32 s8, 0
	v_add_u32_e32 v17, v0, v22
	v_mov_b32_e32 v19, s43
	s_waitcnt vmcnt(0)
	s_barrier
.LBB603_116:                            ; =>This Inner Loop Header: Depth=1
	v_add_u32_e32 v13, s8, v29
	v_add_u32_e32 v22, s8, v15
	;; [unrolled: 1-line block ×6, first 2 shown]
	v_min_u32_e32 v13, 0x400, v13
	v_min_u32_e32 v22, 0x400, v22
	v_mov_b32_e32 v31, s7
	v_min_u32_e32 v23, 0x400, v23
	v_min_u32_e32 v26, 0x400, v26
	;; [unrolled: 1-line block ×4, first 2 shown]
	v_lshlrev_b32_e32 v13, 3, v13
	v_lshlrev_b32_e32 v22, 3, v22
	v_lshlrev_b32_e32 v23, 3, v23
	v_lshlrev_b32_e32 v26, 3, v26
	v_lshlrev_b32_e32 v27, 3, v27
	v_lshlrev_b32_e32 v30, 3, v30
	ds_write_b64 v13, v[1:2] offset:1024
	ds_write_b64 v22, v[3:4] offset:1024
	;; [unrolled: 1-line block ×6, first 2 shown]
	s_waitcnt lgkmcnt(0)
	s_barrier
	buffer_load_dword v13, v31, s[0:3], 0 offen
	buffer_load_dword v22, v31, s[0:3], 0 offen offset:4
	ds_read2st64_b64 v[30:33], v17 offset0:2 offset1:10
	s_addk_i32 s8, 0xfc00
	s_add_i32 s7, s7, 8
	s_cmpk_lg_i32 s8, 0xf400
	s_waitcnt vmcnt(1)
	v_lshlrev_b32_e32 v13, 2, v13
	s_waitcnt vmcnt(0)
	v_lshlrev_b32_e32 v22, 2, v22
	ds_read_b32 v13, v13
	ds_read_b32 v26, v22
	s_waitcnt lgkmcnt(1)
	v_add_u32_e32 v13, v0, v13
	v_lshlrev_b64 v[22:23], 3, v[13:14]
	s_waitcnt lgkmcnt(0)
	v_add3_u32 v13, v0, v26, s6
	v_lshlrev_b64 v[26:27], 3, v[13:14]
	v_add_co_u32_e64 v22, s[4:5], s42, v22
	v_addc_co_u32_e64 v23, s[4:5], v19, v23, s[4:5]
	global_store_dwordx2 v[22:23], v[30:31], off
	v_add_co_u32_e64 v22, s[4:5], s42, v26
	v_add_u32_e32 v0, 0x400, v0
	v_addc_co_u32_e64 v23, s[4:5], v19, v27, s[4:5]
	global_store_dwordx2 v[22:23], v[32:33], off
	s_waitcnt vmcnt(0)
	s_barrier
	s_cbranch_scc1 .LBB603_116
; %bb.117:
	s_add_i32 s14, s14, -1
	s_cmp_eq_u32 s33, s14
	s_cselect_b64 s[4:5], -1, 0
	s_xor_b64 s[6:7], vcc, -1
	s_and_b64 s[4:5], s[6:7], s[4:5]
	s_and_saveexec_b64 s[6:7], s[4:5]
	s_cbranch_execz .LBB603_119
; %bb.118:
	ds_read_b32 v0, v25
	s_waitcnt lgkmcnt(0)
	v_add3_u32 v0, v24, v28, v0
	global_store_dword v25, v0, s[30:31]
.LBB603_119:
	s_endpgm
	.section	.rodata,"a",@progbits
	.p2align	6, 0x0
	.amdhsa_kernel _ZN7rocprim17ROCPRIM_400000_NS6detail17trampoline_kernelINS0_14default_configENS1_35radix_sort_onesweep_config_selectorIalEEZZNS1_29radix_sort_onesweep_iterationIS3_Lb0EPaS7_N6thrust23THRUST_200600_302600_NS10device_ptrIlEESB_jNS0_19identity_decomposerENS1_16block_id_wrapperIjLb1EEEEE10hipError_tT1_PNSt15iterator_traitsISG_E10value_typeET2_T3_PNSH_ISM_E10value_typeET4_T5_PSR_SS_PNS1_23onesweep_lookback_stateEbbT6_jjT7_P12ihipStream_tbENKUlT_T0_SG_SL_E_clIS7_S7_SB_SB_EEDaSZ_S10_SG_SL_EUlSZ_E_NS1_11comp_targetILNS1_3genE2ELNS1_11target_archE906ELNS1_3gpuE6ELNS1_3repE0EEENS1_47radix_sort_onesweep_sort_config_static_selectorELNS0_4arch9wavefront6targetE1EEEvSG_
		.amdhsa_group_segment_fixed_size 10280
		.amdhsa_private_segment_fixed_size 32
		.amdhsa_kernarg_size 344
		.amdhsa_user_sgpr_count 6
		.amdhsa_user_sgpr_private_segment_buffer 1
		.amdhsa_user_sgpr_dispatch_ptr 0
		.amdhsa_user_sgpr_queue_ptr 0
		.amdhsa_user_sgpr_kernarg_segment_ptr 1
		.amdhsa_user_sgpr_dispatch_id 0
		.amdhsa_user_sgpr_flat_scratch_init 0
		.amdhsa_user_sgpr_private_segment_size 0
		.amdhsa_uses_dynamic_stack 0
		.amdhsa_system_sgpr_private_segment_wavefront_offset 1
		.amdhsa_system_sgpr_workgroup_id_x 1
		.amdhsa_system_sgpr_workgroup_id_y 0
		.amdhsa_system_sgpr_workgroup_id_z 0
		.amdhsa_system_sgpr_workgroup_info 0
		.amdhsa_system_vgpr_workitem_id 2
		.amdhsa_next_free_vgpr 41
		.amdhsa_next_free_sgpr 56
		.amdhsa_reserve_vcc 1
		.amdhsa_reserve_flat_scratch 0
		.amdhsa_float_round_mode_32 0
		.amdhsa_float_round_mode_16_64 0
		.amdhsa_float_denorm_mode_32 3
		.amdhsa_float_denorm_mode_16_64 3
		.amdhsa_dx10_clamp 1
		.amdhsa_ieee_mode 1
		.amdhsa_fp16_overflow 0
		.amdhsa_exception_fp_ieee_invalid_op 0
		.amdhsa_exception_fp_denorm_src 0
		.amdhsa_exception_fp_ieee_div_zero 0
		.amdhsa_exception_fp_ieee_overflow 0
		.amdhsa_exception_fp_ieee_underflow 0
		.amdhsa_exception_fp_ieee_inexact 0
		.amdhsa_exception_int_div_zero 0
	.end_amdhsa_kernel
	.section	.text._ZN7rocprim17ROCPRIM_400000_NS6detail17trampoline_kernelINS0_14default_configENS1_35radix_sort_onesweep_config_selectorIalEEZZNS1_29radix_sort_onesweep_iterationIS3_Lb0EPaS7_N6thrust23THRUST_200600_302600_NS10device_ptrIlEESB_jNS0_19identity_decomposerENS1_16block_id_wrapperIjLb1EEEEE10hipError_tT1_PNSt15iterator_traitsISG_E10value_typeET2_T3_PNSH_ISM_E10value_typeET4_T5_PSR_SS_PNS1_23onesweep_lookback_stateEbbT6_jjT7_P12ihipStream_tbENKUlT_T0_SG_SL_E_clIS7_S7_SB_SB_EEDaSZ_S10_SG_SL_EUlSZ_E_NS1_11comp_targetILNS1_3genE2ELNS1_11target_archE906ELNS1_3gpuE6ELNS1_3repE0EEENS1_47radix_sort_onesweep_sort_config_static_selectorELNS0_4arch9wavefront6targetE1EEEvSG_,"axG",@progbits,_ZN7rocprim17ROCPRIM_400000_NS6detail17trampoline_kernelINS0_14default_configENS1_35radix_sort_onesweep_config_selectorIalEEZZNS1_29radix_sort_onesweep_iterationIS3_Lb0EPaS7_N6thrust23THRUST_200600_302600_NS10device_ptrIlEESB_jNS0_19identity_decomposerENS1_16block_id_wrapperIjLb1EEEEE10hipError_tT1_PNSt15iterator_traitsISG_E10value_typeET2_T3_PNSH_ISM_E10value_typeET4_T5_PSR_SS_PNS1_23onesweep_lookback_stateEbbT6_jjT7_P12ihipStream_tbENKUlT_T0_SG_SL_E_clIS7_S7_SB_SB_EEDaSZ_S10_SG_SL_EUlSZ_E_NS1_11comp_targetILNS1_3genE2ELNS1_11target_archE906ELNS1_3gpuE6ELNS1_3repE0EEENS1_47radix_sort_onesweep_sort_config_static_selectorELNS0_4arch9wavefront6targetE1EEEvSG_,comdat
.Lfunc_end603:
	.size	_ZN7rocprim17ROCPRIM_400000_NS6detail17trampoline_kernelINS0_14default_configENS1_35radix_sort_onesweep_config_selectorIalEEZZNS1_29radix_sort_onesweep_iterationIS3_Lb0EPaS7_N6thrust23THRUST_200600_302600_NS10device_ptrIlEESB_jNS0_19identity_decomposerENS1_16block_id_wrapperIjLb1EEEEE10hipError_tT1_PNSt15iterator_traitsISG_E10value_typeET2_T3_PNSH_ISM_E10value_typeET4_T5_PSR_SS_PNS1_23onesweep_lookback_stateEbbT6_jjT7_P12ihipStream_tbENKUlT_T0_SG_SL_E_clIS7_S7_SB_SB_EEDaSZ_S10_SG_SL_EUlSZ_E_NS1_11comp_targetILNS1_3genE2ELNS1_11target_archE906ELNS1_3gpuE6ELNS1_3repE0EEENS1_47radix_sort_onesweep_sort_config_static_selectorELNS0_4arch9wavefront6targetE1EEEvSG_, .Lfunc_end603-_ZN7rocprim17ROCPRIM_400000_NS6detail17trampoline_kernelINS0_14default_configENS1_35radix_sort_onesweep_config_selectorIalEEZZNS1_29radix_sort_onesweep_iterationIS3_Lb0EPaS7_N6thrust23THRUST_200600_302600_NS10device_ptrIlEESB_jNS0_19identity_decomposerENS1_16block_id_wrapperIjLb1EEEEE10hipError_tT1_PNSt15iterator_traitsISG_E10value_typeET2_T3_PNSH_ISM_E10value_typeET4_T5_PSR_SS_PNS1_23onesweep_lookback_stateEbbT6_jjT7_P12ihipStream_tbENKUlT_T0_SG_SL_E_clIS7_S7_SB_SB_EEDaSZ_S10_SG_SL_EUlSZ_E_NS1_11comp_targetILNS1_3genE2ELNS1_11target_archE906ELNS1_3gpuE6ELNS1_3repE0EEENS1_47radix_sort_onesweep_sort_config_static_selectorELNS0_4arch9wavefront6targetE1EEEvSG_
                                        ; -- End function
	.set _ZN7rocprim17ROCPRIM_400000_NS6detail17trampoline_kernelINS0_14default_configENS1_35radix_sort_onesweep_config_selectorIalEEZZNS1_29radix_sort_onesweep_iterationIS3_Lb0EPaS7_N6thrust23THRUST_200600_302600_NS10device_ptrIlEESB_jNS0_19identity_decomposerENS1_16block_id_wrapperIjLb1EEEEE10hipError_tT1_PNSt15iterator_traitsISG_E10value_typeET2_T3_PNSH_ISM_E10value_typeET4_T5_PSR_SS_PNS1_23onesweep_lookback_stateEbbT6_jjT7_P12ihipStream_tbENKUlT_T0_SG_SL_E_clIS7_S7_SB_SB_EEDaSZ_S10_SG_SL_EUlSZ_E_NS1_11comp_targetILNS1_3genE2ELNS1_11target_archE906ELNS1_3gpuE6ELNS1_3repE0EEENS1_47radix_sort_onesweep_sort_config_static_selectorELNS0_4arch9wavefront6targetE1EEEvSG_.num_vgpr, 41
	.set _ZN7rocprim17ROCPRIM_400000_NS6detail17trampoline_kernelINS0_14default_configENS1_35radix_sort_onesweep_config_selectorIalEEZZNS1_29radix_sort_onesweep_iterationIS3_Lb0EPaS7_N6thrust23THRUST_200600_302600_NS10device_ptrIlEESB_jNS0_19identity_decomposerENS1_16block_id_wrapperIjLb1EEEEE10hipError_tT1_PNSt15iterator_traitsISG_E10value_typeET2_T3_PNSH_ISM_E10value_typeET4_T5_PSR_SS_PNS1_23onesweep_lookback_stateEbbT6_jjT7_P12ihipStream_tbENKUlT_T0_SG_SL_E_clIS7_S7_SB_SB_EEDaSZ_S10_SG_SL_EUlSZ_E_NS1_11comp_targetILNS1_3genE2ELNS1_11target_archE906ELNS1_3gpuE6ELNS1_3repE0EEENS1_47radix_sort_onesweep_sort_config_static_selectorELNS0_4arch9wavefront6targetE1EEEvSG_.num_agpr, 0
	.set _ZN7rocprim17ROCPRIM_400000_NS6detail17trampoline_kernelINS0_14default_configENS1_35radix_sort_onesweep_config_selectorIalEEZZNS1_29radix_sort_onesweep_iterationIS3_Lb0EPaS7_N6thrust23THRUST_200600_302600_NS10device_ptrIlEESB_jNS0_19identity_decomposerENS1_16block_id_wrapperIjLb1EEEEE10hipError_tT1_PNSt15iterator_traitsISG_E10value_typeET2_T3_PNSH_ISM_E10value_typeET4_T5_PSR_SS_PNS1_23onesweep_lookback_stateEbbT6_jjT7_P12ihipStream_tbENKUlT_T0_SG_SL_E_clIS7_S7_SB_SB_EEDaSZ_S10_SG_SL_EUlSZ_E_NS1_11comp_targetILNS1_3genE2ELNS1_11target_archE906ELNS1_3gpuE6ELNS1_3repE0EEENS1_47radix_sort_onesweep_sort_config_static_selectorELNS0_4arch9wavefront6targetE1EEEvSG_.numbered_sgpr, 56
	.set _ZN7rocprim17ROCPRIM_400000_NS6detail17trampoline_kernelINS0_14default_configENS1_35radix_sort_onesweep_config_selectorIalEEZZNS1_29radix_sort_onesweep_iterationIS3_Lb0EPaS7_N6thrust23THRUST_200600_302600_NS10device_ptrIlEESB_jNS0_19identity_decomposerENS1_16block_id_wrapperIjLb1EEEEE10hipError_tT1_PNSt15iterator_traitsISG_E10value_typeET2_T3_PNSH_ISM_E10value_typeET4_T5_PSR_SS_PNS1_23onesweep_lookback_stateEbbT6_jjT7_P12ihipStream_tbENKUlT_T0_SG_SL_E_clIS7_S7_SB_SB_EEDaSZ_S10_SG_SL_EUlSZ_E_NS1_11comp_targetILNS1_3genE2ELNS1_11target_archE906ELNS1_3gpuE6ELNS1_3repE0EEENS1_47radix_sort_onesweep_sort_config_static_selectorELNS0_4arch9wavefront6targetE1EEEvSG_.num_named_barrier, 0
	.set _ZN7rocprim17ROCPRIM_400000_NS6detail17trampoline_kernelINS0_14default_configENS1_35radix_sort_onesweep_config_selectorIalEEZZNS1_29radix_sort_onesweep_iterationIS3_Lb0EPaS7_N6thrust23THRUST_200600_302600_NS10device_ptrIlEESB_jNS0_19identity_decomposerENS1_16block_id_wrapperIjLb1EEEEE10hipError_tT1_PNSt15iterator_traitsISG_E10value_typeET2_T3_PNSH_ISM_E10value_typeET4_T5_PSR_SS_PNS1_23onesweep_lookback_stateEbbT6_jjT7_P12ihipStream_tbENKUlT_T0_SG_SL_E_clIS7_S7_SB_SB_EEDaSZ_S10_SG_SL_EUlSZ_E_NS1_11comp_targetILNS1_3genE2ELNS1_11target_archE906ELNS1_3gpuE6ELNS1_3repE0EEENS1_47radix_sort_onesweep_sort_config_static_selectorELNS0_4arch9wavefront6targetE1EEEvSG_.private_seg_size, 32
	.set _ZN7rocprim17ROCPRIM_400000_NS6detail17trampoline_kernelINS0_14default_configENS1_35radix_sort_onesweep_config_selectorIalEEZZNS1_29radix_sort_onesweep_iterationIS3_Lb0EPaS7_N6thrust23THRUST_200600_302600_NS10device_ptrIlEESB_jNS0_19identity_decomposerENS1_16block_id_wrapperIjLb1EEEEE10hipError_tT1_PNSt15iterator_traitsISG_E10value_typeET2_T3_PNSH_ISM_E10value_typeET4_T5_PSR_SS_PNS1_23onesweep_lookback_stateEbbT6_jjT7_P12ihipStream_tbENKUlT_T0_SG_SL_E_clIS7_S7_SB_SB_EEDaSZ_S10_SG_SL_EUlSZ_E_NS1_11comp_targetILNS1_3genE2ELNS1_11target_archE906ELNS1_3gpuE6ELNS1_3repE0EEENS1_47radix_sort_onesweep_sort_config_static_selectorELNS0_4arch9wavefront6targetE1EEEvSG_.uses_vcc, 1
	.set _ZN7rocprim17ROCPRIM_400000_NS6detail17trampoline_kernelINS0_14default_configENS1_35radix_sort_onesweep_config_selectorIalEEZZNS1_29radix_sort_onesweep_iterationIS3_Lb0EPaS7_N6thrust23THRUST_200600_302600_NS10device_ptrIlEESB_jNS0_19identity_decomposerENS1_16block_id_wrapperIjLb1EEEEE10hipError_tT1_PNSt15iterator_traitsISG_E10value_typeET2_T3_PNSH_ISM_E10value_typeET4_T5_PSR_SS_PNS1_23onesweep_lookback_stateEbbT6_jjT7_P12ihipStream_tbENKUlT_T0_SG_SL_E_clIS7_S7_SB_SB_EEDaSZ_S10_SG_SL_EUlSZ_E_NS1_11comp_targetILNS1_3genE2ELNS1_11target_archE906ELNS1_3gpuE6ELNS1_3repE0EEENS1_47radix_sort_onesweep_sort_config_static_selectorELNS0_4arch9wavefront6targetE1EEEvSG_.uses_flat_scratch, 0
	.set _ZN7rocprim17ROCPRIM_400000_NS6detail17trampoline_kernelINS0_14default_configENS1_35radix_sort_onesweep_config_selectorIalEEZZNS1_29radix_sort_onesweep_iterationIS3_Lb0EPaS7_N6thrust23THRUST_200600_302600_NS10device_ptrIlEESB_jNS0_19identity_decomposerENS1_16block_id_wrapperIjLb1EEEEE10hipError_tT1_PNSt15iterator_traitsISG_E10value_typeET2_T3_PNSH_ISM_E10value_typeET4_T5_PSR_SS_PNS1_23onesweep_lookback_stateEbbT6_jjT7_P12ihipStream_tbENKUlT_T0_SG_SL_E_clIS7_S7_SB_SB_EEDaSZ_S10_SG_SL_EUlSZ_E_NS1_11comp_targetILNS1_3genE2ELNS1_11target_archE906ELNS1_3gpuE6ELNS1_3repE0EEENS1_47radix_sort_onesweep_sort_config_static_selectorELNS0_4arch9wavefront6targetE1EEEvSG_.has_dyn_sized_stack, 0
	.set _ZN7rocprim17ROCPRIM_400000_NS6detail17trampoline_kernelINS0_14default_configENS1_35radix_sort_onesweep_config_selectorIalEEZZNS1_29radix_sort_onesweep_iterationIS3_Lb0EPaS7_N6thrust23THRUST_200600_302600_NS10device_ptrIlEESB_jNS0_19identity_decomposerENS1_16block_id_wrapperIjLb1EEEEE10hipError_tT1_PNSt15iterator_traitsISG_E10value_typeET2_T3_PNSH_ISM_E10value_typeET4_T5_PSR_SS_PNS1_23onesweep_lookback_stateEbbT6_jjT7_P12ihipStream_tbENKUlT_T0_SG_SL_E_clIS7_S7_SB_SB_EEDaSZ_S10_SG_SL_EUlSZ_E_NS1_11comp_targetILNS1_3genE2ELNS1_11target_archE906ELNS1_3gpuE6ELNS1_3repE0EEENS1_47radix_sort_onesweep_sort_config_static_selectorELNS0_4arch9wavefront6targetE1EEEvSG_.has_recursion, 0
	.set _ZN7rocprim17ROCPRIM_400000_NS6detail17trampoline_kernelINS0_14default_configENS1_35radix_sort_onesweep_config_selectorIalEEZZNS1_29radix_sort_onesweep_iterationIS3_Lb0EPaS7_N6thrust23THRUST_200600_302600_NS10device_ptrIlEESB_jNS0_19identity_decomposerENS1_16block_id_wrapperIjLb1EEEEE10hipError_tT1_PNSt15iterator_traitsISG_E10value_typeET2_T3_PNSH_ISM_E10value_typeET4_T5_PSR_SS_PNS1_23onesweep_lookback_stateEbbT6_jjT7_P12ihipStream_tbENKUlT_T0_SG_SL_E_clIS7_S7_SB_SB_EEDaSZ_S10_SG_SL_EUlSZ_E_NS1_11comp_targetILNS1_3genE2ELNS1_11target_archE906ELNS1_3gpuE6ELNS1_3repE0EEENS1_47radix_sort_onesweep_sort_config_static_selectorELNS0_4arch9wavefront6targetE1EEEvSG_.has_indirect_call, 0
	.section	.AMDGPU.csdata,"",@progbits
; Kernel info:
; codeLenInByte = 10356
; TotalNumSgprs: 60
; NumVgprs: 41
; ScratchSize: 32
; MemoryBound: 0
; FloatMode: 240
; IeeeMode: 1
; LDSByteSize: 10280 bytes/workgroup (compile time only)
; SGPRBlocks: 7
; VGPRBlocks: 10
; NumSGPRsForWavesPerEU: 60
; NumVGPRsForWavesPerEU: 41
; Occupancy: 5
; WaveLimiterHint : 1
; COMPUTE_PGM_RSRC2:SCRATCH_EN: 1
; COMPUTE_PGM_RSRC2:USER_SGPR: 6
; COMPUTE_PGM_RSRC2:TRAP_HANDLER: 0
; COMPUTE_PGM_RSRC2:TGID_X_EN: 1
; COMPUTE_PGM_RSRC2:TGID_Y_EN: 0
; COMPUTE_PGM_RSRC2:TGID_Z_EN: 0
; COMPUTE_PGM_RSRC2:TIDIG_COMP_CNT: 2
	.section	.text._ZN7rocprim17ROCPRIM_400000_NS6detail17trampoline_kernelINS0_14default_configENS1_35radix_sort_onesweep_config_selectorIalEEZZNS1_29radix_sort_onesweep_iterationIS3_Lb0EPaS7_N6thrust23THRUST_200600_302600_NS10device_ptrIlEESB_jNS0_19identity_decomposerENS1_16block_id_wrapperIjLb1EEEEE10hipError_tT1_PNSt15iterator_traitsISG_E10value_typeET2_T3_PNSH_ISM_E10value_typeET4_T5_PSR_SS_PNS1_23onesweep_lookback_stateEbbT6_jjT7_P12ihipStream_tbENKUlT_T0_SG_SL_E_clIS7_S7_SB_SB_EEDaSZ_S10_SG_SL_EUlSZ_E_NS1_11comp_targetILNS1_3genE4ELNS1_11target_archE910ELNS1_3gpuE8ELNS1_3repE0EEENS1_47radix_sort_onesweep_sort_config_static_selectorELNS0_4arch9wavefront6targetE1EEEvSG_,"axG",@progbits,_ZN7rocprim17ROCPRIM_400000_NS6detail17trampoline_kernelINS0_14default_configENS1_35radix_sort_onesweep_config_selectorIalEEZZNS1_29radix_sort_onesweep_iterationIS3_Lb0EPaS7_N6thrust23THRUST_200600_302600_NS10device_ptrIlEESB_jNS0_19identity_decomposerENS1_16block_id_wrapperIjLb1EEEEE10hipError_tT1_PNSt15iterator_traitsISG_E10value_typeET2_T3_PNSH_ISM_E10value_typeET4_T5_PSR_SS_PNS1_23onesweep_lookback_stateEbbT6_jjT7_P12ihipStream_tbENKUlT_T0_SG_SL_E_clIS7_S7_SB_SB_EEDaSZ_S10_SG_SL_EUlSZ_E_NS1_11comp_targetILNS1_3genE4ELNS1_11target_archE910ELNS1_3gpuE8ELNS1_3repE0EEENS1_47radix_sort_onesweep_sort_config_static_selectorELNS0_4arch9wavefront6targetE1EEEvSG_,comdat
	.protected	_ZN7rocprim17ROCPRIM_400000_NS6detail17trampoline_kernelINS0_14default_configENS1_35radix_sort_onesweep_config_selectorIalEEZZNS1_29radix_sort_onesweep_iterationIS3_Lb0EPaS7_N6thrust23THRUST_200600_302600_NS10device_ptrIlEESB_jNS0_19identity_decomposerENS1_16block_id_wrapperIjLb1EEEEE10hipError_tT1_PNSt15iterator_traitsISG_E10value_typeET2_T3_PNSH_ISM_E10value_typeET4_T5_PSR_SS_PNS1_23onesweep_lookback_stateEbbT6_jjT7_P12ihipStream_tbENKUlT_T0_SG_SL_E_clIS7_S7_SB_SB_EEDaSZ_S10_SG_SL_EUlSZ_E_NS1_11comp_targetILNS1_3genE4ELNS1_11target_archE910ELNS1_3gpuE8ELNS1_3repE0EEENS1_47radix_sort_onesweep_sort_config_static_selectorELNS0_4arch9wavefront6targetE1EEEvSG_ ; -- Begin function _ZN7rocprim17ROCPRIM_400000_NS6detail17trampoline_kernelINS0_14default_configENS1_35radix_sort_onesweep_config_selectorIalEEZZNS1_29radix_sort_onesweep_iterationIS3_Lb0EPaS7_N6thrust23THRUST_200600_302600_NS10device_ptrIlEESB_jNS0_19identity_decomposerENS1_16block_id_wrapperIjLb1EEEEE10hipError_tT1_PNSt15iterator_traitsISG_E10value_typeET2_T3_PNSH_ISM_E10value_typeET4_T5_PSR_SS_PNS1_23onesweep_lookback_stateEbbT6_jjT7_P12ihipStream_tbENKUlT_T0_SG_SL_E_clIS7_S7_SB_SB_EEDaSZ_S10_SG_SL_EUlSZ_E_NS1_11comp_targetILNS1_3genE4ELNS1_11target_archE910ELNS1_3gpuE8ELNS1_3repE0EEENS1_47radix_sort_onesweep_sort_config_static_selectorELNS0_4arch9wavefront6targetE1EEEvSG_
	.globl	_ZN7rocprim17ROCPRIM_400000_NS6detail17trampoline_kernelINS0_14default_configENS1_35radix_sort_onesweep_config_selectorIalEEZZNS1_29radix_sort_onesweep_iterationIS3_Lb0EPaS7_N6thrust23THRUST_200600_302600_NS10device_ptrIlEESB_jNS0_19identity_decomposerENS1_16block_id_wrapperIjLb1EEEEE10hipError_tT1_PNSt15iterator_traitsISG_E10value_typeET2_T3_PNSH_ISM_E10value_typeET4_T5_PSR_SS_PNS1_23onesweep_lookback_stateEbbT6_jjT7_P12ihipStream_tbENKUlT_T0_SG_SL_E_clIS7_S7_SB_SB_EEDaSZ_S10_SG_SL_EUlSZ_E_NS1_11comp_targetILNS1_3genE4ELNS1_11target_archE910ELNS1_3gpuE8ELNS1_3repE0EEENS1_47radix_sort_onesweep_sort_config_static_selectorELNS0_4arch9wavefront6targetE1EEEvSG_
	.p2align	8
	.type	_ZN7rocprim17ROCPRIM_400000_NS6detail17trampoline_kernelINS0_14default_configENS1_35radix_sort_onesweep_config_selectorIalEEZZNS1_29radix_sort_onesweep_iterationIS3_Lb0EPaS7_N6thrust23THRUST_200600_302600_NS10device_ptrIlEESB_jNS0_19identity_decomposerENS1_16block_id_wrapperIjLb1EEEEE10hipError_tT1_PNSt15iterator_traitsISG_E10value_typeET2_T3_PNSH_ISM_E10value_typeET4_T5_PSR_SS_PNS1_23onesweep_lookback_stateEbbT6_jjT7_P12ihipStream_tbENKUlT_T0_SG_SL_E_clIS7_S7_SB_SB_EEDaSZ_S10_SG_SL_EUlSZ_E_NS1_11comp_targetILNS1_3genE4ELNS1_11target_archE910ELNS1_3gpuE8ELNS1_3repE0EEENS1_47radix_sort_onesweep_sort_config_static_selectorELNS0_4arch9wavefront6targetE1EEEvSG_,@function
_ZN7rocprim17ROCPRIM_400000_NS6detail17trampoline_kernelINS0_14default_configENS1_35radix_sort_onesweep_config_selectorIalEEZZNS1_29radix_sort_onesweep_iterationIS3_Lb0EPaS7_N6thrust23THRUST_200600_302600_NS10device_ptrIlEESB_jNS0_19identity_decomposerENS1_16block_id_wrapperIjLb1EEEEE10hipError_tT1_PNSt15iterator_traitsISG_E10value_typeET2_T3_PNSH_ISM_E10value_typeET4_T5_PSR_SS_PNS1_23onesweep_lookback_stateEbbT6_jjT7_P12ihipStream_tbENKUlT_T0_SG_SL_E_clIS7_S7_SB_SB_EEDaSZ_S10_SG_SL_EUlSZ_E_NS1_11comp_targetILNS1_3genE4ELNS1_11target_archE910ELNS1_3gpuE8ELNS1_3repE0EEENS1_47radix_sort_onesweep_sort_config_static_selectorELNS0_4arch9wavefront6targetE1EEEvSG_: ; @_ZN7rocprim17ROCPRIM_400000_NS6detail17trampoline_kernelINS0_14default_configENS1_35radix_sort_onesweep_config_selectorIalEEZZNS1_29radix_sort_onesweep_iterationIS3_Lb0EPaS7_N6thrust23THRUST_200600_302600_NS10device_ptrIlEESB_jNS0_19identity_decomposerENS1_16block_id_wrapperIjLb1EEEEE10hipError_tT1_PNSt15iterator_traitsISG_E10value_typeET2_T3_PNSH_ISM_E10value_typeET4_T5_PSR_SS_PNS1_23onesweep_lookback_stateEbbT6_jjT7_P12ihipStream_tbENKUlT_T0_SG_SL_E_clIS7_S7_SB_SB_EEDaSZ_S10_SG_SL_EUlSZ_E_NS1_11comp_targetILNS1_3genE4ELNS1_11target_archE910ELNS1_3gpuE8ELNS1_3repE0EEENS1_47radix_sort_onesweep_sort_config_static_selectorELNS0_4arch9wavefront6targetE1EEEvSG_
; %bb.0:
	.section	.rodata,"a",@progbits
	.p2align	6, 0x0
	.amdhsa_kernel _ZN7rocprim17ROCPRIM_400000_NS6detail17trampoline_kernelINS0_14default_configENS1_35radix_sort_onesweep_config_selectorIalEEZZNS1_29radix_sort_onesweep_iterationIS3_Lb0EPaS7_N6thrust23THRUST_200600_302600_NS10device_ptrIlEESB_jNS0_19identity_decomposerENS1_16block_id_wrapperIjLb1EEEEE10hipError_tT1_PNSt15iterator_traitsISG_E10value_typeET2_T3_PNSH_ISM_E10value_typeET4_T5_PSR_SS_PNS1_23onesweep_lookback_stateEbbT6_jjT7_P12ihipStream_tbENKUlT_T0_SG_SL_E_clIS7_S7_SB_SB_EEDaSZ_S10_SG_SL_EUlSZ_E_NS1_11comp_targetILNS1_3genE4ELNS1_11target_archE910ELNS1_3gpuE8ELNS1_3repE0EEENS1_47radix_sort_onesweep_sort_config_static_selectorELNS0_4arch9wavefront6targetE1EEEvSG_
		.amdhsa_group_segment_fixed_size 0
		.amdhsa_private_segment_fixed_size 0
		.amdhsa_kernarg_size 88
		.amdhsa_user_sgpr_count 6
		.amdhsa_user_sgpr_private_segment_buffer 1
		.amdhsa_user_sgpr_dispatch_ptr 0
		.amdhsa_user_sgpr_queue_ptr 0
		.amdhsa_user_sgpr_kernarg_segment_ptr 1
		.amdhsa_user_sgpr_dispatch_id 0
		.amdhsa_user_sgpr_flat_scratch_init 0
		.amdhsa_user_sgpr_private_segment_size 0
		.amdhsa_uses_dynamic_stack 0
		.amdhsa_system_sgpr_private_segment_wavefront_offset 0
		.amdhsa_system_sgpr_workgroup_id_x 1
		.amdhsa_system_sgpr_workgroup_id_y 0
		.amdhsa_system_sgpr_workgroup_id_z 0
		.amdhsa_system_sgpr_workgroup_info 0
		.amdhsa_system_vgpr_workitem_id 0
		.amdhsa_next_free_vgpr 1
		.amdhsa_next_free_sgpr 0
		.amdhsa_reserve_vcc 0
		.amdhsa_reserve_flat_scratch 0
		.amdhsa_float_round_mode_32 0
		.amdhsa_float_round_mode_16_64 0
		.amdhsa_float_denorm_mode_32 3
		.amdhsa_float_denorm_mode_16_64 3
		.amdhsa_dx10_clamp 1
		.amdhsa_ieee_mode 1
		.amdhsa_fp16_overflow 0
		.amdhsa_exception_fp_ieee_invalid_op 0
		.amdhsa_exception_fp_denorm_src 0
		.amdhsa_exception_fp_ieee_div_zero 0
		.amdhsa_exception_fp_ieee_overflow 0
		.amdhsa_exception_fp_ieee_underflow 0
		.amdhsa_exception_fp_ieee_inexact 0
		.amdhsa_exception_int_div_zero 0
	.end_amdhsa_kernel
	.section	.text._ZN7rocprim17ROCPRIM_400000_NS6detail17trampoline_kernelINS0_14default_configENS1_35radix_sort_onesweep_config_selectorIalEEZZNS1_29radix_sort_onesweep_iterationIS3_Lb0EPaS7_N6thrust23THRUST_200600_302600_NS10device_ptrIlEESB_jNS0_19identity_decomposerENS1_16block_id_wrapperIjLb1EEEEE10hipError_tT1_PNSt15iterator_traitsISG_E10value_typeET2_T3_PNSH_ISM_E10value_typeET4_T5_PSR_SS_PNS1_23onesweep_lookback_stateEbbT6_jjT7_P12ihipStream_tbENKUlT_T0_SG_SL_E_clIS7_S7_SB_SB_EEDaSZ_S10_SG_SL_EUlSZ_E_NS1_11comp_targetILNS1_3genE4ELNS1_11target_archE910ELNS1_3gpuE8ELNS1_3repE0EEENS1_47radix_sort_onesweep_sort_config_static_selectorELNS0_4arch9wavefront6targetE1EEEvSG_,"axG",@progbits,_ZN7rocprim17ROCPRIM_400000_NS6detail17trampoline_kernelINS0_14default_configENS1_35radix_sort_onesweep_config_selectorIalEEZZNS1_29radix_sort_onesweep_iterationIS3_Lb0EPaS7_N6thrust23THRUST_200600_302600_NS10device_ptrIlEESB_jNS0_19identity_decomposerENS1_16block_id_wrapperIjLb1EEEEE10hipError_tT1_PNSt15iterator_traitsISG_E10value_typeET2_T3_PNSH_ISM_E10value_typeET4_T5_PSR_SS_PNS1_23onesweep_lookback_stateEbbT6_jjT7_P12ihipStream_tbENKUlT_T0_SG_SL_E_clIS7_S7_SB_SB_EEDaSZ_S10_SG_SL_EUlSZ_E_NS1_11comp_targetILNS1_3genE4ELNS1_11target_archE910ELNS1_3gpuE8ELNS1_3repE0EEENS1_47radix_sort_onesweep_sort_config_static_selectorELNS0_4arch9wavefront6targetE1EEEvSG_,comdat
.Lfunc_end604:
	.size	_ZN7rocprim17ROCPRIM_400000_NS6detail17trampoline_kernelINS0_14default_configENS1_35radix_sort_onesweep_config_selectorIalEEZZNS1_29radix_sort_onesweep_iterationIS3_Lb0EPaS7_N6thrust23THRUST_200600_302600_NS10device_ptrIlEESB_jNS0_19identity_decomposerENS1_16block_id_wrapperIjLb1EEEEE10hipError_tT1_PNSt15iterator_traitsISG_E10value_typeET2_T3_PNSH_ISM_E10value_typeET4_T5_PSR_SS_PNS1_23onesweep_lookback_stateEbbT6_jjT7_P12ihipStream_tbENKUlT_T0_SG_SL_E_clIS7_S7_SB_SB_EEDaSZ_S10_SG_SL_EUlSZ_E_NS1_11comp_targetILNS1_3genE4ELNS1_11target_archE910ELNS1_3gpuE8ELNS1_3repE0EEENS1_47radix_sort_onesweep_sort_config_static_selectorELNS0_4arch9wavefront6targetE1EEEvSG_, .Lfunc_end604-_ZN7rocprim17ROCPRIM_400000_NS6detail17trampoline_kernelINS0_14default_configENS1_35radix_sort_onesweep_config_selectorIalEEZZNS1_29radix_sort_onesweep_iterationIS3_Lb0EPaS7_N6thrust23THRUST_200600_302600_NS10device_ptrIlEESB_jNS0_19identity_decomposerENS1_16block_id_wrapperIjLb1EEEEE10hipError_tT1_PNSt15iterator_traitsISG_E10value_typeET2_T3_PNSH_ISM_E10value_typeET4_T5_PSR_SS_PNS1_23onesweep_lookback_stateEbbT6_jjT7_P12ihipStream_tbENKUlT_T0_SG_SL_E_clIS7_S7_SB_SB_EEDaSZ_S10_SG_SL_EUlSZ_E_NS1_11comp_targetILNS1_3genE4ELNS1_11target_archE910ELNS1_3gpuE8ELNS1_3repE0EEENS1_47radix_sort_onesweep_sort_config_static_selectorELNS0_4arch9wavefront6targetE1EEEvSG_
                                        ; -- End function
	.set _ZN7rocprim17ROCPRIM_400000_NS6detail17trampoline_kernelINS0_14default_configENS1_35radix_sort_onesweep_config_selectorIalEEZZNS1_29radix_sort_onesweep_iterationIS3_Lb0EPaS7_N6thrust23THRUST_200600_302600_NS10device_ptrIlEESB_jNS0_19identity_decomposerENS1_16block_id_wrapperIjLb1EEEEE10hipError_tT1_PNSt15iterator_traitsISG_E10value_typeET2_T3_PNSH_ISM_E10value_typeET4_T5_PSR_SS_PNS1_23onesweep_lookback_stateEbbT6_jjT7_P12ihipStream_tbENKUlT_T0_SG_SL_E_clIS7_S7_SB_SB_EEDaSZ_S10_SG_SL_EUlSZ_E_NS1_11comp_targetILNS1_3genE4ELNS1_11target_archE910ELNS1_3gpuE8ELNS1_3repE0EEENS1_47radix_sort_onesweep_sort_config_static_selectorELNS0_4arch9wavefront6targetE1EEEvSG_.num_vgpr, 0
	.set _ZN7rocprim17ROCPRIM_400000_NS6detail17trampoline_kernelINS0_14default_configENS1_35radix_sort_onesweep_config_selectorIalEEZZNS1_29radix_sort_onesweep_iterationIS3_Lb0EPaS7_N6thrust23THRUST_200600_302600_NS10device_ptrIlEESB_jNS0_19identity_decomposerENS1_16block_id_wrapperIjLb1EEEEE10hipError_tT1_PNSt15iterator_traitsISG_E10value_typeET2_T3_PNSH_ISM_E10value_typeET4_T5_PSR_SS_PNS1_23onesweep_lookback_stateEbbT6_jjT7_P12ihipStream_tbENKUlT_T0_SG_SL_E_clIS7_S7_SB_SB_EEDaSZ_S10_SG_SL_EUlSZ_E_NS1_11comp_targetILNS1_3genE4ELNS1_11target_archE910ELNS1_3gpuE8ELNS1_3repE0EEENS1_47radix_sort_onesweep_sort_config_static_selectorELNS0_4arch9wavefront6targetE1EEEvSG_.num_agpr, 0
	.set _ZN7rocprim17ROCPRIM_400000_NS6detail17trampoline_kernelINS0_14default_configENS1_35radix_sort_onesweep_config_selectorIalEEZZNS1_29radix_sort_onesweep_iterationIS3_Lb0EPaS7_N6thrust23THRUST_200600_302600_NS10device_ptrIlEESB_jNS0_19identity_decomposerENS1_16block_id_wrapperIjLb1EEEEE10hipError_tT1_PNSt15iterator_traitsISG_E10value_typeET2_T3_PNSH_ISM_E10value_typeET4_T5_PSR_SS_PNS1_23onesweep_lookback_stateEbbT6_jjT7_P12ihipStream_tbENKUlT_T0_SG_SL_E_clIS7_S7_SB_SB_EEDaSZ_S10_SG_SL_EUlSZ_E_NS1_11comp_targetILNS1_3genE4ELNS1_11target_archE910ELNS1_3gpuE8ELNS1_3repE0EEENS1_47radix_sort_onesweep_sort_config_static_selectorELNS0_4arch9wavefront6targetE1EEEvSG_.numbered_sgpr, 0
	.set _ZN7rocprim17ROCPRIM_400000_NS6detail17trampoline_kernelINS0_14default_configENS1_35radix_sort_onesweep_config_selectorIalEEZZNS1_29radix_sort_onesweep_iterationIS3_Lb0EPaS7_N6thrust23THRUST_200600_302600_NS10device_ptrIlEESB_jNS0_19identity_decomposerENS1_16block_id_wrapperIjLb1EEEEE10hipError_tT1_PNSt15iterator_traitsISG_E10value_typeET2_T3_PNSH_ISM_E10value_typeET4_T5_PSR_SS_PNS1_23onesweep_lookback_stateEbbT6_jjT7_P12ihipStream_tbENKUlT_T0_SG_SL_E_clIS7_S7_SB_SB_EEDaSZ_S10_SG_SL_EUlSZ_E_NS1_11comp_targetILNS1_3genE4ELNS1_11target_archE910ELNS1_3gpuE8ELNS1_3repE0EEENS1_47radix_sort_onesweep_sort_config_static_selectorELNS0_4arch9wavefront6targetE1EEEvSG_.num_named_barrier, 0
	.set _ZN7rocprim17ROCPRIM_400000_NS6detail17trampoline_kernelINS0_14default_configENS1_35radix_sort_onesweep_config_selectorIalEEZZNS1_29radix_sort_onesweep_iterationIS3_Lb0EPaS7_N6thrust23THRUST_200600_302600_NS10device_ptrIlEESB_jNS0_19identity_decomposerENS1_16block_id_wrapperIjLb1EEEEE10hipError_tT1_PNSt15iterator_traitsISG_E10value_typeET2_T3_PNSH_ISM_E10value_typeET4_T5_PSR_SS_PNS1_23onesweep_lookback_stateEbbT6_jjT7_P12ihipStream_tbENKUlT_T0_SG_SL_E_clIS7_S7_SB_SB_EEDaSZ_S10_SG_SL_EUlSZ_E_NS1_11comp_targetILNS1_3genE4ELNS1_11target_archE910ELNS1_3gpuE8ELNS1_3repE0EEENS1_47radix_sort_onesweep_sort_config_static_selectorELNS0_4arch9wavefront6targetE1EEEvSG_.private_seg_size, 0
	.set _ZN7rocprim17ROCPRIM_400000_NS6detail17trampoline_kernelINS0_14default_configENS1_35radix_sort_onesweep_config_selectorIalEEZZNS1_29radix_sort_onesweep_iterationIS3_Lb0EPaS7_N6thrust23THRUST_200600_302600_NS10device_ptrIlEESB_jNS0_19identity_decomposerENS1_16block_id_wrapperIjLb1EEEEE10hipError_tT1_PNSt15iterator_traitsISG_E10value_typeET2_T3_PNSH_ISM_E10value_typeET4_T5_PSR_SS_PNS1_23onesweep_lookback_stateEbbT6_jjT7_P12ihipStream_tbENKUlT_T0_SG_SL_E_clIS7_S7_SB_SB_EEDaSZ_S10_SG_SL_EUlSZ_E_NS1_11comp_targetILNS1_3genE4ELNS1_11target_archE910ELNS1_3gpuE8ELNS1_3repE0EEENS1_47radix_sort_onesweep_sort_config_static_selectorELNS0_4arch9wavefront6targetE1EEEvSG_.uses_vcc, 0
	.set _ZN7rocprim17ROCPRIM_400000_NS6detail17trampoline_kernelINS0_14default_configENS1_35radix_sort_onesweep_config_selectorIalEEZZNS1_29radix_sort_onesweep_iterationIS3_Lb0EPaS7_N6thrust23THRUST_200600_302600_NS10device_ptrIlEESB_jNS0_19identity_decomposerENS1_16block_id_wrapperIjLb1EEEEE10hipError_tT1_PNSt15iterator_traitsISG_E10value_typeET2_T3_PNSH_ISM_E10value_typeET4_T5_PSR_SS_PNS1_23onesweep_lookback_stateEbbT6_jjT7_P12ihipStream_tbENKUlT_T0_SG_SL_E_clIS7_S7_SB_SB_EEDaSZ_S10_SG_SL_EUlSZ_E_NS1_11comp_targetILNS1_3genE4ELNS1_11target_archE910ELNS1_3gpuE8ELNS1_3repE0EEENS1_47radix_sort_onesweep_sort_config_static_selectorELNS0_4arch9wavefront6targetE1EEEvSG_.uses_flat_scratch, 0
	.set _ZN7rocprim17ROCPRIM_400000_NS6detail17trampoline_kernelINS0_14default_configENS1_35radix_sort_onesweep_config_selectorIalEEZZNS1_29radix_sort_onesweep_iterationIS3_Lb0EPaS7_N6thrust23THRUST_200600_302600_NS10device_ptrIlEESB_jNS0_19identity_decomposerENS1_16block_id_wrapperIjLb1EEEEE10hipError_tT1_PNSt15iterator_traitsISG_E10value_typeET2_T3_PNSH_ISM_E10value_typeET4_T5_PSR_SS_PNS1_23onesweep_lookback_stateEbbT6_jjT7_P12ihipStream_tbENKUlT_T0_SG_SL_E_clIS7_S7_SB_SB_EEDaSZ_S10_SG_SL_EUlSZ_E_NS1_11comp_targetILNS1_3genE4ELNS1_11target_archE910ELNS1_3gpuE8ELNS1_3repE0EEENS1_47radix_sort_onesweep_sort_config_static_selectorELNS0_4arch9wavefront6targetE1EEEvSG_.has_dyn_sized_stack, 0
	.set _ZN7rocprim17ROCPRIM_400000_NS6detail17trampoline_kernelINS0_14default_configENS1_35radix_sort_onesweep_config_selectorIalEEZZNS1_29radix_sort_onesweep_iterationIS3_Lb0EPaS7_N6thrust23THRUST_200600_302600_NS10device_ptrIlEESB_jNS0_19identity_decomposerENS1_16block_id_wrapperIjLb1EEEEE10hipError_tT1_PNSt15iterator_traitsISG_E10value_typeET2_T3_PNSH_ISM_E10value_typeET4_T5_PSR_SS_PNS1_23onesweep_lookback_stateEbbT6_jjT7_P12ihipStream_tbENKUlT_T0_SG_SL_E_clIS7_S7_SB_SB_EEDaSZ_S10_SG_SL_EUlSZ_E_NS1_11comp_targetILNS1_3genE4ELNS1_11target_archE910ELNS1_3gpuE8ELNS1_3repE0EEENS1_47radix_sort_onesweep_sort_config_static_selectorELNS0_4arch9wavefront6targetE1EEEvSG_.has_recursion, 0
	.set _ZN7rocprim17ROCPRIM_400000_NS6detail17trampoline_kernelINS0_14default_configENS1_35radix_sort_onesweep_config_selectorIalEEZZNS1_29radix_sort_onesweep_iterationIS3_Lb0EPaS7_N6thrust23THRUST_200600_302600_NS10device_ptrIlEESB_jNS0_19identity_decomposerENS1_16block_id_wrapperIjLb1EEEEE10hipError_tT1_PNSt15iterator_traitsISG_E10value_typeET2_T3_PNSH_ISM_E10value_typeET4_T5_PSR_SS_PNS1_23onesweep_lookback_stateEbbT6_jjT7_P12ihipStream_tbENKUlT_T0_SG_SL_E_clIS7_S7_SB_SB_EEDaSZ_S10_SG_SL_EUlSZ_E_NS1_11comp_targetILNS1_3genE4ELNS1_11target_archE910ELNS1_3gpuE8ELNS1_3repE0EEENS1_47radix_sort_onesweep_sort_config_static_selectorELNS0_4arch9wavefront6targetE1EEEvSG_.has_indirect_call, 0
	.section	.AMDGPU.csdata,"",@progbits
; Kernel info:
; codeLenInByte = 0
; TotalNumSgprs: 4
; NumVgprs: 0
; ScratchSize: 0
; MemoryBound: 0
; FloatMode: 240
; IeeeMode: 1
; LDSByteSize: 0 bytes/workgroup (compile time only)
; SGPRBlocks: 0
; VGPRBlocks: 0
; NumSGPRsForWavesPerEU: 4
; NumVGPRsForWavesPerEU: 1
; Occupancy: 10
; WaveLimiterHint : 0
; COMPUTE_PGM_RSRC2:SCRATCH_EN: 0
; COMPUTE_PGM_RSRC2:USER_SGPR: 6
; COMPUTE_PGM_RSRC2:TRAP_HANDLER: 0
; COMPUTE_PGM_RSRC2:TGID_X_EN: 1
; COMPUTE_PGM_RSRC2:TGID_Y_EN: 0
; COMPUTE_PGM_RSRC2:TGID_Z_EN: 0
; COMPUTE_PGM_RSRC2:TIDIG_COMP_CNT: 0
	.section	.text._ZN7rocprim17ROCPRIM_400000_NS6detail17trampoline_kernelINS0_14default_configENS1_35radix_sort_onesweep_config_selectorIalEEZZNS1_29radix_sort_onesweep_iterationIS3_Lb0EPaS7_N6thrust23THRUST_200600_302600_NS10device_ptrIlEESB_jNS0_19identity_decomposerENS1_16block_id_wrapperIjLb1EEEEE10hipError_tT1_PNSt15iterator_traitsISG_E10value_typeET2_T3_PNSH_ISM_E10value_typeET4_T5_PSR_SS_PNS1_23onesweep_lookback_stateEbbT6_jjT7_P12ihipStream_tbENKUlT_T0_SG_SL_E_clIS7_S7_SB_SB_EEDaSZ_S10_SG_SL_EUlSZ_E_NS1_11comp_targetILNS1_3genE3ELNS1_11target_archE908ELNS1_3gpuE7ELNS1_3repE0EEENS1_47radix_sort_onesweep_sort_config_static_selectorELNS0_4arch9wavefront6targetE1EEEvSG_,"axG",@progbits,_ZN7rocprim17ROCPRIM_400000_NS6detail17trampoline_kernelINS0_14default_configENS1_35radix_sort_onesweep_config_selectorIalEEZZNS1_29radix_sort_onesweep_iterationIS3_Lb0EPaS7_N6thrust23THRUST_200600_302600_NS10device_ptrIlEESB_jNS0_19identity_decomposerENS1_16block_id_wrapperIjLb1EEEEE10hipError_tT1_PNSt15iterator_traitsISG_E10value_typeET2_T3_PNSH_ISM_E10value_typeET4_T5_PSR_SS_PNS1_23onesweep_lookback_stateEbbT6_jjT7_P12ihipStream_tbENKUlT_T0_SG_SL_E_clIS7_S7_SB_SB_EEDaSZ_S10_SG_SL_EUlSZ_E_NS1_11comp_targetILNS1_3genE3ELNS1_11target_archE908ELNS1_3gpuE7ELNS1_3repE0EEENS1_47radix_sort_onesweep_sort_config_static_selectorELNS0_4arch9wavefront6targetE1EEEvSG_,comdat
	.protected	_ZN7rocprim17ROCPRIM_400000_NS6detail17trampoline_kernelINS0_14default_configENS1_35radix_sort_onesweep_config_selectorIalEEZZNS1_29radix_sort_onesweep_iterationIS3_Lb0EPaS7_N6thrust23THRUST_200600_302600_NS10device_ptrIlEESB_jNS0_19identity_decomposerENS1_16block_id_wrapperIjLb1EEEEE10hipError_tT1_PNSt15iterator_traitsISG_E10value_typeET2_T3_PNSH_ISM_E10value_typeET4_T5_PSR_SS_PNS1_23onesweep_lookback_stateEbbT6_jjT7_P12ihipStream_tbENKUlT_T0_SG_SL_E_clIS7_S7_SB_SB_EEDaSZ_S10_SG_SL_EUlSZ_E_NS1_11comp_targetILNS1_3genE3ELNS1_11target_archE908ELNS1_3gpuE7ELNS1_3repE0EEENS1_47radix_sort_onesweep_sort_config_static_selectorELNS0_4arch9wavefront6targetE1EEEvSG_ ; -- Begin function _ZN7rocprim17ROCPRIM_400000_NS6detail17trampoline_kernelINS0_14default_configENS1_35radix_sort_onesweep_config_selectorIalEEZZNS1_29radix_sort_onesweep_iterationIS3_Lb0EPaS7_N6thrust23THRUST_200600_302600_NS10device_ptrIlEESB_jNS0_19identity_decomposerENS1_16block_id_wrapperIjLb1EEEEE10hipError_tT1_PNSt15iterator_traitsISG_E10value_typeET2_T3_PNSH_ISM_E10value_typeET4_T5_PSR_SS_PNS1_23onesweep_lookback_stateEbbT6_jjT7_P12ihipStream_tbENKUlT_T0_SG_SL_E_clIS7_S7_SB_SB_EEDaSZ_S10_SG_SL_EUlSZ_E_NS1_11comp_targetILNS1_3genE3ELNS1_11target_archE908ELNS1_3gpuE7ELNS1_3repE0EEENS1_47radix_sort_onesweep_sort_config_static_selectorELNS0_4arch9wavefront6targetE1EEEvSG_
	.globl	_ZN7rocprim17ROCPRIM_400000_NS6detail17trampoline_kernelINS0_14default_configENS1_35radix_sort_onesweep_config_selectorIalEEZZNS1_29radix_sort_onesweep_iterationIS3_Lb0EPaS7_N6thrust23THRUST_200600_302600_NS10device_ptrIlEESB_jNS0_19identity_decomposerENS1_16block_id_wrapperIjLb1EEEEE10hipError_tT1_PNSt15iterator_traitsISG_E10value_typeET2_T3_PNSH_ISM_E10value_typeET4_T5_PSR_SS_PNS1_23onesweep_lookback_stateEbbT6_jjT7_P12ihipStream_tbENKUlT_T0_SG_SL_E_clIS7_S7_SB_SB_EEDaSZ_S10_SG_SL_EUlSZ_E_NS1_11comp_targetILNS1_3genE3ELNS1_11target_archE908ELNS1_3gpuE7ELNS1_3repE0EEENS1_47radix_sort_onesweep_sort_config_static_selectorELNS0_4arch9wavefront6targetE1EEEvSG_
	.p2align	8
	.type	_ZN7rocprim17ROCPRIM_400000_NS6detail17trampoline_kernelINS0_14default_configENS1_35radix_sort_onesweep_config_selectorIalEEZZNS1_29radix_sort_onesweep_iterationIS3_Lb0EPaS7_N6thrust23THRUST_200600_302600_NS10device_ptrIlEESB_jNS0_19identity_decomposerENS1_16block_id_wrapperIjLb1EEEEE10hipError_tT1_PNSt15iterator_traitsISG_E10value_typeET2_T3_PNSH_ISM_E10value_typeET4_T5_PSR_SS_PNS1_23onesweep_lookback_stateEbbT6_jjT7_P12ihipStream_tbENKUlT_T0_SG_SL_E_clIS7_S7_SB_SB_EEDaSZ_S10_SG_SL_EUlSZ_E_NS1_11comp_targetILNS1_3genE3ELNS1_11target_archE908ELNS1_3gpuE7ELNS1_3repE0EEENS1_47radix_sort_onesweep_sort_config_static_selectorELNS0_4arch9wavefront6targetE1EEEvSG_,@function
_ZN7rocprim17ROCPRIM_400000_NS6detail17trampoline_kernelINS0_14default_configENS1_35radix_sort_onesweep_config_selectorIalEEZZNS1_29radix_sort_onesweep_iterationIS3_Lb0EPaS7_N6thrust23THRUST_200600_302600_NS10device_ptrIlEESB_jNS0_19identity_decomposerENS1_16block_id_wrapperIjLb1EEEEE10hipError_tT1_PNSt15iterator_traitsISG_E10value_typeET2_T3_PNSH_ISM_E10value_typeET4_T5_PSR_SS_PNS1_23onesweep_lookback_stateEbbT6_jjT7_P12ihipStream_tbENKUlT_T0_SG_SL_E_clIS7_S7_SB_SB_EEDaSZ_S10_SG_SL_EUlSZ_E_NS1_11comp_targetILNS1_3genE3ELNS1_11target_archE908ELNS1_3gpuE7ELNS1_3repE0EEENS1_47radix_sort_onesweep_sort_config_static_selectorELNS0_4arch9wavefront6targetE1EEEvSG_: ; @_ZN7rocprim17ROCPRIM_400000_NS6detail17trampoline_kernelINS0_14default_configENS1_35radix_sort_onesweep_config_selectorIalEEZZNS1_29radix_sort_onesweep_iterationIS3_Lb0EPaS7_N6thrust23THRUST_200600_302600_NS10device_ptrIlEESB_jNS0_19identity_decomposerENS1_16block_id_wrapperIjLb1EEEEE10hipError_tT1_PNSt15iterator_traitsISG_E10value_typeET2_T3_PNSH_ISM_E10value_typeET4_T5_PSR_SS_PNS1_23onesweep_lookback_stateEbbT6_jjT7_P12ihipStream_tbENKUlT_T0_SG_SL_E_clIS7_S7_SB_SB_EEDaSZ_S10_SG_SL_EUlSZ_E_NS1_11comp_targetILNS1_3genE3ELNS1_11target_archE908ELNS1_3gpuE7ELNS1_3repE0EEENS1_47radix_sort_onesweep_sort_config_static_selectorELNS0_4arch9wavefront6targetE1EEEvSG_
; %bb.0:
	.section	.rodata,"a",@progbits
	.p2align	6, 0x0
	.amdhsa_kernel _ZN7rocprim17ROCPRIM_400000_NS6detail17trampoline_kernelINS0_14default_configENS1_35radix_sort_onesweep_config_selectorIalEEZZNS1_29radix_sort_onesweep_iterationIS3_Lb0EPaS7_N6thrust23THRUST_200600_302600_NS10device_ptrIlEESB_jNS0_19identity_decomposerENS1_16block_id_wrapperIjLb1EEEEE10hipError_tT1_PNSt15iterator_traitsISG_E10value_typeET2_T3_PNSH_ISM_E10value_typeET4_T5_PSR_SS_PNS1_23onesweep_lookback_stateEbbT6_jjT7_P12ihipStream_tbENKUlT_T0_SG_SL_E_clIS7_S7_SB_SB_EEDaSZ_S10_SG_SL_EUlSZ_E_NS1_11comp_targetILNS1_3genE3ELNS1_11target_archE908ELNS1_3gpuE7ELNS1_3repE0EEENS1_47radix_sort_onesweep_sort_config_static_selectorELNS0_4arch9wavefront6targetE1EEEvSG_
		.amdhsa_group_segment_fixed_size 0
		.amdhsa_private_segment_fixed_size 0
		.amdhsa_kernarg_size 88
		.amdhsa_user_sgpr_count 6
		.amdhsa_user_sgpr_private_segment_buffer 1
		.amdhsa_user_sgpr_dispatch_ptr 0
		.amdhsa_user_sgpr_queue_ptr 0
		.amdhsa_user_sgpr_kernarg_segment_ptr 1
		.amdhsa_user_sgpr_dispatch_id 0
		.amdhsa_user_sgpr_flat_scratch_init 0
		.amdhsa_user_sgpr_private_segment_size 0
		.amdhsa_uses_dynamic_stack 0
		.amdhsa_system_sgpr_private_segment_wavefront_offset 0
		.amdhsa_system_sgpr_workgroup_id_x 1
		.amdhsa_system_sgpr_workgroup_id_y 0
		.amdhsa_system_sgpr_workgroup_id_z 0
		.amdhsa_system_sgpr_workgroup_info 0
		.amdhsa_system_vgpr_workitem_id 0
		.amdhsa_next_free_vgpr 1
		.amdhsa_next_free_sgpr 0
		.amdhsa_reserve_vcc 0
		.amdhsa_reserve_flat_scratch 0
		.amdhsa_float_round_mode_32 0
		.amdhsa_float_round_mode_16_64 0
		.amdhsa_float_denorm_mode_32 3
		.amdhsa_float_denorm_mode_16_64 3
		.amdhsa_dx10_clamp 1
		.amdhsa_ieee_mode 1
		.amdhsa_fp16_overflow 0
		.amdhsa_exception_fp_ieee_invalid_op 0
		.amdhsa_exception_fp_denorm_src 0
		.amdhsa_exception_fp_ieee_div_zero 0
		.amdhsa_exception_fp_ieee_overflow 0
		.amdhsa_exception_fp_ieee_underflow 0
		.amdhsa_exception_fp_ieee_inexact 0
		.amdhsa_exception_int_div_zero 0
	.end_amdhsa_kernel
	.section	.text._ZN7rocprim17ROCPRIM_400000_NS6detail17trampoline_kernelINS0_14default_configENS1_35radix_sort_onesweep_config_selectorIalEEZZNS1_29radix_sort_onesweep_iterationIS3_Lb0EPaS7_N6thrust23THRUST_200600_302600_NS10device_ptrIlEESB_jNS0_19identity_decomposerENS1_16block_id_wrapperIjLb1EEEEE10hipError_tT1_PNSt15iterator_traitsISG_E10value_typeET2_T3_PNSH_ISM_E10value_typeET4_T5_PSR_SS_PNS1_23onesweep_lookback_stateEbbT6_jjT7_P12ihipStream_tbENKUlT_T0_SG_SL_E_clIS7_S7_SB_SB_EEDaSZ_S10_SG_SL_EUlSZ_E_NS1_11comp_targetILNS1_3genE3ELNS1_11target_archE908ELNS1_3gpuE7ELNS1_3repE0EEENS1_47radix_sort_onesweep_sort_config_static_selectorELNS0_4arch9wavefront6targetE1EEEvSG_,"axG",@progbits,_ZN7rocprim17ROCPRIM_400000_NS6detail17trampoline_kernelINS0_14default_configENS1_35radix_sort_onesweep_config_selectorIalEEZZNS1_29radix_sort_onesweep_iterationIS3_Lb0EPaS7_N6thrust23THRUST_200600_302600_NS10device_ptrIlEESB_jNS0_19identity_decomposerENS1_16block_id_wrapperIjLb1EEEEE10hipError_tT1_PNSt15iterator_traitsISG_E10value_typeET2_T3_PNSH_ISM_E10value_typeET4_T5_PSR_SS_PNS1_23onesweep_lookback_stateEbbT6_jjT7_P12ihipStream_tbENKUlT_T0_SG_SL_E_clIS7_S7_SB_SB_EEDaSZ_S10_SG_SL_EUlSZ_E_NS1_11comp_targetILNS1_3genE3ELNS1_11target_archE908ELNS1_3gpuE7ELNS1_3repE0EEENS1_47radix_sort_onesweep_sort_config_static_selectorELNS0_4arch9wavefront6targetE1EEEvSG_,comdat
.Lfunc_end605:
	.size	_ZN7rocprim17ROCPRIM_400000_NS6detail17trampoline_kernelINS0_14default_configENS1_35radix_sort_onesweep_config_selectorIalEEZZNS1_29radix_sort_onesweep_iterationIS3_Lb0EPaS7_N6thrust23THRUST_200600_302600_NS10device_ptrIlEESB_jNS0_19identity_decomposerENS1_16block_id_wrapperIjLb1EEEEE10hipError_tT1_PNSt15iterator_traitsISG_E10value_typeET2_T3_PNSH_ISM_E10value_typeET4_T5_PSR_SS_PNS1_23onesweep_lookback_stateEbbT6_jjT7_P12ihipStream_tbENKUlT_T0_SG_SL_E_clIS7_S7_SB_SB_EEDaSZ_S10_SG_SL_EUlSZ_E_NS1_11comp_targetILNS1_3genE3ELNS1_11target_archE908ELNS1_3gpuE7ELNS1_3repE0EEENS1_47radix_sort_onesweep_sort_config_static_selectorELNS0_4arch9wavefront6targetE1EEEvSG_, .Lfunc_end605-_ZN7rocprim17ROCPRIM_400000_NS6detail17trampoline_kernelINS0_14default_configENS1_35radix_sort_onesweep_config_selectorIalEEZZNS1_29radix_sort_onesweep_iterationIS3_Lb0EPaS7_N6thrust23THRUST_200600_302600_NS10device_ptrIlEESB_jNS0_19identity_decomposerENS1_16block_id_wrapperIjLb1EEEEE10hipError_tT1_PNSt15iterator_traitsISG_E10value_typeET2_T3_PNSH_ISM_E10value_typeET4_T5_PSR_SS_PNS1_23onesweep_lookback_stateEbbT6_jjT7_P12ihipStream_tbENKUlT_T0_SG_SL_E_clIS7_S7_SB_SB_EEDaSZ_S10_SG_SL_EUlSZ_E_NS1_11comp_targetILNS1_3genE3ELNS1_11target_archE908ELNS1_3gpuE7ELNS1_3repE0EEENS1_47radix_sort_onesweep_sort_config_static_selectorELNS0_4arch9wavefront6targetE1EEEvSG_
                                        ; -- End function
	.set _ZN7rocprim17ROCPRIM_400000_NS6detail17trampoline_kernelINS0_14default_configENS1_35radix_sort_onesweep_config_selectorIalEEZZNS1_29radix_sort_onesweep_iterationIS3_Lb0EPaS7_N6thrust23THRUST_200600_302600_NS10device_ptrIlEESB_jNS0_19identity_decomposerENS1_16block_id_wrapperIjLb1EEEEE10hipError_tT1_PNSt15iterator_traitsISG_E10value_typeET2_T3_PNSH_ISM_E10value_typeET4_T5_PSR_SS_PNS1_23onesweep_lookback_stateEbbT6_jjT7_P12ihipStream_tbENKUlT_T0_SG_SL_E_clIS7_S7_SB_SB_EEDaSZ_S10_SG_SL_EUlSZ_E_NS1_11comp_targetILNS1_3genE3ELNS1_11target_archE908ELNS1_3gpuE7ELNS1_3repE0EEENS1_47radix_sort_onesweep_sort_config_static_selectorELNS0_4arch9wavefront6targetE1EEEvSG_.num_vgpr, 0
	.set _ZN7rocprim17ROCPRIM_400000_NS6detail17trampoline_kernelINS0_14default_configENS1_35radix_sort_onesweep_config_selectorIalEEZZNS1_29radix_sort_onesweep_iterationIS3_Lb0EPaS7_N6thrust23THRUST_200600_302600_NS10device_ptrIlEESB_jNS0_19identity_decomposerENS1_16block_id_wrapperIjLb1EEEEE10hipError_tT1_PNSt15iterator_traitsISG_E10value_typeET2_T3_PNSH_ISM_E10value_typeET4_T5_PSR_SS_PNS1_23onesweep_lookback_stateEbbT6_jjT7_P12ihipStream_tbENKUlT_T0_SG_SL_E_clIS7_S7_SB_SB_EEDaSZ_S10_SG_SL_EUlSZ_E_NS1_11comp_targetILNS1_3genE3ELNS1_11target_archE908ELNS1_3gpuE7ELNS1_3repE0EEENS1_47radix_sort_onesweep_sort_config_static_selectorELNS0_4arch9wavefront6targetE1EEEvSG_.num_agpr, 0
	.set _ZN7rocprim17ROCPRIM_400000_NS6detail17trampoline_kernelINS0_14default_configENS1_35radix_sort_onesweep_config_selectorIalEEZZNS1_29radix_sort_onesweep_iterationIS3_Lb0EPaS7_N6thrust23THRUST_200600_302600_NS10device_ptrIlEESB_jNS0_19identity_decomposerENS1_16block_id_wrapperIjLb1EEEEE10hipError_tT1_PNSt15iterator_traitsISG_E10value_typeET2_T3_PNSH_ISM_E10value_typeET4_T5_PSR_SS_PNS1_23onesweep_lookback_stateEbbT6_jjT7_P12ihipStream_tbENKUlT_T0_SG_SL_E_clIS7_S7_SB_SB_EEDaSZ_S10_SG_SL_EUlSZ_E_NS1_11comp_targetILNS1_3genE3ELNS1_11target_archE908ELNS1_3gpuE7ELNS1_3repE0EEENS1_47radix_sort_onesweep_sort_config_static_selectorELNS0_4arch9wavefront6targetE1EEEvSG_.numbered_sgpr, 0
	.set _ZN7rocprim17ROCPRIM_400000_NS6detail17trampoline_kernelINS0_14default_configENS1_35radix_sort_onesweep_config_selectorIalEEZZNS1_29radix_sort_onesweep_iterationIS3_Lb0EPaS7_N6thrust23THRUST_200600_302600_NS10device_ptrIlEESB_jNS0_19identity_decomposerENS1_16block_id_wrapperIjLb1EEEEE10hipError_tT1_PNSt15iterator_traitsISG_E10value_typeET2_T3_PNSH_ISM_E10value_typeET4_T5_PSR_SS_PNS1_23onesweep_lookback_stateEbbT6_jjT7_P12ihipStream_tbENKUlT_T0_SG_SL_E_clIS7_S7_SB_SB_EEDaSZ_S10_SG_SL_EUlSZ_E_NS1_11comp_targetILNS1_3genE3ELNS1_11target_archE908ELNS1_3gpuE7ELNS1_3repE0EEENS1_47radix_sort_onesweep_sort_config_static_selectorELNS0_4arch9wavefront6targetE1EEEvSG_.num_named_barrier, 0
	.set _ZN7rocprim17ROCPRIM_400000_NS6detail17trampoline_kernelINS0_14default_configENS1_35radix_sort_onesweep_config_selectorIalEEZZNS1_29radix_sort_onesweep_iterationIS3_Lb0EPaS7_N6thrust23THRUST_200600_302600_NS10device_ptrIlEESB_jNS0_19identity_decomposerENS1_16block_id_wrapperIjLb1EEEEE10hipError_tT1_PNSt15iterator_traitsISG_E10value_typeET2_T3_PNSH_ISM_E10value_typeET4_T5_PSR_SS_PNS1_23onesweep_lookback_stateEbbT6_jjT7_P12ihipStream_tbENKUlT_T0_SG_SL_E_clIS7_S7_SB_SB_EEDaSZ_S10_SG_SL_EUlSZ_E_NS1_11comp_targetILNS1_3genE3ELNS1_11target_archE908ELNS1_3gpuE7ELNS1_3repE0EEENS1_47radix_sort_onesweep_sort_config_static_selectorELNS0_4arch9wavefront6targetE1EEEvSG_.private_seg_size, 0
	.set _ZN7rocprim17ROCPRIM_400000_NS6detail17trampoline_kernelINS0_14default_configENS1_35radix_sort_onesweep_config_selectorIalEEZZNS1_29radix_sort_onesweep_iterationIS3_Lb0EPaS7_N6thrust23THRUST_200600_302600_NS10device_ptrIlEESB_jNS0_19identity_decomposerENS1_16block_id_wrapperIjLb1EEEEE10hipError_tT1_PNSt15iterator_traitsISG_E10value_typeET2_T3_PNSH_ISM_E10value_typeET4_T5_PSR_SS_PNS1_23onesweep_lookback_stateEbbT6_jjT7_P12ihipStream_tbENKUlT_T0_SG_SL_E_clIS7_S7_SB_SB_EEDaSZ_S10_SG_SL_EUlSZ_E_NS1_11comp_targetILNS1_3genE3ELNS1_11target_archE908ELNS1_3gpuE7ELNS1_3repE0EEENS1_47radix_sort_onesweep_sort_config_static_selectorELNS0_4arch9wavefront6targetE1EEEvSG_.uses_vcc, 0
	.set _ZN7rocprim17ROCPRIM_400000_NS6detail17trampoline_kernelINS0_14default_configENS1_35radix_sort_onesweep_config_selectorIalEEZZNS1_29radix_sort_onesweep_iterationIS3_Lb0EPaS7_N6thrust23THRUST_200600_302600_NS10device_ptrIlEESB_jNS0_19identity_decomposerENS1_16block_id_wrapperIjLb1EEEEE10hipError_tT1_PNSt15iterator_traitsISG_E10value_typeET2_T3_PNSH_ISM_E10value_typeET4_T5_PSR_SS_PNS1_23onesweep_lookback_stateEbbT6_jjT7_P12ihipStream_tbENKUlT_T0_SG_SL_E_clIS7_S7_SB_SB_EEDaSZ_S10_SG_SL_EUlSZ_E_NS1_11comp_targetILNS1_3genE3ELNS1_11target_archE908ELNS1_3gpuE7ELNS1_3repE0EEENS1_47radix_sort_onesweep_sort_config_static_selectorELNS0_4arch9wavefront6targetE1EEEvSG_.uses_flat_scratch, 0
	.set _ZN7rocprim17ROCPRIM_400000_NS6detail17trampoline_kernelINS0_14default_configENS1_35radix_sort_onesweep_config_selectorIalEEZZNS1_29radix_sort_onesweep_iterationIS3_Lb0EPaS7_N6thrust23THRUST_200600_302600_NS10device_ptrIlEESB_jNS0_19identity_decomposerENS1_16block_id_wrapperIjLb1EEEEE10hipError_tT1_PNSt15iterator_traitsISG_E10value_typeET2_T3_PNSH_ISM_E10value_typeET4_T5_PSR_SS_PNS1_23onesweep_lookback_stateEbbT6_jjT7_P12ihipStream_tbENKUlT_T0_SG_SL_E_clIS7_S7_SB_SB_EEDaSZ_S10_SG_SL_EUlSZ_E_NS1_11comp_targetILNS1_3genE3ELNS1_11target_archE908ELNS1_3gpuE7ELNS1_3repE0EEENS1_47radix_sort_onesweep_sort_config_static_selectorELNS0_4arch9wavefront6targetE1EEEvSG_.has_dyn_sized_stack, 0
	.set _ZN7rocprim17ROCPRIM_400000_NS6detail17trampoline_kernelINS0_14default_configENS1_35radix_sort_onesweep_config_selectorIalEEZZNS1_29radix_sort_onesweep_iterationIS3_Lb0EPaS7_N6thrust23THRUST_200600_302600_NS10device_ptrIlEESB_jNS0_19identity_decomposerENS1_16block_id_wrapperIjLb1EEEEE10hipError_tT1_PNSt15iterator_traitsISG_E10value_typeET2_T3_PNSH_ISM_E10value_typeET4_T5_PSR_SS_PNS1_23onesweep_lookback_stateEbbT6_jjT7_P12ihipStream_tbENKUlT_T0_SG_SL_E_clIS7_S7_SB_SB_EEDaSZ_S10_SG_SL_EUlSZ_E_NS1_11comp_targetILNS1_3genE3ELNS1_11target_archE908ELNS1_3gpuE7ELNS1_3repE0EEENS1_47radix_sort_onesweep_sort_config_static_selectorELNS0_4arch9wavefront6targetE1EEEvSG_.has_recursion, 0
	.set _ZN7rocprim17ROCPRIM_400000_NS6detail17trampoline_kernelINS0_14default_configENS1_35radix_sort_onesweep_config_selectorIalEEZZNS1_29radix_sort_onesweep_iterationIS3_Lb0EPaS7_N6thrust23THRUST_200600_302600_NS10device_ptrIlEESB_jNS0_19identity_decomposerENS1_16block_id_wrapperIjLb1EEEEE10hipError_tT1_PNSt15iterator_traitsISG_E10value_typeET2_T3_PNSH_ISM_E10value_typeET4_T5_PSR_SS_PNS1_23onesweep_lookback_stateEbbT6_jjT7_P12ihipStream_tbENKUlT_T0_SG_SL_E_clIS7_S7_SB_SB_EEDaSZ_S10_SG_SL_EUlSZ_E_NS1_11comp_targetILNS1_3genE3ELNS1_11target_archE908ELNS1_3gpuE7ELNS1_3repE0EEENS1_47radix_sort_onesweep_sort_config_static_selectorELNS0_4arch9wavefront6targetE1EEEvSG_.has_indirect_call, 0
	.section	.AMDGPU.csdata,"",@progbits
; Kernel info:
; codeLenInByte = 0
; TotalNumSgprs: 4
; NumVgprs: 0
; ScratchSize: 0
; MemoryBound: 0
; FloatMode: 240
; IeeeMode: 1
; LDSByteSize: 0 bytes/workgroup (compile time only)
; SGPRBlocks: 0
; VGPRBlocks: 0
; NumSGPRsForWavesPerEU: 4
; NumVGPRsForWavesPerEU: 1
; Occupancy: 10
; WaveLimiterHint : 0
; COMPUTE_PGM_RSRC2:SCRATCH_EN: 0
; COMPUTE_PGM_RSRC2:USER_SGPR: 6
; COMPUTE_PGM_RSRC2:TRAP_HANDLER: 0
; COMPUTE_PGM_RSRC2:TGID_X_EN: 1
; COMPUTE_PGM_RSRC2:TGID_Y_EN: 0
; COMPUTE_PGM_RSRC2:TGID_Z_EN: 0
; COMPUTE_PGM_RSRC2:TIDIG_COMP_CNT: 0
	.section	.text._ZN7rocprim17ROCPRIM_400000_NS6detail17trampoline_kernelINS0_14default_configENS1_35radix_sort_onesweep_config_selectorIalEEZZNS1_29radix_sort_onesweep_iterationIS3_Lb0EPaS7_N6thrust23THRUST_200600_302600_NS10device_ptrIlEESB_jNS0_19identity_decomposerENS1_16block_id_wrapperIjLb1EEEEE10hipError_tT1_PNSt15iterator_traitsISG_E10value_typeET2_T3_PNSH_ISM_E10value_typeET4_T5_PSR_SS_PNS1_23onesweep_lookback_stateEbbT6_jjT7_P12ihipStream_tbENKUlT_T0_SG_SL_E_clIS7_S7_SB_SB_EEDaSZ_S10_SG_SL_EUlSZ_E_NS1_11comp_targetILNS1_3genE10ELNS1_11target_archE1201ELNS1_3gpuE5ELNS1_3repE0EEENS1_47radix_sort_onesweep_sort_config_static_selectorELNS0_4arch9wavefront6targetE1EEEvSG_,"axG",@progbits,_ZN7rocprim17ROCPRIM_400000_NS6detail17trampoline_kernelINS0_14default_configENS1_35radix_sort_onesweep_config_selectorIalEEZZNS1_29radix_sort_onesweep_iterationIS3_Lb0EPaS7_N6thrust23THRUST_200600_302600_NS10device_ptrIlEESB_jNS0_19identity_decomposerENS1_16block_id_wrapperIjLb1EEEEE10hipError_tT1_PNSt15iterator_traitsISG_E10value_typeET2_T3_PNSH_ISM_E10value_typeET4_T5_PSR_SS_PNS1_23onesweep_lookback_stateEbbT6_jjT7_P12ihipStream_tbENKUlT_T0_SG_SL_E_clIS7_S7_SB_SB_EEDaSZ_S10_SG_SL_EUlSZ_E_NS1_11comp_targetILNS1_3genE10ELNS1_11target_archE1201ELNS1_3gpuE5ELNS1_3repE0EEENS1_47radix_sort_onesweep_sort_config_static_selectorELNS0_4arch9wavefront6targetE1EEEvSG_,comdat
	.protected	_ZN7rocprim17ROCPRIM_400000_NS6detail17trampoline_kernelINS0_14default_configENS1_35radix_sort_onesweep_config_selectorIalEEZZNS1_29radix_sort_onesweep_iterationIS3_Lb0EPaS7_N6thrust23THRUST_200600_302600_NS10device_ptrIlEESB_jNS0_19identity_decomposerENS1_16block_id_wrapperIjLb1EEEEE10hipError_tT1_PNSt15iterator_traitsISG_E10value_typeET2_T3_PNSH_ISM_E10value_typeET4_T5_PSR_SS_PNS1_23onesweep_lookback_stateEbbT6_jjT7_P12ihipStream_tbENKUlT_T0_SG_SL_E_clIS7_S7_SB_SB_EEDaSZ_S10_SG_SL_EUlSZ_E_NS1_11comp_targetILNS1_3genE10ELNS1_11target_archE1201ELNS1_3gpuE5ELNS1_3repE0EEENS1_47radix_sort_onesweep_sort_config_static_selectorELNS0_4arch9wavefront6targetE1EEEvSG_ ; -- Begin function _ZN7rocprim17ROCPRIM_400000_NS6detail17trampoline_kernelINS0_14default_configENS1_35radix_sort_onesweep_config_selectorIalEEZZNS1_29radix_sort_onesweep_iterationIS3_Lb0EPaS7_N6thrust23THRUST_200600_302600_NS10device_ptrIlEESB_jNS0_19identity_decomposerENS1_16block_id_wrapperIjLb1EEEEE10hipError_tT1_PNSt15iterator_traitsISG_E10value_typeET2_T3_PNSH_ISM_E10value_typeET4_T5_PSR_SS_PNS1_23onesweep_lookback_stateEbbT6_jjT7_P12ihipStream_tbENKUlT_T0_SG_SL_E_clIS7_S7_SB_SB_EEDaSZ_S10_SG_SL_EUlSZ_E_NS1_11comp_targetILNS1_3genE10ELNS1_11target_archE1201ELNS1_3gpuE5ELNS1_3repE0EEENS1_47radix_sort_onesweep_sort_config_static_selectorELNS0_4arch9wavefront6targetE1EEEvSG_
	.globl	_ZN7rocprim17ROCPRIM_400000_NS6detail17trampoline_kernelINS0_14default_configENS1_35radix_sort_onesweep_config_selectorIalEEZZNS1_29radix_sort_onesweep_iterationIS3_Lb0EPaS7_N6thrust23THRUST_200600_302600_NS10device_ptrIlEESB_jNS0_19identity_decomposerENS1_16block_id_wrapperIjLb1EEEEE10hipError_tT1_PNSt15iterator_traitsISG_E10value_typeET2_T3_PNSH_ISM_E10value_typeET4_T5_PSR_SS_PNS1_23onesweep_lookback_stateEbbT6_jjT7_P12ihipStream_tbENKUlT_T0_SG_SL_E_clIS7_S7_SB_SB_EEDaSZ_S10_SG_SL_EUlSZ_E_NS1_11comp_targetILNS1_3genE10ELNS1_11target_archE1201ELNS1_3gpuE5ELNS1_3repE0EEENS1_47radix_sort_onesweep_sort_config_static_selectorELNS0_4arch9wavefront6targetE1EEEvSG_
	.p2align	8
	.type	_ZN7rocprim17ROCPRIM_400000_NS6detail17trampoline_kernelINS0_14default_configENS1_35radix_sort_onesweep_config_selectorIalEEZZNS1_29radix_sort_onesweep_iterationIS3_Lb0EPaS7_N6thrust23THRUST_200600_302600_NS10device_ptrIlEESB_jNS0_19identity_decomposerENS1_16block_id_wrapperIjLb1EEEEE10hipError_tT1_PNSt15iterator_traitsISG_E10value_typeET2_T3_PNSH_ISM_E10value_typeET4_T5_PSR_SS_PNS1_23onesweep_lookback_stateEbbT6_jjT7_P12ihipStream_tbENKUlT_T0_SG_SL_E_clIS7_S7_SB_SB_EEDaSZ_S10_SG_SL_EUlSZ_E_NS1_11comp_targetILNS1_3genE10ELNS1_11target_archE1201ELNS1_3gpuE5ELNS1_3repE0EEENS1_47radix_sort_onesweep_sort_config_static_selectorELNS0_4arch9wavefront6targetE1EEEvSG_,@function
_ZN7rocprim17ROCPRIM_400000_NS6detail17trampoline_kernelINS0_14default_configENS1_35radix_sort_onesweep_config_selectorIalEEZZNS1_29radix_sort_onesweep_iterationIS3_Lb0EPaS7_N6thrust23THRUST_200600_302600_NS10device_ptrIlEESB_jNS0_19identity_decomposerENS1_16block_id_wrapperIjLb1EEEEE10hipError_tT1_PNSt15iterator_traitsISG_E10value_typeET2_T3_PNSH_ISM_E10value_typeET4_T5_PSR_SS_PNS1_23onesweep_lookback_stateEbbT6_jjT7_P12ihipStream_tbENKUlT_T0_SG_SL_E_clIS7_S7_SB_SB_EEDaSZ_S10_SG_SL_EUlSZ_E_NS1_11comp_targetILNS1_3genE10ELNS1_11target_archE1201ELNS1_3gpuE5ELNS1_3repE0EEENS1_47radix_sort_onesweep_sort_config_static_selectorELNS0_4arch9wavefront6targetE1EEEvSG_: ; @_ZN7rocprim17ROCPRIM_400000_NS6detail17trampoline_kernelINS0_14default_configENS1_35radix_sort_onesweep_config_selectorIalEEZZNS1_29radix_sort_onesweep_iterationIS3_Lb0EPaS7_N6thrust23THRUST_200600_302600_NS10device_ptrIlEESB_jNS0_19identity_decomposerENS1_16block_id_wrapperIjLb1EEEEE10hipError_tT1_PNSt15iterator_traitsISG_E10value_typeET2_T3_PNSH_ISM_E10value_typeET4_T5_PSR_SS_PNS1_23onesweep_lookback_stateEbbT6_jjT7_P12ihipStream_tbENKUlT_T0_SG_SL_E_clIS7_S7_SB_SB_EEDaSZ_S10_SG_SL_EUlSZ_E_NS1_11comp_targetILNS1_3genE10ELNS1_11target_archE1201ELNS1_3gpuE5ELNS1_3repE0EEENS1_47radix_sort_onesweep_sort_config_static_selectorELNS0_4arch9wavefront6targetE1EEEvSG_
; %bb.0:
	.section	.rodata,"a",@progbits
	.p2align	6, 0x0
	.amdhsa_kernel _ZN7rocprim17ROCPRIM_400000_NS6detail17trampoline_kernelINS0_14default_configENS1_35radix_sort_onesweep_config_selectorIalEEZZNS1_29radix_sort_onesweep_iterationIS3_Lb0EPaS7_N6thrust23THRUST_200600_302600_NS10device_ptrIlEESB_jNS0_19identity_decomposerENS1_16block_id_wrapperIjLb1EEEEE10hipError_tT1_PNSt15iterator_traitsISG_E10value_typeET2_T3_PNSH_ISM_E10value_typeET4_T5_PSR_SS_PNS1_23onesweep_lookback_stateEbbT6_jjT7_P12ihipStream_tbENKUlT_T0_SG_SL_E_clIS7_S7_SB_SB_EEDaSZ_S10_SG_SL_EUlSZ_E_NS1_11comp_targetILNS1_3genE10ELNS1_11target_archE1201ELNS1_3gpuE5ELNS1_3repE0EEENS1_47radix_sort_onesweep_sort_config_static_selectorELNS0_4arch9wavefront6targetE1EEEvSG_
		.amdhsa_group_segment_fixed_size 0
		.amdhsa_private_segment_fixed_size 0
		.amdhsa_kernarg_size 88
		.amdhsa_user_sgpr_count 6
		.amdhsa_user_sgpr_private_segment_buffer 1
		.amdhsa_user_sgpr_dispatch_ptr 0
		.amdhsa_user_sgpr_queue_ptr 0
		.amdhsa_user_sgpr_kernarg_segment_ptr 1
		.amdhsa_user_sgpr_dispatch_id 0
		.amdhsa_user_sgpr_flat_scratch_init 0
		.amdhsa_user_sgpr_private_segment_size 0
		.amdhsa_uses_dynamic_stack 0
		.amdhsa_system_sgpr_private_segment_wavefront_offset 0
		.amdhsa_system_sgpr_workgroup_id_x 1
		.amdhsa_system_sgpr_workgroup_id_y 0
		.amdhsa_system_sgpr_workgroup_id_z 0
		.amdhsa_system_sgpr_workgroup_info 0
		.amdhsa_system_vgpr_workitem_id 0
		.amdhsa_next_free_vgpr 1
		.amdhsa_next_free_sgpr 0
		.amdhsa_reserve_vcc 0
		.amdhsa_reserve_flat_scratch 0
		.amdhsa_float_round_mode_32 0
		.amdhsa_float_round_mode_16_64 0
		.amdhsa_float_denorm_mode_32 3
		.amdhsa_float_denorm_mode_16_64 3
		.amdhsa_dx10_clamp 1
		.amdhsa_ieee_mode 1
		.amdhsa_fp16_overflow 0
		.amdhsa_exception_fp_ieee_invalid_op 0
		.amdhsa_exception_fp_denorm_src 0
		.amdhsa_exception_fp_ieee_div_zero 0
		.amdhsa_exception_fp_ieee_overflow 0
		.amdhsa_exception_fp_ieee_underflow 0
		.amdhsa_exception_fp_ieee_inexact 0
		.amdhsa_exception_int_div_zero 0
	.end_amdhsa_kernel
	.section	.text._ZN7rocprim17ROCPRIM_400000_NS6detail17trampoline_kernelINS0_14default_configENS1_35radix_sort_onesweep_config_selectorIalEEZZNS1_29radix_sort_onesweep_iterationIS3_Lb0EPaS7_N6thrust23THRUST_200600_302600_NS10device_ptrIlEESB_jNS0_19identity_decomposerENS1_16block_id_wrapperIjLb1EEEEE10hipError_tT1_PNSt15iterator_traitsISG_E10value_typeET2_T3_PNSH_ISM_E10value_typeET4_T5_PSR_SS_PNS1_23onesweep_lookback_stateEbbT6_jjT7_P12ihipStream_tbENKUlT_T0_SG_SL_E_clIS7_S7_SB_SB_EEDaSZ_S10_SG_SL_EUlSZ_E_NS1_11comp_targetILNS1_3genE10ELNS1_11target_archE1201ELNS1_3gpuE5ELNS1_3repE0EEENS1_47radix_sort_onesweep_sort_config_static_selectorELNS0_4arch9wavefront6targetE1EEEvSG_,"axG",@progbits,_ZN7rocprim17ROCPRIM_400000_NS6detail17trampoline_kernelINS0_14default_configENS1_35radix_sort_onesweep_config_selectorIalEEZZNS1_29radix_sort_onesweep_iterationIS3_Lb0EPaS7_N6thrust23THRUST_200600_302600_NS10device_ptrIlEESB_jNS0_19identity_decomposerENS1_16block_id_wrapperIjLb1EEEEE10hipError_tT1_PNSt15iterator_traitsISG_E10value_typeET2_T3_PNSH_ISM_E10value_typeET4_T5_PSR_SS_PNS1_23onesweep_lookback_stateEbbT6_jjT7_P12ihipStream_tbENKUlT_T0_SG_SL_E_clIS7_S7_SB_SB_EEDaSZ_S10_SG_SL_EUlSZ_E_NS1_11comp_targetILNS1_3genE10ELNS1_11target_archE1201ELNS1_3gpuE5ELNS1_3repE0EEENS1_47radix_sort_onesweep_sort_config_static_selectorELNS0_4arch9wavefront6targetE1EEEvSG_,comdat
.Lfunc_end606:
	.size	_ZN7rocprim17ROCPRIM_400000_NS6detail17trampoline_kernelINS0_14default_configENS1_35radix_sort_onesweep_config_selectorIalEEZZNS1_29radix_sort_onesweep_iterationIS3_Lb0EPaS7_N6thrust23THRUST_200600_302600_NS10device_ptrIlEESB_jNS0_19identity_decomposerENS1_16block_id_wrapperIjLb1EEEEE10hipError_tT1_PNSt15iterator_traitsISG_E10value_typeET2_T3_PNSH_ISM_E10value_typeET4_T5_PSR_SS_PNS1_23onesweep_lookback_stateEbbT6_jjT7_P12ihipStream_tbENKUlT_T0_SG_SL_E_clIS7_S7_SB_SB_EEDaSZ_S10_SG_SL_EUlSZ_E_NS1_11comp_targetILNS1_3genE10ELNS1_11target_archE1201ELNS1_3gpuE5ELNS1_3repE0EEENS1_47radix_sort_onesweep_sort_config_static_selectorELNS0_4arch9wavefront6targetE1EEEvSG_, .Lfunc_end606-_ZN7rocprim17ROCPRIM_400000_NS6detail17trampoline_kernelINS0_14default_configENS1_35radix_sort_onesweep_config_selectorIalEEZZNS1_29radix_sort_onesweep_iterationIS3_Lb0EPaS7_N6thrust23THRUST_200600_302600_NS10device_ptrIlEESB_jNS0_19identity_decomposerENS1_16block_id_wrapperIjLb1EEEEE10hipError_tT1_PNSt15iterator_traitsISG_E10value_typeET2_T3_PNSH_ISM_E10value_typeET4_T5_PSR_SS_PNS1_23onesweep_lookback_stateEbbT6_jjT7_P12ihipStream_tbENKUlT_T0_SG_SL_E_clIS7_S7_SB_SB_EEDaSZ_S10_SG_SL_EUlSZ_E_NS1_11comp_targetILNS1_3genE10ELNS1_11target_archE1201ELNS1_3gpuE5ELNS1_3repE0EEENS1_47radix_sort_onesweep_sort_config_static_selectorELNS0_4arch9wavefront6targetE1EEEvSG_
                                        ; -- End function
	.set _ZN7rocprim17ROCPRIM_400000_NS6detail17trampoline_kernelINS0_14default_configENS1_35radix_sort_onesweep_config_selectorIalEEZZNS1_29radix_sort_onesweep_iterationIS3_Lb0EPaS7_N6thrust23THRUST_200600_302600_NS10device_ptrIlEESB_jNS0_19identity_decomposerENS1_16block_id_wrapperIjLb1EEEEE10hipError_tT1_PNSt15iterator_traitsISG_E10value_typeET2_T3_PNSH_ISM_E10value_typeET4_T5_PSR_SS_PNS1_23onesweep_lookback_stateEbbT6_jjT7_P12ihipStream_tbENKUlT_T0_SG_SL_E_clIS7_S7_SB_SB_EEDaSZ_S10_SG_SL_EUlSZ_E_NS1_11comp_targetILNS1_3genE10ELNS1_11target_archE1201ELNS1_3gpuE5ELNS1_3repE0EEENS1_47radix_sort_onesweep_sort_config_static_selectorELNS0_4arch9wavefront6targetE1EEEvSG_.num_vgpr, 0
	.set _ZN7rocprim17ROCPRIM_400000_NS6detail17trampoline_kernelINS0_14default_configENS1_35radix_sort_onesweep_config_selectorIalEEZZNS1_29radix_sort_onesweep_iterationIS3_Lb0EPaS7_N6thrust23THRUST_200600_302600_NS10device_ptrIlEESB_jNS0_19identity_decomposerENS1_16block_id_wrapperIjLb1EEEEE10hipError_tT1_PNSt15iterator_traitsISG_E10value_typeET2_T3_PNSH_ISM_E10value_typeET4_T5_PSR_SS_PNS1_23onesweep_lookback_stateEbbT6_jjT7_P12ihipStream_tbENKUlT_T0_SG_SL_E_clIS7_S7_SB_SB_EEDaSZ_S10_SG_SL_EUlSZ_E_NS1_11comp_targetILNS1_3genE10ELNS1_11target_archE1201ELNS1_3gpuE5ELNS1_3repE0EEENS1_47radix_sort_onesweep_sort_config_static_selectorELNS0_4arch9wavefront6targetE1EEEvSG_.num_agpr, 0
	.set _ZN7rocprim17ROCPRIM_400000_NS6detail17trampoline_kernelINS0_14default_configENS1_35radix_sort_onesweep_config_selectorIalEEZZNS1_29radix_sort_onesweep_iterationIS3_Lb0EPaS7_N6thrust23THRUST_200600_302600_NS10device_ptrIlEESB_jNS0_19identity_decomposerENS1_16block_id_wrapperIjLb1EEEEE10hipError_tT1_PNSt15iterator_traitsISG_E10value_typeET2_T3_PNSH_ISM_E10value_typeET4_T5_PSR_SS_PNS1_23onesweep_lookback_stateEbbT6_jjT7_P12ihipStream_tbENKUlT_T0_SG_SL_E_clIS7_S7_SB_SB_EEDaSZ_S10_SG_SL_EUlSZ_E_NS1_11comp_targetILNS1_3genE10ELNS1_11target_archE1201ELNS1_3gpuE5ELNS1_3repE0EEENS1_47radix_sort_onesweep_sort_config_static_selectorELNS0_4arch9wavefront6targetE1EEEvSG_.numbered_sgpr, 0
	.set _ZN7rocprim17ROCPRIM_400000_NS6detail17trampoline_kernelINS0_14default_configENS1_35radix_sort_onesweep_config_selectorIalEEZZNS1_29radix_sort_onesweep_iterationIS3_Lb0EPaS7_N6thrust23THRUST_200600_302600_NS10device_ptrIlEESB_jNS0_19identity_decomposerENS1_16block_id_wrapperIjLb1EEEEE10hipError_tT1_PNSt15iterator_traitsISG_E10value_typeET2_T3_PNSH_ISM_E10value_typeET4_T5_PSR_SS_PNS1_23onesweep_lookback_stateEbbT6_jjT7_P12ihipStream_tbENKUlT_T0_SG_SL_E_clIS7_S7_SB_SB_EEDaSZ_S10_SG_SL_EUlSZ_E_NS1_11comp_targetILNS1_3genE10ELNS1_11target_archE1201ELNS1_3gpuE5ELNS1_3repE0EEENS1_47radix_sort_onesweep_sort_config_static_selectorELNS0_4arch9wavefront6targetE1EEEvSG_.num_named_barrier, 0
	.set _ZN7rocprim17ROCPRIM_400000_NS6detail17trampoline_kernelINS0_14default_configENS1_35radix_sort_onesweep_config_selectorIalEEZZNS1_29radix_sort_onesweep_iterationIS3_Lb0EPaS7_N6thrust23THRUST_200600_302600_NS10device_ptrIlEESB_jNS0_19identity_decomposerENS1_16block_id_wrapperIjLb1EEEEE10hipError_tT1_PNSt15iterator_traitsISG_E10value_typeET2_T3_PNSH_ISM_E10value_typeET4_T5_PSR_SS_PNS1_23onesweep_lookback_stateEbbT6_jjT7_P12ihipStream_tbENKUlT_T0_SG_SL_E_clIS7_S7_SB_SB_EEDaSZ_S10_SG_SL_EUlSZ_E_NS1_11comp_targetILNS1_3genE10ELNS1_11target_archE1201ELNS1_3gpuE5ELNS1_3repE0EEENS1_47radix_sort_onesweep_sort_config_static_selectorELNS0_4arch9wavefront6targetE1EEEvSG_.private_seg_size, 0
	.set _ZN7rocprim17ROCPRIM_400000_NS6detail17trampoline_kernelINS0_14default_configENS1_35radix_sort_onesweep_config_selectorIalEEZZNS1_29radix_sort_onesweep_iterationIS3_Lb0EPaS7_N6thrust23THRUST_200600_302600_NS10device_ptrIlEESB_jNS0_19identity_decomposerENS1_16block_id_wrapperIjLb1EEEEE10hipError_tT1_PNSt15iterator_traitsISG_E10value_typeET2_T3_PNSH_ISM_E10value_typeET4_T5_PSR_SS_PNS1_23onesweep_lookback_stateEbbT6_jjT7_P12ihipStream_tbENKUlT_T0_SG_SL_E_clIS7_S7_SB_SB_EEDaSZ_S10_SG_SL_EUlSZ_E_NS1_11comp_targetILNS1_3genE10ELNS1_11target_archE1201ELNS1_3gpuE5ELNS1_3repE0EEENS1_47radix_sort_onesweep_sort_config_static_selectorELNS0_4arch9wavefront6targetE1EEEvSG_.uses_vcc, 0
	.set _ZN7rocprim17ROCPRIM_400000_NS6detail17trampoline_kernelINS0_14default_configENS1_35radix_sort_onesweep_config_selectorIalEEZZNS1_29radix_sort_onesweep_iterationIS3_Lb0EPaS7_N6thrust23THRUST_200600_302600_NS10device_ptrIlEESB_jNS0_19identity_decomposerENS1_16block_id_wrapperIjLb1EEEEE10hipError_tT1_PNSt15iterator_traitsISG_E10value_typeET2_T3_PNSH_ISM_E10value_typeET4_T5_PSR_SS_PNS1_23onesweep_lookback_stateEbbT6_jjT7_P12ihipStream_tbENKUlT_T0_SG_SL_E_clIS7_S7_SB_SB_EEDaSZ_S10_SG_SL_EUlSZ_E_NS1_11comp_targetILNS1_3genE10ELNS1_11target_archE1201ELNS1_3gpuE5ELNS1_3repE0EEENS1_47radix_sort_onesweep_sort_config_static_selectorELNS0_4arch9wavefront6targetE1EEEvSG_.uses_flat_scratch, 0
	.set _ZN7rocprim17ROCPRIM_400000_NS6detail17trampoline_kernelINS0_14default_configENS1_35radix_sort_onesweep_config_selectorIalEEZZNS1_29radix_sort_onesweep_iterationIS3_Lb0EPaS7_N6thrust23THRUST_200600_302600_NS10device_ptrIlEESB_jNS0_19identity_decomposerENS1_16block_id_wrapperIjLb1EEEEE10hipError_tT1_PNSt15iterator_traitsISG_E10value_typeET2_T3_PNSH_ISM_E10value_typeET4_T5_PSR_SS_PNS1_23onesweep_lookback_stateEbbT6_jjT7_P12ihipStream_tbENKUlT_T0_SG_SL_E_clIS7_S7_SB_SB_EEDaSZ_S10_SG_SL_EUlSZ_E_NS1_11comp_targetILNS1_3genE10ELNS1_11target_archE1201ELNS1_3gpuE5ELNS1_3repE0EEENS1_47radix_sort_onesweep_sort_config_static_selectorELNS0_4arch9wavefront6targetE1EEEvSG_.has_dyn_sized_stack, 0
	.set _ZN7rocprim17ROCPRIM_400000_NS6detail17trampoline_kernelINS0_14default_configENS1_35radix_sort_onesweep_config_selectorIalEEZZNS1_29radix_sort_onesweep_iterationIS3_Lb0EPaS7_N6thrust23THRUST_200600_302600_NS10device_ptrIlEESB_jNS0_19identity_decomposerENS1_16block_id_wrapperIjLb1EEEEE10hipError_tT1_PNSt15iterator_traitsISG_E10value_typeET2_T3_PNSH_ISM_E10value_typeET4_T5_PSR_SS_PNS1_23onesweep_lookback_stateEbbT6_jjT7_P12ihipStream_tbENKUlT_T0_SG_SL_E_clIS7_S7_SB_SB_EEDaSZ_S10_SG_SL_EUlSZ_E_NS1_11comp_targetILNS1_3genE10ELNS1_11target_archE1201ELNS1_3gpuE5ELNS1_3repE0EEENS1_47radix_sort_onesweep_sort_config_static_selectorELNS0_4arch9wavefront6targetE1EEEvSG_.has_recursion, 0
	.set _ZN7rocprim17ROCPRIM_400000_NS6detail17trampoline_kernelINS0_14default_configENS1_35radix_sort_onesweep_config_selectorIalEEZZNS1_29radix_sort_onesweep_iterationIS3_Lb0EPaS7_N6thrust23THRUST_200600_302600_NS10device_ptrIlEESB_jNS0_19identity_decomposerENS1_16block_id_wrapperIjLb1EEEEE10hipError_tT1_PNSt15iterator_traitsISG_E10value_typeET2_T3_PNSH_ISM_E10value_typeET4_T5_PSR_SS_PNS1_23onesweep_lookback_stateEbbT6_jjT7_P12ihipStream_tbENKUlT_T0_SG_SL_E_clIS7_S7_SB_SB_EEDaSZ_S10_SG_SL_EUlSZ_E_NS1_11comp_targetILNS1_3genE10ELNS1_11target_archE1201ELNS1_3gpuE5ELNS1_3repE0EEENS1_47radix_sort_onesweep_sort_config_static_selectorELNS0_4arch9wavefront6targetE1EEEvSG_.has_indirect_call, 0
	.section	.AMDGPU.csdata,"",@progbits
; Kernel info:
; codeLenInByte = 0
; TotalNumSgprs: 4
; NumVgprs: 0
; ScratchSize: 0
; MemoryBound: 0
; FloatMode: 240
; IeeeMode: 1
; LDSByteSize: 0 bytes/workgroup (compile time only)
; SGPRBlocks: 0
; VGPRBlocks: 0
; NumSGPRsForWavesPerEU: 4
; NumVGPRsForWavesPerEU: 1
; Occupancy: 10
; WaveLimiterHint : 0
; COMPUTE_PGM_RSRC2:SCRATCH_EN: 0
; COMPUTE_PGM_RSRC2:USER_SGPR: 6
; COMPUTE_PGM_RSRC2:TRAP_HANDLER: 0
; COMPUTE_PGM_RSRC2:TGID_X_EN: 1
; COMPUTE_PGM_RSRC2:TGID_Y_EN: 0
; COMPUTE_PGM_RSRC2:TGID_Z_EN: 0
; COMPUTE_PGM_RSRC2:TIDIG_COMP_CNT: 0
	.section	.text._ZN7rocprim17ROCPRIM_400000_NS6detail17trampoline_kernelINS0_14default_configENS1_35radix_sort_onesweep_config_selectorIalEEZZNS1_29radix_sort_onesweep_iterationIS3_Lb0EPaS7_N6thrust23THRUST_200600_302600_NS10device_ptrIlEESB_jNS0_19identity_decomposerENS1_16block_id_wrapperIjLb1EEEEE10hipError_tT1_PNSt15iterator_traitsISG_E10value_typeET2_T3_PNSH_ISM_E10value_typeET4_T5_PSR_SS_PNS1_23onesweep_lookback_stateEbbT6_jjT7_P12ihipStream_tbENKUlT_T0_SG_SL_E_clIS7_S7_SB_SB_EEDaSZ_S10_SG_SL_EUlSZ_E_NS1_11comp_targetILNS1_3genE9ELNS1_11target_archE1100ELNS1_3gpuE3ELNS1_3repE0EEENS1_47radix_sort_onesweep_sort_config_static_selectorELNS0_4arch9wavefront6targetE1EEEvSG_,"axG",@progbits,_ZN7rocprim17ROCPRIM_400000_NS6detail17trampoline_kernelINS0_14default_configENS1_35radix_sort_onesweep_config_selectorIalEEZZNS1_29radix_sort_onesweep_iterationIS3_Lb0EPaS7_N6thrust23THRUST_200600_302600_NS10device_ptrIlEESB_jNS0_19identity_decomposerENS1_16block_id_wrapperIjLb1EEEEE10hipError_tT1_PNSt15iterator_traitsISG_E10value_typeET2_T3_PNSH_ISM_E10value_typeET4_T5_PSR_SS_PNS1_23onesweep_lookback_stateEbbT6_jjT7_P12ihipStream_tbENKUlT_T0_SG_SL_E_clIS7_S7_SB_SB_EEDaSZ_S10_SG_SL_EUlSZ_E_NS1_11comp_targetILNS1_3genE9ELNS1_11target_archE1100ELNS1_3gpuE3ELNS1_3repE0EEENS1_47radix_sort_onesweep_sort_config_static_selectorELNS0_4arch9wavefront6targetE1EEEvSG_,comdat
	.protected	_ZN7rocprim17ROCPRIM_400000_NS6detail17trampoline_kernelINS0_14default_configENS1_35radix_sort_onesweep_config_selectorIalEEZZNS1_29radix_sort_onesweep_iterationIS3_Lb0EPaS7_N6thrust23THRUST_200600_302600_NS10device_ptrIlEESB_jNS0_19identity_decomposerENS1_16block_id_wrapperIjLb1EEEEE10hipError_tT1_PNSt15iterator_traitsISG_E10value_typeET2_T3_PNSH_ISM_E10value_typeET4_T5_PSR_SS_PNS1_23onesweep_lookback_stateEbbT6_jjT7_P12ihipStream_tbENKUlT_T0_SG_SL_E_clIS7_S7_SB_SB_EEDaSZ_S10_SG_SL_EUlSZ_E_NS1_11comp_targetILNS1_3genE9ELNS1_11target_archE1100ELNS1_3gpuE3ELNS1_3repE0EEENS1_47radix_sort_onesweep_sort_config_static_selectorELNS0_4arch9wavefront6targetE1EEEvSG_ ; -- Begin function _ZN7rocprim17ROCPRIM_400000_NS6detail17trampoline_kernelINS0_14default_configENS1_35radix_sort_onesweep_config_selectorIalEEZZNS1_29radix_sort_onesweep_iterationIS3_Lb0EPaS7_N6thrust23THRUST_200600_302600_NS10device_ptrIlEESB_jNS0_19identity_decomposerENS1_16block_id_wrapperIjLb1EEEEE10hipError_tT1_PNSt15iterator_traitsISG_E10value_typeET2_T3_PNSH_ISM_E10value_typeET4_T5_PSR_SS_PNS1_23onesweep_lookback_stateEbbT6_jjT7_P12ihipStream_tbENKUlT_T0_SG_SL_E_clIS7_S7_SB_SB_EEDaSZ_S10_SG_SL_EUlSZ_E_NS1_11comp_targetILNS1_3genE9ELNS1_11target_archE1100ELNS1_3gpuE3ELNS1_3repE0EEENS1_47radix_sort_onesweep_sort_config_static_selectorELNS0_4arch9wavefront6targetE1EEEvSG_
	.globl	_ZN7rocprim17ROCPRIM_400000_NS6detail17trampoline_kernelINS0_14default_configENS1_35radix_sort_onesweep_config_selectorIalEEZZNS1_29radix_sort_onesweep_iterationIS3_Lb0EPaS7_N6thrust23THRUST_200600_302600_NS10device_ptrIlEESB_jNS0_19identity_decomposerENS1_16block_id_wrapperIjLb1EEEEE10hipError_tT1_PNSt15iterator_traitsISG_E10value_typeET2_T3_PNSH_ISM_E10value_typeET4_T5_PSR_SS_PNS1_23onesweep_lookback_stateEbbT6_jjT7_P12ihipStream_tbENKUlT_T0_SG_SL_E_clIS7_S7_SB_SB_EEDaSZ_S10_SG_SL_EUlSZ_E_NS1_11comp_targetILNS1_3genE9ELNS1_11target_archE1100ELNS1_3gpuE3ELNS1_3repE0EEENS1_47radix_sort_onesweep_sort_config_static_selectorELNS0_4arch9wavefront6targetE1EEEvSG_
	.p2align	8
	.type	_ZN7rocprim17ROCPRIM_400000_NS6detail17trampoline_kernelINS0_14default_configENS1_35radix_sort_onesweep_config_selectorIalEEZZNS1_29radix_sort_onesweep_iterationIS3_Lb0EPaS7_N6thrust23THRUST_200600_302600_NS10device_ptrIlEESB_jNS0_19identity_decomposerENS1_16block_id_wrapperIjLb1EEEEE10hipError_tT1_PNSt15iterator_traitsISG_E10value_typeET2_T3_PNSH_ISM_E10value_typeET4_T5_PSR_SS_PNS1_23onesweep_lookback_stateEbbT6_jjT7_P12ihipStream_tbENKUlT_T0_SG_SL_E_clIS7_S7_SB_SB_EEDaSZ_S10_SG_SL_EUlSZ_E_NS1_11comp_targetILNS1_3genE9ELNS1_11target_archE1100ELNS1_3gpuE3ELNS1_3repE0EEENS1_47radix_sort_onesweep_sort_config_static_selectorELNS0_4arch9wavefront6targetE1EEEvSG_,@function
_ZN7rocprim17ROCPRIM_400000_NS6detail17trampoline_kernelINS0_14default_configENS1_35radix_sort_onesweep_config_selectorIalEEZZNS1_29radix_sort_onesweep_iterationIS3_Lb0EPaS7_N6thrust23THRUST_200600_302600_NS10device_ptrIlEESB_jNS0_19identity_decomposerENS1_16block_id_wrapperIjLb1EEEEE10hipError_tT1_PNSt15iterator_traitsISG_E10value_typeET2_T3_PNSH_ISM_E10value_typeET4_T5_PSR_SS_PNS1_23onesweep_lookback_stateEbbT6_jjT7_P12ihipStream_tbENKUlT_T0_SG_SL_E_clIS7_S7_SB_SB_EEDaSZ_S10_SG_SL_EUlSZ_E_NS1_11comp_targetILNS1_3genE9ELNS1_11target_archE1100ELNS1_3gpuE3ELNS1_3repE0EEENS1_47radix_sort_onesweep_sort_config_static_selectorELNS0_4arch9wavefront6targetE1EEEvSG_: ; @_ZN7rocprim17ROCPRIM_400000_NS6detail17trampoline_kernelINS0_14default_configENS1_35radix_sort_onesweep_config_selectorIalEEZZNS1_29radix_sort_onesweep_iterationIS3_Lb0EPaS7_N6thrust23THRUST_200600_302600_NS10device_ptrIlEESB_jNS0_19identity_decomposerENS1_16block_id_wrapperIjLb1EEEEE10hipError_tT1_PNSt15iterator_traitsISG_E10value_typeET2_T3_PNSH_ISM_E10value_typeET4_T5_PSR_SS_PNS1_23onesweep_lookback_stateEbbT6_jjT7_P12ihipStream_tbENKUlT_T0_SG_SL_E_clIS7_S7_SB_SB_EEDaSZ_S10_SG_SL_EUlSZ_E_NS1_11comp_targetILNS1_3genE9ELNS1_11target_archE1100ELNS1_3gpuE3ELNS1_3repE0EEENS1_47radix_sort_onesweep_sort_config_static_selectorELNS0_4arch9wavefront6targetE1EEEvSG_
; %bb.0:
	.section	.rodata,"a",@progbits
	.p2align	6, 0x0
	.amdhsa_kernel _ZN7rocprim17ROCPRIM_400000_NS6detail17trampoline_kernelINS0_14default_configENS1_35radix_sort_onesweep_config_selectorIalEEZZNS1_29radix_sort_onesweep_iterationIS3_Lb0EPaS7_N6thrust23THRUST_200600_302600_NS10device_ptrIlEESB_jNS0_19identity_decomposerENS1_16block_id_wrapperIjLb1EEEEE10hipError_tT1_PNSt15iterator_traitsISG_E10value_typeET2_T3_PNSH_ISM_E10value_typeET4_T5_PSR_SS_PNS1_23onesweep_lookback_stateEbbT6_jjT7_P12ihipStream_tbENKUlT_T0_SG_SL_E_clIS7_S7_SB_SB_EEDaSZ_S10_SG_SL_EUlSZ_E_NS1_11comp_targetILNS1_3genE9ELNS1_11target_archE1100ELNS1_3gpuE3ELNS1_3repE0EEENS1_47radix_sort_onesweep_sort_config_static_selectorELNS0_4arch9wavefront6targetE1EEEvSG_
		.amdhsa_group_segment_fixed_size 0
		.amdhsa_private_segment_fixed_size 0
		.amdhsa_kernarg_size 88
		.amdhsa_user_sgpr_count 6
		.amdhsa_user_sgpr_private_segment_buffer 1
		.amdhsa_user_sgpr_dispatch_ptr 0
		.amdhsa_user_sgpr_queue_ptr 0
		.amdhsa_user_sgpr_kernarg_segment_ptr 1
		.amdhsa_user_sgpr_dispatch_id 0
		.amdhsa_user_sgpr_flat_scratch_init 0
		.amdhsa_user_sgpr_private_segment_size 0
		.amdhsa_uses_dynamic_stack 0
		.amdhsa_system_sgpr_private_segment_wavefront_offset 0
		.amdhsa_system_sgpr_workgroup_id_x 1
		.amdhsa_system_sgpr_workgroup_id_y 0
		.amdhsa_system_sgpr_workgroup_id_z 0
		.amdhsa_system_sgpr_workgroup_info 0
		.amdhsa_system_vgpr_workitem_id 0
		.amdhsa_next_free_vgpr 1
		.amdhsa_next_free_sgpr 0
		.amdhsa_reserve_vcc 0
		.amdhsa_reserve_flat_scratch 0
		.amdhsa_float_round_mode_32 0
		.amdhsa_float_round_mode_16_64 0
		.amdhsa_float_denorm_mode_32 3
		.amdhsa_float_denorm_mode_16_64 3
		.amdhsa_dx10_clamp 1
		.amdhsa_ieee_mode 1
		.amdhsa_fp16_overflow 0
		.amdhsa_exception_fp_ieee_invalid_op 0
		.amdhsa_exception_fp_denorm_src 0
		.amdhsa_exception_fp_ieee_div_zero 0
		.amdhsa_exception_fp_ieee_overflow 0
		.amdhsa_exception_fp_ieee_underflow 0
		.amdhsa_exception_fp_ieee_inexact 0
		.amdhsa_exception_int_div_zero 0
	.end_amdhsa_kernel
	.section	.text._ZN7rocprim17ROCPRIM_400000_NS6detail17trampoline_kernelINS0_14default_configENS1_35radix_sort_onesweep_config_selectorIalEEZZNS1_29radix_sort_onesweep_iterationIS3_Lb0EPaS7_N6thrust23THRUST_200600_302600_NS10device_ptrIlEESB_jNS0_19identity_decomposerENS1_16block_id_wrapperIjLb1EEEEE10hipError_tT1_PNSt15iterator_traitsISG_E10value_typeET2_T3_PNSH_ISM_E10value_typeET4_T5_PSR_SS_PNS1_23onesweep_lookback_stateEbbT6_jjT7_P12ihipStream_tbENKUlT_T0_SG_SL_E_clIS7_S7_SB_SB_EEDaSZ_S10_SG_SL_EUlSZ_E_NS1_11comp_targetILNS1_3genE9ELNS1_11target_archE1100ELNS1_3gpuE3ELNS1_3repE0EEENS1_47radix_sort_onesweep_sort_config_static_selectorELNS0_4arch9wavefront6targetE1EEEvSG_,"axG",@progbits,_ZN7rocprim17ROCPRIM_400000_NS6detail17trampoline_kernelINS0_14default_configENS1_35radix_sort_onesweep_config_selectorIalEEZZNS1_29radix_sort_onesweep_iterationIS3_Lb0EPaS7_N6thrust23THRUST_200600_302600_NS10device_ptrIlEESB_jNS0_19identity_decomposerENS1_16block_id_wrapperIjLb1EEEEE10hipError_tT1_PNSt15iterator_traitsISG_E10value_typeET2_T3_PNSH_ISM_E10value_typeET4_T5_PSR_SS_PNS1_23onesweep_lookback_stateEbbT6_jjT7_P12ihipStream_tbENKUlT_T0_SG_SL_E_clIS7_S7_SB_SB_EEDaSZ_S10_SG_SL_EUlSZ_E_NS1_11comp_targetILNS1_3genE9ELNS1_11target_archE1100ELNS1_3gpuE3ELNS1_3repE0EEENS1_47radix_sort_onesweep_sort_config_static_selectorELNS0_4arch9wavefront6targetE1EEEvSG_,comdat
.Lfunc_end607:
	.size	_ZN7rocprim17ROCPRIM_400000_NS6detail17trampoline_kernelINS0_14default_configENS1_35radix_sort_onesweep_config_selectorIalEEZZNS1_29radix_sort_onesweep_iterationIS3_Lb0EPaS7_N6thrust23THRUST_200600_302600_NS10device_ptrIlEESB_jNS0_19identity_decomposerENS1_16block_id_wrapperIjLb1EEEEE10hipError_tT1_PNSt15iterator_traitsISG_E10value_typeET2_T3_PNSH_ISM_E10value_typeET4_T5_PSR_SS_PNS1_23onesweep_lookback_stateEbbT6_jjT7_P12ihipStream_tbENKUlT_T0_SG_SL_E_clIS7_S7_SB_SB_EEDaSZ_S10_SG_SL_EUlSZ_E_NS1_11comp_targetILNS1_3genE9ELNS1_11target_archE1100ELNS1_3gpuE3ELNS1_3repE0EEENS1_47radix_sort_onesweep_sort_config_static_selectorELNS0_4arch9wavefront6targetE1EEEvSG_, .Lfunc_end607-_ZN7rocprim17ROCPRIM_400000_NS6detail17trampoline_kernelINS0_14default_configENS1_35radix_sort_onesweep_config_selectorIalEEZZNS1_29radix_sort_onesweep_iterationIS3_Lb0EPaS7_N6thrust23THRUST_200600_302600_NS10device_ptrIlEESB_jNS0_19identity_decomposerENS1_16block_id_wrapperIjLb1EEEEE10hipError_tT1_PNSt15iterator_traitsISG_E10value_typeET2_T3_PNSH_ISM_E10value_typeET4_T5_PSR_SS_PNS1_23onesweep_lookback_stateEbbT6_jjT7_P12ihipStream_tbENKUlT_T0_SG_SL_E_clIS7_S7_SB_SB_EEDaSZ_S10_SG_SL_EUlSZ_E_NS1_11comp_targetILNS1_3genE9ELNS1_11target_archE1100ELNS1_3gpuE3ELNS1_3repE0EEENS1_47radix_sort_onesweep_sort_config_static_selectorELNS0_4arch9wavefront6targetE1EEEvSG_
                                        ; -- End function
	.set _ZN7rocprim17ROCPRIM_400000_NS6detail17trampoline_kernelINS0_14default_configENS1_35radix_sort_onesweep_config_selectorIalEEZZNS1_29radix_sort_onesweep_iterationIS3_Lb0EPaS7_N6thrust23THRUST_200600_302600_NS10device_ptrIlEESB_jNS0_19identity_decomposerENS1_16block_id_wrapperIjLb1EEEEE10hipError_tT1_PNSt15iterator_traitsISG_E10value_typeET2_T3_PNSH_ISM_E10value_typeET4_T5_PSR_SS_PNS1_23onesweep_lookback_stateEbbT6_jjT7_P12ihipStream_tbENKUlT_T0_SG_SL_E_clIS7_S7_SB_SB_EEDaSZ_S10_SG_SL_EUlSZ_E_NS1_11comp_targetILNS1_3genE9ELNS1_11target_archE1100ELNS1_3gpuE3ELNS1_3repE0EEENS1_47radix_sort_onesweep_sort_config_static_selectorELNS0_4arch9wavefront6targetE1EEEvSG_.num_vgpr, 0
	.set _ZN7rocprim17ROCPRIM_400000_NS6detail17trampoline_kernelINS0_14default_configENS1_35radix_sort_onesweep_config_selectorIalEEZZNS1_29radix_sort_onesweep_iterationIS3_Lb0EPaS7_N6thrust23THRUST_200600_302600_NS10device_ptrIlEESB_jNS0_19identity_decomposerENS1_16block_id_wrapperIjLb1EEEEE10hipError_tT1_PNSt15iterator_traitsISG_E10value_typeET2_T3_PNSH_ISM_E10value_typeET4_T5_PSR_SS_PNS1_23onesweep_lookback_stateEbbT6_jjT7_P12ihipStream_tbENKUlT_T0_SG_SL_E_clIS7_S7_SB_SB_EEDaSZ_S10_SG_SL_EUlSZ_E_NS1_11comp_targetILNS1_3genE9ELNS1_11target_archE1100ELNS1_3gpuE3ELNS1_3repE0EEENS1_47radix_sort_onesweep_sort_config_static_selectorELNS0_4arch9wavefront6targetE1EEEvSG_.num_agpr, 0
	.set _ZN7rocprim17ROCPRIM_400000_NS6detail17trampoline_kernelINS0_14default_configENS1_35radix_sort_onesweep_config_selectorIalEEZZNS1_29radix_sort_onesweep_iterationIS3_Lb0EPaS7_N6thrust23THRUST_200600_302600_NS10device_ptrIlEESB_jNS0_19identity_decomposerENS1_16block_id_wrapperIjLb1EEEEE10hipError_tT1_PNSt15iterator_traitsISG_E10value_typeET2_T3_PNSH_ISM_E10value_typeET4_T5_PSR_SS_PNS1_23onesweep_lookback_stateEbbT6_jjT7_P12ihipStream_tbENKUlT_T0_SG_SL_E_clIS7_S7_SB_SB_EEDaSZ_S10_SG_SL_EUlSZ_E_NS1_11comp_targetILNS1_3genE9ELNS1_11target_archE1100ELNS1_3gpuE3ELNS1_3repE0EEENS1_47radix_sort_onesweep_sort_config_static_selectorELNS0_4arch9wavefront6targetE1EEEvSG_.numbered_sgpr, 0
	.set _ZN7rocprim17ROCPRIM_400000_NS6detail17trampoline_kernelINS0_14default_configENS1_35radix_sort_onesweep_config_selectorIalEEZZNS1_29radix_sort_onesweep_iterationIS3_Lb0EPaS7_N6thrust23THRUST_200600_302600_NS10device_ptrIlEESB_jNS0_19identity_decomposerENS1_16block_id_wrapperIjLb1EEEEE10hipError_tT1_PNSt15iterator_traitsISG_E10value_typeET2_T3_PNSH_ISM_E10value_typeET4_T5_PSR_SS_PNS1_23onesweep_lookback_stateEbbT6_jjT7_P12ihipStream_tbENKUlT_T0_SG_SL_E_clIS7_S7_SB_SB_EEDaSZ_S10_SG_SL_EUlSZ_E_NS1_11comp_targetILNS1_3genE9ELNS1_11target_archE1100ELNS1_3gpuE3ELNS1_3repE0EEENS1_47radix_sort_onesweep_sort_config_static_selectorELNS0_4arch9wavefront6targetE1EEEvSG_.num_named_barrier, 0
	.set _ZN7rocprim17ROCPRIM_400000_NS6detail17trampoline_kernelINS0_14default_configENS1_35radix_sort_onesweep_config_selectorIalEEZZNS1_29radix_sort_onesweep_iterationIS3_Lb0EPaS7_N6thrust23THRUST_200600_302600_NS10device_ptrIlEESB_jNS0_19identity_decomposerENS1_16block_id_wrapperIjLb1EEEEE10hipError_tT1_PNSt15iterator_traitsISG_E10value_typeET2_T3_PNSH_ISM_E10value_typeET4_T5_PSR_SS_PNS1_23onesweep_lookback_stateEbbT6_jjT7_P12ihipStream_tbENKUlT_T0_SG_SL_E_clIS7_S7_SB_SB_EEDaSZ_S10_SG_SL_EUlSZ_E_NS1_11comp_targetILNS1_3genE9ELNS1_11target_archE1100ELNS1_3gpuE3ELNS1_3repE0EEENS1_47radix_sort_onesweep_sort_config_static_selectorELNS0_4arch9wavefront6targetE1EEEvSG_.private_seg_size, 0
	.set _ZN7rocprim17ROCPRIM_400000_NS6detail17trampoline_kernelINS0_14default_configENS1_35radix_sort_onesweep_config_selectorIalEEZZNS1_29radix_sort_onesweep_iterationIS3_Lb0EPaS7_N6thrust23THRUST_200600_302600_NS10device_ptrIlEESB_jNS0_19identity_decomposerENS1_16block_id_wrapperIjLb1EEEEE10hipError_tT1_PNSt15iterator_traitsISG_E10value_typeET2_T3_PNSH_ISM_E10value_typeET4_T5_PSR_SS_PNS1_23onesweep_lookback_stateEbbT6_jjT7_P12ihipStream_tbENKUlT_T0_SG_SL_E_clIS7_S7_SB_SB_EEDaSZ_S10_SG_SL_EUlSZ_E_NS1_11comp_targetILNS1_3genE9ELNS1_11target_archE1100ELNS1_3gpuE3ELNS1_3repE0EEENS1_47radix_sort_onesweep_sort_config_static_selectorELNS0_4arch9wavefront6targetE1EEEvSG_.uses_vcc, 0
	.set _ZN7rocprim17ROCPRIM_400000_NS6detail17trampoline_kernelINS0_14default_configENS1_35radix_sort_onesweep_config_selectorIalEEZZNS1_29radix_sort_onesweep_iterationIS3_Lb0EPaS7_N6thrust23THRUST_200600_302600_NS10device_ptrIlEESB_jNS0_19identity_decomposerENS1_16block_id_wrapperIjLb1EEEEE10hipError_tT1_PNSt15iterator_traitsISG_E10value_typeET2_T3_PNSH_ISM_E10value_typeET4_T5_PSR_SS_PNS1_23onesweep_lookback_stateEbbT6_jjT7_P12ihipStream_tbENKUlT_T0_SG_SL_E_clIS7_S7_SB_SB_EEDaSZ_S10_SG_SL_EUlSZ_E_NS1_11comp_targetILNS1_3genE9ELNS1_11target_archE1100ELNS1_3gpuE3ELNS1_3repE0EEENS1_47radix_sort_onesweep_sort_config_static_selectorELNS0_4arch9wavefront6targetE1EEEvSG_.uses_flat_scratch, 0
	.set _ZN7rocprim17ROCPRIM_400000_NS6detail17trampoline_kernelINS0_14default_configENS1_35radix_sort_onesweep_config_selectorIalEEZZNS1_29radix_sort_onesweep_iterationIS3_Lb0EPaS7_N6thrust23THRUST_200600_302600_NS10device_ptrIlEESB_jNS0_19identity_decomposerENS1_16block_id_wrapperIjLb1EEEEE10hipError_tT1_PNSt15iterator_traitsISG_E10value_typeET2_T3_PNSH_ISM_E10value_typeET4_T5_PSR_SS_PNS1_23onesweep_lookback_stateEbbT6_jjT7_P12ihipStream_tbENKUlT_T0_SG_SL_E_clIS7_S7_SB_SB_EEDaSZ_S10_SG_SL_EUlSZ_E_NS1_11comp_targetILNS1_3genE9ELNS1_11target_archE1100ELNS1_3gpuE3ELNS1_3repE0EEENS1_47radix_sort_onesweep_sort_config_static_selectorELNS0_4arch9wavefront6targetE1EEEvSG_.has_dyn_sized_stack, 0
	.set _ZN7rocprim17ROCPRIM_400000_NS6detail17trampoline_kernelINS0_14default_configENS1_35radix_sort_onesweep_config_selectorIalEEZZNS1_29radix_sort_onesweep_iterationIS3_Lb0EPaS7_N6thrust23THRUST_200600_302600_NS10device_ptrIlEESB_jNS0_19identity_decomposerENS1_16block_id_wrapperIjLb1EEEEE10hipError_tT1_PNSt15iterator_traitsISG_E10value_typeET2_T3_PNSH_ISM_E10value_typeET4_T5_PSR_SS_PNS1_23onesweep_lookback_stateEbbT6_jjT7_P12ihipStream_tbENKUlT_T0_SG_SL_E_clIS7_S7_SB_SB_EEDaSZ_S10_SG_SL_EUlSZ_E_NS1_11comp_targetILNS1_3genE9ELNS1_11target_archE1100ELNS1_3gpuE3ELNS1_3repE0EEENS1_47radix_sort_onesweep_sort_config_static_selectorELNS0_4arch9wavefront6targetE1EEEvSG_.has_recursion, 0
	.set _ZN7rocprim17ROCPRIM_400000_NS6detail17trampoline_kernelINS0_14default_configENS1_35radix_sort_onesweep_config_selectorIalEEZZNS1_29radix_sort_onesweep_iterationIS3_Lb0EPaS7_N6thrust23THRUST_200600_302600_NS10device_ptrIlEESB_jNS0_19identity_decomposerENS1_16block_id_wrapperIjLb1EEEEE10hipError_tT1_PNSt15iterator_traitsISG_E10value_typeET2_T3_PNSH_ISM_E10value_typeET4_T5_PSR_SS_PNS1_23onesweep_lookback_stateEbbT6_jjT7_P12ihipStream_tbENKUlT_T0_SG_SL_E_clIS7_S7_SB_SB_EEDaSZ_S10_SG_SL_EUlSZ_E_NS1_11comp_targetILNS1_3genE9ELNS1_11target_archE1100ELNS1_3gpuE3ELNS1_3repE0EEENS1_47radix_sort_onesweep_sort_config_static_selectorELNS0_4arch9wavefront6targetE1EEEvSG_.has_indirect_call, 0
	.section	.AMDGPU.csdata,"",@progbits
; Kernel info:
; codeLenInByte = 0
; TotalNumSgprs: 4
; NumVgprs: 0
; ScratchSize: 0
; MemoryBound: 0
; FloatMode: 240
; IeeeMode: 1
; LDSByteSize: 0 bytes/workgroup (compile time only)
; SGPRBlocks: 0
; VGPRBlocks: 0
; NumSGPRsForWavesPerEU: 4
; NumVGPRsForWavesPerEU: 1
; Occupancy: 10
; WaveLimiterHint : 0
; COMPUTE_PGM_RSRC2:SCRATCH_EN: 0
; COMPUTE_PGM_RSRC2:USER_SGPR: 6
; COMPUTE_PGM_RSRC2:TRAP_HANDLER: 0
; COMPUTE_PGM_RSRC2:TGID_X_EN: 1
; COMPUTE_PGM_RSRC2:TGID_Y_EN: 0
; COMPUTE_PGM_RSRC2:TGID_Z_EN: 0
; COMPUTE_PGM_RSRC2:TIDIG_COMP_CNT: 0
	.section	.text._ZN7rocprim17ROCPRIM_400000_NS6detail17trampoline_kernelINS0_14default_configENS1_35radix_sort_onesweep_config_selectorIalEEZZNS1_29radix_sort_onesweep_iterationIS3_Lb0EPaS7_N6thrust23THRUST_200600_302600_NS10device_ptrIlEESB_jNS0_19identity_decomposerENS1_16block_id_wrapperIjLb1EEEEE10hipError_tT1_PNSt15iterator_traitsISG_E10value_typeET2_T3_PNSH_ISM_E10value_typeET4_T5_PSR_SS_PNS1_23onesweep_lookback_stateEbbT6_jjT7_P12ihipStream_tbENKUlT_T0_SG_SL_E_clIS7_S7_SB_SB_EEDaSZ_S10_SG_SL_EUlSZ_E_NS1_11comp_targetILNS1_3genE8ELNS1_11target_archE1030ELNS1_3gpuE2ELNS1_3repE0EEENS1_47radix_sort_onesweep_sort_config_static_selectorELNS0_4arch9wavefront6targetE1EEEvSG_,"axG",@progbits,_ZN7rocprim17ROCPRIM_400000_NS6detail17trampoline_kernelINS0_14default_configENS1_35radix_sort_onesweep_config_selectorIalEEZZNS1_29radix_sort_onesweep_iterationIS3_Lb0EPaS7_N6thrust23THRUST_200600_302600_NS10device_ptrIlEESB_jNS0_19identity_decomposerENS1_16block_id_wrapperIjLb1EEEEE10hipError_tT1_PNSt15iterator_traitsISG_E10value_typeET2_T3_PNSH_ISM_E10value_typeET4_T5_PSR_SS_PNS1_23onesweep_lookback_stateEbbT6_jjT7_P12ihipStream_tbENKUlT_T0_SG_SL_E_clIS7_S7_SB_SB_EEDaSZ_S10_SG_SL_EUlSZ_E_NS1_11comp_targetILNS1_3genE8ELNS1_11target_archE1030ELNS1_3gpuE2ELNS1_3repE0EEENS1_47radix_sort_onesweep_sort_config_static_selectorELNS0_4arch9wavefront6targetE1EEEvSG_,comdat
	.protected	_ZN7rocprim17ROCPRIM_400000_NS6detail17trampoline_kernelINS0_14default_configENS1_35radix_sort_onesweep_config_selectorIalEEZZNS1_29radix_sort_onesweep_iterationIS3_Lb0EPaS7_N6thrust23THRUST_200600_302600_NS10device_ptrIlEESB_jNS0_19identity_decomposerENS1_16block_id_wrapperIjLb1EEEEE10hipError_tT1_PNSt15iterator_traitsISG_E10value_typeET2_T3_PNSH_ISM_E10value_typeET4_T5_PSR_SS_PNS1_23onesweep_lookback_stateEbbT6_jjT7_P12ihipStream_tbENKUlT_T0_SG_SL_E_clIS7_S7_SB_SB_EEDaSZ_S10_SG_SL_EUlSZ_E_NS1_11comp_targetILNS1_3genE8ELNS1_11target_archE1030ELNS1_3gpuE2ELNS1_3repE0EEENS1_47radix_sort_onesweep_sort_config_static_selectorELNS0_4arch9wavefront6targetE1EEEvSG_ ; -- Begin function _ZN7rocprim17ROCPRIM_400000_NS6detail17trampoline_kernelINS0_14default_configENS1_35radix_sort_onesweep_config_selectorIalEEZZNS1_29radix_sort_onesweep_iterationIS3_Lb0EPaS7_N6thrust23THRUST_200600_302600_NS10device_ptrIlEESB_jNS0_19identity_decomposerENS1_16block_id_wrapperIjLb1EEEEE10hipError_tT1_PNSt15iterator_traitsISG_E10value_typeET2_T3_PNSH_ISM_E10value_typeET4_T5_PSR_SS_PNS1_23onesweep_lookback_stateEbbT6_jjT7_P12ihipStream_tbENKUlT_T0_SG_SL_E_clIS7_S7_SB_SB_EEDaSZ_S10_SG_SL_EUlSZ_E_NS1_11comp_targetILNS1_3genE8ELNS1_11target_archE1030ELNS1_3gpuE2ELNS1_3repE0EEENS1_47radix_sort_onesweep_sort_config_static_selectorELNS0_4arch9wavefront6targetE1EEEvSG_
	.globl	_ZN7rocprim17ROCPRIM_400000_NS6detail17trampoline_kernelINS0_14default_configENS1_35radix_sort_onesweep_config_selectorIalEEZZNS1_29radix_sort_onesweep_iterationIS3_Lb0EPaS7_N6thrust23THRUST_200600_302600_NS10device_ptrIlEESB_jNS0_19identity_decomposerENS1_16block_id_wrapperIjLb1EEEEE10hipError_tT1_PNSt15iterator_traitsISG_E10value_typeET2_T3_PNSH_ISM_E10value_typeET4_T5_PSR_SS_PNS1_23onesweep_lookback_stateEbbT6_jjT7_P12ihipStream_tbENKUlT_T0_SG_SL_E_clIS7_S7_SB_SB_EEDaSZ_S10_SG_SL_EUlSZ_E_NS1_11comp_targetILNS1_3genE8ELNS1_11target_archE1030ELNS1_3gpuE2ELNS1_3repE0EEENS1_47radix_sort_onesweep_sort_config_static_selectorELNS0_4arch9wavefront6targetE1EEEvSG_
	.p2align	8
	.type	_ZN7rocprim17ROCPRIM_400000_NS6detail17trampoline_kernelINS0_14default_configENS1_35radix_sort_onesweep_config_selectorIalEEZZNS1_29radix_sort_onesweep_iterationIS3_Lb0EPaS7_N6thrust23THRUST_200600_302600_NS10device_ptrIlEESB_jNS0_19identity_decomposerENS1_16block_id_wrapperIjLb1EEEEE10hipError_tT1_PNSt15iterator_traitsISG_E10value_typeET2_T3_PNSH_ISM_E10value_typeET4_T5_PSR_SS_PNS1_23onesweep_lookback_stateEbbT6_jjT7_P12ihipStream_tbENKUlT_T0_SG_SL_E_clIS7_S7_SB_SB_EEDaSZ_S10_SG_SL_EUlSZ_E_NS1_11comp_targetILNS1_3genE8ELNS1_11target_archE1030ELNS1_3gpuE2ELNS1_3repE0EEENS1_47radix_sort_onesweep_sort_config_static_selectorELNS0_4arch9wavefront6targetE1EEEvSG_,@function
_ZN7rocprim17ROCPRIM_400000_NS6detail17trampoline_kernelINS0_14default_configENS1_35radix_sort_onesweep_config_selectorIalEEZZNS1_29radix_sort_onesweep_iterationIS3_Lb0EPaS7_N6thrust23THRUST_200600_302600_NS10device_ptrIlEESB_jNS0_19identity_decomposerENS1_16block_id_wrapperIjLb1EEEEE10hipError_tT1_PNSt15iterator_traitsISG_E10value_typeET2_T3_PNSH_ISM_E10value_typeET4_T5_PSR_SS_PNS1_23onesweep_lookback_stateEbbT6_jjT7_P12ihipStream_tbENKUlT_T0_SG_SL_E_clIS7_S7_SB_SB_EEDaSZ_S10_SG_SL_EUlSZ_E_NS1_11comp_targetILNS1_3genE8ELNS1_11target_archE1030ELNS1_3gpuE2ELNS1_3repE0EEENS1_47radix_sort_onesweep_sort_config_static_selectorELNS0_4arch9wavefront6targetE1EEEvSG_: ; @_ZN7rocprim17ROCPRIM_400000_NS6detail17trampoline_kernelINS0_14default_configENS1_35radix_sort_onesweep_config_selectorIalEEZZNS1_29radix_sort_onesweep_iterationIS3_Lb0EPaS7_N6thrust23THRUST_200600_302600_NS10device_ptrIlEESB_jNS0_19identity_decomposerENS1_16block_id_wrapperIjLb1EEEEE10hipError_tT1_PNSt15iterator_traitsISG_E10value_typeET2_T3_PNSH_ISM_E10value_typeET4_T5_PSR_SS_PNS1_23onesweep_lookback_stateEbbT6_jjT7_P12ihipStream_tbENKUlT_T0_SG_SL_E_clIS7_S7_SB_SB_EEDaSZ_S10_SG_SL_EUlSZ_E_NS1_11comp_targetILNS1_3genE8ELNS1_11target_archE1030ELNS1_3gpuE2ELNS1_3repE0EEENS1_47radix_sort_onesweep_sort_config_static_selectorELNS0_4arch9wavefront6targetE1EEEvSG_
; %bb.0:
	.section	.rodata,"a",@progbits
	.p2align	6, 0x0
	.amdhsa_kernel _ZN7rocprim17ROCPRIM_400000_NS6detail17trampoline_kernelINS0_14default_configENS1_35radix_sort_onesweep_config_selectorIalEEZZNS1_29radix_sort_onesweep_iterationIS3_Lb0EPaS7_N6thrust23THRUST_200600_302600_NS10device_ptrIlEESB_jNS0_19identity_decomposerENS1_16block_id_wrapperIjLb1EEEEE10hipError_tT1_PNSt15iterator_traitsISG_E10value_typeET2_T3_PNSH_ISM_E10value_typeET4_T5_PSR_SS_PNS1_23onesweep_lookback_stateEbbT6_jjT7_P12ihipStream_tbENKUlT_T0_SG_SL_E_clIS7_S7_SB_SB_EEDaSZ_S10_SG_SL_EUlSZ_E_NS1_11comp_targetILNS1_3genE8ELNS1_11target_archE1030ELNS1_3gpuE2ELNS1_3repE0EEENS1_47radix_sort_onesweep_sort_config_static_selectorELNS0_4arch9wavefront6targetE1EEEvSG_
		.amdhsa_group_segment_fixed_size 0
		.amdhsa_private_segment_fixed_size 0
		.amdhsa_kernarg_size 88
		.amdhsa_user_sgpr_count 6
		.amdhsa_user_sgpr_private_segment_buffer 1
		.amdhsa_user_sgpr_dispatch_ptr 0
		.amdhsa_user_sgpr_queue_ptr 0
		.amdhsa_user_sgpr_kernarg_segment_ptr 1
		.amdhsa_user_sgpr_dispatch_id 0
		.amdhsa_user_sgpr_flat_scratch_init 0
		.amdhsa_user_sgpr_private_segment_size 0
		.amdhsa_uses_dynamic_stack 0
		.amdhsa_system_sgpr_private_segment_wavefront_offset 0
		.amdhsa_system_sgpr_workgroup_id_x 1
		.amdhsa_system_sgpr_workgroup_id_y 0
		.amdhsa_system_sgpr_workgroup_id_z 0
		.amdhsa_system_sgpr_workgroup_info 0
		.amdhsa_system_vgpr_workitem_id 0
		.amdhsa_next_free_vgpr 1
		.amdhsa_next_free_sgpr 0
		.amdhsa_reserve_vcc 0
		.amdhsa_reserve_flat_scratch 0
		.amdhsa_float_round_mode_32 0
		.amdhsa_float_round_mode_16_64 0
		.amdhsa_float_denorm_mode_32 3
		.amdhsa_float_denorm_mode_16_64 3
		.amdhsa_dx10_clamp 1
		.amdhsa_ieee_mode 1
		.amdhsa_fp16_overflow 0
		.amdhsa_exception_fp_ieee_invalid_op 0
		.amdhsa_exception_fp_denorm_src 0
		.amdhsa_exception_fp_ieee_div_zero 0
		.amdhsa_exception_fp_ieee_overflow 0
		.amdhsa_exception_fp_ieee_underflow 0
		.amdhsa_exception_fp_ieee_inexact 0
		.amdhsa_exception_int_div_zero 0
	.end_amdhsa_kernel
	.section	.text._ZN7rocprim17ROCPRIM_400000_NS6detail17trampoline_kernelINS0_14default_configENS1_35radix_sort_onesweep_config_selectorIalEEZZNS1_29radix_sort_onesweep_iterationIS3_Lb0EPaS7_N6thrust23THRUST_200600_302600_NS10device_ptrIlEESB_jNS0_19identity_decomposerENS1_16block_id_wrapperIjLb1EEEEE10hipError_tT1_PNSt15iterator_traitsISG_E10value_typeET2_T3_PNSH_ISM_E10value_typeET4_T5_PSR_SS_PNS1_23onesweep_lookback_stateEbbT6_jjT7_P12ihipStream_tbENKUlT_T0_SG_SL_E_clIS7_S7_SB_SB_EEDaSZ_S10_SG_SL_EUlSZ_E_NS1_11comp_targetILNS1_3genE8ELNS1_11target_archE1030ELNS1_3gpuE2ELNS1_3repE0EEENS1_47radix_sort_onesweep_sort_config_static_selectorELNS0_4arch9wavefront6targetE1EEEvSG_,"axG",@progbits,_ZN7rocprim17ROCPRIM_400000_NS6detail17trampoline_kernelINS0_14default_configENS1_35radix_sort_onesweep_config_selectorIalEEZZNS1_29radix_sort_onesweep_iterationIS3_Lb0EPaS7_N6thrust23THRUST_200600_302600_NS10device_ptrIlEESB_jNS0_19identity_decomposerENS1_16block_id_wrapperIjLb1EEEEE10hipError_tT1_PNSt15iterator_traitsISG_E10value_typeET2_T3_PNSH_ISM_E10value_typeET4_T5_PSR_SS_PNS1_23onesweep_lookback_stateEbbT6_jjT7_P12ihipStream_tbENKUlT_T0_SG_SL_E_clIS7_S7_SB_SB_EEDaSZ_S10_SG_SL_EUlSZ_E_NS1_11comp_targetILNS1_3genE8ELNS1_11target_archE1030ELNS1_3gpuE2ELNS1_3repE0EEENS1_47radix_sort_onesweep_sort_config_static_selectorELNS0_4arch9wavefront6targetE1EEEvSG_,comdat
.Lfunc_end608:
	.size	_ZN7rocprim17ROCPRIM_400000_NS6detail17trampoline_kernelINS0_14default_configENS1_35radix_sort_onesweep_config_selectorIalEEZZNS1_29radix_sort_onesweep_iterationIS3_Lb0EPaS7_N6thrust23THRUST_200600_302600_NS10device_ptrIlEESB_jNS0_19identity_decomposerENS1_16block_id_wrapperIjLb1EEEEE10hipError_tT1_PNSt15iterator_traitsISG_E10value_typeET2_T3_PNSH_ISM_E10value_typeET4_T5_PSR_SS_PNS1_23onesweep_lookback_stateEbbT6_jjT7_P12ihipStream_tbENKUlT_T0_SG_SL_E_clIS7_S7_SB_SB_EEDaSZ_S10_SG_SL_EUlSZ_E_NS1_11comp_targetILNS1_3genE8ELNS1_11target_archE1030ELNS1_3gpuE2ELNS1_3repE0EEENS1_47radix_sort_onesweep_sort_config_static_selectorELNS0_4arch9wavefront6targetE1EEEvSG_, .Lfunc_end608-_ZN7rocprim17ROCPRIM_400000_NS6detail17trampoline_kernelINS0_14default_configENS1_35radix_sort_onesweep_config_selectorIalEEZZNS1_29radix_sort_onesweep_iterationIS3_Lb0EPaS7_N6thrust23THRUST_200600_302600_NS10device_ptrIlEESB_jNS0_19identity_decomposerENS1_16block_id_wrapperIjLb1EEEEE10hipError_tT1_PNSt15iterator_traitsISG_E10value_typeET2_T3_PNSH_ISM_E10value_typeET4_T5_PSR_SS_PNS1_23onesweep_lookback_stateEbbT6_jjT7_P12ihipStream_tbENKUlT_T0_SG_SL_E_clIS7_S7_SB_SB_EEDaSZ_S10_SG_SL_EUlSZ_E_NS1_11comp_targetILNS1_3genE8ELNS1_11target_archE1030ELNS1_3gpuE2ELNS1_3repE0EEENS1_47radix_sort_onesweep_sort_config_static_selectorELNS0_4arch9wavefront6targetE1EEEvSG_
                                        ; -- End function
	.set _ZN7rocprim17ROCPRIM_400000_NS6detail17trampoline_kernelINS0_14default_configENS1_35radix_sort_onesweep_config_selectorIalEEZZNS1_29radix_sort_onesweep_iterationIS3_Lb0EPaS7_N6thrust23THRUST_200600_302600_NS10device_ptrIlEESB_jNS0_19identity_decomposerENS1_16block_id_wrapperIjLb1EEEEE10hipError_tT1_PNSt15iterator_traitsISG_E10value_typeET2_T3_PNSH_ISM_E10value_typeET4_T5_PSR_SS_PNS1_23onesweep_lookback_stateEbbT6_jjT7_P12ihipStream_tbENKUlT_T0_SG_SL_E_clIS7_S7_SB_SB_EEDaSZ_S10_SG_SL_EUlSZ_E_NS1_11comp_targetILNS1_3genE8ELNS1_11target_archE1030ELNS1_3gpuE2ELNS1_3repE0EEENS1_47radix_sort_onesweep_sort_config_static_selectorELNS0_4arch9wavefront6targetE1EEEvSG_.num_vgpr, 0
	.set _ZN7rocprim17ROCPRIM_400000_NS6detail17trampoline_kernelINS0_14default_configENS1_35radix_sort_onesweep_config_selectorIalEEZZNS1_29radix_sort_onesweep_iterationIS3_Lb0EPaS7_N6thrust23THRUST_200600_302600_NS10device_ptrIlEESB_jNS0_19identity_decomposerENS1_16block_id_wrapperIjLb1EEEEE10hipError_tT1_PNSt15iterator_traitsISG_E10value_typeET2_T3_PNSH_ISM_E10value_typeET4_T5_PSR_SS_PNS1_23onesweep_lookback_stateEbbT6_jjT7_P12ihipStream_tbENKUlT_T0_SG_SL_E_clIS7_S7_SB_SB_EEDaSZ_S10_SG_SL_EUlSZ_E_NS1_11comp_targetILNS1_3genE8ELNS1_11target_archE1030ELNS1_3gpuE2ELNS1_3repE0EEENS1_47radix_sort_onesweep_sort_config_static_selectorELNS0_4arch9wavefront6targetE1EEEvSG_.num_agpr, 0
	.set _ZN7rocprim17ROCPRIM_400000_NS6detail17trampoline_kernelINS0_14default_configENS1_35radix_sort_onesweep_config_selectorIalEEZZNS1_29radix_sort_onesweep_iterationIS3_Lb0EPaS7_N6thrust23THRUST_200600_302600_NS10device_ptrIlEESB_jNS0_19identity_decomposerENS1_16block_id_wrapperIjLb1EEEEE10hipError_tT1_PNSt15iterator_traitsISG_E10value_typeET2_T3_PNSH_ISM_E10value_typeET4_T5_PSR_SS_PNS1_23onesweep_lookback_stateEbbT6_jjT7_P12ihipStream_tbENKUlT_T0_SG_SL_E_clIS7_S7_SB_SB_EEDaSZ_S10_SG_SL_EUlSZ_E_NS1_11comp_targetILNS1_3genE8ELNS1_11target_archE1030ELNS1_3gpuE2ELNS1_3repE0EEENS1_47radix_sort_onesweep_sort_config_static_selectorELNS0_4arch9wavefront6targetE1EEEvSG_.numbered_sgpr, 0
	.set _ZN7rocprim17ROCPRIM_400000_NS6detail17trampoline_kernelINS0_14default_configENS1_35radix_sort_onesweep_config_selectorIalEEZZNS1_29radix_sort_onesweep_iterationIS3_Lb0EPaS7_N6thrust23THRUST_200600_302600_NS10device_ptrIlEESB_jNS0_19identity_decomposerENS1_16block_id_wrapperIjLb1EEEEE10hipError_tT1_PNSt15iterator_traitsISG_E10value_typeET2_T3_PNSH_ISM_E10value_typeET4_T5_PSR_SS_PNS1_23onesweep_lookback_stateEbbT6_jjT7_P12ihipStream_tbENKUlT_T0_SG_SL_E_clIS7_S7_SB_SB_EEDaSZ_S10_SG_SL_EUlSZ_E_NS1_11comp_targetILNS1_3genE8ELNS1_11target_archE1030ELNS1_3gpuE2ELNS1_3repE0EEENS1_47radix_sort_onesweep_sort_config_static_selectorELNS0_4arch9wavefront6targetE1EEEvSG_.num_named_barrier, 0
	.set _ZN7rocprim17ROCPRIM_400000_NS6detail17trampoline_kernelINS0_14default_configENS1_35radix_sort_onesweep_config_selectorIalEEZZNS1_29radix_sort_onesweep_iterationIS3_Lb0EPaS7_N6thrust23THRUST_200600_302600_NS10device_ptrIlEESB_jNS0_19identity_decomposerENS1_16block_id_wrapperIjLb1EEEEE10hipError_tT1_PNSt15iterator_traitsISG_E10value_typeET2_T3_PNSH_ISM_E10value_typeET4_T5_PSR_SS_PNS1_23onesweep_lookback_stateEbbT6_jjT7_P12ihipStream_tbENKUlT_T0_SG_SL_E_clIS7_S7_SB_SB_EEDaSZ_S10_SG_SL_EUlSZ_E_NS1_11comp_targetILNS1_3genE8ELNS1_11target_archE1030ELNS1_3gpuE2ELNS1_3repE0EEENS1_47radix_sort_onesweep_sort_config_static_selectorELNS0_4arch9wavefront6targetE1EEEvSG_.private_seg_size, 0
	.set _ZN7rocprim17ROCPRIM_400000_NS6detail17trampoline_kernelINS0_14default_configENS1_35radix_sort_onesweep_config_selectorIalEEZZNS1_29radix_sort_onesweep_iterationIS3_Lb0EPaS7_N6thrust23THRUST_200600_302600_NS10device_ptrIlEESB_jNS0_19identity_decomposerENS1_16block_id_wrapperIjLb1EEEEE10hipError_tT1_PNSt15iterator_traitsISG_E10value_typeET2_T3_PNSH_ISM_E10value_typeET4_T5_PSR_SS_PNS1_23onesweep_lookback_stateEbbT6_jjT7_P12ihipStream_tbENKUlT_T0_SG_SL_E_clIS7_S7_SB_SB_EEDaSZ_S10_SG_SL_EUlSZ_E_NS1_11comp_targetILNS1_3genE8ELNS1_11target_archE1030ELNS1_3gpuE2ELNS1_3repE0EEENS1_47radix_sort_onesweep_sort_config_static_selectorELNS0_4arch9wavefront6targetE1EEEvSG_.uses_vcc, 0
	.set _ZN7rocprim17ROCPRIM_400000_NS6detail17trampoline_kernelINS0_14default_configENS1_35radix_sort_onesweep_config_selectorIalEEZZNS1_29radix_sort_onesweep_iterationIS3_Lb0EPaS7_N6thrust23THRUST_200600_302600_NS10device_ptrIlEESB_jNS0_19identity_decomposerENS1_16block_id_wrapperIjLb1EEEEE10hipError_tT1_PNSt15iterator_traitsISG_E10value_typeET2_T3_PNSH_ISM_E10value_typeET4_T5_PSR_SS_PNS1_23onesweep_lookback_stateEbbT6_jjT7_P12ihipStream_tbENKUlT_T0_SG_SL_E_clIS7_S7_SB_SB_EEDaSZ_S10_SG_SL_EUlSZ_E_NS1_11comp_targetILNS1_3genE8ELNS1_11target_archE1030ELNS1_3gpuE2ELNS1_3repE0EEENS1_47radix_sort_onesweep_sort_config_static_selectorELNS0_4arch9wavefront6targetE1EEEvSG_.uses_flat_scratch, 0
	.set _ZN7rocprim17ROCPRIM_400000_NS6detail17trampoline_kernelINS0_14default_configENS1_35radix_sort_onesweep_config_selectorIalEEZZNS1_29radix_sort_onesweep_iterationIS3_Lb0EPaS7_N6thrust23THRUST_200600_302600_NS10device_ptrIlEESB_jNS0_19identity_decomposerENS1_16block_id_wrapperIjLb1EEEEE10hipError_tT1_PNSt15iterator_traitsISG_E10value_typeET2_T3_PNSH_ISM_E10value_typeET4_T5_PSR_SS_PNS1_23onesweep_lookback_stateEbbT6_jjT7_P12ihipStream_tbENKUlT_T0_SG_SL_E_clIS7_S7_SB_SB_EEDaSZ_S10_SG_SL_EUlSZ_E_NS1_11comp_targetILNS1_3genE8ELNS1_11target_archE1030ELNS1_3gpuE2ELNS1_3repE0EEENS1_47radix_sort_onesweep_sort_config_static_selectorELNS0_4arch9wavefront6targetE1EEEvSG_.has_dyn_sized_stack, 0
	.set _ZN7rocprim17ROCPRIM_400000_NS6detail17trampoline_kernelINS0_14default_configENS1_35radix_sort_onesweep_config_selectorIalEEZZNS1_29radix_sort_onesweep_iterationIS3_Lb0EPaS7_N6thrust23THRUST_200600_302600_NS10device_ptrIlEESB_jNS0_19identity_decomposerENS1_16block_id_wrapperIjLb1EEEEE10hipError_tT1_PNSt15iterator_traitsISG_E10value_typeET2_T3_PNSH_ISM_E10value_typeET4_T5_PSR_SS_PNS1_23onesweep_lookback_stateEbbT6_jjT7_P12ihipStream_tbENKUlT_T0_SG_SL_E_clIS7_S7_SB_SB_EEDaSZ_S10_SG_SL_EUlSZ_E_NS1_11comp_targetILNS1_3genE8ELNS1_11target_archE1030ELNS1_3gpuE2ELNS1_3repE0EEENS1_47radix_sort_onesweep_sort_config_static_selectorELNS0_4arch9wavefront6targetE1EEEvSG_.has_recursion, 0
	.set _ZN7rocprim17ROCPRIM_400000_NS6detail17trampoline_kernelINS0_14default_configENS1_35radix_sort_onesweep_config_selectorIalEEZZNS1_29radix_sort_onesweep_iterationIS3_Lb0EPaS7_N6thrust23THRUST_200600_302600_NS10device_ptrIlEESB_jNS0_19identity_decomposerENS1_16block_id_wrapperIjLb1EEEEE10hipError_tT1_PNSt15iterator_traitsISG_E10value_typeET2_T3_PNSH_ISM_E10value_typeET4_T5_PSR_SS_PNS1_23onesweep_lookback_stateEbbT6_jjT7_P12ihipStream_tbENKUlT_T0_SG_SL_E_clIS7_S7_SB_SB_EEDaSZ_S10_SG_SL_EUlSZ_E_NS1_11comp_targetILNS1_3genE8ELNS1_11target_archE1030ELNS1_3gpuE2ELNS1_3repE0EEENS1_47radix_sort_onesweep_sort_config_static_selectorELNS0_4arch9wavefront6targetE1EEEvSG_.has_indirect_call, 0
	.section	.AMDGPU.csdata,"",@progbits
; Kernel info:
; codeLenInByte = 0
; TotalNumSgprs: 4
; NumVgprs: 0
; ScratchSize: 0
; MemoryBound: 0
; FloatMode: 240
; IeeeMode: 1
; LDSByteSize: 0 bytes/workgroup (compile time only)
; SGPRBlocks: 0
; VGPRBlocks: 0
; NumSGPRsForWavesPerEU: 4
; NumVGPRsForWavesPerEU: 1
; Occupancy: 10
; WaveLimiterHint : 0
; COMPUTE_PGM_RSRC2:SCRATCH_EN: 0
; COMPUTE_PGM_RSRC2:USER_SGPR: 6
; COMPUTE_PGM_RSRC2:TRAP_HANDLER: 0
; COMPUTE_PGM_RSRC2:TGID_X_EN: 1
; COMPUTE_PGM_RSRC2:TGID_Y_EN: 0
; COMPUTE_PGM_RSRC2:TGID_Z_EN: 0
; COMPUTE_PGM_RSRC2:TIDIG_COMP_CNT: 0
	.section	.text._ZN7rocprim17ROCPRIM_400000_NS6detail17trampoline_kernelINS0_14default_configENS1_35radix_sort_onesweep_config_selectorIalEEZZNS1_29radix_sort_onesweep_iterationIS3_Lb0EPaS7_N6thrust23THRUST_200600_302600_NS10device_ptrIlEESB_jNS0_19identity_decomposerENS1_16block_id_wrapperIjLb1EEEEE10hipError_tT1_PNSt15iterator_traitsISG_E10value_typeET2_T3_PNSH_ISM_E10value_typeET4_T5_PSR_SS_PNS1_23onesweep_lookback_stateEbbT6_jjT7_P12ihipStream_tbENKUlT_T0_SG_SL_E_clIS7_S7_SB_PlEEDaSZ_S10_SG_SL_EUlSZ_E_NS1_11comp_targetILNS1_3genE0ELNS1_11target_archE4294967295ELNS1_3gpuE0ELNS1_3repE0EEENS1_47radix_sort_onesweep_sort_config_static_selectorELNS0_4arch9wavefront6targetE1EEEvSG_,"axG",@progbits,_ZN7rocprim17ROCPRIM_400000_NS6detail17trampoline_kernelINS0_14default_configENS1_35radix_sort_onesweep_config_selectorIalEEZZNS1_29radix_sort_onesweep_iterationIS3_Lb0EPaS7_N6thrust23THRUST_200600_302600_NS10device_ptrIlEESB_jNS0_19identity_decomposerENS1_16block_id_wrapperIjLb1EEEEE10hipError_tT1_PNSt15iterator_traitsISG_E10value_typeET2_T3_PNSH_ISM_E10value_typeET4_T5_PSR_SS_PNS1_23onesweep_lookback_stateEbbT6_jjT7_P12ihipStream_tbENKUlT_T0_SG_SL_E_clIS7_S7_SB_PlEEDaSZ_S10_SG_SL_EUlSZ_E_NS1_11comp_targetILNS1_3genE0ELNS1_11target_archE4294967295ELNS1_3gpuE0ELNS1_3repE0EEENS1_47radix_sort_onesweep_sort_config_static_selectorELNS0_4arch9wavefront6targetE1EEEvSG_,comdat
	.protected	_ZN7rocprim17ROCPRIM_400000_NS6detail17trampoline_kernelINS0_14default_configENS1_35radix_sort_onesweep_config_selectorIalEEZZNS1_29radix_sort_onesweep_iterationIS3_Lb0EPaS7_N6thrust23THRUST_200600_302600_NS10device_ptrIlEESB_jNS0_19identity_decomposerENS1_16block_id_wrapperIjLb1EEEEE10hipError_tT1_PNSt15iterator_traitsISG_E10value_typeET2_T3_PNSH_ISM_E10value_typeET4_T5_PSR_SS_PNS1_23onesweep_lookback_stateEbbT6_jjT7_P12ihipStream_tbENKUlT_T0_SG_SL_E_clIS7_S7_SB_PlEEDaSZ_S10_SG_SL_EUlSZ_E_NS1_11comp_targetILNS1_3genE0ELNS1_11target_archE4294967295ELNS1_3gpuE0ELNS1_3repE0EEENS1_47radix_sort_onesweep_sort_config_static_selectorELNS0_4arch9wavefront6targetE1EEEvSG_ ; -- Begin function _ZN7rocprim17ROCPRIM_400000_NS6detail17trampoline_kernelINS0_14default_configENS1_35radix_sort_onesweep_config_selectorIalEEZZNS1_29radix_sort_onesweep_iterationIS3_Lb0EPaS7_N6thrust23THRUST_200600_302600_NS10device_ptrIlEESB_jNS0_19identity_decomposerENS1_16block_id_wrapperIjLb1EEEEE10hipError_tT1_PNSt15iterator_traitsISG_E10value_typeET2_T3_PNSH_ISM_E10value_typeET4_T5_PSR_SS_PNS1_23onesweep_lookback_stateEbbT6_jjT7_P12ihipStream_tbENKUlT_T0_SG_SL_E_clIS7_S7_SB_PlEEDaSZ_S10_SG_SL_EUlSZ_E_NS1_11comp_targetILNS1_3genE0ELNS1_11target_archE4294967295ELNS1_3gpuE0ELNS1_3repE0EEENS1_47radix_sort_onesweep_sort_config_static_selectorELNS0_4arch9wavefront6targetE1EEEvSG_
	.globl	_ZN7rocprim17ROCPRIM_400000_NS6detail17trampoline_kernelINS0_14default_configENS1_35radix_sort_onesweep_config_selectorIalEEZZNS1_29radix_sort_onesweep_iterationIS3_Lb0EPaS7_N6thrust23THRUST_200600_302600_NS10device_ptrIlEESB_jNS0_19identity_decomposerENS1_16block_id_wrapperIjLb1EEEEE10hipError_tT1_PNSt15iterator_traitsISG_E10value_typeET2_T3_PNSH_ISM_E10value_typeET4_T5_PSR_SS_PNS1_23onesweep_lookback_stateEbbT6_jjT7_P12ihipStream_tbENKUlT_T0_SG_SL_E_clIS7_S7_SB_PlEEDaSZ_S10_SG_SL_EUlSZ_E_NS1_11comp_targetILNS1_3genE0ELNS1_11target_archE4294967295ELNS1_3gpuE0ELNS1_3repE0EEENS1_47radix_sort_onesweep_sort_config_static_selectorELNS0_4arch9wavefront6targetE1EEEvSG_
	.p2align	8
	.type	_ZN7rocprim17ROCPRIM_400000_NS6detail17trampoline_kernelINS0_14default_configENS1_35radix_sort_onesweep_config_selectorIalEEZZNS1_29radix_sort_onesweep_iterationIS3_Lb0EPaS7_N6thrust23THRUST_200600_302600_NS10device_ptrIlEESB_jNS0_19identity_decomposerENS1_16block_id_wrapperIjLb1EEEEE10hipError_tT1_PNSt15iterator_traitsISG_E10value_typeET2_T3_PNSH_ISM_E10value_typeET4_T5_PSR_SS_PNS1_23onesweep_lookback_stateEbbT6_jjT7_P12ihipStream_tbENKUlT_T0_SG_SL_E_clIS7_S7_SB_PlEEDaSZ_S10_SG_SL_EUlSZ_E_NS1_11comp_targetILNS1_3genE0ELNS1_11target_archE4294967295ELNS1_3gpuE0ELNS1_3repE0EEENS1_47radix_sort_onesweep_sort_config_static_selectorELNS0_4arch9wavefront6targetE1EEEvSG_,@function
_ZN7rocprim17ROCPRIM_400000_NS6detail17trampoline_kernelINS0_14default_configENS1_35radix_sort_onesweep_config_selectorIalEEZZNS1_29radix_sort_onesweep_iterationIS3_Lb0EPaS7_N6thrust23THRUST_200600_302600_NS10device_ptrIlEESB_jNS0_19identity_decomposerENS1_16block_id_wrapperIjLb1EEEEE10hipError_tT1_PNSt15iterator_traitsISG_E10value_typeET2_T3_PNSH_ISM_E10value_typeET4_T5_PSR_SS_PNS1_23onesweep_lookback_stateEbbT6_jjT7_P12ihipStream_tbENKUlT_T0_SG_SL_E_clIS7_S7_SB_PlEEDaSZ_S10_SG_SL_EUlSZ_E_NS1_11comp_targetILNS1_3genE0ELNS1_11target_archE4294967295ELNS1_3gpuE0ELNS1_3repE0EEENS1_47radix_sort_onesweep_sort_config_static_selectorELNS0_4arch9wavefront6targetE1EEEvSG_: ; @_ZN7rocprim17ROCPRIM_400000_NS6detail17trampoline_kernelINS0_14default_configENS1_35radix_sort_onesweep_config_selectorIalEEZZNS1_29radix_sort_onesweep_iterationIS3_Lb0EPaS7_N6thrust23THRUST_200600_302600_NS10device_ptrIlEESB_jNS0_19identity_decomposerENS1_16block_id_wrapperIjLb1EEEEE10hipError_tT1_PNSt15iterator_traitsISG_E10value_typeET2_T3_PNSH_ISM_E10value_typeET4_T5_PSR_SS_PNS1_23onesweep_lookback_stateEbbT6_jjT7_P12ihipStream_tbENKUlT_T0_SG_SL_E_clIS7_S7_SB_PlEEDaSZ_S10_SG_SL_EUlSZ_E_NS1_11comp_targetILNS1_3genE0ELNS1_11target_archE4294967295ELNS1_3gpuE0ELNS1_3repE0EEENS1_47radix_sort_onesweep_sort_config_static_selectorELNS0_4arch9wavefront6targetE1EEEvSG_
; %bb.0:
	.section	.rodata,"a",@progbits
	.p2align	6, 0x0
	.amdhsa_kernel _ZN7rocprim17ROCPRIM_400000_NS6detail17trampoline_kernelINS0_14default_configENS1_35radix_sort_onesweep_config_selectorIalEEZZNS1_29radix_sort_onesweep_iterationIS3_Lb0EPaS7_N6thrust23THRUST_200600_302600_NS10device_ptrIlEESB_jNS0_19identity_decomposerENS1_16block_id_wrapperIjLb1EEEEE10hipError_tT1_PNSt15iterator_traitsISG_E10value_typeET2_T3_PNSH_ISM_E10value_typeET4_T5_PSR_SS_PNS1_23onesweep_lookback_stateEbbT6_jjT7_P12ihipStream_tbENKUlT_T0_SG_SL_E_clIS7_S7_SB_PlEEDaSZ_S10_SG_SL_EUlSZ_E_NS1_11comp_targetILNS1_3genE0ELNS1_11target_archE4294967295ELNS1_3gpuE0ELNS1_3repE0EEENS1_47radix_sort_onesweep_sort_config_static_selectorELNS0_4arch9wavefront6targetE1EEEvSG_
		.amdhsa_group_segment_fixed_size 0
		.amdhsa_private_segment_fixed_size 0
		.amdhsa_kernarg_size 88
		.amdhsa_user_sgpr_count 6
		.amdhsa_user_sgpr_private_segment_buffer 1
		.amdhsa_user_sgpr_dispatch_ptr 0
		.amdhsa_user_sgpr_queue_ptr 0
		.amdhsa_user_sgpr_kernarg_segment_ptr 1
		.amdhsa_user_sgpr_dispatch_id 0
		.amdhsa_user_sgpr_flat_scratch_init 0
		.amdhsa_user_sgpr_private_segment_size 0
		.amdhsa_uses_dynamic_stack 0
		.amdhsa_system_sgpr_private_segment_wavefront_offset 0
		.amdhsa_system_sgpr_workgroup_id_x 1
		.amdhsa_system_sgpr_workgroup_id_y 0
		.amdhsa_system_sgpr_workgroup_id_z 0
		.amdhsa_system_sgpr_workgroup_info 0
		.amdhsa_system_vgpr_workitem_id 0
		.amdhsa_next_free_vgpr 1
		.amdhsa_next_free_sgpr 0
		.amdhsa_reserve_vcc 0
		.amdhsa_reserve_flat_scratch 0
		.amdhsa_float_round_mode_32 0
		.amdhsa_float_round_mode_16_64 0
		.amdhsa_float_denorm_mode_32 3
		.amdhsa_float_denorm_mode_16_64 3
		.amdhsa_dx10_clamp 1
		.amdhsa_ieee_mode 1
		.amdhsa_fp16_overflow 0
		.amdhsa_exception_fp_ieee_invalid_op 0
		.amdhsa_exception_fp_denorm_src 0
		.amdhsa_exception_fp_ieee_div_zero 0
		.amdhsa_exception_fp_ieee_overflow 0
		.amdhsa_exception_fp_ieee_underflow 0
		.amdhsa_exception_fp_ieee_inexact 0
		.amdhsa_exception_int_div_zero 0
	.end_amdhsa_kernel
	.section	.text._ZN7rocprim17ROCPRIM_400000_NS6detail17trampoline_kernelINS0_14default_configENS1_35radix_sort_onesweep_config_selectorIalEEZZNS1_29radix_sort_onesweep_iterationIS3_Lb0EPaS7_N6thrust23THRUST_200600_302600_NS10device_ptrIlEESB_jNS0_19identity_decomposerENS1_16block_id_wrapperIjLb1EEEEE10hipError_tT1_PNSt15iterator_traitsISG_E10value_typeET2_T3_PNSH_ISM_E10value_typeET4_T5_PSR_SS_PNS1_23onesweep_lookback_stateEbbT6_jjT7_P12ihipStream_tbENKUlT_T0_SG_SL_E_clIS7_S7_SB_PlEEDaSZ_S10_SG_SL_EUlSZ_E_NS1_11comp_targetILNS1_3genE0ELNS1_11target_archE4294967295ELNS1_3gpuE0ELNS1_3repE0EEENS1_47radix_sort_onesweep_sort_config_static_selectorELNS0_4arch9wavefront6targetE1EEEvSG_,"axG",@progbits,_ZN7rocprim17ROCPRIM_400000_NS6detail17trampoline_kernelINS0_14default_configENS1_35radix_sort_onesweep_config_selectorIalEEZZNS1_29radix_sort_onesweep_iterationIS3_Lb0EPaS7_N6thrust23THRUST_200600_302600_NS10device_ptrIlEESB_jNS0_19identity_decomposerENS1_16block_id_wrapperIjLb1EEEEE10hipError_tT1_PNSt15iterator_traitsISG_E10value_typeET2_T3_PNSH_ISM_E10value_typeET4_T5_PSR_SS_PNS1_23onesweep_lookback_stateEbbT6_jjT7_P12ihipStream_tbENKUlT_T0_SG_SL_E_clIS7_S7_SB_PlEEDaSZ_S10_SG_SL_EUlSZ_E_NS1_11comp_targetILNS1_3genE0ELNS1_11target_archE4294967295ELNS1_3gpuE0ELNS1_3repE0EEENS1_47radix_sort_onesweep_sort_config_static_selectorELNS0_4arch9wavefront6targetE1EEEvSG_,comdat
.Lfunc_end609:
	.size	_ZN7rocprim17ROCPRIM_400000_NS6detail17trampoline_kernelINS0_14default_configENS1_35radix_sort_onesweep_config_selectorIalEEZZNS1_29radix_sort_onesweep_iterationIS3_Lb0EPaS7_N6thrust23THRUST_200600_302600_NS10device_ptrIlEESB_jNS0_19identity_decomposerENS1_16block_id_wrapperIjLb1EEEEE10hipError_tT1_PNSt15iterator_traitsISG_E10value_typeET2_T3_PNSH_ISM_E10value_typeET4_T5_PSR_SS_PNS1_23onesweep_lookback_stateEbbT6_jjT7_P12ihipStream_tbENKUlT_T0_SG_SL_E_clIS7_S7_SB_PlEEDaSZ_S10_SG_SL_EUlSZ_E_NS1_11comp_targetILNS1_3genE0ELNS1_11target_archE4294967295ELNS1_3gpuE0ELNS1_3repE0EEENS1_47radix_sort_onesweep_sort_config_static_selectorELNS0_4arch9wavefront6targetE1EEEvSG_, .Lfunc_end609-_ZN7rocprim17ROCPRIM_400000_NS6detail17trampoline_kernelINS0_14default_configENS1_35radix_sort_onesweep_config_selectorIalEEZZNS1_29radix_sort_onesweep_iterationIS3_Lb0EPaS7_N6thrust23THRUST_200600_302600_NS10device_ptrIlEESB_jNS0_19identity_decomposerENS1_16block_id_wrapperIjLb1EEEEE10hipError_tT1_PNSt15iterator_traitsISG_E10value_typeET2_T3_PNSH_ISM_E10value_typeET4_T5_PSR_SS_PNS1_23onesweep_lookback_stateEbbT6_jjT7_P12ihipStream_tbENKUlT_T0_SG_SL_E_clIS7_S7_SB_PlEEDaSZ_S10_SG_SL_EUlSZ_E_NS1_11comp_targetILNS1_3genE0ELNS1_11target_archE4294967295ELNS1_3gpuE0ELNS1_3repE0EEENS1_47radix_sort_onesweep_sort_config_static_selectorELNS0_4arch9wavefront6targetE1EEEvSG_
                                        ; -- End function
	.set _ZN7rocprim17ROCPRIM_400000_NS6detail17trampoline_kernelINS0_14default_configENS1_35radix_sort_onesweep_config_selectorIalEEZZNS1_29radix_sort_onesweep_iterationIS3_Lb0EPaS7_N6thrust23THRUST_200600_302600_NS10device_ptrIlEESB_jNS0_19identity_decomposerENS1_16block_id_wrapperIjLb1EEEEE10hipError_tT1_PNSt15iterator_traitsISG_E10value_typeET2_T3_PNSH_ISM_E10value_typeET4_T5_PSR_SS_PNS1_23onesweep_lookback_stateEbbT6_jjT7_P12ihipStream_tbENKUlT_T0_SG_SL_E_clIS7_S7_SB_PlEEDaSZ_S10_SG_SL_EUlSZ_E_NS1_11comp_targetILNS1_3genE0ELNS1_11target_archE4294967295ELNS1_3gpuE0ELNS1_3repE0EEENS1_47radix_sort_onesweep_sort_config_static_selectorELNS0_4arch9wavefront6targetE1EEEvSG_.num_vgpr, 0
	.set _ZN7rocprim17ROCPRIM_400000_NS6detail17trampoline_kernelINS0_14default_configENS1_35radix_sort_onesweep_config_selectorIalEEZZNS1_29radix_sort_onesweep_iterationIS3_Lb0EPaS7_N6thrust23THRUST_200600_302600_NS10device_ptrIlEESB_jNS0_19identity_decomposerENS1_16block_id_wrapperIjLb1EEEEE10hipError_tT1_PNSt15iterator_traitsISG_E10value_typeET2_T3_PNSH_ISM_E10value_typeET4_T5_PSR_SS_PNS1_23onesweep_lookback_stateEbbT6_jjT7_P12ihipStream_tbENKUlT_T0_SG_SL_E_clIS7_S7_SB_PlEEDaSZ_S10_SG_SL_EUlSZ_E_NS1_11comp_targetILNS1_3genE0ELNS1_11target_archE4294967295ELNS1_3gpuE0ELNS1_3repE0EEENS1_47radix_sort_onesweep_sort_config_static_selectorELNS0_4arch9wavefront6targetE1EEEvSG_.num_agpr, 0
	.set _ZN7rocprim17ROCPRIM_400000_NS6detail17trampoline_kernelINS0_14default_configENS1_35radix_sort_onesweep_config_selectorIalEEZZNS1_29radix_sort_onesweep_iterationIS3_Lb0EPaS7_N6thrust23THRUST_200600_302600_NS10device_ptrIlEESB_jNS0_19identity_decomposerENS1_16block_id_wrapperIjLb1EEEEE10hipError_tT1_PNSt15iterator_traitsISG_E10value_typeET2_T3_PNSH_ISM_E10value_typeET4_T5_PSR_SS_PNS1_23onesweep_lookback_stateEbbT6_jjT7_P12ihipStream_tbENKUlT_T0_SG_SL_E_clIS7_S7_SB_PlEEDaSZ_S10_SG_SL_EUlSZ_E_NS1_11comp_targetILNS1_3genE0ELNS1_11target_archE4294967295ELNS1_3gpuE0ELNS1_3repE0EEENS1_47radix_sort_onesweep_sort_config_static_selectorELNS0_4arch9wavefront6targetE1EEEvSG_.numbered_sgpr, 0
	.set _ZN7rocprim17ROCPRIM_400000_NS6detail17trampoline_kernelINS0_14default_configENS1_35radix_sort_onesweep_config_selectorIalEEZZNS1_29radix_sort_onesweep_iterationIS3_Lb0EPaS7_N6thrust23THRUST_200600_302600_NS10device_ptrIlEESB_jNS0_19identity_decomposerENS1_16block_id_wrapperIjLb1EEEEE10hipError_tT1_PNSt15iterator_traitsISG_E10value_typeET2_T3_PNSH_ISM_E10value_typeET4_T5_PSR_SS_PNS1_23onesweep_lookback_stateEbbT6_jjT7_P12ihipStream_tbENKUlT_T0_SG_SL_E_clIS7_S7_SB_PlEEDaSZ_S10_SG_SL_EUlSZ_E_NS1_11comp_targetILNS1_3genE0ELNS1_11target_archE4294967295ELNS1_3gpuE0ELNS1_3repE0EEENS1_47radix_sort_onesweep_sort_config_static_selectorELNS0_4arch9wavefront6targetE1EEEvSG_.num_named_barrier, 0
	.set _ZN7rocprim17ROCPRIM_400000_NS6detail17trampoline_kernelINS0_14default_configENS1_35radix_sort_onesweep_config_selectorIalEEZZNS1_29radix_sort_onesweep_iterationIS3_Lb0EPaS7_N6thrust23THRUST_200600_302600_NS10device_ptrIlEESB_jNS0_19identity_decomposerENS1_16block_id_wrapperIjLb1EEEEE10hipError_tT1_PNSt15iterator_traitsISG_E10value_typeET2_T3_PNSH_ISM_E10value_typeET4_T5_PSR_SS_PNS1_23onesweep_lookback_stateEbbT6_jjT7_P12ihipStream_tbENKUlT_T0_SG_SL_E_clIS7_S7_SB_PlEEDaSZ_S10_SG_SL_EUlSZ_E_NS1_11comp_targetILNS1_3genE0ELNS1_11target_archE4294967295ELNS1_3gpuE0ELNS1_3repE0EEENS1_47radix_sort_onesweep_sort_config_static_selectorELNS0_4arch9wavefront6targetE1EEEvSG_.private_seg_size, 0
	.set _ZN7rocprim17ROCPRIM_400000_NS6detail17trampoline_kernelINS0_14default_configENS1_35radix_sort_onesweep_config_selectorIalEEZZNS1_29radix_sort_onesweep_iterationIS3_Lb0EPaS7_N6thrust23THRUST_200600_302600_NS10device_ptrIlEESB_jNS0_19identity_decomposerENS1_16block_id_wrapperIjLb1EEEEE10hipError_tT1_PNSt15iterator_traitsISG_E10value_typeET2_T3_PNSH_ISM_E10value_typeET4_T5_PSR_SS_PNS1_23onesweep_lookback_stateEbbT6_jjT7_P12ihipStream_tbENKUlT_T0_SG_SL_E_clIS7_S7_SB_PlEEDaSZ_S10_SG_SL_EUlSZ_E_NS1_11comp_targetILNS1_3genE0ELNS1_11target_archE4294967295ELNS1_3gpuE0ELNS1_3repE0EEENS1_47radix_sort_onesweep_sort_config_static_selectorELNS0_4arch9wavefront6targetE1EEEvSG_.uses_vcc, 0
	.set _ZN7rocprim17ROCPRIM_400000_NS6detail17trampoline_kernelINS0_14default_configENS1_35radix_sort_onesweep_config_selectorIalEEZZNS1_29radix_sort_onesweep_iterationIS3_Lb0EPaS7_N6thrust23THRUST_200600_302600_NS10device_ptrIlEESB_jNS0_19identity_decomposerENS1_16block_id_wrapperIjLb1EEEEE10hipError_tT1_PNSt15iterator_traitsISG_E10value_typeET2_T3_PNSH_ISM_E10value_typeET4_T5_PSR_SS_PNS1_23onesweep_lookback_stateEbbT6_jjT7_P12ihipStream_tbENKUlT_T0_SG_SL_E_clIS7_S7_SB_PlEEDaSZ_S10_SG_SL_EUlSZ_E_NS1_11comp_targetILNS1_3genE0ELNS1_11target_archE4294967295ELNS1_3gpuE0ELNS1_3repE0EEENS1_47radix_sort_onesweep_sort_config_static_selectorELNS0_4arch9wavefront6targetE1EEEvSG_.uses_flat_scratch, 0
	.set _ZN7rocprim17ROCPRIM_400000_NS6detail17trampoline_kernelINS0_14default_configENS1_35radix_sort_onesweep_config_selectorIalEEZZNS1_29radix_sort_onesweep_iterationIS3_Lb0EPaS7_N6thrust23THRUST_200600_302600_NS10device_ptrIlEESB_jNS0_19identity_decomposerENS1_16block_id_wrapperIjLb1EEEEE10hipError_tT1_PNSt15iterator_traitsISG_E10value_typeET2_T3_PNSH_ISM_E10value_typeET4_T5_PSR_SS_PNS1_23onesweep_lookback_stateEbbT6_jjT7_P12ihipStream_tbENKUlT_T0_SG_SL_E_clIS7_S7_SB_PlEEDaSZ_S10_SG_SL_EUlSZ_E_NS1_11comp_targetILNS1_3genE0ELNS1_11target_archE4294967295ELNS1_3gpuE0ELNS1_3repE0EEENS1_47radix_sort_onesweep_sort_config_static_selectorELNS0_4arch9wavefront6targetE1EEEvSG_.has_dyn_sized_stack, 0
	.set _ZN7rocprim17ROCPRIM_400000_NS6detail17trampoline_kernelINS0_14default_configENS1_35radix_sort_onesweep_config_selectorIalEEZZNS1_29radix_sort_onesweep_iterationIS3_Lb0EPaS7_N6thrust23THRUST_200600_302600_NS10device_ptrIlEESB_jNS0_19identity_decomposerENS1_16block_id_wrapperIjLb1EEEEE10hipError_tT1_PNSt15iterator_traitsISG_E10value_typeET2_T3_PNSH_ISM_E10value_typeET4_T5_PSR_SS_PNS1_23onesweep_lookback_stateEbbT6_jjT7_P12ihipStream_tbENKUlT_T0_SG_SL_E_clIS7_S7_SB_PlEEDaSZ_S10_SG_SL_EUlSZ_E_NS1_11comp_targetILNS1_3genE0ELNS1_11target_archE4294967295ELNS1_3gpuE0ELNS1_3repE0EEENS1_47radix_sort_onesweep_sort_config_static_selectorELNS0_4arch9wavefront6targetE1EEEvSG_.has_recursion, 0
	.set _ZN7rocprim17ROCPRIM_400000_NS6detail17trampoline_kernelINS0_14default_configENS1_35radix_sort_onesweep_config_selectorIalEEZZNS1_29radix_sort_onesweep_iterationIS3_Lb0EPaS7_N6thrust23THRUST_200600_302600_NS10device_ptrIlEESB_jNS0_19identity_decomposerENS1_16block_id_wrapperIjLb1EEEEE10hipError_tT1_PNSt15iterator_traitsISG_E10value_typeET2_T3_PNSH_ISM_E10value_typeET4_T5_PSR_SS_PNS1_23onesweep_lookback_stateEbbT6_jjT7_P12ihipStream_tbENKUlT_T0_SG_SL_E_clIS7_S7_SB_PlEEDaSZ_S10_SG_SL_EUlSZ_E_NS1_11comp_targetILNS1_3genE0ELNS1_11target_archE4294967295ELNS1_3gpuE0ELNS1_3repE0EEENS1_47radix_sort_onesweep_sort_config_static_selectorELNS0_4arch9wavefront6targetE1EEEvSG_.has_indirect_call, 0
	.section	.AMDGPU.csdata,"",@progbits
; Kernel info:
; codeLenInByte = 0
; TotalNumSgprs: 4
; NumVgprs: 0
; ScratchSize: 0
; MemoryBound: 0
; FloatMode: 240
; IeeeMode: 1
; LDSByteSize: 0 bytes/workgroup (compile time only)
; SGPRBlocks: 0
; VGPRBlocks: 0
; NumSGPRsForWavesPerEU: 4
; NumVGPRsForWavesPerEU: 1
; Occupancy: 10
; WaveLimiterHint : 0
; COMPUTE_PGM_RSRC2:SCRATCH_EN: 0
; COMPUTE_PGM_RSRC2:USER_SGPR: 6
; COMPUTE_PGM_RSRC2:TRAP_HANDLER: 0
; COMPUTE_PGM_RSRC2:TGID_X_EN: 1
; COMPUTE_PGM_RSRC2:TGID_Y_EN: 0
; COMPUTE_PGM_RSRC2:TGID_Z_EN: 0
; COMPUTE_PGM_RSRC2:TIDIG_COMP_CNT: 0
	.section	.text._ZN7rocprim17ROCPRIM_400000_NS6detail17trampoline_kernelINS0_14default_configENS1_35radix_sort_onesweep_config_selectorIalEEZZNS1_29radix_sort_onesweep_iterationIS3_Lb0EPaS7_N6thrust23THRUST_200600_302600_NS10device_ptrIlEESB_jNS0_19identity_decomposerENS1_16block_id_wrapperIjLb1EEEEE10hipError_tT1_PNSt15iterator_traitsISG_E10value_typeET2_T3_PNSH_ISM_E10value_typeET4_T5_PSR_SS_PNS1_23onesweep_lookback_stateEbbT6_jjT7_P12ihipStream_tbENKUlT_T0_SG_SL_E_clIS7_S7_SB_PlEEDaSZ_S10_SG_SL_EUlSZ_E_NS1_11comp_targetILNS1_3genE6ELNS1_11target_archE950ELNS1_3gpuE13ELNS1_3repE0EEENS1_47radix_sort_onesweep_sort_config_static_selectorELNS0_4arch9wavefront6targetE1EEEvSG_,"axG",@progbits,_ZN7rocprim17ROCPRIM_400000_NS6detail17trampoline_kernelINS0_14default_configENS1_35radix_sort_onesweep_config_selectorIalEEZZNS1_29radix_sort_onesweep_iterationIS3_Lb0EPaS7_N6thrust23THRUST_200600_302600_NS10device_ptrIlEESB_jNS0_19identity_decomposerENS1_16block_id_wrapperIjLb1EEEEE10hipError_tT1_PNSt15iterator_traitsISG_E10value_typeET2_T3_PNSH_ISM_E10value_typeET4_T5_PSR_SS_PNS1_23onesweep_lookback_stateEbbT6_jjT7_P12ihipStream_tbENKUlT_T0_SG_SL_E_clIS7_S7_SB_PlEEDaSZ_S10_SG_SL_EUlSZ_E_NS1_11comp_targetILNS1_3genE6ELNS1_11target_archE950ELNS1_3gpuE13ELNS1_3repE0EEENS1_47radix_sort_onesweep_sort_config_static_selectorELNS0_4arch9wavefront6targetE1EEEvSG_,comdat
	.protected	_ZN7rocprim17ROCPRIM_400000_NS6detail17trampoline_kernelINS0_14default_configENS1_35radix_sort_onesweep_config_selectorIalEEZZNS1_29radix_sort_onesweep_iterationIS3_Lb0EPaS7_N6thrust23THRUST_200600_302600_NS10device_ptrIlEESB_jNS0_19identity_decomposerENS1_16block_id_wrapperIjLb1EEEEE10hipError_tT1_PNSt15iterator_traitsISG_E10value_typeET2_T3_PNSH_ISM_E10value_typeET4_T5_PSR_SS_PNS1_23onesweep_lookback_stateEbbT6_jjT7_P12ihipStream_tbENKUlT_T0_SG_SL_E_clIS7_S7_SB_PlEEDaSZ_S10_SG_SL_EUlSZ_E_NS1_11comp_targetILNS1_3genE6ELNS1_11target_archE950ELNS1_3gpuE13ELNS1_3repE0EEENS1_47radix_sort_onesweep_sort_config_static_selectorELNS0_4arch9wavefront6targetE1EEEvSG_ ; -- Begin function _ZN7rocprim17ROCPRIM_400000_NS6detail17trampoline_kernelINS0_14default_configENS1_35radix_sort_onesweep_config_selectorIalEEZZNS1_29radix_sort_onesweep_iterationIS3_Lb0EPaS7_N6thrust23THRUST_200600_302600_NS10device_ptrIlEESB_jNS0_19identity_decomposerENS1_16block_id_wrapperIjLb1EEEEE10hipError_tT1_PNSt15iterator_traitsISG_E10value_typeET2_T3_PNSH_ISM_E10value_typeET4_T5_PSR_SS_PNS1_23onesweep_lookback_stateEbbT6_jjT7_P12ihipStream_tbENKUlT_T0_SG_SL_E_clIS7_S7_SB_PlEEDaSZ_S10_SG_SL_EUlSZ_E_NS1_11comp_targetILNS1_3genE6ELNS1_11target_archE950ELNS1_3gpuE13ELNS1_3repE0EEENS1_47radix_sort_onesweep_sort_config_static_selectorELNS0_4arch9wavefront6targetE1EEEvSG_
	.globl	_ZN7rocprim17ROCPRIM_400000_NS6detail17trampoline_kernelINS0_14default_configENS1_35radix_sort_onesweep_config_selectorIalEEZZNS1_29radix_sort_onesweep_iterationIS3_Lb0EPaS7_N6thrust23THRUST_200600_302600_NS10device_ptrIlEESB_jNS0_19identity_decomposerENS1_16block_id_wrapperIjLb1EEEEE10hipError_tT1_PNSt15iterator_traitsISG_E10value_typeET2_T3_PNSH_ISM_E10value_typeET4_T5_PSR_SS_PNS1_23onesweep_lookback_stateEbbT6_jjT7_P12ihipStream_tbENKUlT_T0_SG_SL_E_clIS7_S7_SB_PlEEDaSZ_S10_SG_SL_EUlSZ_E_NS1_11comp_targetILNS1_3genE6ELNS1_11target_archE950ELNS1_3gpuE13ELNS1_3repE0EEENS1_47radix_sort_onesweep_sort_config_static_selectorELNS0_4arch9wavefront6targetE1EEEvSG_
	.p2align	8
	.type	_ZN7rocprim17ROCPRIM_400000_NS6detail17trampoline_kernelINS0_14default_configENS1_35radix_sort_onesweep_config_selectorIalEEZZNS1_29radix_sort_onesweep_iterationIS3_Lb0EPaS7_N6thrust23THRUST_200600_302600_NS10device_ptrIlEESB_jNS0_19identity_decomposerENS1_16block_id_wrapperIjLb1EEEEE10hipError_tT1_PNSt15iterator_traitsISG_E10value_typeET2_T3_PNSH_ISM_E10value_typeET4_T5_PSR_SS_PNS1_23onesweep_lookback_stateEbbT6_jjT7_P12ihipStream_tbENKUlT_T0_SG_SL_E_clIS7_S7_SB_PlEEDaSZ_S10_SG_SL_EUlSZ_E_NS1_11comp_targetILNS1_3genE6ELNS1_11target_archE950ELNS1_3gpuE13ELNS1_3repE0EEENS1_47radix_sort_onesweep_sort_config_static_selectorELNS0_4arch9wavefront6targetE1EEEvSG_,@function
_ZN7rocprim17ROCPRIM_400000_NS6detail17trampoline_kernelINS0_14default_configENS1_35radix_sort_onesweep_config_selectorIalEEZZNS1_29radix_sort_onesweep_iterationIS3_Lb0EPaS7_N6thrust23THRUST_200600_302600_NS10device_ptrIlEESB_jNS0_19identity_decomposerENS1_16block_id_wrapperIjLb1EEEEE10hipError_tT1_PNSt15iterator_traitsISG_E10value_typeET2_T3_PNSH_ISM_E10value_typeET4_T5_PSR_SS_PNS1_23onesweep_lookback_stateEbbT6_jjT7_P12ihipStream_tbENKUlT_T0_SG_SL_E_clIS7_S7_SB_PlEEDaSZ_S10_SG_SL_EUlSZ_E_NS1_11comp_targetILNS1_3genE6ELNS1_11target_archE950ELNS1_3gpuE13ELNS1_3repE0EEENS1_47radix_sort_onesweep_sort_config_static_selectorELNS0_4arch9wavefront6targetE1EEEvSG_: ; @_ZN7rocprim17ROCPRIM_400000_NS6detail17trampoline_kernelINS0_14default_configENS1_35radix_sort_onesweep_config_selectorIalEEZZNS1_29radix_sort_onesweep_iterationIS3_Lb0EPaS7_N6thrust23THRUST_200600_302600_NS10device_ptrIlEESB_jNS0_19identity_decomposerENS1_16block_id_wrapperIjLb1EEEEE10hipError_tT1_PNSt15iterator_traitsISG_E10value_typeET2_T3_PNSH_ISM_E10value_typeET4_T5_PSR_SS_PNS1_23onesweep_lookback_stateEbbT6_jjT7_P12ihipStream_tbENKUlT_T0_SG_SL_E_clIS7_S7_SB_PlEEDaSZ_S10_SG_SL_EUlSZ_E_NS1_11comp_targetILNS1_3genE6ELNS1_11target_archE950ELNS1_3gpuE13ELNS1_3repE0EEENS1_47radix_sort_onesweep_sort_config_static_selectorELNS0_4arch9wavefront6targetE1EEEvSG_
; %bb.0:
	.section	.rodata,"a",@progbits
	.p2align	6, 0x0
	.amdhsa_kernel _ZN7rocprim17ROCPRIM_400000_NS6detail17trampoline_kernelINS0_14default_configENS1_35radix_sort_onesweep_config_selectorIalEEZZNS1_29radix_sort_onesweep_iterationIS3_Lb0EPaS7_N6thrust23THRUST_200600_302600_NS10device_ptrIlEESB_jNS0_19identity_decomposerENS1_16block_id_wrapperIjLb1EEEEE10hipError_tT1_PNSt15iterator_traitsISG_E10value_typeET2_T3_PNSH_ISM_E10value_typeET4_T5_PSR_SS_PNS1_23onesweep_lookback_stateEbbT6_jjT7_P12ihipStream_tbENKUlT_T0_SG_SL_E_clIS7_S7_SB_PlEEDaSZ_S10_SG_SL_EUlSZ_E_NS1_11comp_targetILNS1_3genE6ELNS1_11target_archE950ELNS1_3gpuE13ELNS1_3repE0EEENS1_47radix_sort_onesweep_sort_config_static_selectorELNS0_4arch9wavefront6targetE1EEEvSG_
		.amdhsa_group_segment_fixed_size 0
		.amdhsa_private_segment_fixed_size 0
		.amdhsa_kernarg_size 88
		.amdhsa_user_sgpr_count 6
		.amdhsa_user_sgpr_private_segment_buffer 1
		.amdhsa_user_sgpr_dispatch_ptr 0
		.amdhsa_user_sgpr_queue_ptr 0
		.amdhsa_user_sgpr_kernarg_segment_ptr 1
		.amdhsa_user_sgpr_dispatch_id 0
		.amdhsa_user_sgpr_flat_scratch_init 0
		.amdhsa_user_sgpr_private_segment_size 0
		.amdhsa_uses_dynamic_stack 0
		.amdhsa_system_sgpr_private_segment_wavefront_offset 0
		.amdhsa_system_sgpr_workgroup_id_x 1
		.amdhsa_system_sgpr_workgroup_id_y 0
		.amdhsa_system_sgpr_workgroup_id_z 0
		.amdhsa_system_sgpr_workgroup_info 0
		.amdhsa_system_vgpr_workitem_id 0
		.amdhsa_next_free_vgpr 1
		.amdhsa_next_free_sgpr 0
		.amdhsa_reserve_vcc 0
		.amdhsa_reserve_flat_scratch 0
		.amdhsa_float_round_mode_32 0
		.amdhsa_float_round_mode_16_64 0
		.amdhsa_float_denorm_mode_32 3
		.amdhsa_float_denorm_mode_16_64 3
		.amdhsa_dx10_clamp 1
		.amdhsa_ieee_mode 1
		.amdhsa_fp16_overflow 0
		.amdhsa_exception_fp_ieee_invalid_op 0
		.amdhsa_exception_fp_denorm_src 0
		.amdhsa_exception_fp_ieee_div_zero 0
		.amdhsa_exception_fp_ieee_overflow 0
		.amdhsa_exception_fp_ieee_underflow 0
		.amdhsa_exception_fp_ieee_inexact 0
		.amdhsa_exception_int_div_zero 0
	.end_amdhsa_kernel
	.section	.text._ZN7rocprim17ROCPRIM_400000_NS6detail17trampoline_kernelINS0_14default_configENS1_35radix_sort_onesweep_config_selectorIalEEZZNS1_29radix_sort_onesweep_iterationIS3_Lb0EPaS7_N6thrust23THRUST_200600_302600_NS10device_ptrIlEESB_jNS0_19identity_decomposerENS1_16block_id_wrapperIjLb1EEEEE10hipError_tT1_PNSt15iterator_traitsISG_E10value_typeET2_T3_PNSH_ISM_E10value_typeET4_T5_PSR_SS_PNS1_23onesweep_lookback_stateEbbT6_jjT7_P12ihipStream_tbENKUlT_T0_SG_SL_E_clIS7_S7_SB_PlEEDaSZ_S10_SG_SL_EUlSZ_E_NS1_11comp_targetILNS1_3genE6ELNS1_11target_archE950ELNS1_3gpuE13ELNS1_3repE0EEENS1_47radix_sort_onesweep_sort_config_static_selectorELNS0_4arch9wavefront6targetE1EEEvSG_,"axG",@progbits,_ZN7rocprim17ROCPRIM_400000_NS6detail17trampoline_kernelINS0_14default_configENS1_35radix_sort_onesweep_config_selectorIalEEZZNS1_29radix_sort_onesweep_iterationIS3_Lb0EPaS7_N6thrust23THRUST_200600_302600_NS10device_ptrIlEESB_jNS0_19identity_decomposerENS1_16block_id_wrapperIjLb1EEEEE10hipError_tT1_PNSt15iterator_traitsISG_E10value_typeET2_T3_PNSH_ISM_E10value_typeET4_T5_PSR_SS_PNS1_23onesweep_lookback_stateEbbT6_jjT7_P12ihipStream_tbENKUlT_T0_SG_SL_E_clIS7_S7_SB_PlEEDaSZ_S10_SG_SL_EUlSZ_E_NS1_11comp_targetILNS1_3genE6ELNS1_11target_archE950ELNS1_3gpuE13ELNS1_3repE0EEENS1_47radix_sort_onesweep_sort_config_static_selectorELNS0_4arch9wavefront6targetE1EEEvSG_,comdat
.Lfunc_end610:
	.size	_ZN7rocprim17ROCPRIM_400000_NS6detail17trampoline_kernelINS0_14default_configENS1_35radix_sort_onesweep_config_selectorIalEEZZNS1_29radix_sort_onesweep_iterationIS3_Lb0EPaS7_N6thrust23THRUST_200600_302600_NS10device_ptrIlEESB_jNS0_19identity_decomposerENS1_16block_id_wrapperIjLb1EEEEE10hipError_tT1_PNSt15iterator_traitsISG_E10value_typeET2_T3_PNSH_ISM_E10value_typeET4_T5_PSR_SS_PNS1_23onesweep_lookback_stateEbbT6_jjT7_P12ihipStream_tbENKUlT_T0_SG_SL_E_clIS7_S7_SB_PlEEDaSZ_S10_SG_SL_EUlSZ_E_NS1_11comp_targetILNS1_3genE6ELNS1_11target_archE950ELNS1_3gpuE13ELNS1_3repE0EEENS1_47radix_sort_onesweep_sort_config_static_selectorELNS0_4arch9wavefront6targetE1EEEvSG_, .Lfunc_end610-_ZN7rocprim17ROCPRIM_400000_NS6detail17trampoline_kernelINS0_14default_configENS1_35radix_sort_onesweep_config_selectorIalEEZZNS1_29radix_sort_onesweep_iterationIS3_Lb0EPaS7_N6thrust23THRUST_200600_302600_NS10device_ptrIlEESB_jNS0_19identity_decomposerENS1_16block_id_wrapperIjLb1EEEEE10hipError_tT1_PNSt15iterator_traitsISG_E10value_typeET2_T3_PNSH_ISM_E10value_typeET4_T5_PSR_SS_PNS1_23onesweep_lookback_stateEbbT6_jjT7_P12ihipStream_tbENKUlT_T0_SG_SL_E_clIS7_S7_SB_PlEEDaSZ_S10_SG_SL_EUlSZ_E_NS1_11comp_targetILNS1_3genE6ELNS1_11target_archE950ELNS1_3gpuE13ELNS1_3repE0EEENS1_47radix_sort_onesweep_sort_config_static_selectorELNS0_4arch9wavefront6targetE1EEEvSG_
                                        ; -- End function
	.set _ZN7rocprim17ROCPRIM_400000_NS6detail17trampoline_kernelINS0_14default_configENS1_35radix_sort_onesweep_config_selectorIalEEZZNS1_29radix_sort_onesweep_iterationIS3_Lb0EPaS7_N6thrust23THRUST_200600_302600_NS10device_ptrIlEESB_jNS0_19identity_decomposerENS1_16block_id_wrapperIjLb1EEEEE10hipError_tT1_PNSt15iterator_traitsISG_E10value_typeET2_T3_PNSH_ISM_E10value_typeET4_T5_PSR_SS_PNS1_23onesweep_lookback_stateEbbT6_jjT7_P12ihipStream_tbENKUlT_T0_SG_SL_E_clIS7_S7_SB_PlEEDaSZ_S10_SG_SL_EUlSZ_E_NS1_11comp_targetILNS1_3genE6ELNS1_11target_archE950ELNS1_3gpuE13ELNS1_3repE0EEENS1_47radix_sort_onesweep_sort_config_static_selectorELNS0_4arch9wavefront6targetE1EEEvSG_.num_vgpr, 0
	.set _ZN7rocprim17ROCPRIM_400000_NS6detail17trampoline_kernelINS0_14default_configENS1_35radix_sort_onesweep_config_selectorIalEEZZNS1_29radix_sort_onesweep_iterationIS3_Lb0EPaS7_N6thrust23THRUST_200600_302600_NS10device_ptrIlEESB_jNS0_19identity_decomposerENS1_16block_id_wrapperIjLb1EEEEE10hipError_tT1_PNSt15iterator_traitsISG_E10value_typeET2_T3_PNSH_ISM_E10value_typeET4_T5_PSR_SS_PNS1_23onesweep_lookback_stateEbbT6_jjT7_P12ihipStream_tbENKUlT_T0_SG_SL_E_clIS7_S7_SB_PlEEDaSZ_S10_SG_SL_EUlSZ_E_NS1_11comp_targetILNS1_3genE6ELNS1_11target_archE950ELNS1_3gpuE13ELNS1_3repE0EEENS1_47radix_sort_onesweep_sort_config_static_selectorELNS0_4arch9wavefront6targetE1EEEvSG_.num_agpr, 0
	.set _ZN7rocprim17ROCPRIM_400000_NS6detail17trampoline_kernelINS0_14default_configENS1_35radix_sort_onesweep_config_selectorIalEEZZNS1_29radix_sort_onesweep_iterationIS3_Lb0EPaS7_N6thrust23THRUST_200600_302600_NS10device_ptrIlEESB_jNS0_19identity_decomposerENS1_16block_id_wrapperIjLb1EEEEE10hipError_tT1_PNSt15iterator_traitsISG_E10value_typeET2_T3_PNSH_ISM_E10value_typeET4_T5_PSR_SS_PNS1_23onesweep_lookback_stateEbbT6_jjT7_P12ihipStream_tbENKUlT_T0_SG_SL_E_clIS7_S7_SB_PlEEDaSZ_S10_SG_SL_EUlSZ_E_NS1_11comp_targetILNS1_3genE6ELNS1_11target_archE950ELNS1_3gpuE13ELNS1_3repE0EEENS1_47radix_sort_onesweep_sort_config_static_selectorELNS0_4arch9wavefront6targetE1EEEvSG_.numbered_sgpr, 0
	.set _ZN7rocprim17ROCPRIM_400000_NS6detail17trampoline_kernelINS0_14default_configENS1_35radix_sort_onesweep_config_selectorIalEEZZNS1_29radix_sort_onesweep_iterationIS3_Lb0EPaS7_N6thrust23THRUST_200600_302600_NS10device_ptrIlEESB_jNS0_19identity_decomposerENS1_16block_id_wrapperIjLb1EEEEE10hipError_tT1_PNSt15iterator_traitsISG_E10value_typeET2_T3_PNSH_ISM_E10value_typeET4_T5_PSR_SS_PNS1_23onesweep_lookback_stateEbbT6_jjT7_P12ihipStream_tbENKUlT_T0_SG_SL_E_clIS7_S7_SB_PlEEDaSZ_S10_SG_SL_EUlSZ_E_NS1_11comp_targetILNS1_3genE6ELNS1_11target_archE950ELNS1_3gpuE13ELNS1_3repE0EEENS1_47radix_sort_onesweep_sort_config_static_selectorELNS0_4arch9wavefront6targetE1EEEvSG_.num_named_barrier, 0
	.set _ZN7rocprim17ROCPRIM_400000_NS6detail17trampoline_kernelINS0_14default_configENS1_35radix_sort_onesweep_config_selectorIalEEZZNS1_29radix_sort_onesweep_iterationIS3_Lb0EPaS7_N6thrust23THRUST_200600_302600_NS10device_ptrIlEESB_jNS0_19identity_decomposerENS1_16block_id_wrapperIjLb1EEEEE10hipError_tT1_PNSt15iterator_traitsISG_E10value_typeET2_T3_PNSH_ISM_E10value_typeET4_T5_PSR_SS_PNS1_23onesweep_lookback_stateEbbT6_jjT7_P12ihipStream_tbENKUlT_T0_SG_SL_E_clIS7_S7_SB_PlEEDaSZ_S10_SG_SL_EUlSZ_E_NS1_11comp_targetILNS1_3genE6ELNS1_11target_archE950ELNS1_3gpuE13ELNS1_3repE0EEENS1_47radix_sort_onesweep_sort_config_static_selectorELNS0_4arch9wavefront6targetE1EEEvSG_.private_seg_size, 0
	.set _ZN7rocprim17ROCPRIM_400000_NS6detail17trampoline_kernelINS0_14default_configENS1_35radix_sort_onesweep_config_selectorIalEEZZNS1_29radix_sort_onesweep_iterationIS3_Lb0EPaS7_N6thrust23THRUST_200600_302600_NS10device_ptrIlEESB_jNS0_19identity_decomposerENS1_16block_id_wrapperIjLb1EEEEE10hipError_tT1_PNSt15iterator_traitsISG_E10value_typeET2_T3_PNSH_ISM_E10value_typeET4_T5_PSR_SS_PNS1_23onesweep_lookback_stateEbbT6_jjT7_P12ihipStream_tbENKUlT_T0_SG_SL_E_clIS7_S7_SB_PlEEDaSZ_S10_SG_SL_EUlSZ_E_NS1_11comp_targetILNS1_3genE6ELNS1_11target_archE950ELNS1_3gpuE13ELNS1_3repE0EEENS1_47radix_sort_onesweep_sort_config_static_selectorELNS0_4arch9wavefront6targetE1EEEvSG_.uses_vcc, 0
	.set _ZN7rocprim17ROCPRIM_400000_NS6detail17trampoline_kernelINS0_14default_configENS1_35radix_sort_onesweep_config_selectorIalEEZZNS1_29radix_sort_onesweep_iterationIS3_Lb0EPaS7_N6thrust23THRUST_200600_302600_NS10device_ptrIlEESB_jNS0_19identity_decomposerENS1_16block_id_wrapperIjLb1EEEEE10hipError_tT1_PNSt15iterator_traitsISG_E10value_typeET2_T3_PNSH_ISM_E10value_typeET4_T5_PSR_SS_PNS1_23onesweep_lookback_stateEbbT6_jjT7_P12ihipStream_tbENKUlT_T0_SG_SL_E_clIS7_S7_SB_PlEEDaSZ_S10_SG_SL_EUlSZ_E_NS1_11comp_targetILNS1_3genE6ELNS1_11target_archE950ELNS1_3gpuE13ELNS1_3repE0EEENS1_47radix_sort_onesweep_sort_config_static_selectorELNS0_4arch9wavefront6targetE1EEEvSG_.uses_flat_scratch, 0
	.set _ZN7rocprim17ROCPRIM_400000_NS6detail17trampoline_kernelINS0_14default_configENS1_35radix_sort_onesweep_config_selectorIalEEZZNS1_29radix_sort_onesweep_iterationIS3_Lb0EPaS7_N6thrust23THRUST_200600_302600_NS10device_ptrIlEESB_jNS0_19identity_decomposerENS1_16block_id_wrapperIjLb1EEEEE10hipError_tT1_PNSt15iterator_traitsISG_E10value_typeET2_T3_PNSH_ISM_E10value_typeET4_T5_PSR_SS_PNS1_23onesweep_lookback_stateEbbT6_jjT7_P12ihipStream_tbENKUlT_T0_SG_SL_E_clIS7_S7_SB_PlEEDaSZ_S10_SG_SL_EUlSZ_E_NS1_11comp_targetILNS1_3genE6ELNS1_11target_archE950ELNS1_3gpuE13ELNS1_3repE0EEENS1_47radix_sort_onesweep_sort_config_static_selectorELNS0_4arch9wavefront6targetE1EEEvSG_.has_dyn_sized_stack, 0
	.set _ZN7rocprim17ROCPRIM_400000_NS6detail17trampoline_kernelINS0_14default_configENS1_35radix_sort_onesweep_config_selectorIalEEZZNS1_29radix_sort_onesweep_iterationIS3_Lb0EPaS7_N6thrust23THRUST_200600_302600_NS10device_ptrIlEESB_jNS0_19identity_decomposerENS1_16block_id_wrapperIjLb1EEEEE10hipError_tT1_PNSt15iterator_traitsISG_E10value_typeET2_T3_PNSH_ISM_E10value_typeET4_T5_PSR_SS_PNS1_23onesweep_lookback_stateEbbT6_jjT7_P12ihipStream_tbENKUlT_T0_SG_SL_E_clIS7_S7_SB_PlEEDaSZ_S10_SG_SL_EUlSZ_E_NS1_11comp_targetILNS1_3genE6ELNS1_11target_archE950ELNS1_3gpuE13ELNS1_3repE0EEENS1_47radix_sort_onesweep_sort_config_static_selectorELNS0_4arch9wavefront6targetE1EEEvSG_.has_recursion, 0
	.set _ZN7rocprim17ROCPRIM_400000_NS6detail17trampoline_kernelINS0_14default_configENS1_35radix_sort_onesweep_config_selectorIalEEZZNS1_29radix_sort_onesweep_iterationIS3_Lb0EPaS7_N6thrust23THRUST_200600_302600_NS10device_ptrIlEESB_jNS0_19identity_decomposerENS1_16block_id_wrapperIjLb1EEEEE10hipError_tT1_PNSt15iterator_traitsISG_E10value_typeET2_T3_PNSH_ISM_E10value_typeET4_T5_PSR_SS_PNS1_23onesweep_lookback_stateEbbT6_jjT7_P12ihipStream_tbENKUlT_T0_SG_SL_E_clIS7_S7_SB_PlEEDaSZ_S10_SG_SL_EUlSZ_E_NS1_11comp_targetILNS1_3genE6ELNS1_11target_archE950ELNS1_3gpuE13ELNS1_3repE0EEENS1_47radix_sort_onesweep_sort_config_static_selectorELNS0_4arch9wavefront6targetE1EEEvSG_.has_indirect_call, 0
	.section	.AMDGPU.csdata,"",@progbits
; Kernel info:
; codeLenInByte = 0
; TotalNumSgprs: 4
; NumVgprs: 0
; ScratchSize: 0
; MemoryBound: 0
; FloatMode: 240
; IeeeMode: 1
; LDSByteSize: 0 bytes/workgroup (compile time only)
; SGPRBlocks: 0
; VGPRBlocks: 0
; NumSGPRsForWavesPerEU: 4
; NumVGPRsForWavesPerEU: 1
; Occupancy: 10
; WaveLimiterHint : 0
; COMPUTE_PGM_RSRC2:SCRATCH_EN: 0
; COMPUTE_PGM_RSRC2:USER_SGPR: 6
; COMPUTE_PGM_RSRC2:TRAP_HANDLER: 0
; COMPUTE_PGM_RSRC2:TGID_X_EN: 1
; COMPUTE_PGM_RSRC2:TGID_Y_EN: 0
; COMPUTE_PGM_RSRC2:TGID_Z_EN: 0
; COMPUTE_PGM_RSRC2:TIDIG_COMP_CNT: 0
	.section	.text._ZN7rocprim17ROCPRIM_400000_NS6detail17trampoline_kernelINS0_14default_configENS1_35radix_sort_onesweep_config_selectorIalEEZZNS1_29radix_sort_onesweep_iterationIS3_Lb0EPaS7_N6thrust23THRUST_200600_302600_NS10device_ptrIlEESB_jNS0_19identity_decomposerENS1_16block_id_wrapperIjLb1EEEEE10hipError_tT1_PNSt15iterator_traitsISG_E10value_typeET2_T3_PNSH_ISM_E10value_typeET4_T5_PSR_SS_PNS1_23onesweep_lookback_stateEbbT6_jjT7_P12ihipStream_tbENKUlT_T0_SG_SL_E_clIS7_S7_SB_PlEEDaSZ_S10_SG_SL_EUlSZ_E_NS1_11comp_targetILNS1_3genE5ELNS1_11target_archE942ELNS1_3gpuE9ELNS1_3repE0EEENS1_47radix_sort_onesweep_sort_config_static_selectorELNS0_4arch9wavefront6targetE1EEEvSG_,"axG",@progbits,_ZN7rocprim17ROCPRIM_400000_NS6detail17trampoline_kernelINS0_14default_configENS1_35radix_sort_onesweep_config_selectorIalEEZZNS1_29radix_sort_onesweep_iterationIS3_Lb0EPaS7_N6thrust23THRUST_200600_302600_NS10device_ptrIlEESB_jNS0_19identity_decomposerENS1_16block_id_wrapperIjLb1EEEEE10hipError_tT1_PNSt15iterator_traitsISG_E10value_typeET2_T3_PNSH_ISM_E10value_typeET4_T5_PSR_SS_PNS1_23onesweep_lookback_stateEbbT6_jjT7_P12ihipStream_tbENKUlT_T0_SG_SL_E_clIS7_S7_SB_PlEEDaSZ_S10_SG_SL_EUlSZ_E_NS1_11comp_targetILNS1_3genE5ELNS1_11target_archE942ELNS1_3gpuE9ELNS1_3repE0EEENS1_47radix_sort_onesweep_sort_config_static_selectorELNS0_4arch9wavefront6targetE1EEEvSG_,comdat
	.protected	_ZN7rocprim17ROCPRIM_400000_NS6detail17trampoline_kernelINS0_14default_configENS1_35radix_sort_onesweep_config_selectorIalEEZZNS1_29radix_sort_onesweep_iterationIS3_Lb0EPaS7_N6thrust23THRUST_200600_302600_NS10device_ptrIlEESB_jNS0_19identity_decomposerENS1_16block_id_wrapperIjLb1EEEEE10hipError_tT1_PNSt15iterator_traitsISG_E10value_typeET2_T3_PNSH_ISM_E10value_typeET4_T5_PSR_SS_PNS1_23onesweep_lookback_stateEbbT6_jjT7_P12ihipStream_tbENKUlT_T0_SG_SL_E_clIS7_S7_SB_PlEEDaSZ_S10_SG_SL_EUlSZ_E_NS1_11comp_targetILNS1_3genE5ELNS1_11target_archE942ELNS1_3gpuE9ELNS1_3repE0EEENS1_47radix_sort_onesweep_sort_config_static_selectorELNS0_4arch9wavefront6targetE1EEEvSG_ ; -- Begin function _ZN7rocprim17ROCPRIM_400000_NS6detail17trampoline_kernelINS0_14default_configENS1_35radix_sort_onesweep_config_selectorIalEEZZNS1_29radix_sort_onesweep_iterationIS3_Lb0EPaS7_N6thrust23THRUST_200600_302600_NS10device_ptrIlEESB_jNS0_19identity_decomposerENS1_16block_id_wrapperIjLb1EEEEE10hipError_tT1_PNSt15iterator_traitsISG_E10value_typeET2_T3_PNSH_ISM_E10value_typeET4_T5_PSR_SS_PNS1_23onesweep_lookback_stateEbbT6_jjT7_P12ihipStream_tbENKUlT_T0_SG_SL_E_clIS7_S7_SB_PlEEDaSZ_S10_SG_SL_EUlSZ_E_NS1_11comp_targetILNS1_3genE5ELNS1_11target_archE942ELNS1_3gpuE9ELNS1_3repE0EEENS1_47radix_sort_onesweep_sort_config_static_selectorELNS0_4arch9wavefront6targetE1EEEvSG_
	.globl	_ZN7rocprim17ROCPRIM_400000_NS6detail17trampoline_kernelINS0_14default_configENS1_35radix_sort_onesweep_config_selectorIalEEZZNS1_29radix_sort_onesweep_iterationIS3_Lb0EPaS7_N6thrust23THRUST_200600_302600_NS10device_ptrIlEESB_jNS0_19identity_decomposerENS1_16block_id_wrapperIjLb1EEEEE10hipError_tT1_PNSt15iterator_traitsISG_E10value_typeET2_T3_PNSH_ISM_E10value_typeET4_T5_PSR_SS_PNS1_23onesweep_lookback_stateEbbT6_jjT7_P12ihipStream_tbENKUlT_T0_SG_SL_E_clIS7_S7_SB_PlEEDaSZ_S10_SG_SL_EUlSZ_E_NS1_11comp_targetILNS1_3genE5ELNS1_11target_archE942ELNS1_3gpuE9ELNS1_3repE0EEENS1_47radix_sort_onesweep_sort_config_static_selectorELNS0_4arch9wavefront6targetE1EEEvSG_
	.p2align	8
	.type	_ZN7rocprim17ROCPRIM_400000_NS6detail17trampoline_kernelINS0_14default_configENS1_35radix_sort_onesweep_config_selectorIalEEZZNS1_29radix_sort_onesweep_iterationIS3_Lb0EPaS7_N6thrust23THRUST_200600_302600_NS10device_ptrIlEESB_jNS0_19identity_decomposerENS1_16block_id_wrapperIjLb1EEEEE10hipError_tT1_PNSt15iterator_traitsISG_E10value_typeET2_T3_PNSH_ISM_E10value_typeET4_T5_PSR_SS_PNS1_23onesweep_lookback_stateEbbT6_jjT7_P12ihipStream_tbENKUlT_T0_SG_SL_E_clIS7_S7_SB_PlEEDaSZ_S10_SG_SL_EUlSZ_E_NS1_11comp_targetILNS1_3genE5ELNS1_11target_archE942ELNS1_3gpuE9ELNS1_3repE0EEENS1_47radix_sort_onesweep_sort_config_static_selectorELNS0_4arch9wavefront6targetE1EEEvSG_,@function
_ZN7rocprim17ROCPRIM_400000_NS6detail17trampoline_kernelINS0_14default_configENS1_35radix_sort_onesweep_config_selectorIalEEZZNS1_29radix_sort_onesweep_iterationIS3_Lb0EPaS7_N6thrust23THRUST_200600_302600_NS10device_ptrIlEESB_jNS0_19identity_decomposerENS1_16block_id_wrapperIjLb1EEEEE10hipError_tT1_PNSt15iterator_traitsISG_E10value_typeET2_T3_PNSH_ISM_E10value_typeET4_T5_PSR_SS_PNS1_23onesweep_lookback_stateEbbT6_jjT7_P12ihipStream_tbENKUlT_T0_SG_SL_E_clIS7_S7_SB_PlEEDaSZ_S10_SG_SL_EUlSZ_E_NS1_11comp_targetILNS1_3genE5ELNS1_11target_archE942ELNS1_3gpuE9ELNS1_3repE0EEENS1_47radix_sort_onesweep_sort_config_static_selectorELNS0_4arch9wavefront6targetE1EEEvSG_: ; @_ZN7rocprim17ROCPRIM_400000_NS6detail17trampoline_kernelINS0_14default_configENS1_35radix_sort_onesweep_config_selectorIalEEZZNS1_29radix_sort_onesweep_iterationIS3_Lb0EPaS7_N6thrust23THRUST_200600_302600_NS10device_ptrIlEESB_jNS0_19identity_decomposerENS1_16block_id_wrapperIjLb1EEEEE10hipError_tT1_PNSt15iterator_traitsISG_E10value_typeET2_T3_PNSH_ISM_E10value_typeET4_T5_PSR_SS_PNS1_23onesweep_lookback_stateEbbT6_jjT7_P12ihipStream_tbENKUlT_T0_SG_SL_E_clIS7_S7_SB_PlEEDaSZ_S10_SG_SL_EUlSZ_E_NS1_11comp_targetILNS1_3genE5ELNS1_11target_archE942ELNS1_3gpuE9ELNS1_3repE0EEENS1_47radix_sort_onesweep_sort_config_static_selectorELNS0_4arch9wavefront6targetE1EEEvSG_
; %bb.0:
	.section	.rodata,"a",@progbits
	.p2align	6, 0x0
	.amdhsa_kernel _ZN7rocprim17ROCPRIM_400000_NS6detail17trampoline_kernelINS0_14default_configENS1_35radix_sort_onesweep_config_selectorIalEEZZNS1_29radix_sort_onesweep_iterationIS3_Lb0EPaS7_N6thrust23THRUST_200600_302600_NS10device_ptrIlEESB_jNS0_19identity_decomposerENS1_16block_id_wrapperIjLb1EEEEE10hipError_tT1_PNSt15iterator_traitsISG_E10value_typeET2_T3_PNSH_ISM_E10value_typeET4_T5_PSR_SS_PNS1_23onesweep_lookback_stateEbbT6_jjT7_P12ihipStream_tbENKUlT_T0_SG_SL_E_clIS7_S7_SB_PlEEDaSZ_S10_SG_SL_EUlSZ_E_NS1_11comp_targetILNS1_3genE5ELNS1_11target_archE942ELNS1_3gpuE9ELNS1_3repE0EEENS1_47radix_sort_onesweep_sort_config_static_selectorELNS0_4arch9wavefront6targetE1EEEvSG_
		.amdhsa_group_segment_fixed_size 0
		.amdhsa_private_segment_fixed_size 0
		.amdhsa_kernarg_size 88
		.amdhsa_user_sgpr_count 6
		.amdhsa_user_sgpr_private_segment_buffer 1
		.amdhsa_user_sgpr_dispatch_ptr 0
		.amdhsa_user_sgpr_queue_ptr 0
		.amdhsa_user_sgpr_kernarg_segment_ptr 1
		.amdhsa_user_sgpr_dispatch_id 0
		.amdhsa_user_sgpr_flat_scratch_init 0
		.amdhsa_user_sgpr_private_segment_size 0
		.amdhsa_uses_dynamic_stack 0
		.amdhsa_system_sgpr_private_segment_wavefront_offset 0
		.amdhsa_system_sgpr_workgroup_id_x 1
		.amdhsa_system_sgpr_workgroup_id_y 0
		.amdhsa_system_sgpr_workgroup_id_z 0
		.amdhsa_system_sgpr_workgroup_info 0
		.amdhsa_system_vgpr_workitem_id 0
		.amdhsa_next_free_vgpr 1
		.amdhsa_next_free_sgpr 0
		.amdhsa_reserve_vcc 0
		.amdhsa_reserve_flat_scratch 0
		.amdhsa_float_round_mode_32 0
		.amdhsa_float_round_mode_16_64 0
		.amdhsa_float_denorm_mode_32 3
		.amdhsa_float_denorm_mode_16_64 3
		.amdhsa_dx10_clamp 1
		.amdhsa_ieee_mode 1
		.amdhsa_fp16_overflow 0
		.amdhsa_exception_fp_ieee_invalid_op 0
		.amdhsa_exception_fp_denorm_src 0
		.amdhsa_exception_fp_ieee_div_zero 0
		.amdhsa_exception_fp_ieee_overflow 0
		.amdhsa_exception_fp_ieee_underflow 0
		.amdhsa_exception_fp_ieee_inexact 0
		.amdhsa_exception_int_div_zero 0
	.end_amdhsa_kernel
	.section	.text._ZN7rocprim17ROCPRIM_400000_NS6detail17trampoline_kernelINS0_14default_configENS1_35radix_sort_onesweep_config_selectorIalEEZZNS1_29radix_sort_onesweep_iterationIS3_Lb0EPaS7_N6thrust23THRUST_200600_302600_NS10device_ptrIlEESB_jNS0_19identity_decomposerENS1_16block_id_wrapperIjLb1EEEEE10hipError_tT1_PNSt15iterator_traitsISG_E10value_typeET2_T3_PNSH_ISM_E10value_typeET4_T5_PSR_SS_PNS1_23onesweep_lookback_stateEbbT6_jjT7_P12ihipStream_tbENKUlT_T0_SG_SL_E_clIS7_S7_SB_PlEEDaSZ_S10_SG_SL_EUlSZ_E_NS1_11comp_targetILNS1_3genE5ELNS1_11target_archE942ELNS1_3gpuE9ELNS1_3repE0EEENS1_47radix_sort_onesweep_sort_config_static_selectorELNS0_4arch9wavefront6targetE1EEEvSG_,"axG",@progbits,_ZN7rocprim17ROCPRIM_400000_NS6detail17trampoline_kernelINS0_14default_configENS1_35radix_sort_onesweep_config_selectorIalEEZZNS1_29radix_sort_onesweep_iterationIS3_Lb0EPaS7_N6thrust23THRUST_200600_302600_NS10device_ptrIlEESB_jNS0_19identity_decomposerENS1_16block_id_wrapperIjLb1EEEEE10hipError_tT1_PNSt15iterator_traitsISG_E10value_typeET2_T3_PNSH_ISM_E10value_typeET4_T5_PSR_SS_PNS1_23onesweep_lookback_stateEbbT6_jjT7_P12ihipStream_tbENKUlT_T0_SG_SL_E_clIS7_S7_SB_PlEEDaSZ_S10_SG_SL_EUlSZ_E_NS1_11comp_targetILNS1_3genE5ELNS1_11target_archE942ELNS1_3gpuE9ELNS1_3repE0EEENS1_47radix_sort_onesweep_sort_config_static_selectorELNS0_4arch9wavefront6targetE1EEEvSG_,comdat
.Lfunc_end611:
	.size	_ZN7rocprim17ROCPRIM_400000_NS6detail17trampoline_kernelINS0_14default_configENS1_35radix_sort_onesweep_config_selectorIalEEZZNS1_29radix_sort_onesweep_iterationIS3_Lb0EPaS7_N6thrust23THRUST_200600_302600_NS10device_ptrIlEESB_jNS0_19identity_decomposerENS1_16block_id_wrapperIjLb1EEEEE10hipError_tT1_PNSt15iterator_traitsISG_E10value_typeET2_T3_PNSH_ISM_E10value_typeET4_T5_PSR_SS_PNS1_23onesweep_lookback_stateEbbT6_jjT7_P12ihipStream_tbENKUlT_T0_SG_SL_E_clIS7_S7_SB_PlEEDaSZ_S10_SG_SL_EUlSZ_E_NS1_11comp_targetILNS1_3genE5ELNS1_11target_archE942ELNS1_3gpuE9ELNS1_3repE0EEENS1_47radix_sort_onesweep_sort_config_static_selectorELNS0_4arch9wavefront6targetE1EEEvSG_, .Lfunc_end611-_ZN7rocprim17ROCPRIM_400000_NS6detail17trampoline_kernelINS0_14default_configENS1_35radix_sort_onesweep_config_selectorIalEEZZNS1_29radix_sort_onesweep_iterationIS3_Lb0EPaS7_N6thrust23THRUST_200600_302600_NS10device_ptrIlEESB_jNS0_19identity_decomposerENS1_16block_id_wrapperIjLb1EEEEE10hipError_tT1_PNSt15iterator_traitsISG_E10value_typeET2_T3_PNSH_ISM_E10value_typeET4_T5_PSR_SS_PNS1_23onesweep_lookback_stateEbbT6_jjT7_P12ihipStream_tbENKUlT_T0_SG_SL_E_clIS7_S7_SB_PlEEDaSZ_S10_SG_SL_EUlSZ_E_NS1_11comp_targetILNS1_3genE5ELNS1_11target_archE942ELNS1_3gpuE9ELNS1_3repE0EEENS1_47radix_sort_onesweep_sort_config_static_selectorELNS0_4arch9wavefront6targetE1EEEvSG_
                                        ; -- End function
	.set _ZN7rocprim17ROCPRIM_400000_NS6detail17trampoline_kernelINS0_14default_configENS1_35radix_sort_onesweep_config_selectorIalEEZZNS1_29radix_sort_onesweep_iterationIS3_Lb0EPaS7_N6thrust23THRUST_200600_302600_NS10device_ptrIlEESB_jNS0_19identity_decomposerENS1_16block_id_wrapperIjLb1EEEEE10hipError_tT1_PNSt15iterator_traitsISG_E10value_typeET2_T3_PNSH_ISM_E10value_typeET4_T5_PSR_SS_PNS1_23onesweep_lookback_stateEbbT6_jjT7_P12ihipStream_tbENKUlT_T0_SG_SL_E_clIS7_S7_SB_PlEEDaSZ_S10_SG_SL_EUlSZ_E_NS1_11comp_targetILNS1_3genE5ELNS1_11target_archE942ELNS1_3gpuE9ELNS1_3repE0EEENS1_47radix_sort_onesweep_sort_config_static_selectorELNS0_4arch9wavefront6targetE1EEEvSG_.num_vgpr, 0
	.set _ZN7rocprim17ROCPRIM_400000_NS6detail17trampoline_kernelINS0_14default_configENS1_35radix_sort_onesweep_config_selectorIalEEZZNS1_29radix_sort_onesweep_iterationIS3_Lb0EPaS7_N6thrust23THRUST_200600_302600_NS10device_ptrIlEESB_jNS0_19identity_decomposerENS1_16block_id_wrapperIjLb1EEEEE10hipError_tT1_PNSt15iterator_traitsISG_E10value_typeET2_T3_PNSH_ISM_E10value_typeET4_T5_PSR_SS_PNS1_23onesweep_lookback_stateEbbT6_jjT7_P12ihipStream_tbENKUlT_T0_SG_SL_E_clIS7_S7_SB_PlEEDaSZ_S10_SG_SL_EUlSZ_E_NS1_11comp_targetILNS1_3genE5ELNS1_11target_archE942ELNS1_3gpuE9ELNS1_3repE0EEENS1_47radix_sort_onesweep_sort_config_static_selectorELNS0_4arch9wavefront6targetE1EEEvSG_.num_agpr, 0
	.set _ZN7rocprim17ROCPRIM_400000_NS6detail17trampoline_kernelINS0_14default_configENS1_35radix_sort_onesweep_config_selectorIalEEZZNS1_29radix_sort_onesweep_iterationIS3_Lb0EPaS7_N6thrust23THRUST_200600_302600_NS10device_ptrIlEESB_jNS0_19identity_decomposerENS1_16block_id_wrapperIjLb1EEEEE10hipError_tT1_PNSt15iterator_traitsISG_E10value_typeET2_T3_PNSH_ISM_E10value_typeET4_T5_PSR_SS_PNS1_23onesweep_lookback_stateEbbT6_jjT7_P12ihipStream_tbENKUlT_T0_SG_SL_E_clIS7_S7_SB_PlEEDaSZ_S10_SG_SL_EUlSZ_E_NS1_11comp_targetILNS1_3genE5ELNS1_11target_archE942ELNS1_3gpuE9ELNS1_3repE0EEENS1_47radix_sort_onesweep_sort_config_static_selectorELNS0_4arch9wavefront6targetE1EEEvSG_.numbered_sgpr, 0
	.set _ZN7rocprim17ROCPRIM_400000_NS6detail17trampoline_kernelINS0_14default_configENS1_35radix_sort_onesweep_config_selectorIalEEZZNS1_29radix_sort_onesweep_iterationIS3_Lb0EPaS7_N6thrust23THRUST_200600_302600_NS10device_ptrIlEESB_jNS0_19identity_decomposerENS1_16block_id_wrapperIjLb1EEEEE10hipError_tT1_PNSt15iterator_traitsISG_E10value_typeET2_T3_PNSH_ISM_E10value_typeET4_T5_PSR_SS_PNS1_23onesweep_lookback_stateEbbT6_jjT7_P12ihipStream_tbENKUlT_T0_SG_SL_E_clIS7_S7_SB_PlEEDaSZ_S10_SG_SL_EUlSZ_E_NS1_11comp_targetILNS1_3genE5ELNS1_11target_archE942ELNS1_3gpuE9ELNS1_3repE0EEENS1_47radix_sort_onesweep_sort_config_static_selectorELNS0_4arch9wavefront6targetE1EEEvSG_.num_named_barrier, 0
	.set _ZN7rocprim17ROCPRIM_400000_NS6detail17trampoline_kernelINS0_14default_configENS1_35radix_sort_onesweep_config_selectorIalEEZZNS1_29radix_sort_onesweep_iterationIS3_Lb0EPaS7_N6thrust23THRUST_200600_302600_NS10device_ptrIlEESB_jNS0_19identity_decomposerENS1_16block_id_wrapperIjLb1EEEEE10hipError_tT1_PNSt15iterator_traitsISG_E10value_typeET2_T3_PNSH_ISM_E10value_typeET4_T5_PSR_SS_PNS1_23onesweep_lookback_stateEbbT6_jjT7_P12ihipStream_tbENKUlT_T0_SG_SL_E_clIS7_S7_SB_PlEEDaSZ_S10_SG_SL_EUlSZ_E_NS1_11comp_targetILNS1_3genE5ELNS1_11target_archE942ELNS1_3gpuE9ELNS1_3repE0EEENS1_47radix_sort_onesweep_sort_config_static_selectorELNS0_4arch9wavefront6targetE1EEEvSG_.private_seg_size, 0
	.set _ZN7rocprim17ROCPRIM_400000_NS6detail17trampoline_kernelINS0_14default_configENS1_35radix_sort_onesweep_config_selectorIalEEZZNS1_29radix_sort_onesweep_iterationIS3_Lb0EPaS7_N6thrust23THRUST_200600_302600_NS10device_ptrIlEESB_jNS0_19identity_decomposerENS1_16block_id_wrapperIjLb1EEEEE10hipError_tT1_PNSt15iterator_traitsISG_E10value_typeET2_T3_PNSH_ISM_E10value_typeET4_T5_PSR_SS_PNS1_23onesweep_lookback_stateEbbT6_jjT7_P12ihipStream_tbENKUlT_T0_SG_SL_E_clIS7_S7_SB_PlEEDaSZ_S10_SG_SL_EUlSZ_E_NS1_11comp_targetILNS1_3genE5ELNS1_11target_archE942ELNS1_3gpuE9ELNS1_3repE0EEENS1_47radix_sort_onesweep_sort_config_static_selectorELNS0_4arch9wavefront6targetE1EEEvSG_.uses_vcc, 0
	.set _ZN7rocprim17ROCPRIM_400000_NS6detail17trampoline_kernelINS0_14default_configENS1_35radix_sort_onesweep_config_selectorIalEEZZNS1_29radix_sort_onesweep_iterationIS3_Lb0EPaS7_N6thrust23THRUST_200600_302600_NS10device_ptrIlEESB_jNS0_19identity_decomposerENS1_16block_id_wrapperIjLb1EEEEE10hipError_tT1_PNSt15iterator_traitsISG_E10value_typeET2_T3_PNSH_ISM_E10value_typeET4_T5_PSR_SS_PNS1_23onesweep_lookback_stateEbbT6_jjT7_P12ihipStream_tbENKUlT_T0_SG_SL_E_clIS7_S7_SB_PlEEDaSZ_S10_SG_SL_EUlSZ_E_NS1_11comp_targetILNS1_3genE5ELNS1_11target_archE942ELNS1_3gpuE9ELNS1_3repE0EEENS1_47radix_sort_onesweep_sort_config_static_selectorELNS0_4arch9wavefront6targetE1EEEvSG_.uses_flat_scratch, 0
	.set _ZN7rocprim17ROCPRIM_400000_NS6detail17trampoline_kernelINS0_14default_configENS1_35radix_sort_onesweep_config_selectorIalEEZZNS1_29radix_sort_onesweep_iterationIS3_Lb0EPaS7_N6thrust23THRUST_200600_302600_NS10device_ptrIlEESB_jNS0_19identity_decomposerENS1_16block_id_wrapperIjLb1EEEEE10hipError_tT1_PNSt15iterator_traitsISG_E10value_typeET2_T3_PNSH_ISM_E10value_typeET4_T5_PSR_SS_PNS1_23onesweep_lookback_stateEbbT6_jjT7_P12ihipStream_tbENKUlT_T0_SG_SL_E_clIS7_S7_SB_PlEEDaSZ_S10_SG_SL_EUlSZ_E_NS1_11comp_targetILNS1_3genE5ELNS1_11target_archE942ELNS1_3gpuE9ELNS1_3repE0EEENS1_47radix_sort_onesweep_sort_config_static_selectorELNS0_4arch9wavefront6targetE1EEEvSG_.has_dyn_sized_stack, 0
	.set _ZN7rocprim17ROCPRIM_400000_NS6detail17trampoline_kernelINS0_14default_configENS1_35radix_sort_onesweep_config_selectorIalEEZZNS1_29radix_sort_onesweep_iterationIS3_Lb0EPaS7_N6thrust23THRUST_200600_302600_NS10device_ptrIlEESB_jNS0_19identity_decomposerENS1_16block_id_wrapperIjLb1EEEEE10hipError_tT1_PNSt15iterator_traitsISG_E10value_typeET2_T3_PNSH_ISM_E10value_typeET4_T5_PSR_SS_PNS1_23onesweep_lookback_stateEbbT6_jjT7_P12ihipStream_tbENKUlT_T0_SG_SL_E_clIS7_S7_SB_PlEEDaSZ_S10_SG_SL_EUlSZ_E_NS1_11comp_targetILNS1_3genE5ELNS1_11target_archE942ELNS1_3gpuE9ELNS1_3repE0EEENS1_47radix_sort_onesweep_sort_config_static_selectorELNS0_4arch9wavefront6targetE1EEEvSG_.has_recursion, 0
	.set _ZN7rocprim17ROCPRIM_400000_NS6detail17trampoline_kernelINS0_14default_configENS1_35radix_sort_onesweep_config_selectorIalEEZZNS1_29radix_sort_onesweep_iterationIS3_Lb0EPaS7_N6thrust23THRUST_200600_302600_NS10device_ptrIlEESB_jNS0_19identity_decomposerENS1_16block_id_wrapperIjLb1EEEEE10hipError_tT1_PNSt15iterator_traitsISG_E10value_typeET2_T3_PNSH_ISM_E10value_typeET4_T5_PSR_SS_PNS1_23onesweep_lookback_stateEbbT6_jjT7_P12ihipStream_tbENKUlT_T0_SG_SL_E_clIS7_S7_SB_PlEEDaSZ_S10_SG_SL_EUlSZ_E_NS1_11comp_targetILNS1_3genE5ELNS1_11target_archE942ELNS1_3gpuE9ELNS1_3repE0EEENS1_47radix_sort_onesweep_sort_config_static_selectorELNS0_4arch9wavefront6targetE1EEEvSG_.has_indirect_call, 0
	.section	.AMDGPU.csdata,"",@progbits
; Kernel info:
; codeLenInByte = 0
; TotalNumSgprs: 4
; NumVgprs: 0
; ScratchSize: 0
; MemoryBound: 0
; FloatMode: 240
; IeeeMode: 1
; LDSByteSize: 0 bytes/workgroup (compile time only)
; SGPRBlocks: 0
; VGPRBlocks: 0
; NumSGPRsForWavesPerEU: 4
; NumVGPRsForWavesPerEU: 1
; Occupancy: 10
; WaveLimiterHint : 0
; COMPUTE_PGM_RSRC2:SCRATCH_EN: 0
; COMPUTE_PGM_RSRC2:USER_SGPR: 6
; COMPUTE_PGM_RSRC2:TRAP_HANDLER: 0
; COMPUTE_PGM_RSRC2:TGID_X_EN: 1
; COMPUTE_PGM_RSRC2:TGID_Y_EN: 0
; COMPUTE_PGM_RSRC2:TGID_Z_EN: 0
; COMPUTE_PGM_RSRC2:TIDIG_COMP_CNT: 0
	.section	.text._ZN7rocprim17ROCPRIM_400000_NS6detail17trampoline_kernelINS0_14default_configENS1_35radix_sort_onesweep_config_selectorIalEEZZNS1_29radix_sort_onesweep_iterationIS3_Lb0EPaS7_N6thrust23THRUST_200600_302600_NS10device_ptrIlEESB_jNS0_19identity_decomposerENS1_16block_id_wrapperIjLb1EEEEE10hipError_tT1_PNSt15iterator_traitsISG_E10value_typeET2_T3_PNSH_ISM_E10value_typeET4_T5_PSR_SS_PNS1_23onesweep_lookback_stateEbbT6_jjT7_P12ihipStream_tbENKUlT_T0_SG_SL_E_clIS7_S7_SB_PlEEDaSZ_S10_SG_SL_EUlSZ_E_NS1_11comp_targetILNS1_3genE2ELNS1_11target_archE906ELNS1_3gpuE6ELNS1_3repE0EEENS1_47radix_sort_onesweep_sort_config_static_selectorELNS0_4arch9wavefront6targetE1EEEvSG_,"axG",@progbits,_ZN7rocprim17ROCPRIM_400000_NS6detail17trampoline_kernelINS0_14default_configENS1_35radix_sort_onesweep_config_selectorIalEEZZNS1_29radix_sort_onesweep_iterationIS3_Lb0EPaS7_N6thrust23THRUST_200600_302600_NS10device_ptrIlEESB_jNS0_19identity_decomposerENS1_16block_id_wrapperIjLb1EEEEE10hipError_tT1_PNSt15iterator_traitsISG_E10value_typeET2_T3_PNSH_ISM_E10value_typeET4_T5_PSR_SS_PNS1_23onesweep_lookback_stateEbbT6_jjT7_P12ihipStream_tbENKUlT_T0_SG_SL_E_clIS7_S7_SB_PlEEDaSZ_S10_SG_SL_EUlSZ_E_NS1_11comp_targetILNS1_3genE2ELNS1_11target_archE906ELNS1_3gpuE6ELNS1_3repE0EEENS1_47radix_sort_onesweep_sort_config_static_selectorELNS0_4arch9wavefront6targetE1EEEvSG_,comdat
	.protected	_ZN7rocprim17ROCPRIM_400000_NS6detail17trampoline_kernelINS0_14default_configENS1_35radix_sort_onesweep_config_selectorIalEEZZNS1_29radix_sort_onesweep_iterationIS3_Lb0EPaS7_N6thrust23THRUST_200600_302600_NS10device_ptrIlEESB_jNS0_19identity_decomposerENS1_16block_id_wrapperIjLb1EEEEE10hipError_tT1_PNSt15iterator_traitsISG_E10value_typeET2_T3_PNSH_ISM_E10value_typeET4_T5_PSR_SS_PNS1_23onesweep_lookback_stateEbbT6_jjT7_P12ihipStream_tbENKUlT_T0_SG_SL_E_clIS7_S7_SB_PlEEDaSZ_S10_SG_SL_EUlSZ_E_NS1_11comp_targetILNS1_3genE2ELNS1_11target_archE906ELNS1_3gpuE6ELNS1_3repE0EEENS1_47radix_sort_onesweep_sort_config_static_selectorELNS0_4arch9wavefront6targetE1EEEvSG_ ; -- Begin function _ZN7rocprim17ROCPRIM_400000_NS6detail17trampoline_kernelINS0_14default_configENS1_35radix_sort_onesweep_config_selectorIalEEZZNS1_29radix_sort_onesweep_iterationIS3_Lb0EPaS7_N6thrust23THRUST_200600_302600_NS10device_ptrIlEESB_jNS0_19identity_decomposerENS1_16block_id_wrapperIjLb1EEEEE10hipError_tT1_PNSt15iterator_traitsISG_E10value_typeET2_T3_PNSH_ISM_E10value_typeET4_T5_PSR_SS_PNS1_23onesweep_lookback_stateEbbT6_jjT7_P12ihipStream_tbENKUlT_T0_SG_SL_E_clIS7_S7_SB_PlEEDaSZ_S10_SG_SL_EUlSZ_E_NS1_11comp_targetILNS1_3genE2ELNS1_11target_archE906ELNS1_3gpuE6ELNS1_3repE0EEENS1_47radix_sort_onesweep_sort_config_static_selectorELNS0_4arch9wavefront6targetE1EEEvSG_
	.globl	_ZN7rocprim17ROCPRIM_400000_NS6detail17trampoline_kernelINS0_14default_configENS1_35radix_sort_onesweep_config_selectorIalEEZZNS1_29radix_sort_onesweep_iterationIS3_Lb0EPaS7_N6thrust23THRUST_200600_302600_NS10device_ptrIlEESB_jNS0_19identity_decomposerENS1_16block_id_wrapperIjLb1EEEEE10hipError_tT1_PNSt15iterator_traitsISG_E10value_typeET2_T3_PNSH_ISM_E10value_typeET4_T5_PSR_SS_PNS1_23onesweep_lookback_stateEbbT6_jjT7_P12ihipStream_tbENKUlT_T0_SG_SL_E_clIS7_S7_SB_PlEEDaSZ_S10_SG_SL_EUlSZ_E_NS1_11comp_targetILNS1_3genE2ELNS1_11target_archE906ELNS1_3gpuE6ELNS1_3repE0EEENS1_47radix_sort_onesweep_sort_config_static_selectorELNS0_4arch9wavefront6targetE1EEEvSG_
	.p2align	8
	.type	_ZN7rocprim17ROCPRIM_400000_NS6detail17trampoline_kernelINS0_14default_configENS1_35radix_sort_onesweep_config_selectorIalEEZZNS1_29radix_sort_onesweep_iterationIS3_Lb0EPaS7_N6thrust23THRUST_200600_302600_NS10device_ptrIlEESB_jNS0_19identity_decomposerENS1_16block_id_wrapperIjLb1EEEEE10hipError_tT1_PNSt15iterator_traitsISG_E10value_typeET2_T3_PNSH_ISM_E10value_typeET4_T5_PSR_SS_PNS1_23onesweep_lookback_stateEbbT6_jjT7_P12ihipStream_tbENKUlT_T0_SG_SL_E_clIS7_S7_SB_PlEEDaSZ_S10_SG_SL_EUlSZ_E_NS1_11comp_targetILNS1_3genE2ELNS1_11target_archE906ELNS1_3gpuE6ELNS1_3repE0EEENS1_47radix_sort_onesweep_sort_config_static_selectorELNS0_4arch9wavefront6targetE1EEEvSG_,@function
_ZN7rocprim17ROCPRIM_400000_NS6detail17trampoline_kernelINS0_14default_configENS1_35radix_sort_onesweep_config_selectorIalEEZZNS1_29radix_sort_onesweep_iterationIS3_Lb0EPaS7_N6thrust23THRUST_200600_302600_NS10device_ptrIlEESB_jNS0_19identity_decomposerENS1_16block_id_wrapperIjLb1EEEEE10hipError_tT1_PNSt15iterator_traitsISG_E10value_typeET2_T3_PNSH_ISM_E10value_typeET4_T5_PSR_SS_PNS1_23onesweep_lookback_stateEbbT6_jjT7_P12ihipStream_tbENKUlT_T0_SG_SL_E_clIS7_S7_SB_PlEEDaSZ_S10_SG_SL_EUlSZ_E_NS1_11comp_targetILNS1_3genE2ELNS1_11target_archE906ELNS1_3gpuE6ELNS1_3repE0EEENS1_47radix_sort_onesweep_sort_config_static_selectorELNS0_4arch9wavefront6targetE1EEEvSG_: ; @_ZN7rocprim17ROCPRIM_400000_NS6detail17trampoline_kernelINS0_14default_configENS1_35radix_sort_onesweep_config_selectorIalEEZZNS1_29radix_sort_onesweep_iterationIS3_Lb0EPaS7_N6thrust23THRUST_200600_302600_NS10device_ptrIlEESB_jNS0_19identity_decomposerENS1_16block_id_wrapperIjLb1EEEEE10hipError_tT1_PNSt15iterator_traitsISG_E10value_typeET2_T3_PNSH_ISM_E10value_typeET4_T5_PSR_SS_PNS1_23onesweep_lookback_stateEbbT6_jjT7_P12ihipStream_tbENKUlT_T0_SG_SL_E_clIS7_S7_SB_PlEEDaSZ_S10_SG_SL_EUlSZ_E_NS1_11comp_targetILNS1_3genE2ELNS1_11target_archE906ELNS1_3gpuE6ELNS1_3repE0EEENS1_47radix_sort_onesweep_sort_config_static_selectorELNS0_4arch9wavefront6targetE1EEEvSG_
; %bb.0:
	s_load_dwordx4 s[28:31], s[4:5], 0x28
	s_load_dwordx2 s[34:35], s[4:5], 0x38
	s_load_dwordx4 s[44:47], s[4:5], 0x44
	s_add_u32 s0, s0, s7
	s_addc_u32 s1, s1, 0
	v_cmp_eq_u32_e64 s[22:23], 0, v0
	s_and_saveexec_b64 s[8:9], s[22:23]
	s_cbranch_execz .LBB612_4
; %bb.1:
	s_mov_b64 s[12:13], exec
	v_mbcnt_lo_u32_b32 v3, s12, 0
	v_mbcnt_hi_u32_b32 v3, s13, v3
	v_cmp_eq_u32_e32 vcc, 0, v3
                                        ; implicit-def: $vgpr4
	s_and_saveexec_b64 s[10:11], vcc
	s_cbranch_execz .LBB612_3
; %bb.2:
	s_load_dwordx2 s[14:15], s[4:5], 0x50
	s_bcnt1_i32_b64 s7, s[12:13]
	v_mov_b32_e32 v4, 0
	v_mov_b32_e32 v5, s7
	s_waitcnt lgkmcnt(0)
	global_atomic_add v4, v4, v5, s[14:15] glc
.LBB612_3:
	s_or_b64 exec, exec, s[10:11]
	s_waitcnt vmcnt(0)
	v_readfirstlane_b32 s7, v4
	v_add_u32_e32 v3, s7, v3
	v_mov_b32_e32 v4, 0
	ds_write_b32 v4, v3 offset:10272
.LBB612_4:
	s_or_b64 exec, exec, s[8:9]
	v_mov_b32_e32 v3, 0
	s_load_dwordx8 s[36:43], s[4:5], 0x0
	s_load_dword s7, s[4:5], 0x20
	s_waitcnt lgkmcnt(0)
	s_barrier
	ds_read_b32 v3, v3 offset:10272
	s_mov_b64 s[8:9], -1
	v_mbcnt_lo_u32_b32 v17, -1, 0
	s_waitcnt lgkmcnt(0)
	s_barrier
	v_readfirstlane_b32 s33, v3
	v_cmp_le_u32_e32 vcc, s46, v3
	s_mul_i32 s26, s33, 0xc00
	s_cbranch_vccz .LBB612_82
; %bb.5:
	s_mul_i32 s8, s46, 0xfffff400
	s_add_i32 s7, s8, s7
	s_add_u32 s8, s36, s26
	v_mbcnt_hi_u32_b32 v7, -1, v17
	s_addc_u32 s9, s37, 0
	v_and_b32_e32 v10, 63, v7
	v_and_b32_e32 v8, 0x1c0, v0
	v_mov_b32_e32 v3, s9
	v_add_co_u32_e32 v4, vcc, s8, v10
	v_mul_u32_u24_e32 v9, 6, v8
	v_addc_co_u32_e32 v5, vcc, 0, v3, vcc
	v_add_co_u32_e32 v3, vcc, v4, v9
	v_addc_co_u32_e32 v4, vcc, 0, v5, vcc
	v_or_b32_e32 v11, v10, v9
	s_mov_b32 s27, 0
	v_cmp_gt_u32_e32 vcc, s7, v11
	v_mov_b32_e32 v6, 0x7f
	v_mov_b32_e32 v5, 0x7f
	v_mov_b32_e32 v15, 0x7f
	v_mov_b32_e32 v20, 0x7f
	v_mov_b32_e32 v22, 0x7f
	v_mov_b32_e32 v14, 0x7f
	s_and_saveexec_b64 s[8:9], vcc
	s_cbranch_execz .LBB612_7
; %bb.6:
	global_load_ubyte v5, v[3:4], off
	v_mov_b32_e32 v6, 0x7f
	v_mov_b32_e32 v15, 0x7f
	;; [unrolled: 1-line block ×5, first 2 shown]
.LBB612_7:
	s_or_b64 exec, exec, s[8:9]
	v_or_b32_e32 v12, 64, v11
	v_cmp_gt_u32_e64 s[8:9], s7, v12
	s_and_saveexec_b64 s[10:11], s[8:9]
	s_cbranch_execz .LBB612_9
; %bb.8:
	global_load_ubyte v15, v[3:4], off offset:64
.LBB612_9:
	s_or_b64 exec, exec, s[10:11]
	v_add_u32_e32 v12, 0x80, v11
	v_cmp_gt_u32_e64 s[10:11], s7, v12
	s_and_saveexec_b64 s[12:13], s[10:11]
	s_cbranch_execz .LBB612_11
; %bb.10:
	global_load_ubyte v20, v[3:4], off offset:128
.LBB612_11:
	s_or_b64 exec, exec, s[12:13]
	v_add_u32_e32 v12, 0xc0, v11
	;; [unrolled: 8-line block ×4, first 2 shown]
	v_cmp_gt_u32_e64 s[16:17], s7, v11
	s_and_saveexec_b64 s[18:19], s[16:17]
	s_cbranch_execz .LBB612_17
; %bb.16:
	global_load_ubyte v6, v[3:4], off offset:320
.LBB612_17:
	s_or_b64 exec, exec, s[18:19]
	s_load_dword s18, s[4:5], 0x64
	s_load_dword s52, s[4:5], 0x58
	s_add_u32 s19, s4, 0x58
	s_addc_u32 s20, s5, 0
	v_mov_b32_e32 v3, 0
	s_waitcnt lgkmcnt(0)
	s_lshr_b32 s21, s18, 16
	s_cmp_lt_u32 s6, s52
	s_cselect_b32 s18, 12, 18
	s_add_u32 s18, s19, s18
	s_addc_u32 s19, s20, 0
	global_load_ushort v13, v3, s[18:19]
	s_waitcnt vmcnt(1)
	v_xor_b32_e32 v11, 0xffffff80, v5
	s_lshl_b32 s18, -1, s45
	v_lshrrev_b32_sdwa v4, s44, v11 dst_sel:DWORD dst_unused:UNUSED_PAD src0_sel:DWORD src1_sel:BYTE_0
	s_not_b32 s53, s18
	v_and_b32_e32 v16, s53, v4
	v_and_b32_e32 v18, 1, v16
	v_add_co_u32_e64 v19, s[18:19], -1, v18
	v_lshlrev_b32_e32 v4, 30, v16
	v_addc_co_u32_e64 v23, s[18:19], 0, -1, s[18:19]
	v_mad_u32_u24 v5, v2, s21, v1
	v_cmp_ne_u32_e64 s[18:19], 0, v18
	v_cmp_gt_i64_e64 s[20:21], 0, v[3:4]
	v_not_b32_e32 v18, v4
	v_lshlrev_b32_e32 v4, 29, v16
	v_xor_b32_e32 v23, s19, v23
	v_xor_b32_e32 v19, s18, v19
	v_ashrrev_i32_e32 v18, 31, v18
	v_cmp_gt_i64_e64 s[18:19], 0, v[3:4]
	v_not_b32_e32 v24, v4
	v_lshlrev_b32_e32 v4, 28, v16
	v_and_b32_e32 v23, exec_hi, v23
	v_and_b32_e32 v19, exec_lo, v19
	v_xor_b32_e32 v25, s21, v18
	v_xor_b32_e32 v18, s20, v18
	v_ashrrev_i32_e32 v24, 31, v24
	v_cmp_gt_i64_e64 s[20:21], 0, v[3:4]
	v_not_b32_e32 v26, v4
	v_lshlrev_b32_e32 v4, 27, v16
	v_and_b32_e32 v23, v23, v25
	v_and_b32_e32 v18, v19, v18
	v_xor_b32_e32 v19, s19, v24
	v_xor_b32_e32 v24, s18, v24
	v_ashrrev_i32_e32 v25, 31, v26
	v_cmp_gt_i64_e64 s[18:19], 0, v[3:4]
	v_not_b32_e32 v26, v4
	v_lshlrev_b32_e32 v4, 26, v16
	v_and_b32_e32 v19, v23, v19
	v_and_b32_e32 v18, v18, v24
	v_xor_b32_e32 v23, s21, v25
	v_xor_b32_e32 v24, s20, v25
	v_ashrrev_i32_e32 v25, 31, v26
	v_cmp_gt_i64_e64 s[20:21], 0, v[3:4]
	v_not_b32_e32 v26, v4
	v_lshlrev_b32_e32 v4, 25, v16
	v_and_b32_e32 v19, v19, v23
	v_and_b32_e32 v18, v18, v24
	v_xor_b32_e32 v23, s19, v25
	v_xor_b32_e32 v24, s18, v25
	v_ashrrev_i32_e32 v25, 31, v26
	v_cmp_gt_i64_e64 s[18:19], 0, v[3:4]
	v_not_b32_e32 v26, v4
	v_mul_u32_u24_e32 v21, 36, v16
	v_lshlrev_b32_e32 v4, 24, v16
	v_and_b32_e32 v16, v19, v23
	v_and_b32_e32 v18, v18, v24
	v_xor_b32_e32 v19, s21, v25
	v_xor_b32_e32 v23, s20, v25
	v_ashrrev_i32_e32 v24, 31, v26
	v_and_b32_e32 v16, v16, v19
	v_and_b32_e32 v18, v18, v23
	v_xor_b32_e32 v19, s19, v24
	v_xor_b32_e32 v23, s18, v24
	v_and_b32_e32 v16, v16, v19
	v_and_b32_e32 v23, v18, v23
	v_cmp_gt_i64_e64 s[20:21], 0, v[3:4]
	v_not_b32_e32 v4, v4
	v_ashrrev_i32_e32 v4, 31, v4
	v_xor_b32_e32 v24, s21, v4
	v_xor_b32_e32 v4, s20, v4
	v_and_b32_e32 v4, v23, v4
	v_mul_u32_u24_e32 v12, 20, v0
	ds_write2_b32 v12, v3, v3 offset0:8 offset1:9
	ds_write2_b32 v12, v3, v3 offset0:10 offset1:11
	ds_write_b32 v12, v3 offset:48
	s_waitcnt vmcnt(0) lgkmcnt(0)
	s_barrier
	; wave barrier
	v_mad_u64_u32 v[18:19], s[18:19], v5, v13, v[0:1]
	v_and_b32_e32 v5, v16, v24
	v_cmp_ne_u64_e64 s[18:19], 0, v[4:5]
	v_lshrrev_b32_e32 v13, 4, v18
	v_and_b32_e32 v29, 0xffffffc, v13
	v_mbcnt_lo_u32_b32 v13, v4, 0
	v_mbcnt_hi_u32_b32 v13, v5, v13
	v_cmp_eq_u32_e64 s[20:21], 0, v13
	s_and_b64 s[20:21], s[18:19], s[20:21]
	v_add_u32_e32 v16, v29, v21
	s_and_saveexec_b64 s[18:19], s[20:21]
; %bb.18:
	v_bcnt_u32_b32 v4, v4, 0
	v_bcnt_u32_b32 v4, v5, v4
	ds_write_b32 v16, v4 offset:32
; %bb.19:
	s_or_b64 exec, exec, s[18:19]
	v_xor_b32_e32 v15, 0xffffff80, v15
	v_lshrrev_b32_sdwa v4, s44, v15 dst_sel:DWORD dst_unused:UNUSED_PAD src0_sel:DWORD src1_sel:BYTE_0
	v_and_b32_e32 v5, s53, v4
	v_mad_u32_u24 v4, v5, 36, v29
	; wave barrier
	ds_read_b32 v18, v4 offset:32
	v_and_b32_e32 v4, 1, v5
	v_add_co_u32_e64 v19, s[18:19], -1, v4
	v_addc_co_u32_e64 v23, s[18:19], 0, -1, s[18:19]
	v_cmp_ne_u32_e64 s[18:19], 0, v4
	v_xor_b32_e32 v4, s19, v23
	v_and_b32_e32 v23, exec_hi, v4
	v_lshlrev_b32_e32 v4, 30, v5
	v_xor_b32_e32 v19, s18, v19
	v_cmp_gt_i64_e64 s[18:19], 0, v[3:4]
	v_not_b32_e32 v4, v4
	v_ashrrev_i32_e32 v4, 31, v4
	v_and_b32_e32 v19, exec_lo, v19
	v_xor_b32_e32 v24, s19, v4
	v_xor_b32_e32 v4, s18, v4
	v_and_b32_e32 v19, v19, v4
	v_lshlrev_b32_e32 v4, 29, v5
	v_cmp_gt_i64_e64 s[18:19], 0, v[3:4]
	v_not_b32_e32 v4, v4
	v_ashrrev_i32_e32 v4, 31, v4
	v_and_b32_e32 v23, v23, v24
	v_xor_b32_e32 v24, s19, v4
	v_xor_b32_e32 v4, s18, v4
	v_and_b32_e32 v19, v19, v4
	v_lshlrev_b32_e32 v4, 28, v5
	v_cmp_gt_i64_e64 s[18:19], 0, v[3:4]
	v_not_b32_e32 v4, v4
	v_ashrrev_i32_e32 v4, 31, v4
	v_and_b32_e32 v23, v23, v24
	v_xor_b32_e32 v24, s19, v4
	v_xor_b32_e32 v4, s18, v4
	v_and_b32_e32 v19, v19, v4
	v_lshlrev_b32_e32 v4, 27, v5
	v_cmp_gt_i64_e64 s[18:19], 0, v[3:4]
	v_not_b32_e32 v4, v4
	v_ashrrev_i32_e32 v4, 31, v4
	v_and_b32_e32 v23, v23, v24
	v_xor_b32_e32 v24, s19, v4
	v_xor_b32_e32 v4, s18, v4
	v_and_b32_e32 v19, v19, v4
	v_lshlrev_b32_e32 v4, 26, v5
	v_cmp_gt_i64_e64 s[18:19], 0, v[3:4]
	v_not_b32_e32 v4, v4
	v_ashrrev_i32_e32 v4, 31, v4
	v_and_b32_e32 v23, v23, v24
	v_xor_b32_e32 v24, s19, v4
	v_xor_b32_e32 v4, s18, v4
	v_and_b32_e32 v19, v19, v4
	v_lshlrev_b32_e32 v4, 25, v5
	v_cmp_gt_i64_e64 s[18:19], 0, v[3:4]
	v_not_b32_e32 v4, v4
	v_ashrrev_i32_e32 v4, 31, v4
	v_and_b32_e32 v23, v23, v24
	v_xor_b32_e32 v24, s19, v4
	v_xor_b32_e32 v4, s18, v4
	v_and_b32_e32 v19, v19, v4
	v_lshlrev_b32_e32 v4, 24, v5
	v_cmp_gt_i64_e64 s[18:19], 0, v[3:4]
	v_not_b32_e32 v3, v4
	v_ashrrev_i32_e32 v3, 31, v3
	v_xor_b32_e32 v4, s19, v3
	v_xor_b32_e32 v3, s18, v3
	v_and_b32_e32 v23, v23, v24
	v_and_b32_e32 v3, v19, v3
	v_mul_u32_u24_e32 v21, 36, v5
	v_and_b32_e32 v4, v23, v4
	v_mbcnt_lo_u32_b32 v5, v3, 0
	v_mbcnt_hi_u32_b32 v19, v4, v5
	v_cmp_ne_u64_e64 s[18:19], 0, v[3:4]
	v_cmp_eq_u32_e64 s[20:21], 0, v19
	s_and_b64 s[20:21], s[18:19], s[20:21]
	v_add_u32_e32 v28, v29, v21
	; wave barrier
	s_and_saveexec_b64 s[18:19], s[20:21]
	s_cbranch_execz .LBB612_21
; %bb.20:
	v_bcnt_u32_b32 v3, v3, 0
	v_bcnt_u32_b32 v3, v4, v3
	s_waitcnt lgkmcnt(0)
	v_add_u32_e32 v3, v18, v3
	ds_write_b32 v28, v3 offset:32
.LBB612_21:
	s_or_b64 exec, exec, s[18:19]
	v_xor_b32_e32 v26, 0xffffff80, v20
	v_lshrrev_b32_sdwa v3, s44, v26 dst_sel:DWORD dst_unused:UNUSED_PAD src0_sel:DWORD src1_sel:BYTE_0
	v_and_b32_e32 v5, s53, v3
	v_and_b32_e32 v4, 1, v5
	v_add_co_u32_e64 v21, s[18:19], -1, v4
	v_addc_co_u32_e64 v24, s[18:19], 0, -1, s[18:19]
	v_cmp_ne_u32_e64 s[18:19], 0, v4
	v_mad_u32_u24 v3, v5, 36, v29
	v_xor_b32_e32 v4, s19, v24
	; wave barrier
	ds_read_b32 v20, v3 offset:32
	v_mov_b32_e32 v3, 0
	v_and_b32_e32 v24, exec_hi, v4
	v_lshlrev_b32_e32 v4, 30, v5
	v_xor_b32_e32 v21, s18, v21
	v_cmp_gt_i64_e64 s[18:19], 0, v[3:4]
	v_not_b32_e32 v4, v4
	v_ashrrev_i32_e32 v4, 31, v4
	v_and_b32_e32 v21, exec_lo, v21
	v_xor_b32_e32 v25, s19, v4
	v_xor_b32_e32 v4, s18, v4
	v_and_b32_e32 v21, v21, v4
	v_lshlrev_b32_e32 v4, 29, v5
	v_cmp_gt_i64_e64 s[18:19], 0, v[3:4]
	v_not_b32_e32 v4, v4
	v_ashrrev_i32_e32 v4, 31, v4
	v_and_b32_e32 v24, v24, v25
	v_xor_b32_e32 v25, s19, v4
	v_xor_b32_e32 v4, s18, v4
	v_and_b32_e32 v21, v21, v4
	v_lshlrev_b32_e32 v4, 28, v5
	v_cmp_gt_i64_e64 s[18:19], 0, v[3:4]
	v_not_b32_e32 v4, v4
	v_ashrrev_i32_e32 v4, 31, v4
	v_and_b32_e32 v24, v24, v25
	;; [unrolled: 8-line block ×5, first 2 shown]
	v_xor_b32_e32 v25, s19, v4
	v_xor_b32_e32 v4, s18, v4
	v_and_b32_e32 v21, v21, v4
	v_lshlrev_b32_e32 v4, 24, v5
	v_cmp_gt_i64_e64 s[18:19], 0, v[3:4]
	v_not_b32_e32 v4, v4
	v_ashrrev_i32_e32 v4, 31, v4
	v_mul_u32_u24_e32 v23, 36, v5
	v_xor_b32_e32 v5, s19, v4
	v_xor_b32_e32 v4, s18, v4
	v_and_b32_e32 v24, v24, v25
	v_and_b32_e32 v4, v21, v4
	;; [unrolled: 1-line block ×3, first 2 shown]
	v_mbcnt_lo_u32_b32 v21, v4, 0
	v_mbcnt_hi_u32_b32 v21, v5, v21
	v_cmp_ne_u64_e64 s[18:19], 0, v[4:5]
	v_cmp_eq_u32_e64 s[20:21], 0, v21
	s_and_b64 s[20:21], s[18:19], s[20:21]
	v_add_u32_e32 v32, v29, v23
	; wave barrier
	s_and_saveexec_b64 s[18:19], s[20:21]
	s_cbranch_execz .LBB612_23
; %bb.22:
	v_bcnt_u32_b32 v4, v4, 0
	v_bcnt_u32_b32 v4, v5, v4
	s_waitcnt lgkmcnt(0)
	v_add_u32_e32 v4, v20, v4
	ds_write_b32 v32, v4 offset:32
.LBB612_23:
	s_or_b64 exec, exec, s[18:19]
	v_xor_b32_e32 v31, 0xffffff80, v22
	v_lshrrev_b32_sdwa v4, s44, v31 dst_sel:DWORD dst_unused:UNUSED_PAD src0_sel:DWORD src1_sel:BYTE_0
	v_and_b32_e32 v5, s53, v4
	v_mad_u32_u24 v4, v5, 36, v29
	; wave barrier
	ds_read_b32 v22, v4 offset:32
	v_and_b32_e32 v4, 1, v5
	v_add_co_u32_e64 v23, s[18:19], -1, v4
	v_addc_co_u32_e64 v25, s[18:19], 0, -1, s[18:19]
	v_cmp_ne_u32_e64 s[18:19], 0, v4
	v_xor_b32_e32 v4, s19, v25
	v_and_b32_e32 v25, exec_hi, v4
	v_lshlrev_b32_e32 v4, 30, v5
	v_xor_b32_e32 v23, s18, v23
	v_cmp_gt_i64_e64 s[18:19], 0, v[3:4]
	v_not_b32_e32 v4, v4
	v_ashrrev_i32_e32 v4, 31, v4
	v_and_b32_e32 v23, exec_lo, v23
	v_xor_b32_e32 v27, s19, v4
	v_xor_b32_e32 v4, s18, v4
	v_and_b32_e32 v23, v23, v4
	v_lshlrev_b32_e32 v4, 29, v5
	v_cmp_gt_i64_e64 s[18:19], 0, v[3:4]
	v_not_b32_e32 v4, v4
	v_ashrrev_i32_e32 v4, 31, v4
	v_and_b32_e32 v25, v25, v27
	v_xor_b32_e32 v27, s19, v4
	v_xor_b32_e32 v4, s18, v4
	v_and_b32_e32 v23, v23, v4
	v_lshlrev_b32_e32 v4, 28, v5
	v_cmp_gt_i64_e64 s[18:19], 0, v[3:4]
	v_not_b32_e32 v4, v4
	v_ashrrev_i32_e32 v4, 31, v4
	v_and_b32_e32 v25, v25, v27
	;; [unrolled: 8-line block ×5, first 2 shown]
	v_xor_b32_e32 v27, s19, v4
	v_xor_b32_e32 v4, s18, v4
	v_and_b32_e32 v23, v23, v4
	v_lshlrev_b32_e32 v4, 24, v5
	v_cmp_gt_i64_e64 s[18:19], 0, v[3:4]
	v_not_b32_e32 v3, v4
	v_ashrrev_i32_e32 v3, 31, v3
	v_xor_b32_e32 v4, s19, v3
	v_xor_b32_e32 v3, s18, v3
	v_and_b32_e32 v25, v25, v27
	v_and_b32_e32 v3, v23, v3
	v_mul_u32_u24_e32 v24, 36, v5
	v_and_b32_e32 v4, v25, v4
	v_mbcnt_lo_u32_b32 v5, v3, 0
	v_mbcnt_hi_u32_b32 v23, v4, v5
	v_cmp_ne_u64_e64 s[18:19], 0, v[3:4]
	v_cmp_eq_u32_e64 s[20:21], 0, v23
	s_and_b64 s[20:21], s[18:19], s[20:21]
	v_add_u32_e32 v35, v29, v24
	; wave barrier
	s_and_saveexec_b64 s[18:19], s[20:21]
	s_cbranch_execz .LBB612_25
; %bb.24:
	v_bcnt_u32_b32 v3, v3, 0
	v_bcnt_u32_b32 v3, v4, v3
	s_waitcnt lgkmcnt(0)
	v_add_u32_e32 v3, v22, v3
	ds_write_b32 v35, v3 offset:32
.LBB612_25:
	s_or_b64 exec, exec, s[18:19]
	v_xor_b32_e32 v14, 0xffffff80, v14
	v_lshrrev_b32_sdwa v3, s44, v14 dst_sel:DWORD dst_unused:UNUSED_PAD src0_sel:DWORD src1_sel:BYTE_0
	v_and_b32_e32 v5, s53, v3
	v_and_b32_e32 v4, 1, v5
	v_add_co_u32_e64 v25, s[18:19], -1, v4
	v_addc_co_u32_e64 v30, s[18:19], 0, -1, s[18:19]
	v_cmp_ne_u32_e64 s[18:19], 0, v4
	v_mad_u32_u24 v3, v5, 36, v29
	v_xor_b32_e32 v4, s19, v30
	; wave barrier
	ds_read_b32 v24, v3 offset:32
	v_mov_b32_e32 v3, 0
	v_and_b32_e32 v30, exec_hi, v4
	v_lshlrev_b32_e32 v4, 30, v5
	v_xor_b32_e32 v25, s18, v25
	v_cmp_gt_i64_e64 s[18:19], 0, v[3:4]
	v_not_b32_e32 v4, v4
	v_ashrrev_i32_e32 v4, 31, v4
	v_and_b32_e32 v25, exec_lo, v25
	v_xor_b32_e32 v33, s19, v4
	v_xor_b32_e32 v4, s18, v4
	v_and_b32_e32 v25, v25, v4
	v_lshlrev_b32_e32 v4, 29, v5
	v_cmp_gt_i64_e64 s[18:19], 0, v[3:4]
	v_not_b32_e32 v4, v4
	v_ashrrev_i32_e32 v4, 31, v4
	v_and_b32_e32 v30, v30, v33
	v_xor_b32_e32 v33, s19, v4
	v_xor_b32_e32 v4, s18, v4
	v_and_b32_e32 v25, v25, v4
	v_lshlrev_b32_e32 v4, 28, v5
	v_cmp_gt_i64_e64 s[18:19], 0, v[3:4]
	v_not_b32_e32 v4, v4
	v_ashrrev_i32_e32 v4, 31, v4
	v_and_b32_e32 v30, v30, v33
	;; [unrolled: 8-line block ×5, first 2 shown]
	v_xor_b32_e32 v33, s19, v4
	v_xor_b32_e32 v4, s18, v4
	v_and_b32_e32 v25, v25, v4
	v_lshlrev_b32_e32 v4, 24, v5
	v_cmp_gt_i64_e64 s[18:19], 0, v[3:4]
	v_not_b32_e32 v4, v4
	v_ashrrev_i32_e32 v4, 31, v4
	v_mul_u32_u24_e32 v27, 36, v5
	v_xor_b32_e32 v5, s19, v4
	v_xor_b32_e32 v4, s18, v4
	v_and_b32_e32 v30, v30, v33
	v_and_b32_e32 v4, v25, v4
	v_and_b32_e32 v5, v30, v5
	v_mbcnt_lo_u32_b32 v25, v4, 0
	v_mbcnt_hi_u32_b32 v25, v5, v25
	v_cmp_ne_u64_e64 s[18:19], 0, v[4:5]
	v_cmp_eq_u32_e64 s[20:21], 0, v25
	s_and_b64 s[20:21], s[18:19], s[20:21]
	v_add_u32_e32 v36, v29, v27
	; wave barrier
	s_and_saveexec_b64 s[18:19], s[20:21]
	s_cbranch_execz .LBB612_27
; %bb.26:
	v_bcnt_u32_b32 v4, v4, 0
	v_bcnt_u32_b32 v4, v5, v4
	s_waitcnt lgkmcnt(0)
	v_add_u32_e32 v4, v24, v4
	ds_write_b32 v36, v4 offset:32
.LBB612_27:
	s_or_b64 exec, exec, s[18:19]
	v_xor_b32_e32 v38, 0xffffff80, v6
	v_lshrrev_b32_sdwa v4, s44, v38 dst_sel:DWORD dst_unused:UNUSED_PAD src0_sel:DWORD src1_sel:BYTE_0
	v_and_b32_e32 v5, s53, v4
	v_mad_u32_u24 v4, v5, 36, v29
	; wave barrier
	ds_read_b32 v27, v4 offset:32
	v_and_b32_e32 v4, 1, v5
	v_add_co_u32_e64 v30, s[18:19], -1, v4
	v_addc_co_u32_e64 v33, s[18:19], 0, -1, s[18:19]
	v_cmp_ne_u32_e64 s[18:19], 0, v4
	v_xor_b32_e32 v4, s19, v33
	v_and_b32_e32 v33, exec_hi, v4
	v_lshlrev_b32_e32 v4, 30, v5
	v_xor_b32_e32 v30, s18, v30
	v_cmp_gt_i64_e64 s[18:19], 0, v[3:4]
	v_not_b32_e32 v4, v4
	v_ashrrev_i32_e32 v4, 31, v4
	v_and_b32_e32 v30, exec_lo, v30
	v_xor_b32_e32 v34, s19, v4
	v_xor_b32_e32 v4, s18, v4
	v_and_b32_e32 v30, v30, v4
	v_lshlrev_b32_e32 v4, 29, v5
	v_cmp_gt_i64_e64 s[18:19], 0, v[3:4]
	v_not_b32_e32 v4, v4
	v_ashrrev_i32_e32 v4, 31, v4
	v_and_b32_e32 v33, v33, v34
	v_xor_b32_e32 v34, s19, v4
	v_xor_b32_e32 v4, s18, v4
	v_and_b32_e32 v30, v30, v4
	v_lshlrev_b32_e32 v4, 28, v5
	v_cmp_gt_i64_e64 s[18:19], 0, v[3:4]
	v_not_b32_e32 v4, v4
	v_ashrrev_i32_e32 v4, 31, v4
	v_and_b32_e32 v33, v33, v34
	;; [unrolled: 8-line block ×5, first 2 shown]
	v_xor_b32_e32 v34, s19, v4
	v_xor_b32_e32 v4, s18, v4
	v_and_b32_e32 v30, v30, v4
	v_lshlrev_b32_e32 v4, 24, v5
	v_cmp_gt_i64_e64 s[18:19], 0, v[3:4]
	v_not_b32_e32 v3, v4
	v_ashrrev_i32_e32 v3, 31, v3
	v_xor_b32_e32 v4, s19, v3
	v_xor_b32_e32 v3, s18, v3
	v_and_b32_e32 v33, v33, v34
	v_and_b32_e32 v3, v30, v3
	v_mul_u32_u24_e32 v6, 36, v5
	v_and_b32_e32 v4, v33, v4
	v_mbcnt_lo_u32_b32 v5, v3, 0
	v_mbcnt_hi_u32_b32 v30, v4, v5
	v_cmp_ne_u64_e64 s[18:19], 0, v[3:4]
	v_cmp_eq_u32_e64 s[20:21], 0, v30
	s_and_b64 s[20:21], s[18:19], s[20:21]
	v_add_u32_e32 v29, v29, v6
	; wave barrier
	s_and_saveexec_b64 s[18:19], s[20:21]
	s_cbranch_execz .LBB612_29
; %bb.28:
	v_bcnt_u32_b32 v3, v3, 0
	v_bcnt_u32_b32 v3, v4, v3
	s_waitcnt lgkmcnt(0)
	v_add_u32_e32 v3, v27, v3
	ds_write_b32 v29, v3 offset:32
.LBB612_29:
	s_or_b64 exec, exec, s[18:19]
	; wave barrier
	s_waitcnt lgkmcnt(0)
	s_barrier
	ds_read2_b32 v[5:6], v12 offset0:8 offset1:9
	ds_read2_b32 v[3:4], v12 offset0:10 offset1:11
	ds_read_b32 v33, v12 offset:48
	v_min_u32_e32 v8, 0x1c0, v8
	v_or_b32_e32 v8, 63, v8
	s_waitcnt lgkmcnt(1)
	v_add3_u32 v34, v6, v5, v3
	s_waitcnt lgkmcnt(0)
	v_add3_u32 v33, v34, v4, v33
	v_and_b32_e32 v34, 15, v7
	v_cmp_ne_u32_e64 s[18:19], 0, v34
	v_mov_b32_dpp v37, v33 row_shr:1 row_mask:0xf bank_mask:0xf
	v_cndmask_b32_e64 v37, 0, v37, s[18:19]
	v_add_u32_e32 v33, v37, v33
	v_cmp_lt_u32_e64 s[18:19], 1, v34
	s_nop 0
	v_mov_b32_dpp v37, v33 row_shr:2 row_mask:0xf bank_mask:0xf
	v_cndmask_b32_e64 v37, 0, v37, s[18:19]
	v_add_u32_e32 v33, v33, v37
	v_cmp_lt_u32_e64 s[18:19], 3, v34
	s_nop 0
	;; [unrolled: 5-line block ×3, first 2 shown]
	v_mov_b32_dpp v37, v33 row_shr:8 row_mask:0xf bank_mask:0xf
	v_cndmask_b32_e64 v34, 0, v37, s[18:19]
	v_add_u32_e32 v33, v33, v34
	v_bfe_i32 v37, v7, 4, 1
	v_cmp_lt_u32_e64 s[18:19], 31, v7
	v_mov_b32_dpp v34, v33 row_bcast:15 row_mask:0xf bank_mask:0xf
	v_and_b32_e32 v34, v37, v34
	v_add_u32_e32 v33, v33, v34
	s_nop 1
	v_mov_b32_dpp v34, v33 row_bcast:31 row_mask:0xf bank_mask:0xf
	v_cndmask_b32_e64 v34, 0, v34, s[18:19]
	v_add_u32_e32 v33, v33, v34
	v_lshrrev_b32_e32 v34, 6, v0
	v_cmp_eq_u32_e64 s[18:19], v0, v8
	s_and_saveexec_b64 s[20:21], s[18:19]
; %bb.30:
	v_lshlrev_b32_e32 v8, 2, v34
	ds_write_b32 v8, v33
; %bb.31:
	s_or_b64 exec, exec, s[20:21]
	v_cmp_gt_u32_e64 s[18:19], 8, v0
	s_waitcnt lgkmcnt(0)
	s_barrier
	s_and_saveexec_b64 s[24:25], s[18:19]
	s_cbranch_execz .LBB612_33
; %bb.32:
	v_lshlrev_b32_e32 v8, 2, v0
	ds_read_b32 v37, v8
	v_and_b32_e32 v39, 7, v7
	v_cmp_ne_u32_e64 s[18:19], 0, v39
	v_cmp_lt_u32_e64 s[20:21], 1, v39
	s_waitcnt lgkmcnt(0)
	v_mov_b32_dpp v40, v37 row_shr:1 row_mask:0xf bank_mask:0xf
	v_cndmask_b32_e64 v40, 0, v40, s[18:19]
	v_add_u32_e32 v37, v40, v37
	v_cmp_lt_u32_e64 s[18:19], 3, v39
	s_nop 0
	v_mov_b32_dpp v40, v37 row_shr:2 row_mask:0xf bank_mask:0xf
	v_cndmask_b32_e64 v40, 0, v40, s[20:21]
	v_add_u32_e32 v37, v37, v40
	s_nop 1
	v_mov_b32_dpp v40, v37 row_shr:4 row_mask:0xf bank_mask:0xf
	v_cndmask_b32_e64 v39, 0, v40, s[18:19]
	v_add_u32_e32 v37, v37, v39
	ds_write_b32 v8, v37
.LBB612_33:
	s_or_b64 exec, exec, s[24:25]
	v_cmp_lt_u32_e64 s[18:19], 63, v0
	v_mov_b32_e32 v8, 0
	s_waitcnt lgkmcnt(0)
	s_barrier
	s_and_saveexec_b64 s[20:21], s[18:19]
; %bb.34:
	v_lshl_add_u32 v8, v34, 2, -4
	ds_read_b32 v8, v8
; %bb.35:
	s_or_b64 exec, exec, s[20:21]
	v_subrev_co_u32_e64 v34, s[18:19], 1, v7
	v_and_b32_e32 v37, 64, v7
	v_cmp_lt_i32_e64 s[20:21], v34, v37
	v_cndmask_b32_e64 v7, v34, v7, s[20:21]
	s_waitcnt lgkmcnt(0)
	v_add_u32_e32 v33, v8, v33
	v_lshlrev_b32_e32 v7, 2, v7
	ds_bpermute_b32 v7, v7, v33
	s_movk_i32 s24, 0x100
	v_cmp_gt_u32_e64 s[20:21], s24, v0
	s_waitcnt lgkmcnt(0)
	v_cndmask_b32_e64 v7, v7, v8, s[18:19]
	v_cndmask_b32_e64 v7, v7, 0, s[22:23]
	v_add_u32_e32 v5, v7, v5
	v_add_u32_e32 v6, v5, v6
	;; [unrolled: 1-line block ×4, first 2 shown]
	ds_write2_b32 v12, v7, v5 offset0:8 offset1:9
	ds_write2_b32 v12, v6, v3 offset0:10 offset1:11
	ds_write_b32 v12, v4 offset:48
	s_waitcnt lgkmcnt(0)
	s_barrier
	ds_read_b32 v3, v16 offset:32
	ds_read_b32 v33, v28 offset:32
	;; [unrolled: 1-line block ×6, first 2 shown]
	s_movk_i32 s18, 0xff
	v_cmp_lt_u32_e64 s[18:19], s18, v0
                                        ; implicit-def: $vgpr28
                                        ; implicit-def: $vgpr29
	s_and_saveexec_b64 s[46:47], s[20:21]
	s_cbranch_execz .LBB612_39
; %bb.36:
	v_mul_u32_u24_e32 v4, 36, v0
	ds_read_b32 v28, v4 offset:32
	v_add_u32_e32 v5, 1, v0
	v_cmp_ne_u32_e64 s[24:25], s24, v5
	v_mov_b32_e32 v4, 0xc00
	s_and_saveexec_b64 s[48:49], s[24:25]
; %bb.37:
	v_mul_u32_u24_e32 v4, 36, v5
	ds_read_b32 v4, v4 offset:32
; %bb.38:
	s_or_b64 exec, exec, s[48:49]
	s_waitcnt lgkmcnt(0)
	v_sub_u32_e32 v29, v4, v28
.LBB612_39:
	s_or_b64 exec, exec, s[46:47]
	s_waitcnt lgkmcnt(5)
	v_add_u32_e32 v32, v3, v13
	s_waitcnt lgkmcnt(3)
	v_add3_u32 v4, v21, v20, v34
	v_add3_u32 v3, v19, v18, v33
	s_waitcnt lgkmcnt(2)
	v_add3_u32 v5, v23, v22, v35
	s_waitcnt lgkmcnt(1)
	;; [unrolled: 2-line block ×3, first 2 shown]
	v_add3_u32 v7, v30, v27, v37
	s_barrier
	ds_write_b8 v32, v11 offset:1024
	ds_write_b8 v3, v15 offset:1024
	;; [unrolled: 1-line block ×6, first 2 shown]
	v_mov_b32_e32 v4, 0
	v_lshlrev_b32_e32 v26, 2, v0
	s_and_saveexec_b64 s[24:25], s[20:21]
	s_cbranch_execz .LBB612_49
; %bb.40:
	v_lshl_add_u32 v3, s33, 8, v0
	v_lshlrev_b64 v[5:6], 2, v[3:4]
	v_mov_b32_e32 v11, s35
	v_add_co_u32_e64 v5, s[20:21], s34, v5
	v_addc_co_u32_e64 v6, s[20:21], v11, v6, s[20:21]
	v_or_b32_e32 v3, 2.0, v29
	s_mov_b64 s[46:47], 0
	s_brev_b32 s54, -4
	s_mov_b32 s55, s33
	v_mov_b32_e32 v12, 0
	global_store_dword v[5:6], v3, off
                                        ; implicit-def: $sgpr20_sgpr21
	s_branch .LBB612_43
.LBB612_41:                             ;   in Loop: Header=BB612_43 Depth=1
	s_or_b64 exec, exec, s[50:51]
.LBB612_42:                             ;   in Loop: Header=BB612_43 Depth=1
	s_or_b64 exec, exec, s[48:49]
	v_and_b32_e32 v7, 0x3fffffff, v3
	v_add_u32_e32 v12, v7, v12
	v_cmp_gt_i32_e64 s[20:21], -2.0, v3
	s_and_b64 s[48:49], exec, s[20:21]
	s_or_b64 s[46:47], s[48:49], s[46:47]
	s_andn2_b64 exec, exec, s[46:47]
	s_cbranch_execz .LBB612_48
.LBB612_43:                             ; =>This Loop Header: Depth=1
                                        ;     Child Loop BB612_46 Depth 2
	s_or_b64 s[20:21], s[20:21], exec
	s_cmp_eq_u32 s55, 0
	s_cbranch_scc1 .LBB612_47
; %bb.44:                               ;   in Loop: Header=BB612_43 Depth=1
	s_add_i32 s55, s55, -1
	v_lshl_or_b32 v3, s55, 8, v0
	v_lshlrev_b64 v[7:8], 2, v[3:4]
	v_add_co_u32_e64 v7, s[20:21], s34, v7
	v_addc_co_u32_e64 v8, s[20:21], v11, v8, s[20:21]
	global_load_dword v3, v[7:8], off glc
	s_waitcnt vmcnt(0)
	v_cmp_gt_u32_e64 s[20:21], 2.0, v3
	s_and_saveexec_b64 s[48:49], s[20:21]
	s_cbranch_execz .LBB612_42
; %bb.45:                               ;   in Loop: Header=BB612_43 Depth=1
	s_mov_b64 s[50:51], 0
.LBB612_46:                             ;   Parent Loop BB612_43 Depth=1
                                        ; =>  This Inner Loop Header: Depth=2
	global_load_dword v3, v[7:8], off glc
	s_waitcnt vmcnt(0)
	v_cmp_lt_u32_e64 s[20:21], s54, v3
	s_or_b64 s[50:51], s[20:21], s[50:51]
	s_andn2_b64 exec, exec, s[50:51]
	s_cbranch_execnz .LBB612_46
	s_branch .LBB612_41
.LBB612_47:                             ;   in Loop: Header=BB612_43 Depth=1
                                        ; implicit-def: $sgpr55
	s_and_b64 s[48:49], exec, s[20:21]
	s_or_b64 s[46:47], s[48:49], s[46:47]
	s_andn2_b64 exec, exec, s[46:47]
	s_cbranch_execnz .LBB612_43
.LBB612_48:
	s_or_b64 exec, exec, s[46:47]
	v_add_u32_e32 v3, v12, v29
	v_or_b32_e32 v3, 0x80000000, v3
	global_store_dword v[5:6], v3, off
	global_load_dword v3, v26, s[28:29]
	v_sub_u32_e32 v4, v12, v28
	s_waitcnt vmcnt(0)
	v_add_u32_e32 v3, v4, v3
	ds_write_b32 v26, v3
.LBB612_49:
	s_or_b64 exec, exec, s[24:25]
	v_cmp_gt_u32_e64 s[20:21], s7, v0
	s_waitcnt lgkmcnt(0)
	s_barrier
	s_and_saveexec_b64 s[24:25], s[20:21]
	s_cbranch_execz .LBB612_51
; %bb.50:
	ds_read_u8 v3, v0 offset:1024
	s_waitcnt lgkmcnt(0)
	v_lshrrev_b32_sdwa v4, s44, v3 dst_sel:DWORD dst_unused:UNUSED_PAD src0_sel:DWORD src1_sel:BYTE_0
	v_and_b32_e32 v4, s53, v4
	v_lshlrev_b32_e32 v5, 2, v4
	ds_read_b32 v5, v5
	v_xor_b32_e32 v3, 0x80, v3
	buffer_store_dword v4, off, s[0:3], 0
	s_waitcnt lgkmcnt(0)
	v_add_u32_e32 v5, v5, v0
	global_store_byte v5, v3, s[38:39]
.LBB612_51:
	s_or_b64 exec, exec, s[24:25]
	v_or_b32_e32 v3, 0x200, v0
	v_cmp_gt_u32_e64 s[20:21], s7, v3
	s_and_saveexec_b64 s[24:25], s[20:21]
	s_cbranch_execz .LBB612_53
; %bb.52:
	ds_read_u8 v4, v0 offset:1536
	s_waitcnt lgkmcnt(0)
	v_lshrrev_b32_sdwa v5, s44, v4 dst_sel:DWORD dst_unused:UNUSED_PAD src0_sel:DWORD src1_sel:BYTE_0
	v_and_b32_e32 v5, s53, v5
	v_lshlrev_b32_e32 v6, 2, v5
	ds_read_b32 v6, v6
	v_xor_b32_e32 v4, 0x80, v4
	buffer_store_dword v5, off, s[0:3], 0 offset:4
	s_waitcnt lgkmcnt(0)
	v_add_u32_e32 v3, v6, v3
	global_store_byte v3, v4, s[38:39]
.LBB612_53:
	s_or_b64 exec, exec, s[24:25]
	v_or_b32_e32 v3, 0x400, v0
	v_cmp_gt_u32_e64 s[20:21], s7, v3
	s_and_saveexec_b64 s[24:25], s[20:21]
	s_cbranch_execz .LBB612_55
; %bb.54:
	ds_read_u8 v4, v0 offset:2048
	s_waitcnt lgkmcnt(0)
	v_lshrrev_b32_sdwa v5, s44, v4 dst_sel:DWORD dst_unused:UNUSED_PAD src0_sel:DWORD src1_sel:BYTE_0
	v_and_b32_e32 v5, s53, v5
	v_lshlrev_b32_e32 v6, 2, v5
	ds_read_b32 v6, v6
	v_xor_b32_e32 v4, 0x80, v4
	buffer_store_dword v5, off, s[0:3], 0 offset:8
	s_waitcnt lgkmcnt(0)
	v_add_u32_e32 v3, v6, v3
	global_store_byte v3, v4, s[38:39]
.LBB612_55:
	;; [unrolled: 18-line block ×5, first 2 shown]
	s_or_b64 exec, exec, s[24:25]
	s_lshl_b64 s[20:21], s[26:27], 3
	s_add_u32 s20, s40, s20
	s_addc_u32 s21, s41, s21
	v_lshlrev_b32_e32 v3, 3, v10
	v_mov_b32_e32 v4, s21
	v_add_co_u32_e64 v3, s[20:21], s20, v3
	v_addc_co_u32_e64 v4, s[20:21], 0, v4, s[20:21]
	v_lshlrev_b32_e32 v5, 3, v9
	v_add_co_u32_e64 v15, s[20:21], v3, v5
	v_addc_co_u32_e64 v16, s[20:21], 0, v4, s[20:21]
                                        ; implicit-def: $vgpr3_vgpr4
	s_and_saveexec_b64 s[20:21], vcc
	s_xor_b64 s[20:21], exec, s[20:21]
	s_cbranch_execz .LBB612_67
; %bb.62:
	global_load_dwordx2 v[3:4], v[15:16], off
	s_or_b64 exec, exec, s[20:21]
                                        ; implicit-def: $vgpr5_vgpr6
	s_and_saveexec_b64 s[20:21], s[8:9]
	s_cbranch_execnz .LBB612_68
.LBB612_63:
	s_or_b64 exec, exec, s[20:21]
                                        ; implicit-def: $vgpr7_vgpr8
	s_and_saveexec_b64 s[8:9], s[10:11]
	s_cbranch_execz .LBB612_69
.LBB612_64:
	global_load_dwordx2 v[7:8], v[15:16], off offset:1024
	s_or_b64 exec, exec, s[8:9]
                                        ; implicit-def: $vgpr9_vgpr10
	s_and_saveexec_b64 s[8:9], s[12:13]
	s_cbranch_execnz .LBB612_70
.LBB612_65:
	s_or_b64 exec, exec, s[8:9]
                                        ; implicit-def: $vgpr11_vgpr12
	s_and_saveexec_b64 s[8:9], s[14:15]
	s_cbranch_execz .LBB612_71
.LBB612_66:
	global_load_dwordx2 v[11:12], v[15:16], off offset:2048
	s_or_b64 exec, exec, s[8:9]
                                        ; implicit-def: $vgpr13_vgpr14
	s_and_saveexec_b64 s[8:9], s[16:17]
	s_cbranch_execnz .LBB612_72
	s_branch .LBB612_73
.LBB612_67:
	s_or_b64 exec, exec, s[20:21]
                                        ; implicit-def: $vgpr5_vgpr6
	s_and_saveexec_b64 s[20:21], s[8:9]
	s_cbranch_execz .LBB612_63
.LBB612_68:
	global_load_dwordx2 v[5:6], v[15:16], off offset:512
	s_or_b64 exec, exec, s[20:21]
                                        ; implicit-def: $vgpr7_vgpr8
	s_and_saveexec_b64 s[8:9], s[10:11]
	s_cbranch_execnz .LBB612_64
.LBB612_69:
	s_or_b64 exec, exec, s[8:9]
                                        ; implicit-def: $vgpr9_vgpr10
	s_and_saveexec_b64 s[8:9], s[12:13]
	s_cbranch_execz .LBB612_65
.LBB612_70:
	global_load_dwordx2 v[9:10], v[15:16], off offset:1536
	s_or_b64 exec, exec, s[8:9]
                                        ; implicit-def: $vgpr11_vgpr12
	s_and_saveexec_b64 s[8:9], s[14:15]
	s_cbranch_execnz .LBB612_66
.LBB612_71:
	s_or_b64 exec, exec, s[8:9]
                                        ; implicit-def: $vgpr13_vgpr14
	s_and_saveexec_b64 s[8:9], s[16:17]
	s_cbranch_execz .LBB612_73
.LBB612_72:
	global_load_dwordx2 v[13:14], v[15:16], off offset:2560
.LBB612_73:
	s_or_b64 exec, exec, s[8:9]
	v_lshlrev_b32_e32 v31, 3, v0
	v_add3_u32 v27, v30, v37, v27
	v_add3_u32 v24, v25, v36, v24
	v_add3_u32 v22, v23, v35, v22
	v_add3_u32 v20, v21, v34, v20
	v_add3_u32 v18, v19, v33, v18
	s_mov_b32 s10, 0
	s_mov_b32 s11, 0
	v_mov_b32_e32 v16, 0
	s_movk_i32 s12, 0x200
	v_mov_b32_e32 v19, v0
	s_waitcnt vmcnt(0)
	s_barrier
	s_branch .LBB612_75
.LBB612_74:                             ;   in Loop: Header=BB612_75 Depth=1
	s_or_b64 exec, exec, s[8:9]
	s_addk_i32 s11, 0xfc00
	s_add_i32 s10, s10, 8
	s_cmpk_eq_i32 s11, 0xf400
	v_add_u32_e32 v19, 0x400, v19
	s_waitcnt vmcnt(0)
	s_barrier
	s_cbranch_scc1 .LBB612_79
.LBB612_75:                             ; =>This Inner Loop Header: Depth=1
	v_add_u32_e32 v15, s11, v32
	v_min_u32_e32 v15, 0x400, v15
	v_lshlrev_b32_e32 v15, 3, v15
	ds_write_b64 v15, v[3:4] offset:1024
	v_add_u32_e32 v15, s11, v18
	v_min_u32_e32 v15, 0x400, v15
	v_lshlrev_b32_e32 v15, 3, v15
	ds_write_b64 v15, v[5:6] offset:1024
	;; [unrolled: 4-line block ×5, first 2 shown]
	v_add_u32_e32 v15, s11, v27
	v_min_u32_e32 v15, 0x400, v15
	v_lshlrev_b32_e32 v15, 3, v15
	v_cmp_gt_u32_e32 vcc, s7, v19
	ds_write_b64 v15, v[13:14] offset:1024
	s_waitcnt lgkmcnt(0)
	s_barrier
	s_and_saveexec_b64 s[8:9], vcc
	s_cbranch_execz .LBB612_77
; %bb.76:                               ;   in Loop: Header=BB612_75 Depth=1
	v_mov_b32_e32 v15, s10
	buffer_load_dword v15, v15, s[0:3], 0 offen
	v_mov_b32_e32 v21, s43
	s_waitcnt vmcnt(0)
	v_lshlrev_b32_e32 v15, 2, v15
	ds_read_b32 v15, v15
	ds_read_b64 v[33:34], v31 offset:1024
	s_waitcnt lgkmcnt(1)
	v_add_u32_e32 v15, v19, v15
	v_lshlrev_b64 v[35:36], 3, v[15:16]
	v_add_co_u32_e32 v35, vcc, s42, v35
	v_addc_co_u32_e32 v36, vcc, v21, v36, vcc
	s_waitcnt lgkmcnt(0)
	global_store_dwordx2 v[35:36], v[33:34], off
.LBB612_77:                             ;   in Loop: Header=BB612_75 Depth=1
	s_or_b64 exec, exec, s[8:9]
	v_add_u32_e32 v15, 0x200, v19
	v_cmp_gt_u32_e32 vcc, s7, v15
	s_and_saveexec_b64 s[8:9], vcc
	s_cbranch_execz .LBB612_74
; %bb.78:                               ;   in Loop: Header=BB612_75 Depth=1
	v_mov_b32_e32 v15, s10
	buffer_load_dword v15, v15, s[0:3], 0 offen offset:4
	v_mov_b32_e32 v21, s43
	s_waitcnt vmcnt(0)
	v_lshlrev_b32_e32 v15, 2, v15
	ds_read_b32 v15, v15
	ds_read_b64 v[33:34], v31 offset:5120
	s_waitcnt lgkmcnt(1)
	v_add3_u32 v15, v19, v15, s12
	v_lshlrev_b64 v[35:36], 3, v[15:16]
	v_add_co_u32_e32 v35, vcc, s42, v35
	v_addc_co_u32_e32 v36, vcc, v21, v36, vcc
	s_waitcnt lgkmcnt(0)
	global_store_dwordx2 v[35:36], v[33:34], off
	s_branch .LBB612_74
.LBB612_79:
	s_add_i32 s52, s52, -1
	s_cmp_eq_u32 s33, s52
	s_cselect_b64 s[8:9], -1, 0
	s_xor_b64 s[10:11], s[18:19], -1
	s_and_b64 s[10:11], s[10:11], s[8:9]
	s_and_saveexec_b64 s[8:9], s[10:11]
	s_cbranch_execz .LBB612_81
; %bb.80:
	ds_read_b32 v3, v26
	s_waitcnt lgkmcnt(0)
	v_add3_u32 v3, v28, v29, v3
	global_store_dword v26, v3, s[30:31]
.LBB612_81:
	s_or_b64 exec, exec, s[8:9]
	s_mov_b64 s[8:9], 0
.LBB612_82:
	s_and_b64 vcc, exec, s[8:9]
	s_cbranch_vccz .LBB612_119
; %bb.83:
	s_add_u32 s7, s36, s26
	v_mbcnt_hi_u32_b32 v6, -1, v17
	s_addc_u32 s8, s37, 0
	v_and_b32_e32 v8, 63, v6
	v_and_b32_e32 v9, 0x1c0, v0
	v_mov_b32_e32 v3, s8
	v_add_co_u32_e32 v4, vcc, s7, v8
	v_mul_u32_u24_e32 v7, 6, v9
	v_addc_co_u32_e32 v3, vcc, 0, v3, vcc
	v_add_co_u32_e32 v4, vcc, v4, v7
	v_addc_co_u32_e32 v5, vcc, 0, v3, vcc
	global_load_ubyte v10, v[4:5], off
	s_load_dword s7, s[4:5], 0x64
	s_load_dword s14, s[4:5], 0x58
	s_add_u32 s4, s4, 0x58
	s_addc_u32 s5, s5, 0
	v_mov_b32_e32 v3, 0
	s_waitcnt lgkmcnt(0)
	s_lshr_b32 s7, s7, 16
	s_cmp_lt_u32 s6, s14
	s_cselect_b32 s6, 12, 18
	s_add_u32 s4, s4, s6
	s_addc_u32 s5, s5, 0
	global_load_ushort v11, v3, s[4:5]
	global_load_ubyte v13, v[4:5], off offset:64
	global_load_ubyte v16, v[4:5], off offset:128
	;; [unrolled: 1-line block ×5, first 2 shown]
	s_lshl_b32 s4, -1, s45
	s_not_b32 s15, s4
	v_mad_u32_u24 v1, v2, s7, v1
	s_mov_b32 s27, 0
	s_waitcnt vmcnt(6)
	v_xor_b32_e32 v10, 0x80, v10
	v_lshrrev_b32_e32 v4, s44, v10
	v_and_b32_e32 v14, s15, v4
	v_and_b32_e32 v5, 1, v14
	v_add_co_u32_e32 v12, vcc, -1, v5
	v_lshlrev_b32_e32 v4, 30, v14
	v_addc_co_u32_e64 v15, s[4:5], 0, -1, vcc
	v_cmp_ne_u32_e32 vcc, 0, v5
	v_cmp_gt_i64_e64 s[4:5], 0, v[3:4]
	v_not_b32_e32 v5, v4
	v_lshlrev_b32_e32 v4, 29, v14
	v_xor_b32_e32 v15, vcc_hi, v15
	v_ashrrev_i32_e32 v5, 31, v5
	v_xor_b32_e32 v12, vcc_lo, v12
	v_cmp_gt_i64_e32 vcc, 0, v[3:4]
	v_not_b32_e32 v17, v4
	v_lshlrev_b32_e32 v4, 28, v14
	v_and_b32_e32 v15, exec_hi, v15
	v_xor_b32_e32 v19, s5, v5
	v_and_b32_e32 v12, exec_lo, v12
	v_xor_b32_e32 v5, s4, v5
	v_ashrrev_i32_e32 v17, 31, v17
	v_cmp_gt_i64_e64 s[4:5], 0, v[3:4]
	v_not_b32_e32 v21, v4
	v_lshlrev_b32_e32 v4, 27, v14
	v_and_b32_e32 v15, v15, v19
	v_and_b32_e32 v5, v12, v5
	v_xor_b32_e32 v12, vcc_hi, v17
	v_xor_b32_e32 v17, vcc_lo, v17
	v_ashrrev_i32_e32 v19, 31, v21
	v_cmp_gt_i64_e32 vcc, 0, v[3:4]
	v_not_b32_e32 v21, v4
	v_lshlrev_b32_e32 v4, 26, v14
	v_and_b32_e32 v12, v15, v12
	v_and_b32_e32 v5, v5, v17
	v_xor_b32_e32 v15, s5, v19
	v_xor_b32_e32 v17, s4, v19
	v_ashrrev_i32_e32 v19, 31, v21
	v_cmp_gt_i64_e64 s[4:5], 0, v[3:4]
	v_not_b32_e32 v21, v4
	v_lshlrev_b32_e32 v4, 25, v14
	v_and_b32_e32 v12, v12, v15
	v_and_b32_e32 v5, v5, v17
	v_xor_b32_e32 v15, vcc_hi, v19
	v_xor_b32_e32 v17, vcc_lo, v19
	v_ashrrev_i32_e32 v19, 31, v21
	v_cmp_gt_i64_e32 vcc, 0, v[3:4]
	v_not_b32_e32 v21, v4
	v_lshlrev_b32_e32 v4, 24, v14
	v_and_b32_e32 v12, v12, v15
	v_and_b32_e32 v5, v5, v17
	v_xor_b32_e32 v15, s5, v19
	v_xor_b32_e32 v17, s4, v19
	v_ashrrev_i32_e32 v19, 31, v21
	v_cmp_gt_i64_e64 s[4:5], 0, v[3:4]
	v_not_b32_e32 v4, v4
	v_and_b32_e32 v12, v12, v15
	v_and_b32_e32 v5, v5, v17
	v_xor_b32_e32 v15, vcc_hi, v19
	v_xor_b32_e32 v17, vcc_lo, v19
	v_ashrrev_i32_e32 v4, 31, v4
	v_and_b32_e32 v12, v12, v15
	v_and_b32_e32 v15, v5, v17
	v_xor_b32_e32 v5, s5, v4
	v_xor_b32_e32 v4, s4, v4
	s_waitcnt vmcnt(5)
	v_mad_u64_u32 v[1:2], s[4:5], v1, v11, v[0:1]
	v_and_b32_e32 v4, v15, v4
	v_and_b32_e32 v5, v12, v5
	v_mbcnt_lo_u32_b32 v2, v4, 0
	v_lshrrev_b32_e32 v1, 4, v1
	v_mbcnt_hi_u32_b32 v11, v5, v2
	v_cmp_ne_u64_e32 vcc, 0, v[4:5]
	v_and_b32_e32 v25, 0xffffffc, v1
	v_mul_u32_u24_e32 v1, 36, v14
	v_cmp_eq_u32_e64 s[4:5], 0, v11
	v_mul_u32_u24_e32 v12, 20, v0
	s_and_b64 s[6:7], vcc, s[4:5]
	v_add_u32_e32 v14, v25, v1
	ds_write2_b32 v12, v3, v3 offset0:8 offset1:9
	ds_write2_b32 v12, v3, v3 offset0:10 offset1:11
	ds_write_b32 v12, v3 offset:48
	s_waitcnt vmcnt(0) lgkmcnt(0)
	s_barrier
	; wave barrier
	s_and_saveexec_b64 s[4:5], s[6:7]
; %bb.84:
	v_bcnt_u32_b32 v1, v4, 0
	v_bcnt_u32_b32 v1, v5, v1
	ds_write_b32 v14, v1 offset:32
; %bb.85:
	s_or_b64 exec, exec, s[4:5]
	v_xor_b32_e32 v5, 0xffffff80, v13
	v_lshrrev_b32_sdwa v1, s44, v5 dst_sel:DWORD dst_unused:UNUSED_PAD src0_sel:DWORD src1_sel:BYTE_0
	v_and_b32_e32 v1, s15, v1
	v_mad_u32_u24 v2, v1, 36, v25
	; wave barrier
	ds_read_b32 v13, v2 offset:32
	v_and_b32_e32 v2, 1, v1
	v_add_co_u32_e32 v4, vcc, -1, v2
	v_addc_co_u32_e64 v15, s[4:5], 0, -1, vcc
	v_cmp_ne_u32_e32 vcc, 0, v2
	v_xor_b32_e32 v4, vcc_lo, v4
	v_xor_b32_e32 v2, vcc_hi, v15
	v_and_b32_e32 v15, exec_lo, v4
	v_lshlrev_b32_e32 v4, 30, v1
	v_cmp_gt_i64_e32 vcc, 0, v[3:4]
	v_not_b32_e32 v4, v4
	v_ashrrev_i32_e32 v4, 31, v4
	v_xor_b32_e32 v19, vcc_hi, v4
	v_xor_b32_e32 v4, vcc_lo, v4
	v_and_b32_e32 v15, v15, v4
	v_lshlrev_b32_e32 v4, 29, v1
	v_cmp_gt_i64_e32 vcc, 0, v[3:4]
	v_not_b32_e32 v4, v4
	v_and_b32_e32 v2, exec_hi, v2
	v_ashrrev_i32_e32 v4, 31, v4
	v_and_b32_e32 v2, v2, v19
	v_xor_b32_e32 v19, vcc_hi, v4
	v_xor_b32_e32 v4, vcc_lo, v4
	v_and_b32_e32 v15, v15, v4
	v_lshlrev_b32_e32 v4, 28, v1
	v_cmp_gt_i64_e32 vcc, 0, v[3:4]
	v_not_b32_e32 v4, v4
	v_ashrrev_i32_e32 v4, 31, v4
	v_and_b32_e32 v2, v2, v19
	v_xor_b32_e32 v19, vcc_hi, v4
	v_xor_b32_e32 v4, vcc_lo, v4
	v_and_b32_e32 v15, v15, v4
	v_lshlrev_b32_e32 v4, 27, v1
	v_cmp_gt_i64_e32 vcc, 0, v[3:4]
	v_not_b32_e32 v4, v4
	;; [unrolled: 8-line block ×4, first 2 shown]
	v_ashrrev_i32_e32 v4, 31, v4
	v_and_b32_e32 v2, v2, v19
	v_xor_b32_e32 v19, vcc_hi, v4
	v_xor_b32_e32 v4, vcc_lo, v4
	v_and_b32_e32 v15, v15, v4
	v_lshlrev_b32_e32 v4, 24, v1
	v_mul_u32_u24_e32 v17, 36, v1
	v_cmp_gt_i64_e32 vcc, 0, v[3:4]
	v_not_b32_e32 v1, v4
	v_ashrrev_i32_e32 v1, 31, v1
	v_xor_b32_e32 v3, vcc_hi, v1
	v_xor_b32_e32 v1, vcc_lo, v1
	v_and_b32_e32 v2, v2, v19
	v_and_b32_e32 v1, v15, v1
	;; [unrolled: 1-line block ×3, first 2 shown]
	v_mbcnt_lo_u32_b32 v3, v1, 0
	v_mbcnt_hi_u32_b32 v15, v2, v3
	v_cmp_ne_u64_e32 vcc, 0, v[1:2]
	v_cmp_eq_u32_e64 s[4:5], 0, v15
	s_and_b64 s[6:7], vcc, s[4:5]
	v_add_u32_e32 v24, v25, v17
	; wave barrier
	s_and_saveexec_b64 s[4:5], s[6:7]
	s_cbranch_execz .LBB612_87
; %bb.86:
	v_bcnt_u32_b32 v1, v1, 0
	v_bcnt_u32_b32 v1, v2, v1
	s_waitcnt lgkmcnt(0)
	v_add_u32_e32 v1, v13, v1
	ds_write_b32 v24, v1 offset:32
.LBB612_87:
	s_or_b64 exec, exec, s[4:5]
	v_xor_b32_e32 v21, 0xffffff80, v16
	v_lshrrev_b32_sdwa v1, s44, v21 dst_sel:DWORD dst_unused:UNUSED_PAD src0_sel:DWORD src1_sel:BYTE_0
	v_and_b32_e32 v3, s15, v1
	v_and_b32_e32 v2, 1, v3
	v_add_co_u32_e32 v17, vcc, -1, v2
	v_addc_co_u32_e64 v19, s[4:5], 0, -1, vcc
	v_cmp_ne_u32_e32 vcc, 0, v2
	v_mad_u32_u24 v1, v3, 36, v25
	v_xor_b32_e32 v2, vcc_hi, v19
	; wave barrier
	ds_read_b32 v16, v1 offset:32
	v_mov_b32_e32 v1, 0
	v_and_b32_e32 v19, exec_hi, v2
	v_lshlrev_b32_e32 v2, 30, v3
	v_xor_b32_e32 v17, vcc_lo, v17
	v_cmp_gt_i64_e32 vcc, 0, v[1:2]
	v_not_b32_e32 v2, v2
	v_ashrrev_i32_e32 v2, 31, v2
	v_and_b32_e32 v17, exec_lo, v17
	v_xor_b32_e32 v22, vcc_hi, v2
	v_xor_b32_e32 v2, vcc_lo, v2
	v_and_b32_e32 v17, v17, v2
	v_lshlrev_b32_e32 v2, 29, v3
	v_cmp_gt_i64_e32 vcc, 0, v[1:2]
	v_not_b32_e32 v2, v2
	v_ashrrev_i32_e32 v2, 31, v2
	v_and_b32_e32 v19, v19, v22
	v_xor_b32_e32 v22, vcc_hi, v2
	v_xor_b32_e32 v2, vcc_lo, v2
	v_and_b32_e32 v17, v17, v2
	v_lshlrev_b32_e32 v2, 28, v3
	v_cmp_gt_i64_e32 vcc, 0, v[1:2]
	v_not_b32_e32 v2, v2
	v_ashrrev_i32_e32 v2, 31, v2
	v_and_b32_e32 v19, v19, v22
	;; [unrolled: 8-line block ×5, first 2 shown]
	v_xor_b32_e32 v22, vcc_hi, v2
	v_xor_b32_e32 v2, vcc_lo, v2
	v_and_b32_e32 v17, v17, v2
	v_lshlrev_b32_e32 v2, 24, v3
	v_cmp_gt_i64_e32 vcc, 0, v[1:2]
	v_not_b32_e32 v2, v2
	v_ashrrev_i32_e32 v2, 31, v2
	v_mul_u32_u24_e32 v4, 36, v3
	v_xor_b32_e32 v3, vcc_hi, v2
	v_xor_b32_e32 v2, vcc_lo, v2
	v_and_b32_e32 v19, v19, v22
	v_and_b32_e32 v2, v17, v2
	;; [unrolled: 1-line block ×3, first 2 shown]
	v_mbcnt_lo_u32_b32 v17, v2, 0
	v_mbcnt_hi_u32_b32 v17, v3, v17
	v_cmp_ne_u64_e32 vcc, 0, v[2:3]
	v_cmp_eq_u32_e64 s[4:5], 0, v17
	s_and_b64 s[6:7], vcc, s[4:5]
	v_add_u32_e32 v28, v25, v4
	; wave barrier
	s_and_saveexec_b64 s[4:5], s[6:7]
	s_cbranch_execz .LBB612_89
; %bb.88:
	v_bcnt_u32_b32 v2, v2, 0
	v_bcnt_u32_b32 v2, v3, v2
	s_waitcnt lgkmcnt(0)
	v_add_u32_e32 v2, v16, v2
	ds_write_b32 v28, v2 offset:32
.LBB612_89:
	s_or_b64 exec, exec, s[4:5]
	v_xor_b32_e32 v26, 0xffffff80, v18
	v_lshrrev_b32_sdwa v2, s44, v26 dst_sel:DWORD dst_unused:UNUSED_PAD src0_sel:DWORD src1_sel:BYTE_0
	v_and_b32_e32 v3, s15, v2
	v_mad_u32_u24 v2, v3, 36, v25
	; wave barrier
	ds_read_b32 v18, v2 offset:32
	v_and_b32_e32 v2, 1, v3
	v_add_co_u32_e32 v19, vcc, -1, v2
	v_addc_co_u32_e64 v22, s[4:5], 0, -1, vcc
	v_cmp_ne_u32_e32 vcc, 0, v2
	v_xor_b32_e32 v2, vcc_hi, v22
	v_and_b32_e32 v22, exec_hi, v2
	v_lshlrev_b32_e32 v2, 30, v3
	v_xor_b32_e32 v19, vcc_lo, v19
	v_cmp_gt_i64_e32 vcc, 0, v[1:2]
	v_not_b32_e32 v2, v2
	v_ashrrev_i32_e32 v2, 31, v2
	v_and_b32_e32 v19, exec_lo, v19
	v_xor_b32_e32 v27, vcc_hi, v2
	v_xor_b32_e32 v2, vcc_lo, v2
	v_and_b32_e32 v19, v19, v2
	v_lshlrev_b32_e32 v2, 29, v3
	v_cmp_gt_i64_e32 vcc, 0, v[1:2]
	v_not_b32_e32 v2, v2
	v_ashrrev_i32_e32 v2, 31, v2
	v_and_b32_e32 v22, v22, v27
	v_xor_b32_e32 v27, vcc_hi, v2
	v_xor_b32_e32 v2, vcc_lo, v2
	v_and_b32_e32 v19, v19, v2
	v_lshlrev_b32_e32 v2, 28, v3
	v_cmp_gt_i64_e32 vcc, 0, v[1:2]
	v_not_b32_e32 v2, v2
	v_ashrrev_i32_e32 v2, 31, v2
	v_and_b32_e32 v22, v22, v27
	;; [unrolled: 8-line block ×5, first 2 shown]
	v_xor_b32_e32 v27, vcc_hi, v2
	v_xor_b32_e32 v2, vcc_lo, v2
	v_and_b32_e32 v19, v19, v2
	v_lshlrev_b32_e32 v2, 24, v3
	v_cmp_gt_i64_e32 vcc, 0, v[1:2]
	v_not_b32_e32 v1, v2
	v_ashrrev_i32_e32 v1, 31, v1
	v_xor_b32_e32 v2, vcc_hi, v1
	v_xor_b32_e32 v1, vcc_lo, v1
	v_and_b32_e32 v22, v22, v27
	v_and_b32_e32 v1, v19, v1
	v_mul_u32_u24_e32 v4, 36, v3
	v_and_b32_e32 v2, v22, v2
	v_mbcnt_lo_u32_b32 v3, v1, 0
	v_mbcnt_hi_u32_b32 v19, v2, v3
	v_cmp_ne_u64_e32 vcc, 0, v[1:2]
	v_cmp_eq_u32_e64 s[4:5], 0, v19
	s_and_b64 s[6:7], vcc, s[4:5]
	v_add_u32_e32 v29, v25, v4
	; wave barrier
	s_and_saveexec_b64 s[4:5], s[6:7]
	s_cbranch_execz .LBB612_91
; %bb.90:
	v_bcnt_u32_b32 v1, v1, 0
	v_bcnt_u32_b32 v1, v2, v1
	s_waitcnt lgkmcnt(0)
	v_add_u32_e32 v1, v18, v1
	ds_write_b32 v29, v1 offset:32
.LBB612_91:
	s_or_b64 exec, exec, s[4:5]
	v_xor_b32_e32 v30, 0xffffff80, v20
	v_lshrrev_b32_sdwa v1, s44, v30 dst_sel:DWORD dst_unused:UNUSED_PAD src0_sel:DWORD src1_sel:BYTE_0
	v_and_b32_e32 v3, s15, v1
	v_and_b32_e32 v2, 1, v3
	v_add_co_u32_e32 v22, vcc, -1, v2
	v_addc_co_u32_e64 v27, s[4:5], 0, -1, vcc
	v_cmp_ne_u32_e32 vcc, 0, v2
	v_mad_u32_u24 v1, v3, 36, v25
	v_xor_b32_e32 v2, vcc_hi, v27
	; wave barrier
	ds_read_b32 v20, v1 offset:32
	v_mov_b32_e32 v1, 0
	v_and_b32_e32 v27, exec_hi, v2
	v_lshlrev_b32_e32 v2, 30, v3
	v_xor_b32_e32 v22, vcc_lo, v22
	v_cmp_gt_i64_e32 vcc, 0, v[1:2]
	v_not_b32_e32 v2, v2
	v_ashrrev_i32_e32 v2, 31, v2
	v_and_b32_e32 v22, exec_lo, v22
	v_xor_b32_e32 v31, vcc_hi, v2
	v_xor_b32_e32 v2, vcc_lo, v2
	v_and_b32_e32 v22, v22, v2
	v_lshlrev_b32_e32 v2, 29, v3
	v_cmp_gt_i64_e32 vcc, 0, v[1:2]
	v_not_b32_e32 v2, v2
	v_ashrrev_i32_e32 v2, 31, v2
	v_and_b32_e32 v27, v27, v31
	v_xor_b32_e32 v31, vcc_hi, v2
	v_xor_b32_e32 v2, vcc_lo, v2
	v_and_b32_e32 v22, v22, v2
	v_lshlrev_b32_e32 v2, 28, v3
	v_cmp_gt_i64_e32 vcc, 0, v[1:2]
	v_not_b32_e32 v2, v2
	v_ashrrev_i32_e32 v2, 31, v2
	v_and_b32_e32 v27, v27, v31
	;; [unrolled: 8-line block ×5, first 2 shown]
	v_xor_b32_e32 v31, vcc_hi, v2
	v_xor_b32_e32 v2, vcc_lo, v2
	v_and_b32_e32 v22, v22, v2
	v_lshlrev_b32_e32 v2, 24, v3
	v_cmp_gt_i64_e32 vcc, 0, v[1:2]
	v_not_b32_e32 v2, v2
	v_ashrrev_i32_e32 v2, 31, v2
	v_mul_u32_u24_e32 v4, 36, v3
	v_xor_b32_e32 v3, vcc_hi, v2
	v_xor_b32_e32 v2, vcc_lo, v2
	v_and_b32_e32 v27, v27, v31
	v_and_b32_e32 v2, v22, v2
	;; [unrolled: 1-line block ×3, first 2 shown]
	v_mbcnt_lo_u32_b32 v22, v2, 0
	v_mbcnt_hi_u32_b32 v22, v3, v22
	v_cmp_ne_u64_e32 vcc, 0, v[2:3]
	v_cmp_eq_u32_e64 s[4:5], 0, v22
	s_and_b64 s[6:7], vcc, s[4:5]
	v_add_u32_e32 v34, v25, v4
	; wave barrier
	s_and_saveexec_b64 s[4:5], s[6:7]
	s_cbranch_execz .LBB612_93
; %bb.92:
	v_bcnt_u32_b32 v2, v2, 0
	v_bcnt_u32_b32 v2, v3, v2
	s_waitcnt lgkmcnt(0)
	v_add_u32_e32 v2, v20, v2
	ds_write_b32 v34, v2 offset:32
.LBB612_93:
	s_or_b64 exec, exec, s[4:5]
	v_xor_b32_e32 v35, 0xffffff80, v23
	v_lshrrev_b32_sdwa v2, s44, v35 dst_sel:DWORD dst_unused:UNUSED_PAD src0_sel:DWORD src1_sel:BYTE_0
	v_and_b32_e32 v3, s15, v2
	v_mad_u32_u24 v2, v3, 36, v25
	; wave barrier
	ds_read_b32 v23, v2 offset:32
	v_and_b32_e32 v2, 1, v3
	v_add_co_u32_e32 v27, vcc, -1, v2
	v_addc_co_u32_e64 v31, s[4:5], 0, -1, vcc
	v_cmp_ne_u32_e32 vcc, 0, v2
	v_xor_b32_e32 v2, vcc_hi, v31
	v_and_b32_e32 v31, exec_hi, v2
	v_lshlrev_b32_e32 v2, 30, v3
	v_xor_b32_e32 v27, vcc_lo, v27
	v_cmp_gt_i64_e32 vcc, 0, v[1:2]
	v_not_b32_e32 v2, v2
	v_ashrrev_i32_e32 v2, 31, v2
	v_and_b32_e32 v27, exec_lo, v27
	v_xor_b32_e32 v32, vcc_hi, v2
	v_xor_b32_e32 v2, vcc_lo, v2
	v_and_b32_e32 v27, v27, v2
	v_lshlrev_b32_e32 v2, 29, v3
	v_cmp_gt_i64_e32 vcc, 0, v[1:2]
	v_not_b32_e32 v2, v2
	v_ashrrev_i32_e32 v2, 31, v2
	v_and_b32_e32 v31, v31, v32
	v_xor_b32_e32 v32, vcc_hi, v2
	v_xor_b32_e32 v2, vcc_lo, v2
	v_and_b32_e32 v27, v27, v2
	v_lshlrev_b32_e32 v2, 28, v3
	v_cmp_gt_i64_e32 vcc, 0, v[1:2]
	v_not_b32_e32 v2, v2
	v_ashrrev_i32_e32 v2, 31, v2
	v_and_b32_e32 v31, v31, v32
	;; [unrolled: 8-line block ×5, first 2 shown]
	v_xor_b32_e32 v32, vcc_hi, v2
	v_xor_b32_e32 v2, vcc_lo, v2
	v_and_b32_e32 v27, v27, v2
	v_lshlrev_b32_e32 v2, 24, v3
	v_cmp_gt_i64_e32 vcc, 0, v[1:2]
	v_not_b32_e32 v1, v2
	v_ashrrev_i32_e32 v1, 31, v1
	v_xor_b32_e32 v2, vcc_hi, v1
	v_xor_b32_e32 v1, vcc_lo, v1
	v_and_b32_e32 v31, v31, v32
	v_and_b32_e32 v1, v27, v1
	v_mul_u32_u24_e32 v4, 36, v3
	v_and_b32_e32 v2, v31, v2
	v_mbcnt_lo_u32_b32 v3, v1, 0
	v_mbcnt_hi_u32_b32 v27, v2, v3
	v_cmp_ne_u64_e32 vcc, 0, v[1:2]
	v_cmp_eq_u32_e64 s[4:5], 0, v27
	s_and_b64 s[6:7], vcc, s[4:5]
	v_add_u32_e32 v36, v25, v4
	; wave barrier
	s_and_saveexec_b64 s[4:5], s[6:7]
	s_cbranch_execz .LBB612_95
; %bb.94:
	v_bcnt_u32_b32 v1, v1, 0
	v_bcnt_u32_b32 v1, v2, v1
	s_waitcnt lgkmcnt(0)
	v_add_u32_e32 v1, v23, v1
	ds_write_b32 v36, v1 offset:32
.LBB612_95:
	s_or_b64 exec, exec, s[4:5]
	; wave barrier
	s_waitcnt lgkmcnt(0)
	s_barrier
	ds_read2_b32 v[3:4], v12 offset0:8 offset1:9
	ds_read2_b32 v[1:2], v12 offset0:10 offset1:11
	ds_read_b32 v25, v12 offset:48
	v_min_u32_e32 v9, 0x1c0, v9
	v_or_b32_e32 v9, 63, v9
	s_waitcnt lgkmcnt(1)
	v_add3_u32 v31, v4, v3, v1
	s_waitcnt lgkmcnt(0)
	v_add3_u32 v25, v31, v2, v25
	v_and_b32_e32 v31, 15, v6
	v_cmp_ne_u32_e32 vcc, 0, v31
	v_mov_b32_dpp v32, v25 row_shr:1 row_mask:0xf bank_mask:0xf
	v_cndmask_b32_e32 v32, 0, v32, vcc
	v_add_u32_e32 v25, v32, v25
	v_cmp_lt_u32_e32 vcc, 1, v31
	s_nop 0
	v_mov_b32_dpp v32, v25 row_shr:2 row_mask:0xf bank_mask:0xf
	v_cndmask_b32_e32 v32, 0, v32, vcc
	v_add_u32_e32 v25, v25, v32
	v_cmp_lt_u32_e32 vcc, 3, v31
	s_nop 0
	;; [unrolled: 5-line block ×3, first 2 shown]
	v_mov_b32_dpp v32, v25 row_shr:8 row_mask:0xf bank_mask:0xf
	v_cndmask_b32_e32 v31, 0, v32, vcc
	v_add_u32_e32 v25, v25, v31
	v_bfe_i32 v32, v6, 4, 1
	v_cmp_lt_u32_e32 vcc, 31, v6
	v_mov_b32_dpp v31, v25 row_bcast:15 row_mask:0xf bank_mask:0xf
	v_and_b32_e32 v31, v32, v31
	v_add_u32_e32 v25, v25, v31
	v_lshrrev_b32_e32 v32, 6, v0
	s_nop 0
	v_mov_b32_dpp v31, v25 row_bcast:31 row_mask:0xf bank_mask:0xf
	v_cndmask_b32_e32 v31, 0, v31, vcc
	v_add_u32_e32 v31, v25, v31
	v_cmp_eq_u32_e32 vcc, v0, v9
	s_and_saveexec_b64 s[4:5], vcc
; %bb.96:
	v_lshlrev_b32_e32 v9, 2, v32
	ds_write_b32 v9, v31
; %bb.97:
	s_or_b64 exec, exec, s[4:5]
	v_cmp_gt_u32_e32 vcc, 8, v0
	v_lshlrev_b32_e32 v25, 2, v0
	s_waitcnt lgkmcnt(0)
	s_barrier
	s_and_saveexec_b64 s[4:5], vcc
	s_cbranch_execz .LBB612_99
; %bb.98:
	ds_read_b32 v9, v25
	v_and_b32_e32 v33, 7, v6
	v_cmp_ne_u32_e32 vcc, 0, v33
	s_waitcnt lgkmcnt(0)
	v_mov_b32_dpp v37, v9 row_shr:1 row_mask:0xf bank_mask:0xf
	v_cndmask_b32_e32 v37, 0, v37, vcc
	v_add_u32_e32 v9, v37, v9
	v_cmp_lt_u32_e32 vcc, 1, v33
	s_nop 0
	v_mov_b32_dpp v37, v9 row_shr:2 row_mask:0xf bank_mask:0xf
	v_cndmask_b32_e32 v37, 0, v37, vcc
	v_add_u32_e32 v9, v9, v37
	v_cmp_lt_u32_e32 vcc, 3, v33
	s_nop 0
	v_mov_b32_dpp v37, v9 row_shr:4 row_mask:0xf bank_mask:0xf
	v_cndmask_b32_e32 v33, 0, v37, vcc
	v_add_u32_e32 v9, v9, v33
	ds_write_b32 v25, v9
.LBB612_99:
	s_or_b64 exec, exec, s[4:5]
	v_cmp_lt_u32_e32 vcc, 63, v0
	v_mov_b32_e32 v9, 0
	s_waitcnt lgkmcnt(0)
	s_barrier
	s_and_saveexec_b64 s[4:5], vcc
; %bb.100:
	v_lshl_add_u32 v9, v32, 2, -4
	ds_read_b32 v9, v9
; %bb.101:
	s_or_b64 exec, exec, s[4:5]
	v_subrev_co_u32_e32 v32, vcc, 1, v6
	v_and_b32_e32 v33, 64, v6
	v_cmp_lt_i32_e64 s[4:5], v32, v33
	v_cndmask_b32_e64 v6, v32, v6, s[4:5]
	s_waitcnt lgkmcnt(0)
	v_add_u32_e32 v31, v9, v31
	v_lshlrev_b32_e32 v6, 2, v6
	ds_bpermute_b32 v6, v6, v31
	s_movk_i32 s4, 0xff
	s_movk_i32 s6, 0x100
	s_waitcnt lgkmcnt(0)
	v_cndmask_b32_e32 v6, v6, v9, vcc
	v_cndmask_b32_e64 v6, v6, 0, s[22:23]
	v_add_u32_e32 v3, v6, v3
	v_add_u32_e32 v4, v3, v4
	;; [unrolled: 1-line block ×4, first 2 shown]
	ds_write2_b32 v12, v6, v3 offset0:8 offset1:9
	ds_write2_b32 v12, v4, v1 offset0:10 offset1:11
	ds_write_b32 v12, v2 offset:48
	s_waitcnt lgkmcnt(0)
	s_barrier
	ds_read_b32 v1, v14 offset:32
	ds_read_b32 v31, v24 offset:32
	;; [unrolled: 1-line block ×6, first 2 shown]
	v_cmp_lt_u32_e32 vcc, s4, v0
	v_cmp_gt_u32_e64 s[4:5], s6, v0
                                        ; implicit-def: $vgpr24
                                        ; implicit-def: $vgpr28
	s_and_saveexec_b64 s[8:9], s[4:5]
	s_cbranch_execz .LBB612_105
; %bb.102:
	v_mul_u32_u24_e32 v2, 36, v0
	ds_read_b32 v24, v2 offset:32
	v_add_u32_e32 v3, 1, v0
	v_cmp_ne_u32_e64 s[6:7], s6, v3
	v_mov_b32_e32 v2, 0xc00
	s_and_saveexec_b64 s[10:11], s[6:7]
; %bb.103:
	v_mul_u32_u24_e32 v2, 36, v3
	ds_read_b32 v2, v2 offset:32
; %bb.104:
	s_or_b64 exec, exec, s[10:11]
	s_waitcnt lgkmcnt(0)
	v_sub_u32_e32 v28, v2, v24
.LBB612_105:
	s_or_b64 exec, exec, s[8:9]
	s_waitcnt lgkmcnt(5)
	v_add_u32_e32 v29, v1, v11
	s_waitcnt lgkmcnt(3)
	v_add3_u32 v2, v17, v16, v32
	v_add3_u32 v1, v15, v13, v31
	s_waitcnt lgkmcnt(2)
	v_add3_u32 v3, v19, v18, v33
	s_waitcnt lgkmcnt(1)
	;; [unrolled: 2-line block ×3, first 2 shown]
	v_add3_u32 v6, v27, v23, v14
	s_barrier
	ds_write_b8 v29, v10 offset:1024
	ds_write_b8 v1, v5 offset:1024
	;; [unrolled: 1-line block ×6, first 2 shown]
	v_mov_b32_e32 v2, 0
	s_and_saveexec_b64 s[6:7], s[4:5]
	s_cbranch_execz .LBB612_115
; %bb.106:
	v_lshl_add_u32 v1, s33, 8, v0
	v_lshlrev_b64 v[3:4], 2, v[1:2]
	v_mov_b32_e32 v9, s35
	v_add_co_u32_e64 v3, s[4:5], s34, v3
	v_addc_co_u32_e64 v4, s[4:5], v9, v4, s[4:5]
	v_or_b32_e32 v1, 2.0, v28
	s_mov_b64 s[8:9], 0
	s_brev_b32 s16, -4
	s_mov_b32 s17, s33
	v_mov_b32_e32 v10, 0
	global_store_dword v[3:4], v1, off
                                        ; implicit-def: $sgpr4_sgpr5
	s_branch .LBB612_109
.LBB612_107:                            ;   in Loop: Header=BB612_109 Depth=1
	s_or_b64 exec, exec, s[12:13]
.LBB612_108:                            ;   in Loop: Header=BB612_109 Depth=1
	s_or_b64 exec, exec, s[10:11]
	v_and_b32_e32 v5, 0x3fffffff, v1
	v_add_u32_e32 v10, v5, v10
	v_cmp_gt_i32_e64 s[4:5], -2.0, v1
	s_and_b64 s[10:11], exec, s[4:5]
	s_or_b64 s[8:9], s[10:11], s[8:9]
	s_andn2_b64 exec, exec, s[8:9]
	s_cbranch_execz .LBB612_114
.LBB612_109:                            ; =>This Loop Header: Depth=1
                                        ;     Child Loop BB612_112 Depth 2
	s_or_b64 s[4:5], s[4:5], exec
	s_cmp_eq_u32 s17, 0
	s_cbranch_scc1 .LBB612_113
; %bb.110:                              ;   in Loop: Header=BB612_109 Depth=1
	s_add_i32 s17, s17, -1
	v_lshl_or_b32 v1, s17, 8, v0
	v_lshlrev_b64 v[5:6], 2, v[1:2]
	v_add_co_u32_e64 v5, s[4:5], s34, v5
	v_addc_co_u32_e64 v6, s[4:5], v9, v6, s[4:5]
	global_load_dword v1, v[5:6], off glc
	s_waitcnt vmcnt(0)
	v_cmp_gt_u32_e64 s[4:5], 2.0, v1
	s_and_saveexec_b64 s[10:11], s[4:5]
	s_cbranch_execz .LBB612_108
; %bb.111:                              ;   in Loop: Header=BB612_109 Depth=1
	s_mov_b64 s[12:13], 0
.LBB612_112:                            ;   Parent Loop BB612_109 Depth=1
                                        ; =>  This Inner Loop Header: Depth=2
	global_load_dword v1, v[5:6], off glc
	s_waitcnt vmcnt(0)
	v_cmp_lt_u32_e64 s[4:5], s16, v1
	s_or_b64 s[12:13], s[4:5], s[12:13]
	s_andn2_b64 exec, exec, s[12:13]
	s_cbranch_execnz .LBB612_112
	s_branch .LBB612_107
.LBB612_113:                            ;   in Loop: Header=BB612_109 Depth=1
                                        ; implicit-def: $sgpr17
	s_and_b64 s[10:11], exec, s[4:5]
	s_or_b64 s[8:9], s[10:11], s[8:9]
	s_andn2_b64 exec, exec, s[8:9]
	s_cbranch_execnz .LBB612_109
.LBB612_114:
	s_or_b64 exec, exec, s[8:9]
	v_add_u32_e32 v1, v10, v28
	v_or_b32_e32 v1, 0x80000000, v1
	global_store_dword v[3:4], v1, off
	global_load_dword v1, v25, s[28:29]
	v_sub_u32_e32 v2, v10, v24
	s_waitcnt vmcnt(0)
	v_add_u32_e32 v1, v2, v1
	ds_write_b32 v25, v1
.LBB612_115:
	s_or_b64 exec, exec, s[6:7]
	s_waitcnt lgkmcnt(0)
	s_barrier
	ds_read_u8 v1, v0 offset:1024
	ds_read_u8 v2, v0 offset:1536
	;; [unrolled: 1-line block ×6, first 2 shown]
	s_waitcnt lgkmcnt(5)
	v_lshrrev_b32_sdwa v9, s44, v1 dst_sel:DWORD dst_unused:UNUSED_PAD src0_sel:DWORD src1_sel:BYTE_0
	s_waitcnt lgkmcnt(4)
	v_lshrrev_b32_sdwa v10, s44, v2 dst_sel:DWORD dst_unused:UNUSED_PAD src0_sel:DWORD src1_sel:BYTE_0
	;; [unrolled: 2-line block ×6, first 2 shown]
	v_and_b32_e32 v21, s15, v9
	v_and_b32_e32 v26, s15, v10
	;; [unrolled: 1-line block ×6, first 2 shown]
	v_lshlrev_b32_e32 v9, 2, v21
	v_lshlrev_b32_e32 v10, 2, v26
	;; [unrolled: 1-line block ×6, first 2 shown]
	ds_read_b32 v9, v9
	ds_read_b32 v10, v10
	;; [unrolled: 1-line block ×6, first 2 shown]
	v_xor_b32_e32 v1, 0x80, v1
	s_waitcnt lgkmcnt(5)
	v_add_u32_e32 v9, v9, v0
	s_movk_i32 s6, 0x200
	global_store_byte v9, v1, s[38:39]
	v_xor_b32_e32 v1, 0x80, v2
	s_waitcnt lgkmcnt(4)
	v_add3_u32 v2, v0, v10, s6
	s_movk_i32 s4, 0x400
	global_store_byte v2, v1, s[38:39]
	v_xor_b32_e32 v1, 0x80, v3
	s_waitcnt lgkmcnt(3)
	v_add3_u32 v2, v11, v0, s4
	;; [unrolled: 5-line block ×4, first 2 shown]
	s_movk_i32 s4, 0xa00
	global_store_byte v2, v1, s[38:39]
	s_waitcnt lgkmcnt(0)
	v_add3_u32 v2, v0, v36, s4
	s_lshl_b64 s[4:5], s[26:27], 3
	v_xor_b32_e32 v1, 0x80, v6
	s_add_u32 s4, s40, s4
	global_store_byte v2, v1, s[38:39]
	s_addc_u32 s5, s41, s5
	v_lshlrev_b32_e32 v1, 3, v8
	v_mov_b32_e32 v2, s5
	v_add_co_u32_e64 v1, s[4:5], s4, v1
	v_addc_co_u32_e64 v2, s[4:5], 0, v2, s[4:5]
	v_lshlrev_b32_e32 v3, 3, v7
	v_add_co_u32_e64 v35, s[4:5], v1, v3
	v_addc_co_u32_e64 v36, s[4:5], 0, v2, s[4:5]
	global_load_dwordx2 v[1:2], v[35:36], off
	global_load_dwordx2 v[3:4], v[35:36], off offset:512
	global_load_dwordx2 v[5:6], v[35:36], off offset:1024
	;; [unrolled: 1-line block ×5, first 2 shown]
	v_add3_u32 v20, v22, v34, v20
	v_mul_u32_u24_e32 v22, 7, v0
	buffer_store_dword v21, off, s[0:3], 0
	buffer_store_dword v26, off, s[0:3], 0 offset:4
	buffer_store_dword v30, off, s[0:3], 0 offset:8
	;; [unrolled: 1-line block ×5, first 2 shown]
	v_add3_u32 v21, v27, v14, v23
	v_mov_b32_e32 v14, 0
	v_add3_u32 v18, v19, v33, v18
	v_add3_u32 v16, v17, v32, v16
	;; [unrolled: 1-line block ×3, first 2 shown]
	s_mov_b32 s7, 0
	s_mov_b32 s8, 0
	v_add_u32_e32 v17, v0, v22
	v_mov_b32_e32 v19, s43
	s_waitcnt vmcnt(0)
	s_barrier
.LBB612_116:                            ; =>This Inner Loop Header: Depth=1
	v_add_u32_e32 v13, s8, v29
	v_add_u32_e32 v22, s8, v15
	;; [unrolled: 1-line block ×6, first 2 shown]
	v_min_u32_e32 v13, 0x400, v13
	v_min_u32_e32 v22, 0x400, v22
	v_mov_b32_e32 v31, s7
	v_min_u32_e32 v23, 0x400, v23
	v_min_u32_e32 v26, 0x400, v26
	v_min_u32_e32 v27, 0x400, v27
	v_min_u32_e32 v30, 0x400, v30
	v_lshlrev_b32_e32 v13, 3, v13
	v_lshlrev_b32_e32 v22, 3, v22
	;; [unrolled: 1-line block ×6, first 2 shown]
	ds_write_b64 v13, v[1:2] offset:1024
	ds_write_b64 v22, v[3:4] offset:1024
	;; [unrolled: 1-line block ×6, first 2 shown]
	s_waitcnt lgkmcnt(0)
	s_barrier
	buffer_load_dword v13, v31, s[0:3], 0 offen
	buffer_load_dword v22, v31, s[0:3], 0 offen offset:4
	ds_read2st64_b64 v[30:33], v17 offset0:2 offset1:10
	s_addk_i32 s8, 0xfc00
	s_add_i32 s7, s7, 8
	s_cmpk_lg_i32 s8, 0xf400
	s_waitcnt vmcnt(1)
	v_lshlrev_b32_e32 v13, 2, v13
	s_waitcnt vmcnt(0)
	v_lshlrev_b32_e32 v22, 2, v22
	ds_read_b32 v13, v13
	ds_read_b32 v26, v22
	s_waitcnt lgkmcnt(1)
	v_add_u32_e32 v13, v0, v13
	v_lshlrev_b64 v[22:23], 3, v[13:14]
	s_waitcnt lgkmcnt(0)
	v_add3_u32 v13, v0, v26, s6
	v_lshlrev_b64 v[26:27], 3, v[13:14]
	v_add_co_u32_e64 v22, s[4:5], s42, v22
	v_addc_co_u32_e64 v23, s[4:5], v19, v23, s[4:5]
	global_store_dwordx2 v[22:23], v[30:31], off
	v_add_co_u32_e64 v22, s[4:5], s42, v26
	v_add_u32_e32 v0, 0x400, v0
	v_addc_co_u32_e64 v23, s[4:5], v19, v27, s[4:5]
	global_store_dwordx2 v[22:23], v[32:33], off
	s_waitcnt vmcnt(0)
	s_barrier
	s_cbranch_scc1 .LBB612_116
; %bb.117:
	s_add_i32 s14, s14, -1
	s_cmp_eq_u32 s33, s14
	s_cselect_b64 s[4:5], -1, 0
	s_xor_b64 s[6:7], vcc, -1
	s_and_b64 s[4:5], s[6:7], s[4:5]
	s_and_saveexec_b64 s[6:7], s[4:5]
	s_cbranch_execz .LBB612_119
; %bb.118:
	ds_read_b32 v0, v25
	s_waitcnt lgkmcnt(0)
	v_add3_u32 v0, v24, v28, v0
	global_store_dword v25, v0, s[30:31]
.LBB612_119:
	s_endpgm
	.section	.rodata,"a",@progbits
	.p2align	6, 0x0
	.amdhsa_kernel _ZN7rocprim17ROCPRIM_400000_NS6detail17trampoline_kernelINS0_14default_configENS1_35radix_sort_onesweep_config_selectorIalEEZZNS1_29radix_sort_onesweep_iterationIS3_Lb0EPaS7_N6thrust23THRUST_200600_302600_NS10device_ptrIlEESB_jNS0_19identity_decomposerENS1_16block_id_wrapperIjLb1EEEEE10hipError_tT1_PNSt15iterator_traitsISG_E10value_typeET2_T3_PNSH_ISM_E10value_typeET4_T5_PSR_SS_PNS1_23onesweep_lookback_stateEbbT6_jjT7_P12ihipStream_tbENKUlT_T0_SG_SL_E_clIS7_S7_SB_PlEEDaSZ_S10_SG_SL_EUlSZ_E_NS1_11comp_targetILNS1_3genE2ELNS1_11target_archE906ELNS1_3gpuE6ELNS1_3repE0EEENS1_47radix_sort_onesweep_sort_config_static_selectorELNS0_4arch9wavefront6targetE1EEEvSG_
		.amdhsa_group_segment_fixed_size 10280
		.amdhsa_private_segment_fixed_size 32
		.amdhsa_kernarg_size 344
		.amdhsa_user_sgpr_count 6
		.amdhsa_user_sgpr_private_segment_buffer 1
		.amdhsa_user_sgpr_dispatch_ptr 0
		.amdhsa_user_sgpr_queue_ptr 0
		.amdhsa_user_sgpr_kernarg_segment_ptr 1
		.amdhsa_user_sgpr_dispatch_id 0
		.amdhsa_user_sgpr_flat_scratch_init 0
		.amdhsa_user_sgpr_private_segment_size 0
		.amdhsa_uses_dynamic_stack 0
		.amdhsa_system_sgpr_private_segment_wavefront_offset 1
		.amdhsa_system_sgpr_workgroup_id_x 1
		.amdhsa_system_sgpr_workgroup_id_y 0
		.amdhsa_system_sgpr_workgroup_id_z 0
		.amdhsa_system_sgpr_workgroup_info 0
		.amdhsa_system_vgpr_workitem_id 2
		.amdhsa_next_free_vgpr 41
		.amdhsa_next_free_sgpr 56
		.amdhsa_reserve_vcc 1
		.amdhsa_reserve_flat_scratch 0
		.amdhsa_float_round_mode_32 0
		.amdhsa_float_round_mode_16_64 0
		.amdhsa_float_denorm_mode_32 3
		.amdhsa_float_denorm_mode_16_64 3
		.amdhsa_dx10_clamp 1
		.amdhsa_ieee_mode 1
		.amdhsa_fp16_overflow 0
		.amdhsa_exception_fp_ieee_invalid_op 0
		.amdhsa_exception_fp_denorm_src 0
		.amdhsa_exception_fp_ieee_div_zero 0
		.amdhsa_exception_fp_ieee_overflow 0
		.amdhsa_exception_fp_ieee_underflow 0
		.amdhsa_exception_fp_ieee_inexact 0
		.amdhsa_exception_int_div_zero 0
	.end_amdhsa_kernel
	.section	.text._ZN7rocprim17ROCPRIM_400000_NS6detail17trampoline_kernelINS0_14default_configENS1_35radix_sort_onesweep_config_selectorIalEEZZNS1_29radix_sort_onesweep_iterationIS3_Lb0EPaS7_N6thrust23THRUST_200600_302600_NS10device_ptrIlEESB_jNS0_19identity_decomposerENS1_16block_id_wrapperIjLb1EEEEE10hipError_tT1_PNSt15iterator_traitsISG_E10value_typeET2_T3_PNSH_ISM_E10value_typeET4_T5_PSR_SS_PNS1_23onesweep_lookback_stateEbbT6_jjT7_P12ihipStream_tbENKUlT_T0_SG_SL_E_clIS7_S7_SB_PlEEDaSZ_S10_SG_SL_EUlSZ_E_NS1_11comp_targetILNS1_3genE2ELNS1_11target_archE906ELNS1_3gpuE6ELNS1_3repE0EEENS1_47radix_sort_onesweep_sort_config_static_selectorELNS0_4arch9wavefront6targetE1EEEvSG_,"axG",@progbits,_ZN7rocprim17ROCPRIM_400000_NS6detail17trampoline_kernelINS0_14default_configENS1_35radix_sort_onesweep_config_selectorIalEEZZNS1_29radix_sort_onesweep_iterationIS3_Lb0EPaS7_N6thrust23THRUST_200600_302600_NS10device_ptrIlEESB_jNS0_19identity_decomposerENS1_16block_id_wrapperIjLb1EEEEE10hipError_tT1_PNSt15iterator_traitsISG_E10value_typeET2_T3_PNSH_ISM_E10value_typeET4_T5_PSR_SS_PNS1_23onesweep_lookback_stateEbbT6_jjT7_P12ihipStream_tbENKUlT_T0_SG_SL_E_clIS7_S7_SB_PlEEDaSZ_S10_SG_SL_EUlSZ_E_NS1_11comp_targetILNS1_3genE2ELNS1_11target_archE906ELNS1_3gpuE6ELNS1_3repE0EEENS1_47radix_sort_onesweep_sort_config_static_selectorELNS0_4arch9wavefront6targetE1EEEvSG_,comdat
.Lfunc_end612:
	.size	_ZN7rocprim17ROCPRIM_400000_NS6detail17trampoline_kernelINS0_14default_configENS1_35radix_sort_onesweep_config_selectorIalEEZZNS1_29radix_sort_onesweep_iterationIS3_Lb0EPaS7_N6thrust23THRUST_200600_302600_NS10device_ptrIlEESB_jNS0_19identity_decomposerENS1_16block_id_wrapperIjLb1EEEEE10hipError_tT1_PNSt15iterator_traitsISG_E10value_typeET2_T3_PNSH_ISM_E10value_typeET4_T5_PSR_SS_PNS1_23onesweep_lookback_stateEbbT6_jjT7_P12ihipStream_tbENKUlT_T0_SG_SL_E_clIS7_S7_SB_PlEEDaSZ_S10_SG_SL_EUlSZ_E_NS1_11comp_targetILNS1_3genE2ELNS1_11target_archE906ELNS1_3gpuE6ELNS1_3repE0EEENS1_47radix_sort_onesweep_sort_config_static_selectorELNS0_4arch9wavefront6targetE1EEEvSG_, .Lfunc_end612-_ZN7rocprim17ROCPRIM_400000_NS6detail17trampoline_kernelINS0_14default_configENS1_35radix_sort_onesweep_config_selectorIalEEZZNS1_29radix_sort_onesweep_iterationIS3_Lb0EPaS7_N6thrust23THRUST_200600_302600_NS10device_ptrIlEESB_jNS0_19identity_decomposerENS1_16block_id_wrapperIjLb1EEEEE10hipError_tT1_PNSt15iterator_traitsISG_E10value_typeET2_T3_PNSH_ISM_E10value_typeET4_T5_PSR_SS_PNS1_23onesweep_lookback_stateEbbT6_jjT7_P12ihipStream_tbENKUlT_T0_SG_SL_E_clIS7_S7_SB_PlEEDaSZ_S10_SG_SL_EUlSZ_E_NS1_11comp_targetILNS1_3genE2ELNS1_11target_archE906ELNS1_3gpuE6ELNS1_3repE0EEENS1_47radix_sort_onesweep_sort_config_static_selectorELNS0_4arch9wavefront6targetE1EEEvSG_
                                        ; -- End function
	.set _ZN7rocprim17ROCPRIM_400000_NS6detail17trampoline_kernelINS0_14default_configENS1_35radix_sort_onesweep_config_selectorIalEEZZNS1_29radix_sort_onesweep_iterationIS3_Lb0EPaS7_N6thrust23THRUST_200600_302600_NS10device_ptrIlEESB_jNS0_19identity_decomposerENS1_16block_id_wrapperIjLb1EEEEE10hipError_tT1_PNSt15iterator_traitsISG_E10value_typeET2_T3_PNSH_ISM_E10value_typeET4_T5_PSR_SS_PNS1_23onesweep_lookback_stateEbbT6_jjT7_P12ihipStream_tbENKUlT_T0_SG_SL_E_clIS7_S7_SB_PlEEDaSZ_S10_SG_SL_EUlSZ_E_NS1_11comp_targetILNS1_3genE2ELNS1_11target_archE906ELNS1_3gpuE6ELNS1_3repE0EEENS1_47radix_sort_onesweep_sort_config_static_selectorELNS0_4arch9wavefront6targetE1EEEvSG_.num_vgpr, 41
	.set _ZN7rocprim17ROCPRIM_400000_NS6detail17trampoline_kernelINS0_14default_configENS1_35radix_sort_onesweep_config_selectorIalEEZZNS1_29radix_sort_onesweep_iterationIS3_Lb0EPaS7_N6thrust23THRUST_200600_302600_NS10device_ptrIlEESB_jNS0_19identity_decomposerENS1_16block_id_wrapperIjLb1EEEEE10hipError_tT1_PNSt15iterator_traitsISG_E10value_typeET2_T3_PNSH_ISM_E10value_typeET4_T5_PSR_SS_PNS1_23onesweep_lookback_stateEbbT6_jjT7_P12ihipStream_tbENKUlT_T0_SG_SL_E_clIS7_S7_SB_PlEEDaSZ_S10_SG_SL_EUlSZ_E_NS1_11comp_targetILNS1_3genE2ELNS1_11target_archE906ELNS1_3gpuE6ELNS1_3repE0EEENS1_47radix_sort_onesweep_sort_config_static_selectorELNS0_4arch9wavefront6targetE1EEEvSG_.num_agpr, 0
	.set _ZN7rocprim17ROCPRIM_400000_NS6detail17trampoline_kernelINS0_14default_configENS1_35radix_sort_onesweep_config_selectorIalEEZZNS1_29radix_sort_onesweep_iterationIS3_Lb0EPaS7_N6thrust23THRUST_200600_302600_NS10device_ptrIlEESB_jNS0_19identity_decomposerENS1_16block_id_wrapperIjLb1EEEEE10hipError_tT1_PNSt15iterator_traitsISG_E10value_typeET2_T3_PNSH_ISM_E10value_typeET4_T5_PSR_SS_PNS1_23onesweep_lookback_stateEbbT6_jjT7_P12ihipStream_tbENKUlT_T0_SG_SL_E_clIS7_S7_SB_PlEEDaSZ_S10_SG_SL_EUlSZ_E_NS1_11comp_targetILNS1_3genE2ELNS1_11target_archE906ELNS1_3gpuE6ELNS1_3repE0EEENS1_47radix_sort_onesweep_sort_config_static_selectorELNS0_4arch9wavefront6targetE1EEEvSG_.numbered_sgpr, 56
	.set _ZN7rocprim17ROCPRIM_400000_NS6detail17trampoline_kernelINS0_14default_configENS1_35radix_sort_onesweep_config_selectorIalEEZZNS1_29radix_sort_onesweep_iterationIS3_Lb0EPaS7_N6thrust23THRUST_200600_302600_NS10device_ptrIlEESB_jNS0_19identity_decomposerENS1_16block_id_wrapperIjLb1EEEEE10hipError_tT1_PNSt15iterator_traitsISG_E10value_typeET2_T3_PNSH_ISM_E10value_typeET4_T5_PSR_SS_PNS1_23onesweep_lookback_stateEbbT6_jjT7_P12ihipStream_tbENKUlT_T0_SG_SL_E_clIS7_S7_SB_PlEEDaSZ_S10_SG_SL_EUlSZ_E_NS1_11comp_targetILNS1_3genE2ELNS1_11target_archE906ELNS1_3gpuE6ELNS1_3repE0EEENS1_47radix_sort_onesweep_sort_config_static_selectorELNS0_4arch9wavefront6targetE1EEEvSG_.num_named_barrier, 0
	.set _ZN7rocprim17ROCPRIM_400000_NS6detail17trampoline_kernelINS0_14default_configENS1_35radix_sort_onesweep_config_selectorIalEEZZNS1_29radix_sort_onesweep_iterationIS3_Lb0EPaS7_N6thrust23THRUST_200600_302600_NS10device_ptrIlEESB_jNS0_19identity_decomposerENS1_16block_id_wrapperIjLb1EEEEE10hipError_tT1_PNSt15iterator_traitsISG_E10value_typeET2_T3_PNSH_ISM_E10value_typeET4_T5_PSR_SS_PNS1_23onesweep_lookback_stateEbbT6_jjT7_P12ihipStream_tbENKUlT_T0_SG_SL_E_clIS7_S7_SB_PlEEDaSZ_S10_SG_SL_EUlSZ_E_NS1_11comp_targetILNS1_3genE2ELNS1_11target_archE906ELNS1_3gpuE6ELNS1_3repE0EEENS1_47radix_sort_onesweep_sort_config_static_selectorELNS0_4arch9wavefront6targetE1EEEvSG_.private_seg_size, 32
	.set _ZN7rocprim17ROCPRIM_400000_NS6detail17trampoline_kernelINS0_14default_configENS1_35radix_sort_onesweep_config_selectorIalEEZZNS1_29radix_sort_onesweep_iterationIS3_Lb0EPaS7_N6thrust23THRUST_200600_302600_NS10device_ptrIlEESB_jNS0_19identity_decomposerENS1_16block_id_wrapperIjLb1EEEEE10hipError_tT1_PNSt15iterator_traitsISG_E10value_typeET2_T3_PNSH_ISM_E10value_typeET4_T5_PSR_SS_PNS1_23onesweep_lookback_stateEbbT6_jjT7_P12ihipStream_tbENKUlT_T0_SG_SL_E_clIS7_S7_SB_PlEEDaSZ_S10_SG_SL_EUlSZ_E_NS1_11comp_targetILNS1_3genE2ELNS1_11target_archE906ELNS1_3gpuE6ELNS1_3repE0EEENS1_47radix_sort_onesweep_sort_config_static_selectorELNS0_4arch9wavefront6targetE1EEEvSG_.uses_vcc, 1
	.set _ZN7rocprim17ROCPRIM_400000_NS6detail17trampoline_kernelINS0_14default_configENS1_35radix_sort_onesweep_config_selectorIalEEZZNS1_29radix_sort_onesweep_iterationIS3_Lb0EPaS7_N6thrust23THRUST_200600_302600_NS10device_ptrIlEESB_jNS0_19identity_decomposerENS1_16block_id_wrapperIjLb1EEEEE10hipError_tT1_PNSt15iterator_traitsISG_E10value_typeET2_T3_PNSH_ISM_E10value_typeET4_T5_PSR_SS_PNS1_23onesweep_lookback_stateEbbT6_jjT7_P12ihipStream_tbENKUlT_T0_SG_SL_E_clIS7_S7_SB_PlEEDaSZ_S10_SG_SL_EUlSZ_E_NS1_11comp_targetILNS1_3genE2ELNS1_11target_archE906ELNS1_3gpuE6ELNS1_3repE0EEENS1_47radix_sort_onesweep_sort_config_static_selectorELNS0_4arch9wavefront6targetE1EEEvSG_.uses_flat_scratch, 0
	.set _ZN7rocprim17ROCPRIM_400000_NS6detail17trampoline_kernelINS0_14default_configENS1_35radix_sort_onesweep_config_selectorIalEEZZNS1_29radix_sort_onesweep_iterationIS3_Lb0EPaS7_N6thrust23THRUST_200600_302600_NS10device_ptrIlEESB_jNS0_19identity_decomposerENS1_16block_id_wrapperIjLb1EEEEE10hipError_tT1_PNSt15iterator_traitsISG_E10value_typeET2_T3_PNSH_ISM_E10value_typeET4_T5_PSR_SS_PNS1_23onesweep_lookback_stateEbbT6_jjT7_P12ihipStream_tbENKUlT_T0_SG_SL_E_clIS7_S7_SB_PlEEDaSZ_S10_SG_SL_EUlSZ_E_NS1_11comp_targetILNS1_3genE2ELNS1_11target_archE906ELNS1_3gpuE6ELNS1_3repE0EEENS1_47radix_sort_onesweep_sort_config_static_selectorELNS0_4arch9wavefront6targetE1EEEvSG_.has_dyn_sized_stack, 0
	.set _ZN7rocprim17ROCPRIM_400000_NS6detail17trampoline_kernelINS0_14default_configENS1_35radix_sort_onesweep_config_selectorIalEEZZNS1_29radix_sort_onesweep_iterationIS3_Lb0EPaS7_N6thrust23THRUST_200600_302600_NS10device_ptrIlEESB_jNS0_19identity_decomposerENS1_16block_id_wrapperIjLb1EEEEE10hipError_tT1_PNSt15iterator_traitsISG_E10value_typeET2_T3_PNSH_ISM_E10value_typeET4_T5_PSR_SS_PNS1_23onesweep_lookback_stateEbbT6_jjT7_P12ihipStream_tbENKUlT_T0_SG_SL_E_clIS7_S7_SB_PlEEDaSZ_S10_SG_SL_EUlSZ_E_NS1_11comp_targetILNS1_3genE2ELNS1_11target_archE906ELNS1_3gpuE6ELNS1_3repE0EEENS1_47radix_sort_onesweep_sort_config_static_selectorELNS0_4arch9wavefront6targetE1EEEvSG_.has_recursion, 0
	.set _ZN7rocprim17ROCPRIM_400000_NS6detail17trampoline_kernelINS0_14default_configENS1_35radix_sort_onesweep_config_selectorIalEEZZNS1_29radix_sort_onesweep_iterationIS3_Lb0EPaS7_N6thrust23THRUST_200600_302600_NS10device_ptrIlEESB_jNS0_19identity_decomposerENS1_16block_id_wrapperIjLb1EEEEE10hipError_tT1_PNSt15iterator_traitsISG_E10value_typeET2_T3_PNSH_ISM_E10value_typeET4_T5_PSR_SS_PNS1_23onesweep_lookback_stateEbbT6_jjT7_P12ihipStream_tbENKUlT_T0_SG_SL_E_clIS7_S7_SB_PlEEDaSZ_S10_SG_SL_EUlSZ_E_NS1_11comp_targetILNS1_3genE2ELNS1_11target_archE906ELNS1_3gpuE6ELNS1_3repE0EEENS1_47radix_sort_onesweep_sort_config_static_selectorELNS0_4arch9wavefront6targetE1EEEvSG_.has_indirect_call, 0
	.section	.AMDGPU.csdata,"",@progbits
; Kernel info:
; codeLenInByte = 10356
; TotalNumSgprs: 60
; NumVgprs: 41
; ScratchSize: 32
; MemoryBound: 0
; FloatMode: 240
; IeeeMode: 1
; LDSByteSize: 10280 bytes/workgroup (compile time only)
; SGPRBlocks: 7
; VGPRBlocks: 10
; NumSGPRsForWavesPerEU: 60
; NumVGPRsForWavesPerEU: 41
; Occupancy: 5
; WaveLimiterHint : 1
; COMPUTE_PGM_RSRC2:SCRATCH_EN: 1
; COMPUTE_PGM_RSRC2:USER_SGPR: 6
; COMPUTE_PGM_RSRC2:TRAP_HANDLER: 0
; COMPUTE_PGM_RSRC2:TGID_X_EN: 1
; COMPUTE_PGM_RSRC2:TGID_Y_EN: 0
; COMPUTE_PGM_RSRC2:TGID_Z_EN: 0
; COMPUTE_PGM_RSRC2:TIDIG_COMP_CNT: 2
	.section	.text._ZN7rocprim17ROCPRIM_400000_NS6detail17trampoline_kernelINS0_14default_configENS1_35radix_sort_onesweep_config_selectorIalEEZZNS1_29radix_sort_onesweep_iterationIS3_Lb0EPaS7_N6thrust23THRUST_200600_302600_NS10device_ptrIlEESB_jNS0_19identity_decomposerENS1_16block_id_wrapperIjLb1EEEEE10hipError_tT1_PNSt15iterator_traitsISG_E10value_typeET2_T3_PNSH_ISM_E10value_typeET4_T5_PSR_SS_PNS1_23onesweep_lookback_stateEbbT6_jjT7_P12ihipStream_tbENKUlT_T0_SG_SL_E_clIS7_S7_SB_PlEEDaSZ_S10_SG_SL_EUlSZ_E_NS1_11comp_targetILNS1_3genE4ELNS1_11target_archE910ELNS1_3gpuE8ELNS1_3repE0EEENS1_47radix_sort_onesweep_sort_config_static_selectorELNS0_4arch9wavefront6targetE1EEEvSG_,"axG",@progbits,_ZN7rocprim17ROCPRIM_400000_NS6detail17trampoline_kernelINS0_14default_configENS1_35radix_sort_onesweep_config_selectorIalEEZZNS1_29radix_sort_onesweep_iterationIS3_Lb0EPaS7_N6thrust23THRUST_200600_302600_NS10device_ptrIlEESB_jNS0_19identity_decomposerENS1_16block_id_wrapperIjLb1EEEEE10hipError_tT1_PNSt15iterator_traitsISG_E10value_typeET2_T3_PNSH_ISM_E10value_typeET4_T5_PSR_SS_PNS1_23onesweep_lookback_stateEbbT6_jjT7_P12ihipStream_tbENKUlT_T0_SG_SL_E_clIS7_S7_SB_PlEEDaSZ_S10_SG_SL_EUlSZ_E_NS1_11comp_targetILNS1_3genE4ELNS1_11target_archE910ELNS1_3gpuE8ELNS1_3repE0EEENS1_47radix_sort_onesweep_sort_config_static_selectorELNS0_4arch9wavefront6targetE1EEEvSG_,comdat
	.protected	_ZN7rocprim17ROCPRIM_400000_NS6detail17trampoline_kernelINS0_14default_configENS1_35radix_sort_onesweep_config_selectorIalEEZZNS1_29radix_sort_onesweep_iterationIS3_Lb0EPaS7_N6thrust23THRUST_200600_302600_NS10device_ptrIlEESB_jNS0_19identity_decomposerENS1_16block_id_wrapperIjLb1EEEEE10hipError_tT1_PNSt15iterator_traitsISG_E10value_typeET2_T3_PNSH_ISM_E10value_typeET4_T5_PSR_SS_PNS1_23onesweep_lookback_stateEbbT6_jjT7_P12ihipStream_tbENKUlT_T0_SG_SL_E_clIS7_S7_SB_PlEEDaSZ_S10_SG_SL_EUlSZ_E_NS1_11comp_targetILNS1_3genE4ELNS1_11target_archE910ELNS1_3gpuE8ELNS1_3repE0EEENS1_47radix_sort_onesweep_sort_config_static_selectorELNS0_4arch9wavefront6targetE1EEEvSG_ ; -- Begin function _ZN7rocprim17ROCPRIM_400000_NS6detail17trampoline_kernelINS0_14default_configENS1_35radix_sort_onesweep_config_selectorIalEEZZNS1_29radix_sort_onesweep_iterationIS3_Lb0EPaS7_N6thrust23THRUST_200600_302600_NS10device_ptrIlEESB_jNS0_19identity_decomposerENS1_16block_id_wrapperIjLb1EEEEE10hipError_tT1_PNSt15iterator_traitsISG_E10value_typeET2_T3_PNSH_ISM_E10value_typeET4_T5_PSR_SS_PNS1_23onesweep_lookback_stateEbbT6_jjT7_P12ihipStream_tbENKUlT_T0_SG_SL_E_clIS7_S7_SB_PlEEDaSZ_S10_SG_SL_EUlSZ_E_NS1_11comp_targetILNS1_3genE4ELNS1_11target_archE910ELNS1_3gpuE8ELNS1_3repE0EEENS1_47radix_sort_onesweep_sort_config_static_selectorELNS0_4arch9wavefront6targetE1EEEvSG_
	.globl	_ZN7rocprim17ROCPRIM_400000_NS6detail17trampoline_kernelINS0_14default_configENS1_35radix_sort_onesweep_config_selectorIalEEZZNS1_29radix_sort_onesweep_iterationIS3_Lb0EPaS7_N6thrust23THRUST_200600_302600_NS10device_ptrIlEESB_jNS0_19identity_decomposerENS1_16block_id_wrapperIjLb1EEEEE10hipError_tT1_PNSt15iterator_traitsISG_E10value_typeET2_T3_PNSH_ISM_E10value_typeET4_T5_PSR_SS_PNS1_23onesweep_lookback_stateEbbT6_jjT7_P12ihipStream_tbENKUlT_T0_SG_SL_E_clIS7_S7_SB_PlEEDaSZ_S10_SG_SL_EUlSZ_E_NS1_11comp_targetILNS1_3genE4ELNS1_11target_archE910ELNS1_3gpuE8ELNS1_3repE0EEENS1_47radix_sort_onesweep_sort_config_static_selectorELNS0_4arch9wavefront6targetE1EEEvSG_
	.p2align	8
	.type	_ZN7rocprim17ROCPRIM_400000_NS6detail17trampoline_kernelINS0_14default_configENS1_35radix_sort_onesweep_config_selectorIalEEZZNS1_29radix_sort_onesweep_iterationIS3_Lb0EPaS7_N6thrust23THRUST_200600_302600_NS10device_ptrIlEESB_jNS0_19identity_decomposerENS1_16block_id_wrapperIjLb1EEEEE10hipError_tT1_PNSt15iterator_traitsISG_E10value_typeET2_T3_PNSH_ISM_E10value_typeET4_T5_PSR_SS_PNS1_23onesweep_lookback_stateEbbT6_jjT7_P12ihipStream_tbENKUlT_T0_SG_SL_E_clIS7_S7_SB_PlEEDaSZ_S10_SG_SL_EUlSZ_E_NS1_11comp_targetILNS1_3genE4ELNS1_11target_archE910ELNS1_3gpuE8ELNS1_3repE0EEENS1_47radix_sort_onesweep_sort_config_static_selectorELNS0_4arch9wavefront6targetE1EEEvSG_,@function
_ZN7rocprim17ROCPRIM_400000_NS6detail17trampoline_kernelINS0_14default_configENS1_35radix_sort_onesweep_config_selectorIalEEZZNS1_29radix_sort_onesweep_iterationIS3_Lb0EPaS7_N6thrust23THRUST_200600_302600_NS10device_ptrIlEESB_jNS0_19identity_decomposerENS1_16block_id_wrapperIjLb1EEEEE10hipError_tT1_PNSt15iterator_traitsISG_E10value_typeET2_T3_PNSH_ISM_E10value_typeET4_T5_PSR_SS_PNS1_23onesweep_lookback_stateEbbT6_jjT7_P12ihipStream_tbENKUlT_T0_SG_SL_E_clIS7_S7_SB_PlEEDaSZ_S10_SG_SL_EUlSZ_E_NS1_11comp_targetILNS1_3genE4ELNS1_11target_archE910ELNS1_3gpuE8ELNS1_3repE0EEENS1_47radix_sort_onesweep_sort_config_static_selectorELNS0_4arch9wavefront6targetE1EEEvSG_: ; @_ZN7rocprim17ROCPRIM_400000_NS6detail17trampoline_kernelINS0_14default_configENS1_35radix_sort_onesweep_config_selectorIalEEZZNS1_29radix_sort_onesweep_iterationIS3_Lb0EPaS7_N6thrust23THRUST_200600_302600_NS10device_ptrIlEESB_jNS0_19identity_decomposerENS1_16block_id_wrapperIjLb1EEEEE10hipError_tT1_PNSt15iterator_traitsISG_E10value_typeET2_T3_PNSH_ISM_E10value_typeET4_T5_PSR_SS_PNS1_23onesweep_lookback_stateEbbT6_jjT7_P12ihipStream_tbENKUlT_T0_SG_SL_E_clIS7_S7_SB_PlEEDaSZ_S10_SG_SL_EUlSZ_E_NS1_11comp_targetILNS1_3genE4ELNS1_11target_archE910ELNS1_3gpuE8ELNS1_3repE0EEENS1_47radix_sort_onesweep_sort_config_static_selectorELNS0_4arch9wavefront6targetE1EEEvSG_
; %bb.0:
	.section	.rodata,"a",@progbits
	.p2align	6, 0x0
	.amdhsa_kernel _ZN7rocprim17ROCPRIM_400000_NS6detail17trampoline_kernelINS0_14default_configENS1_35radix_sort_onesweep_config_selectorIalEEZZNS1_29radix_sort_onesweep_iterationIS3_Lb0EPaS7_N6thrust23THRUST_200600_302600_NS10device_ptrIlEESB_jNS0_19identity_decomposerENS1_16block_id_wrapperIjLb1EEEEE10hipError_tT1_PNSt15iterator_traitsISG_E10value_typeET2_T3_PNSH_ISM_E10value_typeET4_T5_PSR_SS_PNS1_23onesweep_lookback_stateEbbT6_jjT7_P12ihipStream_tbENKUlT_T0_SG_SL_E_clIS7_S7_SB_PlEEDaSZ_S10_SG_SL_EUlSZ_E_NS1_11comp_targetILNS1_3genE4ELNS1_11target_archE910ELNS1_3gpuE8ELNS1_3repE0EEENS1_47radix_sort_onesweep_sort_config_static_selectorELNS0_4arch9wavefront6targetE1EEEvSG_
		.amdhsa_group_segment_fixed_size 0
		.amdhsa_private_segment_fixed_size 0
		.amdhsa_kernarg_size 88
		.amdhsa_user_sgpr_count 6
		.amdhsa_user_sgpr_private_segment_buffer 1
		.amdhsa_user_sgpr_dispatch_ptr 0
		.amdhsa_user_sgpr_queue_ptr 0
		.amdhsa_user_sgpr_kernarg_segment_ptr 1
		.amdhsa_user_sgpr_dispatch_id 0
		.amdhsa_user_sgpr_flat_scratch_init 0
		.amdhsa_user_sgpr_private_segment_size 0
		.amdhsa_uses_dynamic_stack 0
		.amdhsa_system_sgpr_private_segment_wavefront_offset 0
		.amdhsa_system_sgpr_workgroup_id_x 1
		.amdhsa_system_sgpr_workgroup_id_y 0
		.amdhsa_system_sgpr_workgroup_id_z 0
		.amdhsa_system_sgpr_workgroup_info 0
		.amdhsa_system_vgpr_workitem_id 0
		.amdhsa_next_free_vgpr 1
		.amdhsa_next_free_sgpr 0
		.amdhsa_reserve_vcc 0
		.amdhsa_reserve_flat_scratch 0
		.amdhsa_float_round_mode_32 0
		.amdhsa_float_round_mode_16_64 0
		.amdhsa_float_denorm_mode_32 3
		.amdhsa_float_denorm_mode_16_64 3
		.amdhsa_dx10_clamp 1
		.amdhsa_ieee_mode 1
		.amdhsa_fp16_overflow 0
		.amdhsa_exception_fp_ieee_invalid_op 0
		.amdhsa_exception_fp_denorm_src 0
		.amdhsa_exception_fp_ieee_div_zero 0
		.amdhsa_exception_fp_ieee_overflow 0
		.amdhsa_exception_fp_ieee_underflow 0
		.amdhsa_exception_fp_ieee_inexact 0
		.amdhsa_exception_int_div_zero 0
	.end_amdhsa_kernel
	.section	.text._ZN7rocprim17ROCPRIM_400000_NS6detail17trampoline_kernelINS0_14default_configENS1_35radix_sort_onesweep_config_selectorIalEEZZNS1_29radix_sort_onesweep_iterationIS3_Lb0EPaS7_N6thrust23THRUST_200600_302600_NS10device_ptrIlEESB_jNS0_19identity_decomposerENS1_16block_id_wrapperIjLb1EEEEE10hipError_tT1_PNSt15iterator_traitsISG_E10value_typeET2_T3_PNSH_ISM_E10value_typeET4_T5_PSR_SS_PNS1_23onesweep_lookback_stateEbbT6_jjT7_P12ihipStream_tbENKUlT_T0_SG_SL_E_clIS7_S7_SB_PlEEDaSZ_S10_SG_SL_EUlSZ_E_NS1_11comp_targetILNS1_3genE4ELNS1_11target_archE910ELNS1_3gpuE8ELNS1_3repE0EEENS1_47radix_sort_onesweep_sort_config_static_selectorELNS0_4arch9wavefront6targetE1EEEvSG_,"axG",@progbits,_ZN7rocprim17ROCPRIM_400000_NS6detail17trampoline_kernelINS0_14default_configENS1_35radix_sort_onesweep_config_selectorIalEEZZNS1_29radix_sort_onesweep_iterationIS3_Lb0EPaS7_N6thrust23THRUST_200600_302600_NS10device_ptrIlEESB_jNS0_19identity_decomposerENS1_16block_id_wrapperIjLb1EEEEE10hipError_tT1_PNSt15iterator_traitsISG_E10value_typeET2_T3_PNSH_ISM_E10value_typeET4_T5_PSR_SS_PNS1_23onesweep_lookback_stateEbbT6_jjT7_P12ihipStream_tbENKUlT_T0_SG_SL_E_clIS7_S7_SB_PlEEDaSZ_S10_SG_SL_EUlSZ_E_NS1_11comp_targetILNS1_3genE4ELNS1_11target_archE910ELNS1_3gpuE8ELNS1_3repE0EEENS1_47radix_sort_onesweep_sort_config_static_selectorELNS0_4arch9wavefront6targetE1EEEvSG_,comdat
.Lfunc_end613:
	.size	_ZN7rocprim17ROCPRIM_400000_NS6detail17trampoline_kernelINS0_14default_configENS1_35radix_sort_onesweep_config_selectorIalEEZZNS1_29radix_sort_onesweep_iterationIS3_Lb0EPaS7_N6thrust23THRUST_200600_302600_NS10device_ptrIlEESB_jNS0_19identity_decomposerENS1_16block_id_wrapperIjLb1EEEEE10hipError_tT1_PNSt15iterator_traitsISG_E10value_typeET2_T3_PNSH_ISM_E10value_typeET4_T5_PSR_SS_PNS1_23onesweep_lookback_stateEbbT6_jjT7_P12ihipStream_tbENKUlT_T0_SG_SL_E_clIS7_S7_SB_PlEEDaSZ_S10_SG_SL_EUlSZ_E_NS1_11comp_targetILNS1_3genE4ELNS1_11target_archE910ELNS1_3gpuE8ELNS1_3repE0EEENS1_47radix_sort_onesweep_sort_config_static_selectorELNS0_4arch9wavefront6targetE1EEEvSG_, .Lfunc_end613-_ZN7rocprim17ROCPRIM_400000_NS6detail17trampoline_kernelINS0_14default_configENS1_35radix_sort_onesweep_config_selectorIalEEZZNS1_29radix_sort_onesweep_iterationIS3_Lb0EPaS7_N6thrust23THRUST_200600_302600_NS10device_ptrIlEESB_jNS0_19identity_decomposerENS1_16block_id_wrapperIjLb1EEEEE10hipError_tT1_PNSt15iterator_traitsISG_E10value_typeET2_T3_PNSH_ISM_E10value_typeET4_T5_PSR_SS_PNS1_23onesweep_lookback_stateEbbT6_jjT7_P12ihipStream_tbENKUlT_T0_SG_SL_E_clIS7_S7_SB_PlEEDaSZ_S10_SG_SL_EUlSZ_E_NS1_11comp_targetILNS1_3genE4ELNS1_11target_archE910ELNS1_3gpuE8ELNS1_3repE0EEENS1_47radix_sort_onesweep_sort_config_static_selectorELNS0_4arch9wavefront6targetE1EEEvSG_
                                        ; -- End function
	.set _ZN7rocprim17ROCPRIM_400000_NS6detail17trampoline_kernelINS0_14default_configENS1_35radix_sort_onesweep_config_selectorIalEEZZNS1_29radix_sort_onesweep_iterationIS3_Lb0EPaS7_N6thrust23THRUST_200600_302600_NS10device_ptrIlEESB_jNS0_19identity_decomposerENS1_16block_id_wrapperIjLb1EEEEE10hipError_tT1_PNSt15iterator_traitsISG_E10value_typeET2_T3_PNSH_ISM_E10value_typeET4_T5_PSR_SS_PNS1_23onesweep_lookback_stateEbbT6_jjT7_P12ihipStream_tbENKUlT_T0_SG_SL_E_clIS7_S7_SB_PlEEDaSZ_S10_SG_SL_EUlSZ_E_NS1_11comp_targetILNS1_3genE4ELNS1_11target_archE910ELNS1_3gpuE8ELNS1_3repE0EEENS1_47radix_sort_onesweep_sort_config_static_selectorELNS0_4arch9wavefront6targetE1EEEvSG_.num_vgpr, 0
	.set _ZN7rocprim17ROCPRIM_400000_NS6detail17trampoline_kernelINS0_14default_configENS1_35radix_sort_onesweep_config_selectorIalEEZZNS1_29radix_sort_onesweep_iterationIS3_Lb0EPaS7_N6thrust23THRUST_200600_302600_NS10device_ptrIlEESB_jNS0_19identity_decomposerENS1_16block_id_wrapperIjLb1EEEEE10hipError_tT1_PNSt15iterator_traitsISG_E10value_typeET2_T3_PNSH_ISM_E10value_typeET4_T5_PSR_SS_PNS1_23onesweep_lookback_stateEbbT6_jjT7_P12ihipStream_tbENKUlT_T0_SG_SL_E_clIS7_S7_SB_PlEEDaSZ_S10_SG_SL_EUlSZ_E_NS1_11comp_targetILNS1_3genE4ELNS1_11target_archE910ELNS1_3gpuE8ELNS1_3repE0EEENS1_47radix_sort_onesweep_sort_config_static_selectorELNS0_4arch9wavefront6targetE1EEEvSG_.num_agpr, 0
	.set _ZN7rocprim17ROCPRIM_400000_NS6detail17trampoline_kernelINS0_14default_configENS1_35radix_sort_onesweep_config_selectorIalEEZZNS1_29radix_sort_onesweep_iterationIS3_Lb0EPaS7_N6thrust23THRUST_200600_302600_NS10device_ptrIlEESB_jNS0_19identity_decomposerENS1_16block_id_wrapperIjLb1EEEEE10hipError_tT1_PNSt15iterator_traitsISG_E10value_typeET2_T3_PNSH_ISM_E10value_typeET4_T5_PSR_SS_PNS1_23onesweep_lookback_stateEbbT6_jjT7_P12ihipStream_tbENKUlT_T0_SG_SL_E_clIS7_S7_SB_PlEEDaSZ_S10_SG_SL_EUlSZ_E_NS1_11comp_targetILNS1_3genE4ELNS1_11target_archE910ELNS1_3gpuE8ELNS1_3repE0EEENS1_47radix_sort_onesweep_sort_config_static_selectorELNS0_4arch9wavefront6targetE1EEEvSG_.numbered_sgpr, 0
	.set _ZN7rocprim17ROCPRIM_400000_NS6detail17trampoline_kernelINS0_14default_configENS1_35radix_sort_onesweep_config_selectorIalEEZZNS1_29radix_sort_onesweep_iterationIS3_Lb0EPaS7_N6thrust23THRUST_200600_302600_NS10device_ptrIlEESB_jNS0_19identity_decomposerENS1_16block_id_wrapperIjLb1EEEEE10hipError_tT1_PNSt15iterator_traitsISG_E10value_typeET2_T3_PNSH_ISM_E10value_typeET4_T5_PSR_SS_PNS1_23onesweep_lookback_stateEbbT6_jjT7_P12ihipStream_tbENKUlT_T0_SG_SL_E_clIS7_S7_SB_PlEEDaSZ_S10_SG_SL_EUlSZ_E_NS1_11comp_targetILNS1_3genE4ELNS1_11target_archE910ELNS1_3gpuE8ELNS1_3repE0EEENS1_47radix_sort_onesweep_sort_config_static_selectorELNS0_4arch9wavefront6targetE1EEEvSG_.num_named_barrier, 0
	.set _ZN7rocprim17ROCPRIM_400000_NS6detail17trampoline_kernelINS0_14default_configENS1_35radix_sort_onesweep_config_selectorIalEEZZNS1_29radix_sort_onesweep_iterationIS3_Lb0EPaS7_N6thrust23THRUST_200600_302600_NS10device_ptrIlEESB_jNS0_19identity_decomposerENS1_16block_id_wrapperIjLb1EEEEE10hipError_tT1_PNSt15iterator_traitsISG_E10value_typeET2_T3_PNSH_ISM_E10value_typeET4_T5_PSR_SS_PNS1_23onesweep_lookback_stateEbbT6_jjT7_P12ihipStream_tbENKUlT_T0_SG_SL_E_clIS7_S7_SB_PlEEDaSZ_S10_SG_SL_EUlSZ_E_NS1_11comp_targetILNS1_3genE4ELNS1_11target_archE910ELNS1_3gpuE8ELNS1_3repE0EEENS1_47radix_sort_onesweep_sort_config_static_selectorELNS0_4arch9wavefront6targetE1EEEvSG_.private_seg_size, 0
	.set _ZN7rocprim17ROCPRIM_400000_NS6detail17trampoline_kernelINS0_14default_configENS1_35radix_sort_onesweep_config_selectorIalEEZZNS1_29radix_sort_onesweep_iterationIS3_Lb0EPaS7_N6thrust23THRUST_200600_302600_NS10device_ptrIlEESB_jNS0_19identity_decomposerENS1_16block_id_wrapperIjLb1EEEEE10hipError_tT1_PNSt15iterator_traitsISG_E10value_typeET2_T3_PNSH_ISM_E10value_typeET4_T5_PSR_SS_PNS1_23onesweep_lookback_stateEbbT6_jjT7_P12ihipStream_tbENKUlT_T0_SG_SL_E_clIS7_S7_SB_PlEEDaSZ_S10_SG_SL_EUlSZ_E_NS1_11comp_targetILNS1_3genE4ELNS1_11target_archE910ELNS1_3gpuE8ELNS1_3repE0EEENS1_47radix_sort_onesweep_sort_config_static_selectorELNS0_4arch9wavefront6targetE1EEEvSG_.uses_vcc, 0
	.set _ZN7rocprim17ROCPRIM_400000_NS6detail17trampoline_kernelINS0_14default_configENS1_35radix_sort_onesweep_config_selectorIalEEZZNS1_29radix_sort_onesweep_iterationIS3_Lb0EPaS7_N6thrust23THRUST_200600_302600_NS10device_ptrIlEESB_jNS0_19identity_decomposerENS1_16block_id_wrapperIjLb1EEEEE10hipError_tT1_PNSt15iterator_traitsISG_E10value_typeET2_T3_PNSH_ISM_E10value_typeET4_T5_PSR_SS_PNS1_23onesweep_lookback_stateEbbT6_jjT7_P12ihipStream_tbENKUlT_T0_SG_SL_E_clIS7_S7_SB_PlEEDaSZ_S10_SG_SL_EUlSZ_E_NS1_11comp_targetILNS1_3genE4ELNS1_11target_archE910ELNS1_3gpuE8ELNS1_3repE0EEENS1_47radix_sort_onesweep_sort_config_static_selectorELNS0_4arch9wavefront6targetE1EEEvSG_.uses_flat_scratch, 0
	.set _ZN7rocprim17ROCPRIM_400000_NS6detail17trampoline_kernelINS0_14default_configENS1_35radix_sort_onesweep_config_selectorIalEEZZNS1_29radix_sort_onesweep_iterationIS3_Lb0EPaS7_N6thrust23THRUST_200600_302600_NS10device_ptrIlEESB_jNS0_19identity_decomposerENS1_16block_id_wrapperIjLb1EEEEE10hipError_tT1_PNSt15iterator_traitsISG_E10value_typeET2_T3_PNSH_ISM_E10value_typeET4_T5_PSR_SS_PNS1_23onesweep_lookback_stateEbbT6_jjT7_P12ihipStream_tbENKUlT_T0_SG_SL_E_clIS7_S7_SB_PlEEDaSZ_S10_SG_SL_EUlSZ_E_NS1_11comp_targetILNS1_3genE4ELNS1_11target_archE910ELNS1_3gpuE8ELNS1_3repE0EEENS1_47radix_sort_onesweep_sort_config_static_selectorELNS0_4arch9wavefront6targetE1EEEvSG_.has_dyn_sized_stack, 0
	.set _ZN7rocprim17ROCPRIM_400000_NS6detail17trampoline_kernelINS0_14default_configENS1_35radix_sort_onesweep_config_selectorIalEEZZNS1_29radix_sort_onesweep_iterationIS3_Lb0EPaS7_N6thrust23THRUST_200600_302600_NS10device_ptrIlEESB_jNS0_19identity_decomposerENS1_16block_id_wrapperIjLb1EEEEE10hipError_tT1_PNSt15iterator_traitsISG_E10value_typeET2_T3_PNSH_ISM_E10value_typeET4_T5_PSR_SS_PNS1_23onesweep_lookback_stateEbbT6_jjT7_P12ihipStream_tbENKUlT_T0_SG_SL_E_clIS7_S7_SB_PlEEDaSZ_S10_SG_SL_EUlSZ_E_NS1_11comp_targetILNS1_3genE4ELNS1_11target_archE910ELNS1_3gpuE8ELNS1_3repE0EEENS1_47radix_sort_onesweep_sort_config_static_selectorELNS0_4arch9wavefront6targetE1EEEvSG_.has_recursion, 0
	.set _ZN7rocprim17ROCPRIM_400000_NS6detail17trampoline_kernelINS0_14default_configENS1_35radix_sort_onesweep_config_selectorIalEEZZNS1_29radix_sort_onesweep_iterationIS3_Lb0EPaS7_N6thrust23THRUST_200600_302600_NS10device_ptrIlEESB_jNS0_19identity_decomposerENS1_16block_id_wrapperIjLb1EEEEE10hipError_tT1_PNSt15iterator_traitsISG_E10value_typeET2_T3_PNSH_ISM_E10value_typeET4_T5_PSR_SS_PNS1_23onesweep_lookback_stateEbbT6_jjT7_P12ihipStream_tbENKUlT_T0_SG_SL_E_clIS7_S7_SB_PlEEDaSZ_S10_SG_SL_EUlSZ_E_NS1_11comp_targetILNS1_3genE4ELNS1_11target_archE910ELNS1_3gpuE8ELNS1_3repE0EEENS1_47radix_sort_onesweep_sort_config_static_selectorELNS0_4arch9wavefront6targetE1EEEvSG_.has_indirect_call, 0
	.section	.AMDGPU.csdata,"",@progbits
; Kernel info:
; codeLenInByte = 0
; TotalNumSgprs: 4
; NumVgprs: 0
; ScratchSize: 0
; MemoryBound: 0
; FloatMode: 240
; IeeeMode: 1
; LDSByteSize: 0 bytes/workgroup (compile time only)
; SGPRBlocks: 0
; VGPRBlocks: 0
; NumSGPRsForWavesPerEU: 4
; NumVGPRsForWavesPerEU: 1
; Occupancy: 10
; WaveLimiterHint : 0
; COMPUTE_PGM_RSRC2:SCRATCH_EN: 0
; COMPUTE_PGM_RSRC2:USER_SGPR: 6
; COMPUTE_PGM_RSRC2:TRAP_HANDLER: 0
; COMPUTE_PGM_RSRC2:TGID_X_EN: 1
; COMPUTE_PGM_RSRC2:TGID_Y_EN: 0
; COMPUTE_PGM_RSRC2:TGID_Z_EN: 0
; COMPUTE_PGM_RSRC2:TIDIG_COMP_CNT: 0
	.section	.text._ZN7rocprim17ROCPRIM_400000_NS6detail17trampoline_kernelINS0_14default_configENS1_35radix_sort_onesweep_config_selectorIalEEZZNS1_29radix_sort_onesweep_iterationIS3_Lb0EPaS7_N6thrust23THRUST_200600_302600_NS10device_ptrIlEESB_jNS0_19identity_decomposerENS1_16block_id_wrapperIjLb1EEEEE10hipError_tT1_PNSt15iterator_traitsISG_E10value_typeET2_T3_PNSH_ISM_E10value_typeET4_T5_PSR_SS_PNS1_23onesweep_lookback_stateEbbT6_jjT7_P12ihipStream_tbENKUlT_T0_SG_SL_E_clIS7_S7_SB_PlEEDaSZ_S10_SG_SL_EUlSZ_E_NS1_11comp_targetILNS1_3genE3ELNS1_11target_archE908ELNS1_3gpuE7ELNS1_3repE0EEENS1_47radix_sort_onesweep_sort_config_static_selectorELNS0_4arch9wavefront6targetE1EEEvSG_,"axG",@progbits,_ZN7rocprim17ROCPRIM_400000_NS6detail17trampoline_kernelINS0_14default_configENS1_35radix_sort_onesweep_config_selectorIalEEZZNS1_29radix_sort_onesweep_iterationIS3_Lb0EPaS7_N6thrust23THRUST_200600_302600_NS10device_ptrIlEESB_jNS0_19identity_decomposerENS1_16block_id_wrapperIjLb1EEEEE10hipError_tT1_PNSt15iterator_traitsISG_E10value_typeET2_T3_PNSH_ISM_E10value_typeET4_T5_PSR_SS_PNS1_23onesweep_lookback_stateEbbT6_jjT7_P12ihipStream_tbENKUlT_T0_SG_SL_E_clIS7_S7_SB_PlEEDaSZ_S10_SG_SL_EUlSZ_E_NS1_11comp_targetILNS1_3genE3ELNS1_11target_archE908ELNS1_3gpuE7ELNS1_3repE0EEENS1_47radix_sort_onesweep_sort_config_static_selectorELNS0_4arch9wavefront6targetE1EEEvSG_,comdat
	.protected	_ZN7rocprim17ROCPRIM_400000_NS6detail17trampoline_kernelINS0_14default_configENS1_35radix_sort_onesweep_config_selectorIalEEZZNS1_29radix_sort_onesweep_iterationIS3_Lb0EPaS7_N6thrust23THRUST_200600_302600_NS10device_ptrIlEESB_jNS0_19identity_decomposerENS1_16block_id_wrapperIjLb1EEEEE10hipError_tT1_PNSt15iterator_traitsISG_E10value_typeET2_T3_PNSH_ISM_E10value_typeET4_T5_PSR_SS_PNS1_23onesweep_lookback_stateEbbT6_jjT7_P12ihipStream_tbENKUlT_T0_SG_SL_E_clIS7_S7_SB_PlEEDaSZ_S10_SG_SL_EUlSZ_E_NS1_11comp_targetILNS1_3genE3ELNS1_11target_archE908ELNS1_3gpuE7ELNS1_3repE0EEENS1_47radix_sort_onesweep_sort_config_static_selectorELNS0_4arch9wavefront6targetE1EEEvSG_ ; -- Begin function _ZN7rocprim17ROCPRIM_400000_NS6detail17trampoline_kernelINS0_14default_configENS1_35radix_sort_onesweep_config_selectorIalEEZZNS1_29radix_sort_onesweep_iterationIS3_Lb0EPaS7_N6thrust23THRUST_200600_302600_NS10device_ptrIlEESB_jNS0_19identity_decomposerENS1_16block_id_wrapperIjLb1EEEEE10hipError_tT1_PNSt15iterator_traitsISG_E10value_typeET2_T3_PNSH_ISM_E10value_typeET4_T5_PSR_SS_PNS1_23onesweep_lookback_stateEbbT6_jjT7_P12ihipStream_tbENKUlT_T0_SG_SL_E_clIS7_S7_SB_PlEEDaSZ_S10_SG_SL_EUlSZ_E_NS1_11comp_targetILNS1_3genE3ELNS1_11target_archE908ELNS1_3gpuE7ELNS1_3repE0EEENS1_47radix_sort_onesweep_sort_config_static_selectorELNS0_4arch9wavefront6targetE1EEEvSG_
	.globl	_ZN7rocprim17ROCPRIM_400000_NS6detail17trampoline_kernelINS0_14default_configENS1_35radix_sort_onesweep_config_selectorIalEEZZNS1_29radix_sort_onesweep_iterationIS3_Lb0EPaS7_N6thrust23THRUST_200600_302600_NS10device_ptrIlEESB_jNS0_19identity_decomposerENS1_16block_id_wrapperIjLb1EEEEE10hipError_tT1_PNSt15iterator_traitsISG_E10value_typeET2_T3_PNSH_ISM_E10value_typeET4_T5_PSR_SS_PNS1_23onesweep_lookback_stateEbbT6_jjT7_P12ihipStream_tbENKUlT_T0_SG_SL_E_clIS7_S7_SB_PlEEDaSZ_S10_SG_SL_EUlSZ_E_NS1_11comp_targetILNS1_3genE3ELNS1_11target_archE908ELNS1_3gpuE7ELNS1_3repE0EEENS1_47radix_sort_onesweep_sort_config_static_selectorELNS0_4arch9wavefront6targetE1EEEvSG_
	.p2align	8
	.type	_ZN7rocprim17ROCPRIM_400000_NS6detail17trampoline_kernelINS0_14default_configENS1_35radix_sort_onesweep_config_selectorIalEEZZNS1_29radix_sort_onesweep_iterationIS3_Lb0EPaS7_N6thrust23THRUST_200600_302600_NS10device_ptrIlEESB_jNS0_19identity_decomposerENS1_16block_id_wrapperIjLb1EEEEE10hipError_tT1_PNSt15iterator_traitsISG_E10value_typeET2_T3_PNSH_ISM_E10value_typeET4_T5_PSR_SS_PNS1_23onesweep_lookback_stateEbbT6_jjT7_P12ihipStream_tbENKUlT_T0_SG_SL_E_clIS7_S7_SB_PlEEDaSZ_S10_SG_SL_EUlSZ_E_NS1_11comp_targetILNS1_3genE3ELNS1_11target_archE908ELNS1_3gpuE7ELNS1_3repE0EEENS1_47radix_sort_onesweep_sort_config_static_selectorELNS0_4arch9wavefront6targetE1EEEvSG_,@function
_ZN7rocprim17ROCPRIM_400000_NS6detail17trampoline_kernelINS0_14default_configENS1_35radix_sort_onesweep_config_selectorIalEEZZNS1_29radix_sort_onesweep_iterationIS3_Lb0EPaS7_N6thrust23THRUST_200600_302600_NS10device_ptrIlEESB_jNS0_19identity_decomposerENS1_16block_id_wrapperIjLb1EEEEE10hipError_tT1_PNSt15iterator_traitsISG_E10value_typeET2_T3_PNSH_ISM_E10value_typeET4_T5_PSR_SS_PNS1_23onesweep_lookback_stateEbbT6_jjT7_P12ihipStream_tbENKUlT_T0_SG_SL_E_clIS7_S7_SB_PlEEDaSZ_S10_SG_SL_EUlSZ_E_NS1_11comp_targetILNS1_3genE3ELNS1_11target_archE908ELNS1_3gpuE7ELNS1_3repE0EEENS1_47radix_sort_onesweep_sort_config_static_selectorELNS0_4arch9wavefront6targetE1EEEvSG_: ; @_ZN7rocprim17ROCPRIM_400000_NS6detail17trampoline_kernelINS0_14default_configENS1_35radix_sort_onesweep_config_selectorIalEEZZNS1_29radix_sort_onesweep_iterationIS3_Lb0EPaS7_N6thrust23THRUST_200600_302600_NS10device_ptrIlEESB_jNS0_19identity_decomposerENS1_16block_id_wrapperIjLb1EEEEE10hipError_tT1_PNSt15iterator_traitsISG_E10value_typeET2_T3_PNSH_ISM_E10value_typeET4_T5_PSR_SS_PNS1_23onesweep_lookback_stateEbbT6_jjT7_P12ihipStream_tbENKUlT_T0_SG_SL_E_clIS7_S7_SB_PlEEDaSZ_S10_SG_SL_EUlSZ_E_NS1_11comp_targetILNS1_3genE3ELNS1_11target_archE908ELNS1_3gpuE7ELNS1_3repE0EEENS1_47radix_sort_onesweep_sort_config_static_selectorELNS0_4arch9wavefront6targetE1EEEvSG_
; %bb.0:
	.section	.rodata,"a",@progbits
	.p2align	6, 0x0
	.amdhsa_kernel _ZN7rocprim17ROCPRIM_400000_NS6detail17trampoline_kernelINS0_14default_configENS1_35radix_sort_onesweep_config_selectorIalEEZZNS1_29radix_sort_onesweep_iterationIS3_Lb0EPaS7_N6thrust23THRUST_200600_302600_NS10device_ptrIlEESB_jNS0_19identity_decomposerENS1_16block_id_wrapperIjLb1EEEEE10hipError_tT1_PNSt15iterator_traitsISG_E10value_typeET2_T3_PNSH_ISM_E10value_typeET4_T5_PSR_SS_PNS1_23onesweep_lookback_stateEbbT6_jjT7_P12ihipStream_tbENKUlT_T0_SG_SL_E_clIS7_S7_SB_PlEEDaSZ_S10_SG_SL_EUlSZ_E_NS1_11comp_targetILNS1_3genE3ELNS1_11target_archE908ELNS1_3gpuE7ELNS1_3repE0EEENS1_47radix_sort_onesweep_sort_config_static_selectorELNS0_4arch9wavefront6targetE1EEEvSG_
		.amdhsa_group_segment_fixed_size 0
		.amdhsa_private_segment_fixed_size 0
		.amdhsa_kernarg_size 88
		.amdhsa_user_sgpr_count 6
		.amdhsa_user_sgpr_private_segment_buffer 1
		.amdhsa_user_sgpr_dispatch_ptr 0
		.amdhsa_user_sgpr_queue_ptr 0
		.amdhsa_user_sgpr_kernarg_segment_ptr 1
		.amdhsa_user_sgpr_dispatch_id 0
		.amdhsa_user_sgpr_flat_scratch_init 0
		.amdhsa_user_sgpr_private_segment_size 0
		.amdhsa_uses_dynamic_stack 0
		.amdhsa_system_sgpr_private_segment_wavefront_offset 0
		.amdhsa_system_sgpr_workgroup_id_x 1
		.amdhsa_system_sgpr_workgroup_id_y 0
		.amdhsa_system_sgpr_workgroup_id_z 0
		.amdhsa_system_sgpr_workgroup_info 0
		.amdhsa_system_vgpr_workitem_id 0
		.amdhsa_next_free_vgpr 1
		.amdhsa_next_free_sgpr 0
		.amdhsa_reserve_vcc 0
		.amdhsa_reserve_flat_scratch 0
		.amdhsa_float_round_mode_32 0
		.amdhsa_float_round_mode_16_64 0
		.amdhsa_float_denorm_mode_32 3
		.amdhsa_float_denorm_mode_16_64 3
		.amdhsa_dx10_clamp 1
		.amdhsa_ieee_mode 1
		.amdhsa_fp16_overflow 0
		.amdhsa_exception_fp_ieee_invalid_op 0
		.amdhsa_exception_fp_denorm_src 0
		.amdhsa_exception_fp_ieee_div_zero 0
		.amdhsa_exception_fp_ieee_overflow 0
		.amdhsa_exception_fp_ieee_underflow 0
		.amdhsa_exception_fp_ieee_inexact 0
		.amdhsa_exception_int_div_zero 0
	.end_amdhsa_kernel
	.section	.text._ZN7rocprim17ROCPRIM_400000_NS6detail17trampoline_kernelINS0_14default_configENS1_35radix_sort_onesweep_config_selectorIalEEZZNS1_29radix_sort_onesweep_iterationIS3_Lb0EPaS7_N6thrust23THRUST_200600_302600_NS10device_ptrIlEESB_jNS0_19identity_decomposerENS1_16block_id_wrapperIjLb1EEEEE10hipError_tT1_PNSt15iterator_traitsISG_E10value_typeET2_T3_PNSH_ISM_E10value_typeET4_T5_PSR_SS_PNS1_23onesweep_lookback_stateEbbT6_jjT7_P12ihipStream_tbENKUlT_T0_SG_SL_E_clIS7_S7_SB_PlEEDaSZ_S10_SG_SL_EUlSZ_E_NS1_11comp_targetILNS1_3genE3ELNS1_11target_archE908ELNS1_3gpuE7ELNS1_3repE0EEENS1_47radix_sort_onesweep_sort_config_static_selectorELNS0_4arch9wavefront6targetE1EEEvSG_,"axG",@progbits,_ZN7rocprim17ROCPRIM_400000_NS6detail17trampoline_kernelINS0_14default_configENS1_35radix_sort_onesweep_config_selectorIalEEZZNS1_29radix_sort_onesweep_iterationIS3_Lb0EPaS7_N6thrust23THRUST_200600_302600_NS10device_ptrIlEESB_jNS0_19identity_decomposerENS1_16block_id_wrapperIjLb1EEEEE10hipError_tT1_PNSt15iterator_traitsISG_E10value_typeET2_T3_PNSH_ISM_E10value_typeET4_T5_PSR_SS_PNS1_23onesweep_lookback_stateEbbT6_jjT7_P12ihipStream_tbENKUlT_T0_SG_SL_E_clIS7_S7_SB_PlEEDaSZ_S10_SG_SL_EUlSZ_E_NS1_11comp_targetILNS1_3genE3ELNS1_11target_archE908ELNS1_3gpuE7ELNS1_3repE0EEENS1_47radix_sort_onesweep_sort_config_static_selectorELNS0_4arch9wavefront6targetE1EEEvSG_,comdat
.Lfunc_end614:
	.size	_ZN7rocprim17ROCPRIM_400000_NS6detail17trampoline_kernelINS0_14default_configENS1_35radix_sort_onesweep_config_selectorIalEEZZNS1_29radix_sort_onesweep_iterationIS3_Lb0EPaS7_N6thrust23THRUST_200600_302600_NS10device_ptrIlEESB_jNS0_19identity_decomposerENS1_16block_id_wrapperIjLb1EEEEE10hipError_tT1_PNSt15iterator_traitsISG_E10value_typeET2_T3_PNSH_ISM_E10value_typeET4_T5_PSR_SS_PNS1_23onesweep_lookback_stateEbbT6_jjT7_P12ihipStream_tbENKUlT_T0_SG_SL_E_clIS7_S7_SB_PlEEDaSZ_S10_SG_SL_EUlSZ_E_NS1_11comp_targetILNS1_3genE3ELNS1_11target_archE908ELNS1_3gpuE7ELNS1_3repE0EEENS1_47radix_sort_onesweep_sort_config_static_selectorELNS0_4arch9wavefront6targetE1EEEvSG_, .Lfunc_end614-_ZN7rocprim17ROCPRIM_400000_NS6detail17trampoline_kernelINS0_14default_configENS1_35radix_sort_onesweep_config_selectorIalEEZZNS1_29radix_sort_onesweep_iterationIS3_Lb0EPaS7_N6thrust23THRUST_200600_302600_NS10device_ptrIlEESB_jNS0_19identity_decomposerENS1_16block_id_wrapperIjLb1EEEEE10hipError_tT1_PNSt15iterator_traitsISG_E10value_typeET2_T3_PNSH_ISM_E10value_typeET4_T5_PSR_SS_PNS1_23onesweep_lookback_stateEbbT6_jjT7_P12ihipStream_tbENKUlT_T0_SG_SL_E_clIS7_S7_SB_PlEEDaSZ_S10_SG_SL_EUlSZ_E_NS1_11comp_targetILNS1_3genE3ELNS1_11target_archE908ELNS1_3gpuE7ELNS1_3repE0EEENS1_47radix_sort_onesweep_sort_config_static_selectorELNS0_4arch9wavefront6targetE1EEEvSG_
                                        ; -- End function
	.set _ZN7rocprim17ROCPRIM_400000_NS6detail17trampoline_kernelINS0_14default_configENS1_35radix_sort_onesweep_config_selectorIalEEZZNS1_29radix_sort_onesweep_iterationIS3_Lb0EPaS7_N6thrust23THRUST_200600_302600_NS10device_ptrIlEESB_jNS0_19identity_decomposerENS1_16block_id_wrapperIjLb1EEEEE10hipError_tT1_PNSt15iterator_traitsISG_E10value_typeET2_T3_PNSH_ISM_E10value_typeET4_T5_PSR_SS_PNS1_23onesweep_lookback_stateEbbT6_jjT7_P12ihipStream_tbENKUlT_T0_SG_SL_E_clIS7_S7_SB_PlEEDaSZ_S10_SG_SL_EUlSZ_E_NS1_11comp_targetILNS1_3genE3ELNS1_11target_archE908ELNS1_3gpuE7ELNS1_3repE0EEENS1_47radix_sort_onesweep_sort_config_static_selectorELNS0_4arch9wavefront6targetE1EEEvSG_.num_vgpr, 0
	.set _ZN7rocprim17ROCPRIM_400000_NS6detail17trampoline_kernelINS0_14default_configENS1_35radix_sort_onesweep_config_selectorIalEEZZNS1_29radix_sort_onesweep_iterationIS3_Lb0EPaS7_N6thrust23THRUST_200600_302600_NS10device_ptrIlEESB_jNS0_19identity_decomposerENS1_16block_id_wrapperIjLb1EEEEE10hipError_tT1_PNSt15iterator_traitsISG_E10value_typeET2_T3_PNSH_ISM_E10value_typeET4_T5_PSR_SS_PNS1_23onesweep_lookback_stateEbbT6_jjT7_P12ihipStream_tbENKUlT_T0_SG_SL_E_clIS7_S7_SB_PlEEDaSZ_S10_SG_SL_EUlSZ_E_NS1_11comp_targetILNS1_3genE3ELNS1_11target_archE908ELNS1_3gpuE7ELNS1_3repE0EEENS1_47radix_sort_onesweep_sort_config_static_selectorELNS0_4arch9wavefront6targetE1EEEvSG_.num_agpr, 0
	.set _ZN7rocprim17ROCPRIM_400000_NS6detail17trampoline_kernelINS0_14default_configENS1_35radix_sort_onesweep_config_selectorIalEEZZNS1_29radix_sort_onesweep_iterationIS3_Lb0EPaS7_N6thrust23THRUST_200600_302600_NS10device_ptrIlEESB_jNS0_19identity_decomposerENS1_16block_id_wrapperIjLb1EEEEE10hipError_tT1_PNSt15iterator_traitsISG_E10value_typeET2_T3_PNSH_ISM_E10value_typeET4_T5_PSR_SS_PNS1_23onesweep_lookback_stateEbbT6_jjT7_P12ihipStream_tbENKUlT_T0_SG_SL_E_clIS7_S7_SB_PlEEDaSZ_S10_SG_SL_EUlSZ_E_NS1_11comp_targetILNS1_3genE3ELNS1_11target_archE908ELNS1_3gpuE7ELNS1_3repE0EEENS1_47radix_sort_onesweep_sort_config_static_selectorELNS0_4arch9wavefront6targetE1EEEvSG_.numbered_sgpr, 0
	.set _ZN7rocprim17ROCPRIM_400000_NS6detail17trampoline_kernelINS0_14default_configENS1_35radix_sort_onesweep_config_selectorIalEEZZNS1_29radix_sort_onesweep_iterationIS3_Lb0EPaS7_N6thrust23THRUST_200600_302600_NS10device_ptrIlEESB_jNS0_19identity_decomposerENS1_16block_id_wrapperIjLb1EEEEE10hipError_tT1_PNSt15iterator_traitsISG_E10value_typeET2_T3_PNSH_ISM_E10value_typeET4_T5_PSR_SS_PNS1_23onesweep_lookback_stateEbbT6_jjT7_P12ihipStream_tbENKUlT_T0_SG_SL_E_clIS7_S7_SB_PlEEDaSZ_S10_SG_SL_EUlSZ_E_NS1_11comp_targetILNS1_3genE3ELNS1_11target_archE908ELNS1_3gpuE7ELNS1_3repE0EEENS1_47radix_sort_onesweep_sort_config_static_selectorELNS0_4arch9wavefront6targetE1EEEvSG_.num_named_barrier, 0
	.set _ZN7rocprim17ROCPRIM_400000_NS6detail17trampoline_kernelINS0_14default_configENS1_35radix_sort_onesweep_config_selectorIalEEZZNS1_29radix_sort_onesweep_iterationIS3_Lb0EPaS7_N6thrust23THRUST_200600_302600_NS10device_ptrIlEESB_jNS0_19identity_decomposerENS1_16block_id_wrapperIjLb1EEEEE10hipError_tT1_PNSt15iterator_traitsISG_E10value_typeET2_T3_PNSH_ISM_E10value_typeET4_T5_PSR_SS_PNS1_23onesweep_lookback_stateEbbT6_jjT7_P12ihipStream_tbENKUlT_T0_SG_SL_E_clIS7_S7_SB_PlEEDaSZ_S10_SG_SL_EUlSZ_E_NS1_11comp_targetILNS1_3genE3ELNS1_11target_archE908ELNS1_3gpuE7ELNS1_3repE0EEENS1_47radix_sort_onesweep_sort_config_static_selectorELNS0_4arch9wavefront6targetE1EEEvSG_.private_seg_size, 0
	.set _ZN7rocprim17ROCPRIM_400000_NS6detail17trampoline_kernelINS0_14default_configENS1_35radix_sort_onesweep_config_selectorIalEEZZNS1_29radix_sort_onesweep_iterationIS3_Lb0EPaS7_N6thrust23THRUST_200600_302600_NS10device_ptrIlEESB_jNS0_19identity_decomposerENS1_16block_id_wrapperIjLb1EEEEE10hipError_tT1_PNSt15iterator_traitsISG_E10value_typeET2_T3_PNSH_ISM_E10value_typeET4_T5_PSR_SS_PNS1_23onesweep_lookback_stateEbbT6_jjT7_P12ihipStream_tbENKUlT_T0_SG_SL_E_clIS7_S7_SB_PlEEDaSZ_S10_SG_SL_EUlSZ_E_NS1_11comp_targetILNS1_3genE3ELNS1_11target_archE908ELNS1_3gpuE7ELNS1_3repE0EEENS1_47radix_sort_onesweep_sort_config_static_selectorELNS0_4arch9wavefront6targetE1EEEvSG_.uses_vcc, 0
	.set _ZN7rocprim17ROCPRIM_400000_NS6detail17trampoline_kernelINS0_14default_configENS1_35radix_sort_onesweep_config_selectorIalEEZZNS1_29radix_sort_onesweep_iterationIS3_Lb0EPaS7_N6thrust23THRUST_200600_302600_NS10device_ptrIlEESB_jNS0_19identity_decomposerENS1_16block_id_wrapperIjLb1EEEEE10hipError_tT1_PNSt15iterator_traitsISG_E10value_typeET2_T3_PNSH_ISM_E10value_typeET4_T5_PSR_SS_PNS1_23onesweep_lookback_stateEbbT6_jjT7_P12ihipStream_tbENKUlT_T0_SG_SL_E_clIS7_S7_SB_PlEEDaSZ_S10_SG_SL_EUlSZ_E_NS1_11comp_targetILNS1_3genE3ELNS1_11target_archE908ELNS1_3gpuE7ELNS1_3repE0EEENS1_47radix_sort_onesweep_sort_config_static_selectorELNS0_4arch9wavefront6targetE1EEEvSG_.uses_flat_scratch, 0
	.set _ZN7rocprim17ROCPRIM_400000_NS6detail17trampoline_kernelINS0_14default_configENS1_35radix_sort_onesweep_config_selectorIalEEZZNS1_29radix_sort_onesweep_iterationIS3_Lb0EPaS7_N6thrust23THRUST_200600_302600_NS10device_ptrIlEESB_jNS0_19identity_decomposerENS1_16block_id_wrapperIjLb1EEEEE10hipError_tT1_PNSt15iterator_traitsISG_E10value_typeET2_T3_PNSH_ISM_E10value_typeET4_T5_PSR_SS_PNS1_23onesweep_lookback_stateEbbT6_jjT7_P12ihipStream_tbENKUlT_T0_SG_SL_E_clIS7_S7_SB_PlEEDaSZ_S10_SG_SL_EUlSZ_E_NS1_11comp_targetILNS1_3genE3ELNS1_11target_archE908ELNS1_3gpuE7ELNS1_3repE0EEENS1_47radix_sort_onesweep_sort_config_static_selectorELNS0_4arch9wavefront6targetE1EEEvSG_.has_dyn_sized_stack, 0
	.set _ZN7rocprim17ROCPRIM_400000_NS6detail17trampoline_kernelINS0_14default_configENS1_35radix_sort_onesweep_config_selectorIalEEZZNS1_29radix_sort_onesweep_iterationIS3_Lb0EPaS7_N6thrust23THRUST_200600_302600_NS10device_ptrIlEESB_jNS0_19identity_decomposerENS1_16block_id_wrapperIjLb1EEEEE10hipError_tT1_PNSt15iterator_traitsISG_E10value_typeET2_T3_PNSH_ISM_E10value_typeET4_T5_PSR_SS_PNS1_23onesweep_lookback_stateEbbT6_jjT7_P12ihipStream_tbENKUlT_T0_SG_SL_E_clIS7_S7_SB_PlEEDaSZ_S10_SG_SL_EUlSZ_E_NS1_11comp_targetILNS1_3genE3ELNS1_11target_archE908ELNS1_3gpuE7ELNS1_3repE0EEENS1_47radix_sort_onesweep_sort_config_static_selectorELNS0_4arch9wavefront6targetE1EEEvSG_.has_recursion, 0
	.set _ZN7rocprim17ROCPRIM_400000_NS6detail17trampoline_kernelINS0_14default_configENS1_35radix_sort_onesweep_config_selectorIalEEZZNS1_29radix_sort_onesweep_iterationIS3_Lb0EPaS7_N6thrust23THRUST_200600_302600_NS10device_ptrIlEESB_jNS0_19identity_decomposerENS1_16block_id_wrapperIjLb1EEEEE10hipError_tT1_PNSt15iterator_traitsISG_E10value_typeET2_T3_PNSH_ISM_E10value_typeET4_T5_PSR_SS_PNS1_23onesweep_lookback_stateEbbT6_jjT7_P12ihipStream_tbENKUlT_T0_SG_SL_E_clIS7_S7_SB_PlEEDaSZ_S10_SG_SL_EUlSZ_E_NS1_11comp_targetILNS1_3genE3ELNS1_11target_archE908ELNS1_3gpuE7ELNS1_3repE0EEENS1_47radix_sort_onesweep_sort_config_static_selectorELNS0_4arch9wavefront6targetE1EEEvSG_.has_indirect_call, 0
	.section	.AMDGPU.csdata,"",@progbits
; Kernel info:
; codeLenInByte = 0
; TotalNumSgprs: 4
; NumVgprs: 0
; ScratchSize: 0
; MemoryBound: 0
; FloatMode: 240
; IeeeMode: 1
; LDSByteSize: 0 bytes/workgroup (compile time only)
; SGPRBlocks: 0
; VGPRBlocks: 0
; NumSGPRsForWavesPerEU: 4
; NumVGPRsForWavesPerEU: 1
; Occupancy: 10
; WaveLimiterHint : 0
; COMPUTE_PGM_RSRC2:SCRATCH_EN: 0
; COMPUTE_PGM_RSRC2:USER_SGPR: 6
; COMPUTE_PGM_RSRC2:TRAP_HANDLER: 0
; COMPUTE_PGM_RSRC2:TGID_X_EN: 1
; COMPUTE_PGM_RSRC2:TGID_Y_EN: 0
; COMPUTE_PGM_RSRC2:TGID_Z_EN: 0
; COMPUTE_PGM_RSRC2:TIDIG_COMP_CNT: 0
	.section	.text._ZN7rocprim17ROCPRIM_400000_NS6detail17trampoline_kernelINS0_14default_configENS1_35radix_sort_onesweep_config_selectorIalEEZZNS1_29radix_sort_onesweep_iterationIS3_Lb0EPaS7_N6thrust23THRUST_200600_302600_NS10device_ptrIlEESB_jNS0_19identity_decomposerENS1_16block_id_wrapperIjLb1EEEEE10hipError_tT1_PNSt15iterator_traitsISG_E10value_typeET2_T3_PNSH_ISM_E10value_typeET4_T5_PSR_SS_PNS1_23onesweep_lookback_stateEbbT6_jjT7_P12ihipStream_tbENKUlT_T0_SG_SL_E_clIS7_S7_SB_PlEEDaSZ_S10_SG_SL_EUlSZ_E_NS1_11comp_targetILNS1_3genE10ELNS1_11target_archE1201ELNS1_3gpuE5ELNS1_3repE0EEENS1_47radix_sort_onesweep_sort_config_static_selectorELNS0_4arch9wavefront6targetE1EEEvSG_,"axG",@progbits,_ZN7rocprim17ROCPRIM_400000_NS6detail17trampoline_kernelINS0_14default_configENS1_35radix_sort_onesweep_config_selectorIalEEZZNS1_29radix_sort_onesweep_iterationIS3_Lb0EPaS7_N6thrust23THRUST_200600_302600_NS10device_ptrIlEESB_jNS0_19identity_decomposerENS1_16block_id_wrapperIjLb1EEEEE10hipError_tT1_PNSt15iterator_traitsISG_E10value_typeET2_T3_PNSH_ISM_E10value_typeET4_T5_PSR_SS_PNS1_23onesweep_lookback_stateEbbT6_jjT7_P12ihipStream_tbENKUlT_T0_SG_SL_E_clIS7_S7_SB_PlEEDaSZ_S10_SG_SL_EUlSZ_E_NS1_11comp_targetILNS1_3genE10ELNS1_11target_archE1201ELNS1_3gpuE5ELNS1_3repE0EEENS1_47radix_sort_onesweep_sort_config_static_selectorELNS0_4arch9wavefront6targetE1EEEvSG_,comdat
	.protected	_ZN7rocprim17ROCPRIM_400000_NS6detail17trampoline_kernelINS0_14default_configENS1_35radix_sort_onesweep_config_selectorIalEEZZNS1_29radix_sort_onesweep_iterationIS3_Lb0EPaS7_N6thrust23THRUST_200600_302600_NS10device_ptrIlEESB_jNS0_19identity_decomposerENS1_16block_id_wrapperIjLb1EEEEE10hipError_tT1_PNSt15iterator_traitsISG_E10value_typeET2_T3_PNSH_ISM_E10value_typeET4_T5_PSR_SS_PNS1_23onesweep_lookback_stateEbbT6_jjT7_P12ihipStream_tbENKUlT_T0_SG_SL_E_clIS7_S7_SB_PlEEDaSZ_S10_SG_SL_EUlSZ_E_NS1_11comp_targetILNS1_3genE10ELNS1_11target_archE1201ELNS1_3gpuE5ELNS1_3repE0EEENS1_47radix_sort_onesweep_sort_config_static_selectorELNS0_4arch9wavefront6targetE1EEEvSG_ ; -- Begin function _ZN7rocprim17ROCPRIM_400000_NS6detail17trampoline_kernelINS0_14default_configENS1_35radix_sort_onesweep_config_selectorIalEEZZNS1_29radix_sort_onesweep_iterationIS3_Lb0EPaS7_N6thrust23THRUST_200600_302600_NS10device_ptrIlEESB_jNS0_19identity_decomposerENS1_16block_id_wrapperIjLb1EEEEE10hipError_tT1_PNSt15iterator_traitsISG_E10value_typeET2_T3_PNSH_ISM_E10value_typeET4_T5_PSR_SS_PNS1_23onesweep_lookback_stateEbbT6_jjT7_P12ihipStream_tbENKUlT_T0_SG_SL_E_clIS7_S7_SB_PlEEDaSZ_S10_SG_SL_EUlSZ_E_NS1_11comp_targetILNS1_3genE10ELNS1_11target_archE1201ELNS1_3gpuE5ELNS1_3repE0EEENS1_47radix_sort_onesweep_sort_config_static_selectorELNS0_4arch9wavefront6targetE1EEEvSG_
	.globl	_ZN7rocprim17ROCPRIM_400000_NS6detail17trampoline_kernelINS0_14default_configENS1_35radix_sort_onesweep_config_selectorIalEEZZNS1_29radix_sort_onesweep_iterationIS3_Lb0EPaS7_N6thrust23THRUST_200600_302600_NS10device_ptrIlEESB_jNS0_19identity_decomposerENS1_16block_id_wrapperIjLb1EEEEE10hipError_tT1_PNSt15iterator_traitsISG_E10value_typeET2_T3_PNSH_ISM_E10value_typeET4_T5_PSR_SS_PNS1_23onesweep_lookback_stateEbbT6_jjT7_P12ihipStream_tbENKUlT_T0_SG_SL_E_clIS7_S7_SB_PlEEDaSZ_S10_SG_SL_EUlSZ_E_NS1_11comp_targetILNS1_3genE10ELNS1_11target_archE1201ELNS1_3gpuE5ELNS1_3repE0EEENS1_47radix_sort_onesweep_sort_config_static_selectorELNS0_4arch9wavefront6targetE1EEEvSG_
	.p2align	8
	.type	_ZN7rocprim17ROCPRIM_400000_NS6detail17trampoline_kernelINS0_14default_configENS1_35radix_sort_onesweep_config_selectorIalEEZZNS1_29radix_sort_onesweep_iterationIS3_Lb0EPaS7_N6thrust23THRUST_200600_302600_NS10device_ptrIlEESB_jNS0_19identity_decomposerENS1_16block_id_wrapperIjLb1EEEEE10hipError_tT1_PNSt15iterator_traitsISG_E10value_typeET2_T3_PNSH_ISM_E10value_typeET4_T5_PSR_SS_PNS1_23onesweep_lookback_stateEbbT6_jjT7_P12ihipStream_tbENKUlT_T0_SG_SL_E_clIS7_S7_SB_PlEEDaSZ_S10_SG_SL_EUlSZ_E_NS1_11comp_targetILNS1_3genE10ELNS1_11target_archE1201ELNS1_3gpuE5ELNS1_3repE0EEENS1_47radix_sort_onesweep_sort_config_static_selectorELNS0_4arch9wavefront6targetE1EEEvSG_,@function
_ZN7rocprim17ROCPRIM_400000_NS6detail17trampoline_kernelINS0_14default_configENS1_35radix_sort_onesweep_config_selectorIalEEZZNS1_29radix_sort_onesweep_iterationIS3_Lb0EPaS7_N6thrust23THRUST_200600_302600_NS10device_ptrIlEESB_jNS0_19identity_decomposerENS1_16block_id_wrapperIjLb1EEEEE10hipError_tT1_PNSt15iterator_traitsISG_E10value_typeET2_T3_PNSH_ISM_E10value_typeET4_T5_PSR_SS_PNS1_23onesweep_lookback_stateEbbT6_jjT7_P12ihipStream_tbENKUlT_T0_SG_SL_E_clIS7_S7_SB_PlEEDaSZ_S10_SG_SL_EUlSZ_E_NS1_11comp_targetILNS1_3genE10ELNS1_11target_archE1201ELNS1_3gpuE5ELNS1_3repE0EEENS1_47radix_sort_onesweep_sort_config_static_selectorELNS0_4arch9wavefront6targetE1EEEvSG_: ; @_ZN7rocprim17ROCPRIM_400000_NS6detail17trampoline_kernelINS0_14default_configENS1_35radix_sort_onesweep_config_selectorIalEEZZNS1_29radix_sort_onesweep_iterationIS3_Lb0EPaS7_N6thrust23THRUST_200600_302600_NS10device_ptrIlEESB_jNS0_19identity_decomposerENS1_16block_id_wrapperIjLb1EEEEE10hipError_tT1_PNSt15iterator_traitsISG_E10value_typeET2_T3_PNSH_ISM_E10value_typeET4_T5_PSR_SS_PNS1_23onesweep_lookback_stateEbbT6_jjT7_P12ihipStream_tbENKUlT_T0_SG_SL_E_clIS7_S7_SB_PlEEDaSZ_S10_SG_SL_EUlSZ_E_NS1_11comp_targetILNS1_3genE10ELNS1_11target_archE1201ELNS1_3gpuE5ELNS1_3repE0EEENS1_47radix_sort_onesweep_sort_config_static_selectorELNS0_4arch9wavefront6targetE1EEEvSG_
; %bb.0:
	.section	.rodata,"a",@progbits
	.p2align	6, 0x0
	.amdhsa_kernel _ZN7rocprim17ROCPRIM_400000_NS6detail17trampoline_kernelINS0_14default_configENS1_35radix_sort_onesweep_config_selectorIalEEZZNS1_29radix_sort_onesweep_iterationIS3_Lb0EPaS7_N6thrust23THRUST_200600_302600_NS10device_ptrIlEESB_jNS0_19identity_decomposerENS1_16block_id_wrapperIjLb1EEEEE10hipError_tT1_PNSt15iterator_traitsISG_E10value_typeET2_T3_PNSH_ISM_E10value_typeET4_T5_PSR_SS_PNS1_23onesweep_lookback_stateEbbT6_jjT7_P12ihipStream_tbENKUlT_T0_SG_SL_E_clIS7_S7_SB_PlEEDaSZ_S10_SG_SL_EUlSZ_E_NS1_11comp_targetILNS1_3genE10ELNS1_11target_archE1201ELNS1_3gpuE5ELNS1_3repE0EEENS1_47radix_sort_onesweep_sort_config_static_selectorELNS0_4arch9wavefront6targetE1EEEvSG_
		.amdhsa_group_segment_fixed_size 0
		.amdhsa_private_segment_fixed_size 0
		.amdhsa_kernarg_size 88
		.amdhsa_user_sgpr_count 6
		.amdhsa_user_sgpr_private_segment_buffer 1
		.amdhsa_user_sgpr_dispatch_ptr 0
		.amdhsa_user_sgpr_queue_ptr 0
		.amdhsa_user_sgpr_kernarg_segment_ptr 1
		.amdhsa_user_sgpr_dispatch_id 0
		.amdhsa_user_sgpr_flat_scratch_init 0
		.amdhsa_user_sgpr_private_segment_size 0
		.amdhsa_uses_dynamic_stack 0
		.amdhsa_system_sgpr_private_segment_wavefront_offset 0
		.amdhsa_system_sgpr_workgroup_id_x 1
		.amdhsa_system_sgpr_workgroup_id_y 0
		.amdhsa_system_sgpr_workgroup_id_z 0
		.amdhsa_system_sgpr_workgroup_info 0
		.amdhsa_system_vgpr_workitem_id 0
		.amdhsa_next_free_vgpr 1
		.amdhsa_next_free_sgpr 0
		.amdhsa_reserve_vcc 0
		.amdhsa_reserve_flat_scratch 0
		.amdhsa_float_round_mode_32 0
		.amdhsa_float_round_mode_16_64 0
		.amdhsa_float_denorm_mode_32 3
		.amdhsa_float_denorm_mode_16_64 3
		.amdhsa_dx10_clamp 1
		.amdhsa_ieee_mode 1
		.amdhsa_fp16_overflow 0
		.amdhsa_exception_fp_ieee_invalid_op 0
		.amdhsa_exception_fp_denorm_src 0
		.amdhsa_exception_fp_ieee_div_zero 0
		.amdhsa_exception_fp_ieee_overflow 0
		.amdhsa_exception_fp_ieee_underflow 0
		.amdhsa_exception_fp_ieee_inexact 0
		.amdhsa_exception_int_div_zero 0
	.end_amdhsa_kernel
	.section	.text._ZN7rocprim17ROCPRIM_400000_NS6detail17trampoline_kernelINS0_14default_configENS1_35radix_sort_onesweep_config_selectorIalEEZZNS1_29radix_sort_onesweep_iterationIS3_Lb0EPaS7_N6thrust23THRUST_200600_302600_NS10device_ptrIlEESB_jNS0_19identity_decomposerENS1_16block_id_wrapperIjLb1EEEEE10hipError_tT1_PNSt15iterator_traitsISG_E10value_typeET2_T3_PNSH_ISM_E10value_typeET4_T5_PSR_SS_PNS1_23onesweep_lookback_stateEbbT6_jjT7_P12ihipStream_tbENKUlT_T0_SG_SL_E_clIS7_S7_SB_PlEEDaSZ_S10_SG_SL_EUlSZ_E_NS1_11comp_targetILNS1_3genE10ELNS1_11target_archE1201ELNS1_3gpuE5ELNS1_3repE0EEENS1_47radix_sort_onesweep_sort_config_static_selectorELNS0_4arch9wavefront6targetE1EEEvSG_,"axG",@progbits,_ZN7rocprim17ROCPRIM_400000_NS6detail17trampoline_kernelINS0_14default_configENS1_35radix_sort_onesweep_config_selectorIalEEZZNS1_29radix_sort_onesweep_iterationIS3_Lb0EPaS7_N6thrust23THRUST_200600_302600_NS10device_ptrIlEESB_jNS0_19identity_decomposerENS1_16block_id_wrapperIjLb1EEEEE10hipError_tT1_PNSt15iterator_traitsISG_E10value_typeET2_T3_PNSH_ISM_E10value_typeET4_T5_PSR_SS_PNS1_23onesweep_lookback_stateEbbT6_jjT7_P12ihipStream_tbENKUlT_T0_SG_SL_E_clIS7_S7_SB_PlEEDaSZ_S10_SG_SL_EUlSZ_E_NS1_11comp_targetILNS1_3genE10ELNS1_11target_archE1201ELNS1_3gpuE5ELNS1_3repE0EEENS1_47radix_sort_onesweep_sort_config_static_selectorELNS0_4arch9wavefront6targetE1EEEvSG_,comdat
.Lfunc_end615:
	.size	_ZN7rocprim17ROCPRIM_400000_NS6detail17trampoline_kernelINS0_14default_configENS1_35radix_sort_onesweep_config_selectorIalEEZZNS1_29radix_sort_onesweep_iterationIS3_Lb0EPaS7_N6thrust23THRUST_200600_302600_NS10device_ptrIlEESB_jNS0_19identity_decomposerENS1_16block_id_wrapperIjLb1EEEEE10hipError_tT1_PNSt15iterator_traitsISG_E10value_typeET2_T3_PNSH_ISM_E10value_typeET4_T5_PSR_SS_PNS1_23onesweep_lookback_stateEbbT6_jjT7_P12ihipStream_tbENKUlT_T0_SG_SL_E_clIS7_S7_SB_PlEEDaSZ_S10_SG_SL_EUlSZ_E_NS1_11comp_targetILNS1_3genE10ELNS1_11target_archE1201ELNS1_3gpuE5ELNS1_3repE0EEENS1_47radix_sort_onesweep_sort_config_static_selectorELNS0_4arch9wavefront6targetE1EEEvSG_, .Lfunc_end615-_ZN7rocprim17ROCPRIM_400000_NS6detail17trampoline_kernelINS0_14default_configENS1_35radix_sort_onesweep_config_selectorIalEEZZNS1_29radix_sort_onesweep_iterationIS3_Lb0EPaS7_N6thrust23THRUST_200600_302600_NS10device_ptrIlEESB_jNS0_19identity_decomposerENS1_16block_id_wrapperIjLb1EEEEE10hipError_tT1_PNSt15iterator_traitsISG_E10value_typeET2_T3_PNSH_ISM_E10value_typeET4_T5_PSR_SS_PNS1_23onesweep_lookback_stateEbbT6_jjT7_P12ihipStream_tbENKUlT_T0_SG_SL_E_clIS7_S7_SB_PlEEDaSZ_S10_SG_SL_EUlSZ_E_NS1_11comp_targetILNS1_3genE10ELNS1_11target_archE1201ELNS1_3gpuE5ELNS1_3repE0EEENS1_47radix_sort_onesweep_sort_config_static_selectorELNS0_4arch9wavefront6targetE1EEEvSG_
                                        ; -- End function
	.set _ZN7rocprim17ROCPRIM_400000_NS6detail17trampoline_kernelINS0_14default_configENS1_35radix_sort_onesweep_config_selectorIalEEZZNS1_29radix_sort_onesweep_iterationIS3_Lb0EPaS7_N6thrust23THRUST_200600_302600_NS10device_ptrIlEESB_jNS0_19identity_decomposerENS1_16block_id_wrapperIjLb1EEEEE10hipError_tT1_PNSt15iterator_traitsISG_E10value_typeET2_T3_PNSH_ISM_E10value_typeET4_T5_PSR_SS_PNS1_23onesweep_lookback_stateEbbT6_jjT7_P12ihipStream_tbENKUlT_T0_SG_SL_E_clIS7_S7_SB_PlEEDaSZ_S10_SG_SL_EUlSZ_E_NS1_11comp_targetILNS1_3genE10ELNS1_11target_archE1201ELNS1_3gpuE5ELNS1_3repE0EEENS1_47radix_sort_onesweep_sort_config_static_selectorELNS0_4arch9wavefront6targetE1EEEvSG_.num_vgpr, 0
	.set _ZN7rocprim17ROCPRIM_400000_NS6detail17trampoline_kernelINS0_14default_configENS1_35radix_sort_onesweep_config_selectorIalEEZZNS1_29radix_sort_onesweep_iterationIS3_Lb0EPaS7_N6thrust23THRUST_200600_302600_NS10device_ptrIlEESB_jNS0_19identity_decomposerENS1_16block_id_wrapperIjLb1EEEEE10hipError_tT1_PNSt15iterator_traitsISG_E10value_typeET2_T3_PNSH_ISM_E10value_typeET4_T5_PSR_SS_PNS1_23onesweep_lookback_stateEbbT6_jjT7_P12ihipStream_tbENKUlT_T0_SG_SL_E_clIS7_S7_SB_PlEEDaSZ_S10_SG_SL_EUlSZ_E_NS1_11comp_targetILNS1_3genE10ELNS1_11target_archE1201ELNS1_3gpuE5ELNS1_3repE0EEENS1_47radix_sort_onesweep_sort_config_static_selectorELNS0_4arch9wavefront6targetE1EEEvSG_.num_agpr, 0
	.set _ZN7rocprim17ROCPRIM_400000_NS6detail17trampoline_kernelINS0_14default_configENS1_35radix_sort_onesweep_config_selectorIalEEZZNS1_29radix_sort_onesweep_iterationIS3_Lb0EPaS7_N6thrust23THRUST_200600_302600_NS10device_ptrIlEESB_jNS0_19identity_decomposerENS1_16block_id_wrapperIjLb1EEEEE10hipError_tT1_PNSt15iterator_traitsISG_E10value_typeET2_T3_PNSH_ISM_E10value_typeET4_T5_PSR_SS_PNS1_23onesweep_lookback_stateEbbT6_jjT7_P12ihipStream_tbENKUlT_T0_SG_SL_E_clIS7_S7_SB_PlEEDaSZ_S10_SG_SL_EUlSZ_E_NS1_11comp_targetILNS1_3genE10ELNS1_11target_archE1201ELNS1_3gpuE5ELNS1_3repE0EEENS1_47radix_sort_onesweep_sort_config_static_selectorELNS0_4arch9wavefront6targetE1EEEvSG_.numbered_sgpr, 0
	.set _ZN7rocprim17ROCPRIM_400000_NS6detail17trampoline_kernelINS0_14default_configENS1_35radix_sort_onesweep_config_selectorIalEEZZNS1_29radix_sort_onesweep_iterationIS3_Lb0EPaS7_N6thrust23THRUST_200600_302600_NS10device_ptrIlEESB_jNS0_19identity_decomposerENS1_16block_id_wrapperIjLb1EEEEE10hipError_tT1_PNSt15iterator_traitsISG_E10value_typeET2_T3_PNSH_ISM_E10value_typeET4_T5_PSR_SS_PNS1_23onesweep_lookback_stateEbbT6_jjT7_P12ihipStream_tbENKUlT_T0_SG_SL_E_clIS7_S7_SB_PlEEDaSZ_S10_SG_SL_EUlSZ_E_NS1_11comp_targetILNS1_3genE10ELNS1_11target_archE1201ELNS1_3gpuE5ELNS1_3repE0EEENS1_47radix_sort_onesweep_sort_config_static_selectorELNS0_4arch9wavefront6targetE1EEEvSG_.num_named_barrier, 0
	.set _ZN7rocprim17ROCPRIM_400000_NS6detail17trampoline_kernelINS0_14default_configENS1_35radix_sort_onesweep_config_selectorIalEEZZNS1_29radix_sort_onesweep_iterationIS3_Lb0EPaS7_N6thrust23THRUST_200600_302600_NS10device_ptrIlEESB_jNS0_19identity_decomposerENS1_16block_id_wrapperIjLb1EEEEE10hipError_tT1_PNSt15iterator_traitsISG_E10value_typeET2_T3_PNSH_ISM_E10value_typeET4_T5_PSR_SS_PNS1_23onesweep_lookback_stateEbbT6_jjT7_P12ihipStream_tbENKUlT_T0_SG_SL_E_clIS7_S7_SB_PlEEDaSZ_S10_SG_SL_EUlSZ_E_NS1_11comp_targetILNS1_3genE10ELNS1_11target_archE1201ELNS1_3gpuE5ELNS1_3repE0EEENS1_47radix_sort_onesweep_sort_config_static_selectorELNS0_4arch9wavefront6targetE1EEEvSG_.private_seg_size, 0
	.set _ZN7rocprim17ROCPRIM_400000_NS6detail17trampoline_kernelINS0_14default_configENS1_35radix_sort_onesweep_config_selectorIalEEZZNS1_29radix_sort_onesweep_iterationIS3_Lb0EPaS7_N6thrust23THRUST_200600_302600_NS10device_ptrIlEESB_jNS0_19identity_decomposerENS1_16block_id_wrapperIjLb1EEEEE10hipError_tT1_PNSt15iterator_traitsISG_E10value_typeET2_T3_PNSH_ISM_E10value_typeET4_T5_PSR_SS_PNS1_23onesweep_lookback_stateEbbT6_jjT7_P12ihipStream_tbENKUlT_T0_SG_SL_E_clIS7_S7_SB_PlEEDaSZ_S10_SG_SL_EUlSZ_E_NS1_11comp_targetILNS1_3genE10ELNS1_11target_archE1201ELNS1_3gpuE5ELNS1_3repE0EEENS1_47radix_sort_onesweep_sort_config_static_selectorELNS0_4arch9wavefront6targetE1EEEvSG_.uses_vcc, 0
	.set _ZN7rocprim17ROCPRIM_400000_NS6detail17trampoline_kernelINS0_14default_configENS1_35radix_sort_onesweep_config_selectorIalEEZZNS1_29radix_sort_onesweep_iterationIS3_Lb0EPaS7_N6thrust23THRUST_200600_302600_NS10device_ptrIlEESB_jNS0_19identity_decomposerENS1_16block_id_wrapperIjLb1EEEEE10hipError_tT1_PNSt15iterator_traitsISG_E10value_typeET2_T3_PNSH_ISM_E10value_typeET4_T5_PSR_SS_PNS1_23onesweep_lookback_stateEbbT6_jjT7_P12ihipStream_tbENKUlT_T0_SG_SL_E_clIS7_S7_SB_PlEEDaSZ_S10_SG_SL_EUlSZ_E_NS1_11comp_targetILNS1_3genE10ELNS1_11target_archE1201ELNS1_3gpuE5ELNS1_3repE0EEENS1_47radix_sort_onesweep_sort_config_static_selectorELNS0_4arch9wavefront6targetE1EEEvSG_.uses_flat_scratch, 0
	.set _ZN7rocprim17ROCPRIM_400000_NS6detail17trampoline_kernelINS0_14default_configENS1_35radix_sort_onesweep_config_selectorIalEEZZNS1_29radix_sort_onesweep_iterationIS3_Lb0EPaS7_N6thrust23THRUST_200600_302600_NS10device_ptrIlEESB_jNS0_19identity_decomposerENS1_16block_id_wrapperIjLb1EEEEE10hipError_tT1_PNSt15iterator_traitsISG_E10value_typeET2_T3_PNSH_ISM_E10value_typeET4_T5_PSR_SS_PNS1_23onesweep_lookback_stateEbbT6_jjT7_P12ihipStream_tbENKUlT_T0_SG_SL_E_clIS7_S7_SB_PlEEDaSZ_S10_SG_SL_EUlSZ_E_NS1_11comp_targetILNS1_3genE10ELNS1_11target_archE1201ELNS1_3gpuE5ELNS1_3repE0EEENS1_47radix_sort_onesweep_sort_config_static_selectorELNS0_4arch9wavefront6targetE1EEEvSG_.has_dyn_sized_stack, 0
	.set _ZN7rocprim17ROCPRIM_400000_NS6detail17trampoline_kernelINS0_14default_configENS1_35radix_sort_onesweep_config_selectorIalEEZZNS1_29radix_sort_onesweep_iterationIS3_Lb0EPaS7_N6thrust23THRUST_200600_302600_NS10device_ptrIlEESB_jNS0_19identity_decomposerENS1_16block_id_wrapperIjLb1EEEEE10hipError_tT1_PNSt15iterator_traitsISG_E10value_typeET2_T3_PNSH_ISM_E10value_typeET4_T5_PSR_SS_PNS1_23onesweep_lookback_stateEbbT6_jjT7_P12ihipStream_tbENKUlT_T0_SG_SL_E_clIS7_S7_SB_PlEEDaSZ_S10_SG_SL_EUlSZ_E_NS1_11comp_targetILNS1_3genE10ELNS1_11target_archE1201ELNS1_3gpuE5ELNS1_3repE0EEENS1_47radix_sort_onesweep_sort_config_static_selectorELNS0_4arch9wavefront6targetE1EEEvSG_.has_recursion, 0
	.set _ZN7rocprim17ROCPRIM_400000_NS6detail17trampoline_kernelINS0_14default_configENS1_35radix_sort_onesweep_config_selectorIalEEZZNS1_29radix_sort_onesweep_iterationIS3_Lb0EPaS7_N6thrust23THRUST_200600_302600_NS10device_ptrIlEESB_jNS0_19identity_decomposerENS1_16block_id_wrapperIjLb1EEEEE10hipError_tT1_PNSt15iterator_traitsISG_E10value_typeET2_T3_PNSH_ISM_E10value_typeET4_T5_PSR_SS_PNS1_23onesweep_lookback_stateEbbT6_jjT7_P12ihipStream_tbENKUlT_T0_SG_SL_E_clIS7_S7_SB_PlEEDaSZ_S10_SG_SL_EUlSZ_E_NS1_11comp_targetILNS1_3genE10ELNS1_11target_archE1201ELNS1_3gpuE5ELNS1_3repE0EEENS1_47radix_sort_onesweep_sort_config_static_selectorELNS0_4arch9wavefront6targetE1EEEvSG_.has_indirect_call, 0
	.section	.AMDGPU.csdata,"",@progbits
; Kernel info:
; codeLenInByte = 0
; TotalNumSgprs: 4
; NumVgprs: 0
; ScratchSize: 0
; MemoryBound: 0
; FloatMode: 240
; IeeeMode: 1
; LDSByteSize: 0 bytes/workgroup (compile time only)
; SGPRBlocks: 0
; VGPRBlocks: 0
; NumSGPRsForWavesPerEU: 4
; NumVGPRsForWavesPerEU: 1
; Occupancy: 10
; WaveLimiterHint : 0
; COMPUTE_PGM_RSRC2:SCRATCH_EN: 0
; COMPUTE_PGM_RSRC2:USER_SGPR: 6
; COMPUTE_PGM_RSRC2:TRAP_HANDLER: 0
; COMPUTE_PGM_RSRC2:TGID_X_EN: 1
; COMPUTE_PGM_RSRC2:TGID_Y_EN: 0
; COMPUTE_PGM_RSRC2:TGID_Z_EN: 0
; COMPUTE_PGM_RSRC2:TIDIG_COMP_CNT: 0
	.section	.text._ZN7rocprim17ROCPRIM_400000_NS6detail17trampoline_kernelINS0_14default_configENS1_35radix_sort_onesweep_config_selectorIalEEZZNS1_29radix_sort_onesweep_iterationIS3_Lb0EPaS7_N6thrust23THRUST_200600_302600_NS10device_ptrIlEESB_jNS0_19identity_decomposerENS1_16block_id_wrapperIjLb1EEEEE10hipError_tT1_PNSt15iterator_traitsISG_E10value_typeET2_T3_PNSH_ISM_E10value_typeET4_T5_PSR_SS_PNS1_23onesweep_lookback_stateEbbT6_jjT7_P12ihipStream_tbENKUlT_T0_SG_SL_E_clIS7_S7_SB_PlEEDaSZ_S10_SG_SL_EUlSZ_E_NS1_11comp_targetILNS1_3genE9ELNS1_11target_archE1100ELNS1_3gpuE3ELNS1_3repE0EEENS1_47radix_sort_onesweep_sort_config_static_selectorELNS0_4arch9wavefront6targetE1EEEvSG_,"axG",@progbits,_ZN7rocprim17ROCPRIM_400000_NS6detail17trampoline_kernelINS0_14default_configENS1_35radix_sort_onesweep_config_selectorIalEEZZNS1_29radix_sort_onesweep_iterationIS3_Lb0EPaS7_N6thrust23THRUST_200600_302600_NS10device_ptrIlEESB_jNS0_19identity_decomposerENS1_16block_id_wrapperIjLb1EEEEE10hipError_tT1_PNSt15iterator_traitsISG_E10value_typeET2_T3_PNSH_ISM_E10value_typeET4_T5_PSR_SS_PNS1_23onesweep_lookback_stateEbbT6_jjT7_P12ihipStream_tbENKUlT_T0_SG_SL_E_clIS7_S7_SB_PlEEDaSZ_S10_SG_SL_EUlSZ_E_NS1_11comp_targetILNS1_3genE9ELNS1_11target_archE1100ELNS1_3gpuE3ELNS1_3repE0EEENS1_47radix_sort_onesweep_sort_config_static_selectorELNS0_4arch9wavefront6targetE1EEEvSG_,comdat
	.protected	_ZN7rocprim17ROCPRIM_400000_NS6detail17trampoline_kernelINS0_14default_configENS1_35radix_sort_onesweep_config_selectorIalEEZZNS1_29radix_sort_onesweep_iterationIS3_Lb0EPaS7_N6thrust23THRUST_200600_302600_NS10device_ptrIlEESB_jNS0_19identity_decomposerENS1_16block_id_wrapperIjLb1EEEEE10hipError_tT1_PNSt15iterator_traitsISG_E10value_typeET2_T3_PNSH_ISM_E10value_typeET4_T5_PSR_SS_PNS1_23onesweep_lookback_stateEbbT6_jjT7_P12ihipStream_tbENKUlT_T0_SG_SL_E_clIS7_S7_SB_PlEEDaSZ_S10_SG_SL_EUlSZ_E_NS1_11comp_targetILNS1_3genE9ELNS1_11target_archE1100ELNS1_3gpuE3ELNS1_3repE0EEENS1_47radix_sort_onesweep_sort_config_static_selectorELNS0_4arch9wavefront6targetE1EEEvSG_ ; -- Begin function _ZN7rocprim17ROCPRIM_400000_NS6detail17trampoline_kernelINS0_14default_configENS1_35radix_sort_onesweep_config_selectorIalEEZZNS1_29radix_sort_onesweep_iterationIS3_Lb0EPaS7_N6thrust23THRUST_200600_302600_NS10device_ptrIlEESB_jNS0_19identity_decomposerENS1_16block_id_wrapperIjLb1EEEEE10hipError_tT1_PNSt15iterator_traitsISG_E10value_typeET2_T3_PNSH_ISM_E10value_typeET4_T5_PSR_SS_PNS1_23onesweep_lookback_stateEbbT6_jjT7_P12ihipStream_tbENKUlT_T0_SG_SL_E_clIS7_S7_SB_PlEEDaSZ_S10_SG_SL_EUlSZ_E_NS1_11comp_targetILNS1_3genE9ELNS1_11target_archE1100ELNS1_3gpuE3ELNS1_3repE0EEENS1_47radix_sort_onesweep_sort_config_static_selectorELNS0_4arch9wavefront6targetE1EEEvSG_
	.globl	_ZN7rocprim17ROCPRIM_400000_NS6detail17trampoline_kernelINS0_14default_configENS1_35radix_sort_onesweep_config_selectorIalEEZZNS1_29radix_sort_onesweep_iterationIS3_Lb0EPaS7_N6thrust23THRUST_200600_302600_NS10device_ptrIlEESB_jNS0_19identity_decomposerENS1_16block_id_wrapperIjLb1EEEEE10hipError_tT1_PNSt15iterator_traitsISG_E10value_typeET2_T3_PNSH_ISM_E10value_typeET4_T5_PSR_SS_PNS1_23onesweep_lookback_stateEbbT6_jjT7_P12ihipStream_tbENKUlT_T0_SG_SL_E_clIS7_S7_SB_PlEEDaSZ_S10_SG_SL_EUlSZ_E_NS1_11comp_targetILNS1_3genE9ELNS1_11target_archE1100ELNS1_3gpuE3ELNS1_3repE0EEENS1_47radix_sort_onesweep_sort_config_static_selectorELNS0_4arch9wavefront6targetE1EEEvSG_
	.p2align	8
	.type	_ZN7rocprim17ROCPRIM_400000_NS6detail17trampoline_kernelINS0_14default_configENS1_35radix_sort_onesweep_config_selectorIalEEZZNS1_29radix_sort_onesweep_iterationIS3_Lb0EPaS7_N6thrust23THRUST_200600_302600_NS10device_ptrIlEESB_jNS0_19identity_decomposerENS1_16block_id_wrapperIjLb1EEEEE10hipError_tT1_PNSt15iterator_traitsISG_E10value_typeET2_T3_PNSH_ISM_E10value_typeET4_T5_PSR_SS_PNS1_23onesweep_lookback_stateEbbT6_jjT7_P12ihipStream_tbENKUlT_T0_SG_SL_E_clIS7_S7_SB_PlEEDaSZ_S10_SG_SL_EUlSZ_E_NS1_11comp_targetILNS1_3genE9ELNS1_11target_archE1100ELNS1_3gpuE3ELNS1_3repE0EEENS1_47radix_sort_onesweep_sort_config_static_selectorELNS0_4arch9wavefront6targetE1EEEvSG_,@function
_ZN7rocprim17ROCPRIM_400000_NS6detail17trampoline_kernelINS0_14default_configENS1_35radix_sort_onesweep_config_selectorIalEEZZNS1_29radix_sort_onesweep_iterationIS3_Lb0EPaS7_N6thrust23THRUST_200600_302600_NS10device_ptrIlEESB_jNS0_19identity_decomposerENS1_16block_id_wrapperIjLb1EEEEE10hipError_tT1_PNSt15iterator_traitsISG_E10value_typeET2_T3_PNSH_ISM_E10value_typeET4_T5_PSR_SS_PNS1_23onesweep_lookback_stateEbbT6_jjT7_P12ihipStream_tbENKUlT_T0_SG_SL_E_clIS7_S7_SB_PlEEDaSZ_S10_SG_SL_EUlSZ_E_NS1_11comp_targetILNS1_3genE9ELNS1_11target_archE1100ELNS1_3gpuE3ELNS1_3repE0EEENS1_47radix_sort_onesweep_sort_config_static_selectorELNS0_4arch9wavefront6targetE1EEEvSG_: ; @_ZN7rocprim17ROCPRIM_400000_NS6detail17trampoline_kernelINS0_14default_configENS1_35radix_sort_onesweep_config_selectorIalEEZZNS1_29radix_sort_onesweep_iterationIS3_Lb0EPaS7_N6thrust23THRUST_200600_302600_NS10device_ptrIlEESB_jNS0_19identity_decomposerENS1_16block_id_wrapperIjLb1EEEEE10hipError_tT1_PNSt15iterator_traitsISG_E10value_typeET2_T3_PNSH_ISM_E10value_typeET4_T5_PSR_SS_PNS1_23onesweep_lookback_stateEbbT6_jjT7_P12ihipStream_tbENKUlT_T0_SG_SL_E_clIS7_S7_SB_PlEEDaSZ_S10_SG_SL_EUlSZ_E_NS1_11comp_targetILNS1_3genE9ELNS1_11target_archE1100ELNS1_3gpuE3ELNS1_3repE0EEENS1_47radix_sort_onesweep_sort_config_static_selectorELNS0_4arch9wavefront6targetE1EEEvSG_
; %bb.0:
	.section	.rodata,"a",@progbits
	.p2align	6, 0x0
	.amdhsa_kernel _ZN7rocprim17ROCPRIM_400000_NS6detail17trampoline_kernelINS0_14default_configENS1_35radix_sort_onesweep_config_selectorIalEEZZNS1_29radix_sort_onesweep_iterationIS3_Lb0EPaS7_N6thrust23THRUST_200600_302600_NS10device_ptrIlEESB_jNS0_19identity_decomposerENS1_16block_id_wrapperIjLb1EEEEE10hipError_tT1_PNSt15iterator_traitsISG_E10value_typeET2_T3_PNSH_ISM_E10value_typeET4_T5_PSR_SS_PNS1_23onesweep_lookback_stateEbbT6_jjT7_P12ihipStream_tbENKUlT_T0_SG_SL_E_clIS7_S7_SB_PlEEDaSZ_S10_SG_SL_EUlSZ_E_NS1_11comp_targetILNS1_3genE9ELNS1_11target_archE1100ELNS1_3gpuE3ELNS1_3repE0EEENS1_47radix_sort_onesweep_sort_config_static_selectorELNS0_4arch9wavefront6targetE1EEEvSG_
		.amdhsa_group_segment_fixed_size 0
		.amdhsa_private_segment_fixed_size 0
		.amdhsa_kernarg_size 88
		.amdhsa_user_sgpr_count 6
		.amdhsa_user_sgpr_private_segment_buffer 1
		.amdhsa_user_sgpr_dispatch_ptr 0
		.amdhsa_user_sgpr_queue_ptr 0
		.amdhsa_user_sgpr_kernarg_segment_ptr 1
		.amdhsa_user_sgpr_dispatch_id 0
		.amdhsa_user_sgpr_flat_scratch_init 0
		.amdhsa_user_sgpr_private_segment_size 0
		.amdhsa_uses_dynamic_stack 0
		.amdhsa_system_sgpr_private_segment_wavefront_offset 0
		.amdhsa_system_sgpr_workgroup_id_x 1
		.amdhsa_system_sgpr_workgroup_id_y 0
		.amdhsa_system_sgpr_workgroup_id_z 0
		.amdhsa_system_sgpr_workgroup_info 0
		.amdhsa_system_vgpr_workitem_id 0
		.amdhsa_next_free_vgpr 1
		.amdhsa_next_free_sgpr 0
		.amdhsa_reserve_vcc 0
		.amdhsa_reserve_flat_scratch 0
		.amdhsa_float_round_mode_32 0
		.amdhsa_float_round_mode_16_64 0
		.amdhsa_float_denorm_mode_32 3
		.amdhsa_float_denorm_mode_16_64 3
		.amdhsa_dx10_clamp 1
		.amdhsa_ieee_mode 1
		.amdhsa_fp16_overflow 0
		.amdhsa_exception_fp_ieee_invalid_op 0
		.amdhsa_exception_fp_denorm_src 0
		.amdhsa_exception_fp_ieee_div_zero 0
		.amdhsa_exception_fp_ieee_overflow 0
		.amdhsa_exception_fp_ieee_underflow 0
		.amdhsa_exception_fp_ieee_inexact 0
		.amdhsa_exception_int_div_zero 0
	.end_amdhsa_kernel
	.section	.text._ZN7rocprim17ROCPRIM_400000_NS6detail17trampoline_kernelINS0_14default_configENS1_35radix_sort_onesweep_config_selectorIalEEZZNS1_29radix_sort_onesweep_iterationIS3_Lb0EPaS7_N6thrust23THRUST_200600_302600_NS10device_ptrIlEESB_jNS0_19identity_decomposerENS1_16block_id_wrapperIjLb1EEEEE10hipError_tT1_PNSt15iterator_traitsISG_E10value_typeET2_T3_PNSH_ISM_E10value_typeET4_T5_PSR_SS_PNS1_23onesweep_lookback_stateEbbT6_jjT7_P12ihipStream_tbENKUlT_T0_SG_SL_E_clIS7_S7_SB_PlEEDaSZ_S10_SG_SL_EUlSZ_E_NS1_11comp_targetILNS1_3genE9ELNS1_11target_archE1100ELNS1_3gpuE3ELNS1_3repE0EEENS1_47radix_sort_onesweep_sort_config_static_selectorELNS0_4arch9wavefront6targetE1EEEvSG_,"axG",@progbits,_ZN7rocprim17ROCPRIM_400000_NS6detail17trampoline_kernelINS0_14default_configENS1_35radix_sort_onesweep_config_selectorIalEEZZNS1_29radix_sort_onesweep_iterationIS3_Lb0EPaS7_N6thrust23THRUST_200600_302600_NS10device_ptrIlEESB_jNS0_19identity_decomposerENS1_16block_id_wrapperIjLb1EEEEE10hipError_tT1_PNSt15iterator_traitsISG_E10value_typeET2_T3_PNSH_ISM_E10value_typeET4_T5_PSR_SS_PNS1_23onesweep_lookback_stateEbbT6_jjT7_P12ihipStream_tbENKUlT_T0_SG_SL_E_clIS7_S7_SB_PlEEDaSZ_S10_SG_SL_EUlSZ_E_NS1_11comp_targetILNS1_3genE9ELNS1_11target_archE1100ELNS1_3gpuE3ELNS1_3repE0EEENS1_47radix_sort_onesweep_sort_config_static_selectorELNS0_4arch9wavefront6targetE1EEEvSG_,comdat
.Lfunc_end616:
	.size	_ZN7rocprim17ROCPRIM_400000_NS6detail17trampoline_kernelINS0_14default_configENS1_35radix_sort_onesweep_config_selectorIalEEZZNS1_29radix_sort_onesweep_iterationIS3_Lb0EPaS7_N6thrust23THRUST_200600_302600_NS10device_ptrIlEESB_jNS0_19identity_decomposerENS1_16block_id_wrapperIjLb1EEEEE10hipError_tT1_PNSt15iterator_traitsISG_E10value_typeET2_T3_PNSH_ISM_E10value_typeET4_T5_PSR_SS_PNS1_23onesweep_lookback_stateEbbT6_jjT7_P12ihipStream_tbENKUlT_T0_SG_SL_E_clIS7_S7_SB_PlEEDaSZ_S10_SG_SL_EUlSZ_E_NS1_11comp_targetILNS1_3genE9ELNS1_11target_archE1100ELNS1_3gpuE3ELNS1_3repE0EEENS1_47radix_sort_onesweep_sort_config_static_selectorELNS0_4arch9wavefront6targetE1EEEvSG_, .Lfunc_end616-_ZN7rocprim17ROCPRIM_400000_NS6detail17trampoline_kernelINS0_14default_configENS1_35radix_sort_onesweep_config_selectorIalEEZZNS1_29radix_sort_onesweep_iterationIS3_Lb0EPaS7_N6thrust23THRUST_200600_302600_NS10device_ptrIlEESB_jNS0_19identity_decomposerENS1_16block_id_wrapperIjLb1EEEEE10hipError_tT1_PNSt15iterator_traitsISG_E10value_typeET2_T3_PNSH_ISM_E10value_typeET4_T5_PSR_SS_PNS1_23onesweep_lookback_stateEbbT6_jjT7_P12ihipStream_tbENKUlT_T0_SG_SL_E_clIS7_S7_SB_PlEEDaSZ_S10_SG_SL_EUlSZ_E_NS1_11comp_targetILNS1_3genE9ELNS1_11target_archE1100ELNS1_3gpuE3ELNS1_3repE0EEENS1_47radix_sort_onesweep_sort_config_static_selectorELNS0_4arch9wavefront6targetE1EEEvSG_
                                        ; -- End function
	.set _ZN7rocprim17ROCPRIM_400000_NS6detail17trampoline_kernelINS0_14default_configENS1_35radix_sort_onesweep_config_selectorIalEEZZNS1_29radix_sort_onesweep_iterationIS3_Lb0EPaS7_N6thrust23THRUST_200600_302600_NS10device_ptrIlEESB_jNS0_19identity_decomposerENS1_16block_id_wrapperIjLb1EEEEE10hipError_tT1_PNSt15iterator_traitsISG_E10value_typeET2_T3_PNSH_ISM_E10value_typeET4_T5_PSR_SS_PNS1_23onesweep_lookback_stateEbbT6_jjT7_P12ihipStream_tbENKUlT_T0_SG_SL_E_clIS7_S7_SB_PlEEDaSZ_S10_SG_SL_EUlSZ_E_NS1_11comp_targetILNS1_3genE9ELNS1_11target_archE1100ELNS1_3gpuE3ELNS1_3repE0EEENS1_47radix_sort_onesweep_sort_config_static_selectorELNS0_4arch9wavefront6targetE1EEEvSG_.num_vgpr, 0
	.set _ZN7rocprim17ROCPRIM_400000_NS6detail17trampoline_kernelINS0_14default_configENS1_35radix_sort_onesweep_config_selectorIalEEZZNS1_29radix_sort_onesweep_iterationIS3_Lb0EPaS7_N6thrust23THRUST_200600_302600_NS10device_ptrIlEESB_jNS0_19identity_decomposerENS1_16block_id_wrapperIjLb1EEEEE10hipError_tT1_PNSt15iterator_traitsISG_E10value_typeET2_T3_PNSH_ISM_E10value_typeET4_T5_PSR_SS_PNS1_23onesweep_lookback_stateEbbT6_jjT7_P12ihipStream_tbENKUlT_T0_SG_SL_E_clIS7_S7_SB_PlEEDaSZ_S10_SG_SL_EUlSZ_E_NS1_11comp_targetILNS1_3genE9ELNS1_11target_archE1100ELNS1_3gpuE3ELNS1_3repE0EEENS1_47radix_sort_onesweep_sort_config_static_selectorELNS0_4arch9wavefront6targetE1EEEvSG_.num_agpr, 0
	.set _ZN7rocprim17ROCPRIM_400000_NS6detail17trampoline_kernelINS0_14default_configENS1_35radix_sort_onesweep_config_selectorIalEEZZNS1_29radix_sort_onesweep_iterationIS3_Lb0EPaS7_N6thrust23THRUST_200600_302600_NS10device_ptrIlEESB_jNS0_19identity_decomposerENS1_16block_id_wrapperIjLb1EEEEE10hipError_tT1_PNSt15iterator_traitsISG_E10value_typeET2_T3_PNSH_ISM_E10value_typeET4_T5_PSR_SS_PNS1_23onesweep_lookback_stateEbbT6_jjT7_P12ihipStream_tbENKUlT_T0_SG_SL_E_clIS7_S7_SB_PlEEDaSZ_S10_SG_SL_EUlSZ_E_NS1_11comp_targetILNS1_3genE9ELNS1_11target_archE1100ELNS1_3gpuE3ELNS1_3repE0EEENS1_47radix_sort_onesweep_sort_config_static_selectorELNS0_4arch9wavefront6targetE1EEEvSG_.numbered_sgpr, 0
	.set _ZN7rocprim17ROCPRIM_400000_NS6detail17trampoline_kernelINS0_14default_configENS1_35radix_sort_onesweep_config_selectorIalEEZZNS1_29radix_sort_onesweep_iterationIS3_Lb0EPaS7_N6thrust23THRUST_200600_302600_NS10device_ptrIlEESB_jNS0_19identity_decomposerENS1_16block_id_wrapperIjLb1EEEEE10hipError_tT1_PNSt15iterator_traitsISG_E10value_typeET2_T3_PNSH_ISM_E10value_typeET4_T5_PSR_SS_PNS1_23onesweep_lookback_stateEbbT6_jjT7_P12ihipStream_tbENKUlT_T0_SG_SL_E_clIS7_S7_SB_PlEEDaSZ_S10_SG_SL_EUlSZ_E_NS1_11comp_targetILNS1_3genE9ELNS1_11target_archE1100ELNS1_3gpuE3ELNS1_3repE0EEENS1_47radix_sort_onesweep_sort_config_static_selectorELNS0_4arch9wavefront6targetE1EEEvSG_.num_named_barrier, 0
	.set _ZN7rocprim17ROCPRIM_400000_NS6detail17trampoline_kernelINS0_14default_configENS1_35radix_sort_onesweep_config_selectorIalEEZZNS1_29radix_sort_onesweep_iterationIS3_Lb0EPaS7_N6thrust23THRUST_200600_302600_NS10device_ptrIlEESB_jNS0_19identity_decomposerENS1_16block_id_wrapperIjLb1EEEEE10hipError_tT1_PNSt15iterator_traitsISG_E10value_typeET2_T3_PNSH_ISM_E10value_typeET4_T5_PSR_SS_PNS1_23onesweep_lookback_stateEbbT6_jjT7_P12ihipStream_tbENKUlT_T0_SG_SL_E_clIS7_S7_SB_PlEEDaSZ_S10_SG_SL_EUlSZ_E_NS1_11comp_targetILNS1_3genE9ELNS1_11target_archE1100ELNS1_3gpuE3ELNS1_3repE0EEENS1_47radix_sort_onesweep_sort_config_static_selectorELNS0_4arch9wavefront6targetE1EEEvSG_.private_seg_size, 0
	.set _ZN7rocprim17ROCPRIM_400000_NS6detail17trampoline_kernelINS0_14default_configENS1_35radix_sort_onesweep_config_selectorIalEEZZNS1_29radix_sort_onesweep_iterationIS3_Lb0EPaS7_N6thrust23THRUST_200600_302600_NS10device_ptrIlEESB_jNS0_19identity_decomposerENS1_16block_id_wrapperIjLb1EEEEE10hipError_tT1_PNSt15iterator_traitsISG_E10value_typeET2_T3_PNSH_ISM_E10value_typeET4_T5_PSR_SS_PNS1_23onesweep_lookback_stateEbbT6_jjT7_P12ihipStream_tbENKUlT_T0_SG_SL_E_clIS7_S7_SB_PlEEDaSZ_S10_SG_SL_EUlSZ_E_NS1_11comp_targetILNS1_3genE9ELNS1_11target_archE1100ELNS1_3gpuE3ELNS1_3repE0EEENS1_47radix_sort_onesweep_sort_config_static_selectorELNS0_4arch9wavefront6targetE1EEEvSG_.uses_vcc, 0
	.set _ZN7rocprim17ROCPRIM_400000_NS6detail17trampoline_kernelINS0_14default_configENS1_35radix_sort_onesweep_config_selectorIalEEZZNS1_29radix_sort_onesweep_iterationIS3_Lb0EPaS7_N6thrust23THRUST_200600_302600_NS10device_ptrIlEESB_jNS0_19identity_decomposerENS1_16block_id_wrapperIjLb1EEEEE10hipError_tT1_PNSt15iterator_traitsISG_E10value_typeET2_T3_PNSH_ISM_E10value_typeET4_T5_PSR_SS_PNS1_23onesweep_lookback_stateEbbT6_jjT7_P12ihipStream_tbENKUlT_T0_SG_SL_E_clIS7_S7_SB_PlEEDaSZ_S10_SG_SL_EUlSZ_E_NS1_11comp_targetILNS1_3genE9ELNS1_11target_archE1100ELNS1_3gpuE3ELNS1_3repE0EEENS1_47radix_sort_onesweep_sort_config_static_selectorELNS0_4arch9wavefront6targetE1EEEvSG_.uses_flat_scratch, 0
	.set _ZN7rocprim17ROCPRIM_400000_NS6detail17trampoline_kernelINS0_14default_configENS1_35radix_sort_onesweep_config_selectorIalEEZZNS1_29radix_sort_onesweep_iterationIS3_Lb0EPaS7_N6thrust23THRUST_200600_302600_NS10device_ptrIlEESB_jNS0_19identity_decomposerENS1_16block_id_wrapperIjLb1EEEEE10hipError_tT1_PNSt15iterator_traitsISG_E10value_typeET2_T3_PNSH_ISM_E10value_typeET4_T5_PSR_SS_PNS1_23onesweep_lookback_stateEbbT6_jjT7_P12ihipStream_tbENKUlT_T0_SG_SL_E_clIS7_S7_SB_PlEEDaSZ_S10_SG_SL_EUlSZ_E_NS1_11comp_targetILNS1_3genE9ELNS1_11target_archE1100ELNS1_3gpuE3ELNS1_3repE0EEENS1_47radix_sort_onesweep_sort_config_static_selectorELNS0_4arch9wavefront6targetE1EEEvSG_.has_dyn_sized_stack, 0
	.set _ZN7rocprim17ROCPRIM_400000_NS6detail17trampoline_kernelINS0_14default_configENS1_35radix_sort_onesweep_config_selectorIalEEZZNS1_29radix_sort_onesweep_iterationIS3_Lb0EPaS7_N6thrust23THRUST_200600_302600_NS10device_ptrIlEESB_jNS0_19identity_decomposerENS1_16block_id_wrapperIjLb1EEEEE10hipError_tT1_PNSt15iterator_traitsISG_E10value_typeET2_T3_PNSH_ISM_E10value_typeET4_T5_PSR_SS_PNS1_23onesweep_lookback_stateEbbT6_jjT7_P12ihipStream_tbENKUlT_T0_SG_SL_E_clIS7_S7_SB_PlEEDaSZ_S10_SG_SL_EUlSZ_E_NS1_11comp_targetILNS1_3genE9ELNS1_11target_archE1100ELNS1_3gpuE3ELNS1_3repE0EEENS1_47radix_sort_onesweep_sort_config_static_selectorELNS0_4arch9wavefront6targetE1EEEvSG_.has_recursion, 0
	.set _ZN7rocprim17ROCPRIM_400000_NS6detail17trampoline_kernelINS0_14default_configENS1_35radix_sort_onesweep_config_selectorIalEEZZNS1_29radix_sort_onesweep_iterationIS3_Lb0EPaS7_N6thrust23THRUST_200600_302600_NS10device_ptrIlEESB_jNS0_19identity_decomposerENS1_16block_id_wrapperIjLb1EEEEE10hipError_tT1_PNSt15iterator_traitsISG_E10value_typeET2_T3_PNSH_ISM_E10value_typeET4_T5_PSR_SS_PNS1_23onesweep_lookback_stateEbbT6_jjT7_P12ihipStream_tbENKUlT_T0_SG_SL_E_clIS7_S7_SB_PlEEDaSZ_S10_SG_SL_EUlSZ_E_NS1_11comp_targetILNS1_3genE9ELNS1_11target_archE1100ELNS1_3gpuE3ELNS1_3repE0EEENS1_47radix_sort_onesweep_sort_config_static_selectorELNS0_4arch9wavefront6targetE1EEEvSG_.has_indirect_call, 0
	.section	.AMDGPU.csdata,"",@progbits
; Kernel info:
; codeLenInByte = 0
; TotalNumSgprs: 4
; NumVgprs: 0
; ScratchSize: 0
; MemoryBound: 0
; FloatMode: 240
; IeeeMode: 1
; LDSByteSize: 0 bytes/workgroup (compile time only)
; SGPRBlocks: 0
; VGPRBlocks: 0
; NumSGPRsForWavesPerEU: 4
; NumVGPRsForWavesPerEU: 1
; Occupancy: 10
; WaveLimiterHint : 0
; COMPUTE_PGM_RSRC2:SCRATCH_EN: 0
; COMPUTE_PGM_RSRC2:USER_SGPR: 6
; COMPUTE_PGM_RSRC2:TRAP_HANDLER: 0
; COMPUTE_PGM_RSRC2:TGID_X_EN: 1
; COMPUTE_PGM_RSRC2:TGID_Y_EN: 0
; COMPUTE_PGM_RSRC2:TGID_Z_EN: 0
; COMPUTE_PGM_RSRC2:TIDIG_COMP_CNT: 0
	.section	.text._ZN7rocprim17ROCPRIM_400000_NS6detail17trampoline_kernelINS0_14default_configENS1_35radix_sort_onesweep_config_selectorIalEEZZNS1_29radix_sort_onesweep_iterationIS3_Lb0EPaS7_N6thrust23THRUST_200600_302600_NS10device_ptrIlEESB_jNS0_19identity_decomposerENS1_16block_id_wrapperIjLb1EEEEE10hipError_tT1_PNSt15iterator_traitsISG_E10value_typeET2_T3_PNSH_ISM_E10value_typeET4_T5_PSR_SS_PNS1_23onesweep_lookback_stateEbbT6_jjT7_P12ihipStream_tbENKUlT_T0_SG_SL_E_clIS7_S7_SB_PlEEDaSZ_S10_SG_SL_EUlSZ_E_NS1_11comp_targetILNS1_3genE8ELNS1_11target_archE1030ELNS1_3gpuE2ELNS1_3repE0EEENS1_47radix_sort_onesweep_sort_config_static_selectorELNS0_4arch9wavefront6targetE1EEEvSG_,"axG",@progbits,_ZN7rocprim17ROCPRIM_400000_NS6detail17trampoline_kernelINS0_14default_configENS1_35radix_sort_onesweep_config_selectorIalEEZZNS1_29radix_sort_onesweep_iterationIS3_Lb0EPaS7_N6thrust23THRUST_200600_302600_NS10device_ptrIlEESB_jNS0_19identity_decomposerENS1_16block_id_wrapperIjLb1EEEEE10hipError_tT1_PNSt15iterator_traitsISG_E10value_typeET2_T3_PNSH_ISM_E10value_typeET4_T5_PSR_SS_PNS1_23onesweep_lookback_stateEbbT6_jjT7_P12ihipStream_tbENKUlT_T0_SG_SL_E_clIS7_S7_SB_PlEEDaSZ_S10_SG_SL_EUlSZ_E_NS1_11comp_targetILNS1_3genE8ELNS1_11target_archE1030ELNS1_3gpuE2ELNS1_3repE0EEENS1_47radix_sort_onesweep_sort_config_static_selectorELNS0_4arch9wavefront6targetE1EEEvSG_,comdat
	.protected	_ZN7rocprim17ROCPRIM_400000_NS6detail17trampoline_kernelINS0_14default_configENS1_35radix_sort_onesweep_config_selectorIalEEZZNS1_29radix_sort_onesweep_iterationIS3_Lb0EPaS7_N6thrust23THRUST_200600_302600_NS10device_ptrIlEESB_jNS0_19identity_decomposerENS1_16block_id_wrapperIjLb1EEEEE10hipError_tT1_PNSt15iterator_traitsISG_E10value_typeET2_T3_PNSH_ISM_E10value_typeET4_T5_PSR_SS_PNS1_23onesweep_lookback_stateEbbT6_jjT7_P12ihipStream_tbENKUlT_T0_SG_SL_E_clIS7_S7_SB_PlEEDaSZ_S10_SG_SL_EUlSZ_E_NS1_11comp_targetILNS1_3genE8ELNS1_11target_archE1030ELNS1_3gpuE2ELNS1_3repE0EEENS1_47radix_sort_onesweep_sort_config_static_selectorELNS0_4arch9wavefront6targetE1EEEvSG_ ; -- Begin function _ZN7rocprim17ROCPRIM_400000_NS6detail17trampoline_kernelINS0_14default_configENS1_35radix_sort_onesweep_config_selectorIalEEZZNS1_29radix_sort_onesweep_iterationIS3_Lb0EPaS7_N6thrust23THRUST_200600_302600_NS10device_ptrIlEESB_jNS0_19identity_decomposerENS1_16block_id_wrapperIjLb1EEEEE10hipError_tT1_PNSt15iterator_traitsISG_E10value_typeET2_T3_PNSH_ISM_E10value_typeET4_T5_PSR_SS_PNS1_23onesweep_lookback_stateEbbT6_jjT7_P12ihipStream_tbENKUlT_T0_SG_SL_E_clIS7_S7_SB_PlEEDaSZ_S10_SG_SL_EUlSZ_E_NS1_11comp_targetILNS1_3genE8ELNS1_11target_archE1030ELNS1_3gpuE2ELNS1_3repE0EEENS1_47radix_sort_onesweep_sort_config_static_selectorELNS0_4arch9wavefront6targetE1EEEvSG_
	.globl	_ZN7rocprim17ROCPRIM_400000_NS6detail17trampoline_kernelINS0_14default_configENS1_35radix_sort_onesweep_config_selectorIalEEZZNS1_29radix_sort_onesweep_iterationIS3_Lb0EPaS7_N6thrust23THRUST_200600_302600_NS10device_ptrIlEESB_jNS0_19identity_decomposerENS1_16block_id_wrapperIjLb1EEEEE10hipError_tT1_PNSt15iterator_traitsISG_E10value_typeET2_T3_PNSH_ISM_E10value_typeET4_T5_PSR_SS_PNS1_23onesweep_lookback_stateEbbT6_jjT7_P12ihipStream_tbENKUlT_T0_SG_SL_E_clIS7_S7_SB_PlEEDaSZ_S10_SG_SL_EUlSZ_E_NS1_11comp_targetILNS1_3genE8ELNS1_11target_archE1030ELNS1_3gpuE2ELNS1_3repE0EEENS1_47radix_sort_onesweep_sort_config_static_selectorELNS0_4arch9wavefront6targetE1EEEvSG_
	.p2align	8
	.type	_ZN7rocprim17ROCPRIM_400000_NS6detail17trampoline_kernelINS0_14default_configENS1_35radix_sort_onesweep_config_selectorIalEEZZNS1_29radix_sort_onesweep_iterationIS3_Lb0EPaS7_N6thrust23THRUST_200600_302600_NS10device_ptrIlEESB_jNS0_19identity_decomposerENS1_16block_id_wrapperIjLb1EEEEE10hipError_tT1_PNSt15iterator_traitsISG_E10value_typeET2_T3_PNSH_ISM_E10value_typeET4_T5_PSR_SS_PNS1_23onesweep_lookback_stateEbbT6_jjT7_P12ihipStream_tbENKUlT_T0_SG_SL_E_clIS7_S7_SB_PlEEDaSZ_S10_SG_SL_EUlSZ_E_NS1_11comp_targetILNS1_3genE8ELNS1_11target_archE1030ELNS1_3gpuE2ELNS1_3repE0EEENS1_47radix_sort_onesweep_sort_config_static_selectorELNS0_4arch9wavefront6targetE1EEEvSG_,@function
_ZN7rocprim17ROCPRIM_400000_NS6detail17trampoline_kernelINS0_14default_configENS1_35radix_sort_onesweep_config_selectorIalEEZZNS1_29radix_sort_onesweep_iterationIS3_Lb0EPaS7_N6thrust23THRUST_200600_302600_NS10device_ptrIlEESB_jNS0_19identity_decomposerENS1_16block_id_wrapperIjLb1EEEEE10hipError_tT1_PNSt15iterator_traitsISG_E10value_typeET2_T3_PNSH_ISM_E10value_typeET4_T5_PSR_SS_PNS1_23onesweep_lookback_stateEbbT6_jjT7_P12ihipStream_tbENKUlT_T0_SG_SL_E_clIS7_S7_SB_PlEEDaSZ_S10_SG_SL_EUlSZ_E_NS1_11comp_targetILNS1_3genE8ELNS1_11target_archE1030ELNS1_3gpuE2ELNS1_3repE0EEENS1_47radix_sort_onesweep_sort_config_static_selectorELNS0_4arch9wavefront6targetE1EEEvSG_: ; @_ZN7rocprim17ROCPRIM_400000_NS6detail17trampoline_kernelINS0_14default_configENS1_35radix_sort_onesweep_config_selectorIalEEZZNS1_29radix_sort_onesweep_iterationIS3_Lb0EPaS7_N6thrust23THRUST_200600_302600_NS10device_ptrIlEESB_jNS0_19identity_decomposerENS1_16block_id_wrapperIjLb1EEEEE10hipError_tT1_PNSt15iterator_traitsISG_E10value_typeET2_T3_PNSH_ISM_E10value_typeET4_T5_PSR_SS_PNS1_23onesweep_lookback_stateEbbT6_jjT7_P12ihipStream_tbENKUlT_T0_SG_SL_E_clIS7_S7_SB_PlEEDaSZ_S10_SG_SL_EUlSZ_E_NS1_11comp_targetILNS1_3genE8ELNS1_11target_archE1030ELNS1_3gpuE2ELNS1_3repE0EEENS1_47radix_sort_onesweep_sort_config_static_selectorELNS0_4arch9wavefront6targetE1EEEvSG_
; %bb.0:
	.section	.rodata,"a",@progbits
	.p2align	6, 0x0
	.amdhsa_kernel _ZN7rocprim17ROCPRIM_400000_NS6detail17trampoline_kernelINS0_14default_configENS1_35radix_sort_onesweep_config_selectorIalEEZZNS1_29radix_sort_onesweep_iterationIS3_Lb0EPaS7_N6thrust23THRUST_200600_302600_NS10device_ptrIlEESB_jNS0_19identity_decomposerENS1_16block_id_wrapperIjLb1EEEEE10hipError_tT1_PNSt15iterator_traitsISG_E10value_typeET2_T3_PNSH_ISM_E10value_typeET4_T5_PSR_SS_PNS1_23onesweep_lookback_stateEbbT6_jjT7_P12ihipStream_tbENKUlT_T0_SG_SL_E_clIS7_S7_SB_PlEEDaSZ_S10_SG_SL_EUlSZ_E_NS1_11comp_targetILNS1_3genE8ELNS1_11target_archE1030ELNS1_3gpuE2ELNS1_3repE0EEENS1_47radix_sort_onesweep_sort_config_static_selectorELNS0_4arch9wavefront6targetE1EEEvSG_
		.amdhsa_group_segment_fixed_size 0
		.amdhsa_private_segment_fixed_size 0
		.amdhsa_kernarg_size 88
		.amdhsa_user_sgpr_count 6
		.amdhsa_user_sgpr_private_segment_buffer 1
		.amdhsa_user_sgpr_dispatch_ptr 0
		.amdhsa_user_sgpr_queue_ptr 0
		.amdhsa_user_sgpr_kernarg_segment_ptr 1
		.amdhsa_user_sgpr_dispatch_id 0
		.amdhsa_user_sgpr_flat_scratch_init 0
		.amdhsa_user_sgpr_private_segment_size 0
		.amdhsa_uses_dynamic_stack 0
		.amdhsa_system_sgpr_private_segment_wavefront_offset 0
		.amdhsa_system_sgpr_workgroup_id_x 1
		.amdhsa_system_sgpr_workgroup_id_y 0
		.amdhsa_system_sgpr_workgroup_id_z 0
		.amdhsa_system_sgpr_workgroup_info 0
		.amdhsa_system_vgpr_workitem_id 0
		.amdhsa_next_free_vgpr 1
		.amdhsa_next_free_sgpr 0
		.amdhsa_reserve_vcc 0
		.amdhsa_reserve_flat_scratch 0
		.amdhsa_float_round_mode_32 0
		.amdhsa_float_round_mode_16_64 0
		.amdhsa_float_denorm_mode_32 3
		.amdhsa_float_denorm_mode_16_64 3
		.amdhsa_dx10_clamp 1
		.amdhsa_ieee_mode 1
		.amdhsa_fp16_overflow 0
		.amdhsa_exception_fp_ieee_invalid_op 0
		.amdhsa_exception_fp_denorm_src 0
		.amdhsa_exception_fp_ieee_div_zero 0
		.amdhsa_exception_fp_ieee_overflow 0
		.amdhsa_exception_fp_ieee_underflow 0
		.amdhsa_exception_fp_ieee_inexact 0
		.amdhsa_exception_int_div_zero 0
	.end_amdhsa_kernel
	.section	.text._ZN7rocprim17ROCPRIM_400000_NS6detail17trampoline_kernelINS0_14default_configENS1_35radix_sort_onesweep_config_selectorIalEEZZNS1_29radix_sort_onesweep_iterationIS3_Lb0EPaS7_N6thrust23THRUST_200600_302600_NS10device_ptrIlEESB_jNS0_19identity_decomposerENS1_16block_id_wrapperIjLb1EEEEE10hipError_tT1_PNSt15iterator_traitsISG_E10value_typeET2_T3_PNSH_ISM_E10value_typeET4_T5_PSR_SS_PNS1_23onesweep_lookback_stateEbbT6_jjT7_P12ihipStream_tbENKUlT_T0_SG_SL_E_clIS7_S7_SB_PlEEDaSZ_S10_SG_SL_EUlSZ_E_NS1_11comp_targetILNS1_3genE8ELNS1_11target_archE1030ELNS1_3gpuE2ELNS1_3repE0EEENS1_47radix_sort_onesweep_sort_config_static_selectorELNS0_4arch9wavefront6targetE1EEEvSG_,"axG",@progbits,_ZN7rocprim17ROCPRIM_400000_NS6detail17trampoline_kernelINS0_14default_configENS1_35radix_sort_onesweep_config_selectorIalEEZZNS1_29radix_sort_onesweep_iterationIS3_Lb0EPaS7_N6thrust23THRUST_200600_302600_NS10device_ptrIlEESB_jNS0_19identity_decomposerENS1_16block_id_wrapperIjLb1EEEEE10hipError_tT1_PNSt15iterator_traitsISG_E10value_typeET2_T3_PNSH_ISM_E10value_typeET4_T5_PSR_SS_PNS1_23onesweep_lookback_stateEbbT6_jjT7_P12ihipStream_tbENKUlT_T0_SG_SL_E_clIS7_S7_SB_PlEEDaSZ_S10_SG_SL_EUlSZ_E_NS1_11comp_targetILNS1_3genE8ELNS1_11target_archE1030ELNS1_3gpuE2ELNS1_3repE0EEENS1_47radix_sort_onesweep_sort_config_static_selectorELNS0_4arch9wavefront6targetE1EEEvSG_,comdat
.Lfunc_end617:
	.size	_ZN7rocprim17ROCPRIM_400000_NS6detail17trampoline_kernelINS0_14default_configENS1_35radix_sort_onesweep_config_selectorIalEEZZNS1_29radix_sort_onesweep_iterationIS3_Lb0EPaS7_N6thrust23THRUST_200600_302600_NS10device_ptrIlEESB_jNS0_19identity_decomposerENS1_16block_id_wrapperIjLb1EEEEE10hipError_tT1_PNSt15iterator_traitsISG_E10value_typeET2_T3_PNSH_ISM_E10value_typeET4_T5_PSR_SS_PNS1_23onesweep_lookback_stateEbbT6_jjT7_P12ihipStream_tbENKUlT_T0_SG_SL_E_clIS7_S7_SB_PlEEDaSZ_S10_SG_SL_EUlSZ_E_NS1_11comp_targetILNS1_3genE8ELNS1_11target_archE1030ELNS1_3gpuE2ELNS1_3repE0EEENS1_47radix_sort_onesweep_sort_config_static_selectorELNS0_4arch9wavefront6targetE1EEEvSG_, .Lfunc_end617-_ZN7rocprim17ROCPRIM_400000_NS6detail17trampoline_kernelINS0_14default_configENS1_35radix_sort_onesweep_config_selectorIalEEZZNS1_29radix_sort_onesweep_iterationIS3_Lb0EPaS7_N6thrust23THRUST_200600_302600_NS10device_ptrIlEESB_jNS0_19identity_decomposerENS1_16block_id_wrapperIjLb1EEEEE10hipError_tT1_PNSt15iterator_traitsISG_E10value_typeET2_T3_PNSH_ISM_E10value_typeET4_T5_PSR_SS_PNS1_23onesweep_lookback_stateEbbT6_jjT7_P12ihipStream_tbENKUlT_T0_SG_SL_E_clIS7_S7_SB_PlEEDaSZ_S10_SG_SL_EUlSZ_E_NS1_11comp_targetILNS1_3genE8ELNS1_11target_archE1030ELNS1_3gpuE2ELNS1_3repE0EEENS1_47radix_sort_onesweep_sort_config_static_selectorELNS0_4arch9wavefront6targetE1EEEvSG_
                                        ; -- End function
	.set _ZN7rocprim17ROCPRIM_400000_NS6detail17trampoline_kernelINS0_14default_configENS1_35radix_sort_onesweep_config_selectorIalEEZZNS1_29radix_sort_onesweep_iterationIS3_Lb0EPaS7_N6thrust23THRUST_200600_302600_NS10device_ptrIlEESB_jNS0_19identity_decomposerENS1_16block_id_wrapperIjLb1EEEEE10hipError_tT1_PNSt15iterator_traitsISG_E10value_typeET2_T3_PNSH_ISM_E10value_typeET4_T5_PSR_SS_PNS1_23onesweep_lookback_stateEbbT6_jjT7_P12ihipStream_tbENKUlT_T0_SG_SL_E_clIS7_S7_SB_PlEEDaSZ_S10_SG_SL_EUlSZ_E_NS1_11comp_targetILNS1_3genE8ELNS1_11target_archE1030ELNS1_3gpuE2ELNS1_3repE0EEENS1_47radix_sort_onesweep_sort_config_static_selectorELNS0_4arch9wavefront6targetE1EEEvSG_.num_vgpr, 0
	.set _ZN7rocprim17ROCPRIM_400000_NS6detail17trampoline_kernelINS0_14default_configENS1_35radix_sort_onesweep_config_selectorIalEEZZNS1_29radix_sort_onesweep_iterationIS3_Lb0EPaS7_N6thrust23THRUST_200600_302600_NS10device_ptrIlEESB_jNS0_19identity_decomposerENS1_16block_id_wrapperIjLb1EEEEE10hipError_tT1_PNSt15iterator_traitsISG_E10value_typeET2_T3_PNSH_ISM_E10value_typeET4_T5_PSR_SS_PNS1_23onesweep_lookback_stateEbbT6_jjT7_P12ihipStream_tbENKUlT_T0_SG_SL_E_clIS7_S7_SB_PlEEDaSZ_S10_SG_SL_EUlSZ_E_NS1_11comp_targetILNS1_3genE8ELNS1_11target_archE1030ELNS1_3gpuE2ELNS1_3repE0EEENS1_47radix_sort_onesweep_sort_config_static_selectorELNS0_4arch9wavefront6targetE1EEEvSG_.num_agpr, 0
	.set _ZN7rocprim17ROCPRIM_400000_NS6detail17trampoline_kernelINS0_14default_configENS1_35radix_sort_onesweep_config_selectorIalEEZZNS1_29radix_sort_onesweep_iterationIS3_Lb0EPaS7_N6thrust23THRUST_200600_302600_NS10device_ptrIlEESB_jNS0_19identity_decomposerENS1_16block_id_wrapperIjLb1EEEEE10hipError_tT1_PNSt15iterator_traitsISG_E10value_typeET2_T3_PNSH_ISM_E10value_typeET4_T5_PSR_SS_PNS1_23onesweep_lookback_stateEbbT6_jjT7_P12ihipStream_tbENKUlT_T0_SG_SL_E_clIS7_S7_SB_PlEEDaSZ_S10_SG_SL_EUlSZ_E_NS1_11comp_targetILNS1_3genE8ELNS1_11target_archE1030ELNS1_3gpuE2ELNS1_3repE0EEENS1_47radix_sort_onesweep_sort_config_static_selectorELNS0_4arch9wavefront6targetE1EEEvSG_.numbered_sgpr, 0
	.set _ZN7rocprim17ROCPRIM_400000_NS6detail17trampoline_kernelINS0_14default_configENS1_35radix_sort_onesweep_config_selectorIalEEZZNS1_29radix_sort_onesweep_iterationIS3_Lb0EPaS7_N6thrust23THRUST_200600_302600_NS10device_ptrIlEESB_jNS0_19identity_decomposerENS1_16block_id_wrapperIjLb1EEEEE10hipError_tT1_PNSt15iterator_traitsISG_E10value_typeET2_T3_PNSH_ISM_E10value_typeET4_T5_PSR_SS_PNS1_23onesweep_lookback_stateEbbT6_jjT7_P12ihipStream_tbENKUlT_T0_SG_SL_E_clIS7_S7_SB_PlEEDaSZ_S10_SG_SL_EUlSZ_E_NS1_11comp_targetILNS1_3genE8ELNS1_11target_archE1030ELNS1_3gpuE2ELNS1_3repE0EEENS1_47radix_sort_onesweep_sort_config_static_selectorELNS0_4arch9wavefront6targetE1EEEvSG_.num_named_barrier, 0
	.set _ZN7rocprim17ROCPRIM_400000_NS6detail17trampoline_kernelINS0_14default_configENS1_35radix_sort_onesweep_config_selectorIalEEZZNS1_29radix_sort_onesweep_iterationIS3_Lb0EPaS7_N6thrust23THRUST_200600_302600_NS10device_ptrIlEESB_jNS0_19identity_decomposerENS1_16block_id_wrapperIjLb1EEEEE10hipError_tT1_PNSt15iterator_traitsISG_E10value_typeET2_T3_PNSH_ISM_E10value_typeET4_T5_PSR_SS_PNS1_23onesweep_lookback_stateEbbT6_jjT7_P12ihipStream_tbENKUlT_T0_SG_SL_E_clIS7_S7_SB_PlEEDaSZ_S10_SG_SL_EUlSZ_E_NS1_11comp_targetILNS1_3genE8ELNS1_11target_archE1030ELNS1_3gpuE2ELNS1_3repE0EEENS1_47radix_sort_onesweep_sort_config_static_selectorELNS0_4arch9wavefront6targetE1EEEvSG_.private_seg_size, 0
	.set _ZN7rocprim17ROCPRIM_400000_NS6detail17trampoline_kernelINS0_14default_configENS1_35radix_sort_onesweep_config_selectorIalEEZZNS1_29radix_sort_onesweep_iterationIS3_Lb0EPaS7_N6thrust23THRUST_200600_302600_NS10device_ptrIlEESB_jNS0_19identity_decomposerENS1_16block_id_wrapperIjLb1EEEEE10hipError_tT1_PNSt15iterator_traitsISG_E10value_typeET2_T3_PNSH_ISM_E10value_typeET4_T5_PSR_SS_PNS1_23onesweep_lookback_stateEbbT6_jjT7_P12ihipStream_tbENKUlT_T0_SG_SL_E_clIS7_S7_SB_PlEEDaSZ_S10_SG_SL_EUlSZ_E_NS1_11comp_targetILNS1_3genE8ELNS1_11target_archE1030ELNS1_3gpuE2ELNS1_3repE0EEENS1_47radix_sort_onesweep_sort_config_static_selectorELNS0_4arch9wavefront6targetE1EEEvSG_.uses_vcc, 0
	.set _ZN7rocprim17ROCPRIM_400000_NS6detail17trampoline_kernelINS0_14default_configENS1_35radix_sort_onesweep_config_selectorIalEEZZNS1_29radix_sort_onesweep_iterationIS3_Lb0EPaS7_N6thrust23THRUST_200600_302600_NS10device_ptrIlEESB_jNS0_19identity_decomposerENS1_16block_id_wrapperIjLb1EEEEE10hipError_tT1_PNSt15iterator_traitsISG_E10value_typeET2_T3_PNSH_ISM_E10value_typeET4_T5_PSR_SS_PNS1_23onesweep_lookback_stateEbbT6_jjT7_P12ihipStream_tbENKUlT_T0_SG_SL_E_clIS7_S7_SB_PlEEDaSZ_S10_SG_SL_EUlSZ_E_NS1_11comp_targetILNS1_3genE8ELNS1_11target_archE1030ELNS1_3gpuE2ELNS1_3repE0EEENS1_47radix_sort_onesweep_sort_config_static_selectorELNS0_4arch9wavefront6targetE1EEEvSG_.uses_flat_scratch, 0
	.set _ZN7rocprim17ROCPRIM_400000_NS6detail17trampoline_kernelINS0_14default_configENS1_35radix_sort_onesweep_config_selectorIalEEZZNS1_29radix_sort_onesweep_iterationIS3_Lb0EPaS7_N6thrust23THRUST_200600_302600_NS10device_ptrIlEESB_jNS0_19identity_decomposerENS1_16block_id_wrapperIjLb1EEEEE10hipError_tT1_PNSt15iterator_traitsISG_E10value_typeET2_T3_PNSH_ISM_E10value_typeET4_T5_PSR_SS_PNS1_23onesweep_lookback_stateEbbT6_jjT7_P12ihipStream_tbENKUlT_T0_SG_SL_E_clIS7_S7_SB_PlEEDaSZ_S10_SG_SL_EUlSZ_E_NS1_11comp_targetILNS1_3genE8ELNS1_11target_archE1030ELNS1_3gpuE2ELNS1_3repE0EEENS1_47radix_sort_onesweep_sort_config_static_selectorELNS0_4arch9wavefront6targetE1EEEvSG_.has_dyn_sized_stack, 0
	.set _ZN7rocprim17ROCPRIM_400000_NS6detail17trampoline_kernelINS0_14default_configENS1_35radix_sort_onesweep_config_selectorIalEEZZNS1_29radix_sort_onesweep_iterationIS3_Lb0EPaS7_N6thrust23THRUST_200600_302600_NS10device_ptrIlEESB_jNS0_19identity_decomposerENS1_16block_id_wrapperIjLb1EEEEE10hipError_tT1_PNSt15iterator_traitsISG_E10value_typeET2_T3_PNSH_ISM_E10value_typeET4_T5_PSR_SS_PNS1_23onesweep_lookback_stateEbbT6_jjT7_P12ihipStream_tbENKUlT_T0_SG_SL_E_clIS7_S7_SB_PlEEDaSZ_S10_SG_SL_EUlSZ_E_NS1_11comp_targetILNS1_3genE8ELNS1_11target_archE1030ELNS1_3gpuE2ELNS1_3repE0EEENS1_47radix_sort_onesweep_sort_config_static_selectorELNS0_4arch9wavefront6targetE1EEEvSG_.has_recursion, 0
	.set _ZN7rocprim17ROCPRIM_400000_NS6detail17trampoline_kernelINS0_14default_configENS1_35radix_sort_onesweep_config_selectorIalEEZZNS1_29radix_sort_onesweep_iterationIS3_Lb0EPaS7_N6thrust23THRUST_200600_302600_NS10device_ptrIlEESB_jNS0_19identity_decomposerENS1_16block_id_wrapperIjLb1EEEEE10hipError_tT1_PNSt15iterator_traitsISG_E10value_typeET2_T3_PNSH_ISM_E10value_typeET4_T5_PSR_SS_PNS1_23onesweep_lookback_stateEbbT6_jjT7_P12ihipStream_tbENKUlT_T0_SG_SL_E_clIS7_S7_SB_PlEEDaSZ_S10_SG_SL_EUlSZ_E_NS1_11comp_targetILNS1_3genE8ELNS1_11target_archE1030ELNS1_3gpuE2ELNS1_3repE0EEENS1_47radix_sort_onesweep_sort_config_static_selectorELNS0_4arch9wavefront6targetE1EEEvSG_.has_indirect_call, 0
	.section	.AMDGPU.csdata,"",@progbits
; Kernel info:
; codeLenInByte = 0
; TotalNumSgprs: 4
; NumVgprs: 0
; ScratchSize: 0
; MemoryBound: 0
; FloatMode: 240
; IeeeMode: 1
; LDSByteSize: 0 bytes/workgroup (compile time only)
; SGPRBlocks: 0
; VGPRBlocks: 0
; NumSGPRsForWavesPerEU: 4
; NumVGPRsForWavesPerEU: 1
; Occupancy: 10
; WaveLimiterHint : 0
; COMPUTE_PGM_RSRC2:SCRATCH_EN: 0
; COMPUTE_PGM_RSRC2:USER_SGPR: 6
; COMPUTE_PGM_RSRC2:TRAP_HANDLER: 0
; COMPUTE_PGM_RSRC2:TGID_X_EN: 1
; COMPUTE_PGM_RSRC2:TGID_Y_EN: 0
; COMPUTE_PGM_RSRC2:TGID_Z_EN: 0
; COMPUTE_PGM_RSRC2:TIDIG_COMP_CNT: 0
	.section	.text._ZN7rocprim17ROCPRIM_400000_NS6detail17trampoline_kernelINS0_14default_configENS1_35radix_sort_onesweep_config_selectorIalEEZZNS1_29radix_sort_onesweep_iterationIS3_Lb0EPaS7_N6thrust23THRUST_200600_302600_NS10device_ptrIlEESB_jNS0_19identity_decomposerENS1_16block_id_wrapperIjLb1EEEEE10hipError_tT1_PNSt15iterator_traitsISG_E10value_typeET2_T3_PNSH_ISM_E10value_typeET4_T5_PSR_SS_PNS1_23onesweep_lookback_stateEbbT6_jjT7_P12ihipStream_tbENKUlT_T0_SG_SL_E_clIS7_S7_PlSB_EEDaSZ_S10_SG_SL_EUlSZ_E_NS1_11comp_targetILNS1_3genE0ELNS1_11target_archE4294967295ELNS1_3gpuE0ELNS1_3repE0EEENS1_47radix_sort_onesweep_sort_config_static_selectorELNS0_4arch9wavefront6targetE1EEEvSG_,"axG",@progbits,_ZN7rocprim17ROCPRIM_400000_NS6detail17trampoline_kernelINS0_14default_configENS1_35radix_sort_onesweep_config_selectorIalEEZZNS1_29radix_sort_onesweep_iterationIS3_Lb0EPaS7_N6thrust23THRUST_200600_302600_NS10device_ptrIlEESB_jNS0_19identity_decomposerENS1_16block_id_wrapperIjLb1EEEEE10hipError_tT1_PNSt15iterator_traitsISG_E10value_typeET2_T3_PNSH_ISM_E10value_typeET4_T5_PSR_SS_PNS1_23onesweep_lookback_stateEbbT6_jjT7_P12ihipStream_tbENKUlT_T0_SG_SL_E_clIS7_S7_PlSB_EEDaSZ_S10_SG_SL_EUlSZ_E_NS1_11comp_targetILNS1_3genE0ELNS1_11target_archE4294967295ELNS1_3gpuE0ELNS1_3repE0EEENS1_47radix_sort_onesweep_sort_config_static_selectorELNS0_4arch9wavefront6targetE1EEEvSG_,comdat
	.protected	_ZN7rocprim17ROCPRIM_400000_NS6detail17trampoline_kernelINS0_14default_configENS1_35radix_sort_onesweep_config_selectorIalEEZZNS1_29radix_sort_onesweep_iterationIS3_Lb0EPaS7_N6thrust23THRUST_200600_302600_NS10device_ptrIlEESB_jNS0_19identity_decomposerENS1_16block_id_wrapperIjLb1EEEEE10hipError_tT1_PNSt15iterator_traitsISG_E10value_typeET2_T3_PNSH_ISM_E10value_typeET4_T5_PSR_SS_PNS1_23onesweep_lookback_stateEbbT6_jjT7_P12ihipStream_tbENKUlT_T0_SG_SL_E_clIS7_S7_PlSB_EEDaSZ_S10_SG_SL_EUlSZ_E_NS1_11comp_targetILNS1_3genE0ELNS1_11target_archE4294967295ELNS1_3gpuE0ELNS1_3repE0EEENS1_47radix_sort_onesweep_sort_config_static_selectorELNS0_4arch9wavefront6targetE1EEEvSG_ ; -- Begin function _ZN7rocprim17ROCPRIM_400000_NS6detail17trampoline_kernelINS0_14default_configENS1_35radix_sort_onesweep_config_selectorIalEEZZNS1_29radix_sort_onesweep_iterationIS3_Lb0EPaS7_N6thrust23THRUST_200600_302600_NS10device_ptrIlEESB_jNS0_19identity_decomposerENS1_16block_id_wrapperIjLb1EEEEE10hipError_tT1_PNSt15iterator_traitsISG_E10value_typeET2_T3_PNSH_ISM_E10value_typeET4_T5_PSR_SS_PNS1_23onesweep_lookback_stateEbbT6_jjT7_P12ihipStream_tbENKUlT_T0_SG_SL_E_clIS7_S7_PlSB_EEDaSZ_S10_SG_SL_EUlSZ_E_NS1_11comp_targetILNS1_3genE0ELNS1_11target_archE4294967295ELNS1_3gpuE0ELNS1_3repE0EEENS1_47radix_sort_onesweep_sort_config_static_selectorELNS0_4arch9wavefront6targetE1EEEvSG_
	.globl	_ZN7rocprim17ROCPRIM_400000_NS6detail17trampoline_kernelINS0_14default_configENS1_35radix_sort_onesweep_config_selectorIalEEZZNS1_29radix_sort_onesweep_iterationIS3_Lb0EPaS7_N6thrust23THRUST_200600_302600_NS10device_ptrIlEESB_jNS0_19identity_decomposerENS1_16block_id_wrapperIjLb1EEEEE10hipError_tT1_PNSt15iterator_traitsISG_E10value_typeET2_T3_PNSH_ISM_E10value_typeET4_T5_PSR_SS_PNS1_23onesweep_lookback_stateEbbT6_jjT7_P12ihipStream_tbENKUlT_T0_SG_SL_E_clIS7_S7_PlSB_EEDaSZ_S10_SG_SL_EUlSZ_E_NS1_11comp_targetILNS1_3genE0ELNS1_11target_archE4294967295ELNS1_3gpuE0ELNS1_3repE0EEENS1_47radix_sort_onesweep_sort_config_static_selectorELNS0_4arch9wavefront6targetE1EEEvSG_
	.p2align	8
	.type	_ZN7rocprim17ROCPRIM_400000_NS6detail17trampoline_kernelINS0_14default_configENS1_35radix_sort_onesweep_config_selectorIalEEZZNS1_29radix_sort_onesweep_iterationIS3_Lb0EPaS7_N6thrust23THRUST_200600_302600_NS10device_ptrIlEESB_jNS0_19identity_decomposerENS1_16block_id_wrapperIjLb1EEEEE10hipError_tT1_PNSt15iterator_traitsISG_E10value_typeET2_T3_PNSH_ISM_E10value_typeET4_T5_PSR_SS_PNS1_23onesweep_lookback_stateEbbT6_jjT7_P12ihipStream_tbENKUlT_T0_SG_SL_E_clIS7_S7_PlSB_EEDaSZ_S10_SG_SL_EUlSZ_E_NS1_11comp_targetILNS1_3genE0ELNS1_11target_archE4294967295ELNS1_3gpuE0ELNS1_3repE0EEENS1_47radix_sort_onesweep_sort_config_static_selectorELNS0_4arch9wavefront6targetE1EEEvSG_,@function
_ZN7rocprim17ROCPRIM_400000_NS6detail17trampoline_kernelINS0_14default_configENS1_35radix_sort_onesweep_config_selectorIalEEZZNS1_29radix_sort_onesweep_iterationIS3_Lb0EPaS7_N6thrust23THRUST_200600_302600_NS10device_ptrIlEESB_jNS0_19identity_decomposerENS1_16block_id_wrapperIjLb1EEEEE10hipError_tT1_PNSt15iterator_traitsISG_E10value_typeET2_T3_PNSH_ISM_E10value_typeET4_T5_PSR_SS_PNS1_23onesweep_lookback_stateEbbT6_jjT7_P12ihipStream_tbENKUlT_T0_SG_SL_E_clIS7_S7_PlSB_EEDaSZ_S10_SG_SL_EUlSZ_E_NS1_11comp_targetILNS1_3genE0ELNS1_11target_archE4294967295ELNS1_3gpuE0ELNS1_3repE0EEENS1_47radix_sort_onesweep_sort_config_static_selectorELNS0_4arch9wavefront6targetE1EEEvSG_: ; @_ZN7rocprim17ROCPRIM_400000_NS6detail17trampoline_kernelINS0_14default_configENS1_35radix_sort_onesweep_config_selectorIalEEZZNS1_29radix_sort_onesweep_iterationIS3_Lb0EPaS7_N6thrust23THRUST_200600_302600_NS10device_ptrIlEESB_jNS0_19identity_decomposerENS1_16block_id_wrapperIjLb1EEEEE10hipError_tT1_PNSt15iterator_traitsISG_E10value_typeET2_T3_PNSH_ISM_E10value_typeET4_T5_PSR_SS_PNS1_23onesweep_lookback_stateEbbT6_jjT7_P12ihipStream_tbENKUlT_T0_SG_SL_E_clIS7_S7_PlSB_EEDaSZ_S10_SG_SL_EUlSZ_E_NS1_11comp_targetILNS1_3genE0ELNS1_11target_archE4294967295ELNS1_3gpuE0ELNS1_3repE0EEENS1_47radix_sort_onesweep_sort_config_static_selectorELNS0_4arch9wavefront6targetE1EEEvSG_
; %bb.0:
	.section	.rodata,"a",@progbits
	.p2align	6, 0x0
	.amdhsa_kernel _ZN7rocprim17ROCPRIM_400000_NS6detail17trampoline_kernelINS0_14default_configENS1_35radix_sort_onesweep_config_selectorIalEEZZNS1_29radix_sort_onesweep_iterationIS3_Lb0EPaS7_N6thrust23THRUST_200600_302600_NS10device_ptrIlEESB_jNS0_19identity_decomposerENS1_16block_id_wrapperIjLb1EEEEE10hipError_tT1_PNSt15iterator_traitsISG_E10value_typeET2_T3_PNSH_ISM_E10value_typeET4_T5_PSR_SS_PNS1_23onesweep_lookback_stateEbbT6_jjT7_P12ihipStream_tbENKUlT_T0_SG_SL_E_clIS7_S7_PlSB_EEDaSZ_S10_SG_SL_EUlSZ_E_NS1_11comp_targetILNS1_3genE0ELNS1_11target_archE4294967295ELNS1_3gpuE0ELNS1_3repE0EEENS1_47radix_sort_onesweep_sort_config_static_selectorELNS0_4arch9wavefront6targetE1EEEvSG_
		.amdhsa_group_segment_fixed_size 0
		.amdhsa_private_segment_fixed_size 0
		.amdhsa_kernarg_size 88
		.amdhsa_user_sgpr_count 6
		.amdhsa_user_sgpr_private_segment_buffer 1
		.amdhsa_user_sgpr_dispatch_ptr 0
		.amdhsa_user_sgpr_queue_ptr 0
		.amdhsa_user_sgpr_kernarg_segment_ptr 1
		.amdhsa_user_sgpr_dispatch_id 0
		.amdhsa_user_sgpr_flat_scratch_init 0
		.amdhsa_user_sgpr_private_segment_size 0
		.amdhsa_uses_dynamic_stack 0
		.amdhsa_system_sgpr_private_segment_wavefront_offset 0
		.amdhsa_system_sgpr_workgroup_id_x 1
		.amdhsa_system_sgpr_workgroup_id_y 0
		.amdhsa_system_sgpr_workgroup_id_z 0
		.amdhsa_system_sgpr_workgroup_info 0
		.amdhsa_system_vgpr_workitem_id 0
		.amdhsa_next_free_vgpr 1
		.amdhsa_next_free_sgpr 0
		.amdhsa_reserve_vcc 0
		.amdhsa_reserve_flat_scratch 0
		.amdhsa_float_round_mode_32 0
		.amdhsa_float_round_mode_16_64 0
		.amdhsa_float_denorm_mode_32 3
		.amdhsa_float_denorm_mode_16_64 3
		.amdhsa_dx10_clamp 1
		.amdhsa_ieee_mode 1
		.amdhsa_fp16_overflow 0
		.amdhsa_exception_fp_ieee_invalid_op 0
		.amdhsa_exception_fp_denorm_src 0
		.amdhsa_exception_fp_ieee_div_zero 0
		.amdhsa_exception_fp_ieee_overflow 0
		.amdhsa_exception_fp_ieee_underflow 0
		.amdhsa_exception_fp_ieee_inexact 0
		.amdhsa_exception_int_div_zero 0
	.end_amdhsa_kernel
	.section	.text._ZN7rocprim17ROCPRIM_400000_NS6detail17trampoline_kernelINS0_14default_configENS1_35radix_sort_onesweep_config_selectorIalEEZZNS1_29radix_sort_onesweep_iterationIS3_Lb0EPaS7_N6thrust23THRUST_200600_302600_NS10device_ptrIlEESB_jNS0_19identity_decomposerENS1_16block_id_wrapperIjLb1EEEEE10hipError_tT1_PNSt15iterator_traitsISG_E10value_typeET2_T3_PNSH_ISM_E10value_typeET4_T5_PSR_SS_PNS1_23onesweep_lookback_stateEbbT6_jjT7_P12ihipStream_tbENKUlT_T0_SG_SL_E_clIS7_S7_PlSB_EEDaSZ_S10_SG_SL_EUlSZ_E_NS1_11comp_targetILNS1_3genE0ELNS1_11target_archE4294967295ELNS1_3gpuE0ELNS1_3repE0EEENS1_47radix_sort_onesweep_sort_config_static_selectorELNS0_4arch9wavefront6targetE1EEEvSG_,"axG",@progbits,_ZN7rocprim17ROCPRIM_400000_NS6detail17trampoline_kernelINS0_14default_configENS1_35radix_sort_onesweep_config_selectorIalEEZZNS1_29radix_sort_onesweep_iterationIS3_Lb0EPaS7_N6thrust23THRUST_200600_302600_NS10device_ptrIlEESB_jNS0_19identity_decomposerENS1_16block_id_wrapperIjLb1EEEEE10hipError_tT1_PNSt15iterator_traitsISG_E10value_typeET2_T3_PNSH_ISM_E10value_typeET4_T5_PSR_SS_PNS1_23onesweep_lookback_stateEbbT6_jjT7_P12ihipStream_tbENKUlT_T0_SG_SL_E_clIS7_S7_PlSB_EEDaSZ_S10_SG_SL_EUlSZ_E_NS1_11comp_targetILNS1_3genE0ELNS1_11target_archE4294967295ELNS1_3gpuE0ELNS1_3repE0EEENS1_47radix_sort_onesweep_sort_config_static_selectorELNS0_4arch9wavefront6targetE1EEEvSG_,comdat
.Lfunc_end618:
	.size	_ZN7rocprim17ROCPRIM_400000_NS6detail17trampoline_kernelINS0_14default_configENS1_35radix_sort_onesweep_config_selectorIalEEZZNS1_29radix_sort_onesweep_iterationIS3_Lb0EPaS7_N6thrust23THRUST_200600_302600_NS10device_ptrIlEESB_jNS0_19identity_decomposerENS1_16block_id_wrapperIjLb1EEEEE10hipError_tT1_PNSt15iterator_traitsISG_E10value_typeET2_T3_PNSH_ISM_E10value_typeET4_T5_PSR_SS_PNS1_23onesweep_lookback_stateEbbT6_jjT7_P12ihipStream_tbENKUlT_T0_SG_SL_E_clIS7_S7_PlSB_EEDaSZ_S10_SG_SL_EUlSZ_E_NS1_11comp_targetILNS1_3genE0ELNS1_11target_archE4294967295ELNS1_3gpuE0ELNS1_3repE0EEENS1_47radix_sort_onesweep_sort_config_static_selectorELNS0_4arch9wavefront6targetE1EEEvSG_, .Lfunc_end618-_ZN7rocprim17ROCPRIM_400000_NS6detail17trampoline_kernelINS0_14default_configENS1_35radix_sort_onesweep_config_selectorIalEEZZNS1_29radix_sort_onesweep_iterationIS3_Lb0EPaS7_N6thrust23THRUST_200600_302600_NS10device_ptrIlEESB_jNS0_19identity_decomposerENS1_16block_id_wrapperIjLb1EEEEE10hipError_tT1_PNSt15iterator_traitsISG_E10value_typeET2_T3_PNSH_ISM_E10value_typeET4_T5_PSR_SS_PNS1_23onesweep_lookback_stateEbbT6_jjT7_P12ihipStream_tbENKUlT_T0_SG_SL_E_clIS7_S7_PlSB_EEDaSZ_S10_SG_SL_EUlSZ_E_NS1_11comp_targetILNS1_3genE0ELNS1_11target_archE4294967295ELNS1_3gpuE0ELNS1_3repE0EEENS1_47radix_sort_onesweep_sort_config_static_selectorELNS0_4arch9wavefront6targetE1EEEvSG_
                                        ; -- End function
	.set _ZN7rocprim17ROCPRIM_400000_NS6detail17trampoline_kernelINS0_14default_configENS1_35radix_sort_onesweep_config_selectorIalEEZZNS1_29radix_sort_onesweep_iterationIS3_Lb0EPaS7_N6thrust23THRUST_200600_302600_NS10device_ptrIlEESB_jNS0_19identity_decomposerENS1_16block_id_wrapperIjLb1EEEEE10hipError_tT1_PNSt15iterator_traitsISG_E10value_typeET2_T3_PNSH_ISM_E10value_typeET4_T5_PSR_SS_PNS1_23onesweep_lookback_stateEbbT6_jjT7_P12ihipStream_tbENKUlT_T0_SG_SL_E_clIS7_S7_PlSB_EEDaSZ_S10_SG_SL_EUlSZ_E_NS1_11comp_targetILNS1_3genE0ELNS1_11target_archE4294967295ELNS1_3gpuE0ELNS1_3repE0EEENS1_47radix_sort_onesweep_sort_config_static_selectorELNS0_4arch9wavefront6targetE1EEEvSG_.num_vgpr, 0
	.set _ZN7rocprim17ROCPRIM_400000_NS6detail17trampoline_kernelINS0_14default_configENS1_35radix_sort_onesweep_config_selectorIalEEZZNS1_29radix_sort_onesweep_iterationIS3_Lb0EPaS7_N6thrust23THRUST_200600_302600_NS10device_ptrIlEESB_jNS0_19identity_decomposerENS1_16block_id_wrapperIjLb1EEEEE10hipError_tT1_PNSt15iterator_traitsISG_E10value_typeET2_T3_PNSH_ISM_E10value_typeET4_T5_PSR_SS_PNS1_23onesweep_lookback_stateEbbT6_jjT7_P12ihipStream_tbENKUlT_T0_SG_SL_E_clIS7_S7_PlSB_EEDaSZ_S10_SG_SL_EUlSZ_E_NS1_11comp_targetILNS1_3genE0ELNS1_11target_archE4294967295ELNS1_3gpuE0ELNS1_3repE0EEENS1_47radix_sort_onesweep_sort_config_static_selectorELNS0_4arch9wavefront6targetE1EEEvSG_.num_agpr, 0
	.set _ZN7rocprim17ROCPRIM_400000_NS6detail17trampoline_kernelINS0_14default_configENS1_35radix_sort_onesweep_config_selectorIalEEZZNS1_29radix_sort_onesweep_iterationIS3_Lb0EPaS7_N6thrust23THRUST_200600_302600_NS10device_ptrIlEESB_jNS0_19identity_decomposerENS1_16block_id_wrapperIjLb1EEEEE10hipError_tT1_PNSt15iterator_traitsISG_E10value_typeET2_T3_PNSH_ISM_E10value_typeET4_T5_PSR_SS_PNS1_23onesweep_lookback_stateEbbT6_jjT7_P12ihipStream_tbENKUlT_T0_SG_SL_E_clIS7_S7_PlSB_EEDaSZ_S10_SG_SL_EUlSZ_E_NS1_11comp_targetILNS1_3genE0ELNS1_11target_archE4294967295ELNS1_3gpuE0ELNS1_3repE0EEENS1_47radix_sort_onesweep_sort_config_static_selectorELNS0_4arch9wavefront6targetE1EEEvSG_.numbered_sgpr, 0
	.set _ZN7rocprim17ROCPRIM_400000_NS6detail17trampoline_kernelINS0_14default_configENS1_35radix_sort_onesweep_config_selectorIalEEZZNS1_29radix_sort_onesweep_iterationIS3_Lb0EPaS7_N6thrust23THRUST_200600_302600_NS10device_ptrIlEESB_jNS0_19identity_decomposerENS1_16block_id_wrapperIjLb1EEEEE10hipError_tT1_PNSt15iterator_traitsISG_E10value_typeET2_T3_PNSH_ISM_E10value_typeET4_T5_PSR_SS_PNS1_23onesweep_lookback_stateEbbT6_jjT7_P12ihipStream_tbENKUlT_T0_SG_SL_E_clIS7_S7_PlSB_EEDaSZ_S10_SG_SL_EUlSZ_E_NS1_11comp_targetILNS1_3genE0ELNS1_11target_archE4294967295ELNS1_3gpuE0ELNS1_3repE0EEENS1_47radix_sort_onesweep_sort_config_static_selectorELNS0_4arch9wavefront6targetE1EEEvSG_.num_named_barrier, 0
	.set _ZN7rocprim17ROCPRIM_400000_NS6detail17trampoline_kernelINS0_14default_configENS1_35radix_sort_onesweep_config_selectorIalEEZZNS1_29radix_sort_onesweep_iterationIS3_Lb0EPaS7_N6thrust23THRUST_200600_302600_NS10device_ptrIlEESB_jNS0_19identity_decomposerENS1_16block_id_wrapperIjLb1EEEEE10hipError_tT1_PNSt15iterator_traitsISG_E10value_typeET2_T3_PNSH_ISM_E10value_typeET4_T5_PSR_SS_PNS1_23onesweep_lookback_stateEbbT6_jjT7_P12ihipStream_tbENKUlT_T0_SG_SL_E_clIS7_S7_PlSB_EEDaSZ_S10_SG_SL_EUlSZ_E_NS1_11comp_targetILNS1_3genE0ELNS1_11target_archE4294967295ELNS1_3gpuE0ELNS1_3repE0EEENS1_47radix_sort_onesweep_sort_config_static_selectorELNS0_4arch9wavefront6targetE1EEEvSG_.private_seg_size, 0
	.set _ZN7rocprim17ROCPRIM_400000_NS6detail17trampoline_kernelINS0_14default_configENS1_35radix_sort_onesweep_config_selectorIalEEZZNS1_29radix_sort_onesweep_iterationIS3_Lb0EPaS7_N6thrust23THRUST_200600_302600_NS10device_ptrIlEESB_jNS0_19identity_decomposerENS1_16block_id_wrapperIjLb1EEEEE10hipError_tT1_PNSt15iterator_traitsISG_E10value_typeET2_T3_PNSH_ISM_E10value_typeET4_T5_PSR_SS_PNS1_23onesweep_lookback_stateEbbT6_jjT7_P12ihipStream_tbENKUlT_T0_SG_SL_E_clIS7_S7_PlSB_EEDaSZ_S10_SG_SL_EUlSZ_E_NS1_11comp_targetILNS1_3genE0ELNS1_11target_archE4294967295ELNS1_3gpuE0ELNS1_3repE0EEENS1_47radix_sort_onesweep_sort_config_static_selectorELNS0_4arch9wavefront6targetE1EEEvSG_.uses_vcc, 0
	.set _ZN7rocprim17ROCPRIM_400000_NS6detail17trampoline_kernelINS0_14default_configENS1_35radix_sort_onesweep_config_selectorIalEEZZNS1_29radix_sort_onesweep_iterationIS3_Lb0EPaS7_N6thrust23THRUST_200600_302600_NS10device_ptrIlEESB_jNS0_19identity_decomposerENS1_16block_id_wrapperIjLb1EEEEE10hipError_tT1_PNSt15iterator_traitsISG_E10value_typeET2_T3_PNSH_ISM_E10value_typeET4_T5_PSR_SS_PNS1_23onesweep_lookback_stateEbbT6_jjT7_P12ihipStream_tbENKUlT_T0_SG_SL_E_clIS7_S7_PlSB_EEDaSZ_S10_SG_SL_EUlSZ_E_NS1_11comp_targetILNS1_3genE0ELNS1_11target_archE4294967295ELNS1_3gpuE0ELNS1_3repE0EEENS1_47radix_sort_onesweep_sort_config_static_selectorELNS0_4arch9wavefront6targetE1EEEvSG_.uses_flat_scratch, 0
	.set _ZN7rocprim17ROCPRIM_400000_NS6detail17trampoline_kernelINS0_14default_configENS1_35radix_sort_onesweep_config_selectorIalEEZZNS1_29radix_sort_onesweep_iterationIS3_Lb0EPaS7_N6thrust23THRUST_200600_302600_NS10device_ptrIlEESB_jNS0_19identity_decomposerENS1_16block_id_wrapperIjLb1EEEEE10hipError_tT1_PNSt15iterator_traitsISG_E10value_typeET2_T3_PNSH_ISM_E10value_typeET4_T5_PSR_SS_PNS1_23onesweep_lookback_stateEbbT6_jjT7_P12ihipStream_tbENKUlT_T0_SG_SL_E_clIS7_S7_PlSB_EEDaSZ_S10_SG_SL_EUlSZ_E_NS1_11comp_targetILNS1_3genE0ELNS1_11target_archE4294967295ELNS1_3gpuE0ELNS1_3repE0EEENS1_47radix_sort_onesweep_sort_config_static_selectorELNS0_4arch9wavefront6targetE1EEEvSG_.has_dyn_sized_stack, 0
	.set _ZN7rocprim17ROCPRIM_400000_NS6detail17trampoline_kernelINS0_14default_configENS1_35radix_sort_onesweep_config_selectorIalEEZZNS1_29radix_sort_onesweep_iterationIS3_Lb0EPaS7_N6thrust23THRUST_200600_302600_NS10device_ptrIlEESB_jNS0_19identity_decomposerENS1_16block_id_wrapperIjLb1EEEEE10hipError_tT1_PNSt15iterator_traitsISG_E10value_typeET2_T3_PNSH_ISM_E10value_typeET4_T5_PSR_SS_PNS1_23onesweep_lookback_stateEbbT6_jjT7_P12ihipStream_tbENKUlT_T0_SG_SL_E_clIS7_S7_PlSB_EEDaSZ_S10_SG_SL_EUlSZ_E_NS1_11comp_targetILNS1_3genE0ELNS1_11target_archE4294967295ELNS1_3gpuE0ELNS1_3repE0EEENS1_47radix_sort_onesweep_sort_config_static_selectorELNS0_4arch9wavefront6targetE1EEEvSG_.has_recursion, 0
	.set _ZN7rocprim17ROCPRIM_400000_NS6detail17trampoline_kernelINS0_14default_configENS1_35radix_sort_onesweep_config_selectorIalEEZZNS1_29radix_sort_onesweep_iterationIS3_Lb0EPaS7_N6thrust23THRUST_200600_302600_NS10device_ptrIlEESB_jNS0_19identity_decomposerENS1_16block_id_wrapperIjLb1EEEEE10hipError_tT1_PNSt15iterator_traitsISG_E10value_typeET2_T3_PNSH_ISM_E10value_typeET4_T5_PSR_SS_PNS1_23onesweep_lookback_stateEbbT6_jjT7_P12ihipStream_tbENKUlT_T0_SG_SL_E_clIS7_S7_PlSB_EEDaSZ_S10_SG_SL_EUlSZ_E_NS1_11comp_targetILNS1_3genE0ELNS1_11target_archE4294967295ELNS1_3gpuE0ELNS1_3repE0EEENS1_47radix_sort_onesweep_sort_config_static_selectorELNS0_4arch9wavefront6targetE1EEEvSG_.has_indirect_call, 0
	.section	.AMDGPU.csdata,"",@progbits
; Kernel info:
; codeLenInByte = 0
; TotalNumSgprs: 4
; NumVgprs: 0
; ScratchSize: 0
; MemoryBound: 0
; FloatMode: 240
; IeeeMode: 1
; LDSByteSize: 0 bytes/workgroup (compile time only)
; SGPRBlocks: 0
; VGPRBlocks: 0
; NumSGPRsForWavesPerEU: 4
; NumVGPRsForWavesPerEU: 1
; Occupancy: 10
; WaveLimiterHint : 0
; COMPUTE_PGM_RSRC2:SCRATCH_EN: 0
; COMPUTE_PGM_RSRC2:USER_SGPR: 6
; COMPUTE_PGM_RSRC2:TRAP_HANDLER: 0
; COMPUTE_PGM_RSRC2:TGID_X_EN: 1
; COMPUTE_PGM_RSRC2:TGID_Y_EN: 0
; COMPUTE_PGM_RSRC2:TGID_Z_EN: 0
; COMPUTE_PGM_RSRC2:TIDIG_COMP_CNT: 0
	.section	.text._ZN7rocprim17ROCPRIM_400000_NS6detail17trampoline_kernelINS0_14default_configENS1_35radix_sort_onesweep_config_selectorIalEEZZNS1_29radix_sort_onesweep_iterationIS3_Lb0EPaS7_N6thrust23THRUST_200600_302600_NS10device_ptrIlEESB_jNS0_19identity_decomposerENS1_16block_id_wrapperIjLb1EEEEE10hipError_tT1_PNSt15iterator_traitsISG_E10value_typeET2_T3_PNSH_ISM_E10value_typeET4_T5_PSR_SS_PNS1_23onesweep_lookback_stateEbbT6_jjT7_P12ihipStream_tbENKUlT_T0_SG_SL_E_clIS7_S7_PlSB_EEDaSZ_S10_SG_SL_EUlSZ_E_NS1_11comp_targetILNS1_3genE6ELNS1_11target_archE950ELNS1_3gpuE13ELNS1_3repE0EEENS1_47radix_sort_onesweep_sort_config_static_selectorELNS0_4arch9wavefront6targetE1EEEvSG_,"axG",@progbits,_ZN7rocprim17ROCPRIM_400000_NS6detail17trampoline_kernelINS0_14default_configENS1_35radix_sort_onesweep_config_selectorIalEEZZNS1_29radix_sort_onesweep_iterationIS3_Lb0EPaS7_N6thrust23THRUST_200600_302600_NS10device_ptrIlEESB_jNS0_19identity_decomposerENS1_16block_id_wrapperIjLb1EEEEE10hipError_tT1_PNSt15iterator_traitsISG_E10value_typeET2_T3_PNSH_ISM_E10value_typeET4_T5_PSR_SS_PNS1_23onesweep_lookback_stateEbbT6_jjT7_P12ihipStream_tbENKUlT_T0_SG_SL_E_clIS7_S7_PlSB_EEDaSZ_S10_SG_SL_EUlSZ_E_NS1_11comp_targetILNS1_3genE6ELNS1_11target_archE950ELNS1_3gpuE13ELNS1_3repE0EEENS1_47radix_sort_onesweep_sort_config_static_selectorELNS0_4arch9wavefront6targetE1EEEvSG_,comdat
	.protected	_ZN7rocprim17ROCPRIM_400000_NS6detail17trampoline_kernelINS0_14default_configENS1_35radix_sort_onesweep_config_selectorIalEEZZNS1_29radix_sort_onesweep_iterationIS3_Lb0EPaS7_N6thrust23THRUST_200600_302600_NS10device_ptrIlEESB_jNS0_19identity_decomposerENS1_16block_id_wrapperIjLb1EEEEE10hipError_tT1_PNSt15iterator_traitsISG_E10value_typeET2_T3_PNSH_ISM_E10value_typeET4_T5_PSR_SS_PNS1_23onesweep_lookback_stateEbbT6_jjT7_P12ihipStream_tbENKUlT_T0_SG_SL_E_clIS7_S7_PlSB_EEDaSZ_S10_SG_SL_EUlSZ_E_NS1_11comp_targetILNS1_3genE6ELNS1_11target_archE950ELNS1_3gpuE13ELNS1_3repE0EEENS1_47radix_sort_onesweep_sort_config_static_selectorELNS0_4arch9wavefront6targetE1EEEvSG_ ; -- Begin function _ZN7rocprim17ROCPRIM_400000_NS6detail17trampoline_kernelINS0_14default_configENS1_35radix_sort_onesweep_config_selectorIalEEZZNS1_29radix_sort_onesweep_iterationIS3_Lb0EPaS7_N6thrust23THRUST_200600_302600_NS10device_ptrIlEESB_jNS0_19identity_decomposerENS1_16block_id_wrapperIjLb1EEEEE10hipError_tT1_PNSt15iterator_traitsISG_E10value_typeET2_T3_PNSH_ISM_E10value_typeET4_T5_PSR_SS_PNS1_23onesweep_lookback_stateEbbT6_jjT7_P12ihipStream_tbENKUlT_T0_SG_SL_E_clIS7_S7_PlSB_EEDaSZ_S10_SG_SL_EUlSZ_E_NS1_11comp_targetILNS1_3genE6ELNS1_11target_archE950ELNS1_3gpuE13ELNS1_3repE0EEENS1_47radix_sort_onesweep_sort_config_static_selectorELNS0_4arch9wavefront6targetE1EEEvSG_
	.globl	_ZN7rocprim17ROCPRIM_400000_NS6detail17trampoline_kernelINS0_14default_configENS1_35radix_sort_onesweep_config_selectorIalEEZZNS1_29radix_sort_onesweep_iterationIS3_Lb0EPaS7_N6thrust23THRUST_200600_302600_NS10device_ptrIlEESB_jNS0_19identity_decomposerENS1_16block_id_wrapperIjLb1EEEEE10hipError_tT1_PNSt15iterator_traitsISG_E10value_typeET2_T3_PNSH_ISM_E10value_typeET4_T5_PSR_SS_PNS1_23onesweep_lookback_stateEbbT6_jjT7_P12ihipStream_tbENKUlT_T0_SG_SL_E_clIS7_S7_PlSB_EEDaSZ_S10_SG_SL_EUlSZ_E_NS1_11comp_targetILNS1_3genE6ELNS1_11target_archE950ELNS1_3gpuE13ELNS1_3repE0EEENS1_47radix_sort_onesweep_sort_config_static_selectorELNS0_4arch9wavefront6targetE1EEEvSG_
	.p2align	8
	.type	_ZN7rocprim17ROCPRIM_400000_NS6detail17trampoline_kernelINS0_14default_configENS1_35radix_sort_onesweep_config_selectorIalEEZZNS1_29radix_sort_onesweep_iterationIS3_Lb0EPaS7_N6thrust23THRUST_200600_302600_NS10device_ptrIlEESB_jNS0_19identity_decomposerENS1_16block_id_wrapperIjLb1EEEEE10hipError_tT1_PNSt15iterator_traitsISG_E10value_typeET2_T3_PNSH_ISM_E10value_typeET4_T5_PSR_SS_PNS1_23onesweep_lookback_stateEbbT6_jjT7_P12ihipStream_tbENKUlT_T0_SG_SL_E_clIS7_S7_PlSB_EEDaSZ_S10_SG_SL_EUlSZ_E_NS1_11comp_targetILNS1_3genE6ELNS1_11target_archE950ELNS1_3gpuE13ELNS1_3repE0EEENS1_47radix_sort_onesweep_sort_config_static_selectorELNS0_4arch9wavefront6targetE1EEEvSG_,@function
_ZN7rocprim17ROCPRIM_400000_NS6detail17trampoline_kernelINS0_14default_configENS1_35radix_sort_onesweep_config_selectorIalEEZZNS1_29radix_sort_onesweep_iterationIS3_Lb0EPaS7_N6thrust23THRUST_200600_302600_NS10device_ptrIlEESB_jNS0_19identity_decomposerENS1_16block_id_wrapperIjLb1EEEEE10hipError_tT1_PNSt15iterator_traitsISG_E10value_typeET2_T3_PNSH_ISM_E10value_typeET4_T5_PSR_SS_PNS1_23onesweep_lookback_stateEbbT6_jjT7_P12ihipStream_tbENKUlT_T0_SG_SL_E_clIS7_S7_PlSB_EEDaSZ_S10_SG_SL_EUlSZ_E_NS1_11comp_targetILNS1_3genE6ELNS1_11target_archE950ELNS1_3gpuE13ELNS1_3repE0EEENS1_47radix_sort_onesweep_sort_config_static_selectorELNS0_4arch9wavefront6targetE1EEEvSG_: ; @_ZN7rocprim17ROCPRIM_400000_NS6detail17trampoline_kernelINS0_14default_configENS1_35radix_sort_onesweep_config_selectorIalEEZZNS1_29radix_sort_onesweep_iterationIS3_Lb0EPaS7_N6thrust23THRUST_200600_302600_NS10device_ptrIlEESB_jNS0_19identity_decomposerENS1_16block_id_wrapperIjLb1EEEEE10hipError_tT1_PNSt15iterator_traitsISG_E10value_typeET2_T3_PNSH_ISM_E10value_typeET4_T5_PSR_SS_PNS1_23onesweep_lookback_stateEbbT6_jjT7_P12ihipStream_tbENKUlT_T0_SG_SL_E_clIS7_S7_PlSB_EEDaSZ_S10_SG_SL_EUlSZ_E_NS1_11comp_targetILNS1_3genE6ELNS1_11target_archE950ELNS1_3gpuE13ELNS1_3repE0EEENS1_47radix_sort_onesweep_sort_config_static_selectorELNS0_4arch9wavefront6targetE1EEEvSG_
; %bb.0:
	.section	.rodata,"a",@progbits
	.p2align	6, 0x0
	.amdhsa_kernel _ZN7rocprim17ROCPRIM_400000_NS6detail17trampoline_kernelINS0_14default_configENS1_35radix_sort_onesweep_config_selectorIalEEZZNS1_29radix_sort_onesweep_iterationIS3_Lb0EPaS7_N6thrust23THRUST_200600_302600_NS10device_ptrIlEESB_jNS0_19identity_decomposerENS1_16block_id_wrapperIjLb1EEEEE10hipError_tT1_PNSt15iterator_traitsISG_E10value_typeET2_T3_PNSH_ISM_E10value_typeET4_T5_PSR_SS_PNS1_23onesweep_lookback_stateEbbT6_jjT7_P12ihipStream_tbENKUlT_T0_SG_SL_E_clIS7_S7_PlSB_EEDaSZ_S10_SG_SL_EUlSZ_E_NS1_11comp_targetILNS1_3genE6ELNS1_11target_archE950ELNS1_3gpuE13ELNS1_3repE0EEENS1_47radix_sort_onesweep_sort_config_static_selectorELNS0_4arch9wavefront6targetE1EEEvSG_
		.amdhsa_group_segment_fixed_size 0
		.amdhsa_private_segment_fixed_size 0
		.amdhsa_kernarg_size 88
		.amdhsa_user_sgpr_count 6
		.amdhsa_user_sgpr_private_segment_buffer 1
		.amdhsa_user_sgpr_dispatch_ptr 0
		.amdhsa_user_sgpr_queue_ptr 0
		.amdhsa_user_sgpr_kernarg_segment_ptr 1
		.amdhsa_user_sgpr_dispatch_id 0
		.amdhsa_user_sgpr_flat_scratch_init 0
		.amdhsa_user_sgpr_private_segment_size 0
		.amdhsa_uses_dynamic_stack 0
		.amdhsa_system_sgpr_private_segment_wavefront_offset 0
		.amdhsa_system_sgpr_workgroup_id_x 1
		.amdhsa_system_sgpr_workgroup_id_y 0
		.amdhsa_system_sgpr_workgroup_id_z 0
		.amdhsa_system_sgpr_workgroup_info 0
		.amdhsa_system_vgpr_workitem_id 0
		.amdhsa_next_free_vgpr 1
		.amdhsa_next_free_sgpr 0
		.amdhsa_reserve_vcc 0
		.amdhsa_reserve_flat_scratch 0
		.amdhsa_float_round_mode_32 0
		.amdhsa_float_round_mode_16_64 0
		.amdhsa_float_denorm_mode_32 3
		.amdhsa_float_denorm_mode_16_64 3
		.amdhsa_dx10_clamp 1
		.amdhsa_ieee_mode 1
		.amdhsa_fp16_overflow 0
		.amdhsa_exception_fp_ieee_invalid_op 0
		.amdhsa_exception_fp_denorm_src 0
		.amdhsa_exception_fp_ieee_div_zero 0
		.amdhsa_exception_fp_ieee_overflow 0
		.amdhsa_exception_fp_ieee_underflow 0
		.amdhsa_exception_fp_ieee_inexact 0
		.amdhsa_exception_int_div_zero 0
	.end_amdhsa_kernel
	.section	.text._ZN7rocprim17ROCPRIM_400000_NS6detail17trampoline_kernelINS0_14default_configENS1_35radix_sort_onesweep_config_selectorIalEEZZNS1_29radix_sort_onesweep_iterationIS3_Lb0EPaS7_N6thrust23THRUST_200600_302600_NS10device_ptrIlEESB_jNS0_19identity_decomposerENS1_16block_id_wrapperIjLb1EEEEE10hipError_tT1_PNSt15iterator_traitsISG_E10value_typeET2_T3_PNSH_ISM_E10value_typeET4_T5_PSR_SS_PNS1_23onesweep_lookback_stateEbbT6_jjT7_P12ihipStream_tbENKUlT_T0_SG_SL_E_clIS7_S7_PlSB_EEDaSZ_S10_SG_SL_EUlSZ_E_NS1_11comp_targetILNS1_3genE6ELNS1_11target_archE950ELNS1_3gpuE13ELNS1_3repE0EEENS1_47radix_sort_onesweep_sort_config_static_selectorELNS0_4arch9wavefront6targetE1EEEvSG_,"axG",@progbits,_ZN7rocprim17ROCPRIM_400000_NS6detail17trampoline_kernelINS0_14default_configENS1_35radix_sort_onesweep_config_selectorIalEEZZNS1_29radix_sort_onesweep_iterationIS3_Lb0EPaS7_N6thrust23THRUST_200600_302600_NS10device_ptrIlEESB_jNS0_19identity_decomposerENS1_16block_id_wrapperIjLb1EEEEE10hipError_tT1_PNSt15iterator_traitsISG_E10value_typeET2_T3_PNSH_ISM_E10value_typeET4_T5_PSR_SS_PNS1_23onesweep_lookback_stateEbbT6_jjT7_P12ihipStream_tbENKUlT_T0_SG_SL_E_clIS7_S7_PlSB_EEDaSZ_S10_SG_SL_EUlSZ_E_NS1_11comp_targetILNS1_3genE6ELNS1_11target_archE950ELNS1_3gpuE13ELNS1_3repE0EEENS1_47radix_sort_onesweep_sort_config_static_selectorELNS0_4arch9wavefront6targetE1EEEvSG_,comdat
.Lfunc_end619:
	.size	_ZN7rocprim17ROCPRIM_400000_NS6detail17trampoline_kernelINS0_14default_configENS1_35radix_sort_onesweep_config_selectorIalEEZZNS1_29radix_sort_onesweep_iterationIS3_Lb0EPaS7_N6thrust23THRUST_200600_302600_NS10device_ptrIlEESB_jNS0_19identity_decomposerENS1_16block_id_wrapperIjLb1EEEEE10hipError_tT1_PNSt15iterator_traitsISG_E10value_typeET2_T3_PNSH_ISM_E10value_typeET4_T5_PSR_SS_PNS1_23onesweep_lookback_stateEbbT6_jjT7_P12ihipStream_tbENKUlT_T0_SG_SL_E_clIS7_S7_PlSB_EEDaSZ_S10_SG_SL_EUlSZ_E_NS1_11comp_targetILNS1_3genE6ELNS1_11target_archE950ELNS1_3gpuE13ELNS1_3repE0EEENS1_47radix_sort_onesweep_sort_config_static_selectorELNS0_4arch9wavefront6targetE1EEEvSG_, .Lfunc_end619-_ZN7rocprim17ROCPRIM_400000_NS6detail17trampoline_kernelINS0_14default_configENS1_35radix_sort_onesweep_config_selectorIalEEZZNS1_29radix_sort_onesweep_iterationIS3_Lb0EPaS7_N6thrust23THRUST_200600_302600_NS10device_ptrIlEESB_jNS0_19identity_decomposerENS1_16block_id_wrapperIjLb1EEEEE10hipError_tT1_PNSt15iterator_traitsISG_E10value_typeET2_T3_PNSH_ISM_E10value_typeET4_T5_PSR_SS_PNS1_23onesweep_lookback_stateEbbT6_jjT7_P12ihipStream_tbENKUlT_T0_SG_SL_E_clIS7_S7_PlSB_EEDaSZ_S10_SG_SL_EUlSZ_E_NS1_11comp_targetILNS1_3genE6ELNS1_11target_archE950ELNS1_3gpuE13ELNS1_3repE0EEENS1_47radix_sort_onesweep_sort_config_static_selectorELNS0_4arch9wavefront6targetE1EEEvSG_
                                        ; -- End function
	.set _ZN7rocprim17ROCPRIM_400000_NS6detail17trampoline_kernelINS0_14default_configENS1_35radix_sort_onesweep_config_selectorIalEEZZNS1_29radix_sort_onesweep_iterationIS3_Lb0EPaS7_N6thrust23THRUST_200600_302600_NS10device_ptrIlEESB_jNS0_19identity_decomposerENS1_16block_id_wrapperIjLb1EEEEE10hipError_tT1_PNSt15iterator_traitsISG_E10value_typeET2_T3_PNSH_ISM_E10value_typeET4_T5_PSR_SS_PNS1_23onesweep_lookback_stateEbbT6_jjT7_P12ihipStream_tbENKUlT_T0_SG_SL_E_clIS7_S7_PlSB_EEDaSZ_S10_SG_SL_EUlSZ_E_NS1_11comp_targetILNS1_3genE6ELNS1_11target_archE950ELNS1_3gpuE13ELNS1_3repE0EEENS1_47radix_sort_onesweep_sort_config_static_selectorELNS0_4arch9wavefront6targetE1EEEvSG_.num_vgpr, 0
	.set _ZN7rocprim17ROCPRIM_400000_NS6detail17trampoline_kernelINS0_14default_configENS1_35radix_sort_onesweep_config_selectorIalEEZZNS1_29radix_sort_onesweep_iterationIS3_Lb0EPaS7_N6thrust23THRUST_200600_302600_NS10device_ptrIlEESB_jNS0_19identity_decomposerENS1_16block_id_wrapperIjLb1EEEEE10hipError_tT1_PNSt15iterator_traitsISG_E10value_typeET2_T3_PNSH_ISM_E10value_typeET4_T5_PSR_SS_PNS1_23onesweep_lookback_stateEbbT6_jjT7_P12ihipStream_tbENKUlT_T0_SG_SL_E_clIS7_S7_PlSB_EEDaSZ_S10_SG_SL_EUlSZ_E_NS1_11comp_targetILNS1_3genE6ELNS1_11target_archE950ELNS1_3gpuE13ELNS1_3repE0EEENS1_47radix_sort_onesweep_sort_config_static_selectorELNS0_4arch9wavefront6targetE1EEEvSG_.num_agpr, 0
	.set _ZN7rocprim17ROCPRIM_400000_NS6detail17trampoline_kernelINS0_14default_configENS1_35radix_sort_onesweep_config_selectorIalEEZZNS1_29radix_sort_onesweep_iterationIS3_Lb0EPaS7_N6thrust23THRUST_200600_302600_NS10device_ptrIlEESB_jNS0_19identity_decomposerENS1_16block_id_wrapperIjLb1EEEEE10hipError_tT1_PNSt15iterator_traitsISG_E10value_typeET2_T3_PNSH_ISM_E10value_typeET4_T5_PSR_SS_PNS1_23onesweep_lookback_stateEbbT6_jjT7_P12ihipStream_tbENKUlT_T0_SG_SL_E_clIS7_S7_PlSB_EEDaSZ_S10_SG_SL_EUlSZ_E_NS1_11comp_targetILNS1_3genE6ELNS1_11target_archE950ELNS1_3gpuE13ELNS1_3repE0EEENS1_47radix_sort_onesweep_sort_config_static_selectorELNS0_4arch9wavefront6targetE1EEEvSG_.numbered_sgpr, 0
	.set _ZN7rocprim17ROCPRIM_400000_NS6detail17trampoline_kernelINS0_14default_configENS1_35radix_sort_onesweep_config_selectorIalEEZZNS1_29radix_sort_onesweep_iterationIS3_Lb0EPaS7_N6thrust23THRUST_200600_302600_NS10device_ptrIlEESB_jNS0_19identity_decomposerENS1_16block_id_wrapperIjLb1EEEEE10hipError_tT1_PNSt15iterator_traitsISG_E10value_typeET2_T3_PNSH_ISM_E10value_typeET4_T5_PSR_SS_PNS1_23onesweep_lookback_stateEbbT6_jjT7_P12ihipStream_tbENKUlT_T0_SG_SL_E_clIS7_S7_PlSB_EEDaSZ_S10_SG_SL_EUlSZ_E_NS1_11comp_targetILNS1_3genE6ELNS1_11target_archE950ELNS1_3gpuE13ELNS1_3repE0EEENS1_47radix_sort_onesweep_sort_config_static_selectorELNS0_4arch9wavefront6targetE1EEEvSG_.num_named_barrier, 0
	.set _ZN7rocprim17ROCPRIM_400000_NS6detail17trampoline_kernelINS0_14default_configENS1_35radix_sort_onesweep_config_selectorIalEEZZNS1_29radix_sort_onesweep_iterationIS3_Lb0EPaS7_N6thrust23THRUST_200600_302600_NS10device_ptrIlEESB_jNS0_19identity_decomposerENS1_16block_id_wrapperIjLb1EEEEE10hipError_tT1_PNSt15iterator_traitsISG_E10value_typeET2_T3_PNSH_ISM_E10value_typeET4_T5_PSR_SS_PNS1_23onesweep_lookback_stateEbbT6_jjT7_P12ihipStream_tbENKUlT_T0_SG_SL_E_clIS7_S7_PlSB_EEDaSZ_S10_SG_SL_EUlSZ_E_NS1_11comp_targetILNS1_3genE6ELNS1_11target_archE950ELNS1_3gpuE13ELNS1_3repE0EEENS1_47radix_sort_onesweep_sort_config_static_selectorELNS0_4arch9wavefront6targetE1EEEvSG_.private_seg_size, 0
	.set _ZN7rocprim17ROCPRIM_400000_NS6detail17trampoline_kernelINS0_14default_configENS1_35radix_sort_onesweep_config_selectorIalEEZZNS1_29radix_sort_onesweep_iterationIS3_Lb0EPaS7_N6thrust23THRUST_200600_302600_NS10device_ptrIlEESB_jNS0_19identity_decomposerENS1_16block_id_wrapperIjLb1EEEEE10hipError_tT1_PNSt15iterator_traitsISG_E10value_typeET2_T3_PNSH_ISM_E10value_typeET4_T5_PSR_SS_PNS1_23onesweep_lookback_stateEbbT6_jjT7_P12ihipStream_tbENKUlT_T0_SG_SL_E_clIS7_S7_PlSB_EEDaSZ_S10_SG_SL_EUlSZ_E_NS1_11comp_targetILNS1_3genE6ELNS1_11target_archE950ELNS1_3gpuE13ELNS1_3repE0EEENS1_47radix_sort_onesweep_sort_config_static_selectorELNS0_4arch9wavefront6targetE1EEEvSG_.uses_vcc, 0
	.set _ZN7rocprim17ROCPRIM_400000_NS6detail17trampoline_kernelINS0_14default_configENS1_35radix_sort_onesweep_config_selectorIalEEZZNS1_29radix_sort_onesweep_iterationIS3_Lb0EPaS7_N6thrust23THRUST_200600_302600_NS10device_ptrIlEESB_jNS0_19identity_decomposerENS1_16block_id_wrapperIjLb1EEEEE10hipError_tT1_PNSt15iterator_traitsISG_E10value_typeET2_T3_PNSH_ISM_E10value_typeET4_T5_PSR_SS_PNS1_23onesweep_lookback_stateEbbT6_jjT7_P12ihipStream_tbENKUlT_T0_SG_SL_E_clIS7_S7_PlSB_EEDaSZ_S10_SG_SL_EUlSZ_E_NS1_11comp_targetILNS1_3genE6ELNS1_11target_archE950ELNS1_3gpuE13ELNS1_3repE0EEENS1_47radix_sort_onesweep_sort_config_static_selectorELNS0_4arch9wavefront6targetE1EEEvSG_.uses_flat_scratch, 0
	.set _ZN7rocprim17ROCPRIM_400000_NS6detail17trampoline_kernelINS0_14default_configENS1_35radix_sort_onesweep_config_selectorIalEEZZNS1_29radix_sort_onesweep_iterationIS3_Lb0EPaS7_N6thrust23THRUST_200600_302600_NS10device_ptrIlEESB_jNS0_19identity_decomposerENS1_16block_id_wrapperIjLb1EEEEE10hipError_tT1_PNSt15iterator_traitsISG_E10value_typeET2_T3_PNSH_ISM_E10value_typeET4_T5_PSR_SS_PNS1_23onesweep_lookback_stateEbbT6_jjT7_P12ihipStream_tbENKUlT_T0_SG_SL_E_clIS7_S7_PlSB_EEDaSZ_S10_SG_SL_EUlSZ_E_NS1_11comp_targetILNS1_3genE6ELNS1_11target_archE950ELNS1_3gpuE13ELNS1_3repE0EEENS1_47radix_sort_onesweep_sort_config_static_selectorELNS0_4arch9wavefront6targetE1EEEvSG_.has_dyn_sized_stack, 0
	.set _ZN7rocprim17ROCPRIM_400000_NS6detail17trampoline_kernelINS0_14default_configENS1_35radix_sort_onesweep_config_selectorIalEEZZNS1_29radix_sort_onesweep_iterationIS3_Lb0EPaS7_N6thrust23THRUST_200600_302600_NS10device_ptrIlEESB_jNS0_19identity_decomposerENS1_16block_id_wrapperIjLb1EEEEE10hipError_tT1_PNSt15iterator_traitsISG_E10value_typeET2_T3_PNSH_ISM_E10value_typeET4_T5_PSR_SS_PNS1_23onesweep_lookback_stateEbbT6_jjT7_P12ihipStream_tbENKUlT_T0_SG_SL_E_clIS7_S7_PlSB_EEDaSZ_S10_SG_SL_EUlSZ_E_NS1_11comp_targetILNS1_3genE6ELNS1_11target_archE950ELNS1_3gpuE13ELNS1_3repE0EEENS1_47radix_sort_onesweep_sort_config_static_selectorELNS0_4arch9wavefront6targetE1EEEvSG_.has_recursion, 0
	.set _ZN7rocprim17ROCPRIM_400000_NS6detail17trampoline_kernelINS0_14default_configENS1_35radix_sort_onesweep_config_selectorIalEEZZNS1_29radix_sort_onesweep_iterationIS3_Lb0EPaS7_N6thrust23THRUST_200600_302600_NS10device_ptrIlEESB_jNS0_19identity_decomposerENS1_16block_id_wrapperIjLb1EEEEE10hipError_tT1_PNSt15iterator_traitsISG_E10value_typeET2_T3_PNSH_ISM_E10value_typeET4_T5_PSR_SS_PNS1_23onesweep_lookback_stateEbbT6_jjT7_P12ihipStream_tbENKUlT_T0_SG_SL_E_clIS7_S7_PlSB_EEDaSZ_S10_SG_SL_EUlSZ_E_NS1_11comp_targetILNS1_3genE6ELNS1_11target_archE950ELNS1_3gpuE13ELNS1_3repE0EEENS1_47radix_sort_onesweep_sort_config_static_selectorELNS0_4arch9wavefront6targetE1EEEvSG_.has_indirect_call, 0
	.section	.AMDGPU.csdata,"",@progbits
; Kernel info:
; codeLenInByte = 0
; TotalNumSgprs: 4
; NumVgprs: 0
; ScratchSize: 0
; MemoryBound: 0
; FloatMode: 240
; IeeeMode: 1
; LDSByteSize: 0 bytes/workgroup (compile time only)
; SGPRBlocks: 0
; VGPRBlocks: 0
; NumSGPRsForWavesPerEU: 4
; NumVGPRsForWavesPerEU: 1
; Occupancy: 10
; WaveLimiterHint : 0
; COMPUTE_PGM_RSRC2:SCRATCH_EN: 0
; COMPUTE_PGM_RSRC2:USER_SGPR: 6
; COMPUTE_PGM_RSRC2:TRAP_HANDLER: 0
; COMPUTE_PGM_RSRC2:TGID_X_EN: 1
; COMPUTE_PGM_RSRC2:TGID_Y_EN: 0
; COMPUTE_PGM_RSRC2:TGID_Z_EN: 0
; COMPUTE_PGM_RSRC2:TIDIG_COMP_CNT: 0
	.section	.text._ZN7rocprim17ROCPRIM_400000_NS6detail17trampoline_kernelINS0_14default_configENS1_35radix_sort_onesweep_config_selectorIalEEZZNS1_29radix_sort_onesweep_iterationIS3_Lb0EPaS7_N6thrust23THRUST_200600_302600_NS10device_ptrIlEESB_jNS0_19identity_decomposerENS1_16block_id_wrapperIjLb1EEEEE10hipError_tT1_PNSt15iterator_traitsISG_E10value_typeET2_T3_PNSH_ISM_E10value_typeET4_T5_PSR_SS_PNS1_23onesweep_lookback_stateEbbT6_jjT7_P12ihipStream_tbENKUlT_T0_SG_SL_E_clIS7_S7_PlSB_EEDaSZ_S10_SG_SL_EUlSZ_E_NS1_11comp_targetILNS1_3genE5ELNS1_11target_archE942ELNS1_3gpuE9ELNS1_3repE0EEENS1_47radix_sort_onesweep_sort_config_static_selectorELNS0_4arch9wavefront6targetE1EEEvSG_,"axG",@progbits,_ZN7rocprim17ROCPRIM_400000_NS6detail17trampoline_kernelINS0_14default_configENS1_35radix_sort_onesweep_config_selectorIalEEZZNS1_29radix_sort_onesweep_iterationIS3_Lb0EPaS7_N6thrust23THRUST_200600_302600_NS10device_ptrIlEESB_jNS0_19identity_decomposerENS1_16block_id_wrapperIjLb1EEEEE10hipError_tT1_PNSt15iterator_traitsISG_E10value_typeET2_T3_PNSH_ISM_E10value_typeET4_T5_PSR_SS_PNS1_23onesweep_lookback_stateEbbT6_jjT7_P12ihipStream_tbENKUlT_T0_SG_SL_E_clIS7_S7_PlSB_EEDaSZ_S10_SG_SL_EUlSZ_E_NS1_11comp_targetILNS1_3genE5ELNS1_11target_archE942ELNS1_3gpuE9ELNS1_3repE0EEENS1_47radix_sort_onesweep_sort_config_static_selectorELNS0_4arch9wavefront6targetE1EEEvSG_,comdat
	.protected	_ZN7rocprim17ROCPRIM_400000_NS6detail17trampoline_kernelINS0_14default_configENS1_35radix_sort_onesweep_config_selectorIalEEZZNS1_29radix_sort_onesweep_iterationIS3_Lb0EPaS7_N6thrust23THRUST_200600_302600_NS10device_ptrIlEESB_jNS0_19identity_decomposerENS1_16block_id_wrapperIjLb1EEEEE10hipError_tT1_PNSt15iterator_traitsISG_E10value_typeET2_T3_PNSH_ISM_E10value_typeET4_T5_PSR_SS_PNS1_23onesweep_lookback_stateEbbT6_jjT7_P12ihipStream_tbENKUlT_T0_SG_SL_E_clIS7_S7_PlSB_EEDaSZ_S10_SG_SL_EUlSZ_E_NS1_11comp_targetILNS1_3genE5ELNS1_11target_archE942ELNS1_3gpuE9ELNS1_3repE0EEENS1_47radix_sort_onesweep_sort_config_static_selectorELNS0_4arch9wavefront6targetE1EEEvSG_ ; -- Begin function _ZN7rocprim17ROCPRIM_400000_NS6detail17trampoline_kernelINS0_14default_configENS1_35radix_sort_onesweep_config_selectorIalEEZZNS1_29radix_sort_onesweep_iterationIS3_Lb0EPaS7_N6thrust23THRUST_200600_302600_NS10device_ptrIlEESB_jNS0_19identity_decomposerENS1_16block_id_wrapperIjLb1EEEEE10hipError_tT1_PNSt15iterator_traitsISG_E10value_typeET2_T3_PNSH_ISM_E10value_typeET4_T5_PSR_SS_PNS1_23onesweep_lookback_stateEbbT6_jjT7_P12ihipStream_tbENKUlT_T0_SG_SL_E_clIS7_S7_PlSB_EEDaSZ_S10_SG_SL_EUlSZ_E_NS1_11comp_targetILNS1_3genE5ELNS1_11target_archE942ELNS1_3gpuE9ELNS1_3repE0EEENS1_47radix_sort_onesweep_sort_config_static_selectorELNS0_4arch9wavefront6targetE1EEEvSG_
	.globl	_ZN7rocprim17ROCPRIM_400000_NS6detail17trampoline_kernelINS0_14default_configENS1_35radix_sort_onesweep_config_selectorIalEEZZNS1_29radix_sort_onesweep_iterationIS3_Lb0EPaS7_N6thrust23THRUST_200600_302600_NS10device_ptrIlEESB_jNS0_19identity_decomposerENS1_16block_id_wrapperIjLb1EEEEE10hipError_tT1_PNSt15iterator_traitsISG_E10value_typeET2_T3_PNSH_ISM_E10value_typeET4_T5_PSR_SS_PNS1_23onesweep_lookback_stateEbbT6_jjT7_P12ihipStream_tbENKUlT_T0_SG_SL_E_clIS7_S7_PlSB_EEDaSZ_S10_SG_SL_EUlSZ_E_NS1_11comp_targetILNS1_3genE5ELNS1_11target_archE942ELNS1_3gpuE9ELNS1_3repE0EEENS1_47radix_sort_onesweep_sort_config_static_selectorELNS0_4arch9wavefront6targetE1EEEvSG_
	.p2align	8
	.type	_ZN7rocprim17ROCPRIM_400000_NS6detail17trampoline_kernelINS0_14default_configENS1_35radix_sort_onesweep_config_selectorIalEEZZNS1_29radix_sort_onesweep_iterationIS3_Lb0EPaS7_N6thrust23THRUST_200600_302600_NS10device_ptrIlEESB_jNS0_19identity_decomposerENS1_16block_id_wrapperIjLb1EEEEE10hipError_tT1_PNSt15iterator_traitsISG_E10value_typeET2_T3_PNSH_ISM_E10value_typeET4_T5_PSR_SS_PNS1_23onesweep_lookback_stateEbbT6_jjT7_P12ihipStream_tbENKUlT_T0_SG_SL_E_clIS7_S7_PlSB_EEDaSZ_S10_SG_SL_EUlSZ_E_NS1_11comp_targetILNS1_3genE5ELNS1_11target_archE942ELNS1_3gpuE9ELNS1_3repE0EEENS1_47radix_sort_onesweep_sort_config_static_selectorELNS0_4arch9wavefront6targetE1EEEvSG_,@function
_ZN7rocprim17ROCPRIM_400000_NS6detail17trampoline_kernelINS0_14default_configENS1_35radix_sort_onesweep_config_selectorIalEEZZNS1_29radix_sort_onesweep_iterationIS3_Lb0EPaS7_N6thrust23THRUST_200600_302600_NS10device_ptrIlEESB_jNS0_19identity_decomposerENS1_16block_id_wrapperIjLb1EEEEE10hipError_tT1_PNSt15iterator_traitsISG_E10value_typeET2_T3_PNSH_ISM_E10value_typeET4_T5_PSR_SS_PNS1_23onesweep_lookback_stateEbbT6_jjT7_P12ihipStream_tbENKUlT_T0_SG_SL_E_clIS7_S7_PlSB_EEDaSZ_S10_SG_SL_EUlSZ_E_NS1_11comp_targetILNS1_3genE5ELNS1_11target_archE942ELNS1_3gpuE9ELNS1_3repE0EEENS1_47radix_sort_onesweep_sort_config_static_selectorELNS0_4arch9wavefront6targetE1EEEvSG_: ; @_ZN7rocprim17ROCPRIM_400000_NS6detail17trampoline_kernelINS0_14default_configENS1_35radix_sort_onesweep_config_selectorIalEEZZNS1_29radix_sort_onesweep_iterationIS3_Lb0EPaS7_N6thrust23THRUST_200600_302600_NS10device_ptrIlEESB_jNS0_19identity_decomposerENS1_16block_id_wrapperIjLb1EEEEE10hipError_tT1_PNSt15iterator_traitsISG_E10value_typeET2_T3_PNSH_ISM_E10value_typeET4_T5_PSR_SS_PNS1_23onesweep_lookback_stateEbbT6_jjT7_P12ihipStream_tbENKUlT_T0_SG_SL_E_clIS7_S7_PlSB_EEDaSZ_S10_SG_SL_EUlSZ_E_NS1_11comp_targetILNS1_3genE5ELNS1_11target_archE942ELNS1_3gpuE9ELNS1_3repE0EEENS1_47radix_sort_onesweep_sort_config_static_selectorELNS0_4arch9wavefront6targetE1EEEvSG_
; %bb.0:
	.section	.rodata,"a",@progbits
	.p2align	6, 0x0
	.amdhsa_kernel _ZN7rocprim17ROCPRIM_400000_NS6detail17trampoline_kernelINS0_14default_configENS1_35radix_sort_onesweep_config_selectorIalEEZZNS1_29radix_sort_onesweep_iterationIS3_Lb0EPaS7_N6thrust23THRUST_200600_302600_NS10device_ptrIlEESB_jNS0_19identity_decomposerENS1_16block_id_wrapperIjLb1EEEEE10hipError_tT1_PNSt15iterator_traitsISG_E10value_typeET2_T3_PNSH_ISM_E10value_typeET4_T5_PSR_SS_PNS1_23onesweep_lookback_stateEbbT6_jjT7_P12ihipStream_tbENKUlT_T0_SG_SL_E_clIS7_S7_PlSB_EEDaSZ_S10_SG_SL_EUlSZ_E_NS1_11comp_targetILNS1_3genE5ELNS1_11target_archE942ELNS1_3gpuE9ELNS1_3repE0EEENS1_47radix_sort_onesweep_sort_config_static_selectorELNS0_4arch9wavefront6targetE1EEEvSG_
		.amdhsa_group_segment_fixed_size 0
		.amdhsa_private_segment_fixed_size 0
		.amdhsa_kernarg_size 88
		.amdhsa_user_sgpr_count 6
		.amdhsa_user_sgpr_private_segment_buffer 1
		.amdhsa_user_sgpr_dispatch_ptr 0
		.amdhsa_user_sgpr_queue_ptr 0
		.amdhsa_user_sgpr_kernarg_segment_ptr 1
		.amdhsa_user_sgpr_dispatch_id 0
		.amdhsa_user_sgpr_flat_scratch_init 0
		.amdhsa_user_sgpr_private_segment_size 0
		.amdhsa_uses_dynamic_stack 0
		.amdhsa_system_sgpr_private_segment_wavefront_offset 0
		.amdhsa_system_sgpr_workgroup_id_x 1
		.amdhsa_system_sgpr_workgroup_id_y 0
		.amdhsa_system_sgpr_workgroup_id_z 0
		.amdhsa_system_sgpr_workgroup_info 0
		.amdhsa_system_vgpr_workitem_id 0
		.amdhsa_next_free_vgpr 1
		.amdhsa_next_free_sgpr 0
		.amdhsa_reserve_vcc 0
		.amdhsa_reserve_flat_scratch 0
		.amdhsa_float_round_mode_32 0
		.amdhsa_float_round_mode_16_64 0
		.amdhsa_float_denorm_mode_32 3
		.amdhsa_float_denorm_mode_16_64 3
		.amdhsa_dx10_clamp 1
		.amdhsa_ieee_mode 1
		.amdhsa_fp16_overflow 0
		.amdhsa_exception_fp_ieee_invalid_op 0
		.amdhsa_exception_fp_denorm_src 0
		.amdhsa_exception_fp_ieee_div_zero 0
		.amdhsa_exception_fp_ieee_overflow 0
		.amdhsa_exception_fp_ieee_underflow 0
		.amdhsa_exception_fp_ieee_inexact 0
		.amdhsa_exception_int_div_zero 0
	.end_amdhsa_kernel
	.section	.text._ZN7rocprim17ROCPRIM_400000_NS6detail17trampoline_kernelINS0_14default_configENS1_35radix_sort_onesweep_config_selectorIalEEZZNS1_29radix_sort_onesweep_iterationIS3_Lb0EPaS7_N6thrust23THRUST_200600_302600_NS10device_ptrIlEESB_jNS0_19identity_decomposerENS1_16block_id_wrapperIjLb1EEEEE10hipError_tT1_PNSt15iterator_traitsISG_E10value_typeET2_T3_PNSH_ISM_E10value_typeET4_T5_PSR_SS_PNS1_23onesweep_lookback_stateEbbT6_jjT7_P12ihipStream_tbENKUlT_T0_SG_SL_E_clIS7_S7_PlSB_EEDaSZ_S10_SG_SL_EUlSZ_E_NS1_11comp_targetILNS1_3genE5ELNS1_11target_archE942ELNS1_3gpuE9ELNS1_3repE0EEENS1_47radix_sort_onesweep_sort_config_static_selectorELNS0_4arch9wavefront6targetE1EEEvSG_,"axG",@progbits,_ZN7rocprim17ROCPRIM_400000_NS6detail17trampoline_kernelINS0_14default_configENS1_35radix_sort_onesweep_config_selectorIalEEZZNS1_29radix_sort_onesweep_iterationIS3_Lb0EPaS7_N6thrust23THRUST_200600_302600_NS10device_ptrIlEESB_jNS0_19identity_decomposerENS1_16block_id_wrapperIjLb1EEEEE10hipError_tT1_PNSt15iterator_traitsISG_E10value_typeET2_T3_PNSH_ISM_E10value_typeET4_T5_PSR_SS_PNS1_23onesweep_lookback_stateEbbT6_jjT7_P12ihipStream_tbENKUlT_T0_SG_SL_E_clIS7_S7_PlSB_EEDaSZ_S10_SG_SL_EUlSZ_E_NS1_11comp_targetILNS1_3genE5ELNS1_11target_archE942ELNS1_3gpuE9ELNS1_3repE0EEENS1_47radix_sort_onesweep_sort_config_static_selectorELNS0_4arch9wavefront6targetE1EEEvSG_,comdat
.Lfunc_end620:
	.size	_ZN7rocprim17ROCPRIM_400000_NS6detail17trampoline_kernelINS0_14default_configENS1_35radix_sort_onesweep_config_selectorIalEEZZNS1_29radix_sort_onesweep_iterationIS3_Lb0EPaS7_N6thrust23THRUST_200600_302600_NS10device_ptrIlEESB_jNS0_19identity_decomposerENS1_16block_id_wrapperIjLb1EEEEE10hipError_tT1_PNSt15iterator_traitsISG_E10value_typeET2_T3_PNSH_ISM_E10value_typeET4_T5_PSR_SS_PNS1_23onesweep_lookback_stateEbbT6_jjT7_P12ihipStream_tbENKUlT_T0_SG_SL_E_clIS7_S7_PlSB_EEDaSZ_S10_SG_SL_EUlSZ_E_NS1_11comp_targetILNS1_3genE5ELNS1_11target_archE942ELNS1_3gpuE9ELNS1_3repE0EEENS1_47radix_sort_onesweep_sort_config_static_selectorELNS0_4arch9wavefront6targetE1EEEvSG_, .Lfunc_end620-_ZN7rocprim17ROCPRIM_400000_NS6detail17trampoline_kernelINS0_14default_configENS1_35radix_sort_onesweep_config_selectorIalEEZZNS1_29radix_sort_onesweep_iterationIS3_Lb0EPaS7_N6thrust23THRUST_200600_302600_NS10device_ptrIlEESB_jNS0_19identity_decomposerENS1_16block_id_wrapperIjLb1EEEEE10hipError_tT1_PNSt15iterator_traitsISG_E10value_typeET2_T3_PNSH_ISM_E10value_typeET4_T5_PSR_SS_PNS1_23onesweep_lookback_stateEbbT6_jjT7_P12ihipStream_tbENKUlT_T0_SG_SL_E_clIS7_S7_PlSB_EEDaSZ_S10_SG_SL_EUlSZ_E_NS1_11comp_targetILNS1_3genE5ELNS1_11target_archE942ELNS1_3gpuE9ELNS1_3repE0EEENS1_47radix_sort_onesweep_sort_config_static_selectorELNS0_4arch9wavefront6targetE1EEEvSG_
                                        ; -- End function
	.set _ZN7rocprim17ROCPRIM_400000_NS6detail17trampoline_kernelINS0_14default_configENS1_35radix_sort_onesweep_config_selectorIalEEZZNS1_29radix_sort_onesweep_iterationIS3_Lb0EPaS7_N6thrust23THRUST_200600_302600_NS10device_ptrIlEESB_jNS0_19identity_decomposerENS1_16block_id_wrapperIjLb1EEEEE10hipError_tT1_PNSt15iterator_traitsISG_E10value_typeET2_T3_PNSH_ISM_E10value_typeET4_T5_PSR_SS_PNS1_23onesweep_lookback_stateEbbT6_jjT7_P12ihipStream_tbENKUlT_T0_SG_SL_E_clIS7_S7_PlSB_EEDaSZ_S10_SG_SL_EUlSZ_E_NS1_11comp_targetILNS1_3genE5ELNS1_11target_archE942ELNS1_3gpuE9ELNS1_3repE0EEENS1_47radix_sort_onesweep_sort_config_static_selectorELNS0_4arch9wavefront6targetE1EEEvSG_.num_vgpr, 0
	.set _ZN7rocprim17ROCPRIM_400000_NS6detail17trampoline_kernelINS0_14default_configENS1_35radix_sort_onesweep_config_selectorIalEEZZNS1_29radix_sort_onesweep_iterationIS3_Lb0EPaS7_N6thrust23THRUST_200600_302600_NS10device_ptrIlEESB_jNS0_19identity_decomposerENS1_16block_id_wrapperIjLb1EEEEE10hipError_tT1_PNSt15iterator_traitsISG_E10value_typeET2_T3_PNSH_ISM_E10value_typeET4_T5_PSR_SS_PNS1_23onesweep_lookback_stateEbbT6_jjT7_P12ihipStream_tbENKUlT_T0_SG_SL_E_clIS7_S7_PlSB_EEDaSZ_S10_SG_SL_EUlSZ_E_NS1_11comp_targetILNS1_3genE5ELNS1_11target_archE942ELNS1_3gpuE9ELNS1_3repE0EEENS1_47radix_sort_onesweep_sort_config_static_selectorELNS0_4arch9wavefront6targetE1EEEvSG_.num_agpr, 0
	.set _ZN7rocprim17ROCPRIM_400000_NS6detail17trampoline_kernelINS0_14default_configENS1_35radix_sort_onesweep_config_selectorIalEEZZNS1_29radix_sort_onesweep_iterationIS3_Lb0EPaS7_N6thrust23THRUST_200600_302600_NS10device_ptrIlEESB_jNS0_19identity_decomposerENS1_16block_id_wrapperIjLb1EEEEE10hipError_tT1_PNSt15iterator_traitsISG_E10value_typeET2_T3_PNSH_ISM_E10value_typeET4_T5_PSR_SS_PNS1_23onesweep_lookback_stateEbbT6_jjT7_P12ihipStream_tbENKUlT_T0_SG_SL_E_clIS7_S7_PlSB_EEDaSZ_S10_SG_SL_EUlSZ_E_NS1_11comp_targetILNS1_3genE5ELNS1_11target_archE942ELNS1_3gpuE9ELNS1_3repE0EEENS1_47radix_sort_onesweep_sort_config_static_selectorELNS0_4arch9wavefront6targetE1EEEvSG_.numbered_sgpr, 0
	.set _ZN7rocprim17ROCPRIM_400000_NS6detail17trampoline_kernelINS0_14default_configENS1_35radix_sort_onesweep_config_selectorIalEEZZNS1_29radix_sort_onesweep_iterationIS3_Lb0EPaS7_N6thrust23THRUST_200600_302600_NS10device_ptrIlEESB_jNS0_19identity_decomposerENS1_16block_id_wrapperIjLb1EEEEE10hipError_tT1_PNSt15iterator_traitsISG_E10value_typeET2_T3_PNSH_ISM_E10value_typeET4_T5_PSR_SS_PNS1_23onesweep_lookback_stateEbbT6_jjT7_P12ihipStream_tbENKUlT_T0_SG_SL_E_clIS7_S7_PlSB_EEDaSZ_S10_SG_SL_EUlSZ_E_NS1_11comp_targetILNS1_3genE5ELNS1_11target_archE942ELNS1_3gpuE9ELNS1_3repE0EEENS1_47radix_sort_onesweep_sort_config_static_selectorELNS0_4arch9wavefront6targetE1EEEvSG_.num_named_barrier, 0
	.set _ZN7rocprim17ROCPRIM_400000_NS6detail17trampoline_kernelINS0_14default_configENS1_35radix_sort_onesweep_config_selectorIalEEZZNS1_29radix_sort_onesweep_iterationIS3_Lb0EPaS7_N6thrust23THRUST_200600_302600_NS10device_ptrIlEESB_jNS0_19identity_decomposerENS1_16block_id_wrapperIjLb1EEEEE10hipError_tT1_PNSt15iterator_traitsISG_E10value_typeET2_T3_PNSH_ISM_E10value_typeET4_T5_PSR_SS_PNS1_23onesweep_lookback_stateEbbT6_jjT7_P12ihipStream_tbENKUlT_T0_SG_SL_E_clIS7_S7_PlSB_EEDaSZ_S10_SG_SL_EUlSZ_E_NS1_11comp_targetILNS1_3genE5ELNS1_11target_archE942ELNS1_3gpuE9ELNS1_3repE0EEENS1_47radix_sort_onesweep_sort_config_static_selectorELNS0_4arch9wavefront6targetE1EEEvSG_.private_seg_size, 0
	.set _ZN7rocprim17ROCPRIM_400000_NS6detail17trampoline_kernelINS0_14default_configENS1_35radix_sort_onesweep_config_selectorIalEEZZNS1_29radix_sort_onesweep_iterationIS3_Lb0EPaS7_N6thrust23THRUST_200600_302600_NS10device_ptrIlEESB_jNS0_19identity_decomposerENS1_16block_id_wrapperIjLb1EEEEE10hipError_tT1_PNSt15iterator_traitsISG_E10value_typeET2_T3_PNSH_ISM_E10value_typeET4_T5_PSR_SS_PNS1_23onesweep_lookback_stateEbbT6_jjT7_P12ihipStream_tbENKUlT_T0_SG_SL_E_clIS7_S7_PlSB_EEDaSZ_S10_SG_SL_EUlSZ_E_NS1_11comp_targetILNS1_3genE5ELNS1_11target_archE942ELNS1_3gpuE9ELNS1_3repE0EEENS1_47radix_sort_onesweep_sort_config_static_selectorELNS0_4arch9wavefront6targetE1EEEvSG_.uses_vcc, 0
	.set _ZN7rocprim17ROCPRIM_400000_NS6detail17trampoline_kernelINS0_14default_configENS1_35radix_sort_onesweep_config_selectorIalEEZZNS1_29radix_sort_onesweep_iterationIS3_Lb0EPaS7_N6thrust23THRUST_200600_302600_NS10device_ptrIlEESB_jNS0_19identity_decomposerENS1_16block_id_wrapperIjLb1EEEEE10hipError_tT1_PNSt15iterator_traitsISG_E10value_typeET2_T3_PNSH_ISM_E10value_typeET4_T5_PSR_SS_PNS1_23onesweep_lookback_stateEbbT6_jjT7_P12ihipStream_tbENKUlT_T0_SG_SL_E_clIS7_S7_PlSB_EEDaSZ_S10_SG_SL_EUlSZ_E_NS1_11comp_targetILNS1_3genE5ELNS1_11target_archE942ELNS1_3gpuE9ELNS1_3repE0EEENS1_47radix_sort_onesweep_sort_config_static_selectorELNS0_4arch9wavefront6targetE1EEEvSG_.uses_flat_scratch, 0
	.set _ZN7rocprim17ROCPRIM_400000_NS6detail17trampoline_kernelINS0_14default_configENS1_35radix_sort_onesweep_config_selectorIalEEZZNS1_29radix_sort_onesweep_iterationIS3_Lb0EPaS7_N6thrust23THRUST_200600_302600_NS10device_ptrIlEESB_jNS0_19identity_decomposerENS1_16block_id_wrapperIjLb1EEEEE10hipError_tT1_PNSt15iterator_traitsISG_E10value_typeET2_T3_PNSH_ISM_E10value_typeET4_T5_PSR_SS_PNS1_23onesweep_lookback_stateEbbT6_jjT7_P12ihipStream_tbENKUlT_T0_SG_SL_E_clIS7_S7_PlSB_EEDaSZ_S10_SG_SL_EUlSZ_E_NS1_11comp_targetILNS1_3genE5ELNS1_11target_archE942ELNS1_3gpuE9ELNS1_3repE0EEENS1_47radix_sort_onesweep_sort_config_static_selectorELNS0_4arch9wavefront6targetE1EEEvSG_.has_dyn_sized_stack, 0
	.set _ZN7rocprim17ROCPRIM_400000_NS6detail17trampoline_kernelINS0_14default_configENS1_35radix_sort_onesweep_config_selectorIalEEZZNS1_29radix_sort_onesweep_iterationIS3_Lb0EPaS7_N6thrust23THRUST_200600_302600_NS10device_ptrIlEESB_jNS0_19identity_decomposerENS1_16block_id_wrapperIjLb1EEEEE10hipError_tT1_PNSt15iterator_traitsISG_E10value_typeET2_T3_PNSH_ISM_E10value_typeET4_T5_PSR_SS_PNS1_23onesweep_lookback_stateEbbT6_jjT7_P12ihipStream_tbENKUlT_T0_SG_SL_E_clIS7_S7_PlSB_EEDaSZ_S10_SG_SL_EUlSZ_E_NS1_11comp_targetILNS1_3genE5ELNS1_11target_archE942ELNS1_3gpuE9ELNS1_3repE0EEENS1_47radix_sort_onesweep_sort_config_static_selectorELNS0_4arch9wavefront6targetE1EEEvSG_.has_recursion, 0
	.set _ZN7rocprim17ROCPRIM_400000_NS6detail17trampoline_kernelINS0_14default_configENS1_35radix_sort_onesweep_config_selectorIalEEZZNS1_29radix_sort_onesweep_iterationIS3_Lb0EPaS7_N6thrust23THRUST_200600_302600_NS10device_ptrIlEESB_jNS0_19identity_decomposerENS1_16block_id_wrapperIjLb1EEEEE10hipError_tT1_PNSt15iterator_traitsISG_E10value_typeET2_T3_PNSH_ISM_E10value_typeET4_T5_PSR_SS_PNS1_23onesweep_lookback_stateEbbT6_jjT7_P12ihipStream_tbENKUlT_T0_SG_SL_E_clIS7_S7_PlSB_EEDaSZ_S10_SG_SL_EUlSZ_E_NS1_11comp_targetILNS1_3genE5ELNS1_11target_archE942ELNS1_3gpuE9ELNS1_3repE0EEENS1_47radix_sort_onesweep_sort_config_static_selectorELNS0_4arch9wavefront6targetE1EEEvSG_.has_indirect_call, 0
	.section	.AMDGPU.csdata,"",@progbits
; Kernel info:
; codeLenInByte = 0
; TotalNumSgprs: 4
; NumVgprs: 0
; ScratchSize: 0
; MemoryBound: 0
; FloatMode: 240
; IeeeMode: 1
; LDSByteSize: 0 bytes/workgroup (compile time only)
; SGPRBlocks: 0
; VGPRBlocks: 0
; NumSGPRsForWavesPerEU: 4
; NumVGPRsForWavesPerEU: 1
; Occupancy: 10
; WaveLimiterHint : 0
; COMPUTE_PGM_RSRC2:SCRATCH_EN: 0
; COMPUTE_PGM_RSRC2:USER_SGPR: 6
; COMPUTE_PGM_RSRC2:TRAP_HANDLER: 0
; COMPUTE_PGM_RSRC2:TGID_X_EN: 1
; COMPUTE_PGM_RSRC2:TGID_Y_EN: 0
; COMPUTE_PGM_RSRC2:TGID_Z_EN: 0
; COMPUTE_PGM_RSRC2:TIDIG_COMP_CNT: 0
	.section	.text._ZN7rocprim17ROCPRIM_400000_NS6detail17trampoline_kernelINS0_14default_configENS1_35radix_sort_onesweep_config_selectorIalEEZZNS1_29radix_sort_onesweep_iterationIS3_Lb0EPaS7_N6thrust23THRUST_200600_302600_NS10device_ptrIlEESB_jNS0_19identity_decomposerENS1_16block_id_wrapperIjLb1EEEEE10hipError_tT1_PNSt15iterator_traitsISG_E10value_typeET2_T3_PNSH_ISM_E10value_typeET4_T5_PSR_SS_PNS1_23onesweep_lookback_stateEbbT6_jjT7_P12ihipStream_tbENKUlT_T0_SG_SL_E_clIS7_S7_PlSB_EEDaSZ_S10_SG_SL_EUlSZ_E_NS1_11comp_targetILNS1_3genE2ELNS1_11target_archE906ELNS1_3gpuE6ELNS1_3repE0EEENS1_47radix_sort_onesweep_sort_config_static_selectorELNS0_4arch9wavefront6targetE1EEEvSG_,"axG",@progbits,_ZN7rocprim17ROCPRIM_400000_NS6detail17trampoline_kernelINS0_14default_configENS1_35radix_sort_onesweep_config_selectorIalEEZZNS1_29radix_sort_onesweep_iterationIS3_Lb0EPaS7_N6thrust23THRUST_200600_302600_NS10device_ptrIlEESB_jNS0_19identity_decomposerENS1_16block_id_wrapperIjLb1EEEEE10hipError_tT1_PNSt15iterator_traitsISG_E10value_typeET2_T3_PNSH_ISM_E10value_typeET4_T5_PSR_SS_PNS1_23onesweep_lookback_stateEbbT6_jjT7_P12ihipStream_tbENKUlT_T0_SG_SL_E_clIS7_S7_PlSB_EEDaSZ_S10_SG_SL_EUlSZ_E_NS1_11comp_targetILNS1_3genE2ELNS1_11target_archE906ELNS1_3gpuE6ELNS1_3repE0EEENS1_47radix_sort_onesweep_sort_config_static_selectorELNS0_4arch9wavefront6targetE1EEEvSG_,comdat
	.protected	_ZN7rocprim17ROCPRIM_400000_NS6detail17trampoline_kernelINS0_14default_configENS1_35radix_sort_onesweep_config_selectorIalEEZZNS1_29radix_sort_onesweep_iterationIS3_Lb0EPaS7_N6thrust23THRUST_200600_302600_NS10device_ptrIlEESB_jNS0_19identity_decomposerENS1_16block_id_wrapperIjLb1EEEEE10hipError_tT1_PNSt15iterator_traitsISG_E10value_typeET2_T3_PNSH_ISM_E10value_typeET4_T5_PSR_SS_PNS1_23onesweep_lookback_stateEbbT6_jjT7_P12ihipStream_tbENKUlT_T0_SG_SL_E_clIS7_S7_PlSB_EEDaSZ_S10_SG_SL_EUlSZ_E_NS1_11comp_targetILNS1_3genE2ELNS1_11target_archE906ELNS1_3gpuE6ELNS1_3repE0EEENS1_47radix_sort_onesweep_sort_config_static_selectorELNS0_4arch9wavefront6targetE1EEEvSG_ ; -- Begin function _ZN7rocprim17ROCPRIM_400000_NS6detail17trampoline_kernelINS0_14default_configENS1_35radix_sort_onesweep_config_selectorIalEEZZNS1_29radix_sort_onesweep_iterationIS3_Lb0EPaS7_N6thrust23THRUST_200600_302600_NS10device_ptrIlEESB_jNS0_19identity_decomposerENS1_16block_id_wrapperIjLb1EEEEE10hipError_tT1_PNSt15iterator_traitsISG_E10value_typeET2_T3_PNSH_ISM_E10value_typeET4_T5_PSR_SS_PNS1_23onesweep_lookback_stateEbbT6_jjT7_P12ihipStream_tbENKUlT_T0_SG_SL_E_clIS7_S7_PlSB_EEDaSZ_S10_SG_SL_EUlSZ_E_NS1_11comp_targetILNS1_3genE2ELNS1_11target_archE906ELNS1_3gpuE6ELNS1_3repE0EEENS1_47radix_sort_onesweep_sort_config_static_selectorELNS0_4arch9wavefront6targetE1EEEvSG_
	.globl	_ZN7rocprim17ROCPRIM_400000_NS6detail17trampoline_kernelINS0_14default_configENS1_35radix_sort_onesweep_config_selectorIalEEZZNS1_29radix_sort_onesweep_iterationIS3_Lb0EPaS7_N6thrust23THRUST_200600_302600_NS10device_ptrIlEESB_jNS0_19identity_decomposerENS1_16block_id_wrapperIjLb1EEEEE10hipError_tT1_PNSt15iterator_traitsISG_E10value_typeET2_T3_PNSH_ISM_E10value_typeET4_T5_PSR_SS_PNS1_23onesweep_lookback_stateEbbT6_jjT7_P12ihipStream_tbENKUlT_T0_SG_SL_E_clIS7_S7_PlSB_EEDaSZ_S10_SG_SL_EUlSZ_E_NS1_11comp_targetILNS1_3genE2ELNS1_11target_archE906ELNS1_3gpuE6ELNS1_3repE0EEENS1_47radix_sort_onesweep_sort_config_static_selectorELNS0_4arch9wavefront6targetE1EEEvSG_
	.p2align	8
	.type	_ZN7rocprim17ROCPRIM_400000_NS6detail17trampoline_kernelINS0_14default_configENS1_35radix_sort_onesweep_config_selectorIalEEZZNS1_29radix_sort_onesweep_iterationIS3_Lb0EPaS7_N6thrust23THRUST_200600_302600_NS10device_ptrIlEESB_jNS0_19identity_decomposerENS1_16block_id_wrapperIjLb1EEEEE10hipError_tT1_PNSt15iterator_traitsISG_E10value_typeET2_T3_PNSH_ISM_E10value_typeET4_T5_PSR_SS_PNS1_23onesweep_lookback_stateEbbT6_jjT7_P12ihipStream_tbENKUlT_T0_SG_SL_E_clIS7_S7_PlSB_EEDaSZ_S10_SG_SL_EUlSZ_E_NS1_11comp_targetILNS1_3genE2ELNS1_11target_archE906ELNS1_3gpuE6ELNS1_3repE0EEENS1_47radix_sort_onesweep_sort_config_static_selectorELNS0_4arch9wavefront6targetE1EEEvSG_,@function
_ZN7rocprim17ROCPRIM_400000_NS6detail17trampoline_kernelINS0_14default_configENS1_35radix_sort_onesweep_config_selectorIalEEZZNS1_29radix_sort_onesweep_iterationIS3_Lb0EPaS7_N6thrust23THRUST_200600_302600_NS10device_ptrIlEESB_jNS0_19identity_decomposerENS1_16block_id_wrapperIjLb1EEEEE10hipError_tT1_PNSt15iterator_traitsISG_E10value_typeET2_T3_PNSH_ISM_E10value_typeET4_T5_PSR_SS_PNS1_23onesweep_lookback_stateEbbT6_jjT7_P12ihipStream_tbENKUlT_T0_SG_SL_E_clIS7_S7_PlSB_EEDaSZ_S10_SG_SL_EUlSZ_E_NS1_11comp_targetILNS1_3genE2ELNS1_11target_archE906ELNS1_3gpuE6ELNS1_3repE0EEENS1_47radix_sort_onesweep_sort_config_static_selectorELNS0_4arch9wavefront6targetE1EEEvSG_: ; @_ZN7rocprim17ROCPRIM_400000_NS6detail17trampoline_kernelINS0_14default_configENS1_35radix_sort_onesweep_config_selectorIalEEZZNS1_29radix_sort_onesweep_iterationIS3_Lb0EPaS7_N6thrust23THRUST_200600_302600_NS10device_ptrIlEESB_jNS0_19identity_decomposerENS1_16block_id_wrapperIjLb1EEEEE10hipError_tT1_PNSt15iterator_traitsISG_E10value_typeET2_T3_PNSH_ISM_E10value_typeET4_T5_PSR_SS_PNS1_23onesweep_lookback_stateEbbT6_jjT7_P12ihipStream_tbENKUlT_T0_SG_SL_E_clIS7_S7_PlSB_EEDaSZ_S10_SG_SL_EUlSZ_E_NS1_11comp_targetILNS1_3genE2ELNS1_11target_archE906ELNS1_3gpuE6ELNS1_3repE0EEENS1_47radix_sort_onesweep_sort_config_static_selectorELNS0_4arch9wavefront6targetE1EEEvSG_
; %bb.0:
	s_load_dwordx4 s[28:31], s[4:5], 0x28
	s_load_dwordx2 s[34:35], s[4:5], 0x38
	s_load_dwordx4 s[44:47], s[4:5], 0x44
	s_add_u32 s0, s0, s7
	s_addc_u32 s1, s1, 0
	v_cmp_eq_u32_e64 s[22:23], 0, v0
	s_and_saveexec_b64 s[8:9], s[22:23]
	s_cbranch_execz .LBB621_4
; %bb.1:
	s_mov_b64 s[12:13], exec
	v_mbcnt_lo_u32_b32 v3, s12, 0
	v_mbcnt_hi_u32_b32 v3, s13, v3
	v_cmp_eq_u32_e32 vcc, 0, v3
                                        ; implicit-def: $vgpr4
	s_and_saveexec_b64 s[10:11], vcc
	s_cbranch_execz .LBB621_3
; %bb.2:
	s_load_dwordx2 s[14:15], s[4:5], 0x50
	s_bcnt1_i32_b64 s7, s[12:13]
	v_mov_b32_e32 v4, 0
	v_mov_b32_e32 v5, s7
	s_waitcnt lgkmcnt(0)
	global_atomic_add v4, v4, v5, s[14:15] glc
.LBB621_3:
	s_or_b64 exec, exec, s[10:11]
	s_waitcnt vmcnt(0)
	v_readfirstlane_b32 s7, v4
	v_add_u32_e32 v3, s7, v3
	v_mov_b32_e32 v4, 0
	ds_write_b32 v4, v3 offset:10272
.LBB621_4:
	s_or_b64 exec, exec, s[8:9]
	v_mov_b32_e32 v3, 0
	s_load_dwordx8 s[36:43], s[4:5], 0x0
	s_load_dword s7, s[4:5], 0x20
	s_waitcnt lgkmcnt(0)
	s_barrier
	ds_read_b32 v3, v3 offset:10272
	s_mov_b64 s[8:9], -1
	v_mbcnt_lo_u32_b32 v17, -1, 0
	s_waitcnt lgkmcnt(0)
	s_barrier
	v_readfirstlane_b32 s33, v3
	v_cmp_le_u32_e32 vcc, s46, v3
	s_mul_i32 s26, s33, 0xc00
	s_cbranch_vccz .LBB621_82
; %bb.5:
	s_mul_i32 s8, s46, 0xfffff400
	s_add_i32 s7, s8, s7
	s_add_u32 s8, s36, s26
	v_mbcnt_hi_u32_b32 v7, -1, v17
	s_addc_u32 s9, s37, 0
	v_and_b32_e32 v10, 63, v7
	v_and_b32_e32 v8, 0x1c0, v0
	v_mov_b32_e32 v3, s9
	v_add_co_u32_e32 v4, vcc, s8, v10
	v_mul_u32_u24_e32 v9, 6, v8
	v_addc_co_u32_e32 v5, vcc, 0, v3, vcc
	v_add_co_u32_e32 v3, vcc, v4, v9
	v_addc_co_u32_e32 v4, vcc, 0, v5, vcc
	v_or_b32_e32 v11, v10, v9
	s_mov_b32 s27, 0
	v_cmp_gt_u32_e32 vcc, s7, v11
	v_mov_b32_e32 v6, 0x7f
	v_mov_b32_e32 v5, 0x7f
	v_mov_b32_e32 v15, 0x7f
	v_mov_b32_e32 v20, 0x7f
	v_mov_b32_e32 v22, 0x7f
	v_mov_b32_e32 v14, 0x7f
	s_and_saveexec_b64 s[8:9], vcc
	s_cbranch_execz .LBB621_7
; %bb.6:
	global_load_ubyte v5, v[3:4], off
	v_mov_b32_e32 v6, 0x7f
	v_mov_b32_e32 v15, 0x7f
	;; [unrolled: 1-line block ×5, first 2 shown]
.LBB621_7:
	s_or_b64 exec, exec, s[8:9]
	v_or_b32_e32 v12, 64, v11
	v_cmp_gt_u32_e64 s[8:9], s7, v12
	s_and_saveexec_b64 s[10:11], s[8:9]
	s_cbranch_execz .LBB621_9
; %bb.8:
	global_load_ubyte v15, v[3:4], off offset:64
.LBB621_9:
	s_or_b64 exec, exec, s[10:11]
	v_add_u32_e32 v12, 0x80, v11
	v_cmp_gt_u32_e64 s[10:11], s7, v12
	s_and_saveexec_b64 s[12:13], s[10:11]
	s_cbranch_execz .LBB621_11
; %bb.10:
	global_load_ubyte v20, v[3:4], off offset:128
.LBB621_11:
	s_or_b64 exec, exec, s[12:13]
	v_add_u32_e32 v12, 0xc0, v11
	;; [unrolled: 8-line block ×4, first 2 shown]
	v_cmp_gt_u32_e64 s[16:17], s7, v11
	s_and_saveexec_b64 s[18:19], s[16:17]
	s_cbranch_execz .LBB621_17
; %bb.16:
	global_load_ubyte v6, v[3:4], off offset:320
.LBB621_17:
	s_or_b64 exec, exec, s[18:19]
	s_load_dword s18, s[4:5], 0x64
	s_load_dword s52, s[4:5], 0x58
	s_add_u32 s19, s4, 0x58
	s_addc_u32 s20, s5, 0
	v_mov_b32_e32 v3, 0
	s_waitcnt lgkmcnt(0)
	s_lshr_b32 s21, s18, 16
	s_cmp_lt_u32 s6, s52
	s_cselect_b32 s18, 12, 18
	s_add_u32 s18, s19, s18
	s_addc_u32 s19, s20, 0
	global_load_ushort v13, v3, s[18:19]
	s_waitcnt vmcnt(1)
	v_xor_b32_e32 v11, 0xffffff80, v5
	s_lshl_b32 s18, -1, s45
	v_lshrrev_b32_sdwa v4, s44, v11 dst_sel:DWORD dst_unused:UNUSED_PAD src0_sel:DWORD src1_sel:BYTE_0
	s_not_b32 s53, s18
	v_and_b32_e32 v16, s53, v4
	v_and_b32_e32 v18, 1, v16
	v_add_co_u32_e64 v19, s[18:19], -1, v18
	v_lshlrev_b32_e32 v4, 30, v16
	v_addc_co_u32_e64 v23, s[18:19], 0, -1, s[18:19]
	v_mad_u32_u24 v5, v2, s21, v1
	v_cmp_ne_u32_e64 s[18:19], 0, v18
	v_cmp_gt_i64_e64 s[20:21], 0, v[3:4]
	v_not_b32_e32 v18, v4
	v_lshlrev_b32_e32 v4, 29, v16
	v_xor_b32_e32 v23, s19, v23
	v_xor_b32_e32 v19, s18, v19
	v_ashrrev_i32_e32 v18, 31, v18
	v_cmp_gt_i64_e64 s[18:19], 0, v[3:4]
	v_not_b32_e32 v24, v4
	v_lshlrev_b32_e32 v4, 28, v16
	v_and_b32_e32 v23, exec_hi, v23
	v_and_b32_e32 v19, exec_lo, v19
	v_xor_b32_e32 v25, s21, v18
	v_xor_b32_e32 v18, s20, v18
	v_ashrrev_i32_e32 v24, 31, v24
	v_cmp_gt_i64_e64 s[20:21], 0, v[3:4]
	v_not_b32_e32 v26, v4
	v_lshlrev_b32_e32 v4, 27, v16
	v_and_b32_e32 v23, v23, v25
	v_and_b32_e32 v18, v19, v18
	v_xor_b32_e32 v19, s19, v24
	v_xor_b32_e32 v24, s18, v24
	v_ashrrev_i32_e32 v25, 31, v26
	v_cmp_gt_i64_e64 s[18:19], 0, v[3:4]
	v_not_b32_e32 v26, v4
	v_lshlrev_b32_e32 v4, 26, v16
	v_and_b32_e32 v19, v23, v19
	v_and_b32_e32 v18, v18, v24
	v_xor_b32_e32 v23, s21, v25
	v_xor_b32_e32 v24, s20, v25
	v_ashrrev_i32_e32 v25, 31, v26
	v_cmp_gt_i64_e64 s[20:21], 0, v[3:4]
	v_not_b32_e32 v26, v4
	v_lshlrev_b32_e32 v4, 25, v16
	v_and_b32_e32 v19, v19, v23
	v_and_b32_e32 v18, v18, v24
	v_xor_b32_e32 v23, s19, v25
	v_xor_b32_e32 v24, s18, v25
	v_ashrrev_i32_e32 v25, 31, v26
	v_cmp_gt_i64_e64 s[18:19], 0, v[3:4]
	v_not_b32_e32 v26, v4
	v_mul_u32_u24_e32 v21, 36, v16
	v_lshlrev_b32_e32 v4, 24, v16
	v_and_b32_e32 v16, v19, v23
	v_and_b32_e32 v18, v18, v24
	v_xor_b32_e32 v19, s21, v25
	v_xor_b32_e32 v23, s20, v25
	v_ashrrev_i32_e32 v24, 31, v26
	v_and_b32_e32 v16, v16, v19
	v_and_b32_e32 v18, v18, v23
	v_xor_b32_e32 v19, s19, v24
	v_xor_b32_e32 v23, s18, v24
	v_and_b32_e32 v16, v16, v19
	v_and_b32_e32 v23, v18, v23
	v_cmp_gt_i64_e64 s[20:21], 0, v[3:4]
	v_not_b32_e32 v4, v4
	v_ashrrev_i32_e32 v4, 31, v4
	v_xor_b32_e32 v24, s21, v4
	v_xor_b32_e32 v4, s20, v4
	v_and_b32_e32 v4, v23, v4
	v_mul_u32_u24_e32 v12, 20, v0
	ds_write2_b32 v12, v3, v3 offset0:8 offset1:9
	ds_write2_b32 v12, v3, v3 offset0:10 offset1:11
	ds_write_b32 v12, v3 offset:48
	s_waitcnt vmcnt(0) lgkmcnt(0)
	s_barrier
	; wave barrier
	v_mad_u64_u32 v[18:19], s[18:19], v5, v13, v[0:1]
	v_and_b32_e32 v5, v16, v24
	v_cmp_ne_u64_e64 s[18:19], 0, v[4:5]
	v_lshrrev_b32_e32 v13, 4, v18
	v_and_b32_e32 v29, 0xffffffc, v13
	v_mbcnt_lo_u32_b32 v13, v4, 0
	v_mbcnt_hi_u32_b32 v13, v5, v13
	v_cmp_eq_u32_e64 s[20:21], 0, v13
	s_and_b64 s[20:21], s[18:19], s[20:21]
	v_add_u32_e32 v16, v29, v21
	s_and_saveexec_b64 s[18:19], s[20:21]
; %bb.18:
	v_bcnt_u32_b32 v4, v4, 0
	v_bcnt_u32_b32 v4, v5, v4
	ds_write_b32 v16, v4 offset:32
; %bb.19:
	s_or_b64 exec, exec, s[18:19]
	v_xor_b32_e32 v15, 0xffffff80, v15
	v_lshrrev_b32_sdwa v4, s44, v15 dst_sel:DWORD dst_unused:UNUSED_PAD src0_sel:DWORD src1_sel:BYTE_0
	v_and_b32_e32 v5, s53, v4
	v_mad_u32_u24 v4, v5, 36, v29
	; wave barrier
	ds_read_b32 v18, v4 offset:32
	v_and_b32_e32 v4, 1, v5
	v_add_co_u32_e64 v19, s[18:19], -1, v4
	v_addc_co_u32_e64 v23, s[18:19], 0, -1, s[18:19]
	v_cmp_ne_u32_e64 s[18:19], 0, v4
	v_xor_b32_e32 v4, s19, v23
	v_and_b32_e32 v23, exec_hi, v4
	v_lshlrev_b32_e32 v4, 30, v5
	v_xor_b32_e32 v19, s18, v19
	v_cmp_gt_i64_e64 s[18:19], 0, v[3:4]
	v_not_b32_e32 v4, v4
	v_ashrrev_i32_e32 v4, 31, v4
	v_and_b32_e32 v19, exec_lo, v19
	v_xor_b32_e32 v24, s19, v4
	v_xor_b32_e32 v4, s18, v4
	v_and_b32_e32 v19, v19, v4
	v_lshlrev_b32_e32 v4, 29, v5
	v_cmp_gt_i64_e64 s[18:19], 0, v[3:4]
	v_not_b32_e32 v4, v4
	v_ashrrev_i32_e32 v4, 31, v4
	v_and_b32_e32 v23, v23, v24
	v_xor_b32_e32 v24, s19, v4
	v_xor_b32_e32 v4, s18, v4
	v_and_b32_e32 v19, v19, v4
	v_lshlrev_b32_e32 v4, 28, v5
	v_cmp_gt_i64_e64 s[18:19], 0, v[3:4]
	v_not_b32_e32 v4, v4
	v_ashrrev_i32_e32 v4, 31, v4
	v_and_b32_e32 v23, v23, v24
	;; [unrolled: 8-line block ×5, first 2 shown]
	v_xor_b32_e32 v24, s19, v4
	v_xor_b32_e32 v4, s18, v4
	v_and_b32_e32 v19, v19, v4
	v_lshlrev_b32_e32 v4, 24, v5
	v_cmp_gt_i64_e64 s[18:19], 0, v[3:4]
	v_not_b32_e32 v3, v4
	v_ashrrev_i32_e32 v3, 31, v3
	v_xor_b32_e32 v4, s19, v3
	v_xor_b32_e32 v3, s18, v3
	v_and_b32_e32 v23, v23, v24
	v_and_b32_e32 v3, v19, v3
	v_mul_u32_u24_e32 v21, 36, v5
	v_and_b32_e32 v4, v23, v4
	v_mbcnt_lo_u32_b32 v5, v3, 0
	v_mbcnt_hi_u32_b32 v19, v4, v5
	v_cmp_ne_u64_e64 s[18:19], 0, v[3:4]
	v_cmp_eq_u32_e64 s[20:21], 0, v19
	s_and_b64 s[20:21], s[18:19], s[20:21]
	v_add_u32_e32 v28, v29, v21
	; wave barrier
	s_and_saveexec_b64 s[18:19], s[20:21]
	s_cbranch_execz .LBB621_21
; %bb.20:
	v_bcnt_u32_b32 v3, v3, 0
	v_bcnt_u32_b32 v3, v4, v3
	s_waitcnt lgkmcnt(0)
	v_add_u32_e32 v3, v18, v3
	ds_write_b32 v28, v3 offset:32
.LBB621_21:
	s_or_b64 exec, exec, s[18:19]
	v_xor_b32_e32 v26, 0xffffff80, v20
	v_lshrrev_b32_sdwa v3, s44, v26 dst_sel:DWORD dst_unused:UNUSED_PAD src0_sel:DWORD src1_sel:BYTE_0
	v_and_b32_e32 v5, s53, v3
	v_and_b32_e32 v4, 1, v5
	v_add_co_u32_e64 v21, s[18:19], -1, v4
	v_addc_co_u32_e64 v24, s[18:19], 0, -1, s[18:19]
	v_cmp_ne_u32_e64 s[18:19], 0, v4
	v_mad_u32_u24 v3, v5, 36, v29
	v_xor_b32_e32 v4, s19, v24
	; wave barrier
	ds_read_b32 v20, v3 offset:32
	v_mov_b32_e32 v3, 0
	v_and_b32_e32 v24, exec_hi, v4
	v_lshlrev_b32_e32 v4, 30, v5
	v_xor_b32_e32 v21, s18, v21
	v_cmp_gt_i64_e64 s[18:19], 0, v[3:4]
	v_not_b32_e32 v4, v4
	v_ashrrev_i32_e32 v4, 31, v4
	v_and_b32_e32 v21, exec_lo, v21
	v_xor_b32_e32 v25, s19, v4
	v_xor_b32_e32 v4, s18, v4
	v_and_b32_e32 v21, v21, v4
	v_lshlrev_b32_e32 v4, 29, v5
	v_cmp_gt_i64_e64 s[18:19], 0, v[3:4]
	v_not_b32_e32 v4, v4
	v_ashrrev_i32_e32 v4, 31, v4
	v_and_b32_e32 v24, v24, v25
	v_xor_b32_e32 v25, s19, v4
	v_xor_b32_e32 v4, s18, v4
	v_and_b32_e32 v21, v21, v4
	v_lshlrev_b32_e32 v4, 28, v5
	v_cmp_gt_i64_e64 s[18:19], 0, v[3:4]
	v_not_b32_e32 v4, v4
	v_ashrrev_i32_e32 v4, 31, v4
	v_and_b32_e32 v24, v24, v25
	;; [unrolled: 8-line block ×5, first 2 shown]
	v_xor_b32_e32 v25, s19, v4
	v_xor_b32_e32 v4, s18, v4
	v_and_b32_e32 v21, v21, v4
	v_lshlrev_b32_e32 v4, 24, v5
	v_cmp_gt_i64_e64 s[18:19], 0, v[3:4]
	v_not_b32_e32 v4, v4
	v_ashrrev_i32_e32 v4, 31, v4
	v_mul_u32_u24_e32 v23, 36, v5
	v_xor_b32_e32 v5, s19, v4
	v_xor_b32_e32 v4, s18, v4
	v_and_b32_e32 v24, v24, v25
	v_and_b32_e32 v4, v21, v4
	;; [unrolled: 1-line block ×3, first 2 shown]
	v_mbcnt_lo_u32_b32 v21, v4, 0
	v_mbcnt_hi_u32_b32 v21, v5, v21
	v_cmp_ne_u64_e64 s[18:19], 0, v[4:5]
	v_cmp_eq_u32_e64 s[20:21], 0, v21
	s_and_b64 s[20:21], s[18:19], s[20:21]
	v_add_u32_e32 v32, v29, v23
	; wave barrier
	s_and_saveexec_b64 s[18:19], s[20:21]
	s_cbranch_execz .LBB621_23
; %bb.22:
	v_bcnt_u32_b32 v4, v4, 0
	v_bcnt_u32_b32 v4, v5, v4
	s_waitcnt lgkmcnt(0)
	v_add_u32_e32 v4, v20, v4
	ds_write_b32 v32, v4 offset:32
.LBB621_23:
	s_or_b64 exec, exec, s[18:19]
	v_xor_b32_e32 v31, 0xffffff80, v22
	v_lshrrev_b32_sdwa v4, s44, v31 dst_sel:DWORD dst_unused:UNUSED_PAD src0_sel:DWORD src1_sel:BYTE_0
	v_and_b32_e32 v5, s53, v4
	v_mad_u32_u24 v4, v5, 36, v29
	; wave barrier
	ds_read_b32 v22, v4 offset:32
	v_and_b32_e32 v4, 1, v5
	v_add_co_u32_e64 v23, s[18:19], -1, v4
	v_addc_co_u32_e64 v25, s[18:19], 0, -1, s[18:19]
	v_cmp_ne_u32_e64 s[18:19], 0, v4
	v_xor_b32_e32 v4, s19, v25
	v_and_b32_e32 v25, exec_hi, v4
	v_lshlrev_b32_e32 v4, 30, v5
	v_xor_b32_e32 v23, s18, v23
	v_cmp_gt_i64_e64 s[18:19], 0, v[3:4]
	v_not_b32_e32 v4, v4
	v_ashrrev_i32_e32 v4, 31, v4
	v_and_b32_e32 v23, exec_lo, v23
	v_xor_b32_e32 v27, s19, v4
	v_xor_b32_e32 v4, s18, v4
	v_and_b32_e32 v23, v23, v4
	v_lshlrev_b32_e32 v4, 29, v5
	v_cmp_gt_i64_e64 s[18:19], 0, v[3:4]
	v_not_b32_e32 v4, v4
	v_ashrrev_i32_e32 v4, 31, v4
	v_and_b32_e32 v25, v25, v27
	v_xor_b32_e32 v27, s19, v4
	v_xor_b32_e32 v4, s18, v4
	v_and_b32_e32 v23, v23, v4
	v_lshlrev_b32_e32 v4, 28, v5
	v_cmp_gt_i64_e64 s[18:19], 0, v[3:4]
	v_not_b32_e32 v4, v4
	v_ashrrev_i32_e32 v4, 31, v4
	v_and_b32_e32 v25, v25, v27
	;; [unrolled: 8-line block ×5, first 2 shown]
	v_xor_b32_e32 v27, s19, v4
	v_xor_b32_e32 v4, s18, v4
	v_and_b32_e32 v23, v23, v4
	v_lshlrev_b32_e32 v4, 24, v5
	v_cmp_gt_i64_e64 s[18:19], 0, v[3:4]
	v_not_b32_e32 v3, v4
	v_ashrrev_i32_e32 v3, 31, v3
	v_xor_b32_e32 v4, s19, v3
	v_xor_b32_e32 v3, s18, v3
	v_and_b32_e32 v25, v25, v27
	v_and_b32_e32 v3, v23, v3
	v_mul_u32_u24_e32 v24, 36, v5
	v_and_b32_e32 v4, v25, v4
	v_mbcnt_lo_u32_b32 v5, v3, 0
	v_mbcnt_hi_u32_b32 v23, v4, v5
	v_cmp_ne_u64_e64 s[18:19], 0, v[3:4]
	v_cmp_eq_u32_e64 s[20:21], 0, v23
	s_and_b64 s[20:21], s[18:19], s[20:21]
	v_add_u32_e32 v35, v29, v24
	; wave barrier
	s_and_saveexec_b64 s[18:19], s[20:21]
	s_cbranch_execz .LBB621_25
; %bb.24:
	v_bcnt_u32_b32 v3, v3, 0
	v_bcnt_u32_b32 v3, v4, v3
	s_waitcnt lgkmcnt(0)
	v_add_u32_e32 v3, v22, v3
	ds_write_b32 v35, v3 offset:32
.LBB621_25:
	s_or_b64 exec, exec, s[18:19]
	v_xor_b32_e32 v14, 0xffffff80, v14
	v_lshrrev_b32_sdwa v3, s44, v14 dst_sel:DWORD dst_unused:UNUSED_PAD src0_sel:DWORD src1_sel:BYTE_0
	v_and_b32_e32 v5, s53, v3
	v_and_b32_e32 v4, 1, v5
	v_add_co_u32_e64 v25, s[18:19], -1, v4
	v_addc_co_u32_e64 v30, s[18:19], 0, -1, s[18:19]
	v_cmp_ne_u32_e64 s[18:19], 0, v4
	v_mad_u32_u24 v3, v5, 36, v29
	v_xor_b32_e32 v4, s19, v30
	; wave barrier
	ds_read_b32 v24, v3 offset:32
	v_mov_b32_e32 v3, 0
	v_and_b32_e32 v30, exec_hi, v4
	v_lshlrev_b32_e32 v4, 30, v5
	v_xor_b32_e32 v25, s18, v25
	v_cmp_gt_i64_e64 s[18:19], 0, v[3:4]
	v_not_b32_e32 v4, v4
	v_ashrrev_i32_e32 v4, 31, v4
	v_and_b32_e32 v25, exec_lo, v25
	v_xor_b32_e32 v33, s19, v4
	v_xor_b32_e32 v4, s18, v4
	v_and_b32_e32 v25, v25, v4
	v_lshlrev_b32_e32 v4, 29, v5
	v_cmp_gt_i64_e64 s[18:19], 0, v[3:4]
	v_not_b32_e32 v4, v4
	v_ashrrev_i32_e32 v4, 31, v4
	v_and_b32_e32 v30, v30, v33
	v_xor_b32_e32 v33, s19, v4
	v_xor_b32_e32 v4, s18, v4
	v_and_b32_e32 v25, v25, v4
	v_lshlrev_b32_e32 v4, 28, v5
	v_cmp_gt_i64_e64 s[18:19], 0, v[3:4]
	v_not_b32_e32 v4, v4
	v_ashrrev_i32_e32 v4, 31, v4
	v_and_b32_e32 v30, v30, v33
	;; [unrolled: 8-line block ×5, first 2 shown]
	v_xor_b32_e32 v33, s19, v4
	v_xor_b32_e32 v4, s18, v4
	v_and_b32_e32 v25, v25, v4
	v_lshlrev_b32_e32 v4, 24, v5
	v_cmp_gt_i64_e64 s[18:19], 0, v[3:4]
	v_not_b32_e32 v4, v4
	v_ashrrev_i32_e32 v4, 31, v4
	v_mul_u32_u24_e32 v27, 36, v5
	v_xor_b32_e32 v5, s19, v4
	v_xor_b32_e32 v4, s18, v4
	v_and_b32_e32 v30, v30, v33
	v_and_b32_e32 v4, v25, v4
	;; [unrolled: 1-line block ×3, first 2 shown]
	v_mbcnt_lo_u32_b32 v25, v4, 0
	v_mbcnt_hi_u32_b32 v25, v5, v25
	v_cmp_ne_u64_e64 s[18:19], 0, v[4:5]
	v_cmp_eq_u32_e64 s[20:21], 0, v25
	s_and_b64 s[20:21], s[18:19], s[20:21]
	v_add_u32_e32 v36, v29, v27
	; wave barrier
	s_and_saveexec_b64 s[18:19], s[20:21]
	s_cbranch_execz .LBB621_27
; %bb.26:
	v_bcnt_u32_b32 v4, v4, 0
	v_bcnt_u32_b32 v4, v5, v4
	s_waitcnt lgkmcnt(0)
	v_add_u32_e32 v4, v24, v4
	ds_write_b32 v36, v4 offset:32
.LBB621_27:
	s_or_b64 exec, exec, s[18:19]
	v_xor_b32_e32 v38, 0xffffff80, v6
	v_lshrrev_b32_sdwa v4, s44, v38 dst_sel:DWORD dst_unused:UNUSED_PAD src0_sel:DWORD src1_sel:BYTE_0
	v_and_b32_e32 v5, s53, v4
	v_mad_u32_u24 v4, v5, 36, v29
	; wave barrier
	ds_read_b32 v27, v4 offset:32
	v_and_b32_e32 v4, 1, v5
	v_add_co_u32_e64 v30, s[18:19], -1, v4
	v_addc_co_u32_e64 v33, s[18:19], 0, -1, s[18:19]
	v_cmp_ne_u32_e64 s[18:19], 0, v4
	v_xor_b32_e32 v4, s19, v33
	v_and_b32_e32 v33, exec_hi, v4
	v_lshlrev_b32_e32 v4, 30, v5
	v_xor_b32_e32 v30, s18, v30
	v_cmp_gt_i64_e64 s[18:19], 0, v[3:4]
	v_not_b32_e32 v4, v4
	v_ashrrev_i32_e32 v4, 31, v4
	v_and_b32_e32 v30, exec_lo, v30
	v_xor_b32_e32 v34, s19, v4
	v_xor_b32_e32 v4, s18, v4
	v_and_b32_e32 v30, v30, v4
	v_lshlrev_b32_e32 v4, 29, v5
	v_cmp_gt_i64_e64 s[18:19], 0, v[3:4]
	v_not_b32_e32 v4, v4
	v_ashrrev_i32_e32 v4, 31, v4
	v_and_b32_e32 v33, v33, v34
	v_xor_b32_e32 v34, s19, v4
	v_xor_b32_e32 v4, s18, v4
	v_and_b32_e32 v30, v30, v4
	v_lshlrev_b32_e32 v4, 28, v5
	v_cmp_gt_i64_e64 s[18:19], 0, v[3:4]
	v_not_b32_e32 v4, v4
	v_ashrrev_i32_e32 v4, 31, v4
	v_and_b32_e32 v33, v33, v34
	;; [unrolled: 8-line block ×5, first 2 shown]
	v_xor_b32_e32 v34, s19, v4
	v_xor_b32_e32 v4, s18, v4
	v_and_b32_e32 v30, v30, v4
	v_lshlrev_b32_e32 v4, 24, v5
	v_cmp_gt_i64_e64 s[18:19], 0, v[3:4]
	v_not_b32_e32 v3, v4
	v_ashrrev_i32_e32 v3, 31, v3
	v_xor_b32_e32 v4, s19, v3
	v_xor_b32_e32 v3, s18, v3
	v_and_b32_e32 v33, v33, v34
	v_and_b32_e32 v3, v30, v3
	v_mul_u32_u24_e32 v6, 36, v5
	v_and_b32_e32 v4, v33, v4
	v_mbcnt_lo_u32_b32 v5, v3, 0
	v_mbcnt_hi_u32_b32 v30, v4, v5
	v_cmp_ne_u64_e64 s[18:19], 0, v[3:4]
	v_cmp_eq_u32_e64 s[20:21], 0, v30
	s_and_b64 s[20:21], s[18:19], s[20:21]
	v_add_u32_e32 v29, v29, v6
	; wave barrier
	s_and_saveexec_b64 s[18:19], s[20:21]
	s_cbranch_execz .LBB621_29
; %bb.28:
	v_bcnt_u32_b32 v3, v3, 0
	v_bcnt_u32_b32 v3, v4, v3
	s_waitcnt lgkmcnt(0)
	v_add_u32_e32 v3, v27, v3
	ds_write_b32 v29, v3 offset:32
.LBB621_29:
	s_or_b64 exec, exec, s[18:19]
	; wave barrier
	s_waitcnt lgkmcnt(0)
	s_barrier
	ds_read2_b32 v[5:6], v12 offset0:8 offset1:9
	ds_read2_b32 v[3:4], v12 offset0:10 offset1:11
	ds_read_b32 v33, v12 offset:48
	v_min_u32_e32 v8, 0x1c0, v8
	v_or_b32_e32 v8, 63, v8
	s_waitcnt lgkmcnt(1)
	v_add3_u32 v34, v6, v5, v3
	s_waitcnt lgkmcnt(0)
	v_add3_u32 v33, v34, v4, v33
	v_and_b32_e32 v34, 15, v7
	v_cmp_ne_u32_e64 s[18:19], 0, v34
	v_mov_b32_dpp v37, v33 row_shr:1 row_mask:0xf bank_mask:0xf
	v_cndmask_b32_e64 v37, 0, v37, s[18:19]
	v_add_u32_e32 v33, v37, v33
	v_cmp_lt_u32_e64 s[18:19], 1, v34
	s_nop 0
	v_mov_b32_dpp v37, v33 row_shr:2 row_mask:0xf bank_mask:0xf
	v_cndmask_b32_e64 v37, 0, v37, s[18:19]
	v_add_u32_e32 v33, v33, v37
	v_cmp_lt_u32_e64 s[18:19], 3, v34
	s_nop 0
	;; [unrolled: 5-line block ×3, first 2 shown]
	v_mov_b32_dpp v37, v33 row_shr:8 row_mask:0xf bank_mask:0xf
	v_cndmask_b32_e64 v34, 0, v37, s[18:19]
	v_add_u32_e32 v33, v33, v34
	v_bfe_i32 v37, v7, 4, 1
	v_cmp_lt_u32_e64 s[18:19], 31, v7
	v_mov_b32_dpp v34, v33 row_bcast:15 row_mask:0xf bank_mask:0xf
	v_and_b32_e32 v34, v37, v34
	v_add_u32_e32 v33, v33, v34
	s_nop 1
	v_mov_b32_dpp v34, v33 row_bcast:31 row_mask:0xf bank_mask:0xf
	v_cndmask_b32_e64 v34, 0, v34, s[18:19]
	v_add_u32_e32 v33, v33, v34
	v_lshrrev_b32_e32 v34, 6, v0
	v_cmp_eq_u32_e64 s[18:19], v0, v8
	s_and_saveexec_b64 s[20:21], s[18:19]
; %bb.30:
	v_lshlrev_b32_e32 v8, 2, v34
	ds_write_b32 v8, v33
; %bb.31:
	s_or_b64 exec, exec, s[20:21]
	v_cmp_gt_u32_e64 s[18:19], 8, v0
	s_waitcnt lgkmcnt(0)
	s_barrier
	s_and_saveexec_b64 s[24:25], s[18:19]
	s_cbranch_execz .LBB621_33
; %bb.32:
	v_lshlrev_b32_e32 v8, 2, v0
	ds_read_b32 v37, v8
	v_and_b32_e32 v39, 7, v7
	v_cmp_ne_u32_e64 s[18:19], 0, v39
	v_cmp_lt_u32_e64 s[20:21], 1, v39
	s_waitcnt lgkmcnt(0)
	v_mov_b32_dpp v40, v37 row_shr:1 row_mask:0xf bank_mask:0xf
	v_cndmask_b32_e64 v40, 0, v40, s[18:19]
	v_add_u32_e32 v37, v40, v37
	v_cmp_lt_u32_e64 s[18:19], 3, v39
	s_nop 0
	v_mov_b32_dpp v40, v37 row_shr:2 row_mask:0xf bank_mask:0xf
	v_cndmask_b32_e64 v40, 0, v40, s[20:21]
	v_add_u32_e32 v37, v37, v40
	s_nop 1
	v_mov_b32_dpp v40, v37 row_shr:4 row_mask:0xf bank_mask:0xf
	v_cndmask_b32_e64 v39, 0, v40, s[18:19]
	v_add_u32_e32 v37, v37, v39
	ds_write_b32 v8, v37
.LBB621_33:
	s_or_b64 exec, exec, s[24:25]
	v_cmp_lt_u32_e64 s[18:19], 63, v0
	v_mov_b32_e32 v8, 0
	s_waitcnt lgkmcnt(0)
	s_barrier
	s_and_saveexec_b64 s[20:21], s[18:19]
; %bb.34:
	v_lshl_add_u32 v8, v34, 2, -4
	ds_read_b32 v8, v8
; %bb.35:
	s_or_b64 exec, exec, s[20:21]
	v_subrev_co_u32_e64 v34, s[18:19], 1, v7
	v_and_b32_e32 v37, 64, v7
	v_cmp_lt_i32_e64 s[20:21], v34, v37
	v_cndmask_b32_e64 v7, v34, v7, s[20:21]
	s_waitcnt lgkmcnt(0)
	v_add_u32_e32 v33, v8, v33
	v_lshlrev_b32_e32 v7, 2, v7
	ds_bpermute_b32 v7, v7, v33
	s_movk_i32 s24, 0x100
	v_cmp_gt_u32_e64 s[20:21], s24, v0
	s_waitcnt lgkmcnt(0)
	v_cndmask_b32_e64 v7, v7, v8, s[18:19]
	v_cndmask_b32_e64 v7, v7, 0, s[22:23]
	v_add_u32_e32 v5, v7, v5
	v_add_u32_e32 v6, v5, v6
	;; [unrolled: 1-line block ×4, first 2 shown]
	ds_write2_b32 v12, v7, v5 offset0:8 offset1:9
	ds_write2_b32 v12, v6, v3 offset0:10 offset1:11
	ds_write_b32 v12, v4 offset:48
	s_waitcnt lgkmcnt(0)
	s_barrier
	ds_read_b32 v3, v16 offset:32
	ds_read_b32 v33, v28 offset:32
	;; [unrolled: 1-line block ×6, first 2 shown]
	s_movk_i32 s18, 0xff
	v_cmp_lt_u32_e64 s[18:19], s18, v0
                                        ; implicit-def: $vgpr28
                                        ; implicit-def: $vgpr29
	s_and_saveexec_b64 s[46:47], s[20:21]
	s_cbranch_execz .LBB621_39
; %bb.36:
	v_mul_u32_u24_e32 v4, 36, v0
	ds_read_b32 v28, v4 offset:32
	v_add_u32_e32 v5, 1, v0
	v_cmp_ne_u32_e64 s[24:25], s24, v5
	v_mov_b32_e32 v4, 0xc00
	s_and_saveexec_b64 s[48:49], s[24:25]
; %bb.37:
	v_mul_u32_u24_e32 v4, 36, v5
	ds_read_b32 v4, v4 offset:32
; %bb.38:
	s_or_b64 exec, exec, s[48:49]
	s_waitcnt lgkmcnt(0)
	v_sub_u32_e32 v29, v4, v28
.LBB621_39:
	s_or_b64 exec, exec, s[46:47]
	s_waitcnt lgkmcnt(5)
	v_add_u32_e32 v32, v3, v13
	s_waitcnt lgkmcnt(3)
	v_add3_u32 v4, v21, v20, v34
	v_add3_u32 v3, v19, v18, v33
	s_waitcnt lgkmcnt(2)
	v_add3_u32 v5, v23, v22, v35
	s_waitcnt lgkmcnt(1)
	;; [unrolled: 2-line block ×3, first 2 shown]
	v_add3_u32 v7, v30, v27, v37
	s_barrier
	ds_write_b8 v32, v11 offset:1024
	ds_write_b8 v3, v15 offset:1024
	;; [unrolled: 1-line block ×6, first 2 shown]
	v_mov_b32_e32 v4, 0
	v_lshlrev_b32_e32 v26, 2, v0
	s_and_saveexec_b64 s[24:25], s[20:21]
	s_cbranch_execz .LBB621_49
; %bb.40:
	v_lshl_add_u32 v3, s33, 8, v0
	v_lshlrev_b64 v[5:6], 2, v[3:4]
	v_mov_b32_e32 v11, s35
	v_add_co_u32_e64 v5, s[20:21], s34, v5
	v_addc_co_u32_e64 v6, s[20:21], v11, v6, s[20:21]
	v_or_b32_e32 v3, 2.0, v29
	s_mov_b64 s[46:47], 0
	s_brev_b32 s54, -4
	s_mov_b32 s55, s33
	v_mov_b32_e32 v12, 0
	global_store_dword v[5:6], v3, off
                                        ; implicit-def: $sgpr20_sgpr21
	s_branch .LBB621_43
.LBB621_41:                             ;   in Loop: Header=BB621_43 Depth=1
	s_or_b64 exec, exec, s[50:51]
.LBB621_42:                             ;   in Loop: Header=BB621_43 Depth=1
	s_or_b64 exec, exec, s[48:49]
	v_and_b32_e32 v7, 0x3fffffff, v3
	v_add_u32_e32 v12, v7, v12
	v_cmp_gt_i32_e64 s[20:21], -2.0, v3
	s_and_b64 s[48:49], exec, s[20:21]
	s_or_b64 s[46:47], s[48:49], s[46:47]
	s_andn2_b64 exec, exec, s[46:47]
	s_cbranch_execz .LBB621_48
.LBB621_43:                             ; =>This Loop Header: Depth=1
                                        ;     Child Loop BB621_46 Depth 2
	s_or_b64 s[20:21], s[20:21], exec
	s_cmp_eq_u32 s55, 0
	s_cbranch_scc1 .LBB621_47
; %bb.44:                               ;   in Loop: Header=BB621_43 Depth=1
	s_add_i32 s55, s55, -1
	v_lshl_or_b32 v3, s55, 8, v0
	v_lshlrev_b64 v[7:8], 2, v[3:4]
	v_add_co_u32_e64 v7, s[20:21], s34, v7
	v_addc_co_u32_e64 v8, s[20:21], v11, v8, s[20:21]
	global_load_dword v3, v[7:8], off glc
	s_waitcnt vmcnt(0)
	v_cmp_gt_u32_e64 s[20:21], 2.0, v3
	s_and_saveexec_b64 s[48:49], s[20:21]
	s_cbranch_execz .LBB621_42
; %bb.45:                               ;   in Loop: Header=BB621_43 Depth=1
	s_mov_b64 s[50:51], 0
.LBB621_46:                             ;   Parent Loop BB621_43 Depth=1
                                        ; =>  This Inner Loop Header: Depth=2
	global_load_dword v3, v[7:8], off glc
	s_waitcnt vmcnt(0)
	v_cmp_lt_u32_e64 s[20:21], s54, v3
	s_or_b64 s[50:51], s[20:21], s[50:51]
	s_andn2_b64 exec, exec, s[50:51]
	s_cbranch_execnz .LBB621_46
	s_branch .LBB621_41
.LBB621_47:                             ;   in Loop: Header=BB621_43 Depth=1
                                        ; implicit-def: $sgpr55
	s_and_b64 s[48:49], exec, s[20:21]
	s_or_b64 s[46:47], s[48:49], s[46:47]
	s_andn2_b64 exec, exec, s[46:47]
	s_cbranch_execnz .LBB621_43
.LBB621_48:
	s_or_b64 exec, exec, s[46:47]
	v_add_u32_e32 v3, v12, v29
	v_or_b32_e32 v3, 0x80000000, v3
	global_store_dword v[5:6], v3, off
	global_load_dword v3, v26, s[28:29]
	v_sub_u32_e32 v4, v12, v28
	s_waitcnt vmcnt(0)
	v_add_u32_e32 v3, v4, v3
	ds_write_b32 v26, v3
.LBB621_49:
	s_or_b64 exec, exec, s[24:25]
	v_cmp_gt_u32_e64 s[20:21], s7, v0
	s_waitcnt lgkmcnt(0)
	s_barrier
	s_and_saveexec_b64 s[24:25], s[20:21]
	s_cbranch_execz .LBB621_51
; %bb.50:
	ds_read_u8 v3, v0 offset:1024
	s_waitcnt lgkmcnt(0)
	v_lshrrev_b32_sdwa v4, s44, v3 dst_sel:DWORD dst_unused:UNUSED_PAD src0_sel:DWORD src1_sel:BYTE_0
	v_and_b32_e32 v4, s53, v4
	v_lshlrev_b32_e32 v5, 2, v4
	ds_read_b32 v5, v5
	v_xor_b32_e32 v3, 0x80, v3
	buffer_store_dword v4, off, s[0:3], 0
	s_waitcnt lgkmcnt(0)
	v_add_u32_e32 v5, v5, v0
	global_store_byte v5, v3, s[38:39]
.LBB621_51:
	s_or_b64 exec, exec, s[24:25]
	v_or_b32_e32 v3, 0x200, v0
	v_cmp_gt_u32_e64 s[20:21], s7, v3
	s_and_saveexec_b64 s[24:25], s[20:21]
	s_cbranch_execz .LBB621_53
; %bb.52:
	ds_read_u8 v4, v0 offset:1536
	s_waitcnt lgkmcnt(0)
	v_lshrrev_b32_sdwa v5, s44, v4 dst_sel:DWORD dst_unused:UNUSED_PAD src0_sel:DWORD src1_sel:BYTE_0
	v_and_b32_e32 v5, s53, v5
	v_lshlrev_b32_e32 v6, 2, v5
	ds_read_b32 v6, v6
	v_xor_b32_e32 v4, 0x80, v4
	buffer_store_dword v5, off, s[0:3], 0 offset:4
	s_waitcnt lgkmcnt(0)
	v_add_u32_e32 v3, v6, v3
	global_store_byte v3, v4, s[38:39]
.LBB621_53:
	s_or_b64 exec, exec, s[24:25]
	v_or_b32_e32 v3, 0x400, v0
	v_cmp_gt_u32_e64 s[20:21], s7, v3
	s_and_saveexec_b64 s[24:25], s[20:21]
	s_cbranch_execz .LBB621_55
; %bb.54:
	ds_read_u8 v4, v0 offset:2048
	s_waitcnt lgkmcnt(0)
	v_lshrrev_b32_sdwa v5, s44, v4 dst_sel:DWORD dst_unused:UNUSED_PAD src0_sel:DWORD src1_sel:BYTE_0
	v_and_b32_e32 v5, s53, v5
	v_lshlrev_b32_e32 v6, 2, v5
	ds_read_b32 v6, v6
	v_xor_b32_e32 v4, 0x80, v4
	buffer_store_dword v5, off, s[0:3], 0 offset:8
	s_waitcnt lgkmcnt(0)
	v_add_u32_e32 v3, v6, v3
	global_store_byte v3, v4, s[38:39]
.LBB621_55:
	;; [unrolled: 18-line block ×5, first 2 shown]
	s_or_b64 exec, exec, s[24:25]
	s_lshl_b64 s[20:21], s[26:27], 3
	s_add_u32 s20, s40, s20
	s_addc_u32 s21, s41, s21
	v_lshlrev_b32_e32 v3, 3, v10
	v_mov_b32_e32 v4, s21
	v_add_co_u32_e64 v3, s[20:21], s20, v3
	v_addc_co_u32_e64 v4, s[20:21], 0, v4, s[20:21]
	v_lshlrev_b32_e32 v5, 3, v9
	v_add_co_u32_e64 v15, s[20:21], v3, v5
	v_addc_co_u32_e64 v16, s[20:21], 0, v4, s[20:21]
                                        ; implicit-def: $vgpr3_vgpr4
	s_and_saveexec_b64 s[20:21], vcc
	s_xor_b64 s[20:21], exec, s[20:21]
	s_cbranch_execz .LBB621_67
; %bb.62:
	global_load_dwordx2 v[3:4], v[15:16], off
	s_or_b64 exec, exec, s[20:21]
                                        ; implicit-def: $vgpr5_vgpr6
	s_and_saveexec_b64 s[20:21], s[8:9]
	s_cbranch_execnz .LBB621_68
.LBB621_63:
	s_or_b64 exec, exec, s[20:21]
                                        ; implicit-def: $vgpr7_vgpr8
	s_and_saveexec_b64 s[8:9], s[10:11]
	s_cbranch_execz .LBB621_69
.LBB621_64:
	global_load_dwordx2 v[7:8], v[15:16], off offset:1024
	s_or_b64 exec, exec, s[8:9]
                                        ; implicit-def: $vgpr9_vgpr10
	s_and_saveexec_b64 s[8:9], s[12:13]
	s_cbranch_execnz .LBB621_70
.LBB621_65:
	s_or_b64 exec, exec, s[8:9]
                                        ; implicit-def: $vgpr11_vgpr12
	s_and_saveexec_b64 s[8:9], s[14:15]
	s_cbranch_execz .LBB621_71
.LBB621_66:
	global_load_dwordx2 v[11:12], v[15:16], off offset:2048
	s_or_b64 exec, exec, s[8:9]
                                        ; implicit-def: $vgpr13_vgpr14
	s_and_saveexec_b64 s[8:9], s[16:17]
	s_cbranch_execnz .LBB621_72
	s_branch .LBB621_73
.LBB621_67:
	s_or_b64 exec, exec, s[20:21]
                                        ; implicit-def: $vgpr5_vgpr6
	s_and_saveexec_b64 s[20:21], s[8:9]
	s_cbranch_execz .LBB621_63
.LBB621_68:
	global_load_dwordx2 v[5:6], v[15:16], off offset:512
	s_or_b64 exec, exec, s[20:21]
                                        ; implicit-def: $vgpr7_vgpr8
	s_and_saveexec_b64 s[8:9], s[10:11]
	s_cbranch_execnz .LBB621_64
.LBB621_69:
	s_or_b64 exec, exec, s[8:9]
                                        ; implicit-def: $vgpr9_vgpr10
	s_and_saveexec_b64 s[8:9], s[12:13]
	s_cbranch_execz .LBB621_65
.LBB621_70:
	global_load_dwordx2 v[9:10], v[15:16], off offset:1536
	s_or_b64 exec, exec, s[8:9]
                                        ; implicit-def: $vgpr11_vgpr12
	s_and_saveexec_b64 s[8:9], s[14:15]
	s_cbranch_execnz .LBB621_66
.LBB621_71:
	s_or_b64 exec, exec, s[8:9]
                                        ; implicit-def: $vgpr13_vgpr14
	s_and_saveexec_b64 s[8:9], s[16:17]
	s_cbranch_execz .LBB621_73
.LBB621_72:
	global_load_dwordx2 v[13:14], v[15:16], off offset:2560
.LBB621_73:
	s_or_b64 exec, exec, s[8:9]
	v_lshlrev_b32_e32 v31, 3, v0
	v_add3_u32 v27, v30, v37, v27
	v_add3_u32 v24, v25, v36, v24
	;; [unrolled: 1-line block ×5, first 2 shown]
	s_mov_b32 s10, 0
	s_mov_b32 s11, 0
	v_mov_b32_e32 v16, 0
	s_movk_i32 s12, 0x200
	v_mov_b32_e32 v19, v0
	s_waitcnt vmcnt(0)
	s_barrier
	s_branch .LBB621_75
.LBB621_74:                             ;   in Loop: Header=BB621_75 Depth=1
	s_or_b64 exec, exec, s[8:9]
	s_addk_i32 s11, 0xfc00
	s_add_i32 s10, s10, 8
	s_cmpk_eq_i32 s11, 0xf400
	v_add_u32_e32 v19, 0x400, v19
	s_waitcnt vmcnt(0)
	s_barrier
	s_cbranch_scc1 .LBB621_79
.LBB621_75:                             ; =>This Inner Loop Header: Depth=1
	v_add_u32_e32 v15, s11, v32
	v_min_u32_e32 v15, 0x400, v15
	v_lshlrev_b32_e32 v15, 3, v15
	ds_write_b64 v15, v[3:4] offset:1024
	v_add_u32_e32 v15, s11, v18
	v_min_u32_e32 v15, 0x400, v15
	v_lshlrev_b32_e32 v15, 3, v15
	ds_write_b64 v15, v[5:6] offset:1024
	;; [unrolled: 4-line block ×5, first 2 shown]
	v_add_u32_e32 v15, s11, v27
	v_min_u32_e32 v15, 0x400, v15
	v_lshlrev_b32_e32 v15, 3, v15
	v_cmp_gt_u32_e32 vcc, s7, v19
	ds_write_b64 v15, v[13:14] offset:1024
	s_waitcnt lgkmcnt(0)
	s_barrier
	s_and_saveexec_b64 s[8:9], vcc
	s_cbranch_execz .LBB621_77
; %bb.76:                               ;   in Loop: Header=BB621_75 Depth=1
	v_mov_b32_e32 v15, s10
	buffer_load_dword v15, v15, s[0:3], 0 offen
	v_mov_b32_e32 v21, s43
	s_waitcnt vmcnt(0)
	v_lshlrev_b32_e32 v15, 2, v15
	ds_read_b32 v15, v15
	ds_read_b64 v[33:34], v31 offset:1024
	s_waitcnt lgkmcnt(1)
	v_add_u32_e32 v15, v19, v15
	v_lshlrev_b64 v[35:36], 3, v[15:16]
	v_add_co_u32_e32 v35, vcc, s42, v35
	v_addc_co_u32_e32 v36, vcc, v21, v36, vcc
	s_waitcnt lgkmcnt(0)
	global_store_dwordx2 v[35:36], v[33:34], off
.LBB621_77:                             ;   in Loop: Header=BB621_75 Depth=1
	s_or_b64 exec, exec, s[8:9]
	v_add_u32_e32 v15, 0x200, v19
	v_cmp_gt_u32_e32 vcc, s7, v15
	s_and_saveexec_b64 s[8:9], vcc
	s_cbranch_execz .LBB621_74
; %bb.78:                               ;   in Loop: Header=BB621_75 Depth=1
	v_mov_b32_e32 v15, s10
	buffer_load_dword v15, v15, s[0:3], 0 offen offset:4
	v_mov_b32_e32 v21, s43
	s_waitcnt vmcnt(0)
	v_lshlrev_b32_e32 v15, 2, v15
	ds_read_b32 v15, v15
	ds_read_b64 v[33:34], v31 offset:5120
	s_waitcnt lgkmcnt(1)
	v_add3_u32 v15, v19, v15, s12
	v_lshlrev_b64 v[35:36], 3, v[15:16]
	v_add_co_u32_e32 v35, vcc, s42, v35
	v_addc_co_u32_e32 v36, vcc, v21, v36, vcc
	s_waitcnt lgkmcnt(0)
	global_store_dwordx2 v[35:36], v[33:34], off
	s_branch .LBB621_74
.LBB621_79:
	s_add_i32 s52, s52, -1
	s_cmp_eq_u32 s33, s52
	s_cselect_b64 s[8:9], -1, 0
	s_xor_b64 s[10:11], s[18:19], -1
	s_and_b64 s[10:11], s[10:11], s[8:9]
	s_and_saveexec_b64 s[8:9], s[10:11]
	s_cbranch_execz .LBB621_81
; %bb.80:
	ds_read_b32 v3, v26
	s_waitcnt lgkmcnt(0)
	v_add3_u32 v3, v28, v29, v3
	global_store_dword v26, v3, s[30:31]
.LBB621_81:
	s_or_b64 exec, exec, s[8:9]
	s_mov_b64 s[8:9], 0
.LBB621_82:
	s_and_b64 vcc, exec, s[8:9]
	s_cbranch_vccz .LBB621_119
; %bb.83:
	s_add_u32 s7, s36, s26
	v_mbcnt_hi_u32_b32 v6, -1, v17
	s_addc_u32 s8, s37, 0
	v_and_b32_e32 v8, 63, v6
	v_and_b32_e32 v9, 0x1c0, v0
	v_mov_b32_e32 v3, s8
	v_add_co_u32_e32 v4, vcc, s7, v8
	v_mul_u32_u24_e32 v7, 6, v9
	v_addc_co_u32_e32 v3, vcc, 0, v3, vcc
	v_add_co_u32_e32 v4, vcc, v4, v7
	v_addc_co_u32_e32 v5, vcc, 0, v3, vcc
	global_load_ubyte v10, v[4:5], off
	s_load_dword s7, s[4:5], 0x64
	s_load_dword s14, s[4:5], 0x58
	s_add_u32 s4, s4, 0x58
	s_addc_u32 s5, s5, 0
	v_mov_b32_e32 v3, 0
	s_waitcnt lgkmcnt(0)
	s_lshr_b32 s7, s7, 16
	s_cmp_lt_u32 s6, s14
	s_cselect_b32 s6, 12, 18
	s_add_u32 s4, s4, s6
	s_addc_u32 s5, s5, 0
	global_load_ushort v11, v3, s[4:5]
	global_load_ubyte v13, v[4:5], off offset:64
	global_load_ubyte v16, v[4:5], off offset:128
	;; [unrolled: 1-line block ×5, first 2 shown]
	s_lshl_b32 s4, -1, s45
	s_not_b32 s15, s4
	v_mad_u32_u24 v1, v2, s7, v1
	s_mov_b32 s27, 0
	s_waitcnt vmcnt(6)
	v_xor_b32_e32 v10, 0x80, v10
	v_lshrrev_b32_e32 v4, s44, v10
	v_and_b32_e32 v14, s15, v4
	v_and_b32_e32 v5, 1, v14
	v_add_co_u32_e32 v12, vcc, -1, v5
	v_lshlrev_b32_e32 v4, 30, v14
	v_addc_co_u32_e64 v15, s[4:5], 0, -1, vcc
	v_cmp_ne_u32_e32 vcc, 0, v5
	v_cmp_gt_i64_e64 s[4:5], 0, v[3:4]
	v_not_b32_e32 v5, v4
	v_lshlrev_b32_e32 v4, 29, v14
	v_xor_b32_e32 v15, vcc_hi, v15
	v_ashrrev_i32_e32 v5, 31, v5
	v_xor_b32_e32 v12, vcc_lo, v12
	v_cmp_gt_i64_e32 vcc, 0, v[3:4]
	v_not_b32_e32 v17, v4
	v_lshlrev_b32_e32 v4, 28, v14
	v_and_b32_e32 v15, exec_hi, v15
	v_xor_b32_e32 v19, s5, v5
	v_and_b32_e32 v12, exec_lo, v12
	v_xor_b32_e32 v5, s4, v5
	v_ashrrev_i32_e32 v17, 31, v17
	v_cmp_gt_i64_e64 s[4:5], 0, v[3:4]
	v_not_b32_e32 v21, v4
	v_lshlrev_b32_e32 v4, 27, v14
	v_and_b32_e32 v15, v15, v19
	v_and_b32_e32 v5, v12, v5
	v_xor_b32_e32 v12, vcc_hi, v17
	v_xor_b32_e32 v17, vcc_lo, v17
	v_ashrrev_i32_e32 v19, 31, v21
	v_cmp_gt_i64_e32 vcc, 0, v[3:4]
	v_not_b32_e32 v21, v4
	v_lshlrev_b32_e32 v4, 26, v14
	v_and_b32_e32 v12, v15, v12
	v_and_b32_e32 v5, v5, v17
	v_xor_b32_e32 v15, s5, v19
	v_xor_b32_e32 v17, s4, v19
	v_ashrrev_i32_e32 v19, 31, v21
	v_cmp_gt_i64_e64 s[4:5], 0, v[3:4]
	v_not_b32_e32 v21, v4
	v_lshlrev_b32_e32 v4, 25, v14
	v_and_b32_e32 v12, v12, v15
	v_and_b32_e32 v5, v5, v17
	v_xor_b32_e32 v15, vcc_hi, v19
	v_xor_b32_e32 v17, vcc_lo, v19
	v_ashrrev_i32_e32 v19, 31, v21
	v_cmp_gt_i64_e32 vcc, 0, v[3:4]
	v_not_b32_e32 v21, v4
	v_lshlrev_b32_e32 v4, 24, v14
	v_and_b32_e32 v12, v12, v15
	v_and_b32_e32 v5, v5, v17
	v_xor_b32_e32 v15, s5, v19
	v_xor_b32_e32 v17, s4, v19
	v_ashrrev_i32_e32 v19, 31, v21
	v_cmp_gt_i64_e64 s[4:5], 0, v[3:4]
	v_not_b32_e32 v4, v4
	v_and_b32_e32 v12, v12, v15
	v_and_b32_e32 v5, v5, v17
	v_xor_b32_e32 v15, vcc_hi, v19
	v_xor_b32_e32 v17, vcc_lo, v19
	v_ashrrev_i32_e32 v4, 31, v4
	v_and_b32_e32 v12, v12, v15
	v_and_b32_e32 v15, v5, v17
	v_xor_b32_e32 v5, s5, v4
	v_xor_b32_e32 v4, s4, v4
	s_waitcnt vmcnt(5)
	v_mad_u64_u32 v[1:2], s[4:5], v1, v11, v[0:1]
	v_and_b32_e32 v4, v15, v4
	v_and_b32_e32 v5, v12, v5
	v_mbcnt_lo_u32_b32 v2, v4, 0
	v_lshrrev_b32_e32 v1, 4, v1
	v_mbcnt_hi_u32_b32 v11, v5, v2
	v_cmp_ne_u64_e32 vcc, 0, v[4:5]
	v_and_b32_e32 v25, 0xffffffc, v1
	v_mul_u32_u24_e32 v1, 36, v14
	v_cmp_eq_u32_e64 s[4:5], 0, v11
	v_mul_u32_u24_e32 v12, 20, v0
	s_and_b64 s[6:7], vcc, s[4:5]
	v_add_u32_e32 v14, v25, v1
	ds_write2_b32 v12, v3, v3 offset0:8 offset1:9
	ds_write2_b32 v12, v3, v3 offset0:10 offset1:11
	ds_write_b32 v12, v3 offset:48
	s_waitcnt vmcnt(0) lgkmcnt(0)
	s_barrier
	; wave barrier
	s_and_saveexec_b64 s[4:5], s[6:7]
; %bb.84:
	v_bcnt_u32_b32 v1, v4, 0
	v_bcnt_u32_b32 v1, v5, v1
	ds_write_b32 v14, v1 offset:32
; %bb.85:
	s_or_b64 exec, exec, s[4:5]
	v_xor_b32_e32 v5, 0xffffff80, v13
	v_lshrrev_b32_sdwa v1, s44, v5 dst_sel:DWORD dst_unused:UNUSED_PAD src0_sel:DWORD src1_sel:BYTE_0
	v_and_b32_e32 v1, s15, v1
	v_mad_u32_u24 v2, v1, 36, v25
	; wave barrier
	ds_read_b32 v13, v2 offset:32
	v_and_b32_e32 v2, 1, v1
	v_add_co_u32_e32 v4, vcc, -1, v2
	v_addc_co_u32_e64 v15, s[4:5], 0, -1, vcc
	v_cmp_ne_u32_e32 vcc, 0, v2
	v_xor_b32_e32 v4, vcc_lo, v4
	v_xor_b32_e32 v2, vcc_hi, v15
	v_and_b32_e32 v15, exec_lo, v4
	v_lshlrev_b32_e32 v4, 30, v1
	v_cmp_gt_i64_e32 vcc, 0, v[3:4]
	v_not_b32_e32 v4, v4
	v_ashrrev_i32_e32 v4, 31, v4
	v_xor_b32_e32 v19, vcc_hi, v4
	v_xor_b32_e32 v4, vcc_lo, v4
	v_and_b32_e32 v15, v15, v4
	v_lshlrev_b32_e32 v4, 29, v1
	v_cmp_gt_i64_e32 vcc, 0, v[3:4]
	v_not_b32_e32 v4, v4
	v_and_b32_e32 v2, exec_hi, v2
	v_ashrrev_i32_e32 v4, 31, v4
	v_and_b32_e32 v2, v2, v19
	v_xor_b32_e32 v19, vcc_hi, v4
	v_xor_b32_e32 v4, vcc_lo, v4
	v_and_b32_e32 v15, v15, v4
	v_lshlrev_b32_e32 v4, 28, v1
	v_cmp_gt_i64_e32 vcc, 0, v[3:4]
	v_not_b32_e32 v4, v4
	v_ashrrev_i32_e32 v4, 31, v4
	v_and_b32_e32 v2, v2, v19
	v_xor_b32_e32 v19, vcc_hi, v4
	v_xor_b32_e32 v4, vcc_lo, v4
	v_and_b32_e32 v15, v15, v4
	v_lshlrev_b32_e32 v4, 27, v1
	v_cmp_gt_i64_e32 vcc, 0, v[3:4]
	v_not_b32_e32 v4, v4
	;; [unrolled: 8-line block ×4, first 2 shown]
	v_ashrrev_i32_e32 v4, 31, v4
	v_and_b32_e32 v2, v2, v19
	v_xor_b32_e32 v19, vcc_hi, v4
	v_xor_b32_e32 v4, vcc_lo, v4
	v_and_b32_e32 v15, v15, v4
	v_lshlrev_b32_e32 v4, 24, v1
	v_mul_u32_u24_e32 v17, 36, v1
	v_cmp_gt_i64_e32 vcc, 0, v[3:4]
	v_not_b32_e32 v1, v4
	v_ashrrev_i32_e32 v1, 31, v1
	v_xor_b32_e32 v3, vcc_hi, v1
	v_xor_b32_e32 v1, vcc_lo, v1
	v_and_b32_e32 v2, v2, v19
	v_and_b32_e32 v1, v15, v1
	;; [unrolled: 1-line block ×3, first 2 shown]
	v_mbcnt_lo_u32_b32 v3, v1, 0
	v_mbcnt_hi_u32_b32 v15, v2, v3
	v_cmp_ne_u64_e32 vcc, 0, v[1:2]
	v_cmp_eq_u32_e64 s[4:5], 0, v15
	s_and_b64 s[6:7], vcc, s[4:5]
	v_add_u32_e32 v24, v25, v17
	; wave barrier
	s_and_saveexec_b64 s[4:5], s[6:7]
	s_cbranch_execz .LBB621_87
; %bb.86:
	v_bcnt_u32_b32 v1, v1, 0
	v_bcnt_u32_b32 v1, v2, v1
	s_waitcnt lgkmcnt(0)
	v_add_u32_e32 v1, v13, v1
	ds_write_b32 v24, v1 offset:32
.LBB621_87:
	s_or_b64 exec, exec, s[4:5]
	v_xor_b32_e32 v21, 0xffffff80, v16
	v_lshrrev_b32_sdwa v1, s44, v21 dst_sel:DWORD dst_unused:UNUSED_PAD src0_sel:DWORD src1_sel:BYTE_0
	v_and_b32_e32 v3, s15, v1
	v_and_b32_e32 v2, 1, v3
	v_add_co_u32_e32 v17, vcc, -1, v2
	v_addc_co_u32_e64 v19, s[4:5], 0, -1, vcc
	v_cmp_ne_u32_e32 vcc, 0, v2
	v_mad_u32_u24 v1, v3, 36, v25
	v_xor_b32_e32 v2, vcc_hi, v19
	; wave barrier
	ds_read_b32 v16, v1 offset:32
	v_mov_b32_e32 v1, 0
	v_and_b32_e32 v19, exec_hi, v2
	v_lshlrev_b32_e32 v2, 30, v3
	v_xor_b32_e32 v17, vcc_lo, v17
	v_cmp_gt_i64_e32 vcc, 0, v[1:2]
	v_not_b32_e32 v2, v2
	v_ashrrev_i32_e32 v2, 31, v2
	v_and_b32_e32 v17, exec_lo, v17
	v_xor_b32_e32 v22, vcc_hi, v2
	v_xor_b32_e32 v2, vcc_lo, v2
	v_and_b32_e32 v17, v17, v2
	v_lshlrev_b32_e32 v2, 29, v3
	v_cmp_gt_i64_e32 vcc, 0, v[1:2]
	v_not_b32_e32 v2, v2
	v_ashrrev_i32_e32 v2, 31, v2
	v_and_b32_e32 v19, v19, v22
	v_xor_b32_e32 v22, vcc_hi, v2
	v_xor_b32_e32 v2, vcc_lo, v2
	v_and_b32_e32 v17, v17, v2
	v_lshlrev_b32_e32 v2, 28, v3
	v_cmp_gt_i64_e32 vcc, 0, v[1:2]
	v_not_b32_e32 v2, v2
	v_ashrrev_i32_e32 v2, 31, v2
	v_and_b32_e32 v19, v19, v22
	;; [unrolled: 8-line block ×5, first 2 shown]
	v_xor_b32_e32 v22, vcc_hi, v2
	v_xor_b32_e32 v2, vcc_lo, v2
	v_and_b32_e32 v17, v17, v2
	v_lshlrev_b32_e32 v2, 24, v3
	v_cmp_gt_i64_e32 vcc, 0, v[1:2]
	v_not_b32_e32 v2, v2
	v_ashrrev_i32_e32 v2, 31, v2
	v_mul_u32_u24_e32 v4, 36, v3
	v_xor_b32_e32 v3, vcc_hi, v2
	v_xor_b32_e32 v2, vcc_lo, v2
	v_and_b32_e32 v19, v19, v22
	v_and_b32_e32 v2, v17, v2
	;; [unrolled: 1-line block ×3, first 2 shown]
	v_mbcnt_lo_u32_b32 v17, v2, 0
	v_mbcnt_hi_u32_b32 v17, v3, v17
	v_cmp_ne_u64_e32 vcc, 0, v[2:3]
	v_cmp_eq_u32_e64 s[4:5], 0, v17
	s_and_b64 s[6:7], vcc, s[4:5]
	v_add_u32_e32 v28, v25, v4
	; wave barrier
	s_and_saveexec_b64 s[4:5], s[6:7]
	s_cbranch_execz .LBB621_89
; %bb.88:
	v_bcnt_u32_b32 v2, v2, 0
	v_bcnt_u32_b32 v2, v3, v2
	s_waitcnt lgkmcnt(0)
	v_add_u32_e32 v2, v16, v2
	ds_write_b32 v28, v2 offset:32
.LBB621_89:
	s_or_b64 exec, exec, s[4:5]
	v_xor_b32_e32 v26, 0xffffff80, v18
	v_lshrrev_b32_sdwa v2, s44, v26 dst_sel:DWORD dst_unused:UNUSED_PAD src0_sel:DWORD src1_sel:BYTE_0
	v_and_b32_e32 v3, s15, v2
	v_mad_u32_u24 v2, v3, 36, v25
	; wave barrier
	ds_read_b32 v18, v2 offset:32
	v_and_b32_e32 v2, 1, v3
	v_add_co_u32_e32 v19, vcc, -1, v2
	v_addc_co_u32_e64 v22, s[4:5], 0, -1, vcc
	v_cmp_ne_u32_e32 vcc, 0, v2
	v_xor_b32_e32 v2, vcc_hi, v22
	v_and_b32_e32 v22, exec_hi, v2
	v_lshlrev_b32_e32 v2, 30, v3
	v_xor_b32_e32 v19, vcc_lo, v19
	v_cmp_gt_i64_e32 vcc, 0, v[1:2]
	v_not_b32_e32 v2, v2
	v_ashrrev_i32_e32 v2, 31, v2
	v_and_b32_e32 v19, exec_lo, v19
	v_xor_b32_e32 v27, vcc_hi, v2
	v_xor_b32_e32 v2, vcc_lo, v2
	v_and_b32_e32 v19, v19, v2
	v_lshlrev_b32_e32 v2, 29, v3
	v_cmp_gt_i64_e32 vcc, 0, v[1:2]
	v_not_b32_e32 v2, v2
	v_ashrrev_i32_e32 v2, 31, v2
	v_and_b32_e32 v22, v22, v27
	v_xor_b32_e32 v27, vcc_hi, v2
	v_xor_b32_e32 v2, vcc_lo, v2
	v_and_b32_e32 v19, v19, v2
	v_lshlrev_b32_e32 v2, 28, v3
	v_cmp_gt_i64_e32 vcc, 0, v[1:2]
	v_not_b32_e32 v2, v2
	v_ashrrev_i32_e32 v2, 31, v2
	v_and_b32_e32 v22, v22, v27
	;; [unrolled: 8-line block ×5, first 2 shown]
	v_xor_b32_e32 v27, vcc_hi, v2
	v_xor_b32_e32 v2, vcc_lo, v2
	v_and_b32_e32 v19, v19, v2
	v_lshlrev_b32_e32 v2, 24, v3
	v_cmp_gt_i64_e32 vcc, 0, v[1:2]
	v_not_b32_e32 v1, v2
	v_ashrrev_i32_e32 v1, 31, v1
	v_xor_b32_e32 v2, vcc_hi, v1
	v_xor_b32_e32 v1, vcc_lo, v1
	v_and_b32_e32 v22, v22, v27
	v_and_b32_e32 v1, v19, v1
	v_mul_u32_u24_e32 v4, 36, v3
	v_and_b32_e32 v2, v22, v2
	v_mbcnt_lo_u32_b32 v3, v1, 0
	v_mbcnt_hi_u32_b32 v19, v2, v3
	v_cmp_ne_u64_e32 vcc, 0, v[1:2]
	v_cmp_eq_u32_e64 s[4:5], 0, v19
	s_and_b64 s[6:7], vcc, s[4:5]
	v_add_u32_e32 v29, v25, v4
	; wave barrier
	s_and_saveexec_b64 s[4:5], s[6:7]
	s_cbranch_execz .LBB621_91
; %bb.90:
	v_bcnt_u32_b32 v1, v1, 0
	v_bcnt_u32_b32 v1, v2, v1
	s_waitcnt lgkmcnt(0)
	v_add_u32_e32 v1, v18, v1
	ds_write_b32 v29, v1 offset:32
.LBB621_91:
	s_or_b64 exec, exec, s[4:5]
	v_xor_b32_e32 v30, 0xffffff80, v20
	v_lshrrev_b32_sdwa v1, s44, v30 dst_sel:DWORD dst_unused:UNUSED_PAD src0_sel:DWORD src1_sel:BYTE_0
	v_and_b32_e32 v3, s15, v1
	v_and_b32_e32 v2, 1, v3
	v_add_co_u32_e32 v22, vcc, -1, v2
	v_addc_co_u32_e64 v27, s[4:5], 0, -1, vcc
	v_cmp_ne_u32_e32 vcc, 0, v2
	v_mad_u32_u24 v1, v3, 36, v25
	v_xor_b32_e32 v2, vcc_hi, v27
	; wave barrier
	ds_read_b32 v20, v1 offset:32
	v_mov_b32_e32 v1, 0
	v_and_b32_e32 v27, exec_hi, v2
	v_lshlrev_b32_e32 v2, 30, v3
	v_xor_b32_e32 v22, vcc_lo, v22
	v_cmp_gt_i64_e32 vcc, 0, v[1:2]
	v_not_b32_e32 v2, v2
	v_ashrrev_i32_e32 v2, 31, v2
	v_and_b32_e32 v22, exec_lo, v22
	v_xor_b32_e32 v31, vcc_hi, v2
	v_xor_b32_e32 v2, vcc_lo, v2
	v_and_b32_e32 v22, v22, v2
	v_lshlrev_b32_e32 v2, 29, v3
	v_cmp_gt_i64_e32 vcc, 0, v[1:2]
	v_not_b32_e32 v2, v2
	v_ashrrev_i32_e32 v2, 31, v2
	v_and_b32_e32 v27, v27, v31
	v_xor_b32_e32 v31, vcc_hi, v2
	v_xor_b32_e32 v2, vcc_lo, v2
	v_and_b32_e32 v22, v22, v2
	v_lshlrev_b32_e32 v2, 28, v3
	v_cmp_gt_i64_e32 vcc, 0, v[1:2]
	v_not_b32_e32 v2, v2
	v_ashrrev_i32_e32 v2, 31, v2
	v_and_b32_e32 v27, v27, v31
	;; [unrolled: 8-line block ×5, first 2 shown]
	v_xor_b32_e32 v31, vcc_hi, v2
	v_xor_b32_e32 v2, vcc_lo, v2
	v_and_b32_e32 v22, v22, v2
	v_lshlrev_b32_e32 v2, 24, v3
	v_cmp_gt_i64_e32 vcc, 0, v[1:2]
	v_not_b32_e32 v2, v2
	v_ashrrev_i32_e32 v2, 31, v2
	v_mul_u32_u24_e32 v4, 36, v3
	v_xor_b32_e32 v3, vcc_hi, v2
	v_xor_b32_e32 v2, vcc_lo, v2
	v_and_b32_e32 v27, v27, v31
	v_and_b32_e32 v2, v22, v2
	;; [unrolled: 1-line block ×3, first 2 shown]
	v_mbcnt_lo_u32_b32 v22, v2, 0
	v_mbcnt_hi_u32_b32 v22, v3, v22
	v_cmp_ne_u64_e32 vcc, 0, v[2:3]
	v_cmp_eq_u32_e64 s[4:5], 0, v22
	s_and_b64 s[6:7], vcc, s[4:5]
	v_add_u32_e32 v34, v25, v4
	; wave barrier
	s_and_saveexec_b64 s[4:5], s[6:7]
	s_cbranch_execz .LBB621_93
; %bb.92:
	v_bcnt_u32_b32 v2, v2, 0
	v_bcnt_u32_b32 v2, v3, v2
	s_waitcnt lgkmcnt(0)
	v_add_u32_e32 v2, v20, v2
	ds_write_b32 v34, v2 offset:32
.LBB621_93:
	s_or_b64 exec, exec, s[4:5]
	v_xor_b32_e32 v35, 0xffffff80, v23
	v_lshrrev_b32_sdwa v2, s44, v35 dst_sel:DWORD dst_unused:UNUSED_PAD src0_sel:DWORD src1_sel:BYTE_0
	v_and_b32_e32 v3, s15, v2
	v_mad_u32_u24 v2, v3, 36, v25
	; wave barrier
	ds_read_b32 v23, v2 offset:32
	v_and_b32_e32 v2, 1, v3
	v_add_co_u32_e32 v27, vcc, -1, v2
	v_addc_co_u32_e64 v31, s[4:5], 0, -1, vcc
	v_cmp_ne_u32_e32 vcc, 0, v2
	v_xor_b32_e32 v2, vcc_hi, v31
	v_and_b32_e32 v31, exec_hi, v2
	v_lshlrev_b32_e32 v2, 30, v3
	v_xor_b32_e32 v27, vcc_lo, v27
	v_cmp_gt_i64_e32 vcc, 0, v[1:2]
	v_not_b32_e32 v2, v2
	v_ashrrev_i32_e32 v2, 31, v2
	v_and_b32_e32 v27, exec_lo, v27
	v_xor_b32_e32 v32, vcc_hi, v2
	v_xor_b32_e32 v2, vcc_lo, v2
	v_and_b32_e32 v27, v27, v2
	v_lshlrev_b32_e32 v2, 29, v3
	v_cmp_gt_i64_e32 vcc, 0, v[1:2]
	v_not_b32_e32 v2, v2
	v_ashrrev_i32_e32 v2, 31, v2
	v_and_b32_e32 v31, v31, v32
	v_xor_b32_e32 v32, vcc_hi, v2
	v_xor_b32_e32 v2, vcc_lo, v2
	v_and_b32_e32 v27, v27, v2
	v_lshlrev_b32_e32 v2, 28, v3
	v_cmp_gt_i64_e32 vcc, 0, v[1:2]
	v_not_b32_e32 v2, v2
	v_ashrrev_i32_e32 v2, 31, v2
	v_and_b32_e32 v31, v31, v32
	;; [unrolled: 8-line block ×5, first 2 shown]
	v_xor_b32_e32 v32, vcc_hi, v2
	v_xor_b32_e32 v2, vcc_lo, v2
	v_and_b32_e32 v27, v27, v2
	v_lshlrev_b32_e32 v2, 24, v3
	v_cmp_gt_i64_e32 vcc, 0, v[1:2]
	v_not_b32_e32 v1, v2
	v_ashrrev_i32_e32 v1, 31, v1
	v_xor_b32_e32 v2, vcc_hi, v1
	v_xor_b32_e32 v1, vcc_lo, v1
	v_and_b32_e32 v31, v31, v32
	v_and_b32_e32 v1, v27, v1
	v_mul_u32_u24_e32 v4, 36, v3
	v_and_b32_e32 v2, v31, v2
	v_mbcnt_lo_u32_b32 v3, v1, 0
	v_mbcnt_hi_u32_b32 v27, v2, v3
	v_cmp_ne_u64_e32 vcc, 0, v[1:2]
	v_cmp_eq_u32_e64 s[4:5], 0, v27
	s_and_b64 s[6:7], vcc, s[4:5]
	v_add_u32_e32 v36, v25, v4
	; wave barrier
	s_and_saveexec_b64 s[4:5], s[6:7]
	s_cbranch_execz .LBB621_95
; %bb.94:
	v_bcnt_u32_b32 v1, v1, 0
	v_bcnt_u32_b32 v1, v2, v1
	s_waitcnt lgkmcnt(0)
	v_add_u32_e32 v1, v23, v1
	ds_write_b32 v36, v1 offset:32
.LBB621_95:
	s_or_b64 exec, exec, s[4:5]
	; wave barrier
	s_waitcnt lgkmcnt(0)
	s_barrier
	ds_read2_b32 v[3:4], v12 offset0:8 offset1:9
	ds_read2_b32 v[1:2], v12 offset0:10 offset1:11
	ds_read_b32 v25, v12 offset:48
	v_min_u32_e32 v9, 0x1c0, v9
	v_or_b32_e32 v9, 63, v9
	s_waitcnt lgkmcnt(1)
	v_add3_u32 v31, v4, v3, v1
	s_waitcnt lgkmcnt(0)
	v_add3_u32 v25, v31, v2, v25
	v_and_b32_e32 v31, 15, v6
	v_cmp_ne_u32_e32 vcc, 0, v31
	v_mov_b32_dpp v32, v25 row_shr:1 row_mask:0xf bank_mask:0xf
	v_cndmask_b32_e32 v32, 0, v32, vcc
	v_add_u32_e32 v25, v32, v25
	v_cmp_lt_u32_e32 vcc, 1, v31
	s_nop 0
	v_mov_b32_dpp v32, v25 row_shr:2 row_mask:0xf bank_mask:0xf
	v_cndmask_b32_e32 v32, 0, v32, vcc
	v_add_u32_e32 v25, v25, v32
	v_cmp_lt_u32_e32 vcc, 3, v31
	s_nop 0
	;; [unrolled: 5-line block ×3, first 2 shown]
	v_mov_b32_dpp v32, v25 row_shr:8 row_mask:0xf bank_mask:0xf
	v_cndmask_b32_e32 v31, 0, v32, vcc
	v_add_u32_e32 v25, v25, v31
	v_bfe_i32 v32, v6, 4, 1
	v_cmp_lt_u32_e32 vcc, 31, v6
	v_mov_b32_dpp v31, v25 row_bcast:15 row_mask:0xf bank_mask:0xf
	v_and_b32_e32 v31, v32, v31
	v_add_u32_e32 v25, v25, v31
	v_lshrrev_b32_e32 v32, 6, v0
	s_nop 0
	v_mov_b32_dpp v31, v25 row_bcast:31 row_mask:0xf bank_mask:0xf
	v_cndmask_b32_e32 v31, 0, v31, vcc
	v_add_u32_e32 v31, v25, v31
	v_cmp_eq_u32_e32 vcc, v0, v9
	s_and_saveexec_b64 s[4:5], vcc
; %bb.96:
	v_lshlrev_b32_e32 v9, 2, v32
	ds_write_b32 v9, v31
; %bb.97:
	s_or_b64 exec, exec, s[4:5]
	v_cmp_gt_u32_e32 vcc, 8, v0
	v_lshlrev_b32_e32 v25, 2, v0
	s_waitcnt lgkmcnt(0)
	s_barrier
	s_and_saveexec_b64 s[4:5], vcc
	s_cbranch_execz .LBB621_99
; %bb.98:
	ds_read_b32 v9, v25
	v_and_b32_e32 v33, 7, v6
	v_cmp_ne_u32_e32 vcc, 0, v33
	s_waitcnt lgkmcnt(0)
	v_mov_b32_dpp v37, v9 row_shr:1 row_mask:0xf bank_mask:0xf
	v_cndmask_b32_e32 v37, 0, v37, vcc
	v_add_u32_e32 v9, v37, v9
	v_cmp_lt_u32_e32 vcc, 1, v33
	s_nop 0
	v_mov_b32_dpp v37, v9 row_shr:2 row_mask:0xf bank_mask:0xf
	v_cndmask_b32_e32 v37, 0, v37, vcc
	v_add_u32_e32 v9, v9, v37
	v_cmp_lt_u32_e32 vcc, 3, v33
	s_nop 0
	v_mov_b32_dpp v37, v9 row_shr:4 row_mask:0xf bank_mask:0xf
	v_cndmask_b32_e32 v33, 0, v37, vcc
	v_add_u32_e32 v9, v9, v33
	ds_write_b32 v25, v9
.LBB621_99:
	s_or_b64 exec, exec, s[4:5]
	v_cmp_lt_u32_e32 vcc, 63, v0
	v_mov_b32_e32 v9, 0
	s_waitcnt lgkmcnt(0)
	s_barrier
	s_and_saveexec_b64 s[4:5], vcc
; %bb.100:
	v_lshl_add_u32 v9, v32, 2, -4
	ds_read_b32 v9, v9
; %bb.101:
	s_or_b64 exec, exec, s[4:5]
	v_subrev_co_u32_e32 v32, vcc, 1, v6
	v_and_b32_e32 v33, 64, v6
	v_cmp_lt_i32_e64 s[4:5], v32, v33
	v_cndmask_b32_e64 v6, v32, v6, s[4:5]
	s_waitcnt lgkmcnt(0)
	v_add_u32_e32 v31, v9, v31
	v_lshlrev_b32_e32 v6, 2, v6
	ds_bpermute_b32 v6, v6, v31
	s_movk_i32 s4, 0xff
	s_movk_i32 s6, 0x100
	s_waitcnt lgkmcnt(0)
	v_cndmask_b32_e32 v6, v6, v9, vcc
	v_cndmask_b32_e64 v6, v6, 0, s[22:23]
	v_add_u32_e32 v3, v6, v3
	v_add_u32_e32 v4, v3, v4
	;; [unrolled: 1-line block ×4, first 2 shown]
	ds_write2_b32 v12, v6, v3 offset0:8 offset1:9
	ds_write2_b32 v12, v4, v1 offset0:10 offset1:11
	ds_write_b32 v12, v2 offset:48
	s_waitcnt lgkmcnt(0)
	s_barrier
	ds_read_b32 v1, v14 offset:32
	ds_read_b32 v31, v24 offset:32
	;; [unrolled: 1-line block ×6, first 2 shown]
	v_cmp_lt_u32_e32 vcc, s4, v0
	v_cmp_gt_u32_e64 s[4:5], s6, v0
                                        ; implicit-def: $vgpr24
                                        ; implicit-def: $vgpr28
	s_and_saveexec_b64 s[8:9], s[4:5]
	s_cbranch_execz .LBB621_105
; %bb.102:
	v_mul_u32_u24_e32 v2, 36, v0
	ds_read_b32 v24, v2 offset:32
	v_add_u32_e32 v3, 1, v0
	v_cmp_ne_u32_e64 s[6:7], s6, v3
	v_mov_b32_e32 v2, 0xc00
	s_and_saveexec_b64 s[10:11], s[6:7]
; %bb.103:
	v_mul_u32_u24_e32 v2, 36, v3
	ds_read_b32 v2, v2 offset:32
; %bb.104:
	s_or_b64 exec, exec, s[10:11]
	s_waitcnt lgkmcnt(0)
	v_sub_u32_e32 v28, v2, v24
.LBB621_105:
	s_or_b64 exec, exec, s[8:9]
	s_waitcnt lgkmcnt(5)
	v_add_u32_e32 v29, v1, v11
	s_waitcnt lgkmcnt(3)
	v_add3_u32 v2, v17, v16, v32
	v_add3_u32 v1, v15, v13, v31
	s_waitcnt lgkmcnt(2)
	v_add3_u32 v3, v19, v18, v33
	s_waitcnt lgkmcnt(1)
	;; [unrolled: 2-line block ×3, first 2 shown]
	v_add3_u32 v6, v27, v23, v14
	s_barrier
	ds_write_b8 v29, v10 offset:1024
	ds_write_b8 v1, v5 offset:1024
	;; [unrolled: 1-line block ×6, first 2 shown]
	v_mov_b32_e32 v2, 0
	s_and_saveexec_b64 s[6:7], s[4:5]
	s_cbranch_execz .LBB621_115
; %bb.106:
	v_lshl_add_u32 v1, s33, 8, v0
	v_lshlrev_b64 v[3:4], 2, v[1:2]
	v_mov_b32_e32 v9, s35
	v_add_co_u32_e64 v3, s[4:5], s34, v3
	v_addc_co_u32_e64 v4, s[4:5], v9, v4, s[4:5]
	v_or_b32_e32 v1, 2.0, v28
	s_mov_b64 s[8:9], 0
	s_brev_b32 s16, -4
	s_mov_b32 s17, s33
	v_mov_b32_e32 v10, 0
	global_store_dword v[3:4], v1, off
                                        ; implicit-def: $sgpr4_sgpr5
	s_branch .LBB621_109
.LBB621_107:                            ;   in Loop: Header=BB621_109 Depth=1
	s_or_b64 exec, exec, s[12:13]
.LBB621_108:                            ;   in Loop: Header=BB621_109 Depth=1
	s_or_b64 exec, exec, s[10:11]
	v_and_b32_e32 v5, 0x3fffffff, v1
	v_add_u32_e32 v10, v5, v10
	v_cmp_gt_i32_e64 s[4:5], -2.0, v1
	s_and_b64 s[10:11], exec, s[4:5]
	s_or_b64 s[8:9], s[10:11], s[8:9]
	s_andn2_b64 exec, exec, s[8:9]
	s_cbranch_execz .LBB621_114
.LBB621_109:                            ; =>This Loop Header: Depth=1
                                        ;     Child Loop BB621_112 Depth 2
	s_or_b64 s[4:5], s[4:5], exec
	s_cmp_eq_u32 s17, 0
	s_cbranch_scc1 .LBB621_113
; %bb.110:                              ;   in Loop: Header=BB621_109 Depth=1
	s_add_i32 s17, s17, -1
	v_lshl_or_b32 v1, s17, 8, v0
	v_lshlrev_b64 v[5:6], 2, v[1:2]
	v_add_co_u32_e64 v5, s[4:5], s34, v5
	v_addc_co_u32_e64 v6, s[4:5], v9, v6, s[4:5]
	global_load_dword v1, v[5:6], off glc
	s_waitcnt vmcnt(0)
	v_cmp_gt_u32_e64 s[4:5], 2.0, v1
	s_and_saveexec_b64 s[10:11], s[4:5]
	s_cbranch_execz .LBB621_108
; %bb.111:                              ;   in Loop: Header=BB621_109 Depth=1
	s_mov_b64 s[12:13], 0
.LBB621_112:                            ;   Parent Loop BB621_109 Depth=1
                                        ; =>  This Inner Loop Header: Depth=2
	global_load_dword v1, v[5:6], off glc
	s_waitcnt vmcnt(0)
	v_cmp_lt_u32_e64 s[4:5], s16, v1
	s_or_b64 s[12:13], s[4:5], s[12:13]
	s_andn2_b64 exec, exec, s[12:13]
	s_cbranch_execnz .LBB621_112
	s_branch .LBB621_107
.LBB621_113:                            ;   in Loop: Header=BB621_109 Depth=1
                                        ; implicit-def: $sgpr17
	s_and_b64 s[10:11], exec, s[4:5]
	s_or_b64 s[8:9], s[10:11], s[8:9]
	s_andn2_b64 exec, exec, s[8:9]
	s_cbranch_execnz .LBB621_109
.LBB621_114:
	s_or_b64 exec, exec, s[8:9]
	v_add_u32_e32 v1, v10, v28
	v_or_b32_e32 v1, 0x80000000, v1
	global_store_dword v[3:4], v1, off
	global_load_dword v1, v25, s[28:29]
	v_sub_u32_e32 v2, v10, v24
	s_waitcnt vmcnt(0)
	v_add_u32_e32 v1, v2, v1
	ds_write_b32 v25, v1
.LBB621_115:
	s_or_b64 exec, exec, s[6:7]
	s_waitcnt lgkmcnt(0)
	s_barrier
	ds_read_u8 v1, v0 offset:1024
	ds_read_u8 v2, v0 offset:1536
	;; [unrolled: 1-line block ×6, first 2 shown]
	s_waitcnt lgkmcnt(5)
	v_lshrrev_b32_sdwa v9, s44, v1 dst_sel:DWORD dst_unused:UNUSED_PAD src0_sel:DWORD src1_sel:BYTE_0
	s_waitcnt lgkmcnt(4)
	v_lshrrev_b32_sdwa v10, s44, v2 dst_sel:DWORD dst_unused:UNUSED_PAD src0_sel:DWORD src1_sel:BYTE_0
	;; [unrolled: 2-line block ×6, first 2 shown]
	v_and_b32_e32 v21, s15, v9
	v_and_b32_e32 v26, s15, v10
	;; [unrolled: 1-line block ×6, first 2 shown]
	v_lshlrev_b32_e32 v9, 2, v21
	v_lshlrev_b32_e32 v10, 2, v26
	;; [unrolled: 1-line block ×6, first 2 shown]
	ds_read_b32 v9, v9
	ds_read_b32 v10, v10
	;; [unrolled: 1-line block ×6, first 2 shown]
	v_xor_b32_e32 v1, 0x80, v1
	s_waitcnt lgkmcnt(5)
	v_add_u32_e32 v9, v9, v0
	s_movk_i32 s6, 0x200
	global_store_byte v9, v1, s[38:39]
	v_xor_b32_e32 v1, 0x80, v2
	s_waitcnt lgkmcnt(4)
	v_add3_u32 v2, v0, v10, s6
	s_movk_i32 s4, 0x400
	global_store_byte v2, v1, s[38:39]
	v_xor_b32_e32 v1, 0x80, v3
	s_waitcnt lgkmcnt(3)
	v_add3_u32 v2, v11, v0, s4
	;; [unrolled: 5-line block ×4, first 2 shown]
	s_movk_i32 s4, 0xa00
	global_store_byte v2, v1, s[38:39]
	s_waitcnt lgkmcnt(0)
	v_add3_u32 v2, v0, v36, s4
	s_lshl_b64 s[4:5], s[26:27], 3
	v_xor_b32_e32 v1, 0x80, v6
	s_add_u32 s4, s40, s4
	global_store_byte v2, v1, s[38:39]
	s_addc_u32 s5, s41, s5
	v_lshlrev_b32_e32 v1, 3, v8
	v_mov_b32_e32 v2, s5
	v_add_co_u32_e64 v1, s[4:5], s4, v1
	v_addc_co_u32_e64 v2, s[4:5], 0, v2, s[4:5]
	v_lshlrev_b32_e32 v3, 3, v7
	v_add_co_u32_e64 v35, s[4:5], v1, v3
	v_addc_co_u32_e64 v36, s[4:5], 0, v2, s[4:5]
	global_load_dwordx2 v[1:2], v[35:36], off
	global_load_dwordx2 v[3:4], v[35:36], off offset:512
	global_load_dwordx2 v[5:6], v[35:36], off offset:1024
	;; [unrolled: 1-line block ×5, first 2 shown]
	v_add3_u32 v20, v22, v34, v20
	v_mul_u32_u24_e32 v22, 7, v0
	buffer_store_dword v21, off, s[0:3], 0
	buffer_store_dword v26, off, s[0:3], 0 offset:4
	buffer_store_dword v30, off, s[0:3], 0 offset:8
	;; [unrolled: 1-line block ×5, first 2 shown]
	v_add3_u32 v21, v27, v14, v23
	v_mov_b32_e32 v14, 0
	v_add3_u32 v18, v19, v33, v18
	v_add3_u32 v16, v17, v32, v16
	;; [unrolled: 1-line block ×3, first 2 shown]
	s_mov_b32 s7, 0
	s_mov_b32 s8, 0
	v_add_u32_e32 v17, v0, v22
	v_mov_b32_e32 v19, s43
	s_waitcnt vmcnt(0)
	s_barrier
.LBB621_116:                            ; =>This Inner Loop Header: Depth=1
	v_add_u32_e32 v13, s8, v29
	v_add_u32_e32 v22, s8, v15
	;; [unrolled: 1-line block ×6, first 2 shown]
	v_min_u32_e32 v13, 0x400, v13
	v_min_u32_e32 v22, 0x400, v22
	v_mov_b32_e32 v31, s7
	v_min_u32_e32 v23, 0x400, v23
	v_min_u32_e32 v26, 0x400, v26
	;; [unrolled: 1-line block ×4, first 2 shown]
	v_lshlrev_b32_e32 v13, 3, v13
	v_lshlrev_b32_e32 v22, 3, v22
	;; [unrolled: 1-line block ×6, first 2 shown]
	ds_write_b64 v13, v[1:2] offset:1024
	ds_write_b64 v22, v[3:4] offset:1024
	ds_write_b64 v23, v[5:6] offset:1024
	ds_write_b64 v26, v[7:8] offset:1024
	ds_write_b64 v27, v[9:10] offset:1024
	ds_write_b64 v30, v[11:12] offset:1024
	s_waitcnt lgkmcnt(0)
	s_barrier
	buffer_load_dword v13, v31, s[0:3], 0 offen
	buffer_load_dword v22, v31, s[0:3], 0 offen offset:4
	ds_read2st64_b64 v[30:33], v17 offset0:2 offset1:10
	s_addk_i32 s8, 0xfc00
	s_add_i32 s7, s7, 8
	s_cmpk_lg_i32 s8, 0xf400
	s_waitcnt vmcnt(1)
	v_lshlrev_b32_e32 v13, 2, v13
	s_waitcnt vmcnt(0)
	v_lshlrev_b32_e32 v22, 2, v22
	ds_read_b32 v13, v13
	ds_read_b32 v26, v22
	s_waitcnt lgkmcnt(1)
	v_add_u32_e32 v13, v0, v13
	v_lshlrev_b64 v[22:23], 3, v[13:14]
	s_waitcnt lgkmcnt(0)
	v_add3_u32 v13, v0, v26, s6
	v_lshlrev_b64 v[26:27], 3, v[13:14]
	v_add_co_u32_e64 v22, s[4:5], s42, v22
	v_addc_co_u32_e64 v23, s[4:5], v19, v23, s[4:5]
	global_store_dwordx2 v[22:23], v[30:31], off
	v_add_co_u32_e64 v22, s[4:5], s42, v26
	v_add_u32_e32 v0, 0x400, v0
	v_addc_co_u32_e64 v23, s[4:5], v19, v27, s[4:5]
	global_store_dwordx2 v[22:23], v[32:33], off
	s_waitcnt vmcnt(0)
	s_barrier
	s_cbranch_scc1 .LBB621_116
; %bb.117:
	s_add_i32 s14, s14, -1
	s_cmp_eq_u32 s33, s14
	s_cselect_b64 s[4:5], -1, 0
	s_xor_b64 s[6:7], vcc, -1
	s_and_b64 s[4:5], s[6:7], s[4:5]
	s_and_saveexec_b64 s[6:7], s[4:5]
	s_cbranch_execz .LBB621_119
; %bb.118:
	ds_read_b32 v0, v25
	s_waitcnt lgkmcnt(0)
	v_add3_u32 v0, v24, v28, v0
	global_store_dword v25, v0, s[30:31]
.LBB621_119:
	s_endpgm
	.section	.rodata,"a",@progbits
	.p2align	6, 0x0
	.amdhsa_kernel _ZN7rocprim17ROCPRIM_400000_NS6detail17trampoline_kernelINS0_14default_configENS1_35radix_sort_onesweep_config_selectorIalEEZZNS1_29radix_sort_onesweep_iterationIS3_Lb0EPaS7_N6thrust23THRUST_200600_302600_NS10device_ptrIlEESB_jNS0_19identity_decomposerENS1_16block_id_wrapperIjLb1EEEEE10hipError_tT1_PNSt15iterator_traitsISG_E10value_typeET2_T3_PNSH_ISM_E10value_typeET4_T5_PSR_SS_PNS1_23onesweep_lookback_stateEbbT6_jjT7_P12ihipStream_tbENKUlT_T0_SG_SL_E_clIS7_S7_PlSB_EEDaSZ_S10_SG_SL_EUlSZ_E_NS1_11comp_targetILNS1_3genE2ELNS1_11target_archE906ELNS1_3gpuE6ELNS1_3repE0EEENS1_47radix_sort_onesweep_sort_config_static_selectorELNS0_4arch9wavefront6targetE1EEEvSG_
		.amdhsa_group_segment_fixed_size 10280
		.amdhsa_private_segment_fixed_size 32
		.amdhsa_kernarg_size 344
		.amdhsa_user_sgpr_count 6
		.amdhsa_user_sgpr_private_segment_buffer 1
		.amdhsa_user_sgpr_dispatch_ptr 0
		.amdhsa_user_sgpr_queue_ptr 0
		.amdhsa_user_sgpr_kernarg_segment_ptr 1
		.amdhsa_user_sgpr_dispatch_id 0
		.amdhsa_user_sgpr_flat_scratch_init 0
		.amdhsa_user_sgpr_private_segment_size 0
		.amdhsa_uses_dynamic_stack 0
		.amdhsa_system_sgpr_private_segment_wavefront_offset 1
		.amdhsa_system_sgpr_workgroup_id_x 1
		.amdhsa_system_sgpr_workgroup_id_y 0
		.amdhsa_system_sgpr_workgroup_id_z 0
		.amdhsa_system_sgpr_workgroup_info 0
		.amdhsa_system_vgpr_workitem_id 2
		.amdhsa_next_free_vgpr 41
		.amdhsa_next_free_sgpr 56
		.amdhsa_reserve_vcc 1
		.amdhsa_reserve_flat_scratch 0
		.amdhsa_float_round_mode_32 0
		.amdhsa_float_round_mode_16_64 0
		.amdhsa_float_denorm_mode_32 3
		.amdhsa_float_denorm_mode_16_64 3
		.amdhsa_dx10_clamp 1
		.amdhsa_ieee_mode 1
		.amdhsa_fp16_overflow 0
		.amdhsa_exception_fp_ieee_invalid_op 0
		.amdhsa_exception_fp_denorm_src 0
		.amdhsa_exception_fp_ieee_div_zero 0
		.amdhsa_exception_fp_ieee_overflow 0
		.amdhsa_exception_fp_ieee_underflow 0
		.amdhsa_exception_fp_ieee_inexact 0
		.amdhsa_exception_int_div_zero 0
	.end_amdhsa_kernel
	.section	.text._ZN7rocprim17ROCPRIM_400000_NS6detail17trampoline_kernelINS0_14default_configENS1_35radix_sort_onesweep_config_selectorIalEEZZNS1_29radix_sort_onesweep_iterationIS3_Lb0EPaS7_N6thrust23THRUST_200600_302600_NS10device_ptrIlEESB_jNS0_19identity_decomposerENS1_16block_id_wrapperIjLb1EEEEE10hipError_tT1_PNSt15iterator_traitsISG_E10value_typeET2_T3_PNSH_ISM_E10value_typeET4_T5_PSR_SS_PNS1_23onesweep_lookback_stateEbbT6_jjT7_P12ihipStream_tbENKUlT_T0_SG_SL_E_clIS7_S7_PlSB_EEDaSZ_S10_SG_SL_EUlSZ_E_NS1_11comp_targetILNS1_3genE2ELNS1_11target_archE906ELNS1_3gpuE6ELNS1_3repE0EEENS1_47radix_sort_onesweep_sort_config_static_selectorELNS0_4arch9wavefront6targetE1EEEvSG_,"axG",@progbits,_ZN7rocprim17ROCPRIM_400000_NS6detail17trampoline_kernelINS0_14default_configENS1_35radix_sort_onesweep_config_selectorIalEEZZNS1_29radix_sort_onesweep_iterationIS3_Lb0EPaS7_N6thrust23THRUST_200600_302600_NS10device_ptrIlEESB_jNS0_19identity_decomposerENS1_16block_id_wrapperIjLb1EEEEE10hipError_tT1_PNSt15iterator_traitsISG_E10value_typeET2_T3_PNSH_ISM_E10value_typeET4_T5_PSR_SS_PNS1_23onesweep_lookback_stateEbbT6_jjT7_P12ihipStream_tbENKUlT_T0_SG_SL_E_clIS7_S7_PlSB_EEDaSZ_S10_SG_SL_EUlSZ_E_NS1_11comp_targetILNS1_3genE2ELNS1_11target_archE906ELNS1_3gpuE6ELNS1_3repE0EEENS1_47radix_sort_onesweep_sort_config_static_selectorELNS0_4arch9wavefront6targetE1EEEvSG_,comdat
.Lfunc_end621:
	.size	_ZN7rocprim17ROCPRIM_400000_NS6detail17trampoline_kernelINS0_14default_configENS1_35radix_sort_onesweep_config_selectorIalEEZZNS1_29radix_sort_onesweep_iterationIS3_Lb0EPaS7_N6thrust23THRUST_200600_302600_NS10device_ptrIlEESB_jNS0_19identity_decomposerENS1_16block_id_wrapperIjLb1EEEEE10hipError_tT1_PNSt15iterator_traitsISG_E10value_typeET2_T3_PNSH_ISM_E10value_typeET4_T5_PSR_SS_PNS1_23onesweep_lookback_stateEbbT6_jjT7_P12ihipStream_tbENKUlT_T0_SG_SL_E_clIS7_S7_PlSB_EEDaSZ_S10_SG_SL_EUlSZ_E_NS1_11comp_targetILNS1_3genE2ELNS1_11target_archE906ELNS1_3gpuE6ELNS1_3repE0EEENS1_47radix_sort_onesweep_sort_config_static_selectorELNS0_4arch9wavefront6targetE1EEEvSG_, .Lfunc_end621-_ZN7rocprim17ROCPRIM_400000_NS6detail17trampoline_kernelINS0_14default_configENS1_35radix_sort_onesweep_config_selectorIalEEZZNS1_29radix_sort_onesweep_iterationIS3_Lb0EPaS7_N6thrust23THRUST_200600_302600_NS10device_ptrIlEESB_jNS0_19identity_decomposerENS1_16block_id_wrapperIjLb1EEEEE10hipError_tT1_PNSt15iterator_traitsISG_E10value_typeET2_T3_PNSH_ISM_E10value_typeET4_T5_PSR_SS_PNS1_23onesweep_lookback_stateEbbT6_jjT7_P12ihipStream_tbENKUlT_T0_SG_SL_E_clIS7_S7_PlSB_EEDaSZ_S10_SG_SL_EUlSZ_E_NS1_11comp_targetILNS1_3genE2ELNS1_11target_archE906ELNS1_3gpuE6ELNS1_3repE0EEENS1_47radix_sort_onesweep_sort_config_static_selectorELNS0_4arch9wavefront6targetE1EEEvSG_
                                        ; -- End function
	.set _ZN7rocprim17ROCPRIM_400000_NS6detail17trampoline_kernelINS0_14default_configENS1_35radix_sort_onesweep_config_selectorIalEEZZNS1_29radix_sort_onesweep_iterationIS3_Lb0EPaS7_N6thrust23THRUST_200600_302600_NS10device_ptrIlEESB_jNS0_19identity_decomposerENS1_16block_id_wrapperIjLb1EEEEE10hipError_tT1_PNSt15iterator_traitsISG_E10value_typeET2_T3_PNSH_ISM_E10value_typeET4_T5_PSR_SS_PNS1_23onesweep_lookback_stateEbbT6_jjT7_P12ihipStream_tbENKUlT_T0_SG_SL_E_clIS7_S7_PlSB_EEDaSZ_S10_SG_SL_EUlSZ_E_NS1_11comp_targetILNS1_3genE2ELNS1_11target_archE906ELNS1_3gpuE6ELNS1_3repE0EEENS1_47radix_sort_onesweep_sort_config_static_selectorELNS0_4arch9wavefront6targetE1EEEvSG_.num_vgpr, 41
	.set _ZN7rocprim17ROCPRIM_400000_NS6detail17trampoline_kernelINS0_14default_configENS1_35radix_sort_onesweep_config_selectorIalEEZZNS1_29radix_sort_onesweep_iterationIS3_Lb0EPaS7_N6thrust23THRUST_200600_302600_NS10device_ptrIlEESB_jNS0_19identity_decomposerENS1_16block_id_wrapperIjLb1EEEEE10hipError_tT1_PNSt15iterator_traitsISG_E10value_typeET2_T3_PNSH_ISM_E10value_typeET4_T5_PSR_SS_PNS1_23onesweep_lookback_stateEbbT6_jjT7_P12ihipStream_tbENKUlT_T0_SG_SL_E_clIS7_S7_PlSB_EEDaSZ_S10_SG_SL_EUlSZ_E_NS1_11comp_targetILNS1_3genE2ELNS1_11target_archE906ELNS1_3gpuE6ELNS1_3repE0EEENS1_47radix_sort_onesweep_sort_config_static_selectorELNS0_4arch9wavefront6targetE1EEEvSG_.num_agpr, 0
	.set _ZN7rocprim17ROCPRIM_400000_NS6detail17trampoline_kernelINS0_14default_configENS1_35radix_sort_onesweep_config_selectorIalEEZZNS1_29radix_sort_onesweep_iterationIS3_Lb0EPaS7_N6thrust23THRUST_200600_302600_NS10device_ptrIlEESB_jNS0_19identity_decomposerENS1_16block_id_wrapperIjLb1EEEEE10hipError_tT1_PNSt15iterator_traitsISG_E10value_typeET2_T3_PNSH_ISM_E10value_typeET4_T5_PSR_SS_PNS1_23onesweep_lookback_stateEbbT6_jjT7_P12ihipStream_tbENKUlT_T0_SG_SL_E_clIS7_S7_PlSB_EEDaSZ_S10_SG_SL_EUlSZ_E_NS1_11comp_targetILNS1_3genE2ELNS1_11target_archE906ELNS1_3gpuE6ELNS1_3repE0EEENS1_47radix_sort_onesweep_sort_config_static_selectorELNS0_4arch9wavefront6targetE1EEEvSG_.numbered_sgpr, 56
	.set _ZN7rocprim17ROCPRIM_400000_NS6detail17trampoline_kernelINS0_14default_configENS1_35radix_sort_onesweep_config_selectorIalEEZZNS1_29radix_sort_onesweep_iterationIS3_Lb0EPaS7_N6thrust23THRUST_200600_302600_NS10device_ptrIlEESB_jNS0_19identity_decomposerENS1_16block_id_wrapperIjLb1EEEEE10hipError_tT1_PNSt15iterator_traitsISG_E10value_typeET2_T3_PNSH_ISM_E10value_typeET4_T5_PSR_SS_PNS1_23onesweep_lookback_stateEbbT6_jjT7_P12ihipStream_tbENKUlT_T0_SG_SL_E_clIS7_S7_PlSB_EEDaSZ_S10_SG_SL_EUlSZ_E_NS1_11comp_targetILNS1_3genE2ELNS1_11target_archE906ELNS1_3gpuE6ELNS1_3repE0EEENS1_47radix_sort_onesweep_sort_config_static_selectorELNS0_4arch9wavefront6targetE1EEEvSG_.num_named_barrier, 0
	.set _ZN7rocprim17ROCPRIM_400000_NS6detail17trampoline_kernelINS0_14default_configENS1_35radix_sort_onesweep_config_selectorIalEEZZNS1_29radix_sort_onesweep_iterationIS3_Lb0EPaS7_N6thrust23THRUST_200600_302600_NS10device_ptrIlEESB_jNS0_19identity_decomposerENS1_16block_id_wrapperIjLb1EEEEE10hipError_tT1_PNSt15iterator_traitsISG_E10value_typeET2_T3_PNSH_ISM_E10value_typeET4_T5_PSR_SS_PNS1_23onesweep_lookback_stateEbbT6_jjT7_P12ihipStream_tbENKUlT_T0_SG_SL_E_clIS7_S7_PlSB_EEDaSZ_S10_SG_SL_EUlSZ_E_NS1_11comp_targetILNS1_3genE2ELNS1_11target_archE906ELNS1_3gpuE6ELNS1_3repE0EEENS1_47radix_sort_onesweep_sort_config_static_selectorELNS0_4arch9wavefront6targetE1EEEvSG_.private_seg_size, 32
	.set _ZN7rocprim17ROCPRIM_400000_NS6detail17trampoline_kernelINS0_14default_configENS1_35radix_sort_onesweep_config_selectorIalEEZZNS1_29radix_sort_onesweep_iterationIS3_Lb0EPaS7_N6thrust23THRUST_200600_302600_NS10device_ptrIlEESB_jNS0_19identity_decomposerENS1_16block_id_wrapperIjLb1EEEEE10hipError_tT1_PNSt15iterator_traitsISG_E10value_typeET2_T3_PNSH_ISM_E10value_typeET4_T5_PSR_SS_PNS1_23onesweep_lookback_stateEbbT6_jjT7_P12ihipStream_tbENKUlT_T0_SG_SL_E_clIS7_S7_PlSB_EEDaSZ_S10_SG_SL_EUlSZ_E_NS1_11comp_targetILNS1_3genE2ELNS1_11target_archE906ELNS1_3gpuE6ELNS1_3repE0EEENS1_47radix_sort_onesweep_sort_config_static_selectorELNS0_4arch9wavefront6targetE1EEEvSG_.uses_vcc, 1
	.set _ZN7rocprim17ROCPRIM_400000_NS6detail17trampoline_kernelINS0_14default_configENS1_35radix_sort_onesweep_config_selectorIalEEZZNS1_29radix_sort_onesweep_iterationIS3_Lb0EPaS7_N6thrust23THRUST_200600_302600_NS10device_ptrIlEESB_jNS0_19identity_decomposerENS1_16block_id_wrapperIjLb1EEEEE10hipError_tT1_PNSt15iterator_traitsISG_E10value_typeET2_T3_PNSH_ISM_E10value_typeET4_T5_PSR_SS_PNS1_23onesweep_lookback_stateEbbT6_jjT7_P12ihipStream_tbENKUlT_T0_SG_SL_E_clIS7_S7_PlSB_EEDaSZ_S10_SG_SL_EUlSZ_E_NS1_11comp_targetILNS1_3genE2ELNS1_11target_archE906ELNS1_3gpuE6ELNS1_3repE0EEENS1_47radix_sort_onesweep_sort_config_static_selectorELNS0_4arch9wavefront6targetE1EEEvSG_.uses_flat_scratch, 0
	.set _ZN7rocprim17ROCPRIM_400000_NS6detail17trampoline_kernelINS0_14default_configENS1_35radix_sort_onesweep_config_selectorIalEEZZNS1_29radix_sort_onesweep_iterationIS3_Lb0EPaS7_N6thrust23THRUST_200600_302600_NS10device_ptrIlEESB_jNS0_19identity_decomposerENS1_16block_id_wrapperIjLb1EEEEE10hipError_tT1_PNSt15iterator_traitsISG_E10value_typeET2_T3_PNSH_ISM_E10value_typeET4_T5_PSR_SS_PNS1_23onesweep_lookback_stateEbbT6_jjT7_P12ihipStream_tbENKUlT_T0_SG_SL_E_clIS7_S7_PlSB_EEDaSZ_S10_SG_SL_EUlSZ_E_NS1_11comp_targetILNS1_3genE2ELNS1_11target_archE906ELNS1_3gpuE6ELNS1_3repE0EEENS1_47radix_sort_onesweep_sort_config_static_selectorELNS0_4arch9wavefront6targetE1EEEvSG_.has_dyn_sized_stack, 0
	.set _ZN7rocprim17ROCPRIM_400000_NS6detail17trampoline_kernelINS0_14default_configENS1_35radix_sort_onesweep_config_selectorIalEEZZNS1_29radix_sort_onesweep_iterationIS3_Lb0EPaS7_N6thrust23THRUST_200600_302600_NS10device_ptrIlEESB_jNS0_19identity_decomposerENS1_16block_id_wrapperIjLb1EEEEE10hipError_tT1_PNSt15iterator_traitsISG_E10value_typeET2_T3_PNSH_ISM_E10value_typeET4_T5_PSR_SS_PNS1_23onesweep_lookback_stateEbbT6_jjT7_P12ihipStream_tbENKUlT_T0_SG_SL_E_clIS7_S7_PlSB_EEDaSZ_S10_SG_SL_EUlSZ_E_NS1_11comp_targetILNS1_3genE2ELNS1_11target_archE906ELNS1_3gpuE6ELNS1_3repE0EEENS1_47radix_sort_onesweep_sort_config_static_selectorELNS0_4arch9wavefront6targetE1EEEvSG_.has_recursion, 0
	.set _ZN7rocprim17ROCPRIM_400000_NS6detail17trampoline_kernelINS0_14default_configENS1_35radix_sort_onesweep_config_selectorIalEEZZNS1_29radix_sort_onesweep_iterationIS3_Lb0EPaS7_N6thrust23THRUST_200600_302600_NS10device_ptrIlEESB_jNS0_19identity_decomposerENS1_16block_id_wrapperIjLb1EEEEE10hipError_tT1_PNSt15iterator_traitsISG_E10value_typeET2_T3_PNSH_ISM_E10value_typeET4_T5_PSR_SS_PNS1_23onesweep_lookback_stateEbbT6_jjT7_P12ihipStream_tbENKUlT_T0_SG_SL_E_clIS7_S7_PlSB_EEDaSZ_S10_SG_SL_EUlSZ_E_NS1_11comp_targetILNS1_3genE2ELNS1_11target_archE906ELNS1_3gpuE6ELNS1_3repE0EEENS1_47radix_sort_onesweep_sort_config_static_selectorELNS0_4arch9wavefront6targetE1EEEvSG_.has_indirect_call, 0
	.section	.AMDGPU.csdata,"",@progbits
; Kernel info:
; codeLenInByte = 10356
; TotalNumSgprs: 60
; NumVgprs: 41
; ScratchSize: 32
; MemoryBound: 0
; FloatMode: 240
; IeeeMode: 1
; LDSByteSize: 10280 bytes/workgroup (compile time only)
; SGPRBlocks: 7
; VGPRBlocks: 10
; NumSGPRsForWavesPerEU: 60
; NumVGPRsForWavesPerEU: 41
; Occupancy: 5
; WaveLimiterHint : 1
; COMPUTE_PGM_RSRC2:SCRATCH_EN: 1
; COMPUTE_PGM_RSRC2:USER_SGPR: 6
; COMPUTE_PGM_RSRC2:TRAP_HANDLER: 0
; COMPUTE_PGM_RSRC2:TGID_X_EN: 1
; COMPUTE_PGM_RSRC2:TGID_Y_EN: 0
; COMPUTE_PGM_RSRC2:TGID_Z_EN: 0
; COMPUTE_PGM_RSRC2:TIDIG_COMP_CNT: 2
	.section	.text._ZN7rocprim17ROCPRIM_400000_NS6detail17trampoline_kernelINS0_14default_configENS1_35radix_sort_onesweep_config_selectorIalEEZZNS1_29radix_sort_onesweep_iterationIS3_Lb0EPaS7_N6thrust23THRUST_200600_302600_NS10device_ptrIlEESB_jNS0_19identity_decomposerENS1_16block_id_wrapperIjLb1EEEEE10hipError_tT1_PNSt15iterator_traitsISG_E10value_typeET2_T3_PNSH_ISM_E10value_typeET4_T5_PSR_SS_PNS1_23onesweep_lookback_stateEbbT6_jjT7_P12ihipStream_tbENKUlT_T0_SG_SL_E_clIS7_S7_PlSB_EEDaSZ_S10_SG_SL_EUlSZ_E_NS1_11comp_targetILNS1_3genE4ELNS1_11target_archE910ELNS1_3gpuE8ELNS1_3repE0EEENS1_47radix_sort_onesweep_sort_config_static_selectorELNS0_4arch9wavefront6targetE1EEEvSG_,"axG",@progbits,_ZN7rocprim17ROCPRIM_400000_NS6detail17trampoline_kernelINS0_14default_configENS1_35radix_sort_onesweep_config_selectorIalEEZZNS1_29radix_sort_onesweep_iterationIS3_Lb0EPaS7_N6thrust23THRUST_200600_302600_NS10device_ptrIlEESB_jNS0_19identity_decomposerENS1_16block_id_wrapperIjLb1EEEEE10hipError_tT1_PNSt15iterator_traitsISG_E10value_typeET2_T3_PNSH_ISM_E10value_typeET4_T5_PSR_SS_PNS1_23onesweep_lookback_stateEbbT6_jjT7_P12ihipStream_tbENKUlT_T0_SG_SL_E_clIS7_S7_PlSB_EEDaSZ_S10_SG_SL_EUlSZ_E_NS1_11comp_targetILNS1_3genE4ELNS1_11target_archE910ELNS1_3gpuE8ELNS1_3repE0EEENS1_47radix_sort_onesweep_sort_config_static_selectorELNS0_4arch9wavefront6targetE1EEEvSG_,comdat
	.protected	_ZN7rocprim17ROCPRIM_400000_NS6detail17trampoline_kernelINS0_14default_configENS1_35radix_sort_onesweep_config_selectorIalEEZZNS1_29radix_sort_onesweep_iterationIS3_Lb0EPaS7_N6thrust23THRUST_200600_302600_NS10device_ptrIlEESB_jNS0_19identity_decomposerENS1_16block_id_wrapperIjLb1EEEEE10hipError_tT1_PNSt15iterator_traitsISG_E10value_typeET2_T3_PNSH_ISM_E10value_typeET4_T5_PSR_SS_PNS1_23onesweep_lookback_stateEbbT6_jjT7_P12ihipStream_tbENKUlT_T0_SG_SL_E_clIS7_S7_PlSB_EEDaSZ_S10_SG_SL_EUlSZ_E_NS1_11comp_targetILNS1_3genE4ELNS1_11target_archE910ELNS1_3gpuE8ELNS1_3repE0EEENS1_47radix_sort_onesweep_sort_config_static_selectorELNS0_4arch9wavefront6targetE1EEEvSG_ ; -- Begin function _ZN7rocprim17ROCPRIM_400000_NS6detail17trampoline_kernelINS0_14default_configENS1_35radix_sort_onesweep_config_selectorIalEEZZNS1_29radix_sort_onesweep_iterationIS3_Lb0EPaS7_N6thrust23THRUST_200600_302600_NS10device_ptrIlEESB_jNS0_19identity_decomposerENS1_16block_id_wrapperIjLb1EEEEE10hipError_tT1_PNSt15iterator_traitsISG_E10value_typeET2_T3_PNSH_ISM_E10value_typeET4_T5_PSR_SS_PNS1_23onesweep_lookback_stateEbbT6_jjT7_P12ihipStream_tbENKUlT_T0_SG_SL_E_clIS7_S7_PlSB_EEDaSZ_S10_SG_SL_EUlSZ_E_NS1_11comp_targetILNS1_3genE4ELNS1_11target_archE910ELNS1_3gpuE8ELNS1_3repE0EEENS1_47radix_sort_onesweep_sort_config_static_selectorELNS0_4arch9wavefront6targetE1EEEvSG_
	.globl	_ZN7rocprim17ROCPRIM_400000_NS6detail17trampoline_kernelINS0_14default_configENS1_35radix_sort_onesweep_config_selectorIalEEZZNS1_29radix_sort_onesweep_iterationIS3_Lb0EPaS7_N6thrust23THRUST_200600_302600_NS10device_ptrIlEESB_jNS0_19identity_decomposerENS1_16block_id_wrapperIjLb1EEEEE10hipError_tT1_PNSt15iterator_traitsISG_E10value_typeET2_T3_PNSH_ISM_E10value_typeET4_T5_PSR_SS_PNS1_23onesweep_lookback_stateEbbT6_jjT7_P12ihipStream_tbENKUlT_T0_SG_SL_E_clIS7_S7_PlSB_EEDaSZ_S10_SG_SL_EUlSZ_E_NS1_11comp_targetILNS1_3genE4ELNS1_11target_archE910ELNS1_3gpuE8ELNS1_3repE0EEENS1_47radix_sort_onesweep_sort_config_static_selectorELNS0_4arch9wavefront6targetE1EEEvSG_
	.p2align	8
	.type	_ZN7rocprim17ROCPRIM_400000_NS6detail17trampoline_kernelINS0_14default_configENS1_35radix_sort_onesweep_config_selectorIalEEZZNS1_29radix_sort_onesweep_iterationIS3_Lb0EPaS7_N6thrust23THRUST_200600_302600_NS10device_ptrIlEESB_jNS0_19identity_decomposerENS1_16block_id_wrapperIjLb1EEEEE10hipError_tT1_PNSt15iterator_traitsISG_E10value_typeET2_T3_PNSH_ISM_E10value_typeET4_T5_PSR_SS_PNS1_23onesweep_lookback_stateEbbT6_jjT7_P12ihipStream_tbENKUlT_T0_SG_SL_E_clIS7_S7_PlSB_EEDaSZ_S10_SG_SL_EUlSZ_E_NS1_11comp_targetILNS1_3genE4ELNS1_11target_archE910ELNS1_3gpuE8ELNS1_3repE0EEENS1_47radix_sort_onesweep_sort_config_static_selectorELNS0_4arch9wavefront6targetE1EEEvSG_,@function
_ZN7rocprim17ROCPRIM_400000_NS6detail17trampoline_kernelINS0_14default_configENS1_35radix_sort_onesweep_config_selectorIalEEZZNS1_29radix_sort_onesweep_iterationIS3_Lb0EPaS7_N6thrust23THRUST_200600_302600_NS10device_ptrIlEESB_jNS0_19identity_decomposerENS1_16block_id_wrapperIjLb1EEEEE10hipError_tT1_PNSt15iterator_traitsISG_E10value_typeET2_T3_PNSH_ISM_E10value_typeET4_T5_PSR_SS_PNS1_23onesweep_lookback_stateEbbT6_jjT7_P12ihipStream_tbENKUlT_T0_SG_SL_E_clIS7_S7_PlSB_EEDaSZ_S10_SG_SL_EUlSZ_E_NS1_11comp_targetILNS1_3genE4ELNS1_11target_archE910ELNS1_3gpuE8ELNS1_3repE0EEENS1_47radix_sort_onesweep_sort_config_static_selectorELNS0_4arch9wavefront6targetE1EEEvSG_: ; @_ZN7rocprim17ROCPRIM_400000_NS6detail17trampoline_kernelINS0_14default_configENS1_35radix_sort_onesweep_config_selectorIalEEZZNS1_29radix_sort_onesweep_iterationIS3_Lb0EPaS7_N6thrust23THRUST_200600_302600_NS10device_ptrIlEESB_jNS0_19identity_decomposerENS1_16block_id_wrapperIjLb1EEEEE10hipError_tT1_PNSt15iterator_traitsISG_E10value_typeET2_T3_PNSH_ISM_E10value_typeET4_T5_PSR_SS_PNS1_23onesweep_lookback_stateEbbT6_jjT7_P12ihipStream_tbENKUlT_T0_SG_SL_E_clIS7_S7_PlSB_EEDaSZ_S10_SG_SL_EUlSZ_E_NS1_11comp_targetILNS1_3genE4ELNS1_11target_archE910ELNS1_3gpuE8ELNS1_3repE0EEENS1_47radix_sort_onesweep_sort_config_static_selectorELNS0_4arch9wavefront6targetE1EEEvSG_
; %bb.0:
	.section	.rodata,"a",@progbits
	.p2align	6, 0x0
	.amdhsa_kernel _ZN7rocprim17ROCPRIM_400000_NS6detail17trampoline_kernelINS0_14default_configENS1_35radix_sort_onesweep_config_selectorIalEEZZNS1_29radix_sort_onesweep_iterationIS3_Lb0EPaS7_N6thrust23THRUST_200600_302600_NS10device_ptrIlEESB_jNS0_19identity_decomposerENS1_16block_id_wrapperIjLb1EEEEE10hipError_tT1_PNSt15iterator_traitsISG_E10value_typeET2_T3_PNSH_ISM_E10value_typeET4_T5_PSR_SS_PNS1_23onesweep_lookback_stateEbbT6_jjT7_P12ihipStream_tbENKUlT_T0_SG_SL_E_clIS7_S7_PlSB_EEDaSZ_S10_SG_SL_EUlSZ_E_NS1_11comp_targetILNS1_3genE4ELNS1_11target_archE910ELNS1_3gpuE8ELNS1_3repE0EEENS1_47radix_sort_onesweep_sort_config_static_selectorELNS0_4arch9wavefront6targetE1EEEvSG_
		.amdhsa_group_segment_fixed_size 0
		.amdhsa_private_segment_fixed_size 0
		.amdhsa_kernarg_size 88
		.amdhsa_user_sgpr_count 6
		.amdhsa_user_sgpr_private_segment_buffer 1
		.amdhsa_user_sgpr_dispatch_ptr 0
		.amdhsa_user_sgpr_queue_ptr 0
		.amdhsa_user_sgpr_kernarg_segment_ptr 1
		.amdhsa_user_sgpr_dispatch_id 0
		.amdhsa_user_sgpr_flat_scratch_init 0
		.amdhsa_user_sgpr_private_segment_size 0
		.amdhsa_uses_dynamic_stack 0
		.amdhsa_system_sgpr_private_segment_wavefront_offset 0
		.amdhsa_system_sgpr_workgroup_id_x 1
		.amdhsa_system_sgpr_workgroup_id_y 0
		.amdhsa_system_sgpr_workgroup_id_z 0
		.amdhsa_system_sgpr_workgroup_info 0
		.amdhsa_system_vgpr_workitem_id 0
		.amdhsa_next_free_vgpr 1
		.amdhsa_next_free_sgpr 0
		.amdhsa_reserve_vcc 0
		.amdhsa_reserve_flat_scratch 0
		.amdhsa_float_round_mode_32 0
		.amdhsa_float_round_mode_16_64 0
		.amdhsa_float_denorm_mode_32 3
		.amdhsa_float_denorm_mode_16_64 3
		.amdhsa_dx10_clamp 1
		.amdhsa_ieee_mode 1
		.amdhsa_fp16_overflow 0
		.amdhsa_exception_fp_ieee_invalid_op 0
		.amdhsa_exception_fp_denorm_src 0
		.amdhsa_exception_fp_ieee_div_zero 0
		.amdhsa_exception_fp_ieee_overflow 0
		.amdhsa_exception_fp_ieee_underflow 0
		.amdhsa_exception_fp_ieee_inexact 0
		.amdhsa_exception_int_div_zero 0
	.end_amdhsa_kernel
	.section	.text._ZN7rocprim17ROCPRIM_400000_NS6detail17trampoline_kernelINS0_14default_configENS1_35radix_sort_onesweep_config_selectorIalEEZZNS1_29radix_sort_onesweep_iterationIS3_Lb0EPaS7_N6thrust23THRUST_200600_302600_NS10device_ptrIlEESB_jNS0_19identity_decomposerENS1_16block_id_wrapperIjLb1EEEEE10hipError_tT1_PNSt15iterator_traitsISG_E10value_typeET2_T3_PNSH_ISM_E10value_typeET4_T5_PSR_SS_PNS1_23onesweep_lookback_stateEbbT6_jjT7_P12ihipStream_tbENKUlT_T0_SG_SL_E_clIS7_S7_PlSB_EEDaSZ_S10_SG_SL_EUlSZ_E_NS1_11comp_targetILNS1_3genE4ELNS1_11target_archE910ELNS1_3gpuE8ELNS1_3repE0EEENS1_47radix_sort_onesweep_sort_config_static_selectorELNS0_4arch9wavefront6targetE1EEEvSG_,"axG",@progbits,_ZN7rocprim17ROCPRIM_400000_NS6detail17trampoline_kernelINS0_14default_configENS1_35radix_sort_onesweep_config_selectorIalEEZZNS1_29radix_sort_onesweep_iterationIS3_Lb0EPaS7_N6thrust23THRUST_200600_302600_NS10device_ptrIlEESB_jNS0_19identity_decomposerENS1_16block_id_wrapperIjLb1EEEEE10hipError_tT1_PNSt15iterator_traitsISG_E10value_typeET2_T3_PNSH_ISM_E10value_typeET4_T5_PSR_SS_PNS1_23onesweep_lookback_stateEbbT6_jjT7_P12ihipStream_tbENKUlT_T0_SG_SL_E_clIS7_S7_PlSB_EEDaSZ_S10_SG_SL_EUlSZ_E_NS1_11comp_targetILNS1_3genE4ELNS1_11target_archE910ELNS1_3gpuE8ELNS1_3repE0EEENS1_47radix_sort_onesweep_sort_config_static_selectorELNS0_4arch9wavefront6targetE1EEEvSG_,comdat
.Lfunc_end622:
	.size	_ZN7rocprim17ROCPRIM_400000_NS6detail17trampoline_kernelINS0_14default_configENS1_35radix_sort_onesweep_config_selectorIalEEZZNS1_29radix_sort_onesweep_iterationIS3_Lb0EPaS7_N6thrust23THRUST_200600_302600_NS10device_ptrIlEESB_jNS0_19identity_decomposerENS1_16block_id_wrapperIjLb1EEEEE10hipError_tT1_PNSt15iterator_traitsISG_E10value_typeET2_T3_PNSH_ISM_E10value_typeET4_T5_PSR_SS_PNS1_23onesweep_lookback_stateEbbT6_jjT7_P12ihipStream_tbENKUlT_T0_SG_SL_E_clIS7_S7_PlSB_EEDaSZ_S10_SG_SL_EUlSZ_E_NS1_11comp_targetILNS1_3genE4ELNS1_11target_archE910ELNS1_3gpuE8ELNS1_3repE0EEENS1_47radix_sort_onesweep_sort_config_static_selectorELNS0_4arch9wavefront6targetE1EEEvSG_, .Lfunc_end622-_ZN7rocprim17ROCPRIM_400000_NS6detail17trampoline_kernelINS0_14default_configENS1_35radix_sort_onesweep_config_selectorIalEEZZNS1_29radix_sort_onesweep_iterationIS3_Lb0EPaS7_N6thrust23THRUST_200600_302600_NS10device_ptrIlEESB_jNS0_19identity_decomposerENS1_16block_id_wrapperIjLb1EEEEE10hipError_tT1_PNSt15iterator_traitsISG_E10value_typeET2_T3_PNSH_ISM_E10value_typeET4_T5_PSR_SS_PNS1_23onesweep_lookback_stateEbbT6_jjT7_P12ihipStream_tbENKUlT_T0_SG_SL_E_clIS7_S7_PlSB_EEDaSZ_S10_SG_SL_EUlSZ_E_NS1_11comp_targetILNS1_3genE4ELNS1_11target_archE910ELNS1_3gpuE8ELNS1_3repE0EEENS1_47radix_sort_onesweep_sort_config_static_selectorELNS0_4arch9wavefront6targetE1EEEvSG_
                                        ; -- End function
	.set _ZN7rocprim17ROCPRIM_400000_NS6detail17trampoline_kernelINS0_14default_configENS1_35radix_sort_onesweep_config_selectorIalEEZZNS1_29radix_sort_onesweep_iterationIS3_Lb0EPaS7_N6thrust23THRUST_200600_302600_NS10device_ptrIlEESB_jNS0_19identity_decomposerENS1_16block_id_wrapperIjLb1EEEEE10hipError_tT1_PNSt15iterator_traitsISG_E10value_typeET2_T3_PNSH_ISM_E10value_typeET4_T5_PSR_SS_PNS1_23onesweep_lookback_stateEbbT6_jjT7_P12ihipStream_tbENKUlT_T0_SG_SL_E_clIS7_S7_PlSB_EEDaSZ_S10_SG_SL_EUlSZ_E_NS1_11comp_targetILNS1_3genE4ELNS1_11target_archE910ELNS1_3gpuE8ELNS1_3repE0EEENS1_47radix_sort_onesweep_sort_config_static_selectorELNS0_4arch9wavefront6targetE1EEEvSG_.num_vgpr, 0
	.set _ZN7rocprim17ROCPRIM_400000_NS6detail17trampoline_kernelINS0_14default_configENS1_35radix_sort_onesweep_config_selectorIalEEZZNS1_29radix_sort_onesweep_iterationIS3_Lb0EPaS7_N6thrust23THRUST_200600_302600_NS10device_ptrIlEESB_jNS0_19identity_decomposerENS1_16block_id_wrapperIjLb1EEEEE10hipError_tT1_PNSt15iterator_traitsISG_E10value_typeET2_T3_PNSH_ISM_E10value_typeET4_T5_PSR_SS_PNS1_23onesweep_lookback_stateEbbT6_jjT7_P12ihipStream_tbENKUlT_T0_SG_SL_E_clIS7_S7_PlSB_EEDaSZ_S10_SG_SL_EUlSZ_E_NS1_11comp_targetILNS1_3genE4ELNS1_11target_archE910ELNS1_3gpuE8ELNS1_3repE0EEENS1_47radix_sort_onesweep_sort_config_static_selectorELNS0_4arch9wavefront6targetE1EEEvSG_.num_agpr, 0
	.set _ZN7rocprim17ROCPRIM_400000_NS6detail17trampoline_kernelINS0_14default_configENS1_35radix_sort_onesweep_config_selectorIalEEZZNS1_29radix_sort_onesweep_iterationIS3_Lb0EPaS7_N6thrust23THRUST_200600_302600_NS10device_ptrIlEESB_jNS0_19identity_decomposerENS1_16block_id_wrapperIjLb1EEEEE10hipError_tT1_PNSt15iterator_traitsISG_E10value_typeET2_T3_PNSH_ISM_E10value_typeET4_T5_PSR_SS_PNS1_23onesweep_lookback_stateEbbT6_jjT7_P12ihipStream_tbENKUlT_T0_SG_SL_E_clIS7_S7_PlSB_EEDaSZ_S10_SG_SL_EUlSZ_E_NS1_11comp_targetILNS1_3genE4ELNS1_11target_archE910ELNS1_3gpuE8ELNS1_3repE0EEENS1_47radix_sort_onesweep_sort_config_static_selectorELNS0_4arch9wavefront6targetE1EEEvSG_.numbered_sgpr, 0
	.set _ZN7rocprim17ROCPRIM_400000_NS6detail17trampoline_kernelINS0_14default_configENS1_35radix_sort_onesweep_config_selectorIalEEZZNS1_29radix_sort_onesweep_iterationIS3_Lb0EPaS7_N6thrust23THRUST_200600_302600_NS10device_ptrIlEESB_jNS0_19identity_decomposerENS1_16block_id_wrapperIjLb1EEEEE10hipError_tT1_PNSt15iterator_traitsISG_E10value_typeET2_T3_PNSH_ISM_E10value_typeET4_T5_PSR_SS_PNS1_23onesweep_lookback_stateEbbT6_jjT7_P12ihipStream_tbENKUlT_T0_SG_SL_E_clIS7_S7_PlSB_EEDaSZ_S10_SG_SL_EUlSZ_E_NS1_11comp_targetILNS1_3genE4ELNS1_11target_archE910ELNS1_3gpuE8ELNS1_3repE0EEENS1_47radix_sort_onesweep_sort_config_static_selectorELNS0_4arch9wavefront6targetE1EEEvSG_.num_named_barrier, 0
	.set _ZN7rocprim17ROCPRIM_400000_NS6detail17trampoline_kernelINS0_14default_configENS1_35radix_sort_onesweep_config_selectorIalEEZZNS1_29radix_sort_onesweep_iterationIS3_Lb0EPaS7_N6thrust23THRUST_200600_302600_NS10device_ptrIlEESB_jNS0_19identity_decomposerENS1_16block_id_wrapperIjLb1EEEEE10hipError_tT1_PNSt15iterator_traitsISG_E10value_typeET2_T3_PNSH_ISM_E10value_typeET4_T5_PSR_SS_PNS1_23onesweep_lookback_stateEbbT6_jjT7_P12ihipStream_tbENKUlT_T0_SG_SL_E_clIS7_S7_PlSB_EEDaSZ_S10_SG_SL_EUlSZ_E_NS1_11comp_targetILNS1_3genE4ELNS1_11target_archE910ELNS1_3gpuE8ELNS1_3repE0EEENS1_47radix_sort_onesweep_sort_config_static_selectorELNS0_4arch9wavefront6targetE1EEEvSG_.private_seg_size, 0
	.set _ZN7rocprim17ROCPRIM_400000_NS6detail17trampoline_kernelINS0_14default_configENS1_35radix_sort_onesweep_config_selectorIalEEZZNS1_29radix_sort_onesweep_iterationIS3_Lb0EPaS7_N6thrust23THRUST_200600_302600_NS10device_ptrIlEESB_jNS0_19identity_decomposerENS1_16block_id_wrapperIjLb1EEEEE10hipError_tT1_PNSt15iterator_traitsISG_E10value_typeET2_T3_PNSH_ISM_E10value_typeET4_T5_PSR_SS_PNS1_23onesweep_lookback_stateEbbT6_jjT7_P12ihipStream_tbENKUlT_T0_SG_SL_E_clIS7_S7_PlSB_EEDaSZ_S10_SG_SL_EUlSZ_E_NS1_11comp_targetILNS1_3genE4ELNS1_11target_archE910ELNS1_3gpuE8ELNS1_3repE0EEENS1_47radix_sort_onesweep_sort_config_static_selectorELNS0_4arch9wavefront6targetE1EEEvSG_.uses_vcc, 0
	.set _ZN7rocprim17ROCPRIM_400000_NS6detail17trampoline_kernelINS0_14default_configENS1_35radix_sort_onesweep_config_selectorIalEEZZNS1_29radix_sort_onesweep_iterationIS3_Lb0EPaS7_N6thrust23THRUST_200600_302600_NS10device_ptrIlEESB_jNS0_19identity_decomposerENS1_16block_id_wrapperIjLb1EEEEE10hipError_tT1_PNSt15iterator_traitsISG_E10value_typeET2_T3_PNSH_ISM_E10value_typeET4_T5_PSR_SS_PNS1_23onesweep_lookback_stateEbbT6_jjT7_P12ihipStream_tbENKUlT_T0_SG_SL_E_clIS7_S7_PlSB_EEDaSZ_S10_SG_SL_EUlSZ_E_NS1_11comp_targetILNS1_3genE4ELNS1_11target_archE910ELNS1_3gpuE8ELNS1_3repE0EEENS1_47radix_sort_onesweep_sort_config_static_selectorELNS0_4arch9wavefront6targetE1EEEvSG_.uses_flat_scratch, 0
	.set _ZN7rocprim17ROCPRIM_400000_NS6detail17trampoline_kernelINS0_14default_configENS1_35radix_sort_onesweep_config_selectorIalEEZZNS1_29radix_sort_onesweep_iterationIS3_Lb0EPaS7_N6thrust23THRUST_200600_302600_NS10device_ptrIlEESB_jNS0_19identity_decomposerENS1_16block_id_wrapperIjLb1EEEEE10hipError_tT1_PNSt15iterator_traitsISG_E10value_typeET2_T3_PNSH_ISM_E10value_typeET4_T5_PSR_SS_PNS1_23onesweep_lookback_stateEbbT6_jjT7_P12ihipStream_tbENKUlT_T0_SG_SL_E_clIS7_S7_PlSB_EEDaSZ_S10_SG_SL_EUlSZ_E_NS1_11comp_targetILNS1_3genE4ELNS1_11target_archE910ELNS1_3gpuE8ELNS1_3repE0EEENS1_47radix_sort_onesweep_sort_config_static_selectorELNS0_4arch9wavefront6targetE1EEEvSG_.has_dyn_sized_stack, 0
	.set _ZN7rocprim17ROCPRIM_400000_NS6detail17trampoline_kernelINS0_14default_configENS1_35radix_sort_onesweep_config_selectorIalEEZZNS1_29radix_sort_onesweep_iterationIS3_Lb0EPaS7_N6thrust23THRUST_200600_302600_NS10device_ptrIlEESB_jNS0_19identity_decomposerENS1_16block_id_wrapperIjLb1EEEEE10hipError_tT1_PNSt15iterator_traitsISG_E10value_typeET2_T3_PNSH_ISM_E10value_typeET4_T5_PSR_SS_PNS1_23onesweep_lookback_stateEbbT6_jjT7_P12ihipStream_tbENKUlT_T0_SG_SL_E_clIS7_S7_PlSB_EEDaSZ_S10_SG_SL_EUlSZ_E_NS1_11comp_targetILNS1_3genE4ELNS1_11target_archE910ELNS1_3gpuE8ELNS1_3repE0EEENS1_47radix_sort_onesweep_sort_config_static_selectorELNS0_4arch9wavefront6targetE1EEEvSG_.has_recursion, 0
	.set _ZN7rocprim17ROCPRIM_400000_NS6detail17trampoline_kernelINS0_14default_configENS1_35radix_sort_onesweep_config_selectorIalEEZZNS1_29radix_sort_onesweep_iterationIS3_Lb0EPaS7_N6thrust23THRUST_200600_302600_NS10device_ptrIlEESB_jNS0_19identity_decomposerENS1_16block_id_wrapperIjLb1EEEEE10hipError_tT1_PNSt15iterator_traitsISG_E10value_typeET2_T3_PNSH_ISM_E10value_typeET4_T5_PSR_SS_PNS1_23onesweep_lookback_stateEbbT6_jjT7_P12ihipStream_tbENKUlT_T0_SG_SL_E_clIS7_S7_PlSB_EEDaSZ_S10_SG_SL_EUlSZ_E_NS1_11comp_targetILNS1_3genE4ELNS1_11target_archE910ELNS1_3gpuE8ELNS1_3repE0EEENS1_47radix_sort_onesweep_sort_config_static_selectorELNS0_4arch9wavefront6targetE1EEEvSG_.has_indirect_call, 0
	.section	.AMDGPU.csdata,"",@progbits
; Kernel info:
; codeLenInByte = 0
; TotalNumSgprs: 4
; NumVgprs: 0
; ScratchSize: 0
; MemoryBound: 0
; FloatMode: 240
; IeeeMode: 1
; LDSByteSize: 0 bytes/workgroup (compile time only)
; SGPRBlocks: 0
; VGPRBlocks: 0
; NumSGPRsForWavesPerEU: 4
; NumVGPRsForWavesPerEU: 1
; Occupancy: 10
; WaveLimiterHint : 0
; COMPUTE_PGM_RSRC2:SCRATCH_EN: 0
; COMPUTE_PGM_RSRC2:USER_SGPR: 6
; COMPUTE_PGM_RSRC2:TRAP_HANDLER: 0
; COMPUTE_PGM_RSRC2:TGID_X_EN: 1
; COMPUTE_PGM_RSRC2:TGID_Y_EN: 0
; COMPUTE_PGM_RSRC2:TGID_Z_EN: 0
; COMPUTE_PGM_RSRC2:TIDIG_COMP_CNT: 0
	.section	.text._ZN7rocprim17ROCPRIM_400000_NS6detail17trampoline_kernelINS0_14default_configENS1_35radix_sort_onesweep_config_selectorIalEEZZNS1_29radix_sort_onesweep_iterationIS3_Lb0EPaS7_N6thrust23THRUST_200600_302600_NS10device_ptrIlEESB_jNS0_19identity_decomposerENS1_16block_id_wrapperIjLb1EEEEE10hipError_tT1_PNSt15iterator_traitsISG_E10value_typeET2_T3_PNSH_ISM_E10value_typeET4_T5_PSR_SS_PNS1_23onesweep_lookback_stateEbbT6_jjT7_P12ihipStream_tbENKUlT_T0_SG_SL_E_clIS7_S7_PlSB_EEDaSZ_S10_SG_SL_EUlSZ_E_NS1_11comp_targetILNS1_3genE3ELNS1_11target_archE908ELNS1_3gpuE7ELNS1_3repE0EEENS1_47radix_sort_onesweep_sort_config_static_selectorELNS0_4arch9wavefront6targetE1EEEvSG_,"axG",@progbits,_ZN7rocprim17ROCPRIM_400000_NS6detail17trampoline_kernelINS0_14default_configENS1_35radix_sort_onesweep_config_selectorIalEEZZNS1_29radix_sort_onesweep_iterationIS3_Lb0EPaS7_N6thrust23THRUST_200600_302600_NS10device_ptrIlEESB_jNS0_19identity_decomposerENS1_16block_id_wrapperIjLb1EEEEE10hipError_tT1_PNSt15iterator_traitsISG_E10value_typeET2_T3_PNSH_ISM_E10value_typeET4_T5_PSR_SS_PNS1_23onesweep_lookback_stateEbbT6_jjT7_P12ihipStream_tbENKUlT_T0_SG_SL_E_clIS7_S7_PlSB_EEDaSZ_S10_SG_SL_EUlSZ_E_NS1_11comp_targetILNS1_3genE3ELNS1_11target_archE908ELNS1_3gpuE7ELNS1_3repE0EEENS1_47radix_sort_onesweep_sort_config_static_selectorELNS0_4arch9wavefront6targetE1EEEvSG_,comdat
	.protected	_ZN7rocprim17ROCPRIM_400000_NS6detail17trampoline_kernelINS0_14default_configENS1_35radix_sort_onesweep_config_selectorIalEEZZNS1_29radix_sort_onesweep_iterationIS3_Lb0EPaS7_N6thrust23THRUST_200600_302600_NS10device_ptrIlEESB_jNS0_19identity_decomposerENS1_16block_id_wrapperIjLb1EEEEE10hipError_tT1_PNSt15iterator_traitsISG_E10value_typeET2_T3_PNSH_ISM_E10value_typeET4_T5_PSR_SS_PNS1_23onesweep_lookback_stateEbbT6_jjT7_P12ihipStream_tbENKUlT_T0_SG_SL_E_clIS7_S7_PlSB_EEDaSZ_S10_SG_SL_EUlSZ_E_NS1_11comp_targetILNS1_3genE3ELNS1_11target_archE908ELNS1_3gpuE7ELNS1_3repE0EEENS1_47radix_sort_onesweep_sort_config_static_selectorELNS0_4arch9wavefront6targetE1EEEvSG_ ; -- Begin function _ZN7rocprim17ROCPRIM_400000_NS6detail17trampoline_kernelINS0_14default_configENS1_35radix_sort_onesweep_config_selectorIalEEZZNS1_29radix_sort_onesweep_iterationIS3_Lb0EPaS7_N6thrust23THRUST_200600_302600_NS10device_ptrIlEESB_jNS0_19identity_decomposerENS1_16block_id_wrapperIjLb1EEEEE10hipError_tT1_PNSt15iterator_traitsISG_E10value_typeET2_T3_PNSH_ISM_E10value_typeET4_T5_PSR_SS_PNS1_23onesweep_lookback_stateEbbT6_jjT7_P12ihipStream_tbENKUlT_T0_SG_SL_E_clIS7_S7_PlSB_EEDaSZ_S10_SG_SL_EUlSZ_E_NS1_11comp_targetILNS1_3genE3ELNS1_11target_archE908ELNS1_3gpuE7ELNS1_3repE0EEENS1_47radix_sort_onesweep_sort_config_static_selectorELNS0_4arch9wavefront6targetE1EEEvSG_
	.globl	_ZN7rocprim17ROCPRIM_400000_NS6detail17trampoline_kernelINS0_14default_configENS1_35radix_sort_onesweep_config_selectorIalEEZZNS1_29radix_sort_onesweep_iterationIS3_Lb0EPaS7_N6thrust23THRUST_200600_302600_NS10device_ptrIlEESB_jNS0_19identity_decomposerENS1_16block_id_wrapperIjLb1EEEEE10hipError_tT1_PNSt15iterator_traitsISG_E10value_typeET2_T3_PNSH_ISM_E10value_typeET4_T5_PSR_SS_PNS1_23onesweep_lookback_stateEbbT6_jjT7_P12ihipStream_tbENKUlT_T0_SG_SL_E_clIS7_S7_PlSB_EEDaSZ_S10_SG_SL_EUlSZ_E_NS1_11comp_targetILNS1_3genE3ELNS1_11target_archE908ELNS1_3gpuE7ELNS1_3repE0EEENS1_47radix_sort_onesweep_sort_config_static_selectorELNS0_4arch9wavefront6targetE1EEEvSG_
	.p2align	8
	.type	_ZN7rocprim17ROCPRIM_400000_NS6detail17trampoline_kernelINS0_14default_configENS1_35radix_sort_onesweep_config_selectorIalEEZZNS1_29radix_sort_onesweep_iterationIS3_Lb0EPaS7_N6thrust23THRUST_200600_302600_NS10device_ptrIlEESB_jNS0_19identity_decomposerENS1_16block_id_wrapperIjLb1EEEEE10hipError_tT1_PNSt15iterator_traitsISG_E10value_typeET2_T3_PNSH_ISM_E10value_typeET4_T5_PSR_SS_PNS1_23onesweep_lookback_stateEbbT6_jjT7_P12ihipStream_tbENKUlT_T0_SG_SL_E_clIS7_S7_PlSB_EEDaSZ_S10_SG_SL_EUlSZ_E_NS1_11comp_targetILNS1_3genE3ELNS1_11target_archE908ELNS1_3gpuE7ELNS1_3repE0EEENS1_47radix_sort_onesweep_sort_config_static_selectorELNS0_4arch9wavefront6targetE1EEEvSG_,@function
_ZN7rocprim17ROCPRIM_400000_NS6detail17trampoline_kernelINS0_14default_configENS1_35radix_sort_onesweep_config_selectorIalEEZZNS1_29radix_sort_onesweep_iterationIS3_Lb0EPaS7_N6thrust23THRUST_200600_302600_NS10device_ptrIlEESB_jNS0_19identity_decomposerENS1_16block_id_wrapperIjLb1EEEEE10hipError_tT1_PNSt15iterator_traitsISG_E10value_typeET2_T3_PNSH_ISM_E10value_typeET4_T5_PSR_SS_PNS1_23onesweep_lookback_stateEbbT6_jjT7_P12ihipStream_tbENKUlT_T0_SG_SL_E_clIS7_S7_PlSB_EEDaSZ_S10_SG_SL_EUlSZ_E_NS1_11comp_targetILNS1_3genE3ELNS1_11target_archE908ELNS1_3gpuE7ELNS1_3repE0EEENS1_47radix_sort_onesweep_sort_config_static_selectorELNS0_4arch9wavefront6targetE1EEEvSG_: ; @_ZN7rocprim17ROCPRIM_400000_NS6detail17trampoline_kernelINS0_14default_configENS1_35radix_sort_onesweep_config_selectorIalEEZZNS1_29radix_sort_onesweep_iterationIS3_Lb0EPaS7_N6thrust23THRUST_200600_302600_NS10device_ptrIlEESB_jNS0_19identity_decomposerENS1_16block_id_wrapperIjLb1EEEEE10hipError_tT1_PNSt15iterator_traitsISG_E10value_typeET2_T3_PNSH_ISM_E10value_typeET4_T5_PSR_SS_PNS1_23onesweep_lookback_stateEbbT6_jjT7_P12ihipStream_tbENKUlT_T0_SG_SL_E_clIS7_S7_PlSB_EEDaSZ_S10_SG_SL_EUlSZ_E_NS1_11comp_targetILNS1_3genE3ELNS1_11target_archE908ELNS1_3gpuE7ELNS1_3repE0EEENS1_47radix_sort_onesweep_sort_config_static_selectorELNS0_4arch9wavefront6targetE1EEEvSG_
; %bb.0:
	.section	.rodata,"a",@progbits
	.p2align	6, 0x0
	.amdhsa_kernel _ZN7rocprim17ROCPRIM_400000_NS6detail17trampoline_kernelINS0_14default_configENS1_35radix_sort_onesweep_config_selectorIalEEZZNS1_29radix_sort_onesweep_iterationIS3_Lb0EPaS7_N6thrust23THRUST_200600_302600_NS10device_ptrIlEESB_jNS0_19identity_decomposerENS1_16block_id_wrapperIjLb1EEEEE10hipError_tT1_PNSt15iterator_traitsISG_E10value_typeET2_T3_PNSH_ISM_E10value_typeET4_T5_PSR_SS_PNS1_23onesweep_lookback_stateEbbT6_jjT7_P12ihipStream_tbENKUlT_T0_SG_SL_E_clIS7_S7_PlSB_EEDaSZ_S10_SG_SL_EUlSZ_E_NS1_11comp_targetILNS1_3genE3ELNS1_11target_archE908ELNS1_3gpuE7ELNS1_3repE0EEENS1_47radix_sort_onesweep_sort_config_static_selectorELNS0_4arch9wavefront6targetE1EEEvSG_
		.amdhsa_group_segment_fixed_size 0
		.amdhsa_private_segment_fixed_size 0
		.amdhsa_kernarg_size 88
		.amdhsa_user_sgpr_count 6
		.amdhsa_user_sgpr_private_segment_buffer 1
		.amdhsa_user_sgpr_dispatch_ptr 0
		.amdhsa_user_sgpr_queue_ptr 0
		.amdhsa_user_sgpr_kernarg_segment_ptr 1
		.amdhsa_user_sgpr_dispatch_id 0
		.amdhsa_user_sgpr_flat_scratch_init 0
		.amdhsa_user_sgpr_private_segment_size 0
		.amdhsa_uses_dynamic_stack 0
		.amdhsa_system_sgpr_private_segment_wavefront_offset 0
		.amdhsa_system_sgpr_workgroup_id_x 1
		.amdhsa_system_sgpr_workgroup_id_y 0
		.amdhsa_system_sgpr_workgroup_id_z 0
		.amdhsa_system_sgpr_workgroup_info 0
		.amdhsa_system_vgpr_workitem_id 0
		.amdhsa_next_free_vgpr 1
		.amdhsa_next_free_sgpr 0
		.amdhsa_reserve_vcc 0
		.amdhsa_reserve_flat_scratch 0
		.amdhsa_float_round_mode_32 0
		.amdhsa_float_round_mode_16_64 0
		.amdhsa_float_denorm_mode_32 3
		.amdhsa_float_denorm_mode_16_64 3
		.amdhsa_dx10_clamp 1
		.amdhsa_ieee_mode 1
		.amdhsa_fp16_overflow 0
		.amdhsa_exception_fp_ieee_invalid_op 0
		.amdhsa_exception_fp_denorm_src 0
		.amdhsa_exception_fp_ieee_div_zero 0
		.amdhsa_exception_fp_ieee_overflow 0
		.amdhsa_exception_fp_ieee_underflow 0
		.amdhsa_exception_fp_ieee_inexact 0
		.amdhsa_exception_int_div_zero 0
	.end_amdhsa_kernel
	.section	.text._ZN7rocprim17ROCPRIM_400000_NS6detail17trampoline_kernelINS0_14default_configENS1_35radix_sort_onesweep_config_selectorIalEEZZNS1_29radix_sort_onesweep_iterationIS3_Lb0EPaS7_N6thrust23THRUST_200600_302600_NS10device_ptrIlEESB_jNS0_19identity_decomposerENS1_16block_id_wrapperIjLb1EEEEE10hipError_tT1_PNSt15iterator_traitsISG_E10value_typeET2_T3_PNSH_ISM_E10value_typeET4_T5_PSR_SS_PNS1_23onesweep_lookback_stateEbbT6_jjT7_P12ihipStream_tbENKUlT_T0_SG_SL_E_clIS7_S7_PlSB_EEDaSZ_S10_SG_SL_EUlSZ_E_NS1_11comp_targetILNS1_3genE3ELNS1_11target_archE908ELNS1_3gpuE7ELNS1_3repE0EEENS1_47radix_sort_onesweep_sort_config_static_selectorELNS0_4arch9wavefront6targetE1EEEvSG_,"axG",@progbits,_ZN7rocprim17ROCPRIM_400000_NS6detail17trampoline_kernelINS0_14default_configENS1_35radix_sort_onesweep_config_selectorIalEEZZNS1_29radix_sort_onesweep_iterationIS3_Lb0EPaS7_N6thrust23THRUST_200600_302600_NS10device_ptrIlEESB_jNS0_19identity_decomposerENS1_16block_id_wrapperIjLb1EEEEE10hipError_tT1_PNSt15iterator_traitsISG_E10value_typeET2_T3_PNSH_ISM_E10value_typeET4_T5_PSR_SS_PNS1_23onesweep_lookback_stateEbbT6_jjT7_P12ihipStream_tbENKUlT_T0_SG_SL_E_clIS7_S7_PlSB_EEDaSZ_S10_SG_SL_EUlSZ_E_NS1_11comp_targetILNS1_3genE3ELNS1_11target_archE908ELNS1_3gpuE7ELNS1_3repE0EEENS1_47radix_sort_onesweep_sort_config_static_selectorELNS0_4arch9wavefront6targetE1EEEvSG_,comdat
.Lfunc_end623:
	.size	_ZN7rocprim17ROCPRIM_400000_NS6detail17trampoline_kernelINS0_14default_configENS1_35radix_sort_onesweep_config_selectorIalEEZZNS1_29radix_sort_onesweep_iterationIS3_Lb0EPaS7_N6thrust23THRUST_200600_302600_NS10device_ptrIlEESB_jNS0_19identity_decomposerENS1_16block_id_wrapperIjLb1EEEEE10hipError_tT1_PNSt15iterator_traitsISG_E10value_typeET2_T3_PNSH_ISM_E10value_typeET4_T5_PSR_SS_PNS1_23onesweep_lookback_stateEbbT6_jjT7_P12ihipStream_tbENKUlT_T0_SG_SL_E_clIS7_S7_PlSB_EEDaSZ_S10_SG_SL_EUlSZ_E_NS1_11comp_targetILNS1_3genE3ELNS1_11target_archE908ELNS1_3gpuE7ELNS1_3repE0EEENS1_47radix_sort_onesweep_sort_config_static_selectorELNS0_4arch9wavefront6targetE1EEEvSG_, .Lfunc_end623-_ZN7rocprim17ROCPRIM_400000_NS6detail17trampoline_kernelINS0_14default_configENS1_35radix_sort_onesweep_config_selectorIalEEZZNS1_29radix_sort_onesweep_iterationIS3_Lb0EPaS7_N6thrust23THRUST_200600_302600_NS10device_ptrIlEESB_jNS0_19identity_decomposerENS1_16block_id_wrapperIjLb1EEEEE10hipError_tT1_PNSt15iterator_traitsISG_E10value_typeET2_T3_PNSH_ISM_E10value_typeET4_T5_PSR_SS_PNS1_23onesweep_lookback_stateEbbT6_jjT7_P12ihipStream_tbENKUlT_T0_SG_SL_E_clIS7_S7_PlSB_EEDaSZ_S10_SG_SL_EUlSZ_E_NS1_11comp_targetILNS1_3genE3ELNS1_11target_archE908ELNS1_3gpuE7ELNS1_3repE0EEENS1_47radix_sort_onesweep_sort_config_static_selectorELNS0_4arch9wavefront6targetE1EEEvSG_
                                        ; -- End function
	.set _ZN7rocprim17ROCPRIM_400000_NS6detail17trampoline_kernelINS0_14default_configENS1_35radix_sort_onesweep_config_selectorIalEEZZNS1_29radix_sort_onesweep_iterationIS3_Lb0EPaS7_N6thrust23THRUST_200600_302600_NS10device_ptrIlEESB_jNS0_19identity_decomposerENS1_16block_id_wrapperIjLb1EEEEE10hipError_tT1_PNSt15iterator_traitsISG_E10value_typeET2_T3_PNSH_ISM_E10value_typeET4_T5_PSR_SS_PNS1_23onesweep_lookback_stateEbbT6_jjT7_P12ihipStream_tbENKUlT_T0_SG_SL_E_clIS7_S7_PlSB_EEDaSZ_S10_SG_SL_EUlSZ_E_NS1_11comp_targetILNS1_3genE3ELNS1_11target_archE908ELNS1_3gpuE7ELNS1_3repE0EEENS1_47radix_sort_onesweep_sort_config_static_selectorELNS0_4arch9wavefront6targetE1EEEvSG_.num_vgpr, 0
	.set _ZN7rocprim17ROCPRIM_400000_NS6detail17trampoline_kernelINS0_14default_configENS1_35radix_sort_onesweep_config_selectorIalEEZZNS1_29radix_sort_onesweep_iterationIS3_Lb0EPaS7_N6thrust23THRUST_200600_302600_NS10device_ptrIlEESB_jNS0_19identity_decomposerENS1_16block_id_wrapperIjLb1EEEEE10hipError_tT1_PNSt15iterator_traitsISG_E10value_typeET2_T3_PNSH_ISM_E10value_typeET4_T5_PSR_SS_PNS1_23onesweep_lookback_stateEbbT6_jjT7_P12ihipStream_tbENKUlT_T0_SG_SL_E_clIS7_S7_PlSB_EEDaSZ_S10_SG_SL_EUlSZ_E_NS1_11comp_targetILNS1_3genE3ELNS1_11target_archE908ELNS1_3gpuE7ELNS1_3repE0EEENS1_47radix_sort_onesweep_sort_config_static_selectorELNS0_4arch9wavefront6targetE1EEEvSG_.num_agpr, 0
	.set _ZN7rocprim17ROCPRIM_400000_NS6detail17trampoline_kernelINS0_14default_configENS1_35radix_sort_onesweep_config_selectorIalEEZZNS1_29radix_sort_onesweep_iterationIS3_Lb0EPaS7_N6thrust23THRUST_200600_302600_NS10device_ptrIlEESB_jNS0_19identity_decomposerENS1_16block_id_wrapperIjLb1EEEEE10hipError_tT1_PNSt15iterator_traitsISG_E10value_typeET2_T3_PNSH_ISM_E10value_typeET4_T5_PSR_SS_PNS1_23onesweep_lookback_stateEbbT6_jjT7_P12ihipStream_tbENKUlT_T0_SG_SL_E_clIS7_S7_PlSB_EEDaSZ_S10_SG_SL_EUlSZ_E_NS1_11comp_targetILNS1_3genE3ELNS1_11target_archE908ELNS1_3gpuE7ELNS1_3repE0EEENS1_47radix_sort_onesweep_sort_config_static_selectorELNS0_4arch9wavefront6targetE1EEEvSG_.numbered_sgpr, 0
	.set _ZN7rocprim17ROCPRIM_400000_NS6detail17trampoline_kernelINS0_14default_configENS1_35radix_sort_onesweep_config_selectorIalEEZZNS1_29radix_sort_onesweep_iterationIS3_Lb0EPaS7_N6thrust23THRUST_200600_302600_NS10device_ptrIlEESB_jNS0_19identity_decomposerENS1_16block_id_wrapperIjLb1EEEEE10hipError_tT1_PNSt15iterator_traitsISG_E10value_typeET2_T3_PNSH_ISM_E10value_typeET4_T5_PSR_SS_PNS1_23onesweep_lookback_stateEbbT6_jjT7_P12ihipStream_tbENKUlT_T0_SG_SL_E_clIS7_S7_PlSB_EEDaSZ_S10_SG_SL_EUlSZ_E_NS1_11comp_targetILNS1_3genE3ELNS1_11target_archE908ELNS1_3gpuE7ELNS1_3repE0EEENS1_47radix_sort_onesweep_sort_config_static_selectorELNS0_4arch9wavefront6targetE1EEEvSG_.num_named_barrier, 0
	.set _ZN7rocprim17ROCPRIM_400000_NS6detail17trampoline_kernelINS0_14default_configENS1_35radix_sort_onesweep_config_selectorIalEEZZNS1_29radix_sort_onesweep_iterationIS3_Lb0EPaS7_N6thrust23THRUST_200600_302600_NS10device_ptrIlEESB_jNS0_19identity_decomposerENS1_16block_id_wrapperIjLb1EEEEE10hipError_tT1_PNSt15iterator_traitsISG_E10value_typeET2_T3_PNSH_ISM_E10value_typeET4_T5_PSR_SS_PNS1_23onesweep_lookback_stateEbbT6_jjT7_P12ihipStream_tbENKUlT_T0_SG_SL_E_clIS7_S7_PlSB_EEDaSZ_S10_SG_SL_EUlSZ_E_NS1_11comp_targetILNS1_3genE3ELNS1_11target_archE908ELNS1_3gpuE7ELNS1_3repE0EEENS1_47radix_sort_onesweep_sort_config_static_selectorELNS0_4arch9wavefront6targetE1EEEvSG_.private_seg_size, 0
	.set _ZN7rocprim17ROCPRIM_400000_NS6detail17trampoline_kernelINS0_14default_configENS1_35radix_sort_onesweep_config_selectorIalEEZZNS1_29radix_sort_onesweep_iterationIS3_Lb0EPaS7_N6thrust23THRUST_200600_302600_NS10device_ptrIlEESB_jNS0_19identity_decomposerENS1_16block_id_wrapperIjLb1EEEEE10hipError_tT1_PNSt15iterator_traitsISG_E10value_typeET2_T3_PNSH_ISM_E10value_typeET4_T5_PSR_SS_PNS1_23onesweep_lookback_stateEbbT6_jjT7_P12ihipStream_tbENKUlT_T0_SG_SL_E_clIS7_S7_PlSB_EEDaSZ_S10_SG_SL_EUlSZ_E_NS1_11comp_targetILNS1_3genE3ELNS1_11target_archE908ELNS1_3gpuE7ELNS1_3repE0EEENS1_47radix_sort_onesweep_sort_config_static_selectorELNS0_4arch9wavefront6targetE1EEEvSG_.uses_vcc, 0
	.set _ZN7rocprim17ROCPRIM_400000_NS6detail17trampoline_kernelINS0_14default_configENS1_35radix_sort_onesweep_config_selectorIalEEZZNS1_29radix_sort_onesweep_iterationIS3_Lb0EPaS7_N6thrust23THRUST_200600_302600_NS10device_ptrIlEESB_jNS0_19identity_decomposerENS1_16block_id_wrapperIjLb1EEEEE10hipError_tT1_PNSt15iterator_traitsISG_E10value_typeET2_T3_PNSH_ISM_E10value_typeET4_T5_PSR_SS_PNS1_23onesweep_lookback_stateEbbT6_jjT7_P12ihipStream_tbENKUlT_T0_SG_SL_E_clIS7_S7_PlSB_EEDaSZ_S10_SG_SL_EUlSZ_E_NS1_11comp_targetILNS1_3genE3ELNS1_11target_archE908ELNS1_3gpuE7ELNS1_3repE0EEENS1_47radix_sort_onesweep_sort_config_static_selectorELNS0_4arch9wavefront6targetE1EEEvSG_.uses_flat_scratch, 0
	.set _ZN7rocprim17ROCPRIM_400000_NS6detail17trampoline_kernelINS0_14default_configENS1_35radix_sort_onesweep_config_selectorIalEEZZNS1_29radix_sort_onesweep_iterationIS3_Lb0EPaS7_N6thrust23THRUST_200600_302600_NS10device_ptrIlEESB_jNS0_19identity_decomposerENS1_16block_id_wrapperIjLb1EEEEE10hipError_tT1_PNSt15iterator_traitsISG_E10value_typeET2_T3_PNSH_ISM_E10value_typeET4_T5_PSR_SS_PNS1_23onesweep_lookback_stateEbbT6_jjT7_P12ihipStream_tbENKUlT_T0_SG_SL_E_clIS7_S7_PlSB_EEDaSZ_S10_SG_SL_EUlSZ_E_NS1_11comp_targetILNS1_3genE3ELNS1_11target_archE908ELNS1_3gpuE7ELNS1_3repE0EEENS1_47radix_sort_onesweep_sort_config_static_selectorELNS0_4arch9wavefront6targetE1EEEvSG_.has_dyn_sized_stack, 0
	.set _ZN7rocprim17ROCPRIM_400000_NS6detail17trampoline_kernelINS0_14default_configENS1_35radix_sort_onesweep_config_selectorIalEEZZNS1_29radix_sort_onesweep_iterationIS3_Lb0EPaS7_N6thrust23THRUST_200600_302600_NS10device_ptrIlEESB_jNS0_19identity_decomposerENS1_16block_id_wrapperIjLb1EEEEE10hipError_tT1_PNSt15iterator_traitsISG_E10value_typeET2_T3_PNSH_ISM_E10value_typeET4_T5_PSR_SS_PNS1_23onesweep_lookback_stateEbbT6_jjT7_P12ihipStream_tbENKUlT_T0_SG_SL_E_clIS7_S7_PlSB_EEDaSZ_S10_SG_SL_EUlSZ_E_NS1_11comp_targetILNS1_3genE3ELNS1_11target_archE908ELNS1_3gpuE7ELNS1_3repE0EEENS1_47radix_sort_onesweep_sort_config_static_selectorELNS0_4arch9wavefront6targetE1EEEvSG_.has_recursion, 0
	.set _ZN7rocprim17ROCPRIM_400000_NS6detail17trampoline_kernelINS0_14default_configENS1_35radix_sort_onesweep_config_selectorIalEEZZNS1_29radix_sort_onesweep_iterationIS3_Lb0EPaS7_N6thrust23THRUST_200600_302600_NS10device_ptrIlEESB_jNS0_19identity_decomposerENS1_16block_id_wrapperIjLb1EEEEE10hipError_tT1_PNSt15iterator_traitsISG_E10value_typeET2_T3_PNSH_ISM_E10value_typeET4_T5_PSR_SS_PNS1_23onesweep_lookback_stateEbbT6_jjT7_P12ihipStream_tbENKUlT_T0_SG_SL_E_clIS7_S7_PlSB_EEDaSZ_S10_SG_SL_EUlSZ_E_NS1_11comp_targetILNS1_3genE3ELNS1_11target_archE908ELNS1_3gpuE7ELNS1_3repE0EEENS1_47radix_sort_onesweep_sort_config_static_selectorELNS0_4arch9wavefront6targetE1EEEvSG_.has_indirect_call, 0
	.section	.AMDGPU.csdata,"",@progbits
; Kernel info:
; codeLenInByte = 0
; TotalNumSgprs: 4
; NumVgprs: 0
; ScratchSize: 0
; MemoryBound: 0
; FloatMode: 240
; IeeeMode: 1
; LDSByteSize: 0 bytes/workgroup (compile time only)
; SGPRBlocks: 0
; VGPRBlocks: 0
; NumSGPRsForWavesPerEU: 4
; NumVGPRsForWavesPerEU: 1
; Occupancy: 10
; WaveLimiterHint : 0
; COMPUTE_PGM_RSRC2:SCRATCH_EN: 0
; COMPUTE_PGM_RSRC2:USER_SGPR: 6
; COMPUTE_PGM_RSRC2:TRAP_HANDLER: 0
; COMPUTE_PGM_RSRC2:TGID_X_EN: 1
; COMPUTE_PGM_RSRC2:TGID_Y_EN: 0
; COMPUTE_PGM_RSRC2:TGID_Z_EN: 0
; COMPUTE_PGM_RSRC2:TIDIG_COMP_CNT: 0
	.section	.text._ZN7rocprim17ROCPRIM_400000_NS6detail17trampoline_kernelINS0_14default_configENS1_35radix_sort_onesweep_config_selectorIalEEZZNS1_29radix_sort_onesweep_iterationIS3_Lb0EPaS7_N6thrust23THRUST_200600_302600_NS10device_ptrIlEESB_jNS0_19identity_decomposerENS1_16block_id_wrapperIjLb1EEEEE10hipError_tT1_PNSt15iterator_traitsISG_E10value_typeET2_T3_PNSH_ISM_E10value_typeET4_T5_PSR_SS_PNS1_23onesweep_lookback_stateEbbT6_jjT7_P12ihipStream_tbENKUlT_T0_SG_SL_E_clIS7_S7_PlSB_EEDaSZ_S10_SG_SL_EUlSZ_E_NS1_11comp_targetILNS1_3genE10ELNS1_11target_archE1201ELNS1_3gpuE5ELNS1_3repE0EEENS1_47radix_sort_onesweep_sort_config_static_selectorELNS0_4arch9wavefront6targetE1EEEvSG_,"axG",@progbits,_ZN7rocprim17ROCPRIM_400000_NS6detail17trampoline_kernelINS0_14default_configENS1_35radix_sort_onesweep_config_selectorIalEEZZNS1_29radix_sort_onesweep_iterationIS3_Lb0EPaS7_N6thrust23THRUST_200600_302600_NS10device_ptrIlEESB_jNS0_19identity_decomposerENS1_16block_id_wrapperIjLb1EEEEE10hipError_tT1_PNSt15iterator_traitsISG_E10value_typeET2_T3_PNSH_ISM_E10value_typeET4_T5_PSR_SS_PNS1_23onesweep_lookback_stateEbbT6_jjT7_P12ihipStream_tbENKUlT_T0_SG_SL_E_clIS7_S7_PlSB_EEDaSZ_S10_SG_SL_EUlSZ_E_NS1_11comp_targetILNS1_3genE10ELNS1_11target_archE1201ELNS1_3gpuE5ELNS1_3repE0EEENS1_47radix_sort_onesweep_sort_config_static_selectorELNS0_4arch9wavefront6targetE1EEEvSG_,comdat
	.protected	_ZN7rocprim17ROCPRIM_400000_NS6detail17trampoline_kernelINS0_14default_configENS1_35radix_sort_onesweep_config_selectorIalEEZZNS1_29radix_sort_onesweep_iterationIS3_Lb0EPaS7_N6thrust23THRUST_200600_302600_NS10device_ptrIlEESB_jNS0_19identity_decomposerENS1_16block_id_wrapperIjLb1EEEEE10hipError_tT1_PNSt15iterator_traitsISG_E10value_typeET2_T3_PNSH_ISM_E10value_typeET4_T5_PSR_SS_PNS1_23onesweep_lookback_stateEbbT6_jjT7_P12ihipStream_tbENKUlT_T0_SG_SL_E_clIS7_S7_PlSB_EEDaSZ_S10_SG_SL_EUlSZ_E_NS1_11comp_targetILNS1_3genE10ELNS1_11target_archE1201ELNS1_3gpuE5ELNS1_3repE0EEENS1_47radix_sort_onesweep_sort_config_static_selectorELNS0_4arch9wavefront6targetE1EEEvSG_ ; -- Begin function _ZN7rocprim17ROCPRIM_400000_NS6detail17trampoline_kernelINS0_14default_configENS1_35radix_sort_onesweep_config_selectorIalEEZZNS1_29radix_sort_onesweep_iterationIS3_Lb0EPaS7_N6thrust23THRUST_200600_302600_NS10device_ptrIlEESB_jNS0_19identity_decomposerENS1_16block_id_wrapperIjLb1EEEEE10hipError_tT1_PNSt15iterator_traitsISG_E10value_typeET2_T3_PNSH_ISM_E10value_typeET4_T5_PSR_SS_PNS1_23onesweep_lookback_stateEbbT6_jjT7_P12ihipStream_tbENKUlT_T0_SG_SL_E_clIS7_S7_PlSB_EEDaSZ_S10_SG_SL_EUlSZ_E_NS1_11comp_targetILNS1_3genE10ELNS1_11target_archE1201ELNS1_3gpuE5ELNS1_3repE0EEENS1_47radix_sort_onesweep_sort_config_static_selectorELNS0_4arch9wavefront6targetE1EEEvSG_
	.globl	_ZN7rocprim17ROCPRIM_400000_NS6detail17trampoline_kernelINS0_14default_configENS1_35radix_sort_onesweep_config_selectorIalEEZZNS1_29radix_sort_onesweep_iterationIS3_Lb0EPaS7_N6thrust23THRUST_200600_302600_NS10device_ptrIlEESB_jNS0_19identity_decomposerENS1_16block_id_wrapperIjLb1EEEEE10hipError_tT1_PNSt15iterator_traitsISG_E10value_typeET2_T3_PNSH_ISM_E10value_typeET4_T5_PSR_SS_PNS1_23onesweep_lookback_stateEbbT6_jjT7_P12ihipStream_tbENKUlT_T0_SG_SL_E_clIS7_S7_PlSB_EEDaSZ_S10_SG_SL_EUlSZ_E_NS1_11comp_targetILNS1_3genE10ELNS1_11target_archE1201ELNS1_3gpuE5ELNS1_3repE0EEENS1_47radix_sort_onesweep_sort_config_static_selectorELNS0_4arch9wavefront6targetE1EEEvSG_
	.p2align	8
	.type	_ZN7rocprim17ROCPRIM_400000_NS6detail17trampoline_kernelINS0_14default_configENS1_35radix_sort_onesweep_config_selectorIalEEZZNS1_29radix_sort_onesweep_iterationIS3_Lb0EPaS7_N6thrust23THRUST_200600_302600_NS10device_ptrIlEESB_jNS0_19identity_decomposerENS1_16block_id_wrapperIjLb1EEEEE10hipError_tT1_PNSt15iterator_traitsISG_E10value_typeET2_T3_PNSH_ISM_E10value_typeET4_T5_PSR_SS_PNS1_23onesweep_lookback_stateEbbT6_jjT7_P12ihipStream_tbENKUlT_T0_SG_SL_E_clIS7_S7_PlSB_EEDaSZ_S10_SG_SL_EUlSZ_E_NS1_11comp_targetILNS1_3genE10ELNS1_11target_archE1201ELNS1_3gpuE5ELNS1_3repE0EEENS1_47radix_sort_onesweep_sort_config_static_selectorELNS0_4arch9wavefront6targetE1EEEvSG_,@function
_ZN7rocprim17ROCPRIM_400000_NS6detail17trampoline_kernelINS0_14default_configENS1_35radix_sort_onesweep_config_selectorIalEEZZNS1_29radix_sort_onesweep_iterationIS3_Lb0EPaS7_N6thrust23THRUST_200600_302600_NS10device_ptrIlEESB_jNS0_19identity_decomposerENS1_16block_id_wrapperIjLb1EEEEE10hipError_tT1_PNSt15iterator_traitsISG_E10value_typeET2_T3_PNSH_ISM_E10value_typeET4_T5_PSR_SS_PNS1_23onesweep_lookback_stateEbbT6_jjT7_P12ihipStream_tbENKUlT_T0_SG_SL_E_clIS7_S7_PlSB_EEDaSZ_S10_SG_SL_EUlSZ_E_NS1_11comp_targetILNS1_3genE10ELNS1_11target_archE1201ELNS1_3gpuE5ELNS1_3repE0EEENS1_47radix_sort_onesweep_sort_config_static_selectorELNS0_4arch9wavefront6targetE1EEEvSG_: ; @_ZN7rocprim17ROCPRIM_400000_NS6detail17trampoline_kernelINS0_14default_configENS1_35radix_sort_onesweep_config_selectorIalEEZZNS1_29radix_sort_onesweep_iterationIS3_Lb0EPaS7_N6thrust23THRUST_200600_302600_NS10device_ptrIlEESB_jNS0_19identity_decomposerENS1_16block_id_wrapperIjLb1EEEEE10hipError_tT1_PNSt15iterator_traitsISG_E10value_typeET2_T3_PNSH_ISM_E10value_typeET4_T5_PSR_SS_PNS1_23onesweep_lookback_stateEbbT6_jjT7_P12ihipStream_tbENKUlT_T0_SG_SL_E_clIS7_S7_PlSB_EEDaSZ_S10_SG_SL_EUlSZ_E_NS1_11comp_targetILNS1_3genE10ELNS1_11target_archE1201ELNS1_3gpuE5ELNS1_3repE0EEENS1_47radix_sort_onesweep_sort_config_static_selectorELNS0_4arch9wavefront6targetE1EEEvSG_
; %bb.0:
	.section	.rodata,"a",@progbits
	.p2align	6, 0x0
	.amdhsa_kernel _ZN7rocprim17ROCPRIM_400000_NS6detail17trampoline_kernelINS0_14default_configENS1_35radix_sort_onesweep_config_selectorIalEEZZNS1_29radix_sort_onesweep_iterationIS3_Lb0EPaS7_N6thrust23THRUST_200600_302600_NS10device_ptrIlEESB_jNS0_19identity_decomposerENS1_16block_id_wrapperIjLb1EEEEE10hipError_tT1_PNSt15iterator_traitsISG_E10value_typeET2_T3_PNSH_ISM_E10value_typeET4_T5_PSR_SS_PNS1_23onesweep_lookback_stateEbbT6_jjT7_P12ihipStream_tbENKUlT_T0_SG_SL_E_clIS7_S7_PlSB_EEDaSZ_S10_SG_SL_EUlSZ_E_NS1_11comp_targetILNS1_3genE10ELNS1_11target_archE1201ELNS1_3gpuE5ELNS1_3repE0EEENS1_47radix_sort_onesweep_sort_config_static_selectorELNS0_4arch9wavefront6targetE1EEEvSG_
		.amdhsa_group_segment_fixed_size 0
		.amdhsa_private_segment_fixed_size 0
		.amdhsa_kernarg_size 88
		.amdhsa_user_sgpr_count 6
		.amdhsa_user_sgpr_private_segment_buffer 1
		.amdhsa_user_sgpr_dispatch_ptr 0
		.amdhsa_user_sgpr_queue_ptr 0
		.amdhsa_user_sgpr_kernarg_segment_ptr 1
		.amdhsa_user_sgpr_dispatch_id 0
		.amdhsa_user_sgpr_flat_scratch_init 0
		.amdhsa_user_sgpr_private_segment_size 0
		.amdhsa_uses_dynamic_stack 0
		.amdhsa_system_sgpr_private_segment_wavefront_offset 0
		.amdhsa_system_sgpr_workgroup_id_x 1
		.amdhsa_system_sgpr_workgroup_id_y 0
		.amdhsa_system_sgpr_workgroup_id_z 0
		.amdhsa_system_sgpr_workgroup_info 0
		.amdhsa_system_vgpr_workitem_id 0
		.amdhsa_next_free_vgpr 1
		.amdhsa_next_free_sgpr 0
		.amdhsa_reserve_vcc 0
		.amdhsa_reserve_flat_scratch 0
		.amdhsa_float_round_mode_32 0
		.amdhsa_float_round_mode_16_64 0
		.amdhsa_float_denorm_mode_32 3
		.amdhsa_float_denorm_mode_16_64 3
		.amdhsa_dx10_clamp 1
		.amdhsa_ieee_mode 1
		.amdhsa_fp16_overflow 0
		.amdhsa_exception_fp_ieee_invalid_op 0
		.amdhsa_exception_fp_denorm_src 0
		.amdhsa_exception_fp_ieee_div_zero 0
		.amdhsa_exception_fp_ieee_overflow 0
		.amdhsa_exception_fp_ieee_underflow 0
		.amdhsa_exception_fp_ieee_inexact 0
		.amdhsa_exception_int_div_zero 0
	.end_amdhsa_kernel
	.section	.text._ZN7rocprim17ROCPRIM_400000_NS6detail17trampoline_kernelINS0_14default_configENS1_35radix_sort_onesweep_config_selectorIalEEZZNS1_29radix_sort_onesweep_iterationIS3_Lb0EPaS7_N6thrust23THRUST_200600_302600_NS10device_ptrIlEESB_jNS0_19identity_decomposerENS1_16block_id_wrapperIjLb1EEEEE10hipError_tT1_PNSt15iterator_traitsISG_E10value_typeET2_T3_PNSH_ISM_E10value_typeET4_T5_PSR_SS_PNS1_23onesweep_lookback_stateEbbT6_jjT7_P12ihipStream_tbENKUlT_T0_SG_SL_E_clIS7_S7_PlSB_EEDaSZ_S10_SG_SL_EUlSZ_E_NS1_11comp_targetILNS1_3genE10ELNS1_11target_archE1201ELNS1_3gpuE5ELNS1_3repE0EEENS1_47radix_sort_onesweep_sort_config_static_selectorELNS0_4arch9wavefront6targetE1EEEvSG_,"axG",@progbits,_ZN7rocprim17ROCPRIM_400000_NS6detail17trampoline_kernelINS0_14default_configENS1_35radix_sort_onesweep_config_selectorIalEEZZNS1_29radix_sort_onesweep_iterationIS3_Lb0EPaS7_N6thrust23THRUST_200600_302600_NS10device_ptrIlEESB_jNS0_19identity_decomposerENS1_16block_id_wrapperIjLb1EEEEE10hipError_tT1_PNSt15iterator_traitsISG_E10value_typeET2_T3_PNSH_ISM_E10value_typeET4_T5_PSR_SS_PNS1_23onesweep_lookback_stateEbbT6_jjT7_P12ihipStream_tbENKUlT_T0_SG_SL_E_clIS7_S7_PlSB_EEDaSZ_S10_SG_SL_EUlSZ_E_NS1_11comp_targetILNS1_3genE10ELNS1_11target_archE1201ELNS1_3gpuE5ELNS1_3repE0EEENS1_47radix_sort_onesweep_sort_config_static_selectorELNS0_4arch9wavefront6targetE1EEEvSG_,comdat
.Lfunc_end624:
	.size	_ZN7rocprim17ROCPRIM_400000_NS6detail17trampoline_kernelINS0_14default_configENS1_35radix_sort_onesweep_config_selectorIalEEZZNS1_29radix_sort_onesweep_iterationIS3_Lb0EPaS7_N6thrust23THRUST_200600_302600_NS10device_ptrIlEESB_jNS0_19identity_decomposerENS1_16block_id_wrapperIjLb1EEEEE10hipError_tT1_PNSt15iterator_traitsISG_E10value_typeET2_T3_PNSH_ISM_E10value_typeET4_T5_PSR_SS_PNS1_23onesweep_lookback_stateEbbT6_jjT7_P12ihipStream_tbENKUlT_T0_SG_SL_E_clIS7_S7_PlSB_EEDaSZ_S10_SG_SL_EUlSZ_E_NS1_11comp_targetILNS1_3genE10ELNS1_11target_archE1201ELNS1_3gpuE5ELNS1_3repE0EEENS1_47radix_sort_onesweep_sort_config_static_selectorELNS0_4arch9wavefront6targetE1EEEvSG_, .Lfunc_end624-_ZN7rocprim17ROCPRIM_400000_NS6detail17trampoline_kernelINS0_14default_configENS1_35radix_sort_onesweep_config_selectorIalEEZZNS1_29radix_sort_onesweep_iterationIS3_Lb0EPaS7_N6thrust23THRUST_200600_302600_NS10device_ptrIlEESB_jNS0_19identity_decomposerENS1_16block_id_wrapperIjLb1EEEEE10hipError_tT1_PNSt15iterator_traitsISG_E10value_typeET2_T3_PNSH_ISM_E10value_typeET4_T5_PSR_SS_PNS1_23onesweep_lookback_stateEbbT6_jjT7_P12ihipStream_tbENKUlT_T0_SG_SL_E_clIS7_S7_PlSB_EEDaSZ_S10_SG_SL_EUlSZ_E_NS1_11comp_targetILNS1_3genE10ELNS1_11target_archE1201ELNS1_3gpuE5ELNS1_3repE0EEENS1_47radix_sort_onesweep_sort_config_static_selectorELNS0_4arch9wavefront6targetE1EEEvSG_
                                        ; -- End function
	.set _ZN7rocprim17ROCPRIM_400000_NS6detail17trampoline_kernelINS0_14default_configENS1_35radix_sort_onesweep_config_selectorIalEEZZNS1_29radix_sort_onesweep_iterationIS3_Lb0EPaS7_N6thrust23THRUST_200600_302600_NS10device_ptrIlEESB_jNS0_19identity_decomposerENS1_16block_id_wrapperIjLb1EEEEE10hipError_tT1_PNSt15iterator_traitsISG_E10value_typeET2_T3_PNSH_ISM_E10value_typeET4_T5_PSR_SS_PNS1_23onesweep_lookback_stateEbbT6_jjT7_P12ihipStream_tbENKUlT_T0_SG_SL_E_clIS7_S7_PlSB_EEDaSZ_S10_SG_SL_EUlSZ_E_NS1_11comp_targetILNS1_3genE10ELNS1_11target_archE1201ELNS1_3gpuE5ELNS1_3repE0EEENS1_47radix_sort_onesweep_sort_config_static_selectorELNS0_4arch9wavefront6targetE1EEEvSG_.num_vgpr, 0
	.set _ZN7rocprim17ROCPRIM_400000_NS6detail17trampoline_kernelINS0_14default_configENS1_35radix_sort_onesweep_config_selectorIalEEZZNS1_29radix_sort_onesweep_iterationIS3_Lb0EPaS7_N6thrust23THRUST_200600_302600_NS10device_ptrIlEESB_jNS0_19identity_decomposerENS1_16block_id_wrapperIjLb1EEEEE10hipError_tT1_PNSt15iterator_traitsISG_E10value_typeET2_T3_PNSH_ISM_E10value_typeET4_T5_PSR_SS_PNS1_23onesweep_lookback_stateEbbT6_jjT7_P12ihipStream_tbENKUlT_T0_SG_SL_E_clIS7_S7_PlSB_EEDaSZ_S10_SG_SL_EUlSZ_E_NS1_11comp_targetILNS1_3genE10ELNS1_11target_archE1201ELNS1_3gpuE5ELNS1_3repE0EEENS1_47radix_sort_onesweep_sort_config_static_selectorELNS0_4arch9wavefront6targetE1EEEvSG_.num_agpr, 0
	.set _ZN7rocprim17ROCPRIM_400000_NS6detail17trampoline_kernelINS0_14default_configENS1_35radix_sort_onesweep_config_selectorIalEEZZNS1_29radix_sort_onesweep_iterationIS3_Lb0EPaS7_N6thrust23THRUST_200600_302600_NS10device_ptrIlEESB_jNS0_19identity_decomposerENS1_16block_id_wrapperIjLb1EEEEE10hipError_tT1_PNSt15iterator_traitsISG_E10value_typeET2_T3_PNSH_ISM_E10value_typeET4_T5_PSR_SS_PNS1_23onesweep_lookback_stateEbbT6_jjT7_P12ihipStream_tbENKUlT_T0_SG_SL_E_clIS7_S7_PlSB_EEDaSZ_S10_SG_SL_EUlSZ_E_NS1_11comp_targetILNS1_3genE10ELNS1_11target_archE1201ELNS1_3gpuE5ELNS1_3repE0EEENS1_47radix_sort_onesweep_sort_config_static_selectorELNS0_4arch9wavefront6targetE1EEEvSG_.numbered_sgpr, 0
	.set _ZN7rocprim17ROCPRIM_400000_NS6detail17trampoline_kernelINS0_14default_configENS1_35radix_sort_onesweep_config_selectorIalEEZZNS1_29radix_sort_onesweep_iterationIS3_Lb0EPaS7_N6thrust23THRUST_200600_302600_NS10device_ptrIlEESB_jNS0_19identity_decomposerENS1_16block_id_wrapperIjLb1EEEEE10hipError_tT1_PNSt15iterator_traitsISG_E10value_typeET2_T3_PNSH_ISM_E10value_typeET4_T5_PSR_SS_PNS1_23onesweep_lookback_stateEbbT6_jjT7_P12ihipStream_tbENKUlT_T0_SG_SL_E_clIS7_S7_PlSB_EEDaSZ_S10_SG_SL_EUlSZ_E_NS1_11comp_targetILNS1_3genE10ELNS1_11target_archE1201ELNS1_3gpuE5ELNS1_3repE0EEENS1_47radix_sort_onesweep_sort_config_static_selectorELNS0_4arch9wavefront6targetE1EEEvSG_.num_named_barrier, 0
	.set _ZN7rocprim17ROCPRIM_400000_NS6detail17trampoline_kernelINS0_14default_configENS1_35radix_sort_onesweep_config_selectorIalEEZZNS1_29radix_sort_onesweep_iterationIS3_Lb0EPaS7_N6thrust23THRUST_200600_302600_NS10device_ptrIlEESB_jNS0_19identity_decomposerENS1_16block_id_wrapperIjLb1EEEEE10hipError_tT1_PNSt15iterator_traitsISG_E10value_typeET2_T3_PNSH_ISM_E10value_typeET4_T5_PSR_SS_PNS1_23onesweep_lookback_stateEbbT6_jjT7_P12ihipStream_tbENKUlT_T0_SG_SL_E_clIS7_S7_PlSB_EEDaSZ_S10_SG_SL_EUlSZ_E_NS1_11comp_targetILNS1_3genE10ELNS1_11target_archE1201ELNS1_3gpuE5ELNS1_3repE0EEENS1_47radix_sort_onesweep_sort_config_static_selectorELNS0_4arch9wavefront6targetE1EEEvSG_.private_seg_size, 0
	.set _ZN7rocprim17ROCPRIM_400000_NS6detail17trampoline_kernelINS0_14default_configENS1_35radix_sort_onesweep_config_selectorIalEEZZNS1_29radix_sort_onesweep_iterationIS3_Lb0EPaS7_N6thrust23THRUST_200600_302600_NS10device_ptrIlEESB_jNS0_19identity_decomposerENS1_16block_id_wrapperIjLb1EEEEE10hipError_tT1_PNSt15iterator_traitsISG_E10value_typeET2_T3_PNSH_ISM_E10value_typeET4_T5_PSR_SS_PNS1_23onesweep_lookback_stateEbbT6_jjT7_P12ihipStream_tbENKUlT_T0_SG_SL_E_clIS7_S7_PlSB_EEDaSZ_S10_SG_SL_EUlSZ_E_NS1_11comp_targetILNS1_3genE10ELNS1_11target_archE1201ELNS1_3gpuE5ELNS1_3repE0EEENS1_47radix_sort_onesweep_sort_config_static_selectorELNS0_4arch9wavefront6targetE1EEEvSG_.uses_vcc, 0
	.set _ZN7rocprim17ROCPRIM_400000_NS6detail17trampoline_kernelINS0_14default_configENS1_35radix_sort_onesweep_config_selectorIalEEZZNS1_29radix_sort_onesweep_iterationIS3_Lb0EPaS7_N6thrust23THRUST_200600_302600_NS10device_ptrIlEESB_jNS0_19identity_decomposerENS1_16block_id_wrapperIjLb1EEEEE10hipError_tT1_PNSt15iterator_traitsISG_E10value_typeET2_T3_PNSH_ISM_E10value_typeET4_T5_PSR_SS_PNS1_23onesweep_lookback_stateEbbT6_jjT7_P12ihipStream_tbENKUlT_T0_SG_SL_E_clIS7_S7_PlSB_EEDaSZ_S10_SG_SL_EUlSZ_E_NS1_11comp_targetILNS1_3genE10ELNS1_11target_archE1201ELNS1_3gpuE5ELNS1_3repE0EEENS1_47radix_sort_onesweep_sort_config_static_selectorELNS0_4arch9wavefront6targetE1EEEvSG_.uses_flat_scratch, 0
	.set _ZN7rocprim17ROCPRIM_400000_NS6detail17trampoline_kernelINS0_14default_configENS1_35radix_sort_onesweep_config_selectorIalEEZZNS1_29radix_sort_onesweep_iterationIS3_Lb0EPaS7_N6thrust23THRUST_200600_302600_NS10device_ptrIlEESB_jNS0_19identity_decomposerENS1_16block_id_wrapperIjLb1EEEEE10hipError_tT1_PNSt15iterator_traitsISG_E10value_typeET2_T3_PNSH_ISM_E10value_typeET4_T5_PSR_SS_PNS1_23onesweep_lookback_stateEbbT6_jjT7_P12ihipStream_tbENKUlT_T0_SG_SL_E_clIS7_S7_PlSB_EEDaSZ_S10_SG_SL_EUlSZ_E_NS1_11comp_targetILNS1_3genE10ELNS1_11target_archE1201ELNS1_3gpuE5ELNS1_3repE0EEENS1_47radix_sort_onesweep_sort_config_static_selectorELNS0_4arch9wavefront6targetE1EEEvSG_.has_dyn_sized_stack, 0
	.set _ZN7rocprim17ROCPRIM_400000_NS6detail17trampoline_kernelINS0_14default_configENS1_35radix_sort_onesweep_config_selectorIalEEZZNS1_29radix_sort_onesweep_iterationIS3_Lb0EPaS7_N6thrust23THRUST_200600_302600_NS10device_ptrIlEESB_jNS0_19identity_decomposerENS1_16block_id_wrapperIjLb1EEEEE10hipError_tT1_PNSt15iterator_traitsISG_E10value_typeET2_T3_PNSH_ISM_E10value_typeET4_T5_PSR_SS_PNS1_23onesweep_lookback_stateEbbT6_jjT7_P12ihipStream_tbENKUlT_T0_SG_SL_E_clIS7_S7_PlSB_EEDaSZ_S10_SG_SL_EUlSZ_E_NS1_11comp_targetILNS1_3genE10ELNS1_11target_archE1201ELNS1_3gpuE5ELNS1_3repE0EEENS1_47radix_sort_onesweep_sort_config_static_selectorELNS0_4arch9wavefront6targetE1EEEvSG_.has_recursion, 0
	.set _ZN7rocprim17ROCPRIM_400000_NS6detail17trampoline_kernelINS0_14default_configENS1_35radix_sort_onesweep_config_selectorIalEEZZNS1_29radix_sort_onesweep_iterationIS3_Lb0EPaS7_N6thrust23THRUST_200600_302600_NS10device_ptrIlEESB_jNS0_19identity_decomposerENS1_16block_id_wrapperIjLb1EEEEE10hipError_tT1_PNSt15iterator_traitsISG_E10value_typeET2_T3_PNSH_ISM_E10value_typeET4_T5_PSR_SS_PNS1_23onesweep_lookback_stateEbbT6_jjT7_P12ihipStream_tbENKUlT_T0_SG_SL_E_clIS7_S7_PlSB_EEDaSZ_S10_SG_SL_EUlSZ_E_NS1_11comp_targetILNS1_3genE10ELNS1_11target_archE1201ELNS1_3gpuE5ELNS1_3repE0EEENS1_47radix_sort_onesweep_sort_config_static_selectorELNS0_4arch9wavefront6targetE1EEEvSG_.has_indirect_call, 0
	.section	.AMDGPU.csdata,"",@progbits
; Kernel info:
; codeLenInByte = 0
; TotalNumSgprs: 4
; NumVgprs: 0
; ScratchSize: 0
; MemoryBound: 0
; FloatMode: 240
; IeeeMode: 1
; LDSByteSize: 0 bytes/workgroup (compile time only)
; SGPRBlocks: 0
; VGPRBlocks: 0
; NumSGPRsForWavesPerEU: 4
; NumVGPRsForWavesPerEU: 1
; Occupancy: 10
; WaveLimiterHint : 0
; COMPUTE_PGM_RSRC2:SCRATCH_EN: 0
; COMPUTE_PGM_RSRC2:USER_SGPR: 6
; COMPUTE_PGM_RSRC2:TRAP_HANDLER: 0
; COMPUTE_PGM_RSRC2:TGID_X_EN: 1
; COMPUTE_PGM_RSRC2:TGID_Y_EN: 0
; COMPUTE_PGM_RSRC2:TGID_Z_EN: 0
; COMPUTE_PGM_RSRC2:TIDIG_COMP_CNT: 0
	.section	.text._ZN7rocprim17ROCPRIM_400000_NS6detail17trampoline_kernelINS0_14default_configENS1_35radix_sort_onesweep_config_selectorIalEEZZNS1_29radix_sort_onesweep_iterationIS3_Lb0EPaS7_N6thrust23THRUST_200600_302600_NS10device_ptrIlEESB_jNS0_19identity_decomposerENS1_16block_id_wrapperIjLb1EEEEE10hipError_tT1_PNSt15iterator_traitsISG_E10value_typeET2_T3_PNSH_ISM_E10value_typeET4_T5_PSR_SS_PNS1_23onesweep_lookback_stateEbbT6_jjT7_P12ihipStream_tbENKUlT_T0_SG_SL_E_clIS7_S7_PlSB_EEDaSZ_S10_SG_SL_EUlSZ_E_NS1_11comp_targetILNS1_3genE9ELNS1_11target_archE1100ELNS1_3gpuE3ELNS1_3repE0EEENS1_47radix_sort_onesweep_sort_config_static_selectorELNS0_4arch9wavefront6targetE1EEEvSG_,"axG",@progbits,_ZN7rocprim17ROCPRIM_400000_NS6detail17trampoline_kernelINS0_14default_configENS1_35radix_sort_onesweep_config_selectorIalEEZZNS1_29radix_sort_onesweep_iterationIS3_Lb0EPaS7_N6thrust23THRUST_200600_302600_NS10device_ptrIlEESB_jNS0_19identity_decomposerENS1_16block_id_wrapperIjLb1EEEEE10hipError_tT1_PNSt15iterator_traitsISG_E10value_typeET2_T3_PNSH_ISM_E10value_typeET4_T5_PSR_SS_PNS1_23onesweep_lookback_stateEbbT6_jjT7_P12ihipStream_tbENKUlT_T0_SG_SL_E_clIS7_S7_PlSB_EEDaSZ_S10_SG_SL_EUlSZ_E_NS1_11comp_targetILNS1_3genE9ELNS1_11target_archE1100ELNS1_3gpuE3ELNS1_3repE0EEENS1_47radix_sort_onesweep_sort_config_static_selectorELNS0_4arch9wavefront6targetE1EEEvSG_,comdat
	.protected	_ZN7rocprim17ROCPRIM_400000_NS6detail17trampoline_kernelINS0_14default_configENS1_35radix_sort_onesweep_config_selectorIalEEZZNS1_29radix_sort_onesweep_iterationIS3_Lb0EPaS7_N6thrust23THRUST_200600_302600_NS10device_ptrIlEESB_jNS0_19identity_decomposerENS1_16block_id_wrapperIjLb1EEEEE10hipError_tT1_PNSt15iterator_traitsISG_E10value_typeET2_T3_PNSH_ISM_E10value_typeET4_T5_PSR_SS_PNS1_23onesweep_lookback_stateEbbT6_jjT7_P12ihipStream_tbENKUlT_T0_SG_SL_E_clIS7_S7_PlSB_EEDaSZ_S10_SG_SL_EUlSZ_E_NS1_11comp_targetILNS1_3genE9ELNS1_11target_archE1100ELNS1_3gpuE3ELNS1_3repE0EEENS1_47radix_sort_onesweep_sort_config_static_selectorELNS0_4arch9wavefront6targetE1EEEvSG_ ; -- Begin function _ZN7rocprim17ROCPRIM_400000_NS6detail17trampoline_kernelINS0_14default_configENS1_35radix_sort_onesweep_config_selectorIalEEZZNS1_29radix_sort_onesweep_iterationIS3_Lb0EPaS7_N6thrust23THRUST_200600_302600_NS10device_ptrIlEESB_jNS0_19identity_decomposerENS1_16block_id_wrapperIjLb1EEEEE10hipError_tT1_PNSt15iterator_traitsISG_E10value_typeET2_T3_PNSH_ISM_E10value_typeET4_T5_PSR_SS_PNS1_23onesweep_lookback_stateEbbT6_jjT7_P12ihipStream_tbENKUlT_T0_SG_SL_E_clIS7_S7_PlSB_EEDaSZ_S10_SG_SL_EUlSZ_E_NS1_11comp_targetILNS1_3genE9ELNS1_11target_archE1100ELNS1_3gpuE3ELNS1_3repE0EEENS1_47radix_sort_onesweep_sort_config_static_selectorELNS0_4arch9wavefront6targetE1EEEvSG_
	.globl	_ZN7rocprim17ROCPRIM_400000_NS6detail17trampoline_kernelINS0_14default_configENS1_35radix_sort_onesweep_config_selectorIalEEZZNS1_29radix_sort_onesweep_iterationIS3_Lb0EPaS7_N6thrust23THRUST_200600_302600_NS10device_ptrIlEESB_jNS0_19identity_decomposerENS1_16block_id_wrapperIjLb1EEEEE10hipError_tT1_PNSt15iterator_traitsISG_E10value_typeET2_T3_PNSH_ISM_E10value_typeET4_T5_PSR_SS_PNS1_23onesweep_lookback_stateEbbT6_jjT7_P12ihipStream_tbENKUlT_T0_SG_SL_E_clIS7_S7_PlSB_EEDaSZ_S10_SG_SL_EUlSZ_E_NS1_11comp_targetILNS1_3genE9ELNS1_11target_archE1100ELNS1_3gpuE3ELNS1_3repE0EEENS1_47radix_sort_onesweep_sort_config_static_selectorELNS0_4arch9wavefront6targetE1EEEvSG_
	.p2align	8
	.type	_ZN7rocprim17ROCPRIM_400000_NS6detail17trampoline_kernelINS0_14default_configENS1_35radix_sort_onesweep_config_selectorIalEEZZNS1_29radix_sort_onesweep_iterationIS3_Lb0EPaS7_N6thrust23THRUST_200600_302600_NS10device_ptrIlEESB_jNS0_19identity_decomposerENS1_16block_id_wrapperIjLb1EEEEE10hipError_tT1_PNSt15iterator_traitsISG_E10value_typeET2_T3_PNSH_ISM_E10value_typeET4_T5_PSR_SS_PNS1_23onesweep_lookback_stateEbbT6_jjT7_P12ihipStream_tbENKUlT_T0_SG_SL_E_clIS7_S7_PlSB_EEDaSZ_S10_SG_SL_EUlSZ_E_NS1_11comp_targetILNS1_3genE9ELNS1_11target_archE1100ELNS1_3gpuE3ELNS1_3repE0EEENS1_47radix_sort_onesweep_sort_config_static_selectorELNS0_4arch9wavefront6targetE1EEEvSG_,@function
_ZN7rocprim17ROCPRIM_400000_NS6detail17trampoline_kernelINS0_14default_configENS1_35radix_sort_onesweep_config_selectorIalEEZZNS1_29radix_sort_onesweep_iterationIS3_Lb0EPaS7_N6thrust23THRUST_200600_302600_NS10device_ptrIlEESB_jNS0_19identity_decomposerENS1_16block_id_wrapperIjLb1EEEEE10hipError_tT1_PNSt15iterator_traitsISG_E10value_typeET2_T3_PNSH_ISM_E10value_typeET4_T5_PSR_SS_PNS1_23onesweep_lookback_stateEbbT6_jjT7_P12ihipStream_tbENKUlT_T0_SG_SL_E_clIS7_S7_PlSB_EEDaSZ_S10_SG_SL_EUlSZ_E_NS1_11comp_targetILNS1_3genE9ELNS1_11target_archE1100ELNS1_3gpuE3ELNS1_3repE0EEENS1_47radix_sort_onesweep_sort_config_static_selectorELNS0_4arch9wavefront6targetE1EEEvSG_: ; @_ZN7rocprim17ROCPRIM_400000_NS6detail17trampoline_kernelINS0_14default_configENS1_35radix_sort_onesweep_config_selectorIalEEZZNS1_29radix_sort_onesweep_iterationIS3_Lb0EPaS7_N6thrust23THRUST_200600_302600_NS10device_ptrIlEESB_jNS0_19identity_decomposerENS1_16block_id_wrapperIjLb1EEEEE10hipError_tT1_PNSt15iterator_traitsISG_E10value_typeET2_T3_PNSH_ISM_E10value_typeET4_T5_PSR_SS_PNS1_23onesweep_lookback_stateEbbT6_jjT7_P12ihipStream_tbENKUlT_T0_SG_SL_E_clIS7_S7_PlSB_EEDaSZ_S10_SG_SL_EUlSZ_E_NS1_11comp_targetILNS1_3genE9ELNS1_11target_archE1100ELNS1_3gpuE3ELNS1_3repE0EEENS1_47radix_sort_onesweep_sort_config_static_selectorELNS0_4arch9wavefront6targetE1EEEvSG_
; %bb.0:
	.section	.rodata,"a",@progbits
	.p2align	6, 0x0
	.amdhsa_kernel _ZN7rocprim17ROCPRIM_400000_NS6detail17trampoline_kernelINS0_14default_configENS1_35radix_sort_onesweep_config_selectorIalEEZZNS1_29radix_sort_onesweep_iterationIS3_Lb0EPaS7_N6thrust23THRUST_200600_302600_NS10device_ptrIlEESB_jNS0_19identity_decomposerENS1_16block_id_wrapperIjLb1EEEEE10hipError_tT1_PNSt15iterator_traitsISG_E10value_typeET2_T3_PNSH_ISM_E10value_typeET4_T5_PSR_SS_PNS1_23onesweep_lookback_stateEbbT6_jjT7_P12ihipStream_tbENKUlT_T0_SG_SL_E_clIS7_S7_PlSB_EEDaSZ_S10_SG_SL_EUlSZ_E_NS1_11comp_targetILNS1_3genE9ELNS1_11target_archE1100ELNS1_3gpuE3ELNS1_3repE0EEENS1_47radix_sort_onesweep_sort_config_static_selectorELNS0_4arch9wavefront6targetE1EEEvSG_
		.amdhsa_group_segment_fixed_size 0
		.amdhsa_private_segment_fixed_size 0
		.amdhsa_kernarg_size 88
		.amdhsa_user_sgpr_count 6
		.amdhsa_user_sgpr_private_segment_buffer 1
		.amdhsa_user_sgpr_dispatch_ptr 0
		.amdhsa_user_sgpr_queue_ptr 0
		.amdhsa_user_sgpr_kernarg_segment_ptr 1
		.amdhsa_user_sgpr_dispatch_id 0
		.amdhsa_user_sgpr_flat_scratch_init 0
		.amdhsa_user_sgpr_private_segment_size 0
		.amdhsa_uses_dynamic_stack 0
		.amdhsa_system_sgpr_private_segment_wavefront_offset 0
		.amdhsa_system_sgpr_workgroup_id_x 1
		.amdhsa_system_sgpr_workgroup_id_y 0
		.amdhsa_system_sgpr_workgroup_id_z 0
		.amdhsa_system_sgpr_workgroup_info 0
		.amdhsa_system_vgpr_workitem_id 0
		.amdhsa_next_free_vgpr 1
		.amdhsa_next_free_sgpr 0
		.amdhsa_reserve_vcc 0
		.amdhsa_reserve_flat_scratch 0
		.amdhsa_float_round_mode_32 0
		.amdhsa_float_round_mode_16_64 0
		.amdhsa_float_denorm_mode_32 3
		.amdhsa_float_denorm_mode_16_64 3
		.amdhsa_dx10_clamp 1
		.amdhsa_ieee_mode 1
		.amdhsa_fp16_overflow 0
		.amdhsa_exception_fp_ieee_invalid_op 0
		.amdhsa_exception_fp_denorm_src 0
		.amdhsa_exception_fp_ieee_div_zero 0
		.amdhsa_exception_fp_ieee_overflow 0
		.amdhsa_exception_fp_ieee_underflow 0
		.amdhsa_exception_fp_ieee_inexact 0
		.amdhsa_exception_int_div_zero 0
	.end_amdhsa_kernel
	.section	.text._ZN7rocprim17ROCPRIM_400000_NS6detail17trampoline_kernelINS0_14default_configENS1_35radix_sort_onesweep_config_selectorIalEEZZNS1_29radix_sort_onesweep_iterationIS3_Lb0EPaS7_N6thrust23THRUST_200600_302600_NS10device_ptrIlEESB_jNS0_19identity_decomposerENS1_16block_id_wrapperIjLb1EEEEE10hipError_tT1_PNSt15iterator_traitsISG_E10value_typeET2_T3_PNSH_ISM_E10value_typeET4_T5_PSR_SS_PNS1_23onesweep_lookback_stateEbbT6_jjT7_P12ihipStream_tbENKUlT_T0_SG_SL_E_clIS7_S7_PlSB_EEDaSZ_S10_SG_SL_EUlSZ_E_NS1_11comp_targetILNS1_3genE9ELNS1_11target_archE1100ELNS1_3gpuE3ELNS1_3repE0EEENS1_47radix_sort_onesweep_sort_config_static_selectorELNS0_4arch9wavefront6targetE1EEEvSG_,"axG",@progbits,_ZN7rocprim17ROCPRIM_400000_NS6detail17trampoline_kernelINS0_14default_configENS1_35radix_sort_onesweep_config_selectorIalEEZZNS1_29radix_sort_onesweep_iterationIS3_Lb0EPaS7_N6thrust23THRUST_200600_302600_NS10device_ptrIlEESB_jNS0_19identity_decomposerENS1_16block_id_wrapperIjLb1EEEEE10hipError_tT1_PNSt15iterator_traitsISG_E10value_typeET2_T3_PNSH_ISM_E10value_typeET4_T5_PSR_SS_PNS1_23onesweep_lookback_stateEbbT6_jjT7_P12ihipStream_tbENKUlT_T0_SG_SL_E_clIS7_S7_PlSB_EEDaSZ_S10_SG_SL_EUlSZ_E_NS1_11comp_targetILNS1_3genE9ELNS1_11target_archE1100ELNS1_3gpuE3ELNS1_3repE0EEENS1_47radix_sort_onesweep_sort_config_static_selectorELNS0_4arch9wavefront6targetE1EEEvSG_,comdat
.Lfunc_end625:
	.size	_ZN7rocprim17ROCPRIM_400000_NS6detail17trampoline_kernelINS0_14default_configENS1_35radix_sort_onesweep_config_selectorIalEEZZNS1_29radix_sort_onesweep_iterationIS3_Lb0EPaS7_N6thrust23THRUST_200600_302600_NS10device_ptrIlEESB_jNS0_19identity_decomposerENS1_16block_id_wrapperIjLb1EEEEE10hipError_tT1_PNSt15iterator_traitsISG_E10value_typeET2_T3_PNSH_ISM_E10value_typeET4_T5_PSR_SS_PNS1_23onesweep_lookback_stateEbbT6_jjT7_P12ihipStream_tbENKUlT_T0_SG_SL_E_clIS7_S7_PlSB_EEDaSZ_S10_SG_SL_EUlSZ_E_NS1_11comp_targetILNS1_3genE9ELNS1_11target_archE1100ELNS1_3gpuE3ELNS1_3repE0EEENS1_47radix_sort_onesweep_sort_config_static_selectorELNS0_4arch9wavefront6targetE1EEEvSG_, .Lfunc_end625-_ZN7rocprim17ROCPRIM_400000_NS6detail17trampoline_kernelINS0_14default_configENS1_35radix_sort_onesweep_config_selectorIalEEZZNS1_29radix_sort_onesweep_iterationIS3_Lb0EPaS7_N6thrust23THRUST_200600_302600_NS10device_ptrIlEESB_jNS0_19identity_decomposerENS1_16block_id_wrapperIjLb1EEEEE10hipError_tT1_PNSt15iterator_traitsISG_E10value_typeET2_T3_PNSH_ISM_E10value_typeET4_T5_PSR_SS_PNS1_23onesweep_lookback_stateEbbT6_jjT7_P12ihipStream_tbENKUlT_T0_SG_SL_E_clIS7_S7_PlSB_EEDaSZ_S10_SG_SL_EUlSZ_E_NS1_11comp_targetILNS1_3genE9ELNS1_11target_archE1100ELNS1_3gpuE3ELNS1_3repE0EEENS1_47radix_sort_onesweep_sort_config_static_selectorELNS0_4arch9wavefront6targetE1EEEvSG_
                                        ; -- End function
	.set _ZN7rocprim17ROCPRIM_400000_NS6detail17trampoline_kernelINS0_14default_configENS1_35radix_sort_onesweep_config_selectorIalEEZZNS1_29radix_sort_onesweep_iterationIS3_Lb0EPaS7_N6thrust23THRUST_200600_302600_NS10device_ptrIlEESB_jNS0_19identity_decomposerENS1_16block_id_wrapperIjLb1EEEEE10hipError_tT1_PNSt15iterator_traitsISG_E10value_typeET2_T3_PNSH_ISM_E10value_typeET4_T5_PSR_SS_PNS1_23onesweep_lookback_stateEbbT6_jjT7_P12ihipStream_tbENKUlT_T0_SG_SL_E_clIS7_S7_PlSB_EEDaSZ_S10_SG_SL_EUlSZ_E_NS1_11comp_targetILNS1_3genE9ELNS1_11target_archE1100ELNS1_3gpuE3ELNS1_3repE0EEENS1_47radix_sort_onesweep_sort_config_static_selectorELNS0_4arch9wavefront6targetE1EEEvSG_.num_vgpr, 0
	.set _ZN7rocprim17ROCPRIM_400000_NS6detail17trampoline_kernelINS0_14default_configENS1_35radix_sort_onesweep_config_selectorIalEEZZNS1_29radix_sort_onesweep_iterationIS3_Lb0EPaS7_N6thrust23THRUST_200600_302600_NS10device_ptrIlEESB_jNS0_19identity_decomposerENS1_16block_id_wrapperIjLb1EEEEE10hipError_tT1_PNSt15iterator_traitsISG_E10value_typeET2_T3_PNSH_ISM_E10value_typeET4_T5_PSR_SS_PNS1_23onesweep_lookback_stateEbbT6_jjT7_P12ihipStream_tbENKUlT_T0_SG_SL_E_clIS7_S7_PlSB_EEDaSZ_S10_SG_SL_EUlSZ_E_NS1_11comp_targetILNS1_3genE9ELNS1_11target_archE1100ELNS1_3gpuE3ELNS1_3repE0EEENS1_47radix_sort_onesweep_sort_config_static_selectorELNS0_4arch9wavefront6targetE1EEEvSG_.num_agpr, 0
	.set _ZN7rocprim17ROCPRIM_400000_NS6detail17trampoline_kernelINS0_14default_configENS1_35radix_sort_onesweep_config_selectorIalEEZZNS1_29radix_sort_onesweep_iterationIS3_Lb0EPaS7_N6thrust23THRUST_200600_302600_NS10device_ptrIlEESB_jNS0_19identity_decomposerENS1_16block_id_wrapperIjLb1EEEEE10hipError_tT1_PNSt15iterator_traitsISG_E10value_typeET2_T3_PNSH_ISM_E10value_typeET4_T5_PSR_SS_PNS1_23onesweep_lookback_stateEbbT6_jjT7_P12ihipStream_tbENKUlT_T0_SG_SL_E_clIS7_S7_PlSB_EEDaSZ_S10_SG_SL_EUlSZ_E_NS1_11comp_targetILNS1_3genE9ELNS1_11target_archE1100ELNS1_3gpuE3ELNS1_3repE0EEENS1_47radix_sort_onesweep_sort_config_static_selectorELNS0_4arch9wavefront6targetE1EEEvSG_.numbered_sgpr, 0
	.set _ZN7rocprim17ROCPRIM_400000_NS6detail17trampoline_kernelINS0_14default_configENS1_35radix_sort_onesweep_config_selectorIalEEZZNS1_29radix_sort_onesweep_iterationIS3_Lb0EPaS7_N6thrust23THRUST_200600_302600_NS10device_ptrIlEESB_jNS0_19identity_decomposerENS1_16block_id_wrapperIjLb1EEEEE10hipError_tT1_PNSt15iterator_traitsISG_E10value_typeET2_T3_PNSH_ISM_E10value_typeET4_T5_PSR_SS_PNS1_23onesweep_lookback_stateEbbT6_jjT7_P12ihipStream_tbENKUlT_T0_SG_SL_E_clIS7_S7_PlSB_EEDaSZ_S10_SG_SL_EUlSZ_E_NS1_11comp_targetILNS1_3genE9ELNS1_11target_archE1100ELNS1_3gpuE3ELNS1_3repE0EEENS1_47radix_sort_onesweep_sort_config_static_selectorELNS0_4arch9wavefront6targetE1EEEvSG_.num_named_barrier, 0
	.set _ZN7rocprim17ROCPRIM_400000_NS6detail17trampoline_kernelINS0_14default_configENS1_35radix_sort_onesweep_config_selectorIalEEZZNS1_29radix_sort_onesweep_iterationIS3_Lb0EPaS7_N6thrust23THRUST_200600_302600_NS10device_ptrIlEESB_jNS0_19identity_decomposerENS1_16block_id_wrapperIjLb1EEEEE10hipError_tT1_PNSt15iterator_traitsISG_E10value_typeET2_T3_PNSH_ISM_E10value_typeET4_T5_PSR_SS_PNS1_23onesweep_lookback_stateEbbT6_jjT7_P12ihipStream_tbENKUlT_T0_SG_SL_E_clIS7_S7_PlSB_EEDaSZ_S10_SG_SL_EUlSZ_E_NS1_11comp_targetILNS1_3genE9ELNS1_11target_archE1100ELNS1_3gpuE3ELNS1_3repE0EEENS1_47radix_sort_onesweep_sort_config_static_selectorELNS0_4arch9wavefront6targetE1EEEvSG_.private_seg_size, 0
	.set _ZN7rocprim17ROCPRIM_400000_NS6detail17trampoline_kernelINS0_14default_configENS1_35radix_sort_onesweep_config_selectorIalEEZZNS1_29radix_sort_onesweep_iterationIS3_Lb0EPaS7_N6thrust23THRUST_200600_302600_NS10device_ptrIlEESB_jNS0_19identity_decomposerENS1_16block_id_wrapperIjLb1EEEEE10hipError_tT1_PNSt15iterator_traitsISG_E10value_typeET2_T3_PNSH_ISM_E10value_typeET4_T5_PSR_SS_PNS1_23onesweep_lookback_stateEbbT6_jjT7_P12ihipStream_tbENKUlT_T0_SG_SL_E_clIS7_S7_PlSB_EEDaSZ_S10_SG_SL_EUlSZ_E_NS1_11comp_targetILNS1_3genE9ELNS1_11target_archE1100ELNS1_3gpuE3ELNS1_3repE0EEENS1_47radix_sort_onesweep_sort_config_static_selectorELNS0_4arch9wavefront6targetE1EEEvSG_.uses_vcc, 0
	.set _ZN7rocprim17ROCPRIM_400000_NS6detail17trampoline_kernelINS0_14default_configENS1_35radix_sort_onesweep_config_selectorIalEEZZNS1_29radix_sort_onesweep_iterationIS3_Lb0EPaS7_N6thrust23THRUST_200600_302600_NS10device_ptrIlEESB_jNS0_19identity_decomposerENS1_16block_id_wrapperIjLb1EEEEE10hipError_tT1_PNSt15iterator_traitsISG_E10value_typeET2_T3_PNSH_ISM_E10value_typeET4_T5_PSR_SS_PNS1_23onesweep_lookback_stateEbbT6_jjT7_P12ihipStream_tbENKUlT_T0_SG_SL_E_clIS7_S7_PlSB_EEDaSZ_S10_SG_SL_EUlSZ_E_NS1_11comp_targetILNS1_3genE9ELNS1_11target_archE1100ELNS1_3gpuE3ELNS1_3repE0EEENS1_47radix_sort_onesweep_sort_config_static_selectorELNS0_4arch9wavefront6targetE1EEEvSG_.uses_flat_scratch, 0
	.set _ZN7rocprim17ROCPRIM_400000_NS6detail17trampoline_kernelINS0_14default_configENS1_35radix_sort_onesweep_config_selectorIalEEZZNS1_29radix_sort_onesweep_iterationIS3_Lb0EPaS7_N6thrust23THRUST_200600_302600_NS10device_ptrIlEESB_jNS0_19identity_decomposerENS1_16block_id_wrapperIjLb1EEEEE10hipError_tT1_PNSt15iterator_traitsISG_E10value_typeET2_T3_PNSH_ISM_E10value_typeET4_T5_PSR_SS_PNS1_23onesweep_lookback_stateEbbT6_jjT7_P12ihipStream_tbENKUlT_T0_SG_SL_E_clIS7_S7_PlSB_EEDaSZ_S10_SG_SL_EUlSZ_E_NS1_11comp_targetILNS1_3genE9ELNS1_11target_archE1100ELNS1_3gpuE3ELNS1_3repE0EEENS1_47radix_sort_onesweep_sort_config_static_selectorELNS0_4arch9wavefront6targetE1EEEvSG_.has_dyn_sized_stack, 0
	.set _ZN7rocprim17ROCPRIM_400000_NS6detail17trampoline_kernelINS0_14default_configENS1_35radix_sort_onesweep_config_selectorIalEEZZNS1_29radix_sort_onesweep_iterationIS3_Lb0EPaS7_N6thrust23THRUST_200600_302600_NS10device_ptrIlEESB_jNS0_19identity_decomposerENS1_16block_id_wrapperIjLb1EEEEE10hipError_tT1_PNSt15iterator_traitsISG_E10value_typeET2_T3_PNSH_ISM_E10value_typeET4_T5_PSR_SS_PNS1_23onesweep_lookback_stateEbbT6_jjT7_P12ihipStream_tbENKUlT_T0_SG_SL_E_clIS7_S7_PlSB_EEDaSZ_S10_SG_SL_EUlSZ_E_NS1_11comp_targetILNS1_3genE9ELNS1_11target_archE1100ELNS1_3gpuE3ELNS1_3repE0EEENS1_47radix_sort_onesweep_sort_config_static_selectorELNS0_4arch9wavefront6targetE1EEEvSG_.has_recursion, 0
	.set _ZN7rocprim17ROCPRIM_400000_NS6detail17trampoline_kernelINS0_14default_configENS1_35radix_sort_onesweep_config_selectorIalEEZZNS1_29radix_sort_onesweep_iterationIS3_Lb0EPaS7_N6thrust23THRUST_200600_302600_NS10device_ptrIlEESB_jNS0_19identity_decomposerENS1_16block_id_wrapperIjLb1EEEEE10hipError_tT1_PNSt15iterator_traitsISG_E10value_typeET2_T3_PNSH_ISM_E10value_typeET4_T5_PSR_SS_PNS1_23onesweep_lookback_stateEbbT6_jjT7_P12ihipStream_tbENKUlT_T0_SG_SL_E_clIS7_S7_PlSB_EEDaSZ_S10_SG_SL_EUlSZ_E_NS1_11comp_targetILNS1_3genE9ELNS1_11target_archE1100ELNS1_3gpuE3ELNS1_3repE0EEENS1_47radix_sort_onesweep_sort_config_static_selectorELNS0_4arch9wavefront6targetE1EEEvSG_.has_indirect_call, 0
	.section	.AMDGPU.csdata,"",@progbits
; Kernel info:
; codeLenInByte = 0
; TotalNumSgprs: 4
; NumVgprs: 0
; ScratchSize: 0
; MemoryBound: 0
; FloatMode: 240
; IeeeMode: 1
; LDSByteSize: 0 bytes/workgroup (compile time only)
; SGPRBlocks: 0
; VGPRBlocks: 0
; NumSGPRsForWavesPerEU: 4
; NumVGPRsForWavesPerEU: 1
; Occupancy: 10
; WaveLimiterHint : 0
; COMPUTE_PGM_RSRC2:SCRATCH_EN: 0
; COMPUTE_PGM_RSRC2:USER_SGPR: 6
; COMPUTE_PGM_RSRC2:TRAP_HANDLER: 0
; COMPUTE_PGM_RSRC2:TGID_X_EN: 1
; COMPUTE_PGM_RSRC2:TGID_Y_EN: 0
; COMPUTE_PGM_RSRC2:TGID_Z_EN: 0
; COMPUTE_PGM_RSRC2:TIDIG_COMP_CNT: 0
	.section	.text._ZN7rocprim17ROCPRIM_400000_NS6detail17trampoline_kernelINS0_14default_configENS1_35radix_sort_onesweep_config_selectorIalEEZZNS1_29radix_sort_onesweep_iterationIS3_Lb0EPaS7_N6thrust23THRUST_200600_302600_NS10device_ptrIlEESB_jNS0_19identity_decomposerENS1_16block_id_wrapperIjLb1EEEEE10hipError_tT1_PNSt15iterator_traitsISG_E10value_typeET2_T3_PNSH_ISM_E10value_typeET4_T5_PSR_SS_PNS1_23onesweep_lookback_stateEbbT6_jjT7_P12ihipStream_tbENKUlT_T0_SG_SL_E_clIS7_S7_PlSB_EEDaSZ_S10_SG_SL_EUlSZ_E_NS1_11comp_targetILNS1_3genE8ELNS1_11target_archE1030ELNS1_3gpuE2ELNS1_3repE0EEENS1_47radix_sort_onesweep_sort_config_static_selectorELNS0_4arch9wavefront6targetE1EEEvSG_,"axG",@progbits,_ZN7rocprim17ROCPRIM_400000_NS6detail17trampoline_kernelINS0_14default_configENS1_35radix_sort_onesweep_config_selectorIalEEZZNS1_29radix_sort_onesweep_iterationIS3_Lb0EPaS7_N6thrust23THRUST_200600_302600_NS10device_ptrIlEESB_jNS0_19identity_decomposerENS1_16block_id_wrapperIjLb1EEEEE10hipError_tT1_PNSt15iterator_traitsISG_E10value_typeET2_T3_PNSH_ISM_E10value_typeET4_T5_PSR_SS_PNS1_23onesweep_lookback_stateEbbT6_jjT7_P12ihipStream_tbENKUlT_T0_SG_SL_E_clIS7_S7_PlSB_EEDaSZ_S10_SG_SL_EUlSZ_E_NS1_11comp_targetILNS1_3genE8ELNS1_11target_archE1030ELNS1_3gpuE2ELNS1_3repE0EEENS1_47radix_sort_onesweep_sort_config_static_selectorELNS0_4arch9wavefront6targetE1EEEvSG_,comdat
	.protected	_ZN7rocprim17ROCPRIM_400000_NS6detail17trampoline_kernelINS0_14default_configENS1_35radix_sort_onesweep_config_selectorIalEEZZNS1_29radix_sort_onesweep_iterationIS3_Lb0EPaS7_N6thrust23THRUST_200600_302600_NS10device_ptrIlEESB_jNS0_19identity_decomposerENS1_16block_id_wrapperIjLb1EEEEE10hipError_tT1_PNSt15iterator_traitsISG_E10value_typeET2_T3_PNSH_ISM_E10value_typeET4_T5_PSR_SS_PNS1_23onesweep_lookback_stateEbbT6_jjT7_P12ihipStream_tbENKUlT_T0_SG_SL_E_clIS7_S7_PlSB_EEDaSZ_S10_SG_SL_EUlSZ_E_NS1_11comp_targetILNS1_3genE8ELNS1_11target_archE1030ELNS1_3gpuE2ELNS1_3repE0EEENS1_47radix_sort_onesweep_sort_config_static_selectorELNS0_4arch9wavefront6targetE1EEEvSG_ ; -- Begin function _ZN7rocprim17ROCPRIM_400000_NS6detail17trampoline_kernelINS0_14default_configENS1_35radix_sort_onesweep_config_selectorIalEEZZNS1_29radix_sort_onesweep_iterationIS3_Lb0EPaS7_N6thrust23THRUST_200600_302600_NS10device_ptrIlEESB_jNS0_19identity_decomposerENS1_16block_id_wrapperIjLb1EEEEE10hipError_tT1_PNSt15iterator_traitsISG_E10value_typeET2_T3_PNSH_ISM_E10value_typeET4_T5_PSR_SS_PNS1_23onesweep_lookback_stateEbbT6_jjT7_P12ihipStream_tbENKUlT_T0_SG_SL_E_clIS7_S7_PlSB_EEDaSZ_S10_SG_SL_EUlSZ_E_NS1_11comp_targetILNS1_3genE8ELNS1_11target_archE1030ELNS1_3gpuE2ELNS1_3repE0EEENS1_47radix_sort_onesweep_sort_config_static_selectorELNS0_4arch9wavefront6targetE1EEEvSG_
	.globl	_ZN7rocprim17ROCPRIM_400000_NS6detail17trampoline_kernelINS0_14default_configENS1_35radix_sort_onesweep_config_selectorIalEEZZNS1_29radix_sort_onesweep_iterationIS3_Lb0EPaS7_N6thrust23THRUST_200600_302600_NS10device_ptrIlEESB_jNS0_19identity_decomposerENS1_16block_id_wrapperIjLb1EEEEE10hipError_tT1_PNSt15iterator_traitsISG_E10value_typeET2_T3_PNSH_ISM_E10value_typeET4_T5_PSR_SS_PNS1_23onesweep_lookback_stateEbbT6_jjT7_P12ihipStream_tbENKUlT_T0_SG_SL_E_clIS7_S7_PlSB_EEDaSZ_S10_SG_SL_EUlSZ_E_NS1_11comp_targetILNS1_3genE8ELNS1_11target_archE1030ELNS1_3gpuE2ELNS1_3repE0EEENS1_47radix_sort_onesweep_sort_config_static_selectorELNS0_4arch9wavefront6targetE1EEEvSG_
	.p2align	8
	.type	_ZN7rocprim17ROCPRIM_400000_NS6detail17trampoline_kernelINS0_14default_configENS1_35radix_sort_onesweep_config_selectorIalEEZZNS1_29radix_sort_onesweep_iterationIS3_Lb0EPaS7_N6thrust23THRUST_200600_302600_NS10device_ptrIlEESB_jNS0_19identity_decomposerENS1_16block_id_wrapperIjLb1EEEEE10hipError_tT1_PNSt15iterator_traitsISG_E10value_typeET2_T3_PNSH_ISM_E10value_typeET4_T5_PSR_SS_PNS1_23onesweep_lookback_stateEbbT6_jjT7_P12ihipStream_tbENKUlT_T0_SG_SL_E_clIS7_S7_PlSB_EEDaSZ_S10_SG_SL_EUlSZ_E_NS1_11comp_targetILNS1_3genE8ELNS1_11target_archE1030ELNS1_3gpuE2ELNS1_3repE0EEENS1_47radix_sort_onesweep_sort_config_static_selectorELNS0_4arch9wavefront6targetE1EEEvSG_,@function
_ZN7rocprim17ROCPRIM_400000_NS6detail17trampoline_kernelINS0_14default_configENS1_35radix_sort_onesweep_config_selectorIalEEZZNS1_29radix_sort_onesweep_iterationIS3_Lb0EPaS7_N6thrust23THRUST_200600_302600_NS10device_ptrIlEESB_jNS0_19identity_decomposerENS1_16block_id_wrapperIjLb1EEEEE10hipError_tT1_PNSt15iterator_traitsISG_E10value_typeET2_T3_PNSH_ISM_E10value_typeET4_T5_PSR_SS_PNS1_23onesweep_lookback_stateEbbT6_jjT7_P12ihipStream_tbENKUlT_T0_SG_SL_E_clIS7_S7_PlSB_EEDaSZ_S10_SG_SL_EUlSZ_E_NS1_11comp_targetILNS1_3genE8ELNS1_11target_archE1030ELNS1_3gpuE2ELNS1_3repE0EEENS1_47radix_sort_onesweep_sort_config_static_selectorELNS0_4arch9wavefront6targetE1EEEvSG_: ; @_ZN7rocprim17ROCPRIM_400000_NS6detail17trampoline_kernelINS0_14default_configENS1_35radix_sort_onesweep_config_selectorIalEEZZNS1_29radix_sort_onesweep_iterationIS3_Lb0EPaS7_N6thrust23THRUST_200600_302600_NS10device_ptrIlEESB_jNS0_19identity_decomposerENS1_16block_id_wrapperIjLb1EEEEE10hipError_tT1_PNSt15iterator_traitsISG_E10value_typeET2_T3_PNSH_ISM_E10value_typeET4_T5_PSR_SS_PNS1_23onesweep_lookback_stateEbbT6_jjT7_P12ihipStream_tbENKUlT_T0_SG_SL_E_clIS7_S7_PlSB_EEDaSZ_S10_SG_SL_EUlSZ_E_NS1_11comp_targetILNS1_3genE8ELNS1_11target_archE1030ELNS1_3gpuE2ELNS1_3repE0EEENS1_47radix_sort_onesweep_sort_config_static_selectorELNS0_4arch9wavefront6targetE1EEEvSG_
; %bb.0:
	.section	.rodata,"a",@progbits
	.p2align	6, 0x0
	.amdhsa_kernel _ZN7rocprim17ROCPRIM_400000_NS6detail17trampoline_kernelINS0_14default_configENS1_35radix_sort_onesweep_config_selectorIalEEZZNS1_29radix_sort_onesweep_iterationIS3_Lb0EPaS7_N6thrust23THRUST_200600_302600_NS10device_ptrIlEESB_jNS0_19identity_decomposerENS1_16block_id_wrapperIjLb1EEEEE10hipError_tT1_PNSt15iterator_traitsISG_E10value_typeET2_T3_PNSH_ISM_E10value_typeET4_T5_PSR_SS_PNS1_23onesweep_lookback_stateEbbT6_jjT7_P12ihipStream_tbENKUlT_T0_SG_SL_E_clIS7_S7_PlSB_EEDaSZ_S10_SG_SL_EUlSZ_E_NS1_11comp_targetILNS1_3genE8ELNS1_11target_archE1030ELNS1_3gpuE2ELNS1_3repE0EEENS1_47radix_sort_onesweep_sort_config_static_selectorELNS0_4arch9wavefront6targetE1EEEvSG_
		.amdhsa_group_segment_fixed_size 0
		.amdhsa_private_segment_fixed_size 0
		.amdhsa_kernarg_size 88
		.amdhsa_user_sgpr_count 6
		.amdhsa_user_sgpr_private_segment_buffer 1
		.amdhsa_user_sgpr_dispatch_ptr 0
		.amdhsa_user_sgpr_queue_ptr 0
		.amdhsa_user_sgpr_kernarg_segment_ptr 1
		.amdhsa_user_sgpr_dispatch_id 0
		.amdhsa_user_sgpr_flat_scratch_init 0
		.amdhsa_user_sgpr_private_segment_size 0
		.amdhsa_uses_dynamic_stack 0
		.amdhsa_system_sgpr_private_segment_wavefront_offset 0
		.amdhsa_system_sgpr_workgroup_id_x 1
		.amdhsa_system_sgpr_workgroup_id_y 0
		.amdhsa_system_sgpr_workgroup_id_z 0
		.amdhsa_system_sgpr_workgroup_info 0
		.amdhsa_system_vgpr_workitem_id 0
		.amdhsa_next_free_vgpr 1
		.amdhsa_next_free_sgpr 0
		.amdhsa_reserve_vcc 0
		.amdhsa_reserve_flat_scratch 0
		.amdhsa_float_round_mode_32 0
		.amdhsa_float_round_mode_16_64 0
		.amdhsa_float_denorm_mode_32 3
		.amdhsa_float_denorm_mode_16_64 3
		.amdhsa_dx10_clamp 1
		.amdhsa_ieee_mode 1
		.amdhsa_fp16_overflow 0
		.amdhsa_exception_fp_ieee_invalid_op 0
		.amdhsa_exception_fp_denorm_src 0
		.amdhsa_exception_fp_ieee_div_zero 0
		.amdhsa_exception_fp_ieee_overflow 0
		.amdhsa_exception_fp_ieee_underflow 0
		.amdhsa_exception_fp_ieee_inexact 0
		.amdhsa_exception_int_div_zero 0
	.end_amdhsa_kernel
	.section	.text._ZN7rocprim17ROCPRIM_400000_NS6detail17trampoline_kernelINS0_14default_configENS1_35radix_sort_onesweep_config_selectorIalEEZZNS1_29radix_sort_onesweep_iterationIS3_Lb0EPaS7_N6thrust23THRUST_200600_302600_NS10device_ptrIlEESB_jNS0_19identity_decomposerENS1_16block_id_wrapperIjLb1EEEEE10hipError_tT1_PNSt15iterator_traitsISG_E10value_typeET2_T3_PNSH_ISM_E10value_typeET4_T5_PSR_SS_PNS1_23onesweep_lookback_stateEbbT6_jjT7_P12ihipStream_tbENKUlT_T0_SG_SL_E_clIS7_S7_PlSB_EEDaSZ_S10_SG_SL_EUlSZ_E_NS1_11comp_targetILNS1_3genE8ELNS1_11target_archE1030ELNS1_3gpuE2ELNS1_3repE0EEENS1_47radix_sort_onesweep_sort_config_static_selectorELNS0_4arch9wavefront6targetE1EEEvSG_,"axG",@progbits,_ZN7rocprim17ROCPRIM_400000_NS6detail17trampoline_kernelINS0_14default_configENS1_35radix_sort_onesweep_config_selectorIalEEZZNS1_29radix_sort_onesweep_iterationIS3_Lb0EPaS7_N6thrust23THRUST_200600_302600_NS10device_ptrIlEESB_jNS0_19identity_decomposerENS1_16block_id_wrapperIjLb1EEEEE10hipError_tT1_PNSt15iterator_traitsISG_E10value_typeET2_T3_PNSH_ISM_E10value_typeET4_T5_PSR_SS_PNS1_23onesweep_lookback_stateEbbT6_jjT7_P12ihipStream_tbENKUlT_T0_SG_SL_E_clIS7_S7_PlSB_EEDaSZ_S10_SG_SL_EUlSZ_E_NS1_11comp_targetILNS1_3genE8ELNS1_11target_archE1030ELNS1_3gpuE2ELNS1_3repE0EEENS1_47radix_sort_onesweep_sort_config_static_selectorELNS0_4arch9wavefront6targetE1EEEvSG_,comdat
.Lfunc_end626:
	.size	_ZN7rocprim17ROCPRIM_400000_NS6detail17trampoline_kernelINS0_14default_configENS1_35radix_sort_onesweep_config_selectorIalEEZZNS1_29radix_sort_onesweep_iterationIS3_Lb0EPaS7_N6thrust23THRUST_200600_302600_NS10device_ptrIlEESB_jNS0_19identity_decomposerENS1_16block_id_wrapperIjLb1EEEEE10hipError_tT1_PNSt15iterator_traitsISG_E10value_typeET2_T3_PNSH_ISM_E10value_typeET4_T5_PSR_SS_PNS1_23onesweep_lookback_stateEbbT6_jjT7_P12ihipStream_tbENKUlT_T0_SG_SL_E_clIS7_S7_PlSB_EEDaSZ_S10_SG_SL_EUlSZ_E_NS1_11comp_targetILNS1_3genE8ELNS1_11target_archE1030ELNS1_3gpuE2ELNS1_3repE0EEENS1_47radix_sort_onesweep_sort_config_static_selectorELNS0_4arch9wavefront6targetE1EEEvSG_, .Lfunc_end626-_ZN7rocprim17ROCPRIM_400000_NS6detail17trampoline_kernelINS0_14default_configENS1_35radix_sort_onesweep_config_selectorIalEEZZNS1_29radix_sort_onesweep_iterationIS3_Lb0EPaS7_N6thrust23THRUST_200600_302600_NS10device_ptrIlEESB_jNS0_19identity_decomposerENS1_16block_id_wrapperIjLb1EEEEE10hipError_tT1_PNSt15iterator_traitsISG_E10value_typeET2_T3_PNSH_ISM_E10value_typeET4_T5_PSR_SS_PNS1_23onesweep_lookback_stateEbbT6_jjT7_P12ihipStream_tbENKUlT_T0_SG_SL_E_clIS7_S7_PlSB_EEDaSZ_S10_SG_SL_EUlSZ_E_NS1_11comp_targetILNS1_3genE8ELNS1_11target_archE1030ELNS1_3gpuE2ELNS1_3repE0EEENS1_47radix_sort_onesweep_sort_config_static_selectorELNS0_4arch9wavefront6targetE1EEEvSG_
                                        ; -- End function
	.set _ZN7rocprim17ROCPRIM_400000_NS6detail17trampoline_kernelINS0_14default_configENS1_35radix_sort_onesweep_config_selectorIalEEZZNS1_29radix_sort_onesweep_iterationIS3_Lb0EPaS7_N6thrust23THRUST_200600_302600_NS10device_ptrIlEESB_jNS0_19identity_decomposerENS1_16block_id_wrapperIjLb1EEEEE10hipError_tT1_PNSt15iterator_traitsISG_E10value_typeET2_T3_PNSH_ISM_E10value_typeET4_T5_PSR_SS_PNS1_23onesweep_lookback_stateEbbT6_jjT7_P12ihipStream_tbENKUlT_T0_SG_SL_E_clIS7_S7_PlSB_EEDaSZ_S10_SG_SL_EUlSZ_E_NS1_11comp_targetILNS1_3genE8ELNS1_11target_archE1030ELNS1_3gpuE2ELNS1_3repE0EEENS1_47radix_sort_onesweep_sort_config_static_selectorELNS0_4arch9wavefront6targetE1EEEvSG_.num_vgpr, 0
	.set _ZN7rocprim17ROCPRIM_400000_NS6detail17trampoline_kernelINS0_14default_configENS1_35radix_sort_onesweep_config_selectorIalEEZZNS1_29radix_sort_onesweep_iterationIS3_Lb0EPaS7_N6thrust23THRUST_200600_302600_NS10device_ptrIlEESB_jNS0_19identity_decomposerENS1_16block_id_wrapperIjLb1EEEEE10hipError_tT1_PNSt15iterator_traitsISG_E10value_typeET2_T3_PNSH_ISM_E10value_typeET4_T5_PSR_SS_PNS1_23onesweep_lookback_stateEbbT6_jjT7_P12ihipStream_tbENKUlT_T0_SG_SL_E_clIS7_S7_PlSB_EEDaSZ_S10_SG_SL_EUlSZ_E_NS1_11comp_targetILNS1_3genE8ELNS1_11target_archE1030ELNS1_3gpuE2ELNS1_3repE0EEENS1_47radix_sort_onesweep_sort_config_static_selectorELNS0_4arch9wavefront6targetE1EEEvSG_.num_agpr, 0
	.set _ZN7rocprim17ROCPRIM_400000_NS6detail17trampoline_kernelINS0_14default_configENS1_35radix_sort_onesweep_config_selectorIalEEZZNS1_29radix_sort_onesweep_iterationIS3_Lb0EPaS7_N6thrust23THRUST_200600_302600_NS10device_ptrIlEESB_jNS0_19identity_decomposerENS1_16block_id_wrapperIjLb1EEEEE10hipError_tT1_PNSt15iterator_traitsISG_E10value_typeET2_T3_PNSH_ISM_E10value_typeET4_T5_PSR_SS_PNS1_23onesweep_lookback_stateEbbT6_jjT7_P12ihipStream_tbENKUlT_T0_SG_SL_E_clIS7_S7_PlSB_EEDaSZ_S10_SG_SL_EUlSZ_E_NS1_11comp_targetILNS1_3genE8ELNS1_11target_archE1030ELNS1_3gpuE2ELNS1_3repE0EEENS1_47radix_sort_onesweep_sort_config_static_selectorELNS0_4arch9wavefront6targetE1EEEvSG_.numbered_sgpr, 0
	.set _ZN7rocprim17ROCPRIM_400000_NS6detail17trampoline_kernelINS0_14default_configENS1_35radix_sort_onesweep_config_selectorIalEEZZNS1_29radix_sort_onesweep_iterationIS3_Lb0EPaS7_N6thrust23THRUST_200600_302600_NS10device_ptrIlEESB_jNS0_19identity_decomposerENS1_16block_id_wrapperIjLb1EEEEE10hipError_tT1_PNSt15iterator_traitsISG_E10value_typeET2_T3_PNSH_ISM_E10value_typeET4_T5_PSR_SS_PNS1_23onesweep_lookback_stateEbbT6_jjT7_P12ihipStream_tbENKUlT_T0_SG_SL_E_clIS7_S7_PlSB_EEDaSZ_S10_SG_SL_EUlSZ_E_NS1_11comp_targetILNS1_3genE8ELNS1_11target_archE1030ELNS1_3gpuE2ELNS1_3repE0EEENS1_47radix_sort_onesweep_sort_config_static_selectorELNS0_4arch9wavefront6targetE1EEEvSG_.num_named_barrier, 0
	.set _ZN7rocprim17ROCPRIM_400000_NS6detail17trampoline_kernelINS0_14default_configENS1_35radix_sort_onesweep_config_selectorIalEEZZNS1_29radix_sort_onesweep_iterationIS3_Lb0EPaS7_N6thrust23THRUST_200600_302600_NS10device_ptrIlEESB_jNS0_19identity_decomposerENS1_16block_id_wrapperIjLb1EEEEE10hipError_tT1_PNSt15iterator_traitsISG_E10value_typeET2_T3_PNSH_ISM_E10value_typeET4_T5_PSR_SS_PNS1_23onesweep_lookback_stateEbbT6_jjT7_P12ihipStream_tbENKUlT_T0_SG_SL_E_clIS7_S7_PlSB_EEDaSZ_S10_SG_SL_EUlSZ_E_NS1_11comp_targetILNS1_3genE8ELNS1_11target_archE1030ELNS1_3gpuE2ELNS1_3repE0EEENS1_47radix_sort_onesweep_sort_config_static_selectorELNS0_4arch9wavefront6targetE1EEEvSG_.private_seg_size, 0
	.set _ZN7rocprim17ROCPRIM_400000_NS6detail17trampoline_kernelINS0_14default_configENS1_35radix_sort_onesweep_config_selectorIalEEZZNS1_29radix_sort_onesweep_iterationIS3_Lb0EPaS7_N6thrust23THRUST_200600_302600_NS10device_ptrIlEESB_jNS0_19identity_decomposerENS1_16block_id_wrapperIjLb1EEEEE10hipError_tT1_PNSt15iterator_traitsISG_E10value_typeET2_T3_PNSH_ISM_E10value_typeET4_T5_PSR_SS_PNS1_23onesweep_lookback_stateEbbT6_jjT7_P12ihipStream_tbENKUlT_T0_SG_SL_E_clIS7_S7_PlSB_EEDaSZ_S10_SG_SL_EUlSZ_E_NS1_11comp_targetILNS1_3genE8ELNS1_11target_archE1030ELNS1_3gpuE2ELNS1_3repE0EEENS1_47radix_sort_onesweep_sort_config_static_selectorELNS0_4arch9wavefront6targetE1EEEvSG_.uses_vcc, 0
	.set _ZN7rocprim17ROCPRIM_400000_NS6detail17trampoline_kernelINS0_14default_configENS1_35radix_sort_onesweep_config_selectorIalEEZZNS1_29radix_sort_onesweep_iterationIS3_Lb0EPaS7_N6thrust23THRUST_200600_302600_NS10device_ptrIlEESB_jNS0_19identity_decomposerENS1_16block_id_wrapperIjLb1EEEEE10hipError_tT1_PNSt15iterator_traitsISG_E10value_typeET2_T3_PNSH_ISM_E10value_typeET4_T5_PSR_SS_PNS1_23onesweep_lookback_stateEbbT6_jjT7_P12ihipStream_tbENKUlT_T0_SG_SL_E_clIS7_S7_PlSB_EEDaSZ_S10_SG_SL_EUlSZ_E_NS1_11comp_targetILNS1_3genE8ELNS1_11target_archE1030ELNS1_3gpuE2ELNS1_3repE0EEENS1_47radix_sort_onesweep_sort_config_static_selectorELNS0_4arch9wavefront6targetE1EEEvSG_.uses_flat_scratch, 0
	.set _ZN7rocprim17ROCPRIM_400000_NS6detail17trampoline_kernelINS0_14default_configENS1_35radix_sort_onesweep_config_selectorIalEEZZNS1_29radix_sort_onesweep_iterationIS3_Lb0EPaS7_N6thrust23THRUST_200600_302600_NS10device_ptrIlEESB_jNS0_19identity_decomposerENS1_16block_id_wrapperIjLb1EEEEE10hipError_tT1_PNSt15iterator_traitsISG_E10value_typeET2_T3_PNSH_ISM_E10value_typeET4_T5_PSR_SS_PNS1_23onesweep_lookback_stateEbbT6_jjT7_P12ihipStream_tbENKUlT_T0_SG_SL_E_clIS7_S7_PlSB_EEDaSZ_S10_SG_SL_EUlSZ_E_NS1_11comp_targetILNS1_3genE8ELNS1_11target_archE1030ELNS1_3gpuE2ELNS1_3repE0EEENS1_47radix_sort_onesweep_sort_config_static_selectorELNS0_4arch9wavefront6targetE1EEEvSG_.has_dyn_sized_stack, 0
	.set _ZN7rocprim17ROCPRIM_400000_NS6detail17trampoline_kernelINS0_14default_configENS1_35radix_sort_onesweep_config_selectorIalEEZZNS1_29radix_sort_onesweep_iterationIS3_Lb0EPaS7_N6thrust23THRUST_200600_302600_NS10device_ptrIlEESB_jNS0_19identity_decomposerENS1_16block_id_wrapperIjLb1EEEEE10hipError_tT1_PNSt15iterator_traitsISG_E10value_typeET2_T3_PNSH_ISM_E10value_typeET4_T5_PSR_SS_PNS1_23onesweep_lookback_stateEbbT6_jjT7_P12ihipStream_tbENKUlT_T0_SG_SL_E_clIS7_S7_PlSB_EEDaSZ_S10_SG_SL_EUlSZ_E_NS1_11comp_targetILNS1_3genE8ELNS1_11target_archE1030ELNS1_3gpuE2ELNS1_3repE0EEENS1_47radix_sort_onesweep_sort_config_static_selectorELNS0_4arch9wavefront6targetE1EEEvSG_.has_recursion, 0
	.set _ZN7rocprim17ROCPRIM_400000_NS6detail17trampoline_kernelINS0_14default_configENS1_35radix_sort_onesweep_config_selectorIalEEZZNS1_29radix_sort_onesweep_iterationIS3_Lb0EPaS7_N6thrust23THRUST_200600_302600_NS10device_ptrIlEESB_jNS0_19identity_decomposerENS1_16block_id_wrapperIjLb1EEEEE10hipError_tT1_PNSt15iterator_traitsISG_E10value_typeET2_T3_PNSH_ISM_E10value_typeET4_T5_PSR_SS_PNS1_23onesweep_lookback_stateEbbT6_jjT7_P12ihipStream_tbENKUlT_T0_SG_SL_E_clIS7_S7_PlSB_EEDaSZ_S10_SG_SL_EUlSZ_E_NS1_11comp_targetILNS1_3genE8ELNS1_11target_archE1030ELNS1_3gpuE2ELNS1_3repE0EEENS1_47radix_sort_onesweep_sort_config_static_selectorELNS0_4arch9wavefront6targetE1EEEvSG_.has_indirect_call, 0
	.section	.AMDGPU.csdata,"",@progbits
; Kernel info:
; codeLenInByte = 0
; TotalNumSgprs: 4
; NumVgprs: 0
; ScratchSize: 0
; MemoryBound: 0
; FloatMode: 240
; IeeeMode: 1
; LDSByteSize: 0 bytes/workgroup (compile time only)
; SGPRBlocks: 0
; VGPRBlocks: 0
; NumSGPRsForWavesPerEU: 4
; NumVGPRsForWavesPerEU: 1
; Occupancy: 10
; WaveLimiterHint : 0
; COMPUTE_PGM_RSRC2:SCRATCH_EN: 0
; COMPUTE_PGM_RSRC2:USER_SGPR: 6
; COMPUTE_PGM_RSRC2:TRAP_HANDLER: 0
; COMPUTE_PGM_RSRC2:TGID_X_EN: 1
; COMPUTE_PGM_RSRC2:TGID_Y_EN: 0
; COMPUTE_PGM_RSRC2:TGID_Z_EN: 0
; COMPUTE_PGM_RSRC2:TIDIG_COMP_CNT: 0
	.section	.text._ZN7rocprim17ROCPRIM_400000_NS6detail17trampoline_kernelINS0_14default_configENS1_35radix_sort_onesweep_config_selectorIalEEZZNS1_29radix_sort_onesweep_iterationIS3_Lb0EPaS7_N6thrust23THRUST_200600_302600_NS10device_ptrIlEESB_jNS0_19identity_decomposerENS1_16block_id_wrapperIjLb0EEEEE10hipError_tT1_PNSt15iterator_traitsISG_E10value_typeET2_T3_PNSH_ISM_E10value_typeET4_T5_PSR_SS_PNS1_23onesweep_lookback_stateEbbT6_jjT7_P12ihipStream_tbENKUlT_T0_SG_SL_E_clIS7_S7_SB_SB_EEDaSZ_S10_SG_SL_EUlSZ_E_NS1_11comp_targetILNS1_3genE0ELNS1_11target_archE4294967295ELNS1_3gpuE0ELNS1_3repE0EEENS1_47radix_sort_onesweep_sort_config_static_selectorELNS0_4arch9wavefront6targetE1EEEvSG_,"axG",@progbits,_ZN7rocprim17ROCPRIM_400000_NS6detail17trampoline_kernelINS0_14default_configENS1_35radix_sort_onesweep_config_selectorIalEEZZNS1_29radix_sort_onesweep_iterationIS3_Lb0EPaS7_N6thrust23THRUST_200600_302600_NS10device_ptrIlEESB_jNS0_19identity_decomposerENS1_16block_id_wrapperIjLb0EEEEE10hipError_tT1_PNSt15iterator_traitsISG_E10value_typeET2_T3_PNSH_ISM_E10value_typeET4_T5_PSR_SS_PNS1_23onesweep_lookback_stateEbbT6_jjT7_P12ihipStream_tbENKUlT_T0_SG_SL_E_clIS7_S7_SB_SB_EEDaSZ_S10_SG_SL_EUlSZ_E_NS1_11comp_targetILNS1_3genE0ELNS1_11target_archE4294967295ELNS1_3gpuE0ELNS1_3repE0EEENS1_47radix_sort_onesweep_sort_config_static_selectorELNS0_4arch9wavefront6targetE1EEEvSG_,comdat
	.protected	_ZN7rocprim17ROCPRIM_400000_NS6detail17trampoline_kernelINS0_14default_configENS1_35radix_sort_onesweep_config_selectorIalEEZZNS1_29radix_sort_onesweep_iterationIS3_Lb0EPaS7_N6thrust23THRUST_200600_302600_NS10device_ptrIlEESB_jNS0_19identity_decomposerENS1_16block_id_wrapperIjLb0EEEEE10hipError_tT1_PNSt15iterator_traitsISG_E10value_typeET2_T3_PNSH_ISM_E10value_typeET4_T5_PSR_SS_PNS1_23onesweep_lookback_stateEbbT6_jjT7_P12ihipStream_tbENKUlT_T0_SG_SL_E_clIS7_S7_SB_SB_EEDaSZ_S10_SG_SL_EUlSZ_E_NS1_11comp_targetILNS1_3genE0ELNS1_11target_archE4294967295ELNS1_3gpuE0ELNS1_3repE0EEENS1_47radix_sort_onesweep_sort_config_static_selectorELNS0_4arch9wavefront6targetE1EEEvSG_ ; -- Begin function _ZN7rocprim17ROCPRIM_400000_NS6detail17trampoline_kernelINS0_14default_configENS1_35radix_sort_onesweep_config_selectorIalEEZZNS1_29radix_sort_onesweep_iterationIS3_Lb0EPaS7_N6thrust23THRUST_200600_302600_NS10device_ptrIlEESB_jNS0_19identity_decomposerENS1_16block_id_wrapperIjLb0EEEEE10hipError_tT1_PNSt15iterator_traitsISG_E10value_typeET2_T3_PNSH_ISM_E10value_typeET4_T5_PSR_SS_PNS1_23onesweep_lookback_stateEbbT6_jjT7_P12ihipStream_tbENKUlT_T0_SG_SL_E_clIS7_S7_SB_SB_EEDaSZ_S10_SG_SL_EUlSZ_E_NS1_11comp_targetILNS1_3genE0ELNS1_11target_archE4294967295ELNS1_3gpuE0ELNS1_3repE0EEENS1_47radix_sort_onesweep_sort_config_static_selectorELNS0_4arch9wavefront6targetE1EEEvSG_
	.globl	_ZN7rocprim17ROCPRIM_400000_NS6detail17trampoline_kernelINS0_14default_configENS1_35radix_sort_onesweep_config_selectorIalEEZZNS1_29radix_sort_onesweep_iterationIS3_Lb0EPaS7_N6thrust23THRUST_200600_302600_NS10device_ptrIlEESB_jNS0_19identity_decomposerENS1_16block_id_wrapperIjLb0EEEEE10hipError_tT1_PNSt15iterator_traitsISG_E10value_typeET2_T3_PNSH_ISM_E10value_typeET4_T5_PSR_SS_PNS1_23onesweep_lookback_stateEbbT6_jjT7_P12ihipStream_tbENKUlT_T0_SG_SL_E_clIS7_S7_SB_SB_EEDaSZ_S10_SG_SL_EUlSZ_E_NS1_11comp_targetILNS1_3genE0ELNS1_11target_archE4294967295ELNS1_3gpuE0ELNS1_3repE0EEENS1_47radix_sort_onesweep_sort_config_static_selectorELNS0_4arch9wavefront6targetE1EEEvSG_
	.p2align	8
	.type	_ZN7rocprim17ROCPRIM_400000_NS6detail17trampoline_kernelINS0_14default_configENS1_35radix_sort_onesweep_config_selectorIalEEZZNS1_29radix_sort_onesweep_iterationIS3_Lb0EPaS7_N6thrust23THRUST_200600_302600_NS10device_ptrIlEESB_jNS0_19identity_decomposerENS1_16block_id_wrapperIjLb0EEEEE10hipError_tT1_PNSt15iterator_traitsISG_E10value_typeET2_T3_PNSH_ISM_E10value_typeET4_T5_PSR_SS_PNS1_23onesweep_lookback_stateEbbT6_jjT7_P12ihipStream_tbENKUlT_T0_SG_SL_E_clIS7_S7_SB_SB_EEDaSZ_S10_SG_SL_EUlSZ_E_NS1_11comp_targetILNS1_3genE0ELNS1_11target_archE4294967295ELNS1_3gpuE0ELNS1_3repE0EEENS1_47radix_sort_onesweep_sort_config_static_selectorELNS0_4arch9wavefront6targetE1EEEvSG_,@function
_ZN7rocprim17ROCPRIM_400000_NS6detail17trampoline_kernelINS0_14default_configENS1_35radix_sort_onesweep_config_selectorIalEEZZNS1_29radix_sort_onesweep_iterationIS3_Lb0EPaS7_N6thrust23THRUST_200600_302600_NS10device_ptrIlEESB_jNS0_19identity_decomposerENS1_16block_id_wrapperIjLb0EEEEE10hipError_tT1_PNSt15iterator_traitsISG_E10value_typeET2_T3_PNSH_ISM_E10value_typeET4_T5_PSR_SS_PNS1_23onesweep_lookback_stateEbbT6_jjT7_P12ihipStream_tbENKUlT_T0_SG_SL_E_clIS7_S7_SB_SB_EEDaSZ_S10_SG_SL_EUlSZ_E_NS1_11comp_targetILNS1_3genE0ELNS1_11target_archE4294967295ELNS1_3gpuE0ELNS1_3repE0EEENS1_47radix_sort_onesweep_sort_config_static_selectorELNS0_4arch9wavefront6targetE1EEEvSG_: ; @_ZN7rocprim17ROCPRIM_400000_NS6detail17trampoline_kernelINS0_14default_configENS1_35radix_sort_onesweep_config_selectorIalEEZZNS1_29radix_sort_onesweep_iterationIS3_Lb0EPaS7_N6thrust23THRUST_200600_302600_NS10device_ptrIlEESB_jNS0_19identity_decomposerENS1_16block_id_wrapperIjLb0EEEEE10hipError_tT1_PNSt15iterator_traitsISG_E10value_typeET2_T3_PNSH_ISM_E10value_typeET4_T5_PSR_SS_PNS1_23onesweep_lookback_stateEbbT6_jjT7_P12ihipStream_tbENKUlT_T0_SG_SL_E_clIS7_S7_SB_SB_EEDaSZ_S10_SG_SL_EUlSZ_E_NS1_11comp_targetILNS1_3genE0ELNS1_11target_archE4294967295ELNS1_3gpuE0ELNS1_3repE0EEENS1_47radix_sort_onesweep_sort_config_static_selectorELNS0_4arch9wavefront6targetE1EEEvSG_
; %bb.0:
	.section	.rodata,"a",@progbits
	.p2align	6, 0x0
	.amdhsa_kernel _ZN7rocprim17ROCPRIM_400000_NS6detail17trampoline_kernelINS0_14default_configENS1_35radix_sort_onesweep_config_selectorIalEEZZNS1_29radix_sort_onesweep_iterationIS3_Lb0EPaS7_N6thrust23THRUST_200600_302600_NS10device_ptrIlEESB_jNS0_19identity_decomposerENS1_16block_id_wrapperIjLb0EEEEE10hipError_tT1_PNSt15iterator_traitsISG_E10value_typeET2_T3_PNSH_ISM_E10value_typeET4_T5_PSR_SS_PNS1_23onesweep_lookback_stateEbbT6_jjT7_P12ihipStream_tbENKUlT_T0_SG_SL_E_clIS7_S7_SB_SB_EEDaSZ_S10_SG_SL_EUlSZ_E_NS1_11comp_targetILNS1_3genE0ELNS1_11target_archE4294967295ELNS1_3gpuE0ELNS1_3repE0EEENS1_47radix_sort_onesweep_sort_config_static_selectorELNS0_4arch9wavefront6targetE1EEEvSG_
		.amdhsa_group_segment_fixed_size 0
		.amdhsa_private_segment_fixed_size 0
		.amdhsa_kernarg_size 88
		.amdhsa_user_sgpr_count 6
		.amdhsa_user_sgpr_private_segment_buffer 1
		.amdhsa_user_sgpr_dispatch_ptr 0
		.amdhsa_user_sgpr_queue_ptr 0
		.amdhsa_user_sgpr_kernarg_segment_ptr 1
		.amdhsa_user_sgpr_dispatch_id 0
		.amdhsa_user_sgpr_flat_scratch_init 0
		.amdhsa_user_sgpr_private_segment_size 0
		.amdhsa_uses_dynamic_stack 0
		.amdhsa_system_sgpr_private_segment_wavefront_offset 0
		.amdhsa_system_sgpr_workgroup_id_x 1
		.amdhsa_system_sgpr_workgroup_id_y 0
		.amdhsa_system_sgpr_workgroup_id_z 0
		.amdhsa_system_sgpr_workgroup_info 0
		.amdhsa_system_vgpr_workitem_id 0
		.amdhsa_next_free_vgpr 1
		.amdhsa_next_free_sgpr 0
		.amdhsa_reserve_vcc 0
		.amdhsa_reserve_flat_scratch 0
		.amdhsa_float_round_mode_32 0
		.amdhsa_float_round_mode_16_64 0
		.amdhsa_float_denorm_mode_32 3
		.amdhsa_float_denorm_mode_16_64 3
		.amdhsa_dx10_clamp 1
		.amdhsa_ieee_mode 1
		.amdhsa_fp16_overflow 0
		.amdhsa_exception_fp_ieee_invalid_op 0
		.amdhsa_exception_fp_denorm_src 0
		.amdhsa_exception_fp_ieee_div_zero 0
		.amdhsa_exception_fp_ieee_overflow 0
		.amdhsa_exception_fp_ieee_underflow 0
		.amdhsa_exception_fp_ieee_inexact 0
		.amdhsa_exception_int_div_zero 0
	.end_amdhsa_kernel
	.section	.text._ZN7rocprim17ROCPRIM_400000_NS6detail17trampoline_kernelINS0_14default_configENS1_35radix_sort_onesweep_config_selectorIalEEZZNS1_29radix_sort_onesweep_iterationIS3_Lb0EPaS7_N6thrust23THRUST_200600_302600_NS10device_ptrIlEESB_jNS0_19identity_decomposerENS1_16block_id_wrapperIjLb0EEEEE10hipError_tT1_PNSt15iterator_traitsISG_E10value_typeET2_T3_PNSH_ISM_E10value_typeET4_T5_PSR_SS_PNS1_23onesweep_lookback_stateEbbT6_jjT7_P12ihipStream_tbENKUlT_T0_SG_SL_E_clIS7_S7_SB_SB_EEDaSZ_S10_SG_SL_EUlSZ_E_NS1_11comp_targetILNS1_3genE0ELNS1_11target_archE4294967295ELNS1_3gpuE0ELNS1_3repE0EEENS1_47radix_sort_onesweep_sort_config_static_selectorELNS0_4arch9wavefront6targetE1EEEvSG_,"axG",@progbits,_ZN7rocprim17ROCPRIM_400000_NS6detail17trampoline_kernelINS0_14default_configENS1_35radix_sort_onesweep_config_selectorIalEEZZNS1_29radix_sort_onesweep_iterationIS3_Lb0EPaS7_N6thrust23THRUST_200600_302600_NS10device_ptrIlEESB_jNS0_19identity_decomposerENS1_16block_id_wrapperIjLb0EEEEE10hipError_tT1_PNSt15iterator_traitsISG_E10value_typeET2_T3_PNSH_ISM_E10value_typeET4_T5_PSR_SS_PNS1_23onesweep_lookback_stateEbbT6_jjT7_P12ihipStream_tbENKUlT_T0_SG_SL_E_clIS7_S7_SB_SB_EEDaSZ_S10_SG_SL_EUlSZ_E_NS1_11comp_targetILNS1_3genE0ELNS1_11target_archE4294967295ELNS1_3gpuE0ELNS1_3repE0EEENS1_47radix_sort_onesweep_sort_config_static_selectorELNS0_4arch9wavefront6targetE1EEEvSG_,comdat
.Lfunc_end627:
	.size	_ZN7rocprim17ROCPRIM_400000_NS6detail17trampoline_kernelINS0_14default_configENS1_35radix_sort_onesweep_config_selectorIalEEZZNS1_29radix_sort_onesweep_iterationIS3_Lb0EPaS7_N6thrust23THRUST_200600_302600_NS10device_ptrIlEESB_jNS0_19identity_decomposerENS1_16block_id_wrapperIjLb0EEEEE10hipError_tT1_PNSt15iterator_traitsISG_E10value_typeET2_T3_PNSH_ISM_E10value_typeET4_T5_PSR_SS_PNS1_23onesweep_lookback_stateEbbT6_jjT7_P12ihipStream_tbENKUlT_T0_SG_SL_E_clIS7_S7_SB_SB_EEDaSZ_S10_SG_SL_EUlSZ_E_NS1_11comp_targetILNS1_3genE0ELNS1_11target_archE4294967295ELNS1_3gpuE0ELNS1_3repE0EEENS1_47radix_sort_onesweep_sort_config_static_selectorELNS0_4arch9wavefront6targetE1EEEvSG_, .Lfunc_end627-_ZN7rocprim17ROCPRIM_400000_NS6detail17trampoline_kernelINS0_14default_configENS1_35radix_sort_onesweep_config_selectorIalEEZZNS1_29radix_sort_onesweep_iterationIS3_Lb0EPaS7_N6thrust23THRUST_200600_302600_NS10device_ptrIlEESB_jNS0_19identity_decomposerENS1_16block_id_wrapperIjLb0EEEEE10hipError_tT1_PNSt15iterator_traitsISG_E10value_typeET2_T3_PNSH_ISM_E10value_typeET4_T5_PSR_SS_PNS1_23onesweep_lookback_stateEbbT6_jjT7_P12ihipStream_tbENKUlT_T0_SG_SL_E_clIS7_S7_SB_SB_EEDaSZ_S10_SG_SL_EUlSZ_E_NS1_11comp_targetILNS1_3genE0ELNS1_11target_archE4294967295ELNS1_3gpuE0ELNS1_3repE0EEENS1_47radix_sort_onesweep_sort_config_static_selectorELNS0_4arch9wavefront6targetE1EEEvSG_
                                        ; -- End function
	.set _ZN7rocprim17ROCPRIM_400000_NS6detail17trampoline_kernelINS0_14default_configENS1_35radix_sort_onesweep_config_selectorIalEEZZNS1_29radix_sort_onesweep_iterationIS3_Lb0EPaS7_N6thrust23THRUST_200600_302600_NS10device_ptrIlEESB_jNS0_19identity_decomposerENS1_16block_id_wrapperIjLb0EEEEE10hipError_tT1_PNSt15iterator_traitsISG_E10value_typeET2_T3_PNSH_ISM_E10value_typeET4_T5_PSR_SS_PNS1_23onesweep_lookback_stateEbbT6_jjT7_P12ihipStream_tbENKUlT_T0_SG_SL_E_clIS7_S7_SB_SB_EEDaSZ_S10_SG_SL_EUlSZ_E_NS1_11comp_targetILNS1_3genE0ELNS1_11target_archE4294967295ELNS1_3gpuE0ELNS1_3repE0EEENS1_47radix_sort_onesweep_sort_config_static_selectorELNS0_4arch9wavefront6targetE1EEEvSG_.num_vgpr, 0
	.set _ZN7rocprim17ROCPRIM_400000_NS6detail17trampoline_kernelINS0_14default_configENS1_35radix_sort_onesweep_config_selectorIalEEZZNS1_29radix_sort_onesweep_iterationIS3_Lb0EPaS7_N6thrust23THRUST_200600_302600_NS10device_ptrIlEESB_jNS0_19identity_decomposerENS1_16block_id_wrapperIjLb0EEEEE10hipError_tT1_PNSt15iterator_traitsISG_E10value_typeET2_T3_PNSH_ISM_E10value_typeET4_T5_PSR_SS_PNS1_23onesweep_lookback_stateEbbT6_jjT7_P12ihipStream_tbENKUlT_T0_SG_SL_E_clIS7_S7_SB_SB_EEDaSZ_S10_SG_SL_EUlSZ_E_NS1_11comp_targetILNS1_3genE0ELNS1_11target_archE4294967295ELNS1_3gpuE0ELNS1_3repE0EEENS1_47radix_sort_onesweep_sort_config_static_selectorELNS0_4arch9wavefront6targetE1EEEvSG_.num_agpr, 0
	.set _ZN7rocprim17ROCPRIM_400000_NS6detail17trampoline_kernelINS0_14default_configENS1_35radix_sort_onesweep_config_selectorIalEEZZNS1_29radix_sort_onesweep_iterationIS3_Lb0EPaS7_N6thrust23THRUST_200600_302600_NS10device_ptrIlEESB_jNS0_19identity_decomposerENS1_16block_id_wrapperIjLb0EEEEE10hipError_tT1_PNSt15iterator_traitsISG_E10value_typeET2_T3_PNSH_ISM_E10value_typeET4_T5_PSR_SS_PNS1_23onesweep_lookback_stateEbbT6_jjT7_P12ihipStream_tbENKUlT_T0_SG_SL_E_clIS7_S7_SB_SB_EEDaSZ_S10_SG_SL_EUlSZ_E_NS1_11comp_targetILNS1_3genE0ELNS1_11target_archE4294967295ELNS1_3gpuE0ELNS1_3repE0EEENS1_47radix_sort_onesweep_sort_config_static_selectorELNS0_4arch9wavefront6targetE1EEEvSG_.numbered_sgpr, 0
	.set _ZN7rocprim17ROCPRIM_400000_NS6detail17trampoline_kernelINS0_14default_configENS1_35radix_sort_onesweep_config_selectorIalEEZZNS1_29radix_sort_onesweep_iterationIS3_Lb0EPaS7_N6thrust23THRUST_200600_302600_NS10device_ptrIlEESB_jNS0_19identity_decomposerENS1_16block_id_wrapperIjLb0EEEEE10hipError_tT1_PNSt15iterator_traitsISG_E10value_typeET2_T3_PNSH_ISM_E10value_typeET4_T5_PSR_SS_PNS1_23onesweep_lookback_stateEbbT6_jjT7_P12ihipStream_tbENKUlT_T0_SG_SL_E_clIS7_S7_SB_SB_EEDaSZ_S10_SG_SL_EUlSZ_E_NS1_11comp_targetILNS1_3genE0ELNS1_11target_archE4294967295ELNS1_3gpuE0ELNS1_3repE0EEENS1_47radix_sort_onesweep_sort_config_static_selectorELNS0_4arch9wavefront6targetE1EEEvSG_.num_named_barrier, 0
	.set _ZN7rocprim17ROCPRIM_400000_NS6detail17trampoline_kernelINS0_14default_configENS1_35radix_sort_onesweep_config_selectorIalEEZZNS1_29radix_sort_onesweep_iterationIS3_Lb0EPaS7_N6thrust23THRUST_200600_302600_NS10device_ptrIlEESB_jNS0_19identity_decomposerENS1_16block_id_wrapperIjLb0EEEEE10hipError_tT1_PNSt15iterator_traitsISG_E10value_typeET2_T3_PNSH_ISM_E10value_typeET4_T5_PSR_SS_PNS1_23onesweep_lookback_stateEbbT6_jjT7_P12ihipStream_tbENKUlT_T0_SG_SL_E_clIS7_S7_SB_SB_EEDaSZ_S10_SG_SL_EUlSZ_E_NS1_11comp_targetILNS1_3genE0ELNS1_11target_archE4294967295ELNS1_3gpuE0ELNS1_3repE0EEENS1_47radix_sort_onesweep_sort_config_static_selectorELNS0_4arch9wavefront6targetE1EEEvSG_.private_seg_size, 0
	.set _ZN7rocprim17ROCPRIM_400000_NS6detail17trampoline_kernelINS0_14default_configENS1_35radix_sort_onesweep_config_selectorIalEEZZNS1_29radix_sort_onesweep_iterationIS3_Lb0EPaS7_N6thrust23THRUST_200600_302600_NS10device_ptrIlEESB_jNS0_19identity_decomposerENS1_16block_id_wrapperIjLb0EEEEE10hipError_tT1_PNSt15iterator_traitsISG_E10value_typeET2_T3_PNSH_ISM_E10value_typeET4_T5_PSR_SS_PNS1_23onesweep_lookback_stateEbbT6_jjT7_P12ihipStream_tbENKUlT_T0_SG_SL_E_clIS7_S7_SB_SB_EEDaSZ_S10_SG_SL_EUlSZ_E_NS1_11comp_targetILNS1_3genE0ELNS1_11target_archE4294967295ELNS1_3gpuE0ELNS1_3repE0EEENS1_47radix_sort_onesweep_sort_config_static_selectorELNS0_4arch9wavefront6targetE1EEEvSG_.uses_vcc, 0
	.set _ZN7rocprim17ROCPRIM_400000_NS6detail17trampoline_kernelINS0_14default_configENS1_35radix_sort_onesweep_config_selectorIalEEZZNS1_29radix_sort_onesweep_iterationIS3_Lb0EPaS7_N6thrust23THRUST_200600_302600_NS10device_ptrIlEESB_jNS0_19identity_decomposerENS1_16block_id_wrapperIjLb0EEEEE10hipError_tT1_PNSt15iterator_traitsISG_E10value_typeET2_T3_PNSH_ISM_E10value_typeET4_T5_PSR_SS_PNS1_23onesweep_lookback_stateEbbT6_jjT7_P12ihipStream_tbENKUlT_T0_SG_SL_E_clIS7_S7_SB_SB_EEDaSZ_S10_SG_SL_EUlSZ_E_NS1_11comp_targetILNS1_3genE0ELNS1_11target_archE4294967295ELNS1_3gpuE0ELNS1_3repE0EEENS1_47radix_sort_onesweep_sort_config_static_selectorELNS0_4arch9wavefront6targetE1EEEvSG_.uses_flat_scratch, 0
	.set _ZN7rocprim17ROCPRIM_400000_NS6detail17trampoline_kernelINS0_14default_configENS1_35radix_sort_onesweep_config_selectorIalEEZZNS1_29radix_sort_onesweep_iterationIS3_Lb0EPaS7_N6thrust23THRUST_200600_302600_NS10device_ptrIlEESB_jNS0_19identity_decomposerENS1_16block_id_wrapperIjLb0EEEEE10hipError_tT1_PNSt15iterator_traitsISG_E10value_typeET2_T3_PNSH_ISM_E10value_typeET4_T5_PSR_SS_PNS1_23onesweep_lookback_stateEbbT6_jjT7_P12ihipStream_tbENKUlT_T0_SG_SL_E_clIS7_S7_SB_SB_EEDaSZ_S10_SG_SL_EUlSZ_E_NS1_11comp_targetILNS1_3genE0ELNS1_11target_archE4294967295ELNS1_3gpuE0ELNS1_3repE0EEENS1_47radix_sort_onesweep_sort_config_static_selectorELNS0_4arch9wavefront6targetE1EEEvSG_.has_dyn_sized_stack, 0
	.set _ZN7rocprim17ROCPRIM_400000_NS6detail17trampoline_kernelINS0_14default_configENS1_35radix_sort_onesweep_config_selectorIalEEZZNS1_29radix_sort_onesweep_iterationIS3_Lb0EPaS7_N6thrust23THRUST_200600_302600_NS10device_ptrIlEESB_jNS0_19identity_decomposerENS1_16block_id_wrapperIjLb0EEEEE10hipError_tT1_PNSt15iterator_traitsISG_E10value_typeET2_T3_PNSH_ISM_E10value_typeET4_T5_PSR_SS_PNS1_23onesweep_lookback_stateEbbT6_jjT7_P12ihipStream_tbENKUlT_T0_SG_SL_E_clIS7_S7_SB_SB_EEDaSZ_S10_SG_SL_EUlSZ_E_NS1_11comp_targetILNS1_3genE0ELNS1_11target_archE4294967295ELNS1_3gpuE0ELNS1_3repE0EEENS1_47radix_sort_onesweep_sort_config_static_selectorELNS0_4arch9wavefront6targetE1EEEvSG_.has_recursion, 0
	.set _ZN7rocprim17ROCPRIM_400000_NS6detail17trampoline_kernelINS0_14default_configENS1_35radix_sort_onesweep_config_selectorIalEEZZNS1_29radix_sort_onesweep_iterationIS3_Lb0EPaS7_N6thrust23THRUST_200600_302600_NS10device_ptrIlEESB_jNS0_19identity_decomposerENS1_16block_id_wrapperIjLb0EEEEE10hipError_tT1_PNSt15iterator_traitsISG_E10value_typeET2_T3_PNSH_ISM_E10value_typeET4_T5_PSR_SS_PNS1_23onesweep_lookback_stateEbbT6_jjT7_P12ihipStream_tbENKUlT_T0_SG_SL_E_clIS7_S7_SB_SB_EEDaSZ_S10_SG_SL_EUlSZ_E_NS1_11comp_targetILNS1_3genE0ELNS1_11target_archE4294967295ELNS1_3gpuE0ELNS1_3repE0EEENS1_47radix_sort_onesweep_sort_config_static_selectorELNS0_4arch9wavefront6targetE1EEEvSG_.has_indirect_call, 0
	.section	.AMDGPU.csdata,"",@progbits
; Kernel info:
; codeLenInByte = 0
; TotalNumSgprs: 4
; NumVgprs: 0
; ScratchSize: 0
; MemoryBound: 0
; FloatMode: 240
; IeeeMode: 1
; LDSByteSize: 0 bytes/workgroup (compile time only)
; SGPRBlocks: 0
; VGPRBlocks: 0
; NumSGPRsForWavesPerEU: 4
; NumVGPRsForWavesPerEU: 1
; Occupancy: 10
; WaveLimiterHint : 0
; COMPUTE_PGM_RSRC2:SCRATCH_EN: 0
; COMPUTE_PGM_RSRC2:USER_SGPR: 6
; COMPUTE_PGM_RSRC2:TRAP_HANDLER: 0
; COMPUTE_PGM_RSRC2:TGID_X_EN: 1
; COMPUTE_PGM_RSRC2:TGID_Y_EN: 0
; COMPUTE_PGM_RSRC2:TGID_Z_EN: 0
; COMPUTE_PGM_RSRC2:TIDIG_COMP_CNT: 0
	.section	.text._ZN7rocprim17ROCPRIM_400000_NS6detail17trampoline_kernelINS0_14default_configENS1_35radix_sort_onesweep_config_selectorIalEEZZNS1_29radix_sort_onesweep_iterationIS3_Lb0EPaS7_N6thrust23THRUST_200600_302600_NS10device_ptrIlEESB_jNS0_19identity_decomposerENS1_16block_id_wrapperIjLb0EEEEE10hipError_tT1_PNSt15iterator_traitsISG_E10value_typeET2_T3_PNSH_ISM_E10value_typeET4_T5_PSR_SS_PNS1_23onesweep_lookback_stateEbbT6_jjT7_P12ihipStream_tbENKUlT_T0_SG_SL_E_clIS7_S7_SB_SB_EEDaSZ_S10_SG_SL_EUlSZ_E_NS1_11comp_targetILNS1_3genE6ELNS1_11target_archE950ELNS1_3gpuE13ELNS1_3repE0EEENS1_47radix_sort_onesweep_sort_config_static_selectorELNS0_4arch9wavefront6targetE1EEEvSG_,"axG",@progbits,_ZN7rocprim17ROCPRIM_400000_NS6detail17trampoline_kernelINS0_14default_configENS1_35radix_sort_onesweep_config_selectorIalEEZZNS1_29radix_sort_onesweep_iterationIS3_Lb0EPaS7_N6thrust23THRUST_200600_302600_NS10device_ptrIlEESB_jNS0_19identity_decomposerENS1_16block_id_wrapperIjLb0EEEEE10hipError_tT1_PNSt15iterator_traitsISG_E10value_typeET2_T3_PNSH_ISM_E10value_typeET4_T5_PSR_SS_PNS1_23onesweep_lookback_stateEbbT6_jjT7_P12ihipStream_tbENKUlT_T0_SG_SL_E_clIS7_S7_SB_SB_EEDaSZ_S10_SG_SL_EUlSZ_E_NS1_11comp_targetILNS1_3genE6ELNS1_11target_archE950ELNS1_3gpuE13ELNS1_3repE0EEENS1_47radix_sort_onesweep_sort_config_static_selectorELNS0_4arch9wavefront6targetE1EEEvSG_,comdat
	.protected	_ZN7rocprim17ROCPRIM_400000_NS6detail17trampoline_kernelINS0_14default_configENS1_35radix_sort_onesweep_config_selectorIalEEZZNS1_29radix_sort_onesweep_iterationIS3_Lb0EPaS7_N6thrust23THRUST_200600_302600_NS10device_ptrIlEESB_jNS0_19identity_decomposerENS1_16block_id_wrapperIjLb0EEEEE10hipError_tT1_PNSt15iterator_traitsISG_E10value_typeET2_T3_PNSH_ISM_E10value_typeET4_T5_PSR_SS_PNS1_23onesweep_lookback_stateEbbT6_jjT7_P12ihipStream_tbENKUlT_T0_SG_SL_E_clIS7_S7_SB_SB_EEDaSZ_S10_SG_SL_EUlSZ_E_NS1_11comp_targetILNS1_3genE6ELNS1_11target_archE950ELNS1_3gpuE13ELNS1_3repE0EEENS1_47radix_sort_onesweep_sort_config_static_selectorELNS0_4arch9wavefront6targetE1EEEvSG_ ; -- Begin function _ZN7rocprim17ROCPRIM_400000_NS6detail17trampoline_kernelINS0_14default_configENS1_35radix_sort_onesweep_config_selectorIalEEZZNS1_29radix_sort_onesweep_iterationIS3_Lb0EPaS7_N6thrust23THRUST_200600_302600_NS10device_ptrIlEESB_jNS0_19identity_decomposerENS1_16block_id_wrapperIjLb0EEEEE10hipError_tT1_PNSt15iterator_traitsISG_E10value_typeET2_T3_PNSH_ISM_E10value_typeET4_T5_PSR_SS_PNS1_23onesweep_lookback_stateEbbT6_jjT7_P12ihipStream_tbENKUlT_T0_SG_SL_E_clIS7_S7_SB_SB_EEDaSZ_S10_SG_SL_EUlSZ_E_NS1_11comp_targetILNS1_3genE6ELNS1_11target_archE950ELNS1_3gpuE13ELNS1_3repE0EEENS1_47radix_sort_onesweep_sort_config_static_selectorELNS0_4arch9wavefront6targetE1EEEvSG_
	.globl	_ZN7rocprim17ROCPRIM_400000_NS6detail17trampoline_kernelINS0_14default_configENS1_35radix_sort_onesweep_config_selectorIalEEZZNS1_29radix_sort_onesweep_iterationIS3_Lb0EPaS7_N6thrust23THRUST_200600_302600_NS10device_ptrIlEESB_jNS0_19identity_decomposerENS1_16block_id_wrapperIjLb0EEEEE10hipError_tT1_PNSt15iterator_traitsISG_E10value_typeET2_T3_PNSH_ISM_E10value_typeET4_T5_PSR_SS_PNS1_23onesweep_lookback_stateEbbT6_jjT7_P12ihipStream_tbENKUlT_T0_SG_SL_E_clIS7_S7_SB_SB_EEDaSZ_S10_SG_SL_EUlSZ_E_NS1_11comp_targetILNS1_3genE6ELNS1_11target_archE950ELNS1_3gpuE13ELNS1_3repE0EEENS1_47radix_sort_onesweep_sort_config_static_selectorELNS0_4arch9wavefront6targetE1EEEvSG_
	.p2align	8
	.type	_ZN7rocprim17ROCPRIM_400000_NS6detail17trampoline_kernelINS0_14default_configENS1_35radix_sort_onesweep_config_selectorIalEEZZNS1_29radix_sort_onesweep_iterationIS3_Lb0EPaS7_N6thrust23THRUST_200600_302600_NS10device_ptrIlEESB_jNS0_19identity_decomposerENS1_16block_id_wrapperIjLb0EEEEE10hipError_tT1_PNSt15iterator_traitsISG_E10value_typeET2_T3_PNSH_ISM_E10value_typeET4_T5_PSR_SS_PNS1_23onesweep_lookback_stateEbbT6_jjT7_P12ihipStream_tbENKUlT_T0_SG_SL_E_clIS7_S7_SB_SB_EEDaSZ_S10_SG_SL_EUlSZ_E_NS1_11comp_targetILNS1_3genE6ELNS1_11target_archE950ELNS1_3gpuE13ELNS1_3repE0EEENS1_47radix_sort_onesweep_sort_config_static_selectorELNS0_4arch9wavefront6targetE1EEEvSG_,@function
_ZN7rocprim17ROCPRIM_400000_NS6detail17trampoline_kernelINS0_14default_configENS1_35radix_sort_onesweep_config_selectorIalEEZZNS1_29radix_sort_onesweep_iterationIS3_Lb0EPaS7_N6thrust23THRUST_200600_302600_NS10device_ptrIlEESB_jNS0_19identity_decomposerENS1_16block_id_wrapperIjLb0EEEEE10hipError_tT1_PNSt15iterator_traitsISG_E10value_typeET2_T3_PNSH_ISM_E10value_typeET4_T5_PSR_SS_PNS1_23onesweep_lookback_stateEbbT6_jjT7_P12ihipStream_tbENKUlT_T0_SG_SL_E_clIS7_S7_SB_SB_EEDaSZ_S10_SG_SL_EUlSZ_E_NS1_11comp_targetILNS1_3genE6ELNS1_11target_archE950ELNS1_3gpuE13ELNS1_3repE0EEENS1_47radix_sort_onesweep_sort_config_static_selectorELNS0_4arch9wavefront6targetE1EEEvSG_: ; @_ZN7rocprim17ROCPRIM_400000_NS6detail17trampoline_kernelINS0_14default_configENS1_35radix_sort_onesweep_config_selectorIalEEZZNS1_29radix_sort_onesweep_iterationIS3_Lb0EPaS7_N6thrust23THRUST_200600_302600_NS10device_ptrIlEESB_jNS0_19identity_decomposerENS1_16block_id_wrapperIjLb0EEEEE10hipError_tT1_PNSt15iterator_traitsISG_E10value_typeET2_T3_PNSH_ISM_E10value_typeET4_T5_PSR_SS_PNS1_23onesweep_lookback_stateEbbT6_jjT7_P12ihipStream_tbENKUlT_T0_SG_SL_E_clIS7_S7_SB_SB_EEDaSZ_S10_SG_SL_EUlSZ_E_NS1_11comp_targetILNS1_3genE6ELNS1_11target_archE950ELNS1_3gpuE13ELNS1_3repE0EEENS1_47radix_sort_onesweep_sort_config_static_selectorELNS0_4arch9wavefront6targetE1EEEvSG_
; %bb.0:
	.section	.rodata,"a",@progbits
	.p2align	6, 0x0
	.amdhsa_kernel _ZN7rocprim17ROCPRIM_400000_NS6detail17trampoline_kernelINS0_14default_configENS1_35radix_sort_onesweep_config_selectorIalEEZZNS1_29radix_sort_onesweep_iterationIS3_Lb0EPaS7_N6thrust23THRUST_200600_302600_NS10device_ptrIlEESB_jNS0_19identity_decomposerENS1_16block_id_wrapperIjLb0EEEEE10hipError_tT1_PNSt15iterator_traitsISG_E10value_typeET2_T3_PNSH_ISM_E10value_typeET4_T5_PSR_SS_PNS1_23onesweep_lookback_stateEbbT6_jjT7_P12ihipStream_tbENKUlT_T0_SG_SL_E_clIS7_S7_SB_SB_EEDaSZ_S10_SG_SL_EUlSZ_E_NS1_11comp_targetILNS1_3genE6ELNS1_11target_archE950ELNS1_3gpuE13ELNS1_3repE0EEENS1_47radix_sort_onesweep_sort_config_static_selectorELNS0_4arch9wavefront6targetE1EEEvSG_
		.amdhsa_group_segment_fixed_size 0
		.amdhsa_private_segment_fixed_size 0
		.amdhsa_kernarg_size 88
		.amdhsa_user_sgpr_count 6
		.amdhsa_user_sgpr_private_segment_buffer 1
		.amdhsa_user_sgpr_dispatch_ptr 0
		.amdhsa_user_sgpr_queue_ptr 0
		.amdhsa_user_sgpr_kernarg_segment_ptr 1
		.amdhsa_user_sgpr_dispatch_id 0
		.amdhsa_user_sgpr_flat_scratch_init 0
		.amdhsa_user_sgpr_private_segment_size 0
		.amdhsa_uses_dynamic_stack 0
		.amdhsa_system_sgpr_private_segment_wavefront_offset 0
		.amdhsa_system_sgpr_workgroup_id_x 1
		.amdhsa_system_sgpr_workgroup_id_y 0
		.amdhsa_system_sgpr_workgroup_id_z 0
		.amdhsa_system_sgpr_workgroup_info 0
		.amdhsa_system_vgpr_workitem_id 0
		.amdhsa_next_free_vgpr 1
		.amdhsa_next_free_sgpr 0
		.amdhsa_reserve_vcc 0
		.amdhsa_reserve_flat_scratch 0
		.amdhsa_float_round_mode_32 0
		.amdhsa_float_round_mode_16_64 0
		.amdhsa_float_denorm_mode_32 3
		.amdhsa_float_denorm_mode_16_64 3
		.amdhsa_dx10_clamp 1
		.amdhsa_ieee_mode 1
		.amdhsa_fp16_overflow 0
		.amdhsa_exception_fp_ieee_invalid_op 0
		.amdhsa_exception_fp_denorm_src 0
		.amdhsa_exception_fp_ieee_div_zero 0
		.amdhsa_exception_fp_ieee_overflow 0
		.amdhsa_exception_fp_ieee_underflow 0
		.amdhsa_exception_fp_ieee_inexact 0
		.amdhsa_exception_int_div_zero 0
	.end_amdhsa_kernel
	.section	.text._ZN7rocprim17ROCPRIM_400000_NS6detail17trampoline_kernelINS0_14default_configENS1_35radix_sort_onesweep_config_selectorIalEEZZNS1_29radix_sort_onesweep_iterationIS3_Lb0EPaS7_N6thrust23THRUST_200600_302600_NS10device_ptrIlEESB_jNS0_19identity_decomposerENS1_16block_id_wrapperIjLb0EEEEE10hipError_tT1_PNSt15iterator_traitsISG_E10value_typeET2_T3_PNSH_ISM_E10value_typeET4_T5_PSR_SS_PNS1_23onesweep_lookback_stateEbbT6_jjT7_P12ihipStream_tbENKUlT_T0_SG_SL_E_clIS7_S7_SB_SB_EEDaSZ_S10_SG_SL_EUlSZ_E_NS1_11comp_targetILNS1_3genE6ELNS1_11target_archE950ELNS1_3gpuE13ELNS1_3repE0EEENS1_47radix_sort_onesweep_sort_config_static_selectorELNS0_4arch9wavefront6targetE1EEEvSG_,"axG",@progbits,_ZN7rocprim17ROCPRIM_400000_NS6detail17trampoline_kernelINS0_14default_configENS1_35radix_sort_onesweep_config_selectorIalEEZZNS1_29radix_sort_onesweep_iterationIS3_Lb0EPaS7_N6thrust23THRUST_200600_302600_NS10device_ptrIlEESB_jNS0_19identity_decomposerENS1_16block_id_wrapperIjLb0EEEEE10hipError_tT1_PNSt15iterator_traitsISG_E10value_typeET2_T3_PNSH_ISM_E10value_typeET4_T5_PSR_SS_PNS1_23onesweep_lookback_stateEbbT6_jjT7_P12ihipStream_tbENKUlT_T0_SG_SL_E_clIS7_S7_SB_SB_EEDaSZ_S10_SG_SL_EUlSZ_E_NS1_11comp_targetILNS1_3genE6ELNS1_11target_archE950ELNS1_3gpuE13ELNS1_3repE0EEENS1_47radix_sort_onesweep_sort_config_static_selectorELNS0_4arch9wavefront6targetE1EEEvSG_,comdat
.Lfunc_end628:
	.size	_ZN7rocprim17ROCPRIM_400000_NS6detail17trampoline_kernelINS0_14default_configENS1_35radix_sort_onesweep_config_selectorIalEEZZNS1_29radix_sort_onesweep_iterationIS3_Lb0EPaS7_N6thrust23THRUST_200600_302600_NS10device_ptrIlEESB_jNS0_19identity_decomposerENS1_16block_id_wrapperIjLb0EEEEE10hipError_tT1_PNSt15iterator_traitsISG_E10value_typeET2_T3_PNSH_ISM_E10value_typeET4_T5_PSR_SS_PNS1_23onesweep_lookback_stateEbbT6_jjT7_P12ihipStream_tbENKUlT_T0_SG_SL_E_clIS7_S7_SB_SB_EEDaSZ_S10_SG_SL_EUlSZ_E_NS1_11comp_targetILNS1_3genE6ELNS1_11target_archE950ELNS1_3gpuE13ELNS1_3repE0EEENS1_47radix_sort_onesweep_sort_config_static_selectorELNS0_4arch9wavefront6targetE1EEEvSG_, .Lfunc_end628-_ZN7rocprim17ROCPRIM_400000_NS6detail17trampoline_kernelINS0_14default_configENS1_35radix_sort_onesweep_config_selectorIalEEZZNS1_29radix_sort_onesweep_iterationIS3_Lb0EPaS7_N6thrust23THRUST_200600_302600_NS10device_ptrIlEESB_jNS0_19identity_decomposerENS1_16block_id_wrapperIjLb0EEEEE10hipError_tT1_PNSt15iterator_traitsISG_E10value_typeET2_T3_PNSH_ISM_E10value_typeET4_T5_PSR_SS_PNS1_23onesweep_lookback_stateEbbT6_jjT7_P12ihipStream_tbENKUlT_T0_SG_SL_E_clIS7_S7_SB_SB_EEDaSZ_S10_SG_SL_EUlSZ_E_NS1_11comp_targetILNS1_3genE6ELNS1_11target_archE950ELNS1_3gpuE13ELNS1_3repE0EEENS1_47radix_sort_onesweep_sort_config_static_selectorELNS0_4arch9wavefront6targetE1EEEvSG_
                                        ; -- End function
	.set _ZN7rocprim17ROCPRIM_400000_NS6detail17trampoline_kernelINS0_14default_configENS1_35radix_sort_onesweep_config_selectorIalEEZZNS1_29radix_sort_onesweep_iterationIS3_Lb0EPaS7_N6thrust23THRUST_200600_302600_NS10device_ptrIlEESB_jNS0_19identity_decomposerENS1_16block_id_wrapperIjLb0EEEEE10hipError_tT1_PNSt15iterator_traitsISG_E10value_typeET2_T3_PNSH_ISM_E10value_typeET4_T5_PSR_SS_PNS1_23onesweep_lookback_stateEbbT6_jjT7_P12ihipStream_tbENKUlT_T0_SG_SL_E_clIS7_S7_SB_SB_EEDaSZ_S10_SG_SL_EUlSZ_E_NS1_11comp_targetILNS1_3genE6ELNS1_11target_archE950ELNS1_3gpuE13ELNS1_3repE0EEENS1_47radix_sort_onesweep_sort_config_static_selectorELNS0_4arch9wavefront6targetE1EEEvSG_.num_vgpr, 0
	.set _ZN7rocprim17ROCPRIM_400000_NS6detail17trampoline_kernelINS0_14default_configENS1_35radix_sort_onesweep_config_selectorIalEEZZNS1_29radix_sort_onesweep_iterationIS3_Lb0EPaS7_N6thrust23THRUST_200600_302600_NS10device_ptrIlEESB_jNS0_19identity_decomposerENS1_16block_id_wrapperIjLb0EEEEE10hipError_tT1_PNSt15iterator_traitsISG_E10value_typeET2_T3_PNSH_ISM_E10value_typeET4_T5_PSR_SS_PNS1_23onesweep_lookback_stateEbbT6_jjT7_P12ihipStream_tbENKUlT_T0_SG_SL_E_clIS7_S7_SB_SB_EEDaSZ_S10_SG_SL_EUlSZ_E_NS1_11comp_targetILNS1_3genE6ELNS1_11target_archE950ELNS1_3gpuE13ELNS1_3repE0EEENS1_47radix_sort_onesweep_sort_config_static_selectorELNS0_4arch9wavefront6targetE1EEEvSG_.num_agpr, 0
	.set _ZN7rocprim17ROCPRIM_400000_NS6detail17trampoline_kernelINS0_14default_configENS1_35radix_sort_onesweep_config_selectorIalEEZZNS1_29radix_sort_onesweep_iterationIS3_Lb0EPaS7_N6thrust23THRUST_200600_302600_NS10device_ptrIlEESB_jNS0_19identity_decomposerENS1_16block_id_wrapperIjLb0EEEEE10hipError_tT1_PNSt15iterator_traitsISG_E10value_typeET2_T3_PNSH_ISM_E10value_typeET4_T5_PSR_SS_PNS1_23onesweep_lookback_stateEbbT6_jjT7_P12ihipStream_tbENKUlT_T0_SG_SL_E_clIS7_S7_SB_SB_EEDaSZ_S10_SG_SL_EUlSZ_E_NS1_11comp_targetILNS1_3genE6ELNS1_11target_archE950ELNS1_3gpuE13ELNS1_3repE0EEENS1_47radix_sort_onesweep_sort_config_static_selectorELNS0_4arch9wavefront6targetE1EEEvSG_.numbered_sgpr, 0
	.set _ZN7rocprim17ROCPRIM_400000_NS6detail17trampoline_kernelINS0_14default_configENS1_35radix_sort_onesweep_config_selectorIalEEZZNS1_29radix_sort_onesweep_iterationIS3_Lb0EPaS7_N6thrust23THRUST_200600_302600_NS10device_ptrIlEESB_jNS0_19identity_decomposerENS1_16block_id_wrapperIjLb0EEEEE10hipError_tT1_PNSt15iterator_traitsISG_E10value_typeET2_T3_PNSH_ISM_E10value_typeET4_T5_PSR_SS_PNS1_23onesweep_lookback_stateEbbT6_jjT7_P12ihipStream_tbENKUlT_T0_SG_SL_E_clIS7_S7_SB_SB_EEDaSZ_S10_SG_SL_EUlSZ_E_NS1_11comp_targetILNS1_3genE6ELNS1_11target_archE950ELNS1_3gpuE13ELNS1_3repE0EEENS1_47radix_sort_onesweep_sort_config_static_selectorELNS0_4arch9wavefront6targetE1EEEvSG_.num_named_barrier, 0
	.set _ZN7rocprim17ROCPRIM_400000_NS6detail17trampoline_kernelINS0_14default_configENS1_35radix_sort_onesweep_config_selectorIalEEZZNS1_29radix_sort_onesweep_iterationIS3_Lb0EPaS7_N6thrust23THRUST_200600_302600_NS10device_ptrIlEESB_jNS0_19identity_decomposerENS1_16block_id_wrapperIjLb0EEEEE10hipError_tT1_PNSt15iterator_traitsISG_E10value_typeET2_T3_PNSH_ISM_E10value_typeET4_T5_PSR_SS_PNS1_23onesweep_lookback_stateEbbT6_jjT7_P12ihipStream_tbENKUlT_T0_SG_SL_E_clIS7_S7_SB_SB_EEDaSZ_S10_SG_SL_EUlSZ_E_NS1_11comp_targetILNS1_3genE6ELNS1_11target_archE950ELNS1_3gpuE13ELNS1_3repE0EEENS1_47radix_sort_onesweep_sort_config_static_selectorELNS0_4arch9wavefront6targetE1EEEvSG_.private_seg_size, 0
	.set _ZN7rocprim17ROCPRIM_400000_NS6detail17trampoline_kernelINS0_14default_configENS1_35radix_sort_onesweep_config_selectorIalEEZZNS1_29radix_sort_onesweep_iterationIS3_Lb0EPaS7_N6thrust23THRUST_200600_302600_NS10device_ptrIlEESB_jNS0_19identity_decomposerENS1_16block_id_wrapperIjLb0EEEEE10hipError_tT1_PNSt15iterator_traitsISG_E10value_typeET2_T3_PNSH_ISM_E10value_typeET4_T5_PSR_SS_PNS1_23onesweep_lookback_stateEbbT6_jjT7_P12ihipStream_tbENKUlT_T0_SG_SL_E_clIS7_S7_SB_SB_EEDaSZ_S10_SG_SL_EUlSZ_E_NS1_11comp_targetILNS1_3genE6ELNS1_11target_archE950ELNS1_3gpuE13ELNS1_3repE0EEENS1_47radix_sort_onesweep_sort_config_static_selectorELNS0_4arch9wavefront6targetE1EEEvSG_.uses_vcc, 0
	.set _ZN7rocprim17ROCPRIM_400000_NS6detail17trampoline_kernelINS0_14default_configENS1_35radix_sort_onesweep_config_selectorIalEEZZNS1_29radix_sort_onesweep_iterationIS3_Lb0EPaS7_N6thrust23THRUST_200600_302600_NS10device_ptrIlEESB_jNS0_19identity_decomposerENS1_16block_id_wrapperIjLb0EEEEE10hipError_tT1_PNSt15iterator_traitsISG_E10value_typeET2_T3_PNSH_ISM_E10value_typeET4_T5_PSR_SS_PNS1_23onesweep_lookback_stateEbbT6_jjT7_P12ihipStream_tbENKUlT_T0_SG_SL_E_clIS7_S7_SB_SB_EEDaSZ_S10_SG_SL_EUlSZ_E_NS1_11comp_targetILNS1_3genE6ELNS1_11target_archE950ELNS1_3gpuE13ELNS1_3repE0EEENS1_47radix_sort_onesweep_sort_config_static_selectorELNS0_4arch9wavefront6targetE1EEEvSG_.uses_flat_scratch, 0
	.set _ZN7rocprim17ROCPRIM_400000_NS6detail17trampoline_kernelINS0_14default_configENS1_35radix_sort_onesweep_config_selectorIalEEZZNS1_29radix_sort_onesweep_iterationIS3_Lb0EPaS7_N6thrust23THRUST_200600_302600_NS10device_ptrIlEESB_jNS0_19identity_decomposerENS1_16block_id_wrapperIjLb0EEEEE10hipError_tT1_PNSt15iterator_traitsISG_E10value_typeET2_T3_PNSH_ISM_E10value_typeET4_T5_PSR_SS_PNS1_23onesweep_lookback_stateEbbT6_jjT7_P12ihipStream_tbENKUlT_T0_SG_SL_E_clIS7_S7_SB_SB_EEDaSZ_S10_SG_SL_EUlSZ_E_NS1_11comp_targetILNS1_3genE6ELNS1_11target_archE950ELNS1_3gpuE13ELNS1_3repE0EEENS1_47radix_sort_onesweep_sort_config_static_selectorELNS0_4arch9wavefront6targetE1EEEvSG_.has_dyn_sized_stack, 0
	.set _ZN7rocprim17ROCPRIM_400000_NS6detail17trampoline_kernelINS0_14default_configENS1_35radix_sort_onesweep_config_selectorIalEEZZNS1_29radix_sort_onesweep_iterationIS3_Lb0EPaS7_N6thrust23THRUST_200600_302600_NS10device_ptrIlEESB_jNS0_19identity_decomposerENS1_16block_id_wrapperIjLb0EEEEE10hipError_tT1_PNSt15iterator_traitsISG_E10value_typeET2_T3_PNSH_ISM_E10value_typeET4_T5_PSR_SS_PNS1_23onesweep_lookback_stateEbbT6_jjT7_P12ihipStream_tbENKUlT_T0_SG_SL_E_clIS7_S7_SB_SB_EEDaSZ_S10_SG_SL_EUlSZ_E_NS1_11comp_targetILNS1_3genE6ELNS1_11target_archE950ELNS1_3gpuE13ELNS1_3repE0EEENS1_47radix_sort_onesweep_sort_config_static_selectorELNS0_4arch9wavefront6targetE1EEEvSG_.has_recursion, 0
	.set _ZN7rocprim17ROCPRIM_400000_NS6detail17trampoline_kernelINS0_14default_configENS1_35radix_sort_onesweep_config_selectorIalEEZZNS1_29radix_sort_onesweep_iterationIS3_Lb0EPaS7_N6thrust23THRUST_200600_302600_NS10device_ptrIlEESB_jNS0_19identity_decomposerENS1_16block_id_wrapperIjLb0EEEEE10hipError_tT1_PNSt15iterator_traitsISG_E10value_typeET2_T3_PNSH_ISM_E10value_typeET4_T5_PSR_SS_PNS1_23onesweep_lookback_stateEbbT6_jjT7_P12ihipStream_tbENKUlT_T0_SG_SL_E_clIS7_S7_SB_SB_EEDaSZ_S10_SG_SL_EUlSZ_E_NS1_11comp_targetILNS1_3genE6ELNS1_11target_archE950ELNS1_3gpuE13ELNS1_3repE0EEENS1_47radix_sort_onesweep_sort_config_static_selectorELNS0_4arch9wavefront6targetE1EEEvSG_.has_indirect_call, 0
	.section	.AMDGPU.csdata,"",@progbits
; Kernel info:
; codeLenInByte = 0
; TotalNumSgprs: 4
; NumVgprs: 0
; ScratchSize: 0
; MemoryBound: 0
; FloatMode: 240
; IeeeMode: 1
; LDSByteSize: 0 bytes/workgroup (compile time only)
; SGPRBlocks: 0
; VGPRBlocks: 0
; NumSGPRsForWavesPerEU: 4
; NumVGPRsForWavesPerEU: 1
; Occupancy: 10
; WaveLimiterHint : 0
; COMPUTE_PGM_RSRC2:SCRATCH_EN: 0
; COMPUTE_PGM_RSRC2:USER_SGPR: 6
; COMPUTE_PGM_RSRC2:TRAP_HANDLER: 0
; COMPUTE_PGM_RSRC2:TGID_X_EN: 1
; COMPUTE_PGM_RSRC2:TGID_Y_EN: 0
; COMPUTE_PGM_RSRC2:TGID_Z_EN: 0
; COMPUTE_PGM_RSRC2:TIDIG_COMP_CNT: 0
	.section	.text._ZN7rocprim17ROCPRIM_400000_NS6detail17trampoline_kernelINS0_14default_configENS1_35radix_sort_onesweep_config_selectorIalEEZZNS1_29radix_sort_onesweep_iterationIS3_Lb0EPaS7_N6thrust23THRUST_200600_302600_NS10device_ptrIlEESB_jNS0_19identity_decomposerENS1_16block_id_wrapperIjLb0EEEEE10hipError_tT1_PNSt15iterator_traitsISG_E10value_typeET2_T3_PNSH_ISM_E10value_typeET4_T5_PSR_SS_PNS1_23onesweep_lookback_stateEbbT6_jjT7_P12ihipStream_tbENKUlT_T0_SG_SL_E_clIS7_S7_SB_SB_EEDaSZ_S10_SG_SL_EUlSZ_E_NS1_11comp_targetILNS1_3genE5ELNS1_11target_archE942ELNS1_3gpuE9ELNS1_3repE0EEENS1_47radix_sort_onesweep_sort_config_static_selectorELNS0_4arch9wavefront6targetE1EEEvSG_,"axG",@progbits,_ZN7rocprim17ROCPRIM_400000_NS6detail17trampoline_kernelINS0_14default_configENS1_35radix_sort_onesweep_config_selectorIalEEZZNS1_29radix_sort_onesweep_iterationIS3_Lb0EPaS7_N6thrust23THRUST_200600_302600_NS10device_ptrIlEESB_jNS0_19identity_decomposerENS1_16block_id_wrapperIjLb0EEEEE10hipError_tT1_PNSt15iterator_traitsISG_E10value_typeET2_T3_PNSH_ISM_E10value_typeET4_T5_PSR_SS_PNS1_23onesweep_lookback_stateEbbT6_jjT7_P12ihipStream_tbENKUlT_T0_SG_SL_E_clIS7_S7_SB_SB_EEDaSZ_S10_SG_SL_EUlSZ_E_NS1_11comp_targetILNS1_3genE5ELNS1_11target_archE942ELNS1_3gpuE9ELNS1_3repE0EEENS1_47radix_sort_onesweep_sort_config_static_selectorELNS0_4arch9wavefront6targetE1EEEvSG_,comdat
	.protected	_ZN7rocprim17ROCPRIM_400000_NS6detail17trampoline_kernelINS0_14default_configENS1_35radix_sort_onesweep_config_selectorIalEEZZNS1_29radix_sort_onesweep_iterationIS3_Lb0EPaS7_N6thrust23THRUST_200600_302600_NS10device_ptrIlEESB_jNS0_19identity_decomposerENS1_16block_id_wrapperIjLb0EEEEE10hipError_tT1_PNSt15iterator_traitsISG_E10value_typeET2_T3_PNSH_ISM_E10value_typeET4_T5_PSR_SS_PNS1_23onesweep_lookback_stateEbbT6_jjT7_P12ihipStream_tbENKUlT_T0_SG_SL_E_clIS7_S7_SB_SB_EEDaSZ_S10_SG_SL_EUlSZ_E_NS1_11comp_targetILNS1_3genE5ELNS1_11target_archE942ELNS1_3gpuE9ELNS1_3repE0EEENS1_47radix_sort_onesweep_sort_config_static_selectorELNS0_4arch9wavefront6targetE1EEEvSG_ ; -- Begin function _ZN7rocprim17ROCPRIM_400000_NS6detail17trampoline_kernelINS0_14default_configENS1_35radix_sort_onesweep_config_selectorIalEEZZNS1_29radix_sort_onesweep_iterationIS3_Lb0EPaS7_N6thrust23THRUST_200600_302600_NS10device_ptrIlEESB_jNS0_19identity_decomposerENS1_16block_id_wrapperIjLb0EEEEE10hipError_tT1_PNSt15iterator_traitsISG_E10value_typeET2_T3_PNSH_ISM_E10value_typeET4_T5_PSR_SS_PNS1_23onesweep_lookback_stateEbbT6_jjT7_P12ihipStream_tbENKUlT_T0_SG_SL_E_clIS7_S7_SB_SB_EEDaSZ_S10_SG_SL_EUlSZ_E_NS1_11comp_targetILNS1_3genE5ELNS1_11target_archE942ELNS1_3gpuE9ELNS1_3repE0EEENS1_47radix_sort_onesweep_sort_config_static_selectorELNS0_4arch9wavefront6targetE1EEEvSG_
	.globl	_ZN7rocprim17ROCPRIM_400000_NS6detail17trampoline_kernelINS0_14default_configENS1_35radix_sort_onesweep_config_selectorIalEEZZNS1_29radix_sort_onesweep_iterationIS3_Lb0EPaS7_N6thrust23THRUST_200600_302600_NS10device_ptrIlEESB_jNS0_19identity_decomposerENS1_16block_id_wrapperIjLb0EEEEE10hipError_tT1_PNSt15iterator_traitsISG_E10value_typeET2_T3_PNSH_ISM_E10value_typeET4_T5_PSR_SS_PNS1_23onesweep_lookback_stateEbbT6_jjT7_P12ihipStream_tbENKUlT_T0_SG_SL_E_clIS7_S7_SB_SB_EEDaSZ_S10_SG_SL_EUlSZ_E_NS1_11comp_targetILNS1_3genE5ELNS1_11target_archE942ELNS1_3gpuE9ELNS1_3repE0EEENS1_47radix_sort_onesweep_sort_config_static_selectorELNS0_4arch9wavefront6targetE1EEEvSG_
	.p2align	8
	.type	_ZN7rocprim17ROCPRIM_400000_NS6detail17trampoline_kernelINS0_14default_configENS1_35radix_sort_onesweep_config_selectorIalEEZZNS1_29radix_sort_onesweep_iterationIS3_Lb0EPaS7_N6thrust23THRUST_200600_302600_NS10device_ptrIlEESB_jNS0_19identity_decomposerENS1_16block_id_wrapperIjLb0EEEEE10hipError_tT1_PNSt15iterator_traitsISG_E10value_typeET2_T3_PNSH_ISM_E10value_typeET4_T5_PSR_SS_PNS1_23onesweep_lookback_stateEbbT6_jjT7_P12ihipStream_tbENKUlT_T0_SG_SL_E_clIS7_S7_SB_SB_EEDaSZ_S10_SG_SL_EUlSZ_E_NS1_11comp_targetILNS1_3genE5ELNS1_11target_archE942ELNS1_3gpuE9ELNS1_3repE0EEENS1_47radix_sort_onesweep_sort_config_static_selectorELNS0_4arch9wavefront6targetE1EEEvSG_,@function
_ZN7rocprim17ROCPRIM_400000_NS6detail17trampoline_kernelINS0_14default_configENS1_35radix_sort_onesweep_config_selectorIalEEZZNS1_29radix_sort_onesweep_iterationIS3_Lb0EPaS7_N6thrust23THRUST_200600_302600_NS10device_ptrIlEESB_jNS0_19identity_decomposerENS1_16block_id_wrapperIjLb0EEEEE10hipError_tT1_PNSt15iterator_traitsISG_E10value_typeET2_T3_PNSH_ISM_E10value_typeET4_T5_PSR_SS_PNS1_23onesweep_lookback_stateEbbT6_jjT7_P12ihipStream_tbENKUlT_T0_SG_SL_E_clIS7_S7_SB_SB_EEDaSZ_S10_SG_SL_EUlSZ_E_NS1_11comp_targetILNS1_3genE5ELNS1_11target_archE942ELNS1_3gpuE9ELNS1_3repE0EEENS1_47radix_sort_onesweep_sort_config_static_selectorELNS0_4arch9wavefront6targetE1EEEvSG_: ; @_ZN7rocprim17ROCPRIM_400000_NS6detail17trampoline_kernelINS0_14default_configENS1_35radix_sort_onesweep_config_selectorIalEEZZNS1_29radix_sort_onesweep_iterationIS3_Lb0EPaS7_N6thrust23THRUST_200600_302600_NS10device_ptrIlEESB_jNS0_19identity_decomposerENS1_16block_id_wrapperIjLb0EEEEE10hipError_tT1_PNSt15iterator_traitsISG_E10value_typeET2_T3_PNSH_ISM_E10value_typeET4_T5_PSR_SS_PNS1_23onesweep_lookback_stateEbbT6_jjT7_P12ihipStream_tbENKUlT_T0_SG_SL_E_clIS7_S7_SB_SB_EEDaSZ_S10_SG_SL_EUlSZ_E_NS1_11comp_targetILNS1_3genE5ELNS1_11target_archE942ELNS1_3gpuE9ELNS1_3repE0EEENS1_47radix_sort_onesweep_sort_config_static_selectorELNS0_4arch9wavefront6targetE1EEEvSG_
; %bb.0:
	.section	.rodata,"a",@progbits
	.p2align	6, 0x0
	.amdhsa_kernel _ZN7rocprim17ROCPRIM_400000_NS6detail17trampoline_kernelINS0_14default_configENS1_35radix_sort_onesweep_config_selectorIalEEZZNS1_29radix_sort_onesweep_iterationIS3_Lb0EPaS7_N6thrust23THRUST_200600_302600_NS10device_ptrIlEESB_jNS0_19identity_decomposerENS1_16block_id_wrapperIjLb0EEEEE10hipError_tT1_PNSt15iterator_traitsISG_E10value_typeET2_T3_PNSH_ISM_E10value_typeET4_T5_PSR_SS_PNS1_23onesweep_lookback_stateEbbT6_jjT7_P12ihipStream_tbENKUlT_T0_SG_SL_E_clIS7_S7_SB_SB_EEDaSZ_S10_SG_SL_EUlSZ_E_NS1_11comp_targetILNS1_3genE5ELNS1_11target_archE942ELNS1_3gpuE9ELNS1_3repE0EEENS1_47radix_sort_onesweep_sort_config_static_selectorELNS0_4arch9wavefront6targetE1EEEvSG_
		.amdhsa_group_segment_fixed_size 0
		.amdhsa_private_segment_fixed_size 0
		.amdhsa_kernarg_size 88
		.amdhsa_user_sgpr_count 6
		.amdhsa_user_sgpr_private_segment_buffer 1
		.amdhsa_user_sgpr_dispatch_ptr 0
		.amdhsa_user_sgpr_queue_ptr 0
		.amdhsa_user_sgpr_kernarg_segment_ptr 1
		.amdhsa_user_sgpr_dispatch_id 0
		.amdhsa_user_sgpr_flat_scratch_init 0
		.amdhsa_user_sgpr_private_segment_size 0
		.amdhsa_uses_dynamic_stack 0
		.amdhsa_system_sgpr_private_segment_wavefront_offset 0
		.amdhsa_system_sgpr_workgroup_id_x 1
		.amdhsa_system_sgpr_workgroup_id_y 0
		.amdhsa_system_sgpr_workgroup_id_z 0
		.amdhsa_system_sgpr_workgroup_info 0
		.amdhsa_system_vgpr_workitem_id 0
		.amdhsa_next_free_vgpr 1
		.amdhsa_next_free_sgpr 0
		.amdhsa_reserve_vcc 0
		.amdhsa_reserve_flat_scratch 0
		.amdhsa_float_round_mode_32 0
		.amdhsa_float_round_mode_16_64 0
		.amdhsa_float_denorm_mode_32 3
		.amdhsa_float_denorm_mode_16_64 3
		.amdhsa_dx10_clamp 1
		.amdhsa_ieee_mode 1
		.amdhsa_fp16_overflow 0
		.amdhsa_exception_fp_ieee_invalid_op 0
		.amdhsa_exception_fp_denorm_src 0
		.amdhsa_exception_fp_ieee_div_zero 0
		.amdhsa_exception_fp_ieee_overflow 0
		.amdhsa_exception_fp_ieee_underflow 0
		.amdhsa_exception_fp_ieee_inexact 0
		.amdhsa_exception_int_div_zero 0
	.end_amdhsa_kernel
	.section	.text._ZN7rocprim17ROCPRIM_400000_NS6detail17trampoline_kernelINS0_14default_configENS1_35radix_sort_onesweep_config_selectorIalEEZZNS1_29radix_sort_onesweep_iterationIS3_Lb0EPaS7_N6thrust23THRUST_200600_302600_NS10device_ptrIlEESB_jNS0_19identity_decomposerENS1_16block_id_wrapperIjLb0EEEEE10hipError_tT1_PNSt15iterator_traitsISG_E10value_typeET2_T3_PNSH_ISM_E10value_typeET4_T5_PSR_SS_PNS1_23onesweep_lookback_stateEbbT6_jjT7_P12ihipStream_tbENKUlT_T0_SG_SL_E_clIS7_S7_SB_SB_EEDaSZ_S10_SG_SL_EUlSZ_E_NS1_11comp_targetILNS1_3genE5ELNS1_11target_archE942ELNS1_3gpuE9ELNS1_3repE0EEENS1_47radix_sort_onesweep_sort_config_static_selectorELNS0_4arch9wavefront6targetE1EEEvSG_,"axG",@progbits,_ZN7rocprim17ROCPRIM_400000_NS6detail17trampoline_kernelINS0_14default_configENS1_35radix_sort_onesweep_config_selectorIalEEZZNS1_29radix_sort_onesweep_iterationIS3_Lb0EPaS7_N6thrust23THRUST_200600_302600_NS10device_ptrIlEESB_jNS0_19identity_decomposerENS1_16block_id_wrapperIjLb0EEEEE10hipError_tT1_PNSt15iterator_traitsISG_E10value_typeET2_T3_PNSH_ISM_E10value_typeET4_T5_PSR_SS_PNS1_23onesweep_lookback_stateEbbT6_jjT7_P12ihipStream_tbENKUlT_T0_SG_SL_E_clIS7_S7_SB_SB_EEDaSZ_S10_SG_SL_EUlSZ_E_NS1_11comp_targetILNS1_3genE5ELNS1_11target_archE942ELNS1_3gpuE9ELNS1_3repE0EEENS1_47radix_sort_onesweep_sort_config_static_selectorELNS0_4arch9wavefront6targetE1EEEvSG_,comdat
.Lfunc_end629:
	.size	_ZN7rocprim17ROCPRIM_400000_NS6detail17trampoline_kernelINS0_14default_configENS1_35radix_sort_onesweep_config_selectorIalEEZZNS1_29radix_sort_onesweep_iterationIS3_Lb0EPaS7_N6thrust23THRUST_200600_302600_NS10device_ptrIlEESB_jNS0_19identity_decomposerENS1_16block_id_wrapperIjLb0EEEEE10hipError_tT1_PNSt15iterator_traitsISG_E10value_typeET2_T3_PNSH_ISM_E10value_typeET4_T5_PSR_SS_PNS1_23onesweep_lookback_stateEbbT6_jjT7_P12ihipStream_tbENKUlT_T0_SG_SL_E_clIS7_S7_SB_SB_EEDaSZ_S10_SG_SL_EUlSZ_E_NS1_11comp_targetILNS1_3genE5ELNS1_11target_archE942ELNS1_3gpuE9ELNS1_3repE0EEENS1_47radix_sort_onesweep_sort_config_static_selectorELNS0_4arch9wavefront6targetE1EEEvSG_, .Lfunc_end629-_ZN7rocprim17ROCPRIM_400000_NS6detail17trampoline_kernelINS0_14default_configENS1_35radix_sort_onesweep_config_selectorIalEEZZNS1_29radix_sort_onesweep_iterationIS3_Lb0EPaS7_N6thrust23THRUST_200600_302600_NS10device_ptrIlEESB_jNS0_19identity_decomposerENS1_16block_id_wrapperIjLb0EEEEE10hipError_tT1_PNSt15iterator_traitsISG_E10value_typeET2_T3_PNSH_ISM_E10value_typeET4_T5_PSR_SS_PNS1_23onesweep_lookback_stateEbbT6_jjT7_P12ihipStream_tbENKUlT_T0_SG_SL_E_clIS7_S7_SB_SB_EEDaSZ_S10_SG_SL_EUlSZ_E_NS1_11comp_targetILNS1_3genE5ELNS1_11target_archE942ELNS1_3gpuE9ELNS1_3repE0EEENS1_47radix_sort_onesweep_sort_config_static_selectorELNS0_4arch9wavefront6targetE1EEEvSG_
                                        ; -- End function
	.set _ZN7rocprim17ROCPRIM_400000_NS6detail17trampoline_kernelINS0_14default_configENS1_35radix_sort_onesweep_config_selectorIalEEZZNS1_29radix_sort_onesweep_iterationIS3_Lb0EPaS7_N6thrust23THRUST_200600_302600_NS10device_ptrIlEESB_jNS0_19identity_decomposerENS1_16block_id_wrapperIjLb0EEEEE10hipError_tT1_PNSt15iterator_traitsISG_E10value_typeET2_T3_PNSH_ISM_E10value_typeET4_T5_PSR_SS_PNS1_23onesweep_lookback_stateEbbT6_jjT7_P12ihipStream_tbENKUlT_T0_SG_SL_E_clIS7_S7_SB_SB_EEDaSZ_S10_SG_SL_EUlSZ_E_NS1_11comp_targetILNS1_3genE5ELNS1_11target_archE942ELNS1_3gpuE9ELNS1_3repE0EEENS1_47radix_sort_onesweep_sort_config_static_selectorELNS0_4arch9wavefront6targetE1EEEvSG_.num_vgpr, 0
	.set _ZN7rocprim17ROCPRIM_400000_NS6detail17trampoline_kernelINS0_14default_configENS1_35radix_sort_onesweep_config_selectorIalEEZZNS1_29radix_sort_onesweep_iterationIS3_Lb0EPaS7_N6thrust23THRUST_200600_302600_NS10device_ptrIlEESB_jNS0_19identity_decomposerENS1_16block_id_wrapperIjLb0EEEEE10hipError_tT1_PNSt15iterator_traitsISG_E10value_typeET2_T3_PNSH_ISM_E10value_typeET4_T5_PSR_SS_PNS1_23onesweep_lookback_stateEbbT6_jjT7_P12ihipStream_tbENKUlT_T0_SG_SL_E_clIS7_S7_SB_SB_EEDaSZ_S10_SG_SL_EUlSZ_E_NS1_11comp_targetILNS1_3genE5ELNS1_11target_archE942ELNS1_3gpuE9ELNS1_3repE0EEENS1_47radix_sort_onesweep_sort_config_static_selectorELNS0_4arch9wavefront6targetE1EEEvSG_.num_agpr, 0
	.set _ZN7rocprim17ROCPRIM_400000_NS6detail17trampoline_kernelINS0_14default_configENS1_35radix_sort_onesweep_config_selectorIalEEZZNS1_29radix_sort_onesweep_iterationIS3_Lb0EPaS7_N6thrust23THRUST_200600_302600_NS10device_ptrIlEESB_jNS0_19identity_decomposerENS1_16block_id_wrapperIjLb0EEEEE10hipError_tT1_PNSt15iterator_traitsISG_E10value_typeET2_T3_PNSH_ISM_E10value_typeET4_T5_PSR_SS_PNS1_23onesweep_lookback_stateEbbT6_jjT7_P12ihipStream_tbENKUlT_T0_SG_SL_E_clIS7_S7_SB_SB_EEDaSZ_S10_SG_SL_EUlSZ_E_NS1_11comp_targetILNS1_3genE5ELNS1_11target_archE942ELNS1_3gpuE9ELNS1_3repE0EEENS1_47radix_sort_onesweep_sort_config_static_selectorELNS0_4arch9wavefront6targetE1EEEvSG_.numbered_sgpr, 0
	.set _ZN7rocprim17ROCPRIM_400000_NS6detail17trampoline_kernelINS0_14default_configENS1_35radix_sort_onesweep_config_selectorIalEEZZNS1_29radix_sort_onesweep_iterationIS3_Lb0EPaS7_N6thrust23THRUST_200600_302600_NS10device_ptrIlEESB_jNS0_19identity_decomposerENS1_16block_id_wrapperIjLb0EEEEE10hipError_tT1_PNSt15iterator_traitsISG_E10value_typeET2_T3_PNSH_ISM_E10value_typeET4_T5_PSR_SS_PNS1_23onesweep_lookback_stateEbbT6_jjT7_P12ihipStream_tbENKUlT_T0_SG_SL_E_clIS7_S7_SB_SB_EEDaSZ_S10_SG_SL_EUlSZ_E_NS1_11comp_targetILNS1_3genE5ELNS1_11target_archE942ELNS1_3gpuE9ELNS1_3repE0EEENS1_47radix_sort_onesweep_sort_config_static_selectorELNS0_4arch9wavefront6targetE1EEEvSG_.num_named_barrier, 0
	.set _ZN7rocprim17ROCPRIM_400000_NS6detail17trampoline_kernelINS0_14default_configENS1_35radix_sort_onesweep_config_selectorIalEEZZNS1_29radix_sort_onesweep_iterationIS3_Lb0EPaS7_N6thrust23THRUST_200600_302600_NS10device_ptrIlEESB_jNS0_19identity_decomposerENS1_16block_id_wrapperIjLb0EEEEE10hipError_tT1_PNSt15iterator_traitsISG_E10value_typeET2_T3_PNSH_ISM_E10value_typeET4_T5_PSR_SS_PNS1_23onesweep_lookback_stateEbbT6_jjT7_P12ihipStream_tbENKUlT_T0_SG_SL_E_clIS7_S7_SB_SB_EEDaSZ_S10_SG_SL_EUlSZ_E_NS1_11comp_targetILNS1_3genE5ELNS1_11target_archE942ELNS1_3gpuE9ELNS1_3repE0EEENS1_47radix_sort_onesweep_sort_config_static_selectorELNS0_4arch9wavefront6targetE1EEEvSG_.private_seg_size, 0
	.set _ZN7rocprim17ROCPRIM_400000_NS6detail17trampoline_kernelINS0_14default_configENS1_35radix_sort_onesweep_config_selectorIalEEZZNS1_29radix_sort_onesweep_iterationIS3_Lb0EPaS7_N6thrust23THRUST_200600_302600_NS10device_ptrIlEESB_jNS0_19identity_decomposerENS1_16block_id_wrapperIjLb0EEEEE10hipError_tT1_PNSt15iterator_traitsISG_E10value_typeET2_T3_PNSH_ISM_E10value_typeET4_T5_PSR_SS_PNS1_23onesweep_lookback_stateEbbT6_jjT7_P12ihipStream_tbENKUlT_T0_SG_SL_E_clIS7_S7_SB_SB_EEDaSZ_S10_SG_SL_EUlSZ_E_NS1_11comp_targetILNS1_3genE5ELNS1_11target_archE942ELNS1_3gpuE9ELNS1_3repE0EEENS1_47radix_sort_onesweep_sort_config_static_selectorELNS0_4arch9wavefront6targetE1EEEvSG_.uses_vcc, 0
	.set _ZN7rocprim17ROCPRIM_400000_NS6detail17trampoline_kernelINS0_14default_configENS1_35radix_sort_onesweep_config_selectorIalEEZZNS1_29radix_sort_onesweep_iterationIS3_Lb0EPaS7_N6thrust23THRUST_200600_302600_NS10device_ptrIlEESB_jNS0_19identity_decomposerENS1_16block_id_wrapperIjLb0EEEEE10hipError_tT1_PNSt15iterator_traitsISG_E10value_typeET2_T3_PNSH_ISM_E10value_typeET4_T5_PSR_SS_PNS1_23onesweep_lookback_stateEbbT6_jjT7_P12ihipStream_tbENKUlT_T0_SG_SL_E_clIS7_S7_SB_SB_EEDaSZ_S10_SG_SL_EUlSZ_E_NS1_11comp_targetILNS1_3genE5ELNS1_11target_archE942ELNS1_3gpuE9ELNS1_3repE0EEENS1_47radix_sort_onesweep_sort_config_static_selectorELNS0_4arch9wavefront6targetE1EEEvSG_.uses_flat_scratch, 0
	.set _ZN7rocprim17ROCPRIM_400000_NS6detail17trampoline_kernelINS0_14default_configENS1_35radix_sort_onesweep_config_selectorIalEEZZNS1_29radix_sort_onesweep_iterationIS3_Lb0EPaS7_N6thrust23THRUST_200600_302600_NS10device_ptrIlEESB_jNS0_19identity_decomposerENS1_16block_id_wrapperIjLb0EEEEE10hipError_tT1_PNSt15iterator_traitsISG_E10value_typeET2_T3_PNSH_ISM_E10value_typeET4_T5_PSR_SS_PNS1_23onesweep_lookback_stateEbbT6_jjT7_P12ihipStream_tbENKUlT_T0_SG_SL_E_clIS7_S7_SB_SB_EEDaSZ_S10_SG_SL_EUlSZ_E_NS1_11comp_targetILNS1_3genE5ELNS1_11target_archE942ELNS1_3gpuE9ELNS1_3repE0EEENS1_47radix_sort_onesweep_sort_config_static_selectorELNS0_4arch9wavefront6targetE1EEEvSG_.has_dyn_sized_stack, 0
	.set _ZN7rocprim17ROCPRIM_400000_NS6detail17trampoline_kernelINS0_14default_configENS1_35radix_sort_onesweep_config_selectorIalEEZZNS1_29radix_sort_onesweep_iterationIS3_Lb0EPaS7_N6thrust23THRUST_200600_302600_NS10device_ptrIlEESB_jNS0_19identity_decomposerENS1_16block_id_wrapperIjLb0EEEEE10hipError_tT1_PNSt15iterator_traitsISG_E10value_typeET2_T3_PNSH_ISM_E10value_typeET4_T5_PSR_SS_PNS1_23onesweep_lookback_stateEbbT6_jjT7_P12ihipStream_tbENKUlT_T0_SG_SL_E_clIS7_S7_SB_SB_EEDaSZ_S10_SG_SL_EUlSZ_E_NS1_11comp_targetILNS1_3genE5ELNS1_11target_archE942ELNS1_3gpuE9ELNS1_3repE0EEENS1_47radix_sort_onesweep_sort_config_static_selectorELNS0_4arch9wavefront6targetE1EEEvSG_.has_recursion, 0
	.set _ZN7rocprim17ROCPRIM_400000_NS6detail17trampoline_kernelINS0_14default_configENS1_35radix_sort_onesweep_config_selectorIalEEZZNS1_29radix_sort_onesweep_iterationIS3_Lb0EPaS7_N6thrust23THRUST_200600_302600_NS10device_ptrIlEESB_jNS0_19identity_decomposerENS1_16block_id_wrapperIjLb0EEEEE10hipError_tT1_PNSt15iterator_traitsISG_E10value_typeET2_T3_PNSH_ISM_E10value_typeET4_T5_PSR_SS_PNS1_23onesweep_lookback_stateEbbT6_jjT7_P12ihipStream_tbENKUlT_T0_SG_SL_E_clIS7_S7_SB_SB_EEDaSZ_S10_SG_SL_EUlSZ_E_NS1_11comp_targetILNS1_3genE5ELNS1_11target_archE942ELNS1_3gpuE9ELNS1_3repE0EEENS1_47radix_sort_onesweep_sort_config_static_selectorELNS0_4arch9wavefront6targetE1EEEvSG_.has_indirect_call, 0
	.section	.AMDGPU.csdata,"",@progbits
; Kernel info:
; codeLenInByte = 0
; TotalNumSgprs: 4
; NumVgprs: 0
; ScratchSize: 0
; MemoryBound: 0
; FloatMode: 240
; IeeeMode: 1
; LDSByteSize: 0 bytes/workgroup (compile time only)
; SGPRBlocks: 0
; VGPRBlocks: 0
; NumSGPRsForWavesPerEU: 4
; NumVGPRsForWavesPerEU: 1
; Occupancy: 10
; WaveLimiterHint : 0
; COMPUTE_PGM_RSRC2:SCRATCH_EN: 0
; COMPUTE_PGM_RSRC2:USER_SGPR: 6
; COMPUTE_PGM_RSRC2:TRAP_HANDLER: 0
; COMPUTE_PGM_RSRC2:TGID_X_EN: 1
; COMPUTE_PGM_RSRC2:TGID_Y_EN: 0
; COMPUTE_PGM_RSRC2:TGID_Z_EN: 0
; COMPUTE_PGM_RSRC2:TIDIG_COMP_CNT: 0
	.section	.text._ZN7rocprim17ROCPRIM_400000_NS6detail17trampoline_kernelINS0_14default_configENS1_35radix_sort_onesweep_config_selectorIalEEZZNS1_29radix_sort_onesweep_iterationIS3_Lb0EPaS7_N6thrust23THRUST_200600_302600_NS10device_ptrIlEESB_jNS0_19identity_decomposerENS1_16block_id_wrapperIjLb0EEEEE10hipError_tT1_PNSt15iterator_traitsISG_E10value_typeET2_T3_PNSH_ISM_E10value_typeET4_T5_PSR_SS_PNS1_23onesweep_lookback_stateEbbT6_jjT7_P12ihipStream_tbENKUlT_T0_SG_SL_E_clIS7_S7_SB_SB_EEDaSZ_S10_SG_SL_EUlSZ_E_NS1_11comp_targetILNS1_3genE2ELNS1_11target_archE906ELNS1_3gpuE6ELNS1_3repE0EEENS1_47radix_sort_onesweep_sort_config_static_selectorELNS0_4arch9wavefront6targetE1EEEvSG_,"axG",@progbits,_ZN7rocprim17ROCPRIM_400000_NS6detail17trampoline_kernelINS0_14default_configENS1_35radix_sort_onesweep_config_selectorIalEEZZNS1_29radix_sort_onesweep_iterationIS3_Lb0EPaS7_N6thrust23THRUST_200600_302600_NS10device_ptrIlEESB_jNS0_19identity_decomposerENS1_16block_id_wrapperIjLb0EEEEE10hipError_tT1_PNSt15iterator_traitsISG_E10value_typeET2_T3_PNSH_ISM_E10value_typeET4_T5_PSR_SS_PNS1_23onesweep_lookback_stateEbbT6_jjT7_P12ihipStream_tbENKUlT_T0_SG_SL_E_clIS7_S7_SB_SB_EEDaSZ_S10_SG_SL_EUlSZ_E_NS1_11comp_targetILNS1_3genE2ELNS1_11target_archE906ELNS1_3gpuE6ELNS1_3repE0EEENS1_47radix_sort_onesweep_sort_config_static_selectorELNS0_4arch9wavefront6targetE1EEEvSG_,comdat
	.protected	_ZN7rocprim17ROCPRIM_400000_NS6detail17trampoline_kernelINS0_14default_configENS1_35radix_sort_onesweep_config_selectorIalEEZZNS1_29radix_sort_onesweep_iterationIS3_Lb0EPaS7_N6thrust23THRUST_200600_302600_NS10device_ptrIlEESB_jNS0_19identity_decomposerENS1_16block_id_wrapperIjLb0EEEEE10hipError_tT1_PNSt15iterator_traitsISG_E10value_typeET2_T3_PNSH_ISM_E10value_typeET4_T5_PSR_SS_PNS1_23onesweep_lookback_stateEbbT6_jjT7_P12ihipStream_tbENKUlT_T0_SG_SL_E_clIS7_S7_SB_SB_EEDaSZ_S10_SG_SL_EUlSZ_E_NS1_11comp_targetILNS1_3genE2ELNS1_11target_archE906ELNS1_3gpuE6ELNS1_3repE0EEENS1_47radix_sort_onesweep_sort_config_static_selectorELNS0_4arch9wavefront6targetE1EEEvSG_ ; -- Begin function _ZN7rocprim17ROCPRIM_400000_NS6detail17trampoline_kernelINS0_14default_configENS1_35radix_sort_onesweep_config_selectorIalEEZZNS1_29radix_sort_onesweep_iterationIS3_Lb0EPaS7_N6thrust23THRUST_200600_302600_NS10device_ptrIlEESB_jNS0_19identity_decomposerENS1_16block_id_wrapperIjLb0EEEEE10hipError_tT1_PNSt15iterator_traitsISG_E10value_typeET2_T3_PNSH_ISM_E10value_typeET4_T5_PSR_SS_PNS1_23onesweep_lookback_stateEbbT6_jjT7_P12ihipStream_tbENKUlT_T0_SG_SL_E_clIS7_S7_SB_SB_EEDaSZ_S10_SG_SL_EUlSZ_E_NS1_11comp_targetILNS1_3genE2ELNS1_11target_archE906ELNS1_3gpuE6ELNS1_3repE0EEENS1_47radix_sort_onesweep_sort_config_static_selectorELNS0_4arch9wavefront6targetE1EEEvSG_
	.globl	_ZN7rocprim17ROCPRIM_400000_NS6detail17trampoline_kernelINS0_14default_configENS1_35radix_sort_onesweep_config_selectorIalEEZZNS1_29radix_sort_onesweep_iterationIS3_Lb0EPaS7_N6thrust23THRUST_200600_302600_NS10device_ptrIlEESB_jNS0_19identity_decomposerENS1_16block_id_wrapperIjLb0EEEEE10hipError_tT1_PNSt15iterator_traitsISG_E10value_typeET2_T3_PNSH_ISM_E10value_typeET4_T5_PSR_SS_PNS1_23onesweep_lookback_stateEbbT6_jjT7_P12ihipStream_tbENKUlT_T0_SG_SL_E_clIS7_S7_SB_SB_EEDaSZ_S10_SG_SL_EUlSZ_E_NS1_11comp_targetILNS1_3genE2ELNS1_11target_archE906ELNS1_3gpuE6ELNS1_3repE0EEENS1_47radix_sort_onesweep_sort_config_static_selectorELNS0_4arch9wavefront6targetE1EEEvSG_
	.p2align	8
	.type	_ZN7rocprim17ROCPRIM_400000_NS6detail17trampoline_kernelINS0_14default_configENS1_35radix_sort_onesweep_config_selectorIalEEZZNS1_29radix_sort_onesweep_iterationIS3_Lb0EPaS7_N6thrust23THRUST_200600_302600_NS10device_ptrIlEESB_jNS0_19identity_decomposerENS1_16block_id_wrapperIjLb0EEEEE10hipError_tT1_PNSt15iterator_traitsISG_E10value_typeET2_T3_PNSH_ISM_E10value_typeET4_T5_PSR_SS_PNS1_23onesweep_lookback_stateEbbT6_jjT7_P12ihipStream_tbENKUlT_T0_SG_SL_E_clIS7_S7_SB_SB_EEDaSZ_S10_SG_SL_EUlSZ_E_NS1_11comp_targetILNS1_3genE2ELNS1_11target_archE906ELNS1_3gpuE6ELNS1_3repE0EEENS1_47radix_sort_onesweep_sort_config_static_selectorELNS0_4arch9wavefront6targetE1EEEvSG_,@function
_ZN7rocprim17ROCPRIM_400000_NS6detail17trampoline_kernelINS0_14default_configENS1_35radix_sort_onesweep_config_selectorIalEEZZNS1_29radix_sort_onesweep_iterationIS3_Lb0EPaS7_N6thrust23THRUST_200600_302600_NS10device_ptrIlEESB_jNS0_19identity_decomposerENS1_16block_id_wrapperIjLb0EEEEE10hipError_tT1_PNSt15iterator_traitsISG_E10value_typeET2_T3_PNSH_ISM_E10value_typeET4_T5_PSR_SS_PNS1_23onesweep_lookback_stateEbbT6_jjT7_P12ihipStream_tbENKUlT_T0_SG_SL_E_clIS7_S7_SB_SB_EEDaSZ_S10_SG_SL_EUlSZ_E_NS1_11comp_targetILNS1_3genE2ELNS1_11target_archE906ELNS1_3gpuE6ELNS1_3repE0EEENS1_47radix_sort_onesweep_sort_config_static_selectorELNS0_4arch9wavefront6targetE1EEEvSG_: ; @_ZN7rocprim17ROCPRIM_400000_NS6detail17trampoline_kernelINS0_14default_configENS1_35radix_sort_onesweep_config_selectorIalEEZZNS1_29radix_sort_onesweep_iterationIS3_Lb0EPaS7_N6thrust23THRUST_200600_302600_NS10device_ptrIlEESB_jNS0_19identity_decomposerENS1_16block_id_wrapperIjLb0EEEEE10hipError_tT1_PNSt15iterator_traitsISG_E10value_typeET2_T3_PNSH_ISM_E10value_typeET4_T5_PSR_SS_PNS1_23onesweep_lookback_stateEbbT6_jjT7_P12ihipStream_tbENKUlT_T0_SG_SL_E_clIS7_S7_SB_SB_EEDaSZ_S10_SG_SL_EUlSZ_E_NS1_11comp_targetILNS1_3genE2ELNS1_11target_archE906ELNS1_3gpuE6ELNS1_3repE0EEENS1_47radix_sort_onesweep_sort_config_static_selectorELNS0_4arch9wavefront6targetE1EEEvSG_
; %bb.0:
	s_add_u32 s0, s0, s7
	s_load_dwordx4 s[40:43], s[4:5], 0x44
	s_load_dwordx8 s[24:31], s[4:5], 0x0
	s_load_dwordx4 s[36:39], s[4:5], 0x28
	s_load_dwordx2 s[44:45], s[4:5], 0x38
	s_addc_u32 s1, s1, 0
	s_mov_b64 s[8:9], -1
	s_waitcnt lgkmcnt(0)
	s_cmp_ge_u32 s6, s42
	s_mul_i32 s34, s6, 0xc00
	v_mbcnt_lo_u32_b32 v17, -1, 0
	s_cbranch_scc0 .LBB630_78
; %bb.1:
	s_load_dword s7, s[4:5], 0x20
	s_mul_i32 s8, s42, 0xfffff400
	v_mbcnt_hi_u32_b32 v7, -1, v17
	v_and_b32_e32 v10, 63, v7
	v_and_b32_e32 v8, 0x1c0, v0
	s_waitcnt lgkmcnt(0)
	s_add_i32 s7, s7, s8
	s_add_u32 s8, s24, s34
	s_addc_u32 s9, s25, 0
	v_mov_b32_e32 v3, s9
	v_add_co_u32_e32 v4, vcc, s8, v10
	v_mul_u32_u24_e32 v9, 6, v8
	v_addc_co_u32_e32 v5, vcc, 0, v3, vcc
	v_add_co_u32_e32 v3, vcc, v4, v9
	v_addc_co_u32_e32 v4, vcc, 0, v5, vcc
	v_or_b32_e32 v11, v10, v9
	s_mov_b32 s35, 0
	v_cmp_gt_u32_e32 vcc, s7, v11
	v_mov_b32_e32 v6, 0x7f
	v_mov_b32_e32 v5, 0x7f
	v_mov_b32_e32 v14, 0x7f
	v_mov_b32_e32 v20, 0x7f
	v_mov_b32_e32 v22, 0x7f
	v_mov_b32_e32 v15, 0x7f
	s_and_saveexec_b64 s[8:9], vcc
	s_cbranch_execz .LBB630_3
; %bb.2:
	global_load_ubyte v5, v[3:4], off
	v_mov_b32_e32 v6, 0x7f
	v_mov_b32_e32 v14, 0x7f
	;; [unrolled: 1-line block ×5, first 2 shown]
.LBB630_3:
	s_or_b64 exec, exec, s[8:9]
	v_or_b32_e32 v12, 64, v11
	v_cmp_gt_u32_e64 s[20:21], s7, v12
	s_and_saveexec_b64 s[8:9], s[20:21]
	s_cbranch_execz .LBB630_5
; %bb.4:
	global_load_ubyte v14, v[3:4], off offset:64
.LBB630_5:
	s_or_b64 exec, exec, s[8:9]
	v_add_u32_e32 v12, 0x80, v11
	v_cmp_gt_u32_e64 s[8:9], s7, v12
	s_and_saveexec_b64 s[10:11], s[8:9]
	s_cbranch_execz .LBB630_7
; %bb.6:
	global_load_ubyte v20, v[3:4], off offset:128
.LBB630_7:
	s_or_b64 exec, exec, s[10:11]
	v_add_u32_e32 v12, 0xc0, v11
	;; [unrolled: 8-line block ×4, first 2 shown]
	v_cmp_gt_u32_e64 s[14:15], s7, v11
	s_and_saveexec_b64 s[16:17], s[14:15]
	s_cbranch_execz .LBB630_13
; %bb.12:
	global_load_ubyte v6, v[3:4], off offset:320
.LBB630_13:
	s_or_b64 exec, exec, s[16:17]
	s_load_dword s16, s[4:5], 0x64
	s_load_dword s33, s[4:5], 0x58
	s_add_u32 s17, s4, 0x58
	s_addc_u32 s18, s5, 0
	v_mov_b32_e32 v3, 0
	s_waitcnt lgkmcnt(0)
	s_lshr_b32 s19, s16, 16
	s_cmp_lt_u32 s6, s33
	s_cselect_b32 s16, 12, 18
	s_add_u32 s16, s17, s16
	s_addc_u32 s17, s18, 0
	global_load_ushort v13, v3, s[16:17]
	s_waitcnt vmcnt(1)
	v_xor_b32_e32 v11, 0xffffff80, v5
	s_lshl_b32 s16, -1, s41
	v_lshrrev_b32_sdwa v4, s40, v11 dst_sel:DWORD dst_unused:UNUSED_PAD src0_sel:DWORD src1_sel:BYTE_0
	s_not_b32 s50, s16
	v_and_b32_e32 v16, s50, v4
	v_and_b32_e32 v18, 1, v16
	v_add_co_u32_e64 v19, s[16:17], -1, v18
	v_lshlrev_b32_e32 v4, 30, v16
	v_addc_co_u32_e64 v23, s[16:17], 0, -1, s[16:17]
	v_mad_u32_u24 v5, v2, s19, v1
	v_cmp_ne_u32_e64 s[16:17], 0, v18
	v_cmp_gt_i64_e64 s[18:19], 0, v[3:4]
	v_not_b32_e32 v18, v4
	v_lshlrev_b32_e32 v4, 29, v16
	v_xor_b32_e32 v23, s17, v23
	v_xor_b32_e32 v19, s16, v19
	v_ashrrev_i32_e32 v18, 31, v18
	v_cmp_gt_i64_e64 s[16:17], 0, v[3:4]
	v_not_b32_e32 v24, v4
	v_lshlrev_b32_e32 v4, 28, v16
	v_and_b32_e32 v23, exec_hi, v23
	v_and_b32_e32 v19, exec_lo, v19
	v_xor_b32_e32 v25, s19, v18
	v_xor_b32_e32 v18, s18, v18
	v_ashrrev_i32_e32 v24, 31, v24
	v_cmp_gt_i64_e64 s[18:19], 0, v[3:4]
	v_not_b32_e32 v26, v4
	v_lshlrev_b32_e32 v4, 27, v16
	v_and_b32_e32 v23, v23, v25
	v_and_b32_e32 v18, v19, v18
	v_xor_b32_e32 v19, s17, v24
	v_xor_b32_e32 v24, s16, v24
	v_ashrrev_i32_e32 v25, 31, v26
	v_cmp_gt_i64_e64 s[16:17], 0, v[3:4]
	v_not_b32_e32 v26, v4
	v_lshlrev_b32_e32 v4, 26, v16
	v_and_b32_e32 v19, v23, v19
	v_and_b32_e32 v18, v18, v24
	;; [unrolled: 8-line block ×3, first 2 shown]
	v_xor_b32_e32 v23, s17, v25
	v_xor_b32_e32 v24, s16, v25
	v_ashrrev_i32_e32 v25, 31, v26
	v_cmp_gt_i64_e64 s[16:17], 0, v[3:4]
	v_not_b32_e32 v26, v4
	v_mul_u32_u24_e32 v21, 36, v16
	v_lshlrev_b32_e32 v4, 24, v16
	v_and_b32_e32 v16, v19, v23
	v_and_b32_e32 v18, v18, v24
	v_xor_b32_e32 v19, s19, v25
	v_xor_b32_e32 v23, s18, v25
	v_ashrrev_i32_e32 v24, 31, v26
	v_and_b32_e32 v16, v16, v19
	v_and_b32_e32 v18, v18, v23
	v_xor_b32_e32 v19, s17, v24
	v_xor_b32_e32 v23, s16, v24
	v_and_b32_e32 v16, v16, v19
	v_and_b32_e32 v23, v18, v23
	v_cmp_gt_i64_e64 s[18:19], 0, v[3:4]
	v_not_b32_e32 v4, v4
	v_ashrrev_i32_e32 v4, 31, v4
	v_xor_b32_e32 v24, s19, v4
	v_xor_b32_e32 v4, s18, v4
	v_and_b32_e32 v4, v23, v4
	v_mul_u32_u24_e32 v12, 20, v0
	ds_write2_b32 v12, v3, v3 offset0:8 offset1:9
	ds_write2_b32 v12, v3, v3 offset0:10 offset1:11
	ds_write_b32 v12, v3 offset:48
	s_waitcnt vmcnt(0) lgkmcnt(0)
	s_barrier
	; wave barrier
	v_mad_u64_u32 v[18:19], s[16:17], v5, v13, v[0:1]
	v_and_b32_e32 v5, v16, v24
	v_cmp_ne_u64_e64 s[16:17], 0, v[4:5]
	v_lshrrev_b32_e32 v13, 4, v18
	v_and_b32_e32 v29, 0xffffffc, v13
	v_mbcnt_lo_u32_b32 v13, v4, 0
	v_mbcnt_hi_u32_b32 v13, v5, v13
	v_cmp_eq_u32_e64 s[18:19], 0, v13
	s_and_b64 s[18:19], s[16:17], s[18:19]
	v_add_u32_e32 v16, v29, v21
	s_and_saveexec_b64 s[16:17], s[18:19]
; %bb.14:
	v_bcnt_u32_b32 v4, v4, 0
	v_bcnt_u32_b32 v4, v5, v4
	ds_write_b32 v16, v4 offset:32
; %bb.15:
	s_or_b64 exec, exec, s[16:17]
	v_xor_b32_e32 v14, 0xffffff80, v14
	v_lshrrev_b32_sdwa v4, s40, v14 dst_sel:DWORD dst_unused:UNUSED_PAD src0_sel:DWORD src1_sel:BYTE_0
	v_and_b32_e32 v5, s50, v4
	v_mad_u32_u24 v4, v5, 36, v29
	; wave barrier
	ds_read_b32 v18, v4 offset:32
	v_and_b32_e32 v4, 1, v5
	v_add_co_u32_e64 v19, s[16:17], -1, v4
	v_addc_co_u32_e64 v23, s[16:17], 0, -1, s[16:17]
	v_cmp_ne_u32_e64 s[16:17], 0, v4
	v_xor_b32_e32 v4, s17, v23
	v_and_b32_e32 v23, exec_hi, v4
	v_lshlrev_b32_e32 v4, 30, v5
	v_xor_b32_e32 v19, s16, v19
	v_cmp_gt_i64_e64 s[16:17], 0, v[3:4]
	v_not_b32_e32 v4, v4
	v_ashrrev_i32_e32 v4, 31, v4
	v_and_b32_e32 v19, exec_lo, v19
	v_xor_b32_e32 v24, s17, v4
	v_xor_b32_e32 v4, s16, v4
	v_and_b32_e32 v19, v19, v4
	v_lshlrev_b32_e32 v4, 29, v5
	v_cmp_gt_i64_e64 s[16:17], 0, v[3:4]
	v_not_b32_e32 v4, v4
	v_ashrrev_i32_e32 v4, 31, v4
	v_and_b32_e32 v23, v23, v24
	v_xor_b32_e32 v24, s17, v4
	v_xor_b32_e32 v4, s16, v4
	v_and_b32_e32 v19, v19, v4
	v_lshlrev_b32_e32 v4, 28, v5
	v_cmp_gt_i64_e64 s[16:17], 0, v[3:4]
	v_not_b32_e32 v4, v4
	v_ashrrev_i32_e32 v4, 31, v4
	v_and_b32_e32 v23, v23, v24
	;; [unrolled: 8-line block ×5, first 2 shown]
	v_xor_b32_e32 v24, s17, v4
	v_xor_b32_e32 v4, s16, v4
	v_and_b32_e32 v19, v19, v4
	v_lshlrev_b32_e32 v4, 24, v5
	v_cmp_gt_i64_e64 s[16:17], 0, v[3:4]
	v_not_b32_e32 v3, v4
	v_ashrrev_i32_e32 v3, 31, v3
	v_xor_b32_e32 v4, s17, v3
	v_xor_b32_e32 v3, s16, v3
	v_and_b32_e32 v23, v23, v24
	v_and_b32_e32 v3, v19, v3
	v_mul_u32_u24_e32 v21, 36, v5
	v_and_b32_e32 v4, v23, v4
	v_mbcnt_lo_u32_b32 v5, v3, 0
	v_mbcnt_hi_u32_b32 v19, v4, v5
	v_cmp_ne_u64_e64 s[16:17], 0, v[3:4]
	v_cmp_eq_u32_e64 s[18:19], 0, v19
	s_and_b64 s[18:19], s[16:17], s[18:19]
	v_add_u32_e32 v28, v29, v21
	; wave barrier
	s_and_saveexec_b64 s[16:17], s[18:19]
	s_cbranch_execz .LBB630_17
; %bb.16:
	v_bcnt_u32_b32 v3, v3, 0
	v_bcnt_u32_b32 v3, v4, v3
	s_waitcnt lgkmcnt(0)
	v_add_u32_e32 v3, v18, v3
	ds_write_b32 v28, v3 offset:32
.LBB630_17:
	s_or_b64 exec, exec, s[16:17]
	v_xor_b32_e32 v26, 0xffffff80, v20
	v_lshrrev_b32_sdwa v3, s40, v26 dst_sel:DWORD dst_unused:UNUSED_PAD src0_sel:DWORD src1_sel:BYTE_0
	v_and_b32_e32 v5, s50, v3
	v_and_b32_e32 v4, 1, v5
	v_add_co_u32_e64 v21, s[16:17], -1, v4
	v_addc_co_u32_e64 v24, s[16:17], 0, -1, s[16:17]
	v_cmp_ne_u32_e64 s[16:17], 0, v4
	v_mad_u32_u24 v3, v5, 36, v29
	v_xor_b32_e32 v4, s17, v24
	; wave barrier
	ds_read_b32 v20, v3 offset:32
	v_mov_b32_e32 v3, 0
	v_and_b32_e32 v24, exec_hi, v4
	v_lshlrev_b32_e32 v4, 30, v5
	v_xor_b32_e32 v21, s16, v21
	v_cmp_gt_i64_e64 s[16:17], 0, v[3:4]
	v_not_b32_e32 v4, v4
	v_ashrrev_i32_e32 v4, 31, v4
	v_and_b32_e32 v21, exec_lo, v21
	v_xor_b32_e32 v25, s17, v4
	v_xor_b32_e32 v4, s16, v4
	v_and_b32_e32 v21, v21, v4
	v_lshlrev_b32_e32 v4, 29, v5
	v_cmp_gt_i64_e64 s[16:17], 0, v[3:4]
	v_not_b32_e32 v4, v4
	v_ashrrev_i32_e32 v4, 31, v4
	v_and_b32_e32 v24, v24, v25
	v_xor_b32_e32 v25, s17, v4
	v_xor_b32_e32 v4, s16, v4
	v_and_b32_e32 v21, v21, v4
	v_lshlrev_b32_e32 v4, 28, v5
	v_cmp_gt_i64_e64 s[16:17], 0, v[3:4]
	v_not_b32_e32 v4, v4
	v_ashrrev_i32_e32 v4, 31, v4
	v_and_b32_e32 v24, v24, v25
	;; [unrolled: 8-line block ×5, first 2 shown]
	v_xor_b32_e32 v25, s17, v4
	v_xor_b32_e32 v4, s16, v4
	v_and_b32_e32 v21, v21, v4
	v_lshlrev_b32_e32 v4, 24, v5
	v_cmp_gt_i64_e64 s[16:17], 0, v[3:4]
	v_not_b32_e32 v4, v4
	v_ashrrev_i32_e32 v4, 31, v4
	v_mul_u32_u24_e32 v23, 36, v5
	v_xor_b32_e32 v5, s17, v4
	v_xor_b32_e32 v4, s16, v4
	v_and_b32_e32 v24, v24, v25
	v_and_b32_e32 v4, v21, v4
	;; [unrolled: 1-line block ×3, first 2 shown]
	v_mbcnt_lo_u32_b32 v21, v4, 0
	v_mbcnt_hi_u32_b32 v21, v5, v21
	v_cmp_ne_u64_e64 s[16:17], 0, v[4:5]
	v_cmp_eq_u32_e64 s[18:19], 0, v21
	s_and_b64 s[18:19], s[16:17], s[18:19]
	v_add_u32_e32 v32, v29, v23
	; wave barrier
	s_and_saveexec_b64 s[16:17], s[18:19]
	s_cbranch_execz .LBB630_19
; %bb.18:
	v_bcnt_u32_b32 v4, v4, 0
	v_bcnt_u32_b32 v4, v5, v4
	s_waitcnt lgkmcnt(0)
	v_add_u32_e32 v4, v20, v4
	ds_write_b32 v32, v4 offset:32
.LBB630_19:
	s_or_b64 exec, exec, s[16:17]
	v_xor_b32_e32 v31, 0xffffff80, v22
	v_lshrrev_b32_sdwa v4, s40, v31 dst_sel:DWORD dst_unused:UNUSED_PAD src0_sel:DWORD src1_sel:BYTE_0
	v_and_b32_e32 v5, s50, v4
	v_mad_u32_u24 v4, v5, 36, v29
	; wave barrier
	ds_read_b32 v22, v4 offset:32
	v_and_b32_e32 v4, 1, v5
	v_add_co_u32_e64 v23, s[16:17], -1, v4
	v_addc_co_u32_e64 v25, s[16:17], 0, -1, s[16:17]
	v_cmp_ne_u32_e64 s[16:17], 0, v4
	v_xor_b32_e32 v4, s17, v25
	v_and_b32_e32 v25, exec_hi, v4
	v_lshlrev_b32_e32 v4, 30, v5
	v_xor_b32_e32 v23, s16, v23
	v_cmp_gt_i64_e64 s[16:17], 0, v[3:4]
	v_not_b32_e32 v4, v4
	v_ashrrev_i32_e32 v4, 31, v4
	v_and_b32_e32 v23, exec_lo, v23
	v_xor_b32_e32 v27, s17, v4
	v_xor_b32_e32 v4, s16, v4
	v_and_b32_e32 v23, v23, v4
	v_lshlrev_b32_e32 v4, 29, v5
	v_cmp_gt_i64_e64 s[16:17], 0, v[3:4]
	v_not_b32_e32 v4, v4
	v_ashrrev_i32_e32 v4, 31, v4
	v_and_b32_e32 v25, v25, v27
	v_xor_b32_e32 v27, s17, v4
	v_xor_b32_e32 v4, s16, v4
	v_and_b32_e32 v23, v23, v4
	v_lshlrev_b32_e32 v4, 28, v5
	v_cmp_gt_i64_e64 s[16:17], 0, v[3:4]
	v_not_b32_e32 v4, v4
	v_ashrrev_i32_e32 v4, 31, v4
	v_and_b32_e32 v25, v25, v27
	;; [unrolled: 8-line block ×5, first 2 shown]
	v_xor_b32_e32 v27, s17, v4
	v_xor_b32_e32 v4, s16, v4
	v_and_b32_e32 v23, v23, v4
	v_lshlrev_b32_e32 v4, 24, v5
	v_cmp_gt_i64_e64 s[16:17], 0, v[3:4]
	v_not_b32_e32 v3, v4
	v_ashrrev_i32_e32 v3, 31, v3
	v_xor_b32_e32 v4, s17, v3
	v_xor_b32_e32 v3, s16, v3
	v_and_b32_e32 v25, v25, v27
	v_and_b32_e32 v3, v23, v3
	v_mul_u32_u24_e32 v24, 36, v5
	v_and_b32_e32 v4, v25, v4
	v_mbcnt_lo_u32_b32 v5, v3, 0
	v_mbcnt_hi_u32_b32 v23, v4, v5
	v_cmp_ne_u64_e64 s[16:17], 0, v[3:4]
	v_cmp_eq_u32_e64 s[18:19], 0, v23
	s_and_b64 s[18:19], s[16:17], s[18:19]
	v_add_u32_e32 v35, v29, v24
	; wave barrier
	s_and_saveexec_b64 s[16:17], s[18:19]
	s_cbranch_execz .LBB630_21
; %bb.20:
	v_bcnt_u32_b32 v3, v3, 0
	v_bcnt_u32_b32 v3, v4, v3
	s_waitcnt lgkmcnt(0)
	v_add_u32_e32 v3, v22, v3
	ds_write_b32 v35, v3 offset:32
.LBB630_21:
	s_or_b64 exec, exec, s[16:17]
	v_xor_b32_e32 v15, 0xffffff80, v15
	v_lshrrev_b32_sdwa v3, s40, v15 dst_sel:DWORD dst_unused:UNUSED_PAD src0_sel:DWORD src1_sel:BYTE_0
	v_and_b32_e32 v5, s50, v3
	v_and_b32_e32 v4, 1, v5
	v_add_co_u32_e64 v25, s[16:17], -1, v4
	v_addc_co_u32_e64 v30, s[16:17], 0, -1, s[16:17]
	v_cmp_ne_u32_e64 s[16:17], 0, v4
	v_mad_u32_u24 v3, v5, 36, v29
	v_xor_b32_e32 v4, s17, v30
	; wave barrier
	ds_read_b32 v24, v3 offset:32
	v_mov_b32_e32 v3, 0
	v_and_b32_e32 v30, exec_hi, v4
	v_lshlrev_b32_e32 v4, 30, v5
	v_xor_b32_e32 v25, s16, v25
	v_cmp_gt_i64_e64 s[16:17], 0, v[3:4]
	v_not_b32_e32 v4, v4
	v_ashrrev_i32_e32 v4, 31, v4
	v_and_b32_e32 v25, exec_lo, v25
	v_xor_b32_e32 v33, s17, v4
	v_xor_b32_e32 v4, s16, v4
	v_and_b32_e32 v25, v25, v4
	v_lshlrev_b32_e32 v4, 29, v5
	v_cmp_gt_i64_e64 s[16:17], 0, v[3:4]
	v_not_b32_e32 v4, v4
	v_ashrrev_i32_e32 v4, 31, v4
	v_and_b32_e32 v30, v30, v33
	v_xor_b32_e32 v33, s17, v4
	v_xor_b32_e32 v4, s16, v4
	v_and_b32_e32 v25, v25, v4
	v_lshlrev_b32_e32 v4, 28, v5
	v_cmp_gt_i64_e64 s[16:17], 0, v[3:4]
	v_not_b32_e32 v4, v4
	v_ashrrev_i32_e32 v4, 31, v4
	v_and_b32_e32 v30, v30, v33
	;; [unrolled: 8-line block ×5, first 2 shown]
	v_xor_b32_e32 v33, s17, v4
	v_xor_b32_e32 v4, s16, v4
	v_and_b32_e32 v25, v25, v4
	v_lshlrev_b32_e32 v4, 24, v5
	v_cmp_gt_i64_e64 s[16:17], 0, v[3:4]
	v_not_b32_e32 v4, v4
	v_ashrrev_i32_e32 v4, 31, v4
	v_mul_u32_u24_e32 v27, 36, v5
	v_xor_b32_e32 v5, s17, v4
	v_xor_b32_e32 v4, s16, v4
	v_and_b32_e32 v30, v30, v33
	v_and_b32_e32 v4, v25, v4
	;; [unrolled: 1-line block ×3, first 2 shown]
	v_mbcnt_lo_u32_b32 v25, v4, 0
	v_mbcnt_hi_u32_b32 v25, v5, v25
	v_cmp_ne_u64_e64 s[16:17], 0, v[4:5]
	v_cmp_eq_u32_e64 s[18:19], 0, v25
	s_and_b64 s[18:19], s[16:17], s[18:19]
	v_add_u32_e32 v36, v29, v27
	; wave barrier
	s_and_saveexec_b64 s[16:17], s[18:19]
	s_cbranch_execz .LBB630_23
; %bb.22:
	v_bcnt_u32_b32 v4, v4, 0
	v_bcnt_u32_b32 v4, v5, v4
	s_waitcnt lgkmcnt(0)
	v_add_u32_e32 v4, v24, v4
	ds_write_b32 v36, v4 offset:32
.LBB630_23:
	s_or_b64 exec, exec, s[16:17]
	v_xor_b32_e32 v38, 0xffffff80, v6
	v_lshrrev_b32_sdwa v4, s40, v38 dst_sel:DWORD dst_unused:UNUSED_PAD src0_sel:DWORD src1_sel:BYTE_0
	v_and_b32_e32 v5, s50, v4
	v_mad_u32_u24 v4, v5, 36, v29
	; wave barrier
	ds_read_b32 v27, v4 offset:32
	v_and_b32_e32 v4, 1, v5
	v_add_co_u32_e64 v30, s[16:17], -1, v4
	v_addc_co_u32_e64 v33, s[16:17], 0, -1, s[16:17]
	v_cmp_ne_u32_e64 s[16:17], 0, v4
	v_xor_b32_e32 v4, s17, v33
	v_and_b32_e32 v33, exec_hi, v4
	v_lshlrev_b32_e32 v4, 30, v5
	v_xor_b32_e32 v30, s16, v30
	v_cmp_gt_i64_e64 s[16:17], 0, v[3:4]
	v_not_b32_e32 v4, v4
	v_ashrrev_i32_e32 v4, 31, v4
	v_and_b32_e32 v30, exec_lo, v30
	v_xor_b32_e32 v34, s17, v4
	v_xor_b32_e32 v4, s16, v4
	v_and_b32_e32 v30, v30, v4
	v_lshlrev_b32_e32 v4, 29, v5
	v_cmp_gt_i64_e64 s[16:17], 0, v[3:4]
	v_not_b32_e32 v4, v4
	v_ashrrev_i32_e32 v4, 31, v4
	v_and_b32_e32 v33, v33, v34
	v_xor_b32_e32 v34, s17, v4
	v_xor_b32_e32 v4, s16, v4
	v_and_b32_e32 v30, v30, v4
	v_lshlrev_b32_e32 v4, 28, v5
	v_cmp_gt_i64_e64 s[16:17], 0, v[3:4]
	v_not_b32_e32 v4, v4
	v_ashrrev_i32_e32 v4, 31, v4
	v_and_b32_e32 v33, v33, v34
	;; [unrolled: 8-line block ×5, first 2 shown]
	v_xor_b32_e32 v34, s17, v4
	v_xor_b32_e32 v4, s16, v4
	v_and_b32_e32 v30, v30, v4
	v_lshlrev_b32_e32 v4, 24, v5
	v_cmp_gt_i64_e64 s[16:17], 0, v[3:4]
	v_not_b32_e32 v3, v4
	v_ashrrev_i32_e32 v3, 31, v3
	v_xor_b32_e32 v4, s17, v3
	v_xor_b32_e32 v3, s16, v3
	v_and_b32_e32 v33, v33, v34
	v_and_b32_e32 v3, v30, v3
	v_mul_u32_u24_e32 v6, 36, v5
	v_and_b32_e32 v4, v33, v4
	v_mbcnt_lo_u32_b32 v5, v3, 0
	v_mbcnt_hi_u32_b32 v30, v4, v5
	v_cmp_ne_u64_e64 s[16:17], 0, v[3:4]
	v_cmp_eq_u32_e64 s[18:19], 0, v30
	s_and_b64 s[18:19], s[16:17], s[18:19]
	v_add_u32_e32 v29, v29, v6
	; wave barrier
	s_and_saveexec_b64 s[16:17], s[18:19]
	s_cbranch_execz .LBB630_25
; %bb.24:
	v_bcnt_u32_b32 v3, v3, 0
	v_bcnt_u32_b32 v3, v4, v3
	s_waitcnt lgkmcnt(0)
	v_add_u32_e32 v3, v27, v3
	ds_write_b32 v29, v3 offset:32
.LBB630_25:
	s_or_b64 exec, exec, s[16:17]
	; wave barrier
	s_waitcnt lgkmcnt(0)
	s_barrier
	ds_read2_b32 v[5:6], v12 offset0:8 offset1:9
	ds_read2_b32 v[3:4], v12 offset0:10 offset1:11
	ds_read_b32 v33, v12 offset:48
	v_min_u32_e32 v8, 0x1c0, v8
	v_or_b32_e32 v8, 63, v8
	s_waitcnt lgkmcnt(1)
	v_add3_u32 v34, v6, v5, v3
	s_waitcnt lgkmcnt(0)
	v_add3_u32 v33, v34, v4, v33
	v_and_b32_e32 v34, 15, v7
	v_cmp_ne_u32_e64 s[16:17], 0, v34
	v_mov_b32_dpp v37, v33 row_shr:1 row_mask:0xf bank_mask:0xf
	v_cndmask_b32_e64 v37, 0, v37, s[16:17]
	v_add_u32_e32 v33, v37, v33
	v_cmp_lt_u32_e64 s[16:17], 1, v34
	s_nop 0
	v_mov_b32_dpp v37, v33 row_shr:2 row_mask:0xf bank_mask:0xf
	v_cndmask_b32_e64 v37, 0, v37, s[16:17]
	v_add_u32_e32 v33, v33, v37
	v_cmp_lt_u32_e64 s[16:17], 3, v34
	s_nop 0
	;; [unrolled: 5-line block ×3, first 2 shown]
	v_mov_b32_dpp v37, v33 row_shr:8 row_mask:0xf bank_mask:0xf
	v_cndmask_b32_e64 v34, 0, v37, s[16:17]
	v_add_u32_e32 v33, v33, v34
	v_bfe_i32 v37, v7, 4, 1
	v_cmp_lt_u32_e64 s[16:17], 31, v7
	v_mov_b32_dpp v34, v33 row_bcast:15 row_mask:0xf bank_mask:0xf
	v_and_b32_e32 v34, v37, v34
	v_add_u32_e32 v33, v33, v34
	s_nop 1
	v_mov_b32_dpp v34, v33 row_bcast:31 row_mask:0xf bank_mask:0xf
	v_cndmask_b32_e64 v34, 0, v34, s[16:17]
	v_add_u32_e32 v33, v33, v34
	v_lshrrev_b32_e32 v34, 6, v0
	v_cmp_eq_u32_e64 s[16:17], v0, v8
	s_and_saveexec_b64 s[18:19], s[16:17]
; %bb.26:
	v_lshlrev_b32_e32 v8, 2, v34
	ds_write_b32 v8, v33
; %bb.27:
	s_or_b64 exec, exec, s[18:19]
	v_cmp_gt_u32_e64 s[16:17], 8, v0
	s_waitcnt lgkmcnt(0)
	s_barrier
	s_and_saveexec_b64 s[22:23], s[16:17]
	s_cbranch_execz .LBB630_29
; %bb.28:
	v_lshlrev_b32_e32 v8, 2, v0
	ds_read_b32 v37, v8
	v_and_b32_e32 v39, 7, v7
	v_cmp_ne_u32_e64 s[16:17], 0, v39
	v_cmp_lt_u32_e64 s[18:19], 1, v39
	s_waitcnt lgkmcnt(0)
	v_mov_b32_dpp v40, v37 row_shr:1 row_mask:0xf bank_mask:0xf
	v_cndmask_b32_e64 v40, 0, v40, s[16:17]
	v_add_u32_e32 v37, v40, v37
	v_cmp_lt_u32_e64 s[16:17], 3, v39
	s_nop 0
	v_mov_b32_dpp v40, v37 row_shr:2 row_mask:0xf bank_mask:0xf
	v_cndmask_b32_e64 v40, 0, v40, s[18:19]
	v_add_u32_e32 v37, v37, v40
	s_nop 1
	v_mov_b32_dpp v40, v37 row_shr:4 row_mask:0xf bank_mask:0xf
	v_cndmask_b32_e64 v39, 0, v40, s[16:17]
	v_add_u32_e32 v37, v37, v39
	ds_write_b32 v8, v37
.LBB630_29:
	s_or_b64 exec, exec, s[22:23]
	v_cmp_lt_u32_e64 s[16:17], 63, v0
	v_mov_b32_e32 v8, 0
	s_waitcnt lgkmcnt(0)
	s_barrier
	s_and_saveexec_b64 s[18:19], s[16:17]
; %bb.30:
	v_lshl_add_u32 v8, v34, 2, -4
	ds_read_b32 v8, v8
; %bb.31:
	s_or_b64 exec, exec, s[18:19]
	v_subrev_co_u32_e64 v34, s[16:17], 1, v7
	v_and_b32_e32 v37, 64, v7
	v_cmp_lt_i32_e64 s[18:19], v34, v37
	v_cndmask_b32_e64 v7, v34, v7, s[18:19]
	s_waitcnt lgkmcnt(0)
	v_add_u32_e32 v33, v8, v33
	v_lshlrev_b32_e32 v7, 2, v7
	ds_bpermute_b32 v7, v7, v33
	s_movk_i32 s22, 0x100
	v_cmp_gt_u32_e64 s[18:19], s22, v0
	s_waitcnt lgkmcnt(0)
	v_cndmask_b32_e64 v7, v7, v8, s[16:17]
	v_cmp_ne_u32_e64 s[16:17], 0, v0
	v_cndmask_b32_e64 v7, 0, v7, s[16:17]
	v_add_u32_e32 v5, v7, v5
	v_add_u32_e32 v6, v5, v6
	;; [unrolled: 1-line block ×4, first 2 shown]
	ds_write2_b32 v12, v7, v5 offset0:8 offset1:9
	ds_write2_b32 v12, v6, v3 offset0:10 offset1:11
	ds_write_b32 v12, v4 offset:48
	s_waitcnt lgkmcnt(0)
	s_barrier
	ds_read_b32 v3, v16 offset:32
	ds_read_b32 v33, v28 offset:32
	;; [unrolled: 1-line block ×6, first 2 shown]
	s_movk_i32 s16, 0xff
	v_cmp_lt_u32_e64 s[16:17], s16, v0
                                        ; implicit-def: $vgpr28
                                        ; implicit-def: $vgpr29
	s_and_saveexec_b64 s[42:43], s[18:19]
	s_cbranch_execz .LBB630_35
; %bb.32:
	v_mul_u32_u24_e32 v4, 36, v0
	ds_read_b32 v28, v4 offset:32
	v_add_u32_e32 v5, 1, v0
	v_cmp_ne_u32_e64 s[22:23], s22, v5
	v_mov_b32_e32 v4, 0xc00
	s_and_saveexec_b64 s[46:47], s[22:23]
; %bb.33:
	v_mul_u32_u24_e32 v4, 36, v5
	ds_read_b32 v4, v4 offset:32
; %bb.34:
	s_or_b64 exec, exec, s[46:47]
	s_waitcnt lgkmcnt(0)
	v_sub_u32_e32 v29, v4, v28
.LBB630_35:
	s_or_b64 exec, exec, s[42:43]
	s_waitcnt lgkmcnt(5)
	v_add_u32_e32 v32, v3, v13
	s_waitcnt lgkmcnt(3)
	v_add3_u32 v4, v21, v20, v34
	v_add3_u32 v3, v19, v18, v33
	s_waitcnt lgkmcnt(2)
	v_add3_u32 v5, v23, v22, v35
	s_waitcnt lgkmcnt(1)
	;; [unrolled: 2-line block ×3, first 2 shown]
	v_add3_u32 v7, v30, v27, v37
	s_barrier
	ds_write_b8 v32, v11 offset:1024
	ds_write_b8 v3, v14 offset:1024
	;; [unrolled: 1-line block ×6, first 2 shown]
	v_mov_b32_e32 v4, 0
	v_lshlrev_b32_e32 v26, 2, v0
	s_and_saveexec_b64 s[22:23], s[18:19]
	s_cbranch_execz .LBB630_45
; %bb.36:
	v_lshl_add_u32 v3, s6, 8, v0
	v_lshlrev_b64 v[5:6], 2, v[3:4]
	v_mov_b32_e32 v11, s45
	v_add_co_u32_e64 v5, s[18:19], s44, v5
	v_addc_co_u32_e64 v6, s[18:19], v11, v6, s[18:19]
	v_or_b32_e32 v3, 2.0, v29
	s_mov_b64 s[42:43], 0
	s_brev_b32 s51, -4
	s_mov_b32 s52, s6
	v_mov_b32_e32 v12, 0
	global_store_dword v[5:6], v3, off
                                        ; implicit-def: $sgpr18_sgpr19
	s_branch .LBB630_39
.LBB630_37:                             ;   in Loop: Header=BB630_39 Depth=1
	s_or_b64 exec, exec, s[48:49]
.LBB630_38:                             ;   in Loop: Header=BB630_39 Depth=1
	s_or_b64 exec, exec, s[46:47]
	v_and_b32_e32 v7, 0x3fffffff, v3
	v_add_u32_e32 v12, v7, v12
	v_cmp_gt_i32_e64 s[18:19], -2.0, v3
	s_and_b64 s[46:47], exec, s[18:19]
	s_or_b64 s[42:43], s[46:47], s[42:43]
	s_andn2_b64 exec, exec, s[42:43]
	s_cbranch_execz .LBB630_44
.LBB630_39:                             ; =>This Loop Header: Depth=1
                                        ;     Child Loop BB630_42 Depth 2
	s_or_b64 s[18:19], s[18:19], exec
	s_cmp_eq_u32 s52, 0
	s_cbranch_scc1 .LBB630_43
; %bb.40:                               ;   in Loop: Header=BB630_39 Depth=1
	s_add_i32 s52, s52, -1
	v_lshl_or_b32 v3, s52, 8, v0
	v_lshlrev_b64 v[7:8], 2, v[3:4]
	v_add_co_u32_e64 v7, s[18:19], s44, v7
	v_addc_co_u32_e64 v8, s[18:19], v11, v8, s[18:19]
	global_load_dword v3, v[7:8], off glc
	s_waitcnt vmcnt(0)
	v_cmp_gt_u32_e64 s[18:19], 2.0, v3
	s_and_saveexec_b64 s[46:47], s[18:19]
	s_cbranch_execz .LBB630_38
; %bb.41:                               ;   in Loop: Header=BB630_39 Depth=1
	s_mov_b64 s[48:49], 0
.LBB630_42:                             ;   Parent Loop BB630_39 Depth=1
                                        ; =>  This Inner Loop Header: Depth=2
	global_load_dword v3, v[7:8], off glc
	s_waitcnt vmcnt(0)
	v_cmp_lt_u32_e64 s[18:19], s51, v3
	s_or_b64 s[48:49], s[18:19], s[48:49]
	s_andn2_b64 exec, exec, s[48:49]
	s_cbranch_execnz .LBB630_42
	s_branch .LBB630_37
.LBB630_43:                             ;   in Loop: Header=BB630_39 Depth=1
                                        ; implicit-def: $sgpr52
	s_and_b64 s[46:47], exec, s[18:19]
	s_or_b64 s[42:43], s[46:47], s[42:43]
	s_andn2_b64 exec, exec, s[42:43]
	s_cbranch_execnz .LBB630_39
.LBB630_44:
	s_or_b64 exec, exec, s[42:43]
	v_add_u32_e32 v3, v12, v29
	v_or_b32_e32 v3, 0x80000000, v3
	global_store_dword v[5:6], v3, off
	global_load_dword v3, v26, s[36:37]
	v_sub_u32_e32 v4, v12, v28
	s_waitcnt vmcnt(0)
	v_add_u32_e32 v3, v4, v3
	ds_write_b32 v26, v3
.LBB630_45:
	s_or_b64 exec, exec, s[22:23]
	v_cmp_gt_u32_e64 s[18:19], s7, v0
	s_waitcnt lgkmcnt(0)
	s_barrier
	s_and_saveexec_b64 s[22:23], s[18:19]
	s_cbranch_execz .LBB630_47
; %bb.46:
	ds_read_u8 v3, v0 offset:1024
	s_waitcnt lgkmcnt(0)
	v_lshrrev_b32_sdwa v4, s40, v3 dst_sel:DWORD dst_unused:UNUSED_PAD src0_sel:DWORD src1_sel:BYTE_0
	v_and_b32_e32 v4, s50, v4
	v_lshlrev_b32_e32 v5, 2, v4
	ds_read_b32 v5, v5
	v_xor_b32_e32 v3, 0x80, v3
	buffer_store_dword v4, off, s[0:3], 0
	s_waitcnt lgkmcnt(0)
	v_add_u32_e32 v5, v5, v0
	global_store_byte v5, v3, s[26:27]
.LBB630_47:
	s_or_b64 exec, exec, s[22:23]
	v_or_b32_e32 v3, 0x200, v0
	v_cmp_gt_u32_e64 s[18:19], s7, v3
	s_and_saveexec_b64 s[22:23], s[18:19]
	s_cbranch_execz .LBB630_49
; %bb.48:
	ds_read_u8 v4, v0 offset:1536
	s_waitcnt lgkmcnt(0)
	v_lshrrev_b32_sdwa v5, s40, v4 dst_sel:DWORD dst_unused:UNUSED_PAD src0_sel:DWORD src1_sel:BYTE_0
	v_and_b32_e32 v5, s50, v5
	v_lshlrev_b32_e32 v6, 2, v5
	ds_read_b32 v6, v6
	v_xor_b32_e32 v4, 0x80, v4
	buffer_store_dword v5, off, s[0:3], 0 offset:4
	s_waitcnt lgkmcnt(0)
	v_add_u32_e32 v3, v6, v3
	global_store_byte v3, v4, s[26:27]
.LBB630_49:
	s_or_b64 exec, exec, s[22:23]
	v_or_b32_e32 v3, 0x400, v0
	v_cmp_gt_u32_e64 s[18:19], s7, v3
	s_and_saveexec_b64 s[22:23], s[18:19]
	s_cbranch_execz .LBB630_51
; %bb.50:
	ds_read_u8 v4, v0 offset:2048
	s_waitcnt lgkmcnt(0)
	v_lshrrev_b32_sdwa v5, s40, v4 dst_sel:DWORD dst_unused:UNUSED_PAD src0_sel:DWORD src1_sel:BYTE_0
	v_and_b32_e32 v5, s50, v5
	v_lshlrev_b32_e32 v6, 2, v5
	ds_read_b32 v6, v6
	v_xor_b32_e32 v4, 0x80, v4
	buffer_store_dword v5, off, s[0:3], 0 offset:8
	s_waitcnt lgkmcnt(0)
	v_add_u32_e32 v3, v6, v3
	global_store_byte v3, v4, s[26:27]
.LBB630_51:
	s_or_b64 exec, exec, s[22:23]
	v_or_b32_e32 v3, 0x600, v0
	v_cmp_gt_u32_e64 s[18:19], s7, v3
	s_and_saveexec_b64 s[22:23], s[18:19]
	s_cbranch_execz .LBB630_53
; %bb.52:
	ds_read_u8 v4, v0 offset:2560
	s_waitcnt lgkmcnt(0)
	v_lshrrev_b32_sdwa v5, s40, v4 dst_sel:DWORD dst_unused:UNUSED_PAD src0_sel:DWORD src1_sel:BYTE_0
	v_and_b32_e32 v5, s50, v5
	v_lshlrev_b32_e32 v6, 2, v5
	ds_read_b32 v6, v6
	v_xor_b32_e32 v4, 0x80, v4
	buffer_store_dword v5, off, s[0:3], 0 offset:12
	s_waitcnt lgkmcnt(0)
	v_add_u32_e32 v3, v6, v3
	global_store_byte v3, v4, s[26:27]
.LBB630_53:
	s_or_b64 exec, exec, s[22:23]
	v_or_b32_e32 v3, 0x800, v0
	v_cmp_gt_u32_e64 s[18:19], s7, v3
	s_and_saveexec_b64 s[22:23], s[18:19]
	s_cbranch_execz .LBB630_55
; %bb.54:
	ds_read_u8 v4, v0 offset:3072
	s_waitcnt lgkmcnt(0)
	v_lshrrev_b32_sdwa v5, s40, v4 dst_sel:DWORD dst_unused:UNUSED_PAD src0_sel:DWORD src1_sel:BYTE_0
	v_and_b32_e32 v5, s50, v5
	v_lshlrev_b32_e32 v6, 2, v5
	ds_read_b32 v6, v6
	v_xor_b32_e32 v4, 0x80, v4
	buffer_store_dword v5, off, s[0:3], 0 offset:16
	s_waitcnt lgkmcnt(0)
	v_add_u32_e32 v3, v6, v3
	global_store_byte v3, v4, s[26:27]
.LBB630_55:
	s_or_b64 exec, exec, s[22:23]
	v_or_b32_e32 v3, 0xa00, v0
	v_cmp_gt_u32_e64 s[18:19], s7, v3
	s_and_saveexec_b64 s[22:23], s[18:19]
	s_cbranch_execz .LBB630_57
; %bb.56:
	ds_read_u8 v4, v0 offset:3584
	s_waitcnt lgkmcnt(0)
	v_lshrrev_b32_sdwa v5, s40, v4 dst_sel:DWORD dst_unused:UNUSED_PAD src0_sel:DWORD src1_sel:BYTE_0
	v_and_b32_e32 v5, s50, v5
	v_lshlrev_b32_e32 v6, 2, v5
	ds_read_b32 v6, v6
	v_xor_b32_e32 v4, 0x80, v4
	buffer_store_dword v5, off, s[0:3], 0 offset:20
	s_waitcnt lgkmcnt(0)
	v_add_u32_e32 v3, v6, v3
	global_store_byte v3, v4, s[26:27]
.LBB630_57:
	s_or_b64 exec, exec, s[22:23]
	s_lshl_b64 s[18:19], s[34:35], 3
	s_add_u32 s18, s28, s18
	s_addc_u32 s19, s29, s19
	v_lshlrev_b32_e32 v3, 3, v10
	v_mov_b32_e32 v4, s19
	v_add_co_u32_e64 v3, s[18:19], s18, v3
	v_addc_co_u32_e64 v4, s[18:19], 0, v4, s[18:19]
	v_lshlrev_b32_e32 v5, 3, v9
	v_add_co_u32_e64 v15, s[18:19], v3, v5
	v_addc_co_u32_e64 v16, s[18:19], 0, v4, s[18:19]
                                        ; implicit-def: $vgpr3_vgpr4
	s_and_saveexec_b64 s[18:19], vcc
	s_xor_b64 s[18:19], exec, s[18:19]
	s_cbranch_execz .LBB630_63
; %bb.58:
	global_load_dwordx2 v[3:4], v[15:16], off
	s_or_b64 exec, exec, s[18:19]
                                        ; implicit-def: $vgpr5_vgpr6
	s_and_saveexec_b64 s[18:19], s[20:21]
	s_cbranch_execnz .LBB630_64
.LBB630_59:
	s_or_b64 exec, exec, s[18:19]
                                        ; implicit-def: $vgpr7_vgpr8
	s_and_saveexec_b64 s[18:19], s[8:9]
	s_cbranch_execz .LBB630_65
.LBB630_60:
	global_load_dwordx2 v[7:8], v[15:16], off offset:1024
	s_or_b64 exec, exec, s[18:19]
                                        ; implicit-def: $vgpr9_vgpr10
	s_and_saveexec_b64 s[8:9], s[10:11]
	s_cbranch_execnz .LBB630_66
.LBB630_61:
	s_or_b64 exec, exec, s[8:9]
                                        ; implicit-def: $vgpr11_vgpr12
	s_and_saveexec_b64 s[8:9], s[12:13]
	s_cbranch_execz .LBB630_67
.LBB630_62:
	global_load_dwordx2 v[11:12], v[15:16], off offset:2048
	s_or_b64 exec, exec, s[8:9]
                                        ; implicit-def: $vgpr13_vgpr14
	s_and_saveexec_b64 s[8:9], s[14:15]
	s_cbranch_execnz .LBB630_68
	s_branch .LBB630_69
.LBB630_63:
	s_or_b64 exec, exec, s[18:19]
                                        ; implicit-def: $vgpr5_vgpr6
	s_and_saveexec_b64 s[18:19], s[20:21]
	s_cbranch_execz .LBB630_59
.LBB630_64:
	global_load_dwordx2 v[5:6], v[15:16], off offset:512
	s_or_b64 exec, exec, s[18:19]
                                        ; implicit-def: $vgpr7_vgpr8
	s_and_saveexec_b64 s[18:19], s[8:9]
	s_cbranch_execnz .LBB630_60
.LBB630_65:
	s_or_b64 exec, exec, s[18:19]
                                        ; implicit-def: $vgpr9_vgpr10
	s_and_saveexec_b64 s[8:9], s[10:11]
	s_cbranch_execz .LBB630_61
.LBB630_66:
	global_load_dwordx2 v[9:10], v[15:16], off offset:1536
	s_or_b64 exec, exec, s[8:9]
                                        ; implicit-def: $vgpr11_vgpr12
	s_and_saveexec_b64 s[8:9], s[12:13]
	s_cbranch_execnz .LBB630_62
.LBB630_67:
	s_or_b64 exec, exec, s[8:9]
                                        ; implicit-def: $vgpr13_vgpr14
	s_and_saveexec_b64 s[8:9], s[14:15]
	s_cbranch_execz .LBB630_69
.LBB630_68:
	global_load_dwordx2 v[13:14], v[15:16], off offset:2560
.LBB630_69:
	s_or_b64 exec, exec, s[8:9]
	v_lshlrev_b32_e32 v31, 3, v0
	v_add3_u32 v27, v30, v37, v27
	v_add3_u32 v24, v25, v36, v24
	;; [unrolled: 1-line block ×5, first 2 shown]
	s_mov_b32 s10, 0
	s_mov_b32 s11, 0
	v_mov_b32_e32 v16, 0
	s_movk_i32 s12, 0x200
	v_mov_b32_e32 v19, v0
	s_waitcnt vmcnt(0)
	s_barrier
	s_branch .LBB630_71
.LBB630_70:                             ;   in Loop: Header=BB630_71 Depth=1
	s_or_b64 exec, exec, s[8:9]
	s_addk_i32 s11, 0xfc00
	s_add_i32 s10, s10, 8
	s_cmpk_eq_i32 s11, 0xf400
	v_add_u32_e32 v19, 0x400, v19
	s_waitcnt vmcnt(0)
	s_barrier
	s_cbranch_scc1 .LBB630_75
.LBB630_71:                             ; =>This Inner Loop Header: Depth=1
	v_add_u32_e32 v15, s11, v32
	v_min_u32_e32 v15, 0x400, v15
	v_lshlrev_b32_e32 v15, 3, v15
	ds_write_b64 v15, v[3:4] offset:1024
	v_add_u32_e32 v15, s11, v18
	v_min_u32_e32 v15, 0x400, v15
	v_lshlrev_b32_e32 v15, 3, v15
	ds_write_b64 v15, v[5:6] offset:1024
	v_add_u32_e32 v15, s11, v20
	v_min_u32_e32 v15, 0x400, v15
	v_lshlrev_b32_e32 v15, 3, v15
	ds_write_b64 v15, v[7:8] offset:1024
	v_add_u32_e32 v15, s11, v22
	v_min_u32_e32 v15, 0x400, v15
	v_lshlrev_b32_e32 v15, 3, v15
	ds_write_b64 v15, v[9:10] offset:1024
	v_add_u32_e32 v15, s11, v24
	v_min_u32_e32 v15, 0x400, v15
	v_lshlrev_b32_e32 v15, 3, v15
	ds_write_b64 v15, v[11:12] offset:1024
	v_add_u32_e32 v15, s11, v27
	v_min_u32_e32 v15, 0x400, v15
	v_lshlrev_b32_e32 v15, 3, v15
	v_cmp_gt_u32_e32 vcc, s7, v19
	ds_write_b64 v15, v[13:14] offset:1024
	s_waitcnt lgkmcnt(0)
	s_barrier
	s_and_saveexec_b64 s[8:9], vcc
	s_cbranch_execz .LBB630_73
; %bb.72:                               ;   in Loop: Header=BB630_71 Depth=1
	v_mov_b32_e32 v15, s10
	buffer_load_dword v15, v15, s[0:3], 0 offen
	v_mov_b32_e32 v21, s31
	s_waitcnt vmcnt(0)
	v_lshlrev_b32_e32 v15, 2, v15
	ds_read_b32 v15, v15
	ds_read_b64 v[33:34], v31 offset:1024
	s_waitcnt lgkmcnt(1)
	v_add_u32_e32 v15, v19, v15
	v_lshlrev_b64 v[35:36], 3, v[15:16]
	v_add_co_u32_e32 v35, vcc, s30, v35
	v_addc_co_u32_e32 v36, vcc, v21, v36, vcc
	s_waitcnt lgkmcnt(0)
	global_store_dwordx2 v[35:36], v[33:34], off
.LBB630_73:                             ;   in Loop: Header=BB630_71 Depth=1
	s_or_b64 exec, exec, s[8:9]
	v_add_u32_e32 v15, 0x200, v19
	v_cmp_gt_u32_e32 vcc, s7, v15
	s_and_saveexec_b64 s[8:9], vcc
	s_cbranch_execz .LBB630_70
; %bb.74:                               ;   in Loop: Header=BB630_71 Depth=1
	v_mov_b32_e32 v15, s10
	buffer_load_dword v15, v15, s[0:3], 0 offen offset:4
	v_mov_b32_e32 v21, s31
	s_waitcnt vmcnt(0)
	v_lshlrev_b32_e32 v15, 2, v15
	ds_read_b32 v15, v15
	ds_read_b64 v[33:34], v31 offset:5120
	s_waitcnt lgkmcnt(1)
	v_add3_u32 v15, v19, v15, s12
	v_lshlrev_b64 v[35:36], 3, v[15:16]
	v_add_co_u32_e32 v35, vcc, s30, v35
	v_addc_co_u32_e32 v36, vcc, v21, v36, vcc
	s_waitcnt lgkmcnt(0)
	global_store_dwordx2 v[35:36], v[33:34], off
	s_branch .LBB630_70
.LBB630_75:
	s_add_i32 s33, s33, -1
	s_cmp_eq_u32 s6, s33
	s_cselect_b64 s[8:9], -1, 0
	s_xor_b64 s[10:11], s[16:17], -1
	s_and_b64 s[10:11], s[10:11], s[8:9]
	s_and_saveexec_b64 s[8:9], s[10:11]
	s_cbranch_execz .LBB630_77
; %bb.76:
	ds_read_b32 v3, v26
	s_waitcnt lgkmcnt(0)
	v_add3_u32 v3, v28, v29, v3
	global_store_dword v26, v3, s[38:39]
.LBB630_77:
	s_or_b64 exec, exec, s[8:9]
	s_mov_b64 s[8:9], 0
.LBB630_78:
	s_and_b64 vcc, exec, s[8:9]
	s_cbranch_vccz .LBB630_115
; %bb.79:
	s_add_u32 s7, s24, s34
	v_mbcnt_hi_u32_b32 v6, -1, v17
	s_addc_u32 s8, s25, 0
	v_and_b32_e32 v8, 63, v6
	v_and_b32_e32 v9, 0x1c0, v0
	v_mov_b32_e32 v3, s8
	v_add_co_u32_e32 v4, vcc, s7, v8
	v_mul_u32_u24_e32 v7, 6, v9
	v_addc_co_u32_e32 v3, vcc, 0, v3, vcc
	v_add_co_u32_e32 v4, vcc, v4, v7
	v_addc_co_u32_e32 v5, vcc, 0, v3, vcc
	global_load_ubyte v10, v[4:5], off
	s_load_dword s8, s[4:5], 0x64
	s_load_dword s7, s[4:5], 0x58
	s_add_u32 s4, s4, 0x58
	s_addc_u32 s5, s5, 0
	v_mov_b32_e32 v3, 0
	s_waitcnt lgkmcnt(0)
	s_lshr_b32 s8, s8, 16
	s_cmp_lt_u32 s6, s7
	s_cselect_b32 s9, 12, 18
	s_add_u32 s4, s4, s9
	s_addc_u32 s5, s5, 0
	global_load_ushort v11, v3, s[4:5]
	global_load_ubyte v13, v[4:5], off offset:64
	global_load_ubyte v16, v[4:5], off offset:128
	;; [unrolled: 1-line block ×5, first 2 shown]
	s_lshl_b32 s4, -1, s41
	s_not_b32 s16, s4
	v_mad_u32_u24 v1, v2, s8, v1
	s_mov_b32 s35, 0
	s_waitcnt vmcnt(6)
	v_xor_b32_e32 v10, 0x80, v10
	v_lshrrev_b32_e32 v4, s40, v10
	v_and_b32_e32 v14, s16, v4
	v_and_b32_e32 v5, 1, v14
	v_add_co_u32_e32 v12, vcc, -1, v5
	v_lshlrev_b32_e32 v4, 30, v14
	v_addc_co_u32_e64 v15, s[4:5], 0, -1, vcc
	v_cmp_ne_u32_e32 vcc, 0, v5
	v_cmp_gt_i64_e64 s[4:5], 0, v[3:4]
	v_not_b32_e32 v5, v4
	v_lshlrev_b32_e32 v4, 29, v14
	v_xor_b32_e32 v15, vcc_hi, v15
	v_ashrrev_i32_e32 v5, 31, v5
	v_xor_b32_e32 v12, vcc_lo, v12
	v_cmp_gt_i64_e32 vcc, 0, v[3:4]
	v_not_b32_e32 v17, v4
	v_lshlrev_b32_e32 v4, 28, v14
	v_and_b32_e32 v15, exec_hi, v15
	v_xor_b32_e32 v19, s5, v5
	v_and_b32_e32 v12, exec_lo, v12
	v_xor_b32_e32 v5, s4, v5
	v_ashrrev_i32_e32 v17, 31, v17
	v_cmp_gt_i64_e64 s[4:5], 0, v[3:4]
	v_not_b32_e32 v21, v4
	v_lshlrev_b32_e32 v4, 27, v14
	v_and_b32_e32 v15, v15, v19
	v_and_b32_e32 v5, v12, v5
	v_xor_b32_e32 v12, vcc_hi, v17
	v_xor_b32_e32 v17, vcc_lo, v17
	v_ashrrev_i32_e32 v19, 31, v21
	v_cmp_gt_i64_e32 vcc, 0, v[3:4]
	v_not_b32_e32 v21, v4
	v_lshlrev_b32_e32 v4, 26, v14
	v_and_b32_e32 v12, v15, v12
	v_and_b32_e32 v5, v5, v17
	v_xor_b32_e32 v15, s5, v19
	v_xor_b32_e32 v17, s4, v19
	v_ashrrev_i32_e32 v19, 31, v21
	v_cmp_gt_i64_e64 s[4:5], 0, v[3:4]
	v_not_b32_e32 v21, v4
	v_lshlrev_b32_e32 v4, 25, v14
	v_and_b32_e32 v12, v12, v15
	v_and_b32_e32 v5, v5, v17
	v_xor_b32_e32 v15, vcc_hi, v19
	v_xor_b32_e32 v17, vcc_lo, v19
	v_ashrrev_i32_e32 v19, 31, v21
	v_cmp_gt_i64_e32 vcc, 0, v[3:4]
	v_not_b32_e32 v21, v4
	v_lshlrev_b32_e32 v4, 24, v14
	v_and_b32_e32 v12, v12, v15
	v_and_b32_e32 v5, v5, v17
	v_xor_b32_e32 v15, s5, v19
	v_xor_b32_e32 v17, s4, v19
	v_ashrrev_i32_e32 v19, 31, v21
	v_cmp_gt_i64_e64 s[4:5], 0, v[3:4]
	v_not_b32_e32 v4, v4
	v_and_b32_e32 v12, v12, v15
	v_and_b32_e32 v5, v5, v17
	v_xor_b32_e32 v15, vcc_hi, v19
	v_xor_b32_e32 v17, vcc_lo, v19
	v_ashrrev_i32_e32 v4, 31, v4
	v_and_b32_e32 v12, v12, v15
	v_and_b32_e32 v15, v5, v17
	v_xor_b32_e32 v5, s5, v4
	v_xor_b32_e32 v4, s4, v4
	s_waitcnt vmcnt(5)
	v_mad_u64_u32 v[1:2], s[4:5], v1, v11, v[0:1]
	v_and_b32_e32 v4, v15, v4
	v_and_b32_e32 v5, v12, v5
	v_mbcnt_lo_u32_b32 v2, v4, 0
	v_lshrrev_b32_e32 v1, 4, v1
	v_mbcnt_hi_u32_b32 v11, v5, v2
	v_cmp_ne_u64_e32 vcc, 0, v[4:5]
	v_and_b32_e32 v25, 0xffffffc, v1
	v_mul_u32_u24_e32 v1, 36, v14
	v_cmp_eq_u32_e64 s[4:5], 0, v11
	v_mul_u32_u24_e32 v12, 20, v0
	s_and_b64 s[8:9], vcc, s[4:5]
	v_add_u32_e32 v14, v25, v1
	ds_write2_b32 v12, v3, v3 offset0:8 offset1:9
	ds_write2_b32 v12, v3, v3 offset0:10 offset1:11
	ds_write_b32 v12, v3 offset:48
	s_waitcnt vmcnt(0) lgkmcnt(0)
	s_barrier
	; wave barrier
	s_and_saveexec_b64 s[4:5], s[8:9]
; %bb.80:
	v_bcnt_u32_b32 v1, v4, 0
	v_bcnt_u32_b32 v1, v5, v1
	ds_write_b32 v14, v1 offset:32
; %bb.81:
	s_or_b64 exec, exec, s[4:5]
	v_xor_b32_e32 v5, 0xffffff80, v13
	v_lshrrev_b32_sdwa v1, s40, v5 dst_sel:DWORD dst_unused:UNUSED_PAD src0_sel:DWORD src1_sel:BYTE_0
	v_and_b32_e32 v1, s16, v1
	v_mad_u32_u24 v2, v1, 36, v25
	; wave barrier
	ds_read_b32 v13, v2 offset:32
	v_and_b32_e32 v2, 1, v1
	v_add_co_u32_e32 v4, vcc, -1, v2
	v_addc_co_u32_e64 v15, s[4:5], 0, -1, vcc
	v_cmp_ne_u32_e32 vcc, 0, v2
	v_xor_b32_e32 v4, vcc_lo, v4
	v_xor_b32_e32 v2, vcc_hi, v15
	v_and_b32_e32 v15, exec_lo, v4
	v_lshlrev_b32_e32 v4, 30, v1
	v_cmp_gt_i64_e32 vcc, 0, v[3:4]
	v_not_b32_e32 v4, v4
	v_ashrrev_i32_e32 v4, 31, v4
	v_xor_b32_e32 v19, vcc_hi, v4
	v_xor_b32_e32 v4, vcc_lo, v4
	v_and_b32_e32 v15, v15, v4
	v_lshlrev_b32_e32 v4, 29, v1
	v_cmp_gt_i64_e32 vcc, 0, v[3:4]
	v_not_b32_e32 v4, v4
	v_and_b32_e32 v2, exec_hi, v2
	v_ashrrev_i32_e32 v4, 31, v4
	v_and_b32_e32 v2, v2, v19
	v_xor_b32_e32 v19, vcc_hi, v4
	v_xor_b32_e32 v4, vcc_lo, v4
	v_and_b32_e32 v15, v15, v4
	v_lshlrev_b32_e32 v4, 28, v1
	v_cmp_gt_i64_e32 vcc, 0, v[3:4]
	v_not_b32_e32 v4, v4
	v_ashrrev_i32_e32 v4, 31, v4
	v_and_b32_e32 v2, v2, v19
	v_xor_b32_e32 v19, vcc_hi, v4
	v_xor_b32_e32 v4, vcc_lo, v4
	v_and_b32_e32 v15, v15, v4
	v_lshlrev_b32_e32 v4, 27, v1
	v_cmp_gt_i64_e32 vcc, 0, v[3:4]
	v_not_b32_e32 v4, v4
	;; [unrolled: 8-line block ×4, first 2 shown]
	v_ashrrev_i32_e32 v4, 31, v4
	v_and_b32_e32 v2, v2, v19
	v_xor_b32_e32 v19, vcc_hi, v4
	v_xor_b32_e32 v4, vcc_lo, v4
	v_and_b32_e32 v15, v15, v4
	v_lshlrev_b32_e32 v4, 24, v1
	v_mul_u32_u24_e32 v17, 36, v1
	v_cmp_gt_i64_e32 vcc, 0, v[3:4]
	v_not_b32_e32 v1, v4
	v_ashrrev_i32_e32 v1, 31, v1
	v_xor_b32_e32 v3, vcc_hi, v1
	v_xor_b32_e32 v1, vcc_lo, v1
	v_and_b32_e32 v2, v2, v19
	v_and_b32_e32 v1, v15, v1
	;; [unrolled: 1-line block ×3, first 2 shown]
	v_mbcnt_lo_u32_b32 v3, v1, 0
	v_mbcnt_hi_u32_b32 v15, v2, v3
	v_cmp_ne_u64_e32 vcc, 0, v[1:2]
	v_cmp_eq_u32_e64 s[4:5], 0, v15
	s_and_b64 s[8:9], vcc, s[4:5]
	v_add_u32_e32 v24, v25, v17
	; wave barrier
	s_and_saveexec_b64 s[4:5], s[8:9]
	s_cbranch_execz .LBB630_83
; %bb.82:
	v_bcnt_u32_b32 v1, v1, 0
	v_bcnt_u32_b32 v1, v2, v1
	s_waitcnt lgkmcnt(0)
	v_add_u32_e32 v1, v13, v1
	ds_write_b32 v24, v1 offset:32
.LBB630_83:
	s_or_b64 exec, exec, s[4:5]
	v_xor_b32_e32 v21, 0xffffff80, v16
	v_lshrrev_b32_sdwa v1, s40, v21 dst_sel:DWORD dst_unused:UNUSED_PAD src0_sel:DWORD src1_sel:BYTE_0
	v_and_b32_e32 v3, s16, v1
	v_and_b32_e32 v2, 1, v3
	v_add_co_u32_e32 v17, vcc, -1, v2
	v_addc_co_u32_e64 v19, s[4:5], 0, -1, vcc
	v_cmp_ne_u32_e32 vcc, 0, v2
	v_mad_u32_u24 v1, v3, 36, v25
	v_xor_b32_e32 v2, vcc_hi, v19
	; wave barrier
	ds_read_b32 v16, v1 offset:32
	v_mov_b32_e32 v1, 0
	v_and_b32_e32 v19, exec_hi, v2
	v_lshlrev_b32_e32 v2, 30, v3
	v_xor_b32_e32 v17, vcc_lo, v17
	v_cmp_gt_i64_e32 vcc, 0, v[1:2]
	v_not_b32_e32 v2, v2
	v_ashrrev_i32_e32 v2, 31, v2
	v_and_b32_e32 v17, exec_lo, v17
	v_xor_b32_e32 v22, vcc_hi, v2
	v_xor_b32_e32 v2, vcc_lo, v2
	v_and_b32_e32 v17, v17, v2
	v_lshlrev_b32_e32 v2, 29, v3
	v_cmp_gt_i64_e32 vcc, 0, v[1:2]
	v_not_b32_e32 v2, v2
	v_ashrrev_i32_e32 v2, 31, v2
	v_and_b32_e32 v19, v19, v22
	v_xor_b32_e32 v22, vcc_hi, v2
	v_xor_b32_e32 v2, vcc_lo, v2
	v_and_b32_e32 v17, v17, v2
	v_lshlrev_b32_e32 v2, 28, v3
	v_cmp_gt_i64_e32 vcc, 0, v[1:2]
	v_not_b32_e32 v2, v2
	v_ashrrev_i32_e32 v2, 31, v2
	v_and_b32_e32 v19, v19, v22
	;; [unrolled: 8-line block ×5, first 2 shown]
	v_xor_b32_e32 v22, vcc_hi, v2
	v_xor_b32_e32 v2, vcc_lo, v2
	v_and_b32_e32 v17, v17, v2
	v_lshlrev_b32_e32 v2, 24, v3
	v_cmp_gt_i64_e32 vcc, 0, v[1:2]
	v_not_b32_e32 v2, v2
	v_ashrrev_i32_e32 v2, 31, v2
	v_mul_u32_u24_e32 v4, 36, v3
	v_xor_b32_e32 v3, vcc_hi, v2
	v_xor_b32_e32 v2, vcc_lo, v2
	v_and_b32_e32 v19, v19, v22
	v_and_b32_e32 v2, v17, v2
	;; [unrolled: 1-line block ×3, first 2 shown]
	v_mbcnt_lo_u32_b32 v17, v2, 0
	v_mbcnt_hi_u32_b32 v17, v3, v17
	v_cmp_ne_u64_e32 vcc, 0, v[2:3]
	v_cmp_eq_u32_e64 s[4:5], 0, v17
	s_and_b64 s[8:9], vcc, s[4:5]
	v_add_u32_e32 v28, v25, v4
	; wave barrier
	s_and_saveexec_b64 s[4:5], s[8:9]
	s_cbranch_execz .LBB630_85
; %bb.84:
	v_bcnt_u32_b32 v2, v2, 0
	v_bcnt_u32_b32 v2, v3, v2
	s_waitcnt lgkmcnt(0)
	v_add_u32_e32 v2, v16, v2
	ds_write_b32 v28, v2 offset:32
.LBB630_85:
	s_or_b64 exec, exec, s[4:5]
	v_xor_b32_e32 v26, 0xffffff80, v18
	v_lshrrev_b32_sdwa v2, s40, v26 dst_sel:DWORD dst_unused:UNUSED_PAD src0_sel:DWORD src1_sel:BYTE_0
	v_and_b32_e32 v3, s16, v2
	v_mad_u32_u24 v2, v3, 36, v25
	; wave barrier
	ds_read_b32 v18, v2 offset:32
	v_and_b32_e32 v2, 1, v3
	v_add_co_u32_e32 v19, vcc, -1, v2
	v_addc_co_u32_e64 v22, s[4:5], 0, -1, vcc
	v_cmp_ne_u32_e32 vcc, 0, v2
	v_xor_b32_e32 v2, vcc_hi, v22
	v_and_b32_e32 v22, exec_hi, v2
	v_lshlrev_b32_e32 v2, 30, v3
	v_xor_b32_e32 v19, vcc_lo, v19
	v_cmp_gt_i64_e32 vcc, 0, v[1:2]
	v_not_b32_e32 v2, v2
	v_ashrrev_i32_e32 v2, 31, v2
	v_and_b32_e32 v19, exec_lo, v19
	v_xor_b32_e32 v27, vcc_hi, v2
	v_xor_b32_e32 v2, vcc_lo, v2
	v_and_b32_e32 v19, v19, v2
	v_lshlrev_b32_e32 v2, 29, v3
	v_cmp_gt_i64_e32 vcc, 0, v[1:2]
	v_not_b32_e32 v2, v2
	v_ashrrev_i32_e32 v2, 31, v2
	v_and_b32_e32 v22, v22, v27
	v_xor_b32_e32 v27, vcc_hi, v2
	v_xor_b32_e32 v2, vcc_lo, v2
	v_and_b32_e32 v19, v19, v2
	v_lshlrev_b32_e32 v2, 28, v3
	v_cmp_gt_i64_e32 vcc, 0, v[1:2]
	v_not_b32_e32 v2, v2
	v_ashrrev_i32_e32 v2, 31, v2
	v_and_b32_e32 v22, v22, v27
	;; [unrolled: 8-line block ×5, first 2 shown]
	v_xor_b32_e32 v27, vcc_hi, v2
	v_xor_b32_e32 v2, vcc_lo, v2
	v_and_b32_e32 v19, v19, v2
	v_lshlrev_b32_e32 v2, 24, v3
	v_cmp_gt_i64_e32 vcc, 0, v[1:2]
	v_not_b32_e32 v1, v2
	v_ashrrev_i32_e32 v1, 31, v1
	v_xor_b32_e32 v2, vcc_hi, v1
	v_xor_b32_e32 v1, vcc_lo, v1
	v_and_b32_e32 v22, v22, v27
	v_and_b32_e32 v1, v19, v1
	v_mul_u32_u24_e32 v4, 36, v3
	v_and_b32_e32 v2, v22, v2
	v_mbcnt_lo_u32_b32 v3, v1, 0
	v_mbcnt_hi_u32_b32 v19, v2, v3
	v_cmp_ne_u64_e32 vcc, 0, v[1:2]
	v_cmp_eq_u32_e64 s[4:5], 0, v19
	s_and_b64 s[8:9], vcc, s[4:5]
	v_add_u32_e32 v29, v25, v4
	; wave barrier
	s_and_saveexec_b64 s[4:5], s[8:9]
	s_cbranch_execz .LBB630_87
; %bb.86:
	v_bcnt_u32_b32 v1, v1, 0
	v_bcnt_u32_b32 v1, v2, v1
	s_waitcnt lgkmcnt(0)
	v_add_u32_e32 v1, v18, v1
	ds_write_b32 v29, v1 offset:32
.LBB630_87:
	s_or_b64 exec, exec, s[4:5]
	v_xor_b32_e32 v30, 0xffffff80, v20
	v_lshrrev_b32_sdwa v1, s40, v30 dst_sel:DWORD dst_unused:UNUSED_PAD src0_sel:DWORD src1_sel:BYTE_0
	v_and_b32_e32 v3, s16, v1
	v_and_b32_e32 v2, 1, v3
	v_add_co_u32_e32 v22, vcc, -1, v2
	v_addc_co_u32_e64 v27, s[4:5], 0, -1, vcc
	v_cmp_ne_u32_e32 vcc, 0, v2
	v_mad_u32_u24 v1, v3, 36, v25
	v_xor_b32_e32 v2, vcc_hi, v27
	; wave barrier
	ds_read_b32 v20, v1 offset:32
	v_mov_b32_e32 v1, 0
	v_and_b32_e32 v27, exec_hi, v2
	v_lshlrev_b32_e32 v2, 30, v3
	v_xor_b32_e32 v22, vcc_lo, v22
	v_cmp_gt_i64_e32 vcc, 0, v[1:2]
	v_not_b32_e32 v2, v2
	v_ashrrev_i32_e32 v2, 31, v2
	v_and_b32_e32 v22, exec_lo, v22
	v_xor_b32_e32 v31, vcc_hi, v2
	v_xor_b32_e32 v2, vcc_lo, v2
	v_and_b32_e32 v22, v22, v2
	v_lshlrev_b32_e32 v2, 29, v3
	v_cmp_gt_i64_e32 vcc, 0, v[1:2]
	v_not_b32_e32 v2, v2
	v_ashrrev_i32_e32 v2, 31, v2
	v_and_b32_e32 v27, v27, v31
	v_xor_b32_e32 v31, vcc_hi, v2
	v_xor_b32_e32 v2, vcc_lo, v2
	v_and_b32_e32 v22, v22, v2
	v_lshlrev_b32_e32 v2, 28, v3
	v_cmp_gt_i64_e32 vcc, 0, v[1:2]
	v_not_b32_e32 v2, v2
	v_ashrrev_i32_e32 v2, 31, v2
	v_and_b32_e32 v27, v27, v31
	;; [unrolled: 8-line block ×5, first 2 shown]
	v_xor_b32_e32 v31, vcc_hi, v2
	v_xor_b32_e32 v2, vcc_lo, v2
	v_and_b32_e32 v22, v22, v2
	v_lshlrev_b32_e32 v2, 24, v3
	v_cmp_gt_i64_e32 vcc, 0, v[1:2]
	v_not_b32_e32 v2, v2
	v_ashrrev_i32_e32 v2, 31, v2
	v_mul_u32_u24_e32 v4, 36, v3
	v_xor_b32_e32 v3, vcc_hi, v2
	v_xor_b32_e32 v2, vcc_lo, v2
	v_and_b32_e32 v27, v27, v31
	v_and_b32_e32 v2, v22, v2
	;; [unrolled: 1-line block ×3, first 2 shown]
	v_mbcnt_lo_u32_b32 v22, v2, 0
	v_mbcnt_hi_u32_b32 v22, v3, v22
	v_cmp_ne_u64_e32 vcc, 0, v[2:3]
	v_cmp_eq_u32_e64 s[4:5], 0, v22
	s_and_b64 s[8:9], vcc, s[4:5]
	v_add_u32_e32 v34, v25, v4
	; wave barrier
	s_and_saveexec_b64 s[4:5], s[8:9]
	s_cbranch_execz .LBB630_89
; %bb.88:
	v_bcnt_u32_b32 v2, v2, 0
	v_bcnt_u32_b32 v2, v3, v2
	s_waitcnt lgkmcnt(0)
	v_add_u32_e32 v2, v20, v2
	ds_write_b32 v34, v2 offset:32
.LBB630_89:
	s_or_b64 exec, exec, s[4:5]
	v_xor_b32_e32 v35, 0xffffff80, v23
	v_lshrrev_b32_sdwa v2, s40, v35 dst_sel:DWORD dst_unused:UNUSED_PAD src0_sel:DWORD src1_sel:BYTE_0
	v_and_b32_e32 v3, s16, v2
	v_mad_u32_u24 v2, v3, 36, v25
	; wave barrier
	ds_read_b32 v23, v2 offset:32
	v_and_b32_e32 v2, 1, v3
	v_add_co_u32_e32 v27, vcc, -1, v2
	v_addc_co_u32_e64 v31, s[4:5], 0, -1, vcc
	v_cmp_ne_u32_e32 vcc, 0, v2
	v_xor_b32_e32 v2, vcc_hi, v31
	v_and_b32_e32 v31, exec_hi, v2
	v_lshlrev_b32_e32 v2, 30, v3
	v_xor_b32_e32 v27, vcc_lo, v27
	v_cmp_gt_i64_e32 vcc, 0, v[1:2]
	v_not_b32_e32 v2, v2
	v_ashrrev_i32_e32 v2, 31, v2
	v_and_b32_e32 v27, exec_lo, v27
	v_xor_b32_e32 v32, vcc_hi, v2
	v_xor_b32_e32 v2, vcc_lo, v2
	v_and_b32_e32 v27, v27, v2
	v_lshlrev_b32_e32 v2, 29, v3
	v_cmp_gt_i64_e32 vcc, 0, v[1:2]
	v_not_b32_e32 v2, v2
	v_ashrrev_i32_e32 v2, 31, v2
	v_and_b32_e32 v31, v31, v32
	v_xor_b32_e32 v32, vcc_hi, v2
	v_xor_b32_e32 v2, vcc_lo, v2
	v_and_b32_e32 v27, v27, v2
	v_lshlrev_b32_e32 v2, 28, v3
	v_cmp_gt_i64_e32 vcc, 0, v[1:2]
	v_not_b32_e32 v2, v2
	v_ashrrev_i32_e32 v2, 31, v2
	v_and_b32_e32 v31, v31, v32
	;; [unrolled: 8-line block ×5, first 2 shown]
	v_xor_b32_e32 v32, vcc_hi, v2
	v_xor_b32_e32 v2, vcc_lo, v2
	v_and_b32_e32 v27, v27, v2
	v_lshlrev_b32_e32 v2, 24, v3
	v_cmp_gt_i64_e32 vcc, 0, v[1:2]
	v_not_b32_e32 v1, v2
	v_ashrrev_i32_e32 v1, 31, v1
	v_xor_b32_e32 v2, vcc_hi, v1
	v_xor_b32_e32 v1, vcc_lo, v1
	v_and_b32_e32 v31, v31, v32
	v_and_b32_e32 v1, v27, v1
	v_mul_u32_u24_e32 v4, 36, v3
	v_and_b32_e32 v2, v31, v2
	v_mbcnt_lo_u32_b32 v3, v1, 0
	v_mbcnt_hi_u32_b32 v27, v2, v3
	v_cmp_ne_u64_e32 vcc, 0, v[1:2]
	v_cmp_eq_u32_e64 s[4:5], 0, v27
	s_and_b64 s[8:9], vcc, s[4:5]
	v_add_u32_e32 v36, v25, v4
	; wave barrier
	s_and_saveexec_b64 s[4:5], s[8:9]
	s_cbranch_execz .LBB630_91
; %bb.90:
	v_bcnt_u32_b32 v1, v1, 0
	v_bcnt_u32_b32 v1, v2, v1
	s_waitcnt lgkmcnt(0)
	v_add_u32_e32 v1, v23, v1
	ds_write_b32 v36, v1 offset:32
.LBB630_91:
	s_or_b64 exec, exec, s[4:5]
	; wave barrier
	s_waitcnt lgkmcnt(0)
	s_barrier
	ds_read2_b32 v[3:4], v12 offset0:8 offset1:9
	ds_read2_b32 v[1:2], v12 offset0:10 offset1:11
	ds_read_b32 v25, v12 offset:48
	v_min_u32_e32 v9, 0x1c0, v9
	v_or_b32_e32 v9, 63, v9
	s_waitcnt lgkmcnt(1)
	v_add3_u32 v31, v4, v3, v1
	s_waitcnt lgkmcnt(0)
	v_add3_u32 v25, v31, v2, v25
	v_and_b32_e32 v31, 15, v6
	v_cmp_ne_u32_e32 vcc, 0, v31
	v_mov_b32_dpp v32, v25 row_shr:1 row_mask:0xf bank_mask:0xf
	v_cndmask_b32_e32 v32, 0, v32, vcc
	v_add_u32_e32 v25, v32, v25
	v_cmp_lt_u32_e32 vcc, 1, v31
	s_nop 0
	v_mov_b32_dpp v32, v25 row_shr:2 row_mask:0xf bank_mask:0xf
	v_cndmask_b32_e32 v32, 0, v32, vcc
	v_add_u32_e32 v25, v25, v32
	v_cmp_lt_u32_e32 vcc, 3, v31
	s_nop 0
	;; [unrolled: 5-line block ×3, first 2 shown]
	v_mov_b32_dpp v32, v25 row_shr:8 row_mask:0xf bank_mask:0xf
	v_cndmask_b32_e32 v31, 0, v32, vcc
	v_add_u32_e32 v25, v25, v31
	v_bfe_i32 v32, v6, 4, 1
	v_cmp_lt_u32_e32 vcc, 31, v6
	v_mov_b32_dpp v31, v25 row_bcast:15 row_mask:0xf bank_mask:0xf
	v_and_b32_e32 v31, v32, v31
	v_add_u32_e32 v25, v25, v31
	v_lshrrev_b32_e32 v32, 6, v0
	s_nop 0
	v_mov_b32_dpp v31, v25 row_bcast:31 row_mask:0xf bank_mask:0xf
	v_cndmask_b32_e32 v31, 0, v31, vcc
	v_add_u32_e32 v31, v25, v31
	v_cmp_eq_u32_e32 vcc, v0, v9
	s_and_saveexec_b64 s[4:5], vcc
; %bb.92:
	v_lshlrev_b32_e32 v9, 2, v32
	ds_write_b32 v9, v31
; %bb.93:
	s_or_b64 exec, exec, s[4:5]
	v_cmp_gt_u32_e32 vcc, 8, v0
	v_lshlrev_b32_e32 v25, 2, v0
	s_waitcnt lgkmcnt(0)
	s_barrier
	s_and_saveexec_b64 s[4:5], vcc
	s_cbranch_execz .LBB630_95
; %bb.94:
	ds_read_b32 v9, v25
	v_and_b32_e32 v33, 7, v6
	v_cmp_ne_u32_e32 vcc, 0, v33
	s_waitcnt lgkmcnt(0)
	v_mov_b32_dpp v37, v9 row_shr:1 row_mask:0xf bank_mask:0xf
	v_cndmask_b32_e32 v37, 0, v37, vcc
	v_add_u32_e32 v9, v37, v9
	v_cmp_lt_u32_e32 vcc, 1, v33
	s_nop 0
	v_mov_b32_dpp v37, v9 row_shr:2 row_mask:0xf bank_mask:0xf
	v_cndmask_b32_e32 v37, 0, v37, vcc
	v_add_u32_e32 v9, v9, v37
	v_cmp_lt_u32_e32 vcc, 3, v33
	s_nop 0
	v_mov_b32_dpp v37, v9 row_shr:4 row_mask:0xf bank_mask:0xf
	v_cndmask_b32_e32 v33, 0, v37, vcc
	v_add_u32_e32 v9, v9, v33
	ds_write_b32 v25, v9
.LBB630_95:
	s_or_b64 exec, exec, s[4:5]
	v_cmp_lt_u32_e32 vcc, 63, v0
	v_mov_b32_e32 v9, 0
	s_waitcnt lgkmcnt(0)
	s_barrier
	s_and_saveexec_b64 s[4:5], vcc
; %bb.96:
	v_lshl_add_u32 v9, v32, 2, -4
	ds_read_b32 v9, v9
; %bb.97:
	s_or_b64 exec, exec, s[4:5]
	v_subrev_co_u32_e32 v32, vcc, 1, v6
	v_and_b32_e32 v33, 64, v6
	v_cmp_lt_i32_e64 s[4:5], v32, v33
	v_cndmask_b32_e64 v6, v32, v6, s[4:5]
	s_waitcnt lgkmcnt(0)
	v_add_u32_e32 v31, v9, v31
	v_lshlrev_b32_e32 v6, 2, v6
	ds_bpermute_b32 v6, v6, v31
	s_movk_i32 s4, 0xff
	s_movk_i32 s8, 0x100
	s_waitcnt lgkmcnt(0)
	v_cndmask_b32_e32 v6, v6, v9, vcc
	v_cmp_ne_u32_e32 vcc, 0, v0
	v_cndmask_b32_e32 v6, 0, v6, vcc
	v_add_u32_e32 v3, v6, v3
	v_add_u32_e32 v4, v3, v4
	;; [unrolled: 1-line block ×4, first 2 shown]
	ds_write2_b32 v12, v6, v3 offset0:8 offset1:9
	ds_write2_b32 v12, v4, v1 offset0:10 offset1:11
	ds_write_b32 v12, v2 offset:48
	s_waitcnt lgkmcnt(0)
	s_barrier
	ds_read_b32 v1, v14 offset:32
	ds_read_b32 v31, v24 offset:32
	;; [unrolled: 1-line block ×6, first 2 shown]
	v_cmp_lt_u32_e32 vcc, s4, v0
	v_cmp_gt_u32_e64 s[4:5], s8, v0
                                        ; implicit-def: $vgpr24
                                        ; implicit-def: $vgpr28
	s_and_saveexec_b64 s[10:11], s[4:5]
	s_cbranch_execz .LBB630_101
; %bb.98:
	v_mul_u32_u24_e32 v2, 36, v0
	ds_read_b32 v24, v2 offset:32
	v_add_u32_e32 v3, 1, v0
	v_cmp_ne_u32_e64 s[8:9], s8, v3
	v_mov_b32_e32 v2, 0xc00
	s_and_saveexec_b64 s[12:13], s[8:9]
; %bb.99:
	v_mul_u32_u24_e32 v2, 36, v3
	ds_read_b32 v2, v2 offset:32
; %bb.100:
	s_or_b64 exec, exec, s[12:13]
	s_waitcnt lgkmcnt(0)
	v_sub_u32_e32 v28, v2, v24
.LBB630_101:
	s_or_b64 exec, exec, s[10:11]
	s_waitcnt lgkmcnt(5)
	v_add_u32_e32 v29, v1, v11
	s_waitcnt lgkmcnt(3)
	v_add3_u32 v2, v17, v16, v32
	v_add3_u32 v1, v15, v13, v31
	s_waitcnt lgkmcnt(2)
	v_add3_u32 v3, v19, v18, v33
	s_waitcnt lgkmcnt(1)
	;; [unrolled: 2-line block ×3, first 2 shown]
	v_add3_u32 v6, v27, v23, v14
	s_barrier
	ds_write_b8 v29, v10 offset:1024
	ds_write_b8 v1, v5 offset:1024
	;; [unrolled: 1-line block ×6, first 2 shown]
	v_mov_b32_e32 v2, 0
	s_and_saveexec_b64 s[8:9], s[4:5]
	s_cbranch_execz .LBB630_111
; %bb.102:
	v_lshl_add_u32 v1, s6, 8, v0
	v_lshlrev_b64 v[3:4], 2, v[1:2]
	v_mov_b32_e32 v9, s45
	v_add_co_u32_e64 v3, s[4:5], s44, v3
	v_addc_co_u32_e64 v4, s[4:5], v9, v4, s[4:5]
	v_or_b32_e32 v1, 2.0, v28
	s_mov_b64 s[10:11], 0
	s_brev_b32 s17, -4
	s_mov_b32 s18, s6
	v_mov_b32_e32 v10, 0
	global_store_dword v[3:4], v1, off
                                        ; implicit-def: $sgpr4_sgpr5
	s_branch .LBB630_105
.LBB630_103:                            ;   in Loop: Header=BB630_105 Depth=1
	s_or_b64 exec, exec, s[14:15]
.LBB630_104:                            ;   in Loop: Header=BB630_105 Depth=1
	s_or_b64 exec, exec, s[12:13]
	v_and_b32_e32 v5, 0x3fffffff, v1
	v_add_u32_e32 v10, v5, v10
	v_cmp_gt_i32_e64 s[4:5], -2.0, v1
	s_and_b64 s[12:13], exec, s[4:5]
	s_or_b64 s[10:11], s[12:13], s[10:11]
	s_andn2_b64 exec, exec, s[10:11]
	s_cbranch_execz .LBB630_110
.LBB630_105:                            ; =>This Loop Header: Depth=1
                                        ;     Child Loop BB630_108 Depth 2
	s_or_b64 s[4:5], s[4:5], exec
	s_cmp_eq_u32 s18, 0
	s_cbranch_scc1 .LBB630_109
; %bb.106:                              ;   in Loop: Header=BB630_105 Depth=1
	s_add_i32 s18, s18, -1
	v_lshl_or_b32 v1, s18, 8, v0
	v_lshlrev_b64 v[5:6], 2, v[1:2]
	v_add_co_u32_e64 v5, s[4:5], s44, v5
	v_addc_co_u32_e64 v6, s[4:5], v9, v6, s[4:5]
	global_load_dword v1, v[5:6], off glc
	s_waitcnt vmcnt(0)
	v_cmp_gt_u32_e64 s[4:5], 2.0, v1
	s_and_saveexec_b64 s[12:13], s[4:5]
	s_cbranch_execz .LBB630_104
; %bb.107:                              ;   in Loop: Header=BB630_105 Depth=1
	s_mov_b64 s[14:15], 0
.LBB630_108:                            ;   Parent Loop BB630_105 Depth=1
                                        ; =>  This Inner Loop Header: Depth=2
	global_load_dword v1, v[5:6], off glc
	s_waitcnt vmcnt(0)
	v_cmp_lt_u32_e64 s[4:5], s17, v1
	s_or_b64 s[14:15], s[4:5], s[14:15]
	s_andn2_b64 exec, exec, s[14:15]
	s_cbranch_execnz .LBB630_108
	s_branch .LBB630_103
.LBB630_109:                            ;   in Loop: Header=BB630_105 Depth=1
                                        ; implicit-def: $sgpr18
	s_and_b64 s[12:13], exec, s[4:5]
	s_or_b64 s[10:11], s[12:13], s[10:11]
	s_andn2_b64 exec, exec, s[10:11]
	s_cbranch_execnz .LBB630_105
.LBB630_110:
	s_or_b64 exec, exec, s[10:11]
	v_add_u32_e32 v1, v10, v28
	v_or_b32_e32 v1, 0x80000000, v1
	global_store_dword v[3:4], v1, off
	global_load_dword v1, v25, s[36:37]
	v_sub_u32_e32 v2, v10, v24
	s_waitcnt vmcnt(0)
	v_add_u32_e32 v1, v2, v1
	ds_write_b32 v25, v1
.LBB630_111:
	s_or_b64 exec, exec, s[8:9]
	s_waitcnt lgkmcnt(0)
	s_barrier
	ds_read_u8 v1, v0 offset:1024
	ds_read_u8 v2, v0 offset:1536
	;; [unrolled: 1-line block ×6, first 2 shown]
	s_waitcnt lgkmcnt(5)
	v_lshrrev_b32_sdwa v9, s40, v1 dst_sel:DWORD dst_unused:UNUSED_PAD src0_sel:DWORD src1_sel:BYTE_0
	s_waitcnt lgkmcnt(4)
	v_lshrrev_b32_sdwa v10, s40, v2 dst_sel:DWORD dst_unused:UNUSED_PAD src0_sel:DWORD src1_sel:BYTE_0
	;; [unrolled: 2-line block ×6, first 2 shown]
	v_and_b32_e32 v21, s16, v9
	v_and_b32_e32 v26, s16, v10
	;; [unrolled: 1-line block ×6, first 2 shown]
	v_lshlrev_b32_e32 v9, 2, v21
	v_lshlrev_b32_e32 v10, 2, v26
	;; [unrolled: 1-line block ×6, first 2 shown]
	ds_read_b32 v9, v9
	ds_read_b32 v10, v10
	;; [unrolled: 1-line block ×6, first 2 shown]
	v_xor_b32_e32 v1, 0x80, v1
	s_waitcnt lgkmcnt(5)
	v_add_u32_e32 v9, v9, v0
	s_movk_i32 s8, 0x200
	global_store_byte v9, v1, s[26:27]
	v_xor_b32_e32 v1, 0x80, v2
	s_waitcnt lgkmcnt(4)
	v_add3_u32 v2, v0, v10, s8
	s_movk_i32 s4, 0x400
	global_store_byte v2, v1, s[26:27]
	v_xor_b32_e32 v1, 0x80, v3
	s_waitcnt lgkmcnt(3)
	v_add3_u32 v2, v11, v0, s4
	;; [unrolled: 5-line block ×4, first 2 shown]
	s_movk_i32 s4, 0xa00
	global_store_byte v2, v1, s[26:27]
	s_waitcnt lgkmcnt(0)
	v_add3_u32 v2, v0, v36, s4
	s_lshl_b64 s[4:5], s[34:35], 3
	v_xor_b32_e32 v1, 0x80, v6
	s_add_u32 s4, s28, s4
	global_store_byte v2, v1, s[26:27]
	s_addc_u32 s5, s29, s5
	v_lshlrev_b32_e32 v1, 3, v8
	v_mov_b32_e32 v2, s5
	v_add_co_u32_e64 v1, s[4:5], s4, v1
	v_addc_co_u32_e64 v2, s[4:5], 0, v2, s[4:5]
	v_lshlrev_b32_e32 v3, 3, v7
	v_add_co_u32_e64 v35, s[4:5], v1, v3
	v_addc_co_u32_e64 v36, s[4:5], 0, v2, s[4:5]
	global_load_dwordx2 v[1:2], v[35:36], off
	global_load_dwordx2 v[3:4], v[35:36], off offset:512
	global_load_dwordx2 v[5:6], v[35:36], off offset:1024
	;; [unrolled: 1-line block ×5, first 2 shown]
	v_add3_u32 v20, v22, v34, v20
	v_mul_u32_u24_e32 v22, 7, v0
	buffer_store_dword v21, off, s[0:3], 0
	buffer_store_dword v26, off, s[0:3], 0 offset:4
	buffer_store_dword v30, off, s[0:3], 0 offset:8
	;; [unrolled: 1-line block ×5, first 2 shown]
	v_add3_u32 v21, v27, v14, v23
	v_mov_b32_e32 v14, 0
	v_add3_u32 v18, v19, v33, v18
	v_add3_u32 v16, v17, v32, v16
	;; [unrolled: 1-line block ×3, first 2 shown]
	s_mov_b32 s9, 0
	s_mov_b32 s10, 0
	v_add_u32_e32 v17, v0, v22
	v_mov_b32_e32 v19, s31
	s_waitcnt vmcnt(0)
	s_barrier
.LBB630_112:                            ; =>This Inner Loop Header: Depth=1
	v_add_u32_e32 v13, s10, v29
	v_add_u32_e32 v22, s10, v15
	;; [unrolled: 1-line block ×6, first 2 shown]
	v_min_u32_e32 v13, 0x400, v13
	v_min_u32_e32 v22, 0x400, v22
	v_mov_b32_e32 v31, s9
	v_min_u32_e32 v23, 0x400, v23
	v_min_u32_e32 v26, 0x400, v26
	;; [unrolled: 1-line block ×4, first 2 shown]
	v_lshlrev_b32_e32 v13, 3, v13
	v_lshlrev_b32_e32 v22, 3, v22
	;; [unrolled: 1-line block ×6, first 2 shown]
	ds_write_b64 v13, v[1:2] offset:1024
	ds_write_b64 v22, v[3:4] offset:1024
	;; [unrolled: 1-line block ×6, first 2 shown]
	s_waitcnt lgkmcnt(0)
	s_barrier
	buffer_load_dword v13, v31, s[0:3], 0 offen
	buffer_load_dword v22, v31, s[0:3], 0 offen offset:4
	ds_read2st64_b64 v[30:33], v17 offset0:2 offset1:10
	s_addk_i32 s10, 0xfc00
	s_add_i32 s9, s9, 8
	s_cmpk_lg_i32 s10, 0xf400
	s_waitcnt vmcnt(1)
	v_lshlrev_b32_e32 v13, 2, v13
	s_waitcnt vmcnt(0)
	v_lshlrev_b32_e32 v22, 2, v22
	ds_read_b32 v13, v13
	ds_read_b32 v26, v22
	s_waitcnt lgkmcnt(1)
	v_add_u32_e32 v13, v0, v13
	v_lshlrev_b64 v[22:23], 3, v[13:14]
	s_waitcnt lgkmcnt(0)
	v_add3_u32 v13, v0, v26, s8
	v_lshlrev_b64 v[26:27], 3, v[13:14]
	v_add_co_u32_e64 v22, s[4:5], s30, v22
	v_addc_co_u32_e64 v23, s[4:5], v19, v23, s[4:5]
	global_store_dwordx2 v[22:23], v[30:31], off
	v_add_co_u32_e64 v22, s[4:5], s30, v26
	v_add_u32_e32 v0, 0x400, v0
	v_addc_co_u32_e64 v23, s[4:5], v19, v27, s[4:5]
	global_store_dwordx2 v[22:23], v[32:33], off
	s_waitcnt vmcnt(0)
	s_barrier
	s_cbranch_scc1 .LBB630_112
; %bb.113:
	s_add_i32 s7, s7, -1
	s_cmp_eq_u32 s6, s7
	s_cselect_b64 s[4:5], -1, 0
	s_xor_b64 s[6:7], vcc, -1
	s_and_b64 s[4:5], s[6:7], s[4:5]
	s_and_saveexec_b64 s[6:7], s[4:5]
	s_cbranch_execz .LBB630_115
; %bb.114:
	ds_read_b32 v0, v25
	s_waitcnt lgkmcnt(0)
	v_add3_u32 v0, v24, v28, v0
	global_store_dword v25, v0, s[38:39]
.LBB630_115:
	s_endpgm
	.section	.rodata,"a",@progbits
	.p2align	6, 0x0
	.amdhsa_kernel _ZN7rocprim17ROCPRIM_400000_NS6detail17trampoline_kernelINS0_14default_configENS1_35radix_sort_onesweep_config_selectorIalEEZZNS1_29radix_sort_onesweep_iterationIS3_Lb0EPaS7_N6thrust23THRUST_200600_302600_NS10device_ptrIlEESB_jNS0_19identity_decomposerENS1_16block_id_wrapperIjLb0EEEEE10hipError_tT1_PNSt15iterator_traitsISG_E10value_typeET2_T3_PNSH_ISM_E10value_typeET4_T5_PSR_SS_PNS1_23onesweep_lookback_stateEbbT6_jjT7_P12ihipStream_tbENKUlT_T0_SG_SL_E_clIS7_S7_SB_SB_EEDaSZ_S10_SG_SL_EUlSZ_E_NS1_11comp_targetILNS1_3genE2ELNS1_11target_archE906ELNS1_3gpuE6ELNS1_3repE0EEENS1_47radix_sort_onesweep_sort_config_static_selectorELNS0_4arch9wavefront6targetE1EEEvSG_
		.amdhsa_group_segment_fixed_size 10280
		.amdhsa_private_segment_fixed_size 32
		.amdhsa_kernarg_size 344
		.amdhsa_user_sgpr_count 6
		.amdhsa_user_sgpr_private_segment_buffer 1
		.amdhsa_user_sgpr_dispatch_ptr 0
		.amdhsa_user_sgpr_queue_ptr 0
		.amdhsa_user_sgpr_kernarg_segment_ptr 1
		.amdhsa_user_sgpr_dispatch_id 0
		.amdhsa_user_sgpr_flat_scratch_init 0
		.amdhsa_user_sgpr_private_segment_size 0
		.amdhsa_uses_dynamic_stack 0
		.amdhsa_system_sgpr_private_segment_wavefront_offset 1
		.amdhsa_system_sgpr_workgroup_id_x 1
		.amdhsa_system_sgpr_workgroup_id_y 0
		.amdhsa_system_sgpr_workgroup_id_z 0
		.amdhsa_system_sgpr_workgroup_info 0
		.amdhsa_system_vgpr_workitem_id 2
		.amdhsa_next_free_vgpr 41
		.amdhsa_next_free_sgpr 53
		.amdhsa_reserve_vcc 1
		.amdhsa_reserve_flat_scratch 0
		.amdhsa_float_round_mode_32 0
		.amdhsa_float_round_mode_16_64 0
		.amdhsa_float_denorm_mode_32 3
		.amdhsa_float_denorm_mode_16_64 3
		.amdhsa_dx10_clamp 1
		.amdhsa_ieee_mode 1
		.amdhsa_fp16_overflow 0
		.amdhsa_exception_fp_ieee_invalid_op 0
		.amdhsa_exception_fp_denorm_src 0
		.amdhsa_exception_fp_ieee_div_zero 0
		.amdhsa_exception_fp_ieee_overflow 0
		.amdhsa_exception_fp_ieee_underflow 0
		.amdhsa_exception_fp_ieee_inexact 0
		.amdhsa_exception_int_div_zero 0
	.end_amdhsa_kernel
	.section	.text._ZN7rocprim17ROCPRIM_400000_NS6detail17trampoline_kernelINS0_14default_configENS1_35radix_sort_onesweep_config_selectorIalEEZZNS1_29radix_sort_onesweep_iterationIS3_Lb0EPaS7_N6thrust23THRUST_200600_302600_NS10device_ptrIlEESB_jNS0_19identity_decomposerENS1_16block_id_wrapperIjLb0EEEEE10hipError_tT1_PNSt15iterator_traitsISG_E10value_typeET2_T3_PNSH_ISM_E10value_typeET4_T5_PSR_SS_PNS1_23onesweep_lookback_stateEbbT6_jjT7_P12ihipStream_tbENKUlT_T0_SG_SL_E_clIS7_S7_SB_SB_EEDaSZ_S10_SG_SL_EUlSZ_E_NS1_11comp_targetILNS1_3genE2ELNS1_11target_archE906ELNS1_3gpuE6ELNS1_3repE0EEENS1_47radix_sort_onesweep_sort_config_static_selectorELNS0_4arch9wavefront6targetE1EEEvSG_,"axG",@progbits,_ZN7rocprim17ROCPRIM_400000_NS6detail17trampoline_kernelINS0_14default_configENS1_35radix_sort_onesweep_config_selectorIalEEZZNS1_29radix_sort_onesweep_iterationIS3_Lb0EPaS7_N6thrust23THRUST_200600_302600_NS10device_ptrIlEESB_jNS0_19identity_decomposerENS1_16block_id_wrapperIjLb0EEEEE10hipError_tT1_PNSt15iterator_traitsISG_E10value_typeET2_T3_PNSH_ISM_E10value_typeET4_T5_PSR_SS_PNS1_23onesweep_lookback_stateEbbT6_jjT7_P12ihipStream_tbENKUlT_T0_SG_SL_E_clIS7_S7_SB_SB_EEDaSZ_S10_SG_SL_EUlSZ_E_NS1_11comp_targetILNS1_3genE2ELNS1_11target_archE906ELNS1_3gpuE6ELNS1_3repE0EEENS1_47radix_sort_onesweep_sort_config_static_selectorELNS0_4arch9wavefront6targetE1EEEvSG_,comdat
.Lfunc_end630:
	.size	_ZN7rocprim17ROCPRIM_400000_NS6detail17trampoline_kernelINS0_14default_configENS1_35radix_sort_onesweep_config_selectorIalEEZZNS1_29radix_sort_onesweep_iterationIS3_Lb0EPaS7_N6thrust23THRUST_200600_302600_NS10device_ptrIlEESB_jNS0_19identity_decomposerENS1_16block_id_wrapperIjLb0EEEEE10hipError_tT1_PNSt15iterator_traitsISG_E10value_typeET2_T3_PNSH_ISM_E10value_typeET4_T5_PSR_SS_PNS1_23onesweep_lookback_stateEbbT6_jjT7_P12ihipStream_tbENKUlT_T0_SG_SL_E_clIS7_S7_SB_SB_EEDaSZ_S10_SG_SL_EUlSZ_E_NS1_11comp_targetILNS1_3genE2ELNS1_11target_archE906ELNS1_3gpuE6ELNS1_3repE0EEENS1_47radix_sort_onesweep_sort_config_static_selectorELNS0_4arch9wavefront6targetE1EEEvSG_, .Lfunc_end630-_ZN7rocprim17ROCPRIM_400000_NS6detail17trampoline_kernelINS0_14default_configENS1_35radix_sort_onesweep_config_selectorIalEEZZNS1_29radix_sort_onesweep_iterationIS3_Lb0EPaS7_N6thrust23THRUST_200600_302600_NS10device_ptrIlEESB_jNS0_19identity_decomposerENS1_16block_id_wrapperIjLb0EEEEE10hipError_tT1_PNSt15iterator_traitsISG_E10value_typeET2_T3_PNSH_ISM_E10value_typeET4_T5_PSR_SS_PNS1_23onesweep_lookback_stateEbbT6_jjT7_P12ihipStream_tbENKUlT_T0_SG_SL_E_clIS7_S7_SB_SB_EEDaSZ_S10_SG_SL_EUlSZ_E_NS1_11comp_targetILNS1_3genE2ELNS1_11target_archE906ELNS1_3gpuE6ELNS1_3repE0EEENS1_47radix_sort_onesweep_sort_config_static_selectorELNS0_4arch9wavefront6targetE1EEEvSG_
                                        ; -- End function
	.set _ZN7rocprim17ROCPRIM_400000_NS6detail17trampoline_kernelINS0_14default_configENS1_35radix_sort_onesweep_config_selectorIalEEZZNS1_29radix_sort_onesweep_iterationIS3_Lb0EPaS7_N6thrust23THRUST_200600_302600_NS10device_ptrIlEESB_jNS0_19identity_decomposerENS1_16block_id_wrapperIjLb0EEEEE10hipError_tT1_PNSt15iterator_traitsISG_E10value_typeET2_T3_PNSH_ISM_E10value_typeET4_T5_PSR_SS_PNS1_23onesweep_lookback_stateEbbT6_jjT7_P12ihipStream_tbENKUlT_T0_SG_SL_E_clIS7_S7_SB_SB_EEDaSZ_S10_SG_SL_EUlSZ_E_NS1_11comp_targetILNS1_3genE2ELNS1_11target_archE906ELNS1_3gpuE6ELNS1_3repE0EEENS1_47radix_sort_onesweep_sort_config_static_selectorELNS0_4arch9wavefront6targetE1EEEvSG_.num_vgpr, 41
	.set _ZN7rocprim17ROCPRIM_400000_NS6detail17trampoline_kernelINS0_14default_configENS1_35radix_sort_onesweep_config_selectorIalEEZZNS1_29radix_sort_onesweep_iterationIS3_Lb0EPaS7_N6thrust23THRUST_200600_302600_NS10device_ptrIlEESB_jNS0_19identity_decomposerENS1_16block_id_wrapperIjLb0EEEEE10hipError_tT1_PNSt15iterator_traitsISG_E10value_typeET2_T3_PNSH_ISM_E10value_typeET4_T5_PSR_SS_PNS1_23onesweep_lookback_stateEbbT6_jjT7_P12ihipStream_tbENKUlT_T0_SG_SL_E_clIS7_S7_SB_SB_EEDaSZ_S10_SG_SL_EUlSZ_E_NS1_11comp_targetILNS1_3genE2ELNS1_11target_archE906ELNS1_3gpuE6ELNS1_3repE0EEENS1_47radix_sort_onesweep_sort_config_static_selectorELNS0_4arch9wavefront6targetE1EEEvSG_.num_agpr, 0
	.set _ZN7rocprim17ROCPRIM_400000_NS6detail17trampoline_kernelINS0_14default_configENS1_35radix_sort_onesweep_config_selectorIalEEZZNS1_29radix_sort_onesweep_iterationIS3_Lb0EPaS7_N6thrust23THRUST_200600_302600_NS10device_ptrIlEESB_jNS0_19identity_decomposerENS1_16block_id_wrapperIjLb0EEEEE10hipError_tT1_PNSt15iterator_traitsISG_E10value_typeET2_T3_PNSH_ISM_E10value_typeET4_T5_PSR_SS_PNS1_23onesweep_lookback_stateEbbT6_jjT7_P12ihipStream_tbENKUlT_T0_SG_SL_E_clIS7_S7_SB_SB_EEDaSZ_S10_SG_SL_EUlSZ_E_NS1_11comp_targetILNS1_3genE2ELNS1_11target_archE906ELNS1_3gpuE6ELNS1_3repE0EEENS1_47radix_sort_onesweep_sort_config_static_selectorELNS0_4arch9wavefront6targetE1EEEvSG_.numbered_sgpr, 53
	.set _ZN7rocprim17ROCPRIM_400000_NS6detail17trampoline_kernelINS0_14default_configENS1_35radix_sort_onesweep_config_selectorIalEEZZNS1_29radix_sort_onesweep_iterationIS3_Lb0EPaS7_N6thrust23THRUST_200600_302600_NS10device_ptrIlEESB_jNS0_19identity_decomposerENS1_16block_id_wrapperIjLb0EEEEE10hipError_tT1_PNSt15iterator_traitsISG_E10value_typeET2_T3_PNSH_ISM_E10value_typeET4_T5_PSR_SS_PNS1_23onesweep_lookback_stateEbbT6_jjT7_P12ihipStream_tbENKUlT_T0_SG_SL_E_clIS7_S7_SB_SB_EEDaSZ_S10_SG_SL_EUlSZ_E_NS1_11comp_targetILNS1_3genE2ELNS1_11target_archE906ELNS1_3gpuE6ELNS1_3repE0EEENS1_47radix_sort_onesweep_sort_config_static_selectorELNS0_4arch9wavefront6targetE1EEEvSG_.num_named_barrier, 0
	.set _ZN7rocprim17ROCPRIM_400000_NS6detail17trampoline_kernelINS0_14default_configENS1_35radix_sort_onesweep_config_selectorIalEEZZNS1_29radix_sort_onesweep_iterationIS3_Lb0EPaS7_N6thrust23THRUST_200600_302600_NS10device_ptrIlEESB_jNS0_19identity_decomposerENS1_16block_id_wrapperIjLb0EEEEE10hipError_tT1_PNSt15iterator_traitsISG_E10value_typeET2_T3_PNSH_ISM_E10value_typeET4_T5_PSR_SS_PNS1_23onesweep_lookback_stateEbbT6_jjT7_P12ihipStream_tbENKUlT_T0_SG_SL_E_clIS7_S7_SB_SB_EEDaSZ_S10_SG_SL_EUlSZ_E_NS1_11comp_targetILNS1_3genE2ELNS1_11target_archE906ELNS1_3gpuE6ELNS1_3repE0EEENS1_47radix_sort_onesweep_sort_config_static_selectorELNS0_4arch9wavefront6targetE1EEEvSG_.private_seg_size, 32
	.set _ZN7rocprim17ROCPRIM_400000_NS6detail17trampoline_kernelINS0_14default_configENS1_35radix_sort_onesweep_config_selectorIalEEZZNS1_29radix_sort_onesweep_iterationIS3_Lb0EPaS7_N6thrust23THRUST_200600_302600_NS10device_ptrIlEESB_jNS0_19identity_decomposerENS1_16block_id_wrapperIjLb0EEEEE10hipError_tT1_PNSt15iterator_traitsISG_E10value_typeET2_T3_PNSH_ISM_E10value_typeET4_T5_PSR_SS_PNS1_23onesweep_lookback_stateEbbT6_jjT7_P12ihipStream_tbENKUlT_T0_SG_SL_E_clIS7_S7_SB_SB_EEDaSZ_S10_SG_SL_EUlSZ_E_NS1_11comp_targetILNS1_3genE2ELNS1_11target_archE906ELNS1_3gpuE6ELNS1_3repE0EEENS1_47radix_sort_onesweep_sort_config_static_selectorELNS0_4arch9wavefront6targetE1EEEvSG_.uses_vcc, 1
	.set _ZN7rocprim17ROCPRIM_400000_NS6detail17trampoline_kernelINS0_14default_configENS1_35radix_sort_onesweep_config_selectorIalEEZZNS1_29radix_sort_onesweep_iterationIS3_Lb0EPaS7_N6thrust23THRUST_200600_302600_NS10device_ptrIlEESB_jNS0_19identity_decomposerENS1_16block_id_wrapperIjLb0EEEEE10hipError_tT1_PNSt15iterator_traitsISG_E10value_typeET2_T3_PNSH_ISM_E10value_typeET4_T5_PSR_SS_PNS1_23onesweep_lookback_stateEbbT6_jjT7_P12ihipStream_tbENKUlT_T0_SG_SL_E_clIS7_S7_SB_SB_EEDaSZ_S10_SG_SL_EUlSZ_E_NS1_11comp_targetILNS1_3genE2ELNS1_11target_archE906ELNS1_3gpuE6ELNS1_3repE0EEENS1_47radix_sort_onesweep_sort_config_static_selectorELNS0_4arch9wavefront6targetE1EEEvSG_.uses_flat_scratch, 0
	.set _ZN7rocprim17ROCPRIM_400000_NS6detail17trampoline_kernelINS0_14default_configENS1_35radix_sort_onesweep_config_selectorIalEEZZNS1_29radix_sort_onesweep_iterationIS3_Lb0EPaS7_N6thrust23THRUST_200600_302600_NS10device_ptrIlEESB_jNS0_19identity_decomposerENS1_16block_id_wrapperIjLb0EEEEE10hipError_tT1_PNSt15iterator_traitsISG_E10value_typeET2_T3_PNSH_ISM_E10value_typeET4_T5_PSR_SS_PNS1_23onesweep_lookback_stateEbbT6_jjT7_P12ihipStream_tbENKUlT_T0_SG_SL_E_clIS7_S7_SB_SB_EEDaSZ_S10_SG_SL_EUlSZ_E_NS1_11comp_targetILNS1_3genE2ELNS1_11target_archE906ELNS1_3gpuE6ELNS1_3repE0EEENS1_47radix_sort_onesweep_sort_config_static_selectorELNS0_4arch9wavefront6targetE1EEEvSG_.has_dyn_sized_stack, 0
	.set _ZN7rocprim17ROCPRIM_400000_NS6detail17trampoline_kernelINS0_14default_configENS1_35radix_sort_onesweep_config_selectorIalEEZZNS1_29radix_sort_onesweep_iterationIS3_Lb0EPaS7_N6thrust23THRUST_200600_302600_NS10device_ptrIlEESB_jNS0_19identity_decomposerENS1_16block_id_wrapperIjLb0EEEEE10hipError_tT1_PNSt15iterator_traitsISG_E10value_typeET2_T3_PNSH_ISM_E10value_typeET4_T5_PSR_SS_PNS1_23onesweep_lookback_stateEbbT6_jjT7_P12ihipStream_tbENKUlT_T0_SG_SL_E_clIS7_S7_SB_SB_EEDaSZ_S10_SG_SL_EUlSZ_E_NS1_11comp_targetILNS1_3genE2ELNS1_11target_archE906ELNS1_3gpuE6ELNS1_3repE0EEENS1_47radix_sort_onesweep_sort_config_static_selectorELNS0_4arch9wavefront6targetE1EEEvSG_.has_recursion, 0
	.set _ZN7rocprim17ROCPRIM_400000_NS6detail17trampoline_kernelINS0_14default_configENS1_35radix_sort_onesweep_config_selectorIalEEZZNS1_29radix_sort_onesweep_iterationIS3_Lb0EPaS7_N6thrust23THRUST_200600_302600_NS10device_ptrIlEESB_jNS0_19identity_decomposerENS1_16block_id_wrapperIjLb0EEEEE10hipError_tT1_PNSt15iterator_traitsISG_E10value_typeET2_T3_PNSH_ISM_E10value_typeET4_T5_PSR_SS_PNS1_23onesweep_lookback_stateEbbT6_jjT7_P12ihipStream_tbENKUlT_T0_SG_SL_E_clIS7_S7_SB_SB_EEDaSZ_S10_SG_SL_EUlSZ_E_NS1_11comp_targetILNS1_3genE2ELNS1_11target_archE906ELNS1_3gpuE6ELNS1_3repE0EEENS1_47radix_sort_onesweep_sort_config_static_selectorELNS0_4arch9wavefront6targetE1EEEvSG_.has_indirect_call, 0
	.section	.AMDGPU.csdata,"",@progbits
; Kernel info:
; codeLenInByte = 10228
; TotalNumSgprs: 57
; NumVgprs: 41
; ScratchSize: 32
; MemoryBound: 0
; FloatMode: 240
; IeeeMode: 1
; LDSByteSize: 10280 bytes/workgroup (compile time only)
; SGPRBlocks: 7
; VGPRBlocks: 10
; NumSGPRsForWavesPerEU: 57
; NumVGPRsForWavesPerEU: 41
; Occupancy: 5
; WaveLimiterHint : 1
; COMPUTE_PGM_RSRC2:SCRATCH_EN: 1
; COMPUTE_PGM_RSRC2:USER_SGPR: 6
; COMPUTE_PGM_RSRC2:TRAP_HANDLER: 0
; COMPUTE_PGM_RSRC2:TGID_X_EN: 1
; COMPUTE_PGM_RSRC2:TGID_Y_EN: 0
; COMPUTE_PGM_RSRC2:TGID_Z_EN: 0
; COMPUTE_PGM_RSRC2:TIDIG_COMP_CNT: 2
	.section	.text._ZN7rocprim17ROCPRIM_400000_NS6detail17trampoline_kernelINS0_14default_configENS1_35radix_sort_onesweep_config_selectorIalEEZZNS1_29radix_sort_onesweep_iterationIS3_Lb0EPaS7_N6thrust23THRUST_200600_302600_NS10device_ptrIlEESB_jNS0_19identity_decomposerENS1_16block_id_wrapperIjLb0EEEEE10hipError_tT1_PNSt15iterator_traitsISG_E10value_typeET2_T3_PNSH_ISM_E10value_typeET4_T5_PSR_SS_PNS1_23onesweep_lookback_stateEbbT6_jjT7_P12ihipStream_tbENKUlT_T0_SG_SL_E_clIS7_S7_SB_SB_EEDaSZ_S10_SG_SL_EUlSZ_E_NS1_11comp_targetILNS1_3genE4ELNS1_11target_archE910ELNS1_3gpuE8ELNS1_3repE0EEENS1_47radix_sort_onesweep_sort_config_static_selectorELNS0_4arch9wavefront6targetE1EEEvSG_,"axG",@progbits,_ZN7rocprim17ROCPRIM_400000_NS6detail17trampoline_kernelINS0_14default_configENS1_35radix_sort_onesweep_config_selectorIalEEZZNS1_29radix_sort_onesweep_iterationIS3_Lb0EPaS7_N6thrust23THRUST_200600_302600_NS10device_ptrIlEESB_jNS0_19identity_decomposerENS1_16block_id_wrapperIjLb0EEEEE10hipError_tT1_PNSt15iterator_traitsISG_E10value_typeET2_T3_PNSH_ISM_E10value_typeET4_T5_PSR_SS_PNS1_23onesweep_lookback_stateEbbT6_jjT7_P12ihipStream_tbENKUlT_T0_SG_SL_E_clIS7_S7_SB_SB_EEDaSZ_S10_SG_SL_EUlSZ_E_NS1_11comp_targetILNS1_3genE4ELNS1_11target_archE910ELNS1_3gpuE8ELNS1_3repE0EEENS1_47radix_sort_onesweep_sort_config_static_selectorELNS0_4arch9wavefront6targetE1EEEvSG_,comdat
	.protected	_ZN7rocprim17ROCPRIM_400000_NS6detail17trampoline_kernelINS0_14default_configENS1_35radix_sort_onesweep_config_selectorIalEEZZNS1_29radix_sort_onesweep_iterationIS3_Lb0EPaS7_N6thrust23THRUST_200600_302600_NS10device_ptrIlEESB_jNS0_19identity_decomposerENS1_16block_id_wrapperIjLb0EEEEE10hipError_tT1_PNSt15iterator_traitsISG_E10value_typeET2_T3_PNSH_ISM_E10value_typeET4_T5_PSR_SS_PNS1_23onesweep_lookback_stateEbbT6_jjT7_P12ihipStream_tbENKUlT_T0_SG_SL_E_clIS7_S7_SB_SB_EEDaSZ_S10_SG_SL_EUlSZ_E_NS1_11comp_targetILNS1_3genE4ELNS1_11target_archE910ELNS1_3gpuE8ELNS1_3repE0EEENS1_47radix_sort_onesweep_sort_config_static_selectorELNS0_4arch9wavefront6targetE1EEEvSG_ ; -- Begin function _ZN7rocprim17ROCPRIM_400000_NS6detail17trampoline_kernelINS0_14default_configENS1_35radix_sort_onesweep_config_selectorIalEEZZNS1_29radix_sort_onesweep_iterationIS3_Lb0EPaS7_N6thrust23THRUST_200600_302600_NS10device_ptrIlEESB_jNS0_19identity_decomposerENS1_16block_id_wrapperIjLb0EEEEE10hipError_tT1_PNSt15iterator_traitsISG_E10value_typeET2_T3_PNSH_ISM_E10value_typeET4_T5_PSR_SS_PNS1_23onesweep_lookback_stateEbbT6_jjT7_P12ihipStream_tbENKUlT_T0_SG_SL_E_clIS7_S7_SB_SB_EEDaSZ_S10_SG_SL_EUlSZ_E_NS1_11comp_targetILNS1_3genE4ELNS1_11target_archE910ELNS1_3gpuE8ELNS1_3repE0EEENS1_47radix_sort_onesweep_sort_config_static_selectorELNS0_4arch9wavefront6targetE1EEEvSG_
	.globl	_ZN7rocprim17ROCPRIM_400000_NS6detail17trampoline_kernelINS0_14default_configENS1_35radix_sort_onesweep_config_selectorIalEEZZNS1_29radix_sort_onesweep_iterationIS3_Lb0EPaS7_N6thrust23THRUST_200600_302600_NS10device_ptrIlEESB_jNS0_19identity_decomposerENS1_16block_id_wrapperIjLb0EEEEE10hipError_tT1_PNSt15iterator_traitsISG_E10value_typeET2_T3_PNSH_ISM_E10value_typeET4_T5_PSR_SS_PNS1_23onesweep_lookback_stateEbbT6_jjT7_P12ihipStream_tbENKUlT_T0_SG_SL_E_clIS7_S7_SB_SB_EEDaSZ_S10_SG_SL_EUlSZ_E_NS1_11comp_targetILNS1_3genE4ELNS1_11target_archE910ELNS1_3gpuE8ELNS1_3repE0EEENS1_47radix_sort_onesweep_sort_config_static_selectorELNS0_4arch9wavefront6targetE1EEEvSG_
	.p2align	8
	.type	_ZN7rocprim17ROCPRIM_400000_NS6detail17trampoline_kernelINS0_14default_configENS1_35radix_sort_onesweep_config_selectorIalEEZZNS1_29radix_sort_onesweep_iterationIS3_Lb0EPaS7_N6thrust23THRUST_200600_302600_NS10device_ptrIlEESB_jNS0_19identity_decomposerENS1_16block_id_wrapperIjLb0EEEEE10hipError_tT1_PNSt15iterator_traitsISG_E10value_typeET2_T3_PNSH_ISM_E10value_typeET4_T5_PSR_SS_PNS1_23onesweep_lookback_stateEbbT6_jjT7_P12ihipStream_tbENKUlT_T0_SG_SL_E_clIS7_S7_SB_SB_EEDaSZ_S10_SG_SL_EUlSZ_E_NS1_11comp_targetILNS1_3genE4ELNS1_11target_archE910ELNS1_3gpuE8ELNS1_3repE0EEENS1_47radix_sort_onesweep_sort_config_static_selectorELNS0_4arch9wavefront6targetE1EEEvSG_,@function
_ZN7rocprim17ROCPRIM_400000_NS6detail17trampoline_kernelINS0_14default_configENS1_35radix_sort_onesweep_config_selectorIalEEZZNS1_29radix_sort_onesweep_iterationIS3_Lb0EPaS7_N6thrust23THRUST_200600_302600_NS10device_ptrIlEESB_jNS0_19identity_decomposerENS1_16block_id_wrapperIjLb0EEEEE10hipError_tT1_PNSt15iterator_traitsISG_E10value_typeET2_T3_PNSH_ISM_E10value_typeET4_T5_PSR_SS_PNS1_23onesweep_lookback_stateEbbT6_jjT7_P12ihipStream_tbENKUlT_T0_SG_SL_E_clIS7_S7_SB_SB_EEDaSZ_S10_SG_SL_EUlSZ_E_NS1_11comp_targetILNS1_3genE4ELNS1_11target_archE910ELNS1_3gpuE8ELNS1_3repE0EEENS1_47radix_sort_onesweep_sort_config_static_selectorELNS0_4arch9wavefront6targetE1EEEvSG_: ; @_ZN7rocprim17ROCPRIM_400000_NS6detail17trampoline_kernelINS0_14default_configENS1_35radix_sort_onesweep_config_selectorIalEEZZNS1_29radix_sort_onesweep_iterationIS3_Lb0EPaS7_N6thrust23THRUST_200600_302600_NS10device_ptrIlEESB_jNS0_19identity_decomposerENS1_16block_id_wrapperIjLb0EEEEE10hipError_tT1_PNSt15iterator_traitsISG_E10value_typeET2_T3_PNSH_ISM_E10value_typeET4_T5_PSR_SS_PNS1_23onesweep_lookback_stateEbbT6_jjT7_P12ihipStream_tbENKUlT_T0_SG_SL_E_clIS7_S7_SB_SB_EEDaSZ_S10_SG_SL_EUlSZ_E_NS1_11comp_targetILNS1_3genE4ELNS1_11target_archE910ELNS1_3gpuE8ELNS1_3repE0EEENS1_47radix_sort_onesweep_sort_config_static_selectorELNS0_4arch9wavefront6targetE1EEEvSG_
; %bb.0:
	.section	.rodata,"a",@progbits
	.p2align	6, 0x0
	.amdhsa_kernel _ZN7rocprim17ROCPRIM_400000_NS6detail17trampoline_kernelINS0_14default_configENS1_35radix_sort_onesweep_config_selectorIalEEZZNS1_29radix_sort_onesweep_iterationIS3_Lb0EPaS7_N6thrust23THRUST_200600_302600_NS10device_ptrIlEESB_jNS0_19identity_decomposerENS1_16block_id_wrapperIjLb0EEEEE10hipError_tT1_PNSt15iterator_traitsISG_E10value_typeET2_T3_PNSH_ISM_E10value_typeET4_T5_PSR_SS_PNS1_23onesweep_lookback_stateEbbT6_jjT7_P12ihipStream_tbENKUlT_T0_SG_SL_E_clIS7_S7_SB_SB_EEDaSZ_S10_SG_SL_EUlSZ_E_NS1_11comp_targetILNS1_3genE4ELNS1_11target_archE910ELNS1_3gpuE8ELNS1_3repE0EEENS1_47radix_sort_onesweep_sort_config_static_selectorELNS0_4arch9wavefront6targetE1EEEvSG_
		.amdhsa_group_segment_fixed_size 0
		.amdhsa_private_segment_fixed_size 0
		.amdhsa_kernarg_size 88
		.amdhsa_user_sgpr_count 6
		.amdhsa_user_sgpr_private_segment_buffer 1
		.amdhsa_user_sgpr_dispatch_ptr 0
		.amdhsa_user_sgpr_queue_ptr 0
		.amdhsa_user_sgpr_kernarg_segment_ptr 1
		.amdhsa_user_sgpr_dispatch_id 0
		.amdhsa_user_sgpr_flat_scratch_init 0
		.amdhsa_user_sgpr_private_segment_size 0
		.amdhsa_uses_dynamic_stack 0
		.amdhsa_system_sgpr_private_segment_wavefront_offset 0
		.amdhsa_system_sgpr_workgroup_id_x 1
		.amdhsa_system_sgpr_workgroup_id_y 0
		.amdhsa_system_sgpr_workgroup_id_z 0
		.amdhsa_system_sgpr_workgroup_info 0
		.amdhsa_system_vgpr_workitem_id 0
		.amdhsa_next_free_vgpr 1
		.amdhsa_next_free_sgpr 0
		.amdhsa_reserve_vcc 0
		.amdhsa_reserve_flat_scratch 0
		.amdhsa_float_round_mode_32 0
		.amdhsa_float_round_mode_16_64 0
		.amdhsa_float_denorm_mode_32 3
		.amdhsa_float_denorm_mode_16_64 3
		.amdhsa_dx10_clamp 1
		.amdhsa_ieee_mode 1
		.amdhsa_fp16_overflow 0
		.amdhsa_exception_fp_ieee_invalid_op 0
		.amdhsa_exception_fp_denorm_src 0
		.amdhsa_exception_fp_ieee_div_zero 0
		.amdhsa_exception_fp_ieee_overflow 0
		.amdhsa_exception_fp_ieee_underflow 0
		.amdhsa_exception_fp_ieee_inexact 0
		.amdhsa_exception_int_div_zero 0
	.end_amdhsa_kernel
	.section	.text._ZN7rocprim17ROCPRIM_400000_NS6detail17trampoline_kernelINS0_14default_configENS1_35radix_sort_onesweep_config_selectorIalEEZZNS1_29radix_sort_onesweep_iterationIS3_Lb0EPaS7_N6thrust23THRUST_200600_302600_NS10device_ptrIlEESB_jNS0_19identity_decomposerENS1_16block_id_wrapperIjLb0EEEEE10hipError_tT1_PNSt15iterator_traitsISG_E10value_typeET2_T3_PNSH_ISM_E10value_typeET4_T5_PSR_SS_PNS1_23onesweep_lookback_stateEbbT6_jjT7_P12ihipStream_tbENKUlT_T0_SG_SL_E_clIS7_S7_SB_SB_EEDaSZ_S10_SG_SL_EUlSZ_E_NS1_11comp_targetILNS1_3genE4ELNS1_11target_archE910ELNS1_3gpuE8ELNS1_3repE0EEENS1_47radix_sort_onesweep_sort_config_static_selectorELNS0_4arch9wavefront6targetE1EEEvSG_,"axG",@progbits,_ZN7rocprim17ROCPRIM_400000_NS6detail17trampoline_kernelINS0_14default_configENS1_35radix_sort_onesweep_config_selectorIalEEZZNS1_29radix_sort_onesweep_iterationIS3_Lb0EPaS7_N6thrust23THRUST_200600_302600_NS10device_ptrIlEESB_jNS0_19identity_decomposerENS1_16block_id_wrapperIjLb0EEEEE10hipError_tT1_PNSt15iterator_traitsISG_E10value_typeET2_T3_PNSH_ISM_E10value_typeET4_T5_PSR_SS_PNS1_23onesweep_lookback_stateEbbT6_jjT7_P12ihipStream_tbENKUlT_T0_SG_SL_E_clIS7_S7_SB_SB_EEDaSZ_S10_SG_SL_EUlSZ_E_NS1_11comp_targetILNS1_3genE4ELNS1_11target_archE910ELNS1_3gpuE8ELNS1_3repE0EEENS1_47radix_sort_onesweep_sort_config_static_selectorELNS0_4arch9wavefront6targetE1EEEvSG_,comdat
.Lfunc_end631:
	.size	_ZN7rocprim17ROCPRIM_400000_NS6detail17trampoline_kernelINS0_14default_configENS1_35radix_sort_onesweep_config_selectorIalEEZZNS1_29radix_sort_onesweep_iterationIS3_Lb0EPaS7_N6thrust23THRUST_200600_302600_NS10device_ptrIlEESB_jNS0_19identity_decomposerENS1_16block_id_wrapperIjLb0EEEEE10hipError_tT1_PNSt15iterator_traitsISG_E10value_typeET2_T3_PNSH_ISM_E10value_typeET4_T5_PSR_SS_PNS1_23onesweep_lookback_stateEbbT6_jjT7_P12ihipStream_tbENKUlT_T0_SG_SL_E_clIS7_S7_SB_SB_EEDaSZ_S10_SG_SL_EUlSZ_E_NS1_11comp_targetILNS1_3genE4ELNS1_11target_archE910ELNS1_3gpuE8ELNS1_3repE0EEENS1_47radix_sort_onesweep_sort_config_static_selectorELNS0_4arch9wavefront6targetE1EEEvSG_, .Lfunc_end631-_ZN7rocprim17ROCPRIM_400000_NS6detail17trampoline_kernelINS0_14default_configENS1_35radix_sort_onesweep_config_selectorIalEEZZNS1_29radix_sort_onesweep_iterationIS3_Lb0EPaS7_N6thrust23THRUST_200600_302600_NS10device_ptrIlEESB_jNS0_19identity_decomposerENS1_16block_id_wrapperIjLb0EEEEE10hipError_tT1_PNSt15iterator_traitsISG_E10value_typeET2_T3_PNSH_ISM_E10value_typeET4_T5_PSR_SS_PNS1_23onesweep_lookback_stateEbbT6_jjT7_P12ihipStream_tbENKUlT_T0_SG_SL_E_clIS7_S7_SB_SB_EEDaSZ_S10_SG_SL_EUlSZ_E_NS1_11comp_targetILNS1_3genE4ELNS1_11target_archE910ELNS1_3gpuE8ELNS1_3repE0EEENS1_47radix_sort_onesweep_sort_config_static_selectorELNS0_4arch9wavefront6targetE1EEEvSG_
                                        ; -- End function
	.set _ZN7rocprim17ROCPRIM_400000_NS6detail17trampoline_kernelINS0_14default_configENS1_35radix_sort_onesweep_config_selectorIalEEZZNS1_29radix_sort_onesweep_iterationIS3_Lb0EPaS7_N6thrust23THRUST_200600_302600_NS10device_ptrIlEESB_jNS0_19identity_decomposerENS1_16block_id_wrapperIjLb0EEEEE10hipError_tT1_PNSt15iterator_traitsISG_E10value_typeET2_T3_PNSH_ISM_E10value_typeET4_T5_PSR_SS_PNS1_23onesweep_lookback_stateEbbT6_jjT7_P12ihipStream_tbENKUlT_T0_SG_SL_E_clIS7_S7_SB_SB_EEDaSZ_S10_SG_SL_EUlSZ_E_NS1_11comp_targetILNS1_3genE4ELNS1_11target_archE910ELNS1_3gpuE8ELNS1_3repE0EEENS1_47radix_sort_onesweep_sort_config_static_selectorELNS0_4arch9wavefront6targetE1EEEvSG_.num_vgpr, 0
	.set _ZN7rocprim17ROCPRIM_400000_NS6detail17trampoline_kernelINS0_14default_configENS1_35radix_sort_onesweep_config_selectorIalEEZZNS1_29radix_sort_onesweep_iterationIS3_Lb0EPaS7_N6thrust23THRUST_200600_302600_NS10device_ptrIlEESB_jNS0_19identity_decomposerENS1_16block_id_wrapperIjLb0EEEEE10hipError_tT1_PNSt15iterator_traitsISG_E10value_typeET2_T3_PNSH_ISM_E10value_typeET4_T5_PSR_SS_PNS1_23onesweep_lookback_stateEbbT6_jjT7_P12ihipStream_tbENKUlT_T0_SG_SL_E_clIS7_S7_SB_SB_EEDaSZ_S10_SG_SL_EUlSZ_E_NS1_11comp_targetILNS1_3genE4ELNS1_11target_archE910ELNS1_3gpuE8ELNS1_3repE0EEENS1_47radix_sort_onesweep_sort_config_static_selectorELNS0_4arch9wavefront6targetE1EEEvSG_.num_agpr, 0
	.set _ZN7rocprim17ROCPRIM_400000_NS6detail17trampoline_kernelINS0_14default_configENS1_35radix_sort_onesweep_config_selectorIalEEZZNS1_29radix_sort_onesweep_iterationIS3_Lb0EPaS7_N6thrust23THRUST_200600_302600_NS10device_ptrIlEESB_jNS0_19identity_decomposerENS1_16block_id_wrapperIjLb0EEEEE10hipError_tT1_PNSt15iterator_traitsISG_E10value_typeET2_T3_PNSH_ISM_E10value_typeET4_T5_PSR_SS_PNS1_23onesweep_lookback_stateEbbT6_jjT7_P12ihipStream_tbENKUlT_T0_SG_SL_E_clIS7_S7_SB_SB_EEDaSZ_S10_SG_SL_EUlSZ_E_NS1_11comp_targetILNS1_3genE4ELNS1_11target_archE910ELNS1_3gpuE8ELNS1_3repE0EEENS1_47radix_sort_onesweep_sort_config_static_selectorELNS0_4arch9wavefront6targetE1EEEvSG_.numbered_sgpr, 0
	.set _ZN7rocprim17ROCPRIM_400000_NS6detail17trampoline_kernelINS0_14default_configENS1_35radix_sort_onesweep_config_selectorIalEEZZNS1_29radix_sort_onesweep_iterationIS3_Lb0EPaS7_N6thrust23THRUST_200600_302600_NS10device_ptrIlEESB_jNS0_19identity_decomposerENS1_16block_id_wrapperIjLb0EEEEE10hipError_tT1_PNSt15iterator_traitsISG_E10value_typeET2_T3_PNSH_ISM_E10value_typeET4_T5_PSR_SS_PNS1_23onesweep_lookback_stateEbbT6_jjT7_P12ihipStream_tbENKUlT_T0_SG_SL_E_clIS7_S7_SB_SB_EEDaSZ_S10_SG_SL_EUlSZ_E_NS1_11comp_targetILNS1_3genE4ELNS1_11target_archE910ELNS1_3gpuE8ELNS1_3repE0EEENS1_47radix_sort_onesweep_sort_config_static_selectorELNS0_4arch9wavefront6targetE1EEEvSG_.num_named_barrier, 0
	.set _ZN7rocprim17ROCPRIM_400000_NS6detail17trampoline_kernelINS0_14default_configENS1_35radix_sort_onesweep_config_selectorIalEEZZNS1_29radix_sort_onesweep_iterationIS3_Lb0EPaS7_N6thrust23THRUST_200600_302600_NS10device_ptrIlEESB_jNS0_19identity_decomposerENS1_16block_id_wrapperIjLb0EEEEE10hipError_tT1_PNSt15iterator_traitsISG_E10value_typeET2_T3_PNSH_ISM_E10value_typeET4_T5_PSR_SS_PNS1_23onesweep_lookback_stateEbbT6_jjT7_P12ihipStream_tbENKUlT_T0_SG_SL_E_clIS7_S7_SB_SB_EEDaSZ_S10_SG_SL_EUlSZ_E_NS1_11comp_targetILNS1_3genE4ELNS1_11target_archE910ELNS1_3gpuE8ELNS1_3repE0EEENS1_47radix_sort_onesweep_sort_config_static_selectorELNS0_4arch9wavefront6targetE1EEEvSG_.private_seg_size, 0
	.set _ZN7rocprim17ROCPRIM_400000_NS6detail17trampoline_kernelINS0_14default_configENS1_35radix_sort_onesweep_config_selectorIalEEZZNS1_29radix_sort_onesweep_iterationIS3_Lb0EPaS7_N6thrust23THRUST_200600_302600_NS10device_ptrIlEESB_jNS0_19identity_decomposerENS1_16block_id_wrapperIjLb0EEEEE10hipError_tT1_PNSt15iterator_traitsISG_E10value_typeET2_T3_PNSH_ISM_E10value_typeET4_T5_PSR_SS_PNS1_23onesweep_lookback_stateEbbT6_jjT7_P12ihipStream_tbENKUlT_T0_SG_SL_E_clIS7_S7_SB_SB_EEDaSZ_S10_SG_SL_EUlSZ_E_NS1_11comp_targetILNS1_3genE4ELNS1_11target_archE910ELNS1_3gpuE8ELNS1_3repE0EEENS1_47radix_sort_onesweep_sort_config_static_selectorELNS0_4arch9wavefront6targetE1EEEvSG_.uses_vcc, 0
	.set _ZN7rocprim17ROCPRIM_400000_NS6detail17trampoline_kernelINS0_14default_configENS1_35radix_sort_onesweep_config_selectorIalEEZZNS1_29radix_sort_onesweep_iterationIS3_Lb0EPaS7_N6thrust23THRUST_200600_302600_NS10device_ptrIlEESB_jNS0_19identity_decomposerENS1_16block_id_wrapperIjLb0EEEEE10hipError_tT1_PNSt15iterator_traitsISG_E10value_typeET2_T3_PNSH_ISM_E10value_typeET4_T5_PSR_SS_PNS1_23onesweep_lookback_stateEbbT6_jjT7_P12ihipStream_tbENKUlT_T0_SG_SL_E_clIS7_S7_SB_SB_EEDaSZ_S10_SG_SL_EUlSZ_E_NS1_11comp_targetILNS1_3genE4ELNS1_11target_archE910ELNS1_3gpuE8ELNS1_3repE0EEENS1_47radix_sort_onesweep_sort_config_static_selectorELNS0_4arch9wavefront6targetE1EEEvSG_.uses_flat_scratch, 0
	.set _ZN7rocprim17ROCPRIM_400000_NS6detail17trampoline_kernelINS0_14default_configENS1_35radix_sort_onesweep_config_selectorIalEEZZNS1_29radix_sort_onesweep_iterationIS3_Lb0EPaS7_N6thrust23THRUST_200600_302600_NS10device_ptrIlEESB_jNS0_19identity_decomposerENS1_16block_id_wrapperIjLb0EEEEE10hipError_tT1_PNSt15iterator_traitsISG_E10value_typeET2_T3_PNSH_ISM_E10value_typeET4_T5_PSR_SS_PNS1_23onesweep_lookback_stateEbbT6_jjT7_P12ihipStream_tbENKUlT_T0_SG_SL_E_clIS7_S7_SB_SB_EEDaSZ_S10_SG_SL_EUlSZ_E_NS1_11comp_targetILNS1_3genE4ELNS1_11target_archE910ELNS1_3gpuE8ELNS1_3repE0EEENS1_47radix_sort_onesweep_sort_config_static_selectorELNS0_4arch9wavefront6targetE1EEEvSG_.has_dyn_sized_stack, 0
	.set _ZN7rocprim17ROCPRIM_400000_NS6detail17trampoline_kernelINS0_14default_configENS1_35radix_sort_onesweep_config_selectorIalEEZZNS1_29radix_sort_onesweep_iterationIS3_Lb0EPaS7_N6thrust23THRUST_200600_302600_NS10device_ptrIlEESB_jNS0_19identity_decomposerENS1_16block_id_wrapperIjLb0EEEEE10hipError_tT1_PNSt15iterator_traitsISG_E10value_typeET2_T3_PNSH_ISM_E10value_typeET4_T5_PSR_SS_PNS1_23onesweep_lookback_stateEbbT6_jjT7_P12ihipStream_tbENKUlT_T0_SG_SL_E_clIS7_S7_SB_SB_EEDaSZ_S10_SG_SL_EUlSZ_E_NS1_11comp_targetILNS1_3genE4ELNS1_11target_archE910ELNS1_3gpuE8ELNS1_3repE0EEENS1_47radix_sort_onesweep_sort_config_static_selectorELNS0_4arch9wavefront6targetE1EEEvSG_.has_recursion, 0
	.set _ZN7rocprim17ROCPRIM_400000_NS6detail17trampoline_kernelINS0_14default_configENS1_35radix_sort_onesweep_config_selectorIalEEZZNS1_29radix_sort_onesweep_iterationIS3_Lb0EPaS7_N6thrust23THRUST_200600_302600_NS10device_ptrIlEESB_jNS0_19identity_decomposerENS1_16block_id_wrapperIjLb0EEEEE10hipError_tT1_PNSt15iterator_traitsISG_E10value_typeET2_T3_PNSH_ISM_E10value_typeET4_T5_PSR_SS_PNS1_23onesweep_lookback_stateEbbT6_jjT7_P12ihipStream_tbENKUlT_T0_SG_SL_E_clIS7_S7_SB_SB_EEDaSZ_S10_SG_SL_EUlSZ_E_NS1_11comp_targetILNS1_3genE4ELNS1_11target_archE910ELNS1_3gpuE8ELNS1_3repE0EEENS1_47radix_sort_onesweep_sort_config_static_selectorELNS0_4arch9wavefront6targetE1EEEvSG_.has_indirect_call, 0
	.section	.AMDGPU.csdata,"",@progbits
; Kernel info:
; codeLenInByte = 0
; TotalNumSgprs: 4
; NumVgprs: 0
; ScratchSize: 0
; MemoryBound: 0
; FloatMode: 240
; IeeeMode: 1
; LDSByteSize: 0 bytes/workgroup (compile time only)
; SGPRBlocks: 0
; VGPRBlocks: 0
; NumSGPRsForWavesPerEU: 4
; NumVGPRsForWavesPerEU: 1
; Occupancy: 10
; WaveLimiterHint : 0
; COMPUTE_PGM_RSRC2:SCRATCH_EN: 0
; COMPUTE_PGM_RSRC2:USER_SGPR: 6
; COMPUTE_PGM_RSRC2:TRAP_HANDLER: 0
; COMPUTE_PGM_RSRC2:TGID_X_EN: 1
; COMPUTE_PGM_RSRC2:TGID_Y_EN: 0
; COMPUTE_PGM_RSRC2:TGID_Z_EN: 0
; COMPUTE_PGM_RSRC2:TIDIG_COMP_CNT: 0
	.section	.text._ZN7rocprim17ROCPRIM_400000_NS6detail17trampoline_kernelINS0_14default_configENS1_35radix_sort_onesweep_config_selectorIalEEZZNS1_29radix_sort_onesweep_iterationIS3_Lb0EPaS7_N6thrust23THRUST_200600_302600_NS10device_ptrIlEESB_jNS0_19identity_decomposerENS1_16block_id_wrapperIjLb0EEEEE10hipError_tT1_PNSt15iterator_traitsISG_E10value_typeET2_T3_PNSH_ISM_E10value_typeET4_T5_PSR_SS_PNS1_23onesweep_lookback_stateEbbT6_jjT7_P12ihipStream_tbENKUlT_T0_SG_SL_E_clIS7_S7_SB_SB_EEDaSZ_S10_SG_SL_EUlSZ_E_NS1_11comp_targetILNS1_3genE3ELNS1_11target_archE908ELNS1_3gpuE7ELNS1_3repE0EEENS1_47radix_sort_onesweep_sort_config_static_selectorELNS0_4arch9wavefront6targetE1EEEvSG_,"axG",@progbits,_ZN7rocprim17ROCPRIM_400000_NS6detail17trampoline_kernelINS0_14default_configENS1_35radix_sort_onesweep_config_selectorIalEEZZNS1_29radix_sort_onesweep_iterationIS3_Lb0EPaS7_N6thrust23THRUST_200600_302600_NS10device_ptrIlEESB_jNS0_19identity_decomposerENS1_16block_id_wrapperIjLb0EEEEE10hipError_tT1_PNSt15iterator_traitsISG_E10value_typeET2_T3_PNSH_ISM_E10value_typeET4_T5_PSR_SS_PNS1_23onesweep_lookback_stateEbbT6_jjT7_P12ihipStream_tbENKUlT_T0_SG_SL_E_clIS7_S7_SB_SB_EEDaSZ_S10_SG_SL_EUlSZ_E_NS1_11comp_targetILNS1_3genE3ELNS1_11target_archE908ELNS1_3gpuE7ELNS1_3repE0EEENS1_47radix_sort_onesweep_sort_config_static_selectorELNS0_4arch9wavefront6targetE1EEEvSG_,comdat
	.protected	_ZN7rocprim17ROCPRIM_400000_NS6detail17trampoline_kernelINS0_14default_configENS1_35radix_sort_onesweep_config_selectorIalEEZZNS1_29radix_sort_onesweep_iterationIS3_Lb0EPaS7_N6thrust23THRUST_200600_302600_NS10device_ptrIlEESB_jNS0_19identity_decomposerENS1_16block_id_wrapperIjLb0EEEEE10hipError_tT1_PNSt15iterator_traitsISG_E10value_typeET2_T3_PNSH_ISM_E10value_typeET4_T5_PSR_SS_PNS1_23onesweep_lookback_stateEbbT6_jjT7_P12ihipStream_tbENKUlT_T0_SG_SL_E_clIS7_S7_SB_SB_EEDaSZ_S10_SG_SL_EUlSZ_E_NS1_11comp_targetILNS1_3genE3ELNS1_11target_archE908ELNS1_3gpuE7ELNS1_3repE0EEENS1_47radix_sort_onesweep_sort_config_static_selectorELNS0_4arch9wavefront6targetE1EEEvSG_ ; -- Begin function _ZN7rocprim17ROCPRIM_400000_NS6detail17trampoline_kernelINS0_14default_configENS1_35radix_sort_onesweep_config_selectorIalEEZZNS1_29radix_sort_onesweep_iterationIS3_Lb0EPaS7_N6thrust23THRUST_200600_302600_NS10device_ptrIlEESB_jNS0_19identity_decomposerENS1_16block_id_wrapperIjLb0EEEEE10hipError_tT1_PNSt15iterator_traitsISG_E10value_typeET2_T3_PNSH_ISM_E10value_typeET4_T5_PSR_SS_PNS1_23onesweep_lookback_stateEbbT6_jjT7_P12ihipStream_tbENKUlT_T0_SG_SL_E_clIS7_S7_SB_SB_EEDaSZ_S10_SG_SL_EUlSZ_E_NS1_11comp_targetILNS1_3genE3ELNS1_11target_archE908ELNS1_3gpuE7ELNS1_3repE0EEENS1_47radix_sort_onesweep_sort_config_static_selectorELNS0_4arch9wavefront6targetE1EEEvSG_
	.globl	_ZN7rocprim17ROCPRIM_400000_NS6detail17trampoline_kernelINS0_14default_configENS1_35radix_sort_onesweep_config_selectorIalEEZZNS1_29radix_sort_onesweep_iterationIS3_Lb0EPaS7_N6thrust23THRUST_200600_302600_NS10device_ptrIlEESB_jNS0_19identity_decomposerENS1_16block_id_wrapperIjLb0EEEEE10hipError_tT1_PNSt15iterator_traitsISG_E10value_typeET2_T3_PNSH_ISM_E10value_typeET4_T5_PSR_SS_PNS1_23onesweep_lookback_stateEbbT6_jjT7_P12ihipStream_tbENKUlT_T0_SG_SL_E_clIS7_S7_SB_SB_EEDaSZ_S10_SG_SL_EUlSZ_E_NS1_11comp_targetILNS1_3genE3ELNS1_11target_archE908ELNS1_3gpuE7ELNS1_3repE0EEENS1_47radix_sort_onesweep_sort_config_static_selectorELNS0_4arch9wavefront6targetE1EEEvSG_
	.p2align	8
	.type	_ZN7rocprim17ROCPRIM_400000_NS6detail17trampoline_kernelINS0_14default_configENS1_35radix_sort_onesweep_config_selectorIalEEZZNS1_29radix_sort_onesweep_iterationIS3_Lb0EPaS7_N6thrust23THRUST_200600_302600_NS10device_ptrIlEESB_jNS0_19identity_decomposerENS1_16block_id_wrapperIjLb0EEEEE10hipError_tT1_PNSt15iterator_traitsISG_E10value_typeET2_T3_PNSH_ISM_E10value_typeET4_T5_PSR_SS_PNS1_23onesweep_lookback_stateEbbT6_jjT7_P12ihipStream_tbENKUlT_T0_SG_SL_E_clIS7_S7_SB_SB_EEDaSZ_S10_SG_SL_EUlSZ_E_NS1_11comp_targetILNS1_3genE3ELNS1_11target_archE908ELNS1_3gpuE7ELNS1_3repE0EEENS1_47radix_sort_onesweep_sort_config_static_selectorELNS0_4arch9wavefront6targetE1EEEvSG_,@function
_ZN7rocprim17ROCPRIM_400000_NS6detail17trampoline_kernelINS0_14default_configENS1_35radix_sort_onesweep_config_selectorIalEEZZNS1_29radix_sort_onesweep_iterationIS3_Lb0EPaS7_N6thrust23THRUST_200600_302600_NS10device_ptrIlEESB_jNS0_19identity_decomposerENS1_16block_id_wrapperIjLb0EEEEE10hipError_tT1_PNSt15iterator_traitsISG_E10value_typeET2_T3_PNSH_ISM_E10value_typeET4_T5_PSR_SS_PNS1_23onesweep_lookback_stateEbbT6_jjT7_P12ihipStream_tbENKUlT_T0_SG_SL_E_clIS7_S7_SB_SB_EEDaSZ_S10_SG_SL_EUlSZ_E_NS1_11comp_targetILNS1_3genE3ELNS1_11target_archE908ELNS1_3gpuE7ELNS1_3repE0EEENS1_47radix_sort_onesweep_sort_config_static_selectorELNS0_4arch9wavefront6targetE1EEEvSG_: ; @_ZN7rocprim17ROCPRIM_400000_NS6detail17trampoline_kernelINS0_14default_configENS1_35radix_sort_onesweep_config_selectorIalEEZZNS1_29radix_sort_onesweep_iterationIS3_Lb0EPaS7_N6thrust23THRUST_200600_302600_NS10device_ptrIlEESB_jNS0_19identity_decomposerENS1_16block_id_wrapperIjLb0EEEEE10hipError_tT1_PNSt15iterator_traitsISG_E10value_typeET2_T3_PNSH_ISM_E10value_typeET4_T5_PSR_SS_PNS1_23onesweep_lookback_stateEbbT6_jjT7_P12ihipStream_tbENKUlT_T0_SG_SL_E_clIS7_S7_SB_SB_EEDaSZ_S10_SG_SL_EUlSZ_E_NS1_11comp_targetILNS1_3genE3ELNS1_11target_archE908ELNS1_3gpuE7ELNS1_3repE0EEENS1_47radix_sort_onesweep_sort_config_static_selectorELNS0_4arch9wavefront6targetE1EEEvSG_
; %bb.0:
	.section	.rodata,"a",@progbits
	.p2align	6, 0x0
	.amdhsa_kernel _ZN7rocprim17ROCPRIM_400000_NS6detail17trampoline_kernelINS0_14default_configENS1_35radix_sort_onesweep_config_selectorIalEEZZNS1_29radix_sort_onesweep_iterationIS3_Lb0EPaS7_N6thrust23THRUST_200600_302600_NS10device_ptrIlEESB_jNS0_19identity_decomposerENS1_16block_id_wrapperIjLb0EEEEE10hipError_tT1_PNSt15iterator_traitsISG_E10value_typeET2_T3_PNSH_ISM_E10value_typeET4_T5_PSR_SS_PNS1_23onesweep_lookback_stateEbbT6_jjT7_P12ihipStream_tbENKUlT_T0_SG_SL_E_clIS7_S7_SB_SB_EEDaSZ_S10_SG_SL_EUlSZ_E_NS1_11comp_targetILNS1_3genE3ELNS1_11target_archE908ELNS1_3gpuE7ELNS1_3repE0EEENS1_47radix_sort_onesweep_sort_config_static_selectorELNS0_4arch9wavefront6targetE1EEEvSG_
		.amdhsa_group_segment_fixed_size 0
		.amdhsa_private_segment_fixed_size 0
		.amdhsa_kernarg_size 88
		.amdhsa_user_sgpr_count 6
		.amdhsa_user_sgpr_private_segment_buffer 1
		.amdhsa_user_sgpr_dispatch_ptr 0
		.amdhsa_user_sgpr_queue_ptr 0
		.amdhsa_user_sgpr_kernarg_segment_ptr 1
		.amdhsa_user_sgpr_dispatch_id 0
		.amdhsa_user_sgpr_flat_scratch_init 0
		.amdhsa_user_sgpr_private_segment_size 0
		.amdhsa_uses_dynamic_stack 0
		.amdhsa_system_sgpr_private_segment_wavefront_offset 0
		.amdhsa_system_sgpr_workgroup_id_x 1
		.amdhsa_system_sgpr_workgroup_id_y 0
		.amdhsa_system_sgpr_workgroup_id_z 0
		.amdhsa_system_sgpr_workgroup_info 0
		.amdhsa_system_vgpr_workitem_id 0
		.amdhsa_next_free_vgpr 1
		.amdhsa_next_free_sgpr 0
		.amdhsa_reserve_vcc 0
		.amdhsa_reserve_flat_scratch 0
		.amdhsa_float_round_mode_32 0
		.amdhsa_float_round_mode_16_64 0
		.amdhsa_float_denorm_mode_32 3
		.amdhsa_float_denorm_mode_16_64 3
		.amdhsa_dx10_clamp 1
		.amdhsa_ieee_mode 1
		.amdhsa_fp16_overflow 0
		.amdhsa_exception_fp_ieee_invalid_op 0
		.amdhsa_exception_fp_denorm_src 0
		.amdhsa_exception_fp_ieee_div_zero 0
		.amdhsa_exception_fp_ieee_overflow 0
		.amdhsa_exception_fp_ieee_underflow 0
		.amdhsa_exception_fp_ieee_inexact 0
		.amdhsa_exception_int_div_zero 0
	.end_amdhsa_kernel
	.section	.text._ZN7rocprim17ROCPRIM_400000_NS6detail17trampoline_kernelINS0_14default_configENS1_35radix_sort_onesweep_config_selectorIalEEZZNS1_29radix_sort_onesweep_iterationIS3_Lb0EPaS7_N6thrust23THRUST_200600_302600_NS10device_ptrIlEESB_jNS0_19identity_decomposerENS1_16block_id_wrapperIjLb0EEEEE10hipError_tT1_PNSt15iterator_traitsISG_E10value_typeET2_T3_PNSH_ISM_E10value_typeET4_T5_PSR_SS_PNS1_23onesweep_lookback_stateEbbT6_jjT7_P12ihipStream_tbENKUlT_T0_SG_SL_E_clIS7_S7_SB_SB_EEDaSZ_S10_SG_SL_EUlSZ_E_NS1_11comp_targetILNS1_3genE3ELNS1_11target_archE908ELNS1_3gpuE7ELNS1_3repE0EEENS1_47radix_sort_onesweep_sort_config_static_selectorELNS0_4arch9wavefront6targetE1EEEvSG_,"axG",@progbits,_ZN7rocprim17ROCPRIM_400000_NS6detail17trampoline_kernelINS0_14default_configENS1_35radix_sort_onesweep_config_selectorIalEEZZNS1_29radix_sort_onesweep_iterationIS3_Lb0EPaS7_N6thrust23THRUST_200600_302600_NS10device_ptrIlEESB_jNS0_19identity_decomposerENS1_16block_id_wrapperIjLb0EEEEE10hipError_tT1_PNSt15iterator_traitsISG_E10value_typeET2_T3_PNSH_ISM_E10value_typeET4_T5_PSR_SS_PNS1_23onesweep_lookback_stateEbbT6_jjT7_P12ihipStream_tbENKUlT_T0_SG_SL_E_clIS7_S7_SB_SB_EEDaSZ_S10_SG_SL_EUlSZ_E_NS1_11comp_targetILNS1_3genE3ELNS1_11target_archE908ELNS1_3gpuE7ELNS1_3repE0EEENS1_47radix_sort_onesweep_sort_config_static_selectorELNS0_4arch9wavefront6targetE1EEEvSG_,comdat
.Lfunc_end632:
	.size	_ZN7rocprim17ROCPRIM_400000_NS6detail17trampoline_kernelINS0_14default_configENS1_35radix_sort_onesweep_config_selectorIalEEZZNS1_29radix_sort_onesweep_iterationIS3_Lb0EPaS7_N6thrust23THRUST_200600_302600_NS10device_ptrIlEESB_jNS0_19identity_decomposerENS1_16block_id_wrapperIjLb0EEEEE10hipError_tT1_PNSt15iterator_traitsISG_E10value_typeET2_T3_PNSH_ISM_E10value_typeET4_T5_PSR_SS_PNS1_23onesweep_lookback_stateEbbT6_jjT7_P12ihipStream_tbENKUlT_T0_SG_SL_E_clIS7_S7_SB_SB_EEDaSZ_S10_SG_SL_EUlSZ_E_NS1_11comp_targetILNS1_3genE3ELNS1_11target_archE908ELNS1_3gpuE7ELNS1_3repE0EEENS1_47radix_sort_onesweep_sort_config_static_selectorELNS0_4arch9wavefront6targetE1EEEvSG_, .Lfunc_end632-_ZN7rocprim17ROCPRIM_400000_NS6detail17trampoline_kernelINS0_14default_configENS1_35radix_sort_onesweep_config_selectorIalEEZZNS1_29radix_sort_onesweep_iterationIS3_Lb0EPaS7_N6thrust23THRUST_200600_302600_NS10device_ptrIlEESB_jNS0_19identity_decomposerENS1_16block_id_wrapperIjLb0EEEEE10hipError_tT1_PNSt15iterator_traitsISG_E10value_typeET2_T3_PNSH_ISM_E10value_typeET4_T5_PSR_SS_PNS1_23onesweep_lookback_stateEbbT6_jjT7_P12ihipStream_tbENKUlT_T0_SG_SL_E_clIS7_S7_SB_SB_EEDaSZ_S10_SG_SL_EUlSZ_E_NS1_11comp_targetILNS1_3genE3ELNS1_11target_archE908ELNS1_3gpuE7ELNS1_3repE0EEENS1_47radix_sort_onesweep_sort_config_static_selectorELNS0_4arch9wavefront6targetE1EEEvSG_
                                        ; -- End function
	.set _ZN7rocprim17ROCPRIM_400000_NS6detail17trampoline_kernelINS0_14default_configENS1_35radix_sort_onesweep_config_selectorIalEEZZNS1_29radix_sort_onesweep_iterationIS3_Lb0EPaS7_N6thrust23THRUST_200600_302600_NS10device_ptrIlEESB_jNS0_19identity_decomposerENS1_16block_id_wrapperIjLb0EEEEE10hipError_tT1_PNSt15iterator_traitsISG_E10value_typeET2_T3_PNSH_ISM_E10value_typeET4_T5_PSR_SS_PNS1_23onesweep_lookback_stateEbbT6_jjT7_P12ihipStream_tbENKUlT_T0_SG_SL_E_clIS7_S7_SB_SB_EEDaSZ_S10_SG_SL_EUlSZ_E_NS1_11comp_targetILNS1_3genE3ELNS1_11target_archE908ELNS1_3gpuE7ELNS1_3repE0EEENS1_47radix_sort_onesweep_sort_config_static_selectorELNS0_4arch9wavefront6targetE1EEEvSG_.num_vgpr, 0
	.set _ZN7rocprim17ROCPRIM_400000_NS6detail17trampoline_kernelINS0_14default_configENS1_35radix_sort_onesweep_config_selectorIalEEZZNS1_29radix_sort_onesweep_iterationIS3_Lb0EPaS7_N6thrust23THRUST_200600_302600_NS10device_ptrIlEESB_jNS0_19identity_decomposerENS1_16block_id_wrapperIjLb0EEEEE10hipError_tT1_PNSt15iterator_traitsISG_E10value_typeET2_T3_PNSH_ISM_E10value_typeET4_T5_PSR_SS_PNS1_23onesweep_lookback_stateEbbT6_jjT7_P12ihipStream_tbENKUlT_T0_SG_SL_E_clIS7_S7_SB_SB_EEDaSZ_S10_SG_SL_EUlSZ_E_NS1_11comp_targetILNS1_3genE3ELNS1_11target_archE908ELNS1_3gpuE7ELNS1_3repE0EEENS1_47radix_sort_onesweep_sort_config_static_selectorELNS0_4arch9wavefront6targetE1EEEvSG_.num_agpr, 0
	.set _ZN7rocprim17ROCPRIM_400000_NS6detail17trampoline_kernelINS0_14default_configENS1_35radix_sort_onesweep_config_selectorIalEEZZNS1_29radix_sort_onesweep_iterationIS3_Lb0EPaS7_N6thrust23THRUST_200600_302600_NS10device_ptrIlEESB_jNS0_19identity_decomposerENS1_16block_id_wrapperIjLb0EEEEE10hipError_tT1_PNSt15iterator_traitsISG_E10value_typeET2_T3_PNSH_ISM_E10value_typeET4_T5_PSR_SS_PNS1_23onesweep_lookback_stateEbbT6_jjT7_P12ihipStream_tbENKUlT_T0_SG_SL_E_clIS7_S7_SB_SB_EEDaSZ_S10_SG_SL_EUlSZ_E_NS1_11comp_targetILNS1_3genE3ELNS1_11target_archE908ELNS1_3gpuE7ELNS1_3repE0EEENS1_47radix_sort_onesweep_sort_config_static_selectorELNS0_4arch9wavefront6targetE1EEEvSG_.numbered_sgpr, 0
	.set _ZN7rocprim17ROCPRIM_400000_NS6detail17trampoline_kernelINS0_14default_configENS1_35radix_sort_onesweep_config_selectorIalEEZZNS1_29radix_sort_onesweep_iterationIS3_Lb0EPaS7_N6thrust23THRUST_200600_302600_NS10device_ptrIlEESB_jNS0_19identity_decomposerENS1_16block_id_wrapperIjLb0EEEEE10hipError_tT1_PNSt15iterator_traitsISG_E10value_typeET2_T3_PNSH_ISM_E10value_typeET4_T5_PSR_SS_PNS1_23onesweep_lookback_stateEbbT6_jjT7_P12ihipStream_tbENKUlT_T0_SG_SL_E_clIS7_S7_SB_SB_EEDaSZ_S10_SG_SL_EUlSZ_E_NS1_11comp_targetILNS1_3genE3ELNS1_11target_archE908ELNS1_3gpuE7ELNS1_3repE0EEENS1_47radix_sort_onesweep_sort_config_static_selectorELNS0_4arch9wavefront6targetE1EEEvSG_.num_named_barrier, 0
	.set _ZN7rocprim17ROCPRIM_400000_NS6detail17trampoline_kernelINS0_14default_configENS1_35radix_sort_onesweep_config_selectorIalEEZZNS1_29radix_sort_onesweep_iterationIS3_Lb0EPaS7_N6thrust23THRUST_200600_302600_NS10device_ptrIlEESB_jNS0_19identity_decomposerENS1_16block_id_wrapperIjLb0EEEEE10hipError_tT1_PNSt15iterator_traitsISG_E10value_typeET2_T3_PNSH_ISM_E10value_typeET4_T5_PSR_SS_PNS1_23onesweep_lookback_stateEbbT6_jjT7_P12ihipStream_tbENKUlT_T0_SG_SL_E_clIS7_S7_SB_SB_EEDaSZ_S10_SG_SL_EUlSZ_E_NS1_11comp_targetILNS1_3genE3ELNS1_11target_archE908ELNS1_3gpuE7ELNS1_3repE0EEENS1_47radix_sort_onesweep_sort_config_static_selectorELNS0_4arch9wavefront6targetE1EEEvSG_.private_seg_size, 0
	.set _ZN7rocprim17ROCPRIM_400000_NS6detail17trampoline_kernelINS0_14default_configENS1_35radix_sort_onesweep_config_selectorIalEEZZNS1_29radix_sort_onesweep_iterationIS3_Lb0EPaS7_N6thrust23THRUST_200600_302600_NS10device_ptrIlEESB_jNS0_19identity_decomposerENS1_16block_id_wrapperIjLb0EEEEE10hipError_tT1_PNSt15iterator_traitsISG_E10value_typeET2_T3_PNSH_ISM_E10value_typeET4_T5_PSR_SS_PNS1_23onesweep_lookback_stateEbbT6_jjT7_P12ihipStream_tbENKUlT_T0_SG_SL_E_clIS7_S7_SB_SB_EEDaSZ_S10_SG_SL_EUlSZ_E_NS1_11comp_targetILNS1_3genE3ELNS1_11target_archE908ELNS1_3gpuE7ELNS1_3repE0EEENS1_47radix_sort_onesweep_sort_config_static_selectorELNS0_4arch9wavefront6targetE1EEEvSG_.uses_vcc, 0
	.set _ZN7rocprim17ROCPRIM_400000_NS6detail17trampoline_kernelINS0_14default_configENS1_35radix_sort_onesweep_config_selectorIalEEZZNS1_29radix_sort_onesweep_iterationIS3_Lb0EPaS7_N6thrust23THRUST_200600_302600_NS10device_ptrIlEESB_jNS0_19identity_decomposerENS1_16block_id_wrapperIjLb0EEEEE10hipError_tT1_PNSt15iterator_traitsISG_E10value_typeET2_T3_PNSH_ISM_E10value_typeET4_T5_PSR_SS_PNS1_23onesweep_lookback_stateEbbT6_jjT7_P12ihipStream_tbENKUlT_T0_SG_SL_E_clIS7_S7_SB_SB_EEDaSZ_S10_SG_SL_EUlSZ_E_NS1_11comp_targetILNS1_3genE3ELNS1_11target_archE908ELNS1_3gpuE7ELNS1_3repE0EEENS1_47radix_sort_onesweep_sort_config_static_selectorELNS0_4arch9wavefront6targetE1EEEvSG_.uses_flat_scratch, 0
	.set _ZN7rocprim17ROCPRIM_400000_NS6detail17trampoline_kernelINS0_14default_configENS1_35radix_sort_onesweep_config_selectorIalEEZZNS1_29radix_sort_onesweep_iterationIS3_Lb0EPaS7_N6thrust23THRUST_200600_302600_NS10device_ptrIlEESB_jNS0_19identity_decomposerENS1_16block_id_wrapperIjLb0EEEEE10hipError_tT1_PNSt15iterator_traitsISG_E10value_typeET2_T3_PNSH_ISM_E10value_typeET4_T5_PSR_SS_PNS1_23onesweep_lookback_stateEbbT6_jjT7_P12ihipStream_tbENKUlT_T0_SG_SL_E_clIS7_S7_SB_SB_EEDaSZ_S10_SG_SL_EUlSZ_E_NS1_11comp_targetILNS1_3genE3ELNS1_11target_archE908ELNS1_3gpuE7ELNS1_3repE0EEENS1_47radix_sort_onesweep_sort_config_static_selectorELNS0_4arch9wavefront6targetE1EEEvSG_.has_dyn_sized_stack, 0
	.set _ZN7rocprim17ROCPRIM_400000_NS6detail17trampoline_kernelINS0_14default_configENS1_35radix_sort_onesweep_config_selectorIalEEZZNS1_29radix_sort_onesweep_iterationIS3_Lb0EPaS7_N6thrust23THRUST_200600_302600_NS10device_ptrIlEESB_jNS0_19identity_decomposerENS1_16block_id_wrapperIjLb0EEEEE10hipError_tT1_PNSt15iterator_traitsISG_E10value_typeET2_T3_PNSH_ISM_E10value_typeET4_T5_PSR_SS_PNS1_23onesweep_lookback_stateEbbT6_jjT7_P12ihipStream_tbENKUlT_T0_SG_SL_E_clIS7_S7_SB_SB_EEDaSZ_S10_SG_SL_EUlSZ_E_NS1_11comp_targetILNS1_3genE3ELNS1_11target_archE908ELNS1_3gpuE7ELNS1_3repE0EEENS1_47radix_sort_onesweep_sort_config_static_selectorELNS0_4arch9wavefront6targetE1EEEvSG_.has_recursion, 0
	.set _ZN7rocprim17ROCPRIM_400000_NS6detail17trampoline_kernelINS0_14default_configENS1_35radix_sort_onesweep_config_selectorIalEEZZNS1_29radix_sort_onesweep_iterationIS3_Lb0EPaS7_N6thrust23THRUST_200600_302600_NS10device_ptrIlEESB_jNS0_19identity_decomposerENS1_16block_id_wrapperIjLb0EEEEE10hipError_tT1_PNSt15iterator_traitsISG_E10value_typeET2_T3_PNSH_ISM_E10value_typeET4_T5_PSR_SS_PNS1_23onesweep_lookback_stateEbbT6_jjT7_P12ihipStream_tbENKUlT_T0_SG_SL_E_clIS7_S7_SB_SB_EEDaSZ_S10_SG_SL_EUlSZ_E_NS1_11comp_targetILNS1_3genE3ELNS1_11target_archE908ELNS1_3gpuE7ELNS1_3repE0EEENS1_47radix_sort_onesweep_sort_config_static_selectorELNS0_4arch9wavefront6targetE1EEEvSG_.has_indirect_call, 0
	.section	.AMDGPU.csdata,"",@progbits
; Kernel info:
; codeLenInByte = 0
; TotalNumSgprs: 4
; NumVgprs: 0
; ScratchSize: 0
; MemoryBound: 0
; FloatMode: 240
; IeeeMode: 1
; LDSByteSize: 0 bytes/workgroup (compile time only)
; SGPRBlocks: 0
; VGPRBlocks: 0
; NumSGPRsForWavesPerEU: 4
; NumVGPRsForWavesPerEU: 1
; Occupancy: 10
; WaveLimiterHint : 0
; COMPUTE_PGM_RSRC2:SCRATCH_EN: 0
; COMPUTE_PGM_RSRC2:USER_SGPR: 6
; COMPUTE_PGM_RSRC2:TRAP_HANDLER: 0
; COMPUTE_PGM_RSRC2:TGID_X_EN: 1
; COMPUTE_PGM_RSRC2:TGID_Y_EN: 0
; COMPUTE_PGM_RSRC2:TGID_Z_EN: 0
; COMPUTE_PGM_RSRC2:TIDIG_COMP_CNT: 0
	.section	.text._ZN7rocprim17ROCPRIM_400000_NS6detail17trampoline_kernelINS0_14default_configENS1_35radix_sort_onesweep_config_selectorIalEEZZNS1_29radix_sort_onesweep_iterationIS3_Lb0EPaS7_N6thrust23THRUST_200600_302600_NS10device_ptrIlEESB_jNS0_19identity_decomposerENS1_16block_id_wrapperIjLb0EEEEE10hipError_tT1_PNSt15iterator_traitsISG_E10value_typeET2_T3_PNSH_ISM_E10value_typeET4_T5_PSR_SS_PNS1_23onesweep_lookback_stateEbbT6_jjT7_P12ihipStream_tbENKUlT_T0_SG_SL_E_clIS7_S7_SB_SB_EEDaSZ_S10_SG_SL_EUlSZ_E_NS1_11comp_targetILNS1_3genE10ELNS1_11target_archE1201ELNS1_3gpuE5ELNS1_3repE0EEENS1_47radix_sort_onesweep_sort_config_static_selectorELNS0_4arch9wavefront6targetE1EEEvSG_,"axG",@progbits,_ZN7rocprim17ROCPRIM_400000_NS6detail17trampoline_kernelINS0_14default_configENS1_35radix_sort_onesweep_config_selectorIalEEZZNS1_29radix_sort_onesweep_iterationIS3_Lb0EPaS7_N6thrust23THRUST_200600_302600_NS10device_ptrIlEESB_jNS0_19identity_decomposerENS1_16block_id_wrapperIjLb0EEEEE10hipError_tT1_PNSt15iterator_traitsISG_E10value_typeET2_T3_PNSH_ISM_E10value_typeET4_T5_PSR_SS_PNS1_23onesweep_lookback_stateEbbT6_jjT7_P12ihipStream_tbENKUlT_T0_SG_SL_E_clIS7_S7_SB_SB_EEDaSZ_S10_SG_SL_EUlSZ_E_NS1_11comp_targetILNS1_3genE10ELNS1_11target_archE1201ELNS1_3gpuE5ELNS1_3repE0EEENS1_47radix_sort_onesweep_sort_config_static_selectorELNS0_4arch9wavefront6targetE1EEEvSG_,comdat
	.protected	_ZN7rocprim17ROCPRIM_400000_NS6detail17trampoline_kernelINS0_14default_configENS1_35radix_sort_onesweep_config_selectorIalEEZZNS1_29radix_sort_onesweep_iterationIS3_Lb0EPaS7_N6thrust23THRUST_200600_302600_NS10device_ptrIlEESB_jNS0_19identity_decomposerENS1_16block_id_wrapperIjLb0EEEEE10hipError_tT1_PNSt15iterator_traitsISG_E10value_typeET2_T3_PNSH_ISM_E10value_typeET4_T5_PSR_SS_PNS1_23onesweep_lookback_stateEbbT6_jjT7_P12ihipStream_tbENKUlT_T0_SG_SL_E_clIS7_S7_SB_SB_EEDaSZ_S10_SG_SL_EUlSZ_E_NS1_11comp_targetILNS1_3genE10ELNS1_11target_archE1201ELNS1_3gpuE5ELNS1_3repE0EEENS1_47radix_sort_onesweep_sort_config_static_selectorELNS0_4arch9wavefront6targetE1EEEvSG_ ; -- Begin function _ZN7rocprim17ROCPRIM_400000_NS6detail17trampoline_kernelINS0_14default_configENS1_35radix_sort_onesweep_config_selectorIalEEZZNS1_29radix_sort_onesweep_iterationIS3_Lb0EPaS7_N6thrust23THRUST_200600_302600_NS10device_ptrIlEESB_jNS0_19identity_decomposerENS1_16block_id_wrapperIjLb0EEEEE10hipError_tT1_PNSt15iterator_traitsISG_E10value_typeET2_T3_PNSH_ISM_E10value_typeET4_T5_PSR_SS_PNS1_23onesweep_lookback_stateEbbT6_jjT7_P12ihipStream_tbENKUlT_T0_SG_SL_E_clIS7_S7_SB_SB_EEDaSZ_S10_SG_SL_EUlSZ_E_NS1_11comp_targetILNS1_3genE10ELNS1_11target_archE1201ELNS1_3gpuE5ELNS1_3repE0EEENS1_47radix_sort_onesweep_sort_config_static_selectorELNS0_4arch9wavefront6targetE1EEEvSG_
	.globl	_ZN7rocprim17ROCPRIM_400000_NS6detail17trampoline_kernelINS0_14default_configENS1_35radix_sort_onesweep_config_selectorIalEEZZNS1_29radix_sort_onesweep_iterationIS3_Lb0EPaS7_N6thrust23THRUST_200600_302600_NS10device_ptrIlEESB_jNS0_19identity_decomposerENS1_16block_id_wrapperIjLb0EEEEE10hipError_tT1_PNSt15iterator_traitsISG_E10value_typeET2_T3_PNSH_ISM_E10value_typeET4_T5_PSR_SS_PNS1_23onesweep_lookback_stateEbbT6_jjT7_P12ihipStream_tbENKUlT_T0_SG_SL_E_clIS7_S7_SB_SB_EEDaSZ_S10_SG_SL_EUlSZ_E_NS1_11comp_targetILNS1_3genE10ELNS1_11target_archE1201ELNS1_3gpuE5ELNS1_3repE0EEENS1_47radix_sort_onesweep_sort_config_static_selectorELNS0_4arch9wavefront6targetE1EEEvSG_
	.p2align	8
	.type	_ZN7rocprim17ROCPRIM_400000_NS6detail17trampoline_kernelINS0_14default_configENS1_35radix_sort_onesweep_config_selectorIalEEZZNS1_29radix_sort_onesweep_iterationIS3_Lb0EPaS7_N6thrust23THRUST_200600_302600_NS10device_ptrIlEESB_jNS0_19identity_decomposerENS1_16block_id_wrapperIjLb0EEEEE10hipError_tT1_PNSt15iterator_traitsISG_E10value_typeET2_T3_PNSH_ISM_E10value_typeET4_T5_PSR_SS_PNS1_23onesweep_lookback_stateEbbT6_jjT7_P12ihipStream_tbENKUlT_T0_SG_SL_E_clIS7_S7_SB_SB_EEDaSZ_S10_SG_SL_EUlSZ_E_NS1_11comp_targetILNS1_3genE10ELNS1_11target_archE1201ELNS1_3gpuE5ELNS1_3repE0EEENS1_47radix_sort_onesweep_sort_config_static_selectorELNS0_4arch9wavefront6targetE1EEEvSG_,@function
_ZN7rocprim17ROCPRIM_400000_NS6detail17trampoline_kernelINS0_14default_configENS1_35radix_sort_onesweep_config_selectorIalEEZZNS1_29radix_sort_onesweep_iterationIS3_Lb0EPaS7_N6thrust23THRUST_200600_302600_NS10device_ptrIlEESB_jNS0_19identity_decomposerENS1_16block_id_wrapperIjLb0EEEEE10hipError_tT1_PNSt15iterator_traitsISG_E10value_typeET2_T3_PNSH_ISM_E10value_typeET4_T5_PSR_SS_PNS1_23onesweep_lookback_stateEbbT6_jjT7_P12ihipStream_tbENKUlT_T0_SG_SL_E_clIS7_S7_SB_SB_EEDaSZ_S10_SG_SL_EUlSZ_E_NS1_11comp_targetILNS1_3genE10ELNS1_11target_archE1201ELNS1_3gpuE5ELNS1_3repE0EEENS1_47radix_sort_onesweep_sort_config_static_selectorELNS0_4arch9wavefront6targetE1EEEvSG_: ; @_ZN7rocprim17ROCPRIM_400000_NS6detail17trampoline_kernelINS0_14default_configENS1_35radix_sort_onesweep_config_selectorIalEEZZNS1_29radix_sort_onesweep_iterationIS3_Lb0EPaS7_N6thrust23THRUST_200600_302600_NS10device_ptrIlEESB_jNS0_19identity_decomposerENS1_16block_id_wrapperIjLb0EEEEE10hipError_tT1_PNSt15iterator_traitsISG_E10value_typeET2_T3_PNSH_ISM_E10value_typeET4_T5_PSR_SS_PNS1_23onesweep_lookback_stateEbbT6_jjT7_P12ihipStream_tbENKUlT_T0_SG_SL_E_clIS7_S7_SB_SB_EEDaSZ_S10_SG_SL_EUlSZ_E_NS1_11comp_targetILNS1_3genE10ELNS1_11target_archE1201ELNS1_3gpuE5ELNS1_3repE0EEENS1_47radix_sort_onesweep_sort_config_static_selectorELNS0_4arch9wavefront6targetE1EEEvSG_
; %bb.0:
	.section	.rodata,"a",@progbits
	.p2align	6, 0x0
	.amdhsa_kernel _ZN7rocprim17ROCPRIM_400000_NS6detail17trampoline_kernelINS0_14default_configENS1_35radix_sort_onesweep_config_selectorIalEEZZNS1_29radix_sort_onesweep_iterationIS3_Lb0EPaS7_N6thrust23THRUST_200600_302600_NS10device_ptrIlEESB_jNS0_19identity_decomposerENS1_16block_id_wrapperIjLb0EEEEE10hipError_tT1_PNSt15iterator_traitsISG_E10value_typeET2_T3_PNSH_ISM_E10value_typeET4_T5_PSR_SS_PNS1_23onesweep_lookback_stateEbbT6_jjT7_P12ihipStream_tbENKUlT_T0_SG_SL_E_clIS7_S7_SB_SB_EEDaSZ_S10_SG_SL_EUlSZ_E_NS1_11comp_targetILNS1_3genE10ELNS1_11target_archE1201ELNS1_3gpuE5ELNS1_3repE0EEENS1_47radix_sort_onesweep_sort_config_static_selectorELNS0_4arch9wavefront6targetE1EEEvSG_
		.amdhsa_group_segment_fixed_size 0
		.amdhsa_private_segment_fixed_size 0
		.amdhsa_kernarg_size 88
		.amdhsa_user_sgpr_count 6
		.amdhsa_user_sgpr_private_segment_buffer 1
		.amdhsa_user_sgpr_dispatch_ptr 0
		.amdhsa_user_sgpr_queue_ptr 0
		.amdhsa_user_sgpr_kernarg_segment_ptr 1
		.amdhsa_user_sgpr_dispatch_id 0
		.amdhsa_user_sgpr_flat_scratch_init 0
		.amdhsa_user_sgpr_private_segment_size 0
		.amdhsa_uses_dynamic_stack 0
		.amdhsa_system_sgpr_private_segment_wavefront_offset 0
		.amdhsa_system_sgpr_workgroup_id_x 1
		.amdhsa_system_sgpr_workgroup_id_y 0
		.amdhsa_system_sgpr_workgroup_id_z 0
		.amdhsa_system_sgpr_workgroup_info 0
		.amdhsa_system_vgpr_workitem_id 0
		.amdhsa_next_free_vgpr 1
		.amdhsa_next_free_sgpr 0
		.amdhsa_reserve_vcc 0
		.amdhsa_reserve_flat_scratch 0
		.amdhsa_float_round_mode_32 0
		.amdhsa_float_round_mode_16_64 0
		.amdhsa_float_denorm_mode_32 3
		.amdhsa_float_denorm_mode_16_64 3
		.amdhsa_dx10_clamp 1
		.amdhsa_ieee_mode 1
		.amdhsa_fp16_overflow 0
		.amdhsa_exception_fp_ieee_invalid_op 0
		.amdhsa_exception_fp_denorm_src 0
		.amdhsa_exception_fp_ieee_div_zero 0
		.amdhsa_exception_fp_ieee_overflow 0
		.amdhsa_exception_fp_ieee_underflow 0
		.amdhsa_exception_fp_ieee_inexact 0
		.amdhsa_exception_int_div_zero 0
	.end_amdhsa_kernel
	.section	.text._ZN7rocprim17ROCPRIM_400000_NS6detail17trampoline_kernelINS0_14default_configENS1_35radix_sort_onesweep_config_selectorIalEEZZNS1_29radix_sort_onesweep_iterationIS3_Lb0EPaS7_N6thrust23THRUST_200600_302600_NS10device_ptrIlEESB_jNS0_19identity_decomposerENS1_16block_id_wrapperIjLb0EEEEE10hipError_tT1_PNSt15iterator_traitsISG_E10value_typeET2_T3_PNSH_ISM_E10value_typeET4_T5_PSR_SS_PNS1_23onesweep_lookback_stateEbbT6_jjT7_P12ihipStream_tbENKUlT_T0_SG_SL_E_clIS7_S7_SB_SB_EEDaSZ_S10_SG_SL_EUlSZ_E_NS1_11comp_targetILNS1_3genE10ELNS1_11target_archE1201ELNS1_3gpuE5ELNS1_3repE0EEENS1_47radix_sort_onesweep_sort_config_static_selectorELNS0_4arch9wavefront6targetE1EEEvSG_,"axG",@progbits,_ZN7rocprim17ROCPRIM_400000_NS6detail17trampoline_kernelINS0_14default_configENS1_35radix_sort_onesweep_config_selectorIalEEZZNS1_29radix_sort_onesweep_iterationIS3_Lb0EPaS7_N6thrust23THRUST_200600_302600_NS10device_ptrIlEESB_jNS0_19identity_decomposerENS1_16block_id_wrapperIjLb0EEEEE10hipError_tT1_PNSt15iterator_traitsISG_E10value_typeET2_T3_PNSH_ISM_E10value_typeET4_T5_PSR_SS_PNS1_23onesweep_lookback_stateEbbT6_jjT7_P12ihipStream_tbENKUlT_T0_SG_SL_E_clIS7_S7_SB_SB_EEDaSZ_S10_SG_SL_EUlSZ_E_NS1_11comp_targetILNS1_3genE10ELNS1_11target_archE1201ELNS1_3gpuE5ELNS1_3repE0EEENS1_47radix_sort_onesweep_sort_config_static_selectorELNS0_4arch9wavefront6targetE1EEEvSG_,comdat
.Lfunc_end633:
	.size	_ZN7rocprim17ROCPRIM_400000_NS6detail17trampoline_kernelINS0_14default_configENS1_35radix_sort_onesweep_config_selectorIalEEZZNS1_29radix_sort_onesweep_iterationIS3_Lb0EPaS7_N6thrust23THRUST_200600_302600_NS10device_ptrIlEESB_jNS0_19identity_decomposerENS1_16block_id_wrapperIjLb0EEEEE10hipError_tT1_PNSt15iterator_traitsISG_E10value_typeET2_T3_PNSH_ISM_E10value_typeET4_T5_PSR_SS_PNS1_23onesweep_lookback_stateEbbT6_jjT7_P12ihipStream_tbENKUlT_T0_SG_SL_E_clIS7_S7_SB_SB_EEDaSZ_S10_SG_SL_EUlSZ_E_NS1_11comp_targetILNS1_3genE10ELNS1_11target_archE1201ELNS1_3gpuE5ELNS1_3repE0EEENS1_47radix_sort_onesweep_sort_config_static_selectorELNS0_4arch9wavefront6targetE1EEEvSG_, .Lfunc_end633-_ZN7rocprim17ROCPRIM_400000_NS6detail17trampoline_kernelINS0_14default_configENS1_35radix_sort_onesweep_config_selectorIalEEZZNS1_29radix_sort_onesweep_iterationIS3_Lb0EPaS7_N6thrust23THRUST_200600_302600_NS10device_ptrIlEESB_jNS0_19identity_decomposerENS1_16block_id_wrapperIjLb0EEEEE10hipError_tT1_PNSt15iterator_traitsISG_E10value_typeET2_T3_PNSH_ISM_E10value_typeET4_T5_PSR_SS_PNS1_23onesweep_lookback_stateEbbT6_jjT7_P12ihipStream_tbENKUlT_T0_SG_SL_E_clIS7_S7_SB_SB_EEDaSZ_S10_SG_SL_EUlSZ_E_NS1_11comp_targetILNS1_3genE10ELNS1_11target_archE1201ELNS1_3gpuE5ELNS1_3repE0EEENS1_47radix_sort_onesweep_sort_config_static_selectorELNS0_4arch9wavefront6targetE1EEEvSG_
                                        ; -- End function
	.set _ZN7rocprim17ROCPRIM_400000_NS6detail17trampoline_kernelINS0_14default_configENS1_35radix_sort_onesweep_config_selectorIalEEZZNS1_29radix_sort_onesweep_iterationIS3_Lb0EPaS7_N6thrust23THRUST_200600_302600_NS10device_ptrIlEESB_jNS0_19identity_decomposerENS1_16block_id_wrapperIjLb0EEEEE10hipError_tT1_PNSt15iterator_traitsISG_E10value_typeET2_T3_PNSH_ISM_E10value_typeET4_T5_PSR_SS_PNS1_23onesweep_lookback_stateEbbT6_jjT7_P12ihipStream_tbENKUlT_T0_SG_SL_E_clIS7_S7_SB_SB_EEDaSZ_S10_SG_SL_EUlSZ_E_NS1_11comp_targetILNS1_3genE10ELNS1_11target_archE1201ELNS1_3gpuE5ELNS1_3repE0EEENS1_47radix_sort_onesweep_sort_config_static_selectorELNS0_4arch9wavefront6targetE1EEEvSG_.num_vgpr, 0
	.set _ZN7rocprim17ROCPRIM_400000_NS6detail17trampoline_kernelINS0_14default_configENS1_35radix_sort_onesweep_config_selectorIalEEZZNS1_29radix_sort_onesweep_iterationIS3_Lb0EPaS7_N6thrust23THRUST_200600_302600_NS10device_ptrIlEESB_jNS0_19identity_decomposerENS1_16block_id_wrapperIjLb0EEEEE10hipError_tT1_PNSt15iterator_traitsISG_E10value_typeET2_T3_PNSH_ISM_E10value_typeET4_T5_PSR_SS_PNS1_23onesweep_lookback_stateEbbT6_jjT7_P12ihipStream_tbENKUlT_T0_SG_SL_E_clIS7_S7_SB_SB_EEDaSZ_S10_SG_SL_EUlSZ_E_NS1_11comp_targetILNS1_3genE10ELNS1_11target_archE1201ELNS1_3gpuE5ELNS1_3repE0EEENS1_47radix_sort_onesweep_sort_config_static_selectorELNS0_4arch9wavefront6targetE1EEEvSG_.num_agpr, 0
	.set _ZN7rocprim17ROCPRIM_400000_NS6detail17trampoline_kernelINS0_14default_configENS1_35radix_sort_onesweep_config_selectorIalEEZZNS1_29radix_sort_onesweep_iterationIS3_Lb0EPaS7_N6thrust23THRUST_200600_302600_NS10device_ptrIlEESB_jNS0_19identity_decomposerENS1_16block_id_wrapperIjLb0EEEEE10hipError_tT1_PNSt15iterator_traitsISG_E10value_typeET2_T3_PNSH_ISM_E10value_typeET4_T5_PSR_SS_PNS1_23onesweep_lookback_stateEbbT6_jjT7_P12ihipStream_tbENKUlT_T0_SG_SL_E_clIS7_S7_SB_SB_EEDaSZ_S10_SG_SL_EUlSZ_E_NS1_11comp_targetILNS1_3genE10ELNS1_11target_archE1201ELNS1_3gpuE5ELNS1_3repE0EEENS1_47radix_sort_onesweep_sort_config_static_selectorELNS0_4arch9wavefront6targetE1EEEvSG_.numbered_sgpr, 0
	.set _ZN7rocprim17ROCPRIM_400000_NS6detail17trampoline_kernelINS0_14default_configENS1_35radix_sort_onesweep_config_selectorIalEEZZNS1_29radix_sort_onesweep_iterationIS3_Lb0EPaS7_N6thrust23THRUST_200600_302600_NS10device_ptrIlEESB_jNS0_19identity_decomposerENS1_16block_id_wrapperIjLb0EEEEE10hipError_tT1_PNSt15iterator_traitsISG_E10value_typeET2_T3_PNSH_ISM_E10value_typeET4_T5_PSR_SS_PNS1_23onesweep_lookback_stateEbbT6_jjT7_P12ihipStream_tbENKUlT_T0_SG_SL_E_clIS7_S7_SB_SB_EEDaSZ_S10_SG_SL_EUlSZ_E_NS1_11comp_targetILNS1_3genE10ELNS1_11target_archE1201ELNS1_3gpuE5ELNS1_3repE0EEENS1_47radix_sort_onesweep_sort_config_static_selectorELNS0_4arch9wavefront6targetE1EEEvSG_.num_named_barrier, 0
	.set _ZN7rocprim17ROCPRIM_400000_NS6detail17trampoline_kernelINS0_14default_configENS1_35radix_sort_onesweep_config_selectorIalEEZZNS1_29radix_sort_onesweep_iterationIS3_Lb0EPaS7_N6thrust23THRUST_200600_302600_NS10device_ptrIlEESB_jNS0_19identity_decomposerENS1_16block_id_wrapperIjLb0EEEEE10hipError_tT1_PNSt15iterator_traitsISG_E10value_typeET2_T3_PNSH_ISM_E10value_typeET4_T5_PSR_SS_PNS1_23onesweep_lookback_stateEbbT6_jjT7_P12ihipStream_tbENKUlT_T0_SG_SL_E_clIS7_S7_SB_SB_EEDaSZ_S10_SG_SL_EUlSZ_E_NS1_11comp_targetILNS1_3genE10ELNS1_11target_archE1201ELNS1_3gpuE5ELNS1_3repE0EEENS1_47radix_sort_onesweep_sort_config_static_selectorELNS0_4arch9wavefront6targetE1EEEvSG_.private_seg_size, 0
	.set _ZN7rocprim17ROCPRIM_400000_NS6detail17trampoline_kernelINS0_14default_configENS1_35radix_sort_onesweep_config_selectorIalEEZZNS1_29radix_sort_onesweep_iterationIS3_Lb0EPaS7_N6thrust23THRUST_200600_302600_NS10device_ptrIlEESB_jNS0_19identity_decomposerENS1_16block_id_wrapperIjLb0EEEEE10hipError_tT1_PNSt15iterator_traitsISG_E10value_typeET2_T3_PNSH_ISM_E10value_typeET4_T5_PSR_SS_PNS1_23onesweep_lookback_stateEbbT6_jjT7_P12ihipStream_tbENKUlT_T0_SG_SL_E_clIS7_S7_SB_SB_EEDaSZ_S10_SG_SL_EUlSZ_E_NS1_11comp_targetILNS1_3genE10ELNS1_11target_archE1201ELNS1_3gpuE5ELNS1_3repE0EEENS1_47radix_sort_onesweep_sort_config_static_selectorELNS0_4arch9wavefront6targetE1EEEvSG_.uses_vcc, 0
	.set _ZN7rocprim17ROCPRIM_400000_NS6detail17trampoline_kernelINS0_14default_configENS1_35radix_sort_onesweep_config_selectorIalEEZZNS1_29radix_sort_onesweep_iterationIS3_Lb0EPaS7_N6thrust23THRUST_200600_302600_NS10device_ptrIlEESB_jNS0_19identity_decomposerENS1_16block_id_wrapperIjLb0EEEEE10hipError_tT1_PNSt15iterator_traitsISG_E10value_typeET2_T3_PNSH_ISM_E10value_typeET4_T5_PSR_SS_PNS1_23onesweep_lookback_stateEbbT6_jjT7_P12ihipStream_tbENKUlT_T0_SG_SL_E_clIS7_S7_SB_SB_EEDaSZ_S10_SG_SL_EUlSZ_E_NS1_11comp_targetILNS1_3genE10ELNS1_11target_archE1201ELNS1_3gpuE5ELNS1_3repE0EEENS1_47radix_sort_onesweep_sort_config_static_selectorELNS0_4arch9wavefront6targetE1EEEvSG_.uses_flat_scratch, 0
	.set _ZN7rocprim17ROCPRIM_400000_NS6detail17trampoline_kernelINS0_14default_configENS1_35radix_sort_onesweep_config_selectorIalEEZZNS1_29radix_sort_onesweep_iterationIS3_Lb0EPaS7_N6thrust23THRUST_200600_302600_NS10device_ptrIlEESB_jNS0_19identity_decomposerENS1_16block_id_wrapperIjLb0EEEEE10hipError_tT1_PNSt15iterator_traitsISG_E10value_typeET2_T3_PNSH_ISM_E10value_typeET4_T5_PSR_SS_PNS1_23onesweep_lookback_stateEbbT6_jjT7_P12ihipStream_tbENKUlT_T0_SG_SL_E_clIS7_S7_SB_SB_EEDaSZ_S10_SG_SL_EUlSZ_E_NS1_11comp_targetILNS1_3genE10ELNS1_11target_archE1201ELNS1_3gpuE5ELNS1_3repE0EEENS1_47radix_sort_onesweep_sort_config_static_selectorELNS0_4arch9wavefront6targetE1EEEvSG_.has_dyn_sized_stack, 0
	.set _ZN7rocprim17ROCPRIM_400000_NS6detail17trampoline_kernelINS0_14default_configENS1_35radix_sort_onesweep_config_selectorIalEEZZNS1_29radix_sort_onesweep_iterationIS3_Lb0EPaS7_N6thrust23THRUST_200600_302600_NS10device_ptrIlEESB_jNS0_19identity_decomposerENS1_16block_id_wrapperIjLb0EEEEE10hipError_tT1_PNSt15iterator_traitsISG_E10value_typeET2_T3_PNSH_ISM_E10value_typeET4_T5_PSR_SS_PNS1_23onesweep_lookback_stateEbbT6_jjT7_P12ihipStream_tbENKUlT_T0_SG_SL_E_clIS7_S7_SB_SB_EEDaSZ_S10_SG_SL_EUlSZ_E_NS1_11comp_targetILNS1_3genE10ELNS1_11target_archE1201ELNS1_3gpuE5ELNS1_3repE0EEENS1_47radix_sort_onesweep_sort_config_static_selectorELNS0_4arch9wavefront6targetE1EEEvSG_.has_recursion, 0
	.set _ZN7rocprim17ROCPRIM_400000_NS6detail17trampoline_kernelINS0_14default_configENS1_35radix_sort_onesweep_config_selectorIalEEZZNS1_29radix_sort_onesweep_iterationIS3_Lb0EPaS7_N6thrust23THRUST_200600_302600_NS10device_ptrIlEESB_jNS0_19identity_decomposerENS1_16block_id_wrapperIjLb0EEEEE10hipError_tT1_PNSt15iterator_traitsISG_E10value_typeET2_T3_PNSH_ISM_E10value_typeET4_T5_PSR_SS_PNS1_23onesweep_lookback_stateEbbT6_jjT7_P12ihipStream_tbENKUlT_T0_SG_SL_E_clIS7_S7_SB_SB_EEDaSZ_S10_SG_SL_EUlSZ_E_NS1_11comp_targetILNS1_3genE10ELNS1_11target_archE1201ELNS1_3gpuE5ELNS1_3repE0EEENS1_47radix_sort_onesweep_sort_config_static_selectorELNS0_4arch9wavefront6targetE1EEEvSG_.has_indirect_call, 0
	.section	.AMDGPU.csdata,"",@progbits
; Kernel info:
; codeLenInByte = 0
; TotalNumSgprs: 4
; NumVgprs: 0
; ScratchSize: 0
; MemoryBound: 0
; FloatMode: 240
; IeeeMode: 1
; LDSByteSize: 0 bytes/workgroup (compile time only)
; SGPRBlocks: 0
; VGPRBlocks: 0
; NumSGPRsForWavesPerEU: 4
; NumVGPRsForWavesPerEU: 1
; Occupancy: 10
; WaveLimiterHint : 0
; COMPUTE_PGM_RSRC2:SCRATCH_EN: 0
; COMPUTE_PGM_RSRC2:USER_SGPR: 6
; COMPUTE_PGM_RSRC2:TRAP_HANDLER: 0
; COMPUTE_PGM_RSRC2:TGID_X_EN: 1
; COMPUTE_PGM_RSRC2:TGID_Y_EN: 0
; COMPUTE_PGM_RSRC2:TGID_Z_EN: 0
; COMPUTE_PGM_RSRC2:TIDIG_COMP_CNT: 0
	.section	.text._ZN7rocprim17ROCPRIM_400000_NS6detail17trampoline_kernelINS0_14default_configENS1_35radix_sort_onesweep_config_selectorIalEEZZNS1_29radix_sort_onesweep_iterationIS3_Lb0EPaS7_N6thrust23THRUST_200600_302600_NS10device_ptrIlEESB_jNS0_19identity_decomposerENS1_16block_id_wrapperIjLb0EEEEE10hipError_tT1_PNSt15iterator_traitsISG_E10value_typeET2_T3_PNSH_ISM_E10value_typeET4_T5_PSR_SS_PNS1_23onesweep_lookback_stateEbbT6_jjT7_P12ihipStream_tbENKUlT_T0_SG_SL_E_clIS7_S7_SB_SB_EEDaSZ_S10_SG_SL_EUlSZ_E_NS1_11comp_targetILNS1_3genE9ELNS1_11target_archE1100ELNS1_3gpuE3ELNS1_3repE0EEENS1_47radix_sort_onesweep_sort_config_static_selectorELNS0_4arch9wavefront6targetE1EEEvSG_,"axG",@progbits,_ZN7rocprim17ROCPRIM_400000_NS6detail17trampoline_kernelINS0_14default_configENS1_35radix_sort_onesweep_config_selectorIalEEZZNS1_29radix_sort_onesweep_iterationIS3_Lb0EPaS7_N6thrust23THRUST_200600_302600_NS10device_ptrIlEESB_jNS0_19identity_decomposerENS1_16block_id_wrapperIjLb0EEEEE10hipError_tT1_PNSt15iterator_traitsISG_E10value_typeET2_T3_PNSH_ISM_E10value_typeET4_T5_PSR_SS_PNS1_23onesweep_lookback_stateEbbT6_jjT7_P12ihipStream_tbENKUlT_T0_SG_SL_E_clIS7_S7_SB_SB_EEDaSZ_S10_SG_SL_EUlSZ_E_NS1_11comp_targetILNS1_3genE9ELNS1_11target_archE1100ELNS1_3gpuE3ELNS1_3repE0EEENS1_47radix_sort_onesweep_sort_config_static_selectorELNS0_4arch9wavefront6targetE1EEEvSG_,comdat
	.protected	_ZN7rocprim17ROCPRIM_400000_NS6detail17trampoline_kernelINS0_14default_configENS1_35radix_sort_onesweep_config_selectorIalEEZZNS1_29radix_sort_onesweep_iterationIS3_Lb0EPaS7_N6thrust23THRUST_200600_302600_NS10device_ptrIlEESB_jNS0_19identity_decomposerENS1_16block_id_wrapperIjLb0EEEEE10hipError_tT1_PNSt15iterator_traitsISG_E10value_typeET2_T3_PNSH_ISM_E10value_typeET4_T5_PSR_SS_PNS1_23onesweep_lookback_stateEbbT6_jjT7_P12ihipStream_tbENKUlT_T0_SG_SL_E_clIS7_S7_SB_SB_EEDaSZ_S10_SG_SL_EUlSZ_E_NS1_11comp_targetILNS1_3genE9ELNS1_11target_archE1100ELNS1_3gpuE3ELNS1_3repE0EEENS1_47radix_sort_onesweep_sort_config_static_selectorELNS0_4arch9wavefront6targetE1EEEvSG_ ; -- Begin function _ZN7rocprim17ROCPRIM_400000_NS6detail17trampoline_kernelINS0_14default_configENS1_35radix_sort_onesweep_config_selectorIalEEZZNS1_29radix_sort_onesweep_iterationIS3_Lb0EPaS7_N6thrust23THRUST_200600_302600_NS10device_ptrIlEESB_jNS0_19identity_decomposerENS1_16block_id_wrapperIjLb0EEEEE10hipError_tT1_PNSt15iterator_traitsISG_E10value_typeET2_T3_PNSH_ISM_E10value_typeET4_T5_PSR_SS_PNS1_23onesweep_lookback_stateEbbT6_jjT7_P12ihipStream_tbENKUlT_T0_SG_SL_E_clIS7_S7_SB_SB_EEDaSZ_S10_SG_SL_EUlSZ_E_NS1_11comp_targetILNS1_3genE9ELNS1_11target_archE1100ELNS1_3gpuE3ELNS1_3repE0EEENS1_47radix_sort_onesweep_sort_config_static_selectorELNS0_4arch9wavefront6targetE1EEEvSG_
	.globl	_ZN7rocprim17ROCPRIM_400000_NS6detail17trampoline_kernelINS0_14default_configENS1_35radix_sort_onesweep_config_selectorIalEEZZNS1_29radix_sort_onesweep_iterationIS3_Lb0EPaS7_N6thrust23THRUST_200600_302600_NS10device_ptrIlEESB_jNS0_19identity_decomposerENS1_16block_id_wrapperIjLb0EEEEE10hipError_tT1_PNSt15iterator_traitsISG_E10value_typeET2_T3_PNSH_ISM_E10value_typeET4_T5_PSR_SS_PNS1_23onesweep_lookback_stateEbbT6_jjT7_P12ihipStream_tbENKUlT_T0_SG_SL_E_clIS7_S7_SB_SB_EEDaSZ_S10_SG_SL_EUlSZ_E_NS1_11comp_targetILNS1_3genE9ELNS1_11target_archE1100ELNS1_3gpuE3ELNS1_3repE0EEENS1_47radix_sort_onesweep_sort_config_static_selectorELNS0_4arch9wavefront6targetE1EEEvSG_
	.p2align	8
	.type	_ZN7rocprim17ROCPRIM_400000_NS6detail17trampoline_kernelINS0_14default_configENS1_35radix_sort_onesweep_config_selectorIalEEZZNS1_29radix_sort_onesweep_iterationIS3_Lb0EPaS7_N6thrust23THRUST_200600_302600_NS10device_ptrIlEESB_jNS0_19identity_decomposerENS1_16block_id_wrapperIjLb0EEEEE10hipError_tT1_PNSt15iterator_traitsISG_E10value_typeET2_T3_PNSH_ISM_E10value_typeET4_T5_PSR_SS_PNS1_23onesweep_lookback_stateEbbT6_jjT7_P12ihipStream_tbENKUlT_T0_SG_SL_E_clIS7_S7_SB_SB_EEDaSZ_S10_SG_SL_EUlSZ_E_NS1_11comp_targetILNS1_3genE9ELNS1_11target_archE1100ELNS1_3gpuE3ELNS1_3repE0EEENS1_47radix_sort_onesweep_sort_config_static_selectorELNS0_4arch9wavefront6targetE1EEEvSG_,@function
_ZN7rocprim17ROCPRIM_400000_NS6detail17trampoline_kernelINS0_14default_configENS1_35radix_sort_onesweep_config_selectorIalEEZZNS1_29radix_sort_onesweep_iterationIS3_Lb0EPaS7_N6thrust23THRUST_200600_302600_NS10device_ptrIlEESB_jNS0_19identity_decomposerENS1_16block_id_wrapperIjLb0EEEEE10hipError_tT1_PNSt15iterator_traitsISG_E10value_typeET2_T3_PNSH_ISM_E10value_typeET4_T5_PSR_SS_PNS1_23onesweep_lookback_stateEbbT6_jjT7_P12ihipStream_tbENKUlT_T0_SG_SL_E_clIS7_S7_SB_SB_EEDaSZ_S10_SG_SL_EUlSZ_E_NS1_11comp_targetILNS1_3genE9ELNS1_11target_archE1100ELNS1_3gpuE3ELNS1_3repE0EEENS1_47radix_sort_onesweep_sort_config_static_selectorELNS0_4arch9wavefront6targetE1EEEvSG_: ; @_ZN7rocprim17ROCPRIM_400000_NS6detail17trampoline_kernelINS0_14default_configENS1_35radix_sort_onesweep_config_selectorIalEEZZNS1_29radix_sort_onesweep_iterationIS3_Lb0EPaS7_N6thrust23THRUST_200600_302600_NS10device_ptrIlEESB_jNS0_19identity_decomposerENS1_16block_id_wrapperIjLb0EEEEE10hipError_tT1_PNSt15iterator_traitsISG_E10value_typeET2_T3_PNSH_ISM_E10value_typeET4_T5_PSR_SS_PNS1_23onesweep_lookback_stateEbbT6_jjT7_P12ihipStream_tbENKUlT_T0_SG_SL_E_clIS7_S7_SB_SB_EEDaSZ_S10_SG_SL_EUlSZ_E_NS1_11comp_targetILNS1_3genE9ELNS1_11target_archE1100ELNS1_3gpuE3ELNS1_3repE0EEENS1_47radix_sort_onesweep_sort_config_static_selectorELNS0_4arch9wavefront6targetE1EEEvSG_
; %bb.0:
	.section	.rodata,"a",@progbits
	.p2align	6, 0x0
	.amdhsa_kernel _ZN7rocprim17ROCPRIM_400000_NS6detail17trampoline_kernelINS0_14default_configENS1_35radix_sort_onesweep_config_selectorIalEEZZNS1_29radix_sort_onesweep_iterationIS3_Lb0EPaS7_N6thrust23THRUST_200600_302600_NS10device_ptrIlEESB_jNS0_19identity_decomposerENS1_16block_id_wrapperIjLb0EEEEE10hipError_tT1_PNSt15iterator_traitsISG_E10value_typeET2_T3_PNSH_ISM_E10value_typeET4_T5_PSR_SS_PNS1_23onesweep_lookback_stateEbbT6_jjT7_P12ihipStream_tbENKUlT_T0_SG_SL_E_clIS7_S7_SB_SB_EEDaSZ_S10_SG_SL_EUlSZ_E_NS1_11comp_targetILNS1_3genE9ELNS1_11target_archE1100ELNS1_3gpuE3ELNS1_3repE0EEENS1_47radix_sort_onesweep_sort_config_static_selectorELNS0_4arch9wavefront6targetE1EEEvSG_
		.amdhsa_group_segment_fixed_size 0
		.amdhsa_private_segment_fixed_size 0
		.amdhsa_kernarg_size 88
		.amdhsa_user_sgpr_count 6
		.amdhsa_user_sgpr_private_segment_buffer 1
		.amdhsa_user_sgpr_dispatch_ptr 0
		.amdhsa_user_sgpr_queue_ptr 0
		.amdhsa_user_sgpr_kernarg_segment_ptr 1
		.amdhsa_user_sgpr_dispatch_id 0
		.amdhsa_user_sgpr_flat_scratch_init 0
		.amdhsa_user_sgpr_private_segment_size 0
		.amdhsa_uses_dynamic_stack 0
		.amdhsa_system_sgpr_private_segment_wavefront_offset 0
		.amdhsa_system_sgpr_workgroup_id_x 1
		.amdhsa_system_sgpr_workgroup_id_y 0
		.amdhsa_system_sgpr_workgroup_id_z 0
		.amdhsa_system_sgpr_workgroup_info 0
		.amdhsa_system_vgpr_workitem_id 0
		.amdhsa_next_free_vgpr 1
		.amdhsa_next_free_sgpr 0
		.amdhsa_reserve_vcc 0
		.amdhsa_reserve_flat_scratch 0
		.amdhsa_float_round_mode_32 0
		.amdhsa_float_round_mode_16_64 0
		.amdhsa_float_denorm_mode_32 3
		.amdhsa_float_denorm_mode_16_64 3
		.amdhsa_dx10_clamp 1
		.amdhsa_ieee_mode 1
		.amdhsa_fp16_overflow 0
		.amdhsa_exception_fp_ieee_invalid_op 0
		.amdhsa_exception_fp_denorm_src 0
		.amdhsa_exception_fp_ieee_div_zero 0
		.amdhsa_exception_fp_ieee_overflow 0
		.amdhsa_exception_fp_ieee_underflow 0
		.amdhsa_exception_fp_ieee_inexact 0
		.amdhsa_exception_int_div_zero 0
	.end_amdhsa_kernel
	.section	.text._ZN7rocprim17ROCPRIM_400000_NS6detail17trampoline_kernelINS0_14default_configENS1_35radix_sort_onesweep_config_selectorIalEEZZNS1_29radix_sort_onesweep_iterationIS3_Lb0EPaS7_N6thrust23THRUST_200600_302600_NS10device_ptrIlEESB_jNS0_19identity_decomposerENS1_16block_id_wrapperIjLb0EEEEE10hipError_tT1_PNSt15iterator_traitsISG_E10value_typeET2_T3_PNSH_ISM_E10value_typeET4_T5_PSR_SS_PNS1_23onesweep_lookback_stateEbbT6_jjT7_P12ihipStream_tbENKUlT_T0_SG_SL_E_clIS7_S7_SB_SB_EEDaSZ_S10_SG_SL_EUlSZ_E_NS1_11comp_targetILNS1_3genE9ELNS1_11target_archE1100ELNS1_3gpuE3ELNS1_3repE0EEENS1_47radix_sort_onesweep_sort_config_static_selectorELNS0_4arch9wavefront6targetE1EEEvSG_,"axG",@progbits,_ZN7rocprim17ROCPRIM_400000_NS6detail17trampoline_kernelINS0_14default_configENS1_35radix_sort_onesweep_config_selectorIalEEZZNS1_29radix_sort_onesweep_iterationIS3_Lb0EPaS7_N6thrust23THRUST_200600_302600_NS10device_ptrIlEESB_jNS0_19identity_decomposerENS1_16block_id_wrapperIjLb0EEEEE10hipError_tT1_PNSt15iterator_traitsISG_E10value_typeET2_T3_PNSH_ISM_E10value_typeET4_T5_PSR_SS_PNS1_23onesweep_lookback_stateEbbT6_jjT7_P12ihipStream_tbENKUlT_T0_SG_SL_E_clIS7_S7_SB_SB_EEDaSZ_S10_SG_SL_EUlSZ_E_NS1_11comp_targetILNS1_3genE9ELNS1_11target_archE1100ELNS1_3gpuE3ELNS1_3repE0EEENS1_47radix_sort_onesweep_sort_config_static_selectorELNS0_4arch9wavefront6targetE1EEEvSG_,comdat
.Lfunc_end634:
	.size	_ZN7rocprim17ROCPRIM_400000_NS6detail17trampoline_kernelINS0_14default_configENS1_35radix_sort_onesweep_config_selectorIalEEZZNS1_29radix_sort_onesweep_iterationIS3_Lb0EPaS7_N6thrust23THRUST_200600_302600_NS10device_ptrIlEESB_jNS0_19identity_decomposerENS1_16block_id_wrapperIjLb0EEEEE10hipError_tT1_PNSt15iterator_traitsISG_E10value_typeET2_T3_PNSH_ISM_E10value_typeET4_T5_PSR_SS_PNS1_23onesweep_lookback_stateEbbT6_jjT7_P12ihipStream_tbENKUlT_T0_SG_SL_E_clIS7_S7_SB_SB_EEDaSZ_S10_SG_SL_EUlSZ_E_NS1_11comp_targetILNS1_3genE9ELNS1_11target_archE1100ELNS1_3gpuE3ELNS1_3repE0EEENS1_47radix_sort_onesweep_sort_config_static_selectorELNS0_4arch9wavefront6targetE1EEEvSG_, .Lfunc_end634-_ZN7rocprim17ROCPRIM_400000_NS6detail17trampoline_kernelINS0_14default_configENS1_35radix_sort_onesweep_config_selectorIalEEZZNS1_29radix_sort_onesweep_iterationIS3_Lb0EPaS7_N6thrust23THRUST_200600_302600_NS10device_ptrIlEESB_jNS0_19identity_decomposerENS1_16block_id_wrapperIjLb0EEEEE10hipError_tT1_PNSt15iterator_traitsISG_E10value_typeET2_T3_PNSH_ISM_E10value_typeET4_T5_PSR_SS_PNS1_23onesweep_lookback_stateEbbT6_jjT7_P12ihipStream_tbENKUlT_T0_SG_SL_E_clIS7_S7_SB_SB_EEDaSZ_S10_SG_SL_EUlSZ_E_NS1_11comp_targetILNS1_3genE9ELNS1_11target_archE1100ELNS1_3gpuE3ELNS1_3repE0EEENS1_47radix_sort_onesweep_sort_config_static_selectorELNS0_4arch9wavefront6targetE1EEEvSG_
                                        ; -- End function
	.set _ZN7rocprim17ROCPRIM_400000_NS6detail17trampoline_kernelINS0_14default_configENS1_35radix_sort_onesweep_config_selectorIalEEZZNS1_29radix_sort_onesweep_iterationIS3_Lb0EPaS7_N6thrust23THRUST_200600_302600_NS10device_ptrIlEESB_jNS0_19identity_decomposerENS1_16block_id_wrapperIjLb0EEEEE10hipError_tT1_PNSt15iterator_traitsISG_E10value_typeET2_T3_PNSH_ISM_E10value_typeET4_T5_PSR_SS_PNS1_23onesweep_lookback_stateEbbT6_jjT7_P12ihipStream_tbENKUlT_T0_SG_SL_E_clIS7_S7_SB_SB_EEDaSZ_S10_SG_SL_EUlSZ_E_NS1_11comp_targetILNS1_3genE9ELNS1_11target_archE1100ELNS1_3gpuE3ELNS1_3repE0EEENS1_47radix_sort_onesweep_sort_config_static_selectorELNS0_4arch9wavefront6targetE1EEEvSG_.num_vgpr, 0
	.set _ZN7rocprim17ROCPRIM_400000_NS6detail17trampoline_kernelINS0_14default_configENS1_35radix_sort_onesweep_config_selectorIalEEZZNS1_29radix_sort_onesweep_iterationIS3_Lb0EPaS7_N6thrust23THRUST_200600_302600_NS10device_ptrIlEESB_jNS0_19identity_decomposerENS1_16block_id_wrapperIjLb0EEEEE10hipError_tT1_PNSt15iterator_traitsISG_E10value_typeET2_T3_PNSH_ISM_E10value_typeET4_T5_PSR_SS_PNS1_23onesweep_lookback_stateEbbT6_jjT7_P12ihipStream_tbENKUlT_T0_SG_SL_E_clIS7_S7_SB_SB_EEDaSZ_S10_SG_SL_EUlSZ_E_NS1_11comp_targetILNS1_3genE9ELNS1_11target_archE1100ELNS1_3gpuE3ELNS1_3repE0EEENS1_47radix_sort_onesweep_sort_config_static_selectorELNS0_4arch9wavefront6targetE1EEEvSG_.num_agpr, 0
	.set _ZN7rocprim17ROCPRIM_400000_NS6detail17trampoline_kernelINS0_14default_configENS1_35radix_sort_onesweep_config_selectorIalEEZZNS1_29radix_sort_onesweep_iterationIS3_Lb0EPaS7_N6thrust23THRUST_200600_302600_NS10device_ptrIlEESB_jNS0_19identity_decomposerENS1_16block_id_wrapperIjLb0EEEEE10hipError_tT1_PNSt15iterator_traitsISG_E10value_typeET2_T3_PNSH_ISM_E10value_typeET4_T5_PSR_SS_PNS1_23onesweep_lookback_stateEbbT6_jjT7_P12ihipStream_tbENKUlT_T0_SG_SL_E_clIS7_S7_SB_SB_EEDaSZ_S10_SG_SL_EUlSZ_E_NS1_11comp_targetILNS1_3genE9ELNS1_11target_archE1100ELNS1_3gpuE3ELNS1_3repE0EEENS1_47radix_sort_onesweep_sort_config_static_selectorELNS0_4arch9wavefront6targetE1EEEvSG_.numbered_sgpr, 0
	.set _ZN7rocprim17ROCPRIM_400000_NS6detail17trampoline_kernelINS0_14default_configENS1_35radix_sort_onesweep_config_selectorIalEEZZNS1_29radix_sort_onesweep_iterationIS3_Lb0EPaS7_N6thrust23THRUST_200600_302600_NS10device_ptrIlEESB_jNS0_19identity_decomposerENS1_16block_id_wrapperIjLb0EEEEE10hipError_tT1_PNSt15iterator_traitsISG_E10value_typeET2_T3_PNSH_ISM_E10value_typeET4_T5_PSR_SS_PNS1_23onesweep_lookback_stateEbbT6_jjT7_P12ihipStream_tbENKUlT_T0_SG_SL_E_clIS7_S7_SB_SB_EEDaSZ_S10_SG_SL_EUlSZ_E_NS1_11comp_targetILNS1_3genE9ELNS1_11target_archE1100ELNS1_3gpuE3ELNS1_3repE0EEENS1_47radix_sort_onesweep_sort_config_static_selectorELNS0_4arch9wavefront6targetE1EEEvSG_.num_named_barrier, 0
	.set _ZN7rocprim17ROCPRIM_400000_NS6detail17trampoline_kernelINS0_14default_configENS1_35radix_sort_onesweep_config_selectorIalEEZZNS1_29radix_sort_onesweep_iterationIS3_Lb0EPaS7_N6thrust23THRUST_200600_302600_NS10device_ptrIlEESB_jNS0_19identity_decomposerENS1_16block_id_wrapperIjLb0EEEEE10hipError_tT1_PNSt15iterator_traitsISG_E10value_typeET2_T3_PNSH_ISM_E10value_typeET4_T5_PSR_SS_PNS1_23onesweep_lookback_stateEbbT6_jjT7_P12ihipStream_tbENKUlT_T0_SG_SL_E_clIS7_S7_SB_SB_EEDaSZ_S10_SG_SL_EUlSZ_E_NS1_11comp_targetILNS1_3genE9ELNS1_11target_archE1100ELNS1_3gpuE3ELNS1_3repE0EEENS1_47radix_sort_onesweep_sort_config_static_selectorELNS0_4arch9wavefront6targetE1EEEvSG_.private_seg_size, 0
	.set _ZN7rocprim17ROCPRIM_400000_NS6detail17trampoline_kernelINS0_14default_configENS1_35radix_sort_onesweep_config_selectorIalEEZZNS1_29radix_sort_onesweep_iterationIS3_Lb0EPaS7_N6thrust23THRUST_200600_302600_NS10device_ptrIlEESB_jNS0_19identity_decomposerENS1_16block_id_wrapperIjLb0EEEEE10hipError_tT1_PNSt15iterator_traitsISG_E10value_typeET2_T3_PNSH_ISM_E10value_typeET4_T5_PSR_SS_PNS1_23onesweep_lookback_stateEbbT6_jjT7_P12ihipStream_tbENKUlT_T0_SG_SL_E_clIS7_S7_SB_SB_EEDaSZ_S10_SG_SL_EUlSZ_E_NS1_11comp_targetILNS1_3genE9ELNS1_11target_archE1100ELNS1_3gpuE3ELNS1_3repE0EEENS1_47radix_sort_onesweep_sort_config_static_selectorELNS0_4arch9wavefront6targetE1EEEvSG_.uses_vcc, 0
	.set _ZN7rocprim17ROCPRIM_400000_NS6detail17trampoline_kernelINS0_14default_configENS1_35radix_sort_onesweep_config_selectorIalEEZZNS1_29radix_sort_onesweep_iterationIS3_Lb0EPaS7_N6thrust23THRUST_200600_302600_NS10device_ptrIlEESB_jNS0_19identity_decomposerENS1_16block_id_wrapperIjLb0EEEEE10hipError_tT1_PNSt15iterator_traitsISG_E10value_typeET2_T3_PNSH_ISM_E10value_typeET4_T5_PSR_SS_PNS1_23onesweep_lookback_stateEbbT6_jjT7_P12ihipStream_tbENKUlT_T0_SG_SL_E_clIS7_S7_SB_SB_EEDaSZ_S10_SG_SL_EUlSZ_E_NS1_11comp_targetILNS1_3genE9ELNS1_11target_archE1100ELNS1_3gpuE3ELNS1_3repE0EEENS1_47radix_sort_onesweep_sort_config_static_selectorELNS0_4arch9wavefront6targetE1EEEvSG_.uses_flat_scratch, 0
	.set _ZN7rocprim17ROCPRIM_400000_NS6detail17trampoline_kernelINS0_14default_configENS1_35radix_sort_onesweep_config_selectorIalEEZZNS1_29radix_sort_onesweep_iterationIS3_Lb0EPaS7_N6thrust23THRUST_200600_302600_NS10device_ptrIlEESB_jNS0_19identity_decomposerENS1_16block_id_wrapperIjLb0EEEEE10hipError_tT1_PNSt15iterator_traitsISG_E10value_typeET2_T3_PNSH_ISM_E10value_typeET4_T5_PSR_SS_PNS1_23onesweep_lookback_stateEbbT6_jjT7_P12ihipStream_tbENKUlT_T0_SG_SL_E_clIS7_S7_SB_SB_EEDaSZ_S10_SG_SL_EUlSZ_E_NS1_11comp_targetILNS1_3genE9ELNS1_11target_archE1100ELNS1_3gpuE3ELNS1_3repE0EEENS1_47radix_sort_onesweep_sort_config_static_selectorELNS0_4arch9wavefront6targetE1EEEvSG_.has_dyn_sized_stack, 0
	.set _ZN7rocprim17ROCPRIM_400000_NS6detail17trampoline_kernelINS0_14default_configENS1_35radix_sort_onesweep_config_selectorIalEEZZNS1_29radix_sort_onesweep_iterationIS3_Lb0EPaS7_N6thrust23THRUST_200600_302600_NS10device_ptrIlEESB_jNS0_19identity_decomposerENS1_16block_id_wrapperIjLb0EEEEE10hipError_tT1_PNSt15iterator_traitsISG_E10value_typeET2_T3_PNSH_ISM_E10value_typeET4_T5_PSR_SS_PNS1_23onesweep_lookback_stateEbbT6_jjT7_P12ihipStream_tbENKUlT_T0_SG_SL_E_clIS7_S7_SB_SB_EEDaSZ_S10_SG_SL_EUlSZ_E_NS1_11comp_targetILNS1_3genE9ELNS1_11target_archE1100ELNS1_3gpuE3ELNS1_3repE0EEENS1_47radix_sort_onesweep_sort_config_static_selectorELNS0_4arch9wavefront6targetE1EEEvSG_.has_recursion, 0
	.set _ZN7rocprim17ROCPRIM_400000_NS6detail17trampoline_kernelINS0_14default_configENS1_35radix_sort_onesweep_config_selectorIalEEZZNS1_29radix_sort_onesweep_iterationIS3_Lb0EPaS7_N6thrust23THRUST_200600_302600_NS10device_ptrIlEESB_jNS0_19identity_decomposerENS1_16block_id_wrapperIjLb0EEEEE10hipError_tT1_PNSt15iterator_traitsISG_E10value_typeET2_T3_PNSH_ISM_E10value_typeET4_T5_PSR_SS_PNS1_23onesweep_lookback_stateEbbT6_jjT7_P12ihipStream_tbENKUlT_T0_SG_SL_E_clIS7_S7_SB_SB_EEDaSZ_S10_SG_SL_EUlSZ_E_NS1_11comp_targetILNS1_3genE9ELNS1_11target_archE1100ELNS1_3gpuE3ELNS1_3repE0EEENS1_47radix_sort_onesweep_sort_config_static_selectorELNS0_4arch9wavefront6targetE1EEEvSG_.has_indirect_call, 0
	.section	.AMDGPU.csdata,"",@progbits
; Kernel info:
; codeLenInByte = 0
; TotalNumSgprs: 4
; NumVgprs: 0
; ScratchSize: 0
; MemoryBound: 0
; FloatMode: 240
; IeeeMode: 1
; LDSByteSize: 0 bytes/workgroup (compile time only)
; SGPRBlocks: 0
; VGPRBlocks: 0
; NumSGPRsForWavesPerEU: 4
; NumVGPRsForWavesPerEU: 1
; Occupancy: 10
; WaveLimiterHint : 0
; COMPUTE_PGM_RSRC2:SCRATCH_EN: 0
; COMPUTE_PGM_RSRC2:USER_SGPR: 6
; COMPUTE_PGM_RSRC2:TRAP_HANDLER: 0
; COMPUTE_PGM_RSRC2:TGID_X_EN: 1
; COMPUTE_PGM_RSRC2:TGID_Y_EN: 0
; COMPUTE_PGM_RSRC2:TGID_Z_EN: 0
; COMPUTE_PGM_RSRC2:TIDIG_COMP_CNT: 0
	.section	.text._ZN7rocprim17ROCPRIM_400000_NS6detail17trampoline_kernelINS0_14default_configENS1_35radix_sort_onesweep_config_selectorIalEEZZNS1_29radix_sort_onesweep_iterationIS3_Lb0EPaS7_N6thrust23THRUST_200600_302600_NS10device_ptrIlEESB_jNS0_19identity_decomposerENS1_16block_id_wrapperIjLb0EEEEE10hipError_tT1_PNSt15iterator_traitsISG_E10value_typeET2_T3_PNSH_ISM_E10value_typeET4_T5_PSR_SS_PNS1_23onesweep_lookback_stateEbbT6_jjT7_P12ihipStream_tbENKUlT_T0_SG_SL_E_clIS7_S7_SB_SB_EEDaSZ_S10_SG_SL_EUlSZ_E_NS1_11comp_targetILNS1_3genE8ELNS1_11target_archE1030ELNS1_3gpuE2ELNS1_3repE0EEENS1_47radix_sort_onesweep_sort_config_static_selectorELNS0_4arch9wavefront6targetE1EEEvSG_,"axG",@progbits,_ZN7rocprim17ROCPRIM_400000_NS6detail17trampoline_kernelINS0_14default_configENS1_35radix_sort_onesweep_config_selectorIalEEZZNS1_29radix_sort_onesweep_iterationIS3_Lb0EPaS7_N6thrust23THRUST_200600_302600_NS10device_ptrIlEESB_jNS0_19identity_decomposerENS1_16block_id_wrapperIjLb0EEEEE10hipError_tT1_PNSt15iterator_traitsISG_E10value_typeET2_T3_PNSH_ISM_E10value_typeET4_T5_PSR_SS_PNS1_23onesweep_lookback_stateEbbT6_jjT7_P12ihipStream_tbENKUlT_T0_SG_SL_E_clIS7_S7_SB_SB_EEDaSZ_S10_SG_SL_EUlSZ_E_NS1_11comp_targetILNS1_3genE8ELNS1_11target_archE1030ELNS1_3gpuE2ELNS1_3repE0EEENS1_47radix_sort_onesweep_sort_config_static_selectorELNS0_4arch9wavefront6targetE1EEEvSG_,comdat
	.protected	_ZN7rocprim17ROCPRIM_400000_NS6detail17trampoline_kernelINS0_14default_configENS1_35radix_sort_onesweep_config_selectorIalEEZZNS1_29radix_sort_onesweep_iterationIS3_Lb0EPaS7_N6thrust23THRUST_200600_302600_NS10device_ptrIlEESB_jNS0_19identity_decomposerENS1_16block_id_wrapperIjLb0EEEEE10hipError_tT1_PNSt15iterator_traitsISG_E10value_typeET2_T3_PNSH_ISM_E10value_typeET4_T5_PSR_SS_PNS1_23onesweep_lookback_stateEbbT6_jjT7_P12ihipStream_tbENKUlT_T0_SG_SL_E_clIS7_S7_SB_SB_EEDaSZ_S10_SG_SL_EUlSZ_E_NS1_11comp_targetILNS1_3genE8ELNS1_11target_archE1030ELNS1_3gpuE2ELNS1_3repE0EEENS1_47radix_sort_onesweep_sort_config_static_selectorELNS0_4arch9wavefront6targetE1EEEvSG_ ; -- Begin function _ZN7rocprim17ROCPRIM_400000_NS6detail17trampoline_kernelINS0_14default_configENS1_35radix_sort_onesweep_config_selectorIalEEZZNS1_29radix_sort_onesweep_iterationIS3_Lb0EPaS7_N6thrust23THRUST_200600_302600_NS10device_ptrIlEESB_jNS0_19identity_decomposerENS1_16block_id_wrapperIjLb0EEEEE10hipError_tT1_PNSt15iterator_traitsISG_E10value_typeET2_T3_PNSH_ISM_E10value_typeET4_T5_PSR_SS_PNS1_23onesweep_lookback_stateEbbT6_jjT7_P12ihipStream_tbENKUlT_T0_SG_SL_E_clIS7_S7_SB_SB_EEDaSZ_S10_SG_SL_EUlSZ_E_NS1_11comp_targetILNS1_3genE8ELNS1_11target_archE1030ELNS1_3gpuE2ELNS1_3repE0EEENS1_47radix_sort_onesweep_sort_config_static_selectorELNS0_4arch9wavefront6targetE1EEEvSG_
	.globl	_ZN7rocprim17ROCPRIM_400000_NS6detail17trampoline_kernelINS0_14default_configENS1_35radix_sort_onesweep_config_selectorIalEEZZNS1_29radix_sort_onesweep_iterationIS3_Lb0EPaS7_N6thrust23THRUST_200600_302600_NS10device_ptrIlEESB_jNS0_19identity_decomposerENS1_16block_id_wrapperIjLb0EEEEE10hipError_tT1_PNSt15iterator_traitsISG_E10value_typeET2_T3_PNSH_ISM_E10value_typeET4_T5_PSR_SS_PNS1_23onesweep_lookback_stateEbbT6_jjT7_P12ihipStream_tbENKUlT_T0_SG_SL_E_clIS7_S7_SB_SB_EEDaSZ_S10_SG_SL_EUlSZ_E_NS1_11comp_targetILNS1_3genE8ELNS1_11target_archE1030ELNS1_3gpuE2ELNS1_3repE0EEENS1_47radix_sort_onesweep_sort_config_static_selectorELNS0_4arch9wavefront6targetE1EEEvSG_
	.p2align	8
	.type	_ZN7rocprim17ROCPRIM_400000_NS6detail17trampoline_kernelINS0_14default_configENS1_35radix_sort_onesweep_config_selectorIalEEZZNS1_29radix_sort_onesweep_iterationIS3_Lb0EPaS7_N6thrust23THRUST_200600_302600_NS10device_ptrIlEESB_jNS0_19identity_decomposerENS1_16block_id_wrapperIjLb0EEEEE10hipError_tT1_PNSt15iterator_traitsISG_E10value_typeET2_T3_PNSH_ISM_E10value_typeET4_T5_PSR_SS_PNS1_23onesweep_lookback_stateEbbT6_jjT7_P12ihipStream_tbENKUlT_T0_SG_SL_E_clIS7_S7_SB_SB_EEDaSZ_S10_SG_SL_EUlSZ_E_NS1_11comp_targetILNS1_3genE8ELNS1_11target_archE1030ELNS1_3gpuE2ELNS1_3repE0EEENS1_47radix_sort_onesweep_sort_config_static_selectorELNS0_4arch9wavefront6targetE1EEEvSG_,@function
_ZN7rocprim17ROCPRIM_400000_NS6detail17trampoline_kernelINS0_14default_configENS1_35radix_sort_onesweep_config_selectorIalEEZZNS1_29radix_sort_onesweep_iterationIS3_Lb0EPaS7_N6thrust23THRUST_200600_302600_NS10device_ptrIlEESB_jNS0_19identity_decomposerENS1_16block_id_wrapperIjLb0EEEEE10hipError_tT1_PNSt15iterator_traitsISG_E10value_typeET2_T3_PNSH_ISM_E10value_typeET4_T5_PSR_SS_PNS1_23onesweep_lookback_stateEbbT6_jjT7_P12ihipStream_tbENKUlT_T0_SG_SL_E_clIS7_S7_SB_SB_EEDaSZ_S10_SG_SL_EUlSZ_E_NS1_11comp_targetILNS1_3genE8ELNS1_11target_archE1030ELNS1_3gpuE2ELNS1_3repE0EEENS1_47radix_sort_onesweep_sort_config_static_selectorELNS0_4arch9wavefront6targetE1EEEvSG_: ; @_ZN7rocprim17ROCPRIM_400000_NS6detail17trampoline_kernelINS0_14default_configENS1_35radix_sort_onesweep_config_selectorIalEEZZNS1_29radix_sort_onesweep_iterationIS3_Lb0EPaS7_N6thrust23THRUST_200600_302600_NS10device_ptrIlEESB_jNS0_19identity_decomposerENS1_16block_id_wrapperIjLb0EEEEE10hipError_tT1_PNSt15iterator_traitsISG_E10value_typeET2_T3_PNSH_ISM_E10value_typeET4_T5_PSR_SS_PNS1_23onesweep_lookback_stateEbbT6_jjT7_P12ihipStream_tbENKUlT_T0_SG_SL_E_clIS7_S7_SB_SB_EEDaSZ_S10_SG_SL_EUlSZ_E_NS1_11comp_targetILNS1_3genE8ELNS1_11target_archE1030ELNS1_3gpuE2ELNS1_3repE0EEENS1_47radix_sort_onesweep_sort_config_static_selectorELNS0_4arch9wavefront6targetE1EEEvSG_
; %bb.0:
	.section	.rodata,"a",@progbits
	.p2align	6, 0x0
	.amdhsa_kernel _ZN7rocprim17ROCPRIM_400000_NS6detail17trampoline_kernelINS0_14default_configENS1_35radix_sort_onesweep_config_selectorIalEEZZNS1_29radix_sort_onesweep_iterationIS3_Lb0EPaS7_N6thrust23THRUST_200600_302600_NS10device_ptrIlEESB_jNS0_19identity_decomposerENS1_16block_id_wrapperIjLb0EEEEE10hipError_tT1_PNSt15iterator_traitsISG_E10value_typeET2_T3_PNSH_ISM_E10value_typeET4_T5_PSR_SS_PNS1_23onesweep_lookback_stateEbbT6_jjT7_P12ihipStream_tbENKUlT_T0_SG_SL_E_clIS7_S7_SB_SB_EEDaSZ_S10_SG_SL_EUlSZ_E_NS1_11comp_targetILNS1_3genE8ELNS1_11target_archE1030ELNS1_3gpuE2ELNS1_3repE0EEENS1_47radix_sort_onesweep_sort_config_static_selectorELNS0_4arch9wavefront6targetE1EEEvSG_
		.amdhsa_group_segment_fixed_size 0
		.amdhsa_private_segment_fixed_size 0
		.amdhsa_kernarg_size 88
		.amdhsa_user_sgpr_count 6
		.amdhsa_user_sgpr_private_segment_buffer 1
		.amdhsa_user_sgpr_dispatch_ptr 0
		.amdhsa_user_sgpr_queue_ptr 0
		.amdhsa_user_sgpr_kernarg_segment_ptr 1
		.amdhsa_user_sgpr_dispatch_id 0
		.amdhsa_user_sgpr_flat_scratch_init 0
		.amdhsa_user_sgpr_private_segment_size 0
		.amdhsa_uses_dynamic_stack 0
		.amdhsa_system_sgpr_private_segment_wavefront_offset 0
		.amdhsa_system_sgpr_workgroup_id_x 1
		.amdhsa_system_sgpr_workgroup_id_y 0
		.amdhsa_system_sgpr_workgroup_id_z 0
		.amdhsa_system_sgpr_workgroup_info 0
		.amdhsa_system_vgpr_workitem_id 0
		.amdhsa_next_free_vgpr 1
		.amdhsa_next_free_sgpr 0
		.amdhsa_reserve_vcc 0
		.amdhsa_reserve_flat_scratch 0
		.amdhsa_float_round_mode_32 0
		.amdhsa_float_round_mode_16_64 0
		.amdhsa_float_denorm_mode_32 3
		.amdhsa_float_denorm_mode_16_64 3
		.amdhsa_dx10_clamp 1
		.amdhsa_ieee_mode 1
		.amdhsa_fp16_overflow 0
		.amdhsa_exception_fp_ieee_invalid_op 0
		.amdhsa_exception_fp_denorm_src 0
		.amdhsa_exception_fp_ieee_div_zero 0
		.amdhsa_exception_fp_ieee_overflow 0
		.amdhsa_exception_fp_ieee_underflow 0
		.amdhsa_exception_fp_ieee_inexact 0
		.amdhsa_exception_int_div_zero 0
	.end_amdhsa_kernel
	.section	.text._ZN7rocprim17ROCPRIM_400000_NS6detail17trampoline_kernelINS0_14default_configENS1_35radix_sort_onesweep_config_selectorIalEEZZNS1_29radix_sort_onesweep_iterationIS3_Lb0EPaS7_N6thrust23THRUST_200600_302600_NS10device_ptrIlEESB_jNS0_19identity_decomposerENS1_16block_id_wrapperIjLb0EEEEE10hipError_tT1_PNSt15iterator_traitsISG_E10value_typeET2_T3_PNSH_ISM_E10value_typeET4_T5_PSR_SS_PNS1_23onesweep_lookback_stateEbbT6_jjT7_P12ihipStream_tbENKUlT_T0_SG_SL_E_clIS7_S7_SB_SB_EEDaSZ_S10_SG_SL_EUlSZ_E_NS1_11comp_targetILNS1_3genE8ELNS1_11target_archE1030ELNS1_3gpuE2ELNS1_3repE0EEENS1_47radix_sort_onesweep_sort_config_static_selectorELNS0_4arch9wavefront6targetE1EEEvSG_,"axG",@progbits,_ZN7rocprim17ROCPRIM_400000_NS6detail17trampoline_kernelINS0_14default_configENS1_35radix_sort_onesweep_config_selectorIalEEZZNS1_29radix_sort_onesweep_iterationIS3_Lb0EPaS7_N6thrust23THRUST_200600_302600_NS10device_ptrIlEESB_jNS0_19identity_decomposerENS1_16block_id_wrapperIjLb0EEEEE10hipError_tT1_PNSt15iterator_traitsISG_E10value_typeET2_T3_PNSH_ISM_E10value_typeET4_T5_PSR_SS_PNS1_23onesweep_lookback_stateEbbT6_jjT7_P12ihipStream_tbENKUlT_T0_SG_SL_E_clIS7_S7_SB_SB_EEDaSZ_S10_SG_SL_EUlSZ_E_NS1_11comp_targetILNS1_3genE8ELNS1_11target_archE1030ELNS1_3gpuE2ELNS1_3repE0EEENS1_47radix_sort_onesweep_sort_config_static_selectorELNS0_4arch9wavefront6targetE1EEEvSG_,comdat
.Lfunc_end635:
	.size	_ZN7rocprim17ROCPRIM_400000_NS6detail17trampoline_kernelINS0_14default_configENS1_35radix_sort_onesweep_config_selectorIalEEZZNS1_29radix_sort_onesweep_iterationIS3_Lb0EPaS7_N6thrust23THRUST_200600_302600_NS10device_ptrIlEESB_jNS0_19identity_decomposerENS1_16block_id_wrapperIjLb0EEEEE10hipError_tT1_PNSt15iterator_traitsISG_E10value_typeET2_T3_PNSH_ISM_E10value_typeET4_T5_PSR_SS_PNS1_23onesweep_lookback_stateEbbT6_jjT7_P12ihipStream_tbENKUlT_T0_SG_SL_E_clIS7_S7_SB_SB_EEDaSZ_S10_SG_SL_EUlSZ_E_NS1_11comp_targetILNS1_3genE8ELNS1_11target_archE1030ELNS1_3gpuE2ELNS1_3repE0EEENS1_47radix_sort_onesweep_sort_config_static_selectorELNS0_4arch9wavefront6targetE1EEEvSG_, .Lfunc_end635-_ZN7rocprim17ROCPRIM_400000_NS6detail17trampoline_kernelINS0_14default_configENS1_35radix_sort_onesweep_config_selectorIalEEZZNS1_29radix_sort_onesweep_iterationIS3_Lb0EPaS7_N6thrust23THRUST_200600_302600_NS10device_ptrIlEESB_jNS0_19identity_decomposerENS1_16block_id_wrapperIjLb0EEEEE10hipError_tT1_PNSt15iterator_traitsISG_E10value_typeET2_T3_PNSH_ISM_E10value_typeET4_T5_PSR_SS_PNS1_23onesweep_lookback_stateEbbT6_jjT7_P12ihipStream_tbENKUlT_T0_SG_SL_E_clIS7_S7_SB_SB_EEDaSZ_S10_SG_SL_EUlSZ_E_NS1_11comp_targetILNS1_3genE8ELNS1_11target_archE1030ELNS1_3gpuE2ELNS1_3repE0EEENS1_47radix_sort_onesweep_sort_config_static_selectorELNS0_4arch9wavefront6targetE1EEEvSG_
                                        ; -- End function
	.set _ZN7rocprim17ROCPRIM_400000_NS6detail17trampoline_kernelINS0_14default_configENS1_35radix_sort_onesweep_config_selectorIalEEZZNS1_29radix_sort_onesweep_iterationIS3_Lb0EPaS7_N6thrust23THRUST_200600_302600_NS10device_ptrIlEESB_jNS0_19identity_decomposerENS1_16block_id_wrapperIjLb0EEEEE10hipError_tT1_PNSt15iterator_traitsISG_E10value_typeET2_T3_PNSH_ISM_E10value_typeET4_T5_PSR_SS_PNS1_23onesweep_lookback_stateEbbT6_jjT7_P12ihipStream_tbENKUlT_T0_SG_SL_E_clIS7_S7_SB_SB_EEDaSZ_S10_SG_SL_EUlSZ_E_NS1_11comp_targetILNS1_3genE8ELNS1_11target_archE1030ELNS1_3gpuE2ELNS1_3repE0EEENS1_47radix_sort_onesweep_sort_config_static_selectorELNS0_4arch9wavefront6targetE1EEEvSG_.num_vgpr, 0
	.set _ZN7rocprim17ROCPRIM_400000_NS6detail17trampoline_kernelINS0_14default_configENS1_35radix_sort_onesweep_config_selectorIalEEZZNS1_29radix_sort_onesweep_iterationIS3_Lb0EPaS7_N6thrust23THRUST_200600_302600_NS10device_ptrIlEESB_jNS0_19identity_decomposerENS1_16block_id_wrapperIjLb0EEEEE10hipError_tT1_PNSt15iterator_traitsISG_E10value_typeET2_T3_PNSH_ISM_E10value_typeET4_T5_PSR_SS_PNS1_23onesweep_lookback_stateEbbT6_jjT7_P12ihipStream_tbENKUlT_T0_SG_SL_E_clIS7_S7_SB_SB_EEDaSZ_S10_SG_SL_EUlSZ_E_NS1_11comp_targetILNS1_3genE8ELNS1_11target_archE1030ELNS1_3gpuE2ELNS1_3repE0EEENS1_47radix_sort_onesweep_sort_config_static_selectorELNS0_4arch9wavefront6targetE1EEEvSG_.num_agpr, 0
	.set _ZN7rocprim17ROCPRIM_400000_NS6detail17trampoline_kernelINS0_14default_configENS1_35radix_sort_onesweep_config_selectorIalEEZZNS1_29radix_sort_onesweep_iterationIS3_Lb0EPaS7_N6thrust23THRUST_200600_302600_NS10device_ptrIlEESB_jNS0_19identity_decomposerENS1_16block_id_wrapperIjLb0EEEEE10hipError_tT1_PNSt15iterator_traitsISG_E10value_typeET2_T3_PNSH_ISM_E10value_typeET4_T5_PSR_SS_PNS1_23onesweep_lookback_stateEbbT6_jjT7_P12ihipStream_tbENKUlT_T0_SG_SL_E_clIS7_S7_SB_SB_EEDaSZ_S10_SG_SL_EUlSZ_E_NS1_11comp_targetILNS1_3genE8ELNS1_11target_archE1030ELNS1_3gpuE2ELNS1_3repE0EEENS1_47radix_sort_onesweep_sort_config_static_selectorELNS0_4arch9wavefront6targetE1EEEvSG_.numbered_sgpr, 0
	.set _ZN7rocprim17ROCPRIM_400000_NS6detail17trampoline_kernelINS0_14default_configENS1_35radix_sort_onesweep_config_selectorIalEEZZNS1_29radix_sort_onesweep_iterationIS3_Lb0EPaS7_N6thrust23THRUST_200600_302600_NS10device_ptrIlEESB_jNS0_19identity_decomposerENS1_16block_id_wrapperIjLb0EEEEE10hipError_tT1_PNSt15iterator_traitsISG_E10value_typeET2_T3_PNSH_ISM_E10value_typeET4_T5_PSR_SS_PNS1_23onesweep_lookback_stateEbbT6_jjT7_P12ihipStream_tbENKUlT_T0_SG_SL_E_clIS7_S7_SB_SB_EEDaSZ_S10_SG_SL_EUlSZ_E_NS1_11comp_targetILNS1_3genE8ELNS1_11target_archE1030ELNS1_3gpuE2ELNS1_3repE0EEENS1_47radix_sort_onesweep_sort_config_static_selectorELNS0_4arch9wavefront6targetE1EEEvSG_.num_named_barrier, 0
	.set _ZN7rocprim17ROCPRIM_400000_NS6detail17trampoline_kernelINS0_14default_configENS1_35radix_sort_onesweep_config_selectorIalEEZZNS1_29radix_sort_onesweep_iterationIS3_Lb0EPaS7_N6thrust23THRUST_200600_302600_NS10device_ptrIlEESB_jNS0_19identity_decomposerENS1_16block_id_wrapperIjLb0EEEEE10hipError_tT1_PNSt15iterator_traitsISG_E10value_typeET2_T3_PNSH_ISM_E10value_typeET4_T5_PSR_SS_PNS1_23onesweep_lookback_stateEbbT6_jjT7_P12ihipStream_tbENKUlT_T0_SG_SL_E_clIS7_S7_SB_SB_EEDaSZ_S10_SG_SL_EUlSZ_E_NS1_11comp_targetILNS1_3genE8ELNS1_11target_archE1030ELNS1_3gpuE2ELNS1_3repE0EEENS1_47radix_sort_onesweep_sort_config_static_selectorELNS0_4arch9wavefront6targetE1EEEvSG_.private_seg_size, 0
	.set _ZN7rocprim17ROCPRIM_400000_NS6detail17trampoline_kernelINS0_14default_configENS1_35radix_sort_onesweep_config_selectorIalEEZZNS1_29radix_sort_onesweep_iterationIS3_Lb0EPaS7_N6thrust23THRUST_200600_302600_NS10device_ptrIlEESB_jNS0_19identity_decomposerENS1_16block_id_wrapperIjLb0EEEEE10hipError_tT1_PNSt15iterator_traitsISG_E10value_typeET2_T3_PNSH_ISM_E10value_typeET4_T5_PSR_SS_PNS1_23onesweep_lookback_stateEbbT6_jjT7_P12ihipStream_tbENKUlT_T0_SG_SL_E_clIS7_S7_SB_SB_EEDaSZ_S10_SG_SL_EUlSZ_E_NS1_11comp_targetILNS1_3genE8ELNS1_11target_archE1030ELNS1_3gpuE2ELNS1_3repE0EEENS1_47radix_sort_onesweep_sort_config_static_selectorELNS0_4arch9wavefront6targetE1EEEvSG_.uses_vcc, 0
	.set _ZN7rocprim17ROCPRIM_400000_NS6detail17trampoline_kernelINS0_14default_configENS1_35radix_sort_onesweep_config_selectorIalEEZZNS1_29radix_sort_onesweep_iterationIS3_Lb0EPaS7_N6thrust23THRUST_200600_302600_NS10device_ptrIlEESB_jNS0_19identity_decomposerENS1_16block_id_wrapperIjLb0EEEEE10hipError_tT1_PNSt15iterator_traitsISG_E10value_typeET2_T3_PNSH_ISM_E10value_typeET4_T5_PSR_SS_PNS1_23onesweep_lookback_stateEbbT6_jjT7_P12ihipStream_tbENKUlT_T0_SG_SL_E_clIS7_S7_SB_SB_EEDaSZ_S10_SG_SL_EUlSZ_E_NS1_11comp_targetILNS1_3genE8ELNS1_11target_archE1030ELNS1_3gpuE2ELNS1_3repE0EEENS1_47radix_sort_onesweep_sort_config_static_selectorELNS0_4arch9wavefront6targetE1EEEvSG_.uses_flat_scratch, 0
	.set _ZN7rocprim17ROCPRIM_400000_NS6detail17trampoline_kernelINS0_14default_configENS1_35radix_sort_onesweep_config_selectorIalEEZZNS1_29radix_sort_onesweep_iterationIS3_Lb0EPaS7_N6thrust23THRUST_200600_302600_NS10device_ptrIlEESB_jNS0_19identity_decomposerENS1_16block_id_wrapperIjLb0EEEEE10hipError_tT1_PNSt15iterator_traitsISG_E10value_typeET2_T3_PNSH_ISM_E10value_typeET4_T5_PSR_SS_PNS1_23onesweep_lookback_stateEbbT6_jjT7_P12ihipStream_tbENKUlT_T0_SG_SL_E_clIS7_S7_SB_SB_EEDaSZ_S10_SG_SL_EUlSZ_E_NS1_11comp_targetILNS1_3genE8ELNS1_11target_archE1030ELNS1_3gpuE2ELNS1_3repE0EEENS1_47radix_sort_onesweep_sort_config_static_selectorELNS0_4arch9wavefront6targetE1EEEvSG_.has_dyn_sized_stack, 0
	.set _ZN7rocprim17ROCPRIM_400000_NS6detail17trampoline_kernelINS0_14default_configENS1_35radix_sort_onesweep_config_selectorIalEEZZNS1_29radix_sort_onesweep_iterationIS3_Lb0EPaS7_N6thrust23THRUST_200600_302600_NS10device_ptrIlEESB_jNS0_19identity_decomposerENS1_16block_id_wrapperIjLb0EEEEE10hipError_tT1_PNSt15iterator_traitsISG_E10value_typeET2_T3_PNSH_ISM_E10value_typeET4_T5_PSR_SS_PNS1_23onesweep_lookback_stateEbbT6_jjT7_P12ihipStream_tbENKUlT_T0_SG_SL_E_clIS7_S7_SB_SB_EEDaSZ_S10_SG_SL_EUlSZ_E_NS1_11comp_targetILNS1_3genE8ELNS1_11target_archE1030ELNS1_3gpuE2ELNS1_3repE0EEENS1_47radix_sort_onesweep_sort_config_static_selectorELNS0_4arch9wavefront6targetE1EEEvSG_.has_recursion, 0
	.set _ZN7rocprim17ROCPRIM_400000_NS6detail17trampoline_kernelINS0_14default_configENS1_35radix_sort_onesweep_config_selectorIalEEZZNS1_29radix_sort_onesweep_iterationIS3_Lb0EPaS7_N6thrust23THRUST_200600_302600_NS10device_ptrIlEESB_jNS0_19identity_decomposerENS1_16block_id_wrapperIjLb0EEEEE10hipError_tT1_PNSt15iterator_traitsISG_E10value_typeET2_T3_PNSH_ISM_E10value_typeET4_T5_PSR_SS_PNS1_23onesweep_lookback_stateEbbT6_jjT7_P12ihipStream_tbENKUlT_T0_SG_SL_E_clIS7_S7_SB_SB_EEDaSZ_S10_SG_SL_EUlSZ_E_NS1_11comp_targetILNS1_3genE8ELNS1_11target_archE1030ELNS1_3gpuE2ELNS1_3repE0EEENS1_47radix_sort_onesweep_sort_config_static_selectorELNS0_4arch9wavefront6targetE1EEEvSG_.has_indirect_call, 0
	.section	.AMDGPU.csdata,"",@progbits
; Kernel info:
; codeLenInByte = 0
; TotalNumSgprs: 4
; NumVgprs: 0
; ScratchSize: 0
; MemoryBound: 0
; FloatMode: 240
; IeeeMode: 1
; LDSByteSize: 0 bytes/workgroup (compile time only)
; SGPRBlocks: 0
; VGPRBlocks: 0
; NumSGPRsForWavesPerEU: 4
; NumVGPRsForWavesPerEU: 1
; Occupancy: 10
; WaveLimiterHint : 0
; COMPUTE_PGM_RSRC2:SCRATCH_EN: 0
; COMPUTE_PGM_RSRC2:USER_SGPR: 6
; COMPUTE_PGM_RSRC2:TRAP_HANDLER: 0
; COMPUTE_PGM_RSRC2:TGID_X_EN: 1
; COMPUTE_PGM_RSRC2:TGID_Y_EN: 0
; COMPUTE_PGM_RSRC2:TGID_Z_EN: 0
; COMPUTE_PGM_RSRC2:TIDIG_COMP_CNT: 0
	.section	.text._ZN7rocprim17ROCPRIM_400000_NS6detail17trampoline_kernelINS0_14default_configENS1_35radix_sort_onesweep_config_selectorIalEEZZNS1_29radix_sort_onesweep_iterationIS3_Lb0EPaS7_N6thrust23THRUST_200600_302600_NS10device_ptrIlEESB_jNS0_19identity_decomposerENS1_16block_id_wrapperIjLb0EEEEE10hipError_tT1_PNSt15iterator_traitsISG_E10value_typeET2_T3_PNSH_ISM_E10value_typeET4_T5_PSR_SS_PNS1_23onesweep_lookback_stateEbbT6_jjT7_P12ihipStream_tbENKUlT_T0_SG_SL_E_clIS7_S7_SB_PlEEDaSZ_S10_SG_SL_EUlSZ_E_NS1_11comp_targetILNS1_3genE0ELNS1_11target_archE4294967295ELNS1_3gpuE0ELNS1_3repE0EEENS1_47radix_sort_onesweep_sort_config_static_selectorELNS0_4arch9wavefront6targetE1EEEvSG_,"axG",@progbits,_ZN7rocprim17ROCPRIM_400000_NS6detail17trampoline_kernelINS0_14default_configENS1_35radix_sort_onesweep_config_selectorIalEEZZNS1_29radix_sort_onesweep_iterationIS3_Lb0EPaS7_N6thrust23THRUST_200600_302600_NS10device_ptrIlEESB_jNS0_19identity_decomposerENS1_16block_id_wrapperIjLb0EEEEE10hipError_tT1_PNSt15iterator_traitsISG_E10value_typeET2_T3_PNSH_ISM_E10value_typeET4_T5_PSR_SS_PNS1_23onesweep_lookback_stateEbbT6_jjT7_P12ihipStream_tbENKUlT_T0_SG_SL_E_clIS7_S7_SB_PlEEDaSZ_S10_SG_SL_EUlSZ_E_NS1_11comp_targetILNS1_3genE0ELNS1_11target_archE4294967295ELNS1_3gpuE0ELNS1_3repE0EEENS1_47radix_sort_onesweep_sort_config_static_selectorELNS0_4arch9wavefront6targetE1EEEvSG_,comdat
	.protected	_ZN7rocprim17ROCPRIM_400000_NS6detail17trampoline_kernelINS0_14default_configENS1_35radix_sort_onesweep_config_selectorIalEEZZNS1_29radix_sort_onesweep_iterationIS3_Lb0EPaS7_N6thrust23THRUST_200600_302600_NS10device_ptrIlEESB_jNS0_19identity_decomposerENS1_16block_id_wrapperIjLb0EEEEE10hipError_tT1_PNSt15iterator_traitsISG_E10value_typeET2_T3_PNSH_ISM_E10value_typeET4_T5_PSR_SS_PNS1_23onesweep_lookback_stateEbbT6_jjT7_P12ihipStream_tbENKUlT_T0_SG_SL_E_clIS7_S7_SB_PlEEDaSZ_S10_SG_SL_EUlSZ_E_NS1_11comp_targetILNS1_3genE0ELNS1_11target_archE4294967295ELNS1_3gpuE0ELNS1_3repE0EEENS1_47radix_sort_onesweep_sort_config_static_selectorELNS0_4arch9wavefront6targetE1EEEvSG_ ; -- Begin function _ZN7rocprim17ROCPRIM_400000_NS6detail17trampoline_kernelINS0_14default_configENS1_35radix_sort_onesweep_config_selectorIalEEZZNS1_29radix_sort_onesweep_iterationIS3_Lb0EPaS7_N6thrust23THRUST_200600_302600_NS10device_ptrIlEESB_jNS0_19identity_decomposerENS1_16block_id_wrapperIjLb0EEEEE10hipError_tT1_PNSt15iterator_traitsISG_E10value_typeET2_T3_PNSH_ISM_E10value_typeET4_T5_PSR_SS_PNS1_23onesweep_lookback_stateEbbT6_jjT7_P12ihipStream_tbENKUlT_T0_SG_SL_E_clIS7_S7_SB_PlEEDaSZ_S10_SG_SL_EUlSZ_E_NS1_11comp_targetILNS1_3genE0ELNS1_11target_archE4294967295ELNS1_3gpuE0ELNS1_3repE0EEENS1_47radix_sort_onesweep_sort_config_static_selectorELNS0_4arch9wavefront6targetE1EEEvSG_
	.globl	_ZN7rocprim17ROCPRIM_400000_NS6detail17trampoline_kernelINS0_14default_configENS1_35radix_sort_onesweep_config_selectorIalEEZZNS1_29radix_sort_onesweep_iterationIS3_Lb0EPaS7_N6thrust23THRUST_200600_302600_NS10device_ptrIlEESB_jNS0_19identity_decomposerENS1_16block_id_wrapperIjLb0EEEEE10hipError_tT1_PNSt15iterator_traitsISG_E10value_typeET2_T3_PNSH_ISM_E10value_typeET4_T5_PSR_SS_PNS1_23onesweep_lookback_stateEbbT6_jjT7_P12ihipStream_tbENKUlT_T0_SG_SL_E_clIS7_S7_SB_PlEEDaSZ_S10_SG_SL_EUlSZ_E_NS1_11comp_targetILNS1_3genE0ELNS1_11target_archE4294967295ELNS1_3gpuE0ELNS1_3repE0EEENS1_47radix_sort_onesweep_sort_config_static_selectorELNS0_4arch9wavefront6targetE1EEEvSG_
	.p2align	8
	.type	_ZN7rocprim17ROCPRIM_400000_NS6detail17trampoline_kernelINS0_14default_configENS1_35radix_sort_onesweep_config_selectorIalEEZZNS1_29radix_sort_onesweep_iterationIS3_Lb0EPaS7_N6thrust23THRUST_200600_302600_NS10device_ptrIlEESB_jNS0_19identity_decomposerENS1_16block_id_wrapperIjLb0EEEEE10hipError_tT1_PNSt15iterator_traitsISG_E10value_typeET2_T3_PNSH_ISM_E10value_typeET4_T5_PSR_SS_PNS1_23onesweep_lookback_stateEbbT6_jjT7_P12ihipStream_tbENKUlT_T0_SG_SL_E_clIS7_S7_SB_PlEEDaSZ_S10_SG_SL_EUlSZ_E_NS1_11comp_targetILNS1_3genE0ELNS1_11target_archE4294967295ELNS1_3gpuE0ELNS1_3repE0EEENS1_47radix_sort_onesweep_sort_config_static_selectorELNS0_4arch9wavefront6targetE1EEEvSG_,@function
_ZN7rocprim17ROCPRIM_400000_NS6detail17trampoline_kernelINS0_14default_configENS1_35radix_sort_onesweep_config_selectorIalEEZZNS1_29radix_sort_onesweep_iterationIS3_Lb0EPaS7_N6thrust23THRUST_200600_302600_NS10device_ptrIlEESB_jNS0_19identity_decomposerENS1_16block_id_wrapperIjLb0EEEEE10hipError_tT1_PNSt15iterator_traitsISG_E10value_typeET2_T3_PNSH_ISM_E10value_typeET4_T5_PSR_SS_PNS1_23onesweep_lookback_stateEbbT6_jjT7_P12ihipStream_tbENKUlT_T0_SG_SL_E_clIS7_S7_SB_PlEEDaSZ_S10_SG_SL_EUlSZ_E_NS1_11comp_targetILNS1_3genE0ELNS1_11target_archE4294967295ELNS1_3gpuE0ELNS1_3repE0EEENS1_47radix_sort_onesweep_sort_config_static_selectorELNS0_4arch9wavefront6targetE1EEEvSG_: ; @_ZN7rocprim17ROCPRIM_400000_NS6detail17trampoline_kernelINS0_14default_configENS1_35radix_sort_onesweep_config_selectorIalEEZZNS1_29radix_sort_onesweep_iterationIS3_Lb0EPaS7_N6thrust23THRUST_200600_302600_NS10device_ptrIlEESB_jNS0_19identity_decomposerENS1_16block_id_wrapperIjLb0EEEEE10hipError_tT1_PNSt15iterator_traitsISG_E10value_typeET2_T3_PNSH_ISM_E10value_typeET4_T5_PSR_SS_PNS1_23onesweep_lookback_stateEbbT6_jjT7_P12ihipStream_tbENKUlT_T0_SG_SL_E_clIS7_S7_SB_PlEEDaSZ_S10_SG_SL_EUlSZ_E_NS1_11comp_targetILNS1_3genE0ELNS1_11target_archE4294967295ELNS1_3gpuE0ELNS1_3repE0EEENS1_47radix_sort_onesweep_sort_config_static_selectorELNS0_4arch9wavefront6targetE1EEEvSG_
; %bb.0:
	.section	.rodata,"a",@progbits
	.p2align	6, 0x0
	.amdhsa_kernel _ZN7rocprim17ROCPRIM_400000_NS6detail17trampoline_kernelINS0_14default_configENS1_35radix_sort_onesweep_config_selectorIalEEZZNS1_29radix_sort_onesweep_iterationIS3_Lb0EPaS7_N6thrust23THRUST_200600_302600_NS10device_ptrIlEESB_jNS0_19identity_decomposerENS1_16block_id_wrapperIjLb0EEEEE10hipError_tT1_PNSt15iterator_traitsISG_E10value_typeET2_T3_PNSH_ISM_E10value_typeET4_T5_PSR_SS_PNS1_23onesweep_lookback_stateEbbT6_jjT7_P12ihipStream_tbENKUlT_T0_SG_SL_E_clIS7_S7_SB_PlEEDaSZ_S10_SG_SL_EUlSZ_E_NS1_11comp_targetILNS1_3genE0ELNS1_11target_archE4294967295ELNS1_3gpuE0ELNS1_3repE0EEENS1_47radix_sort_onesweep_sort_config_static_selectorELNS0_4arch9wavefront6targetE1EEEvSG_
		.amdhsa_group_segment_fixed_size 0
		.amdhsa_private_segment_fixed_size 0
		.amdhsa_kernarg_size 88
		.amdhsa_user_sgpr_count 6
		.amdhsa_user_sgpr_private_segment_buffer 1
		.amdhsa_user_sgpr_dispatch_ptr 0
		.amdhsa_user_sgpr_queue_ptr 0
		.amdhsa_user_sgpr_kernarg_segment_ptr 1
		.amdhsa_user_sgpr_dispatch_id 0
		.amdhsa_user_sgpr_flat_scratch_init 0
		.amdhsa_user_sgpr_private_segment_size 0
		.amdhsa_uses_dynamic_stack 0
		.amdhsa_system_sgpr_private_segment_wavefront_offset 0
		.amdhsa_system_sgpr_workgroup_id_x 1
		.amdhsa_system_sgpr_workgroup_id_y 0
		.amdhsa_system_sgpr_workgroup_id_z 0
		.amdhsa_system_sgpr_workgroup_info 0
		.amdhsa_system_vgpr_workitem_id 0
		.amdhsa_next_free_vgpr 1
		.amdhsa_next_free_sgpr 0
		.amdhsa_reserve_vcc 0
		.amdhsa_reserve_flat_scratch 0
		.amdhsa_float_round_mode_32 0
		.amdhsa_float_round_mode_16_64 0
		.amdhsa_float_denorm_mode_32 3
		.amdhsa_float_denorm_mode_16_64 3
		.amdhsa_dx10_clamp 1
		.amdhsa_ieee_mode 1
		.amdhsa_fp16_overflow 0
		.amdhsa_exception_fp_ieee_invalid_op 0
		.amdhsa_exception_fp_denorm_src 0
		.amdhsa_exception_fp_ieee_div_zero 0
		.amdhsa_exception_fp_ieee_overflow 0
		.amdhsa_exception_fp_ieee_underflow 0
		.amdhsa_exception_fp_ieee_inexact 0
		.amdhsa_exception_int_div_zero 0
	.end_amdhsa_kernel
	.section	.text._ZN7rocprim17ROCPRIM_400000_NS6detail17trampoline_kernelINS0_14default_configENS1_35radix_sort_onesweep_config_selectorIalEEZZNS1_29radix_sort_onesweep_iterationIS3_Lb0EPaS7_N6thrust23THRUST_200600_302600_NS10device_ptrIlEESB_jNS0_19identity_decomposerENS1_16block_id_wrapperIjLb0EEEEE10hipError_tT1_PNSt15iterator_traitsISG_E10value_typeET2_T3_PNSH_ISM_E10value_typeET4_T5_PSR_SS_PNS1_23onesweep_lookback_stateEbbT6_jjT7_P12ihipStream_tbENKUlT_T0_SG_SL_E_clIS7_S7_SB_PlEEDaSZ_S10_SG_SL_EUlSZ_E_NS1_11comp_targetILNS1_3genE0ELNS1_11target_archE4294967295ELNS1_3gpuE0ELNS1_3repE0EEENS1_47radix_sort_onesweep_sort_config_static_selectorELNS0_4arch9wavefront6targetE1EEEvSG_,"axG",@progbits,_ZN7rocprim17ROCPRIM_400000_NS6detail17trampoline_kernelINS0_14default_configENS1_35radix_sort_onesweep_config_selectorIalEEZZNS1_29radix_sort_onesweep_iterationIS3_Lb0EPaS7_N6thrust23THRUST_200600_302600_NS10device_ptrIlEESB_jNS0_19identity_decomposerENS1_16block_id_wrapperIjLb0EEEEE10hipError_tT1_PNSt15iterator_traitsISG_E10value_typeET2_T3_PNSH_ISM_E10value_typeET4_T5_PSR_SS_PNS1_23onesweep_lookback_stateEbbT6_jjT7_P12ihipStream_tbENKUlT_T0_SG_SL_E_clIS7_S7_SB_PlEEDaSZ_S10_SG_SL_EUlSZ_E_NS1_11comp_targetILNS1_3genE0ELNS1_11target_archE4294967295ELNS1_3gpuE0ELNS1_3repE0EEENS1_47radix_sort_onesweep_sort_config_static_selectorELNS0_4arch9wavefront6targetE1EEEvSG_,comdat
.Lfunc_end636:
	.size	_ZN7rocprim17ROCPRIM_400000_NS6detail17trampoline_kernelINS0_14default_configENS1_35radix_sort_onesweep_config_selectorIalEEZZNS1_29radix_sort_onesweep_iterationIS3_Lb0EPaS7_N6thrust23THRUST_200600_302600_NS10device_ptrIlEESB_jNS0_19identity_decomposerENS1_16block_id_wrapperIjLb0EEEEE10hipError_tT1_PNSt15iterator_traitsISG_E10value_typeET2_T3_PNSH_ISM_E10value_typeET4_T5_PSR_SS_PNS1_23onesweep_lookback_stateEbbT6_jjT7_P12ihipStream_tbENKUlT_T0_SG_SL_E_clIS7_S7_SB_PlEEDaSZ_S10_SG_SL_EUlSZ_E_NS1_11comp_targetILNS1_3genE0ELNS1_11target_archE4294967295ELNS1_3gpuE0ELNS1_3repE0EEENS1_47radix_sort_onesweep_sort_config_static_selectorELNS0_4arch9wavefront6targetE1EEEvSG_, .Lfunc_end636-_ZN7rocprim17ROCPRIM_400000_NS6detail17trampoline_kernelINS0_14default_configENS1_35radix_sort_onesweep_config_selectorIalEEZZNS1_29radix_sort_onesweep_iterationIS3_Lb0EPaS7_N6thrust23THRUST_200600_302600_NS10device_ptrIlEESB_jNS0_19identity_decomposerENS1_16block_id_wrapperIjLb0EEEEE10hipError_tT1_PNSt15iterator_traitsISG_E10value_typeET2_T3_PNSH_ISM_E10value_typeET4_T5_PSR_SS_PNS1_23onesweep_lookback_stateEbbT6_jjT7_P12ihipStream_tbENKUlT_T0_SG_SL_E_clIS7_S7_SB_PlEEDaSZ_S10_SG_SL_EUlSZ_E_NS1_11comp_targetILNS1_3genE0ELNS1_11target_archE4294967295ELNS1_3gpuE0ELNS1_3repE0EEENS1_47radix_sort_onesweep_sort_config_static_selectorELNS0_4arch9wavefront6targetE1EEEvSG_
                                        ; -- End function
	.set _ZN7rocprim17ROCPRIM_400000_NS6detail17trampoline_kernelINS0_14default_configENS1_35radix_sort_onesweep_config_selectorIalEEZZNS1_29radix_sort_onesweep_iterationIS3_Lb0EPaS7_N6thrust23THRUST_200600_302600_NS10device_ptrIlEESB_jNS0_19identity_decomposerENS1_16block_id_wrapperIjLb0EEEEE10hipError_tT1_PNSt15iterator_traitsISG_E10value_typeET2_T3_PNSH_ISM_E10value_typeET4_T5_PSR_SS_PNS1_23onesweep_lookback_stateEbbT6_jjT7_P12ihipStream_tbENKUlT_T0_SG_SL_E_clIS7_S7_SB_PlEEDaSZ_S10_SG_SL_EUlSZ_E_NS1_11comp_targetILNS1_3genE0ELNS1_11target_archE4294967295ELNS1_3gpuE0ELNS1_3repE0EEENS1_47radix_sort_onesweep_sort_config_static_selectorELNS0_4arch9wavefront6targetE1EEEvSG_.num_vgpr, 0
	.set _ZN7rocprim17ROCPRIM_400000_NS6detail17trampoline_kernelINS0_14default_configENS1_35radix_sort_onesweep_config_selectorIalEEZZNS1_29radix_sort_onesweep_iterationIS3_Lb0EPaS7_N6thrust23THRUST_200600_302600_NS10device_ptrIlEESB_jNS0_19identity_decomposerENS1_16block_id_wrapperIjLb0EEEEE10hipError_tT1_PNSt15iterator_traitsISG_E10value_typeET2_T3_PNSH_ISM_E10value_typeET4_T5_PSR_SS_PNS1_23onesweep_lookback_stateEbbT6_jjT7_P12ihipStream_tbENKUlT_T0_SG_SL_E_clIS7_S7_SB_PlEEDaSZ_S10_SG_SL_EUlSZ_E_NS1_11comp_targetILNS1_3genE0ELNS1_11target_archE4294967295ELNS1_3gpuE0ELNS1_3repE0EEENS1_47radix_sort_onesweep_sort_config_static_selectorELNS0_4arch9wavefront6targetE1EEEvSG_.num_agpr, 0
	.set _ZN7rocprim17ROCPRIM_400000_NS6detail17trampoline_kernelINS0_14default_configENS1_35radix_sort_onesweep_config_selectorIalEEZZNS1_29radix_sort_onesweep_iterationIS3_Lb0EPaS7_N6thrust23THRUST_200600_302600_NS10device_ptrIlEESB_jNS0_19identity_decomposerENS1_16block_id_wrapperIjLb0EEEEE10hipError_tT1_PNSt15iterator_traitsISG_E10value_typeET2_T3_PNSH_ISM_E10value_typeET4_T5_PSR_SS_PNS1_23onesweep_lookback_stateEbbT6_jjT7_P12ihipStream_tbENKUlT_T0_SG_SL_E_clIS7_S7_SB_PlEEDaSZ_S10_SG_SL_EUlSZ_E_NS1_11comp_targetILNS1_3genE0ELNS1_11target_archE4294967295ELNS1_3gpuE0ELNS1_3repE0EEENS1_47radix_sort_onesweep_sort_config_static_selectorELNS0_4arch9wavefront6targetE1EEEvSG_.numbered_sgpr, 0
	.set _ZN7rocprim17ROCPRIM_400000_NS6detail17trampoline_kernelINS0_14default_configENS1_35radix_sort_onesweep_config_selectorIalEEZZNS1_29radix_sort_onesweep_iterationIS3_Lb0EPaS7_N6thrust23THRUST_200600_302600_NS10device_ptrIlEESB_jNS0_19identity_decomposerENS1_16block_id_wrapperIjLb0EEEEE10hipError_tT1_PNSt15iterator_traitsISG_E10value_typeET2_T3_PNSH_ISM_E10value_typeET4_T5_PSR_SS_PNS1_23onesweep_lookback_stateEbbT6_jjT7_P12ihipStream_tbENKUlT_T0_SG_SL_E_clIS7_S7_SB_PlEEDaSZ_S10_SG_SL_EUlSZ_E_NS1_11comp_targetILNS1_3genE0ELNS1_11target_archE4294967295ELNS1_3gpuE0ELNS1_3repE0EEENS1_47radix_sort_onesweep_sort_config_static_selectorELNS0_4arch9wavefront6targetE1EEEvSG_.num_named_barrier, 0
	.set _ZN7rocprim17ROCPRIM_400000_NS6detail17trampoline_kernelINS0_14default_configENS1_35radix_sort_onesweep_config_selectorIalEEZZNS1_29radix_sort_onesweep_iterationIS3_Lb0EPaS7_N6thrust23THRUST_200600_302600_NS10device_ptrIlEESB_jNS0_19identity_decomposerENS1_16block_id_wrapperIjLb0EEEEE10hipError_tT1_PNSt15iterator_traitsISG_E10value_typeET2_T3_PNSH_ISM_E10value_typeET4_T5_PSR_SS_PNS1_23onesweep_lookback_stateEbbT6_jjT7_P12ihipStream_tbENKUlT_T0_SG_SL_E_clIS7_S7_SB_PlEEDaSZ_S10_SG_SL_EUlSZ_E_NS1_11comp_targetILNS1_3genE0ELNS1_11target_archE4294967295ELNS1_3gpuE0ELNS1_3repE0EEENS1_47radix_sort_onesweep_sort_config_static_selectorELNS0_4arch9wavefront6targetE1EEEvSG_.private_seg_size, 0
	.set _ZN7rocprim17ROCPRIM_400000_NS6detail17trampoline_kernelINS0_14default_configENS1_35radix_sort_onesweep_config_selectorIalEEZZNS1_29radix_sort_onesweep_iterationIS3_Lb0EPaS7_N6thrust23THRUST_200600_302600_NS10device_ptrIlEESB_jNS0_19identity_decomposerENS1_16block_id_wrapperIjLb0EEEEE10hipError_tT1_PNSt15iterator_traitsISG_E10value_typeET2_T3_PNSH_ISM_E10value_typeET4_T5_PSR_SS_PNS1_23onesweep_lookback_stateEbbT6_jjT7_P12ihipStream_tbENKUlT_T0_SG_SL_E_clIS7_S7_SB_PlEEDaSZ_S10_SG_SL_EUlSZ_E_NS1_11comp_targetILNS1_3genE0ELNS1_11target_archE4294967295ELNS1_3gpuE0ELNS1_3repE0EEENS1_47radix_sort_onesweep_sort_config_static_selectorELNS0_4arch9wavefront6targetE1EEEvSG_.uses_vcc, 0
	.set _ZN7rocprim17ROCPRIM_400000_NS6detail17trampoline_kernelINS0_14default_configENS1_35radix_sort_onesweep_config_selectorIalEEZZNS1_29radix_sort_onesweep_iterationIS3_Lb0EPaS7_N6thrust23THRUST_200600_302600_NS10device_ptrIlEESB_jNS0_19identity_decomposerENS1_16block_id_wrapperIjLb0EEEEE10hipError_tT1_PNSt15iterator_traitsISG_E10value_typeET2_T3_PNSH_ISM_E10value_typeET4_T5_PSR_SS_PNS1_23onesweep_lookback_stateEbbT6_jjT7_P12ihipStream_tbENKUlT_T0_SG_SL_E_clIS7_S7_SB_PlEEDaSZ_S10_SG_SL_EUlSZ_E_NS1_11comp_targetILNS1_3genE0ELNS1_11target_archE4294967295ELNS1_3gpuE0ELNS1_3repE0EEENS1_47radix_sort_onesweep_sort_config_static_selectorELNS0_4arch9wavefront6targetE1EEEvSG_.uses_flat_scratch, 0
	.set _ZN7rocprim17ROCPRIM_400000_NS6detail17trampoline_kernelINS0_14default_configENS1_35radix_sort_onesweep_config_selectorIalEEZZNS1_29radix_sort_onesweep_iterationIS3_Lb0EPaS7_N6thrust23THRUST_200600_302600_NS10device_ptrIlEESB_jNS0_19identity_decomposerENS1_16block_id_wrapperIjLb0EEEEE10hipError_tT1_PNSt15iterator_traitsISG_E10value_typeET2_T3_PNSH_ISM_E10value_typeET4_T5_PSR_SS_PNS1_23onesweep_lookback_stateEbbT6_jjT7_P12ihipStream_tbENKUlT_T0_SG_SL_E_clIS7_S7_SB_PlEEDaSZ_S10_SG_SL_EUlSZ_E_NS1_11comp_targetILNS1_3genE0ELNS1_11target_archE4294967295ELNS1_3gpuE0ELNS1_3repE0EEENS1_47radix_sort_onesweep_sort_config_static_selectorELNS0_4arch9wavefront6targetE1EEEvSG_.has_dyn_sized_stack, 0
	.set _ZN7rocprim17ROCPRIM_400000_NS6detail17trampoline_kernelINS0_14default_configENS1_35radix_sort_onesweep_config_selectorIalEEZZNS1_29radix_sort_onesweep_iterationIS3_Lb0EPaS7_N6thrust23THRUST_200600_302600_NS10device_ptrIlEESB_jNS0_19identity_decomposerENS1_16block_id_wrapperIjLb0EEEEE10hipError_tT1_PNSt15iterator_traitsISG_E10value_typeET2_T3_PNSH_ISM_E10value_typeET4_T5_PSR_SS_PNS1_23onesweep_lookback_stateEbbT6_jjT7_P12ihipStream_tbENKUlT_T0_SG_SL_E_clIS7_S7_SB_PlEEDaSZ_S10_SG_SL_EUlSZ_E_NS1_11comp_targetILNS1_3genE0ELNS1_11target_archE4294967295ELNS1_3gpuE0ELNS1_3repE0EEENS1_47radix_sort_onesweep_sort_config_static_selectorELNS0_4arch9wavefront6targetE1EEEvSG_.has_recursion, 0
	.set _ZN7rocprim17ROCPRIM_400000_NS6detail17trampoline_kernelINS0_14default_configENS1_35radix_sort_onesweep_config_selectorIalEEZZNS1_29radix_sort_onesweep_iterationIS3_Lb0EPaS7_N6thrust23THRUST_200600_302600_NS10device_ptrIlEESB_jNS0_19identity_decomposerENS1_16block_id_wrapperIjLb0EEEEE10hipError_tT1_PNSt15iterator_traitsISG_E10value_typeET2_T3_PNSH_ISM_E10value_typeET4_T5_PSR_SS_PNS1_23onesweep_lookback_stateEbbT6_jjT7_P12ihipStream_tbENKUlT_T0_SG_SL_E_clIS7_S7_SB_PlEEDaSZ_S10_SG_SL_EUlSZ_E_NS1_11comp_targetILNS1_3genE0ELNS1_11target_archE4294967295ELNS1_3gpuE0ELNS1_3repE0EEENS1_47radix_sort_onesweep_sort_config_static_selectorELNS0_4arch9wavefront6targetE1EEEvSG_.has_indirect_call, 0
	.section	.AMDGPU.csdata,"",@progbits
; Kernel info:
; codeLenInByte = 0
; TotalNumSgprs: 4
; NumVgprs: 0
; ScratchSize: 0
; MemoryBound: 0
; FloatMode: 240
; IeeeMode: 1
; LDSByteSize: 0 bytes/workgroup (compile time only)
; SGPRBlocks: 0
; VGPRBlocks: 0
; NumSGPRsForWavesPerEU: 4
; NumVGPRsForWavesPerEU: 1
; Occupancy: 10
; WaveLimiterHint : 0
; COMPUTE_PGM_RSRC2:SCRATCH_EN: 0
; COMPUTE_PGM_RSRC2:USER_SGPR: 6
; COMPUTE_PGM_RSRC2:TRAP_HANDLER: 0
; COMPUTE_PGM_RSRC2:TGID_X_EN: 1
; COMPUTE_PGM_RSRC2:TGID_Y_EN: 0
; COMPUTE_PGM_RSRC2:TGID_Z_EN: 0
; COMPUTE_PGM_RSRC2:TIDIG_COMP_CNT: 0
	.section	.text._ZN7rocprim17ROCPRIM_400000_NS6detail17trampoline_kernelINS0_14default_configENS1_35radix_sort_onesweep_config_selectorIalEEZZNS1_29radix_sort_onesweep_iterationIS3_Lb0EPaS7_N6thrust23THRUST_200600_302600_NS10device_ptrIlEESB_jNS0_19identity_decomposerENS1_16block_id_wrapperIjLb0EEEEE10hipError_tT1_PNSt15iterator_traitsISG_E10value_typeET2_T3_PNSH_ISM_E10value_typeET4_T5_PSR_SS_PNS1_23onesweep_lookback_stateEbbT6_jjT7_P12ihipStream_tbENKUlT_T0_SG_SL_E_clIS7_S7_SB_PlEEDaSZ_S10_SG_SL_EUlSZ_E_NS1_11comp_targetILNS1_3genE6ELNS1_11target_archE950ELNS1_3gpuE13ELNS1_3repE0EEENS1_47radix_sort_onesweep_sort_config_static_selectorELNS0_4arch9wavefront6targetE1EEEvSG_,"axG",@progbits,_ZN7rocprim17ROCPRIM_400000_NS6detail17trampoline_kernelINS0_14default_configENS1_35radix_sort_onesweep_config_selectorIalEEZZNS1_29radix_sort_onesweep_iterationIS3_Lb0EPaS7_N6thrust23THRUST_200600_302600_NS10device_ptrIlEESB_jNS0_19identity_decomposerENS1_16block_id_wrapperIjLb0EEEEE10hipError_tT1_PNSt15iterator_traitsISG_E10value_typeET2_T3_PNSH_ISM_E10value_typeET4_T5_PSR_SS_PNS1_23onesweep_lookback_stateEbbT6_jjT7_P12ihipStream_tbENKUlT_T0_SG_SL_E_clIS7_S7_SB_PlEEDaSZ_S10_SG_SL_EUlSZ_E_NS1_11comp_targetILNS1_3genE6ELNS1_11target_archE950ELNS1_3gpuE13ELNS1_3repE0EEENS1_47radix_sort_onesweep_sort_config_static_selectorELNS0_4arch9wavefront6targetE1EEEvSG_,comdat
	.protected	_ZN7rocprim17ROCPRIM_400000_NS6detail17trampoline_kernelINS0_14default_configENS1_35radix_sort_onesweep_config_selectorIalEEZZNS1_29radix_sort_onesweep_iterationIS3_Lb0EPaS7_N6thrust23THRUST_200600_302600_NS10device_ptrIlEESB_jNS0_19identity_decomposerENS1_16block_id_wrapperIjLb0EEEEE10hipError_tT1_PNSt15iterator_traitsISG_E10value_typeET2_T3_PNSH_ISM_E10value_typeET4_T5_PSR_SS_PNS1_23onesweep_lookback_stateEbbT6_jjT7_P12ihipStream_tbENKUlT_T0_SG_SL_E_clIS7_S7_SB_PlEEDaSZ_S10_SG_SL_EUlSZ_E_NS1_11comp_targetILNS1_3genE6ELNS1_11target_archE950ELNS1_3gpuE13ELNS1_3repE0EEENS1_47radix_sort_onesweep_sort_config_static_selectorELNS0_4arch9wavefront6targetE1EEEvSG_ ; -- Begin function _ZN7rocprim17ROCPRIM_400000_NS6detail17trampoline_kernelINS0_14default_configENS1_35radix_sort_onesweep_config_selectorIalEEZZNS1_29radix_sort_onesweep_iterationIS3_Lb0EPaS7_N6thrust23THRUST_200600_302600_NS10device_ptrIlEESB_jNS0_19identity_decomposerENS1_16block_id_wrapperIjLb0EEEEE10hipError_tT1_PNSt15iterator_traitsISG_E10value_typeET2_T3_PNSH_ISM_E10value_typeET4_T5_PSR_SS_PNS1_23onesweep_lookback_stateEbbT6_jjT7_P12ihipStream_tbENKUlT_T0_SG_SL_E_clIS7_S7_SB_PlEEDaSZ_S10_SG_SL_EUlSZ_E_NS1_11comp_targetILNS1_3genE6ELNS1_11target_archE950ELNS1_3gpuE13ELNS1_3repE0EEENS1_47radix_sort_onesweep_sort_config_static_selectorELNS0_4arch9wavefront6targetE1EEEvSG_
	.globl	_ZN7rocprim17ROCPRIM_400000_NS6detail17trampoline_kernelINS0_14default_configENS1_35radix_sort_onesweep_config_selectorIalEEZZNS1_29radix_sort_onesweep_iterationIS3_Lb0EPaS7_N6thrust23THRUST_200600_302600_NS10device_ptrIlEESB_jNS0_19identity_decomposerENS1_16block_id_wrapperIjLb0EEEEE10hipError_tT1_PNSt15iterator_traitsISG_E10value_typeET2_T3_PNSH_ISM_E10value_typeET4_T5_PSR_SS_PNS1_23onesweep_lookback_stateEbbT6_jjT7_P12ihipStream_tbENKUlT_T0_SG_SL_E_clIS7_S7_SB_PlEEDaSZ_S10_SG_SL_EUlSZ_E_NS1_11comp_targetILNS1_3genE6ELNS1_11target_archE950ELNS1_3gpuE13ELNS1_3repE0EEENS1_47radix_sort_onesweep_sort_config_static_selectorELNS0_4arch9wavefront6targetE1EEEvSG_
	.p2align	8
	.type	_ZN7rocprim17ROCPRIM_400000_NS6detail17trampoline_kernelINS0_14default_configENS1_35radix_sort_onesweep_config_selectorIalEEZZNS1_29radix_sort_onesweep_iterationIS3_Lb0EPaS7_N6thrust23THRUST_200600_302600_NS10device_ptrIlEESB_jNS0_19identity_decomposerENS1_16block_id_wrapperIjLb0EEEEE10hipError_tT1_PNSt15iterator_traitsISG_E10value_typeET2_T3_PNSH_ISM_E10value_typeET4_T5_PSR_SS_PNS1_23onesweep_lookback_stateEbbT6_jjT7_P12ihipStream_tbENKUlT_T0_SG_SL_E_clIS7_S7_SB_PlEEDaSZ_S10_SG_SL_EUlSZ_E_NS1_11comp_targetILNS1_3genE6ELNS1_11target_archE950ELNS1_3gpuE13ELNS1_3repE0EEENS1_47radix_sort_onesweep_sort_config_static_selectorELNS0_4arch9wavefront6targetE1EEEvSG_,@function
_ZN7rocprim17ROCPRIM_400000_NS6detail17trampoline_kernelINS0_14default_configENS1_35radix_sort_onesweep_config_selectorIalEEZZNS1_29radix_sort_onesweep_iterationIS3_Lb0EPaS7_N6thrust23THRUST_200600_302600_NS10device_ptrIlEESB_jNS0_19identity_decomposerENS1_16block_id_wrapperIjLb0EEEEE10hipError_tT1_PNSt15iterator_traitsISG_E10value_typeET2_T3_PNSH_ISM_E10value_typeET4_T5_PSR_SS_PNS1_23onesweep_lookback_stateEbbT6_jjT7_P12ihipStream_tbENKUlT_T0_SG_SL_E_clIS7_S7_SB_PlEEDaSZ_S10_SG_SL_EUlSZ_E_NS1_11comp_targetILNS1_3genE6ELNS1_11target_archE950ELNS1_3gpuE13ELNS1_3repE0EEENS1_47radix_sort_onesweep_sort_config_static_selectorELNS0_4arch9wavefront6targetE1EEEvSG_: ; @_ZN7rocprim17ROCPRIM_400000_NS6detail17trampoline_kernelINS0_14default_configENS1_35radix_sort_onesweep_config_selectorIalEEZZNS1_29radix_sort_onesweep_iterationIS3_Lb0EPaS7_N6thrust23THRUST_200600_302600_NS10device_ptrIlEESB_jNS0_19identity_decomposerENS1_16block_id_wrapperIjLb0EEEEE10hipError_tT1_PNSt15iterator_traitsISG_E10value_typeET2_T3_PNSH_ISM_E10value_typeET4_T5_PSR_SS_PNS1_23onesweep_lookback_stateEbbT6_jjT7_P12ihipStream_tbENKUlT_T0_SG_SL_E_clIS7_S7_SB_PlEEDaSZ_S10_SG_SL_EUlSZ_E_NS1_11comp_targetILNS1_3genE6ELNS1_11target_archE950ELNS1_3gpuE13ELNS1_3repE0EEENS1_47radix_sort_onesweep_sort_config_static_selectorELNS0_4arch9wavefront6targetE1EEEvSG_
; %bb.0:
	.section	.rodata,"a",@progbits
	.p2align	6, 0x0
	.amdhsa_kernel _ZN7rocprim17ROCPRIM_400000_NS6detail17trampoline_kernelINS0_14default_configENS1_35radix_sort_onesweep_config_selectorIalEEZZNS1_29radix_sort_onesweep_iterationIS3_Lb0EPaS7_N6thrust23THRUST_200600_302600_NS10device_ptrIlEESB_jNS0_19identity_decomposerENS1_16block_id_wrapperIjLb0EEEEE10hipError_tT1_PNSt15iterator_traitsISG_E10value_typeET2_T3_PNSH_ISM_E10value_typeET4_T5_PSR_SS_PNS1_23onesweep_lookback_stateEbbT6_jjT7_P12ihipStream_tbENKUlT_T0_SG_SL_E_clIS7_S7_SB_PlEEDaSZ_S10_SG_SL_EUlSZ_E_NS1_11comp_targetILNS1_3genE6ELNS1_11target_archE950ELNS1_3gpuE13ELNS1_3repE0EEENS1_47radix_sort_onesweep_sort_config_static_selectorELNS0_4arch9wavefront6targetE1EEEvSG_
		.amdhsa_group_segment_fixed_size 0
		.amdhsa_private_segment_fixed_size 0
		.amdhsa_kernarg_size 88
		.amdhsa_user_sgpr_count 6
		.amdhsa_user_sgpr_private_segment_buffer 1
		.amdhsa_user_sgpr_dispatch_ptr 0
		.amdhsa_user_sgpr_queue_ptr 0
		.amdhsa_user_sgpr_kernarg_segment_ptr 1
		.amdhsa_user_sgpr_dispatch_id 0
		.amdhsa_user_sgpr_flat_scratch_init 0
		.amdhsa_user_sgpr_private_segment_size 0
		.amdhsa_uses_dynamic_stack 0
		.amdhsa_system_sgpr_private_segment_wavefront_offset 0
		.amdhsa_system_sgpr_workgroup_id_x 1
		.amdhsa_system_sgpr_workgroup_id_y 0
		.amdhsa_system_sgpr_workgroup_id_z 0
		.amdhsa_system_sgpr_workgroup_info 0
		.amdhsa_system_vgpr_workitem_id 0
		.amdhsa_next_free_vgpr 1
		.amdhsa_next_free_sgpr 0
		.amdhsa_reserve_vcc 0
		.amdhsa_reserve_flat_scratch 0
		.amdhsa_float_round_mode_32 0
		.amdhsa_float_round_mode_16_64 0
		.amdhsa_float_denorm_mode_32 3
		.amdhsa_float_denorm_mode_16_64 3
		.amdhsa_dx10_clamp 1
		.amdhsa_ieee_mode 1
		.amdhsa_fp16_overflow 0
		.amdhsa_exception_fp_ieee_invalid_op 0
		.amdhsa_exception_fp_denorm_src 0
		.amdhsa_exception_fp_ieee_div_zero 0
		.amdhsa_exception_fp_ieee_overflow 0
		.amdhsa_exception_fp_ieee_underflow 0
		.amdhsa_exception_fp_ieee_inexact 0
		.amdhsa_exception_int_div_zero 0
	.end_amdhsa_kernel
	.section	.text._ZN7rocprim17ROCPRIM_400000_NS6detail17trampoline_kernelINS0_14default_configENS1_35radix_sort_onesweep_config_selectorIalEEZZNS1_29radix_sort_onesweep_iterationIS3_Lb0EPaS7_N6thrust23THRUST_200600_302600_NS10device_ptrIlEESB_jNS0_19identity_decomposerENS1_16block_id_wrapperIjLb0EEEEE10hipError_tT1_PNSt15iterator_traitsISG_E10value_typeET2_T3_PNSH_ISM_E10value_typeET4_T5_PSR_SS_PNS1_23onesweep_lookback_stateEbbT6_jjT7_P12ihipStream_tbENKUlT_T0_SG_SL_E_clIS7_S7_SB_PlEEDaSZ_S10_SG_SL_EUlSZ_E_NS1_11comp_targetILNS1_3genE6ELNS1_11target_archE950ELNS1_3gpuE13ELNS1_3repE0EEENS1_47radix_sort_onesweep_sort_config_static_selectorELNS0_4arch9wavefront6targetE1EEEvSG_,"axG",@progbits,_ZN7rocprim17ROCPRIM_400000_NS6detail17trampoline_kernelINS0_14default_configENS1_35radix_sort_onesweep_config_selectorIalEEZZNS1_29radix_sort_onesweep_iterationIS3_Lb0EPaS7_N6thrust23THRUST_200600_302600_NS10device_ptrIlEESB_jNS0_19identity_decomposerENS1_16block_id_wrapperIjLb0EEEEE10hipError_tT1_PNSt15iterator_traitsISG_E10value_typeET2_T3_PNSH_ISM_E10value_typeET4_T5_PSR_SS_PNS1_23onesweep_lookback_stateEbbT6_jjT7_P12ihipStream_tbENKUlT_T0_SG_SL_E_clIS7_S7_SB_PlEEDaSZ_S10_SG_SL_EUlSZ_E_NS1_11comp_targetILNS1_3genE6ELNS1_11target_archE950ELNS1_3gpuE13ELNS1_3repE0EEENS1_47radix_sort_onesweep_sort_config_static_selectorELNS0_4arch9wavefront6targetE1EEEvSG_,comdat
.Lfunc_end637:
	.size	_ZN7rocprim17ROCPRIM_400000_NS6detail17trampoline_kernelINS0_14default_configENS1_35radix_sort_onesweep_config_selectorIalEEZZNS1_29radix_sort_onesweep_iterationIS3_Lb0EPaS7_N6thrust23THRUST_200600_302600_NS10device_ptrIlEESB_jNS0_19identity_decomposerENS1_16block_id_wrapperIjLb0EEEEE10hipError_tT1_PNSt15iterator_traitsISG_E10value_typeET2_T3_PNSH_ISM_E10value_typeET4_T5_PSR_SS_PNS1_23onesweep_lookback_stateEbbT6_jjT7_P12ihipStream_tbENKUlT_T0_SG_SL_E_clIS7_S7_SB_PlEEDaSZ_S10_SG_SL_EUlSZ_E_NS1_11comp_targetILNS1_3genE6ELNS1_11target_archE950ELNS1_3gpuE13ELNS1_3repE0EEENS1_47radix_sort_onesweep_sort_config_static_selectorELNS0_4arch9wavefront6targetE1EEEvSG_, .Lfunc_end637-_ZN7rocprim17ROCPRIM_400000_NS6detail17trampoline_kernelINS0_14default_configENS1_35radix_sort_onesweep_config_selectorIalEEZZNS1_29radix_sort_onesweep_iterationIS3_Lb0EPaS7_N6thrust23THRUST_200600_302600_NS10device_ptrIlEESB_jNS0_19identity_decomposerENS1_16block_id_wrapperIjLb0EEEEE10hipError_tT1_PNSt15iterator_traitsISG_E10value_typeET2_T3_PNSH_ISM_E10value_typeET4_T5_PSR_SS_PNS1_23onesweep_lookback_stateEbbT6_jjT7_P12ihipStream_tbENKUlT_T0_SG_SL_E_clIS7_S7_SB_PlEEDaSZ_S10_SG_SL_EUlSZ_E_NS1_11comp_targetILNS1_3genE6ELNS1_11target_archE950ELNS1_3gpuE13ELNS1_3repE0EEENS1_47radix_sort_onesweep_sort_config_static_selectorELNS0_4arch9wavefront6targetE1EEEvSG_
                                        ; -- End function
	.set _ZN7rocprim17ROCPRIM_400000_NS6detail17trampoline_kernelINS0_14default_configENS1_35radix_sort_onesweep_config_selectorIalEEZZNS1_29radix_sort_onesweep_iterationIS3_Lb0EPaS7_N6thrust23THRUST_200600_302600_NS10device_ptrIlEESB_jNS0_19identity_decomposerENS1_16block_id_wrapperIjLb0EEEEE10hipError_tT1_PNSt15iterator_traitsISG_E10value_typeET2_T3_PNSH_ISM_E10value_typeET4_T5_PSR_SS_PNS1_23onesweep_lookback_stateEbbT6_jjT7_P12ihipStream_tbENKUlT_T0_SG_SL_E_clIS7_S7_SB_PlEEDaSZ_S10_SG_SL_EUlSZ_E_NS1_11comp_targetILNS1_3genE6ELNS1_11target_archE950ELNS1_3gpuE13ELNS1_3repE0EEENS1_47radix_sort_onesweep_sort_config_static_selectorELNS0_4arch9wavefront6targetE1EEEvSG_.num_vgpr, 0
	.set _ZN7rocprim17ROCPRIM_400000_NS6detail17trampoline_kernelINS0_14default_configENS1_35radix_sort_onesweep_config_selectorIalEEZZNS1_29radix_sort_onesweep_iterationIS3_Lb0EPaS7_N6thrust23THRUST_200600_302600_NS10device_ptrIlEESB_jNS0_19identity_decomposerENS1_16block_id_wrapperIjLb0EEEEE10hipError_tT1_PNSt15iterator_traitsISG_E10value_typeET2_T3_PNSH_ISM_E10value_typeET4_T5_PSR_SS_PNS1_23onesweep_lookback_stateEbbT6_jjT7_P12ihipStream_tbENKUlT_T0_SG_SL_E_clIS7_S7_SB_PlEEDaSZ_S10_SG_SL_EUlSZ_E_NS1_11comp_targetILNS1_3genE6ELNS1_11target_archE950ELNS1_3gpuE13ELNS1_3repE0EEENS1_47radix_sort_onesweep_sort_config_static_selectorELNS0_4arch9wavefront6targetE1EEEvSG_.num_agpr, 0
	.set _ZN7rocprim17ROCPRIM_400000_NS6detail17trampoline_kernelINS0_14default_configENS1_35radix_sort_onesweep_config_selectorIalEEZZNS1_29radix_sort_onesweep_iterationIS3_Lb0EPaS7_N6thrust23THRUST_200600_302600_NS10device_ptrIlEESB_jNS0_19identity_decomposerENS1_16block_id_wrapperIjLb0EEEEE10hipError_tT1_PNSt15iterator_traitsISG_E10value_typeET2_T3_PNSH_ISM_E10value_typeET4_T5_PSR_SS_PNS1_23onesweep_lookback_stateEbbT6_jjT7_P12ihipStream_tbENKUlT_T0_SG_SL_E_clIS7_S7_SB_PlEEDaSZ_S10_SG_SL_EUlSZ_E_NS1_11comp_targetILNS1_3genE6ELNS1_11target_archE950ELNS1_3gpuE13ELNS1_3repE0EEENS1_47radix_sort_onesweep_sort_config_static_selectorELNS0_4arch9wavefront6targetE1EEEvSG_.numbered_sgpr, 0
	.set _ZN7rocprim17ROCPRIM_400000_NS6detail17trampoline_kernelINS0_14default_configENS1_35radix_sort_onesweep_config_selectorIalEEZZNS1_29radix_sort_onesweep_iterationIS3_Lb0EPaS7_N6thrust23THRUST_200600_302600_NS10device_ptrIlEESB_jNS0_19identity_decomposerENS1_16block_id_wrapperIjLb0EEEEE10hipError_tT1_PNSt15iterator_traitsISG_E10value_typeET2_T3_PNSH_ISM_E10value_typeET4_T5_PSR_SS_PNS1_23onesweep_lookback_stateEbbT6_jjT7_P12ihipStream_tbENKUlT_T0_SG_SL_E_clIS7_S7_SB_PlEEDaSZ_S10_SG_SL_EUlSZ_E_NS1_11comp_targetILNS1_3genE6ELNS1_11target_archE950ELNS1_3gpuE13ELNS1_3repE0EEENS1_47radix_sort_onesweep_sort_config_static_selectorELNS0_4arch9wavefront6targetE1EEEvSG_.num_named_barrier, 0
	.set _ZN7rocprim17ROCPRIM_400000_NS6detail17trampoline_kernelINS0_14default_configENS1_35radix_sort_onesweep_config_selectorIalEEZZNS1_29radix_sort_onesweep_iterationIS3_Lb0EPaS7_N6thrust23THRUST_200600_302600_NS10device_ptrIlEESB_jNS0_19identity_decomposerENS1_16block_id_wrapperIjLb0EEEEE10hipError_tT1_PNSt15iterator_traitsISG_E10value_typeET2_T3_PNSH_ISM_E10value_typeET4_T5_PSR_SS_PNS1_23onesweep_lookback_stateEbbT6_jjT7_P12ihipStream_tbENKUlT_T0_SG_SL_E_clIS7_S7_SB_PlEEDaSZ_S10_SG_SL_EUlSZ_E_NS1_11comp_targetILNS1_3genE6ELNS1_11target_archE950ELNS1_3gpuE13ELNS1_3repE0EEENS1_47radix_sort_onesweep_sort_config_static_selectorELNS0_4arch9wavefront6targetE1EEEvSG_.private_seg_size, 0
	.set _ZN7rocprim17ROCPRIM_400000_NS6detail17trampoline_kernelINS0_14default_configENS1_35radix_sort_onesweep_config_selectorIalEEZZNS1_29radix_sort_onesweep_iterationIS3_Lb0EPaS7_N6thrust23THRUST_200600_302600_NS10device_ptrIlEESB_jNS0_19identity_decomposerENS1_16block_id_wrapperIjLb0EEEEE10hipError_tT1_PNSt15iterator_traitsISG_E10value_typeET2_T3_PNSH_ISM_E10value_typeET4_T5_PSR_SS_PNS1_23onesweep_lookback_stateEbbT6_jjT7_P12ihipStream_tbENKUlT_T0_SG_SL_E_clIS7_S7_SB_PlEEDaSZ_S10_SG_SL_EUlSZ_E_NS1_11comp_targetILNS1_3genE6ELNS1_11target_archE950ELNS1_3gpuE13ELNS1_3repE0EEENS1_47radix_sort_onesweep_sort_config_static_selectorELNS0_4arch9wavefront6targetE1EEEvSG_.uses_vcc, 0
	.set _ZN7rocprim17ROCPRIM_400000_NS6detail17trampoline_kernelINS0_14default_configENS1_35radix_sort_onesweep_config_selectorIalEEZZNS1_29radix_sort_onesweep_iterationIS3_Lb0EPaS7_N6thrust23THRUST_200600_302600_NS10device_ptrIlEESB_jNS0_19identity_decomposerENS1_16block_id_wrapperIjLb0EEEEE10hipError_tT1_PNSt15iterator_traitsISG_E10value_typeET2_T3_PNSH_ISM_E10value_typeET4_T5_PSR_SS_PNS1_23onesweep_lookback_stateEbbT6_jjT7_P12ihipStream_tbENKUlT_T0_SG_SL_E_clIS7_S7_SB_PlEEDaSZ_S10_SG_SL_EUlSZ_E_NS1_11comp_targetILNS1_3genE6ELNS1_11target_archE950ELNS1_3gpuE13ELNS1_3repE0EEENS1_47radix_sort_onesweep_sort_config_static_selectorELNS0_4arch9wavefront6targetE1EEEvSG_.uses_flat_scratch, 0
	.set _ZN7rocprim17ROCPRIM_400000_NS6detail17trampoline_kernelINS0_14default_configENS1_35radix_sort_onesweep_config_selectorIalEEZZNS1_29radix_sort_onesweep_iterationIS3_Lb0EPaS7_N6thrust23THRUST_200600_302600_NS10device_ptrIlEESB_jNS0_19identity_decomposerENS1_16block_id_wrapperIjLb0EEEEE10hipError_tT1_PNSt15iterator_traitsISG_E10value_typeET2_T3_PNSH_ISM_E10value_typeET4_T5_PSR_SS_PNS1_23onesweep_lookback_stateEbbT6_jjT7_P12ihipStream_tbENKUlT_T0_SG_SL_E_clIS7_S7_SB_PlEEDaSZ_S10_SG_SL_EUlSZ_E_NS1_11comp_targetILNS1_3genE6ELNS1_11target_archE950ELNS1_3gpuE13ELNS1_3repE0EEENS1_47radix_sort_onesweep_sort_config_static_selectorELNS0_4arch9wavefront6targetE1EEEvSG_.has_dyn_sized_stack, 0
	.set _ZN7rocprim17ROCPRIM_400000_NS6detail17trampoline_kernelINS0_14default_configENS1_35radix_sort_onesweep_config_selectorIalEEZZNS1_29radix_sort_onesweep_iterationIS3_Lb0EPaS7_N6thrust23THRUST_200600_302600_NS10device_ptrIlEESB_jNS0_19identity_decomposerENS1_16block_id_wrapperIjLb0EEEEE10hipError_tT1_PNSt15iterator_traitsISG_E10value_typeET2_T3_PNSH_ISM_E10value_typeET4_T5_PSR_SS_PNS1_23onesweep_lookback_stateEbbT6_jjT7_P12ihipStream_tbENKUlT_T0_SG_SL_E_clIS7_S7_SB_PlEEDaSZ_S10_SG_SL_EUlSZ_E_NS1_11comp_targetILNS1_3genE6ELNS1_11target_archE950ELNS1_3gpuE13ELNS1_3repE0EEENS1_47radix_sort_onesweep_sort_config_static_selectorELNS0_4arch9wavefront6targetE1EEEvSG_.has_recursion, 0
	.set _ZN7rocprim17ROCPRIM_400000_NS6detail17trampoline_kernelINS0_14default_configENS1_35radix_sort_onesweep_config_selectorIalEEZZNS1_29radix_sort_onesweep_iterationIS3_Lb0EPaS7_N6thrust23THRUST_200600_302600_NS10device_ptrIlEESB_jNS0_19identity_decomposerENS1_16block_id_wrapperIjLb0EEEEE10hipError_tT1_PNSt15iterator_traitsISG_E10value_typeET2_T3_PNSH_ISM_E10value_typeET4_T5_PSR_SS_PNS1_23onesweep_lookback_stateEbbT6_jjT7_P12ihipStream_tbENKUlT_T0_SG_SL_E_clIS7_S7_SB_PlEEDaSZ_S10_SG_SL_EUlSZ_E_NS1_11comp_targetILNS1_3genE6ELNS1_11target_archE950ELNS1_3gpuE13ELNS1_3repE0EEENS1_47radix_sort_onesweep_sort_config_static_selectorELNS0_4arch9wavefront6targetE1EEEvSG_.has_indirect_call, 0
	.section	.AMDGPU.csdata,"",@progbits
; Kernel info:
; codeLenInByte = 0
; TotalNumSgprs: 4
; NumVgprs: 0
; ScratchSize: 0
; MemoryBound: 0
; FloatMode: 240
; IeeeMode: 1
; LDSByteSize: 0 bytes/workgroup (compile time only)
; SGPRBlocks: 0
; VGPRBlocks: 0
; NumSGPRsForWavesPerEU: 4
; NumVGPRsForWavesPerEU: 1
; Occupancy: 10
; WaveLimiterHint : 0
; COMPUTE_PGM_RSRC2:SCRATCH_EN: 0
; COMPUTE_PGM_RSRC2:USER_SGPR: 6
; COMPUTE_PGM_RSRC2:TRAP_HANDLER: 0
; COMPUTE_PGM_RSRC2:TGID_X_EN: 1
; COMPUTE_PGM_RSRC2:TGID_Y_EN: 0
; COMPUTE_PGM_RSRC2:TGID_Z_EN: 0
; COMPUTE_PGM_RSRC2:TIDIG_COMP_CNT: 0
	.section	.text._ZN7rocprim17ROCPRIM_400000_NS6detail17trampoline_kernelINS0_14default_configENS1_35radix_sort_onesweep_config_selectorIalEEZZNS1_29radix_sort_onesweep_iterationIS3_Lb0EPaS7_N6thrust23THRUST_200600_302600_NS10device_ptrIlEESB_jNS0_19identity_decomposerENS1_16block_id_wrapperIjLb0EEEEE10hipError_tT1_PNSt15iterator_traitsISG_E10value_typeET2_T3_PNSH_ISM_E10value_typeET4_T5_PSR_SS_PNS1_23onesweep_lookback_stateEbbT6_jjT7_P12ihipStream_tbENKUlT_T0_SG_SL_E_clIS7_S7_SB_PlEEDaSZ_S10_SG_SL_EUlSZ_E_NS1_11comp_targetILNS1_3genE5ELNS1_11target_archE942ELNS1_3gpuE9ELNS1_3repE0EEENS1_47radix_sort_onesweep_sort_config_static_selectorELNS0_4arch9wavefront6targetE1EEEvSG_,"axG",@progbits,_ZN7rocprim17ROCPRIM_400000_NS6detail17trampoline_kernelINS0_14default_configENS1_35radix_sort_onesweep_config_selectorIalEEZZNS1_29radix_sort_onesweep_iterationIS3_Lb0EPaS7_N6thrust23THRUST_200600_302600_NS10device_ptrIlEESB_jNS0_19identity_decomposerENS1_16block_id_wrapperIjLb0EEEEE10hipError_tT1_PNSt15iterator_traitsISG_E10value_typeET2_T3_PNSH_ISM_E10value_typeET4_T5_PSR_SS_PNS1_23onesweep_lookback_stateEbbT6_jjT7_P12ihipStream_tbENKUlT_T0_SG_SL_E_clIS7_S7_SB_PlEEDaSZ_S10_SG_SL_EUlSZ_E_NS1_11comp_targetILNS1_3genE5ELNS1_11target_archE942ELNS1_3gpuE9ELNS1_3repE0EEENS1_47radix_sort_onesweep_sort_config_static_selectorELNS0_4arch9wavefront6targetE1EEEvSG_,comdat
	.protected	_ZN7rocprim17ROCPRIM_400000_NS6detail17trampoline_kernelINS0_14default_configENS1_35radix_sort_onesweep_config_selectorIalEEZZNS1_29radix_sort_onesweep_iterationIS3_Lb0EPaS7_N6thrust23THRUST_200600_302600_NS10device_ptrIlEESB_jNS0_19identity_decomposerENS1_16block_id_wrapperIjLb0EEEEE10hipError_tT1_PNSt15iterator_traitsISG_E10value_typeET2_T3_PNSH_ISM_E10value_typeET4_T5_PSR_SS_PNS1_23onesweep_lookback_stateEbbT6_jjT7_P12ihipStream_tbENKUlT_T0_SG_SL_E_clIS7_S7_SB_PlEEDaSZ_S10_SG_SL_EUlSZ_E_NS1_11comp_targetILNS1_3genE5ELNS1_11target_archE942ELNS1_3gpuE9ELNS1_3repE0EEENS1_47radix_sort_onesweep_sort_config_static_selectorELNS0_4arch9wavefront6targetE1EEEvSG_ ; -- Begin function _ZN7rocprim17ROCPRIM_400000_NS6detail17trampoline_kernelINS0_14default_configENS1_35radix_sort_onesweep_config_selectorIalEEZZNS1_29radix_sort_onesweep_iterationIS3_Lb0EPaS7_N6thrust23THRUST_200600_302600_NS10device_ptrIlEESB_jNS0_19identity_decomposerENS1_16block_id_wrapperIjLb0EEEEE10hipError_tT1_PNSt15iterator_traitsISG_E10value_typeET2_T3_PNSH_ISM_E10value_typeET4_T5_PSR_SS_PNS1_23onesweep_lookback_stateEbbT6_jjT7_P12ihipStream_tbENKUlT_T0_SG_SL_E_clIS7_S7_SB_PlEEDaSZ_S10_SG_SL_EUlSZ_E_NS1_11comp_targetILNS1_3genE5ELNS1_11target_archE942ELNS1_3gpuE9ELNS1_3repE0EEENS1_47radix_sort_onesweep_sort_config_static_selectorELNS0_4arch9wavefront6targetE1EEEvSG_
	.globl	_ZN7rocprim17ROCPRIM_400000_NS6detail17trampoline_kernelINS0_14default_configENS1_35radix_sort_onesweep_config_selectorIalEEZZNS1_29radix_sort_onesweep_iterationIS3_Lb0EPaS7_N6thrust23THRUST_200600_302600_NS10device_ptrIlEESB_jNS0_19identity_decomposerENS1_16block_id_wrapperIjLb0EEEEE10hipError_tT1_PNSt15iterator_traitsISG_E10value_typeET2_T3_PNSH_ISM_E10value_typeET4_T5_PSR_SS_PNS1_23onesweep_lookback_stateEbbT6_jjT7_P12ihipStream_tbENKUlT_T0_SG_SL_E_clIS7_S7_SB_PlEEDaSZ_S10_SG_SL_EUlSZ_E_NS1_11comp_targetILNS1_3genE5ELNS1_11target_archE942ELNS1_3gpuE9ELNS1_3repE0EEENS1_47radix_sort_onesweep_sort_config_static_selectorELNS0_4arch9wavefront6targetE1EEEvSG_
	.p2align	8
	.type	_ZN7rocprim17ROCPRIM_400000_NS6detail17trampoline_kernelINS0_14default_configENS1_35radix_sort_onesweep_config_selectorIalEEZZNS1_29radix_sort_onesweep_iterationIS3_Lb0EPaS7_N6thrust23THRUST_200600_302600_NS10device_ptrIlEESB_jNS0_19identity_decomposerENS1_16block_id_wrapperIjLb0EEEEE10hipError_tT1_PNSt15iterator_traitsISG_E10value_typeET2_T3_PNSH_ISM_E10value_typeET4_T5_PSR_SS_PNS1_23onesweep_lookback_stateEbbT6_jjT7_P12ihipStream_tbENKUlT_T0_SG_SL_E_clIS7_S7_SB_PlEEDaSZ_S10_SG_SL_EUlSZ_E_NS1_11comp_targetILNS1_3genE5ELNS1_11target_archE942ELNS1_3gpuE9ELNS1_3repE0EEENS1_47radix_sort_onesweep_sort_config_static_selectorELNS0_4arch9wavefront6targetE1EEEvSG_,@function
_ZN7rocprim17ROCPRIM_400000_NS6detail17trampoline_kernelINS0_14default_configENS1_35radix_sort_onesweep_config_selectorIalEEZZNS1_29radix_sort_onesweep_iterationIS3_Lb0EPaS7_N6thrust23THRUST_200600_302600_NS10device_ptrIlEESB_jNS0_19identity_decomposerENS1_16block_id_wrapperIjLb0EEEEE10hipError_tT1_PNSt15iterator_traitsISG_E10value_typeET2_T3_PNSH_ISM_E10value_typeET4_T5_PSR_SS_PNS1_23onesweep_lookback_stateEbbT6_jjT7_P12ihipStream_tbENKUlT_T0_SG_SL_E_clIS7_S7_SB_PlEEDaSZ_S10_SG_SL_EUlSZ_E_NS1_11comp_targetILNS1_3genE5ELNS1_11target_archE942ELNS1_3gpuE9ELNS1_3repE0EEENS1_47radix_sort_onesweep_sort_config_static_selectorELNS0_4arch9wavefront6targetE1EEEvSG_: ; @_ZN7rocprim17ROCPRIM_400000_NS6detail17trampoline_kernelINS0_14default_configENS1_35radix_sort_onesweep_config_selectorIalEEZZNS1_29radix_sort_onesweep_iterationIS3_Lb0EPaS7_N6thrust23THRUST_200600_302600_NS10device_ptrIlEESB_jNS0_19identity_decomposerENS1_16block_id_wrapperIjLb0EEEEE10hipError_tT1_PNSt15iterator_traitsISG_E10value_typeET2_T3_PNSH_ISM_E10value_typeET4_T5_PSR_SS_PNS1_23onesweep_lookback_stateEbbT6_jjT7_P12ihipStream_tbENKUlT_T0_SG_SL_E_clIS7_S7_SB_PlEEDaSZ_S10_SG_SL_EUlSZ_E_NS1_11comp_targetILNS1_3genE5ELNS1_11target_archE942ELNS1_3gpuE9ELNS1_3repE0EEENS1_47radix_sort_onesweep_sort_config_static_selectorELNS0_4arch9wavefront6targetE1EEEvSG_
; %bb.0:
	.section	.rodata,"a",@progbits
	.p2align	6, 0x0
	.amdhsa_kernel _ZN7rocprim17ROCPRIM_400000_NS6detail17trampoline_kernelINS0_14default_configENS1_35radix_sort_onesweep_config_selectorIalEEZZNS1_29radix_sort_onesweep_iterationIS3_Lb0EPaS7_N6thrust23THRUST_200600_302600_NS10device_ptrIlEESB_jNS0_19identity_decomposerENS1_16block_id_wrapperIjLb0EEEEE10hipError_tT1_PNSt15iterator_traitsISG_E10value_typeET2_T3_PNSH_ISM_E10value_typeET4_T5_PSR_SS_PNS1_23onesweep_lookback_stateEbbT6_jjT7_P12ihipStream_tbENKUlT_T0_SG_SL_E_clIS7_S7_SB_PlEEDaSZ_S10_SG_SL_EUlSZ_E_NS1_11comp_targetILNS1_3genE5ELNS1_11target_archE942ELNS1_3gpuE9ELNS1_3repE0EEENS1_47radix_sort_onesweep_sort_config_static_selectorELNS0_4arch9wavefront6targetE1EEEvSG_
		.amdhsa_group_segment_fixed_size 0
		.amdhsa_private_segment_fixed_size 0
		.amdhsa_kernarg_size 88
		.amdhsa_user_sgpr_count 6
		.amdhsa_user_sgpr_private_segment_buffer 1
		.amdhsa_user_sgpr_dispatch_ptr 0
		.amdhsa_user_sgpr_queue_ptr 0
		.amdhsa_user_sgpr_kernarg_segment_ptr 1
		.amdhsa_user_sgpr_dispatch_id 0
		.amdhsa_user_sgpr_flat_scratch_init 0
		.amdhsa_user_sgpr_private_segment_size 0
		.amdhsa_uses_dynamic_stack 0
		.amdhsa_system_sgpr_private_segment_wavefront_offset 0
		.amdhsa_system_sgpr_workgroup_id_x 1
		.amdhsa_system_sgpr_workgroup_id_y 0
		.amdhsa_system_sgpr_workgroup_id_z 0
		.amdhsa_system_sgpr_workgroup_info 0
		.amdhsa_system_vgpr_workitem_id 0
		.amdhsa_next_free_vgpr 1
		.amdhsa_next_free_sgpr 0
		.amdhsa_reserve_vcc 0
		.amdhsa_reserve_flat_scratch 0
		.amdhsa_float_round_mode_32 0
		.amdhsa_float_round_mode_16_64 0
		.amdhsa_float_denorm_mode_32 3
		.amdhsa_float_denorm_mode_16_64 3
		.amdhsa_dx10_clamp 1
		.amdhsa_ieee_mode 1
		.amdhsa_fp16_overflow 0
		.amdhsa_exception_fp_ieee_invalid_op 0
		.amdhsa_exception_fp_denorm_src 0
		.amdhsa_exception_fp_ieee_div_zero 0
		.amdhsa_exception_fp_ieee_overflow 0
		.amdhsa_exception_fp_ieee_underflow 0
		.amdhsa_exception_fp_ieee_inexact 0
		.amdhsa_exception_int_div_zero 0
	.end_amdhsa_kernel
	.section	.text._ZN7rocprim17ROCPRIM_400000_NS6detail17trampoline_kernelINS0_14default_configENS1_35radix_sort_onesweep_config_selectorIalEEZZNS1_29radix_sort_onesweep_iterationIS3_Lb0EPaS7_N6thrust23THRUST_200600_302600_NS10device_ptrIlEESB_jNS0_19identity_decomposerENS1_16block_id_wrapperIjLb0EEEEE10hipError_tT1_PNSt15iterator_traitsISG_E10value_typeET2_T3_PNSH_ISM_E10value_typeET4_T5_PSR_SS_PNS1_23onesweep_lookback_stateEbbT6_jjT7_P12ihipStream_tbENKUlT_T0_SG_SL_E_clIS7_S7_SB_PlEEDaSZ_S10_SG_SL_EUlSZ_E_NS1_11comp_targetILNS1_3genE5ELNS1_11target_archE942ELNS1_3gpuE9ELNS1_3repE0EEENS1_47radix_sort_onesweep_sort_config_static_selectorELNS0_4arch9wavefront6targetE1EEEvSG_,"axG",@progbits,_ZN7rocprim17ROCPRIM_400000_NS6detail17trampoline_kernelINS0_14default_configENS1_35radix_sort_onesweep_config_selectorIalEEZZNS1_29radix_sort_onesweep_iterationIS3_Lb0EPaS7_N6thrust23THRUST_200600_302600_NS10device_ptrIlEESB_jNS0_19identity_decomposerENS1_16block_id_wrapperIjLb0EEEEE10hipError_tT1_PNSt15iterator_traitsISG_E10value_typeET2_T3_PNSH_ISM_E10value_typeET4_T5_PSR_SS_PNS1_23onesweep_lookback_stateEbbT6_jjT7_P12ihipStream_tbENKUlT_T0_SG_SL_E_clIS7_S7_SB_PlEEDaSZ_S10_SG_SL_EUlSZ_E_NS1_11comp_targetILNS1_3genE5ELNS1_11target_archE942ELNS1_3gpuE9ELNS1_3repE0EEENS1_47radix_sort_onesweep_sort_config_static_selectorELNS0_4arch9wavefront6targetE1EEEvSG_,comdat
.Lfunc_end638:
	.size	_ZN7rocprim17ROCPRIM_400000_NS6detail17trampoline_kernelINS0_14default_configENS1_35radix_sort_onesweep_config_selectorIalEEZZNS1_29radix_sort_onesweep_iterationIS3_Lb0EPaS7_N6thrust23THRUST_200600_302600_NS10device_ptrIlEESB_jNS0_19identity_decomposerENS1_16block_id_wrapperIjLb0EEEEE10hipError_tT1_PNSt15iterator_traitsISG_E10value_typeET2_T3_PNSH_ISM_E10value_typeET4_T5_PSR_SS_PNS1_23onesweep_lookback_stateEbbT6_jjT7_P12ihipStream_tbENKUlT_T0_SG_SL_E_clIS7_S7_SB_PlEEDaSZ_S10_SG_SL_EUlSZ_E_NS1_11comp_targetILNS1_3genE5ELNS1_11target_archE942ELNS1_3gpuE9ELNS1_3repE0EEENS1_47radix_sort_onesweep_sort_config_static_selectorELNS0_4arch9wavefront6targetE1EEEvSG_, .Lfunc_end638-_ZN7rocprim17ROCPRIM_400000_NS6detail17trampoline_kernelINS0_14default_configENS1_35radix_sort_onesweep_config_selectorIalEEZZNS1_29radix_sort_onesweep_iterationIS3_Lb0EPaS7_N6thrust23THRUST_200600_302600_NS10device_ptrIlEESB_jNS0_19identity_decomposerENS1_16block_id_wrapperIjLb0EEEEE10hipError_tT1_PNSt15iterator_traitsISG_E10value_typeET2_T3_PNSH_ISM_E10value_typeET4_T5_PSR_SS_PNS1_23onesweep_lookback_stateEbbT6_jjT7_P12ihipStream_tbENKUlT_T0_SG_SL_E_clIS7_S7_SB_PlEEDaSZ_S10_SG_SL_EUlSZ_E_NS1_11comp_targetILNS1_3genE5ELNS1_11target_archE942ELNS1_3gpuE9ELNS1_3repE0EEENS1_47radix_sort_onesweep_sort_config_static_selectorELNS0_4arch9wavefront6targetE1EEEvSG_
                                        ; -- End function
	.set _ZN7rocprim17ROCPRIM_400000_NS6detail17trampoline_kernelINS0_14default_configENS1_35radix_sort_onesweep_config_selectorIalEEZZNS1_29radix_sort_onesweep_iterationIS3_Lb0EPaS7_N6thrust23THRUST_200600_302600_NS10device_ptrIlEESB_jNS0_19identity_decomposerENS1_16block_id_wrapperIjLb0EEEEE10hipError_tT1_PNSt15iterator_traitsISG_E10value_typeET2_T3_PNSH_ISM_E10value_typeET4_T5_PSR_SS_PNS1_23onesweep_lookback_stateEbbT6_jjT7_P12ihipStream_tbENKUlT_T0_SG_SL_E_clIS7_S7_SB_PlEEDaSZ_S10_SG_SL_EUlSZ_E_NS1_11comp_targetILNS1_3genE5ELNS1_11target_archE942ELNS1_3gpuE9ELNS1_3repE0EEENS1_47radix_sort_onesweep_sort_config_static_selectorELNS0_4arch9wavefront6targetE1EEEvSG_.num_vgpr, 0
	.set _ZN7rocprim17ROCPRIM_400000_NS6detail17trampoline_kernelINS0_14default_configENS1_35radix_sort_onesweep_config_selectorIalEEZZNS1_29radix_sort_onesweep_iterationIS3_Lb0EPaS7_N6thrust23THRUST_200600_302600_NS10device_ptrIlEESB_jNS0_19identity_decomposerENS1_16block_id_wrapperIjLb0EEEEE10hipError_tT1_PNSt15iterator_traitsISG_E10value_typeET2_T3_PNSH_ISM_E10value_typeET4_T5_PSR_SS_PNS1_23onesweep_lookback_stateEbbT6_jjT7_P12ihipStream_tbENKUlT_T0_SG_SL_E_clIS7_S7_SB_PlEEDaSZ_S10_SG_SL_EUlSZ_E_NS1_11comp_targetILNS1_3genE5ELNS1_11target_archE942ELNS1_3gpuE9ELNS1_3repE0EEENS1_47radix_sort_onesweep_sort_config_static_selectorELNS0_4arch9wavefront6targetE1EEEvSG_.num_agpr, 0
	.set _ZN7rocprim17ROCPRIM_400000_NS6detail17trampoline_kernelINS0_14default_configENS1_35radix_sort_onesweep_config_selectorIalEEZZNS1_29radix_sort_onesweep_iterationIS3_Lb0EPaS7_N6thrust23THRUST_200600_302600_NS10device_ptrIlEESB_jNS0_19identity_decomposerENS1_16block_id_wrapperIjLb0EEEEE10hipError_tT1_PNSt15iterator_traitsISG_E10value_typeET2_T3_PNSH_ISM_E10value_typeET4_T5_PSR_SS_PNS1_23onesweep_lookback_stateEbbT6_jjT7_P12ihipStream_tbENKUlT_T0_SG_SL_E_clIS7_S7_SB_PlEEDaSZ_S10_SG_SL_EUlSZ_E_NS1_11comp_targetILNS1_3genE5ELNS1_11target_archE942ELNS1_3gpuE9ELNS1_3repE0EEENS1_47radix_sort_onesweep_sort_config_static_selectorELNS0_4arch9wavefront6targetE1EEEvSG_.numbered_sgpr, 0
	.set _ZN7rocprim17ROCPRIM_400000_NS6detail17trampoline_kernelINS0_14default_configENS1_35radix_sort_onesweep_config_selectorIalEEZZNS1_29radix_sort_onesweep_iterationIS3_Lb0EPaS7_N6thrust23THRUST_200600_302600_NS10device_ptrIlEESB_jNS0_19identity_decomposerENS1_16block_id_wrapperIjLb0EEEEE10hipError_tT1_PNSt15iterator_traitsISG_E10value_typeET2_T3_PNSH_ISM_E10value_typeET4_T5_PSR_SS_PNS1_23onesweep_lookback_stateEbbT6_jjT7_P12ihipStream_tbENKUlT_T0_SG_SL_E_clIS7_S7_SB_PlEEDaSZ_S10_SG_SL_EUlSZ_E_NS1_11comp_targetILNS1_3genE5ELNS1_11target_archE942ELNS1_3gpuE9ELNS1_3repE0EEENS1_47radix_sort_onesweep_sort_config_static_selectorELNS0_4arch9wavefront6targetE1EEEvSG_.num_named_barrier, 0
	.set _ZN7rocprim17ROCPRIM_400000_NS6detail17trampoline_kernelINS0_14default_configENS1_35radix_sort_onesweep_config_selectorIalEEZZNS1_29radix_sort_onesweep_iterationIS3_Lb0EPaS7_N6thrust23THRUST_200600_302600_NS10device_ptrIlEESB_jNS0_19identity_decomposerENS1_16block_id_wrapperIjLb0EEEEE10hipError_tT1_PNSt15iterator_traitsISG_E10value_typeET2_T3_PNSH_ISM_E10value_typeET4_T5_PSR_SS_PNS1_23onesweep_lookback_stateEbbT6_jjT7_P12ihipStream_tbENKUlT_T0_SG_SL_E_clIS7_S7_SB_PlEEDaSZ_S10_SG_SL_EUlSZ_E_NS1_11comp_targetILNS1_3genE5ELNS1_11target_archE942ELNS1_3gpuE9ELNS1_3repE0EEENS1_47radix_sort_onesweep_sort_config_static_selectorELNS0_4arch9wavefront6targetE1EEEvSG_.private_seg_size, 0
	.set _ZN7rocprim17ROCPRIM_400000_NS6detail17trampoline_kernelINS0_14default_configENS1_35radix_sort_onesweep_config_selectorIalEEZZNS1_29radix_sort_onesweep_iterationIS3_Lb0EPaS7_N6thrust23THRUST_200600_302600_NS10device_ptrIlEESB_jNS0_19identity_decomposerENS1_16block_id_wrapperIjLb0EEEEE10hipError_tT1_PNSt15iterator_traitsISG_E10value_typeET2_T3_PNSH_ISM_E10value_typeET4_T5_PSR_SS_PNS1_23onesweep_lookback_stateEbbT6_jjT7_P12ihipStream_tbENKUlT_T0_SG_SL_E_clIS7_S7_SB_PlEEDaSZ_S10_SG_SL_EUlSZ_E_NS1_11comp_targetILNS1_3genE5ELNS1_11target_archE942ELNS1_3gpuE9ELNS1_3repE0EEENS1_47radix_sort_onesweep_sort_config_static_selectorELNS0_4arch9wavefront6targetE1EEEvSG_.uses_vcc, 0
	.set _ZN7rocprim17ROCPRIM_400000_NS6detail17trampoline_kernelINS0_14default_configENS1_35radix_sort_onesweep_config_selectorIalEEZZNS1_29radix_sort_onesweep_iterationIS3_Lb0EPaS7_N6thrust23THRUST_200600_302600_NS10device_ptrIlEESB_jNS0_19identity_decomposerENS1_16block_id_wrapperIjLb0EEEEE10hipError_tT1_PNSt15iterator_traitsISG_E10value_typeET2_T3_PNSH_ISM_E10value_typeET4_T5_PSR_SS_PNS1_23onesweep_lookback_stateEbbT6_jjT7_P12ihipStream_tbENKUlT_T0_SG_SL_E_clIS7_S7_SB_PlEEDaSZ_S10_SG_SL_EUlSZ_E_NS1_11comp_targetILNS1_3genE5ELNS1_11target_archE942ELNS1_3gpuE9ELNS1_3repE0EEENS1_47radix_sort_onesweep_sort_config_static_selectorELNS0_4arch9wavefront6targetE1EEEvSG_.uses_flat_scratch, 0
	.set _ZN7rocprim17ROCPRIM_400000_NS6detail17trampoline_kernelINS0_14default_configENS1_35radix_sort_onesweep_config_selectorIalEEZZNS1_29radix_sort_onesweep_iterationIS3_Lb0EPaS7_N6thrust23THRUST_200600_302600_NS10device_ptrIlEESB_jNS0_19identity_decomposerENS1_16block_id_wrapperIjLb0EEEEE10hipError_tT1_PNSt15iterator_traitsISG_E10value_typeET2_T3_PNSH_ISM_E10value_typeET4_T5_PSR_SS_PNS1_23onesweep_lookback_stateEbbT6_jjT7_P12ihipStream_tbENKUlT_T0_SG_SL_E_clIS7_S7_SB_PlEEDaSZ_S10_SG_SL_EUlSZ_E_NS1_11comp_targetILNS1_3genE5ELNS1_11target_archE942ELNS1_3gpuE9ELNS1_3repE0EEENS1_47radix_sort_onesweep_sort_config_static_selectorELNS0_4arch9wavefront6targetE1EEEvSG_.has_dyn_sized_stack, 0
	.set _ZN7rocprim17ROCPRIM_400000_NS6detail17trampoline_kernelINS0_14default_configENS1_35radix_sort_onesweep_config_selectorIalEEZZNS1_29radix_sort_onesweep_iterationIS3_Lb0EPaS7_N6thrust23THRUST_200600_302600_NS10device_ptrIlEESB_jNS0_19identity_decomposerENS1_16block_id_wrapperIjLb0EEEEE10hipError_tT1_PNSt15iterator_traitsISG_E10value_typeET2_T3_PNSH_ISM_E10value_typeET4_T5_PSR_SS_PNS1_23onesweep_lookback_stateEbbT6_jjT7_P12ihipStream_tbENKUlT_T0_SG_SL_E_clIS7_S7_SB_PlEEDaSZ_S10_SG_SL_EUlSZ_E_NS1_11comp_targetILNS1_3genE5ELNS1_11target_archE942ELNS1_3gpuE9ELNS1_3repE0EEENS1_47radix_sort_onesweep_sort_config_static_selectorELNS0_4arch9wavefront6targetE1EEEvSG_.has_recursion, 0
	.set _ZN7rocprim17ROCPRIM_400000_NS6detail17trampoline_kernelINS0_14default_configENS1_35radix_sort_onesweep_config_selectorIalEEZZNS1_29radix_sort_onesweep_iterationIS3_Lb0EPaS7_N6thrust23THRUST_200600_302600_NS10device_ptrIlEESB_jNS0_19identity_decomposerENS1_16block_id_wrapperIjLb0EEEEE10hipError_tT1_PNSt15iterator_traitsISG_E10value_typeET2_T3_PNSH_ISM_E10value_typeET4_T5_PSR_SS_PNS1_23onesweep_lookback_stateEbbT6_jjT7_P12ihipStream_tbENKUlT_T0_SG_SL_E_clIS7_S7_SB_PlEEDaSZ_S10_SG_SL_EUlSZ_E_NS1_11comp_targetILNS1_3genE5ELNS1_11target_archE942ELNS1_3gpuE9ELNS1_3repE0EEENS1_47radix_sort_onesweep_sort_config_static_selectorELNS0_4arch9wavefront6targetE1EEEvSG_.has_indirect_call, 0
	.section	.AMDGPU.csdata,"",@progbits
; Kernel info:
; codeLenInByte = 0
; TotalNumSgprs: 4
; NumVgprs: 0
; ScratchSize: 0
; MemoryBound: 0
; FloatMode: 240
; IeeeMode: 1
; LDSByteSize: 0 bytes/workgroup (compile time only)
; SGPRBlocks: 0
; VGPRBlocks: 0
; NumSGPRsForWavesPerEU: 4
; NumVGPRsForWavesPerEU: 1
; Occupancy: 10
; WaveLimiterHint : 0
; COMPUTE_PGM_RSRC2:SCRATCH_EN: 0
; COMPUTE_PGM_RSRC2:USER_SGPR: 6
; COMPUTE_PGM_RSRC2:TRAP_HANDLER: 0
; COMPUTE_PGM_RSRC2:TGID_X_EN: 1
; COMPUTE_PGM_RSRC2:TGID_Y_EN: 0
; COMPUTE_PGM_RSRC2:TGID_Z_EN: 0
; COMPUTE_PGM_RSRC2:TIDIG_COMP_CNT: 0
	.section	.text._ZN7rocprim17ROCPRIM_400000_NS6detail17trampoline_kernelINS0_14default_configENS1_35radix_sort_onesweep_config_selectorIalEEZZNS1_29radix_sort_onesweep_iterationIS3_Lb0EPaS7_N6thrust23THRUST_200600_302600_NS10device_ptrIlEESB_jNS0_19identity_decomposerENS1_16block_id_wrapperIjLb0EEEEE10hipError_tT1_PNSt15iterator_traitsISG_E10value_typeET2_T3_PNSH_ISM_E10value_typeET4_T5_PSR_SS_PNS1_23onesweep_lookback_stateEbbT6_jjT7_P12ihipStream_tbENKUlT_T0_SG_SL_E_clIS7_S7_SB_PlEEDaSZ_S10_SG_SL_EUlSZ_E_NS1_11comp_targetILNS1_3genE2ELNS1_11target_archE906ELNS1_3gpuE6ELNS1_3repE0EEENS1_47radix_sort_onesweep_sort_config_static_selectorELNS0_4arch9wavefront6targetE1EEEvSG_,"axG",@progbits,_ZN7rocprim17ROCPRIM_400000_NS6detail17trampoline_kernelINS0_14default_configENS1_35radix_sort_onesweep_config_selectorIalEEZZNS1_29radix_sort_onesweep_iterationIS3_Lb0EPaS7_N6thrust23THRUST_200600_302600_NS10device_ptrIlEESB_jNS0_19identity_decomposerENS1_16block_id_wrapperIjLb0EEEEE10hipError_tT1_PNSt15iterator_traitsISG_E10value_typeET2_T3_PNSH_ISM_E10value_typeET4_T5_PSR_SS_PNS1_23onesweep_lookback_stateEbbT6_jjT7_P12ihipStream_tbENKUlT_T0_SG_SL_E_clIS7_S7_SB_PlEEDaSZ_S10_SG_SL_EUlSZ_E_NS1_11comp_targetILNS1_3genE2ELNS1_11target_archE906ELNS1_3gpuE6ELNS1_3repE0EEENS1_47radix_sort_onesweep_sort_config_static_selectorELNS0_4arch9wavefront6targetE1EEEvSG_,comdat
	.protected	_ZN7rocprim17ROCPRIM_400000_NS6detail17trampoline_kernelINS0_14default_configENS1_35radix_sort_onesweep_config_selectorIalEEZZNS1_29radix_sort_onesweep_iterationIS3_Lb0EPaS7_N6thrust23THRUST_200600_302600_NS10device_ptrIlEESB_jNS0_19identity_decomposerENS1_16block_id_wrapperIjLb0EEEEE10hipError_tT1_PNSt15iterator_traitsISG_E10value_typeET2_T3_PNSH_ISM_E10value_typeET4_T5_PSR_SS_PNS1_23onesweep_lookback_stateEbbT6_jjT7_P12ihipStream_tbENKUlT_T0_SG_SL_E_clIS7_S7_SB_PlEEDaSZ_S10_SG_SL_EUlSZ_E_NS1_11comp_targetILNS1_3genE2ELNS1_11target_archE906ELNS1_3gpuE6ELNS1_3repE0EEENS1_47radix_sort_onesweep_sort_config_static_selectorELNS0_4arch9wavefront6targetE1EEEvSG_ ; -- Begin function _ZN7rocprim17ROCPRIM_400000_NS6detail17trampoline_kernelINS0_14default_configENS1_35radix_sort_onesweep_config_selectorIalEEZZNS1_29radix_sort_onesweep_iterationIS3_Lb0EPaS7_N6thrust23THRUST_200600_302600_NS10device_ptrIlEESB_jNS0_19identity_decomposerENS1_16block_id_wrapperIjLb0EEEEE10hipError_tT1_PNSt15iterator_traitsISG_E10value_typeET2_T3_PNSH_ISM_E10value_typeET4_T5_PSR_SS_PNS1_23onesweep_lookback_stateEbbT6_jjT7_P12ihipStream_tbENKUlT_T0_SG_SL_E_clIS7_S7_SB_PlEEDaSZ_S10_SG_SL_EUlSZ_E_NS1_11comp_targetILNS1_3genE2ELNS1_11target_archE906ELNS1_3gpuE6ELNS1_3repE0EEENS1_47radix_sort_onesweep_sort_config_static_selectorELNS0_4arch9wavefront6targetE1EEEvSG_
	.globl	_ZN7rocprim17ROCPRIM_400000_NS6detail17trampoline_kernelINS0_14default_configENS1_35radix_sort_onesweep_config_selectorIalEEZZNS1_29radix_sort_onesweep_iterationIS3_Lb0EPaS7_N6thrust23THRUST_200600_302600_NS10device_ptrIlEESB_jNS0_19identity_decomposerENS1_16block_id_wrapperIjLb0EEEEE10hipError_tT1_PNSt15iterator_traitsISG_E10value_typeET2_T3_PNSH_ISM_E10value_typeET4_T5_PSR_SS_PNS1_23onesweep_lookback_stateEbbT6_jjT7_P12ihipStream_tbENKUlT_T0_SG_SL_E_clIS7_S7_SB_PlEEDaSZ_S10_SG_SL_EUlSZ_E_NS1_11comp_targetILNS1_3genE2ELNS1_11target_archE906ELNS1_3gpuE6ELNS1_3repE0EEENS1_47radix_sort_onesweep_sort_config_static_selectorELNS0_4arch9wavefront6targetE1EEEvSG_
	.p2align	8
	.type	_ZN7rocprim17ROCPRIM_400000_NS6detail17trampoline_kernelINS0_14default_configENS1_35radix_sort_onesweep_config_selectorIalEEZZNS1_29radix_sort_onesweep_iterationIS3_Lb0EPaS7_N6thrust23THRUST_200600_302600_NS10device_ptrIlEESB_jNS0_19identity_decomposerENS1_16block_id_wrapperIjLb0EEEEE10hipError_tT1_PNSt15iterator_traitsISG_E10value_typeET2_T3_PNSH_ISM_E10value_typeET4_T5_PSR_SS_PNS1_23onesweep_lookback_stateEbbT6_jjT7_P12ihipStream_tbENKUlT_T0_SG_SL_E_clIS7_S7_SB_PlEEDaSZ_S10_SG_SL_EUlSZ_E_NS1_11comp_targetILNS1_3genE2ELNS1_11target_archE906ELNS1_3gpuE6ELNS1_3repE0EEENS1_47radix_sort_onesweep_sort_config_static_selectorELNS0_4arch9wavefront6targetE1EEEvSG_,@function
_ZN7rocprim17ROCPRIM_400000_NS6detail17trampoline_kernelINS0_14default_configENS1_35radix_sort_onesweep_config_selectorIalEEZZNS1_29radix_sort_onesweep_iterationIS3_Lb0EPaS7_N6thrust23THRUST_200600_302600_NS10device_ptrIlEESB_jNS0_19identity_decomposerENS1_16block_id_wrapperIjLb0EEEEE10hipError_tT1_PNSt15iterator_traitsISG_E10value_typeET2_T3_PNSH_ISM_E10value_typeET4_T5_PSR_SS_PNS1_23onesweep_lookback_stateEbbT6_jjT7_P12ihipStream_tbENKUlT_T0_SG_SL_E_clIS7_S7_SB_PlEEDaSZ_S10_SG_SL_EUlSZ_E_NS1_11comp_targetILNS1_3genE2ELNS1_11target_archE906ELNS1_3gpuE6ELNS1_3repE0EEENS1_47radix_sort_onesweep_sort_config_static_selectorELNS0_4arch9wavefront6targetE1EEEvSG_: ; @_ZN7rocprim17ROCPRIM_400000_NS6detail17trampoline_kernelINS0_14default_configENS1_35radix_sort_onesweep_config_selectorIalEEZZNS1_29radix_sort_onesweep_iterationIS3_Lb0EPaS7_N6thrust23THRUST_200600_302600_NS10device_ptrIlEESB_jNS0_19identity_decomposerENS1_16block_id_wrapperIjLb0EEEEE10hipError_tT1_PNSt15iterator_traitsISG_E10value_typeET2_T3_PNSH_ISM_E10value_typeET4_T5_PSR_SS_PNS1_23onesweep_lookback_stateEbbT6_jjT7_P12ihipStream_tbENKUlT_T0_SG_SL_E_clIS7_S7_SB_PlEEDaSZ_S10_SG_SL_EUlSZ_E_NS1_11comp_targetILNS1_3genE2ELNS1_11target_archE906ELNS1_3gpuE6ELNS1_3repE0EEENS1_47radix_sort_onesweep_sort_config_static_selectorELNS0_4arch9wavefront6targetE1EEEvSG_
; %bb.0:
	s_add_u32 s0, s0, s7
	s_load_dwordx4 s[40:43], s[4:5], 0x44
	s_load_dwordx8 s[24:31], s[4:5], 0x0
	s_load_dwordx4 s[36:39], s[4:5], 0x28
	s_load_dwordx2 s[44:45], s[4:5], 0x38
	s_addc_u32 s1, s1, 0
	s_mov_b64 s[8:9], -1
	s_waitcnt lgkmcnt(0)
	s_cmp_ge_u32 s6, s42
	s_mul_i32 s34, s6, 0xc00
	v_mbcnt_lo_u32_b32 v17, -1, 0
	s_cbranch_scc0 .LBB639_78
; %bb.1:
	s_load_dword s7, s[4:5], 0x20
	s_mul_i32 s8, s42, 0xfffff400
	v_mbcnt_hi_u32_b32 v7, -1, v17
	v_and_b32_e32 v10, 63, v7
	v_and_b32_e32 v8, 0x1c0, v0
	s_waitcnt lgkmcnt(0)
	s_add_i32 s7, s7, s8
	s_add_u32 s8, s24, s34
	s_addc_u32 s9, s25, 0
	v_mov_b32_e32 v3, s9
	v_add_co_u32_e32 v4, vcc, s8, v10
	v_mul_u32_u24_e32 v9, 6, v8
	v_addc_co_u32_e32 v5, vcc, 0, v3, vcc
	v_add_co_u32_e32 v3, vcc, v4, v9
	v_addc_co_u32_e32 v4, vcc, 0, v5, vcc
	v_or_b32_e32 v11, v10, v9
	s_mov_b32 s35, 0
	v_cmp_gt_u32_e32 vcc, s7, v11
	v_mov_b32_e32 v6, 0x7f
	v_mov_b32_e32 v5, 0x7f
	v_mov_b32_e32 v14, 0x7f
	v_mov_b32_e32 v20, 0x7f
	v_mov_b32_e32 v22, 0x7f
	v_mov_b32_e32 v15, 0x7f
	s_and_saveexec_b64 s[8:9], vcc
	s_cbranch_execz .LBB639_3
; %bb.2:
	global_load_ubyte v5, v[3:4], off
	v_mov_b32_e32 v6, 0x7f
	v_mov_b32_e32 v14, 0x7f
	;; [unrolled: 1-line block ×5, first 2 shown]
.LBB639_3:
	s_or_b64 exec, exec, s[8:9]
	v_or_b32_e32 v12, 64, v11
	v_cmp_gt_u32_e64 s[20:21], s7, v12
	s_and_saveexec_b64 s[8:9], s[20:21]
	s_cbranch_execz .LBB639_5
; %bb.4:
	global_load_ubyte v14, v[3:4], off offset:64
.LBB639_5:
	s_or_b64 exec, exec, s[8:9]
	v_add_u32_e32 v12, 0x80, v11
	v_cmp_gt_u32_e64 s[8:9], s7, v12
	s_and_saveexec_b64 s[10:11], s[8:9]
	s_cbranch_execz .LBB639_7
; %bb.6:
	global_load_ubyte v20, v[3:4], off offset:128
.LBB639_7:
	s_or_b64 exec, exec, s[10:11]
	v_add_u32_e32 v12, 0xc0, v11
	;; [unrolled: 8-line block ×4, first 2 shown]
	v_cmp_gt_u32_e64 s[14:15], s7, v11
	s_and_saveexec_b64 s[16:17], s[14:15]
	s_cbranch_execz .LBB639_13
; %bb.12:
	global_load_ubyte v6, v[3:4], off offset:320
.LBB639_13:
	s_or_b64 exec, exec, s[16:17]
	s_load_dword s16, s[4:5], 0x64
	s_load_dword s33, s[4:5], 0x58
	s_add_u32 s17, s4, 0x58
	s_addc_u32 s18, s5, 0
	v_mov_b32_e32 v3, 0
	s_waitcnt lgkmcnt(0)
	s_lshr_b32 s19, s16, 16
	s_cmp_lt_u32 s6, s33
	s_cselect_b32 s16, 12, 18
	s_add_u32 s16, s17, s16
	s_addc_u32 s17, s18, 0
	global_load_ushort v13, v3, s[16:17]
	s_waitcnt vmcnt(1)
	v_xor_b32_e32 v11, 0xffffff80, v5
	s_lshl_b32 s16, -1, s41
	v_lshrrev_b32_sdwa v4, s40, v11 dst_sel:DWORD dst_unused:UNUSED_PAD src0_sel:DWORD src1_sel:BYTE_0
	s_not_b32 s50, s16
	v_and_b32_e32 v16, s50, v4
	v_and_b32_e32 v18, 1, v16
	v_add_co_u32_e64 v19, s[16:17], -1, v18
	v_lshlrev_b32_e32 v4, 30, v16
	v_addc_co_u32_e64 v23, s[16:17], 0, -1, s[16:17]
	v_mad_u32_u24 v5, v2, s19, v1
	v_cmp_ne_u32_e64 s[16:17], 0, v18
	v_cmp_gt_i64_e64 s[18:19], 0, v[3:4]
	v_not_b32_e32 v18, v4
	v_lshlrev_b32_e32 v4, 29, v16
	v_xor_b32_e32 v23, s17, v23
	v_xor_b32_e32 v19, s16, v19
	v_ashrrev_i32_e32 v18, 31, v18
	v_cmp_gt_i64_e64 s[16:17], 0, v[3:4]
	v_not_b32_e32 v24, v4
	v_lshlrev_b32_e32 v4, 28, v16
	v_and_b32_e32 v23, exec_hi, v23
	v_and_b32_e32 v19, exec_lo, v19
	v_xor_b32_e32 v25, s19, v18
	v_xor_b32_e32 v18, s18, v18
	v_ashrrev_i32_e32 v24, 31, v24
	v_cmp_gt_i64_e64 s[18:19], 0, v[3:4]
	v_not_b32_e32 v26, v4
	v_lshlrev_b32_e32 v4, 27, v16
	v_and_b32_e32 v23, v23, v25
	v_and_b32_e32 v18, v19, v18
	v_xor_b32_e32 v19, s17, v24
	v_xor_b32_e32 v24, s16, v24
	v_ashrrev_i32_e32 v25, 31, v26
	v_cmp_gt_i64_e64 s[16:17], 0, v[3:4]
	v_not_b32_e32 v26, v4
	v_lshlrev_b32_e32 v4, 26, v16
	v_and_b32_e32 v19, v23, v19
	v_and_b32_e32 v18, v18, v24
	;; [unrolled: 8-line block ×3, first 2 shown]
	v_xor_b32_e32 v23, s17, v25
	v_xor_b32_e32 v24, s16, v25
	v_ashrrev_i32_e32 v25, 31, v26
	v_cmp_gt_i64_e64 s[16:17], 0, v[3:4]
	v_not_b32_e32 v26, v4
	v_mul_u32_u24_e32 v21, 36, v16
	v_lshlrev_b32_e32 v4, 24, v16
	v_and_b32_e32 v16, v19, v23
	v_and_b32_e32 v18, v18, v24
	v_xor_b32_e32 v19, s19, v25
	v_xor_b32_e32 v23, s18, v25
	v_ashrrev_i32_e32 v24, 31, v26
	v_and_b32_e32 v16, v16, v19
	v_and_b32_e32 v18, v18, v23
	v_xor_b32_e32 v19, s17, v24
	v_xor_b32_e32 v23, s16, v24
	v_and_b32_e32 v16, v16, v19
	v_and_b32_e32 v23, v18, v23
	v_cmp_gt_i64_e64 s[18:19], 0, v[3:4]
	v_not_b32_e32 v4, v4
	v_ashrrev_i32_e32 v4, 31, v4
	v_xor_b32_e32 v24, s19, v4
	v_xor_b32_e32 v4, s18, v4
	v_and_b32_e32 v4, v23, v4
	v_mul_u32_u24_e32 v12, 20, v0
	ds_write2_b32 v12, v3, v3 offset0:8 offset1:9
	ds_write2_b32 v12, v3, v3 offset0:10 offset1:11
	ds_write_b32 v12, v3 offset:48
	s_waitcnt vmcnt(0) lgkmcnt(0)
	s_barrier
	; wave barrier
	v_mad_u64_u32 v[18:19], s[16:17], v5, v13, v[0:1]
	v_and_b32_e32 v5, v16, v24
	v_cmp_ne_u64_e64 s[16:17], 0, v[4:5]
	v_lshrrev_b32_e32 v13, 4, v18
	v_and_b32_e32 v29, 0xffffffc, v13
	v_mbcnt_lo_u32_b32 v13, v4, 0
	v_mbcnt_hi_u32_b32 v13, v5, v13
	v_cmp_eq_u32_e64 s[18:19], 0, v13
	s_and_b64 s[18:19], s[16:17], s[18:19]
	v_add_u32_e32 v16, v29, v21
	s_and_saveexec_b64 s[16:17], s[18:19]
; %bb.14:
	v_bcnt_u32_b32 v4, v4, 0
	v_bcnt_u32_b32 v4, v5, v4
	ds_write_b32 v16, v4 offset:32
; %bb.15:
	s_or_b64 exec, exec, s[16:17]
	v_xor_b32_e32 v14, 0xffffff80, v14
	v_lshrrev_b32_sdwa v4, s40, v14 dst_sel:DWORD dst_unused:UNUSED_PAD src0_sel:DWORD src1_sel:BYTE_0
	v_and_b32_e32 v5, s50, v4
	v_mad_u32_u24 v4, v5, 36, v29
	; wave barrier
	ds_read_b32 v18, v4 offset:32
	v_and_b32_e32 v4, 1, v5
	v_add_co_u32_e64 v19, s[16:17], -1, v4
	v_addc_co_u32_e64 v23, s[16:17], 0, -1, s[16:17]
	v_cmp_ne_u32_e64 s[16:17], 0, v4
	v_xor_b32_e32 v4, s17, v23
	v_and_b32_e32 v23, exec_hi, v4
	v_lshlrev_b32_e32 v4, 30, v5
	v_xor_b32_e32 v19, s16, v19
	v_cmp_gt_i64_e64 s[16:17], 0, v[3:4]
	v_not_b32_e32 v4, v4
	v_ashrrev_i32_e32 v4, 31, v4
	v_and_b32_e32 v19, exec_lo, v19
	v_xor_b32_e32 v24, s17, v4
	v_xor_b32_e32 v4, s16, v4
	v_and_b32_e32 v19, v19, v4
	v_lshlrev_b32_e32 v4, 29, v5
	v_cmp_gt_i64_e64 s[16:17], 0, v[3:4]
	v_not_b32_e32 v4, v4
	v_ashrrev_i32_e32 v4, 31, v4
	v_and_b32_e32 v23, v23, v24
	v_xor_b32_e32 v24, s17, v4
	v_xor_b32_e32 v4, s16, v4
	v_and_b32_e32 v19, v19, v4
	v_lshlrev_b32_e32 v4, 28, v5
	v_cmp_gt_i64_e64 s[16:17], 0, v[3:4]
	v_not_b32_e32 v4, v4
	v_ashrrev_i32_e32 v4, 31, v4
	v_and_b32_e32 v23, v23, v24
	;; [unrolled: 8-line block ×5, first 2 shown]
	v_xor_b32_e32 v24, s17, v4
	v_xor_b32_e32 v4, s16, v4
	v_and_b32_e32 v19, v19, v4
	v_lshlrev_b32_e32 v4, 24, v5
	v_cmp_gt_i64_e64 s[16:17], 0, v[3:4]
	v_not_b32_e32 v3, v4
	v_ashrrev_i32_e32 v3, 31, v3
	v_xor_b32_e32 v4, s17, v3
	v_xor_b32_e32 v3, s16, v3
	v_and_b32_e32 v23, v23, v24
	v_and_b32_e32 v3, v19, v3
	v_mul_u32_u24_e32 v21, 36, v5
	v_and_b32_e32 v4, v23, v4
	v_mbcnt_lo_u32_b32 v5, v3, 0
	v_mbcnt_hi_u32_b32 v19, v4, v5
	v_cmp_ne_u64_e64 s[16:17], 0, v[3:4]
	v_cmp_eq_u32_e64 s[18:19], 0, v19
	s_and_b64 s[18:19], s[16:17], s[18:19]
	v_add_u32_e32 v28, v29, v21
	; wave barrier
	s_and_saveexec_b64 s[16:17], s[18:19]
	s_cbranch_execz .LBB639_17
; %bb.16:
	v_bcnt_u32_b32 v3, v3, 0
	v_bcnt_u32_b32 v3, v4, v3
	s_waitcnt lgkmcnt(0)
	v_add_u32_e32 v3, v18, v3
	ds_write_b32 v28, v3 offset:32
.LBB639_17:
	s_or_b64 exec, exec, s[16:17]
	v_xor_b32_e32 v26, 0xffffff80, v20
	v_lshrrev_b32_sdwa v3, s40, v26 dst_sel:DWORD dst_unused:UNUSED_PAD src0_sel:DWORD src1_sel:BYTE_0
	v_and_b32_e32 v5, s50, v3
	v_and_b32_e32 v4, 1, v5
	v_add_co_u32_e64 v21, s[16:17], -1, v4
	v_addc_co_u32_e64 v24, s[16:17], 0, -1, s[16:17]
	v_cmp_ne_u32_e64 s[16:17], 0, v4
	v_mad_u32_u24 v3, v5, 36, v29
	v_xor_b32_e32 v4, s17, v24
	; wave barrier
	ds_read_b32 v20, v3 offset:32
	v_mov_b32_e32 v3, 0
	v_and_b32_e32 v24, exec_hi, v4
	v_lshlrev_b32_e32 v4, 30, v5
	v_xor_b32_e32 v21, s16, v21
	v_cmp_gt_i64_e64 s[16:17], 0, v[3:4]
	v_not_b32_e32 v4, v4
	v_ashrrev_i32_e32 v4, 31, v4
	v_and_b32_e32 v21, exec_lo, v21
	v_xor_b32_e32 v25, s17, v4
	v_xor_b32_e32 v4, s16, v4
	v_and_b32_e32 v21, v21, v4
	v_lshlrev_b32_e32 v4, 29, v5
	v_cmp_gt_i64_e64 s[16:17], 0, v[3:4]
	v_not_b32_e32 v4, v4
	v_ashrrev_i32_e32 v4, 31, v4
	v_and_b32_e32 v24, v24, v25
	v_xor_b32_e32 v25, s17, v4
	v_xor_b32_e32 v4, s16, v4
	v_and_b32_e32 v21, v21, v4
	v_lshlrev_b32_e32 v4, 28, v5
	v_cmp_gt_i64_e64 s[16:17], 0, v[3:4]
	v_not_b32_e32 v4, v4
	v_ashrrev_i32_e32 v4, 31, v4
	v_and_b32_e32 v24, v24, v25
	;; [unrolled: 8-line block ×5, first 2 shown]
	v_xor_b32_e32 v25, s17, v4
	v_xor_b32_e32 v4, s16, v4
	v_and_b32_e32 v21, v21, v4
	v_lshlrev_b32_e32 v4, 24, v5
	v_cmp_gt_i64_e64 s[16:17], 0, v[3:4]
	v_not_b32_e32 v4, v4
	v_ashrrev_i32_e32 v4, 31, v4
	v_mul_u32_u24_e32 v23, 36, v5
	v_xor_b32_e32 v5, s17, v4
	v_xor_b32_e32 v4, s16, v4
	v_and_b32_e32 v24, v24, v25
	v_and_b32_e32 v4, v21, v4
	;; [unrolled: 1-line block ×3, first 2 shown]
	v_mbcnt_lo_u32_b32 v21, v4, 0
	v_mbcnt_hi_u32_b32 v21, v5, v21
	v_cmp_ne_u64_e64 s[16:17], 0, v[4:5]
	v_cmp_eq_u32_e64 s[18:19], 0, v21
	s_and_b64 s[18:19], s[16:17], s[18:19]
	v_add_u32_e32 v32, v29, v23
	; wave barrier
	s_and_saveexec_b64 s[16:17], s[18:19]
	s_cbranch_execz .LBB639_19
; %bb.18:
	v_bcnt_u32_b32 v4, v4, 0
	v_bcnt_u32_b32 v4, v5, v4
	s_waitcnt lgkmcnt(0)
	v_add_u32_e32 v4, v20, v4
	ds_write_b32 v32, v4 offset:32
.LBB639_19:
	s_or_b64 exec, exec, s[16:17]
	v_xor_b32_e32 v31, 0xffffff80, v22
	v_lshrrev_b32_sdwa v4, s40, v31 dst_sel:DWORD dst_unused:UNUSED_PAD src0_sel:DWORD src1_sel:BYTE_0
	v_and_b32_e32 v5, s50, v4
	v_mad_u32_u24 v4, v5, 36, v29
	; wave barrier
	ds_read_b32 v22, v4 offset:32
	v_and_b32_e32 v4, 1, v5
	v_add_co_u32_e64 v23, s[16:17], -1, v4
	v_addc_co_u32_e64 v25, s[16:17], 0, -1, s[16:17]
	v_cmp_ne_u32_e64 s[16:17], 0, v4
	v_xor_b32_e32 v4, s17, v25
	v_and_b32_e32 v25, exec_hi, v4
	v_lshlrev_b32_e32 v4, 30, v5
	v_xor_b32_e32 v23, s16, v23
	v_cmp_gt_i64_e64 s[16:17], 0, v[3:4]
	v_not_b32_e32 v4, v4
	v_ashrrev_i32_e32 v4, 31, v4
	v_and_b32_e32 v23, exec_lo, v23
	v_xor_b32_e32 v27, s17, v4
	v_xor_b32_e32 v4, s16, v4
	v_and_b32_e32 v23, v23, v4
	v_lshlrev_b32_e32 v4, 29, v5
	v_cmp_gt_i64_e64 s[16:17], 0, v[3:4]
	v_not_b32_e32 v4, v4
	v_ashrrev_i32_e32 v4, 31, v4
	v_and_b32_e32 v25, v25, v27
	v_xor_b32_e32 v27, s17, v4
	v_xor_b32_e32 v4, s16, v4
	v_and_b32_e32 v23, v23, v4
	v_lshlrev_b32_e32 v4, 28, v5
	v_cmp_gt_i64_e64 s[16:17], 0, v[3:4]
	v_not_b32_e32 v4, v4
	v_ashrrev_i32_e32 v4, 31, v4
	v_and_b32_e32 v25, v25, v27
	;; [unrolled: 8-line block ×5, first 2 shown]
	v_xor_b32_e32 v27, s17, v4
	v_xor_b32_e32 v4, s16, v4
	v_and_b32_e32 v23, v23, v4
	v_lshlrev_b32_e32 v4, 24, v5
	v_cmp_gt_i64_e64 s[16:17], 0, v[3:4]
	v_not_b32_e32 v3, v4
	v_ashrrev_i32_e32 v3, 31, v3
	v_xor_b32_e32 v4, s17, v3
	v_xor_b32_e32 v3, s16, v3
	v_and_b32_e32 v25, v25, v27
	v_and_b32_e32 v3, v23, v3
	v_mul_u32_u24_e32 v24, 36, v5
	v_and_b32_e32 v4, v25, v4
	v_mbcnt_lo_u32_b32 v5, v3, 0
	v_mbcnt_hi_u32_b32 v23, v4, v5
	v_cmp_ne_u64_e64 s[16:17], 0, v[3:4]
	v_cmp_eq_u32_e64 s[18:19], 0, v23
	s_and_b64 s[18:19], s[16:17], s[18:19]
	v_add_u32_e32 v35, v29, v24
	; wave barrier
	s_and_saveexec_b64 s[16:17], s[18:19]
	s_cbranch_execz .LBB639_21
; %bb.20:
	v_bcnt_u32_b32 v3, v3, 0
	v_bcnt_u32_b32 v3, v4, v3
	s_waitcnt lgkmcnt(0)
	v_add_u32_e32 v3, v22, v3
	ds_write_b32 v35, v3 offset:32
.LBB639_21:
	s_or_b64 exec, exec, s[16:17]
	v_xor_b32_e32 v15, 0xffffff80, v15
	v_lshrrev_b32_sdwa v3, s40, v15 dst_sel:DWORD dst_unused:UNUSED_PAD src0_sel:DWORD src1_sel:BYTE_0
	v_and_b32_e32 v5, s50, v3
	v_and_b32_e32 v4, 1, v5
	v_add_co_u32_e64 v25, s[16:17], -1, v4
	v_addc_co_u32_e64 v30, s[16:17], 0, -1, s[16:17]
	v_cmp_ne_u32_e64 s[16:17], 0, v4
	v_mad_u32_u24 v3, v5, 36, v29
	v_xor_b32_e32 v4, s17, v30
	; wave barrier
	ds_read_b32 v24, v3 offset:32
	v_mov_b32_e32 v3, 0
	v_and_b32_e32 v30, exec_hi, v4
	v_lshlrev_b32_e32 v4, 30, v5
	v_xor_b32_e32 v25, s16, v25
	v_cmp_gt_i64_e64 s[16:17], 0, v[3:4]
	v_not_b32_e32 v4, v4
	v_ashrrev_i32_e32 v4, 31, v4
	v_and_b32_e32 v25, exec_lo, v25
	v_xor_b32_e32 v33, s17, v4
	v_xor_b32_e32 v4, s16, v4
	v_and_b32_e32 v25, v25, v4
	v_lshlrev_b32_e32 v4, 29, v5
	v_cmp_gt_i64_e64 s[16:17], 0, v[3:4]
	v_not_b32_e32 v4, v4
	v_ashrrev_i32_e32 v4, 31, v4
	v_and_b32_e32 v30, v30, v33
	v_xor_b32_e32 v33, s17, v4
	v_xor_b32_e32 v4, s16, v4
	v_and_b32_e32 v25, v25, v4
	v_lshlrev_b32_e32 v4, 28, v5
	v_cmp_gt_i64_e64 s[16:17], 0, v[3:4]
	v_not_b32_e32 v4, v4
	v_ashrrev_i32_e32 v4, 31, v4
	v_and_b32_e32 v30, v30, v33
	;; [unrolled: 8-line block ×5, first 2 shown]
	v_xor_b32_e32 v33, s17, v4
	v_xor_b32_e32 v4, s16, v4
	v_and_b32_e32 v25, v25, v4
	v_lshlrev_b32_e32 v4, 24, v5
	v_cmp_gt_i64_e64 s[16:17], 0, v[3:4]
	v_not_b32_e32 v4, v4
	v_ashrrev_i32_e32 v4, 31, v4
	v_mul_u32_u24_e32 v27, 36, v5
	v_xor_b32_e32 v5, s17, v4
	v_xor_b32_e32 v4, s16, v4
	v_and_b32_e32 v30, v30, v33
	v_and_b32_e32 v4, v25, v4
	;; [unrolled: 1-line block ×3, first 2 shown]
	v_mbcnt_lo_u32_b32 v25, v4, 0
	v_mbcnt_hi_u32_b32 v25, v5, v25
	v_cmp_ne_u64_e64 s[16:17], 0, v[4:5]
	v_cmp_eq_u32_e64 s[18:19], 0, v25
	s_and_b64 s[18:19], s[16:17], s[18:19]
	v_add_u32_e32 v36, v29, v27
	; wave barrier
	s_and_saveexec_b64 s[16:17], s[18:19]
	s_cbranch_execz .LBB639_23
; %bb.22:
	v_bcnt_u32_b32 v4, v4, 0
	v_bcnt_u32_b32 v4, v5, v4
	s_waitcnt lgkmcnt(0)
	v_add_u32_e32 v4, v24, v4
	ds_write_b32 v36, v4 offset:32
.LBB639_23:
	s_or_b64 exec, exec, s[16:17]
	v_xor_b32_e32 v38, 0xffffff80, v6
	v_lshrrev_b32_sdwa v4, s40, v38 dst_sel:DWORD dst_unused:UNUSED_PAD src0_sel:DWORD src1_sel:BYTE_0
	v_and_b32_e32 v5, s50, v4
	v_mad_u32_u24 v4, v5, 36, v29
	; wave barrier
	ds_read_b32 v27, v4 offset:32
	v_and_b32_e32 v4, 1, v5
	v_add_co_u32_e64 v30, s[16:17], -1, v4
	v_addc_co_u32_e64 v33, s[16:17], 0, -1, s[16:17]
	v_cmp_ne_u32_e64 s[16:17], 0, v4
	v_xor_b32_e32 v4, s17, v33
	v_and_b32_e32 v33, exec_hi, v4
	v_lshlrev_b32_e32 v4, 30, v5
	v_xor_b32_e32 v30, s16, v30
	v_cmp_gt_i64_e64 s[16:17], 0, v[3:4]
	v_not_b32_e32 v4, v4
	v_ashrrev_i32_e32 v4, 31, v4
	v_and_b32_e32 v30, exec_lo, v30
	v_xor_b32_e32 v34, s17, v4
	v_xor_b32_e32 v4, s16, v4
	v_and_b32_e32 v30, v30, v4
	v_lshlrev_b32_e32 v4, 29, v5
	v_cmp_gt_i64_e64 s[16:17], 0, v[3:4]
	v_not_b32_e32 v4, v4
	v_ashrrev_i32_e32 v4, 31, v4
	v_and_b32_e32 v33, v33, v34
	v_xor_b32_e32 v34, s17, v4
	v_xor_b32_e32 v4, s16, v4
	v_and_b32_e32 v30, v30, v4
	v_lshlrev_b32_e32 v4, 28, v5
	v_cmp_gt_i64_e64 s[16:17], 0, v[3:4]
	v_not_b32_e32 v4, v4
	v_ashrrev_i32_e32 v4, 31, v4
	v_and_b32_e32 v33, v33, v34
	;; [unrolled: 8-line block ×5, first 2 shown]
	v_xor_b32_e32 v34, s17, v4
	v_xor_b32_e32 v4, s16, v4
	v_and_b32_e32 v30, v30, v4
	v_lshlrev_b32_e32 v4, 24, v5
	v_cmp_gt_i64_e64 s[16:17], 0, v[3:4]
	v_not_b32_e32 v3, v4
	v_ashrrev_i32_e32 v3, 31, v3
	v_xor_b32_e32 v4, s17, v3
	v_xor_b32_e32 v3, s16, v3
	v_and_b32_e32 v33, v33, v34
	v_and_b32_e32 v3, v30, v3
	v_mul_u32_u24_e32 v6, 36, v5
	v_and_b32_e32 v4, v33, v4
	v_mbcnt_lo_u32_b32 v5, v3, 0
	v_mbcnt_hi_u32_b32 v30, v4, v5
	v_cmp_ne_u64_e64 s[16:17], 0, v[3:4]
	v_cmp_eq_u32_e64 s[18:19], 0, v30
	s_and_b64 s[18:19], s[16:17], s[18:19]
	v_add_u32_e32 v29, v29, v6
	; wave barrier
	s_and_saveexec_b64 s[16:17], s[18:19]
	s_cbranch_execz .LBB639_25
; %bb.24:
	v_bcnt_u32_b32 v3, v3, 0
	v_bcnt_u32_b32 v3, v4, v3
	s_waitcnt lgkmcnt(0)
	v_add_u32_e32 v3, v27, v3
	ds_write_b32 v29, v3 offset:32
.LBB639_25:
	s_or_b64 exec, exec, s[16:17]
	; wave barrier
	s_waitcnt lgkmcnt(0)
	s_barrier
	ds_read2_b32 v[5:6], v12 offset0:8 offset1:9
	ds_read2_b32 v[3:4], v12 offset0:10 offset1:11
	ds_read_b32 v33, v12 offset:48
	v_min_u32_e32 v8, 0x1c0, v8
	v_or_b32_e32 v8, 63, v8
	s_waitcnt lgkmcnt(1)
	v_add3_u32 v34, v6, v5, v3
	s_waitcnt lgkmcnt(0)
	v_add3_u32 v33, v34, v4, v33
	v_and_b32_e32 v34, 15, v7
	v_cmp_ne_u32_e64 s[16:17], 0, v34
	v_mov_b32_dpp v37, v33 row_shr:1 row_mask:0xf bank_mask:0xf
	v_cndmask_b32_e64 v37, 0, v37, s[16:17]
	v_add_u32_e32 v33, v37, v33
	v_cmp_lt_u32_e64 s[16:17], 1, v34
	s_nop 0
	v_mov_b32_dpp v37, v33 row_shr:2 row_mask:0xf bank_mask:0xf
	v_cndmask_b32_e64 v37, 0, v37, s[16:17]
	v_add_u32_e32 v33, v33, v37
	v_cmp_lt_u32_e64 s[16:17], 3, v34
	s_nop 0
	;; [unrolled: 5-line block ×3, first 2 shown]
	v_mov_b32_dpp v37, v33 row_shr:8 row_mask:0xf bank_mask:0xf
	v_cndmask_b32_e64 v34, 0, v37, s[16:17]
	v_add_u32_e32 v33, v33, v34
	v_bfe_i32 v37, v7, 4, 1
	v_cmp_lt_u32_e64 s[16:17], 31, v7
	v_mov_b32_dpp v34, v33 row_bcast:15 row_mask:0xf bank_mask:0xf
	v_and_b32_e32 v34, v37, v34
	v_add_u32_e32 v33, v33, v34
	s_nop 1
	v_mov_b32_dpp v34, v33 row_bcast:31 row_mask:0xf bank_mask:0xf
	v_cndmask_b32_e64 v34, 0, v34, s[16:17]
	v_add_u32_e32 v33, v33, v34
	v_lshrrev_b32_e32 v34, 6, v0
	v_cmp_eq_u32_e64 s[16:17], v0, v8
	s_and_saveexec_b64 s[18:19], s[16:17]
; %bb.26:
	v_lshlrev_b32_e32 v8, 2, v34
	ds_write_b32 v8, v33
; %bb.27:
	s_or_b64 exec, exec, s[18:19]
	v_cmp_gt_u32_e64 s[16:17], 8, v0
	s_waitcnt lgkmcnt(0)
	s_barrier
	s_and_saveexec_b64 s[22:23], s[16:17]
	s_cbranch_execz .LBB639_29
; %bb.28:
	v_lshlrev_b32_e32 v8, 2, v0
	ds_read_b32 v37, v8
	v_and_b32_e32 v39, 7, v7
	v_cmp_ne_u32_e64 s[16:17], 0, v39
	v_cmp_lt_u32_e64 s[18:19], 1, v39
	s_waitcnt lgkmcnt(0)
	v_mov_b32_dpp v40, v37 row_shr:1 row_mask:0xf bank_mask:0xf
	v_cndmask_b32_e64 v40, 0, v40, s[16:17]
	v_add_u32_e32 v37, v40, v37
	v_cmp_lt_u32_e64 s[16:17], 3, v39
	s_nop 0
	v_mov_b32_dpp v40, v37 row_shr:2 row_mask:0xf bank_mask:0xf
	v_cndmask_b32_e64 v40, 0, v40, s[18:19]
	v_add_u32_e32 v37, v37, v40
	s_nop 1
	v_mov_b32_dpp v40, v37 row_shr:4 row_mask:0xf bank_mask:0xf
	v_cndmask_b32_e64 v39, 0, v40, s[16:17]
	v_add_u32_e32 v37, v37, v39
	ds_write_b32 v8, v37
.LBB639_29:
	s_or_b64 exec, exec, s[22:23]
	v_cmp_lt_u32_e64 s[16:17], 63, v0
	v_mov_b32_e32 v8, 0
	s_waitcnt lgkmcnt(0)
	s_barrier
	s_and_saveexec_b64 s[18:19], s[16:17]
; %bb.30:
	v_lshl_add_u32 v8, v34, 2, -4
	ds_read_b32 v8, v8
; %bb.31:
	s_or_b64 exec, exec, s[18:19]
	v_subrev_co_u32_e64 v34, s[16:17], 1, v7
	v_and_b32_e32 v37, 64, v7
	v_cmp_lt_i32_e64 s[18:19], v34, v37
	v_cndmask_b32_e64 v7, v34, v7, s[18:19]
	s_waitcnt lgkmcnt(0)
	v_add_u32_e32 v33, v8, v33
	v_lshlrev_b32_e32 v7, 2, v7
	ds_bpermute_b32 v7, v7, v33
	s_movk_i32 s22, 0x100
	v_cmp_gt_u32_e64 s[18:19], s22, v0
	s_waitcnt lgkmcnt(0)
	v_cndmask_b32_e64 v7, v7, v8, s[16:17]
	v_cmp_ne_u32_e64 s[16:17], 0, v0
	v_cndmask_b32_e64 v7, 0, v7, s[16:17]
	v_add_u32_e32 v5, v7, v5
	v_add_u32_e32 v6, v5, v6
	;; [unrolled: 1-line block ×4, first 2 shown]
	ds_write2_b32 v12, v7, v5 offset0:8 offset1:9
	ds_write2_b32 v12, v6, v3 offset0:10 offset1:11
	ds_write_b32 v12, v4 offset:48
	s_waitcnt lgkmcnt(0)
	s_barrier
	ds_read_b32 v3, v16 offset:32
	ds_read_b32 v33, v28 offset:32
	;; [unrolled: 1-line block ×6, first 2 shown]
	s_movk_i32 s16, 0xff
	v_cmp_lt_u32_e64 s[16:17], s16, v0
                                        ; implicit-def: $vgpr28
                                        ; implicit-def: $vgpr29
	s_and_saveexec_b64 s[42:43], s[18:19]
	s_cbranch_execz .LBB639_35
; %bb.32:
	v_mul_u32_u24_e32 v4, 36, v0
	ds_read_b32 v28, v4 offset:32
	v_add_u32_e32 v5, 1, v0
	v_cmp_ne_u32_e64 s[22:23], s22, v5
	v_mov_b32_e32 v4, 0xc00
	s_and_saveexec_b64 s[46:47], s[22:23]
; %bb.33:
	v_mul_u32_u24_e32 v4, 36, v5
	ds_read_b32 v4, v4 offset:32
; %bb.34:
	s_or_b64 exec, exec, s[46:47]
	s_waitcnt lgkmcnt(0)
	v_sub_u32_e32 v29, v4, v28
.LBB639_35:
	s_or_b64 exec, exec, s[42:43]
	s_waitcnt lgkmcnt(5)
	v_add_u32_e32 v32, v3, v13
	s_waitcnt lgkmcnt(3)
	v_add3_u32 v4, v21, v20, v34
	v_add3_u32 v3, v19, v18, v33
	s_waitcnt lgkmcnt(2)
	v_add3_u32 v5, v23, v22, v35
	s_waitcnt lgkmcnt(1)
	;; [unrolled: 2-line block ×3, first 2 shown]
	v_add3_u32 v7, v30, v27, v37
	s_barrier
	ds_write_b8 v32, v11 offset:1024
	ds_write_b8 v3, v14 offset:1024
	;; [unrolled: 1-line block ×6, first 2 shown]
	v_mov_b32_e32 v4, 0
	v_lshlrev_b32_e32 v26, 2, v0
	s_and_saveexec_b64 s[22:23], s[18:19]
	s_cbranch_execz .LBB639_45
; %bb.36:
	v_lshl_add_u32 v3, s6, 8, v0
	v_lshlrev_b64 v[5:6], 2, v[3:4]
	v_mov_b32_e32 v11, s45
	v_add_co_u32_e64 v5, s[18:19], s44, v5
	v_addc_co_u32_e64 v6, s[18:19], v11, v6, s[18:19]
	v_or_b32_e32 v3, 2.0, v29
	s_mov_b64 s[42:43], 0
	s_brev_b32 s51, -4
	s_mov_b32 s52, s6
	v_mov_b32_e32 v12, 0
	global_store_dword v[5:6], v3, off
                                        ; implicit-def: $sgpr18_sgpr19
	s_branch .LBB639_39
.LBB639_37:                             ;   in Loop: Header=BB639_39 Depth=1
	s_or_b64 exec, exec, s[48:49]
.LBB639_38:                             ;   in Loop: Header=BB639_39 Depth=1
	s_or_b64 exec, exec, s[46:47]
	v_and_b32_e32 v7, 0x3fffffff, v3
	v_add_u32_e32 v12, v7, v12
	v_cmp_gt_i32_e64 s[18:19], -2.0, v3
	s_and_b64 s[46:47], exec, s[18:19]
	s_or_b64 s[42:43], s[46:47], s[42:43]
	s_andn2_b64 exec, exec, s[42:43]
	s_cbranch_execz .LBB639_44
.LBB639_39:                             ; =>This Loop Header: Depth=1
                                        ;     Child Loop BB639_42 Depth 2
	s_or_b64 s[18:19], s[18:19], exec
	s_cmp_eq_u32 s52, 0
	s_cbranch_scc1 .LBB639_43
; %bb.40:                               ;   in Loop: Header=BB639_39 Depth=1
	s_add_i32 s52, s52, -1
	v_lshl_or_b32 v3, s52, 8, v0
	v_lshlrev_b64 v[7:8], 2, v[3:4]
	v_add_co_u32_e64 v7, s[18:19], s44, v7
	v_addc_co_u32_e64 v8, s[18:19], v11, v8, s[18:19]
	global_load_dword v3, v[7:8], off glc
	s_waitcnt vmcnt(0)
	v_cmp_gt_u32_e64 s[18:19], 2.0, v3
	s_and_saveexec_b64 s[46:47], s[18:19]
	s_cbranch_execz .LBB639_38
; %bb.41:                               ;   in Loop: Header=BB639_39 Depth=1
	s_mov_b64 s[48:49], 0
.LBB639_42:                             ;   Parent Loop BB639_39 Depth=1
                                        ; =>  This Inner Loop Header: Depth=2
	global_load_dword v3, v[7:8], off glc
	s_waitcnt vmcnt(0)
	v_cmp_lt_u32_e64 s[18:19], s51, v3
	s_or_b64 s[48:49], s[18:19], s[48:49]
	s_andn2_b64 exec, exec, s[48:49]
	s_cbranch_execnz .LBB639_42
	s_branch .LBB639_37
.LBB639_43:                             ;   in Loop: Header=BB639_39 Depth=1
                                        ; implicit-def: $sgpr52
	s_and_b64 s[46:47], exec, s[18:19]
	s_or_b64 s[42:43], s[46:47], s[42:43]
	s_andn2_b64 exec, exec, s[42:43]
	s_cbranch_execnz .LBB639_39
.LBB639_44:
	s_or_b64 exec, exec, s[42:43]
	v_add_u32_e32 v3, v12, v29
	v_or_b32_e32 v3, 0x80000000, v3
	global_store_dword v[5:6], v3, off
	global_load_dword v3, v26, s[36:37]
	v_sub_u32_e32 v4, v12, v28
	s_waitcnt vmcnt(0)
	v_add_u32_e32 v3, v4, v3
	ds_write_b32 v26, v3
.LBB639_45:
	s_or_b64 exec, exec, s[22:23]
	v_cmp_gt_u32_e64 s[18:19], s7, v0
	s_waitcnt lgkmcnt(0)
	s_barrier
	s_and_saveexec_b64 s[22:23], s[18:19]
	s_cbranch_execz .LBB639_47
; %bb.46:
	ds_read_u8 v3, v0 offset:1024
	s_waitcnt lgkmcnt(0)
	v_lshrrev_b32_sdwa v4, s40, v3 dst_sel:DWORD dst_unused:UNUSED_PAD src0_sel:DWORD src1_sel:BYTE_0
	v_and_b32_e32 v4, s50, v4
	v_lshlrev_b32_e32 v5, 2, v4
	ds_read_b32 v5, v5
	v_xor_b32_e32 v3, 0x80, v3
	buffer_store_dword v4, off, s[0:3], 0
	s_waitcnt lgkmcnt(0)
	v_add_u32_e32 v5, v5, v0
	global_store_byte v5, v3, s[26:27]
.LBB639_47:
	s_or_b64 exec, exec, s[22:23]
	v_or_b32_e32 v3, 0x200, v0
	v_cmp_gt_u32_e64 s[18:19], s7, v3
	s_and_saveexec_b64 s[22:23], s[18:19]
	s_cbranch_execz .LBB639_49
; %bb.48:
	ds_read_u8 v4, v0 offset:1536
	s_waitcnt lgkmcnt(0)
	v_lshrrev_b32_sdwa v5, s40, v4 dst_sel:DWORD dst_unused:UNUSED_PAD src0_sel:DWORD src1_sel:BYTE_0
	v_and_b32_e32 v5, s50, v5
	v_lshlrev_b32_e32 v6, 2, v5
	ds_read_b32 v6, v6
	v_xor_b32_e32 v4, 0x80, v4
	buffer_store_dword v5, off, s[0:3], 0 offset:4
	s_waitcnt lgkmcnt(0)
	v_add_u32_e32 v3, v6, v3
	global_store_byte v3, v4, s[26:27]
.LBB639_49:
	s_or_b64 exec, exec, s[22:23]
	v_or_b32_e32 v3, 0x400, v0
	v_cmp_gt_u32_e64 s[18:19], s7, v3
	s_and_saveexec_b64 s[22:23], s[18:19]
	s_cbranch_execz .LBB639_51
; %bb.50:
	ds_read_u8 v4, v0 offset:2048
	s_waitcnt lgkmcnt(0)
	v_lshrrev_b32_sdwa v5, s40, v4 dst_sel:DWORD dst_unused:UNUSED_PAD src0_sel:DWORD src1_sel:BYTE_0
	v_and_b32_e32 v5, s50, v5
	v_lshlrev_b32_e32 v6, 2, v5
	ds_read_b32 v6, v6
	v_xor_b32_e32 v4, 0x80, v4
	buffer_store_dword v5, off, s[0:3], 0 offset:8
	s_waitcnt lgkmcnt(0)
	v_add_u32_e32 v3, v6, v3
	global_store_byte v3, v4, s[26:27]
.LBB639_51:
	;; [unrolled: 18-line block ×5, first 2 shown]
	s_or_b64 exec, exec, s[22:23]
	s_lshl_b64 s[18:19], s[34:35], 3
	s_add_u32 s18, s28, s18
	s_addc_u32 s19, s29, s19
	v_lshlrev_b32_e32 v3, 3, v10
	v_mov_b32_e32 v4, s19
	v_add_co_u32_e64 v3, s[18:19], s18, v3
	v_addc_co_u32_e64 v4, s[18:19], 0, v4, s[18:19]
	v_lshlrev_b32_e32 v5, 3, v9
	v_add_co_u32_e64 v15, s[18:19], v3, v5
	v_addc_co_u32_e64 v16, s[18:19], 0, v4, s[18:19]
                                        ; implicit-def: $vgpr3_vgpr4
	s_and_saveexec_b64 s[18:19], vcc
	s_xor_b64 s[18:19], exec, s[18:19]
	s_cbranch_execz .LBB639_63
; %bb.58:
	global_load_dwordx2 v[3:4], v[15:16], off
	s_or_b64 exec, exec, s[18:19]
                                        ; implicit-def: $vgpr5_vgpr6
	s_and_saveexec_b64 s[18:19], s[20:21]
	s_cbranch_execnz .LBB639_64
.LBB639_59:
	s_or_b64 exec, exec, s[18:19]
                                        ; implicit-def: $vgpr7_vgpr8
	s_and_saveexec_b64 s[18:19], s[8:9]
	s_cbranch_execz .LBB639_65
.LBB639_60:
	global_load_dwordx2 v[7:8], v[15:16], off offset:1024
	s_or_b64 exec, exec, s[18:19]
                                        ; implicit-def: $vgpr9_vgpr10
	s_and_saveexec_b64 s[8:9], s[10:11]
	s_cbranch_execnz .LBB639_66
.LBB639_61:
	s_or_b64 exec, exec, s[8:9]
                                        ; implicit-def: $vgpr11_vgpr12
	s_and_saveexec_b64 s[8:9], s[12:13]
	s_cbranch_execz .LBB639_67
.LBB639_62:
	global_load_dwordx2 v[11:12], v[15:16], off offset:2048
	s_or_b64 exec, exec, s[8:9]
                                        ; implicit-def: $vgpr13_vgpr14
	s_and_saveexec_b64 s[8:9], s[14:15]
	s_cbranch_execnz .LBB639_68
	s_branch .LBB639_69
.LBB639_63:
	s_or_b64 exec, exec, s[18:19]
                                        ; implicit-def: $vgpr5_vgpr6
	s_and_saveexec_b64 s[18:19], s[20:21]
	s_cbranch_execz .LBB639_59
.LBB639_64:
	global_load_dwordx2 v[5:6], v[15:16], off offset:512
	s_or_b64 exec, exec, s[18:19]
                                        ; implicit-def: $vgpr7_vgpr8
	s_and_saveexec_b64 s[18:19], s[8:9]
	s_cbranch_execnz .LBB639_60
.LBB639_65:
	s_or_b64 exec, exec, s[18:19]
                                        ; implicit-def: $vgpr9_vgpr10
	s_and_saveexec_b64 s[8:9], s[10:11]
	s_cbranch_execz .LBB639_61
.LBB639_66:
	global_load_dwordx2 v[9:10], v[15:16], off offset:1536
	s_or_b64 exec, exec, s[8:9]
                                        ; implicit-def: $vgpr11_vgpr12
	s_and_saveexec_b64 s[8:9], s[12:13]
	s_cbranch_execnz .LBB639_62
.LBB639_67:
	s_or_b64 exec, exec, s[8:9]
                                        ; implicit-def: $vgpr13_vgpr14
	s_and_saveexec_b64 s[8:9], s[14:15]
	s_cbranch_execz .LBB639_69
.LBB639_68:
	global_load_dwordx2 v[13:14], v[15:16], off offset:2560
.LBB639_69:
	s_or_b64 exec, exec, s[8:9]
	v_lshlrev_b32_e32 v31, 3, v0
	v_add3_u32 v27, v30, v37, v27
	v_add3_u32 v24, v25, v36, v24
	;; [unrolled: 1-line block ×5, first 2 shown]
	s_mov_b32 s10, 0
	s_mov_b32 s11, 0
	v_mov_b32_e32 v16, 0
	s_movk_i32 s12, 0x200
	v_mov_b32_e32 v19, v0
	s_waitcnt vmcnt(0)
	s_barrier
	s_branch .LBB639_71
.LBB639_70:                             ;   in Loop: Header=BB639_71 Depth=1
	s_or_b64 exec, exec, s[8:9]
	s_addk_i32 s11, 0xfc00
	s_add_i32 s10, s10, 8
	s_cmpk_eq_i32 s11, 0xf400
	v_add_u32_e32 v19, 0x400, v19
	s_waitcnt vmcnt(0)
	s_barrier
	s_cbranch_scc1 .LBB639_75
.LBB639_71:                             ; =>This Inner Loop Header: Depth=1
	v_add_u32_e32 v15, s11, v32
	v_min_u32_e32 v15, 0x400, v15
	v_lshlrev_b32_e32 v15, 3, v15
	ds_write_b64 v15, v[3:4] offset:1024
	v_add_u32_e32 v15, s11, v18
	v_min_u32_e32 v15, 0x400, v15
	v_lshlrev_b32_e32 v15, 3, v15
	ds_write_b64 v15, v[5:6] offset:1024
	;; [unrolled: 4-line block ×5, first 2 shown]
	v_add_u32_e32 v15, s11, v27
	v_min_u32_e32 v15, 0x400, v15
	v_lshlrev_b32_e32 v15, 3, v15
	v_cmp_gt_u32_e32 vcc, s7, v19
	ds_write_b64 v15, v[13:14] offset:1024
	s_waitcnt lgkmcnt(0)
	s_barrier
	s_and_saveexec_b64 s[8:9], vcc
	s_cbranch_execz .LBB639_73
; %bb.72:                               ;   in Loop: Header=BB639_71 Depth=1
	v_mov_b32_e32 v15, s10
	buffer_load_dword v15, v15, s[0:3], 0 offen
	v_mov_b32_e32 v21, s31
	s_waitcnt vmcnt(0)
	v_lshlrev_b32_e32 v15, 2, v15
	ds_read_b32 v15, v15
	ds_read_b64 v[33:34], v31 offset:1024
	s_waitcnt lgkmcnt(1)
	v_add_u32_e32 v15, v19, v15
	v_lshlrev_b64 v[35:36], 3, v[15:16]
	v_add_co_u32_e32 v35, vcc, s30, v35
	v_addc_co_u32_e32 v36, vcc, v21, v36, vcc
	s_waitcnt lgkmcnt(0)
	global_store_dwordx2 v[35:36], v[33:34], off
.LBB639_73:                             ;   in Loop: Header=BB639_71 Depth=1
	s_or_b64 exec, exec, s[8:9]
	v_add_u32_e32 v15, 0x200, v19
	v_cmp_gt_u32_e32 vcc, s7, v15
	s_and_saveexec_b64 s[8:9], vcc
	s_cbranch_execz .LBB639_70
; %bb.74:                               ;   in Loop: Header=BB639_71 Depth=1
	v_mov_b32_e32 v15, s10
	buffer_load_dword v15, v15, s[0:3], 0 offen offset:4
	v_mov_b32_e32 v21, s31
	s_waitcnt vmcnt(0)
	v_lshlrev_b32_e32 v15, 2, v15
	ds_read_b32 v15, v15
	ds_read_b64 v[33:34], v31 offset:5120
	s_waitcnt lgkmcnt(1)
	v_add3_u32 v15, v19, v15, s12
	v_lshlrev_b64 v[35:36], 3, v[15:16]
	v_add_co_u32_e32 v35, vcc, s30, v35
	v_addc_co_u32_e32 v36, vcc, v21, v36, vcc
	s_waitcnt lgkmcnt(0)
	global_store_dwordx2 v[35:36], v[33:34], off
	s_branch .LBB639_70
.LBB639_75:
	s_add_i32 s33, s33, -1
	s_cmp_eq_u32 s6, s33
	s_cselect_b64 s[8:9], -1, 0
	s_xor_b64 s[10:11], s[16:17], -1
	s_and_b64 s[10:11], s[10:11], s[8:9]
	s_and_saveexec_b64 s[8:9], s[10:11]
	s_cbranch_execz .LBB639_77
; %bb.76:
	ds_read_b32 v3, v26
	s_waitcnt lgkmcnt(0)
	v_add3_u32 v3, v28, v29, v3
	global_store_dword v26, v3, s[38:39]
.LBB639_77:
	s_or_b64 exec, exec, s[8:9]
	s_mov_b64 s[8:9], 0
.LBB639_78:
	s_and_b64 vcc, exec, s[8:9]
	s_cbranch_vccz .LBB639_115
; %bb.79:
	s_add_u32 s7, s24, s34
	v_mbcnt_hi_u32_b32 v6, -1, v17
	s_addc_u32 s8, s25, 0
	v_and_b32_e32 v8, 63, v6
	v_and_b32_e32 v9, 0x1c0, v0
	v_mov_b32_e32 v3, s8
	v_add_co_u32_e32 v4, vcc, s7, v8
	v_mul_u32_u24_e32 v7, 6, v9
	v_addc_co_u32_e32 v3, vcc, 0, v3, vcc
	v_add_co_u32_e32 v4, vcc, v4, v7
	v_addc_co_u32_e32 v5, vcc, 0, v3, vcc
	global_load_ubyte v10, v[4:5], off
	s_load_dword s8, s[4:5], 0x64
	s_load_dword s7, s[4:5], 0x58
	s_add_u32 s4, s4, 0x58
	s_addc_u32 s5, s5, 0
	v_mov_b32_e32 v3, 0
	s_waitcnt lgkmcnt(0)
	s_lshr_b32 s8, s8, 16
	s_cmp_lt_u32 s6, s7
	s_cselect_b32 s9, 12, 18
	s_add_u32 s4, s4, s9
	s_addc_u32 s5, s5, 0
	global_load_ushort v11, v3, s[4:5]
	global_load_ubyte v13, v[4:5], off offset:64
	global_load_ubyte v16, v[4:5], off offset:128
	global_load_ubyte v18, v[4:5], off offset:192
	global_load_ubyte v20, v[4:5], off offset:256
	global_load_ubyte v23, v[4:5], off offset:320
	s_lshl_b32 s4, -1, s41
	s_not_b32 s16, s4
	v_mad_u32_u24 v1, v2, s8, v1
	s_mov_b32 s35, 0
	s_waitcnt vmcnt(6)
	v_xor_b32_e32 v10, 0x80, v10
	v_lshrrev_b32_e32 v4, s40, v10
	v_and_b32_e32 v14, s16, v4
	v_and_b32_e32 v5, 1, v14
	v_add_co_u32_e32 v12, vcc, -1, v5
	v_lshlrev_b32_e32 v4, 30, v14
	v_addc_co_u32_e64 v15, s[4:5], 0, -1, vcc
	v_cmp_ne_u32_e32 vcc, 0, v5
	v_cmp_gt_i64_e64 s[4:5], 0, v[3:4]
	v_not_b32_e32 v5, v4
	v_lshlrev_b32_e32 v4, 29, v14
	v_xor_b32_e32 v15, vcc_hi, v15
	v_ashrrev_i32_e32 v5, 31, v5
	v_xor_b32_e32 v12, vcc_lo, v12
	v_cmp_gt_i64_e32 vcc, 0, v[3:4]
	v_not_b32_e32 v17, v4
	v_lshlrev_b32_e32 v4, 28, v14
	v_and_b32_e32 v15, exec_hi, v15
	v_xor_b32_e32 v19, s5, v5
	v_and_b32_e32 v12, exec_lo, v12
	v_xor_b32_e32 v5, s4, v5
	v_ashrrev_i32_e32 v17, 31, v17
	v_cmp_gt_i64_e64 s[4:5], 0, v[3:4]
	v_not_b32_e32 v21, v4
	v_lshlrev_b32_e32 v4, 27, v14
	v_and_b32_e32 v15, v15, v19
	v_and_b32_e32 v5, v12, v5
	v_xor_b32_e32 v12, vcc_hi, v17
	v_xor_b32_e32 v17, vcc_lo, v17
	v_ashrrev_i32_e32 v19, 31, v21
	v_cmp_gt_i64_e32 vcc, 0, v[3:4]
	v_not_b32_e32 v21, v4
	v_lshlrev_b32_e32 v4, 26, v14
	v_and_b32_e32 v12, v15, v12
	v_and_b32_e32 v5, v5, v17
	v_xor_b32_e32 v15, s5, v19
	v_xor_b32_e32 v17, s4, v19
	v_ashrrev_i32_e32 v19, 31, v21
	v_cmp_gt_i64_e64 s[4:5], 0, v[3:4]
	v_not_b32_e32 v21, v4
	v_lshlrev_b32_e32 v4, 25, v14
	v_and_b32_e32 v12, v12, v15
	v_and_b32_e32 v5, v5, v17
	v_xor_b32_e32 v15, vcc_hi, v19
	v_xor_b32_e32 v17, vcc_lo, v19
	v_ashrrev_i32_e32 v19, 31, v21
	v_cmp_gt_i64_e32 vcc, 0, v[3:4]
	v_not_b32_e32 v21, v4
	v_lshlrev_b32_e32 v4, 24, v14
	v_and_b32_e32 v12, v12, v15
	v_and_b32_e32 v5, v5, v17
	v_xor_b32_e32 v15, s5, v19
	v_xor_b32_e32 v17, s4, v19
	v_ashrrev_i32_e32 v19, 31, v21
	v_cmp_gt_i64_e64 s[4:5], 0, v[3:4]
	v_not_b32_e32 v4, v4
	v_and_b32_e32 v12, v12, v15
	v_and_b32_e32 v5, v5, v17
	v_xor_b32_e32 v15, vcc_hi, v19
	v_xor_b32_e32 v17, vcc_lo, v19
	v_ashrrev_i32_e32 v4, 31, v4
	v_and_b32_e32 v12, v12, v15
	v_and_b32_e32 v15, v5, v17
	v_xor_b32_e32 v5, s5, v4
	v_xor_b32_e32 v4, s4, v4
	s_waitcnt vmcnt(5)
	v_mad_u64_u32 v[1:2], s[4:5], v1, v11, v[0:1]
	v_and_b32_e32 v4, v15, v4
	v_and_b32_e32 v5, v12, v5
	v_mbcnt_lo_u32_b32 v2, v4, 0
	v_lshrrev_b32_e32 v1, 4, v1
	v_mbcnt_hi_u32_b32 v11, v5, v2
	v_cmp_ne_u64_e32 vcc, 0, v[4:5]
	v_and_b32_e32 v25, 0xffffffc, v1
	v_mul_u32_u24_e32 v1, 36, v14
	v_cmp_eq_u32_e64 s[4:5], 0, v11
	v_mul_u32_u24_e32 v12, 20, v0
	s_and_b64 s[8:9], vcc, s[4:5]
	v_add_u32_e32 v14, v25, v1
	ds_write2_b32 v12, v3, v3 offset0:8 offset1:9
	ds_write2_b32 v12, v3, v3 offset0:10 offset1:11
	ds_write_b32 v12, v3 offset:48
	s_waitcnt vmcnt(0) lgkmcnt(0)
	s_barrier
	; wave barrier
	s_and_saveexec_b64 s[4:5], s[8:9]
; %bb.80:
	v_bcnt_u32_b32 v1, v4, 0
	v_bcnt_u32_b32 v1, v5, v1
	ds_write_b32 v14, v1 offset:32
; %bb.81:
	s_or_b64 exec, exec, s[4:5]
	v_xor_b32_e32 v5, 0xffffff80, v13
	v_lshrrev_b32_sdwa v1, s40, v5 dst_sel:DWORD dst_unused:UNUSED_PAD src0_sel:DWORD src1_sel:BYTE_0
	v_and_b32_e32 v1, s16, v1
	v_mad_u32_u24 v2, v1, 36, v25
	; wave barrier
	ds_read_b32 v13, v2 offset:32
	v_and_b32_e32 v2, 1, v1
	v_add_co_u32_e32 v4, vcc, -1, v2
	v_addc_co_u32_e64 v15, s[4:5], 0, -1, vcc
	v_cmp_ne_u32_e32 vcc, 0, v2
	v_xor_b32_e32 v4, vcc_lo, v4
	v_xor_b32_e32 v2, vcc_hi, v15
	v_and_b32_e32 v15, exec_lo, v4
	v_lshlrev_b32_e32 v4, 30, v1
	v_cmp_gt_i64_e32 vcc, 0, v[3:4]
	v_not_b32_e32 v4, v4
	v_ashrrev_i32_e32 v4, 31, v4
	v_xor_b32_e32 v19, vcc_hi, v4
	v_xor_b32_e32 v4, vcc_lo, v4
	v_and_b32_e32 v15, v15, v4
	v_lshlrev_b32_e32 v4, 29, v1
	v_cmp_gt_i64_e32 vcc, 0, v[3:4]
	v_not_b32_e32 v4, v4
	v_and_b32_e32 v2, exec_hi, v2
	v_ashrrev_i32_e32 v4, 31, v4
	v_and_b32_e32 v2, v2, v19
	v_xor_b32_e32 v19, vcc_hi, v4
	v_xor_b32_e32 v4, vcc_lo, v4
	v_and_b32_e32 v15, v15, v4
	v_lshlrev_b32_e32 v4, 28, v1
	v_cmp_gt_i64_e32 vcc, 0, v[3:4]
	v_not_b32_e32 v4, v4
	v_ashrrev_i32_e32 v4, 31, v4
	v_and_b32_e32 v2, v2, v19
	v_xor_b32_e32 v19, vcc_hi, v4
	v_xor_b32_e32 v4, vcc_lo, v4
	v_and_b32_e32 v15, v15, v4
	v_lshlrev_b32_e32 v4, 27, v1
	v_cmp_gt_i64_e32 vcc, 0, v[3:4]
	v_not_b32_e32 v4, v4
	;; [unrolled: 8-line block ×4, first 2 shown]
	v_ashrrev_i32_e32 v4, 31, v4
	v_and_b32_e32 v2, v2, v19
	v_xor_b32_e32 v19, vcc_hi, v4
	v_xor_b32_e32 v4, vcc_lo, v4
	v_and_b32_e32 v15, v15, v4
	v_lshlrev_b32_e32 v4, 24, v1
	v_mul_u32_u24_e32 v17, 36, v1
	v_cmp_gt_i64_e32 vcc, 0, v[3:4]
	v_not_b32_e32 v1, v4
	v_ashrrev_i32_e32 v1, 31, v1
	v_xor_b32_e32 v3, vcc_hi, v1
	v_xor_b32_e32 v1, vcc_lo, v1
	v_and_b32_e32 v2, v2, v19
	v_and_b32_e32 v1, v15, v1
	;; [unrolled: 1-line block ×3, first 2 shown]
	v_mbcnt_lo_u32_b32 v3, v1, 0
	v_mbcnt_hi_u32_b32 v15, v2, v3
	v_cmp_ne_u64_e32 vcc, 0, v[1:2]
	v_cmp_eq_u32_e64 s[4:5], 0, v15
	s_and_b64 s[8:9], vcc, s[4:5]
	v_add_u32_e32 v24, v25, v17
	; wave barrier
	s_and_saveexec_b64 s[4:5], s[8:9]
	s_cbranch_execz .LBB639_83
; %bb.82:
	v_bcnt_u32_b32 v1, v1, 0
	v_bcnt_u32_b32 v1, v2, v1
	s_waitcnt lgkmcnt(0)
	v_add_u32_e32 v1, v13, v1
	ds_write_b32 v24, v1 offset:32
.LBB639_83:
	s_or_b64 exec, exec, s[4:5]
	v_xor_b32_e32 v21, 0xffffff80, v16
	v_lshrrev_b32_sdwa v1, s40, v21 dst_sel:DWORD dst_unused:UNUSED_PAD src0_sel:DWORD src1_sel:BYTE_0
	v_and_b32_e32 v3, s16, v1
	v_and_b32_e32 v2, 1, v3
	v_add_co_u32_e32 v17, vcc, -1, v2
	v_addc_co_u32_e64 v19, s[4:5], 0, -1, vcc
	v_cmp_ne_u32_e32 vcc, 0, v2
	v_mad_u32_u24 v1, v3, 36, v25
	v_xor_b32_e32 v2, vcc_hi, v19
	; wave barrier
	ds_read_b32 v16, v1 offset:32
	v_mov_b32_e32 v1, 0
	v_and_b32_e32 v19, exec_hi, v2
	v_lshlrev_b32_e32 v2, 30, v3
	v_xor_b32_e32 v17, vcc_lo, v17
	v_cmp_gt_i64_e32 vcc, 0, v[1:2]
	v_not_b32_e32 v2, v2
	v_ashrrev_i32_e32 v2, 31, v2
	v_and_b32_e32 v17, exec_lo, v17
	v_xor_b32_e32 v22, vcc_hi, v2
	v_xor_b32_e32 v2, vcc_lo, v2
	v_and_b32_e32 v17, v17, v2
	v_lshlrev_b32_e32 v2, 29, v3
	v_cmp_gt_i64_e32 vcc, 0, v[1:2]
	v_not_b32_e32 v2, v2
	v_ashrrev_i32_e32 v2, 31, v2
	v_and_b32_e32 v19, v19, v22
	v_xor_b32_e32 v22, vcc_hi, v2
	v_xor_b32_e32 v2, vcc_lo, v2
	v_and_b32_e32 v17, v17, v2
	v_lshlrev_b32_e32 v2, 28, v3
	v_cmp_gt_i64_e32 vcc, 0, v[1:2]
	v_not_b32_e32 v2, v2
	v_ashrrev_i32_e32 v2, 31, v2
	v_and_b32_e32 v19, v19, v22
	;; [unrolled: 8-line block ×5, first 2 shown]
	v_xor_b32_e32 v22, vcc_hi, v2
	v_xor_b32_e32 v2, vcc_lo, v2
	v_and_b32_e32 v17, v17, v2
	v_lshlrev_b32_e32 v2, 24, v3
	v_cmp_gt_i64_e32 vcc, 0, v[1:2]
	v_not_b32_e32 v2, v2
	v_ashrrev_i32_e32 v2, 31, v2
	v_mul_u32_u24_e32 v4, 36, v3
	v_xor_b32_e32 v3, vcc_hi, v2
	v_xor_b32_e32 v2, vcc_lo, v2
	v_and_b32_e32 v19, v19, v22
	v_and_b32_e32 v2, v17, v2
	;; [unrolled: 1-line block ×3, first 2 shown]
	v_mbcnt_lo_u32_b32 v17, v2, 0
	v_mbcnt_hi_u32_b32 v17, v3, v17
	v_cmp_ne_u64_e32 vcc, 0, v[2:3]
	v_cmp_eq_u32_e64 s[4:5], 0, v17
	s_and_b64 s[8:9], vcc, s[4:5]
	v_add_u32_e32 v28, v25, v4
	; wave barrier
	s_and_saveexec_b64 s[4:5], s[8:9]
	s_cbranch_execz .LBB639_85
; %bb.84:
	v_bcnt_u32_b32 v2, v2, 0
	v_bcnt_u32_b32 v2, v3, v2
	s_waitcnt lgkmcnt(0)
	v_add_u32_e32 v2, v16, v2
	ds_write_b32 v28, v2 offset:32
.LBB639_85:
	s_or_b64 exec, exec, s[4:5]
	v_xor_b32_e32 v26, 0xffffff80, v18
	v_lshrrev_b32_sdwa v2, s40, v26 dst_sel:DWORD dst_unused:UNUSED_PAD src0_sel:DWORD src1_sel:BYTE_0
	v_and_b32_e32 v3, s16, v2
	v_mad_u32_u24 v2, v3, 36, v25
	; wave barrier
	ds_read_b32 v18, v2 offset:32
	v_and_b32_e32 v2, 1, v3
	v_add_co_u32_e32 v19, vcc, -1, v2
	v_addc_co_u32_e64 v22, s[4:5], 0, -1, vcc
	v_cmp_ne_u32_e32 vcc, 0, v2
	v_xor_b32_e32 v2, vcc_hi, v22
	v_and_b32_e32 v22, exec_hi, v2
	v_lshlrev_b32_e32 v2, 30, v3
	v_xor_b32_e32 v19, vcc_lo, v19
	v_cmp_gt_i64_e32 vcc, 0, v[1:2]
	v_not_b32_e32 v2, v2
	v_ashrrev_i32_e32 v2, 31, v2
	v_and_b32_e32 v19, exec_lo, v19
	v_xor_b32_e32 v27, vcc_hi, v2
	v_xor_b32_e32 v2, vcc_lo, v2
	v_and_b32_e32 v19, v19, v2
	v_lshlrev_b32_e32 v2, 29, v3
	v_cmp_gt_i64_e32 vcc, 0, v[1:2]
	v_not_b32_e32 v2, v2
	v_ashrrev_i32_e32 v2, 31, v2
	v_and_b32_e32 v22, v22, v27
	v_xor_b32_e32 v27, vcc_hi, v2
	v_xor_b32_e32 v2, vcc_lo, v2
	v_and_b32_e32 v19, v19, v2
	v_lshlrev_b32_e32 v2, 28, v3
	v_cmp_gt_i64_e32 vcc, 0, v[1:2]
	v_not_b32_e32 v2, v2
	v_ashrrev_i32_e32 v2, 31, v2
	v_and_b32_e32 v22, v22, v27
	;; [unrolled: 8-line block ×5, first 2 shown]
	v_xor_b32_e32 v27, vcc_hi, v2
	v_xor_b32_e32 v2, vcc_lo, v2
	v_and_b32_e32 v19, v19, v2
	v_lshlrev_b32_e32 v2, 24, v3
	v_cmp_gt_i64_e32 vcc, 0, v[1:2]
	v_not_b32_e32 v1, v2
	v_ashrrev_i32_e32 v1, 31, v1
	v_xor_b32_e32 v2, vcc_hi, v1
	v_xor_b32_e32 v1, vcc_lo, v1
	v_and_b32_e32 v22, v22, v27
	v_and_b32_e32 v1, v19, v1
	v_mul_u32_u24_e32 v4, 36, v3
	v_and_b32_e32 v2, v22, v2
	v_mbcnt_lo_u32_b32 v3, v1, 0
	v_mbcnt_hi_u32_b32 v19, v2, v3
	v_cmp_ne_u64_e32 vcc, 0, v[1:2]
	v_cmp_eq_u32_e64 s[4:5], 0, v19
	s_and_b64 s[8:9], vcc, s[4:5]
	v_add_u32_e32 v29, v25, v4
	; wave barrier
	s_and_saveexec_b64 s[4:5], s[8:9]
	s_cbranch_execz .LBB639_87
; %bb.86:
	v_bcnt_u32_b32 v1, v1, 0
	v_bcnt_u32_b32 v1, v2, v1
	s_waitcnt lgkmcnt(0)
	v_add_u32_e32 v1, v18, v1
	ds_write_b32 v29, v1 offset:32
.LBB639_87:
	s_or_b64 exec, exec, s[4:5]
	v_xor_b32_e32 v30, 0xffffff80, v20
	v_lshrrev_b32_sdwa v1, s40, v30 dst_sel:DWORD dst_unused:UNUSED_PAD src0_sel:DWORD src1_sel:BYTE_0
	v_and_b32_e32 v3, s16, v1
	v_and_b32_e32 v2, 1, v3
	v_add_co_u32_e32 v22, vcc, -1, v2
	v_addc_co_u32_e64 v27, s[4:5], 0, -1, vcc
	v_cmp_ne_u32_e32 vcc, 0, v2
	v_mad_u32_u24 v1, v3, 36, v25
	v_xor_b32_e32 v2, vcc_hi, v27
	; wave barrier
	ds_read_b32 v20, v1 offset:32
	v_mov_b32_e32 v1, 0
	v_and_b32_e32 v27, exec_hi, v2
	v_lshlrev_b32_e32 v2, 30, v3
	v_xor_b32_e32 v22, vcc_lo, v22
	v_cmp_gt_i64_e32 vcc, 0, v[1:2]
	v_not_b32_e32 v2, v2
	v_ashrrev_i32_e32 v2, 31, v2
	v_and_b32_e32 v22, exec_lo, v22
	v_xor_b32_e32 v31, vcc_hi, v2
	v_xor_b32_e32 v2, vcc_lo, v2
	v_and_b32_e32 v22, v22, v2
	v_lshlrev_b32_e32 v2, 29, v3
	v_cmp_gt_i64_e32 vcc, 0, v[1:2]
	v_not_b32_e32 v2, v2
	v_ashrrev_i32_e32 v2, 31, v2
	v_and_b32_e32 v27, v27, v31
	v_xor_b32_e32 v31, vcc_hi, v2
	v_xor_b32_e32 v2, vcc_lo, v2
	v_and_b32_e32 v22, v22, v2
	v_lshlrev_b32_e32 v2, 28, v3
	v_cmp_gt_i64_e32 vcc, 0, v[1:2]
	v_not_b32_e32 v2, v2
	v_ashrrev_i32_e32 v2, 31, v2
	v_and_b32_e32 v27, v27, v31
	;; [unrolled: 8-line block ×5, first 2 shown]
	v_xor_b32_e32 v31, vcc_hi, v2
	v_xor_b32_e32 v2, vcc_lo, v2
	v_and_b32_e32 v22, v22, v2
	v_lshlrev_b32_e32 v2, 24, v3
	v_cmp_gt_i64_e32 vcc, 0, v[1:2]
	v_not_b32_e32 v2, v2
	v_ashrrev_i32_e32 v2, 31, v2
	v_mul_u32_u24_e32 v4, 36, v3
	v_xor_b32_e32 v3, vcc_hi, v2
	v_xor_b32_e32 v2, vcc_lo, v2
	v_and_b32_e32 v27, v27, v31
	v_and_b32_e32 v2, v22, v2
	;; [unrolled: 1-line block ×3, first 2 shown]
	v_mbcnt_lo_u32_b32 v22, v2, 0
	v_mbcnt_hi_u32_b32 v22, v3, v22
	v_cmp_ne_u64_e32 vcc, 0, v[2:3]
	v_cmp_eq_u32_e64 s[4:5], 0, v22
	s_and_b64 s[8:9], vcc, s[4:5]
	v_add_u32_e32 v34, v25, v4
	; wave barrier
	s_and_saveexec_b64 s[4:5], s[8:9]
	s_cbranch_execz .LBB639_89
; %bb.88:
	v_bcnt_u32_b32 v2, v2, 0
	v_bcnt_u32_b32 v2, v3, v2
	s_waitcnt lgkmcnt(0)
	v_add_u32_e32 v2, v20, v2
	ds_write_b32 v34, v2 offset:32
.LBB639_89:
	s_or_b64 exec, exec, s[4:5]
	v_xor_b32_e32 v35, 0xffffff80, v23
	v_lshrrev_b32_sdwa v2, s40, v35 dst_sel:DWORD dst_unused:UNUSED_PAD src0_sel:DWORD src1_sel:BYTE_0
	v_and_b32_e32 v3, s16, v2
	v_mad_u32_u24 v2, v3, 36, v25
	; wave barrier
	ds_read_b32 v23, v2 offset:32
	v_and_b32_e32 v2, 1, v3
	v_add_co_u32_e32 v27, vcc, -1, v2
	v_addc_co_u32_e64 v31, s[4:5], 0, -1, vcc
	v_cmp_ne_u32_e32 vcc, 0, v2
	v_xor_b32_e32 v2, vcc_hi, v31
	v_and_b32_e32 v31, exec_hi, v2
	v_lshlrev_b32_e32 v2, 30, v3
	v_xor_b32_e32 v27, vcc_lo, v27
	v_cmp_gt_i64_e32 vcc, 0, v[1:2]
	v_not_b32_e32 v2, v2
	v_ashrrev_i32_e32 v2, 31, v2
	v_and_b32_e32 v27, exec_lo, v27
	v_xor_b32_e32 v32, vcc_hi, v2
	v_xor_b32_e32 v2, vcc_lo, v2
	v_and_b32_e32 v27, v27, v2
	v_lshlrev_b32_e32 v2, 29, v3
	v_cmp_gt_i64_e32 vcc, 0, v[1:2]
	v_not_b32_e32 v2, v2
	v_ashrrev_i32_e32 v2, 31, v2
	v_and_b32_e32 v31, v31, v32
	v_xor_b32_e32 v32, vcc_hi, v2
	v_xor_b32_e32 v2, vcc_lo, v2
	v_and_b32_e32 v27, v27, v2
	v_lshlrev_b32_e32 v2, 28, v3
	v_cmp_gt_i64_e32 vcc, 0, v[1:2]
	v_not_b32_e32 v2, v2
	v_ashrrev_i32_e32 v2, 31, v2
	v_and_b32_e32 v31, v31, v32
	;; [unrolled: 8-line block ×5, first 2 shown]
	v_xor_b32_e32 v32, vcc_hi, v2
	v_xor_b32_e32 v2, vcc_lo, v2
	v_and_b32_e32 v27, v27, v2
	v_lshlrev_b32_e32 v2, 24, v3
	v_cmp_gt_i64_e32 vcc, 0, v[1:2]
	v_not_b32_e32 v1, v2
	v_ashrrev_i32_e32 v1, 31, v1
	v_xor_b32_e32 v2, vcc_hi, v1
	v_xor_b32_e32 v1, vcc_lo, v1
	v_and_b32_e32 v31, v31, v32
	v_and_b32_e32 v1, v27, v1
	v_mul_u32_u24_e32 v4, 36, v3
	v_and_b32_e32 v2, v31, v2
	v_mbcnt_lo_u32_b32 v3, v1, 0
	v_mbcnt_hi_u32_b32 v27, v2, v3
	v_cmp_ne_u64_e32 vcc, 0, v[1:2]
	v_cmp_eq_u32_e64 s[4:5], 0, v27
	s_and_b64 s[8:9], vcc, s[4:5]
	v_add_u32_e32 v36, v25, v4
	; wave barrier
	s_and_saveexec_b64 s[4:5], s[8:9]
	s_cbranch_execz .LBB639_91
; %bb.90:
	v_bcnt_u32_b32 v1, v1, 0
	v_bcnt_u32_b32 v1, v2, v1
	s_waitcnt lgkmcnt(0)
	v_add_u32_e32 v1, v23, v1
	ds_write_b32 v36, v1 offset:32
.LBB639_91:
	s_or_b64 exec, exec, s[4:5]
	; wave barrier
	s_waitcnt lgkmcnt(0)
	s_barrier
	ds_read2_b32 v[3:4], v12 offset0:8 offset1:9
	ds_read2_b32 v[1:2], v12 offset0:10 offset1:11
	ds_read_b32 v25, v12 offset:48
	v_min_u32_e32 v9, 0x1c0, v9
	v_or_b32_e32 v9, 63, v9
	s_waitcnt lgkmcnt(1)
	v_add3_u32 v31, v4, v3, v1
	s_waitcnt lgkmcnt(0)
	v_add3_u32 v25, v31, v2, v25
	v_and_b32_e32 v31, 15, v6
	v_cmp_ne_u32_e32 vcc, 0, v31
	v_mov_b32_dpp v32, v25 row_shr:1 row_mask:0xf bank_mask:0xf
	v_cndmask_b32_e32 v32, 0, v32, vcc
	v_add_u32_e32 v25, v32, v25
	v_cmp_lt_u32_e32 vcc, 1, v31
	s_nop 0
	v_mov_b32_dpp v32, v25 row_shr:2 row_mask:0xf bank_mask:0xf
	v_cndmask_b32_e32 v32, 0, v32, vcc
	v_add_u32_e32 v25, v25, v32
	v_cmp_lt_u32_e32 vcc, 3, v31
	s_nop 0
	;; [unrolled: 5-line block ×3, first 2 shown]
	v_mov_b32_dpp v32, v25 row_shr:8 row_mask:0xf bank_mask:0xf
	v_cndmask_b32_e32 v31, 0, v32, vcc
	v_add_u32_e32 v25, v25, v31
	v_bfe_i32 v32, v6, 4, 1
	v_cmp_lt_u32_e32 vcc, 31, v6
	v_mov_b32_dpp v31, v25 row_bcast:15 row_mask:0xf bank_mask:0xf
	v_and_b32_e32 v31, v32, v31
	v_add_u32_e32 v25, v25, v31
	v_lshrrev_b32_e32 v32, 6, v0
	s_nop 0
	v_mov_b32_dpp v31, v25 row_bcast:31 row_mask:0xf bank_mask:0xf
	v_cndmask_b32_e32 v31, 0, v31, vcc
	v_add_u32_e32 v31, v25, v31
	v_cmp_eq_u32_e32 vcc, v0, v9
	s_and_saveexec_b64 s[4:5], vcc
; %bb.92:
	v_lshlrev_b32_e32 v9, 2, v32
	ds_write_b32 v9, v31
; %bb.93:
	s_or_b64 exec, exec, s[4:5]
	v_cmp_gt_u32_e32 vcc, 8, v0
	v_lshlrev_b32_e32 v25, 2, v0
	s_waitcnt lgkmcnt(0)
	s_barrier
	s_and_saveexec_b64 s[4:5], vcc
	s_cbranch_execz .LBB639_95
; %bb.94:
	ds_read_b32 v9, v25
	v_and_b32_e32 v33, 7, v6
	v_cmp_ne_u32_e32 vcc, 0, v33
	s_waitcnt lgkmcnt(0)
	v_mov_b32_dpp v37, v9 row_shr:1 row_mask:0xf bank_mask:0xf
	v_cndmask_b32_e32 v37, 0, v37, vcc
	v_add_u32_e32 v9, v37, v9
	v_cmp_lt_u32_e32 vcc, 1, v33
	s_nop 0
	v_mov_b32_dpp v37, v9 row_shr:2 row_mask:0xf bank_mask:0xf
	v_cndmask_b32_e32 v37, 0, v37, vcc
	v_add_u32_e32 v9, v9, v37
	v_cmp_lt_u32_e32 vcc, 3, v33
	s_nop 0
	v_mov_b32_dpp v37, v9 row_shr:4 row_mask:0xf bank_mask:0xf
	v_cndmask_b32_e32 v33, 0, v37, vcc
	v_add_u32_e32 v9, v9, v33
	ds_write_b32 v25, v9
.LBB639_95:
	s_or_b64 exec, exec, s[4:5]
	v_cmp_lt_u32_e32 vcc, 63, v0
	v_mov_b32_e32 v9, 0
	s_waitcnt lgkmcnt(0)
	s_barrier
	s_and_saveexec_b64 s[4:5], vcc
; %bb.96:
	v_lshl_add_u32 v9, v32, 2, -4
	ds_read_b32 v9, v9
; %bb.97:
	s_or_b64 exec, exec, s[4:5]
	v_subrev_co_u32_e32 v32, vcc, 1, v6
	v_and_b32_e32 v33, 64, v6
	v_cmp_lt_i32_e64 s[4:5], v32, v33
	v_cndmask_b32_e64 v6, v32, v6, s[4:5]
	s_waitcnt lgkmcnt(0)
	v_add_u32_e32 v31, v9, v31
	v_lshlrev_b32_e32 v6, 2, v6
	ds_bpermute_b32 v6, v6, v31
	s_movk_i32 s4, 0xff
	s_movk_i32 s8, 0x100
	s_waitcnt lgkmcnt(0)
	v_cndmask_b32_e32 v6, v6, v9, vcc
	v_cmp_ne_u32_e32 vcc, 0, v0
	v_cndmask_b32_e32 v6, 0, v6, vcc
	v_add_u32_e32 v3, v6, v3
	v_add_u32_e32 v4, v3, v4
	;; [unrolled: 1-line block ×4, first 2 shown]
	ds_write2_b32 v12, v6, v3 offset0:8 offset1:9
	ds_write2_b32 v12, v4, v1 offset0:10 offset1:11
	ds_write_b32 v12, v2 offset:48
	s_waitcnt lgkmcnt(0)
	s_barrier
	ds_read_b32 v1, v14 offset:32
	ds_read_b32 v31, v24 offset:32
	;; [unrolled: 1-line block ×6, first 2 shown]
	v_cmp_lt_u32_e32 vcc, s4, v0
	v_cmp_gt_u32_e64 s[4:5], s8, v0
                                        ; implicit-def: $vgpr24
                                        ; implicit-def: $vgpr28
	s_and_saveexec_b64 s[10:11], s[4:5]
	s_cbranch_execz .LBB639_101
; %bb.98:
	v_mul_u32_u24_e32 v2, 36, v0
	ds_read_b32 v24, v2 offset:32
	v_add_u32_e32 v3, 1, v0
	v_cmp_ne_u32_e64 s[8:9], s8, v3
	v_mov_b32_e32 v2, 0xc00
	s_and_saveexec_b64 s[12:13], s[8:9]
; %bb.99:
	v_mul_u32_u24_e32 v2, 36, v3
	ds_read_b32 v2, v2 offset:32
; %bb.100:
	s_or_b64 exec, exec, s[12:13]
	s_waitcnt lgkmcnt(0)
	v_sub_u32_e32 v28, v2, v24
.LBB639_101:
	s_or_b64 exec, exec, s[10:11]
	s_waitcnt lgkmcnt(5)
	v_add_u32_e32 v29, v1, v11
	s_waitcnt lgkmcnt(3)
	v_add3_u32 v2, v17, v16, v32
	v_add3_u32 v1, v15, v13, v31
	s_waitcnt lgkmcnt(2)
	v_add3_u32 v3, v19, v18, v33
	s_waitcnt lgkmcnt(1)
	;; [unrolled: 2-line block ×3, first 2 shown]
	v_add3_u32 v6, v27, v23, v14
	s_barrier
	ds_write_b8 v29, v10 offset:1024
	ds_write_b8 v1, v5 offset:1024
	ds_write_b8 v2, v21 offset:1024
	ds_write_b8 v3, v26 offset:1024
	ds_write_b8 v4, v30 offset:1024
	ds_write_b8 v6, v35 offset:1024
	v_mov_b32_e32 v2, 0
	s_and_saveexec_b64 s[8:9], s[4:5]
	s_cbranch_execz .LBB639_111
; %bb.102:
	v_lshl_add_u32 v1, s6, 8, v0
	v_lshlrev_b64 v[3:4], 2, v[1:2]
	v_mov_b32_e32 v9, s45
	v_add_co_u32_e64 v3, s[4:5], s44, v3
	v_addc_co_u32_e64 v4, s[4:5], v9, v4, s[4:5]
	v_or_b32_e32 v1, 2.0, v28
	s_mov_b64 s[10:11], 0
	s_brev_b32 s17, -4
	s_mov_b32 s18, s6
	v_mov_b32_e32 v10, 0
	global_store_dword v[3:4], v1, off
                                        ; implicit-def: $sgpr4_sgpr5
	s_branch .LBB639_105
.LBB639_103:                            ;   in Loop: Header=BB639_105 Depth=1
	s_or_b64 exec, exec, s[14:15]
.LBB639_104:                            ;   in Loop: Header=BB639_105 Depth=1
	s_or_b64 exec, exec, s[12:13]
	v_and_b32_e32 v5, 0x3fffffff, v1
	v_add_u32_e32 v10, v5, v10
	v_cmp_gt_i32_e64 s[4:5], -2.0, v1
	s_and_b64 s[12:13], exec, s[4:5]
	s_or_b64 s[10:11], s[12:13], s[10:11]
	s_andn2_b64 exec, exec, s[10:11]
	s_cbranch_execz .LBB639_110
.LBB639_105:                            ; =>This Loop Header: Depth=1
                                        ;     Child Loop BB639_108 Depth 2
	s_or_b64 s[4:5], s[4:5], exec
	s_cmp_eq_u32 s18, 0
	s_cbranch_scc1 .LBB639_109
; %bb.106:                              ;   in Loop: Header=BB639_105 Depth=1
	s_add_i32 s18, s18, -1
	v_lshl_or_b32 v1, s18, 8, v0
	v_lshlrev_b64 v[5:6], 2, v[1:2]
	v_add_co_u32_e64 v5, s[4:5], s44, v5
	v_addc_co_u32_e64 v6, s[4:5], v9, v6, s[4:5]
	global_load_dword v1, v[5:6], off glc
	s_waitcnt vmcnt(0)
	v_cmp_gt_u32_e64 s[4:5], 2.0, v1
	s_and_saveexec_b64 s[12:13], s[4:5]
	s_cbranch_execz .LBB639_104
; %bb.107:                              ;   in Loop: Header=BB639_105 Depth=1
	s_mov_b64 s[14:15], 0
.LBB639_108:                            ;   Parent Loop BB639_105 Depth=1
                                        ; =>  This Inner Loop Header: Depth=2
	global_load_dword v1, v[5:6], off glc
	s_waitcnt vmcnt(0)
	v_cmp_lt_u32_e64 s[4:5], s17, v1
	s_or_b64 s[14:15], s[4:5], s[14:15]
	s_andn2_b64 exec, exec, s[14:15]
	s_cbranch_execnz .LBB639_108
	s_branch .LBB639_103
.LBB639_109:                            ;   in Loop: Header=BB639_105 Depth=1
                                        ; implicit-def: $sgpr18
	s_and_b64 s[12:13], exec, s[4:5]
	s_or_b64 s[10:11], s[12:13], s[10:11]
	s_andn2_b64 exec, exec, s[10:11]
	s_cbranch_execnz .LBB639_105
.LBB639_110:
	s_or_b64 exec, exec, s[10:11]
	v_add_u32_e32 v1, v10, v28
	v_or_b32_e32 v1, 0x80000000, v1
	global_store_dword v[3:4], v1, off
	global_load_dword v1, v25, s[36:37]
	v_sub_u32_e32 v2, v10, v24
	s_waitcnt vmcnt(0)
	v_add_u32_e32 v1, v2, v1
	ds_write_b32 v25, v1
.LBB639_111:
	s_or_b64 exec, exec, s[8:9]
	s_waitcnt lgkmcnt(0)
	s_barrier
	ds_read_u8 v1, v0 offset:1024
	ds_read_u8 v2, v0 offset:1536
	;; [unrolled: 1-line block ×6, first 2 shown]
	s_waitcnt lgkmcnt(5)
	v_lshrrev_b32_sdwa v9, s40, v1 dst_sel:DWORD dst_unused:UNUSED_PAD src0_sel:DWORD src1_sel:BYTE_0
	s_waitcnt lgkmcnt(4)
	v_lshrrev_b32_sdwa v10, s40, v2 dst_sel:DWORD dst_unused:UNUSED_PAD src0_sel:DWORD src1_sel:BYTE_0
	;; [unrolled: 2-line block ×6, first 2 shown]
	v_and_b32_e32 v21, s16, v9
	v_and_b32_e32 v26, s16, v10
	v_and_b32_e32 v30, s16, v11
	v_and_b32_e32 v37, s16, v12
	v_and_b32_e32 v38, s16, v35
	v_and_b32_e32 v39, s16, v36
	v_lshlrev_b32_e32 v9, 2, v21
	v_lshlrev_b32_e32 v10, 2, v26
	;; [unrolled: 1-line block ×6, first 2 shown]
	ds_read_b32 v9, v9
	ds_read_b32 v10, v10
	;; [unrolled: 1-line block ×6, first 2 shown]
	v_xor_b32_e32 v1, 0x80, v1
	s_waitcnt lgkmcnt(5)
	v_add_u32_e32 v9, v9, v0
	s_movk_i32 s8, 0x200
	global_store_byte v9, v1, s[26:27]
	v_xor_b32_e32 v1, 0x80, v2
	s_waitcnt lgkmcnt(4)
	v_add3_u32 v2, v0, v10, s8
	s_movk_i32 s4, 0x400
	global_store_byte v2, v1, s[26:27]
	v_xor_b32_e32 v1, 0x80, v3
	s_waitcnt lgkmcnt(3)
	v_add3_u32 v2, v11, v0, s4
	;; [unrolled: 5-line block ×4, first 2 shown]
	s_movk_i32 s4, 0xa00
	global_store_byte v2, v1, s[26:27]
	s_waitcnt lgkmcnt(0)
	v_add3_u32 v2, v0, v36, s4
	s_lshl_b64 s[4:5], s[34:35], 3
	v_xor_b32_e32 v1, 0x80, v6
	s_add_u32 s4, s28, s4
	global_store_byte v2, v1, s[26:27]
	s_addc_u32 s5, s29, s5
	v_lshlrev_b32_e32 v1, 3, v8
	v_mov_b32_e32 v2, s5
	v_add_co_u32_e64 v1, s[4:5], s4, v1
	v_addc_co_u32_e64 v2, s[4:5], 0, v2, s[4:5]
	v_lshlrev_b32_e32 v3, 3, v7
	v_add_co_u32_e64 v35, s[4:5], v1, v3
	v_addc_co_u32_e64 v36, s[4:5], 0, v2, s[4:5]
	global_load_dwordx2 v[1:2], v[35:36], off
	global_load_dwordx2 v[3:4], v[35:36], off offset:512
	global_load_dwordx2 v[5:6], v[35:36], off offset:1024
	;; [unrolled: 1-line block ×5, first 2 shown]
	v_add3_u32 v20, v22, v34, v20
	v_mul_u32_u24_e32 v22, 7, v0
	buffer_store_dword v21, off, s[0:3], 0
	buffer_store_dword v26, off, s[0:3], 0 offset:4
	buffer_store_dword v30, off, s[0:3], 0 offset:8
	;; [unrolled: 1-line block ×5, first 2 shown]
	v_add3_u32 v21, v27, v14, v23
	v_mov_b32_e32 v14, 0
	v_add3_u32 v18, v19, v33, v18
	v_add3_u32 v16, v17, v32, v16
	;; [unrolled: 1-line block ×3, first 2 shown]
	s_mov_b32 s9, 0
	s_mov_b32 s10, 0
	v_add_u32_e32 v17, v0, v22
	v_mov_b32_e32 v19, s31
	s_waitcnt vmcnt(0)
	s_barrier
.LBB639_112:                            ; =>This Inner Loop Header: Depth=1
	v_add_u32_e32 v13, s10, v29
	v_add_u32_e32 v22, s10, v15
	v_add_u32_e32 v23, s10, v16
	v_add_u32_e32 v26, s10, v18
	v_add_u32_e32 v27, s10, v20
	v_add_u32_e32 v30, s10, v21
	v_min_u32_e32 v13, 0x400, v13
	v_min_u32_e32 v22, 0x400, v22
	v_mov_b32_e32 v31, s9
	v_min_u32_e32 v23, 0x400, v23
	v_min_u32_e32 v26, 0x400, v26
	;; [unrolled: 1-line block ×4, first 2 shown]
	v_lshlrev_b32_e32 v13, 3, v13
	v_lshlrev_b32_e32 v22, 3, v22
	;; [unrolled: 1-line block ×6, first 2 shown]
	ds_write_b64 v13, v[1:2] offset:1024
	ds_write_b64 v22, v[3:4] offset:1024
	ds_write_b64 v23, v[5:6] offset:1024
	ds_write_b64 v26, v[7:8] offset:1024
	ds_write_b64 v27, v[9:10] offset:1024
	ds_write_b64 v30, v[11:12] offset:1024
	s_waitcnt lgkmcnt(0)
	s_barrier
	buffer_load_dword v13, v31, s[0:3], 0 offen
	buffer_load_dword v22, v31, s[0:3], 0 offen offset:4
	ds_read2st64_b64 v[30:33], v17 offset0:2 offset1:10
	s_addk_i32 s10, 0xfc00
	s_add_i32 s9, s9, 8
	s_cmpk_lg_i32 s10, 0xf400
	s_waitcnt vmcnt(1)
	v_lshlrev_b32_e32 v13, 2, v13
	s_waitcnt vmcnt(0)
	v_lshlrev_b32_e32 v22, 2, v22
	ds_read_b32 v13, v13
	ds_read_b32 v26, v22
	s_waitcnt lgkmcnt(1)
	v_add_u32_e32 v13, v0, v13
	v_lshlrev_b64 v[22:23], 3, v[13:14]
	s_waitcnt lgkmcnt(0)
	v_add3_u32 v13, v0, v26, s8
	v_lshlrev_b64 v[26:27], 3, v[13:14]
	v_add_co_u32_e64 v22, s[4:5], s30, v22
	v_addc_co_u32_e64 v23, s[4:5], v19, v23, s[4:5]
	global_store_dwordx2 v[22:23], v[30:31], off
	v_add_co_u32_e64 v22, s[4:5], s30, v26
	v_add_u32_e32 v0, 0x400, v0
	v_addc_co_u32_e64 v23, s[4:5], v19, v27, s[4:5]
	global_store_dwordx2 v[22:23], v[32:33], off
	s_waitcnt vmcnt(0)
	s_barrier
	s_cbranch_scc1 .LBB639_112
; %bb.113:
	s_add_i32 s7, s7, -1
	s_cmp_eq_u32 s6, s7
	s_cselect_b64 s[4:5], -1, 0
	s_xor_b64 s[6:7], vcc, -1
	s_and_b64 s[4:5], s[6:7], s[4:5]
	s_and_saveexec_b64 s[6:7], s[4:5]
	s_cbranch_execz .LBB639_115
; %bb.114:
	ds_read_b32 v0, v25
	s_waitcnt lgkmcnt(0)
	v_add3_u32 v0, v24, v28, v0
	global_store_dword v25, v0, s[38:39]
.LBB639_115:
	s_endpgm
	.section	.rodata,"a",@progbits
	.p2align	6, 0x0
	.amdhsa_kernel _ZN7rocprim17ROCPRIM_400000_NS6detail17trampoline_kernelINS0_14default_configENS1_35radix_sort_onesweep_config_selectorIalEEZZNS1_29radix_sort_onesweep_iterationIS3_Lb0EPaS7_N6thrust23THRUST_200600_302600_NS10device_ptrIlEESB_jNS0_19identity_decomposerENS1_16block_id_wrapperIjLb0EEEEE10hipError_tT1_PNSt15iterator_traitsISG_E10value_typeET2_T3_PNSH_ISM_E10value_typeET4_T5_PSR_SS_PNS1_23onesweep_lookback_stateEbbT6_jjT7_P12ihipStream_tbENKUlT_T0_SG_SL_E_clIS7_S7_SB_PlEEDaSZ_S10_SG_SL_EUlSZ_E_NS1_11comp_targetILNS1_3genE2ELNS1_11target_archE906ELNS1_3gpuE6ELNS1_3repE0EEENS1_47radix_sort_onesweep_sort_config_static_selectorELNS0_4arch9wavefront6targetE1EEEvSG_
		.amdhsa_group_segment_fixed_size 10280
		.amdhsa_private_segment_fixed_size 32
		.amdhsa_kernarg_size 344
		.amdhsa_user_sgpr_count 6
		.amdhsa_user_sgpr_private_segment_buffer 1
		.amdhsa_user_sgpr_dispatch_ptr 0
		.amdhsa_user_sgpr_queue_ptr 0
		.amdhsa_user_sgpr_kernarg_segment_ptr 1
		.amdhsa_user_sgpr_dispatch_id 0
		.amdhsa_user_sgpr_flat_scratch_init 0
		.amdhsa_user_sgpr_private_segment_size 0
		.amdhsa_uses_dynamic_stack 0
		.amdhsa_system_sgpr_private_segment_wavefront_offset 1
		.amdhsa_system_sgpr_workgroup_id_x 1
		.amdhsa_system_sgpr_workgroup_id_y 0
		.amdhsa_system_sgpr_workgroup_id_z 0
		.amdhsa_system_sgpr_workgroup_info 0
		.amdhsa_system_vgpr_workitem_id 2
		.amdhsa_next_free_vgpr 41
		.amdhsa_next_free_sgpr 53
		.amdhsa_reserve_vcc 1
		.amdhsa_reserve_flat_scratch 0
		.amdhsa_float_round_mode_32 0
		.amdhsa_float_round_mode_16_64 0
		.amdhsa_float_denorm_mode_32 3
		.amdhsa_float_denorm_mode_16_64 3
		.amdhsa_dx10_clamp 1
		.amdhsa_ieee_mode 1
		.amdhsa_fp16_overflow 0
		.amdhsa_exception_fp_ieee_invalid_op 0
		.amdhsa_exception_fp_denorm_src 0
		.amdhsa_exception_fp_ieee_div_zero 0
		.amdhsa_exception_fp_ieee_overflow 0
		.amdhsa_exception_fp_ieee_underflow 0
		.amdhsa_exception_fp_ieee_inexact 0
		.amdhsa_exception_int_div_zero 0
	.end_amdhsa_kernel
	.section	.text._ZN7rocprim17ROCPRIM_400000_NS6detail17trampoline_kernelINS0_14default_configENS1_35radix_sort_onesweep_config_selectorIalEEZZNS1_29radix_sort_onesweep_iterationIS3_Lb0EPaS7_N6thrust23THRUST_200600_302600_NS10device_ptrIlEESB_jNS0_19identity_decomposerENS1_16block_id_wrapperIjLb0EEEEE10hipError_tT1_PNSt15iterator_traitsISG_E10value_typeET2_T3_PNSH_ISM_E10value_typeET4_T5_PSR_SS_PNS1_23onesweep_lookback_stateEbbT6_jjT7_P12ihipStream_tbENKUlT_T0_SG_SL_E_clIS7_S7_SB_PlEEDaSZ_S10_SG_SL_EUlSZ_E_NS1_11comp_targetILNS1_3genE2ELNS1_11target_archE906ELNS1_3gpuE6ELNS1_3repE0EEENS1_47radix_sort_onesweep_sort_config_static_selectorELNS0_4arch9wavefront6targetE1EEEvSG_,"axG",@progbits,_ZN7rocprim17ROCPRIM_400000_NS6detail17trampoline_kernelINS0_14default_configENS1_35radix_sort_onesweep_config_selectorIalEEZZNS1_29radix_sort_onesweep_iterationIS3_Lb0EPaS7_N6thrust23THRUST_200600_302600_NS10device_ptrIlEESB_jNS0_19identity_decomposerENS1_16block_id_wrapperIjLb0EEEEE10hipError_tT1_PNSt15iterator_traitsISG_E10value_typeET2_T3_PNSH_ISM_E10value_typeET4_T5_PSR_SS_PNS1_23onesweep_lookback_stateEbbT6_jjT7_P12ihipStream_tbENKUlT_T0_SG_SL_E_clIS7_S7_SB_PlEEDaSZ_S10_SG_SL_EUlSZ_E_NS1_11comp_targetILNS1_3genE2ELNS1_11target_archE906ELNS1_3gpuE6ELNS1_3repE0EEENS1_47radix_sort_onesweep_sort_config_static_selectorELNS0_4arch9wavefront6targetE1EEEvSG_,comdat
.Lfunc_end639:
	.size	_ZN7rocprim17ROCPRIM_400000_NS6detail17trampoline_kernelINS0_14default_configENS1_35radix_sort_onesweep_config_selectorIalEEZZNS1_29radix_sort_onesweep_iterationIS3_Lb0EPaS7_N6thrust23THRUST_200600_302600_NS10device_ptrIlEESB_jNS0_19identity_decomposerENS1_16block_id_wrapperIjLb0EEEEE10hipError_tT1_PNSt15iterator_traitsISG_E10value_typeET2_T3_PNSH_ISM_E10value_typeET4_T5_PSR_SS_PNS1_23onesweep_lookback_stateEbbT6_jjT7_P12ihipStream_tbENKUlT_T0_SG_SL_E_clIS7_S7_SB_PlEEDaSZ_S10_SG_SL_EUlSZ_E_NS1_11comp_targetILNS1_3genE2ELNS1_11target_archE906ELNS1_3gpuE6ELNS1_3repE0EEENS1_47radix_sort_onesweep_sort_config_static_selectorELNS0_4arch9wavefront6targetE1EEEvSG_, .Lfunc_end639-_ZN7rocprim17ROCPRIM_400000_NS6detail17trampoline_kernelINS0_14default_configENS1_35radix_sort_onesweep_config_selectorIalEEZZNS1_29radix_sort_onesweep_iterationIS3_Lb0EPaS7_N6thrust23THRUST_200600_302600_NS10device_ptrIlEESB_jNS0_19identity_decomposerENS1_16block_id_wrapperIjLb0EEEEE10hipError_tT1_PNSt15iterator_traitsISG_E10value_typeET2_T3_PNSH_ISM_E10value_typeET4_T5_PSR_SS_PNS1_23onesweep_lookback_stateEbbT6_jjT7_P12ihipStream_tbENKUlT_T0_SG_SL_E_clIS7_S7_SB_PlEEDaSZ_S10_SG_SL_EUlSZ_E_NS1_11comp_targetILNS1_3genE2ELNS1_11target_archE906ELNS1_3gpuE6ELNS1_3repE0EEENS1_47radix_sort_onesweep_sort_config_static_selectorELNS0_4arch9wavefront6targetE1EEEvSG_
                                        ; -- End function
	.set _ZN7rocprim17ROCPRIM_400000_NS6detail17trampoline_kernelINS0_14default_configENS1_35radix_sort_onesweep_config_selectorIalEEZZNS1_29radix_sort_onesweep_iterationIS3_Lb0EPaS7_N6thrust23THRUST_200600_302600_NS10device_ptrIlEESB_jNS0_19identity_decomposerENS1_16block_id_wrapperIjLb0EEEEE10hipError_tT1_PNSt15iterator_traitsISG_E10value_typeET2_T3_PNSH_ISM_E10value_typeET4_T5_PSR_SS_PNS1_23onesweep_lookback_stateEbbT6_jjT7_P12ihipStream_tbENKUlT_T0_SG_SL_E_clIS7_S7_SB_PlEEDaSZ_S10_SG_SL_EUlSZ_E_NS1_11comp_targetILNS1_3genE2ELNS1_11target_archE906ELNS1_3gpuE6ELNS1_3repE0EEENS1_47radix_sort_onesweep_sort_config_static_selectorELNS0_4arch9wavefront6targetE1EEEvSG_.num_vgpr, 41
	.set _ZN7rocprim17ROCPRIM_400000_NS6detail17trampoline_kernelINS0_14default_configENS1_35radix_sort_onesweep_config_selectorIalEEZZNS1_29radix_sort_onesweep_iterationIS3_Lb0EPaS7_N6thrust23THRUST_200600_302600_NS10device_ptrIlEESB_jNS0_19identity_decomposerENS1_16block_id_wrapperIjLb0EEEEE10hipError_tT1_PNSt15iterator_traitsISG_E10value_typeET2_T3_PNSH_ISM_E10value_typeET4_T5_PSR_SS_PNS1_23onesweep_lookback_stateEbbT6_jjT7_P12ihipStream_tbENKUlT_T0_SG_SL_E_clIS7_S7_SB_PlEEDaSZ_S10_SG_SL_EUlSZ_E_NS1_11comp_targetILNS1_3genE2ELNS1_11target_archE906ELNS1_3gpuE6ELNS1_3repE0EEENS1_47radix_sort_onesweep_sort_config_static_selectorELNS0_4arch9wavefront6targetE1EEEvSG_.num_agpr, 0
	.set _ZN7rocprim17ROCPRIM_400000_NS6detail17trampoline_kernelINS0_14default_configENS1_35radix_sort_onesweep_config_selectorIalEEZZNS1_29radix_sort_onesweep_iterationIS3_Lb0EPaS7_N6thrust23THRUST_200600_302600_NS10device_ptrIlEESB_jNS0_19identity_decomposerENS1_16block_id_wrapperIjLb0EEEEE10hipError_tT1_PNSt15iterator_traitsISG_E10value_typeET2_T3_PNSH_ISM_E10value_typeET4_T5_PSR_SS_PNS1_23onesweep_lookback_stateEbbT6_jjT7_P12ihipStream_tbENKUlT_T0_SG_SL_E_clIS7_S7_SB_PlEEDaSZ_S10_SG_SL_EUlSZ_E_NS1_11comp_targetILNS1_3genE2ELNS1_11target_archE906ELNS1_3gpuE6ELNS1_3repE0EEENS1_47radix_sort_onesweep_sort_config_static_selectorELNS0_4arch9wavefront6targetE1EEEvSG_.numbered_sgpr, 53
	.set _ZN7rocprim17ROCPRIM_400000_NS6detail17trampoline_kernelINS0_14default_configENS1_35radix_sort_onesweep_config_selectorIalEEZZNS1_29radix_sort_onesweep_iterationIS3_Lb0EPaS7_N6thrust23THRUST_200600_302600_NS10device_ptrIlEESB_jNS0_19identity_decomposerENS1_16block_id_wrapperIjLb0EEEEE10hipError_tT1_PNSt15iterator_traitsISG_E10value_typeET2_T3_PNSH_ISM_E10value_typeET4_T5_PSR_SS_PNS1_23onesweep_lookback_stateEbbT6_jjT7_P12ihipStream_tbENKUlT_T0_SG_SL_E_clIS7_S7_SB_PlEEDaSZ_S10_SG_SL_EUlSZ_E_NS1_11comp_targetILNS1_3genE2ELNS1_11target_archE906ELNS1_3gpuE6ELNS1_3repE0EEENS1_47radix_sort_onesweep_sort_config_static_selectorELNS0_4arch9wavefront6targetE1EEEvSG_.num_named_barrier, 0
	.set _ZN7rocprim17ROCPRIM_400000_NS6detail17trampoline_kernelINS0_14default_configENS1_35radix_sort_onesweep_config_selectorIalEEZZNS1_29radix_sort_onesweep_iterationIS3_Lb0EPaS7_N6thrust23THRUST_200600_302600_NS10device_ptrIlEESB_jNS0_19identity_decomposerENS1_16block_id_wrapperIjLb0EEEEE10hipError_tT1_PNSt15iterator_traitsISG_E10value_typeET2_T3_PNSH_ISM_E10value_typeET4_T5_PSR_SS_PNS1_23onesweep_lookback_stateEbbT6_jjT7_P12ihipStream_tbENKUlT_T0_SG_SL_E_clIS7_S7_SB_PlEEDaSZ_S10_SG_SL_EUlSZ_E_NS1_11comp_targetILNS1_3genE2ELNS1_11target_archE906ELNS1_3gpuE6ELNS1_3repE0EEENS1_47radix_sort_onesweep_sort_config_static_selectorELNS0_4arch9wavefront6targetE1EEEvSG_.private_seg_size, 32
	.set _ZN7rocprim17ROCPRIM_400000_NS6detail17trampoline_kernelINS0_14default_configENS1_35radix_sort_onesweep_config_selectorIalEEZZNS1_29radix_sort_onesweep_iterationIS3_Lb0EPaS7_N6thrust23THRUST_200600_302600_NS10device_ptrIlEESB_jNS0_19identity_decomposerENS1_16block_id_wrapperIjLb0EEEEE10hipError_tT1_PNSt15iterator_traitsISG_E10value_typeET2_T3_PNSH_ISM_E10value_typeET4_T5_PSR_SS_PNS1_23onesweep_lookback_stateEbbT6_jjT7_P12ihipStream_tbENKUlT_T0_SG_SL_E_clIS7_S7_SB_PlEEDaSZ_S10_SG_SL_EUlSZ_E_NS1_11comp_targetILNS1_3genE2ELNS1_11target_archE906ELNS1_3gpuE6ELNS1_3repE0EEENS1_47radix_sort_onesweep_sort_config_static_selectorELNS0_4arch9wavefront6targetE1EEEvSG_.uses_vcc, 1
	.set _ZN7rocprim17ROCPRIM_400000_NS6detail17trampoline_kernelINS0_14default_configENS1_35radix_sort_onesweep_config_selectorIalEEZZNS1_29radix_sort_onesweep_iterationIS3_Lb0EPaS7_N6thrust23THRUST_200600_302600_NS10device_ptrIlEESB_jNS0_19identity_decomposerENS1_16block_id_wrapperIjLb0EEEEE10hipError_tT1_PNSt15iterator_traitsISG_E10value_typeET2_T3_PNSH_ISM_E10value_typeET4_T5_PSR_SS_PNS1_23onesweep_lookback_stateEbbT6_jjT7_P12ihipStream_tbENKUlT_T0_SG_SL_E_clIS7_S7_SB_PlEEDaSZ_S10_SG_SL_EUlSZ_E_NS1_11comp_targetILNS1_3genE2ELNS1_11target_archE906ELNS1_3gpuE6ELNS1_3repE0EEENS1_47radix_sort_onesweep_sort_config_static_selectorELNS0_4arch9wavefront6targetE1EEEvSG_.uses_flat_scratch, 0
	.set _ZN7rocprim17ROCPRIM_400000_NS6detail17trampoline_kernelINS0_14default_configENS1_35radix_sort_onesweep_config_selectorIalEEZZNS1_29radix_sort_onesweep_iterationIS3_Lb0EPaS7_N6thrust23THRUST_200600_302600_NS10device_ptrIlEESB_jNS0_19identity_decomposerENS1_16block_id_wrapperIjLb0EEEEE10hipError_tT1_PNSt15iterator_traitsISG_E10value_typeET2_T3_PNSH_ISM_E10value_typeET4_T5_PSR_SS_PNS1_23onesweep_lookback_stateEbbT6_jjT7_P12ihipStream_tbENKUlT_T0_SG_SL_E_clIS7_S7_SB_PlEEDaSZ_S10_SG_SL_EUlSZ_E_NS1_11comp_targetILNS1_3genE2ELNS1_11target_archE906ELNS1_3gpuE6ELNS1_3repE0EEENS1_47radix_sort_onesweep_sort_config_static_selectorELNS0_4arch9wavefront6targetE1EEEvSG_.has_dyn_sized_stack, 0
	.set _ZN7rocprim17ROCPRIM_400000_NS6detail17trampoline_kernelINS0_14default_configENS1_35radix_sort_onesweep_config_selectorIalEEZZNS1_29radix_sort_onesweep_iterationIS3_Lb0EPaS7_N6thrust23THRUST_200600_302600_NS10device_ptrIlEESB_jNS0_19identity_decomposerENS1_16block_id_wrapperIjLb0EEEEE10hipError_tT1_PNSt15iterator_traitsISG_E10value_typeET2_T3_PNSH_ISM_E10value_typeET4_T5_PSR_SS_PNS1_23onesweep_lookback_stateEbbT6_jjT7_P12ihipStream_tbENKUlT_T0_SG_SL_E_clIS7_S7_SB_PlEEDaSZ_S10_SG_SL_EUlSZ_E_NS1_11comp_targetILNS1_3genE2ELNS1_11target_archE906ELNS1_3gpuE6ELNS1_3repE0EEENS1_47radix_sort_onesweep_sort_config_static_selectorELNS0_4arch9wavefront6targetE1EEEvSG_.has_recursion, 0
	.set _ZN7rocprim17ROCPRIM_400000_NS6detail17trampoline_kernelINS0_14default_configENS1_35radix_sort_onesweep_config_selectorIalEEZZNS1_29radix_sort_onesweep_iterationIS3_Lb0EPaS7_N6thrust23THRUST_200600_302600_NS10device_ptrIlEESB_jNS0_19identity_decomposerENS1_16block_id_wrapperIjLb0EEEEE10hipError_tT1_PNSt15iterator_traitsISG_E10value_typeET2_T3_PNSH_ISM_E10value_typeET4_T5_PSR_SS_PNS1_23onesweep_lookback_stateEbbT6_jjT7_P12ihipStream_tbENKUlT_T0_SG_SL_E_clIS7_S7_SB_PlEEDaSZ_S10_SG_SL_EUlSZ_E_NS1_11comp_targetILNS1_3genE2ELNS1_11target_archE906ELNS1_3gpuE6ELNS1_3repE0EEENS1_47radix_sort_onesweep_sort_config_static_selectorELNS0_4arch9wavefront6targetE1EEEvSG_.has_indirect_call, 0
	.section	.AMDGPU.csdata,"",@progbits
; Kernel info:
; codeLenInByte = 10228
; TotalNumSgprs: 57
; NumVgprs: 41
; ScratchSize: 32
; MemoryBound: 0
; FloatMode: 240
; IeeeMode: 1
; LDSByteSize: 10280 bytes/workgroup (compile time only)
; SGPRBlocks: 7
; VGPRBlocks: 10
; NumSGPRsForWavesPerEU: 57
; NumVGPRsForWavesPerEU: 41
; Occupancy: 5
; WaveLimiterHint : 1
; COMPUTE_PGM_RSRC2:SCRATCH_EN: 1
; COMPUTE_PGM_RSRC2:USER_SGPR: 6
; COMPUTE_PGM_RSRC2:TRAP_HANDLER: 0
; COMPUTE_PGM_RSRC2:TGID_X_EN: 1
; COMPUTE_PGM_RSRC2:TGID_Y_EN: 0
; COMPUTE_PGM_RSRC2:TGID_Z_EN: 0
; COMPUTE_PGM_RSRC2:TIDIG_COMP_CNT: 2
	.section	.text._ZN7rocprim17ROCPRIM_400000_NS6detail17trampoline_kernelINS0_14default_configENS1_35radix_sort_onesweep_config_selectorIalEEZZNS1_29radix_sort_onesweep_iterationIS3_Lb0EPaS7_N6thrust23THRUST_200600_302600_NS10device_ptrIlEESB_jNS0_19identity_decomposerENS1_16block_id_wrapperIjLb0EEEEE10hipError_tT1_PNSt15iterator_traitsISG_E10value_typeET2_T3_PNSH_ISM_E10value_typeET4_T5_PSR_SS_PNS1_23onesweep_lookback_stateEbbT6_jjT7_P12ihipStream_tbENKUlT_T0_SG_SL_E_clIS7_S7_SB_PlEEDaSZ_S10_SG_SL_EUlSZ_E_NS1_11comp_targetILNS1_3genE4ELNS1_11target_archE910ELNS1_3gpuE8ELNS1_3repE0EEENS1_47radix_sort_onesweep_sort_config_static_selectorELNS0_4arch9wavefront6targetE1EEEvSG_,"axG",@progbits,_ZN7rocprim17ROCPRIM_400000_NS6detail17trampoline_kernelINS0_14default_configENS1_35radix_sort_onesweep_config_selectorIalEEZZNS1_29radix_sort_onesweep_iterationIS3_Lb0EPaS7_N6thrust23THRUST_200600_302600_NS10device_ptrIlEESB_jNS0_19identity_decomposerENS1_16block_id_wrapperIjLb0EEEEE10hipError_tT1_PNSt15iterator_traitsISG_E10value_typeET2_T3_PNSH_ISM_E10value_typeET4_T5_PSR_SS_PNS1_23onesweep_lookback_stateEbbT6_jjT7_P12ihipStream_tbENKUlT_T0_SG_SL_E_clIS7_S7_SB_PlEEDaSZ_S10_SG_SL_EUlSZ_E_NS1_11comp_targetILNS1_3genE4ELNS1_11target_archE910ELNS1_3gpuE8ELNS1_3repE0EEENS1_47radix_sort_onesweep_sort_config_static_selectorELNS0_4arch9wavefront6targetE1EEEvSG_,comdat
	.protected	_ZN7rocprim17ROCPRIM_400000_NS6detail17trampoline_kernelINS0_14default_configENS1_35radix_sort_onesweep_config_selectorIalEEZZNS1_29radix_sort_onesweep_iterationIS3_Lb0EPaS7_N6thrust23THRUST_200600_302600_NS10device_ptrIlEESB_jNS0_19identity_decomposerENS1_16block_id_wrapperIjLb0EEEEE10hipError_tT1_PNSt15iterator_traitsISG_E10value_typeET2_T3_PNSH_ISM_E10value_typeET4_T5_PSR_SS_PNS1_23onesweep_lookback_stateEbbT6_jjT7_P12ihipStream_tbENKUlT_T0_SG_SL_E_clIS7_S7_SB_PlEEDaSZ_S10_SG_SL_EUlSZ_E_NS1_11comp_targetILNS1_3genE4ELNS1_11target_archE910ELNS1_3gpuE8ELNS1_3repE0EEENS1_47radix_sort_onesweep_sort_config_static_selectorELNS0_4arch9wavefront6targetE1EEEvSG_ ; -- Begin function _ZN7rocprim17ROCPRIM_400000_NS6detail17trampoline_kernelINS0_14default_configENS1_35radix_sort_onesweep_config_selectorIalEEZZNS1_29radix_sort_onesweep_iterationIS3_Lb0EPaS7_N6thrust23THRUST_200600_302600_NS10device_ptrIlEESB_jNS0_19identity_decomposerENS1_16block_id_wrapperIjLb0EEEEE10hipError_tT1_PNSt15iterator_traitsISG_E10value_typeET2_T3_PNSH_ISM_E10value_typeET4_T5_PSR_SS_PNS1_23onesweep_lookback_stateEbbT6_jjT7_P12ihipStream_tbENKUlT_T0_SG_SL_E_clIS7_S7_SB_PlEEDaSZ_S10_SG_SL_EUlSZ_E_NS1_11comp_targetILNS1_3genE4ELNS1_11target_archE910ELNS1_3gpuE8ELNS1_3repE0EEENS1_47radix_sort_onesweep_sort_config_static_selectorELNS0_4arch9wavefront6targetE1EEEvSG_
	.globl	_ZN7rocprim17ROCPRIM_400000_NS6detail17trampoline_kernelINS0_14default_configENS1_35radix_sort_onesweep_config_selectorIalEEZZNS1_29radix_sort_onesweep_iterationIS3_Lb0EPaS7_N6thrust23THRUST_200600_302600_NS10device_ptrIlEESB_jNS0_19identity_decomposerENS1_16block_id_wrapperIjLb0EEEEE10hipError_tT1_PNSt15iterator_traitsISG_E10value_typeET2_T3_PNSH_ISM_E10value_typeET4_T5_PSR_SS_PNS1_23onesweep_lookback_stateEbbT6_jjT7_P12ihipStream_tbENKUlT_T0_SG_SL_E_clIS7_S7_SB_PlEEDaSZ_S10_SG_SL_EUlSZ_E_NS1_11comp_targetILNS1_3genE4ELNS1_11target_archE910ELNS1_3gpuE8ELNS1_3repE0EEENS1_47radix_sort_onesweep_sort_config_static_selectorELNS0_4arch9wavefront6targetE1EEEvSG_
	.p2align	8
	.type	_ZN7rocprim17ROCPRIM_400000_NS6detail17trampoline_kernelINS0_14default_configENS1_35radix_sort_onesweep_config_selectorIalEEZZNS1_29radix_sort_onesweep_iterationIS3_Lb0EPaS7_N6thrust23THRUST_200600_302600_NS10device_ptrIlEESB_jNS0_19identity_decomposerENS1_16block_id_wrapperIjLb0EEEEE10hipError_tT1_PNSt15iterator_traitsISG_E10value_typeET2_T3_PNSH_ISM_E10value_typeET4_T5_PSR_SS_PNS1_23onesweep_lookback_stateEbbT6_jjT7_P12ihipStream_tbENKUlT_T0_SG_SL_E_clIS7_S7_SB_PlEEDaSZ_S10_SG_SL_EUlSZ_E_NS1_11comp_targetILNS1_3genE4ELNS1_11target_archE910ELNS1_3gpuE8ELNS1_3repE0EEENS1_47radix_sort_onesweep_sort_config_static_selectorELNS0_4arch9wavefront6targetE1EEEvSG_,@function
_ZN7rocprim17ROCPRIM_400000_NS6detail17trampoline_kernelINS0_14default_configENS1_35radix_sort_onesweep_config_selectorIalEEZZNS1_29radix_sort_onesweep_iterationIS3_Lb0EPaS7_N6thrust23THRUST_200600_302600_NS10device_ptrIlEESB_jNS0_19identity_decomposerENS1_16block_id_wrapperIjLb0EEEEE10hipError_tT1_PNSt15iterator_traitsISG_E10value_typeET2_T3_PNSH_ISM_E10value_typeET4_T5_PSR_SS_PNS1_23onesweep_lookback_stateEbbT6_jjT7_P12ihipStream_tbENKUlT_T0_SG_SL_E_clIS7_S7_SB_PlEEDaSZ_S10_SG_SL_EUlSZ_E_NS1_11comp_targetILNS1_3genE4ELNS1_11target_archE910ELNS1_3gpuE8ELNS1_3repE0EEENS1_47radix_sort_onesweep_sort_config_static_selectorELNS0_4arch9wavefront6targetE1EEEvSG_: ; @_ZN7rocprim17ROCPRIM_400000_NS6detail17trampoline_kernelINS0_14default_configENS1_35radix_sort_onesweep_config_selectorIalEEZZNS1_29radix_sort_onesweep_iterationIS3_Lb0EPaS7_N6thrust23THRUST_200600_302600_NS10device_ptrIlEESB_jNS0_19identity_decomposerENS1_16block_id_wrapperIjLb0EEEEE10hipError_tT1_PNSt15iterator_traitsISG_E10value_typeET2_T3_PNSH_ISM_E10value_typeET4_T5_PSR_SS_PNS1_23onesweep_lookback_stateEbbT6_jjT7_P12ihipStream_tbENKUlT_T0_SG_SL_E_clIS7_S7_SB_PlEEDaSZ_S10_SG_SL_EUlSZ_E_NS1_11comp_targetILNS1_3genE4ELNS1_11target_archE910ELNS1_3gpuE8ELNS1_3repE0EEENS1_47radix_sort_onesweep_sort_config_static_selectorELNS0_4arch9wavefront6targetE1EEEvSG_
; %bb.0:
	.section	.rodata,"a",@progbits
	.p2align	6, 0x0
	.amdhsa_kernel _ZN7rocprim17ROCPRIM_400000_NS6detail17trampoline_kernelINS0_14default_configENS1_35radix_sort_onesweep_config_selectorIalEEZZNS1_29radix_sort_onesweep_iterationIS3_Lb0EPaS7_N6thrust23THRUST_200600_302600_NS10device_ptrIlEESB_jNS0_19identity_decomposerENS1_16block_id_wrapperIjLb0EEEEE10hipError_tT1_PNSt15iterator_traitsISG_E10value_typeET2_T3_PNSH_ISM_E10value_typeET4_T5_PSR_SS_PNS1_23onesweep_lookback_stateEbbT6_jjT7_P12ihipStream_tbENKUlT_T0_SG_SL_E_clIS7_S7_SB_PlEEDaSZ_S10_SG_SL_EUlSZ_E_NS1_11comp_targetILNS1_3genE4ELNS1_11target_archE910ELNS1_3gpuE8ELNS1_3repE0EEENS1_47radix_sort_onesweep_sort_config_static_selectorELNS0_4arch9wavefront6targetE1EEEvSG_
		.amdhsa_group_segment_fixed_size 0
		.amdhsa_private_segment_fixed_size 0
		.amdhsa_kernarg_size 88
		.amdhsa_user_sgpr_count 6
		.amdhsa_user_sgpr_private_segment_buffer 1
		.amdhsa_user_sgpr_dispatch_ptr 0
		.amdhsa_user_sgpr_queue_ptr 0
		.amdhsa_user_sgpr_kernarg_segment_ptr 1
		.amdhsa_user_sgpr_dispatch_id 0
		.amdhsa_user_sgpr_flat_scratch_init 0
		.amdhsa_user_sgpr_private_segment_size 0
		.amdhsa_uses_dynamic_stack 0
		.amdhsa_system_sgpr_private_segment_wavefront_offset 0
		.amdhsa_system_sgpr_workgroup_id_x 1
		.amdhsa_system_sgpr_workgroup_id_y 0
		.amdhsa_system_sgpr_workgroup_id_z 0
		.amdhsa_system_sgpr_workgroup_info 0
		.amdhsa_system_vgpr_workitem_id 0
		.amdhsa_next_free_vgpr 1
		.amdhsa_next_free_sgpr 0
		.amdhsa_reserve_vcc 0
		.amdhsa_reserve_flat_scratch 0
		.amdhsa_float_round_mode_32 0
		.amdhsa_float_round_mode_16_64 0
		.amdhsa_float_denorm_mode_32 3
		.amdhsa_float_denorm_mode_16_64 3
		.amdhsa_dx10_clamp 1
		.amdhsa_ieee_mode 1
		.amdhsa_fp16_overflow 0
		.amdhsa_exception_fp_ieee_invalid_op 0
		.amdhsa_exception_fp_denorm_src 0
		.amdhsa_exception_fp_ieee_div_zero 0
		.amdhsa_exception_fp_ieee_overflow 0
		.amdhsa_exception_fp_ieee_underflow 0
		.amdhsa_exception_fp_ieee_inexact 0
		.amdhsa_exception_int_div_zero 0
	.end_amdhsa_kernel
	.section	.text._ZN7rocprim17ROCPRIM_400000_NS6detail17trampoline_kernelINS0_14default_configENS1_35radix_sort_onesweep_config_selectorIalEEZZNS1_29radix_sort_onesweep_iterationIS3_Lb0EPaS7_N6thrust23THRUST_200600_302600_NS10device_ptrIlEESB_jNS0_19identity_decomposerENS1_16block_id_wrapperIjLb0EEEEE10hipError_tT1_PNSt15iterator_traitsISG_E10value_typeET2_T3_PNSH_ISM_E10value_typeET4_T5_PSR_SS_PNS1_23onesweep_lookback_stateEbbT6_jjT7_P12ihipStream_tbENKUlT_T0_SG_SL_E_clIS7_S7_SB_PlEEDaSZ_S10_SG_SL_EUlSZ_E_NS1_11comp_targetILNS1_3genE4ELNS1_11target_archE910ELNS1_3gpuE8ELNS1_3repE0EEENS1_47radix_sort_onesweep_sort_config_static_selectorELNS0_4arch9wavefront6targetE1EEEvSG_,"axG",@progbits,_ZN7rocprim17ROCPRIM_400000_NS6detail17trampoline_kernelINS0_14default_configENS1_35radix_sort_onesweep_config_selectorIalEEZZNS1_29radix_sort_onesweep_iterationIS3_Lb0EPaS7_N6thrust23THRUST_200600_302600_NS10device_ptrIlEESB_jNS0_19identity_decomposerENS1_16block_id_wrapperIjLb0EEEEE10hipError_tT1_PNSt15iterator_traitsISG_E10value_typeET2_T3_PNSH_ISM_E10value_typeET4_T5_PSR_SS_PNS1_23onesweep_lookback_stateEbbT6_jjT7_P12ihipStream_tbENKUlT_T0_SG_SL_E_clIS7_S7_SB_PlEEDaSZ_S10_SG_SL_EUlSZ_E_NS1_11comp_targetILNS1_3genE4ELNS1_11target_archE910ELNS1_3gpuE8ELNS1_3repE0EEENS1_47radix_sort_onesweep_sort_config_static_selectorELNS0_4arch9wavefront6targetE1EEEvSG_,comdat
.Lfunc_end640:
	.size	_ZN7rocprim17ROCPRIM_400000_NS6detail17trampoline_kernelINS0_14default_configENS1_35radix_sort_onesweep_config_selectorIalEEZZNS1_29radix_sort_onesweep_iterationIS3_Lb0EPaS7_N6thrust23THRUST_200600_302600_NS10device_ptrIlEESB_jNS0_19identity_decomposerENS1_16block_id_wrapperIjLb0EEEEE10hipError_tT1_PNSt15iterator_traitsISG_E10value_typeET2_T3_PNSH_ISM_E10value_typeET4_T5_PSR_SS_PNS1_23onesweep_lookback_stateEbbT6_jjT7_P12ihipStream_tbENKUlT_T0_SG_SL_E_clIS7_S7_SB_PlEEDaSZ_S10_SG_SL_EUlSZ_E_NS1_11comp_targetILNS1_3genE4ELNS1_11target_archE910ELNS1_3gpuE8ELNS1_3repE0EEENS1_47radix_sort_onesweep_sort_config_static_selectorELNS0_4arch9wavefront6targetE1EEEvSG_, .Lfunc_end640-_ZN7rocprim17ROCPRIM_400000_NS6detail17trampoline_kernelINS0_14default_configENS1_35radix_sort_onesweep_config_selectorIalEEZZNS1_29radix_sort_onesweep_iterationIS3_Lb0EPaS7_N6thrust23THRUST_200600_302600_NS10device_ptrIlEESB_jNS0_19identity_decomposerENS1_16block_id_wrapperIjLb0EEEEE10hipError_tT1_PNSt15iterator_traitsISG_E10value_typeET2_T3_PNSH_ISM_E10value_typeET4_T5_PSR_SS_PNS1_23onesweep_lookback_stateEbbT6_jjT7_P12ihipStream_tbENKUlT_T0_SG_SL_E_clIS7_S7_SB_PlEEDaSZ_S10_SG_SL_EUlSZ_E_NS1_11comp_targetILNS1_3genE4ELNS1_11target_archE910ELNS1_3gpuE8ELNS1_3repE0EEENS1_47radix_sort_onesweep_sort_config_static_selectorELNS0_4arch9wavefront6targetE1EEEvSG_
                                        ; -- End function
	.set _ZN7rocprim17ROCPRIM_400000_NS6detail17trampoline_kernelINS0_14default_configENS1_35radix_sort_onesweep_config_selectorIalEEZZNS1_29radix_sort_onesweep_iterationIS3_Lb0EPaS7_N6thrust23THRUST_200600_302600_NS10device_ptrIlEESB_jNS0_19identity_decomposerENS1_16block_id_wrapperIjLb0EEEEE10hipError_tT1_PNSt15iterator_traitsISG_E10value_typeET2_T3_PNSH_ISM_E10value_typeET4_T5_PSR_SS_PNS1_23onesweep_lookback_stateEbbT6_jjT7_P12ihipStream_tbENKUlT_T0_SG_SL_E_clIS7_S7_SB_PlEEDaSZ_S10_SG_SL_EUlSZ_E_NS1_11comp_targetILNS1_3genE4ELNS1_11target_archE910ELNS1_3gpuE8ELNS1_3repE0EEENS1_47radix_sort_onesweep_sort_config_static_selectorELNS0_4arch9wavefront6targetE1EEEvSG_.num_vgpr, 0
	.set _ZN7rocprim17ROCPRIM_400000_NS6detail17trampoline_kernelINS0_14default_configENS1_35radix_sort_onesweep_config_selectorIalEEZZNS1_29radix_sort_onesweep_iterationIS3_Lb0EPaS7_N6thrust23THRUST_200600_302600_NS10device_ptrIlEESB_jNS0_19identity_decomposerENS1_16block_id_wrapperIjLb0EEEEE10hipError_tT1_PNSt15iterator_traitsISG_E10value_typeET2_T3_PNSH_ISM_E10value_typeET4_T5_PSR_SS_PNS1_23onesweep_lookback_stateEbbT6_jjT7_P12ihipStream_tbENKUlT_T0_SG_SL_E_clIS7_S7_SB_PlEEDaSZ_S10_SG_SL_EUlSZ_E_NS1_11comp_targetILNS1_3genE4ELNS1_11target_archE910ELNS1_3gpuE8ELNS1_3repE0EEENS1_47radix_sort_onesweep_sort_config_static_selectorELNS0_4arch9wavefront6targetE1EEEvSG_.num_agpr, 0
	.set _ZN7rocprim17ROCPRIM_400000_NS6detail17trampoline_kernelINS0_14default_configENS1_35radix_sort_onesweep_config_selectorIalEEZZNS1_29radix_sort_onesweep_iterationIS3_Lb0EPaS7_N6thrust23THRUST_200600_302600_NS10device_ptrIlEESB_jNS0_19identity_decomposerENS1_16block_id_wrapperIjLb0EEEEE10hipError_tT1_PNSt15iterator_traitsISG_E10value_typeET2_T3_PNSH_ISM_E10value_typeET4_T5_PSR_SS_PNS1_23onesweep_lookback_stateEbbT6_jjT7_P12ihipStream_tbENKUlT_T0_SG_SL_E_clIS7_S7_SB_PlEEDaSZ_S10_SG_SL_EUlSZ_E_NS1_11comp_targetILNS1_3genE4ELNS1_11target_archE910ELNS1_3gpuE8ELNS1_3repE0EEENS1_47radix_sort_onesweep_sort_config_static_selectorELNS0_4arch9wavefront6targetE1EEEvSG_.numbered_sgpr, 0
	.set _ZN7rocprim17ROCPRIM_400000_NS6detail17trampoline_kernelINS0_14default_configENS1_35radix_sort_onesweep_config_selectorIalEEZZNS1_29radix_sort_onesweep_iterationIS3_Lb0EPaS7_N6thrust23THRUST_200600_302600_NS10device_ptrIlEESB_jNS0_19identity_decomposerENS1_16block_id_wrapperIjLb0EEEEE10hipError_tT1_PNSt15iterator_traitsISG_E10value_typeET2_T3_PNSH_ISM_E10value_typeET4_T5_PSR_SS_PNS1_23onesweep_lookback_stateEbbT6_jjT7_P12ihipStream_tbENKUlT_T0_SG_SL_E_clIS7_S7_SB_PlEEDaSZ_S10_SG_SL_EUlSZ_E_NS1_11comp_targetILNS1_3genE4ELNS1_11target_archE910ELNS1_3gpuE8ELNS1_3repE0EEENS1_47radix_sort_onesweep_sort_config_static_selectorELNS0_4arch9wavefront6targetE1EEEvSG_.num_named_barrier, 0
	.set _ZN7rocprim17ROCPRIM_400000_NS6detail17trampoline_kernelINS0_14default_configENS1_35radix_sort_onesweep_config_selectorIalEEZZNS1_29radix_sort_onesweep_iterationIS3_Lb0EPaS7_N6thrust23THRUST_200600_302600_NS10device_ptrIlEESB_jNS0_19identity_decomposerENS1_16block_id_wrapperIjLb0EEEEE10hipError_tT1_PNSt15iterator_traitsISG_E10value_typeET2_T3_PNSH_ISM_E10value_typeET4_T5_PSR_SS_PNS1_23onesweep_lookback_stateEbbT6_jjT7_P12ihipStream_tbENKUlT_T0_SG_SL_E_clIS7_S7_SB_PlEEDaSZ_S10_SG_SL_EUlSZ_E_NS1_11comp_targetILNS1_3genE4ELNS1_11target_archE910ELNS1_3gpuE8ELNS1_3repE0EEENS1_47radix_sort_onesweep_sort_config_static_selectorELNS0_4arch9wavefront6targetE1EEEvSG_.private_seg_size, 0
	.set _ZN7rocprim17ROCPRIM_400000_NS6detail17trampoline_kernelINS0_14default_configENS1_35radix_sort_onesweep_config_selectorIalEEZZNS1_29radix_sort_onesweep_iterationIS3_Lb0EPaS7_N6thrust23THRUST_200600_302600_NS10device_ptrIlEESB_jNS0_19identity_decomposerENS1_16block_id_wrapperIjLb0EEEEE10hipError_tT1_PNSt15iterator_traitsISG_E10value_typeET2_T3_PNSH_ISM_E10value_typeET4_T5_PSR_SS_PNS1_23onesweep_lookback_stateEbbT6_jjT7_P12ihipStream_tbENKUlT_T0_SG_SL_E_clIS7_S7_SB_PlEEDaSZ_S10_SG_SL_EUlSZ_E_NS1_11comp_targetILNS1_3genE4ELNS1_11target_archE910ELNS1_3gpuE8ELNS1_3repE0EEENS1_47radix_sort_onesweep_sort_config_static_selectorELNS0_4arch9wavefront6targetE1EEEvSG_.uses_vcc, 0
	.set _ZN7rocprim17ROCPRIM_400000_NS6detail17trampoline_kernelINS0_14default_configENS1_35radix_sort_onesweep_config_selectorIalEEZZNS1_29radix_sort_onesweep_iterationIS3_Lb0EPaS7_N6thrust23THRUST_200600_302600_NS10device_ptrIlEESB_jNS0_19identity_decomposerENS1_16block_id_wrapperIjLb0EEEEE10hipError_tT1_PNSt15iterator_traitsISG_E10value_typeET2_T3_PNSH_ISM_E10value_typeET4_T5_PSR_SS_PNS1_23onesweep_lookback_stateEbbT6_jjT7_P12ihipStream_tbENKUlT_T0_SG_SL_E_clIS7_S7_SB_PlEEDaSZ_S10_SG_SL_EUlSZ_E_NS1_11comp_targetILNS1_3genE4ELNS1_11target_archE910ELNS1_3gpuE8ELNS1_3repE0EEENS1_47radix_sort_onesweep_sort_config_static_selectorELNS0_4arch9wavefront6targetE1EEEvSG_.uses_flat_scratch, 0
	.set _ZN7rocprim17ROCPRIM_400000_NS6detail17trampoline_kernelINS0_14default_configENS1_35radix_sort_onesweep_config_selectorIalEEZZNS1_29radix_sort_onesweep_iterationIS3_Lb0EPaS7_N6thrust23THRUST_200600_302600_NS10device_ptrIlEESB_jNS0_19identity_decomposerENS1_16block_id_wrapperIjLb0EEEEE10hipError_tT1_PNSt15iterator_traitsISG_E10value_typeET2_T3_PNSH_ISM_E10value_typeET4_T5_PSR_SS_PNS1_23onesweep_lookback_stateEbbT6_jjT7_P12ihipStream_tbENKUlT_T0_SG_SL_E_clIS7_S7_SB_PlEEDaSZ_S10_SG_SL_EUlSZ_E_NS1_11comp_targetILNS1_3genE4ELNS1_11target_archE910ELNS1_3gpuE8ELNS1_3repE0EEENS1_47radix_sort_onesweep_sort_config_static_selectorELNS0_4arch9wavefront6targetE1EEEvSG_.has_dyn_sized_stack, 0
	.set _ZN7rocprim17ROCPRIM_400000_NS6detail17trampoline_kernelINS0_14default_configENS1_35radix_sort_onesweep_config_selectorIalEEZZNS1_29radix_sort_onesweep_iterationIS3_Lb0EPaS7_N6thrust23THRUST_200600_302600_NS10device_ptrIlEESB_jNS0_19identity_decomposerENS1_16block_id_wrapperIjLb0EEEEE10hipError_tT1_PNSt15iterator_traitsISG_E10value_typeET2_T3_PNSH_ISM_E10value_typeET4_T5_PSR_SS_PNS1_23onesweep_lookback_stateEbbT6_jjT7_P12ihipStream_tbENKUlT_T0_SG_SL_E_clIS7_S7_SB_PlEEDaSZ_S10_SG_SL_EUlSZ_E_NS1_11comp_targetILNS1_3genE4ELNS1_11target_archE910ELNS1_3gpuE8ELNS1_3repE0EEENS1_47radix_sort_onesweep_sort_config_static_selectorELNS0_4arch9wavefront6targetE1EEEvSG_.has_recursion, 0
	.set _ZN7rocprim17ROCPRIM_400000_NS6detail17trampoline_kernelINS0_14default_configENS1_35radix_sort_onesweep_config_selectorIalEEZZNS1_29radix_sort_onesweep_iterationIS3_Lb0EPaS7_N6thrust23THRUST_200600_302600_NS10device_ptrIlEESB_jNS0_19identity_decomposerENS1_16block_id_wrapperIjLb0EEEEE10hipError_tT1_PNSt15iterator_traitsISG_E10value_typeET2_T3_PNSH_ISM_E10value_typeET4_T5_PSR_SS_PNS1_23onesweep_lookback_stateEbbT6_jjT7_P12ihipStream_tbENKUlT_T0_SG_SL_E_clIS7_S7_SB_PlEEDaSZ_S10_SG_SL_EUlSZ_E_NS1_11comp_targetILNS1_3genE4ELNS1_11target_archE910ELNS1_3gpuE8ELNS1_3repE0EEENS1_47radix_sort_onesweep_sort_config_static_selectorELNS0_4arch9wavefront6targetE1EEEvSG_.has_indirect_call, 0
	.section	.AMDGPU.csdata,"",@progbits
; Kernel info:
; codeLenInByte = 0
; TotalNumSgprs: 4
; NumVgprs: 0
; ScratchSize: 0
; MemoryBound: 0
; FloatMode: 240
; IeeeMode: 1
; LDSByteSize: 0 bytes/workgroup (compile time only)
; SGPRBlocks: 0
; VGPRBlocks: 0
; NumSGPRsForWavesPerEU: 4
; NumVGPRsForWavesPerEU: 1
; Occupancy: 10
; WaveLimiterHint : 0
; COMPUTE_PGM_RSRC2:SCRATCH_EN: 0
; COMPUTE_PGM_RSRC2:USER_SGPR: 6
; COMPUTE_PGM_RSRC2:TRAP_HANDLER: 0
; COMPUTE_PGM_RSRC2:TGID_X_EN: 1
; COMPUTE_PGM_RSRC2:TGID_Y_EN: 0
; COMPUTE_PGM_RSRC2:TGID_Z_EN: 0
; COMPUTE_PGM_RSRC2:TIDIG_COMP_CNT: 0
	.section	.text._ZN7rocprim17ROCPRIM_400000_NS6detail17trampoline_kernelINS0_14default_configENS1_35radix_sort_onesweep_config_selectorIalEEZZNS1_29radix_sort_onesweep_iterationIS3_Lb0EPaS7_N6thrust23THRUST_200600_302600_NS10device_ptrIlEESB_jNS0_19identity_decomposerENS1_16block_id_wrapperIjLb0EEEEE10hipError_tT1_PNSt15iterator_traitsISG_E10value_typeET2_T3_PNSH_ISM_E10value_typeET4_T5_PSR_SS_PNS1_23onesweep_lookback_stateEbbT6_jjT7_P12ihipStream_tbENKUlT_T0_SG_SL_E_clIS7_S7_SB_PlEEDaSZ_S10_SG_SL_EUlSZ_E_NS1_11comp_targetILNS1_3genE3ELNS1_11target_archE908ELNS1_3gpuE7ELNS1_3repE0EEENS1_47radix_sort_onesweep_sort_config_static_selectorELNS0_4arch9wavefront6targetE1EEEvSG_,"axG",@progbits,_ZN7rocprim17ROCPRIM_400000_NS6detail17trampoline_kernelINS0_14default_configENS1_35radix_sort_onesweep_config_selectorIalEEZZNS1_29radix_sort_onesweep_iterationIS3_Lb0EPaS7_N6thrust23THRUST_200600_302600_NS10device_ptrIlEESB_jNS0_19identity_decomposerENS1_16block_id_wrapperIjLb0EEEEE10hipError_tT1_PNSt15iterator_traitsISG_E10value_typeET2_T3_PNSH_ISM_E10value_typeET4_T5_PSR_SS_PNS1_23onesweep_lookback_stateEbbT6_jjT7_P12ihipStream_tbENKUlT_T0_SG_SL_E_clIS7_S7_SB_PlEEDaSZ_S10_SG_SL_EUlSZ_E_NS1_11comp_targetILNS1_3genE3ELNS1_11target_archE908ELNS1_3gpuE7ELNS1_3repE0EEENS1_47radix_sort_onesweep_sort_config_static_selectorELNS0_4arch9wavefront6targetE1EEEvSG_,comdat
	.protected	_ZN7rocprim17ROCPRIM_400000_NS6detail17trampoline_kernelINS0_14default_configENS1_35radix_sort_onesweep_config_selectorIalEEZZNS1_29radix_sort_onesweep_iterationIS3_Lb0EPaS7_N6thrust23THRUST_200600_302600_NS10device_ptrIlEESB_jNS0_19identity_decomposerENS1_16block_id_wrapperIjLb0EEEEE10hipError_tT1_PNSt15iterator_traitsISG_E10value_typeET2_T3_PNSH_ISM_E10value_typeET4_T5_PSR_SS_PNS1_23onesweep_lookback_stateEbbT6_jjT7_P12ihipStream_tbENKUlT_T0_SG_SL_E_clIS7_S7_SB_PlEEDaSZ_S10_SG_SL_EUlSZ_E_NS1_11comp_targetILNS1_3genE3ELNS1_11target_archE908ELNS1_3gpuE7ELNS1_3repE0EEENS1_47radix_sort_onesweep_sort_config_static_selectorELNS0_4arch9wavefront6targetE1EEEvSG_ ; -- Begin function _ZN7rocprim17ROCPRIM_400000_NS6detail17trampoline_kernelINS0_14default_configENS1_35radix_sort_onesweep_config_selectorIalEEZZNS1_29radix_sort_onesweep_iterationIS3_Lb0EPaS7_N6thrust23THRUST_200600_302600_NS10device_ptrIlEESB_jNS0_19identity_decomposerENS1_16block_id_wrapperIjLb0EEEEE10hipError_tT1_PNSt15iterator_traitsISG_E10value_typeET2_T3_PNSH_ISM_E10value_typeET4_T5_PSR_SS_PNS1_23onesweep_lookback_stateEbbT6_jjT7_P12ihipStream_tbENKUlT_T0_SG_SL_E_clIS7_S7_SB_PlEEDaSZ_S10_SG_SL_EUlSZ_E_NS1_11comp_targetILNS1_3genE3ELNS1_11target_archE908ELNS1_3gpuE7ELNS1_3repE0EEENS1_47radix_sort_onesweep_sort_config_static_selectorELNS0_4arch9wavefront6targetE1EEEvSG_
	.globl	_ZN7rocprim17ROCPRIM_400000_NS6detail17trampoline_kernelINS0_14default_configENS1_35radix_sort_onesweep_config_selectorIalEEZZNS1_29radix_sort_onesweep_iterationIS3_Lb0EPaS7_N6thrust23THRUST_200600_302600_NS10device_ptrIlEESB_jNS0_19identity_decomposerENS1_16block_id_wrapperIjLb0EEEEE10hipError_tT1_PNSt15iterator_traitsISG_E10value_typeET2_T3_PNSH_ISM_E10value_typeET4_T5_PSR_SS_PNS1_23onesweep_lookback_stateEbbT6_jjT7_P12ihipStream_tbENKUlT_T0_SG_SL_E_clIS7_S7_SB_PlEEDaSZ_S10_SG_SL_EUlSZ_E_NS1_11comp_targetILNS1_3genE3ELNS1_11target_archE908ELNS1_3gpuE7ELNS1_3repE0EEENS1_47radix_sort_onesweep_sort_config_static_selectorELNS0_4arch9wavefront6targetE1EEEvSG_
	.p2align	8
	.type	_ZN7rocprim17ROCPRIM_400000_NS6detail17trampoline_kernelINS0_14default_configENS1_35radix_sort_onesweep_config_selectorIalEEZZNS1_29radix_sort_onesweep_iterationIS3_Lb0EPaS7_N6thrust23THRUST_200600_302600_NS10device_ptrIlEESB_jNS0_19identity_decomposerENS1_16block_id_wrapperIjLb0EEEEE10hipError_tT1_PNSt15iterator_traitsISG_E10value_typeET2_T3_PNSH_ISM_E10value_typeET4_T5_PSR_SS_PNS1_23onesweep_lookback_stateEbbT6_jjT7_P12ihipStream_tbENKUlT_T0_SG_SL_E_clIS7_S7_SB_PlEEDaSZ_S10_SG_SL_EUlSZ_E_NS1_11comp_targetILNS1_3genE3ELNS1_11target_archE908ELNS1_3gpuE7ELNS1_3repE0EEENS1_47radix_sort_onesweep_sort_config_static_selectorELNS0_4arch9wavefront6targetE1EEEvSG_,@function
_ZN7rocprim17ROCPRIM_400000_NS6detail17trampoline_kernelINS0_14default_configENS1_35radix_sort_onesweep_config_selectorIalEEZZNS1_29radix_sort_onesweep_iterationIS3_Lb0EPaS7_N6thrust23THRUST_200600_302600_NS10device_ptrIlEESB_jNS0_19identity_decomposerENS1_16block_id_wrapperIjLb0EEEEE10hipError_tT1_PNSt15iterator_traitsISG_E10value_typeET2_T3_PNSH_ISM_E10value_typeET4_T5_PSR_SS_PNS1_23onesweep_lookback_stateEbbT6_jjT7_P12ihipStream_tbENKUlT_T0_SG_SL_E_clIS7_S7_SB_PlEEDaSZ_S10_SG_SL_EUlSZ_E_NS1_11comp_targetILNS1_3genE3ELNS1_11target_archE908ELNS1_3gpuE7ELNS1_3repE0EEENS1_47radix_sort_onesweep_sort_config_static_selectorELNS0_4arch9wavefront6targetE1EEEvSG_: ; @_ZN7rocprim17ROCPRIM_400000_NS6detail17trampoline_kernelINS0_14default_configENS1_35radix_sort_onesweep_config_selectorIalEEZZNS1_29radix_sort_onesweep_iterationIS3_Lb0EPaS7_N6thrust23THRUST_200600_302600_NS10device_ptrIlEESB_jNS0_19identity_decomposerENS1_16block_id_wrapperIjLb0EEEEE10hipError_tT1_PNSt15iterator_traitsISG_E10value_typeET2_T3_PNSH_ISM_E10value_typeET4_T5_PSR_SS_PNS1_23onesweep_lookback_stateEbbT6_jjT7_P12ihipStream_tbENKUlT_T0_SG_SL_E_clIS7_S7_SB_PlEEDaSZ_S10_SG_SL_EUlSZ_E_NS1_11comp_targetILNS1_3genE3ELNS1_11target_archE908ELNS1_3gpuE7ELNS1_3repE0EEENS1_47radix_sort_onesweep_sort_config_static_selectorELNS0_4arch9wavefront6targetE1EEEvSG_
; %bb.0:
	.section	.rodata,"a",@progbits
	.p2align	6, 0x0
	.amdhsa_kernel _ZN7rocprim17ROCPRIM_400000_NS6detail17trampoline_kernelINS0_14default_configENS1_35radix_sort_onesweep_config_selectorIalEEZZNS1_29radix_sort_onesweep_iterationIS3_Lb0EPaS7_N6thrust23THRUST_200600_302600_NS10device_ptrIlEESB_jNS0_19identity_decomposerENS1_16block_id_wrapperIjLb0EEEEE10hipError_tT1_PNSt15iterator_traitsISG_E10value_typeET2_T3_PNSH_ISM_E10value_typeET4_T5_PSR_SS_PNS1_23onesweep_lookback_stateEbbT6_jjT7_P12ihipStream_tbENKUlT_T0_SG_SL_E_clIS7_S7_SB_PlEEDaSZ_S10_SG_SL_EUlSZ_E_NS1_11comp_targetILNS1_3genE3ELNS1_11target_archE908ELNS1_3gpuE7ELNS1_3repE0EEENS1_47radix_sort_onesweep_sort_config_static_selectorELNS0_4arch9wavefront6targetE1EEEvSG_
		.amdhsa_group_segment_fixed_size 0
		.amdhsa_private_segment_fixed_size 0
		.amdhsa_kernarg_size 88
		.amdhsa_user_sgpr_count 6
		.amdhsa_user_sgpr_private_segment_buffer 1
		.amdhsa_user_sgpr_dispatch_ptr 0
		.amdhsa_user_sgpr_queue_ptr 0
		.amdhsa_user_sgpr_kernarg_segment_ptr 1
		.amdhsa_user_sgpr_dispatch_id 0
		.amdhsa_user_sgpr_flat_scratch_init 0
		.amdhsa_user_sgpr_private_segment_size 0
		.amdhsa_uses_dynamic_stack 0
		.amdhsa_system_sgpr_private_segment_wavefront_offset 0
		.amdhsa_system_sgpr_workgroup_id_x 1
		.amdhsa_system_sgpr_workgroup_id_y 0
		.amdhsa_system_sgpr_workgroup_id_z 0
		.amdhsa_system_sgpr_workgroup_info 0
		.amdhsa_system_vgpr_workitem_id 0
		.amdhsa_next_free_vgpr 1
		.amdhsa_next_free_sgpr 0
		.amdhsa_reserve_vcc 0
		.amdhsa_reserve_flat_scratch 0
		.amdhsa_float_round_mode_32 0
		.amdhsa_float_round_mode_16_64 0
		.amdhsa_float_denorm_mode_32 3
		.amdhsa_float_denorm_mode_16_64 3
		.amdhsa_dx10_clamp 1
		.amdhsa_ieee_mode 1
		.amdhsa_fp16_overflow 0
		.amdhsa_exception_fp_ieee_invalid_op 0
		.amdhsa_exception_fp_denorm_src 0
		.amdhsa_exception_fp_ieee_div_zero 0
		.amdhsa_exception_fp_ieee_overflow 0
		.amdhsa_exception_fp_ieee_underflow 0
		.amdhsa_exception_fp_ieee_inexact 0
		.amdhsa_exception_int_div_zero 0
	.end_amdhsa_kernel
	.section	.text._ZN7rocprim17ROCPRIM_400000_NS6detail17trampoline_kernelINS0_14default_configENS1_35radix_sort_onesweep_config_selectorIalEEZZNS1_29radix_sort_onesweep_iterationIS3_Lb0EPaS7_N6thrust23THRUST_200600_302600_NS10device_ptrIlEESB_jNS0_19identity_decomposerENS1_16block_id_wrapperIjLb0EEEEE10hipError_tT1_PNSt15iterator_traitsISG_E10value_typeET2_T3_PNSH_ISM_E10value_typeET4_T5_PSR_SS_PNS1_23onesweep_lookback_stateEbbT6_jjT7_P12ihipStream_tbENKUlT_T0_SG_SL_E_clIS7_S7_SB_PlEEDaSZ_S10_SG_SL_EUlSZ_E_NS1_11comp_targetILNS1_3genE3ELNS1_11target_archE908ELNS1_3gpuE7ELNS1_3repE0EEENS1_47radix_sort_onesweep_sort_config_static_selectorELNS0_4arch9wavefront6targetE1EEEvSG_,"axG",@progbits,_ZN7rocprim17ROCPRIM_400000_NS6detail17trampoline_kernelINS0_14default_configENS1_35radix_sort_onesweep_config_selectorIalEEZZNS1_29radix_sort_onesweep_iterationIS3_Lb0EPaS7_N6thrust23THRUST_200600_302600_NS10device_ptrIlEESB_jNS0_19identity_decomposerENS1_16block_id_wrapperIjLb0EEEEE10hipError_tT1_PNSt15iterator_traitsISG_E10value_typeET2_T3_PNSH_ISM_E10value_typeET4_T5_PSR_SS_PNS1_23onesweep_lookback_stateEbbT6_jjT7_P12ihipStream_tbENKUlT_T0_SG_SL_E_clIS7_S7_SB_PlEEDaSZ_S10_SG_SL_EUlSZ_E_NS1_11comp_targetILNS1_3genE3ELNS1_11target_archE908ELNS1_3gpuE7ELNS1_3repE0EEENS1_47radix_sort_onesweep_sort_config_static_selectorELNS0_4arch9wavefront6targetE1EEEvSG_,comdat
.Lfunc_end641:
	.size	_ZN7rocprim17ROCPRIM_400000_NS6detail17trampoline_kernelINS0_14default_configENS1_35radix_sort_onesweep_config_selectorIalEEZZNS1_29radix_sort_onesweep_iterationIS3_Lb0EPaS7_N6thrust23THRUST_200600_302600_NS10device_ptrIlEESB_jNS0_19identity_decomposerENS1_16block_id_wrapperIjLb0EEEEE10hipError_tT1_PNSt15iterator_traitsISG_E10value_typeET2_T3_PNSH_ISM_E10value_typeET4_T5_PSR_SS_PNS1_23onesweep_lookback_stateEbbT6_jjT7_P12ihipStream_tbENKUlT_T0_SG_SL_E_clIS7_S7_SB_PlEEDaSZ_S10_SG_SL_EUlSZ_E_NS1_11comp_targetILNS1_3genE3ELNS1_11target_archE908ELNS1_3gpuE7ELNS1_3repE0EEENS1_47radix_sort_onesweep_sort_config_static_selectorELNS0_4arch9wavefront6targetE1EEEvSG_, .Lfunc_end641-_ZN7rocprim17ROCPRIM_400000_NS6detail17trampoline_kernelINS0_14default_configENS1_35radix_sort_onesweep_config_selectorIalEEZZNS1_29radix_sort_onesweep_iterationIS3_Lb0EPaS7_N6thrust23THRUST_200600_302600_NS10device_ptrIlEESB_jNS0_19identity_decomposerENS1_16block_id_wrapperIjLb0EEEEE10hipError_tT1_PNSt15iterator_traitsISG_E10value_typeET2_T3_PNSH_ISM_E10value_typeET4_T5_PSR_SS_PNS1_23onesweep_lookback_stateEbbT6_jjT7_P12ihipStream_tbENKUlT_T0_SG_SL_E_clIS7_S7_SB_PlEEDaSZ_S10_SG_SL_EUlSZ_E_NS1_11comp_targetILNS1_3genE3ELNS1_11target_archE908ELNS1_3gpuE7ELNS1_3repE0EEENS1_47radix_sort_onesweep_sort_config_static_selectorELNS0_4arch9wavefront6targetE1EEEvSG_
                                        ; -- End function
	.set _ZN7rocprim17ROCPRIM_400000_NS6detail17trampoline_kernelINS0_14default_configENS1_35radix_sort_onesweep_config_selectorIalEEZZNS1_29radix_sort_onesweep_iterationIS3_Lb0EPaS7_N6thrust23THRUST_200600_302600_NS10device_ptrIlEESB_jNS0_19identity_decomposerENS1_16block_id_wrapperIjLb0EEEEE10hipError_tT1_PNSt15iterator_traitsISG_E10value_typeET2_T3_PNSH_ISM_E10value_typeET4_T5_PSR_SS_PNS1_23onesweep_lookback_stateEbbT6_jjT7_P12ihipStream_tbENKUlT_T0_SG_SL_E_clIS7_S7_SB_PlEEDaSZ_S10_SG_SL_EUlSZ_E_NS1_11comp_targetILNS1_3genE3ELNS1_11target_archE908ELNS1_3gpuE7ELNS1_3repE0EEENS1_47radix_sort_onesweep_sort_config_static_selectorELNS0_4arch9wavefront6targetE1EEEvSG_.num_vgpr, 0
	.set _ZN7rocprim17ROCPRIM_400000_NS6detail17trampoline_kernelINS0_14default_configENS1_35radix_sort_onesweep_config_selectorIalEEZZNS1_29radix_sort_onesweep_iterationIS3_Lb0EPaS7_N6thrust23THRUST_200600_302600_NS10device_ptrIlEESB_jNS0_19identity_decomposerENS1_16block_id_wrapperIjLb0EEEEE10hipError_tT1_PNSt15iterator_traitsISG_E10value_typeET2_T3_PNSH_ISM_E10value_typeET4_T5_PSR_SS_PNS1_23onesweep_lookback_stateEbbT6_jjT7_P12ihipStream_tbENKUlT_T0_SG_SL_E_clIS7_S7_SB_PlEEDaSZ_S10_SG_SL_EUlSZ_E_NS1_11comp_targetILNS1_3genE3ELNS1_11target_archE908ELNS1_3gpuE7ELNS1_3repE0EEENS1_47radix_sort_onesweep_sort_config_static_selectorELNS0_4arch9wavefront6targetE1EEEvSG_.num_agpr, 0
	.set _ZN7rocprim17ROCPRIM_400000_NS6detail17trampoline_kernelINS0_14default_configENS1_35radix_sort_onesweep_config_selectorIalEEZZNS1_29radix_sort_onesweep_iterationIS3_Lb0EPaS7_N6thrust23THRUST_200600_302600_NS10device_ptrIlEESB_jNS0_19identity_decomposerENS1_16block_id_wrapperIjLb0EEEEE10hipError_tT1_PNSt15iterator_traitsISG_E10value_typeET2_T3_PNSH_ISM_E10value_typeET4_T5_PSR_SS_PNS1_23onesweep_lookback_stateEbbT6_jjT7_P12ihipStream_tbENKUlT_T0_SG_SL_E_clIS7_S7_SB_PlEEDaSZ_S10_SG_SL_EUlSZ_E_NS1_11comp_targetILNS1_3genE3ELNS1_11target_archE908ELNS1_3gpuE7ELNS1_3repE0EEENS1_47radix_sort_onesweep_sort_config_static_selectorELNS0_4arch9wavefront6targetE1EEEvSG_.numbered_sgpr, 0
	.set _ZN7rocprim17ROCPRIM_400000_NS6detail17trampoline_kernelINS0_14default_configENS1_35radix_sort_onesweep_config_selectorIalEEZZNS1_29radix_sort_onesweep_iterationIS3_Lb0EPaS7_N6thrust23THRUST_200600_302600_NS10device_ptrIlEESB_jNS0_19identity_decomposerENS1_16block_id_wrapperIjLb0EEEEE10hipError_tT1_PNSt15iterator_traitsISG_E10value_typeET2_T3_PNSH_ISM_E10value_typeET4_T5_PSR_SS_PNS1_23onesweep_lookback_stateEbbT6_jjT7_P12ihipStream_tbENKUlT_T0_SG_SL_E_clIS7_S7_SB_PlEEDaSZ_S10_SG_SL_EUlSZ_E_NS1_11comp_targetILNS1_3genE3ELNS1_11target_archE908ELNS1_3gpuE7ELNS1_3repE0EEENS1_47radix_sort_onesweep_sort_config_static_selectorELNS0_4arch9wavefront6targetE1EEEvSG_.num_named_barrier, 0
	.set _ZN7rocprim17ROCPRIM_400000_NS6detail17trampoline_kernelINS0_14default_configENS1_35radix_sort_onesweep_config_selectorIalEEZZNS1_29radix_sort_onesweep_iterationIS3_Lb0EPaS7_N6thrust23THRUST_200600_302600_NS10device_ptrIlEESB_jNS0_19identity_decomposerENS1_16block_id_wrapperIjLb0EEEEE10hipError_tT1_PNSt15iterator_traitsISG_E10value_typeET2_T3_PNSH_ISM_E10value_typeET4_T5_PSR_SS_PNS1_23onesweep_lookback_stateEbbT6_jjT7_P12ihipStream_tbENKUlT_T0_SG_SL_E_clIS7_S7_SB_PlEEDaSZ_S10_SG_SL_EUlSZ_E_NS1_11comp_targetILNS1_3genE3ELNS1_11target_archE908ELNS1_3gpuE7ELNS1_3repE0EEENS1_47radix_sort_onesweep_sort_config_static_selectorELNS0_4arch9wavefront6targetE1EEEvSG_.private_seg_size, 0
	.set _ZN7rocprim17ROCPRIM_400000_NS6detail17trampoline_kernelINS0_14default_configENS1_35radix_sort_onesweep_config_selectorIalEEZZNS1_29radix_sort_onesweep_iterationIS3_Lb0EPaS7_N6thrust23THRUST_200600_302600_NS10device_ptrIlEESB_jNS0_19identity_decomposerENS1_16block_id_wrapperIjLb0EEEEE10hipError_tT1_PNSt15iterator_traitsISG_E10value_typeET2_T3_PNSH_ISM_E10value_typeET4_T5_PSR_SS_PNS1_23onesweep_lookback_stateEbbT6_jjT7_P12ihipStream_tbENKUlT_T0_SG_SL_E_clIS7_S7_SB_PlEEDaSZ_S10_SG_SL_EUlSZ_E_NS1_11comp_targetILNS1_3genE3ELNS1_11target_archE908ELNS1_3gpuE7ELNS1_3repE0EEENS1_47radix_sort_onesweep_sort_config_static_selectorELNS0_4arch9wavefront6targetE1EEEvSG_.uses_vcc, 0
	.set _ZN7rocprim17ROCPRIM_400000_NS6detail17trampoline_kernelINS0_14default_configENS1_35radix_sort_onesweep_config_selectorIalEEZZNS1_29radix_sort_onesweep_iterationIS3_Lb0EPaS7_N6thrust23THRUST_200600_302600_NS10device_ptrIlEESB_jNS0_19identity_decomposerENS1_16block_id_wrapperIjLb0EEEEE10hipError_tT1_PNSt15iterator_traitsISG_E10value_typeET2_T3_PNSH_ISM_E10value_typeET4_T5_PSR_SS_PNS1_23onesweep_lookback_stateEbbT6_jjT7_P12ihipStream_tbENKUlT_T0_SG_SL_E_clIS7_S7_SB_PlEEDaSZ_S10_SG_SL_EUlSZ_E_NS1_11comp_targetILNS1_3genE3ELNS1_11target_archE908ELNS1_3gpuE7ELNS1_3repE0EEENS1_47radix_sort_onesweep_sort_config_static_selectorELNS0_4arch9wavefront6targetE1EEEvSG_.uses_flat_scratch, 0
	.set _ZN7rocprim17ROCPRIM_400000_NS6detail17trampoline_kernelINS0_14default_configENS1_35radix_sort_onesweep_config_selectorIalEEZZNS1_29radix_sort_onesweep_iterationIS3_Lb0EPaS7_N6thrust23THRUST_200600_302600_NS10device_ptrIlEESB_jNS0_19identity_decomposerENS1_16block_id_wrapperIjLb0EEEEE10hipError_tT1_PNSt15iterator_traitsISG_E10value_typeET2_T3_PNSH_ISM_E10value_typeET4_T5_PSR_SS_PNS1_23onesweep_lookback_stateEbbT6_jjT7_P12ihipStream_tbENKUlT_T0_SG_SL_E_clIS7_S7_SB_PlEEDaSZ_S10_SG_SL_EUlSZ_E_NS1_11comp_targetILNS1_3genE3ELNS1_11target_archE908ELNS1_3gpuE7ELNS1_3repE0EEENS1_47radix_sort_onesweep_sort_config_static_selectorELNS0_4arch9wavefront6targetE1EEEvSG_.has_dyn_sized_stack, 0
	.set _ZN7rocprim17ROCPRIM_400000_NS6detail17trampoline_kernelINS0_14default_configENS1_35radix_sort_onesweep_config_selectorIalEEZZNS1_29radix_sort_onesweep_iterationIS3_Lb0EPaS7_N6thrust23THRUST_200600_302600_NS10device_ptrIlEESB_jNS0_19identity_decomposerENS1_16block_id_wrapperIjLb0EEEEE10hipError_tT1_PNSt15iterator_traitsISG_E10value_typeET2_T3_PNSH_ISM_E10value_typeET4_T5_PSR_SS_PNS1_23onesweep_lookback_stateEbbT6_jjT7_P12ihipStream_tbENKUlT_T0_SG_SL_E_clIS7_S7_SB_PlEEDaSZ_S10_SG_SL_EUlSZ_E_NS1_11comp_targetILNS1_3genE3ELNS1_11target_archE908ELNS1_3gpuE7ELNS1_3repE0EEENS1_47radix_sort_onesweep_sort_config_static_selectorELNS0_4arch9wavefront6targetE1EEEvSG_.has_recursion, 0
	.set _ZN7rocprim17ROCPRIM_400000_NS6detail17trampoline_kernelINS0_14default_configENS1_35radix_sort_onesweep_config_selectorIalEEZZNS1_29radix_sort_onesweep_iterationIS3_Lb0EPaS7_N6thrust23THRUST_200600_302600_NS10device_ptrIlEESB_jNS0_19identity_decomposerENS1_16block_id_wrapperIjLb0EEEEE10hipError_tT1_PNSt15iterator_traitsISG_E10value_typeET2_T3_PNSH_ISM_E10value_typeET4_T5_PSR_SS_PNS1_23onesweep_lookback_stateEbbT6_jjT7_P12ihipStream_tbENKUlT_T0_SG_SL_E_clIS7_S7_SB_PlEEDaSZ_S10_SG_SL_EUlSZ_E_NS1_11comp_targetILNS1_3genE3ELNS1_11target_archE908ELNS1_3gpuE7ELNS1_3repE0EEENS1_47radix_sort_onesweep_sort_config_static_selectorELNS0_4arch9wavefront6targetE1EEEvSG_.has_indirect_call, 0
	.section	.AMDGPU.csdata,"",@progbits
; Kernel info:
; codeLenInByte = 0
; TotalNumSgprs: 4
; NumVgprs: 0
; ScratchSize: 0
; MemoryBound: 0
; FloatMode: 240
; IeeeMode: 1
; LDSByteSize: 0 bytes/workgroup (compile time only)
; SGPRBlocks: 0
; VGPRBlocks: 0
; NumSGPRsForWavesPerEU: 4
; NumVGPRsForWavesPerEU: 1
; Occupancy: 10
; WaveLimiterHint : 0
; COMPUTE_PGM_RSRC2:SCRATCH_EN: 0
; COMPUTE_PGM_RSRC2:USER_SGPR: 6
; COMPUTE_PGM_RSRC2:TRAP_HANDLER: 0
; COMPUTE_PGM_RSRC2:TGID_X_EN: 1
; COMPUTE_PGM_RSRC2:TGID_Y_EN: 0
; COMPUTE_PGM_RSRC2:TGID_Z_EN: 0
; COMPUTE_PGM_RSRC2:TIDIG_COMP_CNT: 0
	.section	.text._ZN7rocprim17ROCPRIM_400000_NS6detail17trampoline_kernelINS0_14default_configENS1_35radix_sort_onesweep_config_selectorIalEEZZNS1_29radix_sort_onesweep_iterationIS3_Lb0EPaS7_N6thrust23THRUST_200600_302600_NS10device_ptrIlEESB_jNS0_19identity_decomposerENS1_16block_id_wrapperIjLb0EEEEE10hipError_tT1_PNSt15iterator_traitsISG_E10value_typeET2_T3_PNSH_ISM_E10value_typeET4_T5_PSR_SS_PNS1_23onesweep_lookback_stateEbbT6_jjT7_P12ihipStream_tbENKUlT_T0_SG_SL_E_clIS7_S7_SB_PlEEDaSZ_S10_SG_SL_EUlSZ_E_NS1_11comp_targetILNS1_3genE10ELNS1_11target_archE1201ELNS1_3gpuE5ELNS1_3repE0EEENS1_47radix_sort_onesweep_sort_config_static_selectorELNS0_4arch9wavefront6targetE1EEEvSG_,"axG",@progbits,_ZN7rocprim17ROCPRIM_400000_NS6detail17trampoline_kernelINS0_14default_configENS1_35radix_sort_onesweep_config_selectorIalEEZZNS1_29radix_sort_onesweep_iterationIS3_Lb0EPaS7_N6thrust23THRUST_200600_302600_NS10device_ptrIlEESB_jNS0_19identity_decomposerENS1_16block_id_wrapperIjLb0EEEEE10hipError_tT1_PNSt15iterator_traitsISG_E10value_typeET2_T3_PNSH_ISM_E10value_typeET4_T5_PSR_SS_PNS1_23onesweep_lookback_stateEbbT6_jjT7_P12ihipStream_tbENKUlT_T0_SG_SL_E_clIS7_S7_SB_PlEEDaSZ_S10_SG_SL_EUlSZ_E_NS1_11comp_targetILNS1_3genE10ELNS1_11target_archE1201ELNS1_3gpuE5ELNS1_3repE0EEENS1_47radix_sort_onesweep_sort_config_static_selectorELNS0_4arch9wavefront6targetE1EEEvSG_,comdat
	.protected	_ZN7rocprim17ROCPRIM_400000_NS6detail17trampoline_kernelINS0_14default_configENS1_35radix_sort_onesweep_config_selectorIalEEZZNS1_29radix_sort_onesweep_iterationIS3_Lb0EPaS7_N6thrust23THRUST_200600_302600_NS10device_ptrIlEESB_jNS0_19identity_decomposerENS1_16block_id_wrapperIjLb0EEEEE10hipError_tT1_PNSt15iterator_traitsISG_E10value_typeET2_T3_PNSH_ISM_E10value_typeET4_T5_PSR_SS_PNS1_23onesweep_lookback_stateEbbT6_jjT7_P12ihipStream_tbENKUlT_T0_SG_SL_E_clIS7_S7_SB_PlEEDaSZ_S10_SG_SL_EUlSZ_E_NS1_11comp_targetILNS1_3genE10ELNS1_11target_archE1201ELNS1_3gpuE5ELNS1_3repE0EEENS1_47radix_sort_onesweep_sort_config_static_selectorELNS0_4arch9wavefront6targetE1EEEvSG_ ; -- Begin function _ZN7rocprim17ROCPRIM_400000_NS6detail17trampoline_kernelINS0_14default_configENS1_35radix_sort_onesweep_config_selectorIalEEZZNS1_29radix_sort_onesweep_iterationIS3_Lb0EPaS7_N6thrust23THRUST_200600_302600_NS10device_ptrIlEESB_jNS0_19identity_decomposerENS1_16block_id_wrapperIjLb0EEEEE10hipError_tT1_PNSt15iterator_traitsISG_E10value_typeET2_T3_PNSH_ISM_E10value_typeET4_T5_PSR_SS_PNS1_23onesweep_lookback_stateEbbT6_jjT7_P12ihipStream_tbENKUlT_T0_SG_SL_E_clIS7_S7_SB_PlEEDaSZ_S10_SG_SL_EUlSZ_E_NS1_11comp_targetILNS1_3genE10ELNS1_11target_archE1201ELNS1_3gpuE5ELNS1_3repE0EEENS1_47radix_sort_onesweep_sort_config_static_selectorELNS0_4arch9wavefront6targetE1EEEvSG_
	.globl	_ZN7rocprim17ROCPRIM_400000_NS6detail17trampoline_kernelINS0_14default_configENS1_35radix_sort_onesweep_config_selectorIalEEZZNS1_29radix_sort_onesweep_iterationIS3_Lb0EPaS7_N6thrust23THRUST_200600_302600_NS10device_ptrIlEESB_jNS0_19identity_decomposerENS1_16block_id_wrapperIjLb0EEEEE10hipError_tT1_PNSt15iterator_traitsISG_E10value_typeET2_T3_PNSH_ISM_E10value_typeET4_T5_PSR_SS_PNS1_23onesweep_lookback_stateEbbT6_jjT7_P12ihipStream_tbENKUlT_T0_SG_SL_E_clIS7_S7_SB_PlEEDaSZ_S10_SG_SL_EUlSZ_E_NS1_11comp_targetILNS1_3genE10ELNS1_11target_archE1201ELNS1_3gpuE5ELNS1_3repE0EEENS1_47radix_sort_onesweep_sort_config_static_selectorELNS0_4arch9wavefront6targetE1EEEvSG_
	.p2align	8
	.type	_ZN7rocprim17ROCPRIM_400000_NS6detail17trampoline_kernelINS0_14default_configENS1_35radix_sort_onesweep_config_selectorIalEEZZNS1_29radix_sort_onesweep_iterationIS3_Lb0EPaS7_N6thrust23THRUST_200600_302600_NS10device_ptrIlEESB_jNS0_19identity_decomposerENS1_16block_id_wrapperIjLb0EEEEE10hipError_tT1_PNSt15iterator_traitsISG_E10value_typeET2_T3_PNSH_ISM_E10value_typeET4_T5_PSR_SS_PNS1_23onesweep_lookback_stateEbbT6_jjT7_P12ihipStream_tbENKUlT_T0_SG_SL_E_clIS7_S7_SB_PlEEDaSZ_S10_SG_SL_EUlSZ_E_NS1_11comp_targetILNS1_3genE10ELNS1_11target_archE1201ELNS1_3gpuE5ELNS1_3repE0EEENS1_47radix_sort_onesweep_sort_config_static_selectorELNS0_4arch9wavefront6targetE1EEEvSG_,@function
_ZN7rocprim17ROCPRIM_400000_NS6detail17trampoline_kernelINS0_14default_configENS1_35radix_sort_onesweep_config_selectorIalEEZZNS1_29radix_sort_onesweep_iterationIS3_Lb0EPaS7_N6thrust23THRUST_200600_302600_NS10device_ptrIlEESB_jNS0_19identity_decomposerENS1_16block_id_wrapperIjLb0EEEEE10hipError_tT1_PNSt15iterator_traitsISG_E10value_typeET2_T3_PNSH_ISM_E10value_typeET4_T5_PSR_SS_PNS1_23onesweep_lookback_stateEbbT6_jjT7_P12ihipStream_tbENKUlT_T0_SG_SL_E_clIS7_S7_SB_PlEEDaSZ_S10_SG_SL_EUlSZ_E_NS1_11comp_targetILNS1_3genE10ELNS1_11target_archE1201ELNS1_3gpuE5ELNS1_3repE0EEENS1_47radix_sort_onesweep_sort_config_static_selectorELNS0_4arch9wavefront6targetE1EEEvSG_: ; @_ZN7rocprim17ROCPRIM_400000_NS6detail17trampoline_kernelINS0_14default_configENS1_35radix_sort_onesweep_config_selectorIalEEZZNS1_29radix_sort_onesweep_iterationIS3_Lb0EPaS7_N6thrust23THRUST_200600_302600_NS10device_ptrIlEESB_jNS0_19identity_decomposerENS1_16block_id_wrapperIjLb0EEEEE10hipError_tT1_PNSt15iterator_traitsISG_E10value_typeET2_T3_PNSH_ISM_E10value_typeET4_T5_PSR_SS_PNS1_23onesweep_lookback_stateEbbT6_jjT7_P12ihipStream_tbENKUlT_T0_SG_SL_E_clIS7_S7_SB_PlEEDaSZ_S10_SG_SL_EUlSZ_E_NS1_11comp_targetILNS1_3genE10ELNS1_11target_archE1201ELNS1_3gpuE5ELNS1_3repE0EEENS1_47radix_sort_onesweep_sort_config_static_selectorELNS0_4arch9wavefront6targetE1EEEvSG_
; %bb.0:
	.section	.rodata,"a",@progbits
	.p2align	6, 0x0
	.amdhsa_kernel _ZN7rocprim17ROCPRIM_400000_NS6detail17trampoline_kernelINS0_14default_configENS1_35radix_sort_onesweep_config_selectorIalEEZZNS1_29radix_sort_onesweep_iterationIS3_Lb0EPaS7_N6thrust23THRUST_200600_302600_NS10device_ptrIlEESB_jNS0_19identity_decomposerENS1_16block_id_wrapperIjLb0EEEEE10hipError_tT1_PNSt15iterator_traitsISG_E10value_typeET2_T3_PNSH_ISM_E10value_typeET4_T5_PSR_SS_PNS1_23onesweep_lookback_stateEbbT6_jjT7_P12ihipStream_tbENKUlT_T0_SG_SL_E_clIS7_S7_SB_PlEEDaSZ_S10_SG_SL_EUlSZ_E_NS1_11comp_targetILNS1_3genE10ELNS1_11target_archE1201ELNS1_3gpuE5ELNS1_3repE0EEENS1_47radix_sort_onesweep_sort_config_static_selectorELNS0_4arch9wavefront6targetE1EEEvSG_
		.amdhsa_group_segment_fixed_size 0
		.amdhsa_private_segment_fixed_size 0
		.amdhsa_kernarg_size 88
		.amdhsa_user_sgpr_count 6
		.amdhsa_user_sgpr_private_segment_buffer 1
		.amdhsa_user_sgpr_dispatch_ptr 0
		.amdhsa_user_sgpr_queue_ptr 0
		.amdhsa_user_sgpr_kernarg_segment_ptr 1
		.amdhsa_user_sgpr_dispatch_id 0
		.amdhsa_user_sgpr_flat_scratch_init 0
		.amdhsa_user_sgpr_private_segment_size 0
		.amdhsa_uses_dynamic_stack 0
		.amdhsa_system_sgpr_private_segment_wavefront_offset 0
		.amdhsa_system_sgpr_workgroup_id_x 1
		.amdhsa_system_sgpr_workgroup_id_y 0
		.amdhsa_system_sgpr_workgroup_id_z 0
		.amdhsa_system_sgpr_workgroup_info 0
		.amdhsa_system_vgpr_workitem_id 0
		.amdhsa_next_free_vgpr 1
		.amdhsa_next_free_sgpr 0
		.amdhsa_reserve_vcc 0
		.amdhsa_reserve_flat_scratch 0
		.amdhsa_float_round_mode_32 0
		.amdhsa_float_round_mode_16_64 0
		.amdhsa_float_denorm_mode_32 3
		.amdhsa_float_denorm_mode_16_64 3
		.amdhsa_dx10_clamp 1
		.amdhsa_ieee_mode 1
		.amdhsa_fp16_overflow 0
		.amdhsa_exception_fp_ieee_invalid_op 0
		.amdhsa_exception_fp_denorm_src 0
		.amdhsa_exception_fp_ieee_div_zero 0
		.amdhsa_exception_fp_ieee_overflow 0
		.amdhsa_exception_fp_ieee_underflow 0
		.amdhsa_exception_fp_ieee_inexact 0
		.amdhsa_exception_int_div_zero 0
	.end_amdhsa_kernel
	.section	.text._ZN7rocprim17ROCPRIM_400000_NS6detail17trampoline_kernelINS0_14default_configENS1_35radix_sort_onesweep_config_selectorIalEEZZNS1_29radix_sort_onesweep_iterationIS3_Lb0EPaS7_N6thrust23THRUST_200600_302600_NS10device_ptrIlEESB_jNS0_19identity_decomposerENS1_16block_id_wrapperIjLb0EEEEE10hipError_tT1_PNSt15iterator_traitsISG_E10value_typeET2_T3_PNSH_ISM_E10value_typeET4_T5_PSR_SS_PNS1_23onesweep_lookback_stateEbbT6_jjT7_P12ihipStream_tbENKUlT_T0_SG_SL_E_clIS7_S7_SB_PlEEDaSZ_S10_SG_SL_EUlSZ_E_NS1_11comp_targetILNS1_3genE10ELNS1_11target_archE1201ELNS1_3gpuE5ELNS1_3repE0EEENS1_47radix_sort_onesweep_sort_config_static_selectorELNS0_4arch9wavefront6targetE1EEEvSG_,"axG",@progbits,_ZN7rocprim17ROCPRIM_400000_NS6detail17trampoline_kernelINS0_14default_configENS1_35radix_sort_onesweep_config_selectorIalEEZZNS1_29radix_sort_onesweep_iterationIS3_Lb0EPaS7_N6thrust23THRUST_200600_302600_NS10device_ptrIlEESB_jNS0_19identity_decomposerENS1_16block_id_wrapperIjLb0EEEEE10hipError_tT1_PNSt15iterator_traitsISG_E10value_typeET2_T3_PNSH_ISM_E10value_typeET4_T5_PSR_SS_PNS1_23onesweep_lookback_stateEbbT6_jjT7_P12ihipStream_tbENKUlT_T0_SG_SL_E_clIS7_S7_SB_PlEEDaSZ_S10_SG_SL_EUlSZ_E_NS1_11comp_targetILNS1_3genE10ELNS1_11target_archE1201ELNS1_3gpuE5ELNS1_3repE0EEENS1_47radix_sort_onesweep_sort_config_static_selectorELNS0_4arch9wavefront6targetE1EEEvSG_,comdat
.Lfunc_end642:
	.size	_ZN7rocprim17ROCPRIM_400000_NS6detail17trampoline_kernelINS0_14default_configENS1_35radix_sort_onesweep_config_selectorIalEEZZNS1_29radix_sort_onesweep_iterationIS3_Lb0EPaS7_N6thrust23THRUST_200600_302600_NS10device_ptrIlEESB_jNS0_19identity_decomposerENS1_16block_id_wrapperIjLb0EEEEE10hipError_tT1_PNSt15iterator_traitsISG_E10value_typeET2_T3_PNSH_ISM_E10value_typeET4_T5_PSR_SS_PNS1_23onesweep_lookback_stateEbbT6_jjT7_P12ihipStream_tbENKUlT_T0_SG_SL_E_clIS7_S7_SB_PlEEDaSZ_S10_SG_SL_EUlSZ_E_NS1_11comp_targetILNS1_3genE10ELNS1_11target_archE1201ELNS1_3gpuE5ELNS1_3repE0EEENS1_47radix_sort_onesweep_sort_config_static_selectorELNS0_4arch9wavefront6targetE1EEEvSG_, .Lfunc_end642-_ZN7rocprim17ROCPRIM_400000_NS6detail17trampoline_kernelINS0_14default_configENS1_35radix_sort_onesweep_config_selectorIalEEZZNS1_29radix_sort_onesweep_iterationIS3_Lb0EPaS7_N6thrust23THRUST_200600_302600_NS10device_ptrIlEESB_jNS0_19identity_decomposerENS1_16block_id_wrapperIjLb0EEEEE10hipError_tT1_PNSt15iterator_traitsISG_E10value_typeET2_T3_PNSH_ISM_E10value_typeET4_T5_PSR_SS_PNS1_23onesweep_lookback_stateEbbT6_jjT7_P12ihipStream_tbENKUlT_T0_SG_SL_E_clIS7_S7_SB_PlEEDaSZ_S10_SG_SL_EUlSZ_E_NS1_11comp_targetILNS1_3genE10ELNS1_11target_archE1201ELNS1_3gpuE5ELNS1_3repE0EEENS1_47radix_sort_onesweep_sort_config_static_selectorELNS0_4arch9wavefront6targetE1EEEvSG_
                                        ; -- End function
	.set _ZN7rocprim17ROCPRIM_400000_NS6detail17trampoline_kernelINS0_14default_configENS1_35radix_sort_onesweep_config_selectorIalEEZZNS1_29radix_sort_onesweep_iterationIS3_Lb0EPaS7_N6thrust23THRUST_200600_302600_NS10device_ptrIlEESB_jNS0_19identity_decomposerENS1_16block_id_wrapperIjLb0EEEEE10hipError_tT1_PNSt15iterator_traitsISG_E10value_typeET2_T3_PNSH_ISM_E10value_typeET4_T5_PSR_SS_PNS1_23onesweep_lookback_stateEbbT6_jjT7_P12ihipStream_tbENKUlT_T0_SG_SL_E_clIS7_S7_SB_PlEEDaSZ_S10_SG_SL_EUlSZ_E_NS1_11comp_targetILNS1_3genE10ELNS1_11target_archE1201ELNS1_3gpuE5ELNS1_3repE0EEENS1_47radix_sort_onesweep_sort_config_static_selectorELNS0_4arch9wavefront6targetE1EEEvSG_.num_vgpr, 0
	.set _ZN7rocprim17ROCPRIM_400000_NS6detail17trampoline_kernelINS0_14default_configENS1_35radix_sort_onesweep_config_selectorIalEEZZNS1_29radix_sort_onesweep_iterationIS3_Lb0EPaS7_N6thrust23THRUST_200600_302600_NS10device_ptrIlEESB_jNS0_19identity_decomposerENS1_16block_id_wrapperIjLb0EEEEE10hipError_tT1_PNSt15iterator_traitsISG_E10value_typeET2_T3_PNSH_ISM_E10value_typeET4_T5_PSR_SS_PNS1_23onesweep_lookback_stateEbbT6_jjT7_P12ihipStream_tbENKUlT_T0_SG_SL_E_clIS7_S7_SB_PlEEDaSZ_S10_SG_SL_EUlSZ_E_NS1_11comp_targetILNS1_3genE10ELNS1_11target_archE1201ELNS1_3gpuE5ELNS1_3repE0EEENS1_47radix_sort_onesweep_sort_config_static_selectorELNS0_4arch9wavefront6targetE1EEEvSG_.num_agpr, 0
	.set _ZN7rocprim17ROCPRIM_400000_NS6detail17trampoline_kernelINS0_14default_configENS1_35radix_sort_onesweep_config_selectorIalEEZZNS1_29radix_sort_onesweep_iterationIS3_Lb0EPaS7_N6thrust23THRUST_200600_302600_NS10device_ptrIlEESB_jNS0_19identity_decomposerENS1_16block_id_wrapperIjLb0EEEEE10hipError_tT1_PNSt15iterator_traitsISG_E10value_typeET2_T3_PNSH_ISM_E10value_typeET4_T5_PSR_SS_PNS1_23onesweep_lookback_stateEbbT6_jjT7_P12ihipStream_tbENKUlT_T0_SG_SL_E_clIS7_S7_SB_PlEEDaSZ_S10_SG_SL_EUlSZ_E_NS1_11comp_targetILNS1_3genE10ELNS1_11target_archE1201ELNS1_3gpuE5ELNS1_3repE0EEENS1_47radix_sort_onesweep_sort_config_static_selectorELNS0_4arch9wavefront6targetE1EEEvSG_.numbered_sgpr, 0
	.set _ZN7rocprim17ROCPRIM_400000_NS6detail17trampoline_kernelINS0_14default_configENS1_35radix_sort_onesweep_config_selectorIalEEZZNS1_29radix_sort_onesweep_iterationIS3_Lb0EPaS7_N6thrust23THRUST_200600_302600_NS10device_ptrIlEESB_jNS0_19identity_decomposerENS1_16block_id_wrapperIjLb0EEEEE10hipError_tT1_PNSt15iterator_traitsISG_E10value_typeET2_T3_PNSH_ISM_E10value_typeET4_T5_PSR_SS_PNS1_23onesweep_lookback_stateEbbT6_jjT7_P12ihipStream_tbENKUlT_T0_SG_SL_E_clIS7_S7_SB_PlEEDaSZ_S10_SG_SL_EUlSZ_E_NS1_11comp_targetILNS1_3genE10ELNS1_11target_archE1201ELNS1_3gpuE5ELNS1_3repE0EEENS1_47radix_sort_onesweep_sort_config_static_selectorELNS0_4arch9wavefront6targetE1EEEvSG_.num_named_barrier, 0
	.set _ZN7rocprim17ROCPRIM_400000_NS6detail17trampoline_kernelINS0_14default_configENS1_35radix_sort_onesweep_config_selectorIalEEZZNS1_29radix_sort_onesweep_iterationIS3_Lb0EPaS7_N6thrust23THRUST_200600_302600_NS10device_ptrIlEESB_jNS0_19identity_decomposerENS1_16block_id_wrapperIjLb0EEEEE10hipError_tT1_PNSt15iterator_traitsISG_E10value_typeET2_T3_PNSH_ISM_E10value_typeET4_T5_PSR_SS_PNS1_23onesweep_lookback_stateEbbT6_jjT7_P12ihipStream_tbENKUlT_T0_SG_SL_E_clIS7_S7_SB_PlEEDaSZ_S10_SG_SL_EUlSZ_E_NS1_11comp_targetILNS1_3genE10ELNS1_11target_archE1201ELNS1_3gpuE5ELNS1_3repE0EEENS1_47radix_sort_onesweep_sort_config_static_selectorELNS0_4arch9wavefront6targetE1EEEvSG_.private_seg_size, 0
	.set _ZN7rocprim17ROCPRIM_400000_NS6detail17trampoline_kernelINS0_14default_configENS1_35radix_sort_onesweep_config_selectorIalEEZZNS1_29radix_sort_onesweep_iterationIS3_Lb0EPaS7_N6thrust23THRUST_200600_302600_NS10device_ptrIlEESB_jNS0_19identity_decomposerENS1_16block_id_wrapperIjLb0EEEEE10hipError_tT1_PNSt15iterator_traitsISG_E10value_typeET2_T3_PNSH_ISM_E10value_typeET4_T5_PSR_SS_PNS1_23onesweep_lookback_stateEbbT6_jjT7_P12ihipStream_tbENKUlT_T0_SG_SL_E_clIS7_S7_SB_PlEEDaSZ_S10_SG_SL_EUlSZ_E_NS1_11comp_targetILNS1_3genE10ELNS1_11target_archE1201ELNS1_3gpuE5ELNS1_3repE0EEENS1_47radix_sort_onesweep_sort_config_static_selectorELNS0_4arch9wavefront6targetE1EEEvSG_.uses_vcc, 0
	.set _ZN7rocprim17ROCPRIM_400000_NS6detail17trampoline_kernelINS0_14default_configENS1_35radix_sort_onesweep_config_selectorIalEEZZNS1_29radix_sort_onesweep_iterationIS3_Lb0EPaS7_N6thrust23THRUST_200600_302600_NS10device_ptrIlEESB_jNS0_19identity_decomposerENS1_16block_id_wrapperIjLb0EEEEE10hipError_tT1_PNSt15iterator_traitsISG_E10value_typeET2_T3_PNSH_ISM_E10value_typeET4_T5_PSR_SS_PNS1_23onesweep_lookback_stateEbbT6_jjT7_P12ihipStream_tbENKUlT_T0_SG_SL_E_clIS7_S7_SB_PlEEDaSZ_S10_SG_SL_EUlSZ_E_NS1_11comp_targetILNS1_3genE10ELNS1_11target_archE1201ELNS1_3gpuE5ELNS1_3repE0EEENS1_47radix_sort_onesweep_sort_config_static_selectorELNS0_4arch9wavefront6targetE1EEEvSG_.uses_flat_scratch, 0
	.set _ZN7rocprim17ROCPRIM_400000_NS6detail17trampoline_kernelINS0_14default_configENS1_35radix_sort_onesweep_config_selectorIalEEZZNS1_29radix_sort_onesweep_iterationIS3_Lb0EPaS7_N6thrust23THRUST_200600_302600_NS10device_ptrIlEESB_jNS0_19identity_decomposerENS1_16block_id_wrapperIjLb0EEEEE10hipError_tT1_PNSt15iterator_traitsISG_E10value_typeET2_T3_PNSH_ISM_E10value_typeET4_T5_PSR_SS_PNS1_23onesweep_lookback_stateEbbT6_jjT7_P12ihipStream_tbENKUlT_T0_SG_SL_E_clIS7_S7_SB_PlEEDaSZ_S10_SG_SL_EUlSZ_E_NS1_11comp_targetILNS1_3genE10ELNS1_11target_archE1201ELNS1_3gpuE5ELNS1_3repE0EEENS1_47radix_sort_onesweep_sort_config_static_selectorELNS0_4arch9wavefront6targetE1EEEvSG_.has_dyn_sized_stack, 0
	.set _ZN7rocprim17ROCPRIM_400000_NS6detail17trampoline_kernelINS0_14default_configENS1_35radix_sort_onesweep_config_selectorIalEEZZNS1_29radix_sort_onesweep_iterationIS3_Lb0EPaS7_N6thrust23THRUST_200600_302600_NS10device_ptrIlEESB_jNS0_19identity_decomposerENS1_16block_id_wrapperIjLb0EEEEE10hipError_tT1_PNSt15iterator_traitsISG_E10value_typeET2_T3_PNSH_ISM_E10value_typeET4_T5_PSR_SS_PNS1_23onesweep_lookback_stateEbbT6_jjT7_P12ihipStream_tbENKUlT_T0_SG_SL_E_clIS7_S7_SB_PlEEDaSZ_S10_SG_SL_EUlSZ_E_NS1_11comp_targetILNS1_3genE10ELNS1_11target_archE1201ELNS1_3gpuE5ELNS1_3repE0EEENS1_47radix_sort_onesweep_sort_config_static_selectorELNS0_4arch9wavefront6targetE1EEEvSG_.has_recursion, 0
	.set _ZN7rocprim17ROCPRIM_400000_NS6detail17trampoline_kernelINS0_14default_configENS1_35radix_sort_onesweep_config_selectorIalEEZZNS1_29radix_sort_onesweep_iterationIS3_Lb0EPaS7_N6thrust23THRUST_200600_302600_NS10device_ptrIlEESB_jNS0_19identity_decomposerENS1_16block_id_wrapperIjLb0EEEEE10hipError_tT1_PNSt15iterator_traitsISG_E10value_typeET2_T3_PNSH_ISM_E10value_typeET4_T5_PSR_SS_PNS1_23onesweep_lookback_stateEbbT6_jjT7_P12ihipStream_tbENKUlT_T0_SG_SL_E_clIS7_S7_SB_PlEEDaSZ_S10_SG_SL_EUlSZ_E_NS1_11comp_targetILNS1_3genE10ELNS1_11target_archE1201ELNS1_3gpuE5ELNS1_3repE0EEENS1_47radix_sort_onesweep_sort_config_static_selectorELNS0_4arch9wavefront6targetE1EEEvSG_.has_indirect_call, 0
	.section	.AMDGPU.csdata,"",@progbits
; Kernel info:
; codeLenInByte = 0
; TotalNumSgprs: 4
; NumVgprs: 0
; ScratchSize: 0
; MemoryBound: 0
; FloatMode: 240
; IeeeMode: 1
; LDSByteSize: 0 bytes/workgroup (compile time only)
; SGPRBlocks: 0
; VGPRBlocks: 0
; NumSGPRsForWavesPerEU: 4
; NumVGPRsForWavesPerEU: 1
; Occupancy: 10
; WaveLimiterHint : 0
; COMPUTE_PGM_RSRC2:SCRATCH_EN: 0
; COMPUTE_PGM_RSRC2:USER_SGPR: 6
; COMPUTE_PGM_RSRC2:TRAP_HANDLER: 0
; COMPUTE_PGM_RSRC2:TGID_X_EN: 1
; COMPUTE_PGM_RSRC2:TGID_Y_EN: 0
; COMPUTE_PGM_RSRC2:TGID_Z_EN: 0
; COMPUTE_PGM_RSRC2:TIDIG_COMP_CNT: 0
	.section	.text._ZN7rocprim17ROCPRIM_400000_NS6detail17trampoline_kernelINS0_14default_configENS1_35radix_sort_onesweep_config_selectorIalEEZZNS1_29radix_sort_onesweep_iterationIS3_Lb0EPaS7_N6thrust23THRUST_200600_302600_NS10device_ptrIlEESB_jNS0_19identity_decomposerENS1_16block_id_wrapperIjLb0EEEEE10hipError_tT1_PNSt15iterator_traitsISG_E10value_typeET2_T3_PNSH_ISM_E10value_typeET4_T5_PSR_SS_PNS1_23onesweep_lookback_stateEbbT6_jjT7_P12ihipStream_tbENKUlT_T0_SG_SL_E_clIS7_S7_SB_PlEEDaSZ_S10_SG_SL_EUlSZ_E_NS1_11comp_targetILNS1_3genE9ELNS1_11target_archE1100ELNS1_3gpuE3ELNS1_3repE0EEENS1_47radix_sort_onesweep_sort_config_static_selectorELNS0_4arch9wavefront6targetE1EEEvSG_,"axG",@progbits,_ZN7rocprim17ROCPRIM_400000_NS6detail17trampoline_kernelINS0_14default_configENS1_35radix_sort_onesweep_config_selectorIalEEZZNS1_29radix_sort_onesweep_iterationIS3_Lb0EPaS7_N6thrust23THRUST_200600_302600_NS10device_ptrIlEESB_jNS0_19identity_decomposerENS1_16block_id_wrapperIjLb0EEEEE10hipError_tT1_PNSt15iterator_traitsISG_E10value_typeET2_T3_PNSH_ISM_E10value_typeET4_T5_PSR_SS_PNS1_23onesweep_lookback_stateEbbT6_jjT7_P12ihipStream_tbENKUlT_T0_SG_SL_E_clIS7_S7_SB_PlEEDaSZ_S10_SG_SL_EUlSZ_E_NS1_11comp_targetILNS1_3genE9ELNS1_11target_archE1100ELNS1_3gpuE3ELNS1_3repE0EEENS1_47radix_sort_onesweep_sort_config_static_selectorELNS0_4arch9wavefront6targetE1EEEvSG_,comdat
	.protected	_ZN7rocprim17ROCPRIM_400000_NS6detail17trampoline_kernelINS0_14default_configENS1_35radix_sort_onesweep_config_selectorIalEEZZNS1_29radix_sort_onesweep_iterationIS3_Lb0EPaS7_N6thrust23THRUST_200600_302600_NS10device_ptrIlEESB_jNS0_19identity_decomposerENS1_16block_id_wrapperIjLb0EEEEE10hipError_tT1_PNSt15iterator_traitsISG_E10value_typeET2_T3_PNSH_ISM_E10value_typeET4_T5_PSR_SS_PNS1_23onesweep_lookback_stateEbbT6_jjT7_P12ihipStream_tbENKUlT_T0_SG_SL_E_clIS7_S7_SB_PlEEDaSZ_S10_SG_SL_EUlSZ_E_NS1_11comp_targetILNS1_3genE9ELNS1_11target_archE1100ELNS1_3gpuE3ELNS1_3repE0EEENS1_47radix_sort_onesweep_sort_config_static_selectorELNS0_4arch9wavefront6targetE1EEEvSG_ ; -- Begin function _ZN7rocprim17ROCPRIM_400000_NS6detail17trampoline_kernelINS0_14default_configENS1_35radix_sort_onesweep_config_selectorIalEEZZNS1_29radix_sort_onesweep_iterationIS3_Lb0EPaS7_N6thrust23THRUST_200600_302600_NS10device_ptrIlEESB_jNS0_19identity_decomposerENS1_16block_id_wrapperIjLb0EEEEE10hipError_tT1_PNSt15iterator_traitsISG_E10value_typeET2_T3_PNSH_ISM_E10value_typeET4_T5_PSR_SS_PNS1_23onesweep_lookback_stateEbbT6_jjT7_P12ihipStream_tbENKUlT_T0_SG_SL_E_clIS7_S7_SB_PlEEDaSZ_S10_SG_SL_EUlSZ_E_NS1_11comp_targetILNS1_3genE9ELNS1_11target_archE1100ELNS1_3gpuE3ELNS1_3repE0EEENS1_47radix_sort_onesweep_sort_config_static_selectorELNS0_4arch9wavefront6targetE1EEEvSG_
	.globl	_ZN7rocprim17ROCPRIM_400000_NS6detail17trampoline_kernelINS0_14default_configENS1_35radix_sort_onesweep_config_selectorIalEEZZNS1_29radix_sort_onesweep_iterationIS3_Lb0EPaS7_N6thrust23THRUST_200600_302600_NS10device_ptrIlEESB_jNS0_19identity_decomposerENS1_16block_id_wrapperIjLb0EEEEE10hipError_tT1_PNSt15iterator_traitsISG_E10value_typeET2_T3_PNSH_ISM_E10value_typeET4_T5_PSR_SS_PNS1_23onesweep_lookback_stateEbbT6_jjT7_P12ihipStream_tbENKUlT_T0_SG_SL_E_clIS7_S7_SB_PlEEDaSZ_S10_SG_SL_EUlSZ_E_NS1_11comp_targetILNS1_3genE9ELNS1_11target_archE1100ELNS1_3gpuE3ELNS1_3repE0EEENS1_47radix_sort_onesweep_sort_config_static_selectorELNS0_4arch9wavefront6targetE1EEEvSG_
	.p2align	8
	.type	_ZN7rocprim17ROCPRIM_400000_NS6detail17trampoline_kernelINS0_14default_configENS1_35radix_sort_onesweep_config_selectorIalEEZZNS1_29radix_sort_onesweep_iterationIS3_Lb0EPaS7_N6thrust23THRUST_200600_302600_NS10device_ptrIlEESB_jNS0_19identity_decomposerENS1_16block_id_wrapperIjLb0EEEEE10hipError_tT1_PNSt15iterator_traitsISG_E10value_typeET2_T3_PNSH_ISM_E10value_typeET4_T5_PSR_SS_PNS1_23onesweep_lookback_stateEbbT6_jjT7_P12ihipStream_tbENKUlT_T0_SG_SL_E_clIS7_S7_SB_PlEEDaSZ_S10_SG_SL_EUlSZ_E_NS1_11comp_targetILNS1_3genE9ELNS1_11target_archE1100ELNS1_3gpuE3ELNS1_3repE0EEENS1_47radix_sort_onesweep_sort_config_static_selectorELNS0_4arch9wavefront6targetE1EEEvSG_,@function
_ZN7rocprim17ROCPRIM_400000_NS6detail17trampoline_kernelINS0_14default_configENS1_35radix_sort_onesweep_config_selectorIalEEZZNS1_29radix_sort_onesweep_iterationIS3_Lb0EPaS7_N6thrust23THRUST_200600_302600_NS10device_ptrIlEESB_jNS0_19identity_decomposerENS1_16block_id_wrapperIjLb0EEEEE10hipError_tT1_PNSt15iterator_traitsISG_E10value_typeET2_T3_PNSH_ISM_E10value_typeET4_T5_PSR_SS_PNS1_23onesweep_lookback_stateEbbT6_jjT7_P12ihipStream_tbENKUlT_T0_SG_SL_E_clIS7_S7_SB_PlEEDaSZ_S10_SG_SL_EUlSZ_E_NS1_11comp_targetILNS1_3genE9ELNS1_11target_archE1100ELNS1_3gpuE3ELNS1_3repE0EEENS1_47radix_sort_onesweep_sort_config_static_selectorELNS0_4arch9wavefront6targetE1EEEvSG_: ; @_ZN7rocprim17ROCPRIM_400000_NS6detail17trampoline_kernelINS0_14default_configENS1_35radix_sort_onesweep_config_selectorIalEEZZNS1_29radix_sort_onesweep_iterationIS3_Lb0EPaS7_N6thrust23THRUST_200600_302600_NS10device_ptrIlEESB_jNS0_19identity_decomposerENS1_16block_id_wrapperIjLb0EEEEE10hipError_tT1_PNSt15iterator_traitsISG_E10value_typeET2_T3_PNSH_ISM_E10value_typeET4_T5_PSR_SS_PNS1_23onesweep_lookback_stateEbbT6_jjT7_P12ihipStream_tbENKUlT_T0_SG_SL_E_clIS7_S7_SB_PlEEDaSZ_S10_SG_SL_EUlSZ_E_NS1_11comp_targetILNS1_3genE9ELNS1_11target_archE1100ELNS1_3gpuE3ELNS1_3repE0EEENS1_47radix_sort_onesweep_sort_config_static_selectorELNS0_4arch9wavefront6targetE1EEEvSG_
; %bb.0:
	.section	.rodata,"a",@progbits
	.p2align	6, 0x0
	.amdhsa_kernel _ZN7rocprim17ROCPRIM_400000_NS6detail17trampoline_kernelINS0_14default_configENS1_35radix_sort_onesweep_config_selectorIalEEZZNS1_29radix_sort_onesweep_iterationIS3_Lb0EPaS7_N6thrust23THRUST_200600_302600_NS10device_ptrIlEESB_jNS0_19identity_decomposerENS1_16block_id_wrapperIjLb0EEEEE10hipError_tT1_PNSt15iterator_traitsISG_E10value_typeET2_T3_PNSH_ISM_E10value_typeET4_T5_PSR_SS_PNS1_23onesweep_lookback_stateEbbT6_jjT7_P12ihipStream_tbENKUlT_T0_SG_SL_E_clIS7_S7_SB_PlEEDaSZ_S10_SG_SL_EUlSZ_E_NS1_11comp_targetILNS1_3genE9ELNS1_11target_archE1100ELNS1_3gpuE3ELNS1_3repE0EEENS1_47radix_sort_onesweep_sort_config_static_selectorELNS0_4arch9wavefront6targetE1EEEvSG_
		.amdhsa_group_segment_fixed_size 0
		.amdhsa_private_segment_fixed_size 0
		.amdhsa_kernarg_size 88
		.amdhsa_user_sgpr_count 6
		.amdhsa_user_sgpr_private_segment_buffer 1
		.amdhsa_user_sgpr_dispatch_ptr 0
		.amdhsa_user_sgpr_queue_ptr 0
		.amdhsa_user_sgpr_kernarg_segment_ptr 1
		.amdhsa_user_sgpr_dispatch_id 0
		.amdhsa_user_sgpr_flat_scratch_init 0
		.amdhsa_user_sgpr_private_segment_size 0
		.amdhsa_uses_dynamic_stack 0
		.amdhsa_system_sgpr_private_segment_wavefront_offset 0
		.amdhsa_system_sgpr_workgroup_id_x 1
		.amdhsa_system_sgpr_workgroup_id_y 0
		.amdhsa_system_sgpr_workgroup_id_z 0
		.amdhsa_system_sgpr_workgroup_info 0
		.amdhsa_system_vgpr_workitem_id 0
		.amdhsa_next_free_vgpr 1
		.amdhsa_next_free_sgpr 0
		.amdhsa_reserve_vcc 0
		.amdhsa_reserve_flat_scratch 0
		.amdhsa_float_round_mode_32 0
		.amdhsa_float_round_mode_16_64 0
		.amdhsa_float_denorm_mode_32 3
		.amdhsa_float_denorm_mode_16_64 3
		.amdhsa_dx10_clamp 1
		.amdhsa_ieee_mode 1
		.amdhsa_fp16_overflow 0
		.amdhsa_exception_fp_ieee_invalid_op 0
		.amdhsa_exception_fp_denorm_src 0
		.amdhsa_exception_fp_ieee_div_zero 0
		.amdhsa_exception_fp_ieee_overflow 0
		.amdhsa_exception_fp_ieee_underflow 0
		.amdhsa_exception_fp_ieee_inexact 0
		.amdhsa_exception_int_div_zero 0
	.end_amdhsa_kernel
	.section	.text._ZN7rocprim17ROCPRIM_400000_NS6detail17trampoline_kernelINS0_14default_configENS1_35radix_sort_onesweep_config_selectorIalEEZZNS1_29radix_sort_onesweep_iterationIS3_Lb0EPaS7_N6thrust23THRUST_200600_302600_NS10device_ptrIlEESB_jNS0_19identity_decomposerENS1_16block_id_wrapperIjLb0EEEEE10hipError_tT1_PNSt15iterator_traitsISG_E10value_typeET2_T3_PNSH_ISM_E10value_typeET4_T5_PSR_SS_PNS1_23onesweep_lookback_stateEbbT6_jjT7_P12ihipStream_tbENKUlT_T0_SG_SL_E_clIS7_S7_SB_PlEEDaSZ_S10_SG_SL_EUlSZ_E_NS1_11comp_targetILNS1_3genE9ELNS1_11target_archE1100ELNS1_3gpuE3ELNS1_3repE0EEENS1_47radix_sort_onesweep_sort_config_static_selectorELNS0_4arch9wavefront6targetE1EEEvSG_,"axG",@progbits,_ZN7rocprim17ROCPRIM_400000_NS6detail17trampoline_kernelINS0_14default_configENS1_35radix_sort_onesweep_config_selectorIalEEZZNS1_29radix_sort_onesweep_iterationIS3_Lb0EPaS7_N6thrust23THRUST_200600_302600_NS10device_ptrIlEESB_jNS0_19identity_decomposerENS1_16block_id_wrapperIjLb0EEEEE10hipError_tT1_PNSt15iterator_traitsISG_E10value_typeET2_T3_PNSH_ISM_E10value_typeET4_T5_PSR_SS_PNS1_23onesweep_lookback_stateEbbT6_jjT7_P12ihipStream_tbENKUlT_T0_SG_SL_E_clIS7_S7_SB_PlEEDaSZ_S10_SG_SL_EUlSZ_E_NS1_11comp_targetILNS1_3genE9ELNS1_11target_archE1100ELNS1_3gpuE3ELNS1_3repE0EEENS1_47radix_sort_onesweep_sort_config_static_selectorELNS0_4arch9wavefront6targetE1EEEvSG_,comdat
.Lfunc_end643:
	.size	_ZN7rocprim17ROCPRIM_400000_NS6detail17trampoline_kernelINS0_14default_configENS1_35radix_sort_onesweep_config_selectorIalEEZZNS1_29radix_sort_onesweep_iterationIS3_Lb0EPaS7_N6thrust23THRUST_200600_302600_NS10device_ptrIlEESB_jNS0_19identity_decomposerENS1_16block_id_wrapperIjLb0EEEEE10hipError_tT1_PNSt15iterator_traitsISG_E10value_typeET2_T3_PNSH_ISM_E10value_typeET4_T5_PSR_SS_PNS1_23onesweep_lookback_stateEbbT6_jjT7_P12ihipStream_tbENKUlT_T0_SG_SL_E_clIS7_S7_SB_PlEEDaSZ_S10_SG_SL_EUlSZ_E_NS1_11comp_targetILNS1_3genE9ELNS1_11target_archE1100ELNS1_3gpuE3ELNS1_3repE0EEENS1_47radix_sort_onesweep_sort_config_static_selectorELNS0_4arch9wavefront6targetE1EEEvSG_, .Lfunc_end643-_ZN7rocprim17ROCPRIM_400000_NS6detail17trampoline_kernelINS0_14default_configENS1_35radix_sort_onesweep_config_selectorIalEEZZNS1_29radix_sort_onesweep_iterationIS3_Lb0EPaS7_N6thrust23THRUST_200600_302600_NS10device_ptrIlEESB_jNS0_19identity_decomposerENS1_16block_id_wrapperIjLb0EEEEE10hipError_tT1_PNSt15iterator_traitsISG_E10value_typeET2_T3_PNSH_ISM_E10value_typeET4_T5_PSR_SS_PNS1_23onesweep_lookback_stateEbbT6_jjT7_P12ihipStream_tbENKUlT_T0_SG_SL_E_clIS7_S7_SB_PlEEDaSZ_S10_SG_SL_EUlSZ_E_NS1_11comp_targetILNS1_3genE9ELNS1_11target_archE1100ELNS1_3gpuE3ELNS1_3repE0EEENS1_47radix_sort_onesweep_sort_config_static_selectorELNS0_4arch9wavefront6targetE1EEEvSG_
                                        ; -- End function
	.set _ZN7rocprim17ROCPRIM_400000_NS6detail17trampoline_kernelINS0_14default_configENS1_35radix_sort_onesweep_config_selectorIalEEZZNS1_29radix_sort_onesweep_iterationIS3_Lb0EPaS7_N6thrust23THRUST_200600_302600_NS10device_ptrIlEESB_jNS0_19identity_decomposerENS1_16block_id_wrapperIjLb0EEEEE10hipError_tT1_PNSt15iterator_traitsISG_E10value_typeET2_T3_PNSH_ISM_E10value_typeET4_T5_PSR_SS_PNS1_23onesweep_lookback_stateEbbT6_jjT7_P12ihipStream_tbENKUlT_T0_SG_SL_E_clIS7_S7_SB_PlEEDaSZ_S10_SG_SL_EUlSZ_E_NS1_11comp_targetILNS1_3genE9ELNS1_11target_archE1100ELNS1_3gpuE3ELNS1_3repE0EEENS1_47radix_sort_onesweep_sort_config_static_selectorELNS0_4arch9wavefront6targetE1EEEvSG_.num_vgpr, 0
	.set _ZN7rocprim17ROCPRIM_400000_NS6detail17trampoline_kernelINS0_14default_configENS1_35radix_sort_onesweep_config_selectorIalEEZZNS1_29radix_sort_onesweep_iterationIS3_Lb0EPaS7_N6thrust23THRUST_200600_302600_NS10device_ptrIlEESB_jNS0_19identity_decomposerENS1_16block_id_wrapperIjLb0EEEEE10hipError_tT1_PNSt15iterator_traitsISG_E10value_typeET2_T3_PNSH_ISM_E10value_typeET4_T5_PSR_SS_PNS1_23onesweep_lookback_stateEbbT6_jjT7_P12ihipStream_tbENKUlT_T0_SG_SL_E_clIS7_S7_SB_PlEEDaSZ_S10_SG_SL_EUlSZ_E_NS1_11comp_targetILNS1_3genE9ELNS1_11target_archE1100ELNS1_3gpuE3ELNS1_3repE0EEENS1_47radix_sort_onesweep_sort_config_static_selectorELNS0_4arch9wavefront6targetE1EEEvSG_.num_agpr, 0
	.set _ZN7rocprim17ROCPRIM_400000_NS6detail17trampoline_kernelINS0_14default_configENS1_35radix_sort_onesweep_config_selectorIalEEZZNS1_29radix_sort_onesweep_iterationIS3_Lb0EPaS7_N6thrust23THRUST_200600_302600_NS10device_ptrIlEESB_jNS0_19identity_decomposerENS1_16block_id_wrapperIjLb0EEEEE10hipError_tT1_PNSt15iterator_traitsISG_E10value_typeET2_T3_PNSH_ISM_E10value_typeET4_T5_PSR_SS_PNS1_23onesweep_lookback_stateEbbT6_jjT7_P12ihipStream_tbENKUlT_T0_SG_SL_E_clIS7_S7_SB_PlEEDaSZ_S10_SG_SL_EUlSZ_E_NS1_11comp_targetILNS1_3genE9ELNS1_11target_archE1100ELNS1_3gpuE3ELNS1_3repE0EEENS1_47radix_sort_onesweep_sort_config_static_selectorELNS0_4arch9wavefront6targetE1EEEvSG_.numbered_sgpr, 0
	.set _ZN7rocprim17ROCPRIM_400000_NS6detail17trampoline_kernelINS0_14default_configENS1_35radix_sort_onesweep_config_selectorIalEEZZNS1_29radix_sort_onesweep_iterationIS3_Lb0EPaS7_N6thrust23THRUST_200600_302600_NS10device_ptrIlEESB_jNS0_19identity_decomposerENS1_16block_id_wrapperIjLb0EEEEE10hipError_tT1_PNSt15iterator_traitsISG_E10value_typeET2_T3_PNSH_ISM_E10value_typeET4_T5_PSR_SS_PNS1_23onesweep_lookback_stateEbbT6_jjT7_P12ihipStream_tbENKUlT_T0_SG_SL_E_clIS7_S7_SB_PlEEDaSZ_S10_SG_SL_EUlSZ_E_NS1_11comp_targetILNS1_3genE9ELNS1_11target_archE1100ELNS1_3gpuE3ELNS1_3repE0EEENS1_47radix_sort_onesweep_sort_config_static_selectorELNS0_4arch9wavefront6targetE1EEEvSG_.num_named_barrier, 0
	.set _ZN7rocprim17ROCPRIM_400000_NS6detail17trampoline_kernelINS0_14default_configENS1_35radix_sort_onesweep_config_selectorIalEEZZNS1_29radix_sort_onesweep_iterationIS3_Lb0EPaS7_N6thrust23THRUST_200600_302600_NS10device_ptrIlEESB_jNS0_19identity_decomposerENS1_16block_id_wrapperIjLb0EEEEE10hipError_tT1_PNSt15iterator_traitsISG_E10value_typeET2_T3_PNSH_ISM_E10value_typeET4_T5_PSR_SS_PNS1_23onesweep_lookback_stateEbbT6_jjT7_P12ihipStream_tbENKUlT_T0_SG_SL_E_clIS7_S7_SB_PlEEDaSZ_S10_SG_SL_EUlSZ_E_NS1_11comp_targetILNS1_3genE9ELNS1_11target_archE1100ELNS1_3gpuE3ELNS1_3repE0EEENS1_47radix_sort_onesweep_sort_config_static_selectorELNS0_4arch9wavefront6targetE1EEEvSG_.private_seg_size, 0
	.set _ZN7rocprim17ROCPRIM_400000_NS6detail17trampoline_kernelINS0_14default_configENS1_35radix_sort_onesweep_config_selectorIalEEZZNS1_29radix_sort_onesweep_iterationIS3_Lb0EPaS7_N6thrust23THRUST_200600_302600_NS10device_ptrIlEESB_jNS0_19identity_decomposerENS1_16block_id_wrapperIjLb0EEEEE10hipError_tT1_PNSt15iterator_traitsISG_E10value_typeET2_T3_PNSH_ISM_E10value_typeET4_T5_PSR_SS_PNS1_23onesweep_lookback_stateEbbT6_jjT7_P12ihipStream_tbENKUlT_T0_SG_SL_E_clIS7_S7_SB_PlEEDaSZ_S10_SG_SL_EUlSZ_E_NS1_11comp_targetILNS1_3genE9ELNS1_11target_archE1100ELNS1_3gpuE3ELNS1_3repE0EEENS1_47radix_sort_onesweep_sort_config_static_selectorELNS0_4arch9wavefront6targetE1EEEvSG_.uses_vcc, 0
	.set _ZN7rocprim17ROCPRIM_400000_NS6detail17trampoline_kernelINS0_14default_configENS1_35radix_sort_onesweep_config_selectorIalEEZZNS1_29radix_sort_onesweep_iterationIS3_Lb0EPaS7_N6thrust23THRUST_200600_302600_NS10device_ptrIlEESB_jNS0_19identity_decomposerENS1_16block_id_wrapperIjLb0EEEEE10hipError_tT1_PNSt15iterator_traitsISG_E10value_typeET2_T3_PNSH_ISM_E10value_typeET4_T5_PSR_SS_PNS1_23onesweep_lookback_stateEbbT6_jjT7_P12ihipStream_tbENKUlT_T0_SG_SL_E_clIS7_S7_SB_PlEEDaSZ_S10_SG_SL_EUlSZ_E_NS1_11comp_targetILNS1_3genE9ELNS1_11target_archE1100ELNS1_3gpuE3ELNS1_3repE0EEENS1_47radix_sort_onesweep_sort_config_static_selectorELNS0_4arch9wavefront6targetE1EEEvSG_.uses_flat_scratch, 0
	.set _ZN7rocprim17ROCPRIM_400000_NS6detail17trampoline_kernelINS0_14default_configENS1_35radix_sort_onesweep_config_selectorIalEEZZNS1_29radix_sort_onesweep_iterationIS3_Lb0EPaS7_N6thrust23THRUST_200600_302600_NS10device_ptrIlEESB_jNS0_19identity_decomposerENS1_16block_id_wrapperIjLb0EEEEE10hipError_tT1_PNSt15iterator_traitsISG_E10value_typeET2_T3_PNSH_ISM_E10value_typeET4_T5_PSR_SS_PNS1_23onesweep_lookback_stateEbbT6_jjT7_P12ihipStream_tbENKUlT_T0_SG_SL_E_clIS7_S7_SB_PlEEDaSZ_S10_SG_SL_EUlSZ_E_NS1_11comp_targetILNS1_3genE9ELNS1_11target_archE1100ELNS1_3gpuE3ELNS1_3repE0EEENS1_47radix_sort_onesweep_sort_config_static_selectorELNS0_4arch9wavefront6targetE1EEEvSG_.has_dyn_sized_stack, 0
	.set _ZN7rocprim17ROCPRIM_400000_NS6detail17trampoline_kernelINS0_14default_configENS1_35radix_sort_onesweep_config_selectorIalEEZZNS1_29radix_sort_onesweep_iterationIS3_Lb0EPaS7_N6thrust23THRUST_200600_302600_NS10device_ptrIlEESB_jNS0_19identity_decomposerENS1_16block_id_wrapperIjLb0EEEEE10hipError_tT1_PNSt15iterator_traitsISG_E10value_typeET2_T3_PNSH_ISM_E10value_typeET4_T5_PSR_SS_PNS1_23onesweep_lookback_stateEbbT6_jjT7_P12ihipStream_tbENKUlT_T0_SG_SL_E_clIS7_S7_SB_PlEEDaSZ_S10_SG_SL_EUlSZ_E_NS1_11comp_targetILNS1_3genE9ELNS1_11target_archE1100ELNS1_3gpuE3ELNS1_3repE0EEENS1_47radix_sort_onesweep_sort_config_static_selectorELNS0_4arch9wavefront6targetE1EEEvSG_.has_recursion, 0
	.set _ZN7rocprim17ROCPRIM_400000_NS6detail17trampoline_kernelINS0_14default_configENS1_35radix_sort_onesweep_config_selectorIalEEZZNS1_29radix_sort_onesweep_iterationIS3_Lb0EPaS7_N6thrust23THRUST_200600_302600_NS10device_ptrIlEESB_jNS0_19identity_decomposerENS1_16block_id_wrapperIjLb0EEEEE10hipError_tT1_PNSt15iterator_traitsISG_E10value_typeET2_T3_PNSH_ISM_E10value_typeET4_T5_PSR_SS_PNS1_23onesweep_lookback_stateEbbT6_jjT7_P12ihipStream_tbENKUlT_T0_SG_SL_E_clIS7_S7_SB_PlEEDaSZ_S10_SG_SL_EUlSZ_E_NS1_11comp_targetILNS1_3genE9ELNS1_11target_archE1100ELNS1_3gpuE3ELNS1_3repE0EEENS1_47radix_sort_onesweep_sort_config_static_selectorELNS0_4arch9wavefront6targetE1EEEvSG_.has_indirect_call, 0
	.section	.AMDGPU.csdata,"",@progbits
; Kernel info:
; codeLenInByte = 0
; TotalNumSgprs: 4
; NumVgprs: 0
; ScratchSize: 0
; MemoryBound: 0
; FloatMode: 240
; IeeeMode: 1
; LDSByteSize: 0 bytes/workgroup (compile time only)
; SGPRBlocks: 0
; VGPRBlocks: 0
; NumSGPRsForWavesPerEU: 4
; NumVGPRsForWavesPerEU: 1
; Occupancy: 10
; WaveLimiterHint : 0
; COMPUTE_PGM_RSRC2:SCRATCH_EN: 0
; COMPUTE_PGM_RSRC2:USER_SGPR: 6
; COMPUTE_PGM_RSRC2:TRAP_HANDLER: 0
; COMPUTE_PGM_RSRC2:TGID_X_EN: 1
; COMPUTE_PGM_RSRC2:TGID_Y_EN: 0
; COMPUTE_PGM_RSRC2:TGID_Z_EN: 0
; COMPUTE_PGM_RSRC2:TIDIG_COMP_CNT: 0
	.section	.text._ZN7rocprim17ROCPRIM_400000_NS6detail17trampoline_kernelINS0_14default_configENS1_35radix_sort_onesweep_config_selectorIalEEZZNS1_29radix_sort_onesweep_iterationIS3_Lb0EPaS7_N6thrust23THRUST_200600_302600_NS10device_ptrIlEESB_jNS0_19identity_decomposerENS1_16block_id_wrapperIjLb0EEEEE10hipError_tT1_PNSt15iterator_traitsISG_E10value_typeET2_T3_PNSH_ISM_E10value_typeET4_T5_PSR_SS_PNS1_23onesweep_lookback_stateEbbT6_jjT7_P12ihipStream_tbENKUlT_T0_SG_SL_E_clIS7_S7_SB_PlEEDaSZ_S10_SG_SL_EUlSZ_E_NS1_11comp_targetILNS1_3genE8ELNS1_11target_archE1030ELNS1_3gpuE2ELNS1_3repE0EEENS1_47radix_sort_onesweep_sort_config_static_selectorELNS0_4arch9wavefront6targetE1EEEvSG_,"axG",@progbits,_ZN7rocprim17ROCPRIM_400000_NS6detail17trampoline_kernelINS0_14default_configENS1_35radix_sort_onesweep_config_selectorIalEEZZNS1_29radix_sort_onesweep_iterationIS3_Lb0EPaS7_N6thrust23THRUST_200600_302600_NS10device_ptrIlEESB_jNS0_19identity_decomposerENS1_16block_id_wrapperIjLb0EEEEE10hipError_tT1_PNSt15iterator_traitsISG_E10value_typeET2_T3_PNSH_ISM_E10value_typeET4_T5_PSR_SS_PNS1_23onesweep_lookback_stateEbbT6_jjT7_P12ihipStream_tbENKUlT_T0_SG_SL_E_clIS7_S7_SB_PlEEDaSZ_S10_SG_SL_EUlSZ_E_NS1_11comp_targetILNS1_3genE8ELNS1_11target_archE1030ELNS1_3gpuE2ELNS1_3repE0EEENS1_47radix_sort_onesweep_sort_config_static_selectorELNS0_4arch9wavefront6targetE1EEEvSG_,comdat
	.protected	_ZN7rocprim17ROCPRIM_400000_NS6detail17trampoline_kernelINS0_14default_configENS1_35radix_sort_onesweep_config_selectorIalEEZZNS1_29radix_sort_onesweep_iterationIS3_Lb0EPaS7_N6thrust23THRUST_200600_302600_NS10device_ptrIlEESB_jNS0_19identity_decomposerENS1_16block_id_wrapperIjLb0EEEEE10hipError_tT1_PNSt15iterator_traitsISG_E10value_typeET2_T3_PNSH_ISM_E10value_typeET4_T5_PSR_SS_PNS1_23onesweep_lookback_stateEbbT6_jjT7_P12ihipStream_tbENKUlT_T0_SG_SL_E_clIS7_S7_SB_PlEEDaSZ_S10_SG_SL_EUlSZ_E_NS1_11comp_targetILNS1_3genE8ELNS1_11target_archE1030ELNS1_3gpuE2ELNS1_3repE0EEENS1_47radix_sort_onesweep_sort_config_static_selectorELNS0_4arch9wavefront6targetE1EEEvSG_ ; -- Begin function _ZN7rocprim17ROCPRIM_400000_NS6detail17trampoline_kernelINS0_14default_configENS1_35radix_sort_onesweep_config_selectorIalEEZZNS1_29radix_sort_onesweep_iterationIS3_Lb0EPaS7_N6thrust23THRUST_200600_302600_NS10device_ptrIlEESB_jNS0_19identity_decomposerENS1_16block_id_wrapperIjLb0EEEEE10hipError_tT1_PNSt15iterator_traitsISG_E10value_typeET2_T3_PNSH_ISM_E10value_typeET4_T5_PSR_SS_PNS1_23onesweep_lookback_stateEbbT6_jjT7_P12ihipStream_tbENKUlT_T0_SG_SL_E_clIS7_S7_SB_PlEEDaSZ_S10_SG_SL_EUlSZ_E_NS1_11comp_targetILNS1_3genE8ELNS1_11target_archE1030ELNS1_3gpuE2ELNS1_3repE0EEENS1_47radix_sort_onesweep_sort_config_static_selectorELNS0_4arch9wavefront6targetE1EEEvSG_
	.globl	_ZN7rocprim17ROCPRIM_400000_NS6detail17trampoline_kernelINS0_14default_configENS1_35radix_sort_onesweep_config_selectorIalEEZZNS1_29radix_sort_onesweep_iterationIS3_Lb0EPaS7_N6thrust23THRUST_200600_302600_NS10device_ptrIlEESB_jNS0_19identity_decomposerENS1_16block_id_wrapperIjLb0EEEEE10hipError_tT1_PNSt15iterator_traitsISG_E10value_typeET2_T3_PNSH_ISM_E10value_typeET4_T5_PSR_SS_PNS1_23onesweep_lookback_stateEbbT6_jjT7_P12ihipStream_tbENKUlT_T0_SG_SL_E_clIS7_S7_SB_PlEEDaSZ_S10_SG_SL_EUlSZ_E_NS1_11comp_targetILNS1_3genE8ELNS1_11target_archE1030ELNS1_3gpuE2ELNS1_3repE0EEENS1_47radix_sort_onesweep_sort_config_static_selectorELNS0_4arch9wavefront6targetE1EEEvSG_
	.p2align	8
	.type	_ZN7rocprim17ROCPRIM_400000_NS6detail17trampoline_kernelINS0_14default_configENS1_35radix_sort_onesweep_config_selectorIalEEZZNS1_29radix_sort_onesweep_iterationIS3_Lb0EPaS7_N6thrust23THRUST_200600_302600_NS10device_ptrIlEESB_jNS0_19identity_decomposerENS1_16block_id_wrapperIjLb0EEEEE10hipError_tT1_PNSt15iterator_traitsISG_E10value_typeET2_T3_PNSH_ISM_E10value_typeET4_T5_PSR_SS_PNS1_23onesweep_lookback_stateEbbT6_jjT7_P12ihipStream_tbENKUlT_T0_SG_SL_E_clIS7_S7_SB_PlEEDaSZ_S10_SG_SL_EUlSZ_E_NS1_11comp_targetILNS1_3genE8ELNS1_11target_archE1030ELNS1_3gpuE2ELNS1_3repE0EEENS1_47radix_sort_onesweep_sort_config_static_selectorELNS0_4arch9wavefront6targetE1EEEvSG_,@function
_ZN7rocprim17ROCPRIM_400000_NS6detail17trampoline_kernelINS0_14default_configENS1_35radix_sort_onesweep_config_selectorIalEEZZNS1_29radix_sort_onesweep_iterationIS3_Lb0EPaS7_N6thrust23THRUST_200600_302600_NS10device_ptrIlEESB_jNS0_19identity_decomposerENS1_16block_id_wrapperIjLb0EEEEE10hipError_tT1_PNSt15iterator_traitsISG_E10value_typeET2_T3_PNSH_ISM_E10value_typeET4_T5_PSR_SS_PNS1_23onesweep_lookback_stateEbbT6_jjT7_P12ihipStream_tbENKUlT_T0_SG_SL_E_clIS7_S7_SB_PlEEDaSZ_S10_SG_SL_EUlSZ_E_NS1_11comp_targetILNS1_3genE8ELNS1_11target_archE1030ELNS1_3gpuE2ELNS1_3repE0EEENS1_47radix_sort_onesweep_sort_config_static_selectorELNS0_4arch9wavefront6targetE1EEEvSG_: ; @_ZN7rocprim17ROCPRIM_400000_NS6detail17trampoline_kernelINS0_14default_configENS1_35radix_sort_onesweep_config_selectorIalEEZZNS1_29radix_sort_onesweep_iterationIS3_Lb0EPaS7_N6thrust23THRUST_200600_302600_NS10device_ptrIlEESB_jNS0_19identity_decomposerENS1_16block_id_wrapperIjLb0EEEEE10hipError_tT1_PNSt15iterator_traitsISG_E10value_typeET2_T3_PNSH_ISM_E10value_typeET4_T5_PSR_SS_PNS1_23onesweep_lookback_stateEbbT6_jjT7_P12ihipStream_tbENKUlT_T0_SG_SL_E_clIS7_S7_SB_PlEEDaSZ_S10_SG_SL_EUlSZ_E_NS1_11comp_targetILNS1_3genE8ELNS1_11target_archE1030ELNS1_3gpuE2ELNS1_3repE0EEENS1_47radix_sort_onesweep_sort_config_static_selectorELNS0_4arch9wavefront6targetE1EEEvSG_
; %bb.0:
	.section	.rodata,"a",@progbits
	.p2align	6, 0x0
	.amdhsa_kernel _ZN7rocprim17ROCPRIM_400000_NS6detail17trampoline_kernelINS0_14default_configENS1_35radix_sort_onesweep_config_selectorIalEEZZNS1_29radix_sort_onesweep_iterationIS3_Lb0EPaS7_N6thrust23THRUST_200600_302600_NS10device_ptrIlEESB_jNS0_19identity_decomposerENS1_16block_id_wrapperIjLb0EEEEE10hipError_tT1_PNSt15iterator_traitsISG_E10value_typeET2_T3_PNSH_ISM_E10value_typeET4_T5_PSR_SS_PNS1_23onesweep_lookback_stateEbbT6_jjT7_P12ihipStream_tbENKUlT_T0_SG_SL_E_clIS7_S7_SB_PlEEDaSZ_S10_SG_SL_EUlSZ_E_NS1_11comp_targetILNS1_3genE8ELNS1_11target_archE1030ELNS1_3gpuE2ELNS1_3repE0EEENS1_47radix_sort_onesweep_sort_config_static_selectorELNS0_4arch9wavefront6targetE1EEEvSG_
		.amdhsa_group_segment_fixed_size 0
		.amdhsa_private_segment_fixed_size 0
		.amdhsa_kernarg_size 88
		.amdhsa_user_sgpr_count 6
		.amdhsa_user_sgpr_private_segment_buffer 1
		.amdhsa_user_sgpr_dispatch_ptr 0
		.amdhsa_user_sgpr_queue_ptr 0
		.amdhsa_user_sgpr_kernarg_segment_ptr 1
		.amdhsa_user_sgpr_dispatch_id 0
		.amdhsa_user_sgpr_flat_scratch_init 0
		.amdhsa_user_sgpr_private_segment_size 0
		.amdhsa_uses_dynamic_stack 0
		.amdhsa_system_sgpr_private_segment_wavefront_offset 0
		.amdhsa_system_sgpr_workgroup_id_x 1
		.amdhsa_system_sgpr_workgroup_id_y 0
		.amdhsa_system_sgpr_workgroup_id_z 0
		.amdhsa_system_sgpr_workgroup_info 0
		.amdhsa_system_vgpr_workitem_id 0
		.amdhsa_next_free_vgpr 1
		.amdhsa_next_free_sgpr 0
		.amdhsa_reserve_vcc 0
		.amdhsa_reserve_flat_scratch 0
		.amdhsa_float_round_mode_32 0
		.amdhsa_float_round_mode_16_64 0
		.amdhsa_float_denorm_mode_32 3
		.amdhsa_float_denorm_mode_16_64 3
		.amdhsa_dx10_clamp 1
		.amdhsa_ieee_mode 1
		.amdhsa_fp16_overflow 0
		.amdhsa_exception_fp_ieee_invalid_op 0
		.amdhsa_exception_fp_denorm_src 0
		.amdhsa_exception_fp_ieee_div_zero 0
		.amdhsa_exception_fp_ieee_overflow 0
		.amdhsa_exception_fp_ieee_underflow 0
		.amdhsa_exception_fp_ieee_inexact 0
		.amdhsa_exception_int_div_zero 0
	.end_amdhsa_kernel
	.section	.text._ZN7rocprim17ROCPRIM_400000_NS6detail17trampoline_kernelINS0_14default_configENS1_35radix_sort_onesweep_config_selectorIalEEZZNS1_29radix_sort_onesweep_iterationIS3_Lb0EPaS7_N6thrust23THRUST_200600_302600_NS10device_ptrIlEESB_jNS0_19identity_decomposerENS1_16block_id_wrapperIjLb0EEEEE10hipError_tT1_PNSt15iterator_traitsISG_E10value_typeET2_T3_PNSH_ISM_E10value_typeET4_T5_PSR_SS_PNS1_23onesweep_lookback_stateEbbT6_jjT7_P12ihipStream_tbENKUlT_T0_SG_SL_E_clIS7_S7_SB_PlEEDaSZ_S10_SG_SL_EUlSZ_E_NS1_11comp_targetILNS1_3genE8ELNS1_11target_archE1030ELNS1_3gpuE2ELNS1_3repE0EEENS1_47radix_sort_onesweep_sort_config_static_selectorELNS0_4arch9wavefront6targetE1EEEvSG_,"axG",@progbits,_ZN7rocprim17ROCPRIM_400000_NS6detail17trampoline_kernelINS0_14default_configENS1_35radix_sort_onesweep_config_selectorIalEEZZNS1_29radix_sort_onesweep_iterationIS3_Lb0EPaS7_N6thrust23THRUST_200600_302600_NS10device_ptrIlEESB_jNS0_19identity_decomposerENS1_16block_id_wrapperIjLb0EEEEE10hipError_tT1_PNSt15iterator_traitsISG_E10value_typeET2_T3_PNSH_ISM_E10value_typeET4_T5_PSR_SS_PNS1_23onesweep_lookback_stateEbbT6_jjT7_P12ihipStream_tbENKUlT_T0_SG_SL_E_clIS7_S7_SB_PlEEDaSZ_S10_SG_SL_EUlSZ_E_NS1_11comp_targetILNS1_3genE8ELNS1_11target_archE1030ELNS1_3gpuE2ELNS1_3repE0EEENS1_47radix_sort_onesweep_sort_config_static_selectorELNS0_4arch9wavefront6targetE1EEEvSG_,comdat
.Lfunc_end644:
	.size	_ZN7rocprim17ROCPRIM_400000_NS6detail17trampoline_kernelINS0_14default_configENS1_35radix_sort_onesweep_config_selectorIalEEZZNS1_29radix_sort_onesweep_iterationIS3_Lb0EPaS7_N6thrust23THRUST_200600_302600_NS10device_ptrIlEESB_jNS0_19identity_decomposerENS1_16block_id_wrapperIjLb0EEEEE10hipError_tT1_PNSt15iterator_traitsISG_E10value_typeET2_T3_PNSH_ISM_E10value_typeET4_T5_PSR_SS_PNS1_23onesweep_lookback_stateEbbT6_jjT7_P12ihipStream_tbENKUlT_T0_SG_SL_E_clIS7_S7_SB_PlEEDaSZ_S10_SG_SL_EUlSZ_E_NS1_11comp_targetILNS1_3genE8ELNS1_11target_archE1030ELNS1_3gpuE2ELNS1_3repE0EEENS1_47radix_sort_onesweep_sort_config_static_selectorELNS0_4arch9wavefront6targetE1EEEvSG_, .Lfunc_end644-_ZN7rocprim17ROCPRIM_400000_NS6detail17trampoline_kernelINS0_14default_configENS1_35radix_sort_onesweep_config_selectorIalEEZZNS1_29radix_sort_onesweep_iterationIS3_Lb0EPaS7_N6thrust23THRUST_200600_302600_NS10device_ptrIlEESB_jNS0_19identity_decomposerENS1_16block_id_wrapperIjLb0EEEEE10hipError_tT1_PNSt15iterator_traitsISG_E10value_typeET2_T3_PNSH_ISM_E10value_typeET4_T5_PSR_SS_PNS1_23onesweep_lookback_stateEbbT6_jjT7_P12ihipStream_tbENKUlT_T0_SG_SL_E_clIS7_S7_SB_PlEEDaSZ_S10_SG_SL_EUlSZ_E_NS1_11comp_targetILNS1_3genE8ELNS1_11target_archE1030ELNS1_3gpuE2ELNS1_3repE0EEENS1_47radix_sort_onesweep_sort_config_static_selectorELNS0_4arch9wavefront6targetE1EEEvSG_
                                        ; -- End function
	.set _ZN7rocprim17ROCPRIM_400000_NS6detail17trampoline_kernelINS0_14default_configENS1_35radix_sort_onesweep_config_selectorIalEEZZNS1_29radix_sort_onesweep_iterationIS3_Lb0EPaS7_N6thrust23THRUST_200600_302600_NS10device_ptrIlEESB_jNS0_19identity_decomposerENS1_16block_id_wrapperIjLb0EEEEE10hipError_tT1_PNSt15iterator_traitsISG_E10value_typeET2_T3_PNSH_ISM_E10value_typeET4_T5_PSR_SS_PNS1_23onesweep_lookback_stateEbbT6_jjT7_P12ihipStream_tbENKUlT_T0_SG_SL_E_clIS7_S7_SB_PlEEDaSZ_S10_SG_SL_EUlSZ_E_NS1_11comp_targetILNS1_3genE8ELNS1_11target_archE1030ELNS1_3gpuE2ELNS1_3repE0EEENS1_47radix_sort_onesweep_sort_config_static_selectorELNS0_4arch9wavefront6targetE1EEEvSG_.num_vgpr, 0
	.set _ZN7rocprim17ROCPRIM_400000_NS6detail17trampoline_kernelINS0_14default_configENS1_35radix_sort_onesweep_config_selectorIalEEZZNS1_29radix_sort_onesweep_iterationIS3_Lb0EPaS7_N6thrust23THRUST_200600_302600_NS10device_ptrIlEESB_jNS0_19identity_decomposerENS1_16block_id_wrapperIjLb0EEEEE10hipError_tT1_PNSt15iterator_traitsISG_E10value_typeET2_T3_PNSH_ISM_E10value_typeET4_T5_PSR_SS_PNS1_23onesweep_lookback_stateEbbT6_jjT7_P12ihipStream_tbENKUlT_T0_SG_SL_E_clIS7_S7_SB_PlEEDaSZ_S10_SG_SL_EUlSZ_E_NS1_11comp_targetILNS1_3genE8ELNS1_11target_archE1030ELNS1_3gpuE2ELNS1_3repE0EEENS1_47radix_sort_onesweep_sort_config_static_selectorELNS0_4arch9wavefront6targetE1EEEvSG_.num_agpr, 0
	.set _ZN7rocprim17ROCPRIM_400000_NS6detail17trampoline_kernelINS0_14default_configENS1_35radix_sort_onesweep_config_selectorIalEEZZNS1_29radix_sort_onesweep_iterationIS3_Lb0EPaS7_N6thrust23THRUST_200600_302600_NS10device_ptrIlEESB_jNS0_19identity_decomposerENS1_16block_id_wrapperIjLb0EEEEE10hipError_tT1_PNSt15iterator_traitsISG_E10value_typeET2_T3_PNSH_ISM_E10value_typeET4_T5_PSR_SS_PNS1_23onesweep_lookback_stateEbbT6_jjT7_P12ihipStream_tbENKUlT_T0_SG_SL_E_clIS7_S7_SB_PlEEDaSZ_S10_SG_SL_EUlSZ_E_NS1_11comp_targetILNS1_3genE8ELNS1_11target_archE1030ELNS1_3gpuE2ELNS1_3repE0EEENS1_47radix_sort_onesweep_sort_config_static_selectorELNS0_4arch9wavefront6targetE1EEEvSG_.numbered_sgpr, 0
	.set _ZN7rocprim17ROCPRIM_400000_NS6detail17trampoline_kernelINS0_14default_configENS1_35radix_sort_onesweep_config_selectorIalEEZZNS1_29radix_sort_onesweep_iterationIS3_Lb0EPaS7_N6thrust23THRUST_200600_302600_NS10device_ptrIlEESB_jNS0_19identity_decomposerENS1_16block_id_wrapperIjLb0EEEEE10hipError_tT1_PNSt15iterator_traitsISG_E10value_typeET2_T3_PNSH_ISM_E10value_typeET4_T5_PSR_SS_PNS1_23onesweep_lookback_stateEbbT6_jjT7_P12ihipStream_tbENKUlT_T0_SG_SL_E_clIS7_S7_SB_PlEEDaSZ_S10_SG_SL_EUlSZ_E_NS1_11comp_targetILNS1_3genE8ELNS1_11target_archE1030ELNS1_3gpuE2ELNS1_3repE0EEENS1_47radix_sort_onesweep_sort_config_static_selectorELNS0_4arch9wavefront6targetE1EEEvSG_.num_named_barrier, 0
	.set _ZN7rocprim17ROCPRIM_400000_NS6detail17trampoline_kernelINS0_14default_configENS1_35radix_sort_onesweep_config_selectorIalEEZZNS1_29radix_sort_onesweep_iterationIS3_Lb0EPaS7_N6thrust23THRUST_200600_302600_NS10device_ptrIlEESB_jNS0_19identity_decomposerENS1_16block_id_wrapperIjLb0EEEEE10hipError_tT1_PNSt15iterator_traitsISG_E10value_typeET2_T3_PNSH_ISM_E10value_typeET4_T5_PSR_SS_PNS1_23onesweep_lookback_stateEbbT6_jjT7_P12ihipStream_tbENKUlT_T0_SG_SL_E_clIS7_S7_SB_PlEEDaSZ_S10_SG_SL_EUlSZ_E_NS1_11comp_targetILNS1_3genE8ELNS1_11target_archE1030ELNS1_3gpuE2ELNS1_3repE0EEENS1_47radix_sort_onesweep_sort_config_static_selectorELNS0_4arch9wavefront6targetE1EEEvSG_.private_seg_size, 0
	.set _ZN7rocprim17ROCPRIM_400000_NS6detail17trampoline_kernelINS0_14default_configENS1_35radix_sort_onesweep_config_selectorIalEEZZNS1_29radix_sort_onesweep_iterationIS3_Lb0EPaS7_N6thrust23THRUST_200600_302600_NS10device_ptrIlEESB_jNS0_19identity_decomposerENS1_16block_id_wrapperIjLb0EEEEE10hipError_tT1_PNSt15iterator_traitsISG_E10value_typeET2_T3_PNSH_ISM_E10value_typeET4_T5_PSR_SS_PNS1_23onesweep_lookback_stateEbbT6_jjT7_P12ihipStream_tbENKUlT_T0_SG_SL_E_clIS7_S7_SB_PlEEDaSZ_S10_SG_SL_EUlSZ_E_NS1_11comp_targetILNS1_3genE8ELNS1_11target_archE1030ELNS1_3gpuE2ELNS1_3repE0EEENS1_47radix_sort_onesweep_sort_config_static_selectorELNS0_4arch9wavefront6targetE1EEEvSG_.uses_vcc, 0
	.set _ZN7rocprim17ROCPRIM_400000_NS6detail17trampoline_kernelINS0_14default_configENS1_35radix_sort_onesweep_config_selectorIalEEZZNS1_29radix_sort_onesweep_iterationIS3_Lb0EPaS7_N6thrust23THRUST_200600_302600_NS10device_ptrIlEESB_jNS0_19identity_decomposerENS1_16block_id_wrapperIjLb0EEEEE10hipError_tT1_PNSt15iterator_traitsISG_E10value_typeET2_T3_PNSH_ISM_E10value_typeET4_T5_PSR_SS_PNS1_23onesweep_lookback_stateEbbT6_jjT7_P12ihipStream_tbENKUlT_T0_SG_SL_E_clIS7_S7_SB_PlEEDaSZ_S10_SG_SL_EUlSZ_E_NS1_11comp_targetILNS1_3genE8ELNS1_11target_archE1030ELNS1_3gpuE2ELNS1_3repE0EEENS1_47radix_sort_onesweep_sort_config_static_selectorELNS0_4arch9wavefront6targetE1EEEvSG_.uses_flat_scratch, 0
	.set _ZN7rocprim17ROCPRIM_400000_NS6detail17trampoline_kernelINS0_14default_configENS1_35radix_sort_onesweep_config_selectorIalEEZZNS1_29radix_sort_onesweep_iterationIS3_Lb0EPaS7_N6thrust23THRUST_200600_302600_NS10device_ptrIlEESB_jNS0_19identity_decomposerENS1_16block_id_wrapperIjLb0EEEEE10hipError_tT1_PNSt15iterator_traitsISG_E10value_typeET2_T3_PNSH_ISM_E10value_typeET4_T5_PSR_SS_PNS1_23onesweep_lookback_stateEbbT6_jjT7_P12ihipStream_tbENKUlT_T0_SG_SL_E_clIS7_S7_SB_PlEEDaSZ_S10_SG_SL_EUlSZ_E_NS1_11comp_targetILNS1_3genE8ELNS1_11target_archE1030ELNS1_3gpuE2ELNS1_3repE0EEENS1_47radix_sort_onesweep_sort_config_static_selectorELNS0_4arch9wavefront6targetE1EEEvSG_.has_dyn_sized_stack, 0
	.set _ZN7rocprim17ROCPRIM_400000_NS6detail17trampoline_kernelINS0_14default_configENS1_35radix_sort_onesweep_config_selectorIalEEZZNS1_29radix_sort_onesweep_iterationIS3_Lb0EPaS7_N6thrust23THRUST_200600_302600_NS10device_ptrIlEESB_jNS0_19identity_decomposerENS1_16block_id_wrapperIjLb0EEEEE10hipError_tT1_PNSt15iterator_traitsISG_E10value_typeET2_T3_PNSH_ISM_E10value_typeET4_T5_PSR_SS_PNS1_23onesweep_lookback_stateEbbT6_jjT7_P12ihipStream_tbENKUlT_T0_SG_SL_E_clIS7_S7_SB_PlEEDaSZ_S10_SG_SL_EUlSZ_E_NS1_11comp_targetILNS1_3genE8ELNS1_11target_archE1030ELNS1_3gpuE2ELNS1_3repE0EEENS1_47radix_sort_onesweep_sort_config_static_selectorELNS0_4arch9wavefront6targetE1EEEvSG_.has_recursion, 0
	.set _ZN7rocprim17ROCPRIM_400000_NS6detail17trampoline_kernelINS0_14default_configENS1_35radix_sort_onesweep_config_selectorIalEEZZNS1_29radix_sort_onesweep_iterationIS3_Lb0EPaS7_N6thrust23THRUST_200600_302600_NS10device_ptrIlEESB_jNS0_19identity_decomposerENS1_16block_id_wrapperIjLb0EEEEE10hipError_tT1_PNSt15iterator_traitsISG_E10value_typeET2_T3_PNSH_ISM_E10value_typeET4_T5_PSR_SS_PNS1_23onesweep_lookback_stateEbbT6_jjT7_P12ihipStream_tbENKUlT_T0_SG_SL_E_clIS7_S7_SB_PlEEDaSZ_S10_SG_SL_EUlSZ_E_NS1_11comp_targetILNS1_3genE8ELNS1_11target_archE1030ELNS1_3gpuE2ELNS1_3repE0EEENS1_47radix_sort_onesweep_sort_config_static_selectorELNS0_4arch9wavefront6targetE1EEEvSG_.has_indirect_call, 0
	.section	.AMDGPU.csdata,"",@progbits
; Kernel info:
; codeLenInByte = 0
; TotalNumSgprs: 4
; NumVgprs: 0
; ScratchSize: 0
; MemoryBound: 0
; FloatMode: 240
; IeeeMode: 1
; LDSByteSize: 0 bytes/workgroup (compile time only)
; SGPRBlocks: 0
; VGPRBlocks: 0
; NumSGPRsForWavesPerEU: 4
; NumVGPRsForWavesPerEU: 1
; Occupancy: 10
; WaveLimiterHint : 0
; COMPUTE_PGM_RSRC2:SCRATCH_EN: 0
; COMPUTE_PGM_RSRC2:USER_SGPR: 6
; COMPUTE_PGM_RSRC2:TRAP_HANDLER: 0
; COMPUTE_PGM_RSRC2:TGID_X_EN: 1
; COMPUTE_PGM_RSRC2:TGID_Y_EN: 0
; COMPUTE_PGM_RSRC2:TGID_Z_EN: 0
; COMPUTE_PGM_RSRC2:TIDIG_COMP_CNT: 0
	.section	.text._ZN7rocprim17ROCPRIM_400000_NS6detail17trampoline_kernelINS0_14default_configENS1_35radix_sort_onesweep_config_selectorIalEEZZNS1_29radix_sort_onesweep_iterationIS3_Lb0EPaS7_N6thrust23THRUST_200600_302600_NS10device_ptrIlEESB_jNS0_19identity_decomposerENS1_16block_id_wrapperIjLb0EEEEE10hipError_tT1_PNSt15iterator_traitsISG_E10value_typeET2_T3_PNSH_ISM_E10value_typeET4_T5_PSR_SS_PNS1_23onesweep_lookback_stateEbbT6_jjT7_P12ihipStream_tbENKUlT_T0_SG_SL_E_clIS7_S7_PlSB_EEDaSZ_S10_SG_SL_EUlSZ_E_NS1_11comp_targetILNS1_3genE0ELNS1_11target_archE4294967295ELNS1_3gpuE0ELNS1_3repE0EEENS1_47radix_sort_onesweep_sort_config_static_selectorELNS0_4arch9wavefront6targetE1EEEvSG_,"axG",@progbits,_ZN7rocprim17ROCPRIM_400000_NS6detail17trampoline_kernelINS0_14default_configENS1_35radix_sort_onesweep_config_selectorIalEEZZNS1_29radix_sort_onesweep_iterationIS3_Lb0EPaS7_N6thrust23THRUST_200600_302600_NS10device_ptrIlEESB_jNS0_19identity_decomposerENS1_16block_id_wrapperIjLb0EEEEE10hipError_tT1_PNSt15iterator_traitsISG_E10value_typeET2_T3_PNSH_ISM_E10value_typeET4_T5_PSR_SS_PNS1_23onesweep_lookback_stateEbbT6_jjT7_P12ihipStream_tbENKUlT_T0_SG_SL_E_clIS7_S7_PlSB_EEDaSZ_S10_SG_SL_EUlSZ_E_NS1_11comp_targetILNS1_3genE0ELNS1_11target_archE4294967295ELNS1_3gpuE0ELNS1_3repE0EEENS1_47radix_sort_onesweep_sort_config_static_selectorELNS0_4arch9wavefront6targetE1EEEvSG_,comdat
	.protected	_ZN7rocprim17ROCPRIM_400000_NS6detail17trampoline_kernelINS0_14default_configENS1_35radix_sort_onesweep_config_selectorIalEEZZNS1_29radix_sort_onesweep_iterationIS3_Lb0EPaS7_N6thrust23THRUST_200600_302600_NS10device_ptrIlEESB_jNS0_19identity_decomposerENS1_16block_id_wrapperIjLb0EEEEE10hipError_tT1_PNSt15iterator_traitsISG_E10value_typeET2_T3_PNSH_ISM_E10value_typeET4_T5_PSR_SS_PNS1_23onesweep_lookback_stateEbbT6_jjT7_P12ihipStream_tbENKUlT_T0_SG_SL_E_clIS7_S7_PlSB_EEDaSZ_S10_SG_SL_EUlSZ_E_NS1_11comp_targetILNS1_3genE0ELNS1_11target_archE4294967295ELNS1_3gpuE0ELNS1_3repE0EEENS1_47radix_sort_onesweep_sort_config_static_selectorELNS0_4arch9wavefront6targetE1EEEvSG_ ; -- Begin function _ZN7rocprim17ROCPRIM_400000_NS6detail17trampoline_kernelINS0_14default_configENS1_35radix_sort_onesweep_config_selectorIalEEZZNS1_29radix_sort_onesweep_iterationIS3_Lb0EPaS7_N6thrust23THRUST_200600_302600_NS10device_ptrIlEESB_jNS0_19identity_decomposerENS1_16block_id_wrapperIjLb0EEEEE10hipError_tT1_PNSt15iterator_traitsISG_E10value_typeET2_T3_PNSH_ISM_E10value_typeET4_T5_PSR_SS_PNS1_23onesweep_lookback_stateEbbT6_jjT7_P12ihipStream_tbENKUlT_T0_SG_SL_E_clIS7_S7_PlSB_EEDaSZ_S10_SG_SL_EUlSZ_E_NS1_11comp_targetILNS1_3genE0ELNS1_11target_archE4294967295ELNS1_3gpuE0ELNS1_3repE0EEENS1_47radix_sort_onesweep_sort_config_static_selectorELNS0_4arch9wavefront6targetE1EEEvSG_
	.globl	_ZN7rocprim17ROCPRIM_400000_NS6detail17trampoline_kernelINS0_14default_configENS1_35radix_sort_onesweep_config_selectorIalEEZZNS1_29radix_sort_onesweep_iterationIS3_Lb0EPaS7_N6thrust23THRUST_200600_302600_NS10device_ptrIlEESB_jNS0_19identity_decomposerENS1_16block_id_wrapperIjLb0EEEEE10hipError_tT1_PNSt15iterator_traitsISG_E10value_typeET2_T3_PNSH_ISM_E10value_typeET4_T5_PSR_SS_PNS1_23onesweep_lookback_stateEbbT6_jjT7_P12ihipStream_tbENKUlT_T0_SG_SL_E_clIS7_S7_PlSB_EEDaSZ_S10_SG_SL_EUlSZ_E_NS1_11comp_targetILNS1_3genE0ELNS1_11target_archE4294967295ELNS1_3gpuE0ELNS1_3repE0EEENS1_47radix_sort_onesweep_sort_config_static_selectorELNS0_4arch9wavefront6targetE1EEEvSG_
	.p2align	8
	.type	_ZN7rocprim17ROCPRIM_400000_NS6detail17trampoline_kernelINS0_14default_configENS1_35radix_sort_onesweep_config_selectorIalEEZZNS1_29radix_sort_onesweep_iterationIS3_Lb0EPaS7_N6thrust23THRUST_200600_302600_NS10device_ptrIlEESB_jNS0_19identity_decomposerENS1_16block_id_wrapperIjLb0EEEEE10hipError_tT1_PNSt15iterator_traitsISG_E10value_typeET2_T3_PNSH_ISM_E10value_typeET4_T5_PSR_SS_PNS1_23onesweep_lookback_stateEbbT6_jjT7_P12ihipStream_tbENKUlT_T0_SG_SL_E_clIS7_S7_PlSB_EEDaSZ_S10_SG_SL_EUlSZ_E_NS1_11comp_targetILNS1_3genE0ELNS1_11target_archE4294967295ELNS1_3gpuE0ELNS1_3repE0EEENS1_47radix_sort_onesweep_sort_config_static_selectorELNS0_4arch9wavefront6targetE1EEEvSG_,@function
_ZN7rocprim17ROCPRIM_400000_NS6detail17trampoline_kernelINS0_14default_configENS1_35radix_sort_onesweep_config_selectorIalEEZZNS1_29radix_sort_onesweep_iterationIS3_Lb0EPaS7_N6thrust23THRUST_200600_302600_NS10device_ptrIlEESB_jNS0_19identity_decomposerENS1_16block_id_wrapperIjLb0EEEEE10hipError_tT1_PNSt15iterator_traitsISG_E10value_typeET2_T3_PNSH_ISM_E10value_typeET4_T5_PSR_SS_PNS1_23onesweep_lookback_stateEbbT6_jjT7_P12ihipStream_tbENKUlT_T0_SG_SL_E_clIS7_S7_PlSB_EEDaSZ_S10_SG_SL_EUlSZ_E_NS1_11comp_targetILNS1_3genE0ELNS1_11target_archE4294967295ELNS1_3gpuE0ELNS1_3repE0EEENS1_47radix_sort_onesweep_sort_config_static_selectorELNS0_4arch9wavefront6targetE1EEEvSG_: ; @_ZN7rocprim17ROCPRIM_400000_NS6detail17trampoline_kernelINS0_14default_configENS1_35radix_sort_onesweep_config_selectorIalEEZZNS1_29radix_sort_onesweep_iterationIS3_Lb0EPaS7_N6thrust23THRUST_200600_302600_NS10device_ptrIlEESB_jNS0_19identity_decomposerENS1_16block_id_wrapperIjLb0EEEEE10hipError_tT1_PNSt15iterator_traitsISG_E10value_typeET2_T3_PNSH_ISM_E10value_typeET4_T5_PSR_SS_PNS1_23onesweep_lookback_stateEbbT6_jjT7_P12ihipStream_tbENKUlT_T0_SG_SL_E_clIS7_S7_PlSB_EEDaSZ_S10_SG_SL_EUlSZ_E_NS1_11comp_targetILNS1_3genE0ELNS1_11target_archE4294967295ELNS1_3gpuE0ELNS1_3repE0EEENS1_47radix_sort_onesweep_sort_config_static_selectorELNS0_4arch9wavefront6targetE1EEEvSG_
; %bb.0:
	.section	.rodata,"a",@progbits
	.p2align	6, 0x0
	.amdhsa_kernel _ZN7rocprim17ROCPRIM_400000_NS6detail17trampoline_kernelINS0_14default_configENS1_35radix_sort_onesweep_config_selectorIalEEZZNS1_29radix_sort_onesweep_iterationIS3_Lb0EPaS7_N6thrust23THRUST_200600_302600_NS10device_ptrIlEESB_jNS0_19identity_decomposerENS1_16block_id_wrapperIjLb0EEEEE10hipError_tT1_PNSt15iterator_traitsISG_E10value_typeET2_T3_PNSH_ISM_E10value_typeET4_T5_PSR_SS_PNS1_23onesweep_lookback_stateEbbT6_jjT7_P12ihipStream_tbENKUlT_T0_SG_SL_E_clIS7_S7_PlSB_EEDaSZ_S10_SG_SL_EUlSZ_E_NS1_11comp_targetILNS1_3genE0ELNS1_11target_archE4294967295ELNS1_3gpuE0ELNS1_3repE0EEENS1_47radix_sort_onesweep_sort_config_static_selectorELNS0_4arch9wavefront6targetE1EEEvSG_
		.amdhsa_group_segment_fixed_size 0
		.amdhsa_private_segment_fixed_size 0
		.amdhsa_kernarg_size 88
		.amdhsa_user_sgpr_count 6
		.amdhsa_user_sgpr_private_segment_buffer 1
		.amdhsa_user_sgpr_dispatch_ptr 0
		.amdhsa_user_sgpr_queue_ptr 0
		.amdhsa_user_sgpr_kernarg_segment_ptr 1
		.amdhsa_user_sgpr_dispatch_id 0
		.amdhsa_user_sgpr_flat_scratch_init 0
		.amdhsa_user_sgpr_private_segment_size 0
		.amdhsa_uses_dynamic_stack 0
		.amdhsa_system_sgpr_private_segment_wavefront_offset 0
		.amdhsa_system_sgpr_workgroup_id_x 1
		.amdhsa_system_sgpr_workgroup_id_y 0
		.amdhsa_system_sgpr_workgroup_id_z 0
		.amdhsa_system_sgpr_workgroup_info 0
		.amdhsa_system_vgpr_workitem_id 0
		.amdhsa_next_free_vgpr 1
		.amdhsa_next_free_sgpr 0
		.amdhsa_reserve_vcc 0
		.amdhsa_reserve_flat_scratch 0
		.amdhsa_float_round_mode_32 0
		.amdhsa_float_round_mode_16_64 0
		.amdhsa_float_denorm_mode_32 3
		.amdhsa_float_denorm_mode_16_64 3
		.amdhsa_dx10_clamp 1
		.amdhsa_ieee_mode 1
		.amdhsa_fp16_overflow 0
		.amdhsa_exception_fp_ieee_invalid_op 0
		.amdhsa_exception_fp_denorm_src 0
		.amdhsa_exception_fp_ieee_div_zero 0
		.amdhsa_exception_fp_ieee_overflow 0
		.amdhsa_exception_fp_ieee_underflow 0
		.amdhsa_exception_fp_ieee_inexact 0
		.amdhsa_exception_int_div_zero 0
	.end_amdhsa_kernel
	.section	.text._ZN7rocprim17ROCPRIM_400000_NS6detail17trampoline_kernelINS0_14default_configENS1_35radix_sort_onesweep_config_selectorIalEEZZNS1_29radix_sort_onesweep_iterationIS3_Lb0EPaS7_N6thrust23THRUST_200600_302600_NS10device_ptrIlEESB_jNS0_19identity_decomposerENS1_16block_id_wrapperIjLb0EEEEE10hipError_tT1_PNSt15iterator_traitsISG_E10value_typeET2_T3_PNSH_ISM_E10value_typeET4_T5_PSR_SS_PNS1_23onesweep_lookback_stateEbbT6_jjT7_P12ihipStream_tbENKUlT_T0_SG_SL_E_clIS7_S7_PlSB_EEDaSZ_S10_SG_SL_EUlSZ_E_NS1_11comp_targetILNS1_3genE0ELNS1_11target_archE4294967295ELNS1_3gpuE0ELNS1_3repE0EEENS1_47radix_sort_onesweep_sort_config_static_selectorELNS0_4arch9wavefront6targetE1EEEvSG_,"axG",@progbits,_ZN7rocprim17ROCPRIM_400000_NS6detail17trampoline_kernelINS0_14default_configENS1_35radix_sort_onesweep_config_selectorIalEEZZNS1_29radix_sort_onesweep_iterationIS3_Lb0EPaS7_N6thrust23THRUST_200600_302600_NS10device_ptrIlEESB_jNS0_19identity_decomposerENS1_16block_id_wrapperIjLb0EEEEE10hipError_tT1_PNSt15iterator_traitsISG_E10value_typeET2_T3_PNSH_ISM_E10value_typeET4_T5_PSR_SS_PNS1_23onesweep_lookback_stateEbbT6_jjT7_P12ihipStream_tbENKUlT_T0_SG_SL_E_clIS7_S7_PlSB_EEDaSZ_S10_SG_SL_EUlSZ_E_NS1_11comp_targetILNS1_3genE0ELNS1_11target_archE4294967295ELNS1_3gpuE0ELNS1_3repE0EEENS1_47radix_sort_onesweep_sort_config_static_selectorELNS0_4arch9wavefront6targetE1EEEvSG_,comdat
.Lfunc_end645:
	.size	_ZN7rocprim17ROCPRIM_400000_NS6detail17trampoline_kernelINS0_14default_configENS1_35radix_sort_onesweep_config_selectorIalEEZZNS1_29radix_sort_onesweep_iterationIS3_Lb0EPaS7_N6thrust23THRUST_200600_302600_NS10device_ptrIlEESB_jNS0_19identity_decomposerENS1_16block_id_wrapperIjLb0EEEEE10hipError_tT1_PNSt15iterator_traitsISG_E10value_typeET2_T3_PNSH_ISM_E10value_typeET4_T5_PSR_SS_PNS1_23onesweep_lookback_stateEbbT6_jjT7_P12ihipStream_tbENKUlT_T0_SG_SL_E_clIS7_S7_PlSB_EEDaSZ_S10_SG_SL_EUlSZ_E_NS1_11comp_targetILNS1_3genE0ELNS1_11target_archE4294967295ELNS1_3gpuE0ELNS1_3repE0EEENS1_47radix_sort_onesweep_sort_config_static_selectorELNS0_4arch9wavefront6targetE1EEEvSG_, .Lfunc_end645-_ZN7rocprim17ROCPRIM_400000_NS6detail17trampoline_kernelINS0_14default_configENS1_35radix_sort_onesweep_config_selectorIalEEZZNS1_29radix_sort_onesweep_iterationIS3_Lb0EPaS7_N6thrust23THRUST_200600_302600_NS10device_ptrIlEESB_jNS0_19identity_decomposerENS1_16block_id_wrapperIjLb0EEEEE10hipError_tT1_PNSt15iterator_traitsISG_E10value_typeET2_T3_PNSH_ISM_E10value_typeET4_T5_PSR_SS_PNS1_23onesweep_lookback_stateEbbT6_jjT7_P12ihipStream_tbENKUlT_T0_SG_SL_E_clIS7_S7_PlSB_EEDaSZ_S10_SG_SL_EUlSZ_E_NS1_11comp_targetILNS1_3genE0ELNS1_11target_archE4294967295ELNS1_3gpuE0ELNS1_3repE0EEENS1_47radix_sort_onesweep_sort_config_static_selectorELNS0_4arch9wavefront6targetE1EEEvSG_
                                        ; -- End function
	.set _ZN7rocprim17ROCPRIM_400000_NS6detail17trampoline_kernelINS0_14default_configENS1_35radix_sort_onesweep_config_selectorIalEEZZNS1_29radix_sort_onesweep_iterationIS3_Lb0EPaS7_N6thrust23THRUST_200600_302600_NS10device_ptrIlEESB_jNS0_19identity_decomposerENS1_16block_id_wrapperIjLb0EEEEE10hipError_tT1_PNSt15iterator_traitsISG_E10value_typeET2_T3_PNSH_ISM_E10value_typeET4_T5_PSR_SS_PNS1_23onesweep_lookback_stateEbbT6_jjT7_P12ihipStream_tbENKUlT_T0_SG_SL_E_clIS7_S7_PlSB_EEDaSZ_S10_SG_SL_EUlSZ_E_NS1_11comp_targetILNS1_3genE0ELNS1_11target_archE4294967295ELNS1_3gpuE0ELNS1_3repE0EEENS1_47radix_sort_onesweep_sort_config_static_selectorELNS0_4arch9wavefront6targetE1EEEvSG_.num_vgpr, 0
	.set _ZN7rocprim17ROCPRIM_400000_NS6detail17trampoline_kernelINS0_14default_configENS1_35radix_sort_onesweep_config_selectorIalEEZZNS1_29radix_sort_onesweep_iterationIS3_Lb0EPaS7_N6thrust23THRUST_200600_302600_NS10device_ptrIlEESB_jNS0_19identity_decomposerENS1_16block_id_wrapperIjLb0EEEEE10hipError_tT1_PNSt15iterator_traitsISG_E10value_typeET2_T3_PNSH_ISM_E10value_typeET4_T5_PSR_SS_PNS1_23onesweep_lookback_stateEbbT6_jjT7_P12ihipStream_tbENKUlT_T0_SG_SL_E_clIS7_S7_PlSB_EEDaSZ_S10_SG_SL_EUlSZ_E_NS1_11comp_targetILNS1_3genE0ELNS1_11target_archE4294967295ELNS1_3gpuE0ELNS1_3repE0EEENS1_47radix_sort_onesweep_sort_config_static_selectorELNS0_4arch9wavefront6targetE1EEEvSG_.num_agpr, 0
	.set _ZN7rocprim17ROCPRIM_400000_NS6detail17trampoline_kernelINS0_14default_configENS1_35radix_sort_onesweep_config_selectorIalEEZZNS1_29radix_sort_onesweep_iterationIS3_Lb0EPaS7_N6thrust23THRUST_200600_302600_NS10device_ptrIlEESB_jNS0_19identity_decomposerENS1_16block_id_wrapperIjLb0EEEEE10hipError_tT1_PNSt15iterator_traitsISG_E10value_typeET2_T3_PNSH_ISM_E10value_typeET4_T5_PSR_SS_PNS1_23onesweep_lookback_stateEbbT6_jjT7_P12ihipStream_tbENKUlT_T0_SG_SL_E_clIS7_S7_PlSB_EEDaSZ_S10_SG_SL_EUlSZ_E_NS1_11comp_targetILNS1_3genE0ELNS1_11target_archE4294967295ELNS1_3gpuE0ELNS1_3repE0EEENS1_47radix_sort_onesweep_sort_config_static_selectorELNS0_4arch9wavefront6targetE1EEEvSG_.numbered_sgpr, 0
	.set _ZN7rocprim17ROCPRIM_400000_NS6detail17trampoline_kernelINS0_14default_configENS1_35radix_sort_onesweep_config_selectorIalEEZZNS1_29radix_sort_onesweep_iterationIS3_Lb0EPaS7_N6thrust23THRUST_200600_302600_NS10device_ptrIlEESB_jNS0_19identity_decomposerENS1_16block_id_wrapperIjLb0EEEEE10hipError_tT1_PNSt15iterator_traitsISG_E10value_typeET2_T3_PNSH_ISM_E10value_typeET4_T5_PSR_SS_PNS1_23onesweep_lookback_stateEbbT6_jjT7_P12ihipStream_tbENKUlT_T0_SG_SL_E_clIS7_S7_PlSB_EEDaSZ_S10_SG_SL_EUlSZ_E_NS1_11comp_targetILNS1_3genE0ELNS1_11target_archE4294967295ELNS1_3gpuE0ELNS1_3repE0EEENS1_47radix_sort_onesweep_sort_config_static_selectorELNS0_4arch9wavefront6targetE1EEEvSG_.num_named_barrier, 0
	.set _ZN7rocprim17ROCPRIM_400000_NS6detail17trampoline_kernelINS0_14default_configENS1_35radix_sort_onesweep_config_selectorIalEEZZNS1_29radix_sort_onesweep_iterationIS3_Lb0EPaS7_N6thrust23THRUST_200600_302600_NS10device_ptrIlEESB_jNS0_19identity_decomposerENS1_16block_id_wrapperIjLb0EEEEE10hipError_tT1_PNSt15iterator_traitsISG_E10value_typeET2_T3_PNSH_ISM_E10value_typeET4_T5_PSR_SS_PNS1_23onesweep_lookback_stateEbbT6_jjT7_P12ihipStream_tbENKUlT_T0_SG_SL_E_clIS7_S7_PlSB_EEDaSZ_S10_SG_SL_EUlSZ_E_NS1_11comp_targetILNS1_3genE0ELNS1_11target_archE4294967295ELNS1_3gpuE0ELNS1_3repE0EEENS1_47radix_sort_onesweep_sort_config_static_selectorELNS0_4arch9wavefront6targetE1EEEvSG_.private_seg_size, 0
	.set _ZN7rocprim17ROCPRIM_400000_NS6detail17trampoline_kernelINS0_14default_configENS1_35radix_sort_onesweep_config_selectorIalEEZZNS1_29radix_sort_onesweep_iterationIS3_Lb0EPaS7_N6thrust23THRUST_200600_302600_NS10device_ptrIlEESB_jNS0_19identity_decomposerENS1_16block_id_wrapperIjLb0EEEEE10hipError_tT1_PNSt15iterator_traitsISG_E10value_typeET2_T3_PNSH_ISM_E10value_typeET4_T5_PSR_SS_PNS1_23onesweep_lookback_stateEbbT6_jjT7_P12ihipStream_tbENKUlT_T0_SG_SL_E_clIS7_S7_PlSB_EEDaSZ_S10_SG_SL_EUlSZ_E_NS1_11comp_targetILNS1_3genE0ELNS1_11target_archE4294967295ELNS1_3gpuE0ELNS1_3repE0EEENS1_47radix_sort_onesweep_sort_config_static_selectorELNS0_4arch9wavefront6targetE1EEEvSG_.uses_vcc, 0
	.set _ZN7rocprim17ROCPRIM_400000_NS6detail17trampoline_kernelINS0_14default_configENS1_35radix_sort_onesweep_config_selectorIalEEZZNS1_29radix_sort_onesweep_iterationIS3_Lb0EPaS7_N6thrust23THRUST_200600_302600_NS10device_ptrIlEESB_jNS0_19identity_decomposerENS1_16block_id_wrapperIjLb0EEEEE10hipError_tT1_PNSt15iterator_traitsISG_E10value_typeET2_T3_PNSH_ISM_E10value_typeET4_T5_PSR_SS_PNS1_23onesweep_lookback_stateEbbT6_jjT7_P12ihipStream_tbENKUlT_T0_SG_SL_E_clIS7_S7_PlSB_EEDaSZ_S10_SG_SL_EUlSZ_E_NS1_11comp_targetILNS1_3genE0ELNS1_11target_archE4294967295ELNS1_3gpuE0ELNS1_3repE0EEENS1_47radix_sort_onesweep_sort_config_static_selectorELNS0_4arch9wavefront6targetE1EEEvSG_.uses_flat_scratch, 0
	.set _ZN7rocprim17ROCPRIM_400000_NS6detail17trampoline_kernelINS0_14default_configENS1_35radix_sort_onesweep_config_selectorIalEEZZNS1_29radix_sort_onesweep_iterationIS3_Lb0EPaS7_N6thrust23THRUST_200600_302600_NS10device_ptrIlEESB_jNS0_19identity_decomposerENS1_16block_id_wrapperIjLb0EEEEE10hipError_tT1_PNSt15iterator_traitsISG_E10value_typeET2_T3_PNSH_ISM_E10value_typeET4_T5_PSR_SS_PNS1_23onesweep_lookback_stateEbbT6_jjT7_P12ihipStream_tbENKUlT_T0_SG_SL_E_clIS7_S7_PlSB_EEDaSZ_S10_SG_SL_EUlSZ_E_NS1_11comp_targetILNS1_3genE0ELNS1_11target_archE4294967295ELNS1_3gpuE0ELNS1_3repE0EEENS1_47radix_sort_onesweep_sort_config_static_selectorELNS0_4arch9wavefront6targetE1EEEvSG_.has_dyn_sized_stack, 0
	.set _ZN7rocprim17ROCPRIM_400000_NS6detail17trampoline_kernelINS0_14default_configENS1_35radix_sort_onesweep_config_selectorIalEEZZNS1_29radix_sort_onesweep_iterationIS3_Lb0EPaS7_N6thrust23THRUST_200600_302600_NS10device_ptrIlEESB_jNS0_19identity_decomposerENS1_16block_id_wrapperIjLb0EEEEE10hipError_tT1_PNSt15iterator_traitsISG_E10value_typeET2_T3_PNSH_ISM_E10value_typeET4_T5_PSR_SS_PNS1_23onesweep_lookback_stateEbbT6_jjT7_P12ihipStream_tbENKUlT_T0_SG_SL_E_clIS7_S7_PlSB_EEDaSZ_S10_SG_SL_EUlSZ_E_NS1_11comp_targetILNS1_3genE0ELNS1_11target_archE4294967295ELNS1_3gpuE0ELNS1_3repE0EEENS1_47radix_sort_onesweep_sort_config_static_selectorELNS0_4arch9wavefront6targetE1EEEvSG_.has_recursion, 0
	.set _ZN7rocprim17ROCPRIM_400000_NS6detail17trampoline_kernelINS0_14default_configENS1_35radix_sort_onesweep_config_selectorIalEEZZNS1_29radix_sort_onesweep_iterationIS3_Lb0EPaS7_N6thrust23THRUST_200600_302600_NS10device_ptrIlEESB_jNS0_19identity_decomposerENS1_16block_id_wrapperIjLb0EEEEE10hipError_tT1_PNSt15iterator_traitsISG_E10value_typeET2_T3_PNSH_ISM_E10value_typeET4_T5_PSR_SS_PNS1_23onesweep_lookback_stateEbbT6_jjT7_P12ihipStream_tbENKUlT_T0_SG_SL_E_clIS7_S7_PlSB_EEDaSZ_S10_SG_SL_EUlSZ_E_NS1_11comp_targetILNS1_3genE0ELNS1_11target_archE4294967295ELNS1_3gpuE0ELNS1_3repE0EEENS1_47radix_sort_onesweep_sort_config_static_selectorELNS0_4arch9wavefront6targetE1EEEvSG_.has_indirect_call, 0
	.section	.AMDGPU.csdata,"",@progbits
; Kernel info:
; codeLenInByte = 0
; TotalNumSgprs: 4
; NumVgprs: 0
; ScratchSize: 0
; MemoryBound: 0
; FloatMode: 240
; IeeeMode: 1
; LDSByteSize: 0 bytes/workgroup (compile time only)
; SGPRBlocks: 0
; VGPRBlocks: 0
; NumSGPRsForWavesPerEU: 4
; NumVGPRsForWavesPerEU: 1
; Occupancy: 10
; WaveLimiterHint : 0
; COMPUTE_PGM_RSRC2:SCRATCH_EN: 0
; COMPUTE_PGM_RSRC2:USER_SGPR: 6
; COMPUTE_PGM_RSRC2:TRAP_HANDLER: 0
; COMPUTE_PGM_RSRC2:TGID_X_EN: 1
; COMPUTE_PGM_RSRC2:TGID_Y_EN: 0
; COMPUTE_PGM_RSRC2:TGID_Z_EN: 0
; COMPUTE_PGM_RSRC2:TIDIG_COMP_CNT: 0
	.section	.text._ZN7rocprim17ROCPRIM_400000_NS6detail17trampoline_kernelINS0_14default_configENS1_35radix_sort_onesweep_config_selectorIalEEZZNS1_29radix_sort_onesweep_iterationIS3_Lb0EPaS7_N6thrust23THRUST_200600_302600_NS10device_ptrIlEESB_jNS0_19identity_decomposerENS1_16block_id_wrapperIjLb0EEEEE10hipError_tT1_PNSt15iterator_traitsISG_E10value_typeET2_T3_PNSH_ISM_E10value_typeET4_T5_PSR_SS_PNS1_23onesweep_lookback_stateEbbT6_jjT7_P12ihipStream_tbENKUlT_T0_SG_SL_E_clIS7_S7_PlSB_EEDaSZ_S10_SG_SL_EUlSZ_E_NS1_11comp_targetILNS1_3genE6ELNS1_11target_archE950ELNS1_3gpuE13ELNS1_3repE0EEENS1_47radix_sort_onesweep_sort_config_static_selectorELNS0_4arch9wavefront6targetE1EEEvSG_,"axG",@progbits,_ZN7rocprim17ROCPRIM_400000_NS6detail17trampoline_kernelINS0_14default_configENS1_35radix_sort_onesweep_config_selectorIalEEZZNS1_29radix_sort_onesweep_iterationIS3_Lb0EPaS7_N6thrust23THRUST_200600_302600_NS10device_ptrIlEESB_jNS0_19identity_decomposerENS1_16block_id_wrapperIjLb0EEEEE10hipError_tT1_PNSt15iterator_traitsISG_E10value_typeET2_T3_PNSH_ISM_E10value_typeET4_T5_PSR_SS_PNS1_23onesweep_lookback_stateEbbT6_jjT7_P12ihipStream_tbENKUlT_T0_SG_SL_E_clIS7_S7_PlSB_EEDaSZ_S10_SG_SL_EUlSZ_E_NS1_11comp_targetILNS1_3genE6ELNS1_11target_archE950ELNS1_3gpuE13ELNS1_3repE0EEENS1_47radix_sort_onesweep_sort_config_static_selectorELNS0_4arch9wavefront6targetE1EEEvSG_,comdat
	.protected	_ZN7rocprim17ROCPRIM_400000_NS6detail17trampoline_kernelINS0_14default_configENS1_35radix_sort_onesweep_config_selectorIalEEZZNS1_29radix_sort_onesweep_iterationIS3_Lb0EPaS7_N6thrust23THRUST_200600_302600_NS10device_ptrIlEESB_jNS0_19identity_decomposerENS1_16block_id_wrapperIjLb0EEEEE10hipError_tT1_PNSt15iterator_traitsISG_E10value_typeET2_T3_PNSH_ISM_E10value_typeET4_T5_PSR_SS_PNS1_23onesweep_lookback_stateEbbT6_jjT7_P12ihipStream_tbENKUlT_T0_SG_SL_E_clIS7_S7_PlSB_EEDaSZ_S10_SG_SL_EUlSZ_E_NS1_11comp_targetILNS1_3genE6ELNS1_11target_archE950ELNS1_3gpuE13ELNS1_3repE0EEENS1_47radix_sort_onesweep_sort_config_static_selectorELNS0_4arch9wavefront6targetE1EEEvSG_ ; -- Begin function _ZN7rocprim17ROCPRIM_400000_NS6detail17trampoline_kernelINS0_14default_configENS1_35radix_sort_onesweep_config_selectorIalEEZZNS1_29radix_sort_onesweep_iterationIS3_Lb0EPaS7_N6thrust23THRUST_200600_302600_NS10device_ptrIlEESB_jNS0_19identity_decomposerENS1_16block_id_wrapperIjLb0EEEEE10hipError_tT1_PNSt15iterator_traitsISG_E10value_typeET2_T3_PNSH_ISM_E10value_typeET4_T5_PSR_SS_PNS1_23onesweep_lookback_stateEbbT6_jjT7_P12ihipStream_tbENKUlT_T0_SG_SL_E_clIS7_S7_PlSB_EEDaSZ_S10_SG_SL_EUlSZ_E_NS1_11comp_targetILNS1_3genE6ELNS1_11target_archE950ELNS1_3gpuE13ELNS1_3repE0EEENS1_47radix_sort_onesweep_sort_config_static_selectorELNS0_4arch9wavefront6targetE1EEEvSG_
	.globl	_ZN7rocprim17ROCPRIM_400000_NS6detail17trampoline_kernelINS0_14default_configENS1_35radix_sort_onesweep_config_selectorIalEEZZNS1_29radix_sort_onesweep_iterationIS3_Lb0EPaS7_N6thrust23THRUST_200600_302600_NS10device_ptrIlEESB_jNS0_19identity_decomposerENS1_16block_id_wrapperIjLb0EEEEE10hipError_tT1_PNSt15iterator_traitsISG_E10value_typeET2_T3_PNSH_ISM_E10value_typeET4_T5_PSR_SS_PNS1_23onesweep_lookback_stateEbbT6_jjT7_P12ihipStream_tbENKUlT_T0_SG_SL_E_clIS7_S7_PlSB_EEDaSZ_S10_SG_SL_EUlSZ_E_NS1_11comp_targetILNS1_3genE6ELNS1_11target_archE950ELNS1_3gpuE13ELNS1_3repE0EEENS1_47radix_sort_onesweep_sort_config_static_selectorELNS0_4arch9wavefront6targetE1EEEvSG_
	.p2align	8
	.type	_ZN7rocprim17ROCPRIM_400000_NS6detail17trampoline_kernelINS0_14default_configENS1_35radix_sort_onesweep_config_selectorIalEEZZNS1_29radix_sort_onesweep_iterationIS3_Lb0EPaS7_N6thrust23THRUST_200600_302600_NS10device_ptrIlEESB_jNS0_19identity_decomposerENS1_16block_id_wrapperIjLb0EEEEE10hipError_tT1_PNSt15iterator_traitsISG_E10value_typeET2_T3_PNSH_ISM_E10value_typeET4_T5_PSR_SS_PNS1_23onesweep_lookback_stateEbbT6_jjT7_P12ihipStream_tbENKUlT_T0_SG_SL_E_clIS7_S7_PlSB_EEDaSZ_S10_SG_SL_EUlSZ_E_NS1_11comp_targetILNS1_3genE6ELNS1_11target_archE950ELNS1_3gpuE13ELNS1_3repE0EEENS1_47radix_sort_onesweep_sort_config_static_selectorELNS0_4arch9wavefront6targetE1EEEvSG_,@function
_ZN7rocprim17ROCPRIM_400000_NS6detail17trampoline_kernelINS0_14default_configENS1_35radix_sort_onesweep_config_selectorIalEEZZNS1_29radix_sort_onesweep_iterationIS3_Lb0EPaS7_N6thrust23THRUST_200600_302600_NS10device_ptrIlEESB_jNS0_19identity_decomposerENS1_16block_id_wrapperIjLb0EEEEE10hipError_tT1_PNSt15iterator_traitsISG_E10value_typeET2_T3_PNSH_ISM_E10value_typeET4_T5_PSR_SS_PNS1_23onesweep_lookback_stateEbbT6_jjT7_P12ihipStream_tbENKUlT_T0_SG_SL_E_clIS7_S7_PlSB_EEDaSZ_S10_SG_SL_EUlSZ_E_NS1_11comp_targetILNS1_3genE6ELNS1_11target_archE950ELNS1_3gpuE13ELNS1_3repE0EEENS1_47radix_sort_onesweep_sort_config_static_selectorELNS0_4arch9wavefront6targetE1EEEvSG_: ; @_ZN7rocprim17ROCPRIM_400000_NS6detail17trampoline_kernelINS0_14default_configENS1_35radix_sort_onesweep_config_selectorIalEEZZNS1_29radix_sort_onesweep_iterationIS3_Lb0EPaS7_N6thrust23THRUST_200600_302600_NS10device_ptrIlEESB_jNS0_19identity_decomposerENS1_16block_id_wrapperIjLb0EEEEE10hipError_tT1_PNSt15iterator_traitsISG_E10value_typeET2_T3_PNSH_ISM_E10value_typeET4_T5_PSR_SS_PNS1_23onesweep_lookback_stateEbbT6_jjT7_P12ihipStream_tbENKUlT_T0_SG_SL_E_clIS7_S7_PlSB_EEDaSZ_S10_SG_SL_EUlSZ_E_NS1_11comp_targetILNS1_3genE6ELNS1_11target_archE950ELNS1_3gpuE13ELNS1_3repE0EEENS1_47radix_sort_onesweep_sort_config_static_selectorELNS0_4arch9wavefront6targetE1EEEvSG_
; %bb.0:
	.section	.rodata,"a",@progbits
	.p2align	6, 0x0
	.amdhsa_kernel _ZN7rocprim17ROCPRIM_400000_NS6detail17trampoline_kernelINS0_14default_configENS1_35radix_sort_onesweep_config_selectorIalEEZZNS1_29radix_sort_onesweep_iterationIS3_Lb0EPaS7_N6thrust23THRUST_200600_302600_NS10device_ptrIlEESB_jNS0_19identity_decomposerENS1_16block_id_wrapperIjLb0EEEEE10hipError_tT1_PNSt15iterator_traitsISG_E10value_typeET2_T3_PNSH_ISM_E10value_typeET4_T5_PSR_SS_PNS1_23onesweep_lookback_stateEbbT6_jjT7_P12ihipStream_tbENKUlT_T0_SG_SL_E_clIS7_S7_PlSB_EEDaSZ_S10_SG_SL_EUlSZ_E_NS1_11comp_targetILNS1_3genE6ELNS1_11target_archE950ELNS1_3gpuE13ELNS1_3repE0EEENS1_47radix_sort_onesweep_sort_config_static_selectorELNS0_4arch9wavefront6targetE1EEEvSG_
		.amdhsa_group_segment_fixed_size 0
		.amdhsa_private_segment_fixed_size 0
		.amdhsa_kernarg_size 88
		.amdhsa_user_sgpr_count 6
		.amdhsa_user_sgpr_private_segment_buffer 1
		.amdhsa_user_sgpr_dispatch_ptr 0
		.amdhsa_user_sgpr_queue_ptr 0
		.amdhsa_user_sgpr_kernarg_segment_ptr 1
		.amdhsa_user_sgpr_dispatch_id 0
		.amdhsa_user_sgpr_flat_scratch_init 0
		.amdhsa_user_sgpr_private_segment_size 0
		.amdhsa_uses_dynamic_stack 0
		.amdhsa_system_sgpr_private_segment_wavefront_offset 0
		.amdhsa_system_sgpr_workgroup_id_x 1
		.amdhsa_system_sgpr_workgroup_id_y 0
		.amdhsa_system_sgpr_workgroup_id_z 0
		.amdhsa_system_sgpr_workgroup_info 0
		.amdhsa_system_vgpr_workitem_id 0
		.amdhsa_next_free_vgpr 1
		.amdhsa_next_free_sgpr 0
		.amdhsa_reserve_vcc 0
		.amdhsa_reserve_flat_scratch 0
		.amdhsa_float_round_mode_32 0
		.amdhsa_float_round_mode_16_64 0
		.amdhsa_float_denorm_mode_32 3
		.amdhsa_float_denorm_mode_16_64 3
		.amdhsa_dx10_clamp 1
		.amdhsa_ieee_mode 1
		.amdhsa_fp16_overflow 0
		.amdhsa_exception_fp_ieee_invalid_op 0
		.amdhsa_exception_fp_denorm_src 0
		.amdhsa_exception_fp_ieee_div_zero 0
		.amdhsa_exception_fp_ieee_overflow 0
		.amdhsa_exception_fp_ieee_underflow 0
		.amdhsa_exception_fp_ieee_inexact 0
		.amdhsa_exception_int_div_zero 0
	.end_amdhsa_kernel
	.section	.text._ZN7rocprim17ROCPRIM_400000_NS6detail17trampoline_kernelINS0_14default_configENS1_35radix_sort_onesweep_config_selectorIalEEZZNS1_29radix_sort_onesweep_iterationIS3_Lb0EPaS7_N6thrust23THRUST_200600_302600_NS10device_ptrIlEESB_jNS0_19identity_decomposerENS1_16block_id_wrapperIjLb0EEEEE10hipError_tT1_PNSt15iterator_traitsISG_E10value_typeET2_T3_PNSH_ISM_E10value_typeET4_T5_PSR_SS_PNS1_23onesweep_lookback_stateEbbT6_jjT7_P12ihipStream_tbENKUlT_T0_SG_SL_E_clIS7_S7_PlSB_EEDaSZ_S10_SG_SL_EUlSZ_E_NS1_11comp_targetILNS1_3genE6ELNS1_11target_archE950ELNS1_3gpuE13ELNS1_3repE0EEENS1_47radix_sort_onesweep_sort_config_static_selectorELNS0_4arch9wavefront6targetE1EEEvSG_,"axG",@progbits,_ZN7rocprim17ROCPRIM_400000_NS6detail17trampoline_kernelINS0_14default_configENS1_35radix_sort_onesweep_config_selectorIalEEZZNS1_29radix_sort_onesweep_iterationIS3_Lb0EPaS7_N6thrust23THRUST_200600_302600_NS10device_ptrIlEESB_jNS0_19identity_decomposerENS1_16block_id_wrapperIjLb0EEEEE10hipError_tT1_PNSt15iterator_traitsISG_E10value_typeET2_T3_PNSH_ISM_E10value_typeET4_T5_PSR_SS_PNS1_23onesweep_lookback_stateEbbT6_jjT7_P12ihipStream_tbENKUlT_T0_SG_SL_E_clIS7_S7_PlSB_EEDaSZ_S10_SG_SL_EUlSZ_E_NS1_11comp_targetILNS1_3genE6ELNS1_11target_archE950ELNS1_3gpuE13ELNS1_3repE0EEENS1_47radix_sort_onesweep_sort_config_static_selectorELNS0_4arch9wavefront6targetE1EEEvSG_,comdat
.Lfunc_end646:
	.size	_ZN7rocprim17ROCPRIM_400000_NS6detail17trampoline_kernelINS0_14default_configENS1_35radix_sort_onesweep_config_selectorIalEEZZNS1_29radix_sort_onesweep_iterationIS3_Lb0EPaS7_N6thrust23THRUST_200600_302600_NS10device_ptrIlEESB_jNS0_19identity_decomposerENS1_16block_id_wrapperIjLb0EEEEE10hipError_tT1_PNSt15iterator_traitsISG_E10value_typeET2_T3_PNSH_ISM_E10value_typeET4_T5_PSR_SS_PNS1_23onesweep_lookback_stateEbbT6_jjT7_P12ihipStream_tbENKUlT_T0_SG_SL_E_clIS7_S7_PlSB_EEDaSZ_S10_SG_SL_EUlSZ_E_NS1_11comp_targetILNS1_3genE6ELNS1_11target_archE950ELNS1_3gpuE13ELNS1_3repE0EEENS1_47radix_sort_onesweep_sort_config_static_selectorELNS0_4arch9wavefront6targetE1EEEvSG_, .Lfunc_end646-_ZN7rocprim17ROCPRIM_400000_NS6detail17trampoline_kernelINS0_14default_configENS1_35radix_sort_onesweep_config_selectorIalEEZZNS1_29radix_sort_onesweep_iterationIS3_Lb0EPaS7_N6thrust23THRUST_200600_302600_NS10device_ptrIlEESB_jNS0_19identity_decomposerENS1_16block_id_wrapperIjLb0EEEEE10hipError_tT1_PNSt15iterator_traitsISG_E10value_typeET2_T3_PNSH_ISM_E10value_typeET4_T5_PSR_SS_PNS1_23onesweep_lookback_stateEbbT6_jjT7_P12ihipStream_tbENKUlT_T0_SG_SL_E_clIS7_S7_PlSB_EEDaSZ_S10_SG_SL_EUlSZ_E_NS1_11comp_targetILNS1_3genE6ELNS1_11target_archE950ELNS1_3gpuE13ELNS1_3repE0EEENS1_47radix_sort_onesweep_sort_config_static_selectorELNS0_4arch9wavefront6targetE1EEEvSG_
                                        ; -- End function
	.set _ZN7rocprim17ROCPRIM_400000_NS6detail17trampoline_kernelINS0_14default_configENS1_35radix_sort_onesweep_config_selectorIalEEZZNS1_29radix_sort_onesweep_iterationIS3_Lb0EPaS7_N6thrust23THRUST_200600_302600_NS10device_ptrIlEESB_jNS0_19identity_decomposerENS1_16block_id_wrapperIjLb0EEEEE10hipError_tT1_PNSt15iterator_traitsISG_E10value_typeET2_T3_PNSH_ISM_E10value_typeET4_T5_PSR_SS_PNS1_23onesweep_lookback_stateEbbT6_jjT7_P12ihipStream_tbENKUlT_T0_SG_SL_E_clIS7_S7_PlSB_EEDaSZ_S10_SG_SL_EUlSZ_E_NS1_11comp_targetILNS1_3genE6ELNS1_11target_archE950ELNS1_3gpuE13ELNS1_3repE0EEENS1_47radix_sort_onesweep_sort_config_static_selectorELNS0_4arch9wavefront6targetE1EEEvSG_.num_vgpr, 0
	.set _ZN7rocprim17ROCPRIM_400000_NS6detail17trampoline_kernelINS0_14default_configENS1_35radix_sort_onesweep_config_selectorIalEEZZNS1_29radix_sort_onesweep_iterationIS3_Lb0EPaS7_N6thrust23THRUST_200600_302600_NS10device_ptrIlEESB_jNS0_19identity_decomposerENS1_16block_id_wrapperIjLb0EEEEE10hipError_tT1_PNSt15iterator_traitsISG_E10value_typeET2_T3_PNSH_ISM_E10value_typeET4_T5_PSR_SS_PNS1_23onesweep_lookback_stateEbbT6_jjT7_P12ihipStream_tbENKUlT_T0_SG_SL_E_clIS7_S7_PlSB_EEDaSZ_S10_SG_SL_EUlSZ_E_NS1_11comp_targetILNS1_3genE6ELNS1_11target_archE950ELNS1_3gpuE13ELNS1_3repE0EEENS1_47radix_sort_onesweep_sort_config_static_selectorELNS0_4arch9wavefront6targetE1EEEvSG_.num_agpr, 0
	.set _ZN7rocprim17ROCPRIM_400000_NS6detail17trampoline_kernelINS0_14default_configENS1_35radix_sort_onesweep_config_selectorIalEEZZNS1_29radix_sort_onesweep_iterationIS3_Lb0EPaS7_N6thrust23THRUST_200600_302600_NS10device_ptrIlEESB_jNS0_19identity_decomposerENS1_16block_id_wrapperIjLb0EEEEE10hipError_tT1_PNSt15iterator_traitsISG_E10value_typeET2_T3_PNSH_ISM_E10value_typeET4_T5_PSR_SS_PNS1_23onesweep_lookback_stateEbbT6_jjT7_P12ihipStream_tbENKUlT_T0_SG_SL_E_clIS7_S7_PlSB_EEDaSZ_S10_SG_SL_EUlSZ_E_NS1_11comp_targetILNS1_3genE6ELNS1_11target_archE950ELNS1_3gpuE13ELNS1_3repE0EEENS1_47radix_sort_onesweep_sort_config_static_selectorELNS0_4arch9wavefront6targetE1EEEvSG_.numbered_sgpr, 0
	.set _ZN7rocprim17ROCPRIM_400000_NS6detail17trampoline_kernelINS0_14default_configENS1_35radix_sort_onesweep_config_selectorIalEEZZNS1_29radix_sort_onesweep_iterationIS3_Lb0EPaS7_N6thrust23THRUST_200600_302600_NS10device_ptrIlEESB_jNS0_19identity_decomposerENS1_16block_id_wrapperIjLb0EEEEE10hipError_tT1_PNSt15iterator_traitsISG_E10value_typeET2_T3_PNSH_ISM_E10value_typeET4_T5_PSR_SS_PNS1_23onesweep_lookback_stateEbbT6_jjT7_P12ihipStream_tbENKUlT_T0_SG_SL_E_clIS7_S7_PlSB_EEDaSZ_S10_SG_SL_EUlSZ_E_NS1_11comp_targetILNS1_3genE6ELNS1_11target_archE950ELNS1_3gpuE13ELNS1_3repE0EEENS1_47radix_sort_onesweep_sort_config_static_selectorELNS0_4arch9wavefront6targetE1EEEvSG_.num_named_barrier, 0
	.set _ZN7rocprim17ROCPRIM_400000_NS6detail17trampoline_kernelINS0_14default_configENS1_35radix_sort_onesweep_config_selectorIalEEZZNS1_29radix_sort_onesweep_iterationIS3_Lb0EPaS7_N6thrust23THRUST_200600_302600_NS10device_ptrIlEESB_jNS0_19identity_decomposerENS1_16block_id_wrapperIjLb0EEEEE10hipError_tT1_PNSt15iterator_traitsISG_E10value_typeET2_T3_PNSH_ISM_E10value_typeET4_T5_PSR_SS_PNS1_23onesweep_lookback_stateEbbT6_jjT7_P12ihipStream_tbENKUlT_T0_SG_SL_E_clIS7_S7_PlSB_EEDaSZ_S10_SG_SL_EUlSZ_E_NS1_11comp_targetILNS1_3genE6ELNS1_11target_archE950ELNS1_3gpuE13ELNS1_3repE0EEENS1_47radix_sort_onesweep_sort_config_static_selectorELNS0_4arch9wavefront6targetE1EEEvSG_.private_seg_size, 0
	.set _ZN7rocprim17ROCPRIM_400000_NS6detail17trampoline_kernelINS0_14default_configENS1_35radix_sort_onesweep_config_selectorIalEEZZNS1_29radix_sort_onesweep_iterationIS3_Lb0EPaS7_N6thrust23THRUST_200600_302600_NS10device_ptrIlEESB_jNS0_19identity_decomposerENS1_16block_id_wrapperIjLb0EEEEE10hipError_tT1_PNSt15iterator_traitsISG_E10value_typeET2_T3_PNSH_ISM_E10value_typeET4_T5_PSR_SS_PNS1_23onesweep_lookback_stateEbbT6_jjT7_P12ihipStream_tbENKUlT_T0_SG_SL_E_clIS7_S7_PlSB_EEDaSZ_S10_SG_SL_EUlSZ_E_NS1_11comp_targetILNS1_3genE6ELNS1_11target_archE950ELNS1_3gpuE13ELNS1_3repE0EEENS1_47radix_sort_onesweep_sort_config_static_selectorELNS0_4arch9wavefront6targetE1EEEvSG_.uses_vcc, 0
	.set _ZN7rocprim17ROCPRIM_400000_NS6detail17trampoline_kernelINS0_14default_configENS1_35radix_sort_onesweep_config_selectorIalEEZZNS1_29radix_sort_onesweep_iterationIS3_Lb0EPaS7_N6thrust23THRUST_200600_302600_NS10device_ptrIlEESB_jNS0_19identity_decomposerENS1_16block_id_wrapperIjLb0EEEEE10hipError_tT1_PNSt15iterator_traitsISG_E10value_typeET2_T3_PNSH_ISM_E10value_typeET4_T5_PSR_SS_PNS1_23onesweep_lookback_stateEbbT6_jjT7_P12ihipStream_tbENKUlT_T0_SG_SL_E_clIS7_S7_PlSB_EEDaSZ_S10_SG_SL_EUlSZ_E_NS1_11comp_targetILNS1_3genE6ELNS1_11target_archE950ELNS1_3gpuE13ELNS1_3repE0EEENS1_47radix_sort_onesweep_sort_config_static_selectorELNS0_4arch9wavefront6targetE1EEEvSG_.uses_flat_scratch, 0
	.set _ZN7rocprim17ROCPRIM_400000_NS6detail17trampoline_kernelINS0_14default_configENS1_35radix_sort_onesweep_config_selectorIalEEZZNS1_29radix_sort_onesweep_iterationIS3_Lb0EPaS7_N6thrust23THRUST_200600_302600_NS10device_ptrIlEESB_jNS0_19identity_decomposerENS1_16block_id_wrapperIjLb0EEEEE10hipError_tT1_PNSt15iterator_traitsISG_E10value_typeET2_T3_PNSH_ISM_E10value_typeET4_T5_PSR_SS_PNS1_23onesweep_lookback_stateEbbT6_jjT7_P12ihipStream_tbENKUlT_T0_SG_SL_E_clIS7_S7_PlSB_EEDaSZ_S10_SG_SL_EUlSZ_E_NS1_11comp_targetILNS1_3genE6ELNS1_11target_archE950ELNS1_3gpuE13ELNS1_3repE0EEENS1_47radix_sort_onesweep_sort_config_static_selectorELNS0_4arch9wavefront6targetE1EEEvSG_.has_dyn_sized_stack, 0
	.set _ZN7rocprim17ROCPRIM_400000_NS6detail17trampoline_kernelINS0_14default_configENS1_35radix_sort_onesweep_config_selectorIalEEZZNS1_29radix_sort_onesweep_iterationIS3_Lb0EPaS7_N6thrust23THRUST_200600_302600_NS10device_ptrIlEESB_jNS0_19identity_decomposerENS1_16block_id_wrapperIjLb0EEEEE10hipError_tT1_PNSt15iterator_traitsISG_E10value_typeET2_T3_PNSH_ISM_E10value_typeET4_T5_PSR_SS_PNS1_23onesweep_lookback_stateEbbT6_jjT7_P12ihipStream_tbENKUlT_T0_SG_SL_E_clIS7_S7_PlSB_EEDaSZ_S10_SG_SL_EUlSZ_E_NS1_11comp_targetILNS1_3genE6ELNS1_11target_archE950ELNS1_3gpuE13ELNS1_3repE0EEENS1_47radix_sort_onesweep_sort_config_static_selectorELNS0_4arch9wavefront6targetE1EEEvSG_.has_recursion, 0
	.set _ZN7rocprim17ROCPRIM_400000_NS6detail17trampoline_kernelINS0_14default_configENS1_35radix_sort_onesweep_config_selectorIalEEZZNS1_29radix_sort_onesweep_iterationIS3_Lb0EPaS7_N6thrust23THRUST_200600_302600_NS10device_ptrIlEESB_jNS0_19identity_decomposerENS1_16block_id_wrapperIjLb0EEEEE10hipError_tT1_PNSt15iterator_traitsISG_E10value_typeET2_T3_PNSH_ISM_E10value_typeET4_T5_PSR_SS_PNS1_23onesweep_lookback_stateEbbT6_jjT7_P12ihipStream_tbENKUlT_T0_SG_SL_E_clIS7_S7_PlSB_EEDaSZ_S10_SG_SL_EUlSZ_E_NS1_11comp_targetILNS1_3genE6ELNS1_11target_archE950ELNS1_3gpuE13ELNS1_3repE0EEENS1_47radix_sort_onesweep_sort_config_static_selectorELNS0_4arch9wavefront6targetE1EEEvSG_.has_indirect_call, 0
	.section	.AMDGPU.csdata,"",@progbits
; Kernel info:
; codeLenInByte = 0
; TotalNumSgprs: 4
; NumVgprs: 0
; ScratchSize: 0
; MemoryBound: 0
; FloatMode: 240
; IeeeMode: 1
; LDSByteSize: 0 bytes/workgroup (compile time only)
; SGPRBlocks: 0
; VGPRBlocks: 0
; NumSGPRsForWavesPerEU: 4
; NumVGPRsForWavesPerEU: 1
; Occupancy: 10
; WaveLimiterHint : 0
; COMPUTE_PGM_RSRC2:SCRATCH_EN: 0
; COMPUTE_PGM_RSRC2:USER_SGPR: 6
; COMPUTE_PGM_RSRC2:TRAP_HANDLER: 0
; COMPUTE_PGM_RSRC2:TGID_X_EN: 1
; COMPUTE_PGM_RSRC2:TGID_Y_EN: 0
; COMPUTE_PGM_RSRC2:TGID_Z_EN: 0
; COMPUTE_PGM_RSRC2:TIDIG_COMP_CNT: 0
	.section	.text._ZN7rocprim17ROCPRIM_400000_NS6detail17trampoline_kernelINS0_14default_configENS1_35radix_sort_onesweep_config_selectorIalEEZZNS1_29radix_sort_onesweep_iterationIS3_Lb0EPaS7_N6thrust23THRUST_200600_302600_NS10device_ptrIlEESB_jNS0_19identity_decomposerENS1_16block_id_wrapperIjLb0EEEEE10hipError_tT1_PNSt15iterator_traitsISG_E10value_typeET2_T3_PNSH_ISM_E10value_typeET4_T5_PSR_SS_PNS1_23onesweep_lookback_stateEbbT6_jjT7_P12ihipStream_tbENKUlT_T0_SG_SL_E_clIS7_S7_PlSB_EEDaSZ_S10_SG_SL_EUlSZ_E_NS1_11comp_targetILNS1_3genE5ELNS1_11target_archE942ELNS1_3gpuE9ELNS1_3repE0EEENS1_47radix_sort_onesweep_sort_config_static_selectorELNS0_4arch9wavefront6targetE1EEEvSG_,"axG",@progbits,_ZN7rocprim17ROCPRIM_400000_NS6detail17trampoline_kernelINS0_14default_configENS1_35radix_sort_onesweep_config_selectorIalEEZZNS1_29radix_sort_onesweep_iterationIS3_Lb0EPaS7_N6thrust23THRUST_200600_302600_NS10device_ptrIlEESB_jNS0_19identity_decomposerENS1_16block_id_wrapperIjLb0EEEEE10hipError_tT1_PNSt15iterator_traitsISG_E10value_typeET2_T3_PNSH_ISM_E10value_typeET4_T5_PSR_SS_PNS1_23onesweep_lookback_stateEbbT6_jjT7_P12ihipStream_tbENKUlT_T0_SG_SL_E_clIS7_S7_PlSB_EEDaSZ_S10_SG_SL_EUlSZ_E_NS1_11comp_targetILNS1_3genE5ELNS1_11target_archE942ELNS1_3gpuE9ELNS1_3repE0EEENS1_47radix_sort_onesweep_sort_config_static_selectorELNS0_4arch9wavefront6targetE1EEEvSG_,comdat
	.protected	_ZN7rocprim17ROCPRIM_400000_NS6detail17trampoline_kernelINS0_14default_configENS1_35radix_sort_onesweep_config_selectorIalEEZZNS1_29radix_sort_onesweep_iterationIS3_Lb0EPaS7_N6thrust23THRUST_200600_302600_NS10device_ptrIlEESB_jNS0_19identity_decomposerENS1_16block_id_wrapperIjLb0EEEEE10hipError_tT1_PNSt15iterator_traitsISG_E10value_typeET2_T3_PNSH_ISM_E10value_typeET4_T5_PSR_SS_PNS1_23onesweep_lookback_stateEbbT6_jjT7_P12ihipStream_tbENKUlT_T0_SG_SL_E_clIS7_S7_PlSB_EEDaSZ_S10_SG_SL_EUlSZ_E_NS1_11comp_targetILNS1_3genE5ELNS1_11target_archE942ELNS1_3gpuE9ELNS1_3repE0EEENS1_47radix_sort_onesweep_sort_config_static_selectorELNS0_4arch9wavefront6targetE1EEEvSG_ ; -- Begin function _ZN7rocprim17ROCPRIM_400000_NS6detail17trampoline_kernelINS0_14default_configENS1_35radix_sort_onesweep_config_selectorIalEEZZNS1_29radix_sort_onesweep_iterationIS3_Lb0EPaS7_N6thrust23THRUST_200600_302600_NS10device_ptrIlEESB_jNS0_19identity_decomposerENS1_16block_id_wrapperIjLb0EEEEE10hipError_tT1_PNSt15iterator_traitsISG_E10value_typeET2_T3_PNSH_ISM_E10value_typeET4_T5_PSR_SS_PNS1_23onesweep_lookback_stateEbbT6_jjT7_P12ihipStream_tbENKUlT_T0_SG_SL_E_clIS7_S7_PlSB_EEDaSZ_S10_SG_SL_EUlSZ_E_NS1_11comp_targetILNS1_3genE5ELNS1_11target_archE942ELNS1_3gpuE9ELNS1_3repE0EEENS1_47radix_sort_onesweep_sort_config_static_selectorELNS0_4arch9wavefront6targetE1EEEvSG_
	.globl	_ZN7rocprim17ROCPRIM_400000_NS6detail17trampoline_kernelINS0_14default_configENS1_35radix_sort_onesweep_config_selectorIalEEZZNS1_29radix_sort_onesweep_iterationIS3_Lb0EPaS7_N6thrust23THRUST_200600_302600_NS10device_ptrIlEESB_jNS0_19identity_decomposerENS1_16block_id_wrapperIjLb0EEEEE10hipError_tT1_PNSt15iterator_traitsISG_E10value_typeET2_T3_PNSH_ISM_E10value_typeET4_T5_PSR_SS_PNS1_23onesweep_lookback_stateEbbT6_jjT7_P12ihipStream_tbENKUlT_T0_SG_SL_E_clIS7_S7_PlSB_EEDaSZ_S10_SG_SL_EUlSZ_E_NS1_11comp_targetILNS1_3genE5ELNS1_11target_archE942ELNS1_3gpuE9ELNS1_3repE0EEENS1_47radix_sort_onesweep_sort_config_static_selectorELNS0_4arch9wavefront6targetE1EEEvSG_
	.p2align	8
	.type	_ZN7rocprim17ROCPRIM_400000_NS6detail17trampoline_kernelINS0_14default_configENS1_35radix_sort_onesweep_config_selectorIalEEZZNS1_29radix_sort_onesweep_iterationIS3_Lb0EPaS7_N6thrust23THRUST_200600_302600_NS10device_ptrIlEESB_jNS0_19identity_decomposerENS1_16block_id_wrapperIjLb0EEEEE10hipError_tT1_PNSt15iterator_traitsISG_E10value_typeET2_T3_PNSH_ISM_E10value_typeET4_T5_PSR_SS_PNS1_23onesweep_lookback_stateEbbT6_jjT7_P12ihipStream_tbENKUlT_T0_SG_SL_E_clIS7_S7_PlSB_EEDaSZ_S10_SG_SL_EUlSZ_E_NS1_11comp_targetILNS1_3genE5ELNS1_11target_archE942ELNS1_3gpuE9ELNS1_3repE0EEENS1_47radix_sort_onesweep_sort_config_static_selectorELNS0_4arch9wavefront6targetE1EEEvSG_,@function
_ZN7rocprim17ROCPRIM_400000_NS6detail17trampoline_kernelINS0_14default_configENS1_35radix_sort_onesweep_config_selectorIalEEZZNS1_29radix_sort_onesweep_iterationIS3_Lb0EPaS7_N6thrust23THRUST_200600_302600_NS10device_ptrIlEESB_jNS0_19identity_decomposerENS1_16block_id_wrapperIjLb0EEEEE10hipError_tT1_PNSt15iterator_traitsISG_E10value_typeET2_T3_PNSH_ISM_E10value_typeET4_T5_PSR_SS_PNS1_23onesweep_lookback_stateEbbT6_jjT7_P12ihipStream_tbENKUlT_T0_SG_SL_E_clIS7_S7_PlSB_EEDaSZ_S10_SG_SL_EUlSZ_E_NS1_11comp_targetILNS1_3genE5ELNS1_11target_archE942ELNS1_3gpuE9ELNS1_3repE0EEENS1_47radix_sort_onesweep_sort_config_static_selectorELNS0_4arch9wavefront6targetE1EEEvSG_: ; @_ZN7rocprim17ROCPRIM_400000_NS6detail17trampoline_kernelINS0_14default_configENS1_35radix_sort_onesweep_config_selectorIalEEZZNS1_29radix_sort_onesweep_iterationIS3_Lb0EPaS7_N6thrust23THRUST_200600_302600_NS10device_ptrIlEESB_jNS0_19identity_decomposerENS1_16block_id_wrapperIjLb0EEEEE10hipError_tT1_PNSt15iterator_traitsISG_E10value_typeET2_T3_PNSH_ISM_E10value_typeET4_T5_PSR_SS_PNS1_23onesweep_lookback_stateEbbT6_jjT7_P12ihipStream_tbENKUlT_T0_SG_SL_E_clIS7_S7_PlSB_EEDaSZ_S10_SG_SL_EUlSZ_E_NS1_11comp_targetILNS1_3genE5ELNS1_11target_archE942ELNS1_3gpuE9ELNS1_3repE0EEENS1_47radix_sort_onesweep_sort_config_static_selectorELNS0_4arch9wavefront6targetE1EEEvSG_
; %bb.0:
	.section	.rodata,"a",@progbits
	.p2align	6, 0x0
	.amdhsa_kernel _ZN7rocprim17ROCPRIM_400000_NS6detail17trampoline_kernelINS0_14default_configENS1_35radix_sort_onesweep_config_selectorIalEEZZNS1_29radix_sort_onesweep_iterationIS3_Lb0EPaS7_N6thrust23THRUST_200600_302600_NS10device_ptrIlEESB_jNS0_19identity_decomposerENS1_16block_id_wrapperIjLb0EEEEE10hipError_tT1_PNSt15iterator_traitsISG_E10value_typeET2_T3_PNSH_ISM_E10value_typeET4_T5_PSR_SS_PNS1_23onesweep_lookback_stateEbbT6_jjT7_P12ihipStream_tbENKUlT_T0_SG_SL_E_clIS7_S7_PlSB_EEDaSZ_S10_SG_SL_EUlSZ_E_NS1_11comp_targetILNS1_3genE5ELNS1_11target_archE942ELNS1_3gpuE9ELNS1_3repE0EEENS1_47radix_sort_onesweep_sort_config_static_selectorELNS0_4arch9wavefront6targetE1EEEvSG_
		.amdhsa_group_segment_fixed_size 0
		.amdhsa_private_segment_fixed_size 0
		.amdhsa_kernarg_size 88
		.amdhsa_user_sgpr_count 6
		.amdhsa_user_sgpr_private_segment_buffer 1
		.amdhsa_user_sgpr_dispatch_ptr 0
		.amdhsa_user_sgpr_queue_ptr 0
		.amdhsa_user_sgpr_kernarg_segment_ptr 1
		.amdhsa_user_sgpr_dispatch_id 0
		.amdhsa_user_sgpr_flat_scratch_init 0
		.amdhsa_user_sgpr_private_segment_size 0
		.amdhsa_uses_dynamic_stack 0
		.amdhsa_system_sgpr_private_segment_wavefront_offset 0
		.amdhsa_system_sgpr_workgroup_id_x 1
		.amdhsa_system_sgpr_workgroup_id_y 0
		.amdhsa_system_sgpr_workgroup_id_z 0
		.amdhsa_system_sgpr_workgroup_info 0
		.amdhsa_system_vgpr_workitem_id 0
		.amdhsa_next_free_vgpr 1
		.amdhsa_next_free_sgpr 0
		.amdhsa_reserve_vcc 0
		.amdhsa_reserve_flat_scratch 0
		.amdhsa_float_round_mode_32 0
		.amdhsa_float_round_mode_16_64 0
		.amdhsa_float_denorm_mode_32 3
		.amdhsa_float_denorm_mode_16_64 3
		.amdhsa_dx10_clamp 1
		.amdhsa_ieee_mode 1
		.amdhsa_fp16_overflow 0
		.amdhsa_exception_fp_ieee_invalid_op 0
		.amdhsa_exception_fp_denorm_src 0
		.amdhsa_exception_fp_ieee_div_zero 0
		.amdhsa_exception_fp_ieee_overflow 0
		.amdhsa_exception_fp_ieee_underflow 0
		.amdhsa_exception_fp_ieee_inexact 0
		.amdhsa_exception_int_div_zero 0
	.end_amdhsa_kernel
	.section	.text._ZN7rocprim17ROCPRIM_400000_NS6detail17trampoline_kernelINS0_14default_configENS1_35radix_sort_onesweep_config_selectorIalEEZZNS1_29radix_sort_onesweep_iterationIS3_Lb0EPaS7_N6thrust23THRUST_200600_302600_NS10device_ptrIlEESB_jNS0_19identity_decomposerENS1_16block_id_wrapperIjLb0EEEEE10hipError_tT1_PNSt15iterator_traitsISG_E10value_typeET2_T3_PNSH_ISM_E10value_typeET4_T5_PSR_SS_PNS1_23onesweep_lookback_stateEbbT6_jjT7_P12ihipStream_tbENKUlT_T0_SG_SL_E_clIS7_S7_PlSB_EEDaSZ_S10_SG_SL_EUlSZ_E_NS1_11comp_targetILNS1_3genE5ELNS1_11target_archE942ELNS1_3gpuE9ELNS1_3repE0EEENS1_47radix_sort_onesweep_sort_config_static_selectorELNS0_4arch9wavefront6targetE1EEEvSG_,"axG",@progbits,_ZN7rocprim17ROCPRIM_400000_NS6detail17trampoline_kernelINS0_14default_configENS1_35radix_sort_onesweep_config_selectorIalEEZZNS1_29radix_sort_onesweep_iterationIS3_Lb0EPaS7_N6thrust23THRUST_200600_302600_NS10device_ptrIlEESB_jNS0_19identity_decomposerENS1_16block_id_wrapperIjLb0EEEEE10hipError_tT1_PNSt15iterator_traitsISG_E10value_typeET2_T3_PNSH_ISM_E10value_typeET4_T5_PSR_SS_PNS1_23onesweep_lookback_stateEbbT6_jjT7_P12ihipStream_tbENKUlT_T0_SG_SL_E_clIS7_S7_PlSB_EEDaSZ_S10_SG_SL_EUlSZ_E_NS1_11comp_targetILNS1_3genE5ELNS1_11target_archE942ELNS1_3gpuE9ELNS1_3repE0EEENS1_47radix_sort_onesweep_sort_config_static_selectorELNS0_4arch9wavefront6targetE1EEEvSG_,comdat
.Lfunc_end647:
	.size	_ZN7rocprim17ROCPRIM_400000_NS6detail17trampoline_kernelINS0_14default_configENS1_35radix_sort_onesweep_config_selectorIalEEZZNS1_29radix_sort_onesweep_iterationIS3_Lb0EPaS7_N6thrust23THRUST_200600_302600_NS10device_ptrIlEESB_jNS0_19identity_decomposerENS1_16block_id_wrapperIjLb0EEEEE10hipError_tT1_PNSt15iterator_traitsISG_E10value_typeET2_T3_PNSH_ISM_E10value_typeET4_T5_PSR_SS_PNS1_23onesweep_lookback_stateEbbT6_jjT7_P12ihipStream_tbENKUlT_T0_SG_SL_E_clIS7_S7_PlSB_EEDaSZ_S10_SG_SL_EUlSZ_E_NS1_11comp_targetILNS1_3genE5ELNS1_11target_archE942ELNS1_3gpuE9ELNS1_3repE0EEENS1_47radix_sort_onesweep_sort_config_static_selectorELNS0_4arch9wavefront6targetE1EEEvSG_, .Lfunc_end647-_ZN7rocprim17ROCPRIM_400000_NS6detail17trampoline_kernelINS0_14default_configENS1_35radix_sort_onesweep_config_selectorIalEEZZNS1_29radix_sort_onesweep_iterationIS3_Lb0EPaS7_N6thrust23THRUST_200600_302600_NS10device_ptrIlEESB_jNS0_19identity_decomposerENS1_16block_id_wrapperIjLb0EEEEE10hipError_tT1_PNSt15iterator_traitsISG_E10value_typeET2_T3_PNSH_ISM_E10value_typeET4_T5_PSR_SS_PNS1_23onesweep_lookback_stateEbbT6_jjT7_P12ihipStream_tbENKUlT_T0_SG_SL_E_clIS7_S7_PlSB_EEDaSZ_S10_SG_SL_EUlSZ_E_NS1_11comp_targetILNS1_3genE5ELNS1_11target_archE942ELNS1_3gpuE9ELNS1_3repE0EEENS1_47radix_sort_onesweep_sort_config_static_selectorELNS0_4arch9wavefront6targetE1EEEvSG_
                                        ; -- End function
	.set _ZN7rocprim17ROCPRIM_400000_NS6detail17trampoline_kernelINS0_14default_configENS1_35radix_sort_onesweep_config_selectorIalEEZZNS1_29radix_sort_onesweep_iterationIS3_Lb0EPaS7_N6thrust23THRUST_200600_302600_NS10device_ptrIlEESB_jNS0_19identity_decomposerENS1_16block_id_wrapperIjLb0EEEEE10hipError_tT1_PNSt15iterator_traitsISG_E10value_typeET2_T3_PNSH_ISM_E10value_typeET4_T5_PSR_SS_PNS1_23onesweep_lookback_stateEbbT6_jjT7_P12ihipStream_tbENKUlT_T0_SG_SL_E_clIS7_S7_PlSB_EEDaSZ_S10_SG_SL_EUlSZ_E_NS1_11comp_targetILNS1_3genE5ELNS1_11target_archE942ELNS1_3gpuE9ELNS1_3repE0EEENS1_47radix_sort_onesweep_sort_config_static_selectorELNS0_4arch9wavefront6targetE1EEEvSG_.num_vgpr, 0
	.set _ZN7rocprim17ROCPRIM_400000_NS6detail17trampoline_kernelINS0_14default_configENS1_35radix_sort_onesweep_config_selectorIalEEZZNS1_29radix_sort_onesweep_iterationIS3_Lb0EPaS7_N6thrust23THRUST_200600_302600_NS10device_ptrIlEESB_jNS0_19identity_decomposerENS1_16block_id_wrapperIjLb0EEEEE10hipError_tT1_PNSt15iterator_traitsISG_E10value_typeET2_T3_PNSH_ISM_E10value_typeET4_T5_PSR_SS_PNS1_23onesweep_lookback_stateEbbT6_jjT7_P12ihipStream_tbENKUlT_T0_SG_SL_E_clIS7_S7_PlSB_EEDaSZ_S10_SG_SL_EUlSZ_E_NS1_11comp_targetILNS1_3genE5ELNS1_11target_archE942ELNS1_3gpuE9ELNS1_3repE0EEENS1_47radix_sort_onesweep_sort_config_static_selectorELNS0_4arch9wavefront6targetE1EEEvSG_.num_agpr, 0
	.set _ZN7rocprim17ROCPRIM_400000_NS6detail17trampoline_kernelINS0_14default_configENS1_35radix_sort_onesweep_config_selectorIalEEZZNS1_29radix_sort_onesweep_iterationIS3_Lb0EPaS7_N6thrust23THRUST_200600_302600_NS10device_ptrIlEESB_jNS0_19identity_decomposerENS1_16block_id_wrapperIjLb0EEEEE10hipError_tT1_PNSt15iterator_traitsISG_E10value_typeET2_T3_PNSH_ISM_E10value_typeET4_T5_PSR_SS_PNS1_23onesweep_lookback_stateEbbT6_jjT7_P12ihipStream_tbENKUlT_T0_SG_SL_E_clIS7_S7_PlSB_EEDaSZ_S10_SG_SL_EUlSZ_E_NS1_11comp_targetILNS1_3genE5ELNS1_11target_archE942ELNS1_3gpuE9ELNS1_3repE0EEENS1_47radix_sort_onesweep_sort_config_static_selectorELNS0_4arch9wavefront6targetE1EEEvSG_.numbered_sgpr, 0
	.set _ZN7rocprim17ROCPRIM_400000_NS6detail17trampoline_kernelINS0_14default_configENS1_35radix_sort_onesweep_config_selectorIalEEZZNS1_29radix_sort_onesweep_iterationIS3_Lb0EPaS7_N6thrust23THRUST_200600_302600_NS10device_ptrIlEESB_jNS0_19identity_decomposerENS1_16block_id_wrapperIjLb0EEEEE10hipError_tT1_PNSt15iterator_traitsISG_E10value_typeET2_T3_PNSH_ISM_E10value_typeET4_T5_PSR_SS_PNS1_23onesweep_lookback_stateEbbT6_jjT7_P12ihipStream_tbENKUlT_T0_SG_SL_E_clIS7_S7_PlSB_EEDaSZ_S10_SG_SL_EUlSZ_E_NS1_11comp_targetILNS1_3genE5ELNS1_11target_archE942ELNS1_3gpuE9ELNS1_3repE0EEENS1_47radix_sort_onesweep_sort_config_static_selectorELNS0_4arch9wavefront6targetE1EEEvSG_.num_named_barrier, 0
	.set _ZN7rocprim17ROCPRIM_400000_NS6detail17trampoline_kernelINS0_14default_configENS1_35radix_sort_onesweep_config_selectorIalEEZZNS1_29radix_sort_onesweep_iterationIS3_Lb0EPaS7_N6thrust23THRUST_200600_302600_NS10device_ptrIlEESB_jNS0_19identity_decomposerENS1_16block_id_wrapperIjLb0EEEEE10hipError_tT1_PNSt15iterator_traitsISG_E10value_typeET2_T3_PNSH_ISM_E10value_typeET4_T5_PSR_SS_PNS1_23onesweep_lookback_stateEbbT6_jjT7_P12ihipStream_tbENKUlT_T0_SG_SL_E_clIS7_S7_PlSB_EEDaSZ_S10_SG_SL_EUlSZ_E_NS1_11comp_targetILNS1_3genE5ELNS1_11target_archE942ELNS1_3gpuE9ELNS1_3repE0EEENS1_47radix_sort_onesweep_sort_config_static_selectorELNS0_4arch9wavefront6targetE1EEEvSG_.private_seg_size, 0
	.set _ZN7rocprim17ROCPRIM_400000_NS6detail17trampoline_kernelINS0_14default_configENS1_35radix_sort_onesweep_config_selectorIalEEZZNS1_29radix_sort_onesweep_iterationIS3_Lb0EPaS7_N6thrust23THRUST_200600_302600_NS10device_ptrIlEESB_jNS0_19identity_decomposerENS1_16block_id_wrapperIjLb0EEEEE10hipError_tT1_PNSt15iterator_traitsISG_E10value_typeET2_T3_PNSH_ISM_E10value_typeET4_T5_PSR_SS_PNS1_23onesweep_lookback_stateEbbT6_jjT7_P12ihipStream_tbENKUlT_T0_SG_SL_E_clIS7_S7_PlSB_EEDaSZ_S10_SG_SL_EUlSZ_E_NS1_11comp_targetILNS1_3genE5ELNS1_11target_archE942ELNS1_3gpuE9ELNS1_3repE0EEENS1_47radix_sort_onesweep_sort_config_static_selectorELNS0_4arch9wavefront6targetE1EEEvSG_.uses_vcc, 0
	.set _ZN7rocprim17ROCPRIM_400000_NS6detail17trampoline_kernelINS0_14default_configENS1_35radix_sort_onesweep_config_selectorIalEEZZNS1_29radix_sort_onesweep_iterationIS3_Lb0EPaS7_N6thrust23THRUST_200600_302600_NS10device_ptrIlEESB_jNS0_19identity_decomposerENS1_16block_id_wrapperIjLb0EEEEE10hipError_tT1_PNSt15iterator_traitsISG_E10value_typeET2_T3_PNSH_ISM_E10value_typeET4_T5_PSR_SS_PNS1_23onesweep_lookback_stateEbbT6_jjT7_P12ihipStream_tbENKUlT_T0_SG_SL_E_clIS7_S7_PlSB_EEDaSZ_S10_SG_SL_EUlSZ_E_NS1_11comp_targetILNS1_3genE5ELNS1_11target_archE942ELNS1_3gpuE9ELNS1_3repE0EEENS1_47radix_sort_onesweep_sort_config_static_selectorELNS0_4arch9wavefront6targetE1EEEvSG_.uses_flat_scratch, 0
	.set _ZN7rocprim17ROCPRIM_400000_NS6detail17trampoline_kernelINS0_14default_configENS1_35radix_sort_onesweep_config_selectorIalEEZZNS1_29radix_sort_onesweep_iterationIS3_Lb0EPaS7_N6thrust23THRUST_200600_302600_NS10device_ptrIlEESB_jNS0_19identity_decomposerENS1_16block_id_wrapperIjLb0EEEEE10hipError_tT1_PNSt15iterator_traitsISG_E10value_typeET2_T3_PNSH_ISM_E10value_typeET4_T5_PSR_SS_PNS1_23onesweep_lookback_stateEbbT6_jjT7_P12ihipStream_tbENKUlT_T0_SG_SL_E_clIS7_S7_PlSB_EEDaSZ_S10_SG_SL_EUlSZ_E_NS1_11comp_targetILNS1_3genE5ELNS1_11target_archE942ELNS1_3gpuE9ELNS1_3repE0EEENS1_47radix_sort_onesweep_sort_config_static_selectorELNS0_4arch9wavefront6targetE1EEEvSG_.has_dyn_sized_stack, 0
	.set _ZN7rocprim17ROCPRIM_400000_NS6detail17trampoline_kernelINS0_14default_configENS1_35radix_sort_onesweep_config_selectorIalEEZZNS1_29radix_sort_onesweep_iterationIS3_Lb0EPaS7_N6thrust23THRUST_200600_302600_NS10device_ptrIlEESB_jNS0_19identity_decomposerENS1_16block_id_wrapperIjLb0EEEEE10hipError_tT1_PNSt15iterator_traitsISG_E10value_typeET2_T3_PNSH_ISM_E10value_typeET4_T5_PSR_SS_PNS1_23onesweep_lookback_stateEbbT6_jjT7_P12ihipStream_tbENKUlT_T0_SG_SL_E_clIS7_S7_PlSB_EEDaSZ_S10_SG_SL_EUlSZ_E_NS1_11comp_targetILNS1_3genE5ELNS1_11target_archE942ELNS1_3gpuE9ELNS1_3repE0EEENS1_47radix_sort_onesweep_sort_config_static_selectorELNS0_4arch9wavefront6targetE1EEEvSG_.has_recursion, 0
	.set _ZN7rocprim17ROCPRIM_400000_NS6detail17trampoline_kernelINS0_14default_configENS1_35radix_sort_onesweep_config_selectorIalEEZZNS1_29radix_sort_onesweep_iterationIS3_Lb0EPaS7_N6thrust23THRUST_200600_302600_NS10device_ptrIlEESB_jNS0_19identity_decomposerENS1_16block_id_wrapperIjLb0EEEEE10hipError_tT1_PNSt15iterator_traitsISG_E10value_typeET2_T3_PNSH_ISM_E10value_typeET4_T5_PSR_SS_PNS1_23onesweep_lookback_stateEbbT6_jjT7_P12ihipStream_tbENKUlT_T0_SG_SL_E_clIS7_S7_PlSB_EEDaSZ_S10_SG_SL_EUlSZ_E_NS1_11comp_targetILNS1_3genE5ELNS1_11target_archE942ELNS1_3gpuE9ELNS1_3repE0EEENS1_47radix_sort_onesweep_sort_config_static_selectorELNS0_4arch9wavefront6targetE1EEEvSG_.has_indirect_call, 0
	.section	.AMDGPU.csdata,"",@progbits
; Kernel info:
; codeLenInByte = 0
; TotalNumSgprs: 4
; NumVgprs: 0
; ScratchSize: 0
; MemoryBound: 0
; FloatMode: 240
; IeeeMode: 1
; LDSByteSize: 0 bytes/workgroup (compile time only)
; SGPRBlocks: 0
; VGPRBlocks: 0
; NumSGPRsForWavesPerEU: 4
; NumVGPRsForWavesPerEU: 1
; Occupancy: 10
; WaveLimiterHint : 0
; COMPUTE_PGM_RSRC2:SCRATCH_EN: 0
; COMPUTE_PGM_RSRC2:USER_SGPR: 6
; COMPUTE_PGM_RSRC2:TRAP_HANDLER: 0
; COMPUTE_PGM_RSRC2:TGID_X_EN: 1
; COMPUTE_PGM_RSRC2:TGID_Y_EN: 0
; COMPUTE_PGM_RSRC2:TGID_Z_EN: 0
; COMPUTE_PGM_RSRC2:TIDIG_COMP_CNT: 0
	.section	.text._ZN7rocprim17ROCPRIM_400000_NS6detail17trampoline_kernelINS0_14default_configENS1_35radix_sort_onesweep_config_selectorIalEEZZNS1_29radix_sort_onesweep_iterationIS3_Lb0EPaS7_N6thrust23THRUST_200600_302600_NS10device_ptrIlEESB_jNS0_19identity_decomposerENS1_16block_id_wrapperIjLb0EEEEE10hipError_tT1_PNSt15iterator_traitsISG_E10value_typeET2_T3_PNSH_ISM_E10value_typeET4_T5_PSR_SS_PNS1_23onesweep_lookback_stateEbbT6_jjT7_P12ihipStream_tbENKUlT_T0_SG_SL_E_clIS7_S7_PlSB_EEDaSZ_S10_SG_SL_EUlSZ_E_NS1_11comp_targetILNS1_3genE2ELNS1_11target_archE906ELNS1_3gpuE6ELNS1_3repE0EEENS1_47radix_sort_onesweep_sort_config_static_selectorELNS0_4arch9wavefront6targetE1EEEvSG_,"axG",@progbits,_ZN7rocprim17ROCPRIM_400000_NS6detail17trampoline_kernelINS0_14default_configENS1_35radix_sort_onesweep_config_selectorIalEEZZNS1_29radix_sort_onesweep_iterationIS3_Lb0EPaS7_N6thrust23THRUST_200600_302600_NS10device_ptrIlEESB_jNS0_19identity_decomposerENS1_16block_id_wrapperIjLb0EEEEE10hipError_tT1_PNSt15iterator_traitsISG_E10value_typeET2_T3_PNSH_ISM_E10value_typeET4_T5_PSR_SS_PNS1_23onesweep_lookback_stateEbbT6_jjT7_P12ihipStream_tbENKUlT_T0_SG_SL_E_clIS7_S7_PlSB_EEDaSZ_S10_SG_SL_EUlSZ_E_NS1_11comp_targetILNS1_3genE2ELNS1_11target_archE906ELNS1_3gpuE6ELNS1_3repE0EEENS1_47radix_sort_onesweep_sort_config_static_selectorELNS0_4arch9wavefront6targetE1EEEvSG_,comdat
	.protected	_ZN7rocprim17ROCPRIM_400000_NS6detail17trampoline_kernelINS0_14default_configENS1_35radix_sort_onesweep_config_selectorIalEEZZNS1_29radix_sort_onesweep_iterationIS3_Lb0EPaS7_N6thrust23THRUST_200600_302600_NS10device_ptrIlEESB_jNS0_19identity_decomposerENS1_16block_id_wrapperIjLb0EEEEE10hipError_tT1_PNSt15iterator_traitsISG_E10value_typeET2_T3_PNSH_ISM_E10value_typeET4_T5_PSR_SS_PNS1_23onesweep_lookback_stateEbbT6_jjT7_P12ihipStream_tbENKUlT_T0_SG_SL_E_clIS7_S7_PlSB_EEDaSZ_S10_SG_SL_EUlSZ_E_NS1_11comp_targetILNS1_3genE2ELNS1_11target_archE906ELNS1_3gpuE6ELNS1_3repE0EEENS1_47radix_sort_onesweep_sort_config_static_selectorELNS0_4arch9wavefront6targetE1EEEvSG_ ; -- Begin function _ZN7rocprim17ROCPRIM_400000_NS6detail17trampoline_kernelINS0_14default_configENS1_35radix_sort_onesweep_config_selectorIalEEZZNS1_29radix_sort_onesweep_iterationIS3_Lb0EPaS7_N6thrust23THRUST_200600_302600_NS10device_ptrIlEESB_jNS0_19identity_decomposerENS1_16block_id_wrapperIjLb0EEEEE10hipError_tT1_PNSt15iterator_traitsISG_E10value_typeET2_T3_PNSH_ISM_E10value_typeET4_T5_PSR_SS_PNS1_23onesweep_lookback_stateEbbT6_jjT7_P12ihipStream_tbENKUlT_T0_SG_SL_E_clIS7_S7_PlSB_EEDaSZ_S10_SG_SL_EUlSZ_E_NS1_11comp_targetILNS1_3genE2ELNS1_11target_archE906ELNS1_3gpuE6ELNS1_3repE0EEENS1_47radix_sort_onesweep_sort_config_static_selectorELNS0_4arch9wavefront6targetE1EEEvSG_
	.globl	_ZN7rocprim17ROCPRIM_400000_NS6detail17trampoline_kernelINS0_14default_configENS1_35radix_sort_onesweep_config_selectorIalEEZZNS1_29radix_sort_onesweep_iterationIS3_Lb0EPaS7_N6thrust23THRUST_200600_302600_NS10device_ptrIlEESB_jNS0_19identity_decomposerENS1_16block_id_wrapperIjLb0EEEEE10hipError_tT1_PNSt15iterator_traitsISG_E10value_typeET2_T3_PNSH_ISM_E10value_typeET4_T5_PSR_SS_PNS1_23onesweep_lookback_stateEbbT6_jjT7_P12ihipStream_tbENKUlT_T0_SG_SL_E_clIS7_S7_PlSB_EEDaSZ_S10_SG_SL_EUlSZ_E_NS1_11comp_targetILNS1_3genE2ELNS1_11target_archE906ELNS1_3gpuE6ELNS1_3repE0EEENS1_47radix_sort_onesweep_sort_config_static_selectorELNS0_4arch9wavefront6targetE1EEEvSG_
	.p2align	8
	.type	_ZN7rocprim17ROCPRIM_400000_NS6detail17trampoline_kernelINS0_14default_configENS1_35radix_sort_onesweep_config_selectorIalEEZZNS1_29radix_sort_onesweep_iterationIS3_Lb0EPaS7_N6thrust23THRUST_200600_302600_NS10device_ptrIlEESB_jNS0_19identity_decomposerENS1_16block_id_wrapperIjLb0EEEEE10hipError_tT1_PNSt15iterator_traitsISG_E10value_typeET2_T3_PNSH_ISM_E10value_typeET4_T5_PSR_SS_PNS1_23onesweep_lookback_stateEbbT6_jjT7_P12ihipStream_tbENKUlT_T0_SG_SL_E_clIS7_S7_PlSB_EEDaSZ_S10_SG_SL_EUlSZ_E_NS1_11comp_targetILNS1_3genE2ELNS1_11target_archE906ELNS1_3gpuE6ELNS1_3repE0EEENS1_47radix_sort_onesweep_sort_config_static_selectorELNS0_4arch9wavefront6targetE1EEEvSG_,@function
_ZN7rocprim17ROCPRIM_400000_NS6detail17trampoline_kernelINS0_14default_configENS1_35radix_sort_onesweep_config_selectorIalEEZZNS1_29radix_sort_onesweep_iterationIS3_Lb0EPaS7_N6thrust23THRUST_200600_302600_NS10device_ptrIlEESB_jNS0_19identity_decomposerENS1_16block_id_wrapperIjLb0EEEEE10hipError_tT1_PNSt15iterator_traitsISG_E10value_typeET2_T3_PNSH_ISM_E10value_typeET4_T5_PSR_SS_PNS1_23onesweep_lookback_stateEbbT6_jjT7_P12ihipStream_tbENKUlT_T0_SG_SL_E_clIS7_S7_PlSB_EEDaSZ_S10_SG_SL_EUlSZ_E_NS1_11comp_targetILNS1_3genE2ELNS1_11target_archE906ELNS1_3gpuE6ELNS1_3repE0EEENS1_47radix_sort_onesweep_sort_config_static_selectorELNS0_4arch9wavefront6targetE1EEEvSG_: ; @_ZN7rocprim17ROCPRIM_400000_NS6detail17trampoline_kernelINS0_14default_configENS1_35radix_sort_onesweep_config_selectorIalEEZZNS1_29radix_sort_onesweep_iterationIS3_Lb0EPaS7_N6thrust23THRUST_200600_302600_NS10device_ptrIlEESB_jNS0_19identity_decomposerENS1_16block_id_wrapperIjLb0EEEEE10hipError_tT1_PNSt15iterator_traitsISG_E10value_typeET2_T3_PNSH_ISM_E10value_typeET4_T5_PSR_SS_PNS1_23onesweep_lookback_stateEbbT6_jjT7_P12ihipStream_tbENKUlT_T0_SG_SL_E_clIS7_S7_PlSB_EEDaSZ_S10_SG_SL_EUlSZ_E_NS1_11comp_targetILNS1_3genE2ELNS1_11target_archE906ELNS1_3gpuE6ELNS1_3repE0EEENS1_47radix_sort_onesweep_sort_config_static_selectorELNS0_4arch9wavefront6targetE1EEEvSG_
; %bb.0:
	s_add_u32 s0, s0, s7
	s_load_dwordx4 s[40:43], s[4:5], 0x44
	s_load_dwordx8 s[24:31], s[4:5], 0x0
	s_load_dwordx4 s[36:39], s[4:5], 0x28
	s_load_dwordx2 s[44:45], s[4:5], 0x38
	s_addc_u32 s1, s1, 0
	s_mov_b64 s[8:9], -1
	s_waitcnt lgkmcnt(0)
	s_cmp_ge_u32 s6, s42
	s_mul_i32 s34, s6, 0xc00
	v_mbcnt_lo_u32_b32 v17, -1, 0
	s_cbranch_scc0 .LBB648_78
; %bb.1:
	s_load_dword s7, s[4:5], 0x20
	s_mul_i32 s8, s42, 0xfffff400
	v_mbcnt_hi_u32_b32 v7, -1, v17
	v_and_b32_e32 v10, 63, v7
	v_and_b32_e32 v8, 0x1c0, v0
	s_waitcnt lgkmcnt(0)
	s_add_i32 s7, s7, s8
	s_add_u32 s8, s24, s34
	s_addc_u32 s9, s25, 0
	v_mov_b32_e32 v3, s9
	v_add_co_u32_e32 v4, vcc, s8, v10
	v_mul_u32_u24_e32 v9, 6, v8
	v_addc_co_u32_e32 v5, vcc, 0, v3, vcc
	v_add_co_u32_e32 v3, vcc, v4, v9
	v_addc_co_u32_e32 v4, vcc, 0, v5, vcc
	v_or_b32_e32 v11, v10, v9
	s_mov_b32 s35, 0
	v_cmp_gt_u32_e32 vcc, s7, v11
	v_mov_b32_e32 v6, 0x7f
	v_mov_b32_e32 v5, 0x7f
	;; [unrolled: 1-line block ×6, first 2 shown]
	s_and_saveexec_b64 s[8:9], vcc
	s_cbranch_execz .LBB648_3
; %bb.2:
	global_load_ubyte v5, v[3:4], off
	v_mov_b32_e32 v6, 0x7f
	v_mov_b32_e32 v14, 0x7f
	;; [unrolled: 1-line block ×5, first 2 shown]
.LBB648_3:
	s_or_b64 exec, exec, s[8:9]
	v_or_b32_e32 v12, 64, v11
	v_cmp_gt_u32_e64 s[20:21], s7, v12
	s_and_saveexec_b64 s[8:9], s[20:21]
	s_cbranch_execz .LBB648_5
; %bb.4:
	global_load_ubyte v14, v[3:4], off offset:64
.LBB648_5:
	s_or_b64 exec, exec, s[8:9]
	v_add_u32_e32 v12, 0x80, v11
	v_cmp_gt_u32_e64 s[8:9], s7, v12
	s_and_saveexec_b64 s[10:11], s[8:9]
	s_cbranch_execz .LBB648_7
; %bb.6:
	global_load_ubyte v20, v[3:4], off offset:128
.LBB648_7:
	s_or_b64 exec, exec, s[10:11]
	v_add_u32_e32 v12, 0xc0, v11
	;; [unrolled: 8-line block ×4, first 2 shown]
	v_cmp_gt_u32_e64 s[14:15], s7, v11
	s_and_saveexec_b64 s[16:17], s[14:15]
	s_cbranch_execz .LBB648_13
; %bb.12:
	global_load_ubyte v6, v[3:4], off offset:320
.LBB648_13:
	s_or_b64 exec, exec, s[16:17]
	s_load_dword s16, s[4:5], 0x64
	s_load_dword s33, s[4:5], 0x58
	s_add_u32 s17, s4, 0x58
	s_addc_u32 s18, s5, 0
	v_mov_b32_e32 v3, 0
	s_waitcnt lgkmcnt(0)
	s_lshr_b32 s19, s16, 16
	s_cmp_lt_u32 s6, s33
	s_cselect_b32 s16, 12, 18
	s_add_u32 s16, s17, s16
	s_addc_u32 s17, s18, 0
	global_load_ushort v13, v3, s[16:17]
	s_waitcnt vmcnt(1)
	v_xor_b32_e32 v11, 0xffffff80, v5
	s_lshl_b32 s16, -1, s41
	v_lshrrev_b32_sdwa v4, s40, v11 dst_sel:DWORD dst_unused:UNUSED_PAD src0_sel:DWORD src1_sel:BYTE_0
	s_not_b32 s50, s16
	v_and_b32_e32 v16, s50, v4
	v_and_b32_e32 v18, 1, v16
	v_add_co_u32_e64 v19, s[16:17], -1, v18
	v_lshlrev_b32_e32 v4, 30, v16
	v_addc_co_u32_e64 v23, s[16:17], 0, -1, s[16:17]
	v_mad_u32_u24 v5, v2, s19, v1
	v_cmp_ne_u32_e64 s[16:17], 0, v18
	v_cmp_gt_i64_e64 s[18:19], 0, v[3:4]
	v_not_b32_e32 v18, v4
	v_lshlrev_b32_e32 v4, 29, v16
	v_xor_b32_e32 v23, s17, v23
	v_xor_b32_e32 v19, s16, v19
	v_ashrrev_i32_e32 v18, 31, v18
	v_cmp_gt_i64_e64 s[16:17], 0, v[3:4]
	v_not_b32_e32 v24, v4
	v_lshlrev_b32_e32 v4, 28, v16
	v_and_b32_e32 v23, exec_hi, v23
	v_and_b32_e32 v19, exec_lo, v19
	v_xor_b32_e32 v25, s19, v18
	v_xor_b32_e32 v18, s18, v18
	v_ashrrev_i32_e32 v24, 31, v24
	v_cmp_gt_i64_e64 s[18:19], 0, v[3:4]
	v_not_b32_e32 v26, v4
	v_lshlrev_b32_e32 v4, 27, v16
	v_and_b32_e32 v23, v23, v25
	v_and_b32_e32 v18, v19, v18
	v_xor_b32_e32 v19, s17, v24
	v_xor_b32_e32 v24, s16, v24
	v_ashrrev_i32_e32 v25, 31, v26
	v_cmp_gt_i64_e64 s[16:17], 0, v[3:4]
	v_not_b32_e32 v26, v4
	v_lshlrev_b32_e32 v4, 26, v16
	v_and_b32_e32 v19, v23, v19
	v_and_b32_e32 v18, v18, v24
	;; [unrolled: 8-line block ×3, first 2 shown]
	v_xor_b32_e32 v23, s17, v25
	v_xor_b32_e32 v24, s16, v25
	v_ashrrev_i32_e32 v25, 31, v26
	v_cmp_gt_i64_e64 s[16:17], 0, v[3:4]
	v_not_b32_e32 v26, v4
	v_mul_u32_u24_e32 v21, 36, v16
	v_lshlrev_b32_e32 v4, 24, v16
	v_and_b32_e32 v16, v19, v23
	v_and_b32_e32 v18, v18, v24
	v_xor_b32_e32 v19, s19, v25
	v_xor_b32_e32 v23, s18, v25
	v_ashrrev_i32_e32 v24, 31, v26
	v_and_b32_e32 v16, v16, v19
	v_and_b32_e32 v18, v18, v23
	v_xor_b32_e32 v19, s17, v24
	v_xor_b32_e32 v23, s16, v24
	v_and_b32_e32 v16, v16, v19
	v_and_b32_e32 v23, v18, v23
	v_cmp_gt_i64_e64 s[18:19], 0, v[3:4]
	v_not_b32_e32 v4, v4
	v_ashrrev_i32_e32 v4, 31, v4
	v_xor_b32_e32 v24, s19, v4
	v_xor_b32_e32 v4, s18, v4
	v_and_b32_e32 v4, v23, v4
	v_mul_u32_u24_e32 v12, 20, v0
	ds_write2_b32 v12, v3, v3 offset0:8 offset1:9
	ds_write2_b32 v12, v3, v3 offset0:10 offset1:11
	ds_write_b32 v12, v3 offset:48
	s_waitcnt vmcnt(0) lgkmcnt(0)
	s_barrier
	; wave barrier
	v_mad_u64_u32 v[18:19], s[16:17], v5, v13, v[0:1]
	v_and_b32_e32 v5, v16, v24
	v_cmp_ne_u64_e64 s[16:17], 0, v[4:5]
	v_lshrrev_b32_e32 v13, 4, v18
	v_and_b32_e32 v29, 0xffffffc, v13
	v_mbcnt_lo_u32_b32 v13, v4, 0
	v_mbcnt_hi_u32_b32 v13, v5, v13
	v_cmp_eq_u32_e64 s[18:19], 0, v13
	s_and_b64 s[18:19], s[16:17], s[18:19]
	v_add_u32_e32 v16, v29, v21
	s_and_saveexec_b64 s[16:17], s[18:19]
; %bb.14:
	v_bcnt_u32_b32 v4, v4, 0
	v_bcnt_u32_b32 v4, v5, v4
	ds_write_b32 v16, v4 offset:32
; %bb.15:
	s_or_b64 exec, exec, s[16:17]
	v_xor_b32_e32 v14, 0xffffff80, v14
	v_lshrrev_b32_sdwa v4, s40, v14 dst_sel:DWORD dst_unused:UNUSED_PAD src0_sel:DWORD src1_sel:BYTE_0
	v_and_b32_e32 v5, s50, v4
	v_mad_u32_u24 v4, v5, 36, v29
	; wave barrier
	ds_read_b32 v18, v4 offset:32
	v_and_b32_e32 v4, 1, v5
	v_add_co_u32_e64 v19, s[16:17], -1, v4
	v_addc_co_u32_e64 v23, s[16:17], 0, -1, s[16:17]
	v_cmp_ne_u32_e64 s[16:17], 0, v4
	v_xor_b32_e32 v4, s17, v23
	v_and_b32_e32 v23, exec_hi, v4
	v_lshlrev_b32_e32 v4, 30, v5
	v_xor_b32_e32 v19, s16, v19
	v_cmp_gt_i64_e64 s[16:17], 0, v[3:4]
	v_not_b32_e32 v4, v4
	v_ashrrev_i32_e32 v4, 31, v4
	v_and_b32_e32 v19, exec_lo, v19
	v_xor_b32_e32 v24, s17, v4
	v_xor_b32_e32 v4, s16, v4
	v_and_b32_e32 v19, v19, v4
	v_lshlrev_b32_e32 v4, 29, v5
	v_cmp_gt_i64_e64 s[16:17], 0, v[3:4]
	v_not_b32_e32 v4, v4
	v_ashrrev_i32_e32 v4, 31, v4
	v_and_b32_e32 v23, v23, v24
	v_xor_b32_e32 v24, s17, v4
	v_xor_b32_e32 v4, s16, v4
	v_and_b32_e32 v19, v19, v4
	v_lshlrev_b32_e32 v4, 28, v5
	v_cmp_gt_i64_e64 s[16:17], 0, v[3:4]
	v_not_b32_e32 v4, v4
	v_ashrrev_i32_e32 v4, 31, v4
	v_and_b32_e32 v23, v23, v24
	;; [unrolled: 8-line block ×5, first 2 shown]
	v_xor_b32_e32 v24, s17, v4
	v_xor_b32_e32 v4, s16, v4
	v_and_b32_e32 v19, v19, v4
	v_lshlrev_b32_e32 v4, 24, v5
	v_cmp_gt_i64_e64 s[16:17], 0, v[3:4]
	v_not_b32_e32 v3, v4
	v_ashrrev_i32_e32 v3, 31, v3
	v_xor_b32_e32 v4, s17, v3
	v_xor_b32_e32 v3, s16, v3
	v_and_b32_e32 v23, v23, v24
	v_and_b32_e32 v3, v19, v3
	v_mul_u32_u24_e32 v21, 36, v5
	v_and_b32_e32 v4, v23, v4
	v_mbcnt_lo_u32_b32 v5, v3, 0
	v_mbcnt_hi_u32_b32 v19, v4, v5
	v_cmp_ne_u64_e64 s[16:17], 0, v[3:4]
	v_cmp_eq_u32_e64 s[18:19], 0, v19
	s_and_b64 s[18:19], s[16:17], s[18:19]
	v_add_u32_e32 v28, v29, v21
	; wave barrier
	s_and_saveexec_b64 s[16:17], s[18:19]
	s_cbranch_execz .LBB648_17
; %bb.16:
	v_bcnt_u32_b32 v3, v3, 0
	v_bcnt_u32_b32 v3, v4, v3
	s_waitcnt lgkmcnt(0)
	v_add_u32_e32 v3, v18, v3
	ds_write_b32 v28, v3 offset:32
.LBB648_17:
	s_or_b64 exec, exec, s[16:17]
	v_xor_b32_e32 v26, 0xffffff80, v20
	v_lshrrev_b32_sdwa v3, s40, v26 dst_sel:DWORD dst_unused:UNUSED_PAD src0_sel:DWORD src1_sel:BYTE_0
	v_and_b32_e32 v5, s50, v3
	v_and_b32_e32 v4, 1, v5
	v_add_co_u32_e64 v21, s[16:17], -1, v4
	v_addc_co_u32_e64 v24, s[16:17], 0, -1, s[16:17]
	v_cmp_ne_u32_e64 s[16:17], 0, v4
	v_mad_u32_u24 v3, v5, 36, v29
	v_xor_b32_e32 v4, s17, v24
	; wave barrier
	ds_read_b32 v20, v3 offset:32
	v_mov_b32_e32 v3, 0
	v_and_b32_e32 v24, exec_hi, v4
	v_lshlrev_b32_e32 v4, 30, v5
	v_xor_b32_e32 v21, s16, v21
	v_cmp_gt_i64_e64 s[16:17], 0, v[3:4]
	v_not_b32_e32 v4, v4
	v_ashrrev_i32_e32 v4, 31, v4
	v_and_b32_e32 v21, exec_lo, v21
	v_xor_b32_e32 v25, s17, v4
	v_xor_b32_e32 v4, s16, v4
	v_and_b32_e32 v21, v21, v4
	v_lshlrev_b32_e32 v4, 29, v5
	v_cmp_gt_i64_e64 s[16:17], 0, v[3:4]
	v_not_b32_e32 v4, v4
	v_ashrrev_i32_e32 v4, 31, v4
	v_and_b32_e32 v24, v24, v25
	v_xor_b32_e32 v25, s17, v4
	v_xor_b32_e32 v4, s16, v4
	v_and_b32_e32 v21, v21, v4
	v_lshlrev_b32_e32 v4, 28, v5
	v_cmp_gt_i64_e64 s[16:17], 0, v[3:4]
	v_not_b32_e32 v4, v4
	v_ashrrev_i32_e32 v4, 31, v4
	v_and_b32_e32 v24, v24, v25
	;; [unrolled: 8-line block ×5, first 2 shown]
	v_xor_b32_e32 v25, s17, v4
	v_xor_b32_e32 v4, s16, v4
	v_and_b32_e32 v21, v21, v4
	v_lshlrev_b32_e32 v4, 24, v5
	v_cmp_gt_i64_e64 s[16:17], 0, v[3:4]
	v_not_b32_e32 v4, v4
	v_ashrrev_i32_e32 v4, 31, v4
	v_mul_u32_u24_e32 v23, 36, v5
	v_xor_b32_e32 v5, s17, v4
	v_xor_b32_e32 v4, s16, v4
	v_and_b32_e32 v24, v24, v25
	v_and_b32_e32 v4, v21, v4
	;; [unrolled: 1-line block ×3, first 2 shown]
	v_mbcnt_lo_u32_b32 v21, v4, 0
	v_mbcnt_hi_u32_b32 v21, v5, v21
	v_cmp_ne_u64_e64 s[16:17], 0, v[4:5]
	v_cmp_eq_u32_e64 s[18:19], 0, v21
	s_and_b64 s[18:19], s[16:17], s[18:19]
	v_add_u32_e32 v32, v29, v23
	; wave barrier
	s_and_saveexec_b64 s[16:17], s[18:19]
	s_cbranch_execz .LBB648_19
; %bb.18:
	v_bcnt_u32_b32 v4, v4, 0
	v_bcnt_u32_b32 v4, v5, v4
	s_waitcnt lgkmcnt(0)
	v_add_u32_e32 v4, v20, v4
	ds_write_b32 v32, v4 offset:32
.LBB648_19:
	s_or_b64 exec, exec, s[16:17]
	v_xor_b32_e32 v31, 0xffffff80, v22
	v_lshrrev_b32_sdwa v4, s40, v31 dst_sel:DWORD dst_unused:UNUSED_PAD src0_sel:DWORD src1_sel:BYTE_0
	v_and_b32_e32 v5, s50, v4
	v_mad_u32_u24 v4, v5, 36, v29
	; wave barrier
	ds_read_b32 v22, v4 offset:32
	v_and_b32_e32 v4, 1, v5
	v_add_co_u32_e64 v23, s[16:17], -1, v4
	v_addc_co_u32_e64 v25, s[16:17], 0, -1, s[16:17]
	v_cmp_ne_u32_e64 s[16:17], 0, v4
	v_xor_b32_e32 v4, s17, v25
	v_and_b32_e32 v25, exec_hi, v4
	v_lshlrev_b32_e32 v4, 30, v5
	v_xor_b32_e32 v23, s16, v23
	v_cmp_gt_i64_e64 s[16:17], 0, v[3:4]
	v_not_b32_e32 v4, v4
	v_ashrrev_i32_e32 v4, 31, v4
	v_and_b32_e32 v23, exec_lo, v23
	v_xor_b32_e32 v27, s17, v4
	v_xor_b32_e32 v4, s16, v4
	v_and_b32_e32 v23, v23, v4
	v_lshlrev_b32_e32 v4, 29, v5
	v_cmp_gt_i64_e64 s[16:17], 0, v[3:4]
	v_not_b32_e32 v4, v4
	v_ashrrev_i32_e32 v4, 31, v4
	v_and_b32_e32 v25, v25, v27
	v_xor_b32_e32 v27, s17, v4
	v_xor_b32_e32 v4, s16, v4
	v_and_b32_e32 v23, v23, v4
	v_lshlrev_b32_e32 v4, 28, v5
	v_cmp_gt_i64_e64 s[16:17], 0, v[3:4]
	v_not_b32_e32 v4, v4
	v_ashrrev_i32_e32 v4, 31, v4
	v_and_b32_e32 v25, v25, v27
	;; [unrolled: 8-line block ×5, first 2 shown]
	v_xor_b32_e32 v27, s17, v4
	v_xor_b32_e32 v4, s16, v4
	v_and_b32_e32 v23, v23, v4
	v_lshlrev_b32_e32 v4, 24, v5
	v_cmp_gt_i64_e64 s[16:17], 0, v[3:4]
	v_not_b32_e32 v3, v4
	v_ashrrev_i32_e32 v3, 31, v3
	v_xor_b32_e32 v4, s17, v3
	v_xor_b32_e32 v3, s16, v3
	v_and_b32_e32 v25, v25, v27
	v_and_b32_e32 v3, v23, v3
	v_mul_u32_u24_e32 v24, 36, v5
	v_and_b32_e32 v4, v25, v4
	v_mbcnt_lo_u32_b32 v5, v3, 0
	v_mbcnt_hi_u32_b32 v23, v4, v5
	v_cmp_ne_u64_e64 s[16:17], 0, v[3:4]
	v_cmp_eq_u32_e64 s[18:19], 0, v23
	s_and_b64 s[18:19], s[16:17], s[18:19]
	v_add_u32_e32 v35, v29, v24
	; wave barrier
	s_and_saveexec_b64 s[16:17], s[18:19]
	s_cbranch_execz .LBB648_21
; %bb.20:
	v_bcnt_u32_b32 v3, v3, 0
	v_bcnt_u32_b32 v3, v4, v3
	s_waitcnt lgkmcnt(0)
	v_add_u32_e32 v3, v22, v3
	ds_write_b32 v35, v3 offset:32
.LBB648_21:
	s_or_b64 exec, exec, s[16:17]
	v_xor_b32_e32 v15, 0xffffff80, v15
	v_lshrrev_b32_sdwa v3, s40, v15 dst_sel:DWORD dst_unused:UNUSED_PAD src0_sel:DWORD src1_sel:BYTE_0
	v_and_b32_e32 v5, s50, v3
	v_and_b32_e32 v4, 1, v5
	v_add_co_u32_e64 v25, s[16:17], -1, v4
	v_addc_co_u32_e64 v30, s[16:17], 0, -1, s[16:17]
	v_cmp_ne_u32_e64 s[16:17], 0, v4
	v_mad_u32_u24 v3, v5, 36, v29
	v_xor_b32_e32 v4, s17, v30
	; wave barrier
	ds_read_b32 v24, v3 offset:32
	v_mov_b32_e32 v3, 0
	v_and_b32_e32 v30, exec_hi, v4
	v_lshlrev_b32_e32 v4, 30, v5
	v_xor_b32_e32 v25, s16, v25
	v_cmp_gt_i64_e64 s[16:17], 0, v[3:4]
	v_not_b32_e32 v4, v4
	v_ashrrev_i32_e32 v4, 31, v4
	v_and_b32_e32 v25, exec_lo, v25
	v_xor_b32_e32 v33, s17, v4
	v_xor_b32_e32 v4, s16, v4
	v_and_b32_e32 v25, v25, v4
	v_lshlrev_b32_e32 v4, 29, v5
	v_cmp_gt_i64_e64 s[16:17], 0, v[3:4]
	v_not_b32_e32 v4, v4
	v_ashrrev_i32_e32 v4, 31, v4
	v_and_b32_e32 v30, v30, v33
	v_xor_b32_e32 v33, s17, v4
	v_xor_b32_e32 v4, s16, v4
	v_and_b32_e32 v25, v25, v4
	v_lshlrev_b32_e32 v4, 28, v5
	v_cmp_gt_i64_e64 s[16:17], 0, v[3:4]
	v_not_b32_e32 v4, v4
	v_ashrrev_i32_e32 v4, 31, v4
	v_and_b32_e32 v30, v30, v33
	;; [unrolled: 8-line block ×5, first 2 shown]
	v_xor_b32_e32 v33, s17, v4
	v_xor_b32_e32 v4, s16, v4
	v_and_b32_e32 v25, v25, v4
	v_lshlrev_b32_e32 v4, 24, v5
	v_cmp_gt_i64_e64 s[16:17], 0, v[3:4]
	v_not_b32_e32 v4, v4
	v_ashrrev_i32_e32 v4, 31, v4
	v_mul_u32_u24_e32 v27, 36, v5
	v_xor_b32_e32 v5, s17, v4
	v_xor_b32_e32 v4, s16, v4
	v_and_b32_e32 v30, v30, v33
	v_and_b32_e32 v4, v25, v4
	v_and_b32_e32 v5, v30, v5
	v_mbcnt_lo_u32_b32 v25, v4, 0
	v_mbcnt_hi_u32_b32 v25, v5, v25
	v_cmp_ne_u64_e64 s[16:17], 0, v[4:5]
	v_cmp_eq_u32_e64 s[18:19], 0, v25
	s_and_b64 s[18:19], s[16:17], s[18:19]
	v_add_u32_e32 v36, v29, v27
	; wave barrier
	s_and_saveexec_b64 s[16:17], s[18:19]
	s_cbranch_execz .LBB648_23
; %bb.22:
	v_bcnt_u32_b32 v4, v4, 0
	v_bcnt_u32_b32 v4, v5, v4
	s_waitcnt lgkmcnt(0)
	v_add_u32_e32 v4, v24, v4
	ds_write_b32 v36, v4 offset:32
.LBB648_23:
	s_or_b64 exec, exec, s[16:17]
	v_xor_b32_e32 v38, 0xffffff80, v6
	v_lshrrev_b32_sdwa v4, s40, v38 dst_sel:DWORD dst_unused:UNUSED_PAD src0_sel:DWORD src1_sel:BYTE_0
	v_and_b32_e32 v5, s50, v4
	v_mad_u32_u24 v4, v5, 36, v29
	; wave barrier
	ds_read_b32 v27, v4 offset:32
	v_and_b32_e32 v4, 1, v5
	v_add_co_u32_e64 v30, s[16:17], -1, v4
	v_addc_co_u32_e64 v33, s[16:17], 0, -1, s[16:17]
	v_cmp_ne_u32_e64 s[16:17], 0, v4
	v_xor_b32_e32 v4, s17, v33
	v_and_b32_e32 v33, exec_hi, v4
	v_lshlrev_b32_e32 v4, 30, v5
	v_xor_b32_e32 v30, s16, v30
	v_cmp_gt_i64_e64 s[16:17], 0, v[3:4]
	v_not_b32_e32 v4, v4
	v_ashrrev_i32_e32 v4, 31, v4
	v_and_b32_e32 v30, exec_lo, v30
	v_xor_b32_e32 v34, s17, v4
	v_xor_b32_e32 v4, s16, v4
	v_and_b32_e32 v30, v30, v4
	v_lshlrev_b32_e32 v4, 29, v5
	v_cmp_gt_i64_e64 s[16:17], 0, v[3:4]
	v_not_b32_e32 v4, v4
	v_ashrrev_i32_e32 v4, 31, v4
	v_and_b32_e32 v33, v33, v34
	v_xor_b32_e32 v34, s17, v4
	v_xor_b32_e32 v4, s16, v4
	v_and_b32_e32 v30, v30, v4
	v_lshlrev_b32_e32 v4, 28, v5
	v_cmp_gt_i64_e64 s[16:17], 0, v[3:4]
	v_not_b32_e32 v4, v4
	v_ashrrev_i32_e32 v4, 31, v4
	v_and_b32_e32 v33, v33, v34
	;; [unrolled: 8-line block ×5, first 2 shown]
	v_xor_b32_e32 v34, s17, v4
	v_xor_b32_e32 v4, s16, v4
	v_and_b32_e32 v30, v30, v4
	v_lshlrev_b32_e32 v4, 24, v5
	v_cmp_gt_i64_e64 s[16:17], 0, v[3:4]
	v_not_b32_e32 v3, v4
	v_ashrrev_i32_e32 v3, 31, v3
	v_xor_b32_e32 v4, s17, v3
	v_xor_b32_e32 v3, s16, v3
	v_and_b32_e32 v33, v33, v34
	v_and_b32_e32 v3, v30, v3
	v_mul_u32_u24_e32 v6, 36, v5
	v_and_b32_e32 v4, v33, v4
	v_mbcnt_lo_u32_b32 v5, v3, 0
	v_mbcnt_hi_u32_b32 v30, v4, v5
	v_cmp_ne_u64_e64 s[16:17], 0, v[3:4]
	v_cmp_eq_u32_e64 s[18:19], 0, v30
	s_and_b64 s[18:19], s[16:17], s[18:19]
	v_add_u32_e32 v29, v29, v6
	; wave barrier
	s_and_saveexec_b64 s[16:17], s[18:19]
	s_cbranch_execz .LBB648_25
; %bb.24:
	v_bcnt_u32_b32 v3, v3, 0
	v_bcnt_u32_b32 v3, v4, v3
	s_waitcnt lgkmcnt(0)
	v_add_u32_e32 v3, v27, v3
	ds_write_b32 v29, v3 offset:32
.LBB648_25:
	s_or_b64 exec, exec, s[16:17]
	; wave barrier
	s_waitcnt lgkmcnt(0)
	s_barrier
	ds_read2_b32 v[5:6], v12 offset0:8 offset1:9
	ds_read2_b32 v[3:4], v12 offset0:10 offset1:11
	ds_read_b32 v33, v12 offset:48
	v_min_u32_e32 v8, 0x1c0, v8
	v_or_b32_e32 v8, 63, v8
	s_waitcnt lgkmcnt(1)
	v_add3_u32 v34, v6, v5, v3
	s_waitcnt lgkmcnt(0)
	v_add3_u32 v33, v34, v4, v33
	v_and_b32_e32 v34, 15, v7
	v_cmp_ne_u32_e64 s[16:17], 0, v34
	v_mov_b32_dpp v37, v33 row_shr:1 row_mask:0xf bank_mask:0xf
	v_cndmask_b32_e64 v37, 0, v37, s[16:17]
	v_add_u32_e32 v33, v37, v33
	v_cmp_lt_u32_e64 s[16:17], 1, v34
	s_nop 0
	v_mov_b32_dpp v37, v33 row_shr:2 row_mask:0xf bank_mask:0xf
	v_cndmask_b32_e64 v37, 0, v37, s[16:17]
	v_add_u32_e32 v33, v33, v37
	v_cmp_lt_u32_e64 s[16:17], 3, v34
	s_nop 0
	;; [unrolled: 5-line block ×3, first 2 shown]
	v_mov_b32_dpp v37, v33 row_shr:8 row_mask:0xf bank_mask:0xf
	v_cndmask_b32_e64 v34, 0, v37, s[16:17]
	v_add_u32_e32 v33, v33, v34
	v_bfe_i32 v37, v7, 4, 1
	v_cmp_lt_u32_e64 s[16:17], 31, v7
	v_mov_b32_dpp v34, v33 row_bcast:15 row_mask:0xf bank_mask:0xf
	v_and_b32_e32 v34, v37, v34
	v_add_u32_e32 v33, v33, v34
	s_nop 1
	v_mov_b32_dpp v34, v33 row_bcast:31 row_mask:0xf bank_mask:0xf
	v_cndmask_b32_e64 v34, 0, v34, s[16:17]
	v_add_u32_e32 v33, v33, v34
	v_lshrrev_b32_e32 v34, 6, v0
	v_cmp_eq_u32_e64 s[16:17], v0, v8
	s_and_saveexec_b64 s[18:19], s[16:17]
; %bb.26:
	v_lshlrev_b32_e32 v8, 2, v34
	ds_write_b32 v8, v33
; %bb.27:
	s_or_b64 exec, exec, s[18:19]
	v_cmp_gt_u32_e64 s[16:17], 8, v0
	s_waitcnt lgkmcnt(0)
	s_barrier
	s_and_saveexec_b64 s[22:23], s[16:17]
	s_cbranch_execz .LBB648_29
; %bb.28:
	v_lshlrev_b32_e32 v8, 2, v0
	ds_read_b32 v37, v8
	v_and_b32_e32 v39, 7, v7
	v_cmp_ne_u32_e64 s[16:17], 0, v39
	v_cmp_lt_u32_e64 s[18:19], 1, v39
	s_waitcnt lgkmcnt(0)
	v_mov_b32_dpp v40, v37 row_shr:1 row_mask:0xf bank_mask:0xf
	v_cndmask_b32_e64 v40, 0, v40, s[16:17]
	v_add_u32_e32 v37, v40, v37
	v_cmp_lt_u32_e64 s[16:17], 3, v39
	s_nop 0
	v_mov_b32_dpp v40, v37 row_shr:2 row_mask:0xf bank_mask:0xf
	v_cndmask_b32_e64 v40, 0, v40, s[18:19]
	v_add_u32_e32 v37, v37, v40
	s_nop 1
	v_mov_b32_dpp v40, v37 row_shr:4 row_mask:0xf bank_mask:0xf
	v_cndmask_b32_e64 v39, 0, v40, s[16:17]
	v_add_u32_e32 v37, v37, v39
	ds_write_b32 v8, v37
.LBB648_29:
	s_or_b64 exec, exec, s[22:23]
	v_cmp_lt_u32_e64 s[16:17], 63, v0
	v_mov_b32_e32 v8, 0
	s_waitcnt lgkmcnt(0)
	s_barrier
	s_and_saveexec_b64 s[18:19], s[16:17]
; %bb.30:
	v_lshl_add_u32 v8, v34, 2, -4
	ds_read_b32 v8, v8
; %bb.31:
	s_or_b64 exec, exec, s[18:19]
	v_subrev_co_u32_e64 v34, s[16:17], 1, v7
	v_and_b32_e32 v37, 64, v7
	v_cmp_lt_i32_e64 s[18:19], v34, v37
	v_cndmask_b32_e64 v7, v34, v7, s[18:19]
	s_waitcnt lgkmcnt(0)
	v_add_u32_e32 v33, v8, v33
	v_lshlrev_b32_e32 v7, 2, v7
	ds_bpermute_b32 v7, v7, v33
	s_movk_i32 s22, 0x100
	v_cmp_gt_u32_e64 s[18:19], s22, v0
	s_waitcnt lgkmcnt(0)
	v_cndmask_b32_e64 v7, v7, v8, s[16:17]
	v_cmp_ne_u32_e64 s[16:17], 0, v0
	v_cndmask_b32_e64 v7, 0, v7, s[16:17]
	v_add_u32_e32 v5, v7, v5
	v_add_u32_e32 v6, v5, v6
	;; [unrolled: 1-line block ×4, first 2 shown]
	ds_write2_b32 v12, v7, v5 offset0:8 offset1:9
	ds_write2_b32 v12, v6, v3 offset0:10 offset1:11
	ds_write_b32 v12, v4 offset:48
	s_waitcnt lgkmcnt(0)
	s_barrier
	ds_read_b32 v3, v16 offset:32
	ds_read_b32 v33, v28 offset:32
	;; [unrolled: 1-line block ×6, first 2 shown]
	s_movk_i32 s16, 0xff
	v_cmp_lt_u32_e64 s[16:17], s16, v0
                                        ; implicit-def: $vgpr28
                                        ; implicit-def: $vgpr29
	s_and_saveexec_b64 s[42:43], s[18:19]
	s_cbranch_execz .LBB648_35
; %bb.32:
	v_mul_u32_u24_e32 v4, 36, v0
	ds_read_b32 v28, v4 offset:32
	v_add_u32_e32 v5, 1, v0
	v_cmp_ne_u32_e64 s[22:23], s22, v5
	v_mov_b32_e32 v4, 0xc00
	s_and_saveexec_b64 s[46:47], s[22:23]
; %bb.33:
	v_mul_u32_u24_e32 v4, 36, v5
	ds_read_b32 v4, v4 offset:32
; %bb.34:
	s_or_b64 exec, exec, s[46:47]
	s_waitcnt lgkmcnt(0)
	v_sub_u32_e32 v29, v4, v28
.LBB648_35:
	s_or_b64 exec, exec, s[42:43]
	s_waitcnt lgkmcnt(5)
	v_add_u32_e32 v32, v3, v13
	s_waitcnt lgkmcnt(3)
	v_add3_u32 v4, v21, v20, v34
	v_add3_u32 v3, v19, v18, v33
	s_waitcnt lgkmcnt(2)
	v_add3_u32 v5, v23, v22, v35
	s_waitcnt lgkmcnt(1)
	;; [unrolled: 2-line block ×3, first 2 shown]
	v_add3_u32 v7, v30, v27, v37
	s_barrier
	ds_write_b8 v32, v11 offset:1024
	ds_write_b8 v3, v14 offset:1024
	;; [unrolled: 1-line block ×6, first 2 shown]
	v_mov_b32_e32 v4, 0
	v_lshlrev_b32_e32 v26, 2, v0
	s_and_saveexec_b64 s[22:23], s[18:19]
	s_cbranch_execz .LBB648_45
; %bb.36:
	v_lshl_add_u32 v3, s6, 8, v0
	v_lshlrev_b64 v[5:6], 2, v[3:4]
	v_mov_b32_e32 v11, s45
	v_add_co_u32_e64 v5, s[18:19], s44, v5
	v_addc_co_u32_e64 v6, s[18:19], v11, v6, s[18:19]
	v_or_b32_e32 v3, 2.0, v29
	s_mov_b64 s[42:43], 0
	s_brev_b32 s51, -4
	s_mov_b32 s52, s6
	v_mov_b32_e32 v12, 0
	global_store_dword v[5:6], v3, off
                                        ; implicit-def: $sgpr18_sgpr19
	s_branch .LBB648_39
.LBB648_37:                             ;   in Loop: Header=BB648_39 Depth=1
	s_or_b64 exec, exec, s[48:49]
.LBB648_38:                             ;   in Loop: Header=BB648_39 Depth=1
	s_or_b64 exec, exec, s[46:47]
	v_and_b32_e32 v7, 0x3fffffff, v3
	v_add_u32_e32 v12, v7, v12
	v_cmp_gt_i32_e64 s[18:19], -2.0, v3
	s_and_b64 s[46:47], exec, s[18:19]
	s_or_b64 s[42:43], s[46:47], s[42:43]
	s_andn2_b64 exec, exec, s[42:43]
	s_cbranch_execz .LBB648_44
.LBB648_39:                             ; =>This Loop Header: Depth=1
                                        ;     Child Loop BB648_42 Depth 2
	s_or_b64 s[18:19], s[18:19], exec
	s_cmp_eq_u32 s52, 0
	s_cbranch_scc1 .LBB648_43
; %bb.40:                               ;   in Loop: Header=BB648_39 Depth=1
	s_add_i32 s52, s52, -1
	v_lshl_or_b32 v3, s52, 8, v0
	v_lshlrev_b64 v[7:8], 2, v[3:4]
	v_add_co_u32_e64 v7, s[18:19], s44, v7
	v_addc_co_u32_e64 v8, s[18:19], v11, v8, s[18:19]
	global_load_dword v3, v[7:8], off glc
	s_waitcnt vmcnt(0)
	v_cmp_gt_u32_e64 s[18:19], 2.0, v3
	s_and_saveexec_b64 s[46:47], s[18:19]
	s_cbranch_execz .LBB648_38
; %bb.41:                               ;   in Loop: Header=BB648_39 Depth=1
	s_mov_b64 s[48:49], 0
.LBB648_42:                             ;   Parent Loop BB648_39 Depth=1
                                        ; =>  This Inner Loop Header: Depth=2
	global_load_dword v3, v[7:8], off glc
	s_waitcnt vmcnt(0)
	v_cmp_lt_u32_e64 s[18:19], s51, v3
	s_or_b64 s[48:49], s[18:19], s[48:49]
	s_andn2_b64 exec, exec, s[48:49]
	s_cbranch_execnz .LBB648_42
	s_branch .LBB648_37
.LBB648_43:                             ;   in Loop: Header=BB648_39 Depth=1
                                        ; implicit-def: $sgpr52
	s_and_b64 s[46:47], exec, s[18:19]
	s_or_b64 s[42:43], s[46:47], s[42:43]
	s_andn2_b64 exec, exec, s[42:43]
	s_cbranch_execnz .LBB648_39
.LBB648_44:
	s_or_b64 exec, exec, s[42:43]
	v_add_u32_e32 v3, v12, v29
	v_or_b32_e32 v3, 0x80000000, v3
	global_store_dword v[5:6], v3, off
	global_load_dword v3, v26, s[36:37]
	v_sub_u32_e32 v4, v12, v28
	s_waitcnt vmcnt(0)
	v_add_u32_e32 v3, v4, v3
	ds_write_b32 v26, v3
.LBB648_45:
	s_or_b64 exec, exec, s[22:23]
	v_cmp_gt_u32_e64 s[18:19], s7, v0
	s_waitcnt lgkmcnt(0)
	s_barrier
	s_and_saveexec_b64 s[22:23], s[18:19]
	s_cbranch_execz .LBB648_47
; %bb.46:
	ds_read_u8 v3, v0 offset:1024
	s_waitcnt lgkmcnt(0)
	v_lshrrev_b32_sdwa v4, s40, v3 dst_sel:DWORD dst_unused:UNUSED_PAD src0_sel:DWORD src1_sel:BYTE_0
	v_and_b32_e32 v4, s50, v4
	v_lshlrev_b32_e32 v5, 2, v4
	ds_read_b32 v5, v5
	v_xor_b32_e32 v3, 0x80, v3
	buffer_store_dword v4, off, s[0:3], 0
	s_waitcnt lgkmcnt(0)
	v_add_u32_e32 v5, v5, v0
	global_store_byte v5, v3, s[26:27]
.LBB648_47:
	s_or_b64 exec, exec, s[22:23]
	v_or_b32_e32 v3, 0x200, v0
	v_cmp_gt_u32_e64 s[18:19], s7, v3
	s_and_saveexec_b64 s[22:23], s[18:19]
	s_cbranch_execz .LBB648_49
; %bb.48:
	ds_read_u8 v4, v0 offset:1536
	s_waitcnt lgkmcnt(0)
	v_lshrrev_b32_sdwa v5, s40, v4 dst_sel:DWORD dst_unused:UNUSED_PAD src0_sel:DWORD src1_sel:BYTE_0
	v_and_b32_e32 v5, s50, v5
	v_lshlrev_b32_e32 v6, 2, v5
	ds_read_b32 v6, v6
	v_xor_b32_e32 v4, 0x80, v4
	buffer_store_dword v5, off, s[0:3], 0 offset:4
	s_waitcnt lgkmcnt(0)
	v_add_u32_e32 v3, v6, v3
	global_store_byte v3, v4, s[26:27]
.LBB648_49:
	s_or_b64 exec, exec, s[22:23]
	v_or_b32_e32 v3, 0x400, v0
	v_cmp_gt_u32_e64 s[18:19], s7, v3
	s_and_saveexec_b64 s[22:23], s[18:19]
	s_cbranch_execz .LBB648_51
; %bb.50:
	ds_read_u8 v4, v0 offset:2048
	s_waitcnt lgkmcnt(0)
	v_lshrrev_b32_sdwa v5, s40, v4 dst_sel:DWORD dst_unused:UNUSED_PAD src0_sel:DWORD src1_sel:BYTE_0
	v_and_b32_e32 v5, s50, v5
	v_lshlrev_b32_e32 v6, 2, v5
	ds_read_b32 v6, v6
	v_xor_b32_e32 v4, 0x80, v4
	buffer_store_dword v5, off, s[0:3], 0 offset:8
	s_waitcnt lgkmcnt(0)
	v_add_u32_e32 v3, v6, v3
	global_store_byte v3, v4, s[26:27]
.LBB648_51:
	;; [unrolled: 18-line block ×5, first 2 shown]
	s_or_b64 exec, exec, s[22:23]
	s_lshl_b64 s[18:19], s[34:35], 3
	s_add_u32 s18, s28, s18
	s_addc_u32 s19, s29, s19
	v_lshlrev_b32_e32 v3, 3, v10
	v_mov_b32_e32 v4, s19
	v_add_co_u32_e64 v3, s[18:19], s18, v3
	v_addc_co_u32_e64 v4, s[18:19], 0, v4, s[18:19]
	v_lshlrev_b32_e32 v5, 3, v9
	v_add_co_u32_e64 v15, s[18:19], v3, v5
	v_addc_co_u32_e64 v16, s[18:19], 0, v4, s[18:19]
                                        ; implicit-def: $vgpr3_vgpr4
	s_and_saveexec_b64 s[18:19], vcc
	s_xor_b64 s[18:19], exec, s[18:19]
	s_cbranch_execz .LBB648_63
; %bb.58:
	global_load_dwordx2 v[3:4], v[15:16], off
	s_or_b64 exec, exec, s[18:19]
                                        ; implicit-def: $vgpr5_vgpr6
	s_and_saveexec_b64 s[18:19], s[20:21]
	s_cbranch_execnz .LBB648_64
.LBB648_59:
	s_or_b64 exec, exec, s[18:19]
                                        ; implicit-def: $vgpr7_vgpr8
	s_and_saveexec_b64 s[18:19], s[8:9]
	s_cbranch_execz .LBB648_65
.LBB648_60:
	global_load_dwordx2 v[7:8], v[15:16], off offset:1024
	s_or_b64 exec, exec, s[18:19]
                                        ; implicit-def: $vgpr9_vgpr10
	s_and_saveexec_b64 s[8:9], s[10:11]
	s_cbranch_execnz .LBB648_66
.LBB648_61:
	s_or_b64 exec, exec, s[8:9]
                                        ; implicit-def: $vgpr11_vgpr12
	s_and_saveexec_b64 s[8:9], s[12:13]
	s_cbranch_execz .LBB648_67
.LBB648_62:
	global_load_dwordx2 v[11:12], v[15:16], off offset:2048
	s_or_b64 exec, exec, s[8:9]
                                        ; implicit-def: $vgpr13_vgpr14
	s_and_saveexec_b64 s[8:9], s[14:15]
	s_cbranch_execnz .LBB648_68
	s_branch .LBB648_69
.LBB648_63:
	s_or_b64 exec, exec, s[18:19]
                                        ; implicit-def: $vgpr5_vgpr6
	s_and_saveexec_b64 s[18:19], s[20:21]
	s_cbranch_execz .LBB648_59
.LBB648_64:
	global_load_dwordx2 v[5:6], v[15:16], off offset:512
	s_or_b64 exec, exec, s[18:19]
                                        ; implicit-def: $vgpr7_vgpr8
	s_and_saveexec_b64 s[18:19], s[8:9]
	s_cbranch_execnz .LBB648_60
.LBB648_65:
	s_or_b64 exec, exec, s[18:19]
                                        ; implicit-def: $vgpr9_vgpr10
	s_and_saveexec_b64 s[8:9], s[10:11]
	s_cbranch_execz .LBB648_61
.LBB648_66:
	global_load_dwordx2 v[9:10], v[15:16], off offset:1536
	s_or_b64 exec, exec, s[8:9]
                                        ; implicit-def: $vgpr11_vgpr12
	s_and_saveexec_b64 s[8:9], s[12:13]
	s_cbranch_execnz .LBB648_62
.LBB648_67:
	s_or_b64 exec, exec, s[8:9]
                                        ; implicit-def: $vgpr13_vgpr14
	s_and_saveexec_b64 s[8:9], s[14:15]
	s_cbranch_execz .LBB648_69
.LBB648_68:
	global_load_dwordx2 v[13:14], v[15:16], off offset:2560
.LBB648_69:
	s_or_b64 exec, exec, s[8:9]
	v_lshlrev_b32_e32 v31, 3, v0
	v_add3_u32 v27, v30, v37, v27
	v_add3_u32 v24, v25, v36, v24
	;; [unrolled: 1-line block ×5, first 2 shown]
	s_mov_b32 s10, 0
	s_mov_b32 s11, 0
	v_mov_b32_e32 v16, 0
	s_movk_i32 s12, 0x200
	v_mov_b32_e32 v19, v0
	s_waitcnt vmcnt(0)
	s_barrier
	s_branch .LBB648_71
.LBB648_70:                             ;   in Loop: Header=BB648_71 Depth=1
	s_or_b64 exec, exec, s[8:9]
	s_addk_i32 s11, 0xfc00
	s_add_i32 s10, s10, 8
	s_cmpk_eq_i32 s11, 0xf400
	v_add_u32_e32 v19, 0x400, v19
	s_waitcnt vmcnt(0)
	s_barrier
	s_cbranch_scc1 .LBB648_75
.LBB648_71:                             ; =>This Inner Loop Header: Depth=1
	v_add_u32_e32 v15, s11, v32
	v_min_u32_e32 v15, 0x400, v15
	v_lshlrev_b32_e32 v15, 3, v15
	ds_write_b64 v15, v[3:4] offset:1024
	v_add_u32_e32 v15, s11, v18
	v_min_u32_e32 v15, 0x400, v15
	v_lshlrev_b32_e32 v15, 3, v15
	ds_write_b64 v15, v[5:6] offset:1024
	;; [unrolled: 4-line block ×5, first 2 shown]
	v_add_u32_e32 v15, s11, v27
	v_min_u32_e32 v15, 0x400, v15
	v_lshlrev_b32_e32 v15, 3, v15
	v_cmp_gt_u32_e32 vcc, s7, v19
	ds_write_b64 v15, v[13:14] offset:1024
	s_waitcnt lgkmcnt(0)
	s_barrier
	s_and_saveexec_b64 s[8:9], vcc
	s_cbranch_execz .LBB648_73
; %bb.72:                               ;   in Loop: Header=BB648_71 Depth=1
	v_mov_b32_e32 v15, s10
	buffer_load_dword v15, v15, s[0:3], 0 offen
	v_mov_b32_e32 v21, s31
	s_waitcnt vmcnt(0)
	v_lshlrev_b32_e32 v15, 2, v15
	ds_read_b32 v15, v15
	ds_read_b64 v[33:34], v31 offset:1024
	s_waitcnt lgkmcnt(1)
	v_add_u32_e32 v15, v19, v15
	v_lshlrev_b64 v[35:36], 3, v[15:16]
	v_add_co_u32_e32 v35, vcc, s30, v35
	v_addc_co_u32_e32 v36, vcc, v21, v36, vcc
	s_waitcnt lgkmcnt(0)
	global_store_dwordx2 v[35:36], v[33:34], off
.LBB648_73:                             ;   in Loop: Header=BB648_71 Depth=1
	s_or_b64 exec, exec, s[8:9]
	v_add_u32_e32 v15, 0x200, v19
	v_cmp_gt_u32_e32 vcc, s7, v15
	s_and_saveexec_b64 s[8:9], vcc
	s_cbranch_execz .LBB648_70
; %bb.74:                               ;   in Loop: Header=BB648_71 Depth=1
	v_mov_b32_e32 v15, s10
	buffer_load_dword v15, v15, s[0:3], 0 offen offset:4
	v_mov_b32_e32 v21, s31
	s_waitcnt vmcnt(0)
	v_lshlrev_b32_e32 v15, 2, v15
	ds_read_b32 v15, v15
	ds_read_b64 v[33:34], v31 offset:5120
	s_waitcnt lgkmcnt(1)
	v_add3_u32 v15, v19, v15, s12
	v_lshlrev_b64 v[35:36], 3, v[15:16]
	v_add_co_u32_e32 v35, vcc, s30, v35
	v_addc_co_u32_e32 v36, vcc, v21, v36, vcc
	s_waitcnt lgkmcnt(0)
	global_store_dwordx2 v[35:36], v[33:34], off
	s_branch .LBB648_70
.LBB648_75:
	s_add_i32 s33, s33, -1
	s_cmp_eq_u32 s6, s33
	s_cselect_b64 s[8:9], -1, 0
	s_xor_b64 s[10:11], s[16:17], -1
	s_and_b64 s[10:11], s[10:11], s[8:9]
	s_and_saveexec_b64 s[8:9], s[10:11]
	s_cbranch_execz .LBB648_77
; %bb.76:
	ds_read_b32 v3, v26
	s_waitcnt lgkmcnt(0)
	v_add3_u32 v3, v28, v29, v3
	global_store_dword v26, v3, s[38:39]
.LBB648_77:
	s_or_b64 exec, exec, s[8:9]
	s_mov_b64 s[8:9], 0
.LBB648_78:
	s_and_b64 vcc, exec, s[8:9]
	s_cbranch_vccz .LBB648_115
; %bb.79:
	s_add_u32 s7, s24, s34
	v_mbcnt_hi_u32_b32 v6, -1, v17
	s_addc_u32 s8, s25, 0
	v_and_b32_e32 v8, 63, v6
	v_and_b32_e32 v9, 0x1c0, v0
	v_mov_b32_e32 v3, s8
	v_add_co_u32_e32 v4, vcc, s7, v8
	v_mul_u32_u24_e32 v7, 6, v9
	v_addc_co_u32_e32 v3, vcc, 0, v3, vcc
	v_add_co_u32_e32 v4, vcc, v4, v7
	v_addc_co_u32_e32 v5, vcc, 0, v3, vcc
	global_load_ubyte v10, v[4:5], off
	s_load_dword s8, s[4:5], 0x64
	s_load_dword s7, s[4:5], 0x58
	s_add_u32 s4, s4, 0x58
	s_addc_u32 s5, s5, 0
	v_mov_b32_e32 v3, 0
	s_waitcnt lgkmcnt(0)
	s_lshr_b32 s8, s8, 16
	s_cmp_lt_u32 s6, s7
	s_cselect_b32 s9, 12, 18
	s_add_u32 s4, s4, s9
	s_addc_u32 s5, s5, 0
	global_load_ushort v11, v3, s[4:5]
	global_load_ubyte v13, v[4:5], off offset:64
	global_load_ubyte v16, v[4:5], off offset:128
	;; [unrolled: 1-line block ×5, first 2 shown]
	s_lshl_b32 s4, -1, s41
	s_not_b32 s16, s4
	v_mad_u32_u24 v1, v2, s8, v1
	s_mov_b32 s35, 0
	s_waitcnt vmcnt(6)
	v_xor_b32_e32 v10, 0x80, v10
	v_lshrrev_b32_e32 v4, s40, v10
	v_and_b32_e32 v14, s16, v4
	v_and_b32_e32 v5, 1, v14
	v_add_co_u32_e32 v12, vcc, -1, v5
	v_lshlrev_b32_e32 v4, 30, v14
	v_addc_co_u32_e64 v15, s[4:5], 0, -1, vcc
	v_cmp_ne_u32_e32 vcc, 0, v5
	v_cmp_gt_i64_e64 s[4:5], 0, v[3:4]
	v_not_b32_e32 v5, v4
	v_lshlrev_b32_e32 v4, 29, v14
	v_xor_b32_e32 v15, vcc_hi, v15
	v_ashrrev_i32_e32 v5, 31, v5
	v_xor_b32_e32 v12, vcc_lo, v12
	v_cmp_gt_i64_e32 vcc, 0, v[3:4]
	v_not_b32_e32 v17, v4
	v_lshlrev_b32_e32 v4, 28, v14
	v_and_b32_e32 v15, exec_hi, v15
	v_xor_b32_e32 v19, s5, v5
	v_and_b32_e32 v12, exec_lo, v12
	v_xor_b32_e32 v5, s4, v5
	v_ashrrev_i32_e32 v17, 31, v17
	v_cmp_gt_i64_e64 s[4:5], 0, v[3:4]
	v_not_b32_e32 v21, v4
	v_lshlrev_b32_e32 v4, 27, v14
	v_and_b32_e32 v15, v15, v19
	v_and_b32_e32 v5, v12, v5
	v_xor_b32_e32 v12, vcc_hi, v17
	v_xor_b32_e32 v17, vcc_lo, v17
	v_ashrrev_i32_e32 v19, 31, v21
	v_cmp_gt_i64_e32 vcc, 0, v[3:4]
	v_not_b32_e32 v21, v4
	v_lshlrev_b32_e32 v4, 26, v14
	v_and_b32_e32 v12, v15, v12
	v_and_b32_e32 v5, v5, v17
	v_xor_b32_e32 v15, s5, v19
	v_xor_b32_e32 v17, s4, v19
	v_ashrrev_i32_e32 v19, 31, v21
	v_cmp_gt_i64_e64 s[4:5], 0, v[3:4]
	v_not_b32_e32 v21, v4
	v_lshlrev_b32_e32 v4, 25, v14
	v_and_b32_e32 v12, v12, v15
	v_and_b32_e32 v5, v5, v17
	v_xor_b32_e32 v15, vcc_hi, v19
	v_xor_b32_e32 v17, vcc_lo, v19
	v_ashrrev_i32_e32 v19, 31, v21
	v_cmp_gt_i64_e32 vcc, 0, v[3:4]
	v_not_b32_e32 v21, v4
	v_lshlrev_b32_e32 v4, 24, v14
	v_and_b32_e32 v12, v12, v15
	v_and_b32_e32 v5, v5, v17
	v_xor_b32_e32 v15, s5, v19
	v_xor_b32_e32 v17, s4, v19
	v_ashrrev_i32_e32 v19, 31, v21
	v_cmp_gt_i64_e64 s[4:5], 0, v[3:4]
	v_not_b32_e32 v4, v4
	v_and_b32_e32 v12, v12, v15
	v_and_b32_e32 v5, v5, v17
	v_xor_b32_e32 v15, vcc_hi, v19
	v_xor_b32_e32 v17, vcc_lo, v19
	v_ashrrev_i32_e32 v4, 31, v4
	v_and_b32_e32 v12, v12, v15
	v_and_b32_e32 v15, v5, v17
	v_xor_b32_e32 v5, s5, v4
	v_xor_b32_e32 v4, s4, v4
	s_waitcnt vmcnt(5)
	v_mad_u64_u32 v[1:2], s[4:5], v1, v11, v[0:1]
	v_and_b32_e32 v4, v15, v4
	v_and_b32_e32 v5, v12, v5
	v_mbcnt_lo_u32_b32 v2, v4, 0
	v_lshrrev_b32_e32 v1, 4, v1
	v_mbcnt_hi_u32_b32 v11, v5, v2
	v_cmp_ne_u64_e32 vcc, 0, v[4:5]
	v_and_b32_e32 v25, 0xffffffc, v1
	v_mul_u32_u24_e32 v1, 36, v14
	v_cmp_eq_u32_e64 s[4:5], 0, v11
	v_mul_u32_u24_e32 v12, 20, v0
	s_and_b64 s[8:9], vcc, s[4:5]
	v_add_u32_e32 v14, v25, v1
	ds_write2_b32 v12, v3, v3 offset0:8 offset1:9
	ds_write2_b32 v12, v3, v3 offset0:10 offset1:11
	ds_write_b32 v12, v3 offset:48
	s_waitcnt vmcnt(0) lgkmcnt(0)
	s_barrier
	; wave barrier
	s_and_saveexec_b64 s[4:5], s[8:9]
; %bb.80:
	v_bcnt_u32_b32 v1, v4, 0
	v_bcnt_u32_b32 v1, v5, v1
	ds_write_b32 v14, v1 offset:32
; %bb.81:
	s_or_b64 exec, exec, s[4:5]
	v_xor_b32_e32 v5, 0xffffff80, v13
	v_lshrrev_b32_sdwa v1, s40, v5 dst_sel:DWORD dst_unused:UNUSED_PAD src0_sel:DWORD src1_sel:BYTE_0
	v_and_b32_e32 v1, s16, v1
	v_mad_u32_u24 v2, v1, 36, v25
	; wave barrier
	ds_read_b32 v13, v2 offset:32
	v_and_b32_e32 v2, 1, v1
	v_add_co_u32_e32 v4, vcc, -1, v2
	v_addc_co_u32_e64 v15, s[4:5], 0, -1, vcc
	v_cmp_ne_u32_e32 vcc, 0, v2
	v_xor_b32_e32 v4, vcc_lo, v4
	v_xor_b32_e32 v2, vcc_hi, v15
	v_and_b32_e32 v15, exec_lo, v4
	v_lshlrev_b32_e32 v4, 30, v1
	v_cmp_gt_i64_e32 vcc, 0, v[3:4]
	v_not_b32_e32 v4, v4
	v_ashrrev_i32_e32 v4, 31, v4
	v_xor_b32_e32 v19, vcc_hi, v4
	v_xor_b32_e32 v4, vcc_lo, v4
	v_and_b32_e32 v15, v15, v4
	v_lshlrev_b32_e32 v4, 29, v1
	v_cmp_gt_i64_e32 vcc, 0, v[3:4]
	v_not_b32_e32 v4, v4
	v_and_b32_e32 v2, exec_hi, v2
	v_ashrrev_i32_e32 v4, 31, v4
	v_and_b32_e32 v2, v2, v19
	v_xor_b32_e32 v19, vcc_hi, v4
	v_xor_b32_e32 v4, vcc_lo, v4
	v_and_b32_e32 v15, v15, v4
	v_lshlrev_b32_e32 v4, 28, v1
	v_cmp_gt_i64_e32 vcc, 0, v[3:4]
	v_not_b32_e32 v4, v4
	v_ashrrev_i32_e32 v4, 31, v4
	v_and_b32_e32 v2, v2, v19
	v_xor_b32_e32 v19, vcc_hi, v4
	v_xor_b32_e32 v4, vcc_lo, v4
	v_and_b32_e32 v15, v15, v4
	v_lshlrev_b32_e32 v4, 27, v1
	v_cmp_gt_i64_e32 vcc, 0, v[3:4]
	v_not_b32_e32 v4, v4
	;; [unrolled: 8-line block ×4, first 2 shown]
	v_ashrrev_i32_e32 v4, 31, v4
	v_and_b32_e32 v2, v2, v19
	v_xor_b32_e32 v19, vcc_hi, v4
	v_xor_b32_e32 v4, vcc_lo, v4
	v_and_b32_e32 v15, v15, v4
	v_lshlrev_b32_e32 v4, 24, v1
	v_mul_u32_u24_e32 v17, 36, v1
	v_cmp_gt_i64_e32 vcc, 0, v[3:4]
	v_not_b32_e32 v1, v4
	v_ashrrev_i32_e32 v1, 31, v1
	v_xor_b32_e32 v3, vcc_hi, v1
	v_xor_b32_e32 v1, vcc_lo, v1
	v_and_b32_e32 v2, v2, v19
	v_and_b32_e32 v1, v15, v1
	;; [unrolled: 1-line block ×3, first 2 shown]
	v_mbcnt_lo_u32_b32 v3, v1, 0
	v_mbcnt_hi_u32_b32 v15, v2, v3
	v_cmp_ne_u64_e32 vcc, 0, v[1:2]
	v_cmp_eq_u32_e64 s[4:5], 0, v15
	s_and_b64 s[8:9], vcc, s[4:5]
	v_add_u32_e32 v24, v25, v17
	; wave barrier
	s_and_saveexec_b64 s[4:5], s[8:9]
	s_cbranch_execz .LBB648_83
; %bb.82:
	v_bcnt_u32_b32 v1, v1, 0
	v_bcnt_u32_b32 v1, v2, v1
	s_waitcnt lgkmcnt(0)
	v_add_u32_e32 v1, v13, v1
	ds_write_b32 v24, v1 offset:32
.LBB648_83:
	s_or_b64 exec, exec, s[4:5]
	v_xor_b32_e32 v21, 0xffffff80, v16
	v_lshrrev_b32_sdwa v1, s40, v21 dst_sel:DWORD dst_unused:UNUSED_PAD src0_sel:DWORD src1_sel:BYTE_0
	v_and_b32_e32 v3, s16, v1
	v_and_b32_e32 v2, 1, v3
	v_add_co_u32_e32 v17, vcc, -1, v2
	v_addc_co_u32_e64 v19, s[4:5], 0, -1, vcc
	v_cmp_ne_u32_e32 vcc, 0, v2
	v_mad_u32_u24 v1, v3, 36, v25
	v_xor_b32_e32 v2, vcc_hi, v19
	; wave barrier
	ds_read_b32 v16, v1 offset:32
	v_mov_b32_e32 v1, 0
	v_and_b32_e32 v19, exec_hi, v2
	v_lshlrev_b32_e32 v2, 30, v3
	v_xor_b32_e32 v17, vcc_lo, v17
	v_cmp_gt_i64_e32 vcc, 0, v[1:2]
	v_not_b32_e32 v2, v2
	v_ashrrev_i32_e32 v2, 31, v2
	v_and_b32_e32 v17, exec_lo, v17
	v_xor_b32_e32 v22, vcc_hi, v2
	v_xor_b32_e32 v2, vcc_lo, v2
	v_and_b32_e32 v17, v17, v2
	v_lshlrev_b32_e32 v2, 29, v3
	v_cmp_gt_i64_e32 vcc, 0, v[1:2]
	v_not_b32_e32 v2, v2
	v_ashrrev_i32_e32 v2, 31, v2
	v_and_b32_e32 v19, v19, v22
	v_xor_b32_e32 v22, vcc_hi, v2
	v_xor_b32_e32 v2, vcc_lo, v2
	v_and_b32_e32 v17, v17, v2
	v_lshlrev_b32_e32 v2, 28, v3
	v_cmp_gt_i64_e32 vcc, 0, v[1:2]
	v_not_b32_e32 v2, v2
	v_ashrrev_i32_e32 v2, 31, v2
	v_and_b32_e32 v19, v19, v22
	;; [unrolled: 8-line block ×5, first 2 shown]
	v_xor_b32_e32 v22, vcc_hi, v2
	v_xor_b32_e32 v2, vcc_lo, v2
	v_and_b32_e32 v17, v17, v2
	v_lshlrev_b32_e32 v2, 24, v3
	v_cmp_gt_i64_e32 vcc, 0, v[1:2]
	v_not_b32_e32 v2, v2
	v_ashrrev_i32_e32 v2, 31, v2
	v_mul_u32_u24_e32 v4, 36, v3
	v_xor_b32_e32 v3, vcc_hi, v2
	v_xor_b32_e32 v2, vcc_lo, v2
	v_and_b32_e32 v19, v19, v22
	v_and_b32_e32 v2, v17, v2
	;; [unrolled: 1-line block ×3, first 2 shown]
	v_mbcnt_lo_u32_b32 v17, v2, 0
	v_mbcnt_hi_u32_b32 v17, v3, v17
	v_cmp_ne_u64_e32 vcc, 0, v[2:3]
	v_cmp_eq_u32_e64 s[4:5], 0, v17
	s_and_b64 s[8:9], vcc, s[4:5]
	v_add_u32_e32 v28, v25, v4
	; wave barrier
	s_and_saveexec_b64 s[4:5], s[8:9]
	s_cbranch_execz .LBB648_85
; %bb.84:
	v_bcnt_u32_b32 v2, v2, 0
	v_bcnt_u32_b32 v2, v3, v2
	s_waitcnt lgkmcnt(0)
	v_add_u32_e32 v2, v16, v2
	ds_write_b32 v28, v2 offset:32
.LBB648_85:
	s_or_b64 exec, exec, s[4:5]
	v_xor_b32_e32 v26, 0xffffff80, v18
	v_lshrrev_b32_sdwa v2, s40, v26 dst_sel:DWORD dst_unused:UNUSED_PAD src0_sel:DWORD src1_sel:BYTE_0
	v_and_b32_e32 v3, s16, v2
	v_mad_u32_u24 v2, v3, 36, v25
	; wave barrier
	ds_read_b32 v18, v2 offset:32
	v_and_b32_e32 v2, 1, v3
	v_add_co_u32_e32 v19, vcc, -1, v2
	v_addc_co_u32_e64 v22, s[4:5], 0, -1, vcc
	v_cmp_ne_u32_e32 vcc, 0, v2
	v_xor_b32_e32 v2, vcc_hi, v22
	v_and_b32_e32 v22, exec_hi, v2
	v_lshlrev_b32_e32 v2, 30, v3
	v_xor_b32_e32 v19, vcc_lo, v19
	v_cmp_gt_i64_e32 vcc, 0, v[1:2]
	v_not_b32_e32 v2, v2
	v_ashrrev_i32_e32 v2, 31, v2
	v_and_b32_e32 v19, exec_lo, v19
	v_xor_b32_e32 v27, vcc_hi, v2
	v_xor_b32_e32 v2, vcc_lo, v2
	v_and_b32_e32 v19, v19, v2
	v_lshlrev_b32_e32 v2, 29, v3
	v_cmp_gt_i64_e32 vcc, 0, v[1:2]
	v_not_b32_e32 v2, v2
	v_ashrrev_i32_e32 v2, 31, v2
	v_and_b32_e32 v22, v22, v27
	v_xor_b32_e32 v27, vcc_hi, v2
	v_xor_b32_e32 v2, vcc_lo, v2
	v_and_b32_e32 v19, v19, v2
	v_lshlrev_b32_e32 v2, 28, v3
	v_cmp_gt_i64_e32 vcc, 0, v[1:2]
	v_not_b32_e32 v2, v2
	v_ashrrev_i32_e32 v2, 31, v2
	v_and_b32_e32 v22, v22, v27
	;; [unrolled: 8-line block ×5, first 2 shown]
	v_xor_b32_e32 v27, vcc_hi, v2
	v_xor_b32_e32 v2, vcc_lo, v2
	v_and_b32_e32 v19, v19, v2
	v_lshlrev_b32_e32 v2, 24, v3
	v_cmp_gt_i64_e32 vcc, 0, v[1:2]
	v_not_b32_e32 v1, v2
	v_ashrrev_i32_e32 v1, 31, v1
	v_xor_b32_e32 v2, vcc_hi, v1
	v_xor_b32_e32 v1, vcc_lo, v1
	v_and_b32_e32 v22, v22, v27
	v_and_b32_e32 v1, v19, v1
	v_mul_u32_u24_e32 v4, 36, v3
	v_and_b32_e32 v2, v22, v2
	v_mbcnt_lo_u32_b32 v3, v1, 0
	v_mbcnt_hi_u32_b32 v19, v2, v3
	v_cmp_ne_u64_e32 vcc, 0, v[1:2]
	v_cmp_eq_u32_e64 s[4:5], 0, v19
	s_and_b64 s[8:9], vcc, s[4:5]
	v_add_u32_e32 v29, v25, v4
	; wave barrier
	s_and_saveexec_b64 s[4:5], s[8:9]
	s_cbranch_execz .LBB648_87
; %bb.86:
	v_bcnt_u32_b32 v1, v1, 0
	v_bcnt_u32_b32 v1, v2, v1
	s_waitcnt lgkmcnt(0)
	v_add_u32_e32 v1, v18, v1
	ds_write_b32 v29, v1 offset:32
.LBB648_87:
	s_or_b64 exec, exec, s[4:5]
	v_xor_b32_e32 v30, 0xffffff80, v20
	v_lshrrev_b32_sdwa v1, s40, v30 dst_sel:DWORD dst_unused:UNUSED_PAD src0_sel:DWORD src1_sel:BYTE_0
	v_and_b32_e32 v3, s16, v1
	v_and_b32_e32 v2, 1, v3
	v_add_co_u32_e32 v22, vcc, -1, v2
	v_addc_co_u32_e64 v27, s[4:5], 0, -1, vcc
	v_cmp_ne_u32_e32 vcc, 0, v2
	v_mad_u32_u24 v1, v3, 36, v25
	v_xor_b32_e32 v2, vcc_hi, v27
	; wave barrier
	ds_read_b32 v20, v1 offset:32
	v_mov_b32_e32 v1, 0
	v_and_b32_e32 v27, exec_hi, v2
	v_lshlrev_b32_e32 v2, 30, v3
	v_xor_b32_e32 v22, vcc_lo, v22
	v_cmp_gt_i64_e32 vcc, 0, v[1:2]
	v_not_b32_e32 v2, v2
	v_ashrrev_i32_e32 v2, 31, v2
	v_and_b32_e32 v22, exec_lo, v22
	v_xor_b32_e32 v31, vcc_hi, v2
	v_xor_b32_e32 v2, vcc_lo, v2
	v_and_b32_e32 v22, v22, v2
	v_lshlrev_b32_e32 v2, 29, v3
	v_cmp_gt_i64_e32 vcc, 0, v[1:2]
	v_not_b32_e32 v2, v2
	v_ashrrev_i32_e32 v2, 31, v2
	v_and_b32_e32 v27, v27, v31
	v_xor_b32_e32 v31, vcc_hi, v2
	v_xor_b32_e32 v2, vcc_lo, v2
	v_and_b32_e32 v22, v22, v2
	v_lshlrev_b32_e32 v2, 28, v3
	v_cmp_gt_i64_e32 vcc, 0, v[1:2]
	v_not_b32_e32 v2, v2
	v_ashrrev_i32_e32 v2, 31, v2
	v_and_b32_e32 v27, v27, v31
	;; [unrolled: 8-line block ×5, first 2 shown]
	v_xor_b32_e32 v31, vcc_hi, v2
	v_xor_b32_e32 v2, vcc_lo, v2
	v_and_b32_e32 v22, v22, v2
	v_lshlrev_b32_e32 v2, 24, v3
	v_cmp_gt_i64_e32 vcc, 0, v[1:2]
	v_not_b32_e32 v2, v2
	v_ashrrev_i32_e32 v2, 31, v2
	v_mul_u32_u24_e32 v4, 36, v3
	v_xor_b32_e32 v3, vcc_hi, v2
	v_xor_b32_e32 v2, vcc_lo, v2
	v_and_b32_e32 v27, v27, v31
	v_and_b32_e32 v2, v22, v2
	;; [unrolled: 1-line block ×3, first 2 shown]
	v_mbcnt_lo_u32_b32 v22, v2, 0
	v_mbcnt_hi_u32_b32 v22, v3, v22
	v_cmp_ne_u64_e32 vcc, 0, v[2:3]
	v_cmp_eq_u32_e64 s[4:5], 0, v22
	s_and_b64 s[8:9], vcc, s[4:5]
	v_add_u32_e32 v34, v25, v4
	; wave barrier
	s_and_saveexec_b64 s[4:5], s[8:9]
	s_cbranch_execz .LBB648_89
; %bb.88:
	v_bcnt_u32_b32 v2, v2, 0
	v_bcnt_u32_b32 v2, v3, v2
	s_waitcnt lgkmcnt(0)
	v_add_u32_e32 v2, v20, v2
	ds_write_b32 v34, v2 offset:32
.LBB648_89:
	s_or_b64 exec, exec, s[4:5]
	v_xor_b32_e32 v35, 0xffffff80, v23
	v_lshrrev_b32_sdwa v2, s40, v35 dst_sel:DWORD dst_unused:UNUSED_PAD src0_sel:DWORD src1_sel:BYTE_0
	v_and_b32_e32 v3, s16, v2
	v_mad_u32_u24 v2, v3, 36, v25
	; wave barrier
	ds_read_b32 v23, v2 offset:32
	v_and_b32_e32 v2, 1, v3
	v_add_co_u32_e32 v27, vcc, -1, v2
	v_addc_co_u32_e64 v31, s[4:5], 0, -1, vcc
	v_cmp_ne_u32_e32 vcc, 0, v2
	v_xor_b32_e32 v2, vcc_hi, v31
	v_and_b32_e32 v31, exec_hi, v2
	v_lshlrev_b32_e32 v2, 30, v3
	v_xor_b32_e32 v27, vcc_lo, v27
	v_cmp_gt_i64_e32 vcc, 0, v[1:2]
	v_not_b32_e32 v2, v2
	v_ashrrev_i32_e32 v2, 31, v2
	v_and_b32_e32 v27, exec_lo, v27
	v_xor_b32_e32 v32, vcc_hi, v2
	v_xor_b32_e32 v2, vcc_lo, v2
	v_and_b32_e32 v27, v27, v2
	v_lshlrev_b32_e32 v2, 29, v3
	v_cmp_gt_i64_e32 vcc, 0, v[1:2]
	v_not_b32_e32 v2, v2
	v_ashrrev_i32_e32 v2, 31, v2
	v_and_b32_e32 v31, v31, v32
	v_xor_b32_e32 v32, vcc_hi, v2
	v_xor_b32_e32 v2, vcc_lo, v2
	v_and_b32_e32 v27, v27, v2
	v_lshlrev_b32_e32 v2, 28, v3
	v_cmp_gt_i64_e32 vcc, 0, v[1:2]
	v_not_b32_e32 v2, v2
	v_ashrrev_i32_e32 v2, 31, v2
	v_and_b32_e32 v31, v31, v32
	;; [unrolled: 8-line block ×5, first 2 shown]
	v_xor_b32_e32 v32, vcc_hi, v2
	v_xor_b32_e32 v2, vcc_lo, v2
	v_and_b32_e32 v27, v27, v2
	v_lshlrev_b32_e32 v2, 24, v3
	v_cmp_gt_i64_e32 vcc, 0, v[1:2]
	v_not_b32_e32 v1, v2
	v_ashrrev_i32_e32 v1, 31, v1
	v_xor_b32_e32 v2, vcc_hi, v1
	v_xor_b32_e32 v1, vcc_lo, v1
	v_and_b32_e32 v31, v31, v32
	v_and_b32_e32 v1, v27, v1
	v_mul_u32_u24_e32 v4, 36, v3
	v_and_b32_e32 v2, v31, v2
	v_mbcnt_lo_u32_b32 v3, v1, 0
	v_mbcnt_hi_u32_b32 v27, v2, v3
	v_cmp_ne_u64_e32 vcc, 0, v[1:2]
	v_cmp_eq_u32_e64 s[4:5], 0, v27
	s_and_b64 s[8:9], vcc, s[4:5]
	v_add_u32_e32 v36, v25, v4
	; wave barrier
	s_and_saveexec_b64 s[4:5], s[8:9]
	s_cbranch_execz .LBB648_91
; %bb.90:
	v_bcnt_u32_b32 v1, v1, 0
	v_bcnt_u32_b32 v1, v2, v1
	s_waitcnt lgkmcnt(0)
	v_add_u32_e32 v1, v23, v1
	ds_write_b32 v36, v1 offset:32
.LBB648_91:
	s_or_b64 exec, exec, s[4:5]
	; wave barrier
	s_waitcnt lgkmcnt(0)
	s_barrier
	ds_read2_b32 v[3:4], v12 offset0:8 offset1:9
	ds_read2_b32 v[1:2], v12 offset0:10 offset1:11
	ds_read_b32 v25, v12 offset:48
	v_min_u32_e32 v9, 0x1c0, v9
	v_or_b32_e32 v9, 63, v9
	s_waitcnt lgkmcnt(1)
	v_add3_u32 v31, v4, v3, v1
	s_waitcnt lgkmcnt(0)
	v_add3_u32 v25, v31, v2, v25
	v_and_b32_e32 v31, 15, v6
	v_cmp_ne_u32_e32 vcc, 0, v31
	v_mov_b32_dpp v32, v25 row_shr:1 row_mask:0xf bank_mask:0xf
	v_cndmask_b32_e32 v32, 0, v32, vcc
	v_add_u32_e32 v25, v32, v25
	v_cmp_lt_u32_e32 vcc, 1, v31
	s_nop 0
	v_mov_b32_dpp v32, v25 row_shr:2 row_mask:0xf bank_mask:0xf
	v_cndmask_b32_e32 v32, 0, v32, vcc
	v_add_u32_e32 v25, v25, v32
	v_cmp_lt_u32_e32 vcc, 3, v31
	s_nop 0
	;; [unrolled: 5-line block ×3, first 2 shown]
	v_mov_b32_dpp v32, v25 row_shr:8 row_mask:0xf bank_mask:0xf
	v_cndmask_b32_e32 v31, 0, v32, vcc
	v_add_u32_e32 v25, v25, v31
	v_bfe_i32 v32, v6, 4, 1
	v_cmp_lt_u32_e32 vcc, 31, v6
	v_mov_b32_dpp v31, v25 row_bcast:15 row_mask:0xf bank_mask:0xf
	v_and_b32_e32 v31, v32, v31
	v_add_u32_e32 v25, v25, v31
	v_lshrrev_b32_e32 v32, 6, v0
	s_nop 0
	v_mov_b32_dpp v31, v25 row_bcast:31 row_mask:0xf bank_mask:0xf
	v_cndmask_b32_e32 v31, 0, v31, vcc
	v_add_u32_e32 v31, v25, v31
	v_cmp_eq_u32_e32 vcc, v0, v9
	s_and_saveexec_b64 s[4:5], vcc
; %bb.92:
	v_lshlrev_b32_e32 v9, 2, v32
	ds_write_b32 v9, v31
; %bb.93:
	s_or_b64 exec, exec, s[4:5]
	v_cmp_gt_u32_e32 vcc, 8, v0
	v_lshlrev_b32_e32 v25, 2, v0
	s_waitcnt lgkmcnt(0)
	s_barrier
	s_and_saveexec_b64 s[4:5], vcc
	s_cbranch_execz .LBB648_95
; %bb.94:
	ds_read_b32 v9, v25
	v_and_b32_e32 v33, 7, v6
	v_cmp_ne_u32_e32 vcc, 0, v33
	s_waitcnt lgkmcnt(0)
	v_mov_b32_dpp v37, v9 row_shr:1 row_mask:0xf bank_mask:0xf
	v_cndmask_b32_e32 v37, 0, v37, vcc
	v_add_u32_e32 v9, v37, v9
	v_cmp_lt_u32_e32 vcc, 1, v33
	s_nop 0
	v_mov_b32_dpp v37, v9 row_shr:2 row_mask:0xf bank_mask:0xf
	v_cndmask_b32_e32 v37, 0, v37, vcc
	v_add_u32_e32 v9, v9, v37
	v_cmp_lt_u32_e32 vcc, 3, v33
	s_nop 0
	v_mov_b32_dpp v37, v9 row_shr:4 row_mask:0xf bank_mask:0xf
	v_cndmask_b32_e32 v33, 0, v37, vcc
	v_add_u32_e32 v9, v9, v33
	ds_write_b32 v25, v9
.LBB648_95:
	s_or_b64 exec, exec, s[4:5]
	v_cmp_lt_u32_e32 vcc, 63, v0
	v_mov_b32_e32 v9, 0
	s_waitcnt lgkmcnt(0)
	s_barrier
	s_and_saveexec_b64 s[4:5], vcc
; %bb.96:
	v_lshl_add_u32 v9, v32, 2, -4
	ds_read_b32 v9, v9
; %bb.97:
	s_or_b64 exec, exec, s[4:5]
	v_subrev_co_u32_e32 v32, vcc, 1, v6
	v_and_b32_e32 v33, 64, v6
	v_cmp_lt_i32_e64 s[4:5], v32, v33
	v_cndmask_b32_e64 v6, v32, v6, s[4:5]
	s_waitcnt lgkmcnt(0)
	v_add_u32_e32 v31, v9, v31
	v_lshlrev_b32_e32 v6, 2, v6
	ds_bpermute_b32 v6, v6, v31
	s_movk_i32 s4, 0xff
	s_movk_i32 s8, 0x100
	s_waitcnt lgkmcnt(0)
	v_cndmask_b32_e32 v6, v6, v9, vcc
	v_cmp_ne_u32_e32 vcc, 0, v0
	v_cndmask_b32_e32 v6, 0, v6, vcc
	v_add_u32_e32 v3, v6, v3
	v_add_u32_e32 v4, v3, v4
	;; [unrolled: 1-line block ×4, first 2 shown]
	ds_write2_b32 v12, v6, v3 offset0:8 offset1:9
	ds_write2_b32 v12, v4, v1 offset0:10 offset1:11
	ds_write_b32 v12, v2 offset:48
	s_waitcnt lgkmcnt(0)
	s_barrier
	ds_read_b32 v1, v14 offset:32
	ds_read_b32 v31, v24 offset:32
	;; [unrolled: 1-line block ×6, first 2 shown]
	v_cmp_lt_u32_e32 vcc, s4, v0
	v_cmp_gt_u32_e64 s[4:5], s8, v0
                                        ; implicit-def: $vgpr24
                                        ; implicit-def: $vgpr28
	s_and_saveexec_b64 s[10:11], s[4:5]
	s_cbranch_execz .LBB648_101
; %bb.98:
	v_mul_u32_u24_e32 v2, 36, v0
	ds_read_b32 v24, v2 offset:32
	v_add_u32_e32 v3, 1, v0
	v_cmp_ne_u32_e64 s[8:9], s8, v3
	v_mov_b32_e32 v2, 0xc00
	s_and_saveexec_b64 s[12:13], s[8:9]
; %bb.99:
	v_mul_u32_u24_e32 v2, 36, v3
	ds_read_b32 v2, v2 offset:32
; %bb.100:
	s_or_b64 exec, exec, s[12:13]
	s_waitcnt lgkmcnt(0)
	v_sub_u32_e32 v28, v2, v24
.LBB648_101:
	s_or_b64 exec, exec, s[10:11]
	s_waitcnt lgkmcnt(5)
	v_add_u32_e32 v29, v1, v11
	s_waitcnt lgkmcnt(3)
	v_add3_u32 v2, v17, v16, v32
	v_add3_u32 v1, v15, v13, v31
	s_waitcnt lgkmcnt(2)
	v_add3_u32 v3, v19, v18, v33
	s_waitcnt lgkmcnt(1)
	;; [unrolled: 2-line block ×3, first 2 shown]
	v_add3_u32 v6, v27, v23, v14
	s_barrier
	ds_write_b8 v29, v10 offset:1024
	ds_write_b8 v1, v5 offset:1024
	;; [unrolled: 1-line block ×6, first 2 shown]
	v_mov_b32_e32 v2, 0
	s_and_saveexec_b64 s[8:9], s[4:5]
	s_cbranch_execz .LBB648_111
; %bb.102:
	v_lshl_add_u32 v1, s6, 8, v0
	v_lshlrev_b64 v[3:4], 2, v[1:2]
	v_mov_b32_e32 v9, s45
	v_add_co_u32_e64 v3, s[4:5], s44, v3
	v_addc_co_u32_e64 v4, s[4:5], v9, v4, s[4:5]
	v_or_b32_e32 v1, 2.0, v28
	s_mov_b64 s[10:11], 0
	s_brev_b32 s17, -4
	s_mov_b32 s18, s6
	v_mov_b32_e32 v10, 0
	global_store_dword v[3:4], v1, off
                                        ; implicit-def: $sgpr4_sgpr5
	s_branch .LBB648_105
.LBB648_103:                            ;   in Loop: Header=BB648_105 Depth=1
	s_or_b64 exec, exec, s[14:15]
.LBB648_104:                            ;   in Loop: Header=BB648_105 Depth=1
	s_or_b64 exec, exec, s[12:13]
	v_and_b32_e32 v5, 0x3fffffff, v1
	v_add_u32_e32 v10, v5, v10
	v_cmp_gt_i32_e64 s[4:5], -2.0, v1
	s_and_b64 s[12:13], exec, s[4:5]
	s_or_b64 s[10:11], s[12:13], s[10:11]
	s_andn2_b64 exec, exec, s[10:11]
	s_cbranch_execz .LBB648_110
.LBB648_105:                            ; =>This Loop Header: Depth=1
                                        ;     Child Loop BB648_108 Depth 2
	s_or_b64 s[4:5], s[4:5], exec
	s_cmp_eq_u32 s18, 0
	s_cbranch_scc1 .LBB648_109
; %bb.106:                              ;   in Loop: Header=BB648_105 Depth=1
	s_add_i32 s18, s18, -1
	v_lshl_or_b32 v1, s18, 8, v0
	v_lshlrev_b64 v[5:6], 2, v[1:2]
	v_add_co_u32_e64 v5, s[4:5], s44, v5
	v_addc_co_u32_e64 v6, s[4:5], v9, v6, s[4:5]
	global_load_dword v1, v[5:6], off glc
	s_waitcnt vmcnt(0)
	v_cmp_gt_u32_e64 s[4:5], 2.0, v1
	s_and_saveexec_b64 s[12:13], s[4:5]
	s_cbranch_execz .LBB648_104
; %bb.107:                              ;   in Loop: Header=BB648_105 Depth=1
	s_mov_b64 s[14:15], 0
.LBB648_108:                            ;   Parent Loop BB648_105 Depth=1
                                        ; =>  This Inner Loop Header: Depth=2
	global_load_dword v1, v[5:6], off glc
	s_waitcnt vmcnt(0)
	v_cmp_lt_u32_e64 s[4:5], s17, v1
	s_or_b64 s[14:15], s[4:5], s[14:15]
	s_andn2_b64 exec, exec, s[14:15]
	s_cbranch_execnz .LBB648_108
	s_branch .LBB648_103
.LBB648_109:                            ;   in Loop: Header=BB648_105 Depth=1
                                        ; implicit-def: $sgpr18
	s_and_b64 s[12:13], exec, s[4:5]
	s_or_b64 s[10:11], s[12:13], s[10:11]
	s_andn2_b64 exec, exec, s[10:11]
	s_cbranch_execnz .LBB648_105
.LBB648_110:
	s_or_b64 exec, exec, s[10:11]
	v_add_u32_e32 v1, v10, v28
	v_or_b32_e32 v1, 0x80000000, v1
	global_store_dword v[3:4], v1, off
	global_load_dword v1, v25, s[36:37]
	v_sub_u32_e32 v2, v10, v24
	s_waitcnt vmcnt(0)
	v_add_u32_e32 v1, v2, v1
	ds_write_b32 v25, v1
.LBB648_111:
	s_or_b64 exec, exec, s[8:9]
	s_waitcnt lgkmcnt(0)
	s_barrier
	ds_read_u8 v1, v0 offset:1024
	ds_read_u8 v2, v0 offset:1536
	;; [unrolled: 1-line block ×6, first 2 shown]
	s_waitcnt lgkmcnt(5)
	v_lshrrev_b32_sdwa v9, s40, v1 dst_sel:DWORD dst_unused:UNUSED_PAD src0_sel:DWORD src1_sel:BYTE_0
	s_waitcnt lgkmcnt(4)
	v_lshrrev_b32_sdwa v10, s40, v2 dst_sel:DWORD dst_unused:UNUSED_PAD src0_sel:DWORD src1_sel:BYTE_0
	;; [unrolled: 2-line block ×6, first 2 shown]
	v_and_b32_e32 v21, s16, v9
	v_and_b32_e32 v26, s16, v10
	;; [unrolled: 1-line block ×6, first 2 shown]
	v_lshlrev_b32_e32 v9, 2, v21
	v_lshlrev_b32_e32 v10, 2, v26
	;; [unrolled: 1-line block ×6, first 2 shown]
	ds_read_b32 v9, v9
	ds_read_b32 v10, v10
	;; [unrolled: 1-line block ×6, first 2 shown]
	v_xor_b32_e32 v1, 0x80, v1
	s_waitcnt lgkmcnt(5)
	v_add_u32_e32 v9, v9, v0
	s_movk_i32 s8, 0x200
	global_store_byte v9, v1, s[26:27]
	v_xor_b32_e32 v1, 0x80, v2
	s_waitcnt lgkmcnt(4)
	v_add3_u32 v2, v0, v10, s8
	s_movk_i32 s4, 0x400
	global_store_byte v2, v1, s[26:27]
	v_xor_b32_e32 v1, 0x80, v3
	s_waitcnt lgkmcnt(3)
	v_add3_u32 v2, v11, v0, s4
	;; [unrolled: 5-line block ×4, first 2 shown]
	s_movk_i32 s4, 0xa00
	global_store_byte v2, v1, s[26:27]
	s_waitcnt lgkmcnt(0)
	v_add3_u32 v2, v0, v36, s4
	s_lshl_b64 s[4:5], s[34:35], 3
	v_xor_b32_e32 v1, 0x80, v6
	s_add_u32 s4, s28, s4
	global_store_byte v2, v1, s[26:27]
	s_addc_u32 s5, s29, s5
	v_lshlrev_b32_e32 v1, 3, v8
	v_mov_b32_e32 v2, s5
	v_add_co_u32_e64 v1, s[4:5], s4, v1
	v_addc_co_u32_e64 v2, s[4:5], 0, v2, s[4:5]
	v_lshlrev_b32_e32 v3, 3, v7
	v_add_co_u32_e64 v35, s[4:5], v1, v3
	v_addc_co_u32_e64 v36, s[4:5], 0, v2, s[4:5]
	global_load_dwordx2 v[1:2], v[35:36], off
	global_load_dwordx2 v[3:4], v[35:36], off offset:512
	global_load_dwordx2 v[5:6], v[35:36], off offset:1024
	;; [unrolled: 1-line block ×5, first 2 shown]
	v_add3_u32 v20, v22, v34, v20
	v_mul_u32_u24_e32 v22, 7, v0
	buffer_store_dword v21, off, s[0:3], 0
	buffer_store_dword v26, off, s[0:3], 0 offset:4
	buffer_store_dword v30, off, s[0:3], 0 offset:8
	;; [unrolled: 1-line block ×5, first 2 shown]
	v_add3_u32 v21, v27, v14, v23
	v_mov_b32_e32 v14, 0
	v_add3_u32 v18, v19, v33, v18
	v_add3_u32 v16, v17, v32, v16
	v_add3_u32 v15, v15, v31, v13
	s_mov_b32 s9, 0
	s_mov_b32 s10, 0
	v_add_u32_e32 v17, v0, v22
	v_mov_b32_e32 v19, s31
	s_waitcnt vmcnt(0)
	s_barrier
.LBB648_112:                            ; =>This Inner Loop Header: Depth=1
	v_add_u32_e32 v13, s10, v29
	v_add_u32_e32 v22, s10, v15
	v_add_u32_e32 v23, s10, v16
	v_add_u32_e32 v26, s10, v18
	v_add_u32_e32 v27, s10, v20
	v_add_u32_e32 v30, s10, v21
	v_min_u32_e32 v13, 0x400, v13
	v_min_u32_e32 v22, 0x400, v22
	v_mov_b32_e32 v31, s9
	v_min_u32_e32 v23, 0x400, v23
	v_min_u32_e32 v26, 0x400, v26
	;; [unrolled: 1-line block ×4, first 2 shown]
	v_lshlrev_b32_e32 v13, 3, v13
	v_lshlrev_b32_e32 v22, 3, v22
	;; [unrolled: 1-line block ×6, first 2 shown]
	ds_write_b64 v13, v[1:2] offset:1024
	ds_write_b64 v22, v[3:4] offset:1024
	;; [unrolled: 1-line block ×6, first 2 shown]
	s_waitcnt lgkmcnt(0)
	s_barrier
	buffer_load_dword v13, v31, s[0:3], 0 offen
	buffer_load_dword v22, v31, s[0:3], 0 offen offset:4
	ds_read2st64_b64 v[30:33], v17 offset0:2 offset1:10
	s_addk_i32 s10, 0xfc00
	s_add_i32 s9, s9, 8
	s_cmpk_lg_i32 s10, 0xf400
	s_waitcnt vmcnt(1)
	v_lshlrev_b32_e32 v13, 2, v13
	s_waitcnt vmcnt(0)
	v_lshlrev_b32_e32 v22, 2, v22
	ds_read_b32 v13, v13
	ds_read_b32 v26, v22
	s_waitcnt lgkmcnt(1)
	v_add_u32_e32 v13, v0, v13
	v_lshlrev_b64 v[22:23], 3, v[13:14]
	s_waitcnt lgkmcnt(0)
	v_add3_u32 v13, v0, v26, s8
	v_lshlrev_b64 v[26:27], 3, v[13:14]
	v_add_co_u32_e64 v22, s[4:5], s30, v22
	v_addc_co_u32_e64 v23, s[4:5], v19, v23, s[4:5]
	global_store_dwordx2 v[22:23], v[30:31], off
	v_add_co_u32_e64 v22, s[4:5], s30, v26
	v_add_u32_e32 v0, 0x400, v0
	v_addc_co_u32_e64 v23, s[4:5], v19, v27, s[4:5]
	global_store_dwordx2 v[22:23], v[32:33], off
	s_waitcnt vmcnt(0)
	s_barrier
	s_cbranch_scc1 .LBB648_112
; %bb.113:
	s_add_i32 s7, s7, -1
	s_cmp_eq_u32 s6, s7
	s_cselect_b64 s[4:5], -1, 0
	s_xor_b64 s[6:7], vcc, -1
	s_and_b64 s[4:5], s[6:7], s[4:5]
	s_and_saveexec_b64 s[6:7], s[4:5]
	s_cbranch_execz .LBB648_115
; %bb.114:
	ds_read_b32 v0, v25
	s_waitcnt lgkmcnt(0)
	v_add3_u32 v0, v24, v28, v0
	global_store_dword v25, v0, s[38:39]
.LBB648_115:
	s_endpgm
	.section	.rodata,"a",@progbits
	.p2align	6, 0x0
	.amdhsa_kernel _ZN7rocprim17ROCPRIM_400000_NS6detail17trampoline_kernelINS0_14default_configENS1_35radix_sort_onesweep_config_selectorIalEEZZNS1_29radix_sort_onesweep_iterationIS3_Lb0EPaS7_N6thrust23THRUST_200600_302600_NS10device_ptrIlEESB_jNS0_19identity_decomposerENS1_16block_id_wrapperIjLb0EEEEE10hipError_tT1_PNSt15iterator_traitsISG_E10value_typeET2_T3_PNSH_ISM_E10value_typeET4_T5_PSR_SS_PNS1_23onesweep_lookback_stateEbbT6_jjT7_P12ihipStream_tbENKUlT_T0_SG_SL_E_clIS7_S7_PlSB_EEDaSZ_S10_SG_SL_EUlSZ_E_NS1_11comp_targetILNS1_3genE2ELNS1_11target_archE906ELNS1_3gpuE6ELNS1_3repE0EEENS1_47radix_sort_onesweep_sort_config_static_selectorELNS0_4arch9wavefront6targetE1EEEvSG_
		.amdhsa_group_segment_fixed_size 10280
		.amdhsa_private_segment_fixed_size 32
		.amdhsa_kernarg_size 344
		.amdhsa_user_sgpr_count 6
		.amdhsa_user_sgpr_private_segment_buffer 1
		.amdhsa_user_sgpr_dispatch_ptr 0
		.amdhsa_user_sgpr_queue_ptr 0
		.amdhsa_user_sgpr_kernarg_segment_ptr 1
		.amdhsa_user_sgpr_dispatch_id 0
		.amdhsa_user_sgpr_flat_scratch_init 0
		.amdhsa_user_sgpr_private_segment_size 0
		.amdhsa_uses_dynamic_stack 0
		.amdhsa_system_sgpr_private_segment_wavefront_offset 1
		.amdhsa_system_sgpr_workgroup_id_x 1
		.amdhsa_system_sgpr_workgroup_id_y 0
		.amdhsa_system_sgpr_workgroup_id_z 0
		.amdhsa_system_sgpr_workgroup_info 0
		.amdhsa_system_vgpr_workitem_id 2
		.amdhsa_next_free_vgpr 41
		.amdhsa_next_free_sgpr 53
		.amdhsa_reserve_vcc 1
		.amdhsa_reserve_flat_scratch 0
		.amdhsa_float_round_mode_32 0
		.amdhsa_float_round_mode_16_64 0
		.amdhsa_float_denorm_mode_32 3
		.amdhsa_float_denorm_mode_16_64 3
		.amdhsa_dx10_clamp 1
		.amdhsa_ieee_mode 1
		.amdhsa_fp16_overflow 0
		.amdhsa_exception_fp_ieee_invalid_op 0
		.amdhsa_exception_fp_denorm_src 0
		.amdhsa_exception_fp_ieee_div_zero 0
		.amdhsa_exception_fp_ieee_overflow 0
		.amdhsa_exception_fp_ieee_underflow 0
		.amdhsa_exception_fp_ieee_inexact 0
		.amdhsa_exception_int_div_zero 0
	.end_amdhsa_kernel
	.section	.text._ZN7rocprim17ROCPRIM_400000_NS6detail17trampoline_kernelINS0_14default_configENS1_35radix_sort_onesweep_config_selectorIalEEZZNS1_29radix_sort_onesweep_iterationIS3_Lb0EPaS7_N6thrust23THRUST_200600_302600_NS10device_ptrIlEESB_jNS0_19identity_decomposerENS1_16block_id_wrapperIjLb0EEEEE10hipError_tT1_PNSt15iterator_traitsISG_E10value_typeET2_T3_PNSH_ISM_E10value_typeET4_T5_PSR_SS_PNS1_23onesweep_lookback_stateEbbT6_jjT7_P12ihipStream_tbENKUlT_T0_SG_SL_E_clIS7_S7_PlSB_EEDaSZ_S10_SG_SL_EUlSZ_E_NS1_11comp_targetILNS1_3genE2ELNS1_11target_archE906ELNS1_3gpuE6ELNS1_3repE0EEENS1_47radix_sort_onesweep_sort_config_static_selectorELNS0_4arch9wavefront6targetE1EEEvSG_,"axG",@progbits,_ZN7rocprim17ROCPRIM_400000_NS6detail17trampoline_kernelINS0_14default_configENS1_35radix_sort_onesweep_config_selectorIalEEZZNS1_29radix_sort_onesweep_iterationIS3_Lb0EPaS7_N6thrust23THRUST_200600_302600_NS10device_ptrIlEESB_jNS0_19identity_decomposerENS1_16block_id_wrapperIjLb0EEEEE10hipError_tT1_PNSt15iterator_traitsISG_E10value_typeET2_T3_PNSH_ISM_E10value_typeET4_T5_PSR_SS_PNS1_23onesweep_lookback_stateEbbT6_jjT7_P12ihipStream_tbENKUlT_T0_SG_SL_E_clIS7_S7_PlSB_EEDaSZ_S10_SG_SL_EUlSZ_E_NS1_11comp_targetILNS1_3genE2ELNS1_11target_archE906ELNS1_3gpuE6ELNS1_3repE0EEENS1_47radix_sort_onesweep_sort_config_static_selectorELNS0_4arch9wavefront6targetE1EEEvSG_,comdat
.Lfunc_end648:
	.size	_ZN7rocprim17ROCPRIM_400000_NS6detail17trampoline_kernelINS0_14default_configENS1_35radix_sort_onesweep_config_selectorIalEEZZNS1_29radix_sort_onesweep_iterationIS3_Lb0EPaS7_N6thrust23THRUST_200600_302600_NS10device_ptrIlEESB_jNS0_19identity_decomposerENS1_16block_id_wrapperIjLb0EEEEE10hipError_tT1_PNSt15iterator_traitsISG_E10value_typeET2_T3_PNSH_ISM_E10value_typeET4_T5_PSR_SS_PNS1_23onesweep_lookback_stateEbbT6_jjT7_P12ihipStream_tbENKUlT_T0_SG_SL_E_clIS7_S7_PlSB_EEDaSZ_S10_SG_SL_EUlSZ_E_NS1_11comp_targetILNS1_3genE2ELNS1_11target_archE906ELNS1_3gpuE6ELNS1_3repE0EEENS1_47radix_sort_onesweep_sort_config_static_selectorELNS0_4arch9wavefront6targetE1EEEvSG_, .Lfunc_end648-_ZN7rocprim17ROCPRIM_400000_NS6detail17trampoline_kernelINS0_14default_configENS1_35radix_sort_onesweep_config_selectorIalEEZZNS1_29radix_sort_onesweep_iterationIS3_Lb0EPaS7_N6thrust23THRUST_200600_302600_NS10device_ptrIlEESB_jNS0_19identity_decomposerENS1_16block_id_wrapperIjLb0EEEEE10hipError_tT1_PNSt15iterator_traitsISG_E10value_typeET2_T3_PNSH_ISM_E10value_typeET4_T5_PSR_SS_PNS1_23onesweep_lookback_stateEbbT6_jjT7_P12ihipStream_tbENKUlT_T0_SG_SL_E_clIS7_S7_PlSB_EEDaSZ_S10_SG_SL_EUlSZ_E_NS1_11comp_targetILNS1_3genE2ELNS1_11target_archE906ELNS1_3gpuE6ELNS1_3repE0EEENS1_47radix_sort_onesweep_sort_config_static_selectorELNS0_4arch9wavefront6targetE1EEEvSG_
                                        ; -- End function
	.set _ZN7rocprim17ROCPRIM_400000_NS6detail17trampoline_kernelINS0_14default_configENS1_35radix_sort_onesweep_config_selectorIalEEZZNS1_29radix_sort_onesweep_iterationIS3_Lb0EPaS7_N6thrust23THRUST_200600_302600_NS10device_ptrIlEESB_jNS0_19identity_decomposerENS1_16block_id_wrapperIjLb0EEEEE10hipError_tT1_PNSt15iterator_traitsISG_E10value_typeET2_T3_PNSH_ISM_E10value_typeET4_T5_PSR_SS_PNS1_23onesweep_lookback_stateEbbT6_jjT7_P12ihipStream_tbENKUlT_T0_SG_SL_E_clIS7_S7_PlSB_EEDaSZ_S10_SG_SL_EUlSZ_E_NS1_11comp_targetILNS1_3genE2ELNS1_11target_archE906ELNS1_3gpuE6ELNS1_3repE0EEENS1_47radix_sort_onesweep_sort_config_static_selectorELNS0_4arch9wavefront6targetE1EEEvSG_.num_vgpr, 41
	.set _ZN7rocprim17ROCPRIM_400000_NS6detail17trampoline_kernelINS0_14default_configENS1_35radix_sort_onesweep_config_selectorIalEEZZNS1_29radix_sort_onesweep_iterationIS3_Lb0EPaS7_N6thrust23THRUST_200600_302600_NS10device_ptrIlEESB_jNS0_19identity_decomposerENS1_16block_id_wrapperIjLb0EEEEE10hipError_tT1_PNSt15iterator_traitsISG_E10value_typeET2_T3_PNSH_ISM_E10value_typeET4_T5_PSR_SS_PNS1_23onesweep_lookback_stateEbbT6_jjT7_P12ihipStream_tbENKUlT_T0_SG_SL_E_clIS7_S7_PlSB_EEDaSZ_S10_SG_SL_EUlSZ_E_NS1_11comp_targetILNS1_3genE2ELNS1_11target_archE906ELNS1_3gpuE6ELNS1_3repE0EEENS1_47radix_sort_onesweep_sort_config_static_selectorELNS0_4arch9wavefront6targetE1EEEvSG_.num_agpr, 0
	.set _ZN7rocprim17ROCPRIM_400000_NS6detail17trampoline_kernelINS0_14default_configENS1_35radix_sort_onesweep_config_selectorIalEEZZNS1_29radix_sort_onesweep_iterationIS3_Lb0EPaS7_N6thrust23THRUST_200600_302600_NS10device_ptrIlEESB_jNS0_19identity_decomposerENS1_16block_id_wrapperIjLb0EEEEE10hipError_tT1_PNSt15iterator_traitsISG_E10value_typeET2_T3_PNSH_ISM_E10value_typeET4_T5_PSR_SS_PNS1_23onesweep_lookback_stateEbbT6_jjT7_P12ihipStream_tbENKUlT_T0_SG_SL_E_clIS7_S7_PlSB_EEDaSZ_S10_SG_SL_EUlSZ_E_NS1_11comp_targetILNS1_3genE2ELNS1_11target_archE906ELNS1_3gpuE6ELNS1_3repE0EEENS1_47radix_sort_onesweep_sort_config_static_selectorELNS0_4arch9wavefront6targetE1EEEvSG_.numbered_sgpr, 53
	.set _ZN7rocprim17ROCPRIM_400000_NS6detail17trampoline_kernelINS0_14default_configENS1_35radix_sort_onesweep_config_selectorIalEEZZNS1_29radix_sort_onesweep_iterationIS3_Lb0EPaS7_N6thrust23THRUST_200600_302600_NS10device_ptrIlEESB_jNS0_19identity_decomposerENS1_16block_id_wrapperIjLb0EEEEE10hipError_tT1_PNSt15iterator_traitsISG_E10value_typeET2_T3_PNSH_ISM_E10value_typeET4_T5_PSR_SS_PNS1_23onesweep_lookback_stateEbbT6_jjT7_P12ihipStream_tbENKUlT_T0_SG_SL_E_clIS7_S7_PlSB_EEDaSZ_S10_SG_SL_EUlSZ_E_NS1_11comp_targetILNS1_3genE2ELNS1_11target_archE906ELNS1_3gpuE6ELNS1_3repE0EEENS1_47radix_sort_onesweep_sort_config_static_selectorELNS0_4arch9wavefront6targetE1EEEvSG_.num_named_barrier, 0
	.set _ZN7rocprim17ROCPRIM_400000_NS6detail17trampoline_kernelINS0_14default_configENS1_35radix_sort_onesweep_config_selectorIalEEZZNS1_29radix_sort_onesweep_iterationIS3_Lb0EPaS7_N6thrust23THRUST_200600_302600_NS10device_ptrIlEESB_jNS0_19identity_decomposerENS1_16block_id_wrapperIjLb0EEEEE10hipError_tT1_PNSt15iterator_traitsISG_E10value_typeET2_T3_PNSH_ISM_E10value_typeET4_T5_PSR_SS_PNS1_23onesweep_lookback_stateEbbT6_jjT7_P12ihipStream_tbENKUlT_T0_SG_SL_E_clIS7_S7_PlSB_EEDaSZ_S10_SG_SL_EUlSZ_E_NS1_11comp_targetILNS1_3genE2ELNS1_11target_archE906ELNS1_3gpuE6ELNS1_3repE0EEENS1_47radix_sort_onesweep_sort_config_static_selectorELNS0_4arch9wavefront6targetE1EEEvSG_.private_seg_size, 32
	.set _ZN7rocprim17ROCPRIM_400000_NS6detail17trampoline_kernelINS0_14default_configENS1_35radix_sort_onesweep_config_selectorIalEEZZNS1_29radix_sort_onesweep_iterationIS3_Lb0EPaS7_N6thrust23THRUST_200600_302600_NS10device_ptrIlEESB_jNS0_19identity_decomposerENS1_16block_id_wrapperIjLb0EEEEE10hipError_tT1_PNSt15iterator_traitsISG_E10value_typeET2_T3_PNSH_ISM_E10value_typeET4_T5_PSR_SS_PNS1_23onesweep_lookback_stateEbbT6_jjT7_P12ihipStream_tbENKUlT_T0_SG_SL_E_clIS7_S7_PlSB_EEDaSZ_S10_SG_SL_EUlSZ_E_NS1_11comp_targetILNS1_3genE2ELNS1_11target_archE906ELNS1_3gpuE6ELNS1_3repE0EEENS1_47radix_sort_onesweep_sort_config_static_selectorELNS0_4arch9wavefront6targetE1EEEvSG_.uses_vcc, 1
	.set _ZN7rocprim17ROCPRIM_400000_NS6detail17trampoline_kernelINS0_14default_configENS1_35radix_sort_onesweep_config_selectorIalEEZZNS1_29radix_sort_onesweep_iterationIS3_Lb0EPaS7_N6thrust23THRUST_200600_302600_NS10device_ptrIlEESB_jNS0_19identity_decomposerENS1_16block_id_wrapperIjLb0EEEEE10hipError_tT1_PNSt15iterator_traitsISG_E10value_typeET2_T3_PNSH_ISM_E10value_typeET4_T5_PSR_SS_PNS1_23onesweep_lookback_stateEbbT6_jjT7_P12ihipStream_tbENKUlT_T0_SG_SL_E_clIS7_S7_PlSB_EEDaSZ_S10_SG_SL_EUlSZ_E_NS1_11comp_targetILNS1_3genE2ELNS1_11target_archE906ELNS1_3gpuE6ELNS1_3repE0EEENS1_47radix_sort_onesweep_sort_config_static_selectorELNS0_4arch9wavefront6targetE1EEEvSG_.uses_flat_scratch, 0
	.set _ZN7rocprim17ROCPRIM_400000_NS6detail17trampoline_kernelINS0_14default_configENS1_35radix_sort_onesweep_config_selectorIalEEZZNS1_29radix_sort_onesweep_iterationIS3_Lb0EPaS7_N6thrust23THRUST_200600_302600_NS10device_ptrIlEESB_jNS0_19identity_decomposerENS1_16block_id_wrapperIjLb0EEEEE10hipError_tT1_PNSt15iterator_traitsISG_E10value_typeET2_T3_PNSH_ISM_E10value_typeET4_T5_PSR_SS_PNS1_23onesweep_lookback_stateEbbT6_jjT7_P12ihipStream_tbENKUlT_T0_SG_SL_E_clIS7_S7_PlSB_EEDaSZ_S10_SG_SL_EUlSZ_E_NS1_11comp_targetILNS1_3genE2ELNS1_11target_archE906ELNS1_3gpuE6ELNS1_3repE0EEENS1_47radix_sort_onesweep_sort_config_static_selectorELNS0_4arch9wavefront6targetE1EEEvSG_.has_dyn_sized_stack, 0
	.set _ZN7rocprim17ROCPRIM_400000_NS6detail17trampoline_kernelINS0_14default_configENS1_35radix_sort_onesweep_config_selectorIalEEZZNS1_29radix_sort_onesweep_iterationIS3_Lb0EPaS7_N6thrust23THRUST_200600_302600_NS10device_ptrIlEESB_jNS0_19identity_decomposerENS1_16block_id_wrapperIjLb0EEEEE10hipError_tT1_PNSt15iterator_traitsISG_E10value_typeET2_T3_PNSH_ISM_E10value_typeET4_T5_PSR_SS_PNS1_23onesweep_lookback_stateEbbT6_jjT7_P12ihipStream_tbENKUlT_T0_SG_SL_E_clIS7_S7_PlSB_EEDaSZ_S10_SG_SL_EUlSZ_E_NS1_11comp_targetILNS1_3genE2ELNS1_11target_archE906ELNS1_3gpuE6ELNS1_3repE0EEENS1_47radix_sort_onesweep_sort_config_static_selectorELNS0_4arch9wavefront6targetE1EEEvSG_.has_recursion, 0
	.set _ZN7rocprim17ROCPRIM_400000_NS6detail17trampoline_kernelINS0_14default_configENS1_35radix_sort_onesweep_config_selectorIalEEZZNS1_29radix_sort_onesweep_iterationIS3_Lb0EPaS7_N6thrust23THRUST_200600_302600_NS10device_ptrIlEESB_jNS0_19identity_decomposerENS1_16block_id_wrapperIjLb0EEEEE10hipError_tT1_PNSt15iterator_traitsISG_E10value_typeET2_T3_PNSH_ISM_E10value_typeET4_T5_PSR_SS_PNS1_23onesweep_lookback_stateEbbT6_jjT7_P12ihipStream_tbENKUlT_T0_SG_SL_E_clIS7_S7_PlSB_EEDaSZ_S10_SG_SL_EUlSZ_E_NS1_11comp_targetILNS1_3genE2ELNS1_11target_archE906ELNS1_3gpuE6ELNS1_3repE0EEENS1_47radix_sort_onesweep_sort_config_static_selectorELNS0_4arch9wavefront6targetE1EEEvSG_.has_indirect_call, 0
	.section	.AMDGPU.csdata,"",@progbits
; Kernel info:
; codeLenInByte = 10228
; TotalNumSgprs: 57
; NumVgprs: 41
; ScratchSize: 32
; MemoryBound: 0
; FloatMode: 240
; IeeeMode: 1
; LDSByteSize: 10280 bytes/workgroup (compile time only)
; SGPRBlocks: 7
; VGPRBlocks: 10
; NumSGPRsForWavesPerEU: 57
; NumVGPRsForWavesPerEU: 41
; Occupancy: 5
; WaveLimiterHint : 1
; COMPUTE_PGM_RSRC2:SCRATCH_EN: 1
; COMPUTE_PGM_RSRC2:USER_SGPR: 6
; COMPUTE_PGM_RSRC2:TRAP_HANDLER: 0
; COMPUTE_PGM_RSRC2:TGID_X_EN: 1
; COMPUTE_PGM_RSRC2:TGID_Y_EN: 0
; COMPUTE_PGM_RSRC2:TGID_Z_EN: 0
; COMPUTE_PGM_RSRC2:TIDIG_COMP_CNT: 2
	.section	.text._ZN7rocprim17ROCPRIM_400000_NS6detail17trampoline_kernelINS0_14default_configENS1_35radix_sort_onesweep_config_selectorIalEEZZNS1_29radix_sort_onesweep_iterationIS3_Lb0EPaS7_N6thrust23THRUST_200600_302600_NS10device_ptrIlEESB_jNS0_19identity_decomposerENS1_16block_id_wrapperIjLb0EEEEE10hipError_tT1_PNSt15iterator_traitsISG_E10value_typeET2_T3_PNSH_ISM_E10value_typeET4_T5_PSR_SS_PNS1_23onesweep_lookback_stateEbbT6_jjT7_P12ihipStream_tbENKUlT_T0_SG_SL_E_clIS7_S7_PlSB_EEDaSZ_S10_SG_SL_EUlSZ_E_NS1_11comp_targetILNS1_3genE4ELNS1_11target_archE910ELNS1_3gpuE8ELNS1_3repE0EEENS1_47radix_sort_onesweep_sort_config_static_selectorELNS0_4arch9wavefront6targetE1EEEvSG_,"axG",@progbits,_ZN7rocprim17ROCPRIM_400000_NS6detail17trampoline_kernelINS0_14default_configENS1_35radix_sort_onesweep_config_selectorIalEEZZNS1_29radix_sort_onesweep_iterationIS3_Lb0EPaS7_N6thrust23THRUST_200600_302600_NS10device_ptrIlEESB_jNS0_19identity_decomposerENS1_16block_id_wrapperIjLb0EEEEE10hipError_tT1_PNSt15iterator_traitsISG_E10value_typeET2_T3_PNSH_ISM_E10value_typeET4_T5_PSR_SS_PNS1_23onesweep_lookback_stateEbbT6_jjT7_P12ihipStream_tbENKUlT_T0_SG_SL_E_clIS7_S7_PlSB_EEDaSZ_S10_SG_SL_EUlSZ_E_NS1_11comp_targetILNS1_3genE4ELNS1_11target_archE910ELNS1_3gpuE8ELNS1_3repE0EEENS1_47radix_sort_onesweep_sort_config_static_selectorELNS0_4arch9wavefront6targetE1EEEvSG_,comdat
	.protected	_ZN7rocprim17ROCPRIM_400000_NS6detail17trampoline_kernelINS0_14default_configENS1_35radix_sort_onesweep_config_selectorIalEEZZNS1_29radix_sort_onesweep_iterationIS3_Lb0EPaS7_N6thrust23THRUST_200600_302600_NS10device_ptrIlEESB_jNS0_19identity_decomposerENS1_16block_id_wrapperIjLb0EEEEE10hipError_tT1_PNSt15iterator_traitsISG_E10value_typeET2_T3_PNSH_ISM_E10value_typeET4_T5_PSR_SS_PNS1_23onesweep_lookback_stateEbbT6_jjT7_P12ihipStream_tbENKUlT_T0_SG_SL_E_clIS7_S7_PlSB_EEDaSZ_S10_SG_SL_EUlSZ_E_NS1_11comp_targetILNS1_3genE4ELNS1_11target_archE910ELNS1_3gpuE8ELNS1_3repE0EEENS1_47radix_sort_onesweep_sort_config_static_selectorELNS0_4arch9wavefront6targetE1EEEvSG_ ; -- Begin function _ZN7rocprim17ROCPRIM_400000_NS6detail17trampoline_kernelINS0_14default_configENS1_35radix_sort_onesweep_config_selectorIalEEZZNS1_29radix_sort_onesweep_iterationIS3_Lb0EPaS7_N6thrust23THRUST_200600_302600_NS10device_ptrIlEESB_jNS0_19identity_decomposerENS1_16block_id_wrapperIjLb0EEEEE10hipError_tT1_PNSt15iterator_traitsISG_E10value_typeET2_T3_PNSH_ISM_E10value_typeET4_T5_PSR_SS_PNS1_23onesweep_lookback_stateEbbT6_jjT7_P12ihipStream_tbENKUlT_T0_SG_SL_E_clIS7_S7_PlSB_EEDaSZ_S10_SG_SL_EUlSZ_E_NS1_11comp_targetILNS1_3genE4ELNS1_11target_archE910ELNS1_3gpuE8ELNS1_3repE0EEENS1_47radix_sort_onesweep_sort_config_static_selectorELNS0_4arch9wavefront6targetE1EEEvSG_
	.globl	_ZN7rocprim17ROCPRIM_400000_NS6detail17trampoline_kernelINS0_14default_configENS1_35radix_sort_onesweep_config_selectorIalEEZZNS1_29radix_sort_onesweep_iterationIS3_Lb0EPaS7_N6thrust23THRUST_200600_302600_NS10device_ptrIlEESB_jNS0_19identity_decomposerENS1_16block_id_wrapperIjLb0EEEEE10hipError_tT1_PNSt15iterator_traitsISG_E10value_typeET2_T3_PNSH_ISM_E10value_typeET4_T5_PSR_SS_PNS1_23onesweep_lookback_stateEbbT6_jjT7_P12ihipStream_tbENKUlT_T0_SG_SL_E_clIS7_S7_PlSB_EEDaSZ_S10_SG_SL_EUlSZ_E_NS1_11comp_targetILNS1_3genE4ELNS1_11target_archE910ELNS1_3gpuE8ELNS1_3repE0EEENS1_47radix_sort_onesweep_sort_config_static_selectorELNS0_4arch9wavefront6targetE1EEEvSG_
	.p2align	8
	.type	_ZN7rocprim17ROCPRIM_400000_NS6detail17trampoline_kernelINS0_14default_configENS1_35radix_sort_onesweep_config_selectorIalEEZZNS1_29radix_sort_onesweep_iterationIS3_Lb0EPaS7_N6thrust23THRUST_200600_302600_NS10device_ptrIlEESB_jNS0_19identity_decomposerENS1_16block_id_wrapperIjLb0EEEEE10hipError_tT1_PNSt15iterator_traitsISG_E10value_typeET2_T3_PNSH_ISM_E10value_typeET4_T5_PSR_SS_PNS1_23onesweep_lookback_stateEbbT6_jjT7_P12ihipStream_tbENKUlT_T0_SG_SL_E_clIS7_S7_PlSB_EEDaSZ_S10_SG_SL_EUlSZ_E_NS1_11comp_targetILNS1_3genE4ELNS1_11target_archE910ELNS1_3gpuE8ELNS1_3repE0EEENS1_47radix_sort_onesweep_sort_config_static_selectorELNS0_4arch9wavefront6targetE1EEEvSG_,@function
_ZN7rocprim17ROCPRIM_400000_NS6detail17trampoline_kernelINS0_14default_configENS1_35radix_sort_onesweep_config_selectorIalEEZZNS1_29radix_sort_onesweep_iterationIS3_Lb0EPaS7_N6thrust23THRUST_200600_302600_NS10device_ptrIlEESB_jNS0_19identity_decomposerENS1_16block_id_wrapperIjLb0EEEEE10hipError_tT1_PNSt15iterator_traitsISG_E10value_typeET2_T3_PNSH_ISM_E10value_typeET4_T5_PSR_SS_PNS1_23onesweep_lookback_stateEbbT6_jjT7_P12ihipStream_tbENKUlT_T0_SG_SL_E_clIS7_S7_PlSB_EEDaSZ_S10_SG_SL_EUlSZ_E_NS1_11comp_targetILNS1_3genE4ELNS1_11target_archE910ELNS1_3gpuE8ELNS1_3repE0EEENS1_47radix_sort_onesweep_sort_config_static_selectorELNS0_4arch9wavefront6targetE1EEEvSG_: ; @_ZN7rocprim17ROCPRIM_400000_NS6detail17trampoline_kernelINS0_14default_configENS1_35radix_sort_onesweep_config_selectorIalEEZZNS1_29radix_sort_onesweep_iterationIS3_Lb0EPaS7_N6thrust23THRUST_200600_302600_NS10device_ptrIlEESB_jNS0_19identity_decomposerENS1_16block_id_wrapperIjLb0EEEEE10hipError_tT1_PNSt15iterator_traitsISG_E10value_typeET2_T3_PNSH_ISM_E10value_typeET4_T5_PSR_SS_PNS1_23onesweep_lookback_stateEbbT6_jjT7_P12ihipStream_tbENKUlT_T0_SG_SL_E_clIS7_S7_PlSB_EEDaSZ_S10_SG_SL_EUlSZ_E_NS1_11comp_targetILNS1_3genE4ELNS1_11target_archE910ELNS1_3gpuE8ELNS1_3repE0EEENS1_47radix_sort_onesweep_sort_config_static_selectorELNS0_4arch9wavefront6targetE1EEEvSG_
; %bb.0:
	.section	.rodata,"a",@progbits
	.p2align	6, 0x0
	.amdhsa_kernel _ZN7rocprim17ROCPRIM_400000_NS6detail17trampoline_kernelINS0_14default_configENS1_35radix_sort_onesweep_config_selectorIalEEZZNS1_29radix_sort_onesweep_iterationIS3_Lb0EPaS7_N6thrust23THRUST_200600_302600_NS10device_ptrIlEESB_jNS0_19identity_decomposerENS1_16block_id_wrapperIjLb0EEEEE10hipError_tT1_PNSt15iterator_traitsISG_E10value_typeET2_T3_PNSH_ISM_E10value_typeET4_T5_PSR_SS_PNS1_23onesweep_lookback_stateEbbT6_jjT7_P12ihipStream_tbENKUlT_T0_SG_SL_E_clIS7_S7_PlSB_EEDaSZ_S10_SG_SL_EUlSZ_E_NS1_11comp_targetILNS1_3genE4ELNS1_11target_archE910ELNS1_3gpuE8ELNS1_3repE0EEENS1_47radix_sort_onesweep_sort_config_static_selectorELNS0_4arch9wavefront6targetE1EEEvSG_
		.amdhsa_group_segment_fixed_size 0
		.amdhsa_private_segment_fixed_size 0
		.amdhsa_kernarg_size 88
		.amdhsa_user_sgpr_count 6
		.amdhsa_user_sgpr_private_segment_buffer 1
		.amdhsa_user_sgpr_dispatch_ptr 0
		.amdhsa_user_sgpr_queue_ptr 0
		.amdhsa_user_sgpr_kernarg_segment_ptr 1
		.amdhsa_user_sgpr_dispatch_id 0
		.amdhsa_user_sgpr_flat_scratch_init 0
		.amdhsa_user_sgpr_private_segment_size 0
		.amdhsa_uses_dynamic_stack 0
		.amdhsa_system_sgpr_private_segment_wavefront_offset 0
		.amdhsa_system_sgpr_workgroup_id_x 1
		.amdhsa_system_sgpr_workgroup_id_y 0
		.amdhsa_system_sgpr_workgroup_id_z 0
		.amdhsa_system_sgpr_workgroup_info 0
		.amdhsa_system_vgpr_workitem_id 0
		.amdhsa_next_free_vgpr 1
		.amdhsa_next_free_sgpr 0
		.amdhsa_reserve_vcc 0
		.amdhsa_reserve_flat_scratch 0
		.amdhsa_float_round_mode_32 0
		.amdhsa_float_round_mode_16_64 0
		.amdhsa_float_denorm_mode_32 3
		.amdhsa_float_denorm_mode_16_64 3
		.amdhsa_dx10_clamp 1
		.amdhsa_ieee_mode 1
		.amdhsa_fp16_overflow 0
		.amdhsa_exception_fp_ieee_invalid_op 0
		.amdhsa_exception_fp_denorm_src 0
		.amdhsa_exception_fp_ieee_div_zero 0
		.amdhsa_exception_fp_ieee_overflow 0
		.amdhsa_exception_fp_ieee_underflow 0
		.amdhsa_exception_fp_ieee_inexact 0
		.amdhsa_exception_int_div_zero 0
	.end_amdhsa_kernel
	.section	.text._ZN7rocprim17ROCPRIM_400000_NS6detail17trampoline_kernelINS0_14default_configENS1_35radix_sort_onesweep_config_selectorIalEEZZNS1_29radix_sort_onesweep_iterationIS3_Lb0EPaS7_N6thrust23THRUST_200600_302600_NS10device_ptrIlEESB_jNS0_19identity_decomposerENS1_16block_id_wrapperIjLb0EEEEE10hipError_tT1_PNSt15iterator_traitsISG_E10value_typeET2_T3_PNSH_ISM_E10value_typeET4_T5_PSR_SS_PNS1_23onesweep_lookback_stateEbbT6_jjT7_P12ihipStream_tbENKUlT_T0_SG_SL_E_clIS7_S7_PlSB_EEDaSZ_S10_SG_SL_EUlSZ_E_NS1_11comp_targetILNS1_3genE4ELNS1_11target_archE910ELNS1_3gpuE8ELNS1_3repE0EEENS1_47radix_sort_onesweep_sort_config_static_selectorELNS0_4arch9wavefront6targetE1EEEvSG_,"axG",@progbits,_ZN7rocprim17ROCPRIM_400000_NS6detail17trampoline_kernelINS0_14default_configENS1_35radix_sort_onesweep_config_selectorIalEEZZNS1_29radix_sort_onesweep_iterationIS3_Lb0EPaS7_N6thrust23THRUST_200600_302600_NS10device_ptrIlEESB_jNS0_19identity_decomposerENS1_16block_id_wrapperIjLb0EEEEE10hipError_tT1_PNSt15iterator_traitsISG_E10value_typeET2_T3_PNSH_ISM_E10value_typeET4_T5_PSR_SS_PNS1_23onesweep_lookback_stateEbbT6_jjT7_P12ihipStream_tbENKUlT_T0_SG_SL_E_clIS7_S7_PlSB_EEDaSZ_S10_SG_SL_EUlSZ_E_NS1_11comp_targetILNS1_3genE4ELNS1_11target_archE910ELNS1_3gpuE8ELNS1_3repE0EEENS1_47radix_sort_onesweep_sort_config_static_selectorELNS0_4arch9wavefront6targetE1EEEvSG_,comdat
.Lfunc_end649:
	.size	_ZN7rocprim17ROCPRIM_400000_NS6detail17trampoline_kernelINS0_14default_configENS1_35radix_sort_onesweep_config_selectorIalEEZZNS1_29radix_sort_onesweep_iterationIS3_Lb0EPaS7_N6thrust23THRUST_200600_302600_NS10device_ptrIlEESB_jNS0_19identity_decomposerENS1_16block_id_wrapperIjLb0EEEEE10hipError_tT1_PNSt15iterator_traitsISG_E10value_typeET2_T3_PNSH_ISM_E10value_typeET4_T5_PSR_SS_PNS1_23onesweep_lookback_stateEbbT6_jjT7_P12ihipStream_tbENKUlT_T0_SG_SL_E_clIS7_S7_PlSB_EEDaSZ_S10_SG_SL_EUlSZ_E_NS1_11comp_targetILNS1_3genE4ELNS1_11target_archE910ELNS1_3gpuE8ELNS1_3repE0EEENS1_47radix_sort_onesweep_sort_config_static_selectorELNS0_4arch9wavefront6targetE1EEEvSG_, .Lfunc_end649-_ZN7rocprim17ROCPRIM_400000_NS6detail17trampoline_kernelINS0_14default_configENS1_35radix_sort_onesweep_config_selectorIalEEZZNS1_29radix_sort_onesweep_iterationIS3_Lb0EPaS7_N6thrust23THRUST_200600_302600_NS10device_ptrIlEESB_jNS0_19identity_decomposerENS1_16block_id_wrapperIjLb0EEEEE10hipError_tT1_PNSt15iterator_traitsISG_E10value_typeET2_T3_PNSH_ISM_E10value_typeET4_T5_PSR_SS_PNS1_23onesweep_lookback_stateEbbT6_jjT7_P12ihipStream_tbENKUlT_T0_SG_SL_E_clIS7_S7_PlSB_EEDaSZ_S10_SG_SL_EUlSZ_E_NS1_11comp_targetILNS1_3genE4ELNS1_11target_archE910ELNS1_3gpuE8ELNS1_3repE0EEENS1_47radix_sort_onesweep_sort_config_static_selectorELNS0_4arch9wavefront6targetE1EEEvSG_
                                        ; -- End function
	.set _ZN7rocprim17ROCPRIM_400000_NS6detail17trampoline_kernelINS0_14default_configENS1_35radix_sort_onesweep_config_selectorIalEEZZNS1_29radix_sort_onesweep_iterationIS3_Lb0EPaS7_N6thrust23THRUST_200600_302600_NS10device_ptrIlEESB_jNS0_19identity_decomposerENS1_16block_id_wrapperIjLb0EEEEE10hipError_tT1_PNSt15iterator_traitsISG_E10value_typeET2_T3_PNSH_ISM_E10value_typeET4_T5_PSR_SS_PNS1_23onesweep_lookback_stateEbbT6_jjT7_P12ihipStream_tbENKUlT_T0_SG_SL_E_clIS7_S7_PlSB_EEDaSZ_S10_SG_SL_EUlSZ_E_NS1_11comp_targetILNS1_3genE4ELNS1_11target_archE910ELNS1_3gpuE8ELNS1_3repE0EEENS1_47radix_sort_onesweep_sort_config_static_selectorELNS0_4arch9wavefront6targetE1EEEvSG_.num_vgpr, 0
	.set _ZN7rocprim17ROCPRIM_400000_NS6detail17trampoline_kernelINS0_14default_configENS1_35radix_sort_onesweep_config_selectorIalEEZZNS1_29radix_sort_onesweep_iterationIS3_Lb0EPaS7_N6thrust23THRUST_200600_302600_NS10device_ptrIlEESB_jNS0_19identity_decomposerENS1_16block_id_wrapperIjLb0EEEEE10hipError_tT1_PNSt15iterator_traitsISG_E10value_typeET2_T3_PNSH_ISM_E10value_typeET4_T5_PSR_SS_PNS1_23onesweep_lookback_stateEbbT6_jjT7_P12ihipStream_tbENKUlT_T0_SG_SL_E_clIS7_S7_PlSB_EEDaSZ_S10_SG_SL_EUlSZ_E_NS1_11comp_targetILNS1_3genE4ELNS1_11target_archE910ELNS1_3gpuE8ELNS1_3repE0EEENS1_47radix_sort_onesweep_sort_config_static_selectorELNS0_4arch9wavefront6targetE1EEEvSG_.num_agpr, 0
	.set _ZN7rocprim17ROCPRIM_400000_NS6detail17trampoline_kernelINS0_14default_configENS1_35radix_sort_onesweep_config_selectorIalEEZZNS1_29radix_sort_onesweep_iterationIS3_Lb0EPaS7_N6thrust23THRUST_200600_302600_NS10device_ptrIlEESB_jNS0_19identity_decomposerENS1_16block_id_wrapperIjLb0EEEEE10hipError_tT1_PNSt15iterator_traitsISG_E10value_typeET2_T3_PNSH_ISM_E10value_typeET4_T5_PSR_SS_PNS1_23onesweep_lookback_stateEbbT6_jjT7_P12ihipStream_tbENKUlT_T0_SG_SL_E_clIS7_S7_PlSB_EEDaSZ_S10_SG_SL_EUlSZ_E_NS1_11comp_targetILNS1_3genE4ELNS1_11target_archE910ELNS1_3gpuE8ELNS1_3repE0EEENS1_47radix_sort_onesweep_sort_config_static_selectorELNS0_4arch9wavefront6targetE1EEEvSG_.numbered_sgpr, 0
	.set _ZN7rocprim17ROCPRIM_400000_NS6detail17trampoline_kernelINS0_14default_configENS1_35radix_sort_onesweep_config_selectorIalEEZZNS1_29radix_sort_onesweep_iterationIS3_Lb0EPaS7_N6thrust23THRUST_200600_302600_NS10device_ptrIlEESB_jNS0_19identity_decomposerENS1_16block_id_wrapperIjLb0EEEEE10hipError_tT1_PNSt15iterator_traitsISG_E10value_typeET2_T3_PNSH_ISM_E10value_typeET4_T5_PSR_SS_PNS1_23onesweep_lookback_stateEbbT6_jjT7_P12ihipStream_tbENKUlT_T0_SG_SL_E_clIS7_S7_PlSB_EEDaSZ_S10_SG_SL_EUlSZ_E_NS1_11comp_targetILNS1_3genE4ELNS1_11target_archE910ELNS1_3gpuE8ELNS1_3repE0EEENS1_47radix_sort_onesweep_sort_config_static_selectorELNS0_4arch9wavefront6targetE1EEEvSG_.num_named_barrier, 0
	.set _ZN7rocprim17ROCPRIM_400000_NS6detail17trampoline_kernelINS0_14default_configENS1_35radix_sort_onesweep_config_selectorIalEEZZNS1_29radix_sort_onesweep_iterationIS3_Lb0EPaS7_N6thrust23THRUST_200600_302600_NS10device_ptrIlEESB_jNS0_19identity_decomposerENS1_16block_id_wrapperIjLb0EEEEE10hipError_tT1_PNSt15iterator_traitsISG_E10value_typeET2_T3_PNSH_ISM_E10value_typeET4_T5_PSR_SS_PNS1_23onesweep_lookback_stateEbbT6_jjT7_P12ihipStream_tbENKUlT_T0_SG_SL_E_clIS7_S7_PlSB_EEDaSZ_S10_SG_SL_EUlSZ_E_NS1_11comp_targetILNS1_3genE4ELNS1_11target_archE910ELNS1_3gpuE8ELNS1_3repE0EEENS1_47radix_sort_onesweep_sort_config_static_selectorELNS0_4arch9wavefront6targetE1EEEvSG_.private_seg_size, 0
	.set _ZN7rocprim17ROCPRIM_400000_NS6detail17trampoline_kernelINS0_14default_configENS1_35radix_sort_onesweep_config_selectorIalEEZZNS1_29radix_sort_onesweep_iterationIS3_Lb0EPaS7_N6thrust23THRUST_200600_302600_NS10device_ptrIlEESB_jNS0_19identity_decomposerENS1_16block_id_wrapperIjLb0EEEEE10hipError_tT1_PNSt15iterator_traitsISG_E10value_typeET2_T3_PNSH_ISM_E10value_typeET4_T5_PSR_SS_PNS1_23onesweep_lookback_stateEbbT6_jjT7_P12ihipStream_tbENKUlT_T0_SG_SL_E_clIS7_S7_PlSB_EEDaSZ_S10_SG_SL_EUlSZ_E_NS1_11comp_targetILNS1_3genE4ELNS1_11target_archE910ELNS1_3gpuE8ELNS1_3repE0EEENS1_47radix_sort_onesweep_sort_config_static_selectorELNS0_4arch9wavefront6targetE1EEEvSG_.uses_vcc, 0
	.set _ZN7rocprim17ROCPRIM_400000_NS6detail17trampoline_kernelINS0_14default_configENS1_35radix_sort_onesweep_config_selectorIalEEZZNS1_29radix_sort_onesweep_iterationIS3_Lb0EPaS7_N6thrust23THRUST_200600_302600_NS10device_ptrIlEESB_jNS0_19identity_decomposerENS1_16block_id_wrapperIjLb0EEEEE10hipError_tT1_PNSt15iterator_traitsISG_E10value_typeET2_T3_PNSH_ISM_E10value_typeET4_T5_PSR_SS_PNS1_23onesweep_lookback_stateEbbT6_jjT7_P12ihipStream_tbENKUlT_T0_SG_SL_E_clIS7_S7_PlSB_EEDaSZ_S10_SG_SL_EUlSZ_E_NS1_11comp_targetILNS1_3genE4ELNS1_11target_archE910ELNS1_3gpuE8ELNS1_3repE0EEENS1_47radix_sort_onesweep_sort_config_static_selectorELNS0_4arch9wavefront6targetE1EEEvSG_.uses_flat_scratch, 0
	.set _ZN7rocprim17ROCPRIM_400000_NS6detail17trampoline_kernelINS0_14default_configENS1_35radix_sort_onesweep_config_selectorIalEEZZNS1_29radix_sort_onesweep_iterationIS3_Lb0EPaS7_N6thrust23THRUST_200600_302600_NS10device_ptrIlEESB_jNS0_19identity_decomposerENS1_16block_id_wrapperIjLb0EEEEE10hipError_tT1_PNSt15iterator_traitsISG_E10value_typeET2_T3_PNSH_ISM_E10value_typeET4_T5_PSR_SS_PNS1_23onesweep_lookback_stateEbbT6_jjT7_P12ihipStream_tbENKUlT_T0_SG_SL_E_clIS7_S7_PlSB_EEDaSZ_S10_SG_SL_EUlSZ_E_NS1_11comp_targetILNS1_3genE4ELNS1_11target_archE910ELNS1_3gpuE8ELNS1_3repE0EEENS1_47radix_sort_onesweep_sort_config_static_selectorELNS0_4arch9wavefront6targetE1EEEvSG_.has_dyn_sized_stack, 0
	.set _ZN7rocprim17ROCPRIM_400000_NS6detail17trampoline_kernelINS0_14default_configENS1_35radix_sort_onesweep_config_selectorIalEEZZNS1_29radix_sort_onesweep_iterationIS3_Lb0EPaS7_N6thrust23THRUST_200600_302600_NS10device_ptrIlEESB_jNS0_19identity_decomposerENS1_16block_id_wrapperIjLb0EEEEE10hipError_tT1_PNSt15iterator_traitsISG_E10value_typeET2_T3_PNSH_ISM_E10value_typeET4_T5_PSR_SS_PNS1_23onesweep_lookback_stateEbbT6_jjT7_P12ihipStream_tbENKUlT_T0_SG_SL_E_clIS7_S7_PlSB_EEDaSZ_S10_SG_SL_EUlSZ_E_NS1_11comp_targetILNS1_3genE4ELNS1_11target_archE910ELNS1_3gpuE8ELNS1_3repE0EEENS1_47radix_sort_onesweep_sort_config_static_selectorELNS0_4arch9wavefront6targetE1EEEvSG_.has_recursion, 0
	.set _ZN7rocprim17ROCPRIM_400000_NS6detail17trampoline_kernelINS0_14default_configENS1_35radix_sort_onesweep_config_selectorIalEEZZNS1_29radix_sort_onesweep_iterationIS3_Lb0EPaS7_N6thrust23THRUST_200600_302600_NS10device_ptrIlEESB_jNS0_19identity_decomposerENS1_16block_id_wrapperIjLb0EEEEE10hipError_tT1_PNSt15iterator_traitsISG_E10value_typeET2_T3_PNSH_ISM_E10value_typeET4_T5_PSR_SS_PNS1_23onesweep_lookback_stateEbbT6_jjT7_P12ihipStream_tbENKUlT_T0_SG_SL_E_clIS7_S7_PlSB_EEDaSZ_S10_SG_SL_EUlSZ_E_NS1_11comp_targetILNS1_3genE4ELNS1_11target_archE910ELNS1_3gpuE8ELNS1_3repE0EEENS1_47radix_sort_onesweep_sort_config_static_selectorELNS0_4arch9wavefront6targetE1EEEvSG_.has_indirect_call, 0
	.section	.AMDGPU.csdata,"",@progbits
; Kernel info:
; codeLenInByte = 0
; TotalNumSgprs: 4
; NumVgprs: 0
; ScratchSize: 0
; MemoryBound: 0
; FloatMode: 240
; IeeeMode: 1
; LDSByteSize: 0 bytes/workgroup (compile time only)
; SGPRBlocks: 0
; VGPRBlocks: 0
; NumSGPRsForWavesPerEU: 4
; NumVGPRsForWavesPerEU: 1
; Occupancy: 10
; WaveLimiterHint : 0
; COMPUTE_PGM_RSRC2:SCRATCH_EN: 0
; COMPUTE_PGM_RSRC2:USER_SGPR: 6
; COMPUTE_PGM_RSRC2:TRAP_HANDLER: 0
; COMPUTE_PGM_RSRC2:TGID_X_EN: 1
; COMPUTE_PGM_RSRC2:TGID_Y_EN: 0
; COMPUTE_PGM_RSRC2:TGID_Z_EN: 0
; COMPUTE_PGM_RSRC2:TIDIG_COMP_CNT: 0
	.section	.text._ZN7rocprim17ROCPRIM_400000_NS6detail17trampoline_kernelINS0_14default_configENS1_35radix_sort_onesweep_config_selectorIalEEZZNS1_29radix_sort_onesweep_iterationIS3_Lb0EPaS7_N6thrust23THRUST_200600_302600_NS10device_ptrIlEESB_jNS0_19identity_decomposerENS1_16block_id_wrapperIjLb0EEEEE10hipError_tT1_PNSt15iterator_traitsISG_E10value_typeET2_T3_PNSH_ISM_E10value_typeET4_T5_PSR_SS_PNS1_23onesweep_lookback_stateEbbT6_jjT7_P12ihipStream_tbENKUlT_T0_SG_SL_E_clIS7_S7_PlSB_EEDaSZ_S10_SG_SL_EUlSZ_E_NS1_11comp_targetILNS1_3genE3ELNS1_11target_archE908ELNS1_3gpuE7ELNS1_3repE0EEENS1_47radix_sort_onesweep_sort_config_static_selectorELNS0_4arch9wavefront6targetE1EEEvSG_,"axG",@progbits,_ZN7rocprim17ROCPRIM_400000_NS6detail17trampoline_kernelINS0_14default_configENS1_35radix_sort_onesweep_config_selectorIalEEZZNS1_29radix_sort_onesweep_iterationIS3_Lb0EPaS7_N6thrust23THRUST_200600_302600_NS10device_ptrIlEESB_jNS0_19identity_decomposerENS1_16block_id_wrapperIjLb0EEEEE10hipError_tT1_PNSt15iterator_traitsISG_E10value_typeET2_T3_PNSH_ISM_E10value_typeET4_T5_PSR_SS_PNS1_23onesweep_lookback_stateEbbT6_jjT7_P12ihipStream_tbENKUlT_T0_SG_SL_E_clIS7_S7_PlSB_EEDaSZ_S10_SG_SL_EUlSZ_E_NS1_11comp_targetILNS1_3genE3ELNS1_11target_archE908ELNS1_3gpuE7ELNS1_3repE0EEENS1_47radix_sort_onesweep_sort_config_static_selectorELNS0_4arch9wavefront6targetE1EEEvSG_,comdat
	.protected	_ZN7rocprim17ROCPRIM_400000_NS6detail17trampoline_kernelINS0_14default_configENS1_35radix_sort_onesweep_config_selectorIalEEZZNS1_29radix_sort_onesweep_iterationIS3_Lb0EPaS7_N6thrust23THRUST_200600_302600_NS10device_ptrIlEESB_jNS0_19identity_decomposerENS1_16block_id_wrapperIjLb0EEEEE10hipError_tT1_PNSt15iterator_traitsISG_E10value_typeET2_T3_PNSH_ISM_E10value_typeET4_T5_PSR_SS_PNS1_23onesweep_lookback_stateEbbT6_jjT7_P12ihipStream_tbENKUlT_T0_SG_SL_E_clIS7_S7_PlSB_EEDaSZ_S10_SG_SL_EUlSZ_E_NS1_11comp_targetILNS1_3genE3ELNS1_11target_archE908ELNS1_3gpuE7ELNS1_3repE0EEENS1_47radix_sort_onesweep_sort_config_static_selectorELNS0_4arch9wavefront6targetE1EEEvSG_ ; -- Begin function _ZN7rocprim17ROCPRIM_400000_NS6detail17trampoline_kernelINS0_14default_configENS1_35radix_sort_onesweep_config_selectorIalEEZZNS1_29radix_sort_onesweep_iterationIS3_Lb0EPaS7_N6thrust23THRUST_200600_302600_NS10device_ptrIlEESB_jNS0_19identity_decomposerENS1_16block_id_wrapperIjLb0EEEEE10hipError_tT1_PNSt15iterator_traitsISG_E10value_typeET2_T3_PNSH_ISM_E10value_typeET4_T5_PSR_SS_PNS1_23onesweep_lookback_stateEbbT6_jjT7_P12ihipStream_tbENKUlT_T0_SG_SL_E_clIS7_S7_PlSB_EEDaSZ_S10_SG_SL_EUlSZ_E_NS1_11comp_targetILNS1_3genE3ELNS1_11target_archE908ELNS1_3gpuE7ELNS1_3repE0EEENS1_47radix_sort_onesweep_sort_config_static_selectorELNS0_4arch9wavefront6targetE1EEEvSG_
	.globl	_ZN7rocprim17ROCPRIM_400000_NS6detail17trampoline_kernelINS0_14default_configENS1_35radix_sort_onesweep_config_selectorIalEEZZNS1_29radix_sort_onesweep_iterationIS3_Lb0EPaS7_N6thrust23THRUST_200600_302600_NS10device_ptrIlEESB_jNS0_19identity_decomposerENS1_16block_id_wrapperIjLb0EEEEE10hipError_tT1_PNSt15iterator_traitsISG_E10value_typeET2_T3_PNSH_ISM_E10value_typeET4_T5_PSR_SS_PNS1_23onesweep_lookback_stateEbbT6_jjT7_P12ihipStream_tbENKUlT_T0_SG_SL_E_clIS7_S7_PlSB_EEDaSZ_S10_SG_SL_EUlSZ_E_NS1_11comp_targetILNS1_3genE3ELNS1_11target_archE908ELNS1_3gpuE7ELNS1_3repE0EEENS1_47radix_sort_onesweep_sort_config_static_selectorELNS0_4arch9wavefront6targetE1EEEvSG_
	.p2align	8
	.type	_ZN7rocprim17ROCPRIM_400000_NS6detail17trampoline_kernelINS0_14default_configENS1_35radix_sort_onesweep_config_selectorIalEEZZNS1_29radix_sort_onesweep_iterationIS3_Lb0EPaS7_N6thrust23THRUST_200600_302600_NS10device_ptrIlEESB_jNS0_19identity_decomposerENS1_16block_id_wrapperIjLb0EEEEE10hipError_tT1_PNSt15iterator_traitsISG_E10value_typeET2_T3_PNSH_ISM_E10value_typeET4_T5_PSR_SS_PNS1_23onesweep_lookback_stateEbbT6_jjT7_P12ihipStream_tbENKUlT_T0_SG_SL_E_clIS7_S7_PlSB_EEDaSZ_S10_SG_SL_EUlSZ_E_NS1_11comp_targetILNS1_3genE3ELNS1_11target_archE908ELNS1_3gpuE7ELNS1_3repE0EEENS1_47radix_sort_onesweep_sort_config_static_selectorELNS0_4arch9wavefront6targetE1EEEvSG_,@function
_ZN7rocprim17ROCPRIM_400000_NS6detail17trampoline_kernelINS0_14default_configENS1_35radix_sort_onesweep_config_selectorIalEEZZNS1_29radix_sort_onesweep_iterationIS3_Lb0EPaS7_N6thrust23THRUST_200600_302600_NS10device_ptrIlEESB_jNS0_19identity_decomposerENS1_16block_id_wrapperIjLb0EEEEE10hipError_tT1_PNSt15iterator_traitsISG_E10value_typeET2_T3_PNSH_ISM_E10value_typeET4_T5_PSR_SS_PNS1_23onesweep_lookback_stateEbbT6_jjT7_P12ihipStream_tbENKUlT_T0_SG_SL_E_clIS7_S7_PlSB_EEDaSZ_S10_SG_SL_EUlSZ_E_NS1_11comp_targetILNS1_3genE3ELNS1_11target_archE908ELNS1_3gpuE7ELNS1_3repE0EEENS1_47radix_sort_onesweep_sort_config_static_selectorELNS0_4arch9wavefront6targetE1EEEvSG_: ; @_ZN7rocprim17ROCPRIM_400000_NS6detail17trampoline_kernelINS0_14default_configENS1_35radix_sort_onesweep_config_selectorIalEEZZNS1_29radix_sort_onesweep_iterationIS3_Lb0EPaS7_N6thrust23THRUST_200600_302600_NS10device_ptrIlEESB_jNS0_19identity_decomposerENS1_16block_id_wrapperIjLb0EEEEE10hipError_tT1_PNSt15iterator_traitsISG_E10value_typeET2_T3_PNSH_ISM_E10value_typeET4_T5_PSR_SS_PNS1_23onesweep_lookback_stateEbbT6_jjT7_P12ihipStream_tbENKUlT_T0_SG_SL_E_clIS7_S7_PlSB_EEDaSZ_S10_SG_SL_EUlSZ_E_NS1_11comp_targetILNS1_3genE3ELNS1_11target_archE908ELNS1_3gpuE7ELNS1_3repE0EEENS1_47radix_sort_onesweep_sort_config_static_selectorELNS0_4arch9wavefront6targetE1EEEvSG_
; %bb.0:
	.section	.rodata,"a",@progbits
	.p2align	6, 0x0
	.amdhsa_kernel _ZN7rocprim17ROCPRIM_400000_NS6detail17trampoline_kernelINS0_14default_configENS1_35radix_sort_onesweep_config_selectorIalEEZZNS1_29radix_sort_onesweep_iterationIS3_Lb0EPaS7_N6thrust23THRUST_200600_302600_NS10device_ptrIlEESB_jNS0_19identity_decomposerENS1_16block_id_wrapperIjLb0EEEEE10hipError_tT1_PNSt15iterator_traitsISG_E10value_typeET2_T3_PNSH_ISM_E10value_typeET4_T5_PSR_SS_PNS1_23onesweep_lookback_stateEbbT6_jjT7_P12ihipStream_tbENKUlT_T0_SG_SL_E_clIS7_S7_PlSB_EEDaSZ_S10_SG_SL_EUlSZ_E_NS1_11comp_targetILNS1_3genE3ELNS1_11target_archE908ELNS1_3gpuE7ELNS1_3repE0EEENS1_47radix_sort_onesweep_sort_config_static_selectorELNS0_4arch9wavefront6targetE1EEEvSG_
		.amdhsa_group_segment_fixed_size 0
		.amdhsa_private_segment_fixed_size 0
		.amdhsa_kernarg_size 88
		.amdhsa_user_sgpr_count 6
		.amdhsa_user_sgpr_private_segment_buffer 1
		.amdhsa_user_sgpr_dispatch_ptr 0
		.amdhsa_user_sgpr_queue_ptr 0
		.amdhsa_user_sgpr_kernarg_segment_ptr 1
		.amdhsa_user_sgpr_dispatch_id 0
		.amdhsa_user_sgpr_flat_scratch_init 0
		.amdhsa_user_sgpr_private_segment_size 0
		.amdhsa_uses_dynamic_stack 0
		.amdhsa_system_sgpr_private_segment_wavefront_offset 0
		.amdhsa_system_sgpr_workgroup_id_x 1
		.amdhsa_system_sgpr_workgroup_id_y 0
		.amdhsa_system_sgpr_workgroup_id_z 0
		.amdhsa_system_sgpr_workgroup_info 0
		.amdhsa_system_vgpr_workitem_id 0
		.amdhsa_next_free_vgpr 1
		.amdhsa_next_free_sgpr 0
		.amdhsa_reserve_vcc 0
		.amdhsa_reserve_flat_scratch 0
		.amdhsa_float_round_mode_32 0
		.amdhsa_float_round_mode_16_64 0
		.amdhsa_float_denorm_mode_32 3
		.amdhsa_float_denorm_mode_16_64 3
		.amdhsa_dx10_clamp 1
		.amdhsa_ieee_mode 1
		.amdhsa_fp16_overflow 0
		.amdhsa_exception_fp_ieee_invalid_op 0
		.amdhsa_exception_fp_denorm_src 0
		.amdhsa_exception_fp_ieee_div_zero 0
		.amdhsa_exception_fp_ieee_overflow 0
		.amdhsa_exception_fp_ieee_underflow 0
		.amdhsa_exception_fp_ieee_inexact 0
		.amdhsa_exception_int_div_zero 0
	.end_amdhsa_kernel
	.section	.text._ZN7rocprim17ROCPRIM_400000_NS6detail17trampoline_kernelINS0_14default_configENS1_35radix_sort_onesweep_config_selectorIalEEZZNS1_29radix_sort_onesweep_iterationIS3_Lb0EPaS7_N6thrust23THRUST_200600_302600_NS10device_ptrIlEESB_jNS0_19identity_decomposerENS1_16block_id_wrapperIjLb0EEEEE10hipError_tT1_PNSt15iterator_traitsISG_E10value_typeET2_T3_PNSH_ISM_E10value_typeET4_T5_PSR_SS_PNS1_23onesweep_lookback_stateEbbT6_jjT7_P12ihipStream_tbENKUlT_T0_SG_SL_E_clIS7_S7_PlSB_EEDaSZ_S10_SG_SL_EUlSZ_E_NS1_11comp_targetILNS1_3genE3ELNS1_11target_archE908ELNS1_3gpuE7ELNS1_3repE0EEENS1_47radix_sort_onesweep_sort_config_static_selectorELNS0_4arch9wavefront6targetE1EEEvSG_,"axG",@progbits,_ZN7rocprim17ROCPRIM_400000_NS6detail17trampoline_kernelINS0_14default_configENS1_35radix_sort_onesweep_config_selectorIalEEZZNS1_29radix_sort_onesweep_iterationIS3_Lb0EPaS7_N6thrust23THRUST_200600_302600_NS10device_ptrIlEESB_jNS0_19identity_decomposerENS1_16block_id_wrapperIjLb0EEEEE10hipError_tT1_PNSt15iterator_traitsISG_E10value_typeET2_T3_PNSH_ISM_E10value_typeET4_T5_PSR_SS_PNS1_23onesweep_lookback_stateEbbT6_jjT7_P12ihipStream_tbENKUlT_T0_SG_SL_E_clIS7_S7_PlSB_EEDaSZ_S10_SG_SL_EUlSZ_E_NS1_11comp_targetILNS1_3genE3ELNS1_11target_archE908ELNS1_3gpuE7ELNS1_3repE0EEENS1_47radix_sort_onesweep_sort_config_static_selectorELNS0_4arch9wavefront6targetE1EEEvSG_,comdat
.Lfunc_end650:
	.size	_ZN7rocprim17ROCPRIM_400000_NS6detail17trampoline_kernelINS0_14default_configENS1_35radix_sort_onesweep_config_selectorIalEEZZNS1_29radix_sort_onesweep_iterationIS3_Lb0EPaS7_N6thrust23THRUST_200600_302600_NS10device_ptrIlEESB_jNS0_19identity_decomposerENS1_16block_id_wrapperIjLb0EEEEE10hipError_tT1_PNSt15iterator_traitsISG_E10value_typeET2_T3_PNSH_ISM_E10value_typeET4_T5_PSR_SS_PNS1_23onesweep_lookback_stateEbbT6_jjT7_P12ihipStream_tbENKUlT_T0_SG_SL_E_clIS7_S7_PlSB_EEDaSZ_S10_SG_SL_EUlSZ_E_NS1_11comp_targetILNS1_3genE3ELNS1_11target_archE908ELNS1_3gpuE7ELNS1_3repE0EEENS1_47radix_sort_onesweep_sort_config_static_selectorELNS0_4arch9wavefront6targetE1EEEvSG_, .Lfunc_end650-_ZN7rocprim17ROCPRIM_400000_NS6detail17trampoline_kernelINS0_14default_configENS1_35radix_sort_onesweep_config_selectorIalEEZZNS1_29radix_sort_onesweep_iterationIS3_Lb0EPaS7_N6thrust23THRUST_200600_302600_NS10device_ptrIlEESB_jNS0_19identity_decomposerENS1_16block_id_wrapperIjLb0EEEEE10hipError_tT1_PNSt15iterator_traitsISG_E10value_typeET2_T3_PNSH_ISM_E10value_typeET4_T5_PSR_SS_PNS1_23onesweep_lookback_stateEbbT6_jjT7_P12ihipStream_tbENKUlT_T0_SG_SL_E_clIS7_S7_PlSB_EEDaSZ_S10_SG_SL_EUlSZ_E_NS1_11comp_targetILNS1_3genE3ELNS1_11target_archE908ELNS1_3gpuE7ELNS1_3repE0EEENS1_47radix_sort_onesweep_sort_config_static_selectorELNS0_4arch9wavefront6targetE1EEEvSG_
                                        ; -- End function
	.set _ZN7rocprim17ROCPRIM_400000_NS6detail17trampoline_kernelINS0_14default_configENS1_35radix_sort_onesweep_config_selectorIalEEZZNS1_29radix_sort_onesweep_iterationIS3_Lb0EPaS7_N6thrust23THRUST_200600_302600_NS10device_ptrIlEESB_jNS0_19identity_decomposerENS1_16block_id_wrapperIjLb0EEEEE10hipError_tT1_PNSt15iterator_traitsISG_E10value_typeET2_T3_PNSH_ISM_E10value_typeET4_T5_PSR_SS_PNS1_23onesweep_lookback_stateEbbT6_jjT7_P12ihipStream_tbENKUlT_T0_SG_SL_E_clIS7_S7_PlSB_EEDaSZ_S10_SG_SL_EUlSZ_E_NS1_11comp_targetILNS1_3genE3ELNS1_11target_archE908ELNS1_3gpuE7ELNS1_3repE0EEENS1_47radix_sort_onesweep_sort_config_static_selectorELNS0_4arch9wavefront6targetE1EEEvSG_.num_vgpr, 0
	.set _ZN7rocprim17ROCPRIM_400000_NS6detail17trampoline_kernelINS0_14default_configENS1_35radix_sort_onesweep_config_selectorIalEEZZNS1_29radix_sort_onesweep_iterationIS3_Lb0EPaS7_N6thrust23THRUST_200600_302600_NS10device_ptrIlEESB_jNS0_19identity_decomposerENS1_16block_id_wrapperIjLb0EEEEE10hipError_tT1_PNSt15iterator_traitsISG_E10value_typeET2_T3_PNSH_ISM_E10value_typeET4_T5_PSR_SS_PNS1_23onesweep_lookback_stateEbbT6_jjT7_P12ihipStream_tbENKUlT_T0_SG_SL_E_clIS7_S7_PlSB_EEDaSZ_S10_SG_SL_EUlSZ_E_NS1_11comp_targetILNS1_3genE3ELNS1_11target_archE908ELNS1_3gpuE7ELNS1_3repE0EEENS1_47radix_sort_onesweep_sort_config_static_selectorELNS0_4arch9wavefront6targetE1EEEvSG_.num_agpr, 0
	.set _ZN7rocprim17ROCPRIM_400000_NS6detail17trampoline_kernelINS0_14default_configENS1_35radix_sort_onesweep_config_selectorIalEEZZNS1_29radix_sort_onesweep_iterationIS3_Lb0EPaS7_N6thrust23THRUST_200600_302600_NS10device_ptrIlEESB_jNS0_19identity_decomposerENS1_16block_id_wrapperIjLb0EEEEE10hipError_tT1_PNSt15iterator_traitsISG_E10value_typeET2_T3_PNSH_ISM_E10value_typeET4_T5_PSR_SS_PNS1_23onesweep_lookback_stateEbbT6_jjT7_P12ihipStream_tbENKUlT_T0_SG_SL_E_clIS7_S7_PlSB_EEDaSZ_S10_SG_SL_EUlSZ_E_NS1_11comp_targetILNS1_3genE3ELNS1_11target_archE908ELNS1_3gpuE7ELNS1_3repE0EEENS1_47radix_sort_onesweep_sort_config_static_selectorELNS0_4arch9wavefront6targetE1EEEvSG_.numbered_sgpr, 0
	.set _ZN7rocprim17ROCPRIM_400000_NS6detail17trampoline_kernelINS0_14default_configENS1_35radix_sort_onesweep_config_selectorIalEEZZNS1_29radix_sort_onesweep_iterationIS3_Lb0EPaS7_N6thrust23THRUST_200600_302600_NS10device_ptrIlEESB_jNS0_19identity_decomposerENS1_16block_id_wrapperIjLb0EEEEE10hipError_tT1_PNSt15iterator_traitsISG_E10value_typeET2_T3_PNSH_ISM_E10value_typeET4_T5_PSR_SS_PNS1_23onesweep_lookback_stateEbbT6_jjT7_P12ihipStream_tbENKUlT_T0_SG_SL_E_clIS7_S7_PlSB_EEDaSZ_S10_SG_SL_EUlSZ_E_NS1_11comp_targetILNS1_3genE3ELNS1_11target_archE908ELNS1_3gpuE7ELNS1_3repE0EEENS1_47radix_sort_onesweep_sort_config_static_selectorELNS0_4arch9wavefront6targetE1EEEvSG_.num_named_barrier, 0
	.set _ZN7rocprim17ROCPRIM_400000_NS6detail17trampoline_kernelINS0_14default_configENS1_35radix_sort_onesweep_config_selectorIalEEZZNS1_29radix_sort_onesweep_iterationIS3_Lb0EPaS7_N6thrust23THRUST_200600_302600_NS10device_ptrIlEESB_jNS0_19identity_decomposerENS1_16block_id_wrapperIjLb0EEEEE10hipError_tT1_PNSt15iterator_traitsISG_E10value_typeET2_T3_PNSH_ISM_E10value_typeET4_T5_PSR_SS_PNS1_23onesweep_lookback_stateEbbT6_jjT7_P12ihipStream_tbENKUlT_T0_SG_SL_E_clIS7_S7_PlSB_EEDaSZ_S10_SG_SL_EUlSZ_E_NS1_11comp_targetILNS1_3genE3ELNS1_11target_archE908ELNS1_3gpuE7ELNS1_3repE0EEENS1_47radix_sort_onesweep_sort_config_static_selectorELNS0_4arch9wavefront6targetE1EEEvSG_.private_seg_size, 0
	.set _ZN7rocprim17ROCPRIM_400000_NS6detail17trampoline_kernelINS0_14default_configENS1_35radix_sort_onesweep_config_selectorIalEEZZNS1_29radix_sort_onesweep_iterationIS3_Lb0EPaS7_N6thrust23THRUST_200600_302600_NS10device_ptrIlEESB_jNS0_19identity_decomposerENS1_16block_id_wrapperIjLb0EEEEE10hipError_tT1_PNSt15iterator_traitsISG_E10value_typeET2_T3_PNSH_ISM_E10value_typeET4_T5_PSR_SS_PNS1_23onesweep_lookback_stateEbbT6_jjT7_P12ihipStream_tbENKUlT_T0_SG_SL_E_clIS7_S7_PlSB_EEDaSZ_S10_SG_SL_EUlSZ_E_NS1_11comp_targetILNS1_3genE3ELNS1_11target_archE908ELNS1_3gpuE7ELNS1_3repE0EEENS1_47radix_sort_onesweep_sort_config_static_selectorELNS0_4arch9wavefront6targetE1EEEvSG_.uses_vcc, 0
	.set _ZN7rocprim17ROCPRIM_400000_NS6detail17trampoline_kernelINS0_14default_configENS1_35radix_sort_onesweep_config_selectorIalEEZZNS1_29radix_sort_onesweep_iterationIS3_Lb0EPaS7_N6thrust23THRUST_200600_302600_NS10device_ptrIlEESB_jNS0_19identity_decomposerENS1_16block_id_wrapperIjLb0EEEEE10hipError_tT1_PNSt15iterator_traitsISG_E10value_typeET2_T3_PNSH_ISM_E10value_typeET4_T5_PSR_SS_PNS1_23onesweep_lookback_stateEbbT6_jjT7_P12ihipStream_tbENKUlT_T0_SG_SL_E_clIS7_S7_PlSB_EEDaSZ_S10_SG_SL_EUlSZ_E_NS1_11comp_targetILNS1_3genE3ELNS1_11target_archE908ELNS1_3gpuE7ELNS1_3repE0EEENS1_47radix_sort_onesweep_sort_config_static_selectorELNS0_4arch9wavefront6targetE1EEEvSG_.uses_flat_scratch, 0
	.set _ZN7rocprim17ROCPRIM_400000_NS6detail17trampoline_kernelINS0_14default_configENS1_35radix_sort_onesweep_config_selectorIalEEZZNS1_29radix_sort_onesweep_iterationIS3_Lb0EPaS7_N6thrust23THRUST_200600_302600_NS10device_ptrIlEESB_jNS0_19identity_decomposerENS1_16block_id_wrapperIjLb0EEEEE10hipError_tT1_PNSt15iterator_traitsISG_E10value_typeET2_T3_PNSH_ISM_E10value_typeET4_T5_PSR_SS_PNS1_23onesweep_lookback_stateEbbT6_jjT7_P12ihipStream_tbENKUlT_T0_SG_SL_E_clIS7_S7_PlSB_EEDaSZ_S10_SG_SL_EUlSZ_E_NS1_11comp_targetILNS1_3genE3ELNS1_11target_archE908ELNS1_3gpuE7ELNS1_3repE0EEENS1_47radix_sort_onesweep_sort_config_static_selectorELNS0_4arch9wavefront6targetE1EEEvSG_.has_dyn_sized_stack, 0
	.set _ZN7rocprim17ROCPRIM_400000_NS6detail17trampoline_kernelINS0_14default_configENS1_35radix_sort_onesweep_config_selectorIalEEZZNS1_29radix_sort_onesweep_iterationIS3_Lb0EPaS7_N6thrust23THRUST_200600_302600_NS10device_ptrIlEESB_jNS0_19identity_decomposerENS1_16block_id_wrapperIjLb0EEEEE10hipError_tT1_PNSt15iterator_traitsISG_E10value_typeET2_T3_PNSH_ISM_E10value_typeET4_T5_PSR_SS_PNS1_23onesweep_lookback_stateEbbT6_jjT7_P12ihipStream_tbENKUlT_T0_SG_SL_E_clIS7_S7_PlSB_EEDaSZ_S10_SG_SL_EUlSZ_E_NS1_11comp_targetILNS1_3genE3ELNS1_11target_archE908ELNS1_3gpuE7ELNS1_3repE0EEENS1_47radix_sort_onesweep_sort_config_static_selectorELNS0_4arch9wavefront6targetE1EEEvSG_.has_recursion, 0
	.set _ZN7rocprim17ROCPRIM_400000_NS6detail17trampoline_kernelINS0_14default_configENS1_35radix_sort_onesweep_config_selectorIalEEZZNS1_29radix_sort_onesweep_iterationIS3_Lb0EPaS7_N6thrust23THRUST_200600_302600_NS10device_ptrIlEESB_jNS0_19identity_decomposerENS1_16block_id_wrapperIjLb0EEEEE10hipError_tT1_PNSt15iterator_traitsISG_E10value_typeET2_T3_PNSH_ISM_E10value_typeET4_T5_PSR_SS_PNS1_23onesweep_lookback_stateEbbT6_jjT7_P12ihipStream_tbENKUlT_T0_SG_SL_E_clIS7_S7_PlSB_EEDaSZ_S10_SG_SL_EUlSZ_E_NS1_11comp_targetILNS1_3genE3ELNS1_11target_archE908ELNS1_3gpuE7ELNS1_3repE0EEENS1_47radix_sort_onesweep_sort_config_static_selectorELNS0_4arch9wavefront6targetE1EEEvSG_.has_indirect_call, 0
	.section	.AMDGPU.csdata,"",@progbits
; Kernel info:
; codeLenInByte = 0
; TotalNumSgprs: 4
; NumVgprs: 0
; ScratchSize: 0
; MemoryBound: 0
; FloatMode: 240
; IeeeMode: 1
; LDSByteSize: 0 bytes/workgroup (compile time only)
; SGPRBlocks: 0
; VGPRBlocks: 0
; NumSGPRsForWavesPerEU: 4
; NumVGPRsForWavesPerEU: 1
; Occupancy: 10
; WaveLimiterHint : 0
; COMPUTE_PGM_RSRC2:SCRATCH_EN: 0
; COMPUTE_PGM_RSRC2:USER_SGPR: 6
; COMPUTE_PGM_RSRC2:TRAP_HANDLER: 0
; COMPUTE_PGM_RSRC2:TGID_X_EN: 1
; COMPUTE_PGM_RSRC2:TGID_Y_EN: 0
; COMPUTE_PGM_RSRC2:TGID_Z_EN: 0
; COMPUTE_PGM_RSRC2:TIDIG_COMP_CNT: 0
	.section	.text._ZN7rocprim17ROCPRIM_400000_NS6detail17trampoline_kernelINS0_14default_configENS1_35radix_sort_onesweep_config_selectorIalEEZZNS1_29radix_sort_onesweep_iterationIS3_Lb0EPaS7_N6thrust23THRUST_200600_302600_NS10device_ptrIlEESB_jNS0_19identity_decomposerENS1_16block_id_wrapperIjLb0EEEEE10hipError_tT1_PNSt15iterator_traitsISG_E10value_typeET2_T3_PNSH_ISM_E10value_typeET4_T5_PSR_SS_PNS1_23onesweep_lookback_stateEbbT6_jjT7_P12ihipStream_tbENKUlT_T0_SG_SL_E_clIS7_S7_PlSB_EEDaSZ_S10_SG_SL_EUlSZ_E_NS1_11comp_targetILNS1_3genE10ELNS1_11target_archE1201ELNS1_3gpuE5ELNS1_3repE0EEENS1_47radix_sort_onesweep_sort_config_static_selectorELNS0_4arch9wavefront6targetE1EEEvSG_,"axG",@progbits,_ZN7rocprim17ROCPRIM_400000_NS6detail17trampoline_kernelINS0_14default_configENS1_35radix_sort_onesweep_config_selectorIalEEZZNS1_29radix_sort_onesweep_iterationIS3_Lb0EPaS7_N6thrust23THRUST_200600_302600_NS10device_ptrIlEESB_jNS0_19identity_decomposerENS1_16block_id_wrapperIjLb0EEEEE10hipError_tT1_PNSt15iterator_traitsISG_E10value_typeET2_T3_PNSH_ISM_E10value_typeET4_T5_PSR_SS_PNS1_23onesweep_lookback_stateEbbT6_jjT7_P12ihipStream_tbENKUlT_T0_SG_SL_E_clIS7_S7_PlSB_EEDaSZ_S10_SG_SL_EUlSZ_E_NS1_11comp_targetILNS1_3genE10ELNS1_11target_archE1201ELNS1_3gpuE5ELNS1_3repE0EEENS1_47radix_sort_onesweep_sort_config_static_selectorELNS0_4arch9wavefront6targetE1EEEvSG_,comdat
	.protected	_ZN7rocprim17ROCPRIM_400000_NS6detail17trampoline_kernelINS0_14default_configENS1_35radix_sort_onesweep_config_selectorIalEEZZNS1_29radix_sort_onesweep_iterationIS3_Lb0EPaS7_N6thrust23THRUST_200600_302600_NS10device_ptrIlEESB_jNS0_19identity_decomposerENS1_16block_id_wrapperIjLb0EEEEE10hipError_tT1_PNSt15iterator_traitsISG_E10value_typeET2_T3_PNSH_ISM_E10value_typeET4_T5_PSR_SS_PNS1_23onesweep_lookback_stateEbbT6_jjT7_P12ihipStream_tbENKUlT_T0_SG_SL_E_clIS7_S7_PlSB_EEDaSZ_S10_SG_SL_EUlSZ_E_NS1_11comp_targetILNS1_3genE10ELNS1_11target_archE1201ELNS1_3gpuE5ELNS1_3repE0EEENS1_47radix_sort_onesweep_sort_config_static_selectorELNS0_4arch9wavefront6targetE1EEEvSG_ ; -- Begin function _ZN7rocprim17ROCPRIM_400000_NS6detail17trampoline_kernelINS0_14default_configENS1_35radix_sort_onesweep_config_selectorIalEEZZNS1_29radix_sort_onesweep_iterationIS3_Lb0EPaS7_N6thrust23THRUST_200600_302600_NS10device_ptrIlEESB_jNS0_19identity_decomposerENS1_16block_id_wrapperIjLb0EEEEE10hipError_tT1_PNSt15iterator_traitsISG_E10value_typeET2_T3_PNSH_ISM_E10value_typeET4_T5_PSR_SS_PNS1_23onesweep_lookback_stateEbbT6_jjT7_P12ihipStream_tbENKUlT_T0_SG_SL_E_clIS7_S7_PlSB_EEDaSZ_S10_SG_SL_EUlSZ_E_NS1_11comp_targetILNS1_3genE10ELNS1_11target_archE1201ELNS1_3gpuE5ELNS1_3repE0EEENS1_47radix_sort_onesweep_sort_config_static_selectorELNS0_4arch9wavefront6targetE1EEEvSG_
	.globl	_ZN7rocprim17ROCPRIM_400000_NS6detail17trampoline_kernelINS0_14default_configENS1_35radix_sort_onesweep_config_selectorIalEEZZNS1_29radix_sort_onesweep_iterationIS3_Lb0EPaS7_N6thrust23THRUST_200600_302600_NS10device_ptrIlEESB_jNS0_19identity_decomposerENS1_16block_id_wrapperIjLb0EEEEE10hipError_tT1_PNSt15iterator_traitsISG_E10value_typeET2_T3_PNSH_ISM_E10value_typeET4_T5_PSR_SS_PNS1_23onesweep_lookback_stateEbbT6_jjT7_P12ihipStream_tbENKUlT_T0_SG_SL_E_clIS7_S7_PlSB_EEDaSZ_S10_SG_SL_EUlSZ_E_NS1_11comp_targetILNS1_3genE10ELNS1_11target_archE1201ELNS1_3gpuE5ELNS1_3repE0EEENS1_47radix_sort_onesweep_sort_config_static_selectorELNS0_4arch9wavefront6targetE1EEEvSG_
	.p2align	8
	.type	_ZN7rocprim17ROCPRIM_400000_NS6detail17trampoline_kernelINS0_14default_configENS1_35radix_sort_onesweep_config_selectorIalEEZZNS1_29radix_sort_onesweep_iterationIS3_Lb0EPaS7_N6thrust23THRUST_200600_302600_NS10device_ptrIlEESB_jNS0_19identity_decomposerENS1_16block_id_wrapperIjLb0EEEEE10hipError_tT1_PNSt15iterator_traitsISG_E10value_typeET2_T3_PNSH_ISM_E10value_typeET4_T5_PSR_SS_PNS1_23onesweep_lookback_stateEbbT6_jjT7_P12ihipStream_tbENKUlT_T0_SG_SL_E_clIS7_S7_PlSB_EEDaSZ_S10_SG_SL_EUlSZ_E_NS1_11comp_targetILNS1_3genE10ELNS1_11target_archE1201ELNS1_3gpuE5ELNS1_3repE0EEENS1_47radix_sort_onesweep_sort_config_static_selectorELNS0_4arch9wavefront6targetE1EEEvSG_,@function
_ZN7rocprim17ROCPRIM_400000_NS6detail17trampoline_kernelINS0_14default_configENS1_35radix_sort_onesweep_config_selectorIalEEZZNS1_29radix_sort_onesweep_iterationIS3_Lb0EPaS7_N6thrust23THRUST_200600_302600_NS10device_ptrIlEESB_jNS0_19identity_decomposerENS1_16block_id_wrapperIjLb0EEEEE10hipError_tT1_PNSt15iterator_traitsISG_E10value_typeET2_T3_PNSH_ISM_E10value_typeET4_T5_PSR_SS_PNS1_23onesweep_lookback_stateEbbT6_jjT7_P12ihipStream_tbENKUlT_T0_SG_SL_E_clIS7_S7_PlSB_EEDaSZ_S10_SG_SL_EUlSZ_E_NS1_11comp_targetILNS1_3genE10ELNS1_11target_archE1201ELNS1_3gpuE5ELNS1_3repE0EEENS1_47radix_sort_onesweep_sort_config_static_selectorELNS0_4arch9wavefront6targetE1EEEvSG_: ; @_ZN7rocprim17ROCPRIM_400000_NS6detail17trampoline_kernelINS0_14default_configENS1_35radix_sort_onesweep_config_selectorIalEEZZNS1_29radix_sort_onesweep_iterationIS3_Lb0EPaS7_N6thrust23THRUST_200600_302600_NS10device_ptrIlEESB_jNS0_19identity_decomposerENS1_16block_id_wrapperIjLb0EEEEE10hipError_tT1_PNSt15iterator_traitsISG_E10value_typeET2_T3_PNSH_ISM_E10value_typeET4_T5_PSR_SS_PNS1_23onesweep_lookback_stateEbbT6_jjT7_P12ihipStream_tbENKUlT_T0_SG_SL_E_clIS7_S7_PlSB_EEDaSZ_S10_SG_SL_EUlSZ_E_NS1_11comp_targetILNS1_3genE10ELNS1_11target_archE1201ELNS1_3gpuE5ELNS1_3repE0EEENS1_47radix_sort_onesweep_sort_config_static_selectorELNS0_4arch9wavefront6targetE1EEEvSG_
; %bb.0:
	.section	.rodata,"a",@progbits
	.p2align	6, 0x0
	.amdhsa_kernel _ZN7rocprim17ROCPRIM_400000_NS6detail17trampoline_kernelINS0_14default_configENS1_35radix_sort_onesweep_config_selectorIalEEZZNS1_29radix_sort_onesweep_iterationIS3_Lb0EPaS7_N6thrust23THRUST_200600_302600_NS10device_ptrIlEESB_jNS0_19identity_decomposerENS1_16block_id_wrapperIjLb0EEEEE10hipError_tT1_PNSt15iterator_traitsISG_E10value_typeET2_T3_PNSH_ISM_E10value_typeET4_T5_PSR_SS_PNS1_23onesweep_lookback_stateEbbT6_jjT7_P12ihipStream_tbENKUlT_T0_SG_SL_E_clIS7_S7_PlSB_EEDaSZ_S10_SG_SL_EUlSZ_E_NS1_11comp_targetILNS1_3genE10ELNS1_11target_archE1201ELNS1_3gpuE5ELNS1_3repE0EEENS1_47radix_sort_onesweep_sort_config_static_selectorELNS0_4arch9wavefront6targetE1EEEvSG_
		.amdhsa_group_segment_fixed_size 0
		.amdhsa_private_segment_fixed_size 0
		.amdhsa_kernarg_size 88
		.amdhsa_user_sgpr_count 6
		.amdhsa_user_sgpr_private_segment_buffer 1
		.amdhsa_user_sgpr_dispatch_ptr 0
		.amdhsa_user_sgpr_queue_ptr 0
		.amdhsa_user_sgpr_kernarg_segment_ptr 1
		.amdhsa_user_sgpr_dispatch_id 0
		.amdhsa_user_sgpr_flat_scratch_init 0
		.amdhsa_user_sgpr_private_segment_size 0
		.amdhsa_uses_dynamic_stack 0
		.amdhsa_system_sgpr_private_segment_wavefront_offset 0
		.amdhsa_system_sgpr_workgroup_id_x 1
		.amdhsa_system_sgpr_workgroup_id_y 0
		.amdhsa_system_sgpr_workgroup_id_z 0
		.amdhsa_system_sgpr_workgroup_info 0
		.amdhsa_system_vgpr_workitem_id 0
		.amdhsa_next_free_vgpr 1
		.amdhsa_next_free_sgpr 0
		.amdhsa_reserve_vcc 0
		.amdhsa_reserve_flat_scratch 0
		.amdhsa_float_round_mode_32 0
		.amdhsa_float_round_mode_16_64 0
		.amdhsa_float_denorm_mode_32 3
		.amdhsa_float_denorm_mode_16_64 3
		.amdhsa_dx10_clamp 1
		.amdhsa_ieee_mode 1
		.amdhsa_fp16_overflow 0
		.amdhsa_exception_fp_ieee_invalid_op 0
		.amdhsa_exception_fp_denorm_src 0
		.amdhsa_exception_fp_ieee_div_zero 0
		.amdhsa_exception_fp_ieee_overflow 0
		.amdhsa_exception_fp_ieee_underflow 0
		.amdhsa_exception_fp_ieee_inexact 0
		.amdhsa_exception_int_div_zero 0
	.end_amdhsa_kernel
	.section	.text._ZN7rocprim17ROCPRIM_400000_NS6detail17trampoline_kernelINS0_14default_configENS1_35radix_sort_onesweep_config_selectorIalEEZZNS1_29radix_sort_onesweep_iterationIS3_Lb0EPaS7_N6thrust23THRUST_200600_302600_NS10device_ptrIlEESB_jNS0_19identity_decomposerENS1_16block_id_wrapperIjLb0EEEEE10hipError_tT1_PNSt15iterator_traitsISG_E10value_typeET2_T3_PNSH_ISM_E10value_typeET4_T5_PSR_SS_PNS1_23onesweep_lookback_stateEbbT6_jjT7_P12ihipStream_tbENKUlT_T0_SG_SL_E_clIS7_S7_PlSB_EEDaSZ_S10_SG_SL_EUlSZ_E_NS1_11comp_targetILNS1_3genE10ELNS1_11target_archE1201ELNS1_3gpuE5ELNS1_3repE0EEENS1_47radix_sort_onesweep_sort_config_static_selectorELNS0_4arch9wavefront6targetE1EEEvSG_,"axG",@progbits,_ZN7rocprim17ROCPRIM_400000_NS6detail17trampoline_kernelINS0_14default_configENS1_35radix_sort_onesweep_config_selectorIalEEZZNS1_29radix_sort_onesweep_iterationIS3_Lb0EPaS7_N6thrust23THRUST_200600_302600_NS10device_ptrIlEESB_jNS0_19identity_decomposerENS1_16block_id_wrapperIjLb0EEEEE10hipError_tT1_PNSt15iterator_traitsISG_E10value_typeET2_T3_PNSH_ISM_E10value_typeET4_T5_PSR_SS_PNS1_23onesweep_lookback_stateEbbT6_jjT7_P12ihipStream_tbENKUlT_T0_SG_SL_E_clIS7_S7_PlSB_EEDaSZ_S10_SG_SL_EUlSZ_E_NS1_11comp_targetILNS1_3genE10ELNS1_11target_archE1201ELNS1_3gpuE5ELNS1_3repE0EEENS1_47radix_sort_onesweep_sort_config_static_selectorELNS0_4arch9wavefront6targetE1EEEvSG_,comdat
.Lfunc_end651:
	.size	_ZN7rocprim17ROCPRIM_400000_NS6detail17trampoline_kernelINS0_14default_configENS1_35radix_sort_onesweep_config_selectorIalEEZZNS1_29radix_sort_onesweep_iterationIS3_Lb0EPaS7_N6thrust23THRUST_200600_302600_NS10device_ptrIlEESB_jNS0_19identity_decomposerENS1_16block_id_wrapperIjLb0EEEEE10hipError_tT1_PNSt15iterator_traitsISG_E10value_typeET2_T3_PNSH_ISM_E10value_typeET4_T5_PSR_SS_PNS1_23onesweep_lookback_stateEbbT6_jjT7_P12ihipStream_tbENKUlT_T0_SG_SL_E_clIS7_S7_PlSB_EEDaSZ_S10_SG_SL_EUlSZ_E_NS1_11comp_targetILNS1_3genE10ELNS1_11target_archE1201ELNS1_3gpuE5ELNS1_3repE0EEENS1_47radix_sort_onesweep_sort_config_static_selectorELNS0_4arch9wavefront6targetE1EEEvSG_, .Lfunc_end651-_ZN7rocprim17ROCPRIM_400000_NS6detail17trampoline_kernelINS0_14default_configENS1_35radix_sort_onesweep_config_selectorIalEEZZNS1_29radix_sort_onesweep_iterationIS3_Lb0EPaS7_N6thrust23THRUST_200600_302600_NS10device_ptrIlEESB_jNS0_19identity_decomposerENS1_16block_id_wrapperIjLb0EEEEE10hipError_tT1_PNSt15iterator_traitsISG_E10value_typeET2_T3_PNSH_ISM_E10value_typeET4_T5_PSR_SS_PNS1_23onesweep_lookback_stateEbbT6_jjT7_P12ihipStream_tbENKUlT_T0_SG_SL_E_clIS7_S7_PlSB_EEDaSZ_S10_SG_SL_EUlSZ_E_NS1_11comp_targetILNS1_3genE10ELNS1_11target_archE1201ELNS1_3gpuE5ELNS1_3repE0EEENS1_47radix_sort_onesweep_sort_config_static_selectorELNS0_4arch9wavefront6targetE1EEEvSG_
                                        ; -- End function
	.set _ZN7rocprim17ROCPRIM_400000_NS6detail17trampoline_kernelINS0_14default_configENS1_35radix_sort_onesweep_config_selectorIalEEZZNS1_29radix_sort_onesweep_iterationIS3_Lb0EPaS7_N6thrust23THRUST_200600_302600_NS10device_ptrIlEESB_jNS0_19identity_decomposerENS1_16block_id_wrapperIjLb0EEEEE10hipError_tT1_PNSt15iterator_traitsISG_E10value_typeET2_T3_PNSH_ISM_E10value_typeET4_T5_PSR_SS_PNS1_23onesweep_lookback_stateEbbT6_jjT7_P12ihipStream_tbENKUlT_T0_SG_SL_E_clIS7_S7_PlSB_EEDaSZ_S10_SG_SL_EUlSZ_E_NS1_11comp_targetILNS1_3genE10ELNS1_11target_archE1201ELNS1_3gpuE5ELNS1_3repE0EEENS1_47radix_sort_onesweep_sort_config_static_selectorELNS0_4arch9wavefront6targetE1EEEvSG_.num_vgpr, 0
	.set _ZN7rocprim17ROCPRIM_400000_NS6detail17trampoline_kernelINS0_14default_configENS1_35radix_sort_onesweep_config_selectorIalEEZZNS1_29radix_sort_onesweep_iterationIS3_Lb0EPaS7_N6thrust23THRUST_200600_302600_NS10device_ptrIlEESB_jNS0_19identity_decomposerENS1_16block_id_wrapperIjLb0EEEEE10hipError_tT1_PNSt15iterator_traitsISG_E10value_typeET2_T3_PNSH_ISM_E10value_typeET4_T5_PSR_SS_PNS1_23onesweep_lookback_stateEbbT6_jjT7_P12ihipStream_tbENKUlT_T0_SG_SL_E_clIS7_S7_PlSB_EEDaSZ_S10_SG_SL_EUlSZ_E_NS1_11comp_targetILNS1_3genE10ELNS1_11target_archE1201ELNS1_3gpuE5ELNS1_3repE0EEENS1_47radix_sort_onesweep_sort_config_static_selectorELNS0_4arch9wavefront6targetE1EEEvSG_.num_agpr, 0
	.set _ZN7rocprim17ROCPRIM_400000_NS6detail17trampoline_kernelINS0_14default_configENS1_35radix_sort_onesweep_config_selectorIalEEZZNS1_29radix_sort_onesweep_iterationIS3_Lb0EPaS7_N6thrust23THRUST_200600_302600_NS10device_ptrIlEESB_jNS0_19identity_decomposerENS1_16block_id_wrapperIjLb0EEEEE10hipError_tT1_PNSt15iterator_traitsISG_E10value_typeET2_T3_PNSH_ISM_E10value_typeET4_T5_PSR_SS_PNS1_23onesweep_lookback_stateEbbT6_jjT7_P12ihipStream_tbENKUlT_T0_SG_SL_E_clIS7_S7_PlSB_EEDaSZ_S10_SG_SL_EUlSZ_E_NS1_11comp_targetILNS1_3genE10ELNS1_11target_archE1201ELNS1_3gpuE5ELNS1_3repE0EEENS1_47radix_sort_onesweep_sort_config_static_selectorELNS0_4arch9wavefront6targetE1EEEvSG_.numbered_sgpr, 0
	.set _ZN7rocprim17ROCPRIM_400000_NS6detail17trampoline_kernelINS0_14default_configENS1_35radix_sort_onesweep_config_selectorIalEEZZNS1_29radix_sort_onesweep_iterationIS3_Lb0EPaS7_N6thrust23THRUST_200600_302600_NS10device_ptrIlEESB_jNS0_19identity_decomposerENS1_16block_id_wrapperIjLb0EEEEE10hipError_tT1_PNSt15iterator_traitsISG_E10value_typeET2_T3_PNSH_ISM_E10value_typeET4_T5_PSR_SS_PNS1_23onesweep_lookback_stateEbbT6_jjT7_P12ihipStream_tbENKUlT_T0_SG_SL_E_clIS7_S7_PlSB_EEDaSZ_S10_SG_SL_EUlSZ_E_NS1_11comp_targetILNS1_3genE10ELNS1_11target_archE1201ELNS1_3gpuE5ELNS1_3repE0EEENS1_47radix_sort_onesweep_sort_config_static_selectorELNS0_4arch9wavefront6targetE1EEEvSG_.num_named_barrier, 0
	.set _ZN7rocprim17ROCPRIM_400000_NS6detail17trampoline_kernelINS0_14default_configENS1_35radix_sort_onesweep_config_selectorIalEEZZNS1_29radix_sort_onesweep_iterationIS3_Lb0EPaS7_N6thrust23THRUST_200600_302600_NS10device_ptrIlEESB_jNS0_19identity_decomposerENS1_16block_id_wrapperIjLb0EEEEE10hipError_tT1_PNSt15iterator_traitsISG_E10value_typeET2_T3_PNSH_ISM_E10value_typeET4_T5_PSR_SS_PNS1_23onesweep_lookback_stateEbbT6_jjT7_P12ihipStream_tbENKUlT_T0_SG_SL_E_clIS7_S7_PlSB_EEDaSZ_S10_SG_SL_EUlSZ_E_NS1_11comp_targetILNS1_3genE10ELNS1_11target_archE1201ELNS1_3gpuE5ELNS1_3repE0EEENS1_47radix_sort_onesweep_sort_config_static_selectorELNS0_4arch9wavefront6targetE1EEEvSG_.private_seg_size, 0
	.set _ZN7rocprim17ROCPRIM_400000_NS6detail17trampoline_kernelINS0_14default_configENS1_35radix_sort_onesweep_config_selectorIalEEZZNS1_29radix_sort_onesweep_iterationIS3_Lb0EPaS7_N6thrust23THRUST_200600_302600_NS10device_ptrIlEESB_jNS0_19identity_decomposerENS1_16block_id_wrapperIjLb0EEEEE10hipError_tT1_PNSt15iterator_traitsISG_E10value_typeET2_T3_PNSH_ISM_E10value_typeET4_T5_PSR_SS_PNS1_23onesweep_lookback_stateEbbT6_jjT7_P12ihipStream_tbENKUlT_T0_SG_SL_E_clIS7_S7_PlSB_EEDaSZ_S10_SG_SL_EUlSZ_E_NS1_11comp_targetILNS1_3genE10ELNS1_11target_archE1201ELNS1_3gpuE5ELNS1_3repE0EEENS1_47radix_sort_onesweep_sort_config_static_selectorELNS0_4arch9wavefront6targetE1EEEvSG_.uses_vcc, 0
	.set _ZN7rocprim17ROCPRIM_400000_NS6detail17trampoline_kernelINS0_14default_configENS1_35radix_sort_onesweep_config_selectorIalEEZZNS1_29radix_sort_onesweep_iterationIS3_Lb0EPaS7_N6thrust23THRUST_200600_302600_NS10device_ptrIlEESB_jNS0_19identity_decomposerENS1_16block_id_wrapperIjLb0EEEEE10hipError_tT1_PNSt15iterator_traitsISG_E10value_typeET2_T3_PNSH_ISM_E10value_typeET4_T5_PSR_SS_PNS1_23onesweep_lookback_stateEbbT6_jjT7_P12ihipStream_tbENKUlT_T0_SG_SL_E_clIS7_S7_PlSB_EEDaSZ_S10_SG_SL_EUlSZ_E_NS1_11comp_targetILNS1_3genE10ELNS1_11target_archE1201ELNS1_3gpuE5ELNS1_3repE0EEENS1_47radix_sort_onesweep_sort_config_static_selectorELNS0_4arch9wavefront6targetE1EEEvSG_.uses_flat_scratch, 0
	.set _ZN7rocprim17ROCPRIM_400000_NS6detail17trampoline_kernelINS0_14default_configENS1_35radix_sort_onesweep_config_selectorIalEEZZNS1_29radix_sort_onesweep_iterationIS3_Lb0EPaS7_N6thrust23THRUST_200600_302600_NS10device_ptrIlEESB_jNS0_19identity_decomposerENS1_16block_id_wrapperIjLb0EEEEE10hipError_tT1_PNSt15iterator_traitsISG_E10value_typeET2_T3_PNSH_ISM_E10value_typeET4_T5_PSR_SS_PNS1_23onesweep_lookback_stateEbbT6_jjT7_P12ihipStream_tbENKUlT_T0_SG_SL_E_clIS7_S7_PlSB_EEDaSZ_S10_SG_SL_EUlSZ_E_NS1_11comp_targetILNS1_3genE10ELNS1_11target_archE1201ELNS1_3gpuE5ELNS1_3repE0EEENS1_47radix_sort_onesweep_sort_config_static_selectorELNS0_4arch9wavefront6targetE1EEEvSG_.has_dyn_sized_stack, 0
	.set _ZN7rocprim17ROCPRIM_400000_NS6detail17trampoline_kernelINS0_14default_configENS1_35radix_sort_onesweep_config_selectorIalEEZZNS1_29radix_sort_onesweep_iterationIS3_Lb0EPaS7_N6thrust23THRUST_200600_302600_NS10device_ptrIlEESB_jNS0_19identity_decomposerENS1_16block_id_wrapperIjLb0EEEEE10hipError_tT1_PNSt15iterator_traitsISG_E10value_typeET2_T3_PNSH_ISM_E10value_typeET4_T5_PSR_SS_PNS1_23onesweep_lookback_stateEbbT6_jjT7_P12ihipStream_tbENKUlT_T0_SG_SL_E_clIS7_S7_PlSB_EEDaSZ_S10_SG_SL_EUlSZ_E_NS1_11comp_targetILNS1_3genE10ELNS1_11target_archE1201ELNS1_3gpuE5ELNS1_3repE0EEENS1_47radix_sort_onesweep_sort_config_static_selectorELNS0_4arch9wavefront6targetE1EEEvSG_.has_recursion, 0
	.set _ZN7rocprim17ROCPRIM_400000_NS6detail17trampoline_kernelINS0_14default_configENS1_35radix_sort_onesweep_config_selectorIalEEZZNS1_29radix_sort_onesweep_iterationIS3_Lb0EPaS7_N6thrust23THRUST_200600_302600_NS10device_ptrIlEESB_jNS0_19identity_decomposerENS1_16block_id_wrapperIjLb0EEEEE10hipError_tT1_PNSt15iterator_traitsISG_E10value_typeET2_T3_PNSH_ISM_E10value_typeET4_T5_PSR_SS_PNS1_23onesweep_lookback_stateEbbT6_jjT7_P12ihipStream_tbENKUlT_T0_SG_SL_E_clIS7_S7_PlSB_EEDaSZ_S10_SG_SL_EUlSZ_E_NS1_11comp_targetILNS1_3genE10ELNS1_11target_archE1201ELNS1_3gpuE5ELNS1_3repE0EEENS1_47radix_sort_onesweep_sort_config_static_selectorELNS0_4arch9wavefront6targetE1EEEvSG_.has_indirect_call, 0
	.section	.AMDGPU.csdata,"",@progbits
; Kernel info:
; codeLenInByte = 0
; TotalNumSgprs: 4
; NumVgprs: 0
; ScratchSize: 0
; MemoryBound: 0
; FloatMode: 240
; IeeeMode: 1
; LDSByteSize: 0 bytes/workgroup (compile time only)
; SGPRBlocks: 0
; VGPRBlocks: 0
; NumSGPRsForWavesPerEU: 4
; NumVGPRsForWavesPerEU: 1
; Occupancy: 10
; WaveLimiterHint : 0
; COMPUTE_PGM_RSRC2:SCRATCH_EN: 0
; COMPUTE_PGM_RSRC2:USER_SGPR: 6
; COMPUTE_PGM_RSRC2:TRAP_HANDLER: 0
; COMPUTE_PGM_RSRC2:TGID_X_EN: 1
; COMPUTE_PGM_RSRC2:TGID_Y_EN: 0
; COMPUTE_PGM_RSRC2:TGID_Z_EN: 0
; COMPUTE_PGM_RSRC2:TIDIG_COMP_CNT: 0
	.section	.text._ZN7rocprim17ROCPRIM_400000_NS6detail17trampoline_kernelINS0_14default_configENS1_35radix_sort_onesweep_config_selectorIalEEZZNS1_29radix_sort_onesweep_iterationIS3_Lb0EPaS7_N6thrust23THRUST_200600_302600_NS10device_ptrIlEESB_jNS0_19identity_decomposerENS1_16block_id_wrapperIjLb0EEEEE10hipError_tT1_PNSt15iterator_traitsISG_E10value_typeET2_T3_PNSH_ISM_E10value_typeET4_T5_PSR_SS_PNS1_23onesweep_lookback_stateEbbT6_jjT7_P12ihipStream_tbENKUlT_T0_SG_SL_E_clIS7_S7_PlSB_EEDaSZ_S10_SG_SL_EUlSZ_E_NS1_11comp_targetILNS1_3genE9ELNS1_11target_archE1100ELNS1_3gpuE3ELNS1_3repE0EEENS1_47radix_sort_onesweep_sort_config_static_selectorELNS0_4arch9wavefront6targetE1EEEvSG_,"axG",@progbits,_ZN7rocprim17ROCPRIM_400000_NS6detail17trampoline_kernelINS0_14default_configENS1_35radix_sort_onesweep_config_selectorIalEEZZNS1_29radix_sort_onesweep_iterationIS3_Lb0EPaS7_N6thrust23THRUST_200600_302600_NS10device_ptrIlEESB_jNS0_19identity_decomposerENS1_16block_id_wrapperIjLb0EEEEE10hipError_tT1_PNSt15iterator_traitsISG_E10value_typeET2_T3_PNSH_ISM_E10value_typeET4_T5_PSR_SS_PNS1_23onesweep_lookback_stateEbbT6_jjT7_P12ihipStream_tbENKUlT_T0_SG_SL_E_clIS7_S7_PlSB_EEDaSZ_S10_SG_SL_EUlSZ_E_NS1_11comp_targetILNS1_3genE9ELNS1_11target_archE1100ELNS1_3gpuE3ELNS1_3repE0EEENS1_47radix_sort_onesweep_sort_config_static_selectorELNS0_4arch9wavefront6targetE1EEEvSG_,comdat
	.protected	_ZN7rocprim17ROCPRIM_400000_NS6detail17trampoline_kernelINS0_14default_configENS1_35radix_sort_onesweep_config_selectorIalEEZZNS1_29radix_sort_onesweep_iterationIS3_Lb0EPaS7_N6thrust23THRUST_200600_302600_NS10device_ptrIlEESB_jNS0_19identity_decomposerENS1_16block_id_wrapperIjLb0EEEEE10hipError_tT1_PNSt15iterator_traitsISG_E10value_typeET2_T3_PNSH_ISM_E10value_typeET4_T5_PSR_SS_PNS1_23onesweep_lookback_stateEbbT6_jjT7_P12ihipStream_tbENKUlT_T0_SG_SL_E_clIS7_S7_PlSB_EEDaSZ_S10_SG_SL_EUlSZ_E_NS1_11comp_targetILNS1_3genE9ELNS1_11target_archE1100ELNS1_3gpuE3ELNS1_3repE0EEENS1_47radix_sort_onesweep_sort_config_static_selectorELNS0_4arch9wavefront6targetE1EEEvSG_ ; -- Begin function _ZN7rocprim17ROCPRIM_400000_NS6detail17trampoline_kernelINS0_14default_configENS1_35radix_sort_onesweep_config_selectorIalEEZZNS1_29radix_sort_onesweep_iterationIS3_Lb0EPaS7_N6thrust23THRUST_200600_302600_NS10device_ptrIlEESB_jNS0_19identity_decomposerENS1_16block_id_wrapperIjLb0EEEEE10hipError_tT1_PNSt15iterator_traitsISG_E10value_typeET2_T3_PNSH_ISM_E10value_typeET4_T5_PSR_SS_PNS1_23onesweep_lookback_stateEbbT6_jjT7_P12ihipStream_tbENKUlT_T0_SG_SL_E_clIS7_S7_PlSB_EEDaSZ_S10_SG_SL_EUlSZ_E_NS1_11comp_targetILNS1_3genE9ELNS1_11target_archE1100ELNS1_3gpuE3ELNS1_3repE0EEENS1_47radix_sort_onesweep_sort_config_static_selectorELNS0_4arch9wavefront6targetE1EEEvSG_
	.globl	_ZN7rocprim17ROCPRIM_400000_NS6detail17trampoline_kernelINS0_14default_configENS1_35radix_sort_onesweep_config_selectorIalEEZZNS1_29radix_sort_onesweep_iterationIS3_Lb0EPaS7_N6thrust23THRUST_200600_302600_NS10device_ptrIlEESB_jNS0_19identity_decomposerENS1_16block_id_wrapperIjLb0EEEEE10hipError_tT1_PNSt15iterator_traitsISG_E10value_typeET2_T3_PNSH_ISM_E10value_typeET4_T5_PSR_SS_PNS1_23onesweep_lookback_stateEbbT6_jjT7_P12ihipStream_tbENKUlT_T0_SG_SL_E_clIS7_S7_PlSB_EEDaSZ_S10_SG_SL_EUlSZ_E_NS1_11comp_targetILNS1_3genE9ELNS1_11target_archE1100ELNS1_3gpuE3ELNS1_3repE0EEENS1_47radix_sort_onesweep_sort_config_static_selectorELNS0_4arch9wavefront6targetE1EEEvSG_
	.p2align	8
	.type	_ZN7rocprim17ROCPRIM_400000_NS6detail17trampoline_kernelINS0_14default_configENS1_35radix_sort_onesweep_config_selectorIalEEZZNS1_29radix_sort_onesweep_iterationIS3_Lb0EPaS7_N6thrust23THRUST_200600_302600_NS10device_ptrIlEESB_jNS0_19identity_decomposerENS1_16block_id_wrapperIjLb0EEEEE10hipError_tT1_PNSt15iterator_traitsISG_E10value_typeET2_T3_PNSH_ISM_E10value_typeET4_T5_PSR_SS_PNS1_23onesweep_lookback_stateEbbT6_jjT7_P12ihipStream_tbENKUlT_T0_SG_SL_E_clIS7_S7_PlSB_EEDaSZ_S10_SG_SL_EUlSZ_E_NS1_11comp_targetILNS1_3genE9ELNS1_11target_archE1100ELNS1_3gpuE3ELNS1_3repE0EEENS1_47radix_sort_onesweep_sort_config_static_selectorELNS0_4arch9wavefront6targetE1EEEvSG_,@function
_ZN7rocprim17ROCPRIM_400000_NS6detail17trampoline_kernelINS0_14default_configENS1_35radix_sort_onesweep_config_selectorIalEEZZNS1_29radix_sort_onesweep_iterationIS3_Lb0EPaS7_N6thrust23THRUST_200600_302600_NS10device_ptrIlEESB_jNS0_19identity_decomposerENS1_16block_id_wrapperIjLb0EEEEE10hipError_tT1_PNSt15iterator_traitsISG_E10value_typeET2_T3_PNSH_ISM_E10value_typeET4_T5_PSR_SS_PNS1_23onesweep_lookback_stateEbbT6_jjT7_P12ihipStream_tbENKUlT_T0_SG_SL_E_clIS7_S7_PlSB_EEDaSZ_S10_SG_SL_EUlSZ_E_NS1_11comp_targetILNS1_3genE9ELNS1_11target_archE1100ELNS1_3gpuE3ELNS1_3repE0EEENS1_47radix_sort_onesweep_sort_config_static_selectorELNS0_4arch9wavefront6targetE1EEEvSG_: ; @_ZN7rocprim17ROCPRIM_400000_NS6detail17trampoline_kernelINS0_14default_configENS1_35radix_sort_onesweep_config_selectorIalEEZZNS1_29radix_sort_onesweep_iterationIS3_Lb0EPaS7_N6thrust23THRUST_200600_302600_NS10device_ptrIlEESB_jNS0_19identity_decomposerENS1_16block_id_wrapperIjLb0EEEEE10hipError_tT1_PNSt15iterator_traitsISG_E10value_typeET2_T3_PNSH_ISM_E10value_typeET4_T5_PSR_SS_PNS1_23onesweep_lookback_stateEbbT6_jjT7_P12ihipStream_tbENKUlT_T0_SG_SL_E_clIS7_S7_PlSB_EEDaSZ_S10_SG_SL_EUlSZ_E_NS1_11comp_targetILNS1_3genE9ELNS1_11target_archE1100ELNS1_3gpuE3ELNS1_3repE0EEENS1_47radix_sort_onesweep_sort_config_static_selectorELNS0_4arch9wavefront6targetE1EEEvSG_
; %bb.0:
	.section	.rodata,"a",@progbits
	.p2align	6, 0x0
	.amdhsa_kernel _ZN7rocprim17ROCPRIM_400000_NS6detail17trampoline_kernelINS0_14default_configENS1_35radix_sort_onesweep_config_selectorIalEEZZNS1_29radix_sort_onesweep_iterationIS3_Lb0EPaS7_N6thrust23THRUST_200600_302600_NS10device_ptrIlEESB_jNS0_19identity_decomposerENS1_16block_id_wrapperIjLb0EEEEE10hipError_tT1_PNSt15iterator_traitsISG_E10value_typeET2_T3_PNSH_ISM_E10value_typeET4_T5_PSR_SS_PNS1_23onesweep_lookback_stateEbbT6_jjT7_P12ihipStream_tbENKUlT_T0_SG_SL_E_clIS7_S7_PlSB_EEDaSZ_S10_SG_SL_EUlSZ_E_NS1_11comp_targetILNS1_3genE9ELNS1_11target_archE1100ELNS1_3gpuE3ELNS1_3repE0EEENS1_47radix_sort_onesweep_sort_config_static_selectorELNS0_4arch9wavefront6targetE1EEEvSG_
		.amdhsa_group_segment_fixed_size 0
		.amdhsa_private_segment_fixed_size 0
		.amdhsa_kernarg_size 88
		.amdhsa_user_sgpr_count 6
		.amdhsa_user_sgpr_private_segment_buffer 1
		.amdhsa_user_sgpr_dispatch_ptr 0
		.amdhsa_user_sgpr_queue_ptr 0
		.amdhsa_user_sgpr_kernarg_segment_ptr 1
		.amdhsa_user_sgpr_dispatch_id 0
		.amdhsa_user_sgpr_flat_scratch_init 0
		.amdhsa_user_sgpr_private_segment_size 0
		.amdhsa_uses_dynamic_stack 0
		.amdhsa_system_sgpr_private_segment_wavefront_offset 0
		.amdhsa_system_sgpr_workgroup_id_x 1
		.amdhsa_system_sgpr_workgroup_id_y 0
		.amdhsa_system_sgpr_workgroup_id_z 0
		.amdhsa_system_sgpr_workgroup_info 0
		.amdhsa_system_vgpr_workitem_id 0
		.amdhsa_next_free_vgpr 1
		.amdhsa_next_free_sgpr 0
		.amdhsa_reserve_vcc 0
		.amdhsa_reserve_flat_scratch 0
		.amdhsa_float_round_mode_32 0
		.amdhsa_float_round_mode_16_64 0
		.amdhsa_float_denorm_mode_32 3
		.amdhsa_float_denorm_mode_16_64 3
		.amdhsa_dx10_clamp 1
		.amdhsa_ieee_mode 1
		.amdhsa_fp16_overflow 0
		.amdhsa_exception_fp_ieee_invalid_op 0
		.amdhsa_exception_fp_denorm_src 0
		.amdhsa_exception_fp_ieee_div_zero 0
		.amdhsa_exception_fp_ieee_overflow 0
		.amdhsa_exception_fp_ieee_underflow 0
		.amdhsa_exception_fp_ieee_inexact 0
		.amdhsa_exception_int_div_zero 0
	.end_amdhsa_kernel
	.section	.text._ZN7rocprim17ROCPRIM_400000_NS6detail17trampoline_kernelINS0_14default_configENS1_35radix_sort_onesweep_config_selectorIalEEZZNS1_29radix_sort_onesweep_iterationIS3_Lb0EPaS7_N6thrust23THRUST_200600_302600_NS10device_ptrIlEESB_jNS0_19identity_decomposerENS1_16block_id_wrapperIjLb0EEEEE10hipError_tT1_PNSt15iterator_traitsISG_E10value_typeET2_T3_PNSH_ISM_E10value_typeET4_T5_PSR_SS_PNS1_23onesweep_lookback_stateEbbT6_jjT7_P12ihipStream_tbENKUlT_T0_SG_SL_E_clIS7_S7_PlSB_EEDaSZ_S10_SG_SL_EUlSZ_E_NS1_11comp_targetILNS1_3genE9ELNS1_11target_archE1100ELNS1_3gpuE3ELNS1_3repE0EEENS1_47radix_sort_onesweep_sort_config_static_selectorELNS0_4arch9wavefront6targetE1EEEvSG_,"axG",@progbits,_ZN7rocprim17ROCPRIM_400000_NS6detail17trampoline_kernelINS0_14default_configENS1_35radix_sort_onesweep_config_selectorIalEEZZNS1_29radix_sort_onesweep_iterationIS3_Lb0EPaS7_N6thrust23THRUST_200600_302600_NS10device_ptrIlEESB_jNS0_19identity_decomposerENS1_16block_id_wrapperIjLb0EEEEE10hipError_tT1_PNSt15iterator_traitsISG_E10value_typeET2_T3_PNSH_ISM_E10value_typeET4_T5_PSR_SS_PNS1_23onesweep_lookback_stateEbbT6_jjT7_P12ihipStream_tbENKUlT_T0_SG_SL_E_clIS7_S7_PlSB_EEDaSZ_S10_SG_SL_EUlSZ_E_NS1_11comp_targetILNS1_3genE9ELNS1_11target_archE1100ELNS1_3gpuE3ELNS1_3repE0EEENS1_47radix_sort_onesweep_sort_config_static_selectorELNS0_4arch9wavefront6targetE1EEEvSG_,comdat
.Lfunc_end652:
	.size	_ZN7rocprim17ROCPRIM_400000_NS6detail17trampoline_kernelINS0_14default_configENS1_35radix_sort_onesweep_config_selectorIalEEZZNS1_29radix_sort_onesweep_iterationIS3_Lb0EPaS7_N6thrust23THRUST_200600_302600_NS10device_ptrIlEESB_jNS0_19identity_decomposerENS1_16block_id_wrapperIjLb0EEEEE10hipError_tT1_PNSt15iterator_traitsISG_E10value_typeET2_T3_PNSH_ISM_E10value_typeET4_T5_PSR_SS_PNS1_23onesweep_lookback_stateEbbT6_jjT7_P12ihipStream_tbENKUlT_T0_SG_SL_E_clIS7_S7_PlSB_EEDaSZ_S10_SG_SL_EUlSZ_E_NS1_11comp_targetILNS1_3genE9ELNS1_11target_archE1100ELNS1_3gpuE3ELNS1_3repE0EEENS1_47radix_sort_onesweep_sort_config_static_selectorELNS0_4arch9wavefront6targetE1EEEvSG_, .Lfunc_end652-_ZN7rocprim17ROCPRIM_400000_NS6detail17trampoline_kernelINS0_14default_configENS1_35radix_sort_onesweep_config_selectorIalEEZZNS1_29radix_sort_onesweep_iterationIS3_Lb0EPaS7_N6thrust23THRUST_200600_302600_NS10device_ptrIlEESB_jNS0_19identity_decomposerENS1_16block_id_wrapperIjLb0EEEEE10hipError_tT1_PNSt15iterator_traitsISG_E10value_typeET2_T3_PNSH_ISM_E10value_typeET4_T5_PSR_SS_PNS1_23onesweep_lookback_stateEbbT6_jjT7_P12ihipStream_tbENKUlT_T0_SG_SL_E_clIS7_S7_PlSB_EEDaSZ_S10_SG_SL_EUlSZ_E_NS1_11comp_targetILNS1_3genE9ELNS1_11target_archE1100ELNS1_3gpuE3ELNS1_3repE0EEENS1_47radix_sort_onesweep_sort_config_static_selectorELNS0_4arch9wavefront6targetE1EEEvSG_
                                        ; -- End function
	.set _ZN7rocprim17ROCPRIM_400000_NS6detail17trampoline_kernelINS0_14default_configENS1_35radix_sort_onesweep_config_selectorIalEEZZNS1_29radix_sort_onesweep_iterationIS3_Lb0EPaS7_N6thrust23THRUST_200600_302600_NS10device_ptrIlEESB_jNS0_19identity_decomposerENS1_16block_id_wrapperIjLb0EEEEE10hipError_tT1_PNSt15iterator_traitsISG_E10value_typeET2_T3_PNSH_ISM_E10value_typeET4_T5_PSR_SS_PNS1_23onesweep_lookback_stateEbbT6_jjT7_P12ihipStream_tbENKUlT_T0_SG_SL_E_clIS7_S7_PlSB_EEDaSZ_S10_SG_SL_EUlSZ_E_NS1_11comp_targetILNS1_3genE9ELNS1_11target_archE1100ELNS1_3gpuE3ELNS1_3repE0EEENS1_47radix_sort_onesweep_sort_config_static_selectorELNS0_4arch9wavefront6targetE1EEEvSG_.num_vgpr, 0
	.set _ZN7rocprim17ROCPRIM_400000_NS6detail17trampoline_kernelINS0_14default_configENS1_35radix_sort_onesweep_config_selectorIalEEZZNS1_29radix_sort_onesweep_iterationIS3_Lb0EPaS7_N6thrust23THRUST_200600_302600_NS10device_ptrIlEESB_jNS0_19identity_decomposerENS1_16block_id_wrapperIjLb0EEEEE10hipError_tT1_PNSt15iterator_traitsISG_E10value_typeET2_T3_PNSH_ISM_E10value_typeET4_T5_PSR_SS_PNS1_23onesweep_lookback_stateEbbT6_jjT7_P12ihipStream_tbENKUlT_T0_SG_SL_E_clIS7_S7_PlSB_EEDaSZ_S10_SG_SL_EUlSZ_E_NS1_11comp_targetILNS1_3genE9ELNS1_11target_archE1100ELNS1_3gpuE3ELNS1_3repE0EEENS1_47radix_sort_onesweep_sort_config_static_selectorELNS0_4arch9wavefront6targetE1EEEvSG_.num_agpr, 0
	.set _ZN7rocprim17ROCPRIM_400000_NS6detail17trampoline_kernelINS0_14default_configENS1_35radix_sort_onesweep_config_selectorIalEEZZNS1_29radix_sort_onesweep_iterationIS3_Lb0EPaS7_N6thrust23THRUST_200600_302600_NS10device_ptrIlEESB_jNS0_19identity_decomposerENS1_16block_id_wrapperIjLb0EEEEE10hipError_tT1_PNSt15iterator_traitsISG_E10value_typeET2_T3_PNSH_ISM_E10value_typeET4_T5_PSR_SS_PNS1_23onesweep_lookback_stateEbbT6_jjT7_P12ihipStream_tbENKUlT_T0_SG_SL_E_clIS7_S7_PlSB_EEDaSZ_S10_SG_SL_EUlSZ_E_NS1_11comp_targetILNS1_3genE9ELNS1_11target_archE1100ELNS1_3gpuE3ELNS1_3repE0EEENS1_47radix_sort_onesweep_sort_config_static_selectorELNS0_4arch9wavefront6targetE1EEEvSG_.numbered_sgpr, 0
	.set _ZN7rocprim17ROCPRIM_400000_NS6detail17trampoline_kernelINS0_14default_configENS1_35radix_sort_onesweep_config_selectorIalEEZZNS1_29radix_sort_onesweep_iterationIS3_Lb0EPaS7_N6thrust23THRUST_200600_302600_NS10device_ptrIlEESB_jNS0_19identity_decomposerENS1_16block_id_wrapperIjLb0EEEEE10hipError_tT1_PNSt15iterator_traitsISG_E10value_typeET2_T3_PNSH_ISM_E10value_typeET4_T5_PSR_SS_PNS1_23onesweep_lookback_stateEbbT6_jjT7_P12ihipStream_tbENKUlT_T0_SG_SL_E_clIS7_S7_PlSB_EEDaSZ_S10_SG_SL_EUlSZ_E_NS1_11comp_targetILNS1_3genE9ELNS1_11target_archE1100ELNS1_3gpuE3ELNS1_3repE0EEENS1_47radix_sort_onesweep_sort_config_static_selectorELNS0_4arch9wavefront6targetE1EEEvSG_.num_named_barrier, 0
	.set _ZN7rocprim17ROCPRIM_400000_NS6detail17trampoline_kernelINS0_14default_configENS1_35radix_sort_onesweep_config_selectorIalEEZZNS1_29radix_sort_onesweep_iterationIS3_Lb0EPaS7_N6thrust23THRUST_200600_302600_NS10device_ptrIlEESB_jNS0_19identity_decomposerENS1_16block_id_wrapperIjLb0EEEEE10hipError_tT1_PNSt15iterator_traitsISG_E10value_typeET2_T3_PNSH_ISM_E10value_typeET4_T5_PSR_SS_PNS1_23onesweep_lookback_stateEbbT6_jjT7_P12ihipStream_tbENKUlT_T0_SG_SL_E_clIS7_S7_PlSB_EEDaSZ_S10_SG_SL_EUlSZ_E_NS1_11comp_targetILNS1_3genE9ELNS1_11target_archE1100ELNS1_3gpuE3ELNS1_3repE0EEENS1_47radix_sort_onesweep_sort_config_static_selectorELNS0_4arch9wavefront6targetE1EEEvSG_.private_seg_size, 0
	.set _ZN7rocprim17ROCPRIM_400000_NS6detail17trampoline_kernelINS0_14default_configENS1_35radix_sort_onesweep_config_selectorIalEEZZNS1_29radix_sort_onesweep_iterationIS3_Lb0EPaS7_N6thrust23THRUST_200600_302600_NS10device_ptrIlEESB_jNS0_19identity_decomposerENS1_16block_id_wrapperIjLb0EEEEE10hipError_tT1_PNSt15iterator_traitsISG_E10value_typeET2_T3_PNSH_ISM_E10value_typeET4_T5_PSR_SS_PNS1_23onesweep_lookback_stateEbbT6_jjT7_P12ihipStream_tbENKUlT_T0_SG_SL_E_clIS7_S7_PlSB_EEDaSZ_S10_SG_SL_EUlSZ_E_NS1_11comp_targetILNS1_3genE9ELNS1_11target_archE1100ELNS1_3gpuE3ELNS1_3repE0EEENS1_47radix_sort_onesweep_sort_config_static_selectorELNS0_4arch9wavefront6targetE1EEEvSG_.uses_vcc, 0
	.set _ZN7rocprim17ROCPRIM_400000_NS6detail17trampoline_kernelINS0_14default_configENS1_35radix_sort_onesweep_config_selectorIalEEZZNS1_29radix_sort_onesweep_iterationIS3_Lb0EPaS7_N6thrust23THRUST_200600_302600_NS10device_ptrIlEESB_jNS0_19identity_decomposerENS1_16block_id_wrapperIjLb0EEEEE10hipError_tT1_PNSt15iterator_traitsISG_E10value_typeET2_T3_PNSH_ISM_E10value_typeET4_T5_PSR_SS_PNS1_23onesweep_lookback_stateEbbT6_jjT7_P12ihipStream_tbENKUlT_T0_SG_SL_E_clIS7_S7_PlSB_EEDaSZ_S10_SG_SL_EUlSZ_E_NS1_11comp_targetILNS1_3genE9ELNS1_11target_archE1100ELNS1_3gpuE3ELNS1_3repE0EEENS1_47radix_sort_onesweep_sort_config_static_selectorELNS0_4arch9wavefront6targetE1EEEvSG_.uses_flat_scratch, 0
	.set _ZN7rocprim17ROCPRIM_400000_NS6detail17trampoline_kernelINS0_14default_configENS1_35radix_sort_onesweep_config_selectorIalEEZZNS1_29radix_sort_onesweep_iterationIS3_Lb0EPaS7_N6thrust23THRUST_200600_302600_NS10device_ptrIlEESB_jNS0_19identity_decomposerENS1_16block_id_wrapperIjLb0EEEEE10hipError_tT1_PNSt15iterator_traitsISG_E10value_typeET2_T3_PNSH_ISM_E10value_typeET4_T5_PSR_SS_PNS1_23onesweep_lookback_stateEbbT6_jjT7_P12ihipStream_tbENKUlT_T0_SG_SL_E_clIS7_S7_PlSB_EEDaSZ_S10_SG_SL_EUlSZ_E_NS1_11comp_targetILNS1_3genE9ELNS1_11target_archE1100ELNS1_3gpuE3ELNS1_3repE0EEENS1_47radix_sort_onesweep_sort_config_static_selectorELNS0_4arch9wavefront6targetE1EEEvSG_.has_dyn_sized_stack, 0
	.set _ZN7rocprim17ROCPRIM_400000_NS6detail17trampoline_kernelINS0_14default_configENS1_35radix_sort_onesweep_config_selectorIalEEZZNS1_29radix_sort_onesweep_iterationIS3_Lb0EPaS7_N6thrust23THRUST_200600_302600_NS10device_ptrIlEESB_jNS0_19identity_decomposerENS1_16block_id_wrapperIjLb0EEEEE10hipError_tT1_PNSt15iterator_traitsISG_E10value_typeET2_T3_PNSH_ISM_E10value_typeET4_T5_PSR_SS_PNS1_23onesweep_lookback_stateEbbT6_jjT7_P12ihipStream_tbENKUlT_T0_SG_SL_E_clIS7_S7_PlSB_EEDaSZ_S10_SG_SL_EUlSZ_E_NS1_11comp_targetILNS1_3genE9ELNS1_11target_archE1100ELNS1_3gpuE3ELNS1_3repE0EEENS1_47radix_sort_onesweep_sort_config_static_selectorELNS0_4arch9wavefront6targetE1EEEvSG_.has_recursion, 0
	.set _ZN7rocprim17ROCPRIM_400000_NS6detail17trampoline_kernelINS0_14default_configENS1_35radix_sort_onesweep_config_selectorIalEEZZNS1_29radix_sort_onesweep_iterationIS3_Lb0EPaS7_N6thrust23THRUST_200600_302600_NS10device_ptrIlEESB_jNS0_19identity_decomposerENS1_16block_id_wrapperIjLb0EEEEE10hipError_tT1_PNSt15iterator_traitsISG_E10value_typeET2_T3_PNSH_ISM_E10value_typeET4_T5_PSR_SS_PNS1_23onesweep_lookback_stateEbbT6_jjT7_P12ihipStream_tbENKUlT_T0_SG_SL_E_clIS7_S7_PlSB_EEDaSZ_S10_SG_SL_EUlSZ_E_NS1_11comp_targetILNS1_3genE9ELNS1_11target_archE1100ELNS1_3gpuE3ELNS1_3repE0EEENS1_47radix_sort_onesweep_sort_config_static_selectorELNS0_4arch9wavefront6targetE1EEEvSG_.has_indirect_call, 0
	.section	.AMDGPU.csdata,"",@progbits
; Kernel info:
; codeLenInByte = 0
; TotalNumSgprs: 4
; NumVgprs: 0
; ScratchSize: 0
; MemoryBound: 0
; FloatMode: 240
; IeeeMode: 1
; LDSByteSize: 0 bytes/workgroup (compile time only)
; SGPRBlocks: 0
; VGPRBlocks: 0
; NumSGPRsForWavesPerEU: 4
; NumVGPRsForWavesPerEU: 1
; Occupancy: 10
; WaveLimiterHint : 0
; COMPUTE_PGM_RSRC2:SCRATCH_EN: 0
; COMPUTE_PGM_RSRC2:USER_SGPR: 6
; COMPUTE_PGM_RSRC2:TRAP_HANDLER: 0
; COMPUTE_PGM_RSRC2:TGID_X_EN: 1
; COMPUTE_PGM_RSRC2:TGID_Y_EN: 0
; COMPUTE_PGM_RSRC2:TGID_Z_EN: 0
; COMPUTE_PGM_RSRC2:TIDIG_COMP_CNT: 0
	.section	.text._ZN7rocprim17ROCPRIM_400000_NS6detail17trampoline_kernelINS0_14default_configENS1_35radix_sort_onesweep_config_selectorIalEEZZNS1_29radix_sort_onesweep_iterationIS3_Lb0EPaS7_N6thrust23THRUST_200600_302600_NS10device_ptrIlEESB_jNS0_19identity_decomposerENS1_16block_id_wrapperIjLb0EEEEE10hipError_tT1_PNSt15iterator_traitsISG_E10value_typeET2_T3_PNSH_ISM_E10value_typeET4_T5_PSR_SS_PNS1_23onesweep_lookback_stateEbbT6_jjT7_P12ihipStream_tbENKUlT_T0_SG_SL_E_clIS7_S7_PlSB_EEDaSZ_S10_SG_SL_EUlSZ_E_NS1_11comp_targetILNS1_3genE8ELNS1_11target_archE1030ELNS1_3gpuE2ELNS1_3repE0EEENS1_47radix_sort_onesweep_sort_config_static_selectorELNS0_4arch9wavefront6targetE1EEEvSG_,"axG",@progbits,_ZN7rocprim17ROCPRIM_400000_NS6detail17trampoline_kernelINS0_14default_configENS1_35radix_sort_onesweep_config_selectorIalEEZZNS1_29radix_sort_onesweep_iterationIS3_Lb0EPaS7_N6thrust23THRUST_200600_302600_NS10device_ptrIlEESB_jNS0_19identity_decomposerENS1_16block_id_wrapperIjLb0EEEEE10hipError_tT1_PNSt15iterator_traitsISG_E10value_typeET2_T3_PNSH_ISM_E10value_typeET4_T5_PSR_SS_PNS1_23onesweep_lookback_stateEbbT6_jjT7_P12ihipStream_tbENKUlT_T0_SG_SL_E_clIS7_S7_PlSB_EEDaSZ_S10_SG_SL_EUlSZ_E_NS1_11comp_targetILNS1_3genE8ELNS1_11target_archE1030ELNS1_3gpuE2ELNS1_3repE0EEENS1_47radix_sort_onesweep_sort_config_static_selectorELNS0_4arch9wavefront6targetE1EEEvSG_,comdat
	.protected	_ZN7rocprim17ROCPRIM_400000_NS6detail17trampoline_kernelINS0_14default_configENS1_35radix_sort_onesweep_config_selectorIalEEZZNS1_29radix_sort_onesweep_iterationIS3_Lb0EPaS7_N6thrust23THRUST_200600_302600_NS10device_ptrIlEESB_jNS0_19identity_decomposerENS1_16block_id_wrapperIjLb0EEEEE10hipError_tT1_PNSt15iterator_traitsISG_E10value_typeET2_T3_PNSH_ISM_E10value_typeET4_T5_PSR_SS_PNS1_23onesweep_lookback_stateEbbT6_jjT7_P12ihipStream_tbENKUlT_T0_SG_SL_E_clIS7_S7_PlSB_EEDaSZ_S10_SG_SL_EUlSZ_E_NS1_11comp_targetILNS1_3genE8ELNS1_11target_archE1030ELNS1_3gpuE2ELNS1_3repE0EEENS1_47radix_sort_onesweep_sort_config_static_selectorELNS0_4arch9wavefront6targetE1EEEvSG_ ; -- Begin function _ZN7rocprim17ROCPRIM_400000_NS6detail17trampoline_kernelINS0_14default_configENS1_35radix_sort_onesweep_config_selectorIalEEZZNS1_29radix_sort_onesweep_iterationIS3_Lb0EPaS7_N6thrust23THRUST_200600_302600_NS10device_ptrIlEESB_jNS0_19identity_decomposerENS1_16block_id_wrapperIjLb0EEEEE10hipError_tT1_PNSt15iterator_traitsISG_E10value_typeET2_T3_PNSH_ISM_E10value_typeET4_T5_PSR_SS_PNS1_23onesweep_lookback_stateEbbT6_jjT7_P12ihipStream_tbENKUlT_T0_SG_SL_E_clIS7_S7_PlSB_EEDaSZ_S10_SG_SL_EUlSZ_E_NS1_11comp_targetILNS1_3genE8ELNS1_11target_archE1030ELNS1_3gpuE2ELNS1_3repE0EEENS1_47radix_sort_onesweep_sort_config_static_selectorELNS0_4arch9wavefront6targetE1EEEvSG_
	.globl	_ZN7rocprim17ROCPRIM_400000_NS6detail17trampoline_kernelINS0_14default_configENS1_35radix_sort_onesweep_config_selectorIalEEZZNS1_29radix_sort_onesweep_iterationIS3_Lb0EPaS7_N6thrust23THRUST_200600_302600_NS10device_ptrIlEESB_jNS0_19identity_decomposerENS1_16block_id_wrapperIjLb0EEEEE10hipError_tT1_PNSt15iterator_traitsISG_E10value_typeET2_T3_PNSH_ISM_E10value_typeET4_T5_PSR_SS_PNS1_23onesweep_lookback_stateEbbT6_jjT7_P12ihipStream_tbENKUlT_T0_SG_SL_E_clIS7_S7_PlSB_EEDaSZ_S10_SG_SL_EUlSZ_E_NS1_11comp_targetILNS1_3genE8ELNS1_11target_archE1030ELNS1_3gpuE2ELNS1_3repE0EEENS1_47radix_sort_onesweep_sort_config_static_selectorELNS0_4arch9wavefront6targetE1EEEvSG_
	.p2align	8
	.type	_ZN7rocprim17ROCPRIM_400000_NS6detail17trampoline_kernelINS0_14default_configENS1_35radix_sort_onesweep_config_selectorIalEEZZNS1_29radix_sort_onesweep_iterationIS3_Lb0EPaS7_N6thrust23THRUST_200600_302600_NS10device_ptrIlEESB_jNS0_19identity_decomposerENS1_16block_id_wrapperIjLb0EEEEE10hipError_tT1_PNSt15iterator_traitsISG_E10value_typeET2_T3_PNSH_ISM_E10value_typeET4_T5_PSR_SS_PNS1_23onesweep_lookback_stateEbbT6_jjT7_P12ihipStream_tbENKUlT_T0_SG_SL_E_clIS7_S7_PlSB_EEDaSZ_S10_SG_SL_EUlSZ_E_NS1_11comp_targetILNS1_3genE8ELNS1_11target_archE1030ELNS1_3gpuE2ELNS1_3repE0EEENS1_47radix_sort_onesweep_sort_config_static_selectorELNS0_4arch9wavefront6targetE1EEEvSG_,@function
_ZN7rocprim17ROCPRIM_400000_NS6detail17trampoline_kernelINS0_14default_configENS1_35radix_sort_onesweep_config_selectorIalEEZZNS1_29radix_sort_onesweep_iterationIS3_Lb0EPaS7_N6thrust23THRUST_200600_302600_NS10device_ptrIlEESB_jNS0_19identity_decomposerENS1_16block_id_wrapperIjLb0EEEEE10hipError_tT1_PNSt15iterator_traitsISG_E10value_typeET2_T3_PNSH_ISM_E10value_typeET4_T5_PSR_SS_PNS1_23onesweep_lookback_stateEbbT6_jjT7_P12ihipStream_tbENKUlT_T0_SG_SL_E_clIS7_S7_PlSB_EEDaSZ_S10_SG_SL_EUlSZ_E_NS1_11comp_targetILNS1_3genE8ELNS1_11target_archE1030ELNS1_3gpuE2ELNS1_3repE0EEENS1_47radix_sort_onesweep_sort_config_static_selectorELNS0_4arch9wavefront6targetE1EEEvSG_: ; @_ZN7rocprim17ROCPRIM_400000_NS6detail17trampoline_kernelINS0_14default_configENS1_35radix_sort_onesweep_config_selectorIalEEZZNS1_29radix_sort_onesweep_iterationIS3_Lb0EPaS7_N6thrust23THRUST_200600_302600_NS10device_ptrIlEESB_jNS0_19identity_decomposerENS1_16block_id_wrapperIjLb0EEEEE10hipError_tT1_PNSt15iterator_traitsISG_E10value_typeET2_T3_PNSH_ISM_E10value_typeET4_T5_PSR_SS_PNS1_23onesweep_lookback_stateEbbT6_jjT7_P12ihipStream_tbENKUlT_T0_SG_SL_E_clIS7_S7_PlSB_EEDaSZ_S10_SG_SL_EUlSZ_E_NS1_11comp_targetILNS1_3genE8ELNS1_11target_archE1030ELNS1_3gpuE2ELNS1_3repE0EEENS1_47radix_sort_onesweep_sort_config_static_selectorELNS0_4arch9wavefront6targetE1EEEvSG_
; %bb.0:
	.section	.rodata,"a",@progbits
	.p2align	6, 0x0
	.amdhsa_kernel _ZN7rocprim17ROCPRIM_400000_NS6detail17trampoline_kernelINS0_14default_configENS1_35radix_sort_onesweep_config_selectorIalEEZZNS1_29radix_sort_onesweep_iterationIS3_Lb0EPaS7_N6thrust23THRUST_200600_302600_NS10device_ptrIlEESB_jNS0_19identity_decomposerENS1_16block_id_wrapperIjLb0EEEEE10hipError_tT1_PNSt15iterator_traitsISG_E10value_typeET2_T3_PNSH_ISM_E10value_typeET4_T5_PSR_SS_PNS1_23onesweep_lookback_stateEbbT6_jjT7_P12ihipStream_tbENKUlT_T0_SG_SL_E_clIS7_S7_PlSB_EEDaSZ_S10_SG_SL_EUlSZ_E_NS1_11comp_targetILNS1_3genE8ELNS1_11target_archE1030ELNS1_3gpuE2ELNS1_3repE0EEENS1_47radix_sort_onesweep_sort_config_static_selectorELNS0_4arch9wavefront6targetE1EEEvSG_
		.amdhsa_group_segment_fixed_size 0
		.amdhsa_private_segment_fixed_size 0
		.amdhsa_kernarg_size 88
		.amdhsa_user_sgpr_count 6
		.amdhsa_user_sgpr_private_segment_buffer 1
		.amdhsa_user_sgpr_dispatch_ptr 0
		.amdhsa_user_sgpr_queue_ptr 0
		.amdhsa_user_sgpr_kernarg_segment_ptr 1
		.amdhsa_user_sgpr_dispatch_id 0
		.amdhsa_user_sgpr_flat_scratch_init 0
		.amdhsa_user_sgpr_private_segment_size 0
		.amdhsa_uses_dynamic_stack 0
		.amdhsa_system_sgpr_private_segment_wavefront_offset 0
		.amdhsa_system_sgpr_workgroup_id_x 1
		.amdhsa_system_sgpr_workgroup_id_y 0
		.amdhsa_system_sgpr_workgroup_id_z 0
		.amdhsa_system_sgpr_workgroup_info 0
		.amdhsa_system_vgpr_workitem_id 0
		.amdhsa_next_free_vgpr 1
		.amdhsa_next_free_sgpr 0
		.amdhsa_reserve_vcc 0
		.amdhsa_reserve_flat_scratch 0
		.amdhsa_float_round_mode_32 0
		.amdhsa_float_round_mode_16_64 0
		.amdhsa_float_denorm_mode_32 3
		.amdhsa_float_denorm_mode_16_64 3
		.amdhsa_dx10_clamp 1
		.amdhsa_ieee_mode 1
		.amdhsa_fp16_overflow 0
		.amdhsa_exception_fp_ieee_invalid_op 0
		.amdhsa_exception_fp_denorm_src 0
		.amdhsa_exception_fp_ieee_div_zero 0
		.amdhsa_exception_fp_ieee_overflow 0
		.amdhsa_exception_fp_ieee_underflow 0
		.amdhsa_exception_fp_ieee_inexact 0
		.amdhsa_exception_int_div_zero 0
	.end_amdhsa_kernel
	.section	.text._ZN7rocprim17ROCPRIM_400000_NS6detail17trampoline_kernelINS0_14default_configENS1_35radix_sort_onesweep_config_selectorIalEEZZNS1_29radix_sort_onesweep_iterationIS3_Lb0EPaS7_N6thrust23THRUST_200600_302600_NS10device_ptrIlEESB_jNS0_19identity_decomposerENS1_16block_id_wrapperIjLb0EEEEE10hipError_tT1_PNSt15iterator_traitsISG_E10value_typeET2_T3_PNSH_ISM_E10value_typeET4_T5_PSR_SS_PNS1_23onesweep_lookback_stateEbbT6_jjT7_P12ihipStream_tbENKUlT_T0_SG_SL_E_clIS7_S7_PlSB_EEDaSZ_S10_SG_SL_EUlSZ_E_NS1_11comp_targetILNS1_3genE8ELNS1_11target_archE1030ELNS1_3gpuE2ELNS1_3repE0EEENS1_47radix_sort_onesweep_sort_config_static_selectorELNS0_4arch9wavefront6targetE1EEEvSG_,"axG",@progbits,_ZN7rocprim17ROCPRIM_400000_NS6detail17trampoline_kernelINS0_14default_configENS1_35radix_sort_onesweep_config_selectorIalEEZZNS1_29radix_sort_onesweep_iterationIS3_Lb0EPaS7_N6thrust23THRUST_200600_302600_NS10device_ptrIlEESB_jNS0_19identity_decomposerENS1_16block_id_wrapperIjLb0EEEEE10hipError_tT1_PNSt15iterator_traitsISG_E10value_typeET2_T3_PNSH_ISM_E10value_typeET4_T5_PSR_SS_PNS1_23onesweep_lookback_stateEbbT6_jjT7_P12ihipStream_tbENKUlT_T0_SG_SL_E_clIS7_S7_PlSB_EEDaSZ_S10_SG_SL_EUlSZ_E_NS1_11comp_targetILNS1_3genE8ELNS1_11target_archE1030ELNS1_3gpuE2ELNS1_3repE0EEENS1_47radix_sort_onesweep_sort_config_static_selectorELNS0_4arch9wavefront6targetE1EEEvSG_,comdat
.Lfunc_end653:
	.size	_ZN7rocprim17ROCPRIM_400000_NS6detail17trampoline_kernelINS0_14default_configENS1_35radix_sort_onesweep_config_selectorIalEEZZNS1_29radix_sort_onesweep_iterationIS3_Lb0EPaS7_N6thrust23THRUST_200600_302600_NS10device_ptrIlEESB_jNS0_19identity_decomposerENS1_16block_id_wrapperIjLb0EEEEE10hipError_tT1_PNSt15iterator_traitsISG_E10value_typeET2_T3_PNSH_ISM_E10value_typeET4_T5_PSR_SS_PNS1_23onesweep_lookback_stateEbbT6_jjT7_P12ihipStream_tbENKUlT_T0_SG_SL_E_clIS7_S7_PlSB_EEDaSZ_S10_SG_SL_EUlSZ_E_NS1_11comp_targetILNS1_3genE8ELNS1_11target_archE1030ELNS1_3gpuE2ELNS1_3repE0EEENS1_47radix_sort_onesweep_sort_config_static_selectorELNS0_4arch9wavefront6targetE1EEEvSG_, .Lfunc_end653-_ZN7rocprim17ROCPRIM_400000_NS6detail17trampoline_kernelINS0_14default_configENS1_35radix_sort_onesweep_config_selectorIalEEZZNS1_29radix_sort_onesweep_iterationIS3_Lb0EPaS7_N6thrust23THRUST_200600_302600_NS10device_ptrIlEESB_jNS0_19identity_decomposerENS1_16block_id_wrapperIjLb0EEEEE10hipError_tT1_PNSt15iterator_traitsISG_E10value_typeET2_T3_PNSH_ISM_E10value_typeET4_T5_PSR_SS_PNS1_23onesweep_lookback_stateEbbT6_jjT7_P12ihipStream_tbENKUlT_T0_SG_SL_E_clIS7_S7_PlSB_EEDaSZ_S10_SG_SL_EUlSZ_E_NS1_11comp_targetILNS1_3genE8ELNS1_11target_archE1030ELNS1_3gpuE2ELNS1_3repE0EEENS1_47radix_sort_onesweep_sort_config_static_selectorELNS0_4arch9wavefront6targetE1EEEvSG_
                                        ; -- End function
	.set _ZN7rocprim17ROCPRIM_400000_NS6detail17trampoline_kernelINS0_14default_configENS1_35radix_sort_onesweep_config_selectorIalEEZZNS1_29radix_sort_onesweep_iterationIS3_Lb0EPaS7_N6thrust23THRUST_200600_302600_NS10device_ptrIlEESB_jNS0_19identity_decomposerENS1_16block_id_wrapperIjLb0EEEEE10hipError_tT1_PNSt15iterator_traitsISG_E10value_typeET2_T3_PNSH_ISM_E10value_typeET4_T5_PSR_SS_PNS1_23onesweep_lookback_stateEbbT6_jjT7_P12ihipStream_tbENKUlT_T0_SG_SL_E_clIS7_S7_PlSB_EEDaSZ_S10_SG_SL_EUlSZ_E_NS1_11comp_targetILNS1_3genE8ELNS1_11target_archE1030ELNS1_3gpuE2ELNS1_3repE0EEENS1_47radix_sort_onesweep_sort_config_static_selectorELNS0_4arch9wavefront6targetE1EEEvSG_.num_vgpr, 0
	.set _ZN7rocprim17ROCPRIM_400000_NS6detail17trampoline_kernelINS0_14default_configENS1_35radix_sort_onesweep_config_selectorIalEEZZNS1_29radix_sort_onesweep_iterationIS3_Lb0EPaS7_N6thrust23THRUST_200600_302600_NS10device_ptrIlEESB_jNS0_19identity_decomposerENS1_16block_id_wrapperIjLb0EEEEE10hipError_tT1_PNSt15iterator_traitsISG_E10value_typeET2_T3_PNSH_ISM_E10value_typeET4_T5_PSR_SS_PNS1_23onesweep_lookback_stateEbbT6_jjT7_P12ihipStream_tbENKUlT_T0_SG_SL_E_clIS7_S7_PlSB_EEDaSZ_S10_SG_SL_EUlSZ_E_NS1_11comp_targetILNS1_3genE8ELNS1_11target_archE1030ELNS1_3gpuE2ELNS1_3repE0EEENS1_47radix_sort_onesweep_sort_config_static_selectorELNS0_4arch9wavefront6targetE1EEEvSG_.num_agpr, 0
	.set _ZN7rocprim17ROCPRIM_400000_NS6detail17trampoline_kernelINS0_14default_configENS1_35radix_sort_onesweep_config_selectorIalEEZZNS1_29radix_sort_onesweep_iterationIS3_Lb0EPaS7_N6thrust23THRUST_200600_302600_NS10device_ptrIlEESB_jNS0_19identity_decomposerENS1_16block_id_wrapperIjLb0EEEEE10hipError_tT1_PNSt15iterator_traitsISG_E10value_typeET2_T3_PNSH_ISM_E10value_typeET4_T5_PSR_SS_PNS1_23onesweep_lookback_stateEbbT6_jjT7_P12ihipStream_tbENKUlT_T0_SG_SL_E_clIS7_S7_PlSB_EEDaSZ_S10_SG_SL_EUlSZ_E_NS1_11comp_targetILNS1_3genE8ELNS1_11target_archE1030ELNS1_3gpuE2ELNS1_3repE0EEENS1_47radix_sort_onesweep_sort_config_static_selectorELNS0_4arch9wavefront6targetE1EEEvSG_.numbered_sgpr, 0
	.set _ZN7rocprim17ROCPRIM_400000_NS6detail17trampoline_kernelINS0_14default_configENS1_35radix_sort_onesweep_config_selectorIalEEZZNS1_29radix_sort_onesweep_iterationIS3_Lb0EPaS7_N6thrust23THRUST_200600_302600_NS10device_ptrIlEESB_jNS0_19identity_decomposerENS1_16block_id_wrapperIjLb0EEEEE10hipError_tT1_PNSt15iterator_traitsISG_E10value_typeET2_T3_PNSH_ISM_E10value_typeET4_T5_PSR_SS_PNS1_23onesweep_lookback_stateEbbT6_jjT7_P12ihipStream_tbENKUlT_T0_SG_SL_E_clIS7_S7_PlSB_EEDaSZ_S10_SG_SL_EUlSZ_E_NS1_11comp_targetILNS1_3genE8ELNS1_11target_archE1030ELNS1_3gpuE2ELNS1_3repE0EEENS1_47radix_sort_onesweep_sort_config_static_selectorELNS0_4arch9wavefront6targetE1EEEvSG_.num_named_barrier, 0
	.set _ZN7rocprim17ROCPRIM_400000_NS6detail17trampoline_kernelINS0_14default_configENS1_35radix_sort_onesweep_config_selectorIalEEZZNS1_29radix_sort_onesweep_iterationIS3_Lb0EPaS7_N6thrust23THRUST_200600_302600_NS10device_ptrIlEESB_jNS0_19identity_decomposerENS1_16block_id_wrapperIjLb0EEEEE10hipError_tT1_PNSt15iterator_traitsISG_E10value_typeET2_T3_PNSH_ISM_E10value_typeET4_T5_PSR_SS_PNS1_23onesweep_lookback_stateEbbT6_jjT7_P12ihipStream_tbENKUlT_T0_SG_SL_E_clIS7_S7_PlSB_EEDaSZ_S10_SG_SL_EUlSZ_E_NS1_11comp_targetILNS1_3genE8ELNS1_11target_archE1030ELNS1_3gpuE2ELNS1_3repE0EEENS1_47radix_sort_onesweep_sort_config_static_selectorELNS0_4arch9wavefront6targetE1EEEvSG_.private_seg_size, 0
	.set _ZN7rocprim17ROCPRIM_400000_NS6detail17trampoline_kernelINS0_14default_configENS1_35radix_sort_onesweep_config_selectorIalEEZZNS1_29radix_sort_onesweep_iterationIS3_Lb0EPaS7_N6thrust23THRUST_200600_302600_NS10device_ptrIlEESB_jNS0_19identity_decomposerENS1_16block_id_wrapperIjLb0EEEEE10hipError_tT1_PNSt15iterator_traitsISG_E10value_typeET2_T3_PNSH_ISM_E10value_typeET4_T5_PSR_SS_PNS1_23onesweep_lookback_stateEbbT6_jjT7_P12ihipStream_tbENKUlT_T0_SG_SL_E_clIS7_S7_PlSB_EEDaSZ_S10_SG_SL_EUlSZ_E_NS1_11comp_targetILNS1_3genE8ELNS1_11target_archE1030ELNS1_3gpuE2ELNS1_3repE0EEENS1_47radix_sort_onesweep_sort_config_static_selectorELNS0_4arch9wavefront6targetE1EEEvSG_.uses_vcc, 0
	.set _ZN7rocprim17ROCPRIM_400000_NS6detail17trampoline_kernelINS0_14default_configENS1_35radix_sort_onesweep_config_selectorIalEEZZNS1_29radix_sort_onesweep_iterationIS3_Lb0EPaS7_N6thrust23THRUST_200600_302600_NS10device_ptrIlEESB_jNS0_19identity_decomposerENS1_16block_id_wrapperIjLb0EEEEE10hipError_tT1_PNSt15iterator_traitsISG_E10value_typeET2_T3_PNSH_ISM_E10value_typeET4_T5_PSR_SS_PNS1_23onesweep_lookback_stateEbbT6_jjT7_P12ihipStream_tbENKUlT_T0_SG_SL_E_clIS7_S7_PlSB_EEDaSZ_S10_SG_SL_EUlSZ_E_NS1_11comp_targetILNS1_3genE8ELNS1_11target_archE1030ELNS1_3gpuE2ELNS1_3repE0EEENS1_47radix_sort_onesweep_sort_config_static_selectorELNS0_4arch9wavefront6targetE1EEEvSG_.uses_flat_scratch, 0
	.set _ZN7rocprim17ROCPRIM_400000_NS6detail17trampoline_kernelINS0_14default_configENS1_35radix_sort_onesweep_config_selectorIalEEZZNS1_29radix_sort_onesweep_iterationIS3_Lb0EPaS7_N6thrust23THRUST_200600_302600_NS10device_ptrIlEESB_jNS0_19identity_decomposerENS1_16block_id_wrapperIjLb0EEEEE10hipError_tT1_PNSt15iterator_traitsISG_E10value_typeET2_T3_PNSH_ISM_E10value_typeET4_T5_PSR_SS_PNS1_23onesweep_lookback_stateEbbT6_jjT7_P12ihipStream_tbENKUlT_T0_SG_SL_E_clIS7_S7_PlSB_EEDaSZ_S10_SG_SL_EUlSZ_E_NS1_11comp_targetILNS1_3genE8ELNS1_11target_archE1030ELNS1_3gpuE2ELNS1_3repE0EEENS1_47radix_sort_onesweep_sort_config_static_selectorELNS0_4arch9wavefront6targetE1EEEvSG_.has_dyn_sized_stack, 0
	.set _ZN7rocprim17ROCPRIM_400000_NS6detail17trampoline_kernelINS0_14default_configENS1_35radix_sort_onesweep_config_selectorIalEEZZNS1_29radix_sort_onesweep_iterationIS3_Lb0EPaS7_N6thrust23THRUST_200600_302600_NS10device_ptrIlEESB_jNS0_19identity_decomposerENS1_16block_id_wrapperIjLb0EEEEE10hipError_tT1_PNSt15iterator_traitsISG_E10value_typeET2_T3_PNSH_ISM_E10value_typeET4_T5_PSR_SS_PNS1_23onesweep_lookback_stateEbbT6_jjT7_P12ihipStream_tbENKUlT_T0_SG_SL_E_clIS7_S7_PlSB_EEDaSZ_S10_SG_SL_EUlSZ_E_NS1_11comp_targetILNS1_3genE8ELNS1_11target_archE1030ELNS1_3gpuE2ELNS1_3repE0EEENS1_47radix_sort_onesweep_sort_config_static_selectorELNS0_4arch9wavefront6targetE1EEEvSG_.has_recursion, 0
	.set _ZN7rocprim17ROCPRIM_400000_NS6detail17trampoline_kernelINS0_14default_configENS1_35radix_sort_onesweep_config_selectorIalEEZZNS1_29radix_sort_onesweep_iterationIS3_Lb0EPaS7_N6thrust23THRUST_200600_302600_NS10device_ptrIlEESB_jNS0_19identity_decomposerENS1_16block_id_wrapperIjLb0EEEEE10hipError_tT1_PNSt15iterator_traitsISG_E10value_typeET2_T3_PNSH_ISM_E10value_typeET4_T5_PSR_SS_PNS1_23onesweep_lookback_stateEbbT6_jjT7_P12ihipStream_tbENKUlT_T0_SG_SL_E_clIS7_S7_PlSB_EEDaSZ_S10_SG_SL_EUlSZ_E_NS1_11comp_targetILNS1_3genE8ELNS1_11target_archE1030ELNS1_3gpuE2ELNS1_3repE0EEENS1_47radix_sort_onesweep_sort_config_static_selectorELNS0_4arch9wavefront6targetE1EEEvSG_.has_indirect_call, 0
	.section	.AMDGPU.csdata,"",@progbits
; Kernel info:
; codeLenInByte = 0
; TotalNumSgprs: 4
; NumVgprs: 0
; ScratchSize: 0
; MemoryBound: 0
; FloatMode: 240
; IeeeMode: 1
; LDSByteSize: 0 bytes/workgroup (compile time only)
; SGPRBlocks: 0
; VGPRBlocks: 0
; NumSGPRsForWavesPerEU: 4
; NumVGPRsForWavesPerEU: 1
; Occupancy: 10
; WaveLimiterHint : 0
; COMPUTE_PGM_RSRC2:SCRATCH_EN: 0
; COMPUTE_PGM_RSRC2:USER_SGPR: 6
; COMPUTE_PGM_RSRC2:TRAP_HANDLER: 0
; COMPUTE_PGM_RSRC2:TGID_X_EN: 1
; COMPUTE_PGM_RSRC2:TGID_Y_EN: 0
; COMPUTE_PGM_RSRC2:TGID_Z_EN: 0
; COMPUTE_PGM_RSRC2:TIDIG_COMP_CNT: 0
	.section	.text._ZN7rocprim17ROCPRIM_400000_NS6detail17trampoline_kernelINS0_14default_configENS1_22reduce_config_selectorIiEEZNS1_11reduce_implILb1ES3_N6thrust23THRUST_200600_302600_NS11hip_rocprim35transform_pair_of_input_iterators_tIiPaSB_NS8_12not_equal_toIaEEEEPiiNS8_4plusIiEEEE10hipError_tPvRmT1_T2_T3_mT4_P12ihipStream_tbEUlT_E0_NS1_11comp_targetILNS1_3genE0ELNS1_11target_archE4294967295ELNS1_3gpuE0ELNS1_3repE0EEENS1_30default_config_static_selectorELNS0_4arch9wavefront6targetE1EEEvSL_,"axG",@progbits,_ZN7rocprim17ROCPRIM_400000_NS6detail17trampoline_kernelINS0_14default_configENS1_22reduce_config_selectorIiEEZNS1_11reduce_implILb1ES3_N6thrust23THRUST_200600_302600_NS11hip_rocprim35transform_pair_of_input_iterators_tIiPaSB_NS8_12not_equal_toIaEEEEPiiNS8_4plusIiEEEE10hipError_tPvRmT1_T2_T3_mT4_P12ihipStream_tbEUlT_E0_NS1_11comp_targetILNS1_3genE0ELNS1_11target_archE4294967295ELNS1_3gpuE0ELNS1_3repE0EEENS1_30default_config_static_selectorELNS0_4arch9wavefront6targetE1EEEvSL_,comdat
	.protected	_ZN7rocprim17ROCPRIM_400000_NS6detail17trampoline_kernelINS0_14default_configENS1_22reduce_config_selectorIiEEZNS1_11reduce_implILb1ES3_N6thrust23THRUST_200600_302600_NS11hip_rocprim35transform_pair_of_input_iterators_tIiPaSB_NS8_12not_equal_toIaEEEEPiiNS8_4plusIiEEEE10hipError_tPvRmT1_T2_T3_mT4_P12ihipStream_tbEUlT_E0_NS1_11comp_targetILNS1_3genE0ELNS1_11target_archE4294967295ELNS1_3gpuE0ELNS1_3repE0EEENS1_30default_config_static_selectorELNS0_4arch9wavefront6targetE1EEEvSL_ ; -- Begin function _ZN7rocprim17ROCPRIM_400000_NS6detail17trampoline_kernelINS0_14default_configENS1_22reduce_config_selectorIiEEZNS1_11reduce_implILb1ES3_N6thrust23THRUST_200600_302600_NS11hip_rocprim35transform_pair_of_input_iterators_tIiPaSB_NS8_12not_equal_toIaEEEEPiiNS8_4plusIiEEEE10hipError_tPvRmT1_T2_T3_mT4_P12ihipStream_tbEUlT_E0_NS1_11comp_targetILNS1_3genE0ELNS1_11target_archE4294967295ELNS1_3gpuE0ELNS1_3repE0EEENS1_30default_config_static_selectorELNS0_4arch9wavefront6targetE1EEEvSL_
	.globl	_ZN7rocprim17ROCPRIM_400000_NS6detail17trampoline_kernelINS0_14default_configENS1_22reduce_config_selectorIiEEZNS1_11reduce_implILb1ES3_N6thrust23THRUST_200600_302600_NS11hip_rocprim35transform_pair_of_input_iterators_tIiPaSB_NS8_12not_equal_toIaEEEEPiiNS8_4plusIiEEEE10hipError_tPvRmT1_T2_T3_mT4_P12ihipStream_tbEUlT_E0_NS1_11comp_targetILNS1_3genE0ELNS1_11target_archE4294967295ELNS1_3gpuE0ELNS1_3repE0EEENS1_30default_config_static_selectorELNS0_4arch9wavefront6targetE1EEEvSL_
	.p2align	8
	.type	_ZN7rocprim17ROCPRIM_400000_NS6detail17trampoline_kernelINS0_14default_configENS1_22reduce_config_selectorIiEEZNS1_11reduce_implILb1ES3_N6thrust23THRUST_200600_302600_NS11hip_rocprim35transform_pair_of_input_iterators_tIiPaSB_NS8_12not_equal_toIaEEEEPiiNS8_4plusIiEEEE10hipError_tPvRmT1_T2_T3_mT4_P12ihipStream_tbEUlT_E0_NS1_11comp_targetILNS1_3genE0ELNS1_11target_archE4294967295ELNS1_3gpuE0ELNS1_3repE0EEENS1_30default_config_static_selectorELNS0_4arch9wavefront6targetE1EEEvSL_,@function
_ZN7rocprim17ROCPRIM_400000_NS6detail17trampoline_kernelINS0_14default_configENS1_22reduce_config_selectorIiEEZNS1_11reduce_implILb1ES3_N6thrust23THRUST_200600_302600_NS11hip_rocprim35transform_pair_of_input_iterators_tIiPaSB_NS8_12not_equal_toIaEEEEPiiNS8_4plusIiEEEE10hipError_tPvRmT1_T2_T3_mT4_P12ihipStream_tbEUlT_E0_NS1_11comp_targetILNS1_3genE0ELNS1_11target_archE4294967295ELNS1_3gpuE0ELNS1_3repE0EEENS1_30default_config_static_selectorELNS0_4arch9wavefront6targetE1EEEvSL_: ; @_ZN7rocprim17ROCPRIM_400000_NS6detail17trampoline_kernelINS0_14default_configENS1_22reduce_config_selectorIiEEZNS1_11reduce_implILb1ES3_N6thrust23THRUST_200600_302600_NS11hip_rocprim35transform_pair_of_input_iterators_tIiPaSB_NS8_12not_equal_toIaEEEEPiiNS8_4plusIiEEEE10hipError_tPvRmT1_T2_T3_mT4_P12ihipStream_tbEUlT_E0_NS1_11comp_targetILNS1_3genE0ELNS1_11target_archE4294967295ELNS1_3gpuE0ELNS1_3repE0EEENS1_30default_config_static_selectorELNS0_4arch9wavefront6targetE1EEEvSL_
; %bb.0:
	.section	.rodata,"a",@progbits
	.p2align	6, 0x0
	.amdhsa_kernel _ZN7rocprim17ROCPRIM_400000_NS6detail17trampoline_kernelINS0_14default_configENS1_22reduce_config_selectorIiEEZNS1_11reduce_implILb1ES3_N6thrust23THRUST_200600_302600_NS11hip_rocprim35transform_pair_of_input_iterators_tIiPaSB_NS8_12not_equal_toIaEEEEPiiNS8_4plusIiEEEE10hipError_tPvRmT1_T2_T3_mT4_P12ihipStream_tbEUlT_E0_NS1_11comp_targetILNS1_3genE0ELNS1_11target_archE4294967295ELNS1_3gpuE0ELNS1_3repE0EEENS1_30default_config_static_selectorELNS0_4arch9wavefront6targetE1EEEvSL_
		.amdhsa_group_segment_fixed_size 0
		.amdhsa_private_segment_fixed_size 0
		.amdhsa_kernarg_size 72
		.amdhsa_user_sgpr_count 6
		.amdhsa_user_sgpr_private_segment_buffer 1
		.amdhsa_user_sgpr_dispatch_ptr 0
		.amdhsa_user_sgpr_queue_ptr 0
		.amdhsa_user_sgpr_kernarg_segment_ptr 1
		.amdhsa_user_sgpr_dispatch_id 0
		.amdhsa_user_sgpr_flat_scratch_init 0
		.amdhsa_user_sgpr_private_segment_size 0
		.amdhsa_uses_dynamic_stack 0
		.amdhsa_system_sgpr_private_segment_wavefront_offset 0
		.amdhsa_system_sgpr_workgroup_id_x 1
		.amdhsa_system_sgpr_workgroup_id_y 0
		.amdhsa_system_sgpr_workgroup_id_z 0
		.amdhsa_system_sgpr_workgroup_info 0
		.amdhsa_system_vgpr_workitem_id 0
		.amdhsa_next_free_vgpr 1
		.amdhsa_next_free_sgpr 0
		.amdhsa_reserve_vcc 0
		.amdhsa_reserve_flat_scratch 0
		.amdhsa_float_round_mode_32 0
		.amdhsa_float_round_mode_16_64 0
		.amdhsa_float_denorm_mode_32 3
		.amdhsa_float_denorm_mode_16_64 3
		.amdhsa_dx10_clamp 1
		.amdhsa_ieee_mode 1
		.amdhsa_fp16_overflow 0
		.amdhsa_exception_fp_ieee_invalid_op 0
		.amdhsa_exception_fp_denorm_src 0
		.amdhsa_exception_fp_ieee_div_zero 0
		.amdhsa_exception_fp_ieee_overflow 0
		.amdhsa_exception_fp_ieee_underflow 0
		.amdhsa_exception_fp_ieee_inexact 0
		.amdhsa_exception_int_div_zero 0
	.end_amdhsa_kernel
	.section	.text._ZN7rocprim17ROCPRIM_400000_NS6detail17trampoline_kernelINS0_14default_configENS1_22reduce_config_selectorIiEEZNS1_11reduce_implILb1ES3_N6thrust23THRUST_200600_302600_NS11hip_rocprim35transform_pair_of_input_iterators_tIiPaSB_NS8_12not_equal_toIaEEEEPiiNS8_4plusIiEEEE10hipError_tPvRmT1_T2_T3_mT4_P12ihipStream_tbEUlT_E0_NS1_11comp_targetILNS1_3genE0ELNS1_11target_archE4294967295ELNS1_3gpuE0ELNS1_3repE0EEENS1_30default_config_static_selectorELNS0_4arch9wavefront6targetE1EEEvSL_,"axG",@progbits,_ZN7rocprim17ROCPRIM_400000_NS6detail17trampoline_kernelINS0_14default_configENS1_22reduce_config_selectorIiEEZNS1_11reduce_implILb1ES3_N6thrust23THRUST_200600_302600_NS11hip_rocprim35transform_pair_of_input_iterators_tIiPaSB_NS8_12not_equal_toIaEEEEPiiNS8_4plusIiEEEE10hipError_tPvRmT1_T2_T3_mT4_P12ihipStream_tbEUlT_E0_NS1_11comp_targetILNS1_3genE0ELNS1_11target_archE4294967295ELNS1_3gpuE0ELNS1_3repE0EEENS1_30default_config_static_selectorELNS0_4arch9wavefront6targetE1EEEvSL_,comdat
.Lfunc_end654:
	.size	_ZN7rocprim17ROCPRIM_400000_NS6detail17trampoline_kernelINS0_14default_configENS1_22reduce_config_selectorIiEEZNS1_11reduce_implILb1ES3_N6thrust23THRUST_200600_302600_NS11hip_rocprim35transform_pair_of_input_iterators_tIiPaSB_NS8_12not_equal_toIaEEEEPiiNS8_4plusIiEEEE10hipError_tPvRmT1_T2_T3_mT4_P12ihipStream_tbEUlT_E0_NS1_11comp_targetILNS1_3genE0ELNS1_11target_archE4294967295ELNS1_3gpuE0ELNS1_3repE0EEENS1_30default_config_static_selectorELNS0_4arch9wavefront6targetE1EEEvSL_, .Lfunc_end654-_ZN7rocprim17ROCPRIM_400000_NS6detail17trampoline_kernelINS0_14default_configENS1_22reduce_config_selectorIiEEZNS1_11reduce_implILb1ES3_N6thrust23THRUST_200600_302600_NS11hip_rocprim35transform_pair_of_input_iterators_tIiPaSB_NS8_12not_equal_toIaEEEEPiiNS8_4plusIiEEEE10hipError_tPvRmT1_T2_T3_mT4_P12ihipStream_tbEUlT_E0_NS1_11comp_targetILNS1_3genE0ELNS1_11target_archE4294967295ELNS1_3gpuE0ELNS1_3repE0EEENS1_30default_config_static_selectorELNS0_4arch9wavefront6targetE1EEEvSL_
                                        ; -- End function
	.set _ZN7rocprim17ROCPRIM_400000_NS6detail17trampoline_kernelINS0_14default_configENS1_22reduce_config_selectorIiEEZNS1_11reduce_implILb1ES3_N6thrust23THRUST_200600_302600_NS11hip_rocprim35transform_pair_of_input_iterators_tIiPaSB_NS8_12not_equal_toIaEEEEPiiNS8_4plusIiEEEE10hipError_tPvRmT1_T2_T3_mT4_P12ihipStream_tbEUlT_E0_NS1_11comp_targetILNS1_3genE0ELNS1_11target_archE4294967295ELNS1_3gpuE0ELNS1_3repE0EEENS1_30default_config_static_selectorELNS0_4arch9wavefront6targetE1EEEvSL_.num_vgpr, 0
	.set _ZN7rocprim17ROCPRIM_400000_NS6detail17trampoline_kernelINS0_14default_configENS1_22reduce_config_selectorIiEEZNS1_11reduce_implILb1ES3_N6thrust23THRUST_200600_302600_NS11hip_rocprim35transform_pair_of_input_iterators_tIiPaSB_NS8_12not_equal_toIaEEEEPiiNS8_4plusIiEEEE10hipError_tPvRmT1_T2_T3_mT4_P12ihipStream_tbEUlT_E0_NS1_11comp_targetILNS1_3genE0ELNS1_11target_archE4294967295ELNS1_3gpuE0ELNS1_3repE0EEENS1_30default_config_static_selectorELNS0_4arch9wavefront6targetE1EEEvSL_.num_agpr, 0
	.set _ZN7rocprim17ROCPRIM_400000_NS6detail17trampoline_kernelINS0_14default_configENS1_22reduce_config_selectorIiEEZNS1_11reduce_implILb1ES3_N6thrust23THRUST_200600_302600_NS11hip_rocprim35transform_pair_of_input_iterators_tIiPaSB_NS8_12not_equal_toIaEEEEPiiNS8_4plusIiEEEE10hipError_tPvRmT1_T2_T3_mT4_P12ihipStream_tbEUlT_E0_NS1_11comp_targetILNS1_3genE0ELNS1_11target_archE4294967295ELNS1_3gpuE0ELNS1_3repE0EEENS1_30default_config_static_selectorELNS0_4arch9wavefront6targetE1EEEvSL_.numbered_sgpr, 0
	.set _ZN7rocprim17ROCPRIM_400000_NS6detail17trampoline_kernelINS0_14default_configENS1_22reduce_config_selectorIiEEZNS1_11reduce_implILb1ES3_N6thrust23THRUST_200600_302600_NS11hip_rocprim35transform_pair_of_input_iterators_tIiPaSB_NS8_12not_equal_toIaEEEEPiiNS8_4plusIiEEEE10hipError_tPvRmT1_T2_T3_mT4_P12ihipStream_tbEUlT_E0_NS1_11comp_targetILNS1_3genE0ELNS1_11target_archE4294967295ELNS1_3gpuE0ELNS1_3repE0EEENS1_30default_config_static_selectorELNS0_4arch9wavefront6targetE1EEEvSL_.num_named_barrier, 0
	.set _ZN7rocprim17ROCPRIM_400000_NS6detail17trampoline_kernelINS0_14default_configENS1_22reduce_config_selectorIiEEZNS1_11reduce_implILb1ES3_N6thrust23THRUST_200600_302600_NS11hip_rocprim35transform_pair_of_input_iterators_tIiPaSB_NS8_12not_equal_toIaEEEEPiiNS8_4plusIiEEEE10hipError_tPvRmT1_T2_T3_mT4_P12ihipStream_tbEUlT_E0_NS1_11comp_targetILNS1_3genE0ELNS1_11target_archE4294967295ELNS1_3gpuE0ELNS1_3repE0EEENS1_30default_config_static_selectorELNS0_4arch9wavefront6targetE1EEEvSL_.private_seg_size, 0
	.set _ZN7rocprim17ROCPRIM_400000_NS6detail17trampoline_kernelINS0_14default_configENS1_22reduce_config_selectorIiEEZNS1_11reduce_implILb1ES3_N6thrust23THRUST_200600_302600_NS11hip_rocprim35transform_pair_of_input_iterators_tIiPaSB_NS8_12not_equal_toIaEEEEPiiNS8_4plusIiEEEE10hipError_tPvRmT1_T2_T3_mT4_P12ihipStream_tbEUlT_E0_NS1_11comp_targetILNS1_3genE0ELNS1_11target_archE4294967295ELNS1_3gpuE0ELNS1_3repE0EEENS1_30default_config_static_selectorELNS0_4arch9wavefront6targetE1EEEvSL_.uses_vcc, 0
	.set _ZN7rocprim17ROCPRIM_400000_NS6detail17trampoline_kernelINS0_14default_configENS1_22reduce_config_selectorIiEEZNS1_11reduce_implILb1ES3_N6thrust23THRUST_200600_302600_NS11hip_rocprim35transform_pair_of_input_iterators_tIiPaSB_NS8_12not_equal_toIaEEEEPiiNS8_4plusIiEEEE10hipError_tPvRmT1_T2_T3_mT4_P12ihipStream_tbEUlT_E0_NS1_11comp_targetILNS1_3genE0ELNS1_11target_archE4294967295ELNS1_3gpuE0ELNS1_3repE0EEENS1_30default_config_static_selectorELNS0_4arch9wavefront6targetE1EEEvSL_.uses_flat_scratch, 0
	.set _ZN7rocprim17ROCPRIM_400000_NS6detail17trampoline_kernelINS0_14default_configENS1_22reduce_config_selectorIiEEZNS1_11reduce_implILb1ES3_N6thrust23THRUST_200600_302600_NS11hip_rocprim35transform_pair_of_input_iterators_tIiPaSB_NS8_12not_equal_toIaEEEEPiiNS8_4plusIiEEEE10hipError_tPvRmT1_T2_T3_mT4_P12ihipStream_tbEUlT_E0_NS1_11comp_targetILNS1_3genE0ELNS1_11target_archE4294967295ELNS1_3gpuE0ELNS1_3repE0EEENS1_30default_config_static_selectorELNS0_4arch9wavefront6targetE1EEEvSL_.has_dyn_sized_stack, 0
	.set _ZN7rocprim17ROCPRIM_400000_NS6detail17trampoline_kernelINS0_14default_configENS1_22reduce_config_selectorIiEEZNS1_11reduce_implILb1ES3_N6thrust23THRUST_200600_302600_NS11hip_rocprim35transform_pair_of_input_iterators_tIiPaSB_NS8_12not_equal_toIaEEEEPiiNS8_4plusIiEEEE10hipError_tPvRmT1_T2_T3_mT4_P12ihipStream_tbEUlT_E0_NS1_11comp_targetILNS1_3genE0ELNS1_11target_archE4294967295ELNS1_3gpuE0ELNS1_3repE0EEENS1_30default_config_static_selectorELNS0_4arch9wavefront6targetE1EEEvSL_.has_recursion, 0
	.set _ZN7rocprim17ROCPRIM_400000_NS6detail17trampoline_kernelINS0_14default_configENS1_22reduce_config_selectorIiEEZNS1_11reduce_implILb1ES3_N6thrust23THRUST_200600_302600_NS11hip_rocprim35transform_pair_of_input_iterators_tIiPaSB_NS8_12not_equal_toIaEEEEPiiNS8_4plusIiEEEE10hipError_tPvRmT1_T2_T3_mT4_P12ihipStream_tbEUlT_E0_NS1_11comp_targetILNS1_3genE0ELNS1_11target_archE4294967295ELNS1_3gpuE0ELNS1_3repE0EEENS1_30default_config_static_selectorELNS0_4arch9wavefront6targetE1EEEvSL_.has_indirect_call, 0
	.section	.AMDGPU.csdata,"",@progbits
; Kernel info:
; codeLenInByte = 0
; TotalNumSgprs: 4
; NumVgprs: 0
; ScratchSize: 0
; MemoryBound: 0
; FloatMode: 240
; IeeeMode: 1
; LDSByteSize: 0 bytes/workgroup (compile time only)
; SGPRBlocks: 0
; VGPRBlocks: 0
; NumSGPRsForWavesPerEU: 4
; NumVGPRsForWavesPerEU: 1
; Occupancy: 10
; WaveLimiterHint : 0
; COMPUTE_PGM_RSRC2:SCRATCH_EN: 0
; COMPUTE_PGM_RSRC2:USER_SGPR: 6
; COMPUTE_PGM_RSRC2:TRAP_HANDLER: 0
; COMPUTE_PGM_RSRC2:TGID_X_EN: 1
; COMPUTE_PGM_RSRC2:TGID_Y_EN: 0
; COMPUTE_PGM_RSRC2:TGID_Z_EN: 0
; COMPUTE_PGM_RSRC2:TIDIG_COMP_CNT: 0
	.section	.text._ZN7rocprim17ROCPRIM_400000_NS6detail17trampoline_kernelINS0_14default_configENS1_22reduce_config_selectorIiEEZNS1_11reduce_implILb1ES3_N6thrust23THRUST_200600_302600_NS11hip_rocprim35transform_pair_of_input_iterators_tIiPaSB_NS8_12not_equal_toIaEEEEPiiNS8_4plusIiEEEE10hipError_tPvRmT1_T2_T3_mT4_P12ihipStream_tbEUlT_E0_NS1_11comp_targetILNS1_3genE5ELNS1_11target_archE942ELNS1_3gpuE9ELNS1_3repE0EEENS1_30default_config_static_selectorELNS0_4arch9wavefront6targetE1EEEvSL_,"axG",@progbits,_ZN7rocprim17ROCPRIM_400000_NS6detail17trampoline_kernelINS0_14default_configENS1_22reduce_config_selectorIiEEZNS1_11reduce_implILb1ES3_N6thrust23THRUST_200600_302600_NS11hip_rocprim35transform_pair_of_input_iterators_tIiPaSB_NS8_12not_equal_toIaEEEEPiiNS8_4plusIiEEEE10hipError_tPvRmT1_T2_T3_mT4_P12ihipStream_tbEUlT_E0_NS1_11comp_targetILNS1_3genE5ELNS1_11target_archE942ELNS1_3gpuE9ELNS1_3repE0EEENS1_30default_config_static_selectorELNS0_4arch9wavefront6targetE1EEEvSL_,comdat
	.protected	_ZN7rocprim17ROCPRIM_400000_NS6detail17trampoline_kernelINS0_14default_configENS1_22reduce_config_selectorIiEEZNS1_11reduce_implILb1ES3_N6thrust23THRUST_200600_302600_NS11hip_rocprim35transform_pair_of_input_iterators_tIiPaSB_NS8_12not_equal_toIaEEEEPiiNS8_4plusIiEEEE10hipError_tPvRmT1_T2_T3_mT4_P12ihipStream_tbEUlT_E0_NS1_11comp_targetILNS1_3genE5ELNS1_11target_archE942ELNS1_3gpuE9ELNS1_3repE0EEENS1_30default_config_static_selectorELNS0_4arch9wavefront6targetE1EEEvSL_ ; -- Begin function _ZN7rocprim17ROCPRIM_400000_NS6detail17trampoline_kernelINS0_14default_configENS1_22reduce_config_selectorIiEEZNS1_11reduce_implILb1ES3_N6thrust23THRUST_200600_302600_NS11hip_rocprim35transform_pair_of_input_iterators_tIiPaSB_NS8_12not_equal_toIaEEEEPiiNS8_4plusIiEEEE10hipError_tPvRmT1_T2_T3_mT4_P12ihipStream_tbEUlT_E0_NS1_11comp_targetILNS1_3genE5ELNS1_11target_archE942ELNS1_3gpuE9ELNS1_3repE0EEENS1_30default_config_static_selectorELNS0_4arch9wavefront6targetE1EEEvSL_
	.globl	_ZN7rocprim17ROCPRIM_400000_NS6detail17trampoline_kernelINS0_14default_configENS1_22reduce_config_selectorIiEEZNS1_11reduce_implILb1ES3_N6thrust23THRUST_200600_302600_NS11hip_rocprim35transform_pair_of_input_iterators_tIiPaSB_NS8_12not_equal_toIaEEEEPiiNS8_4plusIiEEEE10hipError_tPvRmT1_T2_T3_mT4_P12ihipStream_tbEUlT_E0_NS1_11comp_targetILNS1_3genE5ELNS1_11target_archE942ELNS1_3gpuE9ELNS1_3repE0EEENS1_30default_config_static_selectorELNS0_4arch9wavefront6targetE1EEEvSL_
	.p2align	8
	.type	_ZN7rocprim17ROCPRIM_400000_NS6detail17trampoline_kernelINS0_14default_configENS1_22reduce_config_selectorIiEEZNS1_11reduce_implILb1ES3_N6thrust23THRUST_200600_302600_NS11hip_rocprim35transform_pair_of_input_iterators_tIiPaSB_NS8_12not_equal_toIaEEEEPiiNS8_4plusIiEEEE10hipError_tPvRmT1_T2_T3_mT4_P12ihipStream_tbEUlT_E0_NS1_11comp_targetILNS1_3genE5ELNS1_11target_archE942ELNS1_3gpuE9ELNS1_3repE0EEENS1_30default_config_static_selectorELNS0_4arch9wavefront6targetE1EEEvSL_,@function
_ZN7rocprim17ROCPRIM_400000_NS6detail17trampoline_kernelINS0_14default_configENS1_22reduce_config_selectorIiEEZNS1_11reduce_implILb1ES3_N6thrust23THRUST_200600_302600_NS11hip_rocprim35transform_pair_of_input_iterators_tIiPaSB_NS8_12not_equal_toIaEEEEPiiNS8_4plusIiEEEE10hipError_tPvRmT1_T2_T3_mT4_P12ihipStream_tbEUlT_E0_NS1_11comp_targetILNS1_3genE5ELNS1_11target_archE942ELNS1_3gpuE9ELNS1_3repE0EEENS1_30default_config_static_selectorELNS0_4arch9wavefront6targetE1EEEvSL_: ; @_ZN7rocprim17ROCPRIM_400000_NS6detail17trampoline_kernelINS0_14default_configENS1_22reduce_config_selectorIiEEZNS1_11reduce_implILb1ES3_N6thrust23THRUST_200600_302600_NS11hip_rocprim35transform_pair_of_input_iterators_tIiPaSB_NS8_12not_equal_toIaEEEEPiiNS8_4plusIiEEEE10hipError_tPvRmT1_T2_T3_mT4_P12ihipStream_tbEUlT_E0_NS1_11comp_targetILNS1_3genE5ELNS1_11target_archE942ELNS1_3gpuE9ELNS1_3repE0EEENS1_30default_config_static_selectorELNS0_4arch9wavefront6targetE1EEEvSL_
; %bb.0:
	.section	.rodata,"a",@progbits
	.p2align	6, 0x0
	.amdhsa_kernel _ZN7rocprim17ROCPRIM_400000_NS6detail17trampoline_kernelINS0_14default_configENS1_22reduce_config_selectorIiEEZNS1_11reduce_implILb1ES3_N6thrust23THRUST_200600_302600_NS11hip_rocprim35transform_pair_of_input_iterators_tIiPaSB_NS8_12not_equal_toIaEEEEPiiNS8_4plusIiEEEE10hipError_tPvRmT1_T2_T3_mT4_P12ihipStream_tbEUlT_E0_NS1_11comp_targetILNS1_3genE5ELNS1_11target_archE942ELNS1_3gpuE9ELNS1_3repE0EEENS1_30default_config_static_selectorELNS0_4arch9wavefront6targetE1EEEvSL_
		.amdhsa_group_segment_fixed_size 0
		.amdhsa_private_segment_fixed_size 0
		.amdhsa_kernarg_size 72
		.amdhsa_user_sgpr_count 6
		.amdhsa_user_sgpr_private_segment_buffer 1
		.amdhsa_user_sgpr_dispatch_ptr 0
		.amdhsa_user_sgpr_queue_ptr 0
		.amdhsa_user_sgpr_kernarg_segment_ptr 1
		.amdhsa_user_sgpr_dispatch_id 0
		.amdhsa_user_sgpr_flat_scratch_init 0
		.amdhsa_user_sgpr_private_segment_size 0
		.amdhsa_uses_dynamic_stack 0
		.amdhsa_system_sgpr_private_segment_wavefront_offset 0
		.amdhsa_system_sgpr_workgroup_id_x 1
		.amdhsa_system_sgpr_workgroup_id_y 0
		.amdhsa_system_sgpr_workgroup_id_z 0
		.amdhsa_system_sgpr_workgroup_info 0
		.amdhsa_system_vgpr_workitem_id 0
		.amdhsa_next_free_vgpr 1
		.amdhsa_next_free_sgpr 0
		.amdhsa_reserve_vcc 0
		.amdhsa_reserve_flat_scratch 0
		.amdhsa_float_round_mode_32 0
		.amdhsa_float_round_mode_16_64 0
		.amdhsa_float_denorm_mode_32 3
		.amdhsa_float_denorm_mode_16_64 3
		.amdhsa_dx10_clamp 1
		.amdhsa_ieee_mode 1
		.amdhsa_fp16_overflow 0
		.amdhsa_exception_fp_ieee_invalid_op 0
		.amdhsa_exception_fp_denorm_src 0
		.amdhsa_exception_fp_ieee_div_zero 0
		.amdhsa_exception_fp_ieee_overflow 0
		.amdhsa_exception_fp_ieee_underflow 0
		.amdhsa_exception_fp_ieee_inexact 0
		.amdhsa_exception_int_div_zero 0
	.end_amdhsa_kernel
	.section	.text._ZN7rocprim17ROCPRIM_400000_NS6detail17trampoline_kernelINS0_14default_configENS1_22reduce_config_selectorIiEEZNS1_11reduce_implILb1ES3_N6thrust23THRUST_200600_302600_NS11hip_rocprim35transform_pair_of_input_iterators_tIiPaSB_NS8_12not_equal_toIaEEEEPiiNS8_4plusIiEEEE10hipError_tPvRmT1_T2_T3_mT4_P12ihipStream_tbEUlT_E0_NS1_11comp_targetILNS1_3genE5ELNS1_11target_archE942ELNS1_3gpuE9ELNS1_3repE0EEENS1_30default_config_static_selectorELNS0_4arch9wavefront6targetE1EEEvSL_,"axG",@progbits,_ZN7rocprim17ROCPRIM_400000_NS6detail17trampoline_kernelINS0_14default_configENS1_22reduce_config_selectorIiEEZNS1_11reduce_implILb1ES3_N6thrust23THRUST_200600_302600_NS11hip_rocprim35transform_pair_of_input_iterators_tIiPaSB_NS8_12not_equal_toIaEEEEPiiNS8_4plusIiEEEE10hipError_tPvRmT1_T2_T3_mT4_P12ihipStream_tbEUlT_E0_NS1_11comp_targetILNS1_3genE5ELNS1_11target_archE942ELNS1_3gpuE9ELNS1_3repE0EEENS1_30default_config_static_selectorELNS0_4arch9wavefront6targetE1EEEvSL_,comdat
.Lfunc_end655:
	.size	_ZN7rocprim17ROCPRIM_400000_NS6detail17trampoline_kernelINS0_14default_configENS1_22reduce_config_selectorIiEEZNS1_11reduce_implILb1ES3_N6thrust23THRUST_200600_302600_NS11hip_rocprim35transform_pair_of_input_iterators_tIiPaSB_NS8_12not_equal_toIaEEEEPiiNS8_4plusIiEEEE10hipError_tPvRmT1_T2_T3_mT4_P12ihipStream_tbEUlT_E0_NS1_11comp_targetILNS1_3genE5ELNS1_11target_archE942ELNS1_3gpuE9ELNS1_3repE0EEENS1_30default_config_static_selectorELNS0_4arch9wavefront6targetE1EEEvSL_, .Lfunc_end655-_ZN7rocprim17ROCPRIM_400000_NS6detail17trampoline_kernelINS0_14default_configENS1_22reduce_config_selectorIiEEZNS1_11reduce_implILb1ES3_N6thrust23THRUST_200600_302600_NS11hip_rocprim35transform_pair_of_input_iterators_tIiPaSB_NS8_12not_equal_toIaEEEEPiiNS8_4plusIiEEEE10hipError_tPvRmT1_T2_T3_mT4_P12ihipStream_tbEUlT_E0_NS1_11comp_targetILNS1_3genE5ELNS1_11target_archE942ELNS1_3gpuE9ELNS1_3repE0EEENS1_30default_config_static_selectorELNS0_4arch9wavefront6targetE1EEEvSL_
                                        ; -- End function
	.set _ZN7rocprim17ROCPRIM_400000_NS6detail17trampoline_kernelINS0_14default_configENS1_22reduce_config_selectorIiEEZNS1_11reduce_implILb1ES3_N6thrust23THRUST_200600_302600_NS11hip_rocprim35transform_pair_of_input_iterators_tIiPaSB_NS8_12not_equal_toIaEEEEPiiNS8_4plusIiEEEE10hipError_tPvRmT1_T2_T3_mT4_P12ihipStream_tbEUlT_E0_NS1_11comp_targetILNS1_3genE5ELNS1_11target_archE942ELNS1_3gpuE9ELNS1_3repE0EEENS1_30default_config_static_selectorELNS0_4arch9wavefront6targetE1EEEvSL_.num_vgpr, 0
	.set _ZN7rocprim17ROCPRIM_400000_NS6detail17trampoline_kernelINS0_14default_configENS1_22reduce_config_selectorIiEEZNS1_11reduce_implILb1ES3_N6thrust23THRUST_200600_302600_NS11hip_rocprim35transform_pair_of_input_iterators_tIiPaSB_NS8_12not_equal_toIaEEEEPiiNS8_4plusIiEEEE10hipError_tPvRmT1_T2_T3_mT4_P12ihipStream_tbEUlT_E0_NS1_11comp_targetILNS1_3genE5ELNS1_11target_archE942ELNS1_3gpuE9ELNS1_3repE0EEENS1_30default_config_static_selectorELNS0_4arch9wavefront6targetE1EEEvSL_.num_agpr, 0
	.set _ZN7rocprim17ROCPRIM_400000_NS6detail17trampoline_kernelINS0_14default_configENS1_22reduce_config_selectorIiEEZNS1_11reduce_implILb1ES3_N6thrust23THRUST_200600_302600_NS11hip_rocprim35transform_pair_of_input_iterators_tIiPaSB_NS8_12not_equal_toIaEEEEPiiNS8_4plusIiEEEE10hipError_tPvRmT1_T2_T3_mT4_P12ihipStream_tbEUlT_E0_NS1_11comp_targetILNS1_3genE5ELNS1_11target_archE942ELNS1_3gpuE9ELNS1_3repE0EEENS1_30default_config_static_selectorELNS0_4arch9wavefront6targetE1EEEvSL_.numbered_sgpr, 0
	.set _ZN7rocprim17ROCPRIM_400000_NS6detail17trampoline_kernelINS0_14default_configENS1_22reduce_config_selectorIiEEZNS1_11reduce_implILb1ES3_N6thrust23THRUST_200600_302600_NS11hip_rocprim35transform_pair_of_input_iterators_tIiPaSB_NS8_12not_equal_toIaEEEEPiiNS8_4plusIiEEEE10hipError_tPvRmT1_T2_T3_mT4_P12ihipStream_tbEUlT_E0_NS1_11comp_targetILNS1_3genE5ELNS1_11target_archE942ELNS1_3gpuE9ELNS1_3repE0EEENS1_30default_config_static_selectorELNS0_4arch9wavefront6targetE1EEEvSL_.num_named_barrier, 0
	.set _ZN7rocprim17ROCPRIM_400000_NS6detail17trampoline_kernelINS0_14default_configENS1_22reduce_config_selectorIiEEZNS1_11reduce_implILb1ES3_N6thrust23THRUST_200600_302600_NS11hip_rocprim35transform_pair_of_input_iterators_tIiPaSB_NS8_12not_equal_toIaEEEEPiiNS8_4plusIiEEEE10hipError_tPvRmT1_T2_T3_mT4_P12ihipStream_tbEUlT_E0_NS1_11comp_targetILNS1_3genE5ELNS1_11target_archE942ELNS1_3gpuE9ELNS1_3repE0EEENS1_30default_config_static_selectorELNS0_4arch9wavefront6targetE1EEEvSL_.private_seg_size, 0
	.set _ZN7rocprim17ROCPRIM_400000_NS6detail17trampoline_kernelINS0_14default_configENS1_22reduce_config_selectorIiEEZNS1_11reduce_implILb1ES3_N6thrust23THRUST_200600_302600_NS11hip_rocprim35transform_pair_of_input_iterators_tIiPaSB_NS8_12not_equal_toIaEEEEPiiNS8_4plusIiEEEE10hipError_tPvRmT1_T2_T3_mT4_P12ihipStream_tbEUlT_E0_NS1_11comp_targetILNS1_3genE5ELNS1_11target_archE942ELNS1_3gpuE9ELNS1_3repE0EEENS1_30default_config_static_selectorELNS0_4arch9wavefront6targetE1EEEvSL_.uses_vcc, 0
	.set _ZN7rocprim17ROCPRIM_400000_NS6detail17trampoline_kernelINS0_14default_configENS1_22reduce_config_selectorIiEEZNS1_11reduce_implILb1ES3_N6thrust23THRUST_200600_302600_NS11hip_rocprim35transform_pair_of_input_iterators_tIiPaSB_NS8_12not_equal_toIaEEEEPiiNS8_4plusIiEEEE10hipError_tPvRmT1_T2_T3_mT4_P12ihipStream_tbEUlT_E0_NS1_11comp_targetILNS1_3genE5ELNS1_11target_archE942ELNS1_3gpuE9ELNS1_3repE0EEENS1_30default_config_static_selectorELNS0_4arch9wavefront6targetE1EEEvSL_.uses_flat_scratch, 0
	.set _ZN7rocprim17ROCPRIM_400000_NS6detail17trampoline_kernelINS0_14default_configENS1_22reduce_config_selectorIiEEZNS1_11reduce_implILb1ES3_N6thrust23THRUST_200600_302600_NS11hip_rocprim35transform_pair_of_input_iterators_tIiPaSB_NS8_12not_equal_toIaEEEEPiiNS8_4plusIiEEEE10hipError_tPvRmT1_T2_T3_mT4_P12ihipStream_tbEUlT_E0_NS1_11comp_targetILNS1_3genE5ELNS1_11target_archE942ELNS1_3gpuE9ELNS1_3repE0EEENS1_30default_config_static_selectorELNS0_4arch9wavefront6targetE1EEEvSL_.has_dyn_sized_stack, 0
	.set _ZN7rocprim17ROCPRIM_400000_NS6detail17trampoline_kernelINS0_14default_configENS1_22reduce_config_selectorIiEEZNS1_11reduce_implILb1ES3_N6thrust23THRUST_200600_302600_NS11hip_rocprim35transform_pair_of_input_iterators_tIiPaSB_NS8_12not_equal_toIaEEEEPiiNS8_4plusIiEEEE10hipError_tPvRmT1_T2_T3_mT4_P12ihipStream_tbEUlT_E0_NS1_11comp_targetILNS1_3genE5ELNS1_11target_archE942ELNS1_3gpuE9ELNS1_3repE0EEENS1_30default_config_static_selectorELNS0_4arch9wavefront6targetE1EEEvSL_.has_recursion, 0
	.set _ZN7rocprim17ROCPRIM_400000_NS6detail17trampoline_kernelINS0_14default_configENS1_22reduce_config_selectorIiEEZNS1_11reduce_implILb1ES3_N6thrust23THRUST_200600_302600_NS11hip_rocprim35transform_pair_of_input_iterators_tIiPaSB_NS8_12not_equal_toIaEEEEPiiNS8_4plusIiEEEE10hipError_tPvRmT1_T2_T3_mT4_P12ihipStream_tbEUlT_E0_NS1_11comp_targetILNS1_3genE5ELNS1_11target_archE942ELNS1_3gpuE9ELNS1_3repE0EEENS1_30default_config_static_selectorELNS0_4arch9wavefront6targetE1EEEvSL_.has_indirect_call, 0
	.section	.AMDGPU.csdata,"",@progbits
; Kernel info:
; codeLenInByte = 0
; TotalNumSgprs: 4
; NumVgprs: 0
; ScratchSize: 0
; MemoryBound: 0
; FloatMode: 240
; IeeeMode: 1
; LDSByteSize: 0 bytes/workgroup (compile time only)
; SGPRBlocks: 0
; VGPRBlocks: 0
; NumSGPRsForWavesPerEU: 4
; NumVGPRsForWavesPerEU: 1
; Occupancy: 10
; WaveLimiterHint : 0
; COMPUTE_PGM_RSRC2:SCRATCH_EN: 0
; COMPUTE_PGM_RSRC2:USER_SGPR: 6
; COMPUTE_PGM_RSRC2:TRAP_HANDLER: 0
; COMPUTE_PGM_RSRC2:TGID_X_EN: 1
; COMPUTE_PGM_RSRC2:TGID_Y_EN: 0
; COMPUTE_PGM_RSRC2:TGID_Z_EN: 0
; COMPUTE_PGM_RSRC2:TIDIG_COMP_CNT: 0
	.section	.text._ZN7rocprim17ROCPRIM_400000_NS6detail17trampoline_kernelINS0_14default_configENS1_22reduce_config_selectorIiEEZNS1_11reduce_implILb1ES3_N6thrust23THRUST_200600_302600_NS11hip_rocprim35transform_pair_of_input_iterators_tIiPaSB_NS8_12not_equal_toIaEEEEPiiNS8_4plusIiEEEE10hipError_tPvRmT1_T2_T3_mT4_P12ihipStream_tbEUlT_E0_NS1_11comp_targetILNS1_3genE4ELNS1_11target_archE910ELNS1_3gpuE8ELNS1_3repE0EEENS1_30default_config_static_selectorELNS0_4arch9wavefront6targetE1EEEvSL_,"axG",@progbits,_ZN7rocprim17ROCPRIM_400000_NS6detail17trampoline_kernelINS0_14default_configENS1_22reduce_config_selectorIiEEZNS1_11reduce_implILb1ES3_N6thrust23THRUST_200600_302600_NS11hip_rocprim35transform_pair_of_input_iterators_tIiPaSB_NS8_12not_equal_toIaEEEEPiiNS8_4plusIiEEEE10hipError_tPvRmT1_T2_T3_mT4_P12ihipStream_tbEUlT_E0_NS1_11comp_targetILNS1_3genE4ELNS1_11target_archE910ELNS1_3gpuE8ELNS1_3repE0EEENS1_30default_config_static_selectorELNS0_4arch9wavefront6targetE1EEEvSL_,comdat
	.protected	_ZN7rocprim17ROCPRIM_400000_NS6detail17trampoline_kernelINS0_14default_configENS1_22reduce_config_selectorIiEEZNS1_11reduce_implILb1ES3_N6thrust23THRUST_200600_302600_NS11hip_rocprim35transform_pair_of_input_iterators_tIiPaSB_NS8_12not_equal_toIaEEEEPiiNS8_4plusIiEEEE10hipError_tPvRmT1_T2_T3_mT4_P12ihipStream_tbEUlT_E0_NS1_11comp_targetILNS1_3genE4ELNS1_11target_archE910ELNS1_3gpuE8ELNS1_3repE0EEENS1_30default_config_static_selectorELNS0_4arch9wavefront6targetE1EEEvSL_ ; -- Begin function _ZN7rocprim17ROCPRIM_400000_NS6detail17trampoline_kernelINS0_14default_configENS1_22reduce_config_selectorIiEEZNS1_11reduce_implILb1ES3_N6thrust23THRUST_200600_302600_NS11hip_rocprim35transform_pair_of_input_iterators_tIiPaSB_NS8_12not_equal_toIaEEEEPiiNS8_4plusIiEEEE10hipError_tPvRmT1_T2_T3_mT4_P12ihipStream_tbEUlT_E0_NS1_11comp_targetILNS1_3genE4ELNS1_11target_archE910ELNS1_3gpuE8ELNS1_3repE0EEENS1_30default_config_static_selectorELNS0_4arch9wavefront6targetE1EEEvSL_
	.globl	_ZN7rocprim17ROCPRIM_400000_NS6detail17trampoline_kernelINS0_14default_configENS1_22reduce_config_selectorIiEEZNS1_11reduce_implILb1ES3_N6thrust23THRUST_200600_302600_NS11hip_rocprim35transform_pair_of_input_iterators_tIiPaSB_NS8_12not_equal_toIaEEEEPiiNS8_4plusIiEEEE10hipError_tPvRmT1_T2_T3_mT4_P12ihipStream_tbEUlT_E0_NS1_11comp_targetILNS1_3genE4ELNS1_11target_archE910ELNS1_3gpuE8ELNS1_3repE0EEENS1_30default_config_static_selectorELNS0_4arch9wavefront6targetE1EEEvSL_
	.p2align	8
	.type	_ZN7rocprim17ROCPRIM_400000_NS6detail17trampoline_kernelINS0_14default_configENS1_22reduce_config_selectorIiEEZNS1_11reduce_implILb1ES3_N6thrust23THRUST_200600_302600_NS11hip_rocprim35transform_pair_of_input_iterators_tIiPaSB_NS8_12not_equal_toIaEEEEPiiNS8_4plusIiEEEE10hipError_tPvRmT1_T2_T3_mT4_P12ihipStream_tbEUlT_E0_NS1_11comp_targetILNS1_3genE4ELNS1_11target_archE910ELNS1_3gpuE8ELNS1_3repE0EEENS1_30default_config_static_selectorELNS0_4arch9wavefront6targetE1EEEvSL_,@function
_ZN7rocprim17ROCPRIM_400000_NS6detail17trampoline_kernelINS0_14default_configENS1_22reduce_config_selectorIiEEZNS1_11reduce_implILb1ES3_N6thrust23THRUST_200600_302600_NS11hip_rocprim35transform_pair_of_input_iterators_tIiPaSB_NS8_12not_equal_toIaEEEEPiiNS8_4plusIiEEEE10hipError_tPvRmT1_T2_T3_mT4_P12ihipStream_tbEUlT_E0_NS1_11comp_targetILNS1_3genE4ELNS1_11target_archE910ELNS1_3gpuE8ELNS1_3repE0EEENS1_30default_config_static_selectorELNS0_4arch9wavefront6targetE1EEEvSL_: ; @_ZN7rocprim17ROCPRIM_400000_NS6detail17trampoline_kernelINS0_14default_configENS1_22reduce_config_selectorIiEEZNS1_11reduce_implILb1ES3_N6thrust23THRUST_200600_302600_NS11hip_rocprim35transform_pair_of_input_iterators_tIiPaSB_NS8_12not_equal_toIaEEEEPiiNS8_4plusIiEEEE10hipError_tPvRmT1_T2_T3_mT4_P12ihipStream_tbEUlT_E0_NS1_11comp_targetILNS1_3genE4ELNS1_11target_archE910ELNS1_3gpuE8ELNS1_3repE0EEENS1_30default_config_static_selectorELNS0_4arch9wavefront6targetE1EEEvSL_
; %bb.0:
	.section	.rodata,"a",@progbits
	.p2align	6, 0x0
	.amdhsa_kernel _ZN7rocprim17ROCPRIM_400000_NS6detail17trampoline_kernelINS0_14default_configENS1_22reduce_config_selectorIiEEZNS1_11reduce_implILb1ES3_N6thrust23THRUST_200600_302600_NS11hip_rocprim35transform_pair_of_input_iterators_tIiPaSB_NS8_12not_equal_toIaEEEEPiiNS8_4plusIiEEEE10hipError_tPvRmT1_T2_T3_mT4_P12ihipStream_tbEUlT_E0_NS1_11comp_targetILNS1_3genE4ELNS1_11target_archE910ELNS1_3gpuE8ELNS1_3repE0EEENS1_30default_config_static_selectorELNS0_4arch9wavefront6targetE1EEEvSL_
		.amdhsa_group_segment_fixed_size 0
		.amdhsa_private_segment_fixed_size 0
		.amdhsa_kernarg_size 72
		.amdhsa_user_sgpr_count 6
		.amdhsa_user_sgpr_private_segment_buffer 1
		.amdhsa_user_sgpr_dispatch_ptr 0
		.amdhsa_user_sgpr_queue_ptr 0
		.amdhsa_user_sgpr_kernarg_segment_ptr 1
		.amdhsa_user_sgpr_dispatch_id 0
		.amdhsa_user_sgpr_flat_scratch_init 0
		.amdhsa_user_sgpr_private_segment_size 0
		.amdhsa_uses_dynamic_stack 0
		.amdhsa_system_sgpr_private_segment_wavefront_offset 0
		.amdhsa_system_sgpr_workgroup_id_x 1
		.amdhsa_system_sgpr_workgroup_id_y 0
		.amdhsa_system_sgpr_workgroup_id_z 0
		.amdhsa_system_sgpr_workgroup_info 0
		.amdhsa_system_vgpr_workitem_id 0
		.amdhsa_next_free_vgpr 1
		.amdhsa_next_free_sgpr 0
		.amdhsa_reserve_vcc 0
		.amdhsa_reserve_flat_scratch 0
		.amdhsa_float_round_mode_32 0
		.amdhsa_float_round_mode_16_64 0
		.amdhsa_float_denorm_mode_32 3
		.amdhsa_float_denorm_mode_16_64 3
		.amdhsa_dx10_clamp 1
		.amdhsa_ieee_mode 1
		.amdhsa_fp16_overflow 0
		.amdhsa_exception_fp_ieee_invalid_op 0
		.amdhsa_exception_fp_denorm_src 0
		.amdhsa_exception_fp_ieee_div_zero 0
		.amdhsa_exception_fp_ieee_overflow 0
		.amdhsa_exception_fp_ieee_underflow 0
		.amdhsa_exception_fp_ieee_inexact 0
		.amdhsa_exception_int_div_zero 0
	.end_amdhsa_kernel
	.section	.text._ZN7rocprim17ROCPRIM_400000_NS6detail17trampoline_kernelINS0_14default_configENS1_22reduce_config_selectorIiEEZNS1_11reduce_implILb1ES3_N6thrust23THRUST_200600_302600_NS11hip_rocprim35transform_pair_of_input_iterators_tIiPaSB_NS8_12not_equal_toIaEEEEPiiNS8_4plusIiEEEE10hipError_tPvRmT1_T2_T3_mT4_P12ihipStream_tbEUlT_E0_NS1_11comp_targetILNS1_3genE4ELNS1_11target_archE910ELNS1_3gpuE8ELNS1_3repE0EEENS1_30default_config_static_selectorELNS0_4arch9wavefront6targetE1EEEvSL_,"axG",@progbits,_ZN7rocprim17ROCPRIM_400000_NS6detail17trampoline_kernelINS0_14default_configENS1_22reduce_config_selectorIiEEZNS1_11reduce_implILb1ES3_N6thrust23THRUST_200600_302600_NS11hip_rocprim35transform_pair_of_input_iterators_tIiPaSB_NS8_12not_equal_toIaEEEEPiiNS8_4plusIiEEEE10hipError_tPvRmT1_T2_T3_mT4_P12ihipStream_tbEUlT_E0_NS1_11comp_targetILNS1_3genE4ELNS1_11target_archE910ELNS1_3gpuE8ELNS1_3repE0EEENS1_30default_config_static_selectorELNS0_4arch9wavefront6targetE1EEEvSL_,comdat
.Lfunc_end656:
	.size	_ZN7rocprim17ROCPRIM_400000_NS6detail17trampoline_kernelINS0_14default_configENS1_22reduce_config_selectorIiEEZNS1_11reduce_implILb1ES3_N6thrust23THRUST_200600_302600_NS11hip_rocprim35transform_pair_of_input_iterators_tIiPaSB_NS8_12not_equal_toIaEEEEPiiNS8_4plusIiEEEE10hipError_tPvRmT1_T2_T3_mT4_P12ihipStream_tbEUlT_E0_NS1_11comp_targetILNS1_3genE4ELNS1_11target_archE910ELNS1_3gpuE8ELNS1_3repE0EEENS1_30default_config_static_selectorELNS0_4arch9wavefront6targetE1EEEvSL_, .Lfunc_end656-_ZN7rocprim17ROCPRIM_400000_NS6detail17trampoline_kernelINS0_14default_configENS1_22reduce_config_selectorIiEEZNS1_11reduce_implILb1ES3_N6thrust23THRUST_200600_302600_NS11hip_rocprim35transform_pair_of_input_iterators_tIiPaSB_NS8_12not_equal_toIaEEEEPiiNS8_4plusIiEEEE10hipError_tPvRmT1_T2_T3_mT4_P12ihipStream_tbEUlT_E0_NS1_11comp_targetILNS1_3genE4ELNS1_11target_archE910ELNS1_3gpuE8ELNS1_3repE0EEENS1_30default_config_static_selectorELNS0_4arch9wavefront6targetE1EEEvSL_
                                        ; -- End function
	.set _ZN7rocprim17ROCPRIM_400000_NS6detail17trampoline_kernelINS0_14default_configENS1_22reduce_config_selectorIiEEZNS1_11reduce_implILb1ES3_N6thrust23THRUST_200600_302600_NS11hip_rocprim35transform_pair_of_input_iterators_tIiPaSB_NS8_12not_equal_toIaEEEEPiiNS8_4plusIiEEEE10hipError_tPvRmT1_T2_T3_mT4_P12ihipStream_tbEUlT_E0_NS1_11comp_targetILNS1_3genE4ELNS1_11target_archE910ELNS1_3gpuE8ELNS1_3repE0EEENS1_30default_config_static_selectorELNS0_4arch9wavefront6targetE1EEEvSL_.num_vgpr, 0
	.set _ZN7rocprim17ROCPRIM_400000_NS6detail17trampoline_kernelINS0_14default_configENS1_22reduce_config_selectorIiEEZNS1_11reduce_implILb1ES3_N6thrust23THRUST_200600_302600_NS11hip_rocprim35transform_pair_of_input_iterators_tIiPaSB_NS8_12not_equal_toIaEEEEPiiNS8_4plusIiEEEE10hipError_tPvRmT1_T2_T3_mT4_P12ihipStream_tbEUlT_E0_NS1_11comp_targetILNS1_3genE4ELNS1_11target_archE910ELNS1_3gpuE8ELNS1_3repE0EEENS1_30default_config_static_selectorELNS0_4arch9wavefront6targetE1EEEvSL_.num_agpr, 0
	.set _ZN7rocprim17ROCPRIM_400000_NS6detail17trampoline_kernelINS0_14default_configENS1_22reduce_config_selectorIiEEZNS1_11reduce_implILb1ES3_N6thrust23THRUST_200600_302600_NS11hip_rocprim35transform_pair_of_input_iterators_tIiPaSB_NS8_12not_equal_toIaEEEEPiiNS8_4plusIiEEEE10hipError_tPvRmT1_T2_T3_mT4_P12ihipStream_tbEUlT_E0_NS1_11comp_targetILNS1_3genE4ELNS1_11target_archE910ELNS1_3gpuE8ELNS1_3repE0EEENS1_30default_config_static_selectorELNS0_4arch9wavefront6targetE1EEEvSL_.numbered_sgpr, 0
	.set _ZN7rocprim17ROCPRIM_400000_NS6detail17trampoline_kernelINS0_14default_configENS1_22reduce_config_selectorIiEEZNS1_11reduce_implILb1ES3_N6thrust23THRUST_200600_302600_NS11hip_rocprim35transform_pair_of_input_iterators_tIiPaSB_NS8_12not_equal_toIaEEEEPiiNS8_4plusIiEEEE10hipError_tPvRmT1_T2_T3_mT4_P12ihipStream_tbEUlT_E0_NS1_11comp_targetILNS1_3genE4ELNS1_11target_archE910ELNS1_3gpuE8ELNS1_3repE0EEENS1_30default_config_static_selectorELNS0_4arch9wavefront6targetE1EEEvSL_.num_named_barrier, 0
	.set _ZN7rocprim17ROCPRIM_400000_NS6detail17trampoline_kernelINS0_14default_configENS1_22reduce_config_selectorIiEEZNS1_11reduce_implILb1ES3_N6thrust23THRUST_200600_302600_NS11hip_rocprim35transform_pair_of_input_iterators_tIiPaSB_NS8_12not_equal_toIaEEEEPiiNS8_4plusIiEEEE10hipError_tPvRmT1_T2_T3_mT4_P12ihipStream_tbEUlT_E0_NS1_11comp_targetILNS1_3genE4ELNS1_11target_archE910ELNS1_3gpuE8ELNS1_3repE0EEENS1_30default_config_static_selectorELNS0_4arch9wavefront6targetE1EEEvSL_.private_seg_size, 0
	.set _ZN7rocprim17ROCPRIM_400000_NS6detail17trampoline_kernelINS0_14default_configENS1_22reduce_config_selectorIiEEZNS1_11reduce_implILb1ES3_N6thrust23THRUST_200600_302600_NS11hip_rocprim35transform_pair_of_input_iterators_tIiPaSB_NS8_12not_equal_toIaEEEEPiiNS8_4plusIiEEEE10hipError_tPvRmT1_T2_T3_mT4_P12ihipStream_tbEUlT_E0_NS1_11comp_targetILNS1_3genE4ELNS1_11target_archE910ELNS1_3gpuE8ELNS1_3repE0EEENS1_30default_config_static_selectorELNS0_4arch9wavefront6targetE1EEEvSL_.uses_vcc, 0
	.set _ZN7rocprim17ROCPRIM_400000_NS6detail17trampoline_kernelINS0_14default_configENS1_22reduce_config_selectorIiEEZNS1_11reduce_implILb1ES3_N6thrust23THRUST_200600_302600_NS11hip_rocprim35transform_pair_of_input_iterators_tIiPaSB_NS8_12not_equal_toIaEEEEPiiNS8_4plusIiEEEE10hipError_tPvRmT1_T2_T3_mT4_P12ihipStream_tbEUlT_E0_NS1_11comp_targetILNS1_3genE4ELNS1_11target_archE910ELNS1_3gpuE8ELNS1_3repE0EEENS1_30default_config_static_selectorELNS0_4arch9wavefront6targetE1EEEvSL_.uses_flat_scratch, 0
	.set _ZN7rocprim17ROCPRIM_400000_NS6detail17trampoline_kernelINS0_14default_configENS1_22reduce_config_selectorIiEEZNS1_11reduce_implILb1ES3_N6thrust23THRUST_200600_302600_NS11hip_rocprim35transform_pair_of_input_iterators_tIiPaSB_NS8_12not_equal_toIaEEEEPiiNS8_4plusIiEEEE10hipError_tPvRmT1_T2_T3_mT4_P12ihipStream_tbEUlT_E0_NS1_11comp_targetILNS1_3genE4ELNS1_11target_archE910ELNS1_3gpuE8ELNS1_3repE0EEENS1_30default_config_static_selectorELNS0_4arch9wavefront6targetE1EEEvSL_.has_dyn_sized_stack, 0
	.set _ZN7rocprim17ROCPRIM_400000_NS6detail17trampoline_kernelINS0_14default_configENS1_22reduce_config_selectorIiEEZNS1_11reduce_implILb1ES3_N6thrust23THRUST_200600_302600_NS11hip_rocprim35transform_pair_of_input_iterators_tIiPaSB_NS8_12not_equal_toIaEEEEPiiNS8_4plusIiEEEE10hipError_tPvRmT1_T2_T3_mT4_P12ihipStream_tbEUlT_E0_NS1_11comp_targetILNS1_3genE4ELNS1_11target_archE910ELNS1_3gpuE8ELNS1_3repE0EEENS1_30default_config_static_selectorELNS0_4arch9wavefront6targetE1EEEvSL_.has_recursion, 0
	.set _ZN7rocprim17ROCPRIM_400000_NS6detail17trampoline_kernelINS0_14default_configENS1_22reduce_config_selectorIiEEZNS1_11reduce_implILb1ES3_N6thrust23THRUST_200600_302600_NS11hip_rocprim35transform_pair_of_input_iterators_tIiPaSB_NS8_12not_equal_toIaEEEEPiiNS8_4plusIiEEEE10hipError_tPvRmT1_T2_T3_mT4_P12ihipStream_tbEUlT_E0_NS1_11comp_targetILNS1_3genE4ELNS1_11target_archE910ELNS1_3gpuE8ELNS1_3repE0EEENS1_30default_config_static_selectorELNS0_4arch9wavefront6targetE1EEEvSL_.has_indirect_call, 0
	.section	.AMDGPU.csdata,"",@progbits
; Kernel info:
; codeLenInByte = 0
; TotalNumSgprs: 4
; NumVgprs: 0
; ScratchSize: 0
; MemoryBound: 0
; FloatMode: 240
; IeeeMode: 1
; LDSByteSize: 0 bytes/workgroup (compile time only)
; SGPRBlocks: 0
; VGPRBlocks: 0
; NumSGPRsForWavesPerEU: 4
; NumVGPRsForWavesPerEU: 1
; Occupancy: 10
; WaveLimiterHint : 0
; COMPUTE_PGM_RSRC2:SCRATCH_EN: 0
; COMPUTE_PGM_RSRC2:USER_SGPR: 6
; COMPUTE_PGM_RSRC2:TRAP_HANDLER: 0
; COMPUTE_PGM_RSRC2:TGID_X_EN: 1
; COMPUTE_PGM_RSRC2:TGID_Y_EN: 0
; COMPUTE_PGM_RSRC2:TGID_Z_EN: 0
; COMPUTE_PGM_RSRC2:TIDIG_COMP_CNT: 0
	.section	.text._ZN7rocprim17ROCPRIM_400000_NS6detail17trampoline_kernelINS0_14default_configENS1_22reduce_config_selectorIiEEZNS1_11reduce_implILb1ES3_N6thrust23THRUST_200600_302600_NS11hip_rocprim35transform_pair_of_input_iterators_tIiPaSB_NS8_12not_equal_toIaEEEEPiiNS8_4plusIiEEEE10hipError_tPvRmT1_T2_T3_mT4_P12ihipStream_tbEUlT_E0_NS1_11comp_targetILNS1_3genE3ELNS1_11target_archE908ELNS1_3gpuE7ELNS1_3repE0EEENS1_30default_config_static_selectorELNS0_4arch9wavefront6targetE1EEEvSL_,"axG",@progbits,_ZN7rocprim17ROCPRIM_400000_NS6detail17trampoline_kernelINS0_14default_configENS1_22reduce_config_selectorIiEEZNS1_11reduce_implILb1ES3_N6thrust23THRUST_200600_302600_NS11hip_rocprim35transform_pair_of_input_iterators_tIiPaSB_NS8_12not_equal_toIaEEEEPiiNS8_4plusIiEEEE10hipError_tPvRmT1_T2_T3_mT4_P12ihipStream_tbEUlT_E0_NS1_11comp_targetILNS1_3genE3ELNS1_11target_archE908ELNS1_3gpuE7ELNS1_3repE0EEENS1_30default_config_static_selectorELNS0_4arch9wavefront6targetE1EEEvSL_,comdat
	.protected	_ZN7rocprim17ROCPRIM_400000_NS6detail17trampoline_kernelINS0_14default_configENS1_22reduce_config_selectorIiEEZNS1_11reduce_implILb1ES3_N6thrust23THRUST_200600_302600_NS11hip_rocprim35transform_pair_of_input_iterators_tIiPaSB_NS8_12not_equal_toIaEEEEPiiNS8_4plusIiEEEE10hipError_tPvRmT1_T2_T3_mT4_P12ihipStream_tbEUlT_E0_NS1_11comp_targetILNS1_3genE3ELNS1_11target_archE908ELNS1_3gpuE7ELNS1_3repE0EEENS1_30default_config_static_selectorELNS0_4arch9wavefront6targetE1EEEvSL_ ; -- Begin function _ZN7rocprim17ROCPRIM_400000_NS6detail17trampoline_kernelINS0_14default_configENS1_22reduce_config_selectorIiEEZNS1_11reduce_implILb1ES3_N6thrust23THRUST_200600_302600_NS11hip_rocprim35transform_pair_of_input_iterators_tIiPaSB_NS8_12not_equal_toIaEEEEPiiNS8_4plusIiEEEE10hipError_tPvRmT1_T2_T3_mT4_P12ihipStream_tbEUlT_E0_NS1_11comp_targetILNS1_3genE3ELNS1_11target_archE908ELNS1_3gpuE7ELNS1_3repE0EEENS1_30default_config_static_selectorELNS0_4arch9wavefront6targetE1EEEvSL_
	.globl	_ZN7rocprim17ROCPRIM_400000_NS6detail17trampoline_kernelINS0_14default_configENS1_22reduce_config_selectorIiEEZNS1_11reduce_implILb1ES3_N6thrust23THRUST_200600_302600_NS11hip_rocprim35transform_pair_of_input_iterators_tIiPaSB_NS8_12not_equal_toIaEEEEPiiNS8_4plusIiEEEE10hipError_tPvRmT1_T2_T3_mT4_P12ihipStream_tbEUlT_E0_NS1_11comp_targetILNS1_3genE3ELNS1_11target_archE908ELNS1_3gpuE7ELNS1_3repE0EEENS1_30default_config_static_selectorELNS0_4arch9wavefront6targetE1EEEvSL_
	.p2align	8
	.type	_ZN7rocprim17ROCPRIM_400000_NS6detail17trampoline_kernelINS0_14default_configENS1_22reduce_config_selectorIiEEZNS1_11reduce_implILb1ES3_N6thrust23THRUST_200600_302600_NS11hip_rocprim35transform_pair_of_input_iterators_tIiPaSB_NS8_12not_equal_toIaEEEEPiiNS8_4plusIiEEEE10hipError_tPvRmT1_T2_T3_mT4_P12ihipStream_tbEUlT_E0_NS1_11comp_targetILNS1_3genE3ELNS1_11target_archE908ELNS1_3gpuE7ELNS1_3repE0EEENS1_30default_config_static_selectorELNS0_4arch9wavefront6targetE1EEEvSL_,@function
_ZN7rocprim17ROCPRIM_400000_NS6detail17trampoline_kernelINS0_14default_configENS1_22reduce_config_selectorIiEEZNS1_11reduce_implILb1ES3_N6thrust23THRUST_200600_302600_NS11hip_rocprim35transform_pair_of_input_iterators_tIiPaSB_NS8_12not_equal_toIaEEEEPiiNS8_4plusIiEEEE10hipError_tPvRmT1_T2_T3_mT4_P12ihipStream_tbEUlT_E0_NS1_11comp_targetILNS1_3genE3ELNS1_11target_archE908ELNS1_3gpuE7ELNS1_3repE0EEENS1_30default_config_static_selectorELNS0_4arch9wavefront6targetE1EEEvSL_: ; @_ZN7rocprim17ROCPRIM_400000_NS6detail17trampoline_kernelINS0_14default_configENS1_22reduce_config_selectorIiEEZNS1_11reduce_implILb1ES3_N6thrust23THRUST_200600_302600_NS11hip_rocprim35transform_pair_of_input_iterators_tIiPaSB_NS8_12not_equal_toIaEEEEPiiNS8_4plusIiEEEE10hipError_tPvRmT1_T2_T3_mT4_P12ihipStream_tbEUlT_E0_NS1_11comp_targetILNS1_3genE3ELNS1_11target_archE908ELNS1_3gpuE7ELNS1_3repE0EEENS1_30default_config_static_selectorELNS0_4arch9wavefront6targetE1EEEvSL_
; %bb.0:
	.section	.rodata,"a",@progbits
	.p2align	6, 0x0
	.amdhsa_kernel _ZN7rocprim17ROCPRIM_400000_NS6detail17trampoline_kernelINS0_14default_configENS1_22reduce_config_selectorIiEEZNS1_11reduce_implILb1ES3_N6thrust23THRUST_200600_302600_NS11hip_rocprim35transform_pair_of_input_iterators_tIiPaSB_NS8_12not_equal_toIaEEEEPiiNS8_4plusIiEEEE10hipError_tPvRmT1_T2_T3_mT4_P12ihipStream_tbEUlT_E0_NS1_11comp_targetILNS1_3genE3ELNS1_11target_archE908ELNS1_3gpuE7ELNS1_3repE0EEENS1_30default_config_static_selectorELNS0_4arch9wavefront6targetE1EEEvSL_
		.amdhsa_group_segment_fixed_size 0
		.amdhsa_private_segment_fixed_size 0
		.amdhsa_kernarg_size 72
		.amdhsa_user_sgpr_count 6
		.amdhsa_user_sgpr_private_segment_buffer 1
		.amdhsa_user_sgpr_dispatch_ptr 0
		.amdhsa_user_sgpr_queue_ptr 0
		.amdhsa_user_sgpr_kernarg_segment_ptr 1
		.amdhsa_user_sgpr_dispatch_id 0
		.amdhsa_user_sgpr_flat_scratch_init 0
		.amdhsa_user_sgpr_private_segment_size 0
		.amdhsa_uses_dynamic_stack 0
		.amdhsa_system_sgpr_private_segment_wavefront_offset 0
		.amdhsa_system_sgpr_workgroup_id_x 1
		.amdhsa_system_sgpr_workgroup_id_y 0
		.amdhsa_system_sgpr_workgroup_id_z 0
		.amdhsa_system_sgpr_workgroup_info 0
		.amdhsa_system_vgpr_workitem_id 0
		.amdhsa_next_free_vgpr 1
		.amdhsa_next_free_sgpr 0
		.amdhsa_reserve_vcc 0
		.amdhsa_reserve_flat_scratch 0
		.amdhsa_float_round_mode_32 0
		.amdhsa_float_round_mode_16_64 0
		.amdhsa_float_denorm_mode_32 3
		.amdhsa_float_denorm_mode_16_64 3
		.amdhsa_dx10_clamp 1
		.amdhsa_ieee_mode 1
		.amdhsa_fp16_overflow 0
		.amdhsa_exception_fp_ieee_invalid_op 0
		.amdhsa_exception_fp_denorm_src 0
		.amdhsa_exception_fp_ieee_div_zero 0
		.amdhsa_exception_fp_ieee_overflow 0
		.amdhsa_exception_fp_ieee_underflow 0
		.amdhsa_exception_fp_ieee_inexact 0
		.amdhsa_exception_int_div_zero 0
	.end_amdhsa_kernel
	.section	.text._ZN7rocprim17ROCPRIM_400000_NS6detail17trampoline_kernelINS0_14default_configENS1_22reduce_config_selectorIiEEZNS1_11reduce_implILb1ES3_N6thrust23THRUST_200600_302600_NS11hip_rocprim35transform_pair_of_input_iterators_tIiPaSB_NS8_12not_equal_toIaEEEEPiiNS8_4plusIiEEEE10hipError_tPvRmT1_T2_T3_mT4_P12ihipStream_tbEUlT_E0_NS1_11comp_targetILNS1_3genE3ELNS1_11target_archE908ELNS1_3gpuE7ELNS1_3repE0EEENS1_30default_config_static_selectorELNS0_4arch9wavefront6targetE1EEEvSL_,"axG",@progbits,_ZN7rocprim17ROCPRIM_400000_NS6detail17trampoline_kernelINS0_14default_configENS1_22reduce_config_selectorIiEEZNS1_11reduce_implILb1ES3_N6thrust23THRUST_200600_302600_NS11hip_rocprim35transform_pair_of_input_iterators_tIiPaSB_NS8_12not_equal_toIaEEEEPiiNS8_4plusIiEEEE10hipError_tPvRmT1_T2_T3_mT4_P12ihipStream_tbEUlT_E0_NS1_11comp_targetILNS1_3genE3ELNS1_11target_archE908ELNS1_3gpuE7ELNS1_3repE0EEENS1_30default_config_static_selectorELNS0_4arch9wavefront6targetE1EEEvSL_,comdat
.Lfunc_end657:
	.size	_ZN7rocprim17ROCPRIM_400000_NS6detail17trampoline_kernelINS0_14default_configENS1_22reduce_config_selectorIiEEZNS1_11reduce_implILb1ES3_N6thrust23THRUST_200600_302600_NS11hip_rocprim35transform_pair_of_input_iterators_tIiPaSB_NS8_12not_equal_toIaEEEEPiiNS8_4plusIiEEEE10hipError_tPvRmT1_T2_T3_mT4_P12ihipStream_tbEUlT_E0_NS1_11comp_targetILNS1_3genE3ELNS1_11target_archE908ELNS1_3gpuE7ELNS1_3repE0EEENS1_30default_config_static_selectorELNS0_4arch9wavefront6targetE1EEEvSL_, .Lfunc_end657-_ZN7rocprim17ROCPRIM_400000_NS6detail17trampoline_kernelINS0_14default_configENS1_22reduce_config_selectorIiEEZNS1_11reduce_implILb1ES3_N6thrust23THRUST_200600_302600_NS11hip_rocprim35transform_pair_of_input_iterators_tIiPaSB_NS8_12not_equal_toIaEEEEPiiNS8_4plusIiEEEE10hipError_tPvRmT1_T2_T3_mT4_P12ihipStream_tbEUlT_E0_NS1_11comp_targetILNS1_3genE3ELNS1_11target_archE908ELNS1_3gpuE7ELNS1_3repE0EEENS1_30default_config_static_selectorELNS0_4arch9wavefront6targetE1EEEvSL_
                                        ; -- End function
	.set _ZN7rocprim17ROCPRIM_400000_NS6detail17trampoline_kernelINS0_14default_configENS1_22reduce_config_selectorIiEEZNS1_11reduce_implILb1ES3_N6thrust23THRUST_200600_302600_NS11hip_rocprim35transform_pair_of_input_iterators_tIiPaSB_NS8_12not_equal_toIaEEEEPiiNS8_4plusIiEEEE10hipError_tPvRmT1_T2_T3_mT4_P12ihipStream_tbEUlT_E0_NS1_11comp_targetILNS1_3genE3ELNS1_11target_archE908ELNS1_3gpuE7ELNS1_3repE0EEENS1_30default_config_static_selectorELNS0_4arch9wavefront6targetE1EEEvSL_.num_vgpr, 0
	.set _ZN7rocprim17ROCPRIM_400000_NS6detail17trampoline_kernelINS0_14default_configENS1_22reduce_config_selectorIiEEZNS1_11reduce_implILb1ES3_N6thrust23THRUST_200600_302600_NS11hip_rocprim35transform_pair_of_input_iterators_tIiPaSB_NS8_12not_equal_toIaEEEEPiiNS8_4plusIiEEEE10hipError_tPvRmT1_T2_T3_mT4_P12ihipStream_tbEUlT_E0_NS1_11comp_targetILNS1_3genE3ELNS1_11target_archE908ELNS1_3gpuE7ELNS1_3repE0EEENS1_30default_config_static_selectorELNS0_4arch9wavefront6targetE1EEEvSL_.num_agpr, 0
	.set _ZN7rocprim17ROCPRIM_400000_NS6detail17trampoline_kernelINS0_14default_configENS1_22reduce_config_selectorIiEEZNS1_11reduce_implILb1ES3_N6thrust23THRUST_200600_302600_NS11hip_rocprim35transform_pair_of_input_iterators_tIiPaSB_NS8_12not_equal_toIaEEEEPiiNS8_4plusIiEEEE10hipError_tPvRmT1_T2_T3_mT4_P12ihipStream_tbEUlT_E0_NS1_11comp_targetILNS1_3genE3ELNS1_11target_archE908ELNS1_3gpuE7ELNS1_3repE0EEENS1_30default_config_static_selectorELNS0_4arch9wavefront6targetE1EEEvSL_.numbered_sgpr, 0
	.set _ZN7rocprim17ROCPRIM_400000_NS6detail17trampoline_kernelINS0_14default_configENS1_22reduce_config_selectorIiEEZNS1_11reduce_implILb1ES3_N6thrust23THRUST_200600_302600_NS11hip_rocprim35transform_pair_of_input_iterators_tIiPaSB_NS8_12not_equal_toIaEEEEPiiNS8_4plusIiEEEE10hipError_tPvRmT1_T2_T3_mT4_P12ihipStream_tbEUlT_E0_NS1_11comp_targetILNS1_3genE3ELNS1_11target_archE908ELNS1_3gpuE7ELNS1_3repE0EEENS1_30default_config_static_selectorELNS0_4arch9wavefront6targetE1EEEvSL_.num_named_barrier, 0
	.set _ZN7rocprim17ROCPRIM_400000_NS6detail17trampoline_kernelINS0_14default_configENS1_22reduce_config_selectorIiEEZNS1_11reduce_implILb1ES3_N6thrust23THRUST_200600_302600_NS11hip_rocprim35transform_pair_of_input_iterators_tIiPaSB_NS8_12not_equal_toIaEEEEPiiNS8_4plusIiEEEE10hipError_tPvRmT1_T2_T3_mT4_P12ihipStream_tbEUlT_E0_NS1_11comp_targetILNS1_3genE3ELNS1_11target_archE908ELNS1_3gpuE7ELNS1_3repE0EEENS1_30default_config_static_selectorELNS0_4arch9wavefront6targetE1EEEvSL_.private_seg_size, 0
	.set _ZN7rocprim17ROCPRIM_400000_NS6detail17trampoline_kernelINS0_14default_configENS1_22reduce_config_selectorIiEEZNS1_11reduce_implILb1ES3_N6thrust23THRUST_200600_302600_NS11hip_rocprim35transform_pair_of_input_iterators_tIiPaSB_NS8_12not_equal_toIaEEEEPiiNS8_4plusIiEEEE10hipError_tPvRmT1_T2_T3_mT4_P12ihipStream_tbEUlT_E0_NS1_11comp_targetILNS1_3genE3ELNS1_11target_archE908ELNS1_3gpuE7ELNS1_3repE0EEENS1_30default_config_static_selectorELNS0_4arch9wavefront6targetE1EEEvSL_.uses_vcc, 0
	.set _ZN7rocprim17ROCPRIM_400000_NS6detail17trampoline_kernelINS0_14default_configENS1_22reduce_config_selectorIiEEZNS1_11reduce_implILb1ES3_N6thrust23THRUST_200600_302600_NS11hip_rocprim35transform_pair_of_input_iterators_tIiPaSB_NS8_12not_equal_toIaEEEEPiiNS8_4plusIiEEEE10hipError_tPvRmT1_T2_T3_mT4_P12ihipStream_tbEUlT_E0_NS1_11comp_targetILNS1_3genE3ELNS1_11target_archE908ELNS1_3gpuE7ELNS1_3repE0EEENS1_30default_config_static_selectorELNS0_4arch9wavefront6targetE1EEEvSL_.uses_flat_scratch, 0
	.set _ZN7rocprim17ROCPRIM_400000_NS6detail17trampoline_kernelINS0_14default_configENS1_22reduce_config_selectorIiEEZNS1_11reduce_implILb1ES3_N6thrust23THRUST_200600_302600_NS11hip_rocprim35transform_pair_of_input_iterators_tIiPaSB_NS8_12not_equal_toIaEEEEPiiNS8_4plusIiEEEE10hipError_tPvRmT1_T2_T3_mT4_P12ihipStream_tbEUlT_E0_NS1_11comp_targetILNS1_3genE3ELNS1_11target_archE908ELNS1_3gpuE7ELNS1_3repE0EEENS1_30default_config_static_selectorELNS0_4arch9wavefront6targetE1EEEvSL_.has_dyn_sized_stack, 0
	.set _ZN7rocprim17ROCPRIM_400000_NS6detail17trampoline_kernelINS0_14default_configENS1_22reduce_config_selectorIiEEZNS1_11reduce_implILb1ES3_N6thrust23THRUST_200600_302600_NS11hip_rocprim35transform_pair_of_input_iterators_tIiPaSB_NS8_12not_equal_toIaEEEEPiiNS8_4plusIiEEEE10hipError_tPvRmT1_T2_T3_mT4_P12ihipStream_tbEUlT_E0_NS1_11comp_targetILNS1_3genE3ELNS1_11target_archE908ELNS1_3gpuE7ELNS1_3repE0EEENS1_30default_config_static_selectorELNS0_4arch9wavefront6targetE1EEEvSL_.has_recursion, 0
	.set _ZN7rocprim17ROCPRIM_400000_NS6detail17trampoline_kernelINS0_14default_configENS1_22reduce_config_selectorIiEEZNS1_11reduce_implILb1ES3_N6thrust23THRUST_200600_302600_NS11hip_rocprim35transform_pair_of_input_iterators_tIiPaSB_NS8_12not_equal_toIaEEEEPiiNS8_4plusIiEEEE10hipError_tPvRmT1_T2_T3_mT4_P12ihipStream_tbEUlT_E0_NS1_11comp_targetILNS1_3genE3ELNS1_11target_archE908ELNS1_3gpuE7ELNS1_3repE0EEENS1_30default_config_static_selectorELNS0_4arch9wavefront6targetE1EEEvSL_.has_indirect_call, 0
	.section	.AMDGPU.csdata,"",@progbits
; Kernel info:
; codeLenInByte = 0
; TotalNumSgprs: 4
; NumVgprs: 0
; ScratchSize: 0
; MemoryBound: 0
; FloatMode: 240
; IeeeMode: 1
; LDSByteSize: 0 bytes/workgroup (compile time only)
; SGPRBlocks: 0
; VGPRBlocks: 0
; NumSGPRsForWavesPerEU: 4
; NumVGPRsForWavesPerEU: 1
; Occupancy: 10
; WaveLimiterHint : 0
; COMPUTE_PGM_RSRC2:SCRATCH_EN: 0
; COMPUTE_PGM_RSRC2:USER_SGPR: 6
; COMPUTE_PGM_RSRC2:TRAP_HANDLER: 0
; COMPUTE_PGM_RSRC2:TGID_X_EN: 1
; COMPUTE_PGM_RSRC2:TGID_Y_EN: 0
; COMPUTE_PGM_RSRC2:TGID_Z_EN: 0
; COMPUTE_PGM_RSRC2:TIDIG_COMP_CNT: 0
	.section	.text._ZN7rocprim17ROCPRIM_400000_NS6detail17trampoline_kernelINS0_14default_configENS1_22reduce_config_selectorIiEEZNS1_11reduce_implILb1ES3_N6thrust23THRUST_200600_302600_NS11hip_rocprim35transform_pair_of_input_iterators_tIiPaSB_NS8_12not_equal_toIaEEEEPiiNS8_4plusIiEEEE10hipError_tPvRmT1_T2_T3_mT4_P12ihipStream_tbEUlT_E0_NS1_11comp_targetILNS1_3genE2ELNS1_11target_archE906ELNS1_3gpuE6ELNS1_3repE0EEENS1_30default_config_static_selectorELNS0_4arch9wavefront6targetE1EEEvSL_,"axG",@progbits,_ZN7rocprim17ROCPRIM_400000_NS6detail17trampoline_kernelINS0_14default_configENS1_22reduce_config_selectorIiEEZNS1_11reduce_implILb1ES3_N6thrust23THRUST_200600_302600_NS11hip_rocprim35transform_pair_of_input_iterators_tIiPaSB_NS8_12not_equal_toIaEEEEPiiNS8_4plusIiEEEE10hipError_tPvRmT1_T2_T3_mT4_P12ihipStream_tbEUlT_E0_NS1_11comp_targetILNS1_3genE2ELNS1_11target_archE906ELNS1_3gpuE6ELNS1_3repE0EEENS1_30default_config_static_selectorELNS0_4arch9wavefront6targetE1EEEvSL_,comdat
	.protected	_ZN7rocprim17ROCPRIM_400000_NS6detail17trampoline_kernelINS0_14default_configENS1_22reduce_config_selectorIiEEZNS1_11reduce_implILb1ES3_N6thrust23THRUST_200600_302600_NS11hip_rocprim35transform_pair_of_input_iterators_tIiPaSB_NS8_12not_equal_toIaEEEEPiiNS8_4plusIiEEEE10hipError_tPvRmT1_T2_T3_mT4_P12ihipStream_tbEUlT_E0_NS1_11comp_targetILNS1_3genE2ELNS1_11target_archE906ELNS1_3gpuE6ELNS1_3repE0EEENS1_30default_config_static_selectorELNS0_4arch9wavefront6targetE1EEEvSL_ ; -- Begin function _ZN7rocprim17ROCPRIM_400000_NS6detail17trampoline_kernelINS0_14default_configENS1_22reduce_config_selectorIiEEZNS1_11reduce_implILb1ES3_N6thrust23THRUST_200600_302600_NS11hip_rocprim35transform_pair_of_input_iterators_tIiPaSB_NS8_12not_equal_toIaEEEEPiiNS8_4plusIiEEEE10hipError_tPvRmT1_T2_T3_mT4_P12ihipStream_tbEUlT_E0_NS1_11comp_targetILNS1_3genE2ELNS1_11target_archE906ELNS1_3gpuE6ELNS1_3repE0EEENS1_30default_config_static_selectorELNS0_4arch9wavefront6targetE1EEEvSL_
	.globl	_ZN7rocprim17ROCPRIM_400000_NS6detail17trampoline_kernelINS0_14default_configENS1_22reduce_config_selectorIiEEZNS1_11reduce_implILb1ES3_N6thrust23THRUST_200600_302600_NS11hip_rocprim35transform_pair_of_input_iterators_tIiPaSB_NS8_12not_equal_toIaEEEEPiiNS8_4plusIiEEEE10hipError_tPvRmT1_T2_T3_mT4_P12ihipStream_tbEUlT_E0_NS1_11comp_targetILNS1_3genE2ELNS1_11target_archE906ELNS1_3gpuE6ELNS1_3repE0EEENS1_30default_config_static_selectorELNS0_4arch9wavefront6targetE1EEEvSL_
	.p2align	8
	.type	_ZN7rocprim17ROCPRIM_400000_NS6detail17trampoline_kernelINS0_14default_configENS1_22reduce_config_selectorIiEEZNS1_11reduce_implILb1ES3_N6thrust23THRUST_200600_302600_NS11hip_rocprim35transform_pair_of_input_iterators_tIiPaSB_NS8_12not_equal_toIaEEEEPiiNS8_4plusIiEEEE10hipError_tPvRmT1_T2_T3_mT4_P12ihipStream_tbEUlT_E0_NS1_11comp_targetILNS1_3genE2ELNS1_11target_archE906ELNS1_3gpuE6ELNS1_3repE0EEENS1_30default_config_static_selectorELNS0_4arch9wavefront6targetE1EEEvSL_,@function
_ZN7rocprim17ROCPRIM_400000_NS6detail17trampoline_kernelINS0_14default_configENS1_22reduce_config_selectorIiEEZNS1_11reduce_implILb1ES3_N6thrust23THRUST_200600_302600_NS11hip_rocprim35transform_pair_of_input_iterators_tIiPaSB_NS8_12not_equal_toIaEEEEPiiNS8_4plusIiEEEE10hipError_tPvRmT1_T2_T3_mT4_P12ihipStream_tbEUlT_E0_NS1_11comp_targetILNS1_3genE2ELNS1_11target_archE906ELNS1_3gpuE6ELNS1_3repE0EEENS1_30default_config_static_selectorELNS0_4arch9wavefront6targetE1EEEvSL_: ; @_ZN7rocprim17ROCPRIM_400000_NS6detail17trampoline_kernelINS0_14default_configENS1_22reduce_config_selectorIiEEZNS1_11reduce_implILb1ES3_N6thrust23THRUST_200600_302600_NS11hip_rocprim35transform_pair_of_input_iterators_tIiPaSB_NS8_12not_equal_toIaEEEEPiiNS8_4plusIiEEEE10hipError_tPvRmT1_T2_T3_mT4_P12ihipStream_tbEUlT_E0_NS1_11comp_targetILNS1_3genE2ELNS1_11target_archE906ELNS1_3gpuE6ELNS1_3repE0EEENS1_30default_config_static_selectorELNS0_4arch9wavefront6targetE1EEEvSL_
; %bb.0:
	s_load_dwordx4 s[0:3], s[4:5], 0x0
	s_load_dwordx8 s[8:15], s[4:5], 0x18
	s_load_dwordx2 s[16:17], s[4:5], 0x38
	s_mov_b32 s7, 0
	v_mbcnt_lo_u32_b32 v5, -1, 0
	s_waitcnt lgkmcnt(0)
	s_add_u32 s18, s0, s8
	s_addc_u32 s19, s1, s9
	s_add_u32 s20, s2, s8
	s_addc_u32 s3, s3, s9
	s_lshl_b32 s2, s6, 10
	s_lshr_b64 s[0:1], s[10:11], 10
	s_add_u32 s8, s18, s2
	s_addc_u32 s9, s19, 0
	s_add_u32 s18, s20, s2
	s_addc_u32 s19, s3, 0
	s_cmp_lg_u64 s[0:1], s[6:7]
	s_cbranch_scc0 .LBB658_6
; %bb.1:
	global_load_ubyte v1, v0, s[8:9]
	global_load_ubyte v4, v0, s[18:19]
	global_load_ubyte v6, v0, s[8:9] offset:512
	global_load_ubyte v7, v0, s[18:19] offset:512
	;; [unrolled: 1-line block ×6, first 2 shown]
	v_mbcnt_hi_u32_b32 v2, -1, v5
	v_lshlrev_b32_e32 v3, 2, v2
	s_waitcnt vmcnt(6)
	v_cmp_ne_u16_e32 vcc, v1, v4
	v_cndmask_b32_e64 v1, 0, 1, vcc
	s_waitcnt vmcnt(4)
	v_cmp_ne_u16_e32 vcc, v6, v7
	v_cndmask_b32_e64 v4, 0, 1, vcc
	s_waitcnt vmcnt(2)
	v_cmp_ne_u16_e32 vcc, v8, v9
	v_addc_co_u32_e32 v1, vcc, 0, v1, vcc
	s_waitcnt vmcnt(0)
	v_cmp_ne_u16_e32 vcc, v11, v10
	v_addc_co_u32_e32 v1, vcc, v1, v4, vcc
	v_or_b32_e32 v4, 0xfc, v3
	s_nop 0
	v_add_u32_dpp v1, v1, v1 quad_perm:[1,0,3,2] row_mask:0xf bank_mask:0xf bound_ctrl:1
	v_cmp_eq_u32_e32 vcc, 0, v2
	s_nop 0
	v_add_u32_dpp v1, v1, v1 quad_perm:[2,3,0,1] row_mask:0xf bank_mask:0xf bound_ctrl:1
	s_nop 1
	v_add_u32_dpp v1, v1, v1 row_ror:4 row_mask:0xf bank_mask:0xf bound_ctrl:1
	s_nop 1
	v_add_u32_dpp v1, v1, v1 row_ror:8 row_mask:0xf bank_mask:0xf bound_ctrl:1
	s_nop 1
	v_add_u32_dpp v1, v1, v1 row_bcast:15 row_mask:0xf bank_mask:0xf bound_ctrl:1
	s_nop 1
	v_add_u32_dpp v1, v1, v1 row_bcast:31 row_mask:0xf bank_mask:0xf bound_ctrl:1
	ds_bpermute_b32 v1, v4, v1
	s_and_saveexec_b64 s[0:1], vcc
	s_cbranch_execz .LBB658_3
; %bb.2:
	v_lshrrev_b32_e32 v4, 4, v0
	v_and_b32_e32 v4, 12, v4
	s_waitcnt lgkmcnt(0)
	ds_write_b32 v4, v1
.LBB658_3:
	s_or_b64 exec, exec, s[0:1]
	v_cmp_gt_u32_e32 vcc, 64, v0
	s_waitcnt lgkmcnt(0)
	s_barrier
	s_and_saveexec_b64 s[0:1], vcc
	s_cbranch_execz .LBB658_5
; %bb.4:
	v_and_b32_e32 v1, 3, v2
	v_lshlrev_b32_e32 v4, 2, v1
	ds_read_b32 v4, v4
	v_cmp_ne_u32_e32 vcc, 3, v1
	v_addc_co_u32_e32 v1, vcc, 0, v2, vcc
	v_lshlrev_b32_e32 v1, 2, v1
	s_waitcnt lgkmcnt(0)
	ds_bpermute_b32 v1, v1, v4
	v_or_b32_e32 v2, 8, v3
	s_waitcnt lgkmcnt(0)
	v_add_u32_e32 v1, v1, v4
	ds_bpermute_b32 v2, v2, v1
	s_waitcnt lgkmcnt(0)
	v_add_u32_e32 v1, v2, v1
.LBB658_5:
	s_or_b64 exec, exec, s[0:1]
	s_load_dword s22, s[4:5], 0x40
	s_branch .LBB658_20
.LBB658_6:
                                        ; implicit-def: $vgpr1
	s_load_dword s22, s[4:5], 0x40
	s_cbranch_execz .LBB658_20
; %bb.7:
	s_sub_i32 s23, s10, s2
	v_mov_b32_e32 v1, 0
	v_cmp_gt_u32_e32 vcc, s23, v0
	v_mov_b32_e32 v2, v1
	v_mov_b32_e32 v3, v1
	;; [unrolled: 1-line block ×3, first 2 shown]
	s_and_saveexec_b64 s[0:1], vcc
	s_cbranch_execz .LBB658_9
; %bb.8:
	global_load_ubyte v2, v0, s[8:9]
	global_load_ubyte v3, v0, s[18:19]
	v_mov_b32_e32 v7, v1
	v_mov_b32_e32 v8, v1
	;; [unrolled: 1-line block ×3, first 2 shown]
	s_waitcnt vmcnt(0)
	v_cmp_ne_u16_e32 vcc, v2, v3
	v_cndmask_b32_e64 v2, 0, 1, vcc
	v_and_b32_e32 v6, 0xffff, v2
	v_mov_b32_e32 v1, v6
	v_mov_b32_e32 v2, v7
	;; [unrolled: 1-line block ×4, first 2 shown]
.LBB658_9:
	s_or_b64 exec, exec, s[0:1]
	v_or_b32_e32 v6, 0x100, v0
	v_cmp_gt_u32_e32 vcc, s23, v6
	s_and_saveexec_b64 s[2:3], vcc
	s_cbranch_execz .LBB658_11
; %bb.10:
	global_load_ubyte v2, v0, s[8:9] offset:256
	global_load_ubyte v6, v0, s[18:19] offset:256
	s_waitcnt vmcnt(0)
	v_cmp_ne_u16_e64 s[0:1], v2, v6
	v_cndmask_b32_e64 v2, 0, 1, s[0:1]
.LBB658_11:
	s_or_b64 exec, exec, s[2:3]
	v_or_b32_e32 v6, 0x200, v0
	v_cmp_gt_u32_e64 s[0:1], s23, v6
	s_and_saveexec_b64 s[4:5], s[0:1]
	s_cbranch_execz .LBB658_13
; %bb.12:
	global_load_ubyte v3, v0, s[8:9] offset:512
	global_load_ubyte v6, v0, s[18:19] offset:512
	s_waitcnt vmcnt(0)
	v_cmp_ne_u16_e64 s[2:3], v3, v6
	v_cndmask_b32_e64 v3, 0, 1, s[2:3]
.LBB658_13:
	s_or_b64 exec, exec, s[4:5]
	v_or_b32_e32 v6, 0x300, v0
	v_cmp_gt_u32_e64 s[2:3], s23, v6
	s_and_saveexec_b64 s[20:21], s[2:3]
	s_cbranch_execz .LBB658_15
; %bb.14:
	global_load_ubyte v4, v0, s[8:9] offset:768
	global_load_ubyte v6, v0, s[18:19] offset:768
	s_waitcnt vmcnt(0)
	v_cmp_ne_u16_e64 s[4:5], v4, v6
	v_cndmask_b32_e64 v4, 0, 1, s[4:5]
.LBB658_15:
	s_or_b64 exec, exec, s[20:21]
	v_cndmask_b32_e32 v2, 0, v2, vcc
	v_add_u32_e32 v1, v2, v1
	v_cndmask_b32_e64 v2, 0, v3, s[0:1]
	v_cndmask_b32_e64 v3, 0, v4, s[2:3]
	v_add3_u32 v1, v1, v2, v3
	v_mbcnt_hi_u32_b32 v2, -1, v5
	v_and_b32_e32 v4, 63, v2
	v_cmp_ne_u32_e32 vcc, 63, v4
	v_addc_co_u32_e32 v3, vcc, 0, v2, vcc
	v_lshlrev_b32_e32 v3, 2, v3
	ds_bpermute_b32 v3, v3, v1
	s_min_u32 s2, s23, 0x100
	v_and_b32_e32 v5, 0xc0, v0
	v_sub_u32_e64 v5, s2, v5 clamp
	v_add_u32_e32 v6, 1, v4
	v_cmp_lt_u32_e32 vcc, v6, v5
	s_waitcnt lgkmcnt(0)
	v_cndmask_b32_e32 v3, 0, v3, vcc
	v_cmp_gt_u32_e32 vcc, 62, v4
	v_add_u32_e32 v1, v3, v1
	v_cndmask_b32_e64 v3, 0, 2, vcc
	v_add_lshl_u32 v3, v3, v2, 2
	ds_bpermute_b32 v3, v3, v1
	v_add_u32_e32 v6, 2, v4
	v_cmp_lt_u32_e32 vcc, v6, v5
	v_add_u32_e32 v6, 4, v4
	s_waitcnt lgkmcnt(0)
	v_cndmask_b32_e32 v3, 0, v3, vcc
	v_cmp_gt_u32_e32 vcc, 60, v4
	v_add_u32_e32 v1, v1, v3
	v_cndmask_b32_e64 v3, 0, 4, vcc
	v_add_lshl_u32 v3, v3, v2, 2
	ds_bpermute_b32 v3, v3, v1
	v_cmp_lt_u32_e32 vcc, v6, v5
	v_add_u32_e32 v6, 8, v4
	s_waitcnt lgkmcnt(0)
	v_cndmask_b32_e32 v3, 0, v3, vcc
	v_cmp_gt_u32_e32 vcc, 56, v4
	v_add_u32_e32 v1, v1, v3
	v_cndmask_b32_e64 v3, 0, 8, vcc
	v_add_lshl_u32 v3, v3, v2, 2
	ds_bpermute_b32 v3, v3, v1
	;; [unrolled: 9-line block ×3, first 2 shown]
	v_cmp_lt_u32_e32 vcc, v6, v5
	v_add_u32_e32 v4, 32, v4
	s_waitcnt lgkmcnt(0)
	v_cndmask_b32_e32 v3, 0, v3, vcc
	v_add_u32_e32 v1, v1, v3
	v_lshlrev_b32_e32 v3, 2, v2
	v_or_b32_e32 v6, 0x80, v3
	ds_bpermute_b32 v6, v6, v1
	v_cmp_lt_u32_e32 vcc, v4, v5
	s_waitcnt lgkmcnt(0)
	v_cndmask_b32_e32 v4, 0, v6, vcc
	v_add_u32_e32 v1, v1, v4
	v_cmp_eq_u32_e32 vcc, 0, v2
	s_and_saveexec_b64 s[0:1], vcc
; %bb.16:
	v_lshrrev_b32_e32 v4, 4, v0
	v_and_b32_e32 v4, 12, v4
	ds_write_b32 v4, v1 offset:16
; %bb.17:
	s_or_b64 exec, exec, s[0:1]
	v_cmp_gt_u32_e32 vcc, 4, v0
	s_waitcnt lgkmcnt(0)
	s_barrier
	s_and_saveexec_b64 s[0:1], vcc
	s_cbranch_execz .LBB658_19
; %bb.18:
	ds_read_b32 v1, v3 offset:16
	v_and_b32_e32 v4, 3, v2
	v_cmp_ne_u32_e32 vcc, 3, v4
	v_addc_co_u32_e32 v2, vcc, 0, v2, vcc
	v_lshlrev_b32_e32 v2, 2, v2
	s_waitcnt lgkmcnt(0)
	ds_bpermute_b32 v2, v2, v1
	s_add_i32 s2, s2, 63
	s_lshr_b32 s2, s2, 6
	v_add_u32_e32 v5, 1, v4
	v_cmp_gt_u32_e32 vcc, s2, v5
	s_waitcnt lgkmcnt(0)
	v_cndmask_b32_e32 v2, 0, v2, vcc
	v_add_u32_e32 v1, v2, v1
	v_or_b32_e32 v2, 8, v3
	ds_bpermute_b32 v2, v2, v1
	v_add_u32_e32 v3, 2, v4
	v_cmp_gt_u32_e32 vcc, s2, v3
	s_waitcnt lgkmcnt(0)
	v_cndmask_b32_e32 v2, 0, v2, vcc
	v_add_u32_e32 v1, v1, v2
.LBB658_19:
	s_or_b64 exec, exec, s[0:1]
.LBB658_20:
	v_cmp_eq_u32_e32 vcc, 0, v0
	s_and_saveexec_b64 s[0:1], vcc
	s_cbranch_execnz .LBB658_22
; %bb.21:
	s_endpgm
.LBB658_22:
	s_mul_i32 s0, s16, s15
	s_mul_hi_u32 s1, s16, s14
	s_add_i32 s0, s1, s0
	s_mul_i32 s1, s17, s14
	s_add_i32 s1, s0, s1
	s_mul_i32 s0, s16, s14
	s_lshl_b64 s[0:1], s[0:1], 2
	s_add_u32 s2, s12, s0
	s_addc_u32 s3, s13, s1
	s_cmp_eq_u64 s[10:11], 0
	s_cselect_b64 vcc, -1, 0
	s_lshl_b64 s[0:1], s[6:7], 2
	s_waitcnt lgkmcnt(0)
	v_mov_b32_e32 v0, s22
	s_add_u32 s0, s2, s0
	v_cndmask_b32_e32 v0, v1, v0, vcc
	s_addc_u32 s1, s3, s1
	v_mov_b32_e32 v1, 0
	global_store_dword v1, v0, s[0:1]
	s_endpgm
	.section	.rodata,"a",@progbits
	.p2align	6, 0x0
	.amdhsa_kernel _ZN7rocprim17ROCPRIM_400000_NS6detail17trampoline_kernelINS0_14default_configENS1_22reduce_config_selectorIiEEZNS1_11reduce_implILb1ES3_N6thrust23THRUST_200600_302600_NS11hip_rocprim35transform_pair_of_input_iterators_tIiPaSB_NS8_12not_equal_toIaEEEEPiiNS8_4plusIiEEEE10hipError_tPvRmT1_T2_T3_mT4_P12ihipStream_tbEUlT_E0_NS1_11comp_targetILNS1_3genE2ELNS1_11target_archE906ELNS1_3gpuE6ELNS1_3repE0EEENS1_30default_config_static_selectorELNS0_4arch9wavefront6targetE1EEEvSL_
		.amdhsa_group_segment_fixed_size 32
		.amdhsa_private_segment_fixed_size 0
		.amdhsa_kernarg_size 72
		.amdhsa_user_sgpr_count 6
		.amdhsa_user_sgpr_private_segment_buffer 1
		.amdhsa_user_sgpr_dispatch_ptr 0
		.amdhsa_user_sgpr_queue_ptr 0
		.amdhsa_user_sgpr_kernarg_segment_ptr 1
		.amdhsa_user_sgpr_dispatch_id 0
		.amdhsa_user_sgpr_flat_scratch_init 0
		.amdhsa_user_sgpr_private_segment_size 0
		.amdhsa_uses_dynamic_stack 0
		.amdhsa_system_sgpr_private_segment_wavefront_offset 0
		.amdhsa_system_sgpr_workgroup_id_x 1
		.amdhsa_system_sgpr_workgroup_id_y 0
		.amdhsa_system_sgpr_workgroup_id_z 0
		.amdhsa_system_sgpr_workgroup_info 0
		.amdhsa_system_vgpr_workitem_id 0
		.amdhsa_next_free_vgpr 12
		.amdhsa_next_free_sgpr 24
		.amdhsa_reserve_vcc 1
		.amdhsa_reserve_flat_scratch 0
		.amdhsa_float_round_mode_32 0
		.amdhsa_float_round_mode_16_64 0
		.amdhsa_float_denorm_mode_32 3
		.amdhsa_float_denorm_mode_16_64 3
		.amdhsa_dx10_clamp 1
		.amdhsa_ieee_mode 1
		.amdhsa_fp16_overflow 0
		.amdhsa_exception_fp_ieee_invalid_op 0
		.amdhsa_exception_fp_denorm_src 0
		.amdhsa_exception_fp_ieee_div_zero 0
		.amdhsa_exception_fp_ieee_overflow 0
		.amdhsa_exception_fp_ieee_underflow 0
		.amdhsa_exception_fp_ieee_inexact 0
		.amdhsa_exception_int_div_zero 0
	.end_amdhsa_kernel
	.section	.text._ZN7rocprim17ROCPRIM_400000_NS6detail17trampoline_kernelINS0_14default_configENS1_22reduce_config_selectorIiEEZNS1_11reduce_implILb1ES3_N6thrust23THRUST_200600_302600_NS11hip_rocprim35transform_pair_of_input_iterators_tIiPaSB_NS8_12not_equal_toIaEEEEPiiNS8_4plusIiEEEE10hipError_tPvRmT1_T2_T3_mT4_P12ihipStream_tbEUlT_E0_NS1_11comp_targetILNS1_3genE2ELNS1_11target_archE906ELNS1_3gpuE6ELNS1_3repE0EEENS1_30default_config_static_selectorELNS0_4arch9wavefront6targetE1EEEvSL_,"axG",@progbits,_ZN7rocprim17ROCPRIM_400000_NS6detail17trampoline_kernelINS0_14default_configENS1_22reduce_config_selectorIiEEZNS1_11reduce_implILb1ES3_N6thrust23THRUST_200600_302600_NS11hip_rocprim35transform_pair_of_input_iterators_tIiPaSB_NS8_12not_equal_toIaEEEEPiiNS8_4plusIiEEEE10hipError_tPvRmT1_T2_T3_mT4_P12ihipStream_tbEUlT_E0_NS1_11comp_targetILNS1_3genE2ELNS1_11target_archE906ELNS1_3gpuE6ELNS1_3repE0EEENS1_30default_config_static_selectorELNS0_4arch9wavefront6targetE1EEEvSL_,comdat
.Lfunc_end658:
	.size	_ZN7rocprim17ROCPRIM_400000_NS6detail17trampoline_kernelINS0_14default_configENS1_22reduce_config_selectorIiEEZNS1_11reduce_implILb1ES3_N6thrust23THRUST_200600_302600_NS11hip_rocprim35transform_pair_of_input_iterators_tIiPaSB_NS8_12not_equal_toIaEEEEPiiNS8_4plusIiEEEE10hipError_tPvRmT1_T2_T3_mT4_P12ihipStream_tbEUlT_E0_NS1_11comp_targetILNS1_3genE2ELNS1_11target_archE906ELNS1_3gpuE6ELNS1_3repE0EEENS1_30default_config_static_selectorELNS0_4arch9wavefront6targetE1EEEvSL_, .Lfunc_end658-_ZN7rocprim17ROCPRIM_400000_NS6detail17trampoline_kernelINS0_14default_configENS1_22reduce_config_selectorIiEEZNS1_11reduce_implILb1ES3_N6thrust23THRUST_200600_302600_NS11hip_rocprim35transform_pair_of_input_iterators_tIiPaSB_NS8_12not_equal_toIaEEEEPiiNS8_4plusIiEEEE10hipError_tPvRmT1_T2_T3_mT4_P12ihipStream_tbEUlT_E0_NS1_11comp_targetILNS1_3genE2ELNS1_11target_archE906ELNS1_3gpuE6ELNS1_3repE0EEENS1_30default_config_static_selectorELNS0_4arch9wavefront6targetE1EEEvSL_
                                        ; -- End function
	.set _ZN7rocprim17ROCPRIM_400000_NS6detail17trampoline_kernelINS0_14default_configENS1_22reduce_config_selectorIiEEZNS1_11reduce_implILb1ES3_N6thrust23THRUST_200600_302600_NS11hip_rocprim35transform_pair_of_input_iterators_tIiPaSB_NS8_12not_equal_toIaEEEEPiiNS8_4plusIiEEEE10hipError_tPvRmT1_T2_T3_mT4_P12ihipStream_tbEUlT_E0_NS1_11comp_targetILNS1_3genE2ELNS1_11target_archE906ELNS1_3gpuE6ELNS1_3repE0EEENS1_30default_config_static_selectorELNS0_4arch9wavefront6targetE1EEEvSL_.num_vgpr, 12
	.set _ZN7rocprim17ROCPRIM_400000_NS6detail17trampoline_kernelINS0_14default_configENS1_22reduce_config_selectorIiEEZNS1_11reduce_implILb1ES3_N6thrust23THRUST_200600_302600_NS11hip_rocprim35transform_pair_of_input_iterators_tIiPaSB_NS8_12not_equal_toIaEEEEPiiNS8_4plusIiEEEE10hipError_tPvRmT1_T2_T3_mT4_P12ihipStream_tbEUlT_E0_NS1_11comp_targetILNS1_3genE2ELNS1_11target_archE906ELNS1_3gpuE6ELNS1_3repE0EEENS1_30default_config_static_selectorELNS0_4arch9wavefront6targetE1EEEvSL_.num_agpr, 0
	.set _ZN7rocprim17ROCPRIM_400000_NS6detail17trampoline_kernelINS0_14default_configENS1_22reduce_config_selectorIiEEZNS1_11reduce_implILb1ES3_N6thrust23THRUST_200600_302600_NS11hip_rocprim35transform_pair_of_input_iterators_tIiPaSB_NS8_12not_equal_toIaEEEEPiiNS8_4plusIiEEEE10hipError_tPvRmT1_T2_T3_mT4_P12ihipStream_tbEUlT_E0_NS1_11comp_targetILNS1_3genE2ELNS1_11target_archE906ELNS1_3gpuE6ELNS1_3repE0EEENS1_30default_config_static_selectorELNS0_4arch9wavefront6targetE1EEEvSL_.numbered_sgpr, 24
	.set _ZN7rocprim17ROCPRIM_400000_NS6detail17trampoline_kernelINS0_14default_configENS1_22reduce_config_selectorIiEEZNS1_11reduce_implILb1ES3_N6thrust23THRUST_200600_302600_NS11hip_rocprim35transform_pair_of_input_iterators_tIiPaSB_NS8_12not_equal_toIaEEEEPiiNS8_4plusIiEEEE10hipError_tPvRmT1_T2_T3_mT4_P12ihipStream_tbEUlT_E0_NS1_11comp_targetILNS1_3genE2ELNS1_11target_archE906ELNS1_3gpuE6ELNS1_3repE0EEENS1_30default_config_static_selectorELNS0_4arch9wavefront6targetE1EEEvSL_.num_named_barrier, 0
	.set _ZN7rocprim17ROCPRIM_400000_NS6detail17trampoline_kernelINS0_14default_configENS1_22reduce_config_selectorIiEEZNS1_11reduce_implILb1ES3_N6thrust23THRUST_200600_302600_NS11hip_rocprim35transform_pair_of_input_iterators_tIiPaSB_NS8_12not_equal_toIaEEEEPiiNS8_4plusIiEEEE10hipError_tPvRmT1_T2_T3_mT4_P12ihipStream_tbEUlT_E0_NS1_11comp_targetILNS1_3genE2ELNS1_11target_archE906ELNS1_3gpuE6ELNS1_3repE0EEENS1_30default_config_static_selectorELNS0_4arch9wavefront6targetE1EEEvSL_.private_seg_size, 0
	.set _ZN7rocprim17ROCPRIM_400000_NS6detail17trampoline_kernelINS0_14default_configENS1_22reduce_config_selectorIiEEZNS1_11reduce_implILb1ES3_N6thrust23THRUST_200600_302600_NS11hip_rocprim35transform_pair_of_input_iterators_tIiPaSB_NS8_12not_equal_toIaEEEEPiiNS8_4plusIiEEEE10hipError_tPvRmT1_T2_T3_mT4_P12ihipStream_tbEUlT_E0_NS1_11comp_targetILNS1_3genE2ELNS1_11target_archE906ELNS1_3gpuE6ELNS1_3repE0EEENS1_30default_config_static_selectorELNS0_4arch9wavefront6targetE1EEEvSL_.uses_vcc, 1
	.set _ZN7rocprim17ROCPRIM_400000_NS6detail17trampoline_kernelINS0_14default_configENS1_22reduce_config_selectorIiEEZNS1_11reduce_implILb1ES3_N6thrust23THRUST_200600_302600_NS11hip_rocprim35transform_pair_of_input_iterators_tIiPaSB_NS8_12not_equal_toIaEEEEPiiNS8_4plusIiEEEE10hipError_tPvRmT1_T2_T3_mT4_P12ihipStream_tbEUlT_E0_NS1_11comp_targetILNS1_3genE2ELNS1_11target_archE906ELNS1_3gpuE6ELNS1_3repE0EEENS1_30default_config_static_selectorELNS0_4arch9wavefront6targetE1EEEvSL_.uses_flat_scratch, 0
	.set _ZN7rocprim17ROCPRIM_400000_NS6detail17trampoline_kernelINS0_14default_configENS1_22reduce_config_selectorIiEEZNS1_11reduce_implILb1ES3_N6thrust23THRUST_200600_302600_NS11hip_rocprim35transform_pair_of_input_iterators_tIiPaSB_NS8_12not_equal_toIaEEEEPiiNS8_4plusIiEEEE10hipError_tPvRmT1_T2_T3_mT4_P12ihipStream_tbEUlT_E0_NS1_11comp_targetILNS1_3genE2ELNS1_11target_archE906ELNS1_3gpuE6ELNS1_3repE0EEENS1_30default_config_static_selectorELNS0_4arch9wavefront6targetE1EEEvSL_.has_dyn_sized_stack, 0
	.set _ZN7rocprim17ROCPRIM_400000_NS6detail17trampoline_kernelINS0_14default_configENS1_22reduce_config_selectorIiEEZNS1_11reduce_implILb1ES3_N6thrust23THRUST_200600_302600_NS11hip_rocprim35transform_pair_of_input_iterators_tIiPaSB_NS8_12not_equal_toIaEEEEPiiNS8_4plusIiEEEE10hipError_tPvRmT1_T2_T3_mT4_P12ihipStream_tbEUlT_E0_NS1_11comp_targetILNS1_3genE2ELNS1_11target_archE906ELNS1_3gpuE6ELNS1_3repE0EEENS1_30default_config_static_selectorELNS0_4arch9wavefront6targetE1EEEvSL_.has_recursion, 0
	.set _ZN7rocprim17ROCPRIM_400000_NS6detail17trampoline_kernelINS0_14default_configENS1_22reduce_config_selectorIiEEZNS1_11reduce_implILb1ES3_N6thrust23THRUST_200600_302600_NS11hip_rocprim35transform_pair_of_input_iterators_tIiPaSB_NS8_12not_equal_toIaEEEEPiiNS8_4plusIiEEEE10hipError_tPvRmT1_T2_T3_mT4_P12ihipStream_tbEUlT_E0_NS1_11comp_targetILNS1_3genE2ELNS1_11target_archE906ELNS1_3gpuE6ELNS1_3repE0EEENS1_30default_config_static_selectorELNS0_4arch9wavefront6targetE1EEEvSL_.has_indirect_call, 0
	.section	.AMDGPU.csdata,"",@progbits
; Kernel info:
; codeLenInByte = 1340
; TotalNumSgprs: 28
; NumVgprs: 12
; ScratchSize: 0
; MemoryBound: 0
; FloatMode: 240
; IeeeMode: 1
; LDSByteSize: 32 bytes/workgroup (compile time only)
; SGPRBlocks: 3
; VGPRBlocks: 2
; NumSGPRsForWavesPerEU: 28
; NumVGPRsForWavesPerEU: 12
; Occupancy: 10
; WaveLimiterHint : 0
; COMPUTE_PGM_RSRC2:SCRATCH_EN: 0
; COMPUTE_PGM_RSRC2:USER_SGPR: 6
; COMPUTE_PGM_RSRC2:TRAP_HANDLER: 0
; COMPUTE_PGM_RSRC2:TGID_X_EN: 1
; COMPUTE_PGM_RSRC2:TGID_Y_EN: 0
; COMPUTE_PGM_RSRC2:TGID_Z_EN: 0
; COMPUTE_PGM_RSRC2:TIDIG_COMP_CNT: 0
	.section	.text._ZN7rocprim17ROCPRIM_400000_NS6detail17trampoline_kernelINS0_14default_configENS1_22reduce_config_selectorIiEEZNS1_11reduce_implILb1ES3_N6thrust23THRUST_200600_302600_NS11hip_rocprim35transform_pair_of_input_iterators_tIiPaSB_NS8_12not_equal_toIaEEEEPiiNS8_4plusIiEEEE10hipError_tPvRmT1_T2_T3_mT4_P12ihipStream_tbEUlT_E0_NS1_11comp_targetILNS1_3genE10ELNS1_11target_archE1201ELNS1_3gpuE5ELNS1_3repE0EEENS1_30default_config_static_selectorELNS0_4arch9wavefront6targetE1EEEvSL_,"axG",@progbits,_ZN7rocprim17ROCPRIM_400000_NS6detail17trampoline_kernelINS0_14default_configENS1_22reduce_config_selectorIiEEZNS1_11reduce_implILb1ES3_N6thrust23THRUST_200600_302600_NS11hip_rocprim35transform_pair_of_input_iterators_tIiPaSB_NS8_12not_equal_toIaEEEEPiiNS8_4plusIiEEEE10hipError_tPvRmT1_T2_T3_mT4_P12ihipStream_tbEUlT_E0_NS1_11comp_targetILNS1_3genE10ELNS1_11target_archE1201ELNS1_3gpuE5ELNS1_3repE0EEENS1_30default_config_static_selectorELNS0_4arch9wavefront6targetE1EEEvSL_,comdat
	.protected	_ZN7rocprim17ROCPRIM_400000_NS6detail17trampoline_kernelINS0_14default_configENS1_22reduce_config_selectorIiEEZNS1_11reduce_implILb1ES3_N6thrust23THRUST_200600_302600_NS11hip_rocprim35transform_pair_of_input_iterators_tIiPaSB_NS8_12not_equal_toIaEEEEPiiNS8_4plusIiEEEE10hipError_tPvRmT1_T2_T3_mT4_P12ihipStream_tbEUlT_E0_NS1_11comp_targetILNS1_3genE10ELNS1_11target_archE1201ELNS1_3gpuE5ELNS1_3repE0EEENS1_30default_config_static_selectorELNS0_4arch9wavefront6targetE1EEEvSL_ ; -- Begin function _ZN7rocprim17ROCPRIM_400000_NS6detail17trampoline_kernelINS0_14default_configENS1_22reduce_config_selectorIiEEZNS1_11reduce_implILb1ES3_N6thrust23THRUST_200600_302600_NS11hip_rocprim35transform_pair_of_input_iterators_tIiPaSB_NS8_12not_equal_toIaEEEEPiiNS8_4plusIiEEEE10hipError_tPvRmT1_T2_T3_mT4_P12ihipStream_tbEUlT_E0_NS1_11comp_targetILNS1_3genE10ELNS1_11target_archE1201ELNS1_3gpuE5ELNS1_3repE0EEENS1_30default_config_static_selectorELNS0_4arch9wavefront6targetE1EEEvSL_
	.globl	_ZN7rocprim17ROCPRIM_400000_NS6detail17trampoline_kernelINS0_14default_configENS1_22reduce_config_selectorIiEEZNS1_11reduce_implILb1ES3_N6thrust23THRUST_200600_302600_NS11hip_rocprim35transform_pair_of_input_iterators_tIiPaSB_NS8_12not_equal_toIaEEEEPiiNS8_4plusIiEEEE10hipError_tPvRmT1_T2_T3_mT4_P12ihipStream_tbEUlT_E0_NS1_11comp_targetILNS1_3genE10ELNS1_11target_archE1201ELNS1_3gpuE5ELNS1_3repE0EEENS1_30default_config_static_selectorELNS0_4arch9wavefront6targetE1EEEvSL_
	.p2align	8
	.type	_ZN7rocprim17ROCPRIM_400000_NS6detail17trampoline_kernelINS0_14default_configENS1_22reduce_config_selectorIiEEZNS1_11reduce_implILb1ES3_N6thrust23THRUST_200600_302600_NS11hip_rocprim35transform_pair_of_input_iterators_tIiPaSB_NS8_12not_equal_toIaEEEEPiiNS8_4plusIiEEEE10hipError_tPvRmT1_T2_T3_mT4_P12ihipStream_tbEUlT_E0_NS1_11comp_targetILNS1_3genE10ELNS1_11target_archE1201ELNS1_3gpuE5ELNS1_3repE0EEENS1_30default_config_static_selectorELNS0_4arch9wavefront6targetE1EEEvSL_,@function
_ZN7rocprim17ROCPRIM_400000_NS6detail17trampoline_kernelINS0_14default_configENS1_22reduce_config_selectorIiEEZNS1_11reduce_implILb1ES3_N6thrust23THRUST_200600_302600_NS11hip_rocprim35transform_pair_of_input_iterators_tIiPaSB_NS8_12not_equal_toIaEEEEPiiNS8_4plusIiEEEE10hipError_tPvRmT1_T2_T3_mT4_P12ihipStream_tbEUlT_E0_NS1_11comp_targetILNS1_3genE10ELNS1_11target_archE1201ELNS1_3gpuE5ELNS1_3repE0EEENS1_30default_config_static_selectorELNS0_4arch9wavefront6targetE1EEEvSL_: ; @_ZN7rocprim17ROCPRIM_400000_NS6detail17trampoline_kernelINS0_14default_configENS1_22reduce_config_selectorIiEEZNS1_11reduce_implILb1ES3_N6thrust23THRUST_200600_302600_NS11hip_rocprim35transform_pair_of_input_iterators_tIiPaSB_NS8_12not_equal_toIaEEEEPiiNS8_4plusIiEEEE10hipError_tPvRmT1_T2_T3_mT4_P12ihipStream_tbEUlT_E0_NS1_11comp_targetILNS1_3genE10ELNS1_11target_archE1201ELNS1_3gpuE5ELNS1_3repE0EEENS1_30default_config_static_selectorELNS0_4arch9wavefront6targetE1EEEvSL_
; %bb.0:
	.section	.rodata,"a",@progbits
	.p2align	6, 0x0
	.amdhsa_kernel _ZN7rocprim17ROCPRIM_400000_NS6detail17trampoline_kernelINS0_14default_configENS1_22reduce_config_selectorIiEEZNS1_11reduce_implILb1ES3_N6thrust23THRUST_200600_302600_NS11hip_rocprim35transform_pair_of_input_iterators_tIiPaSB_NS8_12not_equal_toIaEEEEPiiNS8_4plusIiEEEE10hipError_tPvRmT1_T2_T3_mT4_P12ihipStream_tbEUlT_E0_NS1_11comp_targetILNS1_3genE10ELNS1_11target_archE1201ELNS1_3gpuE5ELNS1_3repE0EEENS1_30default_config_static_selectorELNS0_4arch9wavefront6targetE1EEEvSL_
		.amdhsa_group_segment_fixed_size 0
		.amdhsa_private_segment_fixed_size 0
		.amdhsa_kernarg_size 72
		.amdhsa_user_sgpr_count 6
		.amdhsa_user_sgpr_private_segment_buffer 1
		.amdhsa_user_sgpr_dispatch_ptr 0
		.amdhsa_user_sgpr_queue_ptr 0
		.amdhsa_user_sgpr_kernarg_segment_ptr 1
		.amdhsa_user_sgpr_dispatch_id 0
		.amdhsa_user_sgpr_flat_scratch_init 0
		.amdhsa_user_sgpr_private_segment_size 0
		.amdhsa_uses_dynamic_stack 0
		.amdhsa_system_sgpr_private_segment_wavefront_offset 0
		.amdhsa_system_sgpr_workgroup_id_x 1
		.amdhsa_system_sgpr_workgroup_id_y 0
		.amdhsa_system_sgpr_workgroup_id_z 0
		.amdhsa_system_sgpr_workgroup_info 0
		.amdhsa_system_vgpr_workitem_id 0
		.amdhsa_next_free_vgpr 1
		.amdhsa_next_free_sgpr 0
		.amdhsa_reserve_vcc 0
		.amdhsa_reserve_flat_scratch 0
		.amdhsa_float_round_mode_32 0
		.amdhsa_float_round_mode_16_64 0
		.amdhsa_float_denorm_mode_32 3
		.amdhsa_float_denorm_mode_16_64 3
		.amdhsa_dx10_clamp 1
		.amdhsa_ieee_mode 1
		.amdhsa_fp16_overflow 0
		.amdhsa_exception_fp_ieee_invalid_op 0
		.amdhsa_exception_fp_denorm_src 0
		.amdhsa_exception_fp_ieee_div_zero 0
		.amdhsa_exception_fp_ieee_overflow 0
		.amdhsa_exception_fp_ieee_underflow 0
		.amdhsa_exception_fp_ieee_inexact 0
		.amdhsa_exception_int_div_zero 0
	.end_amdhsa_kernel
	.section	.text._ZN7rocprim17ROCPRIM_400000_NS6detail17trampoline_kernelINS0_14default_configENS1_22reduce_config_selectorIiEEZNS1_11reduce_implILb1ES3_N6thrust23THRUST_200600_302600_NS11hip_rocprim35transform_pair_of_input_iterators_tIiPaSB_NS8_12not_equal_toIaEEEEPiiNS8_4plusIiEEEE10hipError_tPvRmT1_T2_T3_mT4_P12ihipStream_tbEUlT_E0_NS1_11comp_targetILNS1_3genE10ELNS1_11target_archE1201ELNS1_3gpuE5ELNS1_3repE0EEENS1_30default_config_static_selectorELNS0_4arch9wavefront6targetE1EEEvSL_,"axG",@progbits,_ZN7rocprim17ROCPRIM_400000_NS6detail17trampoline_kernelINS0_14default_configENS1_22reduce_config_selectorIiEEZNS1_11reduce_implILb1ES3_N6thrust23THRUST_200600_302600_NS11hip_rocprim35transform_pair_of_input_iterators_tIiPaSB_NS8_12not_equal_toIaEEEEPiiNS8_4plusIiEEEE10hipError_tPvRmT1_T2_T3_mT4_P12ihipStream_tbEUlT_E0_NS1_11comp_targetILNS1_3genE10ELNS1_11target_archE1201ELNS1_3gpuE5ELNS1_3repE0EEENS1_30default_config_static_selectorELNS0_4arch9wavefront6targetE1EEEvSL_,comdat
.Lfunc_end659:
	.size	_ZN7rocprim17ROCPRIM_400000_NS6detail17trampoline_kernelINS0_14default_configENS1_22reduce_config_selectorIiEEZNS1_11reduce_implILb1ES3_N6thrust23THRUST_200600_302600_NS11hip_rocprim35transform_pair_of_input_iterators_tIiPaSB_NS8_12not_equal_toIaEEEEPiiNS8_4plusIiEEEE10hipError_tPvRmT1_T2_T3_mT4_P12ihipStream_tbEUlT_E0_NS1_11comp_targetILNS1_3genE10ELNS1_11target_archE1201ELNS1_3gpuE5ELNS1_3repE0EEENS1_30default_config_static_selectorELNS0_4arch9wavefront6targetE1EEEvSL_, .Lfunc_end659-_ZN7rocprim17ROCPRIM_400000_NS6detail17trampoline_kernelINS0_14default_configENS1_22reduce_config_selectorIiEEZNS1_11reduce_implILb1ES3_N6thrust23THRUST_200600_302600_NS11hip_rocprim35transform_pair_of_input_iterators_tIiPaSB_NS8_12not_equal_toIaEEEEPiiNS8_4plusIiEEEE10hipError_tPvRmT1_T2_T3_mT4_P12ihipStream_tbEUlT_E0_NS1_11comp_targetILNS1_3genE10ELNS1_11target_archE1201ELNS1_3gpuE5ELNS1_3repE0EEENS1_30default_config_static_selectorELNS0_4arch9wavefront6targetE1EEEvSL_
                                        ; -- End function
	.set _ZN7rocprim17ROCPRIM_400000_NS6detail17trampoline_kernelINS0_14default_configENS1_22reduce_config_selectorIiEEZNS1_11reduce_implILb1ES3_N6thrust23THRUST_200600_302600_NS11hip_rocprim35transform_pair_of_input_iterators_tIiPaSB_NS8_12not_equal_toIaEEEEPiiNS8_4plusIiEEEE10hipError_tPvRmT1_T2_T3_mT4_P12ihipStream_tbEUlT_E0_NS1_11comp_targetILNS1_3genE10ELNS1_11target_archE1201ELNS1_3gpuE5ELNS1_3repE0EEENS1_30default_config_static_selectorELNS0_4arch9wavefront6targetE1EEEvSL_.num_vgpr, 0
	.set _ZN7rocprim17ROCPRIM_400000_NS6detail17trampoline_kernelINS0_14default_configENS1_22reduce_config_selectorIiEEZNS1_11reduce_implILb1ES3_N6thrust23THRUST_200600_302600_NS11hip_rocprim35transform_pair_of_input_iterators_tIiPaSB_NS8_12not_equal_toIaEEEEPiiNS8_4plusIiEEEE10hipError_tPvRmT1_T2_T3_mT4_P12ihipStream_tbEUlT_E0_NS1_11comp_targetILNS1_3genE10ELNS1_11target_archE1201ELNS1_3gpuE5ELNS1_3repE0EEENS1_30default_config_static_selectorELNS0_4arch9wavefront6targetE1EEEvSL_.num_agpr, 0
	.set _ZN7rocprim17ROCPRIM_400000_NS6detail17trampoline_kernelINS0_14default_configENS1_22reduce_config_selectorIiEEZNS1_11reduce_implILb1ES3_N6thrust23THRUST_200600_302600_NS11hip_rocprim35transform_pair_of_input_iterators_tIiPaSB_NS8_12not_equal_toIaEEEEPiiNS8_4plusIiEEEE10hipError_tPvRmT1_T2_T3_mT4_P12ihipStream_tbEUlT_E0_NS1_11comp_targetILNS1_3genE10ELNS1_11target_archE1201ELNS1_3gpuE5ELNS1_3repE0EEENS1_30default_config_static_selectorELNS0_4arch9wavefront6targetE1EEEvSL_.numbered_sgpr, 0
	.set _ZN7rocprim17ROCPRIM_400000_NS6detail17trampoline_kernelINS0_14default_configENS1_22reduce_config_selectorIiEEZNS1_11reduce_implILb1ES3_N6thrust23THRUST_200600_302600_NS11hip_rocprim35transform_pair_of_input_iterators_tIiPaSB_NS8_12not_equal_toIaEEEEPiiNS8_4plusIiEEEE10hipError_tPvRmT1_T2_T3_mT4_P12ihipStream_tbEUlT_E0_NS1_11comp_targetILNS1_3genE10ELNS1_11target_archE1201ELNS1_3gpuE5ELNS1_3repE0EEENS1_30default_config_static_selectorELNS0_4arch9wavefront6targetE1EEEvSL_.num_named_barrier, 0
	.set _ZN7rocprim17ROCPRIM_400000_NS6detail17trampoline_kernelINS0_14default_configENS1_22reduce_config_selectorIiEEZNS1_11reduce_implILb1ES3_N6thrust23THRUST_200600_302600_NS11hip_rocprim35transform_pair_of_input_iterators_tIiPaSB_NS8_12not_equal_toIaEEEEPiiNS8_4plusIiEEEE10hipError_tPvRmT1_T2_T3_mT4_P12ihipStream_tbEUlT_E0_NS1_11comp_targetILNS1_3genE10ELNS1_11target_archE1201ELNS1_3gpuE5ELNS1_3repE0EEENS1_30default_config_static_selectorELNS0_4arch9wavefront6targetE1EEEvSL_.private_seg_size, 0
	.set _ZN7rocprim17ROCPRIM_400000_NS6detail17trampoline_kernelINS0_14default_configENS1_22reduce_config_selectorIiEEZNS1_11reduce_implILb1ES3_N6thrust23THRUST_200600_302600_NS11hip_rocprim35transform_pair_of_input_iterators_tIiPaSB_NS8_12not_equal_toIaEEEEPiiNS8_4plusIiEEEE10hipError_tPvRmT1_T2_T3_mT4_P12ihipStream_tbEUlT_E0_NS1_11comp_targetILNS1_3genE10ELNS1_11target_archE1201ELNS1_3gpuE5ELNS1_3repE0EEENS1_30default_config_static_selectorELNS0_4arch9wavefront6targetE1EEEvSL_.uses_vcc, 0
	.set _ZN7rocprim17ROCPRIM_400000_NS6detail17trampoline_kernelINS0_14default_configENS1_22reduce_config_selectorIiEEZNS1_11reduce_implILb1ES3_N6thrust23THRUST_200600_302600_NS11hip_rocprim35transform_pair_of_input_iterators_tIiPaSB_NS8_12not_equal_toIaEEEEPiiNS8_4plusIiEEEE10hipError_tPvRmT1_T2_T3_mT4_P12ihipStream_tbEUlT_E0_NS1_11comp_targetILNS1_3genE10ELNS1_11target_archE1201ELNS1_3gpuE5ELNS1_3repE0EEENS1_30default_config_static_selectorELNS0_4arch9wavefront6targetE1EEEvSL_.uses_flat_scratch, 0
	.set _ZN7rocprim17ROCPRIM_400000_NS6detail17trampoline_kernelINS0_14default_configENS1_22reduce_config_selectorIiEEZNS1_11reduce_implILb1ES3_N6thrust23THRUST_200600_302600_NS11hip_rocprim35transform_pair_of_input_iterators_tIiPaSB_NS8_12not_equal_toIaEEEEPiiNS8_4plusIiEEEE10hipError_tPvRmT1_T2_T3_mT4_P12ihipStream_tbEUlT_E0_NS1_11comp_targetILNS1_3genE10ELNS1_11target_archE1201ELNS1_3gpuE5ELNS1_3repE0EEENS1_30default_config_static_selectorELNS0_4arch9wavefront6targetE1EEEvSL_.has_dyn_sized_stack, 0
	.set _ZN7rocprim17ROCPRIM_400000_NS6detail17trampoline_kernelINS0_14default_configENS1_22reduce_config_selectorIiEEZNS1_11reduce_implILb1ES3_N6thrust23THRUST_200600_302600_NS11hip_rocprim35transform_pair_of_input_iterators_tIiPaSB_NS8_12not_equal_toIaEEEEPiiNS8_4plusIiEEEE10hipError_tPvRmT1_T2_T3_mT4_P12ihipStream_tbEUlT_E0_NS1_11comp_targetILNS1_3genE10ELNS1_11target_archE1201ELNS1_3gpuE5ELNS1_3repE0EEENS1_30default_config_static_selectorELNS0_4arch9wavefront6targetE1EEEvSL_.has_recursion, 0
	.set _ZN7rocprim17ROCPRIM_400000_NS6detail17trampoline_kernelINS0_14default_configENS1_22reduce_config_selectorIiEEZNS1_11reduce_implILb1ES3_N6thrust23THRUST_200600_302600_NS11hip_rocprim35transform_pair_of_input_iterators_tIiPaSB_NS8_12not_equal_toIaEEEEPiiNS8_4plusIiEEEE10hipError_tPvRmT1_T2_T3_mT4_P12ihipStream_tbEUlT_E0_NS1_11comp_targetILNS1_3genE10ELNS1_11target_archE1201ELNS1_3gpuE5ELNS1_3repE0EEENS1_30default_config_static_selectorELNS0_4arch9wavefront6targetE1EEEvSL_.has_indirect_call, 0
	.section	.AMDGPU.csdata,"",@progbits
; Kernel info:
; codeLenInByte = 0
; TotalNumSgprs: 4
; NumVgprs: 0
; ScratchSize: 0
; MemoryBound: 0
; FloatMode: 240
; IeeeMode: 1
; LDSByteSize: 0 bytes/workgroup (compile time only)
; SGPRBlocks: 0
; VGPRBlocks: 0
; NumSGPRsForWavesPerEU: 4
; NumVGPRsForWavesPerEU: 1
; Occupancy: 10
; WaveLimiterHint : 0
; COMPUTE_PGM_RSRC2:SCRATCH_EN: 0
; COMPUTE_PGM_RSRC2:USER_SGPR: 6
; COMPUTE_PGM_RSRC2:TRAP_HANDLER: 0
; COMPUTE_PGM_RSRC2:TGID_X_EN: 1
; COMPUTE_PGM_RSRC2:TGID_Y_EN: 0
; COMPUTE_PGM_RSRC2:TGID_Z_EN: 0
; COMPUTE_PGM_RSRC2:TIDIG_COMP_CNT: 0
	.section	.text._ZN7rocprim17ROCPRIM_400000_NS6detail17trampoline_kernelINS0_14default_configENS1_22reduce_config_selectorIiEEZNS1_11reduce_implILb1ES3_N6thrust23THRUST_200600_302600_NS11hip_rocprim35transform_pair_of_input_iterators_tIiPaSB_NS8_12not_equal_toIaEEEEPiiNS8_4plusIiEEEE10hipError_tPvRmT1_T2_T3_mT4_P12ihipStream_tbEUlT_E0_NS1_11comp_targetILNS1_3genE10ELNS1_11target_archE1200ELNS1_3gpuE4ELNS1_3repE0EEENS1_30default_config_static_selectorELNS0_4arch9wavefront6targetE1EEEvSL_,"axG",@progbits,_ZN7rocprim17ROCPRIM_400000_NS6detail17trampoline_kernelINS0_14default_configENS1_22reduce_config_selectorIiEEZNS1_11reduce_implILb1ES3_N6thrust23THRUST_200600_302600_NS11hip_rocprim35transform_pair_of_input_iterators_tIiPaSB_NS8_12not_equal_toIaEEEEPiiNS8_4plusIiEEEE10hipError_tPvRmT1_T2_T3_mT4_P12ihipStream_tbEUlT_E0_NS1_11comp_targetILNS1_3genE10ELNS1_11target_archE1200ELNS1_3gpuE4ELNS1_3repE0EEENS1_30default_config_static_selectorELNS0_4arch9wavefront6targetE1EEEvSL_,comdat
	.protected	_ZN7rocprim17ROCPRIM_400000_NS6detail17trampoline_kernelINS0_14default_configENS1_22reduce_config_selectorIiEEZNS1_11reduce_implILb1ES3_N6thrust23THRUST_200600_302600_NS11hip_rocprim35transform_pair_of_input_iterators_tIiPaSB_NS8_12not_equal_toIaEEEEPiiNS8_4plusIiEEEE10hipError_tPvRmT1_T2_T3_mT4_P12ihipStream_tbEUlT_E0_NS1_11comp_targetILNS1_3genE10ELNS1_11target_archE1200ELNS1_3gpuE4ELNS1_3repE0EEENS1_30default_config_static_selectorELNS0_4arch9wavefront6targetE1EEEvSL_ ; -- Begin function _ZN7rocprim17ROCPRIM_400000_NS6detail17trampoline_kernelINS0_14default_configENS1_22reduce_config_selectorIiEEZNS1_11reduce_implILb1ES3_N6thrust23THRUST_200600_302600_NS11hip_rocprim35transform_pair_of_input_iterators_tIiPaSB_NS8_12not_equal_toIaEEEEPiiNS8_4plusIiEEEE10hipError_tPvRmT1_T2_T3_mT4_P12ihipStream_tbEUlT_E0_NS1_11comp_targetILNS1_3genE10ELNS1_11target_archE1200ELNS1_3gpuE4ELNS1_3repE0EEENS1_30default_config_static_selectorELNS0_4arch9wavefront6targetE1EEEvSL_
	.globl	_ZN7rocprim17ROCPRIM_400000_NS6detail17trampoline_kernelINS0_14default_configENS1_22reduce_config_selectorIiEEZNS1_11reduce_implILb1ES3_N6thrust23THRUST_200600_302600_NS11hip_rocprim35transform_pair_of_input_iterators_tIiPaSB_NS8_12not_equal_toIaEEEEPiiNS8_4plusIiEEEE10hipError_tPvRmT1_T2_T3_mT4_P12ihipStream_tbEUlT_E0_NS1_11comp_targetILNS1_3genE10ELNS1_11target_archE1200ELNS1_3gpuE4ELNS1_3repE0EEENS1_30default_config_static_selectorELNS0_4arch9wavefront6targetE1EEEvSL_
	.p2align	8
	.type	_ZN7rocprim17ROCPRIM_400000_NS6detail17trampoline_kernelINS0_14default_configENS1_22reduce_config_selectorIiEEZNS1_11reduce_implILb1ES3_N6thrust23THRUST_200600_302600_NS11hip_rocprim35transform_pair_of_input_iterators_tIiPaSB_NS8_12not_equal_toIaEEEEPiiNS8_4plusIiEEEE10hipError_tPvRmT1_T2_T3_mT4_P12ihipStream_tbEUlT_E0_NS1_11comp_targetILNS1_3genE10ELNS1_11target_archE1200ELNS1_3gpuE4ELNS1_3repE0EEENS1_30default_config_static_selectorELNS0_4arch9wavefront6targetE1EEEvSL_,@function
_ZN7rocprim17ROCPRIM_400000_NS6detail17trampoline_kernelINS0_14default_configENS1_22reduce_config_selectorIiEEZNS1_11reduce_implILb1ES3_N6thrust23THRUST_200600_302600_NS11hip_rocprim35transform_pair_of_input_iterators_tIiPaSB_NS8_12not_equal_toIaEEEEPiiNS8_4plusIiEEEE10hipError_tPvRmT1_T2_T3_mT4_P12ihipStream_tbEUlT_E0_NS1_11comp_targetILNS1_3genE10ELNS1_11target_archE1200ELNS1_3gpuE4ELNS1_3repE0EEENS1_30default_config_static_selectorELNS0_4arch9wavefront6targetE1EEEvSL_: ; @_ZN7rocprim17ROCPRIM_400000_NS6detail17trampoline_kernelINS0_14default_configENS1_22reduce_config_selectorIiEEZNS1_11reduce_implILb1ES3_N6thrust23THRUST_200600_302600_NS11hip_rocprim35transform_pair_of_input_iterators_tIiPaSB_NS8_12not_equal_toIaEEEEPiiNS8_4plusIiEEEE10hipError_tPvRmT1_T2_T3_mT4_P12ihipStream_tbEUlT_E0_NS1_11comp_targetILNS1_3genE10ELNS1_11target_archE1200ELNS1_3gpuE4ELNS1_3repE0EEENS1_30default_config_static_selectorELNS0_4arch9wavefront6targetE1EEEvSL_
; %bb.0:
	.section	.rodata,"a",@progbits
	.p2align	6, 0x0
	.amdhsa_kernel _ZN7rocprim17ROCPRIM_400000_NS6detail17trampoline_kernelINS0_14default_configENS1_22reduce_config_selectorIiEEZNS1_11reduce_implILb1ES3_N6thrust23THRUST_200600_302600_NS11hip_rocprim35transform_pair_of_input_iterators_tIiPaSB_NS8_12not_equal_toIaEEEEPiiNS8_4plusIiEEEE10hipError_tPvRmT1_T2_T3_mT4_P12ihipStream_tbEUlT_E0_NS1_11comp_targetILNS1_3genE10ELNS1_11target_archE1200ELNS1_3gpuE4ELNS1_3repE0EEENS1_30default_config_static_selectorELNS0_4arch9wavefront6targetE1EEEvSL_
		.amdhsa_group_segment_fixed_size 0
		.amdhsa_private_segment_fixed_size 0
		.amdhsa_kernarg_size 72
		.amdhsa_user_sgpr_count 6
		.amdhsa_user_sgpr_private_segment_buffer 1
		.amdhsa_user_sgpr_dispatch_ptr 0
		.amdhsa_user_sgpr_queue_ptr 0
		.amdhsa_user_sgpr_kernarg_segment_ptr 1
		.amdhsa_user_sgpr_dispatch_id 0
		.amdhsa_user_sgpr_flat_scratch_init 0
		.amdhsa_user_sgpr_private_segment_size 0
		.amdhsa_uses_dynamic_stack 0
		.amdhsa_system_sgpr_private_segment_wavefront_offset 0
		.amdhsa_system_sgpr_workgroup_id_x 1
		.amdhsa_system_sgpr_workgroup_id_y 0
		.amdhsa_system_sgpr_workgroup_id_z 0
		.amdhsa_system_sgpr_workgroup_info 0
		.amdhsa_system_vgpr_workitem_id 0
		.amdhsa_next_free_vgpr 1
		.amdhsa_next_free_sgpr 0
		.amdhsa_reserve_vcc 0
		.amdhsa_reserve_flat_scratch 0
		.amdhsa_float_round_mode_32 0
		.amdhsa_float_round_mode_16_64 0
		.amdhsa_float_denorm_mode_32 3
		.amdhsa_float_denorm_mode_16_64 3
		.amdhsa_dx10_clamp 1
		.amdhsa_ieee_mode 1
		.amdhsa_fp16_overflow 0
		.amdhsa_exception_fp_ieee_invalid_op 0
		.amdhsa_exception_fp_denorm_src 0
		.amdhsa_exception_fp_ieee_div_zero 0
		.amdhsa_exception_fp_ieee_overflow 0
		.amdhsa_exception_fp_ieee_underflow 0
		.amdhsa_exception_fp_ieee_inexact 0
		.amdhsa_exception_int_div_zero 0
	.end_amdhsa_kernel
	.section	.text._ZN7rocprim17ROCPRIM_400000_NS6detail17trampoline_kernelINS0_14default_configENS1_22reduce_config_selectorIiEEZNS1_11reduce_implILb1ES3_N6thrust23THRUST_200600_302600_NS11hip_rocprim35transform_pair_of_input_iterators_tIiPaSB_NS8_12not_equal_toIaEEEEPiiNS8_4plusIiEEEE10hipError_tPvRmT1_T2_T3_mT4_P12ihipStream_tbEUlT_E0_NS1_11comp_targetILNS1_3genE10ELNS1_11target_archE1200ELNS1_3gpuE4ELNS1_3repE0EEENS1_30default_config_static_selectorELNS0_4arch9wavefront6targetE1EEEvSL_,"axG",@progbits,_ZN7rocprim17ROCPRIM_400000_NS6detail17trampoline_kernelINS0_14default_configENS1_22reduce_config_selectorIiEEZNS1_11reduce_implILb1ES3_N6thrust23THRUST_200600_302600_NS11hip_rocprim35transform_pair_of_input_iterators_tIiPaSB_NS8_12not_equal_toIaEEEEPiiNS8_4plusIiEEEE10hipError_tPvRmT1_T2_T3_mT4_P12ihipStream_tbEUlT_E0_NS1_11comp_targetILNS1_3genE10ELNS1_11target_archE1200ELNS1_3gpuE4ELNS1_3repE0EEENS1_30default_config_static_selectorELNS0_4arch9wavefront6targetE1EEEvSL_,comdat
.Lfunc_end660:
	.size	_ZN7rocprim17ROCPRIM_400000_NS6detail17trampoline_kernelINS0_14default_configENS1_22reduce_config_selectorIiEEZNS1_11reduce_implILb1ES3_N6thrust23THRUST_200600_302600_NS11hip_rocprim35transform_pair_of_input_iterators_tIiPaSB_NS8_12not_equal_toIaEEEEPiiNS8_4plusIiEEEE10hipError_tPvRmT1_T2_T3_mT4_P12ihipStream_tbEUlT_E0_NS1_11comp_targetILNS1_3genE10ELNS1_11target_archE1200ELNS1_3gpuE4ELNS1_3repE0EEENS1_30default_config_static_selectorELNS0_4arch9wavefront6targetE1EEEvSL_, .Lfunc_end660-_ZN7rocprim17ROCPRIM_400000_NS6detail17trampoline_kernelINS0_14default_configENS1_22reduce_config_selectorIiEEZNS1_11reduce_implILb1ES3_N6thrust23THRUST_200600_302600_NS11hip_rocprim35transform_pair_of_input_iterators_tIiPaSB_NS8_12not_equal_toIaEEEEPiiNS8_4plusIiEEEE10hipError_tPvRmT1_T2_T3_mT4_P12ihipStream_tbEUlT_E0_NS1_11comp_targetILNS1_3genE10ELNS1_11target_archE1200ELNS1_3gpuE4ELNS1_3repE0EEENS1_30default_config_static_selectorELNS0_4arch9wavefront6targetE1EEEvSL_
                                        ; -- End function
	.set _ZN7rocprim17ROCPRIM_400000_NS6detail17trampoline_kernelINS0_14default_configENS1_22reduce_config_selectorIiEEZNS1_11reduce_implILb1ES3_N6thrust23THRUST_200600_302600_NS11hip_rocprim35transform_pair_of_input_iterators_tIiPaSB_NS8_12not_equal_toIaEEEEPiiNS8_4plusIiEEEE10hipError_tPvRmT1_T2_T3_mT4_P12ihipStream_tbEUlT_E0_NS1_11comp_targetILNS1_3genE10ELNS1_11target_archE1200ELNS1_3gpuE4ELNS1_3repE0EEENS1_30default_config_static_selectorELNS0_4arch9wavefront6targetE1EEEvSL_.num_vgpr, 0
	.set _ZN7rocprim17ROCPRIM_400000_NS6detail17trampoline_kernelINS0_14default_configENS1_22reduce_config_selectorIiEEZNS1_11reduce_implILb1ES3_N6thrust23THRUST_200600_302600_NS11hip_rocprim35transform_pair_of_input_iterators_tIiPaSB_NS8_12not_equal_toIaEEEEPiiNS8_4plusIiEEEE10hipError_tPvRmT1_T2_T3_mT4_P12ihipStream_tbEUlT_E0_NS1_11comp_targetILNS1_3genE10ELNS1_11target_archE1200ELNS1_3gpuE4ELNS1_3repE0EEENS1_30default_config_static_selectorELNS0_4arch9wavefront6targetE1EEEvSL_.num_agpr, 0
	.set _ZN7rocprim17ROCPRIM_400000_NS6detail17trampoline_kernelINS0_14default_configENS1_22reduce_config_selectorIiEEZNS1_11reduce_implILb1ES3_N6thrust23THRUST_200600_302600_NS11hip_rocprim35transform_pair_of_input_iterators_tIiPaSB_NS8_12not_equal_toIaEEEEPiiNS8_4plusIiEEEE10hipError_tPvRmT1_T2_T3_mT4_P12ihipStream_tbEUlT_E0_NS1_11comp_targetILNS1_3genE10ELNS1_11target_archE1200ELNS1_3gpuE4ELNS1_3repE0EEENS1_30default_config_static_selectorELNS0_4arch9wavefront6targetE1EEEvSL_.numbered_sgpr, 0
	.set _ZN7rocprim17ROCPRIM_400000_NS6detail17trampoline_kernelINS0_14default_configENS1_22reduce_config_selectorIiEEZNS1_11reduce_implILb1ES3_N6thrust23THRUST_200600_302600_NS11hip_rocprim35transform_pair_of_input_iterators_tIiPaSB_NS8_12not_equal_toIaEEEEPiiNS8_4plusIiEEEE10hipError_tPvRmT1_T2_T3_mT4_P12ihipStream_tbEUlT_E0_NS1_11comp_targetILNS1_3genE10ELNS1_11target_archE1200ELNS1_3gpuE4ELNS1_3repE0EEENS1_30default_config_static_selectorELNS0_4arch9wavefront6targetE1EEEvSL_.num_named_barrier, 0
	.set _ZN7rocprim17ROCPRIM_400000_NS6detail17trampoline_kernelINS0_14default_configENS1_22reduce_config_selectorIiEEZNS1_11reduce_implILb1ES3_N6thrust23THRUST_200600_302600_NS11hip_rocprim35transform_pair_of_input_iterators_tIiPaSB_NS8_12not_equal_toIaEEEEPiiNS8_4plusIiEEEE10hipError_tPvRmT1_T2_T3_mT4_P12ihipStream_tbEUlT_E0_NS1_11comp_targetILNS1_3genE10ELNS1_11target_archE1200ELNS1_3gpuE4ELNS1_3repE0EEENS1_30default_config_static_selectorELNS0_4arch9wavefront6targetE1EEEvSL_.private_seg_size, 0
	.set _ZN7rocprim17ROCPRIM_400000_NS6detail17trampoline_kernelINS0_14default_configENS1_22reduce_config_selectorIiEEZNS1_11reduce_implILb1ES3_N6thrust23THRUST_200600_302600_NS11hip_rocprim35transform_pair_of_input_iterators_tIiPaSB_NS8_12not_equal_toIaEEEEPiiNS8_4plusIiEEEE10hipError_tPvRmT1_T2_T3_mT4_P12ihipStream_tbEUlT_E0_NS1_11comp_targetILNS1_3genE10ELNS1_11target_archE1200ELNS1_3gpuE4ELNS1_3repE0EEENS1_30default_config_static_selectorELNS0_4arch9wavefront6targetE1EEEvSL_.uses_vcc, 0
	.set _ZN7rocprim17ROCPRIM_400000_NS6detail17trampoline_kernelINS0_14default_configENS1_22reduce_config_selectorIiEEZNS1_11reduce_implILb1ES3_N6thrust23THRUST_200600_302600_NS11hip_rocprim35transform_pair_of_input_iterators_tIiPaSB_NS8_12not_equal_toIaEEEEPiiNS8_4plusIiEEEE10hipError_tPvRmT1_T2_T3_mT4_P12ihipStream_tbEUlT_E0_NS1_11comp_targetILNS1_3genE10ELNS1_11target_archE1200ELNS1_3gpuE4ELNS1_3repE0EEENS1_30default_config_static_selectorELNS0_4arch9wavefront6targetE1EEEvSL_.uses_flat_scratch, 0
	.set _ZN7rocprim17ROCPRIM_400000_NS6detail17trampoline_kernelINS0_14default_configENS1_22reduce_config_selectorIiEEZNS1_11reduce_implILb1ES3_N6thrust23THRUST_200600_302600_NS11hip_rocprim35transform_pair_of_input_iterators_tIiPaSB_NS8_12not_equal_toIaEEEEPiiNS8_4plusIiEEEE10hipError_tPvRmT1_T2_T3_mT4_P12ihipStream_tbEUlT_E0_NS1_11comp_targetILNS1_3genE10ELNS1_11target_archE1200ELNS1_3gpuE4ELNS1_3repE0EEENS1_30default_config_static_selectorELNS0_4arch9wavefront6targetE1EEEvSL_.has_dyn_sized_stack, 0
	.set _ZN7rocprim17ROCPRIM_400000_NS6detail17trampoline_kernelINS0_14default_configENS1_22reduce_config_selectorIiEEZNS1_11reduce_implILb1ES3_N6thrust23THRUST_200600_302600_NS11hip_rocprim35transform_pair_of_input_iterators_tIiPaSB_NS8_12not_equal_toIaEEEEPiiNS8_4plusIiEEEE10hipError_tPvRmT1_T2_T3_mT4_P12ihipStream_tbEUlT_E0_NS1_11comp_targetILNS1_3genE10ELNS1_11target_archE1200ELNS1_3gpuE4ELNS1_3repE0EEENS1_30default_config_static_selectorELNS0_4arch9wavefront6targetE1EEEvSL_.has_recursion, 0
	.set _ZN7rocprim17ROCPRIM_400000_NS6detail17trampoline_kernelINS0_14default_configENS1_22reduce_config_selectorIiEEZNS1_11reduce_implILb1ES3_N6thrust23THRUST_200600_302600_NS11hip_rocprim35transform_pair_of_input_iterators_tIiPaSB_NS8_12not_equal_toIaEEEEPiiNS8_4plusIiEEEE10hipError_tPvRmT1_T2_T3_mT4_P12ihipStream_tbEUlT_E0_NS1_11comp_targetILNS1_3genE10ELNS1_11target_archE1200ELNS1_3gpuE4ELNS1_3repE0EEENS1_30default_config_static_selectorELNS0_4arch9wavefront6targetE1EEEvSL_.has_indirect_call, 0
	.section	.AMDGPU.csdata,"",@progbits
; Kernel info:
; codeLenInByte = 0
; TotalNumSgprs: 4
; NumVgprs: 0
; ScratchSize: 0
; MemoryBound: 0
; FloatMode: 240
; IeeeMode: 1
; LDSByteSize: 0 bytes/workgroup (compile time only)
; SGPRBlocks: 0
; VGPRBlocks: 0
; NumSGPRsForWavesPerEU: 4
; NumVGPRsForWavesPerEU: 1
; Occupancy: 10
; WaveLimiterHint : 0
; COMPUTE_PGM_RSRC2:SCRATCH_EN: 0
; COMPUTE_PGM_RSRC2:USER_SGPR: 6
; COMPUTE_PGM_RSRC2:TRAP_HANDLER: 0
; COMPUTE_PGM_RSRC2:TGID_X_EN: 1
; COMPUTE_PGM_RSRC2:TGID_Y_EN: 0
; COMPUTE_PGM_RSRC2:TGID_Z_EN: 0
; COMPUTE_PGM_RSRC2:TIDIG_COMP_CNT: 0
	.section	.text._ZN7rocprim17ROCPRIM_400000_NS6detail17trampoline_kernelINS0_14default_configENS1_22reduce_config_selectorIiEEZNS1_11reduce_implILb1ES3_N6thrust23THRUST_200600_302600_NS11hip_rocprim35transform_pair_of_input_iterators_tIiPaSB_NS8_12not_equal_toIaEEEEPiiNS8_4plusIiEEEE10hipError_tPvRmT1_T2_T3_mT4_P12ihipStream_tbEUlT_E0_NS1_11comp_targetILNS1_3genE9ELNS1_11target_archE1100ELNS1_3gpuE3ELNS1_3repE0EEENS1_30default_config_static_selectorELNS0_4arch9wavefront6targetE1EEEvSL_,"axG",@progbits,_ZN7rocprim17ROCPRIM_400000_NS6detail17trampoline_kernelINS0_14default_configENS1_22reduce_config_selectorIiEEZNS1_11reduce_implILb1ES3_N6thrust23THRUST_200600_302600_NS11hip_rocprim35transform_pair_of_input_iterators_tIiPaSB_NS8_12not_equal_toIaEEEEPiiNS8_4plusIiEEEE10hipError_tPvRmT1_T2_T3_mT4_P12ihipStream_tbEUlT_E0_NS1_11comp_targetILNS1_3genE9ELNS1_11target_archE1100ELNS1_3gpuE3ELNS1_3repE0EEENS1_30default_config_static_selectorELNS0_4arch9wavefront6targetE1EEEvSL_,comdat
	.protected	_ZN7rocprim17ROCPRIM_400000_NS6detail17trampoline_kernelINS0_14default_configENS1_22reduce_config_selectorIiEEZNS1_11reduce_implILb1ES3_N6thrust23THRUST_200600_302600_NS11hip_rocprim35transform_pair_of_input_iterators_tIiPaSB_NS8_12not_equal_toIaEEEEPiiNS8_4plusIiEEEE10hipError_tPvRmT1_T2_T3_mT4_P12ihipStream_tbEUlT_E0_NS1_11comp_targetILNS1_3genE9ELNS1_11target_archE1100ELNS1_3gpuE3ELNS1_3repE0EEENS1_30default_config_static_selectorELNS0_4arch9wavefront6targetE1EEEvSL_ ; -- Begin function _ZN7rocprim17ROCPRIM_400000_NS6detail17trampoline_kernelINS0_14default_configENS1_22reduce_config_selectorIiEEZNS1_11reduce_implILb1ES3_N6thrust23THRUST_200600_302600_NS11hip_rocprim35transform_pair_of_input_iterators_tIiPaSB_NS8_12not_equal_toIaEEEEPiiNS8_4plusIiEEEE10hipError_tPvRmT1_T2_T3_mT4_P12ihipStream_tbEUlT_E0_NS1_11comp_targetILNS1_3genE9ELNS1_11target_archE1100ELNS1_3gpuE3ELNS1_3repE0EEENS1_30default_config_static_selectorELNS0_4arch9wavefront6targetE1EEEvSL_
	.globl	_ZN7rocprim17ROCPRIM_400000_NS6detail17trampoline_kernelINS0_14default_configENS1_22reduce_config_selectorIiEEZNS1_11reduce_implILb1ES3_N6thrust23THRUST_200600_302600_NS11hip_rocprim35transform_pair_of_input_iterators_tIiPaSB_NS8_12not_equal_toIaEEEEPiiNS8_4plusIiEEEE10hipError_tPvRmT1_T2_T3_mT4_P12ihipStream_tbEUlT_E0_NS1_11comp_targetILNS1_3genE9ELNS1_11target_archE1100ELNS1_3gpuE3ELNS1_3repE0EEENS1_30default_config_static_selectorELNS0_4arch9wavefront6targetE1EEEvSL_
	.p2align	8
	.type	_ZN7rocprim17ROCPRIM_400000_NS6detail17trampoline_kernelINS0_14default_configENS1_22reduce_config_selectorIiEEZNS1_11reduce_implILb1ES3_N6thrust23THRUST_200600_302600_NS11hip_rocprim35transform_pair_of_input_iterators_tIiPaSB_NS8_12not_equal_toIaEEEEPiiNS8_4plusIiEEEE10hipError_tPvRmT1_T2_T3_mT4_P12ihipStream_tbEUlT_E0_NS1_11comp_targetILNS1_3genE9ELNS1_11target_archE1100ELNS1_3gpuE3ELNS1_3repE0EEENS1_30default_config_static_selectorELNS0_4arch9wavefront6targetE1EEEvSL_,@function
_ZN7rocprim17ROCPRIM_400000_NS6detail17trampoline_kernelINS0_14default_configENS1_22reduce_config_selectorIiEEZNS1_11reduce_implILb1ES3_N6thrust23THRUST_200600_302600_NS11hip_rocprim35transform_pair_of_input_iterators_tIiPaSB_NS8_12not_equal_toIaEEEEPiiNS8_4plusIiEEEE10hipError_tPvRmT1_T2_T3_mT4_P12ihipStream_tbEUlT_E0_NS1_11comp_targetILNS1_3genE9ELNS1_11target_archE1100ELNS1_3gpuE3ELNS1_3repE0EEENS1_30default_config_static_selectorELNS0_4arch9wavefront6targetE1EEEvSL_: ; @_ZN7rocprim17ROCPRIM_400000_NS6detail17trampoline_kernelINS0_14default_configENS1_22reduce_config_selectorIiEEZNS1_11reduce_implILb1ES3_N6thrust23THRUST_200600_302600_NS11hip_rocprim35transform_pair_of_input_iterators_tIiPaSB_NS8_12not_equal_toIaEEEEPiiNS8_4plusIiEEEE10hipError_tPvRmT1_T2_T3_mT4_P12ihipStream_tbEUlT_E0_NS1_11comp_targetILNS1_3genE9ELNS1_11target_archE1100ELNS1_3gpuE3ELNS1_3repE0EEENS1_30default_config_static_selectorELNS0_4arch9wavefront6targetE1EEEvSL_
; %bb.0:
	.section	.rodata,"a",@progbits
	.p2align	6, 0x0
	.amdhsa_kernel _ZN7rocprim17ROCPRIM_400000_NS6detail17trampoline_kernelINS0_14default_configENS1_22reduce_config_selectorIiEEZNS1_11reduce_implILb1ES3_N6thrust23THRUST_200600_302600_NS11hip_rocprim35transform_pair_of_input_iterators_tIiPaSB_NS8_12not_equal_toIaEEEEPiiNS8_4plusIiEEEE10hipError_tPvRmT1_T2_T3_mT4_P12ihipStream_tbEUlT_E0_NS1_11comp_targetILNS1_3genE9ELNS1_11target_archE1100ELNS1_3gpuE3ELNS1_3repE0EEENS1_30default_config_static_selectorELNS0_4arch9wavefront6targetE1EEEvSL_
		.amdhsa_group_segment_fixed_size 0
		.amdhsa_private_segment_fixed_size 0
		.amdhsa_kernarg_size 72
		.amdhsa_user_sgpr_count 6
		.amdhsa_user_sgpr_private_segment_buffer 1
		.amdhsa_user_sgpr_dispatch_ptr 0
		.amdhsa_user_sgpr_queue_ptr 0
		.amdhsa_user_sgpr_kernarg_segment_ptr 1
		.amdhsa_user_sgpr_dispatch_id 0
		.amdhsa_user_sgpr_flat_scratch_init 0
		.amdhsa_user_sgpr_private_segment_size 0
		.amdhsa_uses_dynamic_stack 0
		.amdhsa_system_sgpr_private_segment_wavefront_offset 0
		.amdhsa_system_sgpr_workgroup_id_x 1
		.amdhsa_system_sgpr_workgroup_id_y 0
		.amdhsa_system_sgpr_workgroup_id_z 0
		.amdhsa_system_sgpr_workgroup_info 0
		.amdhsa_system_vgpr_workitem_id 0
		.amdhsa_next_free_vgpr 1
		.amdhsa_next_free_sgpr 0
		.amdhsa_reserve_vcc 0
		.amdhsa_reserve_flat_scratch 0
		.amdhsa_float_round_mode_32 0
		.amdhsa_float_round_mode_16_64 0
		.amdhsa_float_denorm_mode_32 3
		.amdhsa_float_denorm_mode_16_64 3
		.amdhsa_dx10_clamp 1
		.amdhsa_ieee_mode 1
		.amdhsa_fp16_overflow 0
		.amdhsa_exception_fp_ieee_invalid_op 0
		.amdhsa_exception_fp_denorm_src 0
		.amdhsa_exception_fp_ieee_div_zero 0
		.amdhsa_exception_fp_ieee_overflow 0
		.amdhsa_exception_fp_ieee_underflow 0
		.amdhsa_exception_fp_ieee_inexact 0
		.amdhsa_exception_int_div_zero 0
	.end_amdhsa_kernel
	.section	.text._ZN7rocprim17ROCPRIM_400000_NS6detail17trampoline_kernelINS0_14default_configENS1_22reduce_config_selectorIiEEZNS1_11reduce_implILb1ES3_N6thrust23THRUST_200600_302600_NS11hip_rocprim35transform_pair_of_input_iterators_tIiPaSB_NS8_12not_equal_toIaEEEEPiiNS8_4plusIiEEEE10hipError_tPvRmT1_T2_T3_mT4_P12ihipStream_tbEUlT_E0_NS1_11comp_targetILNS1_3genE9ELNS1_11target_archE1100ELNS1_3gpuE3ELNS1_3repE0EEENS1_30default_config_static_selectorELNS0_4arch9wavefront6targetE1EEEvSL_,"axG",@progbits,_ZN7rocprim17ROCPRIM_400000_NS6detail17trampoline_kernelINS0_14default_configENS1_22reduce_config_selectorIiEEZNS1_11reduce_implILb1ES3_N6thrust23THRUST_200600_302600_NS11hip_rocprim35transform_pair_of_input_iterators_tIiPaSB_NS8_12not_equal_toIaEEEEPiiNS8_4plusIiEEEE10hipError_tPvRmT1_T2_T3_mT4_P12ihipStream_tbEUlT_E0_NS1_11comp_targetILNS1_3genE9ELNS1_11target_archE1100ELNS1_3gpuE3ELNS1_3repE0EEENS1_30default_config_static_selectorELNS0_4arch9wavefront6targetE1EEEvSL_,comdat
.Lfunc_end661:
	.size	_ZN7rocprim17ROCPRIM_400000_NS6detail17trampoline_kernelINS0_14default_configENS1_22reduce_config_selectorIiEEZNS1_11reduce_implILb1ES3_N6thrust23THRUST_200600_302600_NS11hip_rocprim35transform_pair_of_input_iterators_tIiPaSB_NS8_12not_equal_toIaEEEEPiiNS8_4plusIiEEEE10hipError_tPvRmT1_T2_T3_mT4_P12ihipStream_tbEUlT_E0_NS1_11comp_targetILNS1_3genE9ELNS1_11target_archE1100ELNS1_3gpuE3ELNS1_3repE0EEENS1_30default_config_static_selectorELNS0_4arch9wavefront6targetE1EEEvSL_, .Lfunc_end661-_ZN7rocprim17ROCPRIM_400000_NS6detail17trampoline_kernelINS0_14default_configENS1_22reduce_config_selectorIiEEZNS1_11reduce_implILb1ES3_N6thrust23THRUST_200600_302600_NS11hip_rocprim35transform_pair_of_input_iterators_tIiPaSB_NS8_12not_equal_toIaEEEEPiiNS8_4plusIiEEEE10hipError_tPvRmT1_T2_T3_mT4_P12ihipStream_tbEUlT_E0_NS1_11comp_targetILNS1_3genE9ELNS1_11target_archE1100ELNS1_3gpuE3ELNS1_3repE0EEENS1_30default_config_static_selectorELNS0_4arch9wavefront6targetE1EEEvSL_
                                        ; -- End function
	.set _ZN7rocprim17ROCPRIM_400000_NS6detail17trampoline_kernelINS0_14default_configENS1_22reduce_config_selectorIiEEZNS1_11reduce_implILb1ES3_N6thrust23THRUST_200600_302600_NS11hip_rocprim35transform_pair_of_input_iterators_tIiPaSB_NS8_12not_equal_toIaEEEEPiiNS8_4plusIiEEEE10hipError_tPvRmT1_T2_T3_mT4_P12ihipStream_tbEUlT_E0_NS1_11comp_targetILNS1_3genE9ELNS1_11target_archE1100ELNS1_3gpuE3ELNS1_3repE0EEENS1_30default_config_static_selectorELNS0_4arch9wavefront6targetE1EEEvSL_.num_vgpr, 0
	.set _ZN7rocprim17ROCPRIM_400000_NS6detail17trampoline_kernelINS0_14default_configENS1_22reduce_config_selectorIiEEZNS1_11reduce_implILb1ES3_N6thrust23THRUST_200600_302600_NS11hip_rocprim35transform_pair_of_input_iterators_tIiPaSB_NS8_12not_equal_toIaEEEEPiiNS8_4plusIiEEEE10hipError_tPvRmT1_T2_T3_mT4_P12ihipStream_tbEUlT_E0_NS1_11comp_targetILNS1_3genE9ELNS1_11target_archE1100ELNS1_3gpuE3ELNS1_3repE0EEENS1_30default_config_static_selectorELNS0_4arch9wavefront6targetE1EEEvSL_.num_agpr, 0
	.set _ZN7rocprim17ROCPRIM_400000_NS6detail17trampoline_kernelINS0_14default_configENS1_22reduce_config_selectorIiEEZNS1_11reduce_implILb1ES3_N6thrust23THRUST_200600_302600_NS11hip_rocprim35transform_pair_of_input_iterators_tIiPaSB_NS8_12not_equal_toIaEEEEPiiNS8_4plusIiEEEE10hipError_tPvRmT1_T2_T3_mT4_P12ihipStream_tbEUlT_E0_NS1_11comp_targetILNS1_3genE9ELNS1_11target_archE1100ELNS1_3gpuE3ELNS1_3repE0EEENS1_30default_config_static_selectorELNS0_4arch9wavefront6targetE1EEEvSL_.numbered_sgpr, 0
	.set _ZN7rocprim17ROCPRIM_400000_NS6detail17trampoline_kernelINS0_14default_configENS1_22reduce_config_selectorIiEEZNS1_11reduce_implILb1ES3_N6thrust23THRUST_200600_302600_NS11hip_rocprim35transform_pair_of_input_iterators_tIiPaSB_NS8_12not_equal_toIaEEEEPiiNS8_4plusIiEEEE10hipError_tPvRmT1_T2_T3_mT4_P12ihipStream_tbEUlT_E0_NS1_11comp_targetILNS1_3genE9ELNS1_11target_archE1100ELNS1_3gpuE3ELNS1_3repE0EEENS1_30default_config_static_selectorELNS0_4arch9wavefront6targetE1EEEvSL_.num_named_barrier, 0
	.set _ZN7rocprim17ROCPRIM_400000_NS6detail17trampoline_kernelINS0_14default_configENS1_22reduce_config_selectorIiEEZNS1_11reduce_implILb1ES3_N6thrust23THRUST_200600_302600_NS11hip_rocprim35transform_pair_of_input_iterators_tIiPaSB_NS8_12not_equal_toIaEEEEPiiNS8_4plusIiEEEE10hipError_tPvRmT1_T2_T3_mT4_P12ihipStream_tbEUlT_E0_NS1_11comp_targetILNS1_3genE9ELNS1_11target_archE1100ELNS1_3gpuE3ELNS1_3repE0EEENS1_30default_config_static_selectorELNS0_4arch9wavefront6targetE1EEEvSL_.private_seg_size, 0
	.set _ZN7rocprim17ROCPRIM_400000_NS6detail17trampoline_kernelINS0_14default_configENS1_22reduce_config_selectorIiEEZNS1_11reduce_implILb1ES3_N6thrust23THRUST_200600_302600_NS11hip_rocprim35transform_pair_of_input_iterators_tIiPaSB_NS8_12not_equal_toIaEEEEPiiNS8_4plusIiEEEE10hipError_tPvRmT1_T2_T3_mT4_P12ihipStream_tbEUlT_E0_NS1_11comp_targetILNS1_3genE9ELNS1_11target_archE1100ELNS1_3gpuE3ELNS1_3repE0EEENS1_30default_config_static_selectorELNS0_4arch9wavefront6targetE1EEEvSL_.uses_vcc, 0
	.set _ZN7rocprim17ROCPRIM_400000_NS6detail17trampoline_kernelINS0_14default_configENS1_22reduce_config_selectorIiEEZNS1_11reduce_implILb1ES3_N6thrust23THRUST_200600_302600_NS11hip_rocprim35transform_pair_of_input_iterators_tIiPaSB_NS8_12not_equal_toIaEEEEPiiNS8_4plusIiEEEE10hipError_tPvRmT1_T2_T3_mT4_P12ihipStream_tbEUlT_E0_NS1_11comp_targetILNS1_3genE9ELNS1_11target_archE1100ELNS1_3gpuE3ELNS1_3repE0EEENS1_30default_config_static_selectorELNS0_4arch9wavefront6targetE1EEEvSL_.uses_flat_scratch, 0
	.set _ZN7rocprim17ROCPRIM_400000_NS6detail17trampoline_kernelINS0_14default_configENS1_22reduce_config_selectorIiEEZNS1_11reduce_implILb1ES3_N6thrust23THRUST_200600_302600_NS11hip_rocprim35transform_pair_of_input_iterators_tIiPaSB_NS8_12not_equal_toIaEEEEPiiNS8_4plusIiEEEE10hipError_tPvRmT1_T2_T3_mT4_P12ihipStream_tbEUlT_E0_NS1_11comp_targetILNS1_3genE9ELNS1_11target_archE1100ELNS1_3gpuE3ELNS1_3repE0EEENS1_30default_config_static_selectorELNS0_4arch9wavefront6targetE1EEEvSL_.has_dyn_sized_stack, 0
	.set _ZN7rocprim17ROCPRIM_400000_NS6detail17trampoline_kernelINS0_14default_configENS1_22reduce_config_selectorIiEEZNS1_11reduce_implILb1ES3_N6thrust23THRUST_200600_302600_NS11hip_rocprim35transform_pair_of_input_iterators_tIiPaSB_NS8_12not_equal_toIaEEEEPiiNS8_4plusIiEEEE10hipError_tPvRmT1_T2_T3_mT4_P12ihipStream_tbEUlT_E0_NS1_11comp_targetILNS1_3genE9ELNS1_11target_archE1100ELNS1_3gpuE3ELNS1_3repE0EEENS1_30default_config_static_selectorELNS0_4arch9wavefront6targetE1EEEvSL_.has_recursion, 0
	.set _ZN7rocprim17ROCPRIM_400000_NS6detail17trampoline_kernelINS0_14default_configENS1_22reduce_config_selectorIiEEZNS1_11reduce_implILb1ES3_N6thrust23THRUST_200600_302600_NS11hip_rocprim35transform_pair_of_input_iterators_tIiPaSB_NS8_12not_equal_toIaEEEEPiiNS8_4plusIiEEEE10hipError_tPvRmT1_T2_T3_mT4_P12ihipStream_tbEUlT_E0_NS1_11comp_targetILNS1_3genE9ELNS1_11target_archE1100ELNS1_3gpuE3ELNS1_3repE0EEENS1_30default_config_static_selectorELNS0_4arch9wavefront6targetE1EEEvSL_.has_indirect_call, 0
	.section	.AMDGPU.csdata,"",@progbits
; Kernel info:
; codeLenInByte = 0
; TotalNumSgprs: 4
; NumVgprs: 0
; ScratchSize: 0
; MemoryBound: 0
; FloatMode: 240
; IeeeMode: 1
; LDSByteSize: 0 bytes/workgroup (compile time only)
; SGPRBlocks: 0
; VGPRBlocks: 0
; NumSGPRsForWavesPerEU: 4
; NumVGPRsForWavesPerEU: 1
; Occupancy: 10
; WaveLimiterHint : 0
; COMPUTE_PGM_RSRC2:SCRATCH_EN: 0
; COMPUTE_PGM_RSRC2:USER_SGPR: 6
; COMPUTE_PGM_RSRC2:TRAP_HANDLER: 0
; COMPUTE_PGM_RSRC2:TGID_X_EN: 1
; COMPUTE_PGM_RSRC2:TGID_Y_EN: 0
; COMPUTE_PGM_RSRC2:TGID_Z_EN: 0
; COMPUTE_PGM_RSRC2:TIDIG_COMP_CNT: 0
	.section	.text._ZN7rocprim17ROCPRIM_400000_NS6detail17trampoline_kernelINS0_14default_configENS1_22reduce_config_selectorIiEEZNS1_11reduce_implILb1ES3_N6thrust23THRUST_200600_302600_NS11hip_rocprim35transform_pair_of_input_iterators_tIiPaSB_NS8_12not_equal_toIaEEEEPiiNS8_4plusIiEEEE10hipError_tPvRmT1_T2_T3_mT4_P12ihipStream_tbEUlT_E0_NS1_11comp_targetILNS1_3genE8ELNS1_11target_archE1030ELNS1_3gpuE2ELNS1_3repE0EEENS1_30default_config_static_selectorELNS0_4arch9wavefront6targetE1EEEvSL_,"axG",@progbits,_ZN7rocprim17ROCPRIM_400000_NS6detail17trampoline_kernelINS0_14default_configENS1_22reduce_config_selectorIiEEZNS1_11reduce_implILb1ES3_N6thrust23THRUST_200600_302600_NS11hip_rocprim35transform_pair_of_input_iterators_tIiPaSB_NS8_12not_equal_toIaEEEEPiiNS8_4plusIiEEEE10hipError_tPvRmT1_T2_T3_mT4_P12ihipStream_tbEUlT_E0_NS1_11comp_targetILNS1_3genE8ELNS1_11target_archE1030ELNS1_3gpuE2ELNS1_3repE0EEENS1_30default_config_static_selectorELNS0_4arch9wavefront6targetE1EEEvSL_,comdat
	.protected	_ZN7rocprim17ROCPRIM_400000_NS6detail17trampoline_kernelINS0_14default_configENS1_22reduce_config_selectorIiEEZNS1_11reduce_implILb1ES3_N6thrust23THRUST_200600_302600_NS11hip_rocprim35transform_pair_of_input_iterators_tIiPaSB_NS8_12not_equal_toIaEEEEPiiNS8_4plusIiEEEE10hipError_tPvRmT1_T2_T3_mT4_P12ihipStream_tbEUlT_E0_NS1_11comp_targetILNS1_3genE8ELNS1_11target_archE1030ELNS1_3gpuE2ELNS1_3repE0EEENS1_30default_config_static_selectorELNS0_4arch9wavefront6targetE1EEEvSL_ ; -- Begin function _ZN7rocprim17ROCPRIM_400000_NS6detail17trampoline_kernelINS0_14default_configENS1_22reduce_config_selectorIiEEZNS1_11reduce_implILb1ES3_N6thrust23THRUST_200600_302600_NS11hip_rocprim35transform_pair_of_input_iterators_tIiPaSB_NS8_12not_equal_toIaEEEEPiiNS8_4plusIiEEEE10hipError_tPvRmT1_T2_T3_mT4_P12ihipStream_tbEUlT_E0_NS1_11comp_targetILNS1_3genE8ELNS1_11target_archE1030ELNS1_3gpuE2ELNS1_3repE0EEENS1_30default_config_static_selectorELNS0_4arch9wavefront6targetE1EEEvSL_
	.globl	_ZN7rocprim17ROCPRIM_400000_NS6detail17trampoline_kernelINS0_14default_configENS1_22reduce_config_selectorIiEEZNS1_11reduce_implILb1ES3_N6thrust23THRUST_200600_302600_NS11hip_rocprim35transform_pair_of_input_iterators_tIiPaSB_NS8_12not_equal_toIaEEEEPiiNS8_4plusIiEEEE10hipError_tPvRmT1_T2_T3_mT4_P12ihipStream_tbEUlT_E0_NS1_11comp_targetILNS1_3genE8ELNS1_11target_archE1030ELNS1_3gpuE2ELNS1_3repE0EEENS1_30default_config_static_selectorELNS0_4arch9wavefront6targetE1EEEvSL_
	.p2align	8
	.type	_ZN7rocprim17ROCPRIM_400000_NS6detail17trampoline_kernelINS0_14default_configENS1_22reduce_config_selectorIiEEZNS1_11reduce_implILb1ES3_N6thrust23THRUST_200600_302600_NS11hip_rocprim35transform_pair_of_input_iterators_tIiPaSB_NS8_12not_equal_toIaEEEEPiiNS8_4plusIiEEEE10hipError_tPvRmT1_T2_T3_mT4_P12ihipStream_tbEUlT_E0_NS1_11comp_targetILNS1_3genE8ELNS1_11target_archE1030ELNS1_3gpuE2ELNS1_3repE0EEENS1_30default_config_static_selectorELNS0_4arch9wavefront6targetE1EEEvSL_,@function
_ZN7rocprim17ROCPRIM_400000_NS6detail17trampoline_kernelINS0_14default_configENS1_22reduce_config_selectorIiEEZNS1_11reduce_implILb1ES3_N6thrust23THRUST_200600_302600_NS11hip_rocprim35transform_pair_of_input_iterators_tIiPaSB_NS8_12not_equal_toIaEEEEPiiNS8_4plusIiEEEE10hipError_tPvRmT1_T2_T3_mT4_P12ihipStream_tbEUlT_E0_NS1_11comp_targetILNS1_3genE8ELNS1_11target_archE1030ELNS1_3gpuE2ELNS1_3repE0EEENS1_30default_config_static_selectorELNS0_4arch9wavefront6targetE1EEEvSL_: ; @_ZN7rocprim17ROCPRIM_400000_NS6detail17trampoline_kernelINS0_14default_configENS1_22reduce_config_selectorIiEEZNS1_11reduce_implILb1ES3_N6thrust23THRUST_200600_302600_NS11hip_rocprim35transform_pair_of_input_iterators_tIiPaSB_NS8_12not_equal_toIaEEEEPiiNS8_4plusIiEEEE10hipError_tPvRmT1_T2_T3_mT4_P12ihipStream_tbEUlT_E0_NS1_11comp_targetILNS1_3genE8ELNS1_11target_archE1030ELNS1_3gpuE2ELNS1_3repE0EEENS1_30default_config_static_selectorELNS0_4arch9wavefront6targetE1EEEvSL_
; %bb.0:
	.section	.rodata,"a",@progbits
	.p2align	6, 0x0
	.amdhsa_kernel _ZN7rocprim17ROCPRIM_400000_NS6detail17trampoline_kernelINS0_14default_configENS1_22reduce_config_selectorIiEEZNS1_11reduce_implILb1ES3_N6thrust23THRUST_200600_302600_NS11hip_rocprim35transform_pair_of_input_iterators_tIiPaSB_NS8_12not_equal_toIaEEEEPiiNS8_4plusIiEEEE10hipError_tPvRmT1_T2_T3_mT4_P12ihipStream_tbEUlT_E0_NS1_11comp_targetILNS1_3genE8ELNS1_11target_archE1030ELNS1_3gpuE2ELNS1_3repE0EEENS1_30default_config_static_selectorELNS0_4arch9wavefront6targetE1EEEvSL_
		.amdhsa_group_segment_fixed_size 0
		.amdhsa_private_segment_fixed_size 0
		.amdhsa_kernarg_size 72
		.amdhsa_user_sgpr_count 6
		.amdhsa_user_sgpr_private_segment_buffer 1
		.amdhsa_user_sgpr_dispatch_ptr 0
		.amdhsa_user_sgpr_queue_ptr 0
		.amdhsa_user_sgpr_kernarg_segment_ptr 1
		.amdhsa_user_sgpr_dispatch_id 0
		.amdhsa_user_sgpr_flat_scratch_init 0
		.amdhsa_user_sgpr_private_segment_size 0
		.amdhsa_uses_dynamic_stack 0
		.amdhsa_system_sgpr_private_segment_wavefront_offset 0
		.amdhsa_system_sgpr_workgroup_id_x 1
		.amdhsa_system_sgpr_workgroup_id_y 0
		.amdhsa_system_sgpr_workgroup_id_z 0
		.amdhsa_system_sgpr_workgroup_info 0
		.amdhsa_system_vgpr_workitem_id 0
		.amdhsa_next_free_vgpr 1
		.amdhsa_next_free_sgpr 0
		.amdhsa_reserve_vcc 0
		.amdhsa_reserve_flat_scratch 0
		.amdhsa_float_round_mode_32 0
		.amdhsa_float_round_mode_16_64 0
		.amdhsa_float_denorm_mode_32 3
		.amdhsa_float_denorm_mode_16_64 3
		.amdhsa_dx10_clamp 1
		.amdhsa_ieee_mode 1
		.amdhsa_fp16_overflow 0
		.amdhsa_exception_fp_ieee_invalid_op 0
		.amdhsa_exception_fp_denorm_src 0
		.amdhsa_exception_fp_ieee_div_zero 0
		.amdhsa_exception_fp_ieee_overflow 0
		.amdhsa_exception_fp_ieee_underflow 0
		.amdhsa_exception_fp_ieee_inexact 0
		.amdhsa_exception_int_div_zero 0
	.end_amdhsa_kernel
	.section	.text._ZN7rocprim17ROCPRIM_400000_NS6detail17trampoline_kernelINS0_14default_configENS1_22reduce_config_selectorIiEEZNS1_11reduce_implILb1ES3_N6thrust23THRUST_200600_302600_NS11hip_rocprim35transform_pair_of_input_iterators_tIiPaSB_NS8_12not_equal_toIaEEEEPiiNS8_4plusIiEEEE10hipError_tPvRmT1_T2_T3_mT4_P12ihipStream_tbEUlT_E0_NS1_11comp_targetILNS1_3genE8ELNS1_11target_archE1030ELNS1_3gpuE2ELNS1_3repE0EEENS1_30default_config_static_selectorELNS0_4arch9wavefront6targetE1EEEvSL_,"axG",@progbits,_ZN7rocprim17ROCPRIM_400000_NS6detail17trampoline_kernelINS0_14default_configENS1_22reduce_config_selectorIiEEZNS1_11reduce_implILb1ES3_N6thrust23THRUST_200600_302600_NS11hip_rocprim35transform_pair_of_input_iterators_tIiPaSB_NS8_12not_equal_toIaEEEEPiiNS8_4plusIiEEEE10hipError_tPvRmT1_T2_T3_mT4_P12ihipStream_tbEUlT_E0_NS1_11comp_targetILNS1_3genE8ELNS1_11target_archE1030ELNS1_3gpuE2ELNS1_3repE0EEENS1_30default_config_static_selectorELNS0_4arch9wavefront6targetE1EEEvSL_,comdat
.Lfunc_end662:
	.size	_ZN7rocprim17ROCPRIM_400000_NS6detail17trampoline_kernelINS0_14default_configENS1_22reduce_config_selectorIiEEZNS1_11reduce_implILb1ES3_N6thrust23THRUST_200600_302600_NS11hip_rocprim35transform_pair_of_input_iterators_tIiPaSB_NS8_12not_equal_toIaEEEEPiiNS8_4plusIiEEEE10hipError_tPvRmT1_T2_T3_mT4_P12ihipStream_tbEUlT_E0_NS1_11comp_targetILNS1_3genE8ELNS1_11target_archE1030ELNS1_3gpuE2ELNS1_3repE0EEENS1_30default_config_static_selectorELNS0_4arch9wavefront6targetE1EEEvSL_, .Lfunc_end662-_ZN7rocprim17ROCPRIM_400000_NS6detail17trampoline_kernelINS0_14default_configENS1_22reduce_config_selectorIiEEZNS1_11reduce_implILb1ES3_N6thrust23THRUST_200600_302600_NS11hip_rocprim35transform_pair_of_input_iterators_tIiPaSB_NS8_12not_equal_toIaEEEEPiiNS8_4plusIiEEEE10hipError_tPvRmT1_T2_T3_mT4_P12ihipStream_tbEUlT_E0_NS1_11comp_targetILNS1_3genE8ELNS1_11target_archE1030ELNS1_3gpuE2ELNS1_3repE0EEENS1_30default_config_static_selectorELNS0_4arch9wavefront6targetE1EEEvSL_
                                        ; -- End function
	.set _ZN7rocprim17ROCPRIM_400000_NS6detail17trampoline_kernelINS0_14default_configENS1_22reduce_config_selectorIiEEZNS1_11reduce_implILb1ES3_N6thrust23THRUST_200600_302600_NS11hip_rocprim35transform_pair_of_input_iterators_tIiPaSB_NS8_12not_equal_toIaEEEEPiiNS8_4plusIiEEEE10hipError_tPvRmT1_T2_T3_mT4_P12ihipStream_tbEUlT_E0_NS1_11comp_targetILNS1_3genE8ELNS1_11target_archE1030ELNS1_3gpuE2ELNS1_3repE0EEENS1_30default_config_static_selectorELNS0_4arch9wavefront6targetE1EEEvSL_.num_vgpr, 0
	.set _ZN7rocprim17ROCPRIM_400000_NS6detail17trampoline_kernelINS0_14default_configENS1_22reduce_config_selectorIiEEZNS1_11reduce_implILb1ES3_N6thrust23THRUST_200600_302600_NS11hip_rocprim35transform_pair_of_input_iterators_tIiPaSB_NS8_12not_equal_toIaEEEEPiiNS8_4plusIiEEEE10hipError_tPvRmT1_T2_T3_mT4_P12ihipStream_tbEUlT_E0_NS1_11comp_targetILNS1_3genE8ELNS1_11target_archE1030ELNS1_3gpuE2ELNS1_3repE0EEENS1_30default_config_static_selectorELNS0_4arch9wavefront6targetE1EEEvSL_.num_agpr, 0
	.set _ZN7rocprim17ROCPRIM_400000_NS6detail17trampoline_kernelINS0_14default_configENS1_22reduce_config_selectorIiEEZNS1_11reduce_implILb1ES3_N6thrust23THRUST_200600_302600_NS11hip_rocprim35transform_pair_of_input_iterators_tIiPaSB_NS8_12not_equal_toIaEEEEPiiNS8_4plusIiEEEE10hipError_tPvRmT1_T2_T3_mT4_P12ihipStream_tbEUlT_E0_NS1_11comp_targetILNS1_3genE8ELNS1_11target_archE1030ELNS1_3gpuE2ELNS1_3repE0EEENS1_30default_config_static_selectorELNS0_4arch9wavefront6targetE1EEEvSL_.numbered_sgpr, 0
	.set _ZN7rocprim17ROCPRIM_400000_NS6detail17trampoline_kernelINS0_14default_configENS1_22reduce_config_selectorIiEEZNS1_11reduce_implILb1ES3_N6thrust23THRUST_200600_302600_NS11hip_rocprim35transform_pair_of_input_iterators_tIiPaSB_NS8_12not_equal_toIaEEEEPiiNS8_4plusIiEEEE10hipError_tPvRmT1_T2_T3_mT4_P12ihipStream_tbEUlT_E0_NS1_11comp_targetILNS1_3genE8ELNS1_11target_archE1030ELNS1_3gpuE2ELNS1_3repE0EEENS1_30default_config_static_selectorELNS0_4arch9wavefront6targetE1EEEvSL_.num_named_barrier, 0
	.set _ZN7rocprim17ROCPRIM_400000_NS6detail17trampoline_kernelINS0_14default_configENS1_22reduce_config_selectorIiEEZNS1_11reduce_implILb1ES3_N6thrust23THRUST_200600_302600_NS11hip_rocprim35transform_pair_of_input_iterators_tIiPaSB_NS8_12not_equal_toIaEEEEPiiNS8_4plusIiEEEE10hipError_tPvRmT1_T2_T3_mT4_P12ihipStream_tbEUlT_E0_NS1_11comp_targetILNS1_3genE8ELNS1_11target_archE1030ELNS1_3gpuE2ELNS1_3repE0EEENS1_30default_config_static_selectorELNS0_4arch9wavefront6targetE1EEEvSL_.private_seg_size, 0
	.set _ZN7rocprim17ROCPRIM_400000_NS6detail17trampoline_kernelINS0_14default_configENS1_22reduce_config_selectorIiEEZNS1_11reduce_implILb1ES3_N6thrust23THRUST_200600_302600_NS11hip_rocprim35transform_pair_of_input_iterators_tIiPaSB_NS8_12not_equal_toIaEEEEPiiNS8_4plusIiEEEE10hipError_tPvRmT1_T2_T3_mT4_P12ihipStream_tbEUlT_E0_NS1_11comp_targetILNS1_3genE8ELNS1_11target_archE1030ELNS1_3gpuE2ELNS1_3repE0EEENS1_30default_config_static_selectorELNS0_4arch9wavefront6targetE1EEEvSL_.uses_vcc, 0
	.set _ZN7rocprim17ROCPRIM_400000_NS6detail17trampoline_kernelINS0_14default_configENS1_22reduce_config_selectorIiEEZNS1_11reduce_implILb1ES3_N6thrust23THRUST_200600_302600_NS11hip_rocprim35transform_pair_of_input_iterators_tIiPaSB_NS8_12not_equal_toIaEEEEPiiNS8_4plusIiEEEE10hipError_tPvRmT1_T2_T3_mT4_P12ihipStream_tbEUlT_E0_NS1_11comp_targetILNS1_3genE8ELNS1_11target_archE1030ELNS1_3gpuE2ELNS1_3repE0EEENS1_30default_config_static_selectorELNS0_4arch9wavefront6targetE1EEEvSL_.uses_flat_scratch, 0
	.set _ZN7rocprim17ROCPRIM_400000_NS6detail17trampoline_kernelINS0_14default_configENS1_22reduce_config_selectorIiEEZNS1_11reduce_implILb1ES3_N6thrust23THRUST_200600_302600_NS11hip_rocprim35transform_pair_of_input_iterators_tIiPaSB_NS8_12not_equal_toIaEEEEPiiNS8_4plusIiEEEE10hipError_tPvRmT1_T2_T3_mT4_P12ihipStream_tbEUlT_E0_NS1_11comp_targetILNS1_3genE8ELNS1_11target_archE1030ELNS1_3gpuE2ELNS1_3repE0EEENS1_30default_config_static_selectorELNS0_4arch9wavefront6targetE1EEEvSL_.has_dyn_sized_stack, 0
	.set _ZN7rocprim17ROCPRIM_400000_NS6detail17trampoline_kernelINS0_14default_configENS1_22reduce_config_selectorIiEEZNS1_11reduce_implILb1ES3_N6thrust23THRUST_200600_302600_NS11hip_rocprim35transform_pair_of_input_iterators_tIiPaSB_NS8_12not_equal_toIaEEEEPiiNS8_4plusIiEEEE10hipError_tPvRmT1_T2_T3_mT4_P12ihipStream_tbEUlT_E0_NS1_11comp_targetILNS1_3genE8ELNS1_11target_archE1030ELNS1_3gpuE2ELNS1_3repE0EEENS1_30default_config_static_selectorELNS0_4arch9wavefront6targetE1EEEvSL_.has_recursion, 0
	.set _ZN7rocprim17ROCPRIM_400000_NS6detail17trampoline_kernelINS0_14default_configENS1_22reduce_config_selectorIiEEZNS1_11reduce_implILb1ES3_N6thrust23THRUST_200600_302600_NS11hip_rocprim35transform_pair_of_input_iterators_tIiPaSB_NS8_12not_equal_toIaEEEEPiiNS8_4plusIiEEEE10hipError_tPvRmT1_T2_T3_mT4_P12ihipStream_tbEUlT_E0_NS1_11comp_targetILNS1_3genE8ELNS1_11target_archE1030ELNS1_3gpuE2ELNS1_3repE0EEENS1_30default_config_static_selectorELNS0_4arch9wavefront6targetE1EEEvSL_.has_indirect_call, 0
	.section	.AMDGPU.csdata,"",@progbits
; Kernel info:
; codeLenInByte = 0
; TotalNumSgprs: 4
; NumVgprs: 0
; ScratchSize: 0
; MemoryBound: 0
; FloatMode: 240
; IeeeMode: 1
; LDSByteSize: 0 bytes/workgroup (compile time only)
; SGPRBlocks: 0
; VGPRBlocks: 0
; NumSGPRsForWavesPerEU: 4
; NumVGPRsForWavesPerEU: 1
; Occupancy: 10
; WaveLimiterHint : 0
; COMPUTE_PGM_RSRC2:SCRATCH_EN: 0
; COMPUTE_PGM_RSRC2:USER_SGPR: 6
; COMPUTE_PGM_RSRC2:TRAP_HANDLER: 0
; COMPUTE_PGM_RSRC2:TGID_X_EN: 1
; COMPUTE_PGM_RSRC2:TGID_Y_EN: 0
; COMPUTE_PGM_RSRC2:TGID_Z_EN: 0
; COMPUTE_PGM_RSRC2:TIDIG_COMP_CNT: 0
	.section	.text._ZN7rocprim17ROCPRIM_400000_NS6detail17trampoline_kernelINS0_14default_configENS1_22reduce_config_selectorIiEEZNS1_11reduce_implILb1ES3_N6thrust23THRUST_200600_302600_NS11hip_rocprim35transform_pair_of_input_iterators_tIiPaSB_NS8_12not_equal_toIaEEEEPiiNS8_4plusIiEEEE10hipError_tPvRmT1_T2_T3_mT4_P12ihipStream_tbEUlT_E1_NS1_11comp_targetILNS1_3genE0ELNS1_11target_archE4294967295ELNS1_3gpuE0ELNS1_3repE0EEENS1_30default_config_static_selectorELNS0_4arch9wavefront6targetE1EEEvSL_,"axG",@progbits,_ZN7rocprim17ROCPRIM_400000_NS6detail17trampoline_kernelINS0_14default_configENS1_22reduce_config_selectorIiEEZNS1_11reduce_implILb1ES3_N6thrust23THRUST_200600_302600_NS11hip_rocprim35transform_pair_of_input_iterators_tIiPaSB_NS8_12not_equal_toIaEEEEPiiNS8_4plusIiEEEE10hipError_tPvRmT1_T2_T3_mT4_P12ihipStream_tbEUlT_E1_NS1_11comp_targetILNS1_3genE0ELNS1_11target_archE4294967295ELNS1_3gpuE0ELNS1_3repE0EEENS1_30default_config_static_selectorELNS0_4arch9wavefront6targetE1EEEvSL_,comdat
	.protected	_ZN7rocprim17ROCPRIM_400000_NS6detail17trampoline_kernelINS0_14default_configENS1_22reduce_config_selectorIiEEZNS1_11reduce_implILb1ES3_N6thrust23THRUST_200600_302600_NS11hip_rocprim35transform_pair_of_input_iterators_tIiPaSB_NS8_12not_equal_toIaEEEEPiiNS8_4plusIiEEEE10hipError_tPvRmT1_T2_T3_mT4_P12ihipStream_tbEUlT_E1_NS1_11comp_targetILNS1_3genE0ELNS1_11target_archE4294967295ELNS1_3gpuE0ELNS1_3repE0EEENS1_30default_config_static_selectorELNS0_4arch9wavefront6targetE1EEEvSL_ ; -- Begin function _ZN7rocprim17ROCPRIM_400000_NS6detail17trampoline_kernelINS0_14default_configENS1_22reduce_config_selectorIiEEZNS1_11reduce_implILb1ES3_N6thrust23THRUST_200600_302600_NS11hip_rocprim35transform_pair_of_input_iterators_tIiPaSB_NS8_12not_equal_toIaEEEEPiiNS8_4plusIiEEEE10hipError_tPvRmT1_T2_T3_mT4_P12ihipStream_tbEUlT_E1_NS1_11comp_targetILNS1_3genE0ELNS1_11target_archE4294967295ELNS1_3gpuE0ELNS1_3repE0EEENS1_30default_config_static_selectorELNS0_4arch9wavefront6targetE1EEEvSL_
	.globl	_ZN7rocprim17ROCPRIM_400000_NS6detail17trampoline_kernelINS0_14default_configENS1_22reduce_config_selectorIiEEZNS1_11reduce_implILb1ES3_N6thrust23THRUST_200600_302600_NS11hip_rocprim35transform_pair_of_input_iterators_tIiPaSB_NS8_12not_equal_toIaEEEEPiiNS8_4plusIiEEEE10hipError_tPvRmT1_T2_T3_mT4_P12ihipStream_tbEUlT_E1_NS1_11comp_targetILNS1_3genE0ELNS1_11target_archE4294967295ELNS1_3gpuE0ELNS1_3repE0EEENS1_30default_config_static_selectorELNS0_4arch9wavefront6targetE1EEEvSL_
	.p2align	8
	.type	_ZN7rocprim17ROCPRIM_400000_NS6detail17trampoline_kernelINS0_14default_configENS1_22reduce_config_selectorIiEEZNS1_11reduce_implILb1ES3_N6thrust23THRUST_200600_302600_NS11hip_rocprim35transform_pair_of_input_iterators_tIiPaSB_NS8_12not_equal_toIaEEEEPiiNS8_4plusIiEEEE10hipError_tPvRmT1_T2_T3_mT4_P12ihipStream_tbEUlT_E1_NS1_11comp_targetILNS1_3genE0ELNS1_11target_archE4294967295ELNS1_3gpuE0ELNS1_3repE0EEENS1_30default_config_static_selectorELNS0_4arch9wavefront6targetE1EEEvSL_,@function
_ZN7rocprim17ROCPRIM_400000_NS6detail17trampoline_kernelINS0_14default_configENS1_22reduce_config_selectorIiEEZNS1_11reduce_implILb1ES3_N6thrust23THRUST_200600_302600_NS11hip_rocprim35transform_pair_of_input_iterators_tIiPaSB_NS8_12not_equal_toIaEEEEPiiNS8_4plusIiEEEE10hipError_tPvRmT1_T2_T3_mT4_P12ihipStream_tbEUlT_E1_NS1_11comp_targetILNS1_3genE0ELNS1_11target_archE4294967295ELNS1_3gpuE0ELNS1_3repE0EEENS1_30default_config_static_selectorELNS0_4arch9wavefront6targetE1EEEvSL_: ; @_ZN7rocprim17ROCPRIM_400000_NS6detail17trampoline_kernelINS0_14default_configENS1_22reduce_config_selectorIiEEZNS1_11reduce_implILb1ES3_N6thrust23THRUST_200600_302600_NS11hip_rocprim35transform_pair_of_input_iterators_tIiPaSB_NS8_12not_equal_toIaEEEEPiiNS8_4plusIiEEEE10hipError_tPvRmT1_T2_T3_mT4_P12ihipStream_tbEUlT_E1_NS1_11comp_targetILNS1_3genE0ELNS1_11target_archE4294967295ELNS1_3gpuE0ELNS1_3repE0EEENS1_30default_config_static_selectorELNS0_4arch9wavefront6targetE1EEEvSL_
; %bb.0:
	.section	.rodata,"a",@progbits
	.p2align	6, 0x0
	.amdhsa_kernel _ZN7rocprim17ROCPRIM_400000_NS6detail17trampoline_kernelINS0_14default_configENS1_22reduce_config_selectorIiEEZNS1_11reduce_implILb1ES3_N6thrust23THRUST_200600_302600_NS11hip_rocprim35transform_pair_of_input_iterators_tIiPaSB_NS8_12not_equal_toIaEEEEPiiNS8_4plusIiEEEE10hipError_tPvRmT1_T2_T3_mT4_P12ihipStream_tbEUlT_E1_NS1_11comp_targetILNS1_3genE0ELNS1_11target_archE4294967295ELNS1_3gpuE0ELNS1_3repE0EEENS1_30default_config_static_selectorELNS0_4arch9wavefront6targetE1EEEvSL_
		.amdhsa_group_segment_fixed_size 0
		.amdhsa_private_segment_fixed_size 0
		.amdhsa_kernarg_size 56
		.amdhsa_user_sgpr_count 6
		.amdhsa_user_sgpr_private_segment_buffer 1
		.amdhsa_user_sgpr_dispatch_ptr 0
		.amdhsa_user_sgpr_queue_ptr 0
		.amdhsa_user_sgpr_kernarg_segment_ptr 1
		.amdhsa_user_sgpr_dispatch_id 0
		.amdhsa_user_sgpr_flat_scratch_init 0
		.amdhsa_user_sgpr_private_segment_size 0
		.amdhsa_uses_dynamic_stack 0
		.amdhsa_system_sgpr_private_segment_wavefront_offset 0
		.amdhsa_system_sgpr_workgroup_id_x 1
		.amdhsa_system_sgpr_workgroup_id_y 0
		.amdhsa_system_sgpr_workgroup_id_z 0
		.amdhsa_system_sgpr_workgroup_info 0
		.amdhsa_system_vgpr_workitem_id 0
		.amdhsa_next_free_vgpr 1
		.amdhsa_next_free_sgpr 0
		.amdhsa_reserve_vcc 0
		.amdhsa_reserve_flat_scratch 0
		.amdhsa_float_round_mode_32 0
		.amdhsa_float_round_mode_16_64 0
		.amdhsa_float_denorm_mode_32 3
		.amdhsa_float_denorm_mode_16_64 3
		.amdhsa_dx10_clamp 1
		.amdhsa_ieee_mode 1
		.amdhsa_fp16_overflow 0
		.amdhsa_exception_fp_ieee_invalid_op 0
		.amdhsa_exception_fp_denorm_src 0
		.amdhsa_exception_fp_ieee_div_zero 0
		.amdhsa_exception_fp_ieee_overflow 0
		.amdhsa_exception_fp_ieee_underflow 0
		.amdhsa_exception_fp_ieee_inexact 0
		.amdhsa_exception_int_div_zero 0
	.end_amdhsa_kernel
	.section	.text._ZN7rocprim17ROCPRIM_400000_NS6detail17trampoline_kernelINS0_14default_configENS1_22reduce_config_selectorIiEEZNS1_11reduce_implILb1ES3_N6thrust23THRUST_200600_302600_NS11hip_rocprim35transform_pair_of_input_iterators_tIiPaSB_NS8_12not_equal_toIaEEEEPiiNS8_4plusIiEEEE10hipError_tPvRmT1_T2_T3_mT4_P12ihipStream_tbEUlT_E1_NS1_11comp_targetILNS1_3genE0ELNS1_11target_archE4294967295ELNS1_3gpuE0ELNS1_3repE0EEENS1_30default_config_static_selectorELNS0_4arch9wavefront6targetE1EEEvSL_,"axG",@progbits,_ZN7rocprim17ROCPRIM_400000_NS6detail17trampoline_kernelINS0_14default_configENS1_22reduce_config_selectorIiEEZNS1_11reduce_implILb1ES3_N6thrust23THRUST_200600_302600_NS11hip_rocprim35transform_pair_of_input_iterators_tIiPaSB_NS8_12not_equal_toIaEEEEPiiNS8_4plusIiEEEE10hipError_tPvRmT1_T2_T3_mT4_P12ihipStream_tbEUlT_E1_NS1_11comp_targetILNS1_3genE0ELNS1_11target_archE4294967295ELNS1_3gpuE0ELNS1_3repE0EEENS1_30default_config_static_selectorELNS0_4arch9wavefront6targetE1EEEvSL_,comdat
.Lfunc_end663:
	.size	_ZN7rocprim17ROCPRIM_400000_NS6detail17trampoline_kernelINS0_14default_configENS1_22reduce_config_selectorIiEEZNS1_11reduce_implILb1ES3_N6thrust23THRUST_200600_302600_NS11hip_rocprim35transform_pair_of_input_iterators_tIiPaSB_NS8_12not_equal_toIaEEEEPiiNS8_4plusIiEEEE10hipError_tPvRmT1_T2_T3_mT4_P12ihipStream_tbEUlT_E1_NS1_11comp_targetILNS1_3genE0ELNS1_11target_archE4294967295ELNS1_3gpuE0ELNS1_3repE0EEENS1_30default_config_static_selectorELNS0_4arch9wavefront6targetE1EEEvSL_, .Lfunc_end663-_ZN7rocprim17ROCPRIM_400000_NS6detail17trampoline_kernelINS0_14default_configENS1_22reduce_config_selectorIiEEZNS1_11reduce_implILb1ES3_N6thrust23THRUST_200600_302600_NS11hip_rocprim35transform_pair_of_input_iterators_tIiPaSB_NS8_12not_equal_toIaEEEEPiiNS8_4plusIiEEEE10hipError_tPvRmT1_T2_T3_mT4_P12ihipStream_tbEUlT_E1_NS1_11comp_targetILNS1_3genE0ELNS1_11target_archE4294967295ELNS1_3gpuE0ELNS1_3repE0EEENS1_30default_config_static_selectorELNS0_4arch9wavefront6targetE1EEEvSL_
                                        ; -- End function
	.set _ZN7rocprim17ROCPRIM_400000_NS6detail17trampoline_kernelINS0_14default_configENS1_22reduce_config_selectorIiEEZNS1_11reduce_implILb1ES3_N6thrust23THRUST_200600_302600_NS11hip_rocprim35transform_pair_of_input_iterators_tIiPaSB_NS8_12not_equal_toIaEEEEPiiNS8_4plusIiEEEE10hipError_tPvRmT1_T2_T3_mT4_P12ihipStream_tbEUlT_E1_NS1_11comp_targetILNS1_3genE0ELNS1_11target_archE4294967295ELNS1_3gpuE0ELNS1_3repE0EEENS1_30default_config_static_selectorELNS0_4arch9wavefront6targetE1EEEvSL_.num_vgpr, 0
	.set _ZN7rocprim17ROCPRIM_400000_NS6detail17trampoline_kernelINS0_14default_configENS1_22reduce_config_selectorIiEEZNS1_11reduce_implILb1ES3_N6thrust23THRUST_200600_302600_NS11hip_rocprim35transform_pair_of_input_iterators_tIiPaSB_NS8_12not_equal_toIaEEEEPiiNS8_4plusIiEEEE10hipError_tPvRmT1_T2_T3_mT4_P12ihipStream_tbEUlT_E1_NS1_11comp_targetILNS1_3genE0ELNS1_11target_archE4294967295ELNS1_3gpuE0ELNS1_3repE0EEENS1_30default_config_static_selectorELNS0_4arch9wavefront6targetE1EEEvSL_.num_agpr, 0
	.set _ZN7rocprim17ROCPRIM_400000_NS6detail17trampoline_kernelINS0_14default_configENS1_22reduce_config_selectorIiEEZNS1_11reduce_implILb1ES3_N6thrust23THRUST_200600_302600_NS11hip_rocprim35transform_pair_of_input_iterators_tIiPaSB_NS8_12not_equal_toIaEEEEPiiNS8_4plusIiEEEE10hipError_tPvRmT1_T2_T3_mT4_P12ihipStream_tbEUlT_E1_NS1_11comp_targetILNS1_3genE0ELNS1_11target_archE4294967295ELNS1_3gpuE0ELNS1_3repE0EEENS1_30default_config_static_selectorELNS0_4arch9wavefront6targetE1EEEvSL_.numbered_sgpr, 0
	.set _ZN7rocprim17ROCPRIM_400000_NS6detail17trampoline_kernelINS0_14default_configENS1_22reduce_config_selectorIiEEZNS1_11reduce_implILb1ES3_N6thrust23THRUST_200600_302600_NS11hip_rocprim35transform_pair_of_input_iterators_tIiPaSB_NS8_12not_equal_toIaEEEEPiiNS8_4plusIiEEEE10hipError_tPvRmT1_T2_T3_mT4_P12ihipStream_tbEUlT_E1_NS1_11comp_targetILNS1_3genE0ELNS1_11target_archE4294967295ELNS1_3gpuE0ELNS1_3repE0EEENS1_30default_config_static_selectorELNS0_4arch9wavefront6targetE1EEEvSL_.num_named_barrier, 0
	.set _ZN7rocprim17ROCPRIM_400000_NS6detail17trampoline_kernelINS0_14default_configENS1_22reduce_config_selectorIiEEZNS1_11reduce_implILb1ES3_N6thrust23THRUST_200600_302600_NS11hip_rocprim35transform_pair_of_input_iterators_tIiPaSB_NS8_12not_equal_toIaEEEEPiiNS8_4plusIiEEEE10hipError_tPvRmT1_T2_T3_mT4_P12ihipStream_tbEUlT_E1_NS1_11comp_targetILNS1_3genE0ELNS1_11target_archE4294967295ELNS1_3gpuE0ELNS1_3repE0EEENS1_30default_config_static_selectorELNS0_4arch9wavefront6targetE1EEEvSL_.private_seg_size, 0
	.set _ZN7rocprim17ROCPRIM_400000_NS6detail17trampoline_kernelINS0_14default_configENS1_22reduce_config_selectorIiEEZNS1_11reduce_implILb1ES3_N6thrust23THRUST_200600_302600_NS11hip_rocprim35transform_pair_of_input_iterators_tIiPaSB_NS8_12not_equal_toIaEEEEPiiNS8_4plusIiEEEE10hipError_tPvRmT1_T2_T3_mT4_P12ihipStream_tbEUlT_E1_NS1_11comp_targetILNS1_3genE0ELNS1_11target_archE4294967295ELNS1_3gpuE0ELNS1_3repE0EEENS1_30default_config_static_selectorELNS0_4arch9wavefront6targetE1EEEvSL_.uses_vcc, 0
	.set _ZN7rocprim17ROCPRIM_400000_NS6detail17trampoline_kernelINS0_14default_configENS1_22reduce_config_selectorIiEEZNS1_11reduce_implILb1ES3_N6thrust23THRUST_200600_302600_NS11hip_rocprim35transform_pair_of_input_iterators_tIiPaSB_NS8_12not_equal_toIaEEEEPiiNS8_4plusIiEEEE10hipError_tPvRmT1_T2_T3_mT4_P12ihipStream_tbEUlT_E1_NS1_11comp_targetILNS1_3genE0ELNS1_11target_archE4294967295ELNS1_3gpuE0ELNS1_3repE0EEENS1_30default_config_static_selectorELNS0_4arch9wavefront6targetE1EEEvSL_.uses_flat_scratch, 0
	.set _ZN7rocprim17ROCPRIM_400000_NS6detail17trampoline_kernelINS0_14default_configENS1_22reduce_config_selectorIiEEZNS1_11reduce_implILb1ES3_N6thrust23THRUST_200600_302600_NS11hip_rocprim35transform_pair_of_input_iterators_tIiPaSB_NS8_12not_equal_toIaEEEEPiiNS8_4plusIiEEEE10hipError_tPvRmT1_T2_T3_mT4_P12ihipStream_tbEUlT_E1_NS1_11comp_targetILNS1_3genE0ELNS1_11target_archE4294967295ELNS1_3gpuE0ELNS1_3repE0EEENS1_30default_config_static_selectorELNS0_4arch9wavefront6targetE1EEEvSL_.has_dyn_sized_stack, 0
	.set _ZN7rocprim17ROCPRIM_400000_NS6detail17trampoline_kernelINS0_14default_configENS1_22reduce_config_selectorIiEEZNS1_11reduce_implILb1ES3_N6thrust23THRUST_200600_302600_NS11hip_rocprim35transform_pair_of_input_iterators_tIiPaSB_NS8_12not_equal_toIaEEEEPiiNS8_4plusIiEEEE10hipError_tPvRmT1_T2_T3_mT4_P12ihipStream_tbEUlT_E1_NS1_11comp_targetILNS1_3genE0ELNS1_11target_archE4294967295ELNS1_3gpuE0ELNS1_3repE0EEENS1_30default_config_static_selectorELNS0_4arch9wavefront6targetE1EEEvSL_.has_recursion, 0
	.set _ZN7rocprim17ROCPRIM_400000_NS6detail17trampoline_kernelINS0_14default_configENS1_22reduce_config_selectorIiEEZNS1_11reduce_implILb1ES3_N6thrust23THRUST_200600_302600_NS11hip_rocprim35transform_pair_of_input_iterators_tIiPaSB_NS8_12not_equal_toIaEEEEPiiNS8_4plusIiEEEE10hipError_tPvRmT1_T2_T3_mT4_P12ihipStream_tbEUlT_E1_NS1_11comp_targetILNS1_3genE0ELNS1_11target_archE4294967295ELNS1_3gpuE0ELNS1_3repE0EEENS1_30default_config_static_selectorELNS0_4arch9wavefront6targetE1EEEvSL_.has_indirect_call, 0
	.section	.AMDGPU.csdata,"",@progbits
; Kernel info:
; codeLenInByte = 0
; TotalNumSgprs: 4
; NumVgprs: 0
; ScratchSize: 0
; MemoryBound: 0
; FloatMode: 240
; IeeeMode: 1
; LDSByteSize: 0 bytes/workgroup (compile time only)
; SGPRBlocks: 0
; VGPRBlocks: 0
; NumSGPRsForWavesPerEU: 4
; NumVGPRsForWavesPerEU: 1
; Occupancy: 10
; WaveLimiterHint : 0
; COMPUTE_PGM_RSRC2:SCRATCH_EN: 0
; COMPUTE_PGM_RSRC2:USER_SGPR: 6
; COMPUTE_PGM_RSRC2:TRAP_HANDLER: 0
; COMPUTE_PGM_RSRC2:TGID_X_EN: 1
; COMPUTE_PGM_RSRC2:TGID_Y_EN: 0
; COMPUTE_PGM_RSRC2:TGID_Z_EN: 0
; COMPUTE_PGM_RSRC2:TIDIG_COMP_CNT: 0
	.section	.text._ZN7rocprim17ROCPRIM_400000_NS6detail17trampoline_kernelINS0_14default_configENS1_22reduce_config_selectorIiEEZNS1_11reduce_implILb1ES3_N6thrust23THRUST_200600_302600_NS11hip_rocprim35transform_pair_of_input_iterators_tIiPaSB_NS8_12not_equal_toIaEEEEPiiNS8_4plusIiEEEE10hipError_tPvRmT1_T2_T3_mT4_P12ihipStream_tbEUlT_E1_NS1_11comp_targetILNS1_3genE5ELNS1_11target_archE942ELNS1_3gpuE9ELNS1_3repE0EEENS1_30default_config_static_selectorELNS0_4arch9wavefront6targetE1EEEvSL_,"axG",@progbits,_ZN7rocprim17ROCPRIM_400000_NS6detail17trampoline_kernelINS0_14default_configENS1_22reduce_config_selectorIiEEZNS1_11reduce_implILb1ES3_N6thrust23THRUST_200600_302600_NS11hip_rocprim35transform_pair_of_input_iterators_tIiPaSB_NS8_12not_equal_toIaEEEEPiiNS8_4plusIiEEEE10hipError_tPvRmT1_T2_T3_mT4_P12ihipStream_tbEUlT_E1_NS1_11comp_targetILNS1_3genE5ELNS1_11target_archE942ELNS1_3gpuE9ELNS1_3repE0EEENS1_30default_config_static_selectorELNS0_4arch9wavefront6targetE1EEEvSL_,comdat
	.protected	_ZN7rocprim17ROCPRIM_400000_NS6detail17trampoline_kernelINS0_14default_configENS1_22reduce_config_selectorIiEEZNS1_11reduce_implILb1ES3_N6thrust23THRUST_200600_302600_NS11hip_rocprim35transform_pair_of_input_iterators_tIiPaSB_NS8_12not_equal_toIaEEEEPiiNS8_4plusIiEEEE10hipError_tPvRmT1_T2_T3_mT4_P12ihipStream_tbEUlT_E1_NS1_11comp_targetILNS1_3genE5ELNS1_11target_archE942ELNS1_3gpuE9ELNS1_3repE0EEENS1_30default_config_static_selectorELNS0_4arch9wavefront6targetE1EEEvSL_ ; -- Begin function _ZN7rocprim17ROCPRIM_400000_NS6detail17trampoline_kernelINS0_14default_configENS1_22reduce_config_selectorIiEEZNS1_11reduce_implILb1ES3_N6thrust23THRUST_200600_302600_NS11hip_rocprim35transform_pair_of_input_iterators_tIiPaSB_NS8_12not_equal_toIaEEEEPiiNS8_4plusIiEEEE10hipError_tPvRmT1_T2_T3_mT4_P12ihipStream_tbEUlT_E1_NS1_11comp_targetILNS1_3genE5ELNS1_11target_archE942ELNS1_3gpuE9ELNS1_3repE0EEENS1_30default_config_static_selectorELNS0_4arch9wavefront6targetE1EEEvSL_
	.globl	_ZN7rocprim17ROCPRIM_400000_NS6detail17trampoline_kernelINS0_14default_configENS1_22reduce_config_selectorIiEEZNS1_11reduce_implILb1ES3_N6thrust23THRUST_200600_302600_NS11hip_rocprim35transform_pair_of_input_iterators_tIiPaSB_NS8_12not_equal_toIaEEEEPiiNS8_4plusIiEEEE10hipError_tPvRmT1_T2_T3_mT4_P12ihipStream_tbEUlT_E1_NS1_11comp_targetILNS1_3genE5ELNS1_11target_archE942ELNS1_3gpuE9ELNS1_3repE0EEENS1_30default_config_static_selectorELNS0_4arch9wavefront6targetE1EEEvSL_
	.p2align	8
	.type	_ZN7rocprim17ROCPRIM_400000_NS6detail17trampoline_kernelINS0_14default_configENS1_22reduce_config_selectorIiEEZNS1_11reduce_implILb1ES3_N6thrust23THRUST_200600_302600_NS11hip_rocprim35transform_pair_of_input_iterators_tIiPaSB_NS8_12not_equal_toIaEEEEPiiNS8_4plusIiEEEE10hipError_tPvRmT1_T2_T3_mT4_P12ihipStream_tbEUlT_E1_NS1_11comp_targetILNS1_3genE5ELNS1_11target_archE942ELNS1_3gpuE9ELNS1_3repE0EEENS1_30default_config_static_selectorELNS0_4arch9wavefront6targetE1EEEvSL_,@function
_ZN7rocprim17ROCPRIM_400000_NS6detail17trampoline_kernelINS0_14default_configENS1_22reduce_config_selectorIiEEZNS1_11reduce_implILb1ES3_N6thrust23THRUST_200600_302600_NS11hip_rocprim35transform_pair_of_input_iterators_tIiPaSB_NS8_12not_equal_toIaEEEEPiiNS8_4plusIiEEEE10hipError_tPvRmT1_T2_T3_mT4_P12ihipStream_tbEUlT_E1_NS1_11comp_targetILNS1_3genE5ELNS1_11target_archE942ELNS1_3gpuE9ELNS1_3repE0EEENS1_30default_config_static_selectorELNS0_4arch9wavefront6targetE1EEEvSL_: ; @_ZN7rocprim17ROCPRIM_400000_NS6detail17trampoline_kernelINS0_14default_configENS1_22reduce_config_selectorIiEEZNS1_11reduce_implILb1ES3_N6thrust23THRUST_200600_302600_NS11hip_rocprim35transform_pair_of_input_iterators_tIiPaSB_NS8_12not_equal_toIaEEEEPiiNS8_4plusIiEEEE10hipError_tPvRmT1_T2_T3_mT4_P12ihipStream_tbEUlT_E1_NS1_11comp_targetILNS1_3genE5ELNS1_11target_archE942ELNS1_3gpuE9ELNS1_3repE0EEENS1_30default_config_static_selectorELNS0_4arch9wavefront6targetE1EEEvSL_
; %bb.0:
	.section	.rodata,"a",@progbits
	.p2align	6, 0x0
	.amdhsa_kernel _ZN7rocprim17ROCPRIM_400000_NS6detail17trampoline_kernelINS0_14default_configENS1_22reduce_config_selectorIiEEZNS1_11reduce_implILb1ES3_N6thrust23THRUST_200600_302600_NS11hip_rocprim35transform_pair_of_input_iterators_tIiPaSB_NS8_12not_equal_toIaEEEEPiiNS8_4plusIiEEEE10hipError_tPvRmT1_T2_T3_mT4_P12ihipStream_tbEUlT_E1_NS1_11comp_targetILNS1_3genE5ELNS1_11target_archE942ELNS1_3gpuE9ELNS1_3repE0EEENS1_30default_config_static_selectorELNS0_4arch9wavefront6targetE1EEEvSL_
		.amdhsa_group_segment_fixed_size 0
		.amdhsa_private_segment_fixed_size 0
		.amdhsa_kernarg_size 56
		.amdhsa_user_sgpr_count 6
		.amdhsa_user_sgpr_private_segment_buffer 1
		.amdhsa_user_sgpr_dispatch_ptr 0
		.amdhsa_user_sgpr_queue_ptr 0
		.amdhsa_user_sgpr_kernarg_segment_ptr 1
		.amdhsa_user_sgpr_dispatch_id 0
		.amdhsa_user_sgpr_flat_scratch_init 0
		.amdhsa_user_sgpr_private_segment_size 0
		.amdhsa_uses_dynamic_stack 0
		.amdhsa_system_sgpr_private_segment_wavefront_offset 0
		.amdhsa_system_sgpr_workgroup_id_x 1
		.amdhsa_system_sgpr_workgroup_id_y 0
		.amdhsa_system_sgpr_workgroup_id_z 0
		.amdhsa_system_sgpr_workgroup_info 0
		.amdhsa_system_vgpr_workitem_id 0
		.amdhsa_next_free_vgpr 1
		.amdhsa_next_free_sgpr 0
		.amdhsa_reserve_vcc 0
		.amdhsa_reserve_flat_scratch 0
		.amdhsa_float_round_mode_32 0
		.amdhsa_float_round_mode_16_64 0
		.amdhsa_float_denorm_mode_32 3
		.amdhsa_float_denorm_mode_16_64 3
		.amdhsa_dx10_clamp 1
		.amdhsa_ieee_mode 1
		.amdhsa_fp16_overflow 0
		.amdhsa_exception_fp_ieee_invalid_op 0
		.amdhsa_exception_fp_denorm_src 0
		.amdhsa_exception_fp_ieee_div_zero 0
		.amdhsa_exception_fp_ieee_overflow 0
		.amdhsa_exception_fp_ieee_underflow 0
		.amdhsa_exception_fp_ieee_inexact 0
		.amdhsa_exception_int_div_zero 0
	.end_amdhsa_kernel
	.section	.text._ZN7rocprim17ROCPRIM_400000_NS6detail17trampoline_kernelINS0_14default_configENS1_22reduce_config_selectorIiEEZNS1_11reduce_implILb1ES3_N6thrust23THRUST_200600_302600_NS11hip_rocprim35transform_pair_of_input_iterators_tIiPaSB_NS8_12not_equal_toIaEEEEPiiNS8_4plusIiEEEE10hipError_tPvRmT1_T2_T3_mT4_P12ihipStream_tbEUlT_E1_NS1_11comp_targetILNS1_3genE5ELNS1_11target_archE942ELNS1_3gpuE9ELNS1_3repE0EEENS1_30default_config_static_selectorELNS0_4arch9wavefront6targetE1EEEvSL_,"axG",@progbits,_ZN7rocprim17ROCPRIM_400000_NS6detail17trampoline_kernelINS0_14default_configENS1_22reduce_config_selectorIiEEZNS1_11reduce_implILb1ES3_N6thrust23THRUST_200600_302600_NS11hip_rocprim35transform_pair_of_input_iterators_tIiPaSB_NS8_12not_equal_toIaEEEEPiiNS8_4plusIiEEEE10hipError_tPvRmT1_T2_T3_mT4_P12ihipStream_tbEUlT_E1_NS1_11comp_targetILNS1_3genE5ELNS1_11target_archE942ELNS1_3gpuE9ELNS1_3repE0EEENS1_30default_config_static_selectorELNS0_4arch9wavefront6targetE1EEEvSL_,comdat
.Lfunc_end664:
	.size	_ZN7rocprim17ROCPRIM_400000_NS6detail17trampoline_kernelINS0_14default_configENS1_22reduce_config_selectorIiEEZNS1_11reduce_implILb1ES3_N6thrust23THRUST_200600_302600_NS11hip_rocprim35transform_pair_of_input_iterators_tIiPaSB_NS8_12not_equal_toIaEEEEPiiNS8_4plusIiEEEE10hipError_tPvRmT1_T2_T3_mT4_P12ihipStream_tbEUlT_E1_NS1_11comp_targetILNS1_3genE5ELNS1_11target_archE942ELNS1_3gpuE9ELNS1_3repE0EEENS1_30default_config_static_selectorELNS0_4arch9wavefront6targetE1EEEvSL_, .Lfunc_end664-_ZN7rocprim17ROCPRIM_400000_NS6detail17trampoline_kernelINS0_14default_configENS1_22reduce_config_selectorIiEEZNS1_11reduce_implILb1ES3_N6thrust23THRUST_200600_302600_NS11hip_rocprim35transform_pair_of_input_iterators_tIiPaSB_NS8_12not_equal_toIaEEEEPiiNS8_4plusIiEEEE10hipError_tPvRmT1_T2_T3_mT4_P12ihipStream_tbEUlT_E1_NS1_11comp_targetILNS1_3genE5ELNS1_11target_archE942ELNS1_3gpuE9ELNS1_3repE0EEENS1_30default_config_static_selectorELNS0_4arch9wavefront6targetE1EEEvSL_
                                        ; -- End function
	.set _ZN7rocprim17ROCPRIM_400000_NS6detail17trampoline_kernelINS0_14default_configENS1_22reduce_config_selectorIiEEZNS1_11reduce_implILb1ES3_N6thrust23THRUST_200600_302600_NS11hip_rocprim35transform_pair_of_input_iterators_tIiPaSB_NS8_12not_equal_toIaEEEEPiiNS8_4plusIiEEEE10hipError_tPvRmT1_T2_T3_mT4_P12ihipStream_tbEUlT_E1_NS1_11comp_targetILNS1_3genE5ELNS1_11target_archE942ELNS1_3gpuE9ELNS1_3repE0EEENS1_30default_config_static_selectorELNS0_4arch9wavefront6targetE1EEEvSL_.num_vgpr, 0
	.set _ZN7rocprim17ROCPRIM_400000_NS6detail17trampoline_kernelINS0_14default_configENS1_22reduce_config_selectorIiEEZNS1_11reduce_implILb1ES3_N6thrust23THRUST_200600_302600_NS11hip_rocprim35transform_pair_of_input_iterators_tIiPaSB_NS8_12not_equal_toIaEEEEPiiNS8_4plusIiEEEE10hipError_tPvRmT1_T2_T3_mT4_P12ihipStream_tbEUlT_E1_NS1_11comp_targetILNS1_3genE5ELNS1_11target_archE942ELNS1_3gpuE9ELNS1_3repE0EEENS1_30default_config_static_selectorELNS0_4arch9wavefront6targetE1EEEvSL_.num_agpr, 0
	.set _ZN7rocprim17ROCPRIM_400000_NS6detail17trampoline_kernelINS0_14default_configENS1_22reduce_config_selectorIiEEZNS1_11reduce_implILb1ES3_N6thrust23THRUST_200600_302600_NS11hip_rocprim35transform_pair_of_input_iterators_tIiPaSB_NS8_12not_equal_toIaEEEEPiiNS8_4plusIiEEEE10hipError_tPvRmT1_T2_T3_mT4_P12ihipStream_tbEUlT_E1_NS1_11comp_targetILNS1_3genE5ELNS1_11target_archE942ELNS1_3gpuE9ELNS1_3repE0EEENS1_30default_config_static_selectorELNS0_4arch9wavefront6targetE1EEEvSL_.numbered_sgpr, 0
	.set _ZN7rocprim17ROCPRIM_400000_NS6detail17trampoline_kernelINS0_14default_configENS1_22reduce_config_selectorIiEEZNS1_11reduce_implILb1ES3_N6thrust23THRUST_200600_302600_NS11hip_rocprim35transform_pair_of_input_iterators_tIiPaSB_NS8_12not_equal_toIaEEEEPiiNS8_4plusIiEEEE10hipError_tPvRmT1_T2_T3_mT4_P12ihipStream_tbEUlT_E1_NS1_11comp_targetILNS1_3genE5ELNS1_11target_archE942ELNS1_3gpuE9ELNS1_3repE0EEENS1_30default_config_static_selectorELNS0_4arch9wavefront6targetE1EEEvSL_.num_named_barrier, 0
	.set _ZN7rocprim17ROCPRIM_400000_NS6detail17trampoline_kernelINS0_14default_configENS1_22reduce_config_selectorIiEEZNS1_11reduce_implILb1ES3_N6thrust23THRUST_200600_302600_NS11hip_rocprim35transform_pair_of_input_iterators_tIiPaSB_NS8_12not_equal_toIaEEEEPiiNS8_4plusIiEEEE10hipError_tPvRmT1_T2_T3_mT4_P12ihipStream_tbEUlT_E1_NS1_11comp_targetILNS1_3genE5ELNS1_11target_archE942ELNS1_3gpuE9ELNS1_3repE0EEENS1_30default_config_static_selectorELNS0_4arch9wavefront6targetE1EEEvSL_.private_seg_size, 0
	.set _ZN7rocprim17ROCPRIM_400000_NS6detail17trampoline_kernelINS0_14default_configENS1_22reduce_config_selectorIiEEZNS1_11reduce_implILb1ES3_N6thrust23THRUST_200600_302600_NS11hip_rocprim35transform_pair_of_input_iterators_tIiPaSB_NS8_12not_equal_toIaEEEEPiiNS8_4plusIiEEEE10hipError_tPvRmT1_T2_T3_mT4_P12ihipStream_tbEUlT_E1_NS1_11comp_targetILNS1_3genE5ELNS1_11target_archE942ELNS1_3gpuE9ELNS1_3repE0EEENS1_30default_config_static_selectorELNS0_4arch9wavefront6targetE1EEEvSL_.uses_vcc, 0
	.set _ZN7rocprim17ROCPRIM_400000_NS6detail17trampoline_kernelINS0_14default_configENS1_22reduce_config_selectorIiEEZNS1_11reduce_implILb1ES3_N6thrust23THRUST_200600_302600_NS11hip_rocprim35transform_pair_of_input_iterators_tIiPaSB_NS8_12not_equal_toIaEEEEPiiNS8_4plusIiEEEE10hipError_tPvRmT1_T2_T3_mT4_P12ihipStream_tbEUlT_E1_NS1_11comp_targetILNS1_3genE5ELNS1_11target_archE942ELNS1_3gpuE9ELNS1_3repE0EEENS1_30default_config_static_selectorELNS0_4arch9wavefront6targetE1EEEvSL_.uses_flat_scratch, 0
	.set _ZN7rocprim17ROCPRIM_400000_NS6detail17trampoline_kernelINS0_14default_configENS1_22reduce_config_selectorIiEEZNS1_11reduce_implILb1ES3_N6thrust23THRUST_200600_302600_NS11hip_rocprim35transform_pair_of_input_iterators_tIiPaSB_NS8_12not_equal_toIaEEEEPiiNS8_4plusIiEEEE10hipError_tPvRmT1_T2_T3_mT4_P12ihipStream_tbEUlT_E1_NS1_11comp_targetILNS1_3genE5ELNS1_11target_archE942ELNS1_3gpuE9ELNS1_3repE0EEENS1_30default_config_static_selectorELNS0_4arch9wavefront6targetE1EEEvSL_.has_dyn_sized_stack, 0
	.set _ZN7rocprim17ROCPRIM_400000_NS6detail17trampoline_kernelINS0_14default_configENS1_22reduce_config_selectorIiEEZNS1_11reduce_implILb1ES3_N6thrust23THRUST_200600_302600_NS11hip_rocprim35transform_pair_of_input_iterators_tIiPaSB_NS8_12not_equal_toIaEEEEPiiNS8_4plusIiEEEE10hipError_tPvRmT1_T2_T3_mT4_P12ihipStream_tbEUlT_E1_NS1_11comp_targetILNS1_3genE5ELNS1_11target_archE942ELNS1_3gpuE9ELNS1_3repE0EEENS1_30default_config_static_selectorELNS0_4arch9wavefront6targetE1EEEvSL_.has_recursion, 0
	.set _ZN7rocprim17ROCPRIM_400000_NS6detail17trampoline_kernelINS0_14default_configENS1_22reduce_config_selectorIiEEZNS1_11reduce_implILb1ES3_N6thrust23THRUST_200600_302600_NS11hip_rocprim35transform_pair_of_input_iterators_tIiPaSB_NS8_12not_equal_toIaEEEEPiiNS8_4plusIiEEEE10hipError_tPvRmT1_T2_T3_mT4_P12ihipStream_tbEUlT_E1_NS1_11comp_targetILNS1_3genE5ELNS1_11target_archE942ELNS1_3gpuE9ELNS1_3repE0EEENS1_30default_config_static_selectorELNS0_4arch9wavefront6targetE1EEEvSL_.has_indirect_call, 0
	.section	.AMDGPU.csdata,"",@progbits
; Kernel info:
; codeLenInByte = 0
; TotalNumSgprs: 4
; NumVgprs: 0
; ScratchSize: 0
; MemoryBound: 0
; FloatMode: 240
; IeeeMode: 1
; LDSByteSize: 0 bytes/workgroup (compile time only)
; SGPRBlocks: 0
; VGPRBlocks: 0
; NumSGPRsForWavesPerEU: 4
; NumVGPRsForWavesPerEU: 1
; Occupancy: 10
; WaveLimiterHint : 0
; COMPUTE_PGM_RSRC2:SCRATCH_EN: 0
; COMPUTE_PGM_RSRC2:USER_SGPR: 6
; COMPUTE_PGM_RSRC2:TRAP_HANDLER: 0
; COMPUTE_PGM_RSRC2:TGID_X_EN: 1
; COMPUTE_PGM_RSRC2:TGID_Y_EN: 0
; COMPUTE_PGM_RSRC2:TGID_Z_EN: 0
; COMPUTE_PGM_RSRC2:TIDIG_COMP_CNT: 0
	.section	.text._ZN7rocprim17ROCPRIM_400000_NS6detail17trampoline_kernelINS0_14default_configENS1_22reduce_config_selectorIiEEZNS1_11reduce_implILb1ES3_N6thrust23THRUST_200600_302600_NS11hip_rocprim35transform_pair_of_input_iterators_tIiPaSB_NS8_12not_equal_toIaEEEEPiiNS8_4plusIiEEEE10hipError_tPvRmT1_T2_T3_mT4_P12ihipStream_tbEUlT_E1_NS1_11comp_targetILNS1_3genE4ELNS1_11target_archE910ELNS1_3gpuE8ELNS1_3repE0EEENS1_30default_config_static_selectorELNS0_4arch9wavefront6targetE1EEEvSL_,"axG",@progbits,_ZN7rocprim17ROCPRIM_400000_NS6detail17trampoline_kernelINS0_14default_configENS1_22reduce_config_selectorIiEEZNS1_11reduce_implILb1ES3_N6thrust23THRUST_200600_302600_NS11hip_rocprim35transform_pair_of_input_iterators_tIiPaSB_NS8_12not_equal_toIaEEEEPiiNS8_4plusIiEEEE10hipError_tPvRmT1_T2_T3_mT4_P12ihipStream_tbEUlT_E1_NS1_11comp_targetILNS1_3genE4ELNS1_11target_archE910ELNS1_3gpuE8ELNS1_3repE0EEENS1_30default_config_static_selectorELNS0_4arch9wavefront6targetE1EEEvSL_,comdat
	.protected	_ZN7rocprim17ROCPRIM_400000_NS6detail17trampoline_kernelINS0_14default_configENS1_22reduce_config_selectorIiEEZNS1_11reduce_implILb1ES3_N6thrust23THRUST_200600_302600_NS11hip_rocprim35transform_pair_of_input_iterators_tIiPaSB_NS8_12not_equal_toIaEEEEPiiNS8_4plusIiEEEE10hipError_tPvRmT1_T2_T3_mT4_P12ihipStream_tbEUlT_E1_NS1_11comp_targetILNS1_3genE4ELNS1_11target_archE910ELNS1_3gpuE8ELNS1_3repE0EEENS1_30default_config_static_selectorELNS0_4arch9wavefront6targetE1EEEvSL_ ; -- Begin function _ZN7rocprim17ROCPRIM_400000_NS6detail17trampoline_kernelINS0_14default_configENS1_22reduce_config_selectorIiEEZNS1_11reduce_implILb1ES3_N6thrust23THRUST_200600_302600_NS11hip_rocprim35transform_pair_of_input_iterators_tIiPaSB_NS8_12not_equal_toIaEEEEPiiNS8_4plusIiEEEE10hipError_tPvRmT1_T2_T3_mT4_P12ihipStream_tbEUlT_E1_NS1_11comp_targetILNS1_3genE4ELNS1_11target_archE910ELNS1_3gpuE8ELNS1_3repE0EEENS1_30default_config_static_selectorELNS0_4arch9wavefront6targetE1EEEvSL_
	.globl	_ZN7rocprim17ROCPRIM_400000_NS6detail17trampoline_kernelINS0_14default_configENS1_22reduce_config_selectorIiEEZNS1_11reduce_implILb1ES3_N6thrust23THRUST_200600_302600_NS11hip_rocprim35transform_pair_of_input_iterators_tIiPaSB_NS8_12not_equal_toIaEEEEPiiNS8_4plusIiEEEE10hipError_tPvRmT1_T2_T3_mT4_P12ihipStream_tbEUlT_E1_NS1_11comp_targetILNS1_3genE4ELNS1_11target_archE910ELNS1_3gpuE8ELNS1_3repE0EEENS1_30default_config_static_selectorELNS0_4arch9wavefront6targetE1EEEvSL_
	.p2align	8
	.type	_ZN7rocprim17ROCPRIM_400000_NS6detail17trampoline_kernelINS0_14default_configENS1_22reduce_config_selectorIiEEZNS1_11reduce_implILb1ES3_N6thrust23THRUST_200600_302600_NS11hip_rocprim35transform_pair_of_input_iterators_tIiPaSB_NS8_12not_equal_toIaEEEEPiiNS8_4plusIiEEEE10hipError_tPvRmT1_T2_T3_mT4_P12ihipStream_tbEUlT_E1_NS1_11comp_targetILNS1_3genE4ELNS1_11target_archE910ELNS1_3gpuE8ELNS1_3repE0EEENS1_30default_config_static_selectorELNS0_4arch9wavefront6targetE1EEEvSL_,@function
_ZN7rocprim17ROCPRIM_400000_NS6detail17trampoline_kernelINS0_14default_configENS1_22reduce_config_selectorIiEEZNS1_11reduce_implILb1ES3_N6thrust23THRUST_200600_302600_NS11hip_rocprim35transform_pair_of_input_iterators_tIiPaSB_NS8_12not_equal_toIaEEEEPiiNS8_4plusIiEEEE10hipError_tPvRmT1_T2_T3_mT4_P12ihipStream_tbEUlT_E1_NS1_11comp_targetILNS1_3genE4ELNS1_11target_archE910ELNS1_3gpuE8ELNS1_3repE0EEENS1_30default_config_static_selectorELNS0_4arch9wavefront6targetE1EEEvSL_: ; @_ZN7rocprim17ROCPRIM_400000_NS6detail17trampoline_kernelINS0_14default_configENS1_22reduce_config_selectorIiEEZNS1_11reduce_implILb1ES3_N6thrust23THRUST_200600_302600_NS11hip_rocprim35transform_pair_of_input_iterators_tIiPaSB_NS8_12not_equal_toIaEEEEPiiNS8_4plusIiEEEE10hipError_tPvRmT1_T2_T3_mT4_P12ihipStream_tbEUlT_E1_NS1_11comp_targetILNS1_3genE4ELNS1_11target_archE910ELNS1_3gpuE8ELNS1_3repE0EEENS1_30default_config_static_selectorELNS0_4arch9wavefront6targetE1EEEvSL_
; %bb.0:
	.section	.rodata,"a",@progbits
	.p2align	6, 0x0
	.amdhsa_kernel _ZN7rocprim17ROCPRIM_400000_NS6detail17trampoline_kernelINS0_14default_configENS1_22reduce_config_selectorIiEEZNS1_11reduce_implILb1ES3_N6thrust23THRUST_200600_302600_NS11hip_rocprim35transform_pair_of_input_iterators_tIiPaSB_NS8_12not_equal_toIaEEEEPiiNS8_4plusIiEEEE10hipError_tPvRmT1_T2_T3_mT4_P12ihipStream_tbEUlT_E1_NS1_11comp_targetILNS1_3genE4ELNS1_11target_archE910ELNS1_3gpuE8ELNS1_3repE0EEENS1_30default_config_static_selectorELNS0_4arch9wavefront6targetE1EEEvSL_
		.amdhsa_group_segment_fixed_size 0
		.amdhsa_private_segment_fixed_size 0
		.amdhsa_kernarg_size 56
		.amdhsa_user_sgpr_count 6
		.amdhsa_user_sgpr_private_segment_buffer 1
		.amdhsa_user_sgpr_dispatch_ptr 0
		.amdhsa_user_sgpr_queue_ptr 0
		.amdhsa_user_sgpr_kernarg_segment_ptr 1
		.amdhsa_user_sgpr_dispatch_id 0
		.amdhsa_user_sgpr_flat_scratch_init 0
		.amdhsa_user_sgpr_private_segment_size 0
		.amdhsa_uses_dynamic_stack 0
		.amdhsa_system_sgpr_private_segment_wavefront_offset 0
		.amdhsa_system_sgpr_workgroup_id_x 1
		.amdhsa_system_sgpr_workgroup_id_y 0
		.amdhsa_system_sgpr_workgroup_id_z 0
		.amdhsa_system_sgpr_workgroup_info 0
		.amdhsa_system_vgpr_workitem_id 0
		.amdhsa_next_free_vgpr 1
		.amdhsa_next_free_sgpr 0
		.amdhsa_reserve_vcc 0
		.amdhsa_reserve_flat_scratch 0
		.amdhsa_float_round_mode_32 0
		.amdhsa_float_round_mode_16_64 0
		.amdhsa_float_denorm_mode_32 3
		.amdhsa_float_denorm_mode_16_64 3
		.amdhsa_dx10_clamp 1
		.amdhsa_ieee_mode 1
		.amdhsa_fp16_overflow 0
		.amdhsa_exception_fp_ieee_invalid_op 0
		.amdhsa_exception_fp_denorm_src 0
		.amdhsa_exception_fp_ieee_div_zero 0
		.amdhsa_exception_fp_ieee_overflow 0
		.amdhsa_exception_fp_ieee_underflow 0
		.amdhsa_exception_fp_ieee_inexact 0
		.amdhsa_exception_int_div_zero 0
	.end_amdhsa_kernel
	.section	.text._ZN7rocprim17ROCPRIM_400000_NS6detail17trampoline_kernelINS0_14default_configENS1_22reduce_config_selectorIiEEZNS1_11reduce_implILb1ES3_N6thrust23THRUST_200600_302600_NS11hip_rocprim35transform_pair_of_input_iterators_tIiPaSB_NS8_12not_equal_toIaEEEEPiiNS8_4plusIiEEEE10hipError_tPvRmT1_T2_T3_mT4_P12ihipStream_tbEUlT_E1_NS1_11comp_targetILNS1_3genE4ELNS1_11target_archE910ELNS1_3gpuE8ELNS1_3repE0EEENS1_30default_config_static_selectorELNS0_4arch9wavefront6targetE1EEEvSL_,"axG",@progbits,_ZN7rocprim17ROCPRIM_400000_NS6detail17trampoline_kernelINS0_14default_configENS1_22reduce_config_selectorIiEEZNS1_11reduce_implILb1ES3_N6thrust23THRUST_200600_302600_NS11hip_rocprim35transform_pair_of_input_iterators_tIiPaSB_NS8_12not_equal_toIaEEEEPiiNS8_4plusIiEEEE10hipError_tPvRmT1_T2_T3_mT4_P12ihipStream_tbEUlT_E1_NS1_11comp_targetILNS1_3genE4ELNS1_11target_archE910ELNS1_3gpuE8ELNS1_3repE0EEENS1_30default_config_static_selectorELNS0_4arch9wavefront6targetE1EEEvSL_,comdat
.Lfunc_end665:
	.size	_ZN7rocprim17ROCPRIM_400000_NS6detail17trampoline_kernelINS0_14default_configENS1_22reduce_config_selectorIiEEZNS1_11reduce_implILb1ES3_N6thrust23THRUST_200600_302600_NS11hip_rocprim35transform_pair_of_input_iterators_tIiPaSB_NS8_12not_equal_toIaEEEEPiiNS8_4plusIiEEEE10hipError_tPvRmT1_T2_T3_mT4_P12ihipStream_tbEUlT_E1_NS1_11comp_targetILNS1_3genE4ELNS1_11target_archE910ELNS1_3gpuE8ELNS1_3repE0EEENS1_30default_config_static_selectorELNS0_4arch9wavefront6targetE1EEEvSL_, .Lfunc_end665-_ZN7rocprim17ROCPRIM_400000_NS6detail17trampoline_kernelINS0_14default_configENS1_22reduce_config_selectorIiEEZNS1_11reduce_implILb1ES3_N6thrust23THRUST_200600_302600_NS11hip_rocprim35transform_pair_of_input_iterators_tIiPaSB_NS8_12not_equal_toIaEEEEPiiNS8_4plusIiEEEE10hipError_tPvRmT1_T2_T3_mT4_P12ihipStream_tbEUlT_E1_NS1_11comp_targetILNS1_3genE4ELNS1_11target_archE910ELNS1_3gpuE8ELNS1_3repE0EEENS1_30default_config_static_selectorELNS0_4arch9wavefront6targetE1EEEvSL_
                                        ; -- End function
	.set _ZN7rocprim17ROCPRIM_400000_NS6detail17trampoline_kernelINS0_14default_configENS1_22reduce_config_selectorIiEEZNS1_11reduce_implILb1ES3_N6thrust23THRUST_200600_302600_NS11hip_rocprim35transform_pair_of_input_iterators_tIiPaSB_NS8_12not_equal_toIaEEEEPiiNS8_4plusIiEEEE10hipError_tPvRmT1_T2_T3_mT4_P12ihipStream_tbEUlT_E1_NS1_11comp_targetILNS1_3genE4ELNS1_11target_archE910ELNS1_3gpuE8ELNS1_3repE0EEENS1_30default_config_static_selectorELNS0_4arch9wavefront6targetE1EEEvSL_.num_vgpr, 0
	.set _ZN7rocprim17ROCPRIM_400000_NS6detail17trampoline_kernelINS0_14default_configENS1_22reduce_config_selectorIiEEZNS1_11reduce_implILb1ES3_N6thrust23THRUST_200600_302600_NS11hip_rocprim35transform_pair_of_input_iterators_tIiPaSB_NS8_12not_equal_toIaEEEEPiiNS8_4plusIiEEEE10hipError_tPvRmT1_T2_T3_mT4_P12ihipStream_tbEUlT_E1_NS1_11comp_targetILNS1_3genE4ELNS1_11target_archE910ELNS1_3gpuE8ELNS1_3repE0EEENS1_30default_config_static_selectorELNS0_4arch9wavefront6targetE1EEEvSL_.num_agpr, 0
	.set _ZN7rocprim17ROCPRIM_400000_NS6detail17trampoline_kernelINS0_14default_configENS1_22reduce_config_selectorIiEEZNS1_11reduce_implILb1ES3_N6thrust23THRUST_200600_302600_NS11hip_rocprim35transform_pair_of_input_iterators_tIiPaSB_NS8_12not_equal_toIaEEEEPiiNS8_4plusIiEEEE10hipError_tPvRmT1_T2_T3_mT4_P12ihipStream_tbEUlT_E1_NS1_11comp_targetILNS1_3genE4ELNS1_11target_archE910ELNS1_3gpuE8ELNS1_3repE0EEENS1_30default_config_static_selectorELNS0_4arch9wavefront6targetE1EEEvSL_.numbered_sgpr, 0
	.set _ZN7rocprim17ROCPRIM_400000_NS6detail17trampoline_kernelINS0_14default_configENS1_22reduce_config_selectorIiEEZNS1_11reduce_implILb1ES3_N6thrust23THRUST_200600_302600_NS11hip_rocprim35transform_pair_of_input_iterators_tIiPaSB_NS8_12not_equal_toIaEEEEPiiNS8_4plusIiEEEE10hipError_tPvRmT1_T2_T3_mT4_P12ihipStream_tbEUlT_E1_NS1_11comp_targetILNS1_3genE4ELNS1_11target_archE910ELNS1_3gpuE8ELNS1_3repE0EEENS1_30default_config_static_selectorELNS0_4arch9wavefront6targetE1EEEvSL_.num_named_barrier, 0
	.set _ZN7rocprim17ROCPRIM_400000_NS6detail17trampoline_kernelINS0_14default_configENS1_22reduce_config_selectorIiEEZNS1_11reduce_implILb1ES3_N6thrust23THRUST_200600_302600_NS11hip_rocprim35transform_pair_of_input_iterators_tIiPaSB_NS8_12not_equal_toIaEEEEPiiNS8_4plusIiEEEE10hipError_tPvRmT1_T2_T3_mT4_P12ihipStream_tbEUlT_E1_NS1_11comp_targetILNS1_3genE4ELNS1_11target_archE910ELNS1_3gpuE8ELNS1_3repE0EEENS1_30default_config_static_selectorELNS0_4arch9wavefront6targetE1EEEvSL_.private_seg_size, 0
	.set _ZN7rocprim17ROCPRIM_400000_NS6detail17trampoline_kernelINS0_14default_configENS1_22reduce_config_selectorIiEEZNS1_11reduce_implILb1ES3_N6thrust23THRUST_200600_302600_NS11hip_rocprim35transform_pair_of_input_iterators_tIiPaSB_NS8_12not_equal_toIaEEEEPiiNS8_4plusIiEEEE10hipError_tPvRmT1_T2_T3_mT4_P12ihipStream_tbEUlT_E1_NS1_11comp_targetILNS1_3genE4ELNS1_11target_archE910ELNS1_3gpuE8ELNS1_3repE0EEENS1_30default_config_static_selectorELNS0_4arch9wavefront6targetE1EEEvSL_.uses_vcc, 0
	.set _ZN7rocprim17ROCPRIM_400000_NS6detail17trampoline_kernelINS0_14default_configENS1_22reduce_config_selectorIiEEZNS1_11reduce_implILb1ES3_N6thrust23THRUST_200600_302600_NS11hip_rocprim35transform_pair_of_input_iterators_tIiPaSB_NS8_12not_equal_toIaEEEEPiiNS8_4plusIiEEEE10hipError_tPvRmT1_T2_T3_mT4_P12ihipStream_tbEUlT_E1_NS1_11comp_targetILNS1_3genE4ELNS1_11target_archE910ELNS1_3gpuE8ELNS1_3repE0EEENS1_30default_config_static_selectorELNS0_4arch9wavefront6targetE1EEEvSL_.uses_flat_scratch, 0
	.set _ZN7rocprim17ROCPRIM_400000_NS6detail17trampoline_kernelINS0_14default_configENS1_22reduce_config_selectorIiEEZNS1_11reduce_implILb1ES3_N6thrust23THRUST_200600_302600_NS11hip_rocprim35transform_pair_of_input_iterators_tIiPaSB_NS8_12not_equal_toIaEEEEPiiNS8_4plusIiEEEE10hipError_tPvRmT1_T2_T3_mT4_P12ihipStream_tbEUlT_E1_NS1_11comp_targetILNS1_3genE4ELNS1_11target_archE910ELNS1_3gpuE8ELNS1_3repE0EEENS1_30default_config_static_selectorELNS0_4arch9wavefront6targetE1EEEvSL_.has_dyn_sized_stack, 0
	.set _ZN7rocprim17ROCPRIM_400000_NS6detail17trampoline_kernelINS0_14default_configENS1_22reduce_config_selectorIiEEZNS1_11reduce_implILb1ES3_N6thrust23THRUST_200600_302600_NS11hip_rocprim35transform_pair_of_input_iterators_tIiPaSB_NS8_12not_equal_toIaEEEEPiiNS8_4plusIiEEEE10hipError_tPvRmT1_T2_T3_mT4_P12ihipStream_tbEUlT_E1_NS1_11comp_targetILNS1_3genE4ELNS1_11target_archE910ELNS1_3gpuE8ELNS1_3repE0EEENS1_30default_config_static_selectorELNS0_4arch9wavefront6targetE1EEEvSL_.has_recursion, 0
	.set _ZN7rocprim17ROCPRIM_400000_NS6detail17trampoline_kernelINS0_14default_configENS1_22reduce_config_selectorIiEEZNS1_11reduce_implILb1ES3_N6thrust23THRUST_200600_302600_NS11hip_rocprim35transform_pair_of_input_iterators_tIiPaSB_NS8_12not_equal_toIaEEEEPiiNS8_4plusIiEEEE10hipError_tPvRmT1_T2_T3_mT4_P12ihipStream_tbEUlT_E1_NS1_11comp_targetILNS1_3genE4ELNS1_11target_archE910ELNS1_3gpuE8ELNS1_3repE0EEENS1_30default_config_static_selectorELNS0_4arch9wavefront6targetE1EEEvSL_.has_indirect_call, 0
	.section	.AMDGPU.csdata,"",@progbits
; Kernel info:
; codeLenInByte = 0
; TotalNumSgprs: 4
; NumVgprs: 0
; ScratchSize: 0
; MemoryBound: 0
; FloatMode: 240
; IeeeMode: 1
; LDSByteSize: 0 bytes/workgroup (compile time only)
; SGPRBlocks: 0
; VGPRBlocks: 0
; NumSGPRsForWavesPerEU: 4
; NumVGPRsForWavesPerEU: 1
; Occupancy: 10
; WaveLimiterHint : 0
; COMPUTE_PGM_RSRC2:SCRATCH_EN: 0
; COMPUTE_PGM_RSRC2:USER_SGPR: 6
; COMPUTE_PGM_RSRC2:TRAP_HANDLER: 0
; COMPUTE_PGM_RSRC2:TGID_X_EN: 1
; COMPUTE_PGM_RSRC2:TGID_Y_EN: 0
; COMPUTE_PGM_RSRC2:TGID_Z_EN: 0
; COMPUTE_PGM_RSRC2:TIDIG_COMP_CNT: 0
	.section	.text._ZN7rocprim17ROCPRIM_400000_NS6detail17trampoline_kernelINS0_14default_configENS1_22reduce_config_selectorIiEEZNS1_11reduce_implILb1ES3_N6thrust23THRUST_200600_302600_NS11hip_rocprim35transform_pair_of_input_iterators_tIiPaSB_NS8_12not_equal_toIaEEEEPiiNS8_4plusIiEEEE10hipError_tPvRmT1_T2_T3_mT4_P12ihipStream_tbEUlT_E1_NS1_11comp_targetILNS1_3genE3ELNS1_11target_archE908ELNS1_3gpuE7ELNS1_3repE0EEENS1_30default_config_static_selectorELNS0_4arch9wavefront6targetE1EEEvSL_,"axG",@progbits,_ZN7rocprim17ROCPRIM_400000_NS6detail17trampoline_kernelINS0_14default_configENS1_22reduce_config_selectorIiEEZNS1_11reduce_implILb1ES3_N6thrust23THRUST_200600_302600_NS11hip_rocprim35transform_pair_of_input_iterators_tIiPaSB_NS8_12not_equal_toIaEEEEPiiNS8_4plusIiEEEE10hipError_tPvRmT1_T2_T3_mT4_P12ihipStream_tbEUlT_E1_NS1_11comp_targetILNS1_3genE3ELNS1_11target_archE908ELNS1_3gpuE7ELNS1_3repE0EEENS1_30default_config_static_selectorELNS0_4arch9wavefront6targetE1EEEvSL_,comdat
	.protected	_ZN7rocprim17ROCPRIM_400000_NS6detail17trampoline_kernelINS0_14default_configENS1_22reduce_config_selectorIiEEZNS1_11reduce_implILb1ES3_N6thrust23THRUST_200600_302600_NS11hip_rocprim35transform_pair_of_input_iterators_tIiPaSB_NS8_12not_equal_toIaEEEEPiiNS8_4plusIiEEEE10hipError_tPvRmT1_T2_T3_mT4_P12ihipStream_tbEUlT_E1_NS1_11comp_targetILNS1_3genE3ELNS1_11target_archE908ELNS1_3gpuE7ELNS1_3repE0EEENS1_30default_config_static_selectorELNS0_4arch9wavefront6targetE1EEEvSL_ ; -- Begin function _ZN7rocprim17ROCPRIM_400000_NS6detail17trampoline_kernelINS0_14default_configENS1_22reduce_config_selectorIiEEZNS1_11reduce_implILb1ES3_N6thrust23THRUST_200600_302600_NS11hip_rocprim35transform_pair_of_input_iterators_tIiPaSB_NS8_12not_equal_toIaEEEEPiiNS8_4plusIiEEEE10hipError_tPvRmT1_T2_T3_mT4_P12ihipStream_tbEUlT_E1_NS1_11comp_targetILNS1_3genE3ELNS1_11target_archE908ELNS1_3gpuE7ELNS1_3repE0EEENS1_30default_config_static_selectorELNS0_4arch9wavefront6targetE1EEEvSL_
	.globl	_ZN7rocprim17ROCPRIM_400000_NS6detail17trampoline_kernelINS0_14default_configENS1_22reduce_config_selectorIiEEZNS1_11reduce_implILb1ES3_N6thrust23THRUST_200600_302600_NS11hip_rocprim35transform_pair_of_input_iterators_tIiPaSB_NS8_12not_equal_toIaEEEEPiiNS8_4plusIiEEEE10hipError_tPvRmT1_T2_T3_mT4_P12ihipStream_tbEUlT_E1_NS1_11comp_targetILNS1_3genE3ELNS1_11target_archE908ELNS1_3gpuE7ELNS1_3repE0EEENS1_30default_config_static_selectorELNS0_4arch9wavefront6targetE1EEEvSL_
	.p2align	8
	.type	_ZN7rocprim17ROCPRIM_400000_NS6detail17trampoline_kernelINS0_14default_configENS1_22reduce_config_selectorIiEEZNS1_11reduce_implILb1ES3_N6thrust23THRUST_200600_302600_NS11hip_rocprim35transform_pair_of_input_iterators_tIiPaSB_NS8_12not_equal_toIaEEEEPiiNS8_4plusIiEEEE10hipError_tPvRmT1_T2_T3_mT4_P12ihipStream_tbEUlT_E1_NS1_11comp_targetILNS1_3genE3ELNS1_11target_archE908ELNS1_3gpuE7ELNS1_3repE0EEENS1_30default_config_static_selectorELNS0_4arch9wavefront6targetE1EEEvSL_,@function
_ZN7rocprim17ROCPRIM_400000_NS6detail17trampoline_kernelINS0_14default_configENS1_22reduce_config_selectorIiEEZNS1_11reduce_implILb1ES3_N6thrust23THRUST_200600_302600_NS11hip_rocprim35transform_pair_of_input_iterators_tIiPaSB_NS8_12not_equal_toIaEEEEPiiNS8_4plusIiEEEE10hipError_tPvRmT1_T2_T3_mT4_P12ihipStream_tbEUlT_E1_NS1_11comp_targetILNS1_3genE3ELNS1_11target_archE908ELNS1_3gpuE7ELNS1_3repE0EEENS1_30default_config_static_selectorELNS0_4arch9wavefront6targetE1EEEvSL_: ; @_ZN7rocprim17ROCPRIM_400000_NS6detail17trampoline_kernelINS0_14default_configENS1_22reduce_config_selectorIiEEZNS1_11reduce_implILb1ES3_N6thrust23THRUST_200600_302600_NS11hip_rocprim35transform_pair_of_input_iterators_tIiPaSB_NS8_12not_equal_toIaEEEEPiiNS8_4plusIiEEEE10hipError_tPvRmT1_T2_T3_mT4_P12ihipStream_tbEUlT_E1_NS1_11comp_targetILNS1_3genE3ELNS1_11target_archE908ELNS1_3gpuE7ELNS1_3repE0EEENS1_30default_config_static_selectorELNS0_4arch9wavefront6targetE1EEEvSL_
; %bb.0:
	.section	.rodata,"a",@progbits
	.p2align	6, 0x0
	.amdhsa_kernel _ZN7rocprim17ROCPRIM_400000_NS6detail17trampoline_kernelINS0_14default_configENS1_22reduce_config_selectorIiEEZNS1_11reduce_implILb1ES3_N6thrust23THRUST_200600_302600_NS11hip_rocprim35transform_pair_of_input_iterators_tIiPaSB_NS8_12not_equal_toIaEEEEPiiNS8_4plusIiEEEE10hipError_tPvRmT1_T2_T3_mT4_P12ihipStream_tbEUlT_E1_NS1_11comp_targetILNS1_3genE3ELNS1_11target_archE908ELNS1_3gpuE7ELNS1_3repE0EEENS1_30default_config_static_selectorELNS0_4arch9wavefront6targetE1EEEvSL_
		.amdhsa_group_segment_fixed_size 0
		.amdhsa_private_segment_fixed_size 0
		.amdhsa_kernarg_size 56
		.amdhsa_user_sgpr_count 6
		.amdhsa_user_sgpr_private_segment_buffer 1
		.amdhsa_user_sgpr_dispatch_ptr 0
		.amdhsa_user_sgpr_queue_ptr 0
		.amdhsa_user_sgpr_kernarg_segment_ptr 1
		.amdhsa_user_sgpr_dispatch_id 0
		.amdhsa_user_sgpr_flat_scratch_init 0
		.amdhsa_user_sgpr_private_segment_size 0
		.amdhsa_uses_dynamic_stack 0
		.amdhsa_system_sgpr_private_segment_wavefront_offset 0
		.amdhsa_system_sgpr_workgroup_id_x 1
		.amdhsa_system_sgpr_workgroup_id_y 0
		.amdhsa_system_sgpr_workgroup_id_z 0
		.amdhsa_system_sgpr_workgroup_info 0
		.amdhsa_system_vgpr_workitem_id 0
		.amdhsa_next_free_vgpr 1
		.amdhsa_next_free_sgpr 0
		.amdhsa_reserve_vcc 0
		.amdhsa_reserve_flat_scratch 0
		.amdhsa_float_round_mode_32 0
		.amdhsa_float_round_mode_16_64 0
		.amdhsa_float_denorm_mode_32 3
		.amdhsa_float_denorm_mode_16_64 3
		.amdhsa_dx10_clamp 1
		.amdhsa_ieee_mode 1
		.amdhsa_fp16_overflow 0
		.amdhsa_exception_fp_ieee_invalid_op 0
		.amdhsa_exception_fp_denorm_src 0
		.amdhsa_exception_fp_ieee_div_zero 0
		.amdhsa_exception_fp_ieee_overflow 0
		.amdhsa_exception_fp_ieee_underflow 0
		.amdhsa_exception_fp_ieee_inexact 0
		.amdhsa_exception_int_div_zero 0
	.end_amdhsa_kernel
	.section	.text._ZN7rocprim17ROCPRIM_400000_NS6detail17trampoline_kernelINS0_14default_configENS1_22reduce_config_selectorIiEEZNS1_11reduce_implILb1ES3_N6thrust23THRUST_200600_302600_NS11hip_rocprim35transform_pair_of_input_iterators_tIiPaSB_NS8_12not_equal_toIaEEEEPiiNS8_4plusIiEEEE10hipError_tPvRmT1_T2_T3_mT4_P12ihipStream_tbEUlT_E1_NS1_11comp_targetILNS1_3genE3ELNS1_11target_archE908ELNS1_3gpuE7ELNS1_3repE0EEENS1_30default_config_static_selectorELNS0_4arch9wavefront6targetE1EEEvSL_,"axG",@progbits,_ZN7rocprim17ROCPRIM_400000_NS6detail17trampoline_kernelINS0_14default_configENS1_22reduce_config_selectorIiEEZNS1_11reduce_implILb1ES3_N6thrust23THRUST_200600_302600_NS11hip_rocprim35transform_pair_of_input_iterators_tIiPaSB_NS8_12not_equal_toIaEEEEPiiNS8_4plusIiEEEE10hipError_tPvRmT1_T2_T3_mT4_P12ihipStream_tbEUlT_E1_NS1_11comp_targetILNS1_3genE3ELNS1_11target_archE908ELNS1_3gpuE7ELNS1_3repE0EEENS1_30default_config_static_selectorELNS0_4arch9wavefront6targetE1EEEvSL_,comdat
.Lfunc_end666:
	.size	_ZN7rocprim17ROCPRIM_400000_NS6detail17trampoline_kernelINS0_14default_configENS1_22reduce_config_selectorIiEEZNS1_11reduce_implILb1ES3_N6thrust23THRUST_200600_302600_NS11hip_rocprim35transform_pair_of_input_iterators_tIiPaSB_NS8_12not_equal_toIaEEEEPiiNS8_4plusIiEEEE10hipError_tPvRmT1_T2_T3_mT4_P12ihipStream_tbEUlT_E1_NS1_11comp_targetILNS1_3genE3ELNS1_11target_archE908ELNS1_3gpuE7ELNS1_3repE0EEENS1_30default_config_static_selectorELNS0_4arch9wavefront6targetE1EEEvSL_, .Lfunc_end666-_ZN7rocprim17ROCPRIM_400000_NS6detail17trampoline_kernelINS0_14default_configENS1_22reduce_config_selectorIiEEZNS1_11reduce_implILb1ES3_N6thrust23THRUST_200600_302600_NS11hip_rocprim35transform_pair_of_input_iterators_tIiPaSB_NS8_12not_equal_toIaEEEEPiiNS8_4plusIiEEEE10hipError_tPvRmT1_T2_T3_mT4_P12ihipStream_tbEUlT_E1_NS1_11comp_targetILNS1_3genE3ELNS1_11target_archE908ELNS1_3gpuE7ELNS1_3repE0EEENS1_30default_config_static_selectorELNS0_4arch9wavefront6targetE1EEEvSL_
                                        ; -- End function
	.set _ZN7rocprim17ROCPRIM_400000_NS6detail17trampoline_kernelINS0_14default_configENS1_22reduce_config_selectorIiEEZNS1_11reduce_implILb1ES3_N6thrust23THRUST_200600_302600_NS11hip_rocprim35transform_pair_of_input_iterators_tIiPaSB_NS8_12not_equal_toIaEEEEPiiNS8_4plusIiEEEE10hipError_tPvRmT1_T2_T3_mT4_P12ihipStream_tbEUlT_E1_NS1_11comp_targetILNS1_3genE3ELNS1_11target_archE908ELNS1_3gpuE7ELNS1_3repE0EEENS1_30default_config_static_selectorELNS0_4arch9wavefront6targetE1EEEvSL_.num_vgpr, 0
	.set _ZN7rocprim17ROCPRIM_400000_NS6detail17trampoline_kernelINS0_14default_configENS1_22reduce_config_selectorIiEEZNS1_11reduce_implILb1ES3_N6thrust23THRUST_200600_302600_NS11hip_rocprim35transform_pair_of_input_iterators_tIiPaSB_NS8_12not_equal_toIaEEEEPiiNS8_4plusIiEEEE10hipError_tPvRmT1_T2_T3_mT4_P12ihipStream_tbEUlT_E1_NS1_11comp_targetILNS1_3genE3ELNS1_11target_archE908ELNS1_3gpuE7ELNS1_3repE0EEENS1_30default_config_static_selectorELNS0_4arch9wavefront6targetE1EEEvSL_.num_agpr, 0
	.set _ZN7rocprim17ROCPRIM_400000_NS6detail17trampoline_kernelINS0_14default_configENS1_22reduce_config_selectorIiEEZNS1_11reduce_implILb1ES3_N6thrust23THRUST_200600_302600_NS11hip_rocprim35transform_pair_of_input_iterators_tIiPaSB_NS8_12not_equal_toIaEEEEPiiNS8_4plusIiEEEE10hipError_tPvRmT1_T2_T3_mT4_P12ihipStream_tbEUlT_E1_NS1_11comp_targetILNS1_3genE3ELNS1_11target_archE908ELNS1_3gpuE7ELNS1_3repE0EEENS1_30default_config_static_selectorELNS0_4arch9wavefront6targetE1EEEvSL_.numbered_sgpr, 0
	.set _ZN7rocprim17ROCPRIM_400000_NS6detail17trampoline_kernelINS0_14default_configENS1_22reduce_config_selectorIiEEZNS1_11reduce_implILb1ES3_N6thrust23THRUST_200600_302600_NS11hip_rocprim35transform_pair_of_input_iterators_tIiPaSB_NS8_12not_equal_toIaEEEEPiiNS8_4plusIiEEEE10hipError_tPvRmT1_T2_T3_mT4_P12ihipStream_tbEUlT_E1_NS1_11comp_targetILNS1_3genE3ELNS1_11target_archE908ELNS1_3gpuE7ELNS1_3repE0EEENS1_30default_config_static_selectorELNS0_4arch9wavefront6targetE1EEEvSL_.num_named_barrier, 0
	.set _ZN7rocprim17ROCPRIM_400000_NS6detail17trampoline_kernelINS0_14default_configENS1_22reduce_config_selectorIiEEZNS1_11reduce_implILb1ES3_N6thrust23THRUST_200600_302600_NS11hip_rocprim35transform_pair_of_input_iterators_tIiPaSB_NS8_12not_equal_toIaEEEEPiiNS8_4plusIiEEEE10hipError_tPvRmT1_T2_T3_mT4_P12ihipStream_tbEUlT_E1_NS1_11comp_targetILNS1_3genE3ELNS1_11target_archE908ELNS1_3gpuE7ELNS1_3repE0EEENS1_30default_config_static_selectorELNS0_4arch9wavefront6targetE1EEEvSL_.private_seg_size, 0
	.set _ZN7rocprim17ROCPRIM_400000_NS6detail17trampoline_kernelINS0_14default_configENS1_22reduce_config_selectorIiEEZNS1_11reduce_implILb1ES3_N6thrust23THRUST_200600_302600_NS11hip_rocprim35transform_pair_of_input_iterators_tIiPaSB_NS8_12not_equal_toIaEEEEPiiNS8_4plusIiEEEE10hipError_tPvRmT1_T2_T3_mT4_P12ihipStream_tbEUlT_E1_NS1_11comp_targetILNS1_3genE3ELNS1_11target_archE908ELNS1_3gpuE7ELNS1_3repE0EEENS1_30default_config_static_selectorELNS0_4arch9wavefront6targetE1EEEvSL_.uses_vcc, 0
	.set _ZN7rocprim17ROCPRIM_400000_NS6detail17trampoline_kernelINS0_14default_configENS1_22reduce_config_selectorIiEEZNS1_11reduce_implILb1ES3_N6thrust23THRUST_200600_302600_NS11hip_rocprim35transform_pair_of_input_iterators_tIiPaSB_NS8_12not_equal_toIaEEEEPiiNS8_4plusIiEEEE10hipError_tPvRmT1_T2_T3_mT4_P12ihipStream_tbEUlT_E1_NS1_11comp_targetILNS1_3genE3ELNS1_11target_archE908ELNS1_3gpuE7ELNS1_3repE0EEENS1_30default_config_static_selectorELNS0_4arch9wavefront6targetE1EEEvSL_.uses_flat_scratch, 0
	.set _ZN7rocprim17ROCPRIM_400000_NS6detail17trampoline_kernelINS0_14default_configENS1_22reduce_config_selectorIiEEZNS1_11reduce_implILb1ES3_N6thrust23THRUST_200600_302600_NS11hip_rocprim35transform_pair_of_input_iterators_tIiPaSB_NS8_12not_equal_toIaEEEEPiiNS8_4plusIiEEEE10hipError_tPvRmT1_T2_T3_mT4_P12ihipStream_tbEUlT_E1_NS1_11comp_targetILNS1_3genE3ELNS1_11target_archE908ELNS1_3gpuE7ELNS1_3repE0EEENS1_30default_config_static_selectorELNS0_4arch9wavefront6targetE1EEEvSL_.has_dyn_sized_stack, 0
	.set _ZN7rocprim17ROCPRIM_400000_NS6detail17trampoline_kernelINS0_14default_configENS1_22reduce_config_selectorIiEEZNS1_11reduce_implILb1ES3_N6thrust23THRUST_200600_302600_NS11hip_rocprim35transform_pair_of_input_iterators_tIiPaSB_NS8_12not_equal_toIaEEEEPiiNS8_4plusIiEEEE10hipError_tPvRmT1_T2_T3_mT4_P12ihipStream_tbEUlT_E1_NS1_11comp_targetILNS1_3genE3ELNS1_11target_archE908ELNS1_3gpuE7ELNS1_3repE0EEENS1_30default_config_static_selectorELNS0_4arch9wavefront6targetE1EEEvSL_.has_recursion, 0
	.set _ZN7rocprim17ROCPRIM_400000_NS6detail17trampoline_kernelINS0_14default_configENS1_22reduce_config_selectorIiEEZNS1_11reduce_implILb1ES3_N6thrust23THRUST_200600_302600_NS11hip_rocprim35transform_pair_of_input_iterators_tIiPaSB_NS8_12not_equal_toIaEEEEPiiNS8_4plusIiEEEE10hipError_tPvRmT1_T2_T3_mT4_P12ihipStream_tbEUlT_E1_NS1_11comp_targetILNS1_3genE3ELNS1_11target_archE908ELNS1_3gpuE7ELNS1_3repE0EEENS1_30default_config_static_selectorELNS0_4arch9wavefront6targetE1EEEvSL_.has_indirect_call, 0
	.section	.AMDGPU.csdata,"",@progbits
; Kernel info:
; codeLenInByte = 0
; TotalNumSgprs: 4
; NumVgprs: 0
; ScratchSize: 0
; MemoryBound: 0
; FloatMode: 240
; IeeeMode: 1
; LDSByteSize: 0 bytes/workgroup (compile time only)
; SGPRBlocks: 0
; VGPRBlocks: 0
; NumSGPRsForWavesPerEU: 4
; NumVGPRsForWavesPerEU: 1
; Occupancy: 10
; WaveLimiterHint : 0
; COMPUTE_PGM_RSRC2:SCRATCH_EN: 0
; COMPUTE_PGM_RSRC2:USER_SGPR: 6
; COMPUTE_PGM_RSRC2:TRAP_HANDLER: 0
; COMPUTE_PGM_RSRC2:TGID_X_EN: 1
; COMPUTE_PGM_RSRC2:TGID_Y_EN: 0
; COMPUTE_PGM_RSRC2:TGID_Z_EN: 0
; COMPUTE_PGM_RSRC2:TIDIG_COMP_CNT: 0
	.section	.text._ZN7rocprim17ROCPRIM_400000_NS6detail17trampoline_kernelINS0_14default_configENS1_22reduce_config_selectorIiEEZNS1_11reduce_implILb1ES3_N6thrust23THRUST_200600_302600_NS11hip_rocprim35transform_pair_of_input_iterators_tIiPaSB_NS8_12not_equal_toIaEEEEPiiNS8_4plusIiEEEE10hipError_tPvRmT1_T2_T3_mT4_P12ihipStream_tbEUlT_E1_NS1_11comp_targetILNS1_3genE2ELNS1_11target_archE906ELNS1_3gpuE6ELNS1_3repE0EEENS1_30default_config_static_selectorELNS0_4arch9wavefront6targetE1EEEvSL_,"axG",@progbits,_ZN7rocprim17ROCPRIM_400000_NS6detail17trampoline_kernelINS0_14default_configENS1_22reduce_config_selectorIiEEZNS1_11reduce_implILb1ES3_N6thrust23THRUST_200600_302600_NS11hip_rocprim35transform_pair_of_input_iterators_tIiPaSB_NS8_12not_equal_toIaEEEEPiiNS8_4plusIiEEEE10hipError_tPvRmT1_T2_T3_mT4_P12ihipStream_tbEUlT_E1_NS1_11comp_targetILNS1_3genE2ELNS1_11target_archE906ELNS1_3gpuE6ELNS1_3repE0EEENS1_30default_config_static_selectorELNS0_4arch9wavefront6targetE1EEEvSL_,comdat
	.protected	_ZN7rocprim17ROCPRIM_400000_NS6detail17trampoline_kernelINS0_14default_configENS1_22reduce_config_selectorIiEEZNS1_11reduce_implILb1ES3_N6thrust23THRUST_200600_302600_NS11hip_rocprim35transform_pair_of_input_iterators_tIiPaSB_NS8_12not_equal_toIaEEEEPiiNS8_4plusIiEEEE10hipError_tPvRmT1_T2_T3_mT4_P12ihipStream_tbEUlT_E1_NS1_11comp_targetILNS1_3genE2ELNS1_11target_archE906ELNS1_3gpuE6ELNS1_3repE0EEENS1_30default_config_static_selectorELNS0_4arch9wavefront6targetE1EEEvSL_ ; -- Begin function _ZN7rocprim17ROCPRIM_400000_NS6detail17trampoline_kernelINS0_14default_configENS1_22reduce_config_selectorIiEEZNS1_11reduce_implILb1ES3_N6thrust23THRUST_200600_302600_NS11hip_rocprim35transform_pair_of_input_iterators_tIiPaSB_NS8_12not_equal_toIaEEEEPiiNS8_4plusIiEEEE10hipError_tPvRmT1_T2_T3_mT4_P12ihipStream_tbEUlT_E1_NS1_11comp_targetILNS1_3genE2ELNS1_11target_archE906ELNS1_3gpuE6ELNS1_3repE0EEENS1_30default_config_static_selectorELNS0_4arch9wavefront6targetE1EEEvSL_
	.globl	_ZN7rocprim17ROCPRIM_400000_NS6detail17trampoline_kernelINS0_14default_configENS1_22reduce_config_selectorIiEEZNS1_11reduce_implILb1ES3_N6thrust23THRUST_200600_302600_NS11hip_rocprim35transform_pair_of_input_iterators_tIiPaSB_NS8_12not_equal_toIaEEEEPiiNS8_4plusIiEEEE10hipError_tPvRmT1_T2_T3_mT4_P12ihipStream_tbEUlT_E1_NS1_11comp_targetILNS1_3genE2ELNS1_11target_archE906ELNS1_3gpuE6ELNS1_3repE0EEENS1_30default_config_static_selectorELNS0_4arch9wavefront6targetE1EEEvSL_
	.p2align	8
	.type	_ZN7rocprim17ROCPRIM_400000_NS6detail17trampoline_kernelINS0_14default_configENS1_22reduce_config_selectorIiEEZNS1_11reduce_implILb1ES3_N6thrust23THRUST_200600_302600_NS11hip_rocprim35transform_pair_of_input_iterators_tIiPaSB_NS8_12not_equal_toIaEEEEPiiNS8_4plusIiEEEE10hipError_tPvRmT1_T2_T3_mT4_P12ihipStream_tbEUlT_E1_NS1_11comp_targetILNS1_3genE2ELNS1_11target_archE906ELNS1_3gpuE6ELNS1_3repE0EEENS1_30default_config_static_selectorELNS0_4arch9wavefront6targetE1EEEvSL_,@function
_ZN7rocprim17ROCPRIM_400000_NS6detail17trampoline_kernelINS0_14default_configENS1_22reduce_config_selectorIiEEZNS1_11reduce_implILb1ES3_N6thrust23THRUST_200600_302600_NS11hip_rocprim35transform_pair_of_input_iterators_tIiPaSB_NS8_12not_equal_toIaEEEEPiiNS8_4plusIiEEEE10hipError_tPvRmT1_T2_T3_mT4_P12ihipStream_tbEUlT_E1_NS1_11comp_targetILNS1_3genE2ELNS1_11target_archE906ELNS1_3gpuE6ELNS1_3repE0EEENS1_30default_config_static_selectorELNS0_4arch9wavefront6targetE1EEEvSL_: ; @_ZN7rocprim17ROCPRIM_400000_NS6detail17trampoline_kernelINS0_14default_configENS1_22reduce_config_selectorIiEEZNS1_11reduce_implILb1ES3_N6thrust23THRUST_200600_302600_NS11hip_rocprim35transform_pair_of_input_iterators_tIiPaSB_NS8_12not_equal_toIaEEEEPiiNS8_4plusIiEEEE10hipError_tPvRmT1_T2_T3_mT4_P12ihipStream_tbEUlT_E1_NS1_11comp_targetILNS1_3genE2ELNS1_11target_archE906ELNS1_3gpuE6ELNS1_3repE0EEENS1_30default_config_static_selectorELNS0_4arch9wavefront6targetE1EEEvSL_
; %bb.0:
	s_load_dword s33, s[4:5], 0x4
	s_load_dwordx4 s[40:43], s[4:5], 0x8
	s_load_dwordx4 s[36:39], s[4:5], 0x20
	s_waitcnt lgkmcnt(0)
	s_cmp_lt_i32 s33, 8
	s_cbranch_scc1 .LBB667_11
; %bb.1:
	s_cmp_gt_i32 s33, 15
	s_cbranch_scc0 .LBB667_12
; %bb.2:
	s_cmp_gt_i32 s33, 31
	s_cbranch_scc0 .LBB667_13
; %bb.3:
	s_cmp_eq_u32 s33, 32
	s_mov_b64 s[44:45], 0
	s_cbranch_scc0 .LBB667_14
; %bb.4:
	s_lshl_b32 s50, s6, 13
	s_lshr_b64 s[0:1], s[36:37], 13
	s_add_u32 s46, s40, s50
	s_addc_u32 s47, s41, 0
	s_add_u32 s48, s42, s50
	s_mov_b32 s7, 0
	s_addc_u32 s49, s43, 0
	s_cmp_lg_u64 s[0:1], s[6:7]
	s_cbranch_scc0 .LBB667_23
; %bb.5:
	global_load_ubyte v5, v0, s[46:47]
	global_load_ubyte v6, v0, s[48:49]
	v_add_co_u32_e32 v1, vcc, s46, v0
	v_mov_b32_e32 v2, s47
	v_addc_co_u32_e32 v2, vcc, 0, v2, vcc
	v_add_co_u32_e32 v3, vcc, s48, v0
	v_mov_b32_e32 v4, s49
	v_addc_co_u32_e32 v4, vcc, 0, v4, vcc
	s_movk_i32 s20, 0x1000
	v_add_co_u32_e64 v1, s[18:19], s20, v1
	v_addc_co_u32_e64 v2, s[18:19], 0, v2, s[18:19]
	v_add_co_u32_e64 v3, s[18:19], s20, v3
	v_addc_co_u32_e64 v4, s[18:19], 0, v4, s[18:19]
	s_waitcnt vmcnt(0)
	v_cmp_ne_u16_e32 vcc, v5, v6
	global_load_ubyte v6, v0, s[46:47] offset:256
	global_load_ubyte v7, v0, s[48:49] offset:256
	v_cndmask_b32_e64 v5, 0, 1, vcc
	s_waitcnt vmcnt(0)
	v_cmp_ne_u16_e64 s[10:11], v6, v7
	global_load_ubyte v6, v0, s[46:47] offset:512
	global_load_ubyte v7, v0, s[48:49] offset:512
	s_waitcnt vmcnt(0)
	v_cmp_ne_u16_e32 vcc, v6, v7
	global_load_ubyte v7, v0, s[46:47] offset:768
	global_load_ubyte v8, v0, s[48:49] offset:768
	v_cndmask_b32_e64 v6, 0, 1, vcc
	s_waitcnt vmcnt(0)
	v_cmp_ne_u16_e32 vcc, v7, v8
	global_load_ubyte v7, v0, s[46:47] offset:1024
	global_load_ubyte v8, v0, s[48:49] offset:1024
	s_waitcnt vmcnt(0)
	v_cmp_ne_u16_e64 s[0:1], v7, v8
	global_load_ubyte v8, v0, s[46:47] offset:1280
	global_load_ubyte v9, v0, s[48:49] offset:1280
	v_cndmask_b32_e64 v7, 0, 1, s[0:1]
	s_waitcnt vmcnt(0)
	v_cmp_ne_u16_e64 s[12:13], v8, v9
	global_load_ubyte v8, v0, s[46:47] offset:1536
	global_load_ubyte v9, v0, s[48:49] offset:1536
	s_waitcnt vmcnt(0)
	v_cmp_ne_u16_e64 s[0:1], v8, v9
	global_load_ubyte v9, v0, s[46:47] offset:1792
	global_load_ubyte v10, v0, s[48:49] offset:1792
	v_cndmask_b32_e64 v8, 0, 1, s[0:1]
	s_waitcnt vmcnt(0)
	v_cmp_ne_u16_e64 s[14:15], v9, v10
	;; [unrolled: 9-line block ×6, first 2 shown]
	global_load_ubyte v13, v[1:2], off
	global_load_ubyte v14, v[3:4], off
	s_waitcnt vmcnt(0)
	v_cmp_ne_u16_e64 s[18:19], v13, v14
	global_load_ubyte v14, v[1:2], off offset:256
	global_load_ubyte v15, v[3:4], off offset:256
	v_cndmask_b32_e64 v13, 0, 1, s[18:19]
	s_waitcnt vmcnt(0)
	v_cmp_ne_u16_e64 s[18:19], v14, v15
	global_load_ubyte v14, v[1:2], off offset:512
	global_load_ubyte v15, v[3:4], off offset:512
	s_waitcnt vmcnt(0)
	v_cmp_ne_u16_e64 s[20:21], v14, v15
	global_load_ubyte v15, v[1:2], off offset:768
	global_load_ubyte v16, v[3:4], off offset:768
	v_cndmask_b32_e64 v14, 0, 1, s[20:21]
	s_waitcnt vmcnt(0)
	v_cmp_ne_u16_e64 s[20:21], v15, v16
	global_load_ubyte v15, v[1:2], off offset:1024
	global_load_ubyte v16, v[3:4], off offset:1024
	;; [unrolled: 9-line block ×7, first 2 shown]
	s_nop 0
	global_load_ubyte v1, v[1:2], off offset:3840
	s_nop 0
	global_load_ubyte v2, v[3:4], off offset:3840
	s_waitcnt vmcnt(2)
	v_cmp_ne_u16_e64 s[34:35], v20, v21
	v_cndmask_b32_e64 v20, 0, 1, s[34:35]
	s_waitcnt vmcnt(0)
	v_cmp_ne_u16_e64 s[34:35], v1, v2
	v_addc_co_u32_e64 v1, s[10:11], 0, v5, s[10:11]
	v_addc_co_u32_e32 v1, vcc, v1, v6, vcc
	v_addc_co_u32_e64 v1, vcc, v1, v7, s[12:13]
	v_addc_co_u32_e64 v1, vcc, v1, v8, s[14:15]
	;; [unrolled: 1-line block ×14, first 2 shown]
	v_mbcnt_lo_u32_b32 v2, -1, 0
	s_nop 0
	v_add_u32_dpp v1, v1, v1 quad_perm:[1,0,3,2] row_mask:0xf bank_mask:0xf bound_ctrl:1
	v_mbcnt_hi_u32_b32 v2, -1, v2
	v_lshlrev_b32_e32 v3, 2, v2
	v_add_u32_dpp v1, v1, v1 quad_perm:[2,3,0,1] row_mask:0xf bank_mask:0xf bound_ctrl:1
	v_or_b32_e32 v4, 0xfc, v3
	v_cmp_eq_u32_e32 vcc, 0, v2
	v_add_u32_dpp v1, v1, v1 row_ror:4 row_mask:0xf bank_mask:0xf bound_ctrl:1
	s_nop 1
	v_add_u32_dpp v1, v1, v1 row_ror:8 row_mask:0xf bank_mask:0xf bound_ctrl:1
	s_nop 1
	v_add_u32_dpp v1, v1, v1 row_bcast:15 row_mask:0xf bank_mask:0xf bound_ctrl:1
	s_nop 1
	v_add_u32_dpp v1, v1, v1 row_bcast:31 row_mask:0xf bank_mask:0xf bound_ctrl:1
	ds_bpermute_b32 v1, v4, v1
	s_and_saveexec_b64 s[0:1], vcc
	s_cbranch_execz .LBB667_7
; %bb.6:
	v_lshrrev_b32_e32 v4, 4, v0
	v_and_b32_e32 v4, 12, v4
	s_waitcnt lgkmcnt(0)
	ds_write_b32 v4, v1 offset:48
.LBB667_7:
	s_or_b64 exec, exec, s[0:1]
	v_cmp_gt_u32_e32 vcc, 64, v0
	s_waitcnt lgkmcnt(0)
	s_barrier
	s_and_saveexec_b64 s[0:1], vcc
	s_cbranch_execz .LBB667_9
; %bb.8:
	v_and_b32_e32 v1, 3, v2
	v_lshlrev_b32_e32 v4, 2, v1
	ds_read_b32 v4, v4 offset:48
	v_cmp_ne_u32_e32 vcc, 3, v1
	v_addc_co_u32_e32 v1, vcc, 0, v2, vcc
	v_lshlrev_b32_e32 v1, 2, v1
	s_waitcnt lgkmcnt(0)
	ds_bpermute_b32 v1, v1, v4
	v_or_b32_e32 v2, 8, v3
	s_waitcnt lgkmcnt(0)
	v_add_u32_e32 v1, v1, v4
	ds_bpermute_b32 v2, v2, v1
	s_waitcnt lgkmcnt(0)
	v_add_u32_e32 v1, v2, v1
.LBB667_9:
	s_or_b64 exec, exec, s[0:1]
.LBB667_10:
	v_cmp_eq_u32_e64 s[0:1], 0, v0
	s_and_b64 vcc, exec, s[44:45]
	s_cbranch_vccnz .LBB667_15
	s_branch .LBB667_93
.LBB667_11:
	s_mov_b64 s[0:1], 0
                                        ; implicit-def: $vgpr1
	s_cbranch_execnz .LBB667_166
	s_branch .LBB667_224
.LBB667_12:
	s_mov_b64 s[0:1], 0
                                        ; implicit-def: $vgpr1
	s_cbranch_execnz .LBB667_134
	s_branch .LBB667_142
.LBB667_13:
	s_mov_b64 s[44:45], -1
.LBB667_14:
	s_mov_b64 s[0:1], 0
                                        ; implicit-def: $vgpr1
	s_and_b64 vcc, exec, s[44:45]
	s_cbranch_vccz .LBB667_93
.LBB667_15:
	s_cmp_eq_u32 s33, 16
	s_cbranch_scc0 .LBB667_22
; %bb.16:
	s_lshl_b32 s2, s6, 12
	s_lshr_b64 s[0:1], s[36:37], 12
	s_add_u32 s34, s40, s2
	s_addc_u32 s35, s41, 0
	s_add_u32 s44, s42, s2
	s_mov_b32 s7, 0
	s_addc_u32 s45, s43, 0
	s_cmp_lg_u64 s[0:1], s[6:7]
	s_cbranch_scc0 .LBB667_94
; %bb.17:
	global_load_ubyte v1, v0, s[44:45]
	global_load_ubyte v2, v0, s[34:35]
	global_load_ubyte v3, v0, s[34:35] offset:1024
	global_load_ubyte v4, v0, s[34:35] offset:512
	;; [unrolled: 1-line block ×26, first 2 shown]
	s_waitcnt vmcnt(26)
	v_cmp_ne_u16_e32 vcc, v2, v1
	global_load_ubyte v1, v0, s[34:35] offset:3840
	global_load_ubyte v29, v0, s[34:35] offset:3328
	;; [unrolled: 1-line block ×4, first 2 shown]
	v_mbcnt_lo_u32_b32 v2, -1, 0
	v_mbcnt_hi_u32_b32 v2, -1, v2
	s_waitcnt vmcnt(26)
	v_cmp_ne_u16_e64 s[0:1], v3, v6
	v_cndmask_b32_e64 v6, 0, 1, vcc
	s_waitcnt vmcnt(25)
	v_cmp_ne_u16_e32 vcc, v4, v7
	v_cndmask_b32_e64 v4, 0, 1, vcc
	s_waitcnt vmcnt(24)
	v_cmp_ne_u16_e32 vcc, v5, v8
	v_cndmask_b32_e64 v5, 0, 1, vcc
	v_cndmask_b32_e64 v7, 0, 1, s[0:1]
	s_waitcnt vmcnt(19)
	v_cmp_ne_u16_e32 vcc, v9, v13
	v_cndmask_b32_e64 v8, 0, 1, vcc
	s_waitcnt vmcnt(18)
	v_cmp_ne_u16_e32 vcc, v10, v14
	v_cndmask_b32_e64 v9, 0, 1, vcc
	;; [unrolled: 3-line block ×4, first 2 shown]
	v_lshlrev_b32_e32 v3, 2, v2
	s_waitcnt vmcnt(8)
	v_cmp_ne_u16_e32 vcc, v24, v20
	v_addc_co_u32_e32 v6, vcc, 0, v6, vcc
	v_cmp_ne_u16_e32 vcc, v23, v19
	v_addc_co_u32_e32 v4, vcc, v6, v4, vcc
	;; [unrolled: 2-line block ×4, first 2 shown]
	s_waitcnt vmcnt(0)
	v_cmp_ne_u16_e32 vcc, v31, v28
	v_addc_co_u32_e32 v4, vcc, v4, v8, vcc
	v_cmp_ne_u16_e32 vcc, v30, v27
	v_addc_co_u32_e32 v4, vcc, v4, v9, vcc
	;; [unrolled: 2-line block ×4, first 2 shown]
	v_or_b32_e32 v4, 0xfc, v3
	s_nop 0
	v_add_u32_dpp v1, v1, v1 quad_perm:[1,0,3,2] row_mask:0xf bank_mask:0xf bound_ctrl:1
	v_cmp_eq_u32_e32 vcc, 0, v2
	s_nop 0
	v_add_u32_dpp v1, v1, v1 quad_perm:[2,3,0,1] row_mask:0xf bank_mask:0xf bound_ctrl:1
	s_nop 1
	v_add_u32_dpp v1, v1, v1 row_ror:4 row_mask:0xf bank_mask:0xf bound_ctrl:1
	s_nop 1
	v_add_u32_dpp v1, v1, v1 row_ror:8 row_mask:0xf bank_mask:0xf bound_ctrl:1
	s_nop 1
	v_add_u32_dpp v1, v1, v1 row_bcast:15 row_mask:0xf bank_mask:0xf bound_ctrl:1
	s_nop 1
	v_add_u32_dpp v1, v1, v1 row_bcast:31 row_mask:0xf bank_mask:0xf bound_ctrl:1
	ds_bpermute_b32 v1, v4, v1
	s_and_saveexec_b64 s[0:1], vcc
	s_cbranch_execz .LBB667_19
; %bb.18:
	v_lshrrev_b32_e32 v4, 4, v0
	v_and_b32_e32 v4, 12, v4
	s_waitcnt lgkmcnt(0)
	ds_write_b32 v4, v1
.LBB667_19:
	s_or_b64 exec, exec, s[0:1]
	v_cmp_gt_u32_e32 vcc, 64, v0
	s_waitcnt lgkmcnt(0)
	s_barrier
	s_and_saveexec_b64 s[0:1], vcc
	s_cbranch_execz .LBB667_21
; %bb.20:
	v_and_b32_e32 v1, 3, v2
	v_lshlrev_b32_e32 v4, 2, v1
	ds_read_b32 v4, v4
	v_cmp_ne_u32_e32 vcc, 3, v1
	v_addc_co_u32_e32 v1, vcc, 0, v2, vcc
	v_lshlrev_b32_e32 v1, 2, v1
	s_waitcnt lgkmcnt(0)
	ds_bpermute_b32 v1, v1, v4
	v_or_b32_e32 v2, 8, v3
	s_waitcnt lgkmcnt(0)
	v_add_u32_e32 v1, v1, v4
	ds_bpermute_b32 v2, v2, v1
	s_waitcnt lgkmcnt(0)
	v_add_u32_e32 v1, v2, v1
.LBB667_21:
	s_or_b64 exec, exec, s[0:1]
	s_mov_b64 s[0:1], 0
	s_branch .LBB667_95
.LBB667_22:
                                        ; implicit-def: $vgpr1
	s_branch .LBB667_142
.LBB667_23:
                                        ; implicit-def: $vgpr1
	s_cbranch_execz .LBB667_10
; %bb.24:
	s_sub_i32 s2, s36, s50
	v_cmp_gt_u32_e32 vcc, s2, v0
                                        ; implicit-def: $vgpr1
	s_and_saveexec_b64 s[0:1], vcc
	s_cbranch_execz .LBB667_26
; %bb.25:
	global_load_ubyte v1, v0, s[46:47]
	global_load_ubyte v2, v0, s[48:49]
	s_waitcnt vmcnt(0)
	v_cmp_ne_u16_e32 vcc, v1, v2
	v_cndmask_b32_e64 v1, 0, 1, vcc
.LBB667_26:
	s_or_b64 exec, exec, s[0:1]
	v_or_b32_e32 v2, 0x100, v0
	v_cmp_gt_u32_e32 vcc, s2, v2
	v_mov_b32_e32 v2, 0
	v_mov_b32_e32 v3, 0
	s_and_saveexec_b64 s[0:1], vcc
	s_cbranch_execz .LBB667_28
; %bb.27:
	global_load_ubyte v3, v0, s[46:47] offset:256
	global_load_ubyte v4, v0, s[48:49] offset:256
	s_waitcnt vmcnt(0)
	v_cmp_ne_u16_e32 vcc, v3, v4
	v_cndmask_b32_e64 v3, 0, 1, vcc
.LBB667_28:
	s_or_b64 exec, exec, s[0:1]
	v_or_b32_e32 v4, 0x200, v0
	v_cmp_gt_u32_e32 vcc, s2, v4
	s_and_saveexec_b64 s[0:1], vcc
	s_cbranch_execz .LBB667_30
; %bb.29:
	global_load_ubyte v2, v0, s[46:47] offset:512
	global_load_ubyte v4, v0, s[48:49] offset:512
	s_waitcnt vmcnt(0)
	v_cmp_ne_u16_e32 vcc, v2, v4
	v_cndmask_b32_e64 v2, 0, 1, vcc
.LBB667_30:
	s_or_b64 exec, exec, s[0:1]
	v_or_b32_e32 v4, 0x300, v0
	v_cmp_gt_u32_e32 vcc, s2, v4
	v_mov_b32_e32 v4, 0
	v_mov_b32_e32 v5, 0
	s_and_saveexec_b64 s[0:1], vcc
	s_cbranch_execz .LBB667_32
; %bb.31:
	global_load_ubyte v5, v0, s[46:47] offset:768
	global_load_ubyte v6, v0, s[48:49] offset:768
	s_waitcnt vmcnt(0)
	v_cmp_ne_u16_e32 vcc, v5, v6
	v_cndmask_b32_e64 v5, 0, 1, vcc
.LBB667_32:
	s_or_b64 exec, exec, s[0:1]
	v_or_b32_e32 v6, 0x400, v0
	v_cmp_gt_u32_e32 vcc, s2, v6
	s_and_saveexec_b64 s[0:1], vcc
	s_cbranch_execz .LBB667_34
; %bb.33:
	global_load_ubyte v4, v0, s[46:47] offset:1024
	global_load_ubyte v6, v0, s[48:49] offset:1024
	s_waitcnt vmcnt(0)
	v_cmp_ne_u16_e32 vcc, v4, v6
	v_cndmask_b32_e64 v4, 0, 1, vcc
.LBB667_34:
	;; [unrolled: 26-line block ×7, first 2 shown]
	s_or_b64 exec, exec, s[0:1]
	v_or_b32_e32 v16, 0xf00, v0
	v_cmp_gt_u32_e32 vcc, s2, v16
	v_mov_b32_e32 v16, 0
	v_mov_b32_e32 v17, 0
	s_and_saveexec_b64 s[0:1], vcc
	s_cbranch_execz .LBB667_56
; %bb.55:
	global_load_ubyte v17, v0, s[46:47] offset:3840
	global_load_ubyte v18, v0, s[48:49] offset:3840
	s_waitcnt vmcnt(0)
	v_cmp_ne_u16_e32 vcc, v17, v18
	v_cndmask_b32_e64 v17, 0, 1, vcc
.LBB667_56:
	s_or_b64 exec, exec, s[0:1]
	v_or_b32_e32 v18, 0x1000, v0
	v_cmp_gt_u32_e32 vcc, s2, v18
	s_and_saveexec_b64 s[0:1], vcc
	s_cbranch_execz .LBB667_58
; %bb.57:
	global_load_ubyte v16, v18, s[46:47]
	global_load_ubyte v19, v18, s[48:49]
	s_waitcnt vmcnt(0)
	v_cmp_ne_u16_e32 vcc, v16, v19
	v_cndmask_b32_e64 v16, 0, 1, vcc
.LBB667_58:
	s_or_b64 exec, exec, s[0:1]
	v_or_b32_e32 v20, 0x1100, v0
	v_cmp_gt_u32_e32 vcc, s2, v20
	v_mov_b32_e32 v18, 0
	v_mov_b32_e32 v19, 0
	s_and_saveexec_b64 s[0:1], vcc
	s_cbranch_execz .LBB667_60
; %bb.59:
	global_load_ubyte v19, v20, s[46:47]
	global_load_ubyte v21, v20, s[48:49]
	s_waitcnt vmcnt(0)
	v_cmp_ne_u16_e32 vcc, v19, v21
	v_cndmask_b32_e64 v19, 0, 1, vcc
.LBB667_60:
	s_or_b64 exec, exec, s[0:1]
	v_or_b32_e32 v20, 0x1200, v0
	v_cmp_gt_u32_e32 vcc, s2, v20
	s_and_saveexec_b64 s[0:1], vcc
	s_cbranch_execz .LBB667_62
; %bb.61:
	global_load_ubyte v18, v20, s[46:47]
	global_load_ubyte v21, v20, s[48:49]
	s_waitcnt vmcnt(0)
	v_cmp_ne_u16_e32 vcc, v18, v21
	v_cndmask_b32_e64 v18, 0, 1, vcc
.LBB667_62:
	s_or_b64 exec, exec, s[0:1]
	v_or_b32_e32 v22, 0x1300, v0
	v_cmp_gt_u32_e32 vcc, s2, v22
	v_mov_b32_e32 v20, 0
	v_mov_b32_e32 v21, 0
	s_and_saveexec_b64 s[0:1], vcc
	s_cbranch_execz .LBB667_64
; %bb.63:
	global_load_ubyte v21, v22, s[46:47]
	global_load_ubyte v23, v22, s[48:49]
	s_waitcnt vmcnt(0)
	v_cmp_ne_u16_e32 vcc, v21, v23
	v_cndmask_b32_e64 v21, 0, 1, vcc
.LBB667_64:
	;; [unrolled: 26-line block ×7, first 2 shown]
	s_or_b64 exec, exec, s[0:1]
	v_or_b32_e32 v32, 0x1e00, v0
	v_cmp_gt_u32_e32 vcc, s2, v32
	s_and_saveexec_b64 s[0:1], vcc
	s_cbranch_execz .LBB667_86
; %bb.85:
	global_load_ubyte v30, v32, s[46:47]
	global_load_ubyte v33, v32, s[48:49]
	s_waitcnt vmcnt(0)
	v_cmp_ne_u16_e32 vcc, v30, v33
	v_cndmask_b32_e64 v30, 0, 1, vcc
.LBB667_86:
	s_or_b64 exec, exec, s[0:1]
	v_or_b32_e32 v33, 0x1f00, v0
	v_cmp_gt_u32_e32 vcc, s2, v33
	v_mov_b32_e32 v32, 0
	s_and_saveexec_b64 s[0:1], vcc
	s_cbranch_execz .LBB667_88
; %bb.87:
	global_load_ubyte v32, v33, s[46:47]
	global_load_ubyte v34, v33, s[48:49]
	s_waitcnt vmcnt(0)
	v_cmp_ne_u16_e32 vcc, v32, v34
	v_cndmask_b32_e64 v32, 0, 1, vcc
.LBB667_88:
	s_or_b64 exec, exec, s[0:1]
	v_add_u32_e32 v1, v3, v1
	v_add3_u32 v1, v1, v2, v5
	v_add3_u32 v1, v1, v4, v7
	;; [unrolled: 1-line block ×10, first 2 shown]
	v_mbcnt_lo_u32_b32 v2, -1, 0
	v_add3_u32 v1, v1, v22, v25
	v_mbcnt_hi_u32_b32 v2, -1, v2
	v_add3_u32 v1, v1, v24, v27
	v_and_b32_e32 v4, 63, v2
	v_add3_u32 v1, v1, v26, v29
	v_cmp_ne_u32_e32 vcc, 63, v4
	v_add3_u32 v1, v1, v28, v31
	v_addc_co_u32_e32 v3, vcc, 0, v2, vcc
	v_add3_u32 v1, v1, v30, v32
	v_lshlrev_b32_e32 v3, 2, v3
	ds_bpermute_b32 v3, v3, v1
	s_min_u32 s2, s2, 0x100
	v_and_b32_e32 v5, 0xc0, v0
	v_sub_u32_e64 v5, s2, v5 clamp
	v_add_u32_e32 v6, 1, v4
	v_cmp_lt_u32_e32 vcc, v6, v5
	s_waitcnt lgkmcnt(0)
	v_cndmask_b32_e32 v3, 0, v3, vcc
	v_cmp_gt_u32_e32 vcc, 62, v4
	v_add_u32_e32 v1, v3, v1
	v_cndmask_b32_e64 v3, 0, 2, vcc
	v_add_lshl_u32 v3, v3, v2, 2
	ds_bpermute_b32 v3, v3, v1
	v_add_u32_e32 v6, 2, v4
	v_cmp_lt_u32_e32 vcc, v6, v5
	v_add_u32_e32 v6, 4, v4
	s_waitcnt lgkmcnt(0)
	v_cndmask_b32_e32 v3, 0, v3, vcc
	v_cmp_gt_u32_e32 vcc, 60, v4
	v_add_u32_e32 v1, v1, v3
	v_cndmask_b32_e64 v3, 0, 4, vcc
	v_add_lshl_u32 v3, v3, v2, 2
	ds_bpermute_b32 v3, v3, v1
	v_cmp_lt_u32_e32 vcc, v6, v5
	v_add_u32_e32 v6, 8, v4
	s_waitcnt lgkmcnt(0)
	v_cndmask_b32_e32 v3, 0, v3, vcc
	v_cmp_gt_u32_e32 vcc, 56, v4
	v_add_u32_e32 v1, v1, v3
	v_cndmask_b32_e64 v3, 0, 8, vcc
	v_add_lshl_u32 v3, v3, v2, 2
	ds_bpermute_b32 v3, v3, v1
	;; [unrolled: 9-line block ×3, first 2 shown]
	v_cmp_lt_u32_e32 vcc, v6, v5
	v_add_u32_e32 v4, 32, v4
	s_waitcnt lgkmcnt(0)
	v_cndmask_b32_e32 v3, 0, v3, vcc
	v_add_u32_e32 v1, v1, v3
	v_lshlrev_b32_e32 v3, 2, v2
	v_or_b32_e32 v6, 0x80, v3
	ds_bpermute_b32 v6, v6, v1
	v_cmp_lt_u32_e32 vcc, v4, v5
	s_waitcnt lgkmcnt(0)
	v_cndmask_b32_e32 v4, 0, v6, vcc
	v_add_u32_e32 v1, v1, v4
	v_cmp_eq_u32_e32 vcc, 0, v2
	s_and_saveexec_b64 s[0:1], vcc
; %bb.89:
	v_lshrrev_b32_e32 v4, 4, v0
	v_and_b32_e32 v4, 12, v4
	ds_write_b32 v4, v1 offset:96
; %bb.90:
	s_or_b64 exec, exec, s[0:1]
	v_cmp_gt_u32_e32 vcc, 4, v0
	s_waitcnt lgkmcnt(0)
	s_barrier
	s_and_saveexec_b64 s[0:1], vcc
	s_cbranch_execz .LBB667_92
; %bb.91:
	ds_read_b32 v1, v3 offset:96
	v_and_b32_e32 v4, 3, v2
	v_cmp_ne_u32_e32 vcc, 3, v4
	v_addc_co_u32_e32 v2, vcc, 0, v2, vcc
	v_lshlrev_b32_e32 v2, 2, v2
	s_waitcnt lgkmcnt(0)
	ds_bpermute_b32 v2, v2, v1
	s_add_i32 s2, s2, 63
	s_lshr_b32 s2, s2, 6
	v_add_u32_e32 v5, 1, v4
	v_cmp_gt_u32_e32 vcc, s2, v5
	s_waitcnt lgkmcnt(0)
	v_cndmask_b32_e32 v2, 0, v2, vcc
	v_add_u32_e32 v1, v2, v1
	v_or_b32_e32 v2, 8, v3
	ds_bpermute_b32 v2, v2, v1
	v_add_u32_e32 v3, 2, v4
	v_cmp_gt_u32_e32 vcc, s2, v3
	s_waitcnt lgkmcnt(0)
	v_cndmask_b32_e32 v2, 0, v2, vcc
	v_add_u32_e32 v1, v1, v2
.LBB667_92:
	s_or_b64 exec, exec, s[0:1]
	v_cmp_eq_u32_e64 s[0:1], 0, v0
	s_and_b64 vcc, exec, s[44:45]
	s_cbranch_vccnz .LBB667_15
.LBB667_93:
	s_branch .LBB667_142
.LBB667_94:
	s_mov_b64 s[0:1], -1
                                        ; implicit-def: $vgpr1
.LBB667_95:
	s_and_b64 vcc, exec, s[0:1]
	s_cbranch_vccz .LBB667_133
; %bb.96:
	s_sub_i32 s48, s36, s2
	v_mov_b32_e32 v1, 0
	v_cmp_gt_u32_e32 vcc, s48, v0
	v_mov_b32_e32 v2, v1
	v_mov_b32_e32 v3, v1
	;; [unrolled: 1-line block ×15, first 2 shown]
	s_and_saveexec_b64 s[0:1], vcc
	s_cbranch_execz .LBB667_98
; %bb.97:
	v_mov_b32_e32 v2, v1
	v_mov_b32_e32 v3, v1
	;; [unrolled: 1-line block ×15, first 2 shown]
	global_load_ubyte v1, v0, s[34:35]
	global_load_ubyte v17, v0, s[44:45]
	s_waitcnt vmcnt(0)
	v_cmp_ne_u16_e32 vcc, v1, v17
	v_cndmask_b32_e64 v1, 0, 1, vcc
	v_and_b32_e32 v1, 0xffff, v1
.LBB667_98:
	s_or_b64 exec, exec, s[0:1]
	v_or_b32_e32 v17, 0x100, v0
	v_cmp_gt_u32_e32 vcc, s48, v17
	s_and_saveexec_b64 s[2:3], vcc
	s_cbranch_execz .LBB667_100
; %bb.99:
	global_load_ubyte v2, v0, s[34:35] offset:256
	global_load_ubyte v17, v0, s[44:45] offset:256
	s_waitcnt vmcnt(0)
	v_cmp_ne_u16_e64 s[0:1], v2, v17
	v_cndmask_b32_e64 v2, 0, 1, s[0:1]
.LBB667_100:
	s_or_b64 exec, exec, s[2:3]
	v_or_b32_e32 v17, 0x200, v0
	v_cmp_gt_u32_e64 s[0:1], s48, v17
	s_and_saveexec_b64 s[8:9], s[0:1]
	s_cbranch_execz .LBB667_102
; %bb.101:
	global_load_ubyte v3, v0, s[34:35] offset:512
	global_load_ubyte v17, v0, s[44:45] offset:512
	s_waitcnt vmcnt(0)
	v_cmp_ne_u16_e64 s[2:3], v3, v17
	v_cndmask_b32_e64 v3, 0, 1, s[2:3]
.LBB667_102:
	s_or_b64 exec, exec, s[8:9]
	v_or_b32_e32 v17, 0x300, v0
	v_cmp_gt_u32_e64 s[2:3], s48, v17
	s_and_saveexec_b64 s[10:11], s[2:3]
	;; [unrolled: 12-line block ×14, first 2 shown]
	s_cbranch_execz .LBB667_128
; %bb.127:
	global_load_ubyte v16, v0, s[34:35] offset:3840
	global_load_ubyte v17, v0, s[44:45] offset:3840
	s_waitcnt vmcnt(0)
	v_cmp_ne_u16_e64 s[34:35], v16, v17
	v_cndmask_b32_e64 v16, 0, 1, s[34:35]
.LBB667_128:
	s_or_b64 exec, exec, s[46:47]
	v_cndmask_b32_e32 v2, 0, v2, vcc
	v_add_u32_e32 v1, v2, v1
	v_cndmask_b32_e64 v2, 0, v3, s[0:1]
	v_cndmask_b32_e64 v3, 0, v4, s[2:3]
	v_add3_u32 v1, v1, v2, v3
	v_cndmask_b32_e64 v2, 0, v5, s[8:9]
	v_cndmask_b32_e64 v3, 0, v6, s[10:11]
	v_add3_u32 v1, v1, v2, v3
	;; [unrolled: 3-line block ×7, first 2 shown]
	v_mbcnt_lo_u32_b32 v2, -1, 0
	v_mbcnt_hi_u32_b32 v2, -1, v2
	v_and_b32_e32 v4, 63, v2
	v_cmp_ne_u32_e32 vcc, 63, v4
	v_addc_co_u32_e32 v3, vcc, 0, v2, vcc
	v_lshlrev_b32_e32 v3, 2, v3
	ds_bpermute_b32 v3, v3, v1
	s_min_u32 s2, s48, 0x100
	v_and_b32_e32 v5, 0xc0, v0
	v_sub_u32_e64 v5, s2, v5 clamp
	v_add_u32_e32 v6, 1, v4
	v_cmp_lt_u32_e32 vcc, v6, v5
	s_waitcnt lgkmcnt(0)
	v_cndmask_b32_e32 v3, 0, v3, vcc
	v_cmp_gt_u32_e32 vcc, 62, v4
	v_add_u32_e32 v1, v1, v3
	v_cndmask_b32_e64 v3, 0, 2, vcc
	v_add_lshl_u32 v3, v3, v2, 2
	ds_bpermute_b32 v3, v3, v1
	v_add_u32_e32 v6, 2, v4
	v_cmp_lt_u32_e32 vcc, v6, v5
	v_add_u32_e32 v6, 4, v4
	s_waitcnt lgkmcnt(0)
	v_cndmask_b32_e32 v3, 0, v3, vcc
	v_cmp_gt_u32_e32 vcc, 60, v4
	v_add_u32_e32 v1, v1, v3
	v_cndmask_b32_e64 v3, 0, 4, vcc
	v_add_lshl_u32 v3, v3, v2, 2
	ds_bpermute_b32 v3, v3, v1
	v_cmp_lt_u32_e32 vcc, v6, v5
	v_add_u32_e32 v6, 8, v4
	s_waitcnt lgkmcnt(0)
	v_cndmask_b32_e32 v3, 0, v3, vcc
	v_cmp_gt_u32_e32 vcc, 56, v4
	v_add_u32_e32 v1, v1, v3
	v_cndmask_b32_e64 v3, 0, 8, vcc
	v_add_lshl_u32 v3, v3, v2, 2
	ds_bpermute_b32 v3, v3, v1
	;; [unrolled: 9-line block ×3, first 2 shown]
	v_cmp_lt_u32_e32 vcc, v6, v5
	v_add_u32_e32 v4, 32, v4
	s_waitcnt lgkmcnt(0)
	v_cndmask_b32_e32 v3, 0, v3, vcc
	v_add_u32_e32 v1, v1, v3
	v_lshlrev_b32_e32 v3, 2, v2
	v_or_b32_e32 v6, 0x80, v3
	ds_bpermute_b32 v6, v6, v1
	v_cmp_lt_u32_e32 vcc, v4, v5
	s_waitcnt lgkmcnt(0)
	v_cndmask_b32_e32 v4, 0, v6, vcc
	v_add_u32_e32 v1, v1, v4
	v_cmp_eq_u32_e32 vcc, 0, v2
	s_and_saveexec_b64 s[0:1], vcc
; %bb.129:
	v_lshrrev_b32_e32 v4, 4, v0
	v_and_b32_e32 v4, 12, v4
	ds_write_b32 v4, v1 offset:96
; %bb.130:
	s_or_b64 exec, exec, s[0:1]
	v_cmp_gt_u32_e32 vcc, 4, v0
	s_waitcnt lgkmcnt(0)
	s_barrier
	s_and_saveexec_b64 s[0:1], vcc
	s_cbranch_execz .LBB667_132
; %bb.131:
	ds_read_b32 v1, v3 offset:96
	v_and_b32_e32 v4, 3, v2
	v_cmp_ne_u32_e32 vcc, 3, v4
	v_addc_co_u32_e32 v2, vcc, 0, v2, vcc
	v_lshlrev_b32_e32 v2, 2, v2
	s_waitcnt lgkmcnt(0)
	ds_bpermute_b32 v2, v2, v1
	s_add_i32 s2, s2, 63
	s_lshr_b32 s2, s2, 6
	v_add_u32_e32 v5, 1, v4
	v_cmp_gt_u32_e32 vcc, s2, v5
	s_waitcnt lgkmcnt(0)
	v_cndmask_b32_e32 v2, 0, v2, vcc
	v_add_u32_e32 v1, v2, v1
	v_or_b32_e32 v2, 8, v3
	ds_bpermute_b32 v2, v2, v1
	v_add_u32_e32 v3, 2, v4
	v_cmp_gt_u32_e32 vcc, s2, v3
	s_waitcnt lgkmcnt(0)
	v_cndmask_b32_e32 v2, 0, v2, vcc
	v_add_u32_e32 v1, v1, v2
.LBB667_132:
	s_or_b64 exec, exec, s[0:1]
.LBB667_133:
	v_cmp_eq_u32_e64 s[0:1], 0, v0
	s_branch .LBB667_142
.LBB667_134:
	s_cmp_eq_u32 s33, 8
	s_cbranch_scc0 .LBB667_141
; %bb.135:
	s_lshl_b32 s2, s6, 11
	s_lshr_b64 s[0:1], s[36:37], 11
	s_add_u32 s16, s40, s2
	s_addc_u32 s17, s41, 0
	s_add_u32 s18, s42, s2
	s_mov_b32 s7, 0
	s_addc_u32 s19, s43, 0
	s_cmp_lg_u64 s[0:1], s[6:7]
	s_cbranch_scc0 .LBB667_143
; %bb.136:
	global_load_ubyte v1, v0, s[18:19]
	global_load_ubyte v4, v0, s[16:17]
	global_load_ubyte v5, v0, s[16:17] offset:512
	global_load_ubyte v6, v0, s[18:19] offset:512
	;; [unrolled: 1-line block ×14, first 2 shown]
	v_mbcnt_lo_u32_b32 v2, -1, 0
	v_mbcnt_hi_u32_b32 v2, -1, v2
	v_lshlrev_b32_e32 v3, 2, v2
	s_waitcnt vmcnt(14)
	v_cmp_ne_u16_e32 vcc, v4, v1
	v_cndmask_b32_e64 v1, 0, 1, vcc
	s_waitcnt vmcnt(12)
	v_cmp_ne_u16_e32 vcc, v5, v6
	v_cndmask_b32_e64 v4, 0, 1, vcc
	;; [unrolled: 3-line block ×4, first 2 shown]
	s_waitcnt vmcnt(6)
	v_cmp_ne_u16_e32 vcc, v12, v11
	v_addc_co_u32_e32 v1, vcc, 0, v1, vcc
	s_waitcnt vmcnt(4)
	v_cmp_ne_u16_e32 vcc, v13, v14
	v_addc_co_u32_e32 v1, vcc, v1, v4, vcc
	;; [unrolled: 3-line block ×4, first 2 shown]
	v_or_b32_e32 v4, 0xfc, v3
	s_nop 0
	v_add_u32_dpp v1, v1, v1 quad_perm:[1,0,3,2] row_mask:0xf bank_mask:0xf bound_ctrl:1
	v_cmp_eq_u32_e32 vcc, 0, v2
	s_nop 0
	v_add_u32_dpp v1, v1, v1 quad_perm:[2,3,0,1] row_mask:0xf bank_mask:0xf bound_ctrl:1
	s_nop 1
	v_add_u32_dpp v1, v1, v1 row_ror:4 row_mask:0xf bank_mask:0xf bound_ctrl:1
	s_nop 1
	v_add_u32_dpp v1, v1, v1 row_ror:8 row_mask:0xf bank_mask:0xf bound_ctrl:1
	s_nop 1
	v_add_u32_dpp v1, v1, v1 row_bcast:15 row_mask:0xf bank_mask:0xf bound_ctrl:1
	s_nop 1
	v_add_u32_dpp v1, v1, v1 row_bcast:31 row_mask:0xf bank_mask:0xf bound_ctrl:1
	ds_bpermute_b32 v1, v4, v1
	s_and_saveexec_b64 s[0:1], vcc
	s_cbranch_execz .LBB667_138
; %bb.137:
	v_lshrrev_b32_e32 v4, 4, v0
	v_and_b32_e32 v4, 12, v4
	s_waitcnt lgkmcnt(0)
	ds_write_b32 v4, v1 offset:80
.LBB667_138:
	s_or_b64 exec, exec, s[0:1]
	v_cmp_gt_u32_e32 vcc, 64, v0
	s_waitcnt lgkmcnt(0)
	s_barrier
	s_and_saveexec_b64 s[0:1], vcc
	s_cbranch_execz .LBB667_140
; %bb.139:
	v_and_b32_e32 v1, 3, v2
	v_lshlrev_b32_e32 v4, 2, v1
	ds_read_b32 v4, v4 offset:80
	v_cmp_ne_u32_e32 vcc, 3, v1
	v_addc_co_u32_e32 v1, vcc, 0, v2, vcc
	v_lshlrev_b32_e32 v1, 2, v1
	s_waitcnt lgkmcnt(0)
	ds_bpermute_b32 v1, v1, v4
	v_or_b32_e32 v2, 8, v3
	s_waitcnt lgkmcnt(0)
	v_add_u32_e32 v1, v1, v4
	ds_bpermute_b32 v2, v2, v1
	s_waitcnt lgkmcnt(0)
	v_add_u32_e32 v1, v2, v1
.LBB667_140:
	s_or_b64 exec, exec, s[0:1]
	s_branch .LBB667_165
.LBB667_141:
                                        ; implicit-def: $vgpr1
.LBB667_142:
	s_branch .LBB667_224
.LBB667_143:
                                        ; implicit-def: $vgpr1
	s_cbranch_execz .LBB667_165
; %bb.144:
	s_sub_i32 s22, s36, s2
	v_mov_b32_e32 v1, 0
	v_cmp_gt_u32_e32 vcc, s22, v0
	v_mov_b32_e32 v2, v1
	v_mov_b32_e32 v3, v1
	;; [unrolled: 1-line block ×7, first 2 shown]
	s_and_saveexec_b64 s[0:1], vcc
	s_cbranch_execz .LBB667_146
; %bb.145:
	global_load_ubyte v2, v0, s[16:17]
	global_load_ubyte v9, v0, s[18:19]
	v_mov_b32_e32 v3, v1
	v_mov_b32_e32 v4, v1
	;; [unrolled: 1-line block ×6, first 2 shown]
	s_waitcnt vmcnt(0)
	v_cmp_ne_u16_e32 vcc, v2, v9
	v_cndmask_b32_e64 v2, 0, 1, vcc
	v_and_b32_e32 v2, 0xffff, v2
	v_mov_b32_e32 v9, v1
	v_mov_b32_e32 v1, v2
	;; [unrolled: 1-line block ×9, first 2 shown]
.LBB667_146:
	s_or_b64 exec, exec, s[0:1]
	v_or_b32_e32 v9, 0x100, v0
	v_cmp_gt_u32_e32 vcc, s22, v9
	s_and_saveexec_b64 s[2:3], vcc
	s_cbranch_execz .LBB667_148
; %bb.147:
	global_load_ubyte v2, v0, s[16:17] offset:256
	global_load_ubyte v9, v0, s[18:19] offset:256
	s_waitcnt vmcnt(0)
	v_cmp_ne_u16_e64 s[0:1], v2, v9
	v_cndmask_b32_e64 v2, 0, 1, s[0:1]
.LBB667_148:
	s_or_b64 exec, exec, s[2:3]
	v_or_b32_e32 v9, 0x200, v0
	v_cmp_gt_u32_e64 s[0:1], s22, v9
	s_and_saveexec_b64 s[8:9], s[0:1]
	s_cbranch_execz .LBB667_150
; %bb.149:
	global_load_ubyte v3, v0, s[16:17] offset:512
	global_load_ubyte v9, v0, s[18:19] offset:512
	s_waitcnt vmcnt(0)
	v_cmp_ne_u16_e64 s[2:3], v3, v9
	v_cndmask_b32_e64 v3, 0, 1, s[2:3]
.LBB667_150:
	s_or_b64 exec, exec, s[8:9]
	v_or_b32_e32 v9, 0x300, v0
	v_cmp_gt_u32_e64 s[2:3], s22, v9
	s_and_saveexec_b64 s[10:11], s[2:3]
	;; [unrolled: 12-line block ×6, first 2 shown]
	s_cbranch_execz .LBB667_160
; %bb.159:
	global_load_ubyte v8, v0, s[16:17] offset:1792
	global_load_ubyte v9, v0, s[18:19] offset:1792
	s_waitcnt vmcnt(0)
	v_cmp_ne_u16_e64 s[16:17], v8, v9
	v_cndmask_b32_e64 v8, 0, 1, s[16:17]
.LBB667_160:
	s_or_b64 exec, exec, s[20:21]
	v_cndmask_b32_e32 v2, 0, v2, vcc
	v_add_u32_e32 v1, v2, v1
	v_cndmask_b32_e64 v2, 0, v3, s[0:1]
	v_cndmask_b32_e64 v3, 0, v4, s[2:3]
	v_add3_u32 v1, v1, v2, v3
	v_cndmask_b32_e64 v2, 0, v5, s[8:9]
	v_cndmask_b32_e64 v3, 0, v6, s[10:11]
	v_add3_u32 v1, v1, v2, v3
	;; [unrolled: 3-line block ×3, first 2 shown]
	v_mbcnt_lo_u32_b32 v2, -1, 0
	v_mbcnt_hi_u32_b32 v2, -1, v2
	v_and_b32_e32 v4, 63, v2
	v_cmp_ne_u32_e32 vcc, 63, v4
	v_addc_co_u32_e32 v3, vcc, 0, v2, vcc
	v_lshlrev_b32_e32 v3, 2, v3
	ds_bpermute_b32 v3, v3, v1
	s_min_u32 s2, s22, 0x100
	v_and_b32_e32 v5, 0xc0, v0
	v_sub_u32_e64 v5, s2, v5 clamp
	v_add_u32_e32 v6, 1, v4
	v_cmp_lt_u32_e32 vcc, v6, v5
	s_waitcnt lgkmcnt(0)
	v_cndmask_b32_e32 v3, 0, v3, vcc
	v_cmp_gt_u32_e32 vcc, 62, v4
	v_add_u32_e32 v1, v1, v3
	v_cndmask_b32_e64 v3, 0, 2, vcc
	v_add_lshl_u32 v3, v3, v2, 2
	ds_bpermute_b32 v3, v3, v1
	v_add_u32_e32 v6, 2, v4
	v_cmp_lt_u32_e32 vcc, v6, v5
	v_add_u32_e32 v6, 4, v4
	s_waitcnt lgkmcnt(0)
	v_cndmask_b32_e32 v3, 0, v3, vcc
	v_cmp_gt_u32_e32 vcc, 60, v4
	v_add_u32_e32 v1, v1, v3
	v_cndmask_b32_e64 v3, 0, 4, vcc
	v_add_lshl_u32 v3, v3, v2, 2
	ds_bpermute_b32 v3, v3, v1
	v_cmp_lt_u32_e32 vcc, v6, v5
	v_add_u32_e32 v6, 8, v4
	s_waitcnt lgkmcnt(0)
	v_cndmask_b32_e32 v3, 0, v3, vcc
	v_cmp_gt_u32_e32 vcc, 56, v4
	v_add_u32_e32 v1, v1, v3
	v_cndmask_b32_e64 v3, 0, 8, vcc
	v_add_lshl_u32 v3, v3, v2, 2
	ds_bpermute_b32 v3, v3, v1
	;; [unrolled: 9-line block ×3, first 2 shown]
	v_cmp_lt_u32_e32 vcc, v6, v5
	v_add_u32_e32 v4, 32, v4
	s_waitcnt lgkmcnt(0)
	v_cndmask_b32_e32 v3, 0, v3, vcc
	v_add_u32_e32 v1, v1, v3
	v_lshlrev_b32_e32 v3, 2, v2
	v_or_b32_e32 v6, 0x80, v3
	ds_bpermute_b32 v6, v6, v1
	v_cmp_lt_u32_e32 vcc, v4, v5
	s_waitcnt lgkmcnt(0)
	v_cndmask_b32_e32 v4, 0, v6, vcc
	v_add_u32_e32 v1, v1, v4
	v_cmp_eq_u32_e32 vcc, 0, v2
	s_and_saveexec_b64 s[0:1], vcc
; %bb.161:
	v_lshrrev_b32_e32 v4, 4, v0
	v_and_b32_e32 v4, 12, v4
	ds_write_b32 v4, v1 offset:96
; %bb.162:
	s_or_b64 exec, exec, s[0:1]
	v_cmp_gt_u32_e32 vcc, 4, v0
	s_waitcnt lgkmcnt(0)
	s_barrier
	s_and_saveexec_b64 s[0:1], vcc
	s_cbranch_execz .LBB667_164
; %bb.163:
	ds_read_b32 v1, v3 offset:96
	v_and_b32_e32 v4, 3, v2
	v_cmp_ne_u32_e32 vcc, 3, v4
	v_addc_co_u32_e32 v2, vcc, 0, v2, vcc
	v_lshlrev_b32_e32 v2, 2, v2
	s_waitcnt lgkmcnt(0)
	ds_bpermute_b32 v2, v2, v1
	s_add_i32 s2, s2, 63
	s_lshr_b32 s2, s2, 6
	v_add_u32_e32 v5, 1, v4
	v_cmp_gt_u32_e32 vcc, s2, v5
	s_waitcnt lgkmcnt(0)
	v_cndmask_b32_e32 v2, 0, v2, vcc
	v_add_u32_e32 v1, v2, v1
	v_or_b32_e32 v2, 8, v3
	ds_bpermute_b32 v2, v2, v1
	v_add_u32_e32 v3, 2, v4
	v_cmp_gt_u32_e32 vcc, s2, v3
	s_waitcnt lgkmcnt(0)
	v_cndmask_b32_e32 v2, 0, v2, vcc
	v_add_u32_e32 v1, v1, v2
.LBB667_164:
	s_or_b64 exec, exec, s[0:1]
.LBB667_165:
	v_cmp_eq_u32_e64 s[0:1], 0, v0
	s_branch .LBB667_224
.LBB667_166:
	s_cmp_gt_i32 s33, 1
	s_cbranch_scc0 .LBB667_175
; %bb.167:
	s_cmp_gt_i32 s33, 3
	s_cbranch_scc0 .LBB667_176
; %bb.168:
	s_cmp_eq_u32 s33, 4
	s_cbranch_scc0 .LBB667_177
; %bb.169:
	s_lshl_b32 s2, s6, 10
	s_lshr_b64 s[0:1], s[36:37], 10
	s_add_u32 s8, s40, s2
	s_addc_u32 s9, s41, 0
	s_add_u32 s10, s42, s2
	s_mov_b32 s7, 0
	s_addc_u32 s11, s43, 0
	s_cmp_lg_u64 s[0:1], s[6:7]
	s_cbranch_scc0 .LBB667_179
; %bb.170:
	global_load_ubyte v1, v0, s[8:9]
	global_load_ubyte v4, v0, s[10:11]
	global_load_ubyte v5, v0, s[8:9] offset:512
	global_load_ubyte v6, v0, s[10:11] offset:512
	;; [unrolled: 1-line block ×6, first 2 shown]
	v_mbcnt_lo_u32_b32 v2, -1, 0
	v_mbcnt_hi_u32_b32 v2, -1, v2
	v_lshlrev_b32_e32 v3, 2, v2
	s_waitcnt vmcnt(6)
	v_cmp_ne_u16_e32 vcc, v1, v4
	v_cndmask_b32_e64 v1, 0, 1, vcc
	s_waitcnt vmcnt(4)
	v_cmp_ne_u16_e32 vcc, v5, v6
	v_cndmask_b32_e64 v4, 0, 1, vcc
	s_waitcnt vmcnt(2)
	v_cmp_ne_u16_e32 vcc, v7, v8
	v_addc_co_u32_e32 v1, vcc, 0, v1, vcc
	s_waitcnt vmcnt(0)
	v_cmp_ne_u16_e32 vcc, v10, v9
	v_addc_co_u32_e32 v1, vcc, v1, v4, vcc
	v_or_b32_e32 v4, 0xfc, v3
	s_nop 0
	v_add_u32_dpp v1, v1, v1 quad_perm:[1,0,3,2] row_mask:0xf bank_mask:0xf bound_ctrl:1
	v_cmp_eq_u32_e32 vcc, 0, v2
	s_nop 0
	v_add_u32_dpp v1, v1, v1 quad_perm:[2,3,0,1] row_mask:0xf bank_mask:0xf bound_ctrl:1
	s_nop 1
	v_add_u32_dpp v1, v1, v1 row_ror:4 row_mask:0xf bank_mask:0xf bound_ctrl:1
	s_nop 1
	v_add_u32_dpp v1, v1, v1 row_ror:8 row_mask:0xf bank_mask:0xf bound_ctrl:1
	s_nop 1
	v_add_u32_dpp v1, v1, v1 row_bcast:15 row_mask:0xf bank_mask:0xf bound_ctrl:1
	s_nop 1
	v_add_u32_dpp v1, v1, v1 row_bcast:31 row_mask:0xf bank_mask:0xf bound_ctrl:1
	ds_bpermute_b32 v1, v4, v1
	s_and_saveexec_b64 s[0:1], vcc
	s_cbranch_execz .LBB667_172
; %bb.171:
	v_lshrrev_b32_e32 v4, 4, v0
	v_and_b32_e32 v4, 12, v4
	s_waitcnt lgkmcnt(0)
	ds_write_b32 v4, v1 offset:64
.LBB667_172:
	s_or_b64 exec, exec, s[0:1]
	v_cmp_gt_u32_e32 vcc, 64, v0
	s_waitcnt lgkmcnt(0)
	s_barrier
	s_and_saveexec_b64 s[0:1], vcc
	s_cbranch_execz .LBB667_174
; %bb.173:
	v_and_b32_e32 v1, 3, v2
	v_lshlrev_b32_e32 v4, 2, v1
	ds_read_b32 v4, v4 offset:64
	v_cmp_ne_u32_e32 vcc, 3, v1
	v_addc_co_u32_e32 v1, vcc, 0, v2, vcc
	v_lshlrev_b32_e32 v1, 2, v1
	s_waitcnt lgkmcnt(0)
	ds_bpermute_b32 v1, v1, v4
	v_or_b32_e32 v2, 8, v3
	s_waitcnt lgkmcnt(0)
	v_add_u32_e32 v1, v1, v4
	ds_bpermute_b32 v2, v2, v1
	s_waitcnt lgkmcnt(0)
	v_add_u32_e32 v1, v2, v1
.LBB667_174:
	s_or_b64 exec, exec, s[0:1]
	s_mov_b64 s[0:1], 0
	s_branch .LBB667_180
.LBB667_175:
                                        ; implicit-def: $vgpr1
	s_cbranch_execnz .LBB667_215
	s_branch .LBB667_224
.LBB667_176:
                                        ; implicit-def: $vgpr1
	s_cbranch_execz .LBB667_178
	s_branch .LBB667_195
.LBB667_177:
                                        ; implicit-def: $vgpr1
.LBB667_178:
	s_branch .LBB667_224
.LBB667_179:
	s_mov_b64 s[0:1], -1
                                        ; implicit-def: $vgpr1
.LBB667_180:
	s_and_b64 vcc, exec, s[0:1]
	s_cbranch_vccz .LBB667_194
; %bb.181:
	s_sub_i32 s14, s36, s2
	v_mov_b32_e32 v1, 0
	v_cmp_gt_u32_e32 vcc, s14, v0
	v_mov_b32_e32 v2, v1
	v_mov_b32_e32 v3, v1
	;; [unrolled: 1-line block ×3, first 2 shown]
	s_and_saveexec_b64 s[0:1], vcc
	s_cbranch_execz .LBB667_183
; %bb.182:
	global_load_ubyte v2, v0, s[8:9]
	global_load_ubyte v5, v0, s[10:11]
	v_mov_b32_e32 v3, v1
	v_mov_b32_e32 v4, v1
	s_waitcnt vmcnt(0)
	v_cmp_ne_u16_e32 vcc, v2, v5
	v_cndmask_b32_e64 v2, 0, 1, vcc
	v_and_b32_e32 v2, 0xffff, v2
	v_mov_b32_e32 v5, v1
	v_mov_b32_e32 v1, v2
	;; [unrolled: 1-line block ×5, first 2 shown]
.LBB667_183:
	s_or_b64 exec, exec, s[0:1]
	v_or_b32_e32 v5, 0x100, v0
	v_cmp_gt_u32_e32 vcc, s14, v5
	s_and_saveexec_b64 s[2:3], vcc
	s_cbranch_execz .LBB667_185
; %bb.184:
	global_load_ubyte v2, v0, s[8:9] offset:256
	global_load_ubyte v5, v0, s[10:11] offset:256
	s_waitcnt vmcnt(0)
	v_cmp_ne_u16_e64 s[0:1], v2, v5
	v_cndmask_b32_e64 v2, 0, 1, s[0:1]
.LBB667_185:
	s_or_b64 exec, exec, s[2:3]
	v_or_b32_e32 v5, 0x200, v0
	v_cmp_gt_u32_e64 s[0:1], s14, v5
	s_and_saveexec_b64 s[12:13], s[0:1]
	s_cbranch_execz .LBB667_187
; %bb.186:
	global_load_ubyte v3, v0, s[8:9] offset:512
	global_load_ubyte v5, v0, s[10:11] offset:512
	s_waitcnt vmcnt(0)
	v_cmp_ne_u16_e64 s[2:3], v3, v5
	v_cndmask_b32_e64 v3, 0, 1, s[2:3]
.LBB667_187:
	s_or_b64 exec, exec, s[12:13]
	v_or_b32_e32 v5, 0x300, v0
	v_cmp_gt_u32_e64 s[2:3], s14, v5
	s_and_saveexec_b64 s[12:13], s[2:3]
	s_cbranch_execz .LBB667_189
; %bb.188:
	global_load_ubyte v4, v0, s[8:9] offset:768
	global_load_ubyte v5, v0, s[10:11] offset:768
	s_waitcnt vmcnt(0)
	v_cmp_ne_u16_e64 s[8:9], v4, v5
	v_cndmask_b32_e64 v4, 0, 1, s[8:9]
.LBB667_189:
	s_or_b64 exec, exec, s[12:13]
	v_cndmask_b32_e32 v2, 0, v2, vcc
	v_add_u32_e32 v1, v2, v1
	v_cndmask_b32_e64 v2, 0, v3, s[0:1]
	v_cndmask_b32_e64 v3, 0, v4, s[2:3]
	v_add3_u32 v1, v1, v2, v3
	v_mbcnt_lo_u32_b32 v2, -1, 0
	v_mbcnt_hi_u32_b32 v2, -1, v2
	v_and_b32_e32 v4, 63, v2
	v_cmp_ne_u32_e32 vcc, 63, v4
	v_addc_co_u32_e32 v3, vcc, 0, v2, vcc
	v_lshlrev_b32_e32 v3, 2, v3
	ds_bpermute_b32 v3, v3, v1
	s_min_u32 s2, s14, 0x100
	v_and_b32_e32 v5, 0xc0, v0
	v_sub_u32_e64 v5, s2, v5 clamp
	v_add_u32_e32 v6, 1, v4
	v_cmp_lt_u32_e32 vcc, v6, v5
	s_waitcnt lgkmcnt(0)
	v_cndmask_b32_e32 v3, 0, v3, vcc
	v_cmp_gt_u32_e32 vcc, 62, v4
	v_add_u32_e32 v1, v3, v1
	v_cndmask_b32_e64 v3, 0, 2, vcc
	v_add_lshl_u32 v3, v3, v2, 2
	ds_bpermute_b32 v3, v3, v1
	v_add_u32_e32 v6, 2, v4
	v_cmp_lt_u32_e32 vcc, v6, v5
	v_add_u32_e32 v6, 4, v4
	s_waitcnt lgkmcnt(0)
	v_cndmask_b32_e32 v3, 0, v3, vcc
	v_cmp_gt_u32_e32 vcc, 60, v4
	v_add_u32_e32 v1, v1, v3
	v_cndmask_b32_e64 v3, 0, 4, vcc
	v_add_lshl_u32 v3, v3, v2, 2
	ds_bpermute_b32 v3, v3, v1
	v_cmp_lt_u32_e32 vcc, v6, v5
	v_add_u32_e32 v6, 8, v4
	s_waitcnt lgkmcnt(0)
	v_cndmask_b32_e32 v3, 0, v3, vcc
	v_cmp_gt_u32_e32 vcc, 56, v4
	v_add_u32_e32 v1, v1, v3
	v_cndmask_b32_e64 v3, 0, 8, vcc
	v_add_lshl_u32 v3, v3, v2, 2
	ds_bpermute_b32 v3, v3, v1
	;; [unrolled: 9-line block ×3, first 2 shown]
	v_cmp_lt_u32_e32 vcc, v6, v5
	v_add_u32_e32 v4, 32, v4
	s_waitcnt lgkmcnt(0)
	v_cndmask_b32_e32 v3, 0, v3, vcc
	v_add_u32_e32 v1, v1, v3
	v_lshlrev_b32_e32 v3, 2, v2
	v_or_b32_e32 v6, 0x80, v3
	ds_bpermute_b32 v6, v6, v1
	v_cmp_lt_u32_e32 vcc, v4, v5
	s_waitcnt lgkmcnt(0)
	v_cndmask_b32_e32 v4, 0, v6, vcc
	v_add_u32_e32 v1, v1, v4
	v_cmp_eq_u32_e32 vcc, 0, v2
	s_and_saveexec_b64 s[0:1], vcc
; %bb.190:
	v_lshrrev_b32_e32 v4, 4, v0
	v_and_b32_e32 v4, 12, v4
	ds_write_b32 v4, v1 offset:96
; %bb.191:
	s_or_b64 exec, exec, s[0:1]
	v_cmp_gt_u32_e32 vcc, 4, v0
	s_waitcnt lgkmcnt(0)
	s_barrier
	s_and_saveexec_b64 s[0:1], vcc
	s_cbranch_execz .LBB667_193
; %bb.192:
	ds_read_b32 v1, v3 offset:96
	v_and_b32_e32 v4, 3, v2
	v_cmp_ne_u32_e32 vcc, 3, v4
	v_addc_co_u32_e32 v2, vcc, 0, v2, vcc
	v_lshlrev_b32_e32 v2, 2, v2
	s_waitcnt lgkmcnt(0)
	ds_bpermute_b32 v2, v2, v1
	s_add_i32 s2, s2, 63
	s_lshr_b32 s2, s2, 6
	v_add_u32_e32 v5, 1, v4
	v_cmp_gt_u32_e32 vcc, s2, v5
	s_waitcnt lgkmcnt(0)
	v_cndmask_b32_e32 v2, 0, v2, vcc
	v_add_u32_e32 v1, v2, v1
	v_or_b32_e32 v2, 8, v3
	ds_bpermute_b32 v2, v2, v1
	v_add_u32_e32 v3, 2, v4
	v_cmp_gt_u32_e32 vcc, s2, v3
	s_waitcnt lgkmcnt(0)
	v_cndmask_b32_e32 v2, 0, v2, vcc
	v_add_u32_e32 v1, v1, v2
.LBB667_193:
	s_or_b64 exec, exec, s[0:1]
.LBB667_194:
	v_cmp_eq_u32_e64 s[0:1], 0, v0
	s_branch .LBB667_178
.LBB667_195:
	s_cmp_eq_u32 s33, 2
	s_cbranch_scc0 .LBB667_202
; %bb.196:
	s_lshl_b32 s10, s6, 9
	s_lshr_b64 s[0:1], s[36:37], 9
	s_add_u32 s2, s40, s10
	s_addc_u32 s3, s41, 0
	s_add_u32 s8, s42, s10
	s_mov_b32 s7, 0
	s_addc_u32 s9, s43, 0
	s_cmp_lg_u64 s[0:1], s[6:7]
	s_cbranch_scc0 .LBB667_203
; %bb.197:
	global_load_ubyte v1, v0, s[2:3]
	global_load_ubyte v4, v0, s[8:9]
	global_load_ubyte v5, v0, s[8:9] offset:256
	global_load_ubyte v6, v0, s[2:3] offset:256
	v_mbcnt_lo_u32_b32 v2, -1, 0
	v_mbcnt_hi_u32_b32 v2, -1, v2
	v_lshlrev_b32_e32 v3, 2, v2
	s_waitcnt vmcnt(2)
	v_cmp_ne_u16_e32 vcc, v1, v4
	v_cndmask_b32_e64 v1, 0, 1, vcc
	s_waitcnt vmcnt(0)
	v_cmp_ne_u16_e32 vcc, v6, v5
	v_addc_co_u32_e64 v4, s[0:1], 0, v1, vcc
	s_nop 1
	v_mov_b32_dpp v4, v4 quad_perm:[1,0,3,2] row_mask:0xf bank_mask:0xf bound_ctrl:1
	v_addc_co_u32_e32 v1, vcc, v4, v1, vcc
	v_or_b32_e32 v4, 0xfc, v3
	s_nop 0
	v_add_u32_dpp v1, v1, v1 quad_perm:[2,3,0,1] row_mask:0xf bank_mask:0xf bound_ctrl:1
	v_cmp_eq_u32_e32 vcc, 0, v2
	s_nop 0
	v_add_u32_dpp v1, v1, v1 row_ror:4 row_mask:0xf bank_mask:0xf bound_ctrl:1
	s_nop 1
	v_add_u32_dpp v1, v1, v1 row_ror:8 row_mask:0xf bank_mask:0xf bound_ctrl:1
	s_nop 1
	v_add_u32_dpp v1, v1, v1 row_bcast:15 row_mask:0xf bank_mask:0xf bound_ctrl:1
	s_nop 1
	v_add_u32_dpp v1, v1, v1 row_bcast:31 row_mask:0xf bank_mask:0xf bound_ctrl:1
	ds_bpermute_b32 v1, v4, v1
	s_and_saveexec_b64 s[0:1], vcc
	s_cbranch_execz .LBB667_199
; %bb.198:
	v_lshrrev_b32_e32 v4, 4, v0
	v_and_b32_e32 v4, 12, v4
	s_waitcnt lgkmcnt(0)
	ds_write_b32 v4, v1 offset:32
.LBB667_199:
	s_or_b64 exec, exec, s[0:1]
	v_cmp_gt_u32_e32 vcc, 64, v0
	s_waitcnt lgkmcnt(0)
	s_barrier
	s_and_saveexec_b64 s[0:1], vcc
	s_cbranch_execz .LBB667_201
; %bb.200:
	v_and_b32_e32 v1, 3, v2
	v_lshlrev_b32_e32 v4, 2, v1
	ds_read_b32 v4, v4 offset:32
	v_cmp_ne_u32_e32 vcc, 3, v1
	v_addc_co_u32_e32 v1, vcc, 0, v2, vcc
	v_lshlrev_b32_e32 v1, 2, v1
	s_waitcnt lgkmcnt(0)
	ds_bpermute_b32 v1, v1, v4
	v_or_b32_e32 v2, 8, v3
	s_waitcnt lgkmcnt(0)
	v_add_u32_e32 v1, v1, v4
	ds_bpermute_b32 v2, v2, v1
	s_waitcnt lgkmcnt(0)
	v_add_u32_e32 v1, v2, v1
.LBB667_201:
	s_or_b64 exec, exec, s[0:1]
	s_mov_b64 s[0:1], 0
	s_branch .LBB667_204
.LBB667_202:
                                        ; implicit-def: $vgpr1
	s_branch .LBB667_224
.LBB667_203:
	s_mov_b64 s[0:1], -1
                                        ; implicit-def: $vgpr1
.LBB667_204:
	s_and_b64 vcc, exec, s[0:1]
	s_cbranch_vccz .LBB667_214
; %bb.205:
	s_sub_i32 s12, s36, s10
	v_mov_b32_e32 v1, 0
	v_cmp_gt_u32_e32 vcc, s12, v0
	v_mov_b32_e32 v2, v1
	s_and_saveexec_b64 s[0:1], vcc
	s_cbranch_execz .LBB667_207
; %bb.206:
	global_load_ubyte v2, v0, s[2:3]
	global_load_ubyte v3, v0, s[8:9]
	s_waitcnt vmcnt(0)
	v_cmp_ne_u16_e32 vcc, v2, v3
	v_cndmask_b32_e64 v2, 0, 1, vcc
	v_and_b32_e32 v2, 0xffff, v2
	v_mov_b32_e32 v3, v1
	v_mov_b32_e32 v1, v2
	;; [unrolled: 1-line block ×3, first 2 shown]
.LBB667_207:
	s_or_b64 exec, exec, s[0:1]
	v_or_b32_e32 v3, 0x100, v0
	v_cmp_gt_u32_e32 vcc, s12, v3
	s_and_saveexec_b64 s[10:11], vcc
	s_cbranch_execz .LBB667_209
; %bb.208:
	global_load_ubyte v2, v0, s[2:3] offset:256
	global_load_ubyte v3, v0, s[8:9] offset:256
	s_waitcnt vmcnt(0)
	v_cmp_ne_u16_e64 s[0:1], v2, v3
	v_cndmask_b32_e64 v2, 0, 1, s[0:1]
.LBB667_209:
	s_or_b64 exec, exec, s[10:11]
	v_cndmask_b32_e32 v2, 0, v2, vcc
	v_add_u32_e32 v1, v2, v1
	v_mbcnt_lo_u32_b32 v2, -1, 0
	v_mbcnt_hi_u32_b32 v2, -1, v2
	v_and_b32_e32 v4, 63, v2
	v_cmp_ne_u32_e32 vcc, 63, v4
	v_addc_co_u32_e32 v3, vcc, 0, v2, vcc
	v_lshlrev_b32_e32 v3, 2, v3
	ds_bpermute_b32 v3, v3, v1
	s_min_u32 s2, s12, 0x100
	v_and_b32_e32 v5, 0xc0, v0
	v_sub_u32_e64 v5, s2, v5 clamp
	v_add_u32_e32 v6, 1, v4
	v_cmp_lt_u32_e32 vcc, v6, v5
	s_waitcnt lgkmcnt(0)
	v_cndmask_b32_e32 v3, 0, v3, vcc
	v_cmp_gt_u32_e32 vcc, 62, v4
	v_add_u32_e32 v1, v3, v1
	v_cndmask_b32_e64 v3, 0, 2, vcc
	v_add_lshl_u32 v3, v3, v2, 2
	ds_bpermute_b32 v3, v3, v1
	v_add_u32_e32 v6, 2, v4
	v_cmp_lt_u32_e32 vcc, v6, v5
	v_add_u32_e32 v6, 4, v4
	s_waitcnt lgkmcnt(0)
	v_cndmask_b32_e32 v3, 0, v3, vcc
	v_cmp_gt_u32_e32 vcc, 60, v4
	v_add_u32_e32 v1, v1, v3
	v_cndmask_b32_e64 v3, 0, 4, vcc
	v_add_lshl_u32 v3, v3, v2, 2
	ds_bpermute_b32 v3, v3, v1
	v_cmp_lt_u32_e32 vcc, v6, v5
	v_add_u32_e32 v6, 8, v4
	s_waitcnt lgkmcnt(0)
	v_cndmask_b32_e32 v3, 0, v3, vcc
	v_cmp_gt_u32_e32 vcc, 56, v4
	v_add_u32_e32 v1, v1, v3
	v_cndmask_b32_e64 v3, 0, 8, vcc
	v_add_lshl_u32 v3, v3, v2, 2
	ds_bpermute_b32 v3, v3, v1
	;; [unrolled: 9-line block ×3, first 2 shown]
	v_cmp_lt_u32_e32 vcc, v6, v5
	v_add_u32_e32 v4, 32, v4
	s_waitcnt lgkmcnt(0)
	v_cndmask_b32_e32 v3, 0, v3, vcc
	v_add_u32_e32 v1, v1, v3
	v_lshlrev_b32_e32 v3, 2, v2
	v_or_b32_e32 v6, 0x80, v3
	ds_bpermute_b32 v6, v6, v1
	v_cmp_lt_u32_e32 vcc, v4, v5
	s_waitcnt lgkmcnt(0)
	v_cndmask_b32_e32 v4, 0, v6, vcc
	v_add_u32_e32 v1, v1, v4
	v_cmp_eq_u32_e32 vcc, 0, v2
	s_and_saveexec_b64 s[0:1], vcc
; %bb.210:
	v_lshrrev_b32_e32 v4, 4, v0
	v_and_b32_e32 v4, 12, v4
	ds_write_b32 v4, v1 offset:96
; %bb.211:
	s_or_b64 exec, exec, s[0:1]
	v_cmp_gt_u32_e32 vcc, 4, v0
	s_waitcnt lgkmcnt(0)
	s_barrier
	s_and_saveexec_b64 s[0:1], vcc
	s_cbranch_execz .LBB667_213
; %bb.212:
	ds_read_b32 v1, v3 offset:96
	v_and_b32_e32 v4, 3, v2
	v_cmp_ne_u32_e32 vcc, 3, v4
	v_addc_co_u32_e32 v2, vcc, 0, v2, vcc
	v_lshlrev_b32_e32 v2, 2, v2
	s_waitcnt lgkmcnt(0)
	ds_bpermute_b32 v2, v2, v1
	s_add_i32 s2, s2, 63
	s_lshr_b32 s2, s2, 6
	v_add_u32_e32 v5, 1, v4
	v_cmp_gt_u32_e32 vcc, s2, v5
	s_waitcnt lgkmcnt(0)
	v_cndmask_b32_e32 v2, 0, v2, vcc
	v_add_u32_e32 v1, v2, v1
	v_or_b32_e32 v2, 8, v3
	ds_bpermute_b32 v2, v2, v1
	v_add_u32_e32 v3, 2, v4
	v_cmp_gt_u32_e32 vcc, s2, v3
	s_waitcnt lgkmcnt(0)
	v_cndmask_b32_e32 v2, 0, v2, vcc
	v_add_u32_e32 v1, v1, v2
.LBB667_213:
	s_or_b64 exec, exec, s[0:1]
.LBB667_214:
	v_cmp_eq_u32_e64 s[0:1], 0, v0
	s_branch .LBB667_224
.LBB667_215:
	s_cmp_eq_u32 s33, 1
	s_cbranch_scc0 .LBB667_223
; %bb.216:
	s_lshl_b32 s2, s6, 8
	s_mov_b32 s7, 0
	s_lshr_b64 s[0:1], s[36:37], 8
	s_cmp_lg_u64 s[0:1], s[6:7]
	v_mbcnt_lo_u32_b32 v2, -1, 0
	s_cbranch_scc0 .LBB667_227
; %bb.217:
	s_add_u32 s0, s40, s2
	s_addc_u32 s1, s41, 0
	s_add_u32 s8, s42, s2
	s_addc_u32 s9, s43, 0
	global_load_ubyte v1, v0, s[0:1]
	global_load_ubyte v5, v0, s[8:9]
	v_mbcnt_hi_u32_b32 v3, -1, v2
	v_lshlrev_b32_e32 v4, 2, v3
	s_waitcnt vmcnt(0)
	v_cmp_ne_u16_e32 vcc, v1, v5
	v_cndmask_b32_e64 v1, 0, 1, vcc
	s_nop 1
	v_mov_b32_dpp v1, v1 quad_perm:[1,0,3,2] row_mask:0xf bank_mask:0xf bound_ctrl:1
	v_addc_co_u32_e64 v5, s[0:1], 0, v1, vcc
	s_nop 1
	v_mov_b32_dpp v5, v5 quad_perm:[2,3,0,1] row_mask:0xf bank_mask:0xf bound_ctrl:1
	v_addc_co_u32_e32 v1, vcc, v5, v1, vcc
	v_or_b32_e32 v5, 0xfc, v4
	s_nop 0
	v_add_u32_dpp v1, v1, v1 row_ror:4 row_mask:0xf bank_mask:0xf bound_ctrl:1
	v_cmp_eq_u32_e32 vcc, 0, v3
	s_nop 0
	v_add_u32_dpp v1, v1, v1 row_ror:8 row_mask:0xf bank_mask:0xf bound_ctrl:1
	s_nop 1
	v_add_u32_dpp v1, v1, v1 row_bcast:15 row_mask:0xf bank_mask:0xf bound_ctrl:1
	s_nop 1
	v_add_u32_dpp v1, v1, v1 row_bcast:31 row_mask:0xf bank_mask:0xf bound_ctrl:1
	ds_bpermute_b32 v1, v5, v1
	s_and_saveexec_b64 s[0:1], vcc
	s_cbranch_execz .LBB667_219
; %bb.218:
	v_lshrrev_b32_e32 v5, 4, v0
	v_and_b32_e32 v5, 12, v5
	s_waitcnt lgkmcnt(0)
	ds_write_b32 v5, v1 offset:16
.LBB667_219:
	s_or_b64 exec, exec, s[0:1]
	v_cmp_gt_u32_e32 vcc, 64, v0
	s_waitcnt lgkmcnt(0)
	s_barrier
	s_and_saveexec_b64 s[0:1], vcc
	s_cbranch_execz .LBB667_221
; %bb.220:
	v_and_b32_e32 v1, 3, v3
	v_lshlrev_b32_e32 v5, 2, v1
	ds_read_b32 v5, v5 offset:16
	v_cmp_ne_u32_e32 vcc, 3, v1
	v_addc_co_u32_e32 v1, vcc, 0, v3, vcc
	v_lshlrev_b32_e32 v1, 2, v1
	s_waitcnt lgkmcnt(0)
	ds_bpermute_b32 v1, v1, v5
	v_or_b32_e32 v3, 8, v4
	s_waitcnt lgkmcnt(0)
	v_add_u32_e32 v1, v1, v5
	ds_bpermute_b32 v3, v3, v1
	s_waitcnt lgkmcnt(0)
	v_add_u32_e32 v1, v3, v1
.LBB667_221:
	s_or_b64 exec, exec, s[0:1]
.LBB667_222:
	v_cmp_eq_u32_e64 s[0:1], 0, v0
	s_and_saveexec_b64 s[2:3], s[0:1]
	s_cbranch_execnz .LBB667_225
	s_branch .LBB667_226
.LBB667_223:
                                        ; implicit-def: $vgpr1
                                        ; implicit-def: $sgpr6_sgpr7
.LBB667_224:
	s_and_saveexec_b64 s[2:3], s[0:1]
	s_cbranch_execz .LBB667_226
.LBB667_225:
	s_lshl_b64 s[0:1], s[6:7], 2
	s_load_dword s2, s[4:5], 0x30
	s_add_u32 s0, s38, s0
	s_addc_u32 s1, s39, s1
	s_cmp_lg_u64 s[36:37], 0
	s_cselect_b64 vcc, -1, 0
	v_cndmask_b32_e32 v1, 0, v1, vcc
	v_mov_b32_e32 v0, 0
	s_waitcnt lgkmcnt(0)
	v_add_u32_e32 v1, s2, v1
	global_store_dword v0, v1, s[0:1]
.LBB667_226:
	s_endpgm
.LBB667_227:
                                        ; implicit-def: $vgpr1
	s_cbranch_execz .LBB667_222
; %bb.228:
	s_sub_i32 s3, s36, s2
	v_cmp_gt_u32_e32 vcc, s3, v0
                                        ; implicit-def: $vgpr1
	s_and_saveexec_b64 s[0:1], vcc
	s_cbranch_execz .LBB667_230
; %bb.229:
	s_add_u32 s8, s42, s2
	s_addc_u32 s9, s43, 0
	s_add_u32 s10, s40, s2
	s_addc_u32 s11, s41, 0
	global_load_ubyte v1, v0, s[10:11]
	global_load_ubyte v3, v0, s[8:9]
	s_waitcnt vmcnt(0)
	v_cmp_ne_u16_e32 vcc, v1, v3
	v_cndmask_b32_e64 v1, 0, 1, vcc
.LBB667_230:
	s_or_b64 exec, exec, s[0:1]
	v_mbcnt_hi_u32_b32 v2, -1, v2
	v_and_b32_e32 v4, 63, v2
	v_cmp_ne_u32_e32 vcc, 63, v4
	v_addc_co_u32_e32 v3, vcc, 0, v2, vcc
	v_lshlrev_b32_e32 v3, 2, v3
	ds_bpermute_b32 v3, v3, v1
	s_min_u32 s2, s3, 0x100
	v_and_b32_e32 v5, 0xc0, v0
	v_sub_u32_e64 v5, s2, v5 clamp
	v_add_u32_e32 v6, 1, v4
	v_cmp_lt_u32_e32 vcc, v6, v5
	s_waitcnt lgkmcnt(0)
	v_cndmask_b32_e32 v3, 0, v3, vcc
	v_cmp_gt_u32_e32 vcc, 62, v4
	v_add_u32_e32 v1, v3, v1
	v_cndmask_b32_e64 v3, 0, 2, vcc
	v_add_lshl_u32 v3, v3, v2, 2
	ds_bpermute_b32 v3, v3, v1
	v_add_u32_e32 v6, 2, v4
	v_cmp_lt_u32_e32 vcc, v6, v5
	v_add_u32_e32 v6, 4, v4
	s_waitcnt lgkmcnt(0)
	v_cndmask_b32_e32 v3, 0, v3, vcc
	v_cmp_gt_u32_e32 vcc, 60, v4
	v_add_u32_e32 v1, v1, v3
	v_cndmask_b32_e64 v3, 0, 4, vcc
	v_add_lshl_u32 v3, v3, v2, 2
	ds_bpermute_b32 v3, v3, v1
	v_cmp_lt_u32_e32 vcc, v6, v5
	v_add_u32_e32 v6, 8, v4
	s_waitcnt lgkmcnt(0)
	v_cndmask_b32_e32 v3, 0, v3, vcc
	v_cmp_gt_u32_e32 vcc, 56, v4
	v_add_u32_e32 v1, v1, v3
	v_cndmask_b32_e64 v3, 0, 8, vcc
	v_add_lshl_u32 v3, v3, v2, 2
	ds_bpermute_b32 v3, v3, v1
	v_cmp_lt_u32_e32 vcc, v6, v5
	v_add_u32_e32 v6, 16, v4
	s_waitcnt lgkmcnt(0)
	v_cndmask_b32_e32 v3, 0, v3, vcc
	v_cmp_gt_u32_e32 vcc, 48, v4
	v_add_u32_e32 v1, v1, v3
	v_cndmask_b32_e64 v3, 0, 16, vcc
	v_add_lshl_u32 v3, v3, v2, 2
	ds_bpermute_b32 v3, v3, v1
	v_cmp_lt_u32_e32 vcc, v6, v5
	v_add_u32_e32 v4, 32, v4
	s_waitcnt lgkmcnt(0)
	v_cndmask_b32_e32 v3, 0, v3, vcc
	v_add_u32_e32 v1, v1, v3
	v_lshlrev_b32_e32 v3, 2, v2
	v_or_b32_e32 v6, 0x80, v3
	ds_bpermute_b32 v6, v6, v1
	v_cmp_lt_u32_e32 vcc, v4, v5
	s_waitcnt lgkmcnt(0)
	v_cndmask_b32_e32 v4, 0, v6, vcc
	v_add_u32_e32 v1, v1, v4
	v_cmp_eq_u32_e32 vcc, 0, v2
	s_and_saveexec_b64 s[0:1], vcc
; %bb.231:
	v_lshrrev_b32_e32 v4, 4, v0
	v_and_b32_e32 v4, 12, v4
	ds_write_b32 v4, v1 offset:96
; %bb.232:
	s_or_b64 exec, exec, s[0:1]
	v_cmp_gt_u32_e32 vcc, 4, v0
	s_waitcnt lgkmcnt(0)
	s_barrier
	s_and_saveexec_b64 s[0:1], vcc
	s_cbranch_execz .LBB667_234
; %bb.233:
	ds_read_b32 v1, v3 offset:96
	v_and_b32_e32 v4, 3, v2
	v_cmp_ne_u32_e32 vcc, 3, v4
	v_addc_co_u32_e32 v2, vcc, 0, v2, vcc
	v_lshlrev_b32_e32 v2, 2, v2
	s_waitcnt lgkmcnt(0)
	ds_bpermute_b32 v2, v2, v1
	s_add_i32 s2, s2, 63
	s_lshr_b32 s2, s2, 6
	v_add_u32_e32 v5, 1, v4
	v_cmp_gt_u32_e32 vcc, s2, v5
	s_waitcnt lgkmcnt(0)
	v_cndmask_b32_e32 v2, 0, v2, vcc
	v_add_u32_e32 v1, v2, v1
	v_or_b32_e32 v2, 8, v3
	ds_bpermute_b32 v2, v2, v1
	v_add_u32_e32 v3, 2, v4
	v_cmp_gt_u32_e32 vcc, s2, v3
	s_waitcnt lgkmcnt(0)
	v_cndmask_b32_e32 v2, 0, v2, vcc
	v_add_u32_e32 v1, v1, v2
.LBB667_234:
	s_or_b64 exec, exec, s[0:1]
	v_cmp_eq_u32_e64 s[0:1], 0, v0
	s_and_saveexec_b64 s[2:3], s[0:1]
	s_cbranch_execnz .LBB667_225
	s_branch .LBB667_226
	.section	.rodata,"a",@progbits
	.p2align	6, 0x0
	.amdhsa_kernel _ZN7rocprim17ROCPRIM_400000_NS6detail17trampoline_kernelINS0_14default_configENS1_22reduce_config_selectorIiEEZNS1_11reduce_implILb1ES3_N6thrust23THRUST_200600_302600_NS11hip_rocprim35transform_pair_of_input_iterators_tIiPaSB_NS8_12not_equal_toIaEEEEPiiNS8_4plusIiEEEE10hipError_tPvRmT1_T2_T3_mT4_P12ihipStream_tbEUlT_E1_NS1_11comp_targetILNS1_3genE2ELNS1_11target_archE906ELNS1_3gpuE6ELNS1_3repE0EEENS1_30default_config_static_selectorELNS0_4arch9wavefront6targetE1EEEvSL_
		.amdhsa_group_segment_fixed_size 112
		.amdhsa_private_segment_fixed_size 0
		.amdhsa_kernarg_size 56
		.amdhsa_user_sgpr_count 6
		.amdhsa_user_sgpr_private_segment_buffer 1
		.amdhsa_user_sgpr_dispatch_ptr 0
		.amdhsa_user_sgpr_queue_ptr 0
		.amdhsa_user_sgpr_kernarg_segment_ptr 1
		.amdhsa_user_sgpr_dispatch_id 0
		.amdhsa_user_sgpr_flat_scratch_init 0
		.amdhsa_user_sgpr_private_segment_size 0
		.amdhsa_uses_dynamic_stack 0
		.amdhsa_system_sgpr_private_segment_wavefront_offset 0
		.amdhsa_system_sgpr_workgroup_id_x 1
		.amdhsa_system_sgpr_workgroup_id_y 0
		.amdhsa_system_sgpr_workgroup_id_z 0
		.amdhsa_system_sgpr_workgroup_info 0
		.amdhsa_system_vgpr_workitem_id 0
		.amdhsa_next_free_vgpr 35
		.amdhsa_next_free_sgpr 51
		.amdhsa_reserve_vcc 1
		.amdhsa_reserve_flat_scratch 0
		.amdhsa_float_round_mode_32 0
		.amdhsa_float_round_mode_16_64 0
		.amdhsa_float_denorm_mode_32 3
		.amdhsa_float_denorm_mode_16_64 3
		.amdhsa_dx10_clamp 1
		.amdhsa_ieee_mode 1
		.amdhsa_fp16_overflow 0
		.amdhsa_exception_fp_ieee_invalid_op 0
		.amdhsa_exception_fp_denorm_src 0
		.amdhsa_exception_fp_ieee_div_zero 0
		.amdhsa_exception_fp_ieee_overflow 0
		.amdhsa_exception_fp_ieee_underflow 0
		.amdhsa_exception_fp_ieee_inexact 0
		.amdhsa_exception_int_div_zero 0
	.end_amdhsa_kernel
	.section	.text._ZN7rocprim17ROCPRIM_400000_NS6detail17trampoline_kernelINS0_14default_configENS1_22reduce_config_selectorIiEEZNS1_11reduce_implILb1ES3_N6thrust23THRUST_200600_302600_NS11hip_rocprim35transform_pair_of_input_iterators_tIiPaSB_NS8_12not_equal_toIaEEEEPiiNS8_4plusIiEEEE10hipError_tPvRmT1_T2_T3_mT4_P12ihipStream_tbEUlT_E1_NS1_11comp_targetILNS1_3genE2ELNS1_11target_archE906ELNS1_3gpuE6ELNS1_3repE0EEENS1_30default_config_static_selectorELNS0_4arch9wavefront6targetE1EEEvSL_,"axG",@progbits,_ZN7rocprim17ROCPRIM_400000_NS6detail17trampoline_kernelINS0_14default_configENS1_22reduce_config_selectorIiEEZNS1_11reduce_implILb1ES3_N6thrust23THRUST_200600_302600_NS11hip_rocprim35transform_pair_of_input_iterators_tIiPaSB_NS8_12not_equal_toIaEEEEPiiNS8_4plusIiEEEE10hipError_tPvRmT1_T2_T3_mT4_P12ihipStream_tbEUlT_E1_NS1_11comp_targetILNS1_3genE2ELNS1_11target_archE906ELNS1_3gpuE6ELNS1_3repE0EEENS1_30default_config_static_selectorELNS0_4arch9wavefront6targetE1EEEvSL_,comdat
.Lfunc_end667:
	.size	_ZN7rocprim17ROCPRIM_400000_NS6detail17trampoline_kernelINS0_14default_configENS1_22reduce_config_selectorIiEEZNS1_11reduce_implILb1ES3_N6thrust23THRUST_200600_302600_NS11hip_rocprim35transform_pair_of_input_iterators_tIiPaSB_NS8_12not_equal_toIaEEEEPiiNS8_4plusIiEEEE10hipError_tPvRmT1_T2_T3_mT4_P12ihipStream_tbEUlT_E1_NS1_11comp_targetILNS1_3genE2ELNS1_11target_archE906ELNS1_3gpuE6ELNS1_3repE0EEENS1_30default_config_static_selectorELNS0_4arch9wavefront6targetE1EEEvSL_, .Lfunc_end667-_ZN7rocprim17ROCPRIM_400000_NS6detail17trampoline_kernelINS0_14default_configENS1_22reduce_config_selectorIiEEZNS1_11reduce_implILb1ES3_N6thrust23THRUST_200600_302600_NS11hip_rocprim35transform_pair_of_input_iterators_tIiPaSB_NS8_12not_equal_toIaEEEEPiiNS8_4plusIiEEEE10hipError_tPvRmT1_T2_T3_mT4_P12ihipStream_tbEUlT_E1_NS1_11comp_targetILNS1_3genE2ELNS1_11target_archE906ELNS1_3gpuE6ELNS1_3repE0EEENS1_30default_config_static_selectorELNS0_4arch9wavefront6targetE1EEEvSL_
                                        ; -- End function
	.set _ZN7rocprim17ROCPRIM_400000_NS6detail17trampoline_kernelINS0_14default_configENS1_22reduce_config_selectorIiEEZNS1_11reduce_implILb1ES3_N6thrust23THRUST_200600_302600_NS11hip_rocprim35transform_pair_of_input_iterators_tIiPaSB_NS8_12not_equal_toIaEEEEPiiNS8_4plusIiEEEE10hipError_tPvRmT1_T2_T3_mT4_P12ihipStream_tbEUlT_E1_NS1_11comp_targetILNS1_3genE2ELNS1_11target_archE906ELNS1_3gpuE6ELNS1_3repE0EEENS1_30default_config_static_selectorELNS0_4arch9wavefront6targetE1EEEvSL_.num_vgpr, 35
	.set _ZN7rocprim17ROCPRIM_400000_NS6detail17trampoline_kernelINS0_14default_configENS1_22reduce_config_selectorIiEEZNS1_11reduce_implILb1ES3_N6thrust23THRUST_200600_302600_NS11hip_rocprim35transform_pair_of_input_iterators_tIiPaSB_NS8_12not_equal_toIaEEEEPiiNS8_4plusIiEEEE10hipError_tPvRmT1_T2_T3_mT4_P12ihipStream_tbEUlT_E1_NS1_11comp_targetILNS1_3genE2ELNS1_11target_archE906ELNS1_3gpuE6ELNS1_3repE0EEENS1_30default_config_static_selectorELNS0_4arch9wavefront6targetE1EEEvSL_.num_agpr, 0
	.set _ZN7rocprim17ROCPRIM_400000_NS6detail17trampoline_kernelINS0_14default_configENS1_22reduce_config_selectorIiEEZNS1_11reduce_implILb1ES3_N6thrust23THRUST_200600_302600_NS11hip_rocprim35transform_pair_of_input_iterators_tIiPaSB_NS8_12not_equal_toIaEEEEPiiNS8_4plusIiEEEE10hipError_tPvRmT1_T2_T3_mT4_P12ihipStream_tbEUlT_E1_NS1_11comp_targetILNS1_3genE2ELNS1_11target_archE906ELNS1_3gpuE6ELNS1_3repE0EEENS1_30default_config_static_selectorELNS0_4arch9wavefront6targetE1EEEvSL_.numbered_sgpr, 51
	.set _ZN7rocprim17ROCPRIM_400000_NS6detail17trampoline_kernelINS0_14default_configENS1_22reduce_config_selectorIiEEZNS1_11reduce_implILb1ES3_N6thrust23THRUST_200600_302600_NS11hip_rocprim35transform_pair_of_input_iterators_tIiPaSB_NS8_12not_equal_toIaEEEEPiiNS8_4plusIiEEEE10hipError_tPvRmT1_T2_T3_mT4_P12ihipStream_tbEUlT_E1_NS1_11comp_targetILNS1_3genE2ELNS1_11target_archE906ELNS1_3gpuE6ELNS1_3repE0EEENS1_30default_config_static_selectorELNS0_4arch9wavefront6targetE1EEEvSL_.num_named_barrier, 0
	.set _ZN7rocprim17ROCPRIM_400000_NS6detail17trampoline_kernelINS0_14default_configENS1_22reduce_config_selectorIiEEZNS1_11reduce_implILb1ES3_N6thrust23THRUST_200600_302600_NS11hip_rocprim35transform_pair_of_input_iterators_tIiPaSB_NS8_12not_equal_toIaEEEEPiiNS8_4plusIiEEEE10hipError_tPvRmT1_T2_T3_mT4_P12ihipStream_tbEUlT_E1_NS1_11comp_targetILNS1_3genE2ELNS1_11target_archE906ELNS1_3gpuE6ELNS1_3repE0EEENS1_30default_config_static_selectorELNS0_4arch9wavefront6targetE1EEEvSL_.private_seg_size, 0
	.set _ZN7rocprim17ROCPRIM_400000_NS6detail17trampoline_kernelINS0_14default_configENS1_22reduce_config_selectorIiEEZNS1_11reduce_implILb1ES3_N6thrust23THRUST_200600_302600_NS11hip_rocprim35transform_pair_of_input_iterators_tIiPaSB_NS8_12not_equal_toIaEEEEPiiNS8_4plusIiEEEE10hipError_tPvRmT1_T2_T3_mT4_P12ihipStream_tbEUlT_E1_NS1_11comp_targetILNS1_3genE2ELNS1_11target_archE906ELNS1_3gpuE6ELNS1_3repE0EEENS1_30default_config_static_selectorELNS0_4arch9wavefront6targetE1EEEvSL_.uses_vcc, 1
	.set _ZN7rocprim17ROCPRIM_400000_NS6detail17trampoline_kernelINS0_14default_configENS1_22reduce_config_selectorIiEEZNS1_11reduce_implILb1ES3_N6thrust23THRUST_200600_302600_NS11hip_rocprim35transform_pair_of_input_iterators_tIiPaSB_NS8_12not_equal_toIaEEEEPiiNS8_4plusIiEEEE10hipError_tPvRmT1_T2_T3_mT4_P12ihipStream_tbEUlT_E1_NS1_11comp_targetILNS1_3genE2ELNS1_11target_archE906ELNS1_3gpuE6ELNS1_3repE0EEENS1_30default_config_static_selectorELNS0_4arch9wavefront6targetE1EEEvSL_.uses_flat_scratch, 0
	.set _ZN7rocprim17ROCPRIM_400000_NS6detail17trampoline_kernelINS0_14default_configENS1_22reduce_config_selectorIiEEZNS1_11reduce_implILb1ES3_N6thrust23THRUST_200600_302600_NS11hip_rocprim35transform_pair_of_input_iterators_tIiPaSB_NS8_12not_equal_toIaEEEEPiiNS8_4plusIiEEEE10hipError_tPvRmT1_T2_T3_mT4_P12ihipStream_tbEUlT_E1_NS1_11comp_targetILNS1_3genE2ELNS1_11target_archE906ELNS1_3gpuE6ELNS1_3repE0EEENS1_30default_config_static_selectorELNS0_4arch9wavefront6targetE1EEEvSL_.has_dyn_sized_stack, 0
	.set _ZN7rocprim17ROCPRIM_400000_NS6detail17trampoline_kernelINS0_14default_configENS1_22reduce_config_selectorIiEEZNS1_11reduce_implILb1ES3_N6thrust23THRUST_200600_302600_NS11hip_rocprim35transform_pair_of_input_iterators_tIiPaSB_NS8_12not_equal_toIaEEEEPiiNS8_4plusIiEEEE10hipError_tPvRmT1_T2_T3_mT4_P12ihipStream_tbEUlT_E1_NS1_11comp_targetILNS1_3genE2ELNS1_11target_archE906ELNS1_3gpuE6ELNS1_3repE0EEENS1_30default_config_static_selectorELNS0_4arch9wavefront6targetE1EEEvSL_.has_recursion, 0
	.set _ZN7rocprim17ROCPRIM_400000_NS6detail17trampoline_kernelINS0_14default_configENS1_22reduce_config_selectorIiEEZNS1_11reduce_implILb1ES3_N6thrust23THRUST_200600_302600_NS11hip_rocprim35transform_pair_of_input_iterators_tIiPaSB_NS8_12not_equal_toIaEEEEPiiNS8_4plusIiEEEE10hipError_tPvRmT1_T2_T3_mT4_P12ihipStream_tbEUlT_E1_NS1_11comp_targetILNS1_3genE2ELNS1_11target_archE906ELNS1_3gpuE6ELNS1_3repE0EEENS1_30default_config_static_selectorELNS0_4arch9wavefront6targetE1EEEvSL_.has_indirect_call, 0
	.section	.AMDGPU.csdata,"",@progbits
; Kernel info:
; codeLenInByte = 11564
; TotalNumSgprs: 55
; NumVgprs: 35
; ScratchSize: 0
; MemoryBound: 0
; FloatMode: 240
; IeeeMode: 1
; LDSByteSize: 112 bytes/workgroup (compile time only)
; SGPRBlocks: 6
; VGPRBlocks: 8
; NumSGPRsForWavesPerEU: 55
; NumVGPRsForWavesPerEU: 35
; Occupancy: 7
; WaveLimiterHint : 0
; COMPUTE_PGM_RSRC2:SCRATCH_EN: 0
; COMPUTE_PGM_RSRC2:USER_SGPR: 6
; COMPUTE_PGM_RSRC2:TRAP_HANDLER: 0
; COMPUTE_PGM_RSRC2:TGID_X_EN: 1
; COMPUTE_PGM_RSRC2:TGID_Y_EN: 0
; COMPUTE_PGM_RSRC2:TGID_Z_EN: 0
; COMPUTE_PGM_RSRC2:TIDIG_COMP_CNT: 0
	.section	.text._ZN7rocprim17ROCPRIM_400000_NS6detail17trampoline_kernelINS0_14default_configENS1_22reduce_config_selectorIiEEZNS1_11reduce_implILb1ES3_N6thrust23THRUST_200600_302600_NS11hip_rocprim35transform_pair_of_input_iterators_tIiPaSB_NS8_12not_equal_toIaEEEEPiiNS8_4plusIiEEEE10hipError_tPvRmT1_T2_T3_mT4_P12ihipStream_tbEUlT_E1_NS1_11comp_targetILNS1_3genE10ELNS1_11target_archE1201ELNS1_3gpuE5ELNS1_3repE0EEENS1_30default_config_static_selectorELNS0_4arch9wavefront6targetE1EEEvSL_,"axG",@progbits,_ZN7rocprim17ROCPRIM_400000_NS6detail17trampoline_kernelINS0_14default_configENS1_22reduce_config_selectorIiEEZNS1_11reduce_implILb1ES3_N6thrust23THRUST_200600_302600_NS11hip_rocprim35transform_pair_of_input_iterators_tIiPaSB_NS8_12not_equal_toIaEEEEPiiNS8_4plusIiEEEE10hipError_tPvRmT1_T2_T3_mT4_P12ihipStream_tbEUlT_E1_NS1_11comp_targetILNS1_3genE10ELNS1_11target_archE1201ELNS1_3gpuE5ELNS1_3repE0EEENS1_30default_config_static_selectorELNS0_4arch9wavefront6targetE1EEEvSL_,comdat
	.protected	_ZN7rocprim17ROCPRIM_400000_NS6detail17trampoline_kernelINS0_14default_configENS1_22reduce_config_selectorIiEEZNS1_11reduce_implILb1ES3_N6thrust23THRUST_200600_302600_NS11hip_rocprim35transform_pair_of_input_iterators_tIiPaSB_NS8_12not_equal_toIaEEEEPiiNS8_4plusIiEEEE10hipError_tPvRmT1_T2_T3_mT4_P12ihipStream_tbEUlT_E1_NS1_11comp_targetILNS1_3genE10ELNS1_11target_archE1201ELNS1_3gpuE5ELNS1_3repE0EEENS1_30default_config_static_selectorELNS0_4arch9wavefront6targetE1EEEvSL_ ; -- Begin function _ZN7rocprim17ROCPRIM_400000_NS6detail17trampoline_kernelINS0_14default_configENS1_22reduce_config_selectorIiEEZNS1_11reduce_implILb1ES3_N6thrust23THRUST_200600_302600_NS11hip_rocprim35transform_pair_of_input_iterators_tIiPaSB_NS8_12not_equal_toIaEEEEPiiNS8_4plusIiEEEE10hipError_tPvRmT1_T2_T3_mT4_P12ihipStream_tbEUlT_E1_NS1_11comp_targetILNS1_3genE10ELNS1_11target_archE1201ELNS1_3gpuE5ELNS1_3repE0EEENS1_30default_config_static_selectorELNS0_4arch9wavefront6targetE1EEEvSL_
	.globl	_ZN7rocprim17ROCPRIM_400000_NS6detail17trampoline_kernelINS0_14default_configENS1_22reduce_config_selectorIiEEZNS1_11reduce_implILb1ES3_N6thrust23THRUST_200600_302600_NS11hip_rocprim35transform_pair_of_input_iterators_tIiPaSB_NS8_12not_equal_toIaEEEEPiiNS8_4plusIiEEEE10hipError_tPvRmT1_T2_T3_mT4_P12ihipStream_tbEUlT_E1_NS1_11comp_targetILNS1_3genE10ELNS1_11target_archE1201ELNS1_3gpuE5ELNS1_3repE0EEENS1_30default_config_static_selectorELNS0_4arch9wavefront6targetE1EEEvSL_
	.p2align	8
	.type	_ZN7rocprim17ROCPRIM_400000_NS6detail17trampoline_kernelINS0_14default_configENS1_22reduce_config_selectorIiEEZNS1_11reduce_implILb1ES3_N6thrust23THRUST_200600_302600_NS11hip_rocprim35transform_pair_of_input_iterators_tIiPaSB_NS8_12not_equal_toIaEEEEPiiNS8_4plusIiEEEE10hipError_tPvRmT1_T2_T3_mT4_P12ihipStream_tbEUlT_E1_NS1_11comp_targetILNS1_3genE10ELNS1_11target_archE1201ELNS1_3gpuE5ELNS1_3repE0EEENS1_30default_config_static_selectorELNS0_4arch9wavefront6targetE1EEEvSL_,@function
_ZN7rocprim17ROCPRIM_400000_NS6detail17trampoline_kernelINS0_14default_configENS1_22reduce_config_selectorIiEEZNS1_11reduce_implILb1ES3_N6thrust23THRUST_200600_302600_NS11hip_rocprim35transform_pair_of_input_iterators_tIiPaSB_NS8_12not_equal_toIaEEEEPiiNS8_4plusIiEEEE10hipError_tPvRmT1_T2_T3_mT4_P12ihipStream_tbEUlT_E1_NS1_11comp_targetILNS1_3genE10ELNS1_11target_archE1201ELNS1_3gpuE5ELNS1_3repE0EEENS1_30default_config_static_selectorELNS0_4arch9wavefront6targetE1EEEvSL_: ; @_ZN7rocprim17ROCPRIM_400000_NS6detail17trampoline_kernelINS0_14default_configENS1_22reduce_config_selectorIiEEZNS1_11reduce_implILb1ES3_N6thrust23THRUST_200600_302600_NS11hip_rocprim35transform_pair_of_input_iterators_tIiPaSB_NS8_12not_equal_toIaEEEEPiiNS8_4plusIiEEEE10hipError_tPvRmT1_T2_T3_mT4_P12ihipStream_tbEUlT_E1_NS1_11comp_targetILNS1_3genE10ELNS1_11target_archE1201ELNS1_3gpuE5ELNS1_3repE0EEENS1_30default_config_static_selectorELNS0_4arch9wavefront6targetE1EEEvSL_
; %bb.0:
	.section	.rodata,"a",@progbits
	.p2align	6, 0x0
	.amdhsa_kernel _ZN7rocprim17ROCPRIM_400000_NS6detail17trampoline_kernelINS0_14default_configENS1_22reduce_config_selectorIiEEZNS1_11reduce_implILb1ES3_N6thrust23THRUST_200600_302600_NS11hip_rocprim35transform_pair_of_input_iterators_tIiPaSB_NS8_12not_equal_toIaEEEEPiiNS8_4plusIiEEEE10hipError_tPvRmT1_T2_T3_mT4_P12ihipStream_tbEUlT_E1_NS1_11comp_targetILNS1_3genE10ELNS1_11target_archE1201ELNS1_3gpuE5ELNS1_3repE0EEENS1_30default_config_static_selectorELNS0_4arch9wavefront6targetE1EEEvSL_
		.amdhsa_group_segment_fixed_size 0
		.amdhsa_private_segment_fixed_size 0
		.amdhsa_kernarg_size 56
		.amdhsa_user_sgpr_count 6
		.amdhsa_user_sgpr_private_segment_buffer 1
		.amdhsa_user_sgpr_dispatch_ptr 0
		.amdhsa_user_sgpr_queue_ptr 0
		.amdhsa_user_sgpr_kernarg_segment_ptr 1
		.amdhsa_user_sgpr_dispatch_id 0
		.amdhsa_user_sgpr_flat_scratch_init 0
		.amdhsa_user_sgpr_private_segment_size 0
		.amdhsa_uses_dynamic_stack 0
		.amdhsa_system_sgpr_private_segment_wavefront_offset 0
		.amdhsa_system_sgpr_workgroup_id_x 1
		.amdhsa_system_sgpr_workgroup_id_y 0
		.amdhsa_system_sgpr_workgroup_id_z 0
		.amdhsa_system_sgpr_workgroup_info 0
		.amdhsa_system_vgpr_workitem_id 0
		.amdhsa_next_free_vgpr 1
		.amdhsa_next_free_sgpr 0
		.amdhsa_reserve_vcc 0
		.amdhsa_reserve_flat_scratch 0
		.amdhsa_float_round_mode_32 0
		.amdhsa_float_round_mode_16_64 0
		.amdhsa_float_denorm_mode_32 3
		.amdhsa_float_denorm_mode_16_64 3
		.amdhsa_dx10_clamp 1
		.amdhsa_ieee_mode 1
		.amdhsa_fp16_overflow 0
		.amdhsa_exception_fp_ieee_invalid_op 0
		.amdhsa_exception_fp_denorm_src 0
		.amdhsa_exception_fp_ieee_div_zero 0
		.amdhsa_exception_fp_ieee_overflow 0
		.amdhsa_exception_fp_ieee_underflow 0
		.amdhsa_exception_fp_ieee_inexact 0
		.amdhsa_exception_int_div_zero 0
	.end_amdhsa_kernel
	.section	.text._ZN7rocprim17ROCPRIM_400000_NS6detail17trampoline_kernelINS0_14default_configENS1_22reduce_config_selectorIiEEZNS1_11reduce_implILb1ES3_N6thrust23THRUST_200600_302600_NS11hip_rocprim35transform_pair_of_input_iterators_tIiPaSB_NS8_12not_equal_toIaEEEEPiiNS8_4plusIiEEEE10hipError_tPvRmT1_T2_T3_mT4_P12ihipStream_tbEUlT_E1_NS1_11comp_targetILNS1_3genE10ELNS1_11target_archE1201ELNS1_3gpuE5ELNS1_3repE0EEENS1_30default_config_static_selectorELNS0_4arch9wavefront6targetE1EEEvSL_,"axG",@progbits,_ZN7rocprim17ROCPRIM_400000_NS6detail17trampoline_kernelINS0_14default_configENS1_22reduce_config_selectorIiEEZNS1_11reduce_implILb1ES3_N6thrust23THRUST_200600_302600_NS11hip_rocprim35transform_pair_of_input_iterators_tIiPaSB_NS8_12not_equal_toIaEEEEPiiNS8_4plusIiEEEE10hipError_tPvRmT1_T2_T3_mT4_P12ihipStream_tbEUlT_E1_NS1_11comp_targetILNS1_3genE10ELNS1_11target_archE1201ELNS1_3gpuE5ELNS1_3repE0EEENS1_30default_config_static_selectorELNS0_4arch9wavefront6targetE1EEEvSL_,comdat
.Lfunc_end668:
	.size	_ZN7rocprim17ROCPRIM_400000_NS6detail17trampoline_kernelINS0_14default_configENS1_22reduce_config_selectorIiEEZNS1_11reduce_implILb1ES3_N6thrust23THRUST_200600_302600_NS11hip_rocprim35transform_pair_of_input_iterators_tIiPaSB_NS8_12not_equal_toIaEEEEPiiNS8_4plusIiEEEE10hipError_tPvRmT1_T2_T3_mT4_P12ihipStream_tbEUlT_E1_NS1_11comp_targetILNS1_3genE10ELNS1_11target_archE1201ELNS1_3gpuE5ELNS1_3repE0EEENS1_30default_config_static_selectorELNS0_4arch9wavefront6targetE1EEEvSL_, .Lfunc_end668-_ZN7rocprim17ROCPRIM_400000_NS6detail17trampoline_kernelINS0_14default_configENS1_22reduce_config_selectorIiEEZNS1_11reduce_implILb1ES3_N6thrust23THRUST_200600_302600_NS11hip_rocprim35transform_pair_of_input_iterators_tIiPaSB_NS8_12not_equal_toIaEEEEPiiNS8_4plusIiEEEE10hipError_tPvRmT1_T2_T3_mT4_P12ihipStream_tbEUlT_E1_NS1_11comp_targetILNS1_3genE10ELNS1_11target_archE1201ELNS1_3gpuE5ELNS1_3repE0EEENS1_30default_config_static_selectorELNS0_4arch9wavefront6targetE1EEEvSL_
                                        ; -- End function
	.set _ZN7rocprim17ROCPRIM_400000_NS6detail17trampoline_kernelINS0_14default_configENS1_22reduce_config_selectorIiEEZNS1_11reduce_implILb1ES3_N6thrust23THRUST_200600_302600_NS11hip_rocprim35transform_pair_of_input_iterators_tIiPaSB_NS8_12not_equal_toIaEEEEPiiNS8_4plusIiEEEE10hipError_tPvRmT1_T2_T3_mT4_P12ihipStream_tbEUlT_E1_NS1_11comp_targetILNS1_3genE10ELNS1_11target_archE1201ELNS1_3gpuE5ELNS1_3repE0EEENS1_30default_config_static_selectorELNS0_4arch9wavefront6targetE1EEEvSL_.num_vgpr, 0
	.set _ZN7rocprim17ROCPRIM_400000_NS6detail17trampoline_kernelINS0_14default_configENS1_22reduce_config_selectorIiEEZNS1_11reduce_implILb1ES3_N6thrust23THRUST_200600_302600_NS11hip_rocprim35transform_pair_of_input_iterators_tIiPaSB_NS8_12not_equal_toIaEEEEPiiNS8_4plusIiEEEE10hipError_tPvRmT1_T2_T3_mT4_P12ihipStream_tbEUlT_E1_NS1_11comp_targetILNS1_3genE10ELNS1_11target_archE1201ELNS1_3gpuE5ELNS1_3repE0EEENS1_30default_config_static_selectorELNS0_4arch9wavefront6targetE1EEEvSL_.num_agpr, 0
	.set _ZN7rocprim17ROCPRIM_400000_NS6detail17trampoline_kernelINS0_14default_configENS1_22reduce_config_selectorIiEEZNS1_11reduce_implILb1ES3_N6thrust23THRUST_200600_302600_NS11hip_rocprim35transform_pair_of_input_iterators_tIiPaSB_NS8_12not_equal_toIaEEEEPiiNS8_4plusIiEEEE10hipError_tPvRmT1_T2_T3_mT4_P12ihipStream_tbEUlT_E1_NS1_11comp_targetILNS1_3genE10ELNS1_11target_archE1201ELNS1_3gpuE5ELNS1_3repE0EEENS1_30default_config_static_selectorELNS0_4arch9wavefront6targetE1EEEvSL_.numbered_sgpr, 0
	.set _ZN7rocprim17ROCPRIM_400000_NS6detail17trampoline_kernelINS0_14default_configENS1_22reduce_config_selectorIiEEZNS1_11reduce_implILb1ES3_N6thrust23THRUST_200600_302600_NS11hip_rocprim35transform_pair_of_input_iterators_tIiPaSB_NS8_12not_equal_toIaEEEEPiiNS8_4plusIiEEEE10hipError_tPvRmT1_T2_T3_mT4_P12ihipStream_tbEUlT_E1_NS1_11comp_targetILNS1_3genE10ELNS1_11target_archE1201ELNS1_3gpuE5ELNS1_3repE0EEENS1_30default_config_static_selectorELNS0_4arch9wavefront6targetE1EEEvSL_.num_named_barrier, 0
	.set _ZN7rocprim17ROCPRIM_400000_NS6detail17trampoline_kernelINS0_14default_configENS1_22reduce_config_selectorIiEEZNS1_11reduce_implILb1ES3_N6thrust23THRUST_200600_302600_NS11hip_rocprim35transform_pair_of_input_iterators_tIiPaSB_NS8_12not_equal_toIaEEEEPiiNS8_4plusIiEEEE10hipError_tPvRmT1_T2_T3_mT4_P12ihipStream_tbEUlT_E1_NS1_11comp_targetILNS1_3genE10ELNS1_11target_archE1201ELNS1_3gpuE5ELNS1_3repE0EEENS1_30default_config_static_selectorELNS0_4arch9wavefront6targetE1EEEvSL_.private_seg_size, 0
	.set _ZN7rocprim17ROCPRIM_400000_NS6detail17trampoline_kernelINS0_14default_configENS1_22reduce_config_selectorIiEEZNS1_11reduce_implILb1ES3_N6thrust23THRUST_200600_302600_NS11hip_rocprim35transform_pair_of_input_iterators_tIiPaSB_NS8_12not_equal_toIaEEEEPiiNS8_4plusIiEEEE10hipError_tPvRmT1_T2_T3_mT4_P12ihipStream_tbEUlT_E1_NS1_11comp_targetILNS1_3genE10ELNS1_11target_archE1201ELNS1_3gpuE5ELNS1_3repE0EEENS1_30default_config_static_selectorELNS0_4arch9wavefront6targetE1EEEvSL_.uses_vcc, 0
	.set _ZN7rocprim17ROCPRIM_400000_NS6detail17trampoline_kernelINS0_14default_configENS1_22reduce_config_selectorIiEEZNS1_11reduce_implILb1ES3_N6thrust23THRUST_200600_302600_NS11hip_rocprim35transform_pair_of_input_iterators_tIiPaSB_NS8_12not_equal_toIaEEEEPiiNS8_4plusIiEEEE10hipError_tPvRmT1_T2_T3_mT4_P12ihipStream_tbEUlT_E1_NS1_11comp_targetILNS1_3genE10ELNS1_11target_archE1201ELNS1_3gpuE5ELNS1_3repE0EEENS1_30default_config_static_selectorELNS0_4arch9wavefront6targetE1EEEvSL_.uses_flat_scratch, 0
	.set _ZN7rocprim17ROCPRIM_400000_NS6detail17trampoline_kernelINS0_14default_configENS1_22reduce_config_selectorIiEEZNS1_11reduce_implILb1ES3_N6thrust23THRUST_200600_302600_NS11hip_rocprim35transform_pair_of_input_iterators_tIiPaSB_NS8_12not_equal_toIaEEEEPiiNS8_4plusIiEEEE10hipError_tPvRmT1_T2_T3_mT4_P12ihipStream_tbEUlT_E1_NS1_11comp_targetILNS1_3genE10ELNS1_11target_archE1201ELNS1_3gpuE5ELNS1_3repE0EEENS1_30default_config_static_selectorELNS0_4arch9wavefront6targetE1EEEvSL_.has_dyn_sized_stack, 0
	.set _ZN7rocprim17ROCPRIM_400000_NS6detail17trampoline_kernelINS0_14default_configENS1_22reduce_config_selectorIiEEZNS1_11reduce_implILb1ES3_N6thrust23THRUST_200600_302600_NS11hip_rocprim35transform_pair_of_input_iterators_tIiPaSB_NS8_12not_equal_toIaEEEEPiiNS8_4plusIiEEEE10hipError_tPvRmT1_T2_T3_mT4_P12ihipStream_tbEUlT_E1_NS1_11comp_targetILNS1_3genE10ELNS1_11target_archE1201ELNS1_3gpuE5ELNS1_3repE0EEENS1_30default_config_static_selectorELNS0_4arch9wavefront6targetE1EEEvSL_.has_recursion, 0
	.set _ZN7rocprim17ROCPRIM_400000_NS6detail17trampoline_kernelINS0_14default_configENS1_22reduce_config_selectorIiEEZNS1_11reduce_implILb1ES3_N6thrust23THRUST_200600_302600_NS11hip_rocprim35transform_pair_of_input_iterators_tIiPaSB_NS8_12not_equal_toIaEEEEPiiNS8_4plusIiEEEE10hipError_tPvRmT1_T2_T3_mT4_P12ihipStream_tbEUlT_E1_NS1_11comp_targetILNS1_3genE10ELNS1_11target_archE1201ELNS1_3gpuE5ELNS1_3repE0EEENS1_30default_config_static_selectorELNS0_4arch9wavefront6targetE1EEEvSL_.has_indirect_call, 0
	.section	.AMDGPU.csdata,"",@progbits
; Kernel info:
; codeLenInByte = 0
; TotalNumSgprs: 4
; NumVgprs: 0
; ScratchSize: 0
; MemoryBound: 0
; FloatMode: 240
; IeeeMode: 1
; LDSByteSize: 0 bytes/workgroup (compile time only)
; SGPRBlocks: 0
; VGPRBlocks: 0
; NumSGPRsForWavesPerEU: 4
; NumVGPRsForWavesPerEU: 1
; Occupancy: 10
; WaveLimiterHint : 0
; COMPUTE_PGM_RSRC2:SCRATCH_EN: 0
; COMPUTE_PGM_RSRC2:USER_SGPR: 6
; COMPUTE_PGM_RSRC2:TRAP_HANDLER: 0
; COMPUTE_PGM_RSRC2:TGID_X_EN: 1
; COMPUTE_PGM_RSRC2:TGID_Y_EN: 0
; COMPUTE_PGM_RSRC2:TGID_Z_EN: 0
; COMPUTE_PGM_RSRC2:TIDIG_COMP_CNT: 0
	.section	.text._ZN7rocprim17ROCPRIM_400000_NS6detail17trampoline_kernelINS0_14default_configENS1_22reduce_config_selectorIiEEZNS1_11reduce_implILb1ES3_N6thrust23THRUST_200600_302600_NS11hip_rocprim35transform_pair_of_input_iterators_tIiPaSB_NS8_12not_equal_toIaEEEEPiiNS8_4plusIiEEEE10hipError_tPvRmT1_T2_T3_mT4_P12ihipStream_tbEUlT_E1_NS1_11comp_targetILNS1_3genE10ELNS1_11target_archE1200ELNS1_3gpuE4ELNS1_3repE0EEENS1_30default_config_static_selectorELNS0_4arch9wavefront6targetE1EEEvSL_,"axG",@progbits,_ZN7rocprim17ROCPRIM_400000_NS6detail17trampoline_kernelINS0_14default_configENS1_22reduce_config_selectorIiEEZNS1_11reduce_implILb1ES3_N6thrust23THRUST_200600_302600_NS11hip_rocprim35transform_pair_of_input_iterators_tIiPaSB_NS8_12not_equal_toIaEEEEPiiNS8_4plusIiEEEE10hipError_tPvRmT1_T2_T3_mT4_P12ihipStream_tbEUlT_E1_NS1_11comp_targetILNS1_3genE10ELNS1_11target_archE1200ELNS1_3gpuE4ELNS1_3repE0EEENS1_30default_config_static_selectorELNS0_4arch9wavefront6targetE1EEEvSL_,comdat
	.protected	_ZN7rocprim17ROCPRIM_400000_NS6detail17trampoline_kernelINS0_14default_configENS1_22reduce_config_selectorIiEEZNS1_11reduce_implILb1ES3_N6thrust23THRUST_200600_302600_NS11hip_rocprim35transform_pair_of_input_iterators_tIiPaSB_NS8_12not_equal_toIaEEEEPiiNS8_4plusIiEEEE10hipError_tPvRmT1_T2_T3_mT4_P12ihipStream_tbEUlT_E1_NS1_11comp_targetILNS1_3genE10ELNS1_11target_archE1200ELNS1_3gpuE4ELNS1_3repE0EEENS1_30default_config_static_selectorELNS0_4arch9wavefront6targetE1EEEvSL_ ; -- Begin function _ZN7rocprim17ROCPRIM_400000_NS6detail17trampoline_kernelINS0_14default_configENS1_22reduce_config_selectorIiEEZNS1_11reduce_implILb1ES3_N6thrust23THRUST_200600_302600_NS11hip_rocprim35transform_pair_of_input_iterators_tIiPaSB_NS8_12not_equal_toIaEEEEPiiNS8_4plusIiEEEE10hipError_tPvRmT1_T2_T3_mT4_P12ihipStream_tbEUlT_E1_NS1_11comp_targetILNS1_3genE10ELNS1_11target_archE1200ELNS1_3gpuE4ELNS1_3repE0EEENS1_30default_config_static_selectorELNS0_4arch9wavefront6targetE1EEEvSL_
	.globl	_ZN7rocprim17ROCPRIM_400000_NS6detail17trampoline_kernelINS0_14default_configENS1_22reduce_config_selectorIiEEZNS1_11reduce_implILb1ES3_N6thrust23THRUST_200600_302600_NS11hip_rocprim35transform_pair_of_input_iterators_tIiPaSB_NS8_12not_equal_toIaEEEEPiiNS8_4plusIiEEEE10hipError_tPvRmT1_T2_T3_mT4_P12ihipStream_tbEUlT_E1_NS1_11comp_targetILNS1_3genE10ELNS1_11target_archE1200ELNS1_3gpuE4ELNS1_3repE0EEENS1_30default_config_static_selectorELNS0_4arch9wavefront6targetE1EEEvSL_
	.p2align	8
	.type	_ZN7rocprim17ROCPRIM_400000_NS6detail17trampoline_kernelINS0_14default_configENS1_22reduce_config_selectorIiEEZNS1_11reduce_implILb1ES3_N6thrust23THRUST_200600_302600_NS11hip_rocprim35transform_pair_of_input_iterators_tIiPaSB_NS8_12not_equal_toIaEEEEPiiNS8_4plusIiEEEE10hipError_tPvRmT1_T2_T3_mT4_P12ihipStream_tbEUlT_E1_NS1_11comp_targetILNS1_3genE10ELNS1_11target_archE1200ELNS1_3gpuE4ELNS1_3repE0EEENS1_30default_config_static_selectorELNS0_4arch9wavefront6targetE1EEEvSL_,@function
_ZN7rocprim17ROCPRIM_400000_NS6detail17trampoline_kernelINS0_14default_configENS1_22reduce_config_selectorIiEEZNS1_11reduce_implILb1ES3_N6thrust23THRUST_200600_302600_NS11hip_rocprim35transform_pair_of_input_iterators_tIiPaSB_NS8_12not_equal_toIaEEEEPiiNS8_4plusIiEEEE10hipError_tPvRmT1_T2_T3_mT4_P12ihipStream_tbEUlT_E1_NS1_11comp_targetILNS1_3genE10ELNS1_11target_archE1200ELNS1_3gpuE4ELNS1_3repE0EEENS1_30default_config_static_selectorELNS0_4arch9wavefront6targetE1EEEvSL_: ; @_ZN7rocprim17ROCPRIM_400000_NS6detail17trampoline_kernelINS0_14default_configENS1_22reduce_config_selectorIiEEZNS1_11reduce_implILb1ES3_N6thrust23THRUST_200600_302600_NS11hip_rocprim35transform_pair_of_input_iterators_tIiPaSB_NS8_12not_equal_toIaEEEEPiiNS8_4plusIiEEEE10hipError_tPvRmT1_T2_T3_mT4_P12ihipStream_tbEUlT_E1_NS1_11comp_targetILNS1_3genE10ELNS1_11target_archE1200ELNS1_3gpuE4ELNS1_3repE0EEENS1_30default_config_static_selectorELNS0_4arch9wavefront6targetE1EEEvSL_
; %bb.0:
	.section	.rodata,"a",@progbits
	.p2align	6, 0x0
	.amdhsa_kernel _ZN7rocprim17ROCPRIM_400000_NS6detail17trampoline_kernelINS0_14default_configENS1_22reduce_config_selectorIiEEZNS1_11reduce_implILb1ES3_N6thrust23THRUST_200600_302600_NS11hip_rocprim35transform_pair_of_input_iterators_tIiPaSB_NS8_12not_equal_toIaEEEEPiiNS8_4plusIiEEEE10hipError_tPvRmT1_T2_T3_mT4_P12ihipStream_tbEUlT_E1_NS1_11comp_targetILNS1_3genE10ELNS1_11target_archE1200ELNS1_3gpuE4ELNS1_3repE0EEENS1_30default_config_static_selectorELNS0_4arch9wavefront6targetE1EEEvSL_
		.amdhsa_group_segment_fixed_size 0
		.amdhsa_private_segment_fixed_size 0
		.amdhsa_kernarg_size 56
		.amdhsa_user_sgpr_count 6
		.amdhsa_user_sgpr_private_segment_buffer 1
		.amdhsa_user_sgpr_dispatch_ptr 0
		.amdhsa_user_sgpr_queue_ptr 0
		.amdhsa_user_sgpr_kernarg_segment_ptr 1
		.amdhsa_user_sgpr_dispatch_id 0
		.amdhsa_user_sgpr_flat_scratch_init 0
		.amdhsa_user_sgpr_private_segment_size 0
		.amdhsa_uses_dynamic_stack 0
		.amdhsa_system_sgpr_private_segment_wavefront_offset 0
		.amdhsa_system_sgpr_workgroup_id_x 1
		.amdhsa_system_sgpr_workgroup_id_y 0
		.amdhsa_system_sgpr_workgroup_id_z 0
		.amdhsa_system_sgpr_workgroup_info 0
		.amdhsa_system_vgpr_workitem_id 0
		.amdhsa_next_free_vgpr 1
		.amdhsa_next_free_sgpr 0
		.amdhsa_reserve_vcc 0
		.amdhsa_reserve_flat_scratch 0
		.amdhsa_float_round_mode_32 0
		.amdhsa_float_round_mode_16_64 0
		.amdhsa_float_denorm_mode_32 3
		.amdhsa_float_denorm_mode_16_64 3
		.amdhsa_dx10_clamp 1
		.amdhsa_ieee_mode 1
		.amdhsa_fp16_overflow 0
		.amdhsa_exception_fp_ieee_invalid_op 0
		.amdhsa_exception_fp_denorm_src 0
		.amdhsa_exception_fp_ieee_div_zero 0
		.amdhsa_exception_fp_ieee_overflow 0
		.amdhsa_exception_fp_ieee_underflow 0
		.amdhsa_exception_fp_ieee_inexact 0
		.amdhsa_exception_int_div_zero 0
	.end_amdhsa_kernel
	.section	.text._ZN7rocprim17ROCPRIM_400000_NS6detail17trampoline_kernelINS0_14default_configENS1_22reduce_config_selectorIiEEZNS1_11reduce_implILb1ES3_N6thrust23THRUST_200600_302600_NS11hip_rocprim35transform_pair_of_input_iterators_tIiPaSB_NS8_12not_equal_toIaEEEEPiiNS8_4plusIiEEEE10hipError_tPvRmT1_T2_T3_mT4_P12ihipStream_tbEUlT_E1_NS1_11comp_targetILNS1_3genE10ELNS1_11target_archE1200ELNS1_3gpuE4ELNS1_3repE0EEENS1_30default_config_static_selectorELNS0_4arch9wavefront6targetE1EEEvSL_,"axG",@progbits,_ZN7rocprim17ROCPRIM_400000_NS6detail17trampoline_kernelINS0_14default_configENS1_22reduce_config_selectorIiEEZNS1_11reduce_implILb1ES3_N6thrust23THRUST_200600_302600_NS11hip_rocprim35transform_pair_of_input_iterators_tIiPaSB_NS8_12not_equal_toIaEEEEPiiNS8_4plusIiEEEE10hipError_tPvRmT1_T2_T3_mT4_P12ihipStream_tbEUlT_E1_NS1_11comp_targetILNS1_3genE10ELNS1_11target_archE1200ELNS1_3gpuE4ELNS1_3repE0EEENS1_30default_config_static_selectorELNS0_4arch9wavefront6targetE1EEEvSL_,comdat
.Lfunc_end669:
	.size	_ZN7rocprim17ROCPRIM_400000_NS6detail17trampoline_kernelINS0_14default_configENS1_22reduce_config_selectorIiEEZNS1_11reduce_implILb1ES3_N6thrust23THRUST_200600_302600_NS11hip_rocprim35transform_pair_of_input_iterators_tIiPaSB_NS8_12not_equal_toIaEEEEPiiNS8_4plusIiEEEE10hipError_tPvRmT1_T2_T3_mT4_P12ihipStream_tbEUlT_E1_NS1_11comp_targetILNS1_3genE10ELNS1_11target_archE1200ELNS1_3gpuE4ELNS1_3repE0EEENS1_30default_config_static_selectorELNS0_4arch9wavefront6targetE1EEEvSL_, .Lfunc_end669-_ZN7rocprim17ROCPRIM_400000_NS6detail17trampoline_kernelINS0_14default_configENS1_22reduce_config_selectorIiEEZNS1_11reduce_implILb1ES3_N6thrust23THRUST_200600_302600_NS11hip_rocprim35transform_pair_of_input_iterators_tIiPaSB_NS8_12not_equal_toIaEEEEPiiNS8_4plusIiEEEE10hipError_tPvRmT1_T2_T3_mT4_P12ihipStream_tbEUlT_E1_NS1_11comp_targetILNS1_3genE10ELNS1_11target_archE1200ELNS1_3gpuE4ELNS1_3repE0EEENS1_30default_config_static_selectorELNS0_4arch9wavefront6targetE1EEEvSL_
                                        ; -- End function
	.set _ZN7rocprim17ROCPRIM_400000_NS6detail17trampoline_kernelINS0_14default_configENS1_22reduce_config_selectorIiEEZNS1_11reduce_implILb1ES3_N6thrust23THRUST_200600_302600_NS11hip_rocprim35transform_pair_of_input_iterators_tIiPaSB_NS8_12not_equal_toIaEEEEPiiNS8_4plusIiEEEE10hipError_tPvRmT1_T2_T3_mT4_P12ihipStream_tbEUlT_E1_NS1_11comp_targetILNS1_3genE10ELNS1_11target_archE1200ELNS1_3gpuE4ELNS1_3repE0EEENS1_30default_config_static_selectorELNS0_4arch9wavefront6targetE1EEEvSL_.num_vgpr, 0
	.set _ZN7rocprim17ROCPRIM_400000_NS6detail17trampoline_kernelINS0_14default_configENS1_22reduce_config_selectorIiEEZNS1_11reduce_implILb1ES3_N6thrust23THRUST_200600_302600_NS11hip_rocprim35transform_pair_of_input_iterators_tIiPaSB_NS8_12not_equal_toIaEEEEPiiNS8_4plusIiEEEE10hipError_tPvRmT1_T2_T3_mT4_P12ihipStream_tbEUlT_E1_NS1_11comp_targetILNS1_3genE10ELNS1_11target_archE1200ELNS1_3gpuE4ELNS1_3repE0EEENS1_30default_config_static_selectorELNS0_4arch9wavefront6targetE1EEEvSL_.num_agpr, 0
	.set _ZN7rocprim17ROCPRIM_400000_NS6detail17trampoline_kernelINS0_14default_configENS1_22reduce_config_selectorIiEEZNS1_11reduce_implILb1ES3_N6thrust23THRUST_200600_302600_NS11hip_rocprim35transform_pair_of_input_iterators_tIiPaSB_NS8_12not_equal_toIaEEEEPiiNS8_4plusIiEEEE10hipError_tPvRmT1_T2_T3_mT4_P12ihipStream_tbEUlT_E1_NS1_11comp_targetILNS1_3genE10ELNS1_11target_archE1200ELNS1_3gpuE4ELNS1_3repE0EEENS1_30default_config_static_selectorELNS0_4arch9wavefront6targetE1EEEvSL_.numbered_sgpr, 0
	.set _ZN7rocprim17ROCPRIM_400000_NS6detail17trampoline_kernelINS0_14default_configENS1_22reduce_config_selectorIiEEZNS1_11reduce_implILb1ES3_N6thrust23THRUST_200600_302600_NS11hip_rocprim35transform_pair_of_input_iterators_tIiPaSB_NS8_12not_equal_toIaEEEEPiiNS8_4plusIiEEEE10hipError_tPvRmT1_T2_T3_mT4_P12ihipStream_tbEUlT_E1_NS1_11comp_targetILNS1_3genE10ELNS1_11target_archE1200ELNS1_3gpuE4ELNS1_3repE0EEENS1_30default_config_static_selectorELNS0_4arch9wavefront6targetE1EEEvSL_.num_named_barrier, 0
	.set _ZN7rocprim17ROCPRIM_400000_NS6detail17trampoline_kernelINS0_14default_configENS1_22reduce_config_selectorIiEEZNS1_11reduce_implILb1ES3_N6thrust23THRUST_200600_302600_NS11hip_rocprim35transform_pair_of_input_iterators_tIiPaSB_NS8_12not_equal_toIaEEEEPiiNS8_4plusIiEEEE10hipError_tPvRmT1_T2_T3_mT4_P12ihipStream_tbEUlT_E1_NS1_11comp_targetILNS1_3genE10ELNS1_11target_archE1200ELNS1_3gpuE4ELNS1_3repE0EEENS1_30default_config_static_selectorELNS0_4arch9wavefront6targetE1EEEvSL_.private_seg_size, 0
	.set _ZN7rocprim17ROCPRIM_400000_NS6detail17trampoline_kernelINS0_14default_configENS1_22reduce_config_selectorIiEEZNS1_11reduce_implILb1ES3_N6thrust23THRUST_200600_302600_NS11hip_rocprim35transform_pair_of_input_iterators_tIiPaSB_NS8_12not_equal_toIaEEEEPiiNS8_4plusIiEEEE10hipError_tPvRmT1_T2_T3_mT4_P12ihipStream_tbEUlT_E1_NS1_11comp_targetILNS1_3genE10ELNS1_11target_archE1200ELNS1_3gpuE4ELNS1_3repE0EEENS1_30default_config_static_selectorELNS0_4arch9wavefront6targetE1EEEvSL_.uses_vcc, 0
	.set _ZN7rocprim17ROCPRIM_400000_NS6detail17trampoline_kernelINS0_14default_configENS1_22reduce_config_selectorIiEEZNS1_11reduce_implILb1ES3_N6thrust23THRUST_200600_302600_NS11hip_rocprim35transform_pair_of_input_iterators_tIiPaSB_NS8_12not_equal_toIaEEEEPiiNS8_4plusIiEEEE10hipError_tPvRmT1_T2_T3_mT4_P12ihipStream_tbEUlT_E1_NS1_11comp_targetILNS1_3genE10ELNS1_11target_archE1200ELNS1_3gpuE4ELNS1_3repE0EEENS1_30default_config_static_selectorELNS0_4arch9wavefront6targetE1EEEvSL_.uses_flat_scratch, 0
	.set _ZN7rocprim17ROCPRIM_400000_NS6detail17trampoline_kernelINS0_14default_configENS1_22reduce_config_selectorIiEEZNS1_11reduce_implILb1ES3_N6thrust23THRUST_200600_302600_NS11hip_rocprim35transform_pair_of_input_iterators_tIiPaSB_NS8_12not_equal_toIaEEEEPiiNS8_4plusIiEEEE10hipError_tPvRmT1_T2_T3_mT4_P12ihipStream_tbEUlT_E1_NS1_11comp_targetILNS1_3genE10ELNS1_11target_archE1200ELNS1_3gpuE4ELNS1_3repE0EEENS1_30default_config_static_selectorELNS0_4arch9wavefront6targetE1EEEvSL_.has_dyn_sized_stack, 0
	.set _ZN7rocprim17ROCPRIM_400000_NS6detail17trampoline_kernelINS0_14default_configENS1_22reduce_config_selectorIiEEZNS1_11reduce_implILb1ES3_N6thrust23THRUST_200600_302600_NS11hip_rocprim35transform_pair_of_input_iterators_tIiPaSB_NS8_12not_equal_toIaEEEEPiiNS8_4plusIiEEEE10hipError_tPvRmT1_T2_T3_mT4_P12ihipStream_tbEUlT_E1_NS1_11comp_targetILNS1_3genE10ELNS1_11target_archE1200ELNS1_3gpuE4ELNS1_3repE0EEENS1_30default_config_static_selectorELNS0_4arch9wavefront6targetE1EEEvSL_.has_recursion, 0
	.set _ZN7rocprim17ROCPRIM_400000_NS6detail17trampoline_kernelINS0_14default_configENS1_22reduce_config_selectorIiEEZNS1_11reduce_implILb1ES3_N6thrust23THRUST_200600_302600_NS11hip_rocprim35transform_pair_of_input_iterators_tIiPaSB_NS8_12not_equal_toIaEEEEPiiNS8_4plusIiEEEE10hipError_tPvRmT1_T2_T3_mT4_P12ihipStream_tbEUlT_E1_NS1_11comp_targetILNS1_3genE10ELNS1_11target_archE1200ELNS1_3gpuE4ELNS1_3repE0EEENS1_30default_config_static_selectorELNS0_4arch9wavefront6targetE1EEEvSL_.has_indirect_call, 0
	.section	.AMDGPU.csdata,"",@progbits
; Kernel info:
; codeLenInByte = 0
; TotalNumSgprs: 4
; NumVgprs: 0
; ScratchSize: 0
; MemoryBound: 0
; FloatMode: 240
; IeeeMode: 1
; LDSByteSize: 0 bytes/workgroup (compile time only)
; SGPRBlocks: 0
; VGPRBlocks: 0
; NumSGPRsForWavesPerEU: 4
; NumVGPRsForWavesPerEU: 1
; Occupancy: 10
; WaveLimiterHint : 0
; COMPUTE_PGM_RSRC2:SCRATCH_EN: 0
; COMPUTE_PGM_RSRC2:USER_SGPR: 6
; COMPUTE_PGM_RSRC2:TRAP_HANDLER: 0
; COMPUTE_PGM_RSRC2:TGID_X_EN: 1
; COMPUTE_PGM_RSRC2:TGID_Y_EN: 0
; COMPUTE_PGM_RSRC2:TGID_Z_EN: 0
; COMPUTE_PGM_RSRC2:TIDIG_COMP_CNT: 0
	.section	.text._ZN7rocprim17ROCPRIM_400000_NS6detail17trampoline_kernelINS0_14default_configENS1_22reduce_config_selectorIiEEZNS1_11reduce_implILb1ES3_N6thrust23THRUST_200600_302600_NS11hip_rocprim35transform_pair_of_input_iterators_tIiPaSB_NS8_12not_equal_toIaEEEEPiiNS8_4plusIiEEEE10hipError_tPvRmT1_T2_T3_mT4_P12ihipStream_tbEUlT_E1_NS1_11comp_targetILNS1_3genE9ELNS1_11target_archE1100ELNS1_3gpuE3ELNS1_3repE0EEENS1_30default_config_static_selectorELNS0_4arch9wavefront6targetE1EEEvSL_,"axG",@progbits,_ZN7rocprim17ROCPRIM_400000_NS6detail17trampoline_kernelINS0_14default_configENS1_22reduce_config_selectorIiEEZNS1_11reduce_implILb1ES3_N6thrust23THRUST_200600_302600_NS11hip_rocprim35transform_pair_of_input_iterators_tIiPaSB_NS8_12not_equal_toIaEEEEPiiNS8_4plusIiEEEE10hipError_tPvRmT1_T2_T3_mT4_P12ihipStream_tbEUlT_E1_NS1_11comp_targetILNS1_3genE9ELNS1_11target_archE1100ELNS1_3gpuE3ELNS1_3repE0EEENS1_30default_config_static_selectorELNS0_4arch9wavefront6targetE1EEEvSL_,comdat
	.protected	_ZN7rocprim17ROCPRIM_400000_NS6detail17trampoline_kernelINS0_14default_configENS1_22reduce_config_selectorIiEEZNS1_11reduce_implILb1ES3_N6thrust23THRUST_200600_302600_NS11hip_rocprim35transform_pair_of_input_iterators_tIiPaSB_NS8_12not_equal_toIaEEEEPiiNS8_4plusIiEEEE10hipError_tPvRmT1_T2_T3_mT4_P12ihipStream_tbEUlT_E1_NS1_11comp_targetILNS1_3genE9ELNS1_11target_archE1100ELNS1_3gpuE3ELNS1_3repE0EEENS1_30default_config_static_selectorELNS0_4arch9wavefront6targetE1EEEvSL_ ; -- Begin function _ZN7rocprim17ROCPRIM_400000_NS6detail17trampoline_kernelINS0_14default_configENS1_22reduce_config_selectorIiEEZNS1_11reduce_implILb1ES3_N6thrust23THRUST_200600_302600_NS11hip_rocprim35transform_pair_of_input_iterators_tIiPaSB_NS8_12not_equal_toIaEEEEPiiNS8_4plusIiEEEE10hipError_tPvRmT1_T2_T3_mT4_P12ihipStream_tbEUlT_E1_NS1_11comp_targetILNS1_3genE9ELNS1_11target_archE1100ELNS1_3gpuE3ELNS1_3repE0EEENS1_30default_config_static_selectorELNS0_4arch9wavefront6targetE1EEEvSL_
	.globl	_ZN7rocprim17ROCPRIM_400000_NS6detail17trampoline_kernelINS0_14default_configENS1_22reduce_config_selectorIiEEZNS1_11reduce_implILb1ES3_N6thrust23THRUST_200600_302600_NS11hip_rocprim35transform_pair_of_input_iterators_tIiPaSB_NS8_12not_equal_toIaEEEEPiiNS8_4plusIiEEEE10hipError_tPvRmT1_T2_T3_mT4_P12ihipStream_tbEUlT_E1_NS1_11comp_targetILNS1_3genE9ELNS1_11target_archE1100ELNS1_3gpuE3ELNS1_3repE0EEENS1_30default_config_static_selectorELNS0_4arch9wavefront6targetE1EEEvSL_
	.p2align	8
	.type	_ZN7rocprim17ROCPRIM_400000_NS6detail17trampoline_kernelINS0_14default_configENS1_22reduce_config_selectorIiEEZNS1_11reduce_implILb1ES3_N6thrust23THRUST_200600_302600_NS11hip_rocprim35transform_pair_of_input_iterators_tIiPaSB_NS8_12not_equal_toIaEEEEPiiNS8_4plusIiEEEE10hipError_tPvRmT1_T2_T3_mT4_P12ihipStream_tbEUlT_E1_NS1_11comp_targetILNS1_3genE9ELNS1_11target_archE1100ELNS1_3gpuE3ELNS1_3repE0EEENS1_30default_config_static_selectorELNS0_4arch9wavefront6targetE1EEEvSL_,@function
_ZN7rocprim17ROCPRIM_400000_NS6detail17trampoline_kernelINS0_14default_configENS1_22reduce_config_selectorIiEEZNS1_11reduce_implILb1ES3_N6thrust23THRUST_200600_302600_NS11hip_rocprim35transform_pair_of_input_iterators_tIiPaSB_NS8_12not_equal_toIaEEEEPiiNS8_4plusIiEEEE10hipError_tPvRmT1_T2_T3_mT4_P12ihipStream_tbEUlT_E1_NS1_11comp_targetILNS1_3genE9ELNS1_11target_archE1100ELNS1_3gpuE3ELNS1_3repE0EEENS1_30default_config_static_selectorELNS0_4arch9wavefront6targetE1EEEvSL_: ; @_ZN7rocprim17ROCPRIM_400000_NS6detail17trampoline_kernelINS0_14default_configENS1_22reduce_config_selectorIiEEZNS1_11reduce_implILb1ES3_N6thrust23THRUST_200600_302600_NS11hip_rocprim35transform_pair_of_input_iterators_tIiPaSB_NS8_12not_equal_toIaEEEEPiiNS8_4plusIiEEEE10hipError_tPvRmT1_T2_T3_mT4_P12ihipStream_tbEUlT_E1_NS1_11comp_targetILNS1_3genE9ELNS1_11target_archE1100ELNS1_3gpuE3ELNS1_3repE0EEENS1_30default_config_static_selectorELNS0_4arch9wavefront6targetE1EEEvSL_
; %bb.0:
	.section	.rodata,"a",@progbits
	.p2align	6, 0x0
	.amdhsa_kernel _ZN7rocprim17ROCPRIM_400000_NS6detail17trampoline_kernelINS0_14default_configENS1_22reduce_config_selectorIiEEZNS1_11reduce_implILb1ES3_N6thrust23THRUST_200600_302600_NS11hip_rocprim35transform_pair_of_input_iterators_tIiPaSB_NS8_12not_equal_toIaEEEEPiiNS8_4plusIiEEEE10hipError_tPvRmT1_T2_T3_mT4_P12ihipStream_tbEUlT_E1_NS1_11comp_targetILNS1_3genE9ELNS1_11target_archE1100ELNS1_3gpuE3ELNS1_3repE0EEENS1_30default_config_static_selectorELNS0_4arch9wavefront6targetE1EEEvSL_
		.amdhsa_group_segment_fixed_size 0
		.amdhsa_private_segment_fixed_size 0
		.amdhsa_kernarg_size 56
		.amdhsa_user_sgpr_count 6
		.amdhsa_user_sgpr_private_segment_buffer 1
		.amdhsa_user_sgpr_dispatch_ptr 0
		.amdhsa_user_sgpr_queue_ptr 0
		.amdhsa_user_sgpr_kernarg_segment_ptr 1
		.amdhsa_user_sgpr_dispatch_id 0
		.amdhsa_user_sgpr_flat_scratch_init 0
		.amdhsa_user_sgpr_private_segment_size 0
		.amdhsa_uses_dynamic_stack 0
		.amdhsa_system_sgpr_private_segment_wavefront_offset 0
		.amdhsa_system_sgpr_workgroup_id_x 1
		.amdhsa_system_sgpr_workgroup_id_y 0
		.amdhsa_system_sgpr_workgroup_id_z 0
		.amdhsa_system_sgpr_workgroup_info 0
		.amdhsa_system_vgpr_workitem_id 0
		.amdhsa_next_free_vgpr 1
		.amdhsa_next_free_sgpr 0
		.amdhsa_reserve_vcc 0
		.amdhsa_reserve_flat_scratch 0
		.amdhsa_float_round_mode_32 0
		.amdhsa_float_round_mode_16_64 0
		.amdhsa_float_denorm_mode_32 3
		.amdhsa_float_denorm_mode_16_64 3
		.amdhsa_dx10_clamp 1
		.amdhsa_ieee_mode 1
		.amdhsa_fp16_overflow 0
		.amdhsa_exception_fp_ieee_invalid_op 0
		.amdhsa_exception_fp_denorm_src 0
		.amdhsa_exception_fp_ieee_div_zero 0
		.amdhsa_exception_fp_ieee_overflow 0
		.amdhsa_exception_fp_ieee_underflow 0
		.amdhsa_exception_fp_ieee_inexact 0
		.amdhsa_exception_int_div_zero 0
	.end_amdhsa_kernel
	.section	.text._ZN7rocprim17ROCPRIM_400000_NS6detail17trampoline_kernelINS0_14default_configENS1_22reduce_config_selectorIiEEZNS1_11reduce_implILb1ES3_N6thrust23THRUST_200600_302600_NS11hip_rocprim35transform_pair_of_input_iterators_tIiPaSB_NS8_12not_equal_toIaEEEEPiiNS8_4plusIiEEEE10hipError_tPvRmT1_T2_T3_mT4_P12ihipStream_tbEUlT_E1_NS1_11comp_targetILNS1_3genE9ELNS1_11target_archE1100ELNS1_3gpuE3ELNS1_3repE0EEENS1_30default_config_static_selectorELNS0_4arch9wavefront6targetE1EEEvSL_,"axG",@progbits,_ZN7rocprim17ROCPRIM_400000_NS6detail17trampoline_kernelINS0_14default_configENS1_22reduce_config_selectorIiEEZNS1_11reduce_implILb1ES3_N6thrust23THRUST_200600_302600_NS11hip_rocprim35transform_pair_of_input_iterators_tIiPaSB_NS8_12not_equal_toIaEEEEPiiNS8_4plusIiEEEE10hipError_tPvRmT1_T2_T3_mT4_P12ihipStream_tbEUlT_E1_NS1_11comp_targetILNS1_3genE9ELNS1_11target_archE1100ELNS1_3gpuE3ELNS1_3repE0EEENS1_30default_config_static_selectorELNS0_4arch9wavefront6targetE1EEEvSL_,comdat
.Lfunc_end670:
	.size	_ZN7rocprim17ROCPRIM_400000_NS6detail17trampoline_kernelINS0_14default_configENS1_22reduce_config_selectorIiEEZNS1_11reduce_implILb1ES3_N6thrust23THRUST_200600_302600_NS11hip_rocprim35transform_pair_of_input_iterators_tIiPaSB_NS8_12not_equal_toIaEEEEPiiNS8_4plusIiEEEE10hipError_tPvRmT1_T2_T3_mT4_P12ihipStream_tbEUlT_E1_NS1_11comp_targetILNS1_3genE9ELNS1_11target_archE1100ELNS1_3gpuE3ELNS1_3repE0EEENS1_30default_config_static_selectorELNS0_4arch9wavefront6targetE1EEEvSL_, .Lfunc_end670-_ZN7rocprim17ROCPRIM_400000_NS6detail17trampoline_kernelINS0_14default_configENS1_22reduce_config_selectorIiEEZNS1_11reduce_implILb1ES3_N6thrust23THRUST_200600_302600_NS11hip_rocprim35transform_pair_of_input_iterators_tIiPaSB_NS8_12not_equal_toIaEEEEPiiNS8_4plusIiEEEE10hipError_tPvRmT1_T2_T3_mT4_P12ihipStream_tbEUlT_E1_NS1_11comp_targetILNS1_3genE9ELNS1_11target_archE1100ELNS1_3gpuE3ELNS1_3repE0EEENS1_30default_config_static_selectorELNS0_4arch9wavefront6targetE1EEEvSL_
                                        ; -- End function
	.set _ZN7rocprim17ROCPRIM_400000_NS6detail17trampoline_kernelINS0_14default_configENS1_22reduce_config_selectorIiEEZNS1_11reduce_implILb1ES3_N6thrust23THRUST_200600_302600_NS11hip_rocprim35transform_pair_of_input_iterators_tIiPaSB_NS8_12not_equal_toIaEEEEPiiNS8_4plusIiEEEE10hipError_tPvRmT1_T2_T3_mT4_P12ihipStream_tbEUlT_E1_NS1_11comp_targetILNS1_3genE9ELNS1_11target_archE1100ELNS1_3gpuE3ELNS1_3repE0EEENS1_30default_config_static_selectorELNS0_4arch9wavefront6targetE1EEEvSL_.num_vgpr, 0
	.set _ZN7rocprim17ROCPRIM_400000_NS6detail17trampoline_kernelINS0_14default_configENS1_22reduce_config_selectorIiEEZNS1_11reduce_implILb1ES3_N6thrust23THRUST_200600_302600_NS11hip_rocprim35transform_pair_of_input_iterators_tIiPaSB_NS8_12not_equal_toIaEEEEPiiNS8_4plusIiEEEE10hipError_tPvRmT1_T2_T3_mT4_P12ihipStream_tbEUlT_E1_NS1_11comp_targetILNS1_3genE9ELNS1_11target_archE1100ELNS1_3gpuE3ELNS1_3repE0EEENS1_30default_config_static_selectorELNS0_4arch9wavefront6targetE1EEEvSL_.num_agpr, 0
	.set _ZN7rocprim17ROCPRIM_400000_NS6detail17trampoline_kernelINS0_14default_configENS1_22reduce_config_selectorIiEEZNS1_11reduce_implILb1ES3_N6thrust23THRUST_200600_302600_NS11hip_rocprim35transform_pair_of_input_iterators_tIiPaSB_NS8_12not_equal_toIaEEEEPiiNS8_4plusIiEEEE10hipError_tPvRmT1_T2_T3_mT4_P12ihipStream_tbEUlT_E1_NS1_11comp_targetILNS1_3genE9ELNS1_11target_archE1100ELNS1_3gpuE3ELNS1_3repE0EEENS1_30default_config_static_selectorELNS0_4arch9wavefront6targetE1EEEvSL_.numbered_sgpr, 0
	.set _ZN7rocprim17ROCPRIM_400000_NS6detail17trampoline_kernelINS0_14default_configENS1_22reduce_config_selectorIiEEZNS1_11reduce_implILb1ES3_N6thrust23THRUST_200600_302600_NS11hip_rocprim35transform_pair_of_input_iterators_tIiPaSB_NS8_12not_equal_toIaEEEEPiiNS8_4plusIiEEEE10hipError_tPvRmT1_T2_T3_mT4_P12ihipStream_tbEUlT_E1_NS1_11comp_targetILNS1_3genE9ELNS1_11target_archE1100ELNS1_3gpuE3ELNS1_3repE0EEENS1_30default_config_static_selectorELNS0_4arch9wavefront6targetE1EEEvSL_.num_named_barrier, 0
	.set _ZN7rocprim17ROCPRIM_400000_NS6detail17trampoline_kernelINS0_14default_configENS1_22reduce_config_selectorIiEEZNS1_11reduce_implILb1ES3_N6thrust23THRUST_200600_302600_NS11hip_rocprim35transform_pair_of_input_iterators_tIiPaSB_NS8_12not_equal_toIaEEEEPiiNS8_4plusIiEEEE10hipError_tPvRmT1_T2_T3_mT4_P12ihipStream_tbEUlT_E1_NS1_11comp_targetILNS1_3genE9ELNS1_11target_archE1100ELNS1_3gpuE3ELNS1_3repE0EEENS1_30default_config_static_selectorELNS0_4arch9wavefront6targetE1EEEvSL_.private_seg_size, 0
	.set _ZN7rocprim17ROCPRIM_400000_NS6detail17trampoline_kernelINS0_14default_configENS1_22reduce_config_selectorIiEEZNS1_11reduce_implILb1ES3_N6thrust23THRUST_200600_302600_NS11hip_rocprim35transform_pair_of_input_iterators_tIiPaSB_NS8_12not_equal_toIaEEEEPiiNS8_4plusIiEEEE10hipError_tPvRmT1_T2_T3_mT4_P12ihipStream_tbEUlT_E1_NS1_11comp_targetILNS1_3genE9ELNS1_11target_archE1100ELNS1_3gpuE3ELNS1_3repE0EEENS1_30default_config_static_selectorELNS0_4arch9wavefront6targetE1EEEvSL_.uses_vcc, 0
	.set _ZN7rocprim17ROCPRIM_400000_NS6detail17trampoline_kernelINS0_14default_configENS1_22reduce_config_selectorIiEEZNS1_11reduce_implILb1ES3_N6thrust23THRUST_200600_302600_NS11hip_rocprim35transform_pair_of_input_iterators_tIiPaSB_NS8_12not_equal_toIaEEEEPiiNS8_4plusIiEEEE10hipError_tPvRmT1_T2_T3_mT4_P12ihipStream_tbEUlT_E1_NS1_11comp_targetILNS1_3genE9ELNS1_11target_archE1100ELNS1_3gpuE3ELNS1_3repE0EEENS1_30default_config_static_selectorELNS0_4arch9wavefront6targetE1EEEvSL_.uses_flat_scratch, 0
	.set _ZN7rocprim17ROCPRIM_400000_NS6detail17trampoline_kernelINS0_14default_configENS1_22reduce_config_selectorIiEEZNS1_11reduce_implILb1ES3_N6thrust23THRUST_200600_302600_NS11hip_rocprim35transform_pair_of_input_iterators_tIiPaSB_NS8_12not_equal_toIaEEEEPiiNS8_4plusIiEEEE10hipError_tPvRmT1_T2_T3_mT4_P12ihipStream_tbEUlT_E1_NS1_11comp_targetILNS1_3genE9ELNS1_11target_archE1100ELNS1_3gpuE3ELNS1_3repE0EEENS1_30default_config_static_selectorELNS0_4arch9wavefront6targetE1EEEvSL_.has_dyn_sized_stack, 0
	.set _ZN7rocprim17ROCPRIM_400000_NS6detail17trampoline_kernelINS0_14default_configENS1_22reduce_config_selectorIiEEZNS1_11reduce_implILb1ES3_N6thrust23THRUST_200600_302600_NS11hip_rocprim35transform_pair_of_input_iterators_tIiPaSB_NS8_12not_equal_toIaEEEEPiiNS8_4plusIiEEEE10hipError_tPvRmT1_T2_T3_mT4_P12ihipStream_tbEUlT_E1_NS1_11comp_targetILNS1_3genE9ELNS1_11target_archE1100ELNS1_3gpuE3ELNS1_3repE0EEENS1_30default_config_static_selectorELNS0_4arch9wavefront6targetE1EEEvSL_.has_recursion, 0
	.set _ZN7rocprim17ROCPRIM_400000_NS6detail17trampoline_kernelINS0_14default_configENS1_22reduce_config_selectorIiEEZNS1_11reduce_implILb1ES3_N6thrust23THRUST_200600_302600_NS11hip_rocprim35transform_pair_of_input_iterators_tIiPaSB_NS8_12not_equal_toIaEEEEPiiNS8_4plusIiEEEE10hipError_tPvRmT1_T2_T3_mT4_P12ihipStream_tbEUlT_E1_NS1_11comp_targetILNS1_3genE9ELNS1_11target_archE1100ELNS1_3gpuE3ELNS1_3repE0EEENS1_30default_config_static_selectorELNS0_4arch9wavefront6targetE1EEEvSL_.has_indirect_call, 0
	.section	.AMDGPU.csdata,"",@progbits
; Kernel info:
; codeLenInByte = 0
; TotalNumSgprs: 4
; NumVgprs: 0
; ScratchSize: 0
; MemoryBound: 0
; FloatMode: 240
; IeeeMode: 1
; LDSByteSize: 0 bytes/workgroup (compile time only)
; SGPRBlocks: 0
; VGPRBlocks: 0
; NumSGPRsForWavesPerEU: 4
; NumVGPRsForWavesPerEU: 1
; Occupancy: 10
; WaveLimiterHint : 0
; COMPUTE_PGM_RSRC2:SCRATCH_EN: 0
; COMPUTE_PGM_RSRC2:USER_SGPR: 6
; COMPUTE_PGM_RSRC2:TRAP_HANDLER: 0
; COMPUTE_PGM_RSRC2:TGID_X_EN: 1
; COMPUTE_PGM_RSRC2:TGID_Y_EN: 0
; COMPUTE_PGM_RSRC2:TGID_Z_EN: 0
; COMPUTE_PGM_RSRC2:TIDIG_COMP_CNT: 0
	.section	.text._ZN7rocprim17ROCPRIM_400000_NS6detail17trampoline_kernelINS0_14default_configENS1_22reduce_config_selectorIiEEZNS1_11reduce_implILb1ES3_N6thrust23THRUST_200600_302600_NS11hip_rocprim35transform_pair_of_input_iterators_tIiPaSB_NS8_12not_equal_toIaEEEEPiiNS8_4plusIiEEEE10hipError_tPvRmT1_T2_T3_mT4_P12ihipStream_tbEUlT_E1_NS1_11comp_targetILNS1_3genE8ELNS1_11target_archE1030ELNS1_3gpuE2ELNS1_3repE0EEENS1_30default_config_static_selectorELNS0_4arch9wavefront6targetE1EEEvSL_,"axG",@progbits,_ZN7rocprim17ROCPRIM_400000_NS6detail17trampoline_kernelINS0_14default_configENS1_22reduce_config_selectorIiEEZNS1_11reduce_implILb1ES3_N6thrust23THRUST_200600_302600_NS11hip_rocprim35transform_pair_of_input_iterators_tIiPaSB_NS8_12not_equal_toIaEEEEPiiNS8_4plusIiEEEE10hipError_tPvRmT1_T2_T3_mT4_P12ihipStream_tbEUlT_E1_NS1_11comp_targetILNS1_3genE8ELNS1_11target_archE1030ELNS1_3gpuE2ELNS1_3repE0EEENS1_30default_config_static_selectorELNS0_4arch9wavefront6targetE1EEEvSL_,comdat
	.protected	_ZN7rocprim17ROCPRIM_400000_NS6detail17trampoline_kernelINS0_14default_configENS1_22reduce_config_selectorIiEEZNS1_11reduce_implILb1ES3_N6thrust23THRUST_200600_302600_NS11hip_rocprim35transform_pair_of_input_iterators_tIiPaSB_NS8_12not_equal_toIaEEEEPiiNS8_4plusIiEEEE10hipError_tPvRmT1_T2_T3_mT4_P12ihipStream_tbEUlT_E1_NS1_11comp_targetILNS1_3genE8ELNS1_11target_archE1030ELNS1_3gpuE2ELNS1_3repE0EEENS1_30default_config_static_selectorELNS0_4arch9wavefront6targetE1EEEvSL_ ; -- Begin function _ZN7rocprim17ROCPRIM_400000_NS6detail17trampoline_kernelINS0_14default_configENS1_22reduce_config_selectorIiEEZNS1_11reduce_implILb1ES3_N6thrust23THRUST_200600_302600_NS11hip_rocprim35transform_pair_of_input_iterators_tIiPaSB_NS8_12not_equal_toIaEEEEPiiNS8_4plusIiEEEE10hipError_tPvRmT1_T2_T3_mT4_P12ihipStream_tbEUlT_E1_NS1_11comp_targetILNS1_3genE8ELNS1_11target_archE1030ELNS1_3gpuE2ELNS1_3repE0EEENS1_30default_config_static_selectorELNS0_4arch9wavefront6targetE1EEEvSL_
	.globl	_ZN7rocprim17ROCPRIM_400000_NS6detail17trampoline_kernelINS0_14default_configENS1_22reduce_config_selectorIiEEZNS1_11reduce_implILb1ES3_N6thrust23THRUST_200600_302600_NS11hip_rocprim35transform_pair_of_input_iterators_tIiPaSB_NS8_12not_equal_toIaEEEEPiiNS8_4plusIiEEEE10hipError_tPvRmT1_T2_T3_mT4_P12ihipStream_tbEUlT_E1_NS1_11comp_targetILNS1_3genE8ELNS1_11target_archE1030ELNS1_3gpuE2ELNS1_3repE0EEENS1_30default_config_static_selectorELNS0_4arch9wavefront6targetE1EEEvSL_
	.p2align	8
	.type	_ZN7rocprim17ROCPRIM_400000_NS6detail17trampoline_kernelINS0_14default_configENS1_22reduce_config_selectorIiEEZNS1_11reduce_implILb1ES3_N6thrust23THRUST_200600_302600_NS11hip_rocprim35transform_pair_of_input_iterators_tIiPaSB_NS8_12not_equal_toIaEEEEPiiNS8_4plusIiEEEE10hipError_tPvRmT1_T2_T3_mT4_P12ihipStream_tbEUlT_E1_NS1_11comp_targetILNS1_3genE8ELNS1_11target_archE1030ELNS1_3gpuE2ELNS1_3repE0EEENS1_30default_config_static_selectorELNS0_4arch9wavefront6targetE1EEEvSL_,@function
_ZN7rocprim17ROCPRIM_400000_NS6detail17trampoline_kernelINS0_14default_configENS1_22reduce_config_selectorIiEEZNS1_11reduce_implILb1ES3_N6thrust23THRUST_200600_302600_NS11hip_rocprim35transform_pair_of_input_iterators_tIiPaSB_NS8_12not_equal_toIaEEEEPiiNS8_4plusIiEEEE10hipError_tPvRmT1_T2_T3_mT4_P12ihipStream_tbEUlT_E1_NS1_11comp_targetILNS1_3genE8ELNS1_11target_archE1030ELNS1_3gpuE2ELNS1_3repE0EEENS1_30default_config_static_selectorELNS0_4arch9wavefront6targetE1EEEvSL_: ; @_ZN7rocprim17ROCPRIM_400000_NS6detail17trampoline_kernelINS0_14default_configENS1_22reduce_config_selectorIiEEZNS1_11reduce_implILb1ES3_N6thrust23THRUST_200600_302600_NS11hip_rocprim35transform_pair_of_input_iterators_tIiPaSB_NS8_12not_equal_toIaEEEEPiiNS8_4plusIiEEEE10hipError_tPvRmT1_T2_T3_mT4_P12ihipStream_tbEUlT_E1_NS1_11comp_targetILNS1_3genE8ELNS1_11target_archE1030ELNS1_3gpuE2ELNS1_3repE0EEENS1_30default_config_static_selectorELNS0_4arch9wavefront6targetE1EEEvSL_
; %bb.0:
	.section	.rodata,"a",@progbits
	.p2align	6, 0x0
	.amdhsa_kernel _ZN7rocprim17ROCPRIM_400000_NS6detail17trampoline_kernelINS0_14default_configENS1_22reduce_config_selectorIiEEZNS1_11reduce_implILb1ES3_N6thrust23THRUST_200600_302600_NS11hip_rocprim35transform_pair_of_input_iterators_tIiPaSB_NS8_12not_equal_toIaEEEEPiiNS8_4plusIiEEEE10hipError_tPvRmT1_T2_T3_mT4_P12ihipStream_tbEUlT_E1_NS1_11comp_targetILNS1_3genE8ELNS1_11target_archE1030ELNS1_3gpuE2ELNS1_3repE0EEENS1_30default_config_static_selectorELNS0_4arch9wavefront6targetE1EEEvSL_
		.amdhsa_group_segment_fixed_size 0
		.amdhsa_private_segment_fixed_size 0
		.amdhsa_kernarg_size 56
		.amdhsa_user_sgpr_count 6
		.amdhsa_user_sgpr_private_segment_buffer 1
		.amdhsa_user_sgpr_dispatch_ptr 0
		.amdhsa_user_sgpr_queue_ptr 0
		.amdhsa_user_sgpr_kernarg_segment_ptr 1
		.amdhsa_user_sgpr_dispatch_id 0
		.amdhsa_user_sgpr_flat_scratch_init 0
		.amdhsa_user_sgpr_private_segment_size 0
		.amdhsa_uses_dynamic_stack 0
		.amdhsa_system_sgpr_private_segment_wavefront_offset 0
		.amdhsa_system_sgpr_workgroup_id_x 1
		.amdhsa_system_sgpr_workgroup_id_y 0
		.amdhsa_system_sgpr_workgroup_id_z 0
		.amdhsa_system_sgpr_workgroup_info 0
		.amdhsa_system_vgpr_workitem_id 0
		.amdhsa_next_free_vgpr 1
		.amdhsa_next_free_sgpr 0
		.amdhsa_reserve_vcc 0
		.amdhsa_reserve_flat_scratch 0
		.amdhsa_float_round_mode_32 0
		.amdhsa_float_round_mode_16_64 0
		.amdhsa_float_denorm_mode_32 3
		.amdhsa_float_denorm_mode_16_64 3
		.amdhsa_dx10_clamp 1
		.amdhsa_ieee_mode 1
		.amdhsa_fp16_overflow 0
		.amdhsa_exception_fp_ieee_invalid_op 0
		.amdhsa_exception_fp_denorm_src 0
		.amdhsa_exception_fp_ieee_div_zero 0
		.amdhsa_exception_fp_ieee_overflow 0
		.amdhsa_exception_fp_ieee_underflow 0
		.amdhsa_exception_fp_ieee_inexact 0
		.amdhsa_exception_int_div_zero 0
	.end_amdhsa_kernel
	.section	.text._ZN7rocprim17ROCPRIM_400000_NS6detail17trampoline_kernelINS0_14default_configENS1_22reduce_config_selectorIiEEZNS1_11reduce_implILb1ES3_N6thrust23THRUST_200600_302600_NS11hip_rocprim35transform_pair_of_input_iterators_tIiPaSB_NS8_12not_equal_toIaEEEEPiiNS8_4plusIiEEEE10hipError_tPvRmT1_T2_T3_mT4_P12ihipStream_tbEUlT_E1_NS1_11comp_targetILNS1_3genE8ELNS1_11target_archE1030ELNS1_3gpuE2ELNS1_3repE0EEENS1_30default_config_static_selectorELNS0_4arch9wavefront6targetE1EEEvSL_,"axG",@progbits,_ZN7rocprim17ROCPRIM_400000_NS6detail17trampoline_kernelINS0_14default_configENS1_22reduce_config_selectorIiEEZNS1_11reduce_implILb1ES3_N6thrust23THRUST_200600_302600_NS11hip_rocprim35transform_pair_of_input_iterators_tIiPaSB_NS8_12not_equal_toIaEEEEPiiNS8_4plusIiEEEE10hipError_tPvRmT1_T2_T3_mT4_P12ihipStream_tbEUlT_E1_NS1_11comp_targetILNS1_3genE8ELNS1_11target_archE1030ELNS1_3gpuE2ELNS1_3repE0EEENS1_30default_config_static_selectorELNS0_4arch9wavefront6targetE1EEEvSL_,comdat
.Lfunc_end671:
	.size	_ZN7rocprim17ROCPRIM_400000_NS6detail17trampoline_kernelINS0_14default_configENS1_22reduce_config_selectorIiEEZNS1_11reduce_implILb1ES3_N6thrust23THRUST_200600_302600_NS11hip_rocprim35transform_pair_of_input_iterators_tIiPaSB_NS8_12not_equal_toIaEEEEPiiNS8_4plusIiEEEE10hipError_tPvRmT1_T2_T3_mT4_P12ihipStream_tbEUlT_E1_NS1_11comp_targetILNS1_3genE8ELNS1_11target_archE1030ELNS1_3gpuE2ELNS1_3repE0EEENS1_30default_config_static_selectorELNS0_4arch9wavefront6targetE1EEEvSL_, .Lfunc_end671-_ZN7rocprim17ROCPRIM_400000_NS6detail17trampoline_kernelINS0_14default_configENS1_22reduce_config_selectorIiEEZNS1_11reduce_implILb1ES3_N6thrust23THRUST_200600_302600_NS11hip_rocprim35transform_pair_of_input_iterators_tIiPaSB_NS8_12not_equal_toIaEEEEPiiNS8_4plusIiEEEE10hipError_tPvRmT1_T2_T3_mT4_P12ihipStream_tbEUlT_E1_NS1_11comp_targetILNS1_3genE8ELNS1_11target_archE1030ELNS1_3gpuE2ELNS1_3repE0EEENS1_30default_config_static_selectorELNS0_4arch9wavefront6targetE1EEEvSL_
                                        ; -- End function
	.set _ZN7rocprim17ROCPRIM_400000_NS6detail17trampoline_kernelINS0_14default_configENS1_22reduce_config_selectorIiEEZNS1_11reduce_implILb1ES3_N6thrust23THRUST_200600_302600_NS11hip_rocprim35transform_pair_of_input_iterators_tIiPaSB_NS8_12not_equal_toIaEEEEPiiNS8_4plusIiEEEE10hipError_tPvRmT1_T2_T3_mT4_P12ihipStream_tbEUlT_E1_NS1_11comp_targetILNS1_3genE8ELNS1_11target_archE1030ELNS1_3gpuE2ELNS1_3repE0EEENS1_30default_config_static_selectorELNS0_4arch9wavefront6targetE1EEEvSL_.num_vgpr, 0
	.set _ZN7rocprim17ROCPRIM_400000_NS6detail17trampoline_kernelINS0_14default_configENS1_22reduce_config_selectorIiEEZNS1_11reduce_implILb1ES3_N6thrust23THRUST_200600_302600_NS11hip_rocprim35transform_pair_of_input_iterators_tIiPaSB_NS8_12not_equal_toIaEEEEPiiNS8_4plusIiEEEE10hipError_tPvRmT1_T2_T3_mT4_P12ihipStream_tbEUlT_E1_NS1_11comp_targetILNS1_3genE8ELNS1_11target_archE1030ELNS1_3gpuE2ELNS1_3repE0EEENS1_30default_config_static_selectorELNS0_4arch9wavefront6targetE1EEEvSL_.num_agpr, 0
	.set _ZN7rocprim17ROCPRIM_400000_NS6detail17trampoline_kernelINS0_14default_configENS1_22reduce_config_selectorIiEEZNS1_11reduce_implILb1ES3_N6thrust23THRUST_200600_302600_NS11hip_rocprim35transform_pair_of_input_iterators_tIiPaSB_NS8_12not_equal_toIaEEEEPiiNS8_4plusIiEEEE10hipError_tPvRmT1_T2_T3_mT4_P12ihipStream_tbEUlT_E1_NS1_11comp_targetILNS1_3genE8ELNS1_11target_archE1030ELNS1_3gpuE2ELNS1_3repE0EEENS1_30default_config_static_selectorELNS0_4arch9wavefront6targetE1EEEvSL_.numbered_sgpr, 0
	.set _ZN7rocprim17ROCPRIM_400000_NS6detail17trampoline_kernelINS0_14default_configENS1_22reduce_config_selectorIiEEZNS1_11reduce_implILb1ES3_N6thrust23THRUST_200600_302600_NS11hip_rocprim35transform_pair_of_input_iterators_tIiPaSB_NS8_12not_equal_toIaEEEEPiiNS8_4plusIiEEEE10hipError_tPvRmT1_T2_T3_mT4_P12ihipStream_tbEUlT_E1_NS1_11comp_targetILNS1_3genE8ELNS1_11target_archE1030ELNS1_3gpuE2ELNS1_3repE0EEENS1_30default_config_static_selectorELNS0_4arch9wavefront6targetE1EEEvSL_.num_named_barrier, 0
	.set _ZN7rocprim17ROCPRIM_400000_NS6detail17trampoline_kernelINS0_14default_configENS1_22reduce_config_selectorIiEEZNS1_11reduce_implILb1ES3_N6thrust23THRUST_200600_302600_NS11hip_rocprim35transform_pair_of_input_iterators_tIiPaSB_NS8_12not_equal_toIaEEEEPiiNS8_4plusIiEEEE10hipError_tPvRmT1_T2_T3_mT4_P12ihipStream_tbEUlT_E1_NS1_11comp_targetILNS1_3genE8ELNS1_11target_archE1030ELNS1_3gpuE2ELNS1_3repE0EEENS1_30default_config_static_selectorELNS0_4arch9wavefront6targetE1EEEvSL_.private_seg_size, 0
	.set _ZN7rocprim17ROCPRIM_400000_NS6detail17trampoline_kernelINS0_14default_configENS1_22reduce_config_selectorIiEEZNS1_11reduce_implILb1ES3_N6thrust23THRUST_200600_302600_NS11hip_rocprim35transform_pair_of_input_iterators_tIiPaSB_NS8_12not_equal_toIaEEEEPiiNS8_4plusIiEEEE10hipError_tPvRmT1_T2_T3_mT4_P12ihipStream_tbEUlT_E1_NS1_11comp_targetILNS1_3genE8ELNS1_11target_archE1030ELNS1_3gpuE2ELNS1_3repE0EEENS1_30default_config_static_selectorELNS0_4arch9wavefront6targetE1EEEvSL_.uses_vcc, 0
	.set _ZN7rocprim17ROCPRIM_400000_NS6detail17trampoline_kernelINS0_14default_configENS1_22reduce_config_selectorIiEEZNS1_11reduce_implILb1ES3_N6thrust23THRUST_200600_302600_NS11hip_rocprim35transform_pair_of_input_iterators_tIiPaSB_NS8_12not_equal_toIaEEEEPiiNS8_4plusIiEEEE10hipError_tPvRmT1_T2_T3_mT4_P12ihipStream_tbEUlT_E1_NS1_11comp_targetILNS1_3genE8ELNS1_11target_archE1030ELNS1_3gpuE2ELNS1_3repE0EEENS1_30default_config_static_selectorELNS0_4arch9wavefront6targetE1EEEvSL_.uses_flat_scratch, 0
	.set _ZN7rocprim17ROCPRIM_400000_NS6detail17trampoline_kernelINS0_14default_configENS1_22reduce_config_selectorIiEEZNS1_11reduce_implILb1ES3_N6thrust23THRUST_200600_302600_NS11hip_rocprim35transform_pair_of_input_iterators_tIiPaSB_NS8_12not_equal_toIaEEEEPiiNS8_4plusIiEEEE10hipError_tPvRmT1_T2_T3_mT4_P12ihipStream_tbEUlT_E1_NS1_11comp_targetILNS1_3genE8ELNS1_11target_archE1030ELNS1_3gpuE2ELNS1_3repE0EEENS1_30default_config_static_selectorELNS0_4arch9wavefront6targetE1EEEvSL_.has_dyn_sized_stack, 0
	.set _ZN7rocprim17ROCPRIM_400000_NS6detail17trampoline_kernelINS0_14default_configENS1_22reduce_config_selectorIiEEZNS1_11reduce_implILb1ES3_N6thrust23THRUST_200600_302600_NS11hip_rocprim35transform_pair_of_input_iterators_tIiPaSB_NS8_12not_equal_toIaEEEEPiiNS8_4plusIiEEEE10hipError_tPvRmT1_T2_T3_mT4_P12ihipStream_tbEUlT_E1_NS1_11comp_targetILNS1_3genE8ELNS1_11target_archE1030ELNS1_3gpuE2ELNS1_3repE0EEENS1_30default_config_static_selectorELNS0_4arch9wavefront6targetE1EEEvSL_.has_recursion, 0
	.set _ZN7rocprim17ROCPRIM_400000_NS6detail17trampoline_kernelINS0_14default_configENS1_22reduce_config_selectorIiEEZNS1_11reduce_implILb1ES3_N6thrust23THRUST_200600_302600_NS11hip_rocprim35transform_pair_of_input_iterators_tIiPaSB_NS8_12not_equal_toIaEEEEPiiNS8_4plusIiEEEE10hipError_tPvRmT1_T2_T3_mT4_P12ihipStream_tbEUlT_E1_NS1_11comp_targetILNS1_3genE8ELNS1_11target_archE1030ELNS1_3gpuE2ELNS1_3repE0EEENS1_30default_config_static_selectorELNS0_4arch9wavefront6targetE1EEEvSL_.has_indirect_call, 0
	.section	.AMDGPU.csdata,"",@progbits
; Kernel info:
; codeLenInByte = 0
; TotalNumSgprs: 4
; NumVgprs: 0
; ScratchSize: 0
; MemoryBound: 0
; FloatMode: 240
; IeeeMode: 1
; LDSByteSize: 0 bytes/workgroup (compile time only)
; SGPRBlocks: 0
; VGPRBlocks: 0
; NumSGPRsForWavesPerEU: 4
; NumVGPRsForWavesPerEU: 1
; Occupancy: 10
; WaveLimiterHint : 0
; COMPUTE_PGM_RSRC2:SCRATCH_EN: 0
; COMPUTE_PGM_RSRC2:USER_SGPR: 6
; COMPUTE_PGM_RSRC2:TRAP_HANDLER: 0
; COMPUTE_PGM_RSRC2:TGID_X_EN: 1
; COMPUTE_PGM_RSRC2:TGID_Y_EN: 0
; COMPUTE_PGM_RSRC2:TGID_Z_EN: 0
; COMPUTE_PGM_RSRC2:TIDIG_COMP_CNT: 0
	.section	.text._ZN7rocprim17ROCPRIM_400000_NS6detail17trampoline_kernelINS0_14default_configENS1_29reduce_by_key_config_selectorIalN6thrust23THRUST_200600_302600_NS4plusIlEEEEZZNS1_33reduce_by_key_impl_wrapped_configILNS1_25lookback_scan_determinismE0ES3_S9_PaNS6_17constant_iteratorIiNS6_11use_defaultESE_EENS6_10device_ptrIaEENSG_IlEEPmS8_NS6_8equal_toIaEEEE10hipError_tPvRmT2_T3_mT4_T5_T6_T7_T8_P12ihipStream_tbENKUlT_T0_E_clISt17integral_constantIbLb0EES13_EEDaSY_SZ_EUlSY_E_NS1_11comp_targetILNS1_3genE0ELNS1_11target_archE4294967295ELNS1_3gpuE0ELNS1_3repE0EEENS1_30default_config_static_selectorELNS0_4arch9wavefront6targetE1EEEvT1_,"axG",@progbits,_ZN7rocprim17ROCPRIM_400000_NS6detail17trampoline_kernelINS0_14default_configENS1_29reduce_by_key_config_selectorIalN6thrust23THRUST_200600_302600_NS4plusIlEEEEZZNS1_33reduce_by_key_impl_wrapped_configILNS1_25lookback_scan_determinismE0ES3_S9_PaNS6_17constant_iteratorIiNS6_11use_defaultESE_EENS6_10device_ptrIaEENSG_IlEEPmS8_NS6_8equal_toIaEEEE10hipError_tPvRmT2_T3_mT4_T5_T6_T7_T8_P12ihipStream_tbENKUlT_T0_E_clISt17integral_constantIbLb0EES13_EEDaSY_SZ_EUlSY_E_NS1_11comp_targetILNS1_3genE0ELNS1_11target_archE4294967295ELNS1_3gpuE0ELNS1_3repE0EEENS1_30default_config_static_selectorELNS0_4arch9wavefront6targetE1EEEvT1_,comdat
	.protected	_ZN7rocprim17ROCPRIM_400000_NS6detail17trampoline_kernelINS0_14default_configENS1_29reduce_by_key_config_selectorIalN6thrust23THRUST_200600_302600_NS4plusIlEEEEZZNS1_33reduce_by_key_impl_wrapped_configILNS1_25lookback_scan_determinismE0ES3_S9_PaNS6_17constant_iteratorIiNS6_11use_defaultESE_EENS6_10device_ptrIaEENSG_IlEEPmS8_NS6_8equal_toIaEEEE10hipError_tPvRmT2_T3_mT4_T5_T6_T7_T8_P12ihipStream_tbENKUlT_T0_E_clISt17integral_constantIbLb0EES13_EEDaSY_SZ_EUlSY_E_NS1_11comp_targetILNS1_3genE0ELNS1_11target_archE4294967295ELNS1_3gpuE0ELNS1_3repE0EEENS1_30default_config_static_selectorELNS0_4arch9wavefront6targetE1EEEvT1_ ; -- Begin function _ZN7rocprim17ROCPRIM_400000_NS6detail17trampoline_kernelINS0_14default_configENS1_29reduce_by_key_config_selectorIalN6thrust23THRUST_200600_302600_NS4plusIlEEEEZZNS1_33reduce_by_key_impl_wrapped_configILNS1_25lookback_scan_determinismE0ES3_S9_PaNS6_17constant_iteratorIiNS6_11use_defaultESE_EENS6_10device_ptrIaEENSG_IlEEPmS8_NS6_8equal_toIaEEEE10hipError_tPvRmT2_T3_mT4_T5_T6_T7_T8_P12ihipStream_tbENKUlT_T0_E_clISt17integral_constantIbLb0EES13_EEDaSY_SZ_EUlSY_E_NS1_11comp_targetILNS1_3genE0ELNS1_11target_archE4294967295ELNS1_3gpuE0ELNS1_3repE0EEENS1_30default_config_static_selectorELNS0_4arch9wavefront6targetE1EEEvT1_
	.globl	_ZN7rocprim17ROCPRIM_400000_NS6detail17trampoline_kernelINS0_14default_configENS1_29reduce_by_key_config_selectorIalN6thrust23THRUST_200600_302600_NS4plusIlEEEEZZNS1_33reduce_by_key_impl_wrapped_configILNS1_25lookback_scan_determinismE0ES3_S9_PaNS6_17constant_iteratorIiNS6_11use_defaultESE_EENS6_10device_ptrIaEENSG_IlEEPmS8_NS6_8equal_toIaEEEE10hipError_tPvRmT2_T3_mT4_T5_T6_T7_T8_P12ihipStream_tbENKUlT_T0_E_clISt17integral_constantIbLb0EES13_EEDaSY_SZ_EUlSY_E_NS1_11comp_targetILNS1_3genE0ELNS1_11target_archE4294967295ELNS1_3gpuE0ELNS1_3repE0EEENS1_30default_config_static_selectorELNS0_4arch9wavefront6targetE1EEEvT1_
	.p2align	8
	.type	_ZN7rocprim17ROCPRIM_400000_NS6detail17trampoline_kernelINS0_14default_configENS1_29reduce_by_key_config_selectorIalN6thrust23THRUST_200600_302600_NS4plusIlEEEEZZNS1_33reduce_by_key_impl_wrapped_configILNS1_25lookback_scan_determinismE0ES3_S9_PaNS6_17constant_iteratorIiNS6_11use_defaultESE_EENS6_10device_ptrIaEENSG_IlEEPmS8_NS6_8equal_toIaEEEE10hipError_tPvRmT2_T3_mT4_T5_T6_T7_T8_P12ihipStream_tbENKUlT_T0_E_clISt17integral_constantIbLb0EES13_EEDaSY_SZ_EUlSY_E_NS1_11comp_targetILNS1_3genE0ELNS1_11target_archE4294967295ELNS1_3gpuE0ELNS1_3repE0EEENS1_30default_config_static_selectorELNS0_4arch9wavefront6targetE1EEEvT1_,@function
_ZN7rocprim17ROCPRIM_400000_NS6detail17trampoline_kernelINS0_14default_configENS1_29reduce_by_key_config_selectorIalN6thrust23THRUST_200600_302600_NS4plusIlEEEEZZNS1_33reduce_by_key_impl_wrapped_configILNS1_25lookback_scan_determinismE0ES3_S9_PaNS6_17constant_iteratorIiNS6_11use_defaultESE_EENS6_10device_ptrIaEENSG_IlEEPmS8_NS6_8equal_toIaEEEE10hipError_tPvRmT2_T3_mT4_T5_T6_T7_T8_P12ihipStream_tbENKUlT_T0_E_clISt17integral_constantIbLb0EES13_EEDaSY_SZ_EUlSY_E_NS1_11comp_targetILNS1_3genE0ELNS1_11target_archE4294967295ELNS1_3gpuE0ELNS1_3repE0EEENS1_30default_config_static_selectorELNS0_4arch9wavefront6targetE1EEEvT1_: ; @_ZN7rocprim17ROCPRIM_400000_NS6detail17trampoline_kernelINS0_14default_configENS1_29reduce_by_key_config_selectorIalN6thrust23THRUST_200600_302600_NS4plusIlEEEEZZNS1_33reduce_by_key_impl_wrapped_configILNS1_25lookback_scan_determinismE0ES3_S9_PaNS6_17constant_iteratorIiNS6_11use_defaultESE_EENS6_10device_ptrIaEENSG_IlEEPmS8_NS6_8equal_toIaEEEE10hipError_tPvRmT2_T3_mT4_T5_T6_T7_T8_P12ihipStream_tbENKUlT_T0_E_clISt17integral_constantIbLb0EES13_EEDaSY_SZ_EUlSY_E_NS1_11comp_targetILNS1_3genE0ELNS1_11target_archE4294967295ELNS1_3gpuE0ELNS1_3repE0EEENS1_30default_config_static_selectorELNS0_4arch9wavefront6targetE1EEEvT1_
; %bb.0:
	.section	.rodata,"a",@progbits
	.p2align	6, 0x0
	.amdhsa_kernel _ZN7rocprim17ROCPRIM_400000_NS6detail17trampoline_kernelINS0_14default_configENS1_29reduce_by_key_config_selectorIalN6thrust23THRUST_200600_302600_NS4plusIlEEEEZZNS1_33reduce_by_key_impl_wrapped_configILNS1_25lookback_scan_determinismE0ES3_S9_PaNS6_17constant_iteratorIiNS6_11use_defaultESE_EENS6_10device_ptrIaEENSG_IlEEPmS8_NS6_8equal_toIaEEEE10hipError_tPvRmT2_T3_mT4_T5_T6_T7_T8_P12ihipStream_tbENKUlT_T0_E_clISt17integral_constantIbLb0EES13_EEDaSY_SZ_EUlSY_E_NS1_11comp_targetILNS1_3genE0ELNS1_11target_archE4294967295ELNS1_3gpuE0ELNS1_3repE0EEENS1_30default_config_static_selectorELNS0_4arch9wavefront6targetE1EEEvT1_
		.amdhsa_group_segment_fixed_size 0
		.amdhsa_private_segment_fixed_size 0
		.amdhsa_kernarg_size 144
		.amdhsa_user_sgpr_count 6
		.amdhsa_user_sgpr_private_segment_buffer 1
		.amdhsa_user_sgpr_dispatch_ptr 0
		.amdhsa_user_sgpr_queue_ptr 0
		.amdhsa_user_sgpr_kernarg_segment_ptr 1
		.amdhsa_user_sgpr_dispatch_id 0
		.amdhsa_user_sgpr_flat_scratch_init 0
		.amdhsa_user_sgpr_private_segment_size 0
		.amdhsa_uses_dynamic_stack 0
		.amdhsa_system_sgpr_private_segment_wavefront_offset 0
		.amdhsa_system_sgpr_workgroup_id_x 1
		.amdhsa_system_sgpr_workgroup_id_y 0
		.amdhsa_system_sgpr_workgroup_id_z 0
		.amdhsa_system_sgpr_workgroup_info 0
		.amdhsa_system_vgpr_workitem_id 0
		.amdhsa_next_free_vgpr 1
		.amdhsa_next_free_sgpr 0
		.amdhsa_reserve_vcc 0
		.amdhsa_reserve_flat_scratch 0
		.amdhsa_float_round_mode_32 0
		.amdhsa_float_round_mode_16_64 0
		.amdhsa_float_denorm_mode_32 3
		.amdhsa_float_denorm_mode_16_64 3
		.amdhsa_dx10_clamp 1
		.amdhsa_ieee_mode 1
		.amdhsa_fp16_overflow 0
		.amdhsa_exception_fp_ieee_invalid_op 0
		.amdhsa_exception_fp_denorm_src 0
		.amdhsa_exception_fp_ieee_div_zero 0
		.amdhsa_exception_fp_ieee_overflow 0
		.amdhsa_exception_fp_ieee_underflow 0
		.amdhsa_exception_fp_ieee_inexact 0
		.amdhsa_exception_int_div_zero 0
	.end_amdhsa_kernel
	.section	.text._ZN7rocprim17ROCPRIM_400000_NS6detail17trampoline_kernelINS0_14default_configENS1_29reduce_by_key_config_selectorIalN6thrust23THRUST_200600_302600_NS4plusIlEEEEZZNS1_33reduce_by_key_impl_wrapped_configILNS1_25lookback_scan_determinismE0ES3_S9_PaNS6_17constant_iteratorIiNS6_11use_defaultESE_EENS6_10device_ptrIaEENSG_IlEEPmS8_NS6_8equal_toIaEEEE10hipError_tPvRmT2_T3_mT4_T5_T6_T7_T8_P12ihipStream_tbENKUlT_T0_E_clISt17integral_constantIbLb0EES13_EEDaSY_SZ_EUlSY_E_NS1_11comp_targetILNS1_3genE0ELNS1_11target_archE4294967295ELNS1_3gpuE0ELNS1_3repE0EEENS1_30default_config_static_selectorELNS0_4arch9wavefront6targetE1EEEvT1_,"axG",@progbits,_ZN7rocprim17ROCPRIM_400000_NS6detail17trampoline_kernelINS0_14default_configENS1_29reduce_by_key_config_selectorIalN6thrust23THRUST_200600_302600_NS4plusIlEEEEZZNS1_33reduce_by_key_impl_wrapped_configILNS1_25lookback_scan_determinismE0ES3_S9_PaNS6_17constant_iteratorIiNS6_11use_defaultESE_EENS6_10device_ptrIaEENSG_IlEEPmS8_NS6_8equal_toIaEEEE10hipError_tPvRmT2_T3_mT4_T5_T6_T7_T8_P12ihipStream_tbENKUlT_T0_E_clISt17integral_constantIbLb0EES13_EEDaSY_SZ_EUlSY_E_NS1_11comp_targetILNS1_3genE0ELNS1_11target_archE4294967295ELNS1_3gpuE0ELNS1_3repE0EEENS1_30default_config_static_selectorELNS0_4arch9wavefront6targetE1EEEvT1_,comdat
.Lfunc_end672:
	.size	_ZN7rocprim17ROCPRIM_400000_NS6detail17trampoline_kernelINS0_14default_configENS1_29reduce_by_key_config_selectorIalN6thrust23THRUST_200600_302600_NS4plusIlEEEEZZNS1_33reduce_by_key_impl_wrapped_configILNS1_25lookback_scan_determinismE0ES3_S9_PaNS6_17constant_iteratorIiNS6_11use_defaultESE_EENS6_10device_ptrIaEENSG_IlEEPmS8_NS6_8equal_toIaEEEE10hipError_tPvRmT2_T3_mT4_T5_T6_T7_T8_P12ihipStream_tbENKUlT_T0_E_clISt17integral_constantIbLb0EES13_EEDaSY_SZ_EUlSY_E_NS1_11comp_targetILNS1_3genE0ELNS1_11target_archE4294967295ELNS1_3gpuE0ELNS1_3repE0EEENS1_30default_config_static_selectorELNS0_4arch9wavefront6targetE1EEEvT1_, .Lfunc_end672-_ZN7rocprim17ROCPRIM_400000_NS6detail17trampoline_kernelINS0_14default_configENS1_29reduce_by_key_config_selectorIalN6thrust23THRUST_200600_302600_NS4plusIlEEEEZZNS1_33reduce_by_key_impl_wrapped_configILNS1_25lookback_scan_determinismE0ES3_S9_PaNS6_17constant_iteratorIiNS6_11use_defaultESE_EENS6_10device_ptrIaEENSG_IlEEPmS8_NS6_8equal_toIaEEEE10hipError_tPvRmT2_T3_mT4_T5_T6_T7_T8_P12ihipStream_tbENKUlT_T0_E_clISt17integral_constantIbLb0EES13_EEDaSY_SZ_EUlSY_E_NS1_11comp_targetILNS1_3genE0ELNS1_11target_archE4294967295ELNS1_3gpuE0ELNS1_3repE0EEENS1_30default_config_static_selectorELNS0_4arch9wavefront6targetE1EEEvT1_
                                        ; -- End function
	.set _ZN7rocprim17ROCPRIM_400000_NS6detail17trampoline_kernelINS0_14default_configENS1_29reduce_by_key_config_selectorIalN6thrust23THRUST_200600_302600_NS4plusIlEEEEZZNS1_33reduce_by_key_impl_wrapped_configILNS1_25lookback_scan_determinismE0ES3_S9_PaNS6_17constant_iteratorIiNS6_11use_defaultESE_EENS6_10device_ptrIaEENSG_IlEEPmS8_NS6_8equal_toIaEEEE10hipError_tPvRmT2_T3_mT4_T5_T6_T7_T8_P12ihipStream_tbENKUlT_T0_E_clISt17integral_constantIbLb0EES13_EEDaSY_SZ_EUlSY_E_NS1_11comp_targetILNS1_3genE0ELNS1_11target_archE4294967295ELNS1_3gpuE0ELNS1_3repE0EEENS1_30default_config_static_selectorELNS0_4arch9wavefront6targetE1EEEvT1_.num_vgpr, 0
	.set _ZN7rocprim17ROCPRIM_400000_NS6detail17trampoline_kernelINS0_14default_configENS1_29reduce_by_key_config_selectorIalN6thrust23THRUST_200600_302600_NS4plusIlEEEEZZNS1_33reduce_by_key_impl_wrapped_configILNS1_25lookback_scan_determinismE0ES3_S9_PaNS6_17constant_iteratorIiNS6_11use_defaultESE_EENS6_10device_ptrIaEENSG_IlEEPmS8_NS6_8equal_toIaEEEE10hipError_tPvRmT2_T3_mT4_T5_T6_T7_T8_P12ihipStream_tbENKUlT_T0_E_clISt17integral_constantIbLb0EES13_EEDaSY_SZ_EUlSY_E_NS1_11comp_targetILNS1_3genE0ELNS1_11target_archE4294967295ELNS1_3gpuE0ELNS1_3repE0EEENS1_30default_config_static_selectorELNS0_4arch9wavefront6targetE1EEEvT1_.num_agpr, 0
	.set _ZN7rocprim17ROCPRIM_400000_NS6detail17trampoline_kernelINS0_14default_configENS1_29reduce_by_key_config_selectorIalN6thrust23THRUST_200600_302600_NS4plusIlEEEEZZNS1_33reduce_by_key_impl_wrapped_configILNS1_25lookback_scan_determinismE0ES3_S9_PaNS6_17constant_iteratorIiNS6_11use_defaultESE_EENS6_10device_ptrIaEENSG_IlEEPmS8_NS6_8equal_toIaEEEE10hipError_tPvRmT2_T3_mT4_T5_T6_T7_T8_P12ihipStream_tbENKUlT_T0_E_clISt17integral_constantIbLb0EES13_EEDaSY_SZ_EUlSY_E_NS1_11comp_targetILNS1_3genE0ELNS1_11target_archE4294967295ELNS1_3gpuE0ELNS1_3repE0EEENS1_30default_config_static_selectorELNS0_4arch9wavefront6targetE1EEEvT1_.numbered_sgpr, 0
	.set _ZN7rocprim17ROCPRIM_400000_NS6detail17trampoline_kernelINS0_14default_configENS1_29reduce_by_key_config_selectorIalN6thrust23THRUST_200600_302600_NS4plusIlEEEEZZNS1_33reduce_by_key_impl_wrapped_configILNS1_25lookback_scan_determinismE0ES3_S9_PaNS6_17constant_iteratorIiNS6_11use_defaultESE_EENS6_10device_ptrIaEENSG_IlEEPmS8_NS6_8equal_toIaEEEE10hipError_tPvRmT2_T3_mT4_T5_T6_T7_T8_P12ihipStream_tbENKUlT_T0_E_clISt17integral_constantIbLb0EES13_EEDaSY_SZ_EUlSY_E_NS1_11comp_targetILNS1_3genE0ELNS1_11target_archE4294967295ELNS1_3gpuE0ELNS1_3repE0EEENS1_30default_config_static_selectorELNS0_4arch9wavefront6targetE1EEEvT1_.num_named_barrier, 0
	.set _ZN7rocprim17ROCPRIM_400000_NS6detail17trampoline_kernelINS0_14default_configENS1_29reduce_by_key_config_selectorIalN6thrust23THRUST_200600_302600_NS4plusIlEEEEZZNS1_33reduce_by_key_impl_wrapped_configILNS1_25lookback_scan_determinismE0ES3_S9_PaNS6_17constant_iteratorIiNS6_11use_defaultESE_EENS6_10device_ptrIaEENSG_IlEEPmS8_NS6_8equal_toIaEEEE10hipError_tPvRmT2_T3_mT4_T5_T6_T7_T8_P12ihipStream_tbENKUlT_T0_E_clISt17integral_constantIbLb0EES13_EEDaSY_SZ_EUlSY_E_NS1_11comp_targetILNS1_3genE0ELNS1_11target_archE4294967295ELNS1_3gpuE0ELNS1_3repE0EEENS1_30default_config_static_selectorELNS0_4arch9wavefront6targetE1EEEvT1_.private_seg_size, 0
	.set _ZN7rocprim17ROCPRIM_400000_NS6detail17trampoline_kernelINS0_14default_configENS1_29reduce_by_key_config_selectorIalN6thrust23THRUST_200600_302600_NS4plusIlEEEEZZNS1_33reduce_by_key_impl_wrapped_configILNS1_25lookback_scan_determinismE0ES3_S9_PaNS6_17constant_iteratorIiNS6_11use_defaultESE_EENS6_10device_ptrIaEENSG_IlEEPmS8_NS6_8equal_toIaEEEE10hipError_tPvRmT2_T3_mT4_T5_T6_T7_T8_P12ihipStream_tbENKUlT_T0_E_clISt17integral_constantIbLb0EES13_EEDaSY_SZ_EUlSY_E_NS1_11comp_targetILNS1_3genE0ELNS1_11target_archE4294967295ELNS1_3gpuE0ELNS1_3repE0EEENS1_30default_config_static_selectorELNS0_4arch9wavefront6targetE1EEEvT1_.uses_vcc, 0
	.set _ZN7rocprim17ROCPRIM_400000_NS6detail17trampoline_kernelINS0_14default_configENS1_29reduce_by_key_config_selectorIalN6thrust23THRUST_200600_302600_NS4plusIlEEEEZZNS1_33reduce_by_key_impl_wrapped_configILNS1_25lookback_scan_determinismE0ES3_S9_PaNS6_17constant_iteratorIiNS6_11use_defaultESE_EENS6_10device_ptrIaEENSG_IlEEPmS8_NS6_8equal_toIaEEEE10hipError_tPvRmT2_T3_mT4_T5_T6_T7_T8_P12ihipStream_tbENKUlT_T0_E_clISt17integral_constantIbLb0EES13_EEDaSY_SZ_EUlSY_E_NS1_11comp_targetILNS1_3genE0ELNS1_11target_archE4294967295ELNS1_3gpuE0ELNS1_3repE0EEENS1_30default_config_static_selectorELNS0_4arch9wavefront6targetE1EEEvT1_.uses_flat_scratch, 0
	.set _ZN7rocprim17ROCPRIM_400000_NS6detail17trampoline_kernelINS0_14default_configENS1_29reduce_by_key_config_selectorIalN6thrust23THRUST_200600_302600_NS4plusIlEEEEZZNS1_33reduce_by_key_impl_wrapped_configILNS1_25lookback_scan_determinismE0ES3_S9_PaNS6_17constant_iteratorIiNS6_11use_defaultESE_EENS6_10device_ptrIaEENSG_IlEEPmS8_NS6_8equal_toIaEEEE10hipError_tPvRmT2_T3_mT4_T5_T6_T7_T8_P12ihipStream_tbENKUlT_T0_E_clISt17integral_constantIbLb0EES13_EEDaSY_SZ_EUlSY_E_NS1_11comp_targetILNS1_3genE0ELNS1_11target_archE4294967295ELNS1_3gpuE0ELNS1_3repE0EEENS1_30default_config_static_selectorELNS0_4arch9wavefront6targetE1EEEvT1_.has_dyn_sized_stack, 0
	.set _ZN7rocprim17ROCPRIM_400000_NS6detail17trampoline_kernelINS0_14default_configENS1_29reduce_by_key_config_selectorIalN6thrust23THRUST_200600_302600_NS4plusIlEEEEZZNS1_33reduce_by_key_impl_wrapped_configILNS1_25lookback_scan_determinismE0ES3_S9_PaNS6_17constant_iteratorIiNS6_11use_defaultESE_EENS6_10device_ptrIaEENSG_IlEEPmS8_NS6_8equal_toIaEEEE10hipError_tPvRmT2_T3_mT4_T5_T6_T7_T8_P12ihipStream_tbENKUlT_T0_E_clISt17integral_constantIbLb0EES13_EEDaSY_SZ_EUlSY_E_NS1_11comp_targetILNS1_3genE0ELNS1_11target_archE4294967295ELNS1_3gpuE0ELNS1_3repE0EEENS1_30default_config_static_selectorELNS0_4arch9wavefront6targetE1EEEvT1_.has_recursion, 0
	.set _ZN7rocprim17ROCPRIM_400000_NS6detail17trampoline_kernelINS0_14default_configENS1_29reduce_by_key_config_selectorIalN6thrust23THRUST_200600_302600_NS4plusIlEEEEZZNS1_33reduce_by_key_impl_wrapped_configILNS1_25lookback_scan_determinismE0ES3_S9_PaNS6_17constant_iteratorIiNS6_11use_defaultESE_EENS6_10device_ptrIaEENSG_IlEEPmS8_NS6_8equal_toIaEEEE10hipError_tPvRmT2_T3_mT4_T5_T6_T7_T8_P12ihipStream_tbENKUlT_T0_E_clISt17integral_constantIbLb0EES13_EEDaSY_SZ_EUlSY_E_NS1_11comp_targetILNS1_3genE0ELNS1_11target_archE4294967295ELNS1_3gpuE0ELNS1_3repE0EEENS1_30default_config_static_selectorELNS0_4arch9wavefront6targetE1EEEvT1_.has_indirect_call, 0
	.section	.AMDGPU.csdata,"",@progbits
; Kernel info:
; codeLenInByte = 0
; TotalNumSgprs: 4
; NumVgprs: 0
; ScratchSize: 0
; MemoryBound: 0
; FloatMode: 240
; IeeeMode: 1
; LDSByteSize: 0 bytes/workgroup (compile time only)
; SGPRBlocks: 0
; VGPRBlocks: 0
; NumSGPRsForWavesPerEU: 4
; NumVGPRsForWavesPerEU: 1
; Occupancy: 10
; WaveLimiterHint : 0
; COMPUTE_PGM_RSRC2:SCRATCH_EN: 0
; COMPUTE_PGM_RSRC2:USER_SGPR: 6
; COMPUTE_PGM_RSRC2:TRAP_HANDLER: 0
; COMPUTE_PGM_RSRC2:TGID_X_EN: 1
; COMPUTE_PGM_RSRC2:TGID_Y_EN: 0
; COMPUTE_PGM_RSRC2:TGID_Z_EN: 0
; COMPUTE_PGM_RSRC2:TIDIG_COMP_CNT: 0
	.section	.text._ZN7rocprim17ROCPRIM_400000_NS6detail17trampoline_kernelINS0_14default_configENS1_29reduce_by_key_config_selectorIalN6thrust23THRUST_200600_302600_NS4plusIlEEEEZZNS1_33reduce_by_key_impl_wrapped_configILNS1_25lookback_scan_determinismE0ES3_S9_PaNS6_17constant_iteratorIiNS6_11use_defaultESE_EENS6_10device_ptrIaEENSG_IlEEPmS8_NS6_8equal_toIaEEEE10hipError_tPvRmT2_T3_mT4_T5_T6_T7_T8_P12ihipStream_tbENKUlT_T0_E_clISt17integral_constantIbLb0EES13_EEDaSY_SZ_EUlSY_E_NS1_11comp_targetILNS1_3genE5ELNS1_11target_archE942ELNS1_3gpuE9ELNS1_3repE0EEENS1_30default_config_static_selectorELNS0_4arch9wavefront6targetE1EEEvT1_,"axG",@progbits,_ZN7rocprim17ROCPRIM_400000_NS6detail17trampoline_kernelINS0_14default_configENS1_29reduce_by_key_config_selectorIalN6thrust23THRUST_200600_302600_NS4plusIlEEEEZZNS1_33reduce_by_key_impl_wrapped_configILNS1_25lookback_scan_determinismE0ES3_S9_PaNS6_17constant_iteratorIiNS6_11use_defaultESE_EENS6_10device_ptrIaEENSG_IlEEPmS8_NS6_8equal_toIaEEEE10hipError_tPvRmT2_T3_mT4_T5_T6_T7_T8_P12ihipStream_tbENKUlT_T0_E_clISt17integral_constantIbLb0EES13_EEDaSY_SZ_EUlSY_E_NS1_11comp_targetILNS1_3genE5ELNS1_11target_archE942ELNS1_3gpuE9ELNS1_3repE0EEENS1_30default_config_static_selectorELNS0_4arch9wavefront6targetE1EEEvT1_,comdat
	.protected	_ZN7rocprim17ROCPRIM_400000_NS6detail17trampoline_kernelINS0_14default_configENS1_29reduce_by_key_config_selectorIalN6thrust23THRUST_200600_302600_NS4plusIlEEEEZZNS1_33reduce_by_key_impl_wrapped_configILNS1_25lookback_scan_determinismE0ES3_S9_PaNS6_17constant_iteratorIiNS6_11use_defaultESE_EENS6_10device_ptrIaEENSG_IlEEPmS8_NS6_8equal_toIaEEEE10hipError_tPvRmT2_T3_mT4_T5_T6_T7_T8_P12ihipStream_tbENKUlT_T0_E_clISt17integral_constantIbLb0EES13_EEDaSY_SZ_EUlSY_E_NS1_11comp_targetILNS1_3genE5ELNS1_11target_archE942ELNS1_3gpuE9ELNS1_3repE0EEENS1_30default_config_static_selectorELNS0_4arch9wavefront6targetE1EEEvT1_ ; -- Begin function _ZN7rocprim17ROCPRIM_400000_NS6detail17trampoline_kernelINS0_14default_configENS1_29reduce_by_key_config_selectorIalN6thrust23THRUST_200600_302600_NS4plusIlEEEEZZNS1_33reduce_by_key_impl_wrapped_configILNS1_25lookback_scan_determinismE0ES3_S9_PaNS6_17constant_iteratorIiNS6_11use_defaultESE_EENS6_10device_ptrIaEENSG_IlEEPmS8_NS6_8equal_toIaEEEE10hipError_tPvRmT2_T3_mT4_T5_T6_T7_T8_P12ihipStream_tbENKUlT_T0_E_clISt17integral_constantIbLb0EES13_EEDaSY_SZ_EUlSY_E_NS1_11comp_targetILNS1_3genE5ELNS1_11target_archE942ELNS1_3gpuE9ELNS1_3repE0EEENS1_30default_config_static_selectorELNS0_4arch9wavefront6targetE1EEEvT1_
	.globl	_ZN7rocprim17ROCPRIM_400000_NS6detail17trampoline_kernelINS0_14default_configENS1_29reduce_by_key_config_selectorIalN6thrust23THRUST_200600_302600_NS4plusIlEEEEZZNS1_33reduce_by_key_impl_wrapped_configILNS1_25lookback_scan_determinismE0ES3_S9_PaNS6_17constant_iteratorIiNS6_11use_defaultESE_EENS6_10device_ptrIaEENSG_IlEEPmS8_NS6_8equal_toIaEEEE10hipError_tPvRmT2_T3_mT4_T5_T6_T7_T8_P12ihipStream_tbENKUlT_T0_E_clISt17integral_constantIbLb0EES13_EEDaSY_SZ_EUlSY_E_NS1_11comp_targetILNS1_3genE5ELNS1_11target_archE942ELNS1_3gpuE9ELNS1_3repE0EEENS1_30default_config_static_selectorELNS0_4arch9wavefront6targetE1EEEvT1_
	.p2align	8
	.type	_ZN7rocprim17ROCPRIM_400000_NS6detail17trampoline_kernelINS0_14default_configENS1_29reduce_by_key_config_selectorIalN6thrust23THRUST_200600_302600_NS4plusIlEEEEZZNS1_33reduce_by_key_impl_wrapped_configILNS1_25lookback_scan_determinismE0ES3_S9_PaNS6_17constant_iteratorIiNS6_11use_defaultESE_EENS6_10device_ptrIaEENSG_IlEEPmS8_NS6_8equal_toIaEEEE10hipError_tPvRmT2_T3_mT4_T5_T6_T7_T8_P12ihipStream_tbENKUlT_T0_E_clISt17integral_constantIbLb0EES13_EEDaSY_SZ_EUlSY_E_NS1_11comp_targetILNS1_3genE5ELNS1_11target_archE942ELNS1_3gpuE9ELNS1_3repE0EEENS1_30default_config_static_selectorELNS0_4arch9wavefront6targetE1EEEvT1_,@function
_ZN7rocprim17ROCPRIM_400000_NS6detail17trampoline_kernelINS0_14default_configENS1_29reduce_by_key_config_selectorIalN6thrust23THRUST_200600_302600_NS4plusIlEEEEZZNS1_33reduce_by_key_impl_wrapped_configILNS1_25lookback_scan_determinismE0ES3_S9_PaNS6_17constant_iteratorIiNS6_11use_defaultESE_EENS6_10device_ptrIaEENSG_IlEEPmS8_NS6_8equal_toIaEEEE10hipError_tPvRmT2_T3_mT4_T5_T6_T7_T8_P12ihipStream_tbENKUlT_T0_E_clISt17integral_constantIbLb0EES13_EEDaSY_SZ_EUlSY_E_NS1_11comp_targetILNS1_3genE5ELNS1_11target_archE942ELNS1_3gpuE9ELNS1_3repE0EEENS1_30default_config_static_selectorELNS0_4arch9wavefront6targetE1EEEvT1_: ; @_ZN7rocprim17ROCPRIM_400000_NS6detail17trampoline_kernelINS0_14default_configENS1_29reduce_by_key_config_selectorIalN6thrust23THRUST_200600_302600_NS4plusIlEEEEZZNS1_33reduce_by_key_impl_wrapped_configILNS1_25lookback_scan_determinismE0ES3_S9_PaNS6_17constant_iteratorIiNS6_11use_defaultESE_EENS6_10device_ptrIaEENSG_IlEEPmS8_NS6_8equal_toIaEEEE10hipError_tPvRmT2_T3_mT4_T5_T6_T7_T8_P12ihipStream_tbENKUlT_T0_E_clISt17integral_constantIbLb0EES13_EEDaSY_SZ_EUlSY_E_NS1_11comp_targetILNS1_3genE5ELNS1_11target_archE942ELNS1_3gpuE9ELNS1_3repE0EEENS1_30default_config_static_selectorELNS0_4arch9wavefront6targetE1EEEvT1_
; %bb.0:
	.section	.rodata,"a",@progbits
	.p2align	6, 0x0
	.amdhsa_kernel _ZN7rocprim17ROCPRIM_400000_NS6detail17trampoline_kernelINS0_14default_configENS1_29reduce_by_key_config_selectorIalN6thrust23THRUST_200600_302600_NS4plusIlEEEEZZNS1_33reduce_by_key_impl_wrapped_configILNS1_25lookback_scan_determinismE0ES3_S9_PaNS6_17constant_iteratorIiNS6_11use_defaultESE_EENS6_10device_ptrIaEENSG_IlEEPmS8_NS6_8equal_toIaEEEE10hipError_tPvRmT2_T3_mT4_T5_T6_T7_T8_P12ihipStream_tbENKUlT_T0_E_clISt17integral_constantIbLb0EES13_EEDaSY_SZ_EUlSY_E_NS1_11comp_targetILNS1_3genE5ELNS1_11target_archE942ELNS1_3gpuE9ELNS1_3repE0EEENS1_30default_config_static_selectorELNS0_4arch9wavefront6targetE1EEEvT1_
		.amdhsa_group_segment_fixed_size 0
		.amdhsa_private_segment_fixed_size 0
		.amdhsa_kernarg_size 144
		.amdhsa_user_sgpr_count 6
		.amdhsa_user_sgpr_private_segment_buffer 1
		.amdhsa_user_sgpr_dispatch_ptr 0
		.amdhsa_user_sgpr_queue_ptr 0
		.amdhsa_user_sgpr_kernarg_segment_ptr 1
		.amdhsa_user_sgpr_dispatch_id 0
		.amdhsa_user_sgpr_flat_scratch_init 0
		.amdhsa_user_sgpr_private_segment_size 0
		.amdhsa_uses_dynamic_stack 0
		.amdhsa_system_sgpr_private_segment_wavefront_offset 0
		.amdhsa_system_sgpr_workgroup_id_x 1
		.amdhsa_system_sgpr_workgroup_id_y 0
		.amdhsa_system_sgpr_workgroup_id_z 0
		.amdhsa_system_sgpr_workgroup_info 0
		.amdhsa_system_vgpr_workitem_id 0
		.amdhsa_next_free_vgpr 1
		.amdhsa_next_free_sgpr 0
		.amdhsa_reserve_vcc 0
		.amdhsa_reserve_flat_scratch 0
		.amdhsa_float_round_mode_32 0
		.amdhsa_float_round_mode_16_64 0
		.amdhsa_float_denorm_mode_32 3
		.amdhsa_float_denorm_mode_16_64 3
		.amdhsa_dx10_clamp 1
		.amdhsa_ieee_mode 1
		.amdhsa_fp16_overflow 0
		.amdhsa_exception_fp_ieee_invalid_op 0
		.amdhsa_exception_fp_denorm_src 0
		.amdhsa_exception_fp_ieee_div_zero 0
		.amdhsa_exception_fp_ieee_overflow 0
		.amdhsa_exception_fp_ieee_underflow 0
		.amdhsa_exception_fp_ieee_inexact 0
		.amdhsa_exception_int_div_zero 0
	.end_amdhsa_kernel
	.section	.text._ZN7rocprim17ROCPRIM_400000_NS6detail17trampoline_kernelINS0_14default_configENS1_29reduce_by_key_config_selectorIalN6thrust23THRUST_200600_302600_NS4plusIlEEEEZZNS1_33reduce_by_key_impl_wrapped_configILNS1_25lookback_scan_determinismE0ES3_S9_PaNS6_17constant_iteratorIiNS6_11use_defaultESE_EENS6_10device_ptrIaEENSG_IlEEPmS8_NS6_8equal_toIaEEEE10hipError_tPvRmT2_T3_mT4_T5_T6_T7_T8_P12ihipStream_tbENKUlT_T0_E_clISt17integral_constantIbLb0EES13_EEDaSY_SZ_EUlSY_E_NS1_11comp_targetILNS1_3genE5ELNS1_11target_archE942ELNS1_3gpuE9ELNS1_3repE0EEENS1_30default_config_static_selectorELNS0_4arch9wavefront6targetE1EEEvT1_,"axG",@progbits,_ZN7rocprim17ROCPRIM_400000_NS6detail17trampoline_kernelINS0_14default_configENS1_29reduce_by_key_config_selectorIalN6thrust23THRUST_200600_302600_NS4plusIlEEEEZZNS1_33reduce_by_key_impl_wrapped_configILNS1_25lookback_scan_determinismE0ES3_S9_PaNS6_17constant_iteratorIiNS6_11use_defaultESE_EENS6_10device_ptrIaEENSG_IlEEPmS8_NS6_8equal_toIaEEEE10hipError_tPvRmT2_T3_mT4_T5_T6_T7_T8_P12ihipStream_tbENKUlT_T0_E_clISt17integral_constantIbLb0EES13_EEDaSY_SZ_EUlSY_E_NS1_11comp_targetILNS1_3genE5ELNS1_11target_archE942ELNS1_3gpuE9ELNS1_3repE0EEENS1_30default_config_static_selectorELNS0_4arch9wavefront6targetE1EEEvT1_,comdat
.Lfunc_end673:
	.size	_ZN7rocprim17ROCPRIM_400000_NS6detail17trampoline_kernelINS0_14default_configENS1_29reduce_by_key_config_selectorIalN6thrust23THRUST_200600_302600_NS4plusIlEEEEZZNS1_33reduce_by_key_impl_wrapped_configILNS1_25lookback_scan_determinismE0ES3_S9_PaNS6_17constant_iteratorIiNS6_11use_defaultESE_EENS6_10device_ptrIaEENSG_IlEEPmS8_NS6_8equal_toIaEEEE10hipError_tPvRmT2_T3_mT4_T5_T6_T7_T8_P12ihipStream_tbENKUlT_T0_E_clISt17integral_constantIbLb0EES13_EEDaSY_SZ_EUlSY_E_NS1_11comp_targetILNS1_3genE5ELNS1_11target_archE942ELNS1_3gpuE9ELNS1_3repE0EEENS1_30default_config_static_selectorELNS0_4arch9wavefront6targetE1EEEvT1_, .Lfunc_end673-_ZN7rocprim17ROCPRIM_400000_NS6detail17trampoline_kernelINS0_14default_configENS1_29reduce_by_key_config_selectorIalN6thrust23THRUST_200600_302600_NS4plusIlEEEEZZNS1_33reduce_by_key_impl_wrapped_configILNS1_25lookback_scan_determinismE0ES3_S9_PaNS6_17constant_iteratorIiNS6_11use_defaultESE_EENS6_10device_ptrIaEENSG_IlEEPmS8_NS6_8equal_toIaEEEE10hipError_tPvRmT2_T3_mT4_T5_T6_T7_T8_P12ihipStream_tbENKUlT_T0_E_clISt17integral_constantIbLb0EES13_EEDaSY_SZ_EUlSY_E_NS1_11comp_targetILNS1_3genE5ELNS1_11target_archE942ELNS1_3gpuE9ELNS1_3repE0EEENS1_30default_config_static_selectorELNS0_4arch9wavefront6targetE1EEEvT1_
                                        ; -- End function
	.set _ZN7rocprim17ROCPRIM_400000_NS6detail17trampoline_kernelINS0_14default_configENS1_29reduce_by_key_config_selectorIalN6thrust23THRUST_200600_302600_NS4plusIlEEEEZZNS1_33reduce_by_key_impl_wrapped_configILNS1_25lookback_scan_determinismE0ES3_S9_PaNS6_17constant_iteratorIiNS6_11use_defaultESE_EENS6_10device_ptrIaEENSG_IlEEPmS8_NS6_8equal_toIaEEEE10hipError_tPvRmT2_T3_mT4_T5_T6_T7_T8_P12ihipStream_tbENKUlT_T0_E_clISt17integral_constantIbLb0EES13_EEDaSY_SZ_EUlSY_E_NS1_11comp_targetILNS1_3genE5ELNS1_11target_archE942ELNS1_3gpuE9ELNS1_3repE0EEENS1_30default_config_static_selectorELNS0_4arch9wavefront6targetE1EEEvT1_.num_vgpr, 0
	.set _ZN7rocprim17ROCPRIM_400000_NS6detail17trampoline_kernelINS0_14default_configENS1_29reduce_by_key_config_selectorIalN6thrust23THRUST_200600_302600_NS4plusIlEEEEZZNS1_33reduce_by_key_impl_wrapped_configILNS1_25lookback_scan_determinismE0ES3_S9_PaNS6_17constant_iteratorIiNS6_11use_defaultESE_EENS6_10device_ptrIaEENSG_IlEEPmS8_NS6_8equal_toIaEEEE10hipError_tPvRmT2_T3_mT4_T5_T6_T7_T8_P12ihipStream_tbENKUlT_T0_E_clISt17integral_constantIbLb0EES13_EEDaSY_SZ_EUlSY_E_NS1_11comp_targetILNS1_3genE5ELNS1_11target_archE942ELNS1_3gpuE9ELNS1_3repE0EEENS1_30default_config_static_selectorELNS0_4arch9wavefront6targetE1EEEvT1_.num_agpr, 0
	.set _ZN7rocprim17ROCPRIM_400000_NS6detail17trampoline_kernelINS0_14default_configENS1_29reduce_by_key_config_selectorIalN6thrust23THRUST_200600_302600_NS4plusIlEEEEZZNS1_33reduce_by_key_impl_wrapped_configILNS1_25lookback_scan_determinismE0ES3_S9_PaNS6_17constant_iteratorIiNS6_11use_defaultESE_EENS6_10device_ptrIaEENSG_IlEEPmS8_NS6_8equal_toIaEEEE10hipError_tPvRmT2_T3_mT4_T5_T6_T7_T8_P12ihipStream_tbENKUlT_T0_E_clISt17integral_constantIbLb0EES13_EEDaSY_SZ_EUlSY_E_NS1_11comp_targetILNS1_3genE5ELNS1_11target_archE942ELNS1_3gpuE9ELNS1_3repE0EEENS1_30default_config_static_selectorELNS0_4arch9wavefront6targetE1EEEvT1_.numbered_sgpr, 0
	.set _ZN7rocprim17ROCPRIM_400000_NS6detail17trampoline_kernelINS0_14default_configENS1_29reduce_by_key_config_selectorIalN6thrust23THRUST_200600_302600_NS4plusIlEEEEZZNS1_33reduce_by_key_impl_wrapped_configILNS1_25lookback_scan_determinismE0ES3_S9_PaNS6_17constant_iteratorIiNS6_11use_defaultESE_EENS6_10device_ptrIaEENSG_IlEEPmS8_NS6_8equal_toIaEEEE10hipError_tPvRmT2_T3_mT4_T5_T6_T7_T8_P12ihipStream_tbENKUlT_T0_E_clISt17integral_constantIbLb0EES13_EEDaSY_SZ_EUlSY_E_NS1_11comp_targetILNS1_3genE5ELNS1_11target_archE942ELNS1_3gpuE9ELNS1_3repE0EEENS1_30default_config_static_selectorELNS0_4arch9wavefront6targetE1EEEvT1_.num_named_barrier, 0
	.set _ZN7rocprim17ROCPRIM_400000_NS6detail17trampoline_kernelINS0_14default_configENS1_29reduce_by_key_config_selectorIalN6thrust23THRUST_200600_302600_NS4plusIlEEEEZZNS1_33reduce_by_key_impl_wrapped_configILNS1_25lookback_scan_determinismE0ES3_S9_PaNS6_17constant_iteratorIiNS6_11use_defaultESE_EENS6_10device_ptrIaEENSG_IlEEPmS8_NS6_8equal_toIaEEEE10hipError_tPvRmT2_T3_mT4_T5_T6_T7_T8_P12ihipStream_tbENKUlT_T0_E_clISt17integral_constantIbLb0EES13_EEDaSY_SZ_EUlSY_E_NS1_11comp_targetILNS1_3genE5ELNS1_11target_archE942ELNS1_3gpuE9ELNS1_3repE0EEENS1_30default_config_static_selectorELNS0_4arch9wavefront6targetE1EEEvT1_.private_seg_size, 0
	.set _ZN7rocprim17ROCPRIM_400000_NS6detail17trampoline_kernelINS0_14default_configENS1_29reduce_by_key_config_selectorIalN6thrust23THRUST_200600_302600_NS4plusIlEEEEZZNS1_33reduce_by_key_impl_wrapped_configILNS1_25lookback_scan_determinismE0ES3_S9_PaNS6_17constant_iteratorIiNS6_11use_defaultESE_EENS6_10device_ptrIaEENSG_IlEEPmS8_NS6_8equal_toIaEEEE10hipError_tPvRmT2_T3_mT4_T5_T6_T7_T8_P12ihipStream_tbENKUlT_T0_E_clISt17integral_constantIbLb0EES13_EEDaSY_SZ_EUlSY_E_NS1_11comp_targetILNS1_3genE5ELNS1_11target_archE942ELNS1_3gpuE9ELNS1_3repE0EEENS1_30default_config_static_selectorELNS0_4arch9wavefront6targetE1EEEvT1_.uses_vcc, 0
	.set _ZN7rocprim17ROCPRIM_400000_NS6detail17trampoline_kernelINS0_14default_configENS1_29reduce_by_key_config_selectorIalN6thrust23THRUST_200600_302600_NS4plusIlEEEEZZNS1_33reduce_by_key_impl_wrapped_configILNS1_25lookback_scan_determinismE0ES3_S9_PaNS6_17constant_iteratorIiNS6_11use_defaultESE_EENS6_10device_ptrIaEENSG_IlEEPmS8_NS6_8equal_toIaEEEE10hipError_tPvRmT2_T3_mT4_T5_T6_T7_T8_P12ihipStream_tbENKUlT_T0_E_clISt17integral_constantIbLb0EES13_EEDaSY_SZ_EUlSY_E_NS1_11comp_targetILNS1_3genE5ELNS1_11target_archE942ELNS1_3gpuE9ELNS1_3repE0EEENS1_30default_config_static_selectorELNS0_4arch9wavefront6targetE1EEEvT1_.uses_flat_scratch, 0
	.set _ZN7rocprim17ROCPRIM_400000_NS6detail17trampoline_kernelINS0_14default_configENS1_29reduce_by_key_config_selectorIalN6thrust23THRUST_200600_302600_NS4plusIlEEEEZZNS1_33reduce_by_key_impl_wrapped_configILNS1_25lookback_scan_determinismE0ES3_S9_PaNS6_17constant_iteratorIiNS6_11use_defaultESE_EENS6_10device_ptrIaEENSG_IlEEPmS8_NS6_8equal_toIaEEEE10hipError_tPvRmT2_T3_mT4_T5_T6_T7_T8_P12ihipStream_tbENKUlT_T0_E_clISt17integral_constantIbLb0EES13_EEDaSY_SZ_EUlSY_E_NS1_11comp_targetILNS1_3genE5ELNS1_11target_archE942ELNS1_3gpuE9ELNS1_3repE0EEENS1_30default_config_static_selectorELNS0_4arch9wavefront6targetE1EEEvT1_.has_dyn_sized_stack, 0
	.set _ZN7rocprim17ROCPRIM_400000_NS6detail17trampoline_kernelINS0_14default_configENS1_29reduce_by_key_config_selectorIalN6thrust23THRUST_200600_302600_NS4plusIlEEEEZZNS1_33reduce_by_key_impl_wrapped_configILNS1_25lookback_scan_determinismE0ES3_S9_PaNS6_17constant_iteratorIiNS6_11use_defaultESE_EENS6_10device_ptrIaEENSG_IlEEPmS8_NS6_8equal_toIaEEEE10hipError_tPvRmT2_T3_mT4_T5_T6_T7_T8_P12ihipStream_tbENKUlT_T0_E_clISt17integral_constantIbLb0EES13_EEDaSY_SZ_EUlSY_E_NS1_11comp_targetILNS1_3genE5ELNS1_11target_archE942ELNS1_3gpuE9ELNS1_3repE0EEENS1_30default_config_static_selectorELNS0_4arch9wavefront6targetE1EEEvT1_.has_recursion, 0
	.set _ZN7rocprim17ROCPRIM_400000_NS6detail17trampoline_kernelINS0_14default_configENS1_29reduce_by_key_config_selectorIalN6thrust23THRUST_200600_302600_NS4plusIlEEEEZZNS1_33reduce_by_key_impl_wrapped_configILNS1_25lookback_scan_determinismE0ES3_S9_PaNS6_17constant_iteratorIiNS6_11use_defaultESE_EENS6_10device_ptrIaEENSG_IlEEPmS8_NS6_8equal_toIaEEEE10hipError_tPvRmT2_T3_mT4_T5_T6_T7_T8_P12ihipStream_tbENKUlT_T0_E_clISt17integral_constantIbLb0EES13_EEDaSY_SZ_EUlSY_E_NS1_11comp_targetILNS1_3genE5ELNS1_11target_archE942ELNS1_3gpuE9ELNS1_3repE0EEENS1_30default_config_static_selectorELNS0_4arch9wavefront6targetE1EEEvT1_.has_indirect_call, 0
	.section	.AMDGPU.csdata,"",@progbits
; Kernel info:
; codeLenInByte = 0
; TotalNumSgprs: 4
; NumVgprs: 0
; ScratchSize: 0
; MemoryBound: 0
; FloatMode: 240
; IeeeMode: 1
; LDSByteSize: 0 bytes/workgroup (compile time only)
; SGPRBlocks: 0
; VGPRBlocks: 0
; NumSGPRsForWavesPerEU: 4
; NumVGPRsForWavesPerEU: 1
; Occupancy: 10
; WaveLimiterHint : 0
; COMPUTE_PGM_RSRC2:SCRATCH_EN: 0
; COMPUTE_PGM_RSRC2:USER_SGPR: 6
; COMPUTE_PGM_RSRC2:TRAP_HANDLER: 0
; COMPUTE_PGM_RSRC2:TGID_X_EN: 1
; COMPUTE_PGM_RSRC2:TGID_Y_EN: 0
; COMPUTE_PGM_RSRC2:TGID_Z_EN: 0
; COMPUTE_PGM_RSRC2:TIDIG_COMP_CNT: 0
	.section	.text._ZN7rocprim17ROCPRIM_400000_NS6detail17trampoline_kernelINS0_14default_configENS1_29reduce_by_key_config_selectorIalN6thrust23THRUST_200600_302600_NS4plusIlEEEEZZNS1_33reduce_by_key_impl_wrapped_configILNS1_25lookback_scan_determinismE0ES3_S9_PaNS6_17constant_iteratorIiNS6_11use_defaultESE_EENS6_10device_ptrIaEENSG_IlEEPmS8_NS6_8equal_toIaEEEE10hipError_tPvRmT2_T3_mT4_T5_T6_T7_T8_P12ihipStream_tbENKUlT_T0_E_clISt17integral_constantIbLb0EES13_EEDaSY_SZ_EUlSY_E_NS1_11comp_targetILNS1_3genE4ELNS1_11target_archE910ELNS1_3gpuE8ELNS1_3repE0EEENS1_30default_config_static_selectorELNS0_4arch9wavefront6targetE1EEEvT1_,"axG",@progbits,_ZN7rocprim17ROCPRIM_400000_NS6detail17trampoline_kernelINS0_14default_configENS1_29reduce_by_key_config_selectorIalN6thrust23THRUST_200600_302600_NS4plusIlEEEEZZNS1_33reduce_by_key_impl_wrapped_configILNS1_25lookback_scan_determinismE0ES3_S9_PaNS6_17constant_iteratorIiNS6_11use_defaultESE_EENS6_10device_ptrIaEENSG_IlEEPmS8_NS6_8equal_toIaEEEE10hipError_tPvRmT2_T3_mT4_T5_T6_T7_T8_P12ihipStream_tbENKUlT_T0_E_clISt17integral_constantIbLb0EES13_EEDaSY_SZ_EUlSY_E_NS1_11comp_targetILNS1_3genE4ELNS1_11target_archE910ELNS1_3gpuE8ELNS1_3repE0EEENS1_30default_config_static_selectorELNS0_4arch9wavefront6targetE1EEEvT1_,comdat
	.protected	_ZN7rocprim17ROCPRIM_400000_NS6detail17trampoline_kernelINS0_14default_configENS1_29reduce_by_key_config_selectorIalN6thrust23THRUST_200600_302600_NS4plusIlEEEEZZNS1_33reduce_by_key_impl_wrapped_configILNS1_25lookback_scan_determinismE0ES3_S9_PaNS6_17constant_iteratorIiNS6_11use_defaultESE_EENS6_10device_ptrIaEENSG_IlEEPmS8_NS6_8equal_toIaEEEE10hipError_tPvRmT2_T3_mT4_T5_T6_T7_T8_P12ihipStream_tbENKUlT_T0_E_clISt17integral_constantIbLb0EES13_EEDaSY_SZ_EUlSY_E_NS1_11comp_targetILNS1_3genE4ELNS1_11target_archE910ELNS1_3gpuE8ELNS1_3repE0EEENS1_30default_config_static_selectorELNS0_4arch9wavefront6targetE1EEEvT1_ ; -- Begin function _ZN7rocprim17ROCPRIM_400000_NS6detail17trampoline_kernelINS0_14default_configENS1_29reduce_by_key_config_selectorIalN6thrust23THRUST_200600_302600_NS4plusIlEEEEZZNS1_33reduce_by_key_impl_wrapped_configILNS1_25lookback_scan_determinismE0ES3_S9_PaNS6_17constant_iteratorIiNS6_11use_defaultESE_EENS6_10device_ptrIaEENSG_IlEEPmS8_NS6_8equal_toIaEEEE10hipError_tPvRmT2_T3_mT4_T5_T6_T7_T8_P12ihipStream_tbENKUlT_T0_E_clISt17integral_constantIbLb0EES13_EEDaSY_SZ_EUlSY_E_NS1_11comp_targetILNS1_3genE4ELNS1_11target_archE910ELNS1_3gpuE8ELNS1_3repE0EEENS1_30default_config_static_selectorELNS0_4arch9wavefront6targetE1EEEvT1_
	.globl	_ZN7rocprim17ROCPRIM_400000_NS6detail17trampoline_kernelINS0_14default_configENS1_29reduce_by_key_config_selectorIalN6thrust23THRUST_200600_302600_NS4plusIlEEEEZZNS1_33reduce_by_key_impl_wrapped_configILNS1_25lookback_scan_determinismE0ES3_S9_PaNS6_17constant_iteratorIiNS6_11use_defaultESE_EENS6_10device_ptrIaEENSG_IlEEPmS8_NS6_8equal_toIaEEEE10hipError_tPvRmT2_T3_mT4_T5_T6_T7_T8_P12ihipStream_tbENKUlT_T0_E_clISt17integral_constantIbLb0EES13_EEDaSY_SZ_EUlSY_E_NS1_11comp_targetILNS1_3genE4ELNS1_11target_archE910ELNS1_3gpuE8ELNS1_3repE0EEENS1_30default_config_static_selectorELNS0_4arch9wavefront6targetE1EEEvT1_
	.p2align	8
	.type	_ZN7rocprim17ROCPRIM_400000_NS6detail17trampoline_kernelINS0_14default_configENS1_29reduce_by_key_config_selectorIalN6thrust23THRUST_200600_302600_NS4plusIlEEEEZZNS1_33reduce_by_key_impl_wrapped_configILNS1_25lookback_scan_determinismE0ES3_S9_PaNS6_17constant_iteratorIiNS6_11use_defaultESE_EENS6_10device_ptrIaEENSG_IlEEPmS8_NS6_8equal_toIaEEEE10hipError_tPvRmT2_T3_mT4_T5_T6_T7_T8_P12ihipStream_tbENKUlT_T0_E_clISt17integral_constantIbLb0EES13_EEDaSY_SZ_EUlSY_E_NS1_11comp_targetILNS1_3genE4ELNS1_11target_archE910ELNS1_3gpuE8ELNS1_3repE0EEENS1_30default_config_static_selectorELNS0_4arch9wavefront6targetE1EEEvT1_,@function
_ZN7rocprim17ROCPRIM_400000_NS6detail17trampoline_kernelINS0_14default_configENS1_29reduce_by_key_config_selectorIalN6thrust23THRUST_200600_302600_NS4plusIlEEEEZZNS1_33reduce_by_key_impl_wrapped_configILNS1_25lookback_scan_determinismE0ES3_S9_PaNS6_17constant_iteratorIiNS6_11use_defaultESE_EENS6_10device_ptrIaEENSG_IlEEPmS8_NS6_8equal_toIaEEEE10hipError_tPvRmT2_T3_mT4_T5_T6_T7_T8_P12ihipStream_tbENKUlT_T0_E_clISt17integral_constantIbLb0EES13_EEDaSY_SZ_EUlSY_E_NS1_11comp_targetILNS1_3genE4ELNS1_11target_archE910ELNS1_3gpuE8ELNS1_3repE0EEENS1_30default_config_static_selectorELNS0_4arch9wavefront6targetE1EEEvT1_: ; @_ZN7rocprim17ROCPRIM_400000_NS6detail17trampoline_kernelINS0_14default_configENS1_29reduce_by_key_config_selectorIalN6thrust23THRUST_200600_302600_NS4plusIlEEEEZZNS1_33reduce_by_key_impl_wrapped_configILNS1_25lookback_scan_determinismE0ES3_S9_PaNS6_17constant_iteratorIiNS6_11use_defaultESE_EENS6_10device_ptrIaEENSG_IlEEPmS8_NS6_8equal_toIaEEEE10hipError_tPvRmT2_T3_mT4_T5_T6_T7_T8_P12ihipStream_tbENKUlT_T0_E_clISt17integral_constantIbLb0EES13_EEDaSY_SZ_EUlSY_E_NS1_11comp_targetILNS1_3genE4ELNS1_11target_archE910ELNS1_3gpuE8ELNS1_3repE0EEENS1_30default_config_static_selectorELNS0_4arch9wavefront6targetE1EEEvT1_
; %bb.0:
	.section	.rodata,"a",@progbits
	.p2align	6, 0x0
	.amdhsa_kernel _ZN7rocprim17ROCPRIM_400000_NS6detail17trampoline_kernelINS0_14default_configENS1_29reduce_by_key_config_selectorIalN6thrust23THRUST_200600_302600_NS4plusIlEEEEZZNS1_33reduce_by_key_impl_wrapped_configILNS1_25lookback_scan_determinismE0ES3_S9_PaNS6_17constant_iteratorIiNS6_11use_defaultESE_EENS6_10device_ptrIaEENSG_IlEEPmS8_NS6_8equal_toIaEEEE10hipError_tPvRmT2_T3_mT4_T5_T6_T7_T8_P12ihipStream_tbENKUlT_T0_E_clISt17integral_constantIbLb0EES13_EEDaSY_SZ_EUlSY_E_NS1_11comp_targetILNS1_3genE4ELNS1_11target_archE910ELNS1_3gpuE8ELNS1_3repE0EEENS1_30default_config_static_selectorELNS0_4arch9wavefront6targetE1EEEvT1_
		.amdhsa_group_segment_fixed_size 0
		.amdhsa_private_segment_fixed_size 0
		.amdhsa_kernarg_size 144
		.amdhsa_user_sgpr_count 6
		.amdhsa_user_sgpr_private_segment_buffer 1
		.amdhsa_user_sgpr_dispatch_ptr 0
		.amdhsa_user_sgpr_queue_ptr 0
		.amdhsa_user_sgpr_kernarg_segment_ptr 1
		.amdhsa_user_sgpr_dispatch_id 0
		.amdhsa_user_sgpr_flat_scratch_init 0
		.amdhsa_user_sgpr_private_segment_size 0
		.amdhsa_uses_dynamic_stack 0
		.amdhsa_system_sgpr_private_segment_wavefront_offset 0
		.amdhsa_system_sgpr_workgroup_id_x 1
		.amdhsa_system_sgpr_workgroup_id_y 0
		.amdhsa_system_sgpr_workgroup_id_z 0
		.amdhsa_system_sgpr_workgroup_info 0
		.amdhsa_system_vgpr_workitem_id 0
		.amdhsa_next_free_vgpr 1
		.amdhsa_next_free_sgpr 0
		.amdhsa_reserve_vcc 0
		.amdhsa_reserve_flat_scratch 0
		.amdhsa_float_round_mode_32 0
		.amdhsa_float_round_mode_16_64 0
		.amdhsa_float_denorm_mode_32 3
		.amdhsa_float_denorm_mode_16_64 3
		.amdhsa_dx10_clamp 1
		.amdhsa_ieee_mode 1
		.amdhsa_fp16_overflow 0
		.amdhsa_exception_fp_ieee_invalid_op 0
		.amdhsa_exception_fp_denorm_src 0
		.amdhsa_exception_fp_ieee_div_zero 0
		.amdhsa_exception_fp_ieee_overflow 0
		.amdhsa_exception_fp_ieee_underflow 0
		.amdhsa_exception_fp_ieee_inexact 0
		.amdhsa_exception_int_div_zero 0
	.end_amdhsa_kernel
	.section	.text._ZN7rocprim17ROCPRIM_400000_NS6detail17trampoline_kernelINS0_14default_configENS1_29reduce_by_key_config_selectorIalN6thrust23THRUST_200600_302600_NS4plusIlEEEEZZNS1_33reduce_by_key_impl_wrapped_configILNS1_25lookback_scan_determinismE0ES3_S9_PaNS6_17constant_iteratorIiNS6_11use_defaultESE_EENS6_10device_ptrIaEENSG_IlEEPmS8_NS6_8equal_toIaEEEE10hipError_tPvRmT2_T3_mT4_T5_T6_T7_T8_P12ihipStream_tbENKUlT_T0_E_clISt17integral_constantIbLb0EES13_EEDaSY_SZ_EUlSY_E_NS1_11comp_targetILNS1_3genE4ELNS1_11target_archE910ELNS1_3gpuE8ELNS1_3repE0EEENS1_30default_config_static_selectorELNS0_4arch9wavefront6targetE1EEEvT1_,"axG",@progbits,_ZN7rocprim17ROCPRIM_400000_NS6detail17trampoline_kernelINS0_14default_configENS1_29reduce_by_key_config_selectorIalN6thrust23THRUST_200600_302600_NS4plusIlEEEEZZNS1_33reduce_by_key_impl_wrapped_configILNS1_25lookback_scan_determinismE0ES3_S9_PaNS6_17constant_iteratorIiNS6_11use_defaultESE_EENS6_10device_ptrIaEENSG_IlEEPmS8_NS6_8equal_toIaEEEE10hipError_tPvRmT2_T3_mT4_T5_T6_T7_T8_P12ihipStream_tbENKUlT_T0_E_clISt17integral_constantIbLb0EES13_EEDaSY_SZ_EUlSY_E_NS1_11comp_targetILNS1_3genE4ELNS1_11target_archE910ELNS1_3gpuE8ELNS1_3repE0EEENS1_30default_config_static_selectorELNS0_4arch9wavefront6targetE1EEEvT1_,comdat
.Lfunc_end674:
	.size	_ZN7rocprim17ROCPRIM_400000_NS6detail17trampoline_kernelINS0_14default_configENS1_29reduce_by_key_config_selectorIalN6thrust23THRUST_200600_302600_NS4plusIlEEEEZZNS1_33reduce_by_key_impl_wrapped_configILNS1_25lookback_scan_determinismE0ES3_S9_PaNS6_17constant_iteratorIiNS6_11use_defaultESE_EENS6_10device_ptrIaEENSG_IlEEPmS8_NS6_8equal_toIaEEEE10hipError_tPvRmT2_T3_mT4_T5_T6_T7_T8_P12ihipStream_tbENKUlT_T0_E_clISt17integral_constantIbLb0EES13_EEDaSY_SZ_EUlSY_E_NS1_11comp_targetILNS1_3genE4ELNS1_11target_archE910ELNS1_3gpuE8ELNS1_3repE0EEENS1_30default_config_static_selectorELNS0_4arch9wavefront6targetE1EEEvT1_, .Lfunc_end674-_ZN7rocprim17ROCPRIM_400000_NS6detail17trampoline_kernelINS0_14default_configENS1_29reduce_by_key_config_selectorIalN6thrust23THRUST_200600_302600_NS4plusIlEEEEZZNS1_33reduce_by_key_impl_wrapped_configILNS1_25lookback_scan_determinismE0ES3_S9_PaNS6_17constant_iteratorIiNS6_11use_defaultESE_EENS6_10device_ptrIaEENSG_IlEEPmS8_NS6_8equal_toIaEEEE10hipError_tPvRmT2_T3_mT4_T5_T6_T7_T8_P12ihipStream_tbENKUlT_T0_E_clISt17integral_constantIbLb0EES13_EEDaSY_SZ_EUlSY_E_NS1_11comp_targetILNS1_3genE4ELNS1_11target_archE910ELNS1_3gpuE8ELNS1_3repE0EEENS1_30default_config_static_selectorELNS0_4arch9wavefront6targetE1EEEvT1_
                                        ; -- End function
	.set _ZN7rocprim17ROCPRIM_400000_NS6detail17trampoline_kernelINS0_14default_configENS1_29reduce_by_key_config_selectorIalN6thrust23THRUST_200600_302600_NS4plusIlEEEEZZNS1_33reduce_by_key_impl_wrapped_configILNS1_25lookback_scan_determinismE0ES3_S9_PaNS6_17constant_iteratorIiNS6_11use_defaultESE_EENS6_10device_ptrIaEENSG_IlEEPmS8_NS6_8equal_toIaEEEE10hipError_tPvRmT2_T3_mT4_T5_T6_T7_T8_P12ihipStream_tbENKUlT_T0_E_clISt17integral_constantIbLb0EES13_EEDaSY_SZ_EUlSY_E_NS1_11comp_targetILNS1_3genE4ELNS1_11target_archE910ELNS1_3gpuE8ELNS1_3repE0EEENS1_30default_config_static_selectorELNS0_4arch9wavefront6targetE1EEEvT1_.num_vgpr, 0
	.set _ZN7rocprim17ROCPRIM_400000_NS6detail17trampoline_kernelINS0_14default_configENS1_29reduce_by_key_config_selectorIalN6thrust23THRUST_200600_302600_NS4plusIlEEEEZZNS1_33reduce_by_key_impl_wrapped_configILNS1_25lookback_scan_determinismE0ES3_S9_PaNS6_17constant_iteratorIiNS6_11use_defaultESE_EENS6_10device_ptrIaEENSG_IlEEPmS8_NS6_8equal_toIaEEEE10hipError_tPvRmT2_T3_mT4_T5_T6_T7_T8_P12ihipStream_tbENKUlT_T0_E_clISt17integral_constantIbLb0EES13_EEDaSY_SZ_EUlSY_E_NS1_11comp_targetILNS1_3genE4ELNS1_11target_archE910ELNS1_3gpuE8ELNS1_3repE0EEENS1_30default_config_static_selectorELNS0_4arch9wavefront6targetE1EEEvT1_.num_agpr, 0
	.set _ZN7rocprim17ROCPRIM_400000_NS6detail17trampoline_kernelINS0_14default_configENS1_29reduce_by_key_config_selectorIalN6thrust23THRUST_200600_302600_NS4plusIlEEEEZZNS1_33reduce_by_key_impl_wrapped_configILNS1_25lookback_scan_determinismE0ES3_S9_PaNS6_17constant_iteratorIiNS6_11use_defaultESE_EENS6_10device_ptrIaEENSG_IlEEPmS8_NS6_8equal_toIaEEEE10hipError_tPvRmT2_T3_mT4_T5_T6_T7_T8_P12ihipStream_tbENKUlT_T0_E_clISt17integral_constantIbLb0EES13_EEDaSY_SZ_EUlSY_E_NS1_11comp_targetILNS1_3genE4ELNS1_11target_archE910ELNS1_3gpuE8ELNS1_3repE0EEENS1_30default_config_static_selectorELNS0_4arch9wavefront6targetE1EEEvT1_.numbered_sgpr, 0
	.set _ZN7rocprim17ROCPRIM_400000_NS6detail17trampoline_kernelINS0_14default_configENS1_29reduce_by_key_config_selectorIalN6thrust23THRUST_200600_302600_NS4plusIlEEEEZZNS1_33reduce_by_key_impl_wrapped_configILNS1_25lookback_scan_determinismE0ES3_S9_PaNS6_17constant_iteratorIiNS6_11use_defaultESE_EENS6_10device_ptrIaEENSG_IlEEPmS8_NS6_8equal_toIaEEEE10hipError_tPvRmT2_T3_mT4_T5_T6_T7_T8_P12ihipStream_tbENKUlT_T0_E_clISt17integral_constantIbLb0EES13_EEDaSY_SZ_EUlSY_E_NS1_11comp_targetILNS1_3genE4ELNS1_11target_archE910ELNS1_3gpuE8ELNS1_3repE0EEENS1_30default_config_static_selectorELNS0_4arch9wavefront6targetE1EEEvT1_.num_named_barrier, 0
	.set _ZN7rocprim17ROCPRIM_400000_NS6detail17trampoline_kernelINS0_14default_configENS1_29reduce_by_key_config_selectorIalN6thrust23THRUST_200600_302600_NS4plusIlEEEEZZNS1_33reduce_by_key_impl_wrapped_configILNS1_25lookback_scan_determinismE0ES3_S9_PaNS6_17constant_iteratorIiNS6_11use_defaultESE_EENS6_10device_ptrIaEENSG_IlEEPmS8_NS6_8equal_toIaEEEE10hipError_tPvRmT2_T3_mT4_T5_T6_T7_T8_P12ihipStream_tbENKUlT_T0_E_clISt17integral_constantIbLb0EES13_EEDaSY_SZ_EUlSY_E_NS1_11comp_targetILNS1_3genE4ELNS1_11target_archE910ELNS1_3gpuE8ELNS1_3repE0EEENS1_30default_config_static_selectorELNS0_4arch9wavefront6targetE1EEEvT1_.private_seg_size, 0
	.set _ZN7rocprim17ROCPRIM_400000_NS6detail17trampoline_kernelINS0_14default_configENS1_29reduce_by_key_config_selectorIalN6thrust23THRUST_200600_302600_NS4plusIlEEEEZZNS1_33reduce_by_key_impl_wrapped_configILNS1_25lookback_scan_determinismE0ES3_S9_PaNS6_17constant_iteratorIiNS6_11use_defaultESE_EENS6_10device_ptrIaEENSG_IlEEPmS8_NS6_8equal_toIaEEEE10hipError_tPvRmT2_T3_mT4_T5_T6_T7_T8_P12ihipStream_tbENKUlT_T0_E_clISt17integral_constantIbLb0EES13_EEDaSY_SZ_EUlSY_E_NS1_11comp_targetILNS1_3genE4ELNS1_11target_archE910ELNS1_3gpuE8ELNS1_3repE0EEENS1_30default_config_static_selectorELNS0_4arch9wavefront6targetE1EEEvT1_.uses_vcc, 0
	.set _ZN7rocprim17ROCPRIM_400000_NS6detail17trampoline_kernelINS0_14default_configENS1_29reduce_by_key_config_selectorIalN6thrust23THRUST_200600_302600_NS4plusIlEEEEZZNS1_33reduce_by_key_impl_wrapped_configILNS1_25lookback_scan_determinismE0ES3_S9_PaNS6_17constant_iteratorIiNS6_11use_defaultESE_EENS6_10device_ptrIaEENSG_IlEEPmS8_NS6_8equal_toIaEEEE10hipError_tPvRmT2_T3_mT4_T5_T6_T7_T8_P12ihipStream_tbENKUlT_T0_E_clISt17integral_constantIbLb0EES13_EEDaSY_SZ_EUlSY_E_NS1_11comp_targetILNS1_3genE4ELNS1_11target_archE910ELNS1_3gpuE8ELNS1_3repE0EEENS1_30default_config_static_selectorELNS0_4arch9wavefront6targetE1EEEvT1_.uses_flat_scratch, 0
	.set _ZN7rocprim17ROCPRIM_400000_NS6detail17trampoline_kernelINS0_14default_configENS1_29reduce_by_key_config_selectorIalN6thrust23THRUST_200600_302600_NS4plusIlEEEEZZNS1_33reduce_by_key_impl_wrapped_configILNS1_25lookback_scan_determinismE0ES3_S9_PaNS6_17constant_iteratorIiNS6_11use_defaultESE_EENS6_10device_ptrIaEENSG_IlEEPmS8_NS6_8equal_toIaEEEE10hipError_tPvRmT2_T3_mT4_T5_T6_T7_T8_P12ihipStream_tbENKUlT_T0_E_clISt17integral_constantIbLb0EES13_EEDaSY_SZ_EUlSY_E_NS1_11comp_targetILNS1_3genE4ELNS1_11target_archE910ELNS1_3gpuE8ELNS1_3repE0EEENS1_30default_config_static_selectorELNS0_4arch9wavefront6targetE1EEEvT1_.has_dyn_sized_stack, 0
	.set _ZN7rocprim17ROCPRIM_400000_NS6detail17trampoline_kernelINS0_14default_configENS1_29reduce_by_key_config_selectorIalN6thrust23THRUST_200600_302600_NS4plusIlEEEEZZNS1_33reduce_by_key_impl_wrapped_configILNS1_25lookback_scan_determinismE0ES3_S9_PaNS6_17constant_iteratorIiNS6_11use_defaultESE_EENS6_10device_ptrIaEENSG_IlEEPmS8_NS6_8equal_toIaEEEE10hipError_tPvRmT2_T3_mT4_T5_T6_T7_T8_P12ihipStream_tbENKUlT_T0_E_clISt17integral_constantIbLb0EES13_EEDaSY_SZ_EUlSY_E_NS1_11comp_targetILNS1_3genE4ELNS1_11target_archE910ELNS1_3gpuE8ELNS1_3repE0EEENS1_30default_config_static_selectorELNS0_4arch9wavefront6targetE1EEEvT1_.has_recursion, 0
	.set _ZN7rocprim17ROCPRIM_400000_NS6detail17trampoline_kernelINS0_14default_configENS1_29reduce_by_key_config_selectorIalN6thrust23THRUST_200600_302600_NS4plusIlEEEEZZNS1_33reduce_by_key_impl_wrapped_configILNS1_25lookback_scan_determinismE0ES3_S9_PaNS6_17constant_iteratorIiNS6_11use_defaultESE_EENS6_10device_ptrIaEENSG_IlEEPmS8_NS6_8equal_toIaEEEE10hipError_tPvRmT2_T3_mT4_T5_T6_T7_T8_P12ihipStream_tbENKUlT_T0_E_clISt17integral_constantIbLb0EES13_EEDaSY_SZ_EUlSY_E_NS1_11comp_targetILNS1_3genE4ELNS1_11target_archE910ELNS1_3gpuE8ELNS1_3repE0EEENS1_30default_config_static_selectorELNS0_4arch9wavefront6targetE1EEEvT1_.has_indirect_call, 0
	.section	.AMDGPU.csdata,"",@progbits
; Kernel info:
; codeLenInByte = 0
; TotalNumSgprs: 4
; NumVgprs: 0
; ScratchSize: 0
; MemoryBound: 0
; FloatMode: 240
; IeeeMode: 1
; LDSByteSize: 0 bytes/workgroup (compile time only)
; SGPRBlocks: 0
; VGPRBlocks: 0
; NumSGPRsForWavesPerEU: 4
; NumVGPRsForWavesPerEU: 1
; Occupancy: 10
; WaveLimiterHint : 0
; COMPUTE_PGM_RSRC2:SCRATCH_EN: 0
; COMPUTE_PGM_RSRC2:USER_SGPR: 6
; COMPUTE_PGM_RSRC2:TRAP_HANDLER: 0
; COMPUTE_PGM_RSRC2:TGID_X_EN: 1
; COMPUTE_PGM_RSRC2:TGID_Y_EN: 0
; COMPUTE_PGM_RSRC2:TGID_Z_EN: 0
; COMPUTE_PGM_RSRC2:TIDIG_COMP_CNT: 0
	.section	.text._ZN7rocprim17ROCPRIM_400000_NS6detail17trampoline_kernelINS0_14default_configENS1_29reduce_by_key_config_selectorIalN6thrust23THRUST_200600_302600_NS4plusIlEEEEZZNS1_33reduce_by_key_impl_wrapped_configILNS1_25lookback_scan_determinismE0ES3_S9_PaNS6_17constant_iteratorIiNS6_11use_defaultESE_EENS6_10device_ptrIaEENSG_IlEEPmS8_NS6_8equal_toIaEEEE10hipError_tPvRmT2_T3_mT4_T5_T6_T7_T8_P12ihipStream_tbENKUlT_T0_E_clISt17integral_constantIbLb0EES13_EEDaSY_SZ_EUlSY_E_NS1_11comp_targetILNS1_3genE3ELNS1_11target_archE908ELNS1_3gpuE7ELNS1_3repE0EEENS1_30default_config_static_selectorELNS0_4arch9wavefront6targetE1EEEvT1_,"axG",@progbits,_ZN7rocprim17ROCPRIM_400000_NS6detail17trampoline_kernelINS0_14default_configENS1_29reduce_by_key_config_selectorIalN6thrust23THRUST_200600_302600_NS4plusIlEEEEZZNS1_33reduce_by_key_impl_wrapped_configILNS1_25lookback_scan_determinismE0ES3_S9_PaNS6_17constant_iteratorIiNS6_11use_defaultESE_EENS6_10device_ptrIaEENSG_IlEEPmS8_NS6_8equal_toIaEEEE10hipError_tPvRmT2_T3_mT4_T5_T6_T7_T8_P12ihipStream_tbENKUlT_T0_E_clISt17integral_constantIbLb0EES13_EEDaSY_SZ_EUlSY_E_NS1_11comp_targetILNS1_3genE3ELNS1_11target_archE908ELNS1_3gpuE7ELNS1_3repE0EEENS1_30default_config_static_selectorELNS0_4arch9wavefront6targetE1EEEvT1_,comdat
	.protected	_ZN7rocprim17ROCPRIM_400000_NS6detail17trampoline_kernelINS0_14default_configENS1_29reduce_by_key_config_selectorIalN6thrust23THRUST_200600_302600_NS4plusIlEEEEZZNS1_33reduce_by_key_impl_wrapped_configILNS1_25lookback_scan_determinismE0ES3_S9_PaNS6_17constant_iteratorIiNS6_11use_defaultESE_EENS6_10device_ptrIaEENSG_IlEEPmS8_NS6_8equal_toIaEEEE10hipError_tPvRmT2_T3_mT4_T5_T6_T7_T8_P12ihipStream_tbENKUlT_T0_E_clISt17integral_constantIbLb0EES13_EEDaSY_SZ_EUlSY_E_NS1_11comp_targetILNS1_3genE3ELNS1_11target_archE908ELNS1_3gpuE7ELNS1_3repE0EEENS1_30default_config_static_selectorELNS0_4arch9wavefront6targetE1EEEvT1_ ; -- Begin function _ZN7rocprim17ROCPRIM_400000_NS6detail17trampoline_kernelINS0_14default_configENS1_29reduce_by_key_config_selectorIalN6thrust23THRUST_200600_302600_NS4plusIlEEEEZZNS1_33reduce_by_key_impl_wrapped_configILNS1_25lookback_scan_determinismE0ES3_S9_PaNS6_17constant_iteratorIiNS6_11use_defaultESE_EENS6_10device_ptrIaEENSG_IlEEPmS8_NS6_8equal_toIaEEEE10hipError_tPvRmT2_T3_mT4_T5_T6_T7_T8_P12ihipStream_tbENKUlT_T0_E_clISt17integral_constantIbLb0EES13_EEDaSY_SZ_EUlSY_E_NS1_11comp_targetILNS1_3genE3ELNS1_11target_archE908ELNS1_3gpuE7ELNS1_3repE0EEENS1_30default_config_static_selectorELNS0_4arch9wavefront6targetE1EEEvT1_
	.globl	_ZN7rocprim17ROCPRIM_400000_NS6detail17trampoline_kernelINS0_14default_configENS1_29reduce_by_key_config_selectorIalN6thrust23THRUST_200600_302600_NS4plusIlEEEEZZNS1_33reduce_by_key_impl_wrapped_configILNS1_25lookback_scan_determinismE0ES3_S9_PaNS6_17constant_iteratorIiNS6_11use_defaultESE_EENS6_10device_ptrIaEENSG_IlEEPmS8_NS6_8equal_toIaEEEE10hipError_tPvRmT2_T3_mT4_T5_T6_T7_T8_P12ihipStream_tbENKUlT_T0_E_clISt17integral_constantIbLb0EES13_EEDaSY_SZ_EUlSY_E_NS1_11comp_targetILNS1_3genE3ELNS1_11target_archE908ELNS1_3gpuE7ELNS1_3repE0EEENS1_30default_config_static_selectorELNS0_4arch9wavefront6targetE1EEEvT1_
	.p2align	8
	.type	_ZN7rocprim17ROCPRIM_400000_NS6detail17trampoline_kernelINS0_14default_configENS1_29reduce_by_key_config_selectorIalN6thrust23THRUST_200600_302600_NS4plusIlEEEEZZNS1_33reduce_by_key_impl_wrapped_configILNS1_25lookback_scan_determinismE0ES3_S9_PaNS6_17constant_iteratorIiNS6_11use_defaultESE_EENS6_10device_ptrIaEENSG_IlEEPmS8_NS6_8equal_toIaEEEE10hipError_tPvRmT2_T3_mT4_T5_T6_T7_T8_P12ihipStream_tbENKUlT_T0_E_clISt17integral_constantIbLb0EES13_EEDaSY_SZ_EUlSY_E_NS1_11comp_targetILNS1_3genE3ELNS1_11target_archE908ELNS1_3gpuE7ELNS1_3repE0EEENS1_30default_config_static_selectorELNS0_4arch9wavefront6targetE1EEEvT1_,@function
_ZN7rocprim17ROCPRIM_400000_NS6detail17trampoline_kernelINS0_14default_configENS1_29reduce_by_key_config_selectorIalN6thrust23THRUST_200600_302600_NS4plusIlEEEEZZNS1_33reduce_by_key_impl_wrapped_configILNS1_25lookback_scan_determinismE0ES3_S9_PaNS6_17constant_iteratorIiNS6_11use_defaultESE_EENS6_10device_ptrIaEENSG_IlEEPmS8_NS6_8equal_toIaEEEE10hipError_tPvRmT2_T3_mT4_T5_T6_T7_T8_P12ihipStream_tbENKUlT_T0_E_clISt17integral_constantIbLb0EES13_EEDaSY_SZ_EUlSY_E_NS1_11comp_targetILNS1_3genE3ELNS1_11target_archE908ELNS1_3gpuE7ELNS1_3repE0EEENS1_30default_config_static_selectorELNS0_4arch9wavefront6targetE1EEEvT1_: ; @_ZN7rocprim17ROCPRIM_400000_NS6detail17trampoline_kernelINS0_14default_configENS1_29reduce_by_key_config_selectorIalN6thrust23THRUST_200600_302600_NS4plusIlEEEEZZNS1_33reduce_by_key_impl_wrapped_configILNS1_25lookback_scan_determinismE0ES3_S9_PaNS6_17constant_iteratorIiNS6_11use_defaultESE_EENS6_10device_ptrIaEENSG_IlEEPmS8_NS6_8equal_toIaEEEE10hipError_tPvRmT2_T3_mT4_T5_T6_T7_T8_P12ihipStream_tbENKUlT_T0_E_clISt17integral_constantIbLb0EES13_EEDaSY_SZ_EUlSY_E_NS1_11comp_targetILNS1_3genE3ELNS1_11target_archE908ELNS1_3gpuE7ELNS1_3repE0EEENS1_30default_config_static_selectorELNS0_4arch9wavefront6targetE1EEEvT1_
; %bb.0:
	.section	.rodata,"a",@progbits
	.p2align	6, 0x0
	.amdhsa_kernel _ZN7rocprim17ROCPRIM_400000_NS6detail17trampoline_kernelINS0_14default_configENS1_29reduce_by_key_config_selectorIalN6thrust23THRUST_200600_302600_NS4plusIlEEEEZZNS1_33reduce_by_key_impl_wrapped_configILNS1_25lookback_scan_determinismE0ES3_S9_PaNS6_17constant_iteratorIiNS6_11use_defaultESE_EENS6_10device_ptrIaEENSG_IlEEPmS8_NS6_8equal_toIaEEEE10hipError_tPvRmT2_T3_mT4_T5_T6_T7_T8_P12ihipStream_tbENKUlT_T0_E_clISt17integral_constantIbLb0EES13_EEDaSY_SZ_EUlSY_E_NS1_11comp_targetILNS1_3genE3ELNS1_11target_archE908ELNS1_3gpuE7ELNS1_3repE0EEENS1_30default_config_static_selectorELNS0_4arch9wavefront6targetE1EEEvT1_
		.amdhsa_group_segment_fixed_size 0
		.amdhsa_private_segment_fixed_size 0
		.amdhsa_kernarg_size 144
		.amdhsa_user_sgpr_count 6
		.amdhsa_user_sgpr_private_segment_buffer 1
		.amdhsa_user_sgpr_dispatch_ptr 0
		.amdhsa_user_sgpr_queue_ptr 0
		.amdhsa_user_sgpr_kernarg_segment_ptr 1
		.amdhsa_user_sgpr_dispatch_id 0
		.amdhsa_user_sgpr_flat_scratch_init 0
		.amdhsa_user_sgpr_private_segment_size 0
		.amdhsa_uses_dynamic_stack 0
		.amdhsa_system_sgpr_private_segment_wavefront_offset 0
		.amdhsa_system_sgpr_workgroup_id_x 1
		.amdhsa_system_sgpr_workgroup_id_y 0
		.amdhsa_system_sgpr_workgroup_id_z 0
		.amdhsa_system_sgpr_workgroup_info 0
		.amdhsa_system_vgpr_workitem_id 0
		.amdhsa_next_free_vgpr 1
		.amdhsa_next_free_sgpr 0
		.amdhsa_reserve_vcc 0
		.amdhsa_reserve_flat_scratch 0
		.amdhsa_float_round_mode_32 0
		.amdhsa_float_round_mode_16_64 0
		.amdhsa_float_denorm_mode_32 3
		.amdhsa_float_denorm_mode_16_64 3
		.amdhsa_dx10_clamp 1
		.amdhsa_ieee_mode 1
		.amdhsa_fp16_overflow 0
		.amdhsa_exception_fp_ieee_invalid_op 0
		.amdhsa_exception_fp_denorm_src 0
		.amdhsa_exception_fp_ieee_div_zero 0
		.amdhsa_exception_fp_ieee_overflow 0
		.amdhsa_exception_fp_ieee_underflow 0
		.amdhsa_exception_fp_ieee_inexact 0
		.amdhsa_exception_int_div_zero 0
	.end_amdhsa_kernel
	.section	.text._ZN7rocprim17ROCPRIM_400000_NS6detail17trampoline_kernelINS0_14default_configENS1_29reduce_by_key_config_selectorIalN6thrust23THRUST_200600_302600_NS4plusIlEEEEZZNS1_33reduce_by_key_impl_wrapped_configILNS1_25lookback_scan_determinismE0ES3_S9_PaNS6_17constant_iteratorIiNS6_11use_defaultESE_EENS6_10device_ptrIaEENSG_IlEEPmS8_NS6_8equal_toIaEEEE10hipError_tPvRmT2_T3_mT4_T5_T6_T7_T8_P12ihipStream_tbENKUlT_T0_E_clISt17integral_constantIbLb0EES13_EEDaSY_SZ_EUlSY_E_NS1_11comp_targetILNS1_3genE3ELNS1_11target_archE908ELNS1_3gpuE7ELNS1_3repE0EEENS1_30default_config_static_selectorELNS0_4arch9wavefront6targetE1EEEvT1_,"axG",@progbits,_ZN7rocprim17ROCPRIM_400000_NS6detail17trampoline_kernelINS0_14default_configENS1_29reduce_by_key_config_selectorIalN6thrust23THRUST_200600_302600_NS4plusIlEEEEZZNS1_33reduce_by_key_impl_wrapped_configILNS1_25lookback_scan_determinismE0ES3_S9_PaNS6_17constant_iteratorIiNS6_11use_defaultESE_EENS6_10device_ptrIaEENSG_IlEEPmS8_NS6_8equal_toIaEEEE10hipError_tPvRmT2_T3_mT4_T5_T6_T7_T8_P12ihipStream_tbENKUlT_T0_E_clISt17integral_constantIbLb0EES13_EEDaSY_SZ_EUlSY_E_NS1_11comp_targetILNS1_3genE3ELNS1_11target_archE908ELNS1_3gpuE7ELNS1_3repE0EEENS1_30default_config_static_selectorELNS0_4arch9wavefront6targetE1EEEvT1_,comdat
.Lfunc_end675:
	.size	_ZN7rocprim17ROCPRIM_400000_NS6detail17trampoline_kernelINS0_14default_configENS1_29reduce_by_key_config_selectorIalN6thrust23THRUST_200600_302600_NS4plusIlEEEEZZNS1_33reduce_by_key_impl_wrapped_configILNS1_25lookback_scan_determinismE0ES3_S9_PaNS6_17constant_iteratorIiNS6_11use_defaultESE_EENS6_10device_ptrIaEENSG_IlEEPmS8_NS6_8equal_toIaEEEE10hipError_tPvRmT2_T3_mT4_T5_T6_T7_T8_P12ihipStream_tbENKUlT_T0_E_clISt17integral_constantIbLb0EES13_EEDaSY_SZ_EUlSY_E_NS1_11comp_targetILNS1_3genE3ELNS1_11target_archE908ELNS1_3gpuE7ELNS1_3repE0EEENS1_30default_config_static_selectorELNS0_4arch9wavefront6targetE1EEEvT1_, .Lfunc_end675-_ZN7rocprim17ROCPRIM_400000_NS6detail17trampoline_kernelINS0_14default_configENS1_29reduce_by_key_config_selectorIalN6thrust23THRUST_200600_302600_NS4plusIlEEEEZZNS1_33reduce_by_key_impl_wrapped_configILNS1_25lookback_scan_determinismE0ES3_S9_PaNS6_17constant_iteratorIiNS6_11use_defaultESE_EENS6_10device_ptrIaEENSG_IlEEPmS8_NS6_8equal_toIaEEEE10hipError_tPvRmT2_T3_mT4_T5_T6_T7_T8_P12ihipStream_tbENKUlT_T0_E_clISt17integral_constantIbLb0EES13_EEDaSY_SZ_EUlSY_E_NS1_11comp_targetILNS1_3genE3ELNS1_11target_archE908ELNS1_3gpuE7ELNS1_3repE0EEENS1_30default_config_static_selectorELNS0_4arch9wavefront6targetE1EEEvT1_
                                        ; -- End function
	.set _ZN7rocprim17ROCPRIM_400000_NS6detail17trampoline_kernelINS0_14default_configENS1_29reduce_by_key_config_selectorIalN6thrust23THRUST_200600_302600_NS4plusIlEEEEZZNS1_33reduce_by_key_impl_wrapped_configILNS1_25lookback_scan_determinismE0ES3_S9_PaNS6_17constant_iteratorIiNS6_11use_defaultESE_EENS6_10device_ptrIaEENSG_IlEEPmS8_NS6_8equal_toIaEEEE10hipError_tPvRmT2_T3_mT4_T5_T6_T7_T8_P12ihipStream_tbENKUlT_T0_E_clISt17integral_constantIbLb0EES13_EEDaSY_SZ_EUlSY_E_NS1_11comp_targetILNS1_3genE3ELNS1_11target_archE908ELNS1_3gpuE7ELNS1_3repE0EEENS1_30default_config_static_selectorELNS0_4arch9wavefront6targetE1EEEvT1_.num_vgpr, 0
	.set _ZN7rocprim17ROCPRIM_400000_NS6detail17trampoline_kernelINS0_14default_configENS1_29reduce_by_key_config_selectorIalN6thrust23THRUST_200600_302600_NS4plusIlEEEEZZNS1_33reduce_by_key_impl_wrapped_configILNS1_25lookback_scan_determinismE0ES3_S9_PaNS6_17constant_iteratorIiNS6_11use_defaultESE_EENS6_10device_ptrIaEENSG_IlEEPmS8_NS6_8equal_toIaEEEE10hipError_tPvRmT2_T3_mT4_T5_T6_T7_T8_P12ihipStream_tbENKUlT_T0_E_clISt17integral_constantIbLb0EES13_EEDaSY_SZ_EUlSY_E_NS1_11comp_targetILNS1_3genE3ELNS1_11target_archE908ELNS1_3gpuE7ELNS1_3repE0EEENS1_30default_config_static_selectorELNS0_4arch9wavefront6targetE1EEEvT1_.num_agpr, 0
	.set _ZN7rocprim17ROCPRIM_400000_NS6detail17trampoline_kernelINS0_14default_configENS1_29reduce_by_key_config_selectorIalN6thrust23THRUST_200600_302600_NS4plusIlEEEEZZNS1_33reduce_by_key_impl_wrapped_configILNS1_25lookback_scan_determinismE0ES3_S9_PaNS6_17constant_iteratorIiNS6_11use_defaultESE_EENS6_10device_ptrIaEENSG_IlEEPmS8_NS6_8equal_toIaEEEE10hipError_tPvRmT2_T3_mT4_T5_T6_T7_T8_P12ihipStream_tbENKUlT_T0_E_clISt17integral_constantIbLb0EES13_EEDaSY_SZ_EUlSY_E_NS1_11comp_targetILNS1_3genE3ELNS1_11target_archE908ELNS1_3gpuE7ELNS1_3repE0EEENS1_30default_config_static_selectorELNS0_4arch9wavefront6targetE1EEEvT1_.numbered_sgpr, 0
	.set _ZN7rocprim17ROCPRIM_400000_NS6detail17trampoline_kernelINS0_14default_configENS1_29reduce_by_key_config_selectorIalN6thrust23THRUST_200600_302600_NS4plusIlEEEEZZNS1_33reduce_by_key_impl_wrapped_configILNS1_25lookback_scan_determinismE0ES3_S9_PaNS6_17constant_iteratorIiNS6_11use_defaultESE_EENS6_10device_ptrIaEENSG_IlEEPmS8_NS6_8equal_toIaEEEE10hipError_tPvRmT2_T3_mT4_T5_T6_T7_T8_P12ihipStream_tbENKUlT_T0_E_clISt17integral_constantIbLb0EES13_EEDaSY_SZ_EUlSY_E_NS1_11comp_targetILNS1_3genE3ELNS1_11target_archE908ELNS1_3gpuE7ELNS1_3repE0EEENS1_30default_config_static_selectorELNS0_4arch9wavefront6targetE1EEEvT1_.num_named_barrier, 0
	.set _ZN7rocprim17ROCPRIM_400000_NS6detail17trampoline_kernelINS0_14default_configENS1_29reduce_by_key_config_selectorIalN6thrust23THRUST_200600_302600_NS4plusIlEEEEZZNS1_33reduce_by_key_impl_wrapped_configILNS1_25lookback_scan_determinismE0ES3_S9_PaNS6_17constant_iteratorIiNS6_11use_defaultESE_EENS6_10device_ptrIaEENSG_IlEEPmS8_NS6_8equal_toIaEEEE10hipError_tPvRmT2_T3_mT4_T5_T6_T7_T8_P12ihipStream_tbENKUlT_T0_E_clISt17integral_constantIbLb0EES13_EEDaSY_SZ_EUlSY_E_NS1_11comp_targetILNS1_3genE3ELNS1_11target_archE908ELNS1_3gpuE7ELNS1_3repE0EEENS1_30default_config_static_selectorELNS0_4arch9wavefront6targetE1EEEvT1_.private_seg_size, 0
	.set _ZN7rocprim17ROCPRIM_400000_NS6detail17trampoline_kernelINS0_14default_configENS1_29reduce_by_key_config_selectorIalN6thrust23THRUST_200600_302600_NS4plusIlEEEEZZNS1_33reduce_by_key_impl_wrapped_configILNS1_25lookback_scan_determinismE0ES3_S9_PaNS6_17constant_iteratorIiNS6_11use_defaultESE_EENS6_10device_ptrIaEENSG_IlEEPmS8_NS6_8equal_toIaEEEE10hipError_tPvRmT2_T3_mT4_T5_T6_T7_T8_P12ihipStream_tbENKUlT_T0_E_clISt17integral_constantIbLb0EES13_EEDaSY_SZ_EUlSY_E_NS1_11comp_targetILNS1_3genE3ELNS1_11target_archE908ELNS1_3gpuE7ELNS1_3repE0EEENS1_30default_config_static_selectorELNS0_4arch9wavefront6targetE1EEEvT1_.uses_vcc, 0
	.set _ZN7rocprim17ROCPRIM_400000_NS6detail17trampoline_kernelINS0_14default_configENS1_29reduce_by_key_config_selectorIalN6thrust23THRUST_200600_302600_NS4plusIlEEEEZZNS1_33reduce_by_key_impl_wrapped_configILNS1_25lookback_scan_determinismE0ES3_S9_PaNS6_17constant_iteratorIiNS6_11use_defaultESE_EENS6_10device_ptrIaEENSG_IlEEPmS8_NS6_8equal_toIaEEEE10hipError_tPvRmT2_T3_mT4_T5_T6_T7_T8_P12ihipStream_tbENKUlT_T0_E_clISt17integral_constantIbLb0EES13_EEDaSY_SZ_EUlSY_E_NS1_11comp_targetILNS1_3genE3ELNS1_11target_archE908ELNS1_3gpuE7ELNS1_3repE0EEENS1_30default_config_static_selectorELNS0_4arch9wavefront6targetE1EEEvT1_.uses_flat_scratch, 0
	.set _ZN7rocprim17ROCPRIM_400000_NS6detail17trampoline_kernelINS0_14default_configENS1_29reduce_by_key_config_selectorIalN6thrust23THRUST_200600_302600_NS4plusIlEEEEZZNS1_33reduce_by_key_impl_wrapped_configILNS1_25lookback_scan_determinismE0ES3_S9_PaNS6_17constant_iteratorIiNS6_11use_defaultESE_EENS6_10device_ptrIaEENSG_IlEEPmS8_NS6_8equal_toIaEEEE10hipError_tPvRmT2_T3_mT4_T5_T6_T7_T8_P12ihipStream_tbENKUlT_T0_E_clISt17integral_constantIbLb0EES13_EEDaSY_SZ_EUlSY_E_NS1_11comp_targetILNS1_3genE3ELNS1_11target_archE908ELNS1_3gpuE7ELNS1_3repE0EEENS1_30default_config_static_selectorELNS0_4arch9wavefront6targetE1EEEvT1_.has_dyn_sized_stack, 0
	.set _ZN7rocprim17ROCPRIM_400000_NS6detail17trampoline_kernelINS0_14default_configENS1_29reduce_by_key_config_selectorIalN6thrust23THRUST_200600_302600_NS4plusIlEEEEZZNS1_33reduce_by_key_impl_wrapped_configILNS1_25lookback_scan_determinismE0ES3_S9_PaNS6_17constant_iteratorIiNS6_11use_defaultESE_EENS6_10device_ptrIaEENSG_IlEEPmS8_NS6_8equal_toIaEEEE10hipError_tPvRmT2_T3_mT4_T5_T6_T7_T8_P12ihipStream_tbENKUlT_T0_E_clISt17integral_constantIbLb0EES13_EEDaSY_SZ_EUlSY_E_NS1_11comp_targetILNS1_3genE3ELNS1_11target_archE908ELNS1_3gpuE7ELNS1_3repE0EEENS1_30default_config_static_selectorELNS0_4arch9wavefront6targetE1EEEvT1_.has_recursion, 0
	.set _ZN7rocprim17ROCPRIM_400000_NS6detail17trampoline_kernelINS0_14default_configENS1_29reduce_by_key_config_selectorIalN6thrust23THRUST_200600_302600_NS4plusIlEEEEZZNS1_33reduce_by_key_impl_wrapped_configILNS1_25lookback_scan_determinismE0ES3_S9_PaNS6_17constant_iteratorIiNS6_11use_defaultESE_EENS6_10device_ptrIaEENSG_IlEEPmS8_NS6_8equal_toIaEEEE10hipError_tPvRmT2_T3_mT4_T5_T6_T7_T8_P12ihipStream_tbENKUlT_T0_E_clISt17integral_constantIbLb0EES13_EEDaSY_SZ_EUlSY_E_NS1_11comp_targetILNS1_3genE3ELNS1_11target_archE908ELNS1_3gpuE7ELNS1_3repE0EEENS1_30default_config_static_selectorELNS0_4arch9wavefront6targetE1EEEvT1_.has_indirect_call, 0
	.section	.AMDGPU.csdata,"",@progbits
; Kernel info:
; codeLenInByte = 0
; TotalNumSgprs: 4
; NumVgprs: 0
; ScratchSize: 0
; MemoryBound: 0
; FloatMode: 240
; IeeeMode: 1
; LDSByteSize: 0 bytes/workgroup (compile time only)
; SGPRBlocks: 0
; VGPRBlocks: 0
; NumSGPRsForWavesPerEU: 4
; NumVGPRsForWavesPerEU: 1
; Occupancy: 10
; WaveLimiterHint : 0
; COMPUTE_PGM_RSRC2:SCRATCH_EN: 0
; COMPUTE_PGM_RSRC2:USER_SGPR: 6
; COMPUTE_PGM_RSRC2:TRAP_HANDLER: 0
; COMPUTE_PGM_RSRC2:TGID_X_EN: 1
; COMPUTE_PGM_RSRC2:TGID_Y_EN: 0
; COMPUTE_PGM_RSRC2:TGID_Z_EN: 0
; COMPUTE_PGM_RSRC2:TIDIG_COMP_CNT: 0
	.section	.text._ZN7rocprim17ROCPRIM_400000_NS6detail17trampoline_kernelINS0_14default_configENS1_29reduce_by_key_config_selectorIalN6thrust23THRUST_200600_302600_NS4plusIlEEEEZZNS1_33reduce_by_key_impl_wrapped_configILNS1_25lookback_scan_determinismE0ES3_S9_PaNS6_17constant_iteratorIiNS6_11use_defaultESE_EENS6_10device_ptrIaEENSG_IlEEPmS8_NS6_8equal_toIaEEEE10hipError_tPvRmT2_T3_mT4_T5_T6_T7_T8_P12ihipStream_tbENKUlT_T0_E_clISt17integral_constantIbLb0EES13_EEDaSY_SZ_EUlSY_E_NS1_11comp_targetILNS1_3genE2ELNS1_11target_archE906ELNS1_3gpuE6ELNS1_3repE0EEENS1_30default_config_static_selectorELNS0_4arch9wavefront6targetE1EEEvT1_,"axG",@progbits,_ZN7rocprim17ROCPRIM_400000_NS6detail17trampoline_kernelINS0_14default_configENS1_29reduce_by_key_config_selectorIalN6thrust23THRUST_200600_302600_NS4plusIlEEEEZZNS1_33reduce_by_key_impl_wrapped_configILNS1_25lookback_scan_determinismE0ES3_S9_PaNS6_17constant_iteratorIiNS6_11use_defaultESE_EENS6_10device_ptrIaEENSG_IlEEPmS8_NS6_8equal_toIaEEEE10hipError_tPvRmT2_T3_mT4_T5_T6_T7_T8_P12ihipStream_tbENKUlT_T0_E_clISt17integral_constantIbLb0EES13_EEDaSY_SZ_EUlSY_E_NS1_11comp_targetILNS1_3genE2ELNS1_11target_archE906ELNS1_3gpuE6ELNS1_3repE0EEENS1_30default_config_static_selectorELNS0_4arch9wavefront6targetE1EEEvT1_,comdat
	.protected	_ZN7rocprim17ROCPRIM_400000_NS6detail17trampoline_kernelINS0_14default_configENS1_29reduce_by_key_config_selectorIalN6thrust23THRUST_200600_302600_NS4plusIlEEEEZZNS1_33reduce_by_key_impl_wrapped_configILNS1_25lookback_scan_determinismE0ES3_S9_PaNS6_17constant_iteratorIiNS6_11use_defaultESE_EENS6_10device_ptrIaEENSG_IlEEPmS8_NS6_8equal_toIaEEEE10hipError_tPvRmT2_T3_mT4_T5_T6_T7_T8_P12ihipStream_tbENKUlT_T0_E_clISt17integral_constantIbLb0EES13_EEDaSY_SZ_EUlSY_E_NS1_11comp_targetILNS1_3genE2ELNS1_11target_archE906ELNS1_3gpuE6ELNS1_3repE0EEENS1_30default_config_static_selectorELNS0_4arch9wavefront6targetE1EEEvT1_ ; -- Begin function _ZN7rocprim17ROCPRIM_400000_NS6detail17trampoline_kernelINS0_14default_configENS1_29reduce_by_key_config_selectorIalN6thrust23THRUST_200600_302600_NS4plusIlEEEEZZNS1_33reduce_by_key_impl_wrapped_configILNS1_25lookback_scan_determinismE0ES3_S9_PaNS6_17constant_iteratorIiNS6_11use_defaultESE_EENS6_10device_ptrIaEENSG_IlEEPmS8_NS6_8equal_toIaEEEE10hipError_tPvRmT2_T3_mT4_T5_T6_T7_T8_P12ihipStream_tbENKUlT_T0_E_clISt17integral_constantIbLb0EES13_EEDaSY_SZ_EUlSY_E_NS1_11comp_targetILNS1_3genE2ELNS1_11target_archE906ELNS1_3gpuE6ELNS1_3repE0EEENS1_30default_config_static_selectorELNS0_4arch9wavefront6targetE1EEEvT1_
	.globl	_ZN7rocprim17ROCPRIM_400000_NS6detail17trampoline_kernelINS0_14default_configENS1_29reduce_by_key_config_selectorIalN6thrust23THRUST_200600_302600_NS4plusIlEEEEZZNS1_33reduce_by_key_impl_wrapped_configILNS1_25lookback_scan_determinismE0ES3_S9_PaNS6_17constant_iteratorIiNS6_11use_defaultESE_EENS6_10device_ptrIaEENSG_IlEEPmS8_NS6_8equal_toIaEEEE10hipError_tPvRmT2_T3_mT4_T5_T6_T7_T8_P12ihipStream_tbENKUlT_T0_E_clISt17integral_constantIbLb0EES13_EEDaSY_SZ_EUlSY_E_NS1_11comp_targetILNS1_3genE2ELNS1_11target_archE906ELNS1_3gpuE6ELNS1_3repE0EEENS1_30default_config_static_selectorELNS0_4arch9wavefront6targetE1EEEvT1_
	.p2align	8
	.type	_ZN7rocprim17ROCPRIM_400000_NS6detail17trampoline_kernelINS0_14default_configENS1_29reduce_by_key_config_selectorIalN6thrust23THRUST_200600_302600_NS4plusIlEEEEZZNS1_33reduce_by_key_impl_wrapped_configILNS1_25lookback_scan_determinismE0ES3_S9_PaNS6_17constant_iteratorIiNS6_11use_defaultESE_EENS6_10device_ptrIaEENSG_IlEEPmS8_NS6_8equal_toIaEEEE10hipError_tPvRmT2_T3_mT4_T5_T6_T7_T8_P12ihipStream_tbENKUlT_T0_E_clISt17integral_constantIbLb0EES13_EEDaSY_SZ_EUlSY_E_NS1_11comp_targetILNS1_3genE2ELNS1_11target_archE906ELNS1_3gpuE6ELNS1_3repE0EEENS1_30default_config_static_selectorELNS0_4arch9wavefront6targetE1EEEvT1_,@function
_ZN7rocprim17ROCPRIM_400000_NS6detail17trampoline_kernelINS0_14default_configENS1_29reduce_by_key_config_selectorIalN6thrust23THRUST_200600_302600_NS4plusIlEEEEZZNS1_33reduce_by_key_impl_wrapped_configILNS1_25lookback_scan_determinismE0ES3_S9_PaNS6_17constant_iteratorIiNS6_11use_defaultESE_EENS6_10device_ptrIaEENSG_IlEEPmS8_NS6_8equal_toIaEEEE10hipError_tPvRmT2_T3_mT4_T5_T6_T7_T8_P12ihipStream_tbENKUlT_T0_E_clISt17integral_constantIbLb0EES13_EEDaSY_SZ_EUlSY_E_NS1_11comp_targetILNS1_3genE2ELNS1_11target_archE906ELNS1_3gpuE6ELNS1_3repE0EEENS1_30default_config_static_selectorELNS0_4arch9wavefront6targetE1EEEvT1_: ; @_ZN7rocprim17ROCPRIM_400000_NS6detail17trampoline_kernelINS0_14default_configENS1_29reduce_by_key_config_selectorIalN6thrust23THRUST_200600_302600_NS4plusIlEEEEZZNS1_33reduce_by_key_impl_wrapped_configILNS1_25lookback_scan_determinismE0ES3_S9_PaNS6_17constant_iteratorIiNS6_11use_defaultESE_EENS6_10device_ptrIaEENSG_IlEEPmS8_NS6_8equal_toIaEEEE10hipError_tPvRmT2_T3_mT4_T5_T6_T7_T8_P12ihipStream_tbENKUlT_T0_E_clISt17integral_constantIbLb0EES13_EEDaSY_SZ_EUlSY_E_NS1_11comp_targetILNS1_3genE2ELNS1_11target_archE906ELNS1_3gpuE6ELNS1_3repE0EEENS1_30default_config_static_selectorELNS0_4arch9wavefront6targetE1EEEvT1_
; %bb.0:
	s_load_dwordx16 s[40:55], s[4:5], 0x40
	s_load_dwordx4 s[8:11], s[4:5], 0x0
	s_load_dword s14, s[4:5], 0x18
	s_load_dwordx4 s[56:59], s[4:5], 0x20
	s_load_dwordx2 s[38:39], s[4:5], 0x30
	s_add_u32 s0, s0, s7
	s_waitcnt lgkmcnt(0)
	s_mul_i32 s7, s48, s47
	s_mul_hi_u32 s12, s48, s46
	s_addc_u32 s1, s1, 0
	s_add_i32 s7, s12, s7
	s_mul_i32 s12, s49, s46
	s_add_i32 s7, s7, s12
	s_add_u32 s8, s8, s10
	s_addc_u32 s9, s9, s11
	s_mul_i32 s10, s6, 0xf00
	s_add_u32 s8, s8, s10
	s_mul_i32 s12, s48, s46
	s_addc_u32 s9, s9, 0
	s_add_u32 s10, s12, s6
	s_addc_u32 s11, s7, 0
	s_add_u32 s18, s50, -1
	s_addc_u32 s19, s51, -1
	s_cmp_eq_u64 s[10:11], s[18:19]
	s_cselect_b64 s[48:49], -1, 0
	s_cmp_lg_u64 s[10:11], s[18:19]
	s_mov_b64 s[16:17], -1
	s_cselect_b64 s[12:13], -1, 0
	s_mul_i32 s33, s18, 0xfffff100
	s_and_b64 vcc, exec, s[48:49]
	v_mad_u32_u24 v2, v0, 14, v0
	s_cbranch_vccnz .LBB676_2
; %bb.1:
	global_load_ubyte v1, v0, s[8:9]
	global_load_ubyte v6, v0, s[8:9] offset:256
	global_load_ubyte v7, v0, s[8:9] offset:512
	;; [unrolled: 1-line block ×14, first 2 shown]
	s_ashr_i32 s15, s14, 31
	v_mov_b32_e32 v4, s14
	v_mul_u32_u24_e32 v3, 15, v0
	v_mad_i32_i24 v20, v0, -7, v2
	v_mov_b32_e32 v5, s15
	s_waitcnt vmcnt(14)
	ds_write_b8 v0, v1
	s_waitcnt vmcnt(13)
	ds_write_b8 v0, v6 offset:256
	s_waitcnt vmcnt(12)
	ds_write_b8 v0, v7 offset:512
	;; [unrolled: 2-line block ×14, first 2 shown]
	s_waitcnt lgkmcnt(0)
	s_barrier
	ds_read_u8 v72, v2
	ds_read_u8 v71, v2 offset:1
	ds_read_u8 v1, v2 offset:2
	ds_read_b96 v[30:32], v2 offset:3
	s_waitcnt lgkmcnt(0)
	s_barrier
	ds_write2st64_b64 v20, v[4:5], v[4:5] offset1:4
	ds_write2st64_b64 v20, v[4:5], v[4:5] offset0:8 offset1:12
	ds_write2st64_b64 v20, v[4:5], v[4:5] offset0:16 offset1:20
	;; [unrolled: 1-line block ×6, first 2 shown]
	ds_write_b64 v20, v[4:5] offset:28672
	s_waitcnt lgkmcnt(0)
	s_barrier
	s_load_dwordx2 s[60:61], s[4:5], 0x80
	s_add_i32 s33, s33, s52
	s_cbranch_execz .LBB676_3
	s_branch .LBB676_34
.LBB676_2:
                                        ; implicit-def: $vgpr30
                                        ; implicit-def: $vgpr72
                                        ; implicit-def: $vgpr71
                                        ; implicit-def: $vgpr1
                                        ; implicit-def: $vgpr3
	s_load_dwordx2 s[60:61], s[4:5], 0x80
	s_andn2_b64 vcc, exec, s[16:17]
	s_add_i32 s33, s33, s52
	s_cbranch_vccnz .LBB676_34
.LBB676_3:
	v_cmp_gt_u32_e32 vcc, s33, v0
                                        ; implicit-def: $vgpr1
	s_and_saveexec_b64 s[4:5], vcc
	s_cbranch_execz .LBB676_5
; %bb.4:
	global_load_ubyte v1, v0, s[8:9]
.LBB676_5:
	s_or_b64 exec, exec, s[4:5]
	v_or_b32_e32 v3, 0x100, v0
	v_cmp_gt_u32_e32 vcc, s33, v3
                                        ; implicit-def: $vgpr3
	s_and_saveexec_b64 s[4:5], vcc
	s_cbranch_execz .LBB676_7
; %bb.6:
	global_load_ubyte v3, v0, s[8:9] offset:256
.LBB676_7:
	s_or_b64 exec, exec, s[4:5]
	v_or_b32_e32 v4, 0x200, v0
	v_cmp_gt_u32_e32 vcc, s33, v4
                                        ; implicit-def: $vgpr4
	s_and_saveexec_b64 s[4:5], vcc
	s_cbranch_execz .LBB676_9
; %bb.8:
	global_load_ubyte v4, v0, s[8:9] offset:512
.LBB676_9:
	s_or_b64 exec, exec, s[4:5]
	v_or_b32_e32 v5, 0x300, v0
	v_cmp_gt_u32_e32 vcc, s33, v5
                                        ; implicit-def: $vgpr5
	s_and_saveexec_b64 s[4:5], vcc
	s_cbranch_execz .LBB676_11
; %bb.10:
	global_load_ubyte v5, v0, s[8:9] offset:768
.LBB676_11:
	s_or_b64 exec, exec, s[4:5]
	v_or_b32_e32 v6, 0x400, v0
	v_cmp_gt_u32_e32 vcc, s33, v6
                                        ; implicit-def: $vgpr6
	s_and_saveexec_b64 s[4:5], vcc
	s_cbranch_execz .LBB676_13
; %bb.12:
	global_load_ubyte v6, v0, s[8:9] offset:1024
.LBB676_13:
	s_or_b64 exec, exec, s[4:5]
	v_or_b32_e32 v7, 0x500, v0
	v_cmp_gt_u32_e32 vcc, s33, v7
                                        ; implicit-def: $vgpr7
	s_and_saveexec_b64 s[4:5], vcc
	s_cbranch_execz .LBB676_15
; %bb.14:
	global_load_ubyte v7, v0, s[8:9] offset:1280
.LBB676_15:
	s_or_b64 exec, exec, s[4:5]
	v_or_b32_e32 v8, 0x600, v0
	v_cmp_gt_u32_e32 vcc, s33, v8
                                        ; implicit-def: $vgpr8
	s_and_saveexec_b64 s[4:5], vcc
	s_cbranch_execz .LBB676_17
; %bb.16:
	global_load_ubyte v8, v0, s[8:9] offset:1536
.LBB676_17:
	s_or_b64 exec, exec, s[4:5]
	v_or_b32_e32 v9, 0x700, v0
	v_cmp_gt_u32_e32 vcc, s33, v9
                                        ; implicit-def: $vgpr9
	s_and_saveexec_b64 s[4:5], vcc
	s_cbranch_execz .LBB676_19
; %bb.18:
	global_load_ubyte v9, v0, s[8:9] offset:1792
.LBB676_19:
	s_or_b64 exec, exec, s[4:5]
	v_or_b32_e32 v10, 0x800, v0
	v_cmp_gt_u32_e32 vcc, s33, v10
                                        ; implicit-def: $vgpr10
	s_and_saveexec_b64 s[4:5], vcc
	s_cbranch_execz .LBB676_21
; %bb.20:
	global_load_ubyte v10, v0, s[8:9] offset:2048
.LBB676_21:
	s_or_b64 exec, exec, s[4:5]
	v_or_b32_e32 v11, 0x900, v0
	v_cmp_gt_u32_e32 vcc, s33, v11
                                        ; implicit-def: $vgpr11
	s_and_saveexec_b64 s[4:5], vcc
	s_cbranch_execz .LBB676_23
; %bb.22:
	global_load_ubyte v11, v0, s[8:9] offset:2304
.LBB676_23:
	s_or_b64 exec, exec, s[4:5]
	v_or_b32_e32 v12, 0xa00, v0
	v_cmp_gt_u32_e32 vcc, s33, v12
                                        ; implicit-def: $vgpr12
	s_and_saveexec_b64 s[4:5], vcc
	s_cbranch_execz .LBB676_25
; %bb.24:
	global_load_ubyte v12, v0, s[8:9] offset:2560
.LBB676_25:
	s_or_b64 exec, exec, s[4:5]
	v_or_b32_e32 v13, 0xb00, v0
	v_cmp_gt_u32_e32 vcc, s33, v13
                                        ; implicit-def: $vgpr13
	s_and_saveexec_b64 s[4:5], vcc
	s_cbranch_execz .LBB676_27
; %bb.26:
	global_load_ubyte v13, v0, s[8:9] offset:2816
.LBB676_27:
	s_or_b64 exec, exec, s[4:5]
	v_or_b32_e32 v14, 0xc00, v0
	v_cmp_gt_u32_e32 vcc, s33, v14
                                        ; implicit-def: $vgpr14
	s_and_saveexec_b64 s[4:5], vcc
	s_cbranch_execz .LBB676_29
; %bb.28:
	global_load_ubyte v14, v0, s[8:9] offset:3072
.LBB676_29:
	s_or_b64 exec, exec, s[4:5]
	v_or_b32_e32 v15, 0xd00, v0
	v_cmp_gt_u32_e32 vcc, s33, v15
                                        ; implicit-def: $vgpr15
	s_and_saveexec_b64 s[4:5], vcc
	s_cbranch_execz .LBB676_31
; %bb.30:
	global_load_ubyte v15, v0, s[8:9] offset:3328
.LBB676_31:
	s_or_b64 exec, exec, s[4:5]
	v_or_b32_e32 v16, 0xe00, v0
	v_cmp_gt_u32_e32 vcc, s33, v16
                                        ; implicit-def: $vgpr16
	s_and_saveexec_b64 s[4:5], vcc
	s_cbranch_execz .LBB676_33
; %bb.32:
	global_load_ubyte v16, v0, s[8:9] offset:3584
.LBB676_33:
	s_or_b64 exec, exec, s[4:5]
	s_waitcnt vmcnt(0)
	ds_write_b8 v0, v1
	ds_write_b8 v0, v3 offset:256
	ds_write_b8 v0, v4 offset:512
	;; [unrolled: 1-line block ×14, first 2 shown]
	s_waitcnt lgkmcnt(0)
	s_barrier
	ds_read_u8 v72, v2
	ds_read_u8 v71, v2 offset:1
	ds_read_u8 v1, v2 offset:2
	ds_read_b96 v[30:32], v2 offset:3
	s_ashr_i32 s15, s14, 31
	v_mov_b32_e32 v4, s14
	v_mul_u32_u24_e32 v3, 15, v0
	v_mad_i32_i24 v2, v0, -7, v2
	v_mov_b32_e32 v5, s15
	s_waitcnt lgkmcnt(0)
	s_barrier
	ds_write2st64_b64 v2, v[4:5], v[4:5] offset1:4
	ds_write2st64_b64 v2, v[4:5], v[4:5] offset0:8 offset1:12
	ds_write2st64_b64 v2, v[4:5], v[4:5] offset0:16 offset1:20
	;; [unrolled: 1-line block ×6, first 2 shown]
	ds_write_b64 v2, v[4:5] offset:28672
	s_waitcnt lgkmcnt(0)
	s_barrier
.LBB676_34:
	v_lshlrev_b32_e32 v26, 3, v3
	s_waitcnt lgkmcnt(0)
	ds_read_b64 v[67:68], v26 offset:112
	ds_read2_b64 v[2:5], v26 offset0:12 offset1:13
	ds_read2_b64 v[6:9], v26 offset0:10 offset1:11
	;; [unrolled: 1-line block ×6, first 2 shown]
	ds_read2_b64 v[26:29], v26 offset1:1
	s_cmp_eq_u64 s[10:11], 0
	s_cselect_b64 s[50:51], -1, 0
	s_cmp_lg_u64 s[10:11], 0
	s_mov_b64 s[14:15], 0
	s_cselect_b64 s[4:5], -1, 0
	s_and_b64 vcc, exec, s[12:13]
	s_waitcnt lgkmcnt(0)
	s_barrier
	s_cbranch_vccz .LBB676_39
; %bb.35:
	s_and_b64 vcc, exec, s[4:5]
	s_cbranch_vccz .LBB676_40
; %bb.36:
	v_mov_b32_e32 v33, 0
	global_load_ubyte v33, v33, s[8:9] offset:-1
	s_movk_i32 s7, 0xff
	v_lshrrev_b32_e32 v34, 24, v32
	v_and_b32_sdwa v35, v32, s7 dst_sel:DWORD dst_unused:UNUSED_PAD src0_sel:WORD_1 src1_sel:DWORD
	v_cmp_ne_u16_e32 vcc, v35, v34
	ds_write_b8 v0, v34
	v_cndmask_b32_e64 v34, 0, 1, vcc
	buffer_store_dword v34, off, s[0:3], 0 offset:56
	v_lshrrev_b32_e32 v34, 8, v32
	v_cmp_ne_u16_sdwa s[12:13], v34, v35 src0_sel:BYTE_0 src1_sel:DWORD
	v_cndmask_b32_e64 v35, 0, 1, s[12:13]
	v_cmp_ne_u16_sdwa s[12:13], v32, v34 src0_sel:BYTE_0 src1_sel:BYTE_0
	v_cndmask_b32_e64 v34, 0, 1, s[12:13]
	v_cmp_ne_u16_sdwa s[12:13], v31, v32 src0_sel:BYTE_3 src1_sel:BYTE_0
	buffer_store_dword v34, off, s[0:3], 0 offset:48
	v_cndmask_b32_e64 v34, 0, 1, s[12:13]
	buffer_store_dword v34, off, s[0:3], 0 offset:44
	v_and_b32_sdwa v34, v31, s7 dst_sel:DWORD dst_unused:UNUSED_PAD src0_sel:WORD_1 src1_sel:DWORD
	v_cmp_ne_u16_sdwa s[12:13], v34, v31 src0_sel:DWORD src1_sel:BYTE_3
	buffer_store_dword v35, off, s[0:3], 0 offset:52
	v_cndmask_b32_e64 v35, 0, 1, s[12:13]
	buffer_store_dword v35, off, s[0:3], 0 offset:40
	v_lshrrev_b32_e32 v35, 8, v31
	v_cmp_ne_u16_sdwa s[12:13], v35, v34 src0_sel:BYTE_0 src1_sel:DWORD
	v_cndmask_b32_e64 v34, 0, 1, s[12:13]
	v_cmp_ne_u16_sdwa s[12:13], v31, v35 src0_sel:BYTE_0 src1_sel:BYTE_0
	buffer_store_dword v34, off, s[0:3], 0 offset:36
	v_cndmask_b32_e64 v34, 0, 1, s[12:13]
	v_cmp_ne_u16_sdwa s[12:13], v30, v31 src0_sel:BYTE_3 src1_sel:BYTE_0
	buffer_store_dword v34, off, s[0:3], 0 offset:32
	v_cndmask_b32_e64 v34, 0, 1, s[12:13]
	buffer_store_dword v34, off, s[0:3], 0 offset:28
	v_and_b32_sdwa v34, v30, s7 dst_sel:DWORD dst_unused:UNUSED_PAD src0_sel:WORD_1 src1_sel:DWORD
	v_cmp_ne_u16_sdwa s[12:13], v34, v30 src0_sel:DWORD src1_sel:BYTE_3
	v_cndmask_b32_e64 v35, 0, 1, s[12:13]
	buffer_store_dword v35, off, s[0:3], 0 offset:24
	v_lshrrev_b32_e32 v35, 8, v30
	v_cmp_ne_u16_sdwa s[12:13], v35, v34 src0_sel:BYTE_0 src1_sel:DWORD
	v_cndmask_b32_e64 v34, 0, 1, s[12:13]
	v_cmp_ne_u16_sdwa s[12:13], v30, v35 src0_sel:BYTE_0 src1_sel:BYTE_0
	buffer_store_dword v34, off, s[0:3], 0 offset:20
	v_cndmask_b32_e64 v34, 0, 1, s[12:13]
	v_cmp_ne_u16_sdwa s[12:13], v1, v30 src0_sel:BYTE_0 src1_sel:BYTE_0
	buffer_store_dword v34, off, s[0:3], 0 offset:16
	;; [unrolled: 3-line block ×4, first 2 shown]
	v_cndmask_b32_e64 v34, 0, 1, s[12:13]
	v_cmp_ne_u32_e32 vcc, 0, v0
	buffer_store_dword v34, off, s[0:3], 0 offset:4
	s_waitcnt vmcnt(0) lgkmcnt(0)
	s_barrier
	s_and_saveexec_b64 s[12:13], vcc
; %bb.37:
	v_add_u32_e32 v33, -1, v0
	ds_read_u8 v33, v33
; %bb.38:
	s_or_b64 exec, exec, s[12:13]
	s_waitcnt lgkmcnt(0)
	v_cmp_ne_u16_sdwa s[12:13], v33, v72 src0_sel:BYTE_0 src1_sel:BYTE_0
	s_mov_b64 s[14:15], -1
	s_branch .LBB676_44
.LBB676_39:
                                        ; implicit-def: $sgpr12_sgpr13
	s_cbranch_execnz .LBB676_45
	s_branch .LBB676_53
.LBB676_40:
                                        ; implicit-def: $sgpr12_sgpr13
	s_cbranch_execz .LBB676_44
; %bb.41:
	s_movk_i32 s7, 0xff
	v_lshrrev_b32_e32 v33, 24, v32
	v_and_b32_sdwa v34, v32, s7 dst_sel:DWORD dst_unused:UNUSED_PAD src0_sel:WORD_1 src1_sel:DWORD
	v_cmp_ne_u16_e32 vcc, v34, v33
	ds_write_b8 v0, v33
	v_cndmask_b32_e64 v33, 0, 1, vcc
	buffer_store_dword v33, off, s[0:3], 0 offset:56
	v_lshrrev_b32_e32 v33, 8, v32
	v_cmp_ne_u16_sdwa s[12:13], v33, v34 src0_sel:BYTE_0 src1_sel:DWORD
	v_cndmask_b32_e64 v34, 0, 1, s[12:13]
	v_cmp_ne_u16_sdwa s[12:13], v32, v33 src0_sel:BYTE_0 src1_sel:BYTE_0
	v_cndmask_b32_e64 v33, 0, 1, s[12:13]
	v_cmp_ne_u16_sdwa s[12:13], v31, v32 src0_sel:BYTE_3 src1_sel:BYTE_0
	buffer_store_dword v33, off, s[0:3], 0 offset:48
	v_cndmask_b32_e64 v33, 0, 1, s[12:13]
	buffer_store_dword v33, off, s[0:3], 0 offset:44
	v_and_b32_sdwa v33, v31, s7 dst_sel:DWORD dst_unused:UNUSED_PAD src0_sel:WORD_1 src1_sel:DWORD
	v_cmp_ne_u16_sdwa s[12:13], v33, v31 src0_sel:DWORD src1_sel:BYTE_3
	buffer_store_dword v34, off, s[0:3], 0 offset:52
	v_cndmask_b32_e64 v34, 0, 1, s[12:13]
	buffer_store_dword v34, off, s[0:3], 0 offset:40
	v_lshrrev_b32_e32 v34, 8, v31
	v_cmp_ne_u16_sdwa s[12:13], v34, v33 src0_sel:BYTE_0 src1_sel:DWORD
	v_cndmask_b32_e64 v33, 0, 1, s[12:13]
	v_cmp_ne_u16_sdwa s[12:13], v31, v34 src0_sel:BYTE_0 src1_sel:BYTE_0
	buffer_store_dword v33, off, s[0:3], 0 offset:36
	v_cndmask_b32_e64 v33, 0, 1, s[12:13]
	v_cmp_ne_u16_sdwa s[12:13], v30, v31 src0_sel:BYTE_3 src1_sel:BYTE_0
	buffer_store_dword v33, off, s[0:3], 0 offset:32
	v_cndmask_b32_e64 v33, 0, 1, s[12:13]
	buffer_store_dword v33, off, s[0:3], 0 offset:28
	v_and_b32_sdwa v33, v30, s7 dst_sel:DWORD dst_unused:UNUSED_PAD src0_sel:WORD_1 src1_sel:DWORD
	v_cmp_ne_u16_sdwa s[12:13], v33, v30 src0_sel:DWORD src1_sel:BYTE_3
	v_cndmask_b32_e64 v34, 0, 1, s[12:13]
	buffer_store_dword v34, off, s[0:3], 0 offset:24
	v_lshrrev_b32_e32 v34, 8, v30
	v_cmp_ne_u16_sdwa s[12:13], v34, v33 src0_sel:BYTE_0 src1_sel:DWORD
	v_cndmask_b32_e64 v33, 0, 1, s[12:13]
	v_cmp_ne_u16_sdwa s[12:13], v30, v34 src0_sel:BYTE_0 src1_sel:BYTE_0
	buffer_store_dword v33, off, s[0:3], 0 offset:20
	v_cndmask_b32_e64 v33, 0, 1, s[12:13]
	v_cmp_ne_u16_sdwa s[12:13], v1, v30 src0_sel:BYTE_0 src1_sel:BYTE_0
	buffer_store_dword v33, off, s[0:3], 0 offset:16
	;; [unrolled: 3-line block ×4, first 2 shown]
	v_cndmask_b32_e64 v33, 0, 1, s[12:13]
	buffer_store_dword v33, off, s[0:3], 0 offset:4
	v_mov_b32_e32 v33, 1
	v_cmp_ne_u32_e32 vcc, 0, v0
	s_waitcnt vmcnt(0) lgkmcnt(0)
	s_barrier
	buffer_store_dword v33, off, s[0:3], 0
                                        ; implicit-def: $sgpr12_sgpr13
	s_and_saveexec_b64 s[16:17], vcc
	s_xor_b64 s[16:17], exec, s[16:17]
	s_cbranch_execz .LBB676_43
; %bb.42:
	v_add_u32_e32 v33, -1, v0
	ds_read_u8 v33, v33
	s_or_b64 s[14:15], s[14:15], exec
	s_waitcnt lgkmcnt(0)
	v_cmp_ne_u16_sdwa s[12:13], v33, v72 src0_sel:DWORD src1_sel:BYTE_0
.LBB676_43:
	s_or_b64 exec, exec, s[16:17]
.LBB676_44:
	s_branch .LBB676_53
.LBB676_45:
	s_mul_i32 s7, s11, 0xfffff100
	s_mul_hi_u32 s11, s10, 0xfffff100
	s_sub_i32 s11, s11, s10
	s_add_i32 s11, s11, s7
	s_mul_i32 s7, s10, 0xfffff100
	s_add_u32 s10, s7, s52
	s_addc_u32 s11, s11, s53
	s_and_b64 vcc, exec, s[4:5]
	v_mad_u32_u24 v33, v0, 15, 14
	v_mad_u32_u24 v59, v0, 15, 13
	;; [unrolled: 1-line block ×4, first 2 shown]
	v_cmp_ne_u16_sdwa s[22:23], v31, v32 src0_sel:BYTE_3 src1_sel:BYTE_0
	v_mad_u32_u24 v53, v0, 15, 10
	v_mad_u32_u24 v51, v0, 15, 9
	v_mad_u32_u24 v49, v0, 15, 8
	v_mad_u32_u24 v47, v0, 15, 7
	v_cmp_ne_u16_sdwa s[20:21], v30, v31 src0_sel:BYTE_3 src1_sel:BYTE_0
	v_mad_u32_u24 v45, v0, 15, 6
	v_mad_u32_u24 v43, v0, 15, 5
	;; [unrolled: 1-line block ×4, first 2 shown]
	v_cmp_ne_u16_sdwa s[18:19], v1, v30 src0_sel:BYTE_0 src1_sel:BYTE_0
	v_mad_u32_u24 v37, v0, 15, 2
	v_cmp_ne_u16_sdwa s[16:17], v71, v1 src0_sel:BYTE_0 src1_sel:BYTE_0
	v_mad_u32_u24 v35, v0, 15, 1
	v_cmp_ne_u16_sdwa s[12:13], v72, v71 src0_sel:BYTE_0 src1_sel:BYTE_0
	v_cmp_ne_u32_e64 s[4:5], 0, v0
	s_cbranch_vccz .LBB676_49
; %bb.46:
	v_mov_b32_e32 v34, 0
	global_load_ubyte v63, v34, s[8:9] offset:-1
	s_movk_i32 s7, 0xff
	v_lshrrev_b32_e32 v36, 24, v32
	v_cmp_gt_u64_e32 vcc, s[10:11], v[33:34]
	v_and_b32_sdwa v38, v32, s7 dst_sel:DWORD dst_unused:UNUSED_PAD src0_sel:WORD_1 src1_sel:DWORD
	v_cmp_ne_u16_e64 s[8:9], v38, v36
	s_and_b64 s[8:9], vcc, s[8:9]
	ds_write_b8 v0, v36
	v_cndmask_b32_e64 v36, 0, 1, s[8:9]
	v_mov_b32_e32 v60, v34
	buffer_store_dword v36, off, s[0:3], 0 offset:56
	v_cmp_gt_u64_e32 vcc, s[10:11], v[59:60]
	v_lshrrev_b32_e32 v36, 8, v32
	v_cmp_ne_u16_sdwa s[8:9], v36, v38 src0_sel:BYTE_0 src1_sel:DWORD
	v_mov_b32_e32 v58, v34
	s_and_b64 s[8:9], vcc, s[8:9]
	v_cmp_gt_u64_e32 vcc, s[10:11], v[57:58]
	v_cndmask_b32_e64 v38, 0, 1, s[8:9]
	v_cmp_ne_u16_sdwa s[8:9], v32, v36 src0_sel:BYTE_0 src1_sel:BYTE_0
	v_mov_b32_e32 v56, v34
	s_and_b64 s[8:9], vcc, s[8:9]
	v_cmp_gt_u64_e32 vcc, s[10:11], v[55:56]
	v_cndmask_b32_e64 v36, 0, 1, s[8:9]
	s_and_b64 s[8:9], vcc, s[22:23]
	buffer_store_dword v36, off, s[0:3], 0 offset:48
	v_cndmask_b32_e64 v36, 0, 1, s[8:9]
	v_mov_b32_e32 v54, v34
	buffer_store_dword v36, off, s[0:3], 0 offset:44
	v_cmp_gt_u64_e32 vcc, s[10:11], v[53:54]
	v_and_b32_sdwa v36, v31, s7 dst_sel:DWORD dst_unused:UNUSED_PAD src0_sel:WORD_1 src1_sel:DWORD
	v_cmp_ne_u16_sdwa s[8:9], v36, v31 src0_sel:DWORD src1_sel:BYTE_3
	s_and_b64 s[8:9], vcc, s[8:9]
	buffer_store_dword v38, off, s[0:3], 0 offset:52
	v_cndmask_b32_e64 v38, 0, 1, s[8:9]
	v_mov_b32_e32 v52, v34
	buffer_store_dword v38, off, s[0:3], 0 offset:40
	v_cmp_gt_u64_e32 vcc, s[10:11], v[51:52]
	v_lshrrev_b32_e32 v38, 8, v31
	v_cmp_ne_u16_sdwa s[8:9], v38, v36 src0_sel:BYTE_0 src1_sel:DWORD
	v_mov_b32_e32 v50, v34
	s_and_b64 s[8:9], vcc, s[8:9]
	v_cmp_gt_u64_e32 vcc, s[10:11], v[49:50]
	v_cndmask_b32_e64 v36, 0, 1, s[8:9]
	v_cmp_ne_u16_sdwa s[8:9], v31, v38 src0_sel:BYTE_0 src1_sel:BYTE_0
	v_mov_b32_e32 v48, v34
	s_and_b64 s[8:9], vcc, s[8:9]
	v_cmp_gt_u64_e32 vcc, s[10:11], v[47:48]
	buffer_store_dword v36, off, s[0:3], 0 offset:36
	v_cndmask_b32_e64 v36, 0, 1, s[8:9]
	s_and_b64 s[8:9], vcc, s[20:21]
	buffer_store_dword v36, off, s[0:3], 0 offset:32
	v_cndmask_b32_e64 v36, 0, 1, s[8:9]
	v_mov_b32_e32 v46, v34
	buffer_store_dword v36, off, s[0:3], 0 offset:28
	v_cmp_gt_u64_e32 vcc, s[10:11], v[45:46]
	v_and_b32_sdwa v36, v30, s7 dst_sel:DWORD dst_unused:UNUSED_PAD src0_sel:WORD_1 src1_sel:DWORD
	v_cmp_ne_u16_sdwa s[8:9], v36, v30 src0_sel:DWORD src1_sel:BYTE_3
	s_and_b64 s[8:9], vcc, s[8:9]
	v_cndmask_b32_e64 v38, 0, 1, s[8:9]
	v_mov_b32_e32 v44, v34
	buffer_store_dword v38, off, s[0:3], 0 offset:24
	v_cmp_gt_u64_e32 vcc, s[10:11], v[43:44]
	v_lshrrev_b32_e32 v38, 8, v30
	v_cmp_ne_u16_sdwa s[8:9], v38, v36 src0_sel:BYTE_0 src1_sel:DWORD
	v_mov_b32_e32 v42, v34
	s_and_b64 s[8:9], vcc, s[8:9]
	v_cmp_gt_u64_e32 vcc, s[10:11], v[41:42]
	v_cndmask_b32_e64 v36, 0, 1, s[8:9]
	v_cmp_ne_u16_sdwa s[8:9], v30, v38 src0_sel:BYTE_0 src1_sel:BYTE_0
	v_mov_b32_e32 v40, v34
	s_and_b64 s[8:9], vcc, s[8:9]
	v_cmp_gt_u64_e32 vcc, s[10:11], v[39:40]
	buffer_store_dword v36, off, s[0:3], 0 offset:20
	v_cndmask_b32_e64 v36, 0, 1, s[8:9]
	s_and_b64 s[8:9], vcc, s[18:19]
	v_mov_b32_e32 v38, v34
	buffer_store_dword v36, off, s[0:3], 0 offset:16
	v_cndmask_b32_e64 v36, 0, 1, s[8:9]
	v_cmp_gt_u64_e32 vcc, s[10:11], v[37:38]
	buffer_store_dword v36, off, s[0:3], 0 offset:12
	v_mov_b32_e32 v36, v34
	s_and_b64 s[8:9], vcc, s[16:17]
	v_cmp_gt_u64_e32 vcc, s[10:11], v[35:36]
	v_cndmask_b32_e64 v38, 0, 1, s[8:9]
	s_and_b64 s[8:9], vcc, s[12:13]
	v_mul_u32_u24_e32 v61, 15, v0
	v_cndmask_b32_e64 v36, 0, 1, s[8:9]
	buffer_store_dword v38, off, s[0:3], 0 offset:8
	buffer_store_dword v36, off, s[0:3], 0 offset:4
	s_waitcnt vmcnt(0) lgkmcnt(0)
	s_barrier
	s_and_saveexec_b64 s[8:9], s[4:5]
; %bb.47:
	v_add_u32_e32 v36, -1, v0
	ds_read_u8 v63, v36
; %bb.48:
	s_or_b64 exec, exec, s[8:9]
	v_mov_b32_e32 v62, v34
	v_cmp_gt_u64_e32 vcc, s[10:11], v[61:62]
	s_waitcnt lgkmcnt(0)
	v_cmp_ne_u16_sdwa s[4:5], v63, v72 src0_sel:BYTE_0 src1_sel:BYTE_0
	s_and_b64 s[12:13], vcc, s[4:5]
	s_mov_b64 s[14:15], -1
	s_branch .LBB676_53
.LBB676_49:
                                        ; implicit-def: $sgpr12_sgpr13
	s_cbranch_execz .LBB676_53
; %bb.50:
	v_mov_b32_e32 v34, 0
	s_movk_i32 s7, 0xff
	v_lshrrev_b32_e32 v36, 24, v32
	v_cmp_gt_u64_e32 vcc, s[10:11], v[33:34]
	v_and_b32_sdwa v33, v32, s7 dst_sel:DWORD dst_unused:UNUSED_PAD src0_sel:WORD_1 src1_sel:DWORD
	v_cmp_ne_u16_e64 s[4:5], v33, v36
	s_and_b64 s[4:5], vcc, s[4:5]
	ds_write_b8 v0, v36
	v_cndmask_b32_e64 v36, 0, 1, s[4:5]
	v_mov_b32_e32 v60, v34
	buffer_store_dword v36, off, s[0:3], 0 offset:56
	v_cmp_gt_u64_e32 vcc, s[10:11], v[59:60]
	v_lshrrev_b32_e32 v36, 8, v32
	v_cmp_ne_u16_sdwa s[4:5], v36, v33 src0_sel:BYTE_0 src1_sel:DWORD
	v_mov_b32_e32 v58, v34
	s_and_b64 s[4:5], vcc, s[4:5]
	v_cmp_gt_u64_e32 vcc, s[10:11], v[57:58]
	v_cndmask_b32_e64 v33, 0, 1, s[4:5]
	v_cmp_ne_u16_sdwa s[4:5], v32, v36 src0_sel:BYTE_0 src1_sel:BYTE_0
	v_mov_b32_e32 v56, v34
	s_and_b64 s[4:5], vcc, s[4:5]
	v_cmp_gt_u64_e32 vcc, s[10:11], v[55:56]
	buffer_store_dword v33, off, s[0:3], 0 offset:52
	v_cndmask_b32_e64 v33, 0, 1, s[4:5]
	v_cmp_ne_u16_sdwa s[4:5], v31, v32 src0_sel:BYTE_3 src1_sel:BYTE_0
	s_and_b64 s[4:5], vcc, s[4:5]
	buffer_store_dword v33, off, s[0:3], 0 offset:48
	v_cndmask_b32_e64 v33, 0, 1, s[4:5]
	v_mov_b32_e32 v54, v34
	buffer_store_dword v33, off, s[0:3], 0 offset:44
	v_cmp_gt_u64_e32 vcc, s[10:11], v[53:54]
	v_and_b32_sdwa v33, v31, s7 dst_sel:DWORD dst_unused:UNUSED_PAD src0_sel:WORD_1 src1_sel:DWORD
	v_cmp_ne_u16_sdwa s[4:5], v33, v31 src0_sel:DWORD src1_sel:BYTE_3
	s_and_b64 s[4:5], vcc, s[4:5]
	v_cndmask_b32_e64 v36, 0, 1, s[4:5]
	v_mov_b32_e32 v52, v34
	buffer_store_dword v36, off, s[0:3], 0 offset:40
	v_cmp_gt_u64_e32 vcc, s[10:11], v[51:52]
	v_lshrrev_b32_e32 v36, 8, v31
	v_cmp_ne_u16_sdwa s[4:5], v36, v33 src0_sel:BYTE_0 src1_sel:DWORD
	v_mov_b32_e32 v50, v34
	s_and_b64 s[4:5], vcc, s[4:5]
	v_cmp_gt_u64_e32 vcc, s[10:11], v[49:50]
	v_cndmask_b32_e64 v33, 0, 1, s[4:5]
	v_cmp_ne_u16_sdwa s[4:5], v31, v36 src0_sel:BYTE_0 src1_sel:BYTE_0
	v_mov_b32_e32 v48, v34
	s_and_b64 s[4:5], vcc, s[4:5]
	v_cmp_gt_u64_e32 vcc, s[10:11], v[47:48]
	buffer_store_dword v33, off, s[0:3], 0 offset:36
	v_cndmask_b32_e64 v33, 0, 1, s[4:5]
	v_cmp_ne_u16_sdwa s[4:5], v30, v31 src0_sel:BYTE_3 src1_sel:BYTE_0
	s_and_b64 s[4:5], vcc, s[4:5]
	buffer_store_dword v33, off, s[0:3], 0 offset:32
	v_cndmask_b32_e64 v33, 0, 1, s[4:5]
	v_mov_b32_e32 v46, v34
	buffer_store_dword v33, off, s[0:3], 0 offset:28
	v_cmp_gt_u64_e32 vcc, s[10:11], v[45:46]
	v_and_b32_sdwa v33, v30, s7 dst_sel:DWORD dst_unused:UNUSED_PAD src0_sel:WORD_1 src1_sel:DWORD
	v_cmp_ne_u16_sdwa s[4:5], v33, v30 src0_sel:DWORD src1_sel:BYTE_3
	s_and_b64 s[4:5], vcc, s[4:5]
	v_cndmask_b32_e64 v36, 0, 1, s[4:5]
	v_mov_b32_e32 v44, v34
	buffer_store_dword v36, off, s[0:3], 0 offset:24
	v_cmp_gt_u64_e32 vcc, s[10:11], v[43:44]
	v_lshrrev_b32_e32 v36, 8, v30
	v_cmp_ne_u16_sdwa s[4:5], v36, v33 src0_sel:BYTE_0 src1_sel:DWORD
	v_mov_b32_e32 v42, v34
	s_and_b64 s[4:5], vcc, s[4:5]
	v_cmp_gt_u64_e32 vcc, s[10:11], v[41:42]
	v_cndmask_b32_e64 v33, 0, 1, s[4:5]
	v_cmp_ne_u16_sdwa s[4:5], v30, v36 src0_sel:BYTE_0 src1_sel:BYTE_0
	v_mov_b32_e32 v40, v34
	s_and_b64 s[4:5], vcc, s[4:5]
	v_cmp_gt_u64_e32 vcc, s[10:11], v[39:40]
	buffer_store_dword v33, off, s[0:3], 0 offset:20
	v_cndmask_b32_e64 v33, 0, 1, s[4:5]
	v_cmp_ne_u16_sdwa s[4:5], v1, v30 src0_sel:BYTE_0 src1_sel:BYTE_0
	v_mov_b32_e32 v38, v34
	s_and_b64 s[4:5], vcc, s[4:5]
	v_cmp_gt_u64_e32 vcc, s[10:11], v[37:38]
	buffer_store_dword v33, off, s[0:3], 0 offset:16
	;; [unrolled: 6-line block ×3, first 2 shown]
	v_cndmask_b32_e64 v33, 0, 1, s[4:5]
	v_cmp_ne_u16_sdwa s[4:5], v72, v71 src0_sel:BYTE_0 src1_sel:BYTE_0
	s_and_b64 s[4:5], vcc, s[4:5]
	buffer_store_dword v33, off, s[0:3], 0 offset:8
	v_mov_b32_e32 v33, 1
	v_cndmask_b32_e64 v35, 0, 1, s[4:5]
	v_cmp_ne_u32_e32 vcc, 0, v0
	buffer_store_dword v35, off, s[0:3], 0 offset:4
	s_waitcnt vmcnt(0) lgkmcnt(0)
	s_barrier
	buffer_store_dword v33, off, s[0:3], 0
                                        ; implicit-def: $sgpr12_sgpr13
	s_and_saveexec_b64 s[4:5], vcc
	s_cbranch_execz .LBB676_52
; %bb.51:
	v_add_u32_e32 v33, -1, v0
	ds_read_u8 v35, v33
	v_mul_u32_u24_e32 v33, 15, v0
	v_cmp_gt_u64_e32 vcc, s[10:11], v[33:34]
	s_or_b64 s[14:15], s[14:15], exec
	s_waitcnt lgkmcnt(0)
	v_cmp_ne_u16_sdwa s[8:9], v35, v72 src0_sel:BYTE_0 src1_sel:BYTE_0
	s_and_b64 s[12:13], vcc, s[8:9]
.LBB676_52:
	s_or_b64 exec, exec, s[4:5]
.LBB676_53:
	v_mov_b32_e32 v73, 1
	s_and_saveexec_b64 s[4:5], s[14:15]
	s_cbranch_execz .LBB676_55
; %bb.54:
	v_cndmask_b32_e64 v73, 0, 1, s[12:13]
	buffer_store_dword v73, off, s[0:3], 0
.LBB676_55:
	s_or_b64 exec, exec, s[4:5]
	buffer_load_dword v86, off, s[0:3], 0 offset:4
	buffer_load_dword v85, off, s[0:3], 0 offset:8
	;; [unrolled: 1-line block ×14, first 2 shown]
	s_cmp_eq_u64 s[46:47], 0
	s_cselect_b64 s[46:47], -1, 0
	s_cmp_lg_u32 s6, 0
	v_mbcnt_lo_u32_b32 v88, -1, 0
	s_waitcnt vmcnt(13)
	v_cmp_eq_u32_e64 s[28:29], 0, v86
	s_waitcnt vmcnt(12)
	v_add3_u32 v33, v86, v73, v85
	v_cmp_eq_u32_e64 s[26:27], 0, v85
	s_waitcnt vmcnt(11)
	v_cmp_eq_u32_e64 s[24:25], 0, v74
	s_waitcnt vmcnt(10)
	;; [unrolled: 2-line block ×12, first 2 shown]
	v_cmp_eq_u32_e32 vcc, 0, v87
	v_add3_u32 v89, v33, v74, v75
	s_cbranch_scc0 .LBB676_117
; %bb.56:
	v_cndmask_b32_e64 v34, 0, v26, s[28:29]
	v_cndmask_b32_e64 v33, 0, v27, s[28:29]
	v_add_co_u32_e64 v34, s[30:31], v34, v28
	v_addc_co_u32_e64 v33, s[30:31], v33, v29, s[30:31]
	v_cndmask_b32_e64 v34, 0, v34, s[26:27]
	v_cndmask_b32_e64 v33, 0, v33, s[26:27]
	v_add_co_u32_e64 v34, s[30:31], v34, v22
	v_addc_co_u32_e64 v33, s[30:31], v33, v23, s[30:31]
	;; [unrolled: 4-line block ×11, first 2 shown]
	v_cndmask_b32_e64 v34, 0, v34, s[34:35]
	v_add3_u32 v35, v89, v76, v77
	v_cndmask_b32_e64 v33, 0, v33, s[34:35]
	v_add_co_u32_e64 v34, s[30:31], v34, v2
	v_add3_u32 v35, v35, v78, v79
	v_addc_co_u32_e64 v33, s[30:31], v33, v3, s[30:31]
	v_cndmask_b32_e64 v34, 0, v34, s[4:5]
	v_add3_u32 v35, v35, v80, v81
	v_cndmask_b32_e64 v33, 0, v33, s[4:5]
	v_add_co_u32_e64 v34, s[30:31], v34, v4
	v_add3_u32 v35, v35, v82, v83
	v_addc_co_u32_e64 v33, s[30:31], v33, v5, s[30:31]
	v_cndmask_b32_e32 v34, 0, v34, vcc
	v_add3_u32 v37, v35, v84, v87
	v_cndmask_b32_e32 v33, 0, v33, vcc
	v_add_co_u32_e32 v35, vcc, v34, v67
	v_mbcnt_hi_u32_b32 v42, -1, v88
	v_addc_co_u32_e32 v36, vcc, v33, v68, vcc
	v_and_b32_e32 v33, 15, v42
	v_mov_b32_dpp v38, v37 row_shr:1 row_mask:0xf bank_mask:0xf
	v_mov_b32_dpp v34, v35 row_shr:1 row_mask:0xf bank_mask:0xf
	;; [unrolled: 1-line block ×3, first 2 shown]
	v_cmp_ne_u32_e32 vcc, 0, v33
	s_and_saveexec_b64 s[30:31], vcc
; %bb.57:
	v_cmp_eq_u32_e32 vcc, 0, v37
	v_cndmask_b32_e32 v34, 0, v34, vcc
	v_add_u32_e32 v38, v38, v37
	v_cndmask_b32_e32 v37, 0, v39, vcc
	v_add_co_u32_e32 v35, vcc, v34, v35
	v_addc_co_u32_e32 v36, vcc, v37, v36, vcc
	v_mov_b32_e32 v37, v38
; %bb.58:
	s_or_b64 exec, exec, s[30:31]
	s_nop 0
	v_mov_b32_dpp v38, v37 row_shr:2 row_mask:0xf bank_mask:0xf
	v_mov_b32_dpp v34, v35 row_shr:2 row_mask:0xf bank_mask:0xf
	v_mov_b32_dpp v39, v36 row_shr:2 row_mask:0xf bank_mask:0xf
	v_cmp_lt_u32_e32 vcc, 1, v33
	s_and_saveexec_b64 s[30:31], vcc
; %bb.59:
	v_cmp_eq_u32_e32 vcc, 0, v37
	v_cndmask_b32_e32 v34, 0, v34, vcc
	v_add_u32_e32 v38, v38, v37
	v_cndmask_b32_e32 v37, 0, v39, vcc
	v_add_co_u32_e32 v35, vcc, v34, v35
	v_addc_co_u32_e32 v36, vcc, v37, v36, vcc
	v_mov_b32_e32 v37, v38
; %bb.60:
	s_or_b64 exec, exec, s[30:31]
	s_nop 0
	v_mov_b32_dpp v38, v37 row_shr:4 row_mask:0xf bank_mask:0xf
	v_mov_b32_dpp v34, v35 row_shr:4 row_mask:0xf bank_mask:0xf
	v_mov_b32_dpp v39, v36 row_shr:4 row_mask:0xf bank_mask:0xf
	v_cmp_lt_u32_e32 vcc, 3, v33
	;; [unrolled: 16-line block ×3, first 2 shown]
	s_and_saveexec_b64 s[30:31], vcc
; %bb.63:
	v_cmp_eq_u32_e32 vcc, 0, v37
	v_cndmask_b32_e32 v34, 0, v34, vcc
	v_add_u32_e32 v33, v38, v37
	v_cndmask_b32_e32 v37, 0, v39, vcc
	v_add_co_u32_e32 v35, vcc, v34, v35
	v_addc_co_u32_e32 v36, vcc, v37, v36, vcc
	v_mov_b32_e32 v37, v33
; %bb.64:
	s_or_b64 exec, exec, s[30:31]
	v_and_b32_e32 v39, 16, v42
	v_mov_b32_dpp v34, v37 row_bcast:15 row_mask:0xf bank_mask:0xf
	v_mov_b32_dpp v33, v35 row_bcast:15 row_mask:0xf bank_mask:0xf
	;; [unrolled: 1-line block ×3, first 2 shown]
	v_cmp_ne_u32_e32 vcc, 0, v39
	s_and_saveexec_b64 s[30:31], vcc
; %bb.65:
	v_cmp_eq_u32_e32 vcc, 0, v37
	v_cndmask_b32_e32 v33, 0, v33, vcc
	v_add_u32_e32 v34, v34, v37
	v_cndmask_b32_e32 v37, 0, v38, vcc
	v_add_co_u32_e32 v35, vcc, v33, v35
	v_addc_co_u32_e32 v36, vcc, v37, v36, vcc
	v_mov_b32_e32 v37, v34
; %bb.66:
	s_or_b64 exec, exec, s[30:31]
	s_nop 0
	v_mov_b32_dpp v34, v37 row_bcast:31 row_mask:0xf bank_mask:0xf
	v_mov_b32_dpp v33, v35 row_bcast:31 row_mask:0xf bank_mask:0xf
	;; [unrolled: 1-line block ×3, first 2 shown]
	v_cmp_lt_u32_e32 vcc, 31, v42
	s_and_saveexec_b64 s[30:31], vcc
; %bb.67:
	v_cmp_eq_u32_e32 vcc, 0, v37
	v_cndmask_b32_e32 v33, 0, v33, vcc
	v_add_u32_e32 v34, v34, v37
	v_cndmask_b32_e32 v37, 0, v38, vcc
	v_add_co_u32_e32 v35, vcc, v33, v35
	v_addc_co_u32_e32 v36, vcc, v37, v36, vcc
	v_mov_b32_e32 v37, v34
; %bb.68:
	s_or_b64 exec, exec, s[30:31]
	v_lshrrev_b32_e32 v33, 6, v0
	v_or_b32_e32 v34, 63, v0
	v_cmp_eq_u32_e32 vcc, v0, v34
	v_lshlrev_b32_e32 v38, 4, v33
	s_and_saveexec_b64 s[30:31], vcc
	s_cbranch_execz .LBB676_70
; %bb.69:
	ds_write_b32 v38, v37 offset:544
	ds_write_b64 v38, v[35:36] offset:552
.LBB676_70:
	s_or_b64 exec, exec, s[30:31]
	v_cmp_gt_u32_e32 vcc, 4, v0
	s_waitcnt lgkmcnt(0)
	s_barrier
	s_and_saveexec_b64 s[30:31], vcc
	s_cbranch_execz .LBB676_76
; %bb.71:
	v_lshlrev_b32_e32 v39, 4, v0
	ds_read_b32 v40, v39 offset:544
	ds_read_b64 v[33:34], v39 offset:552
	v_and_b32_e32 v41, 3, v42
	v_cmp_ne_u32_e32 vcc, 0, v41
	s_waitcnt lgkmcnt(1)
	v_mov_b32_dpp v44, v40 row_shr:1 row_mask:0xf bank_mask:0xf
	s_waitcnt lgkmcnt(0)
	v_mov_b32_dpp v43, v33 row_shr:1 row_mask:0xf bank_mask:0xf
	v_mov_b32_dpp v45, v34 row_shr:1 row_mask:0xf bank_mask:0xf
	s_and_saveexec_b64 s[36:37], vcc
; %bb.72:
	v_cmp_eq_u32_e32 vcc, 0, v40
	v_cndmask_b32_e32 v43, 0, v43, vcc
	v_add_u32_e32 v44, v44, v40
	v_cndmask_b32_e32 v40, 0, v45, vcc
	v_add_co_u32_e32 v33, vcc, v43, v33
	v_addc_co_u32_e32 v34, vcc, v40, v34, vcc
	v_mov_b32_e32 v40, v44
; %bb.73:
	s_or_b64 exec, exec, s[36:37]
	s_nop 0
	v_mov_b32_dpp v44, v40 row_shr:2 row_mask:0xf bank_mask:0xf
	v_mov_b32_dpp v43, v33 row_shr:2 row_mask:0xf bank_mask:0xf
	;; [unrolled: 1-line block ×3, first 2 shown]
	v_cmp_lt_u32_e32 vcc, 1, v41
	s_and_saveexec_b64 s[36:37], vcc
; %bb.74:
	v_cmp_eq_u32_e32 vcc, 0, v40
	v_cndmask_b32_e32 v43, 0, v43, vcc
	v_add_u32_e32 v41, v44, v40
	v_cndmask_b32_e32 v40, 0, v45, vcc
	v_add_co_u32_e32 v33, vcc, v43, v33
	v_addc_co_u32_e32 v34, vcc, v40, v34, vcc
	v_mov_b32_e32 v40, v41
; %bb.75:
	s_or_b64 exec, exec, s[36:37]
	ds_write_b32 v39, v40 offset:544
	ds_write_b64 v39, v[33:34] offset:552
.LBB676_76:
	s_or_b64 exec, exec, s[30:31]
	v_mov_b32_e32 v33, 0
	v_cmp_gt_u32_e32 vcc, 64, v0
	v_cmp_lt_u32_e64 s[30:31], 63, v0
	v_mov_b32_e32 v34, 0
	v_mov_b32_e32 v45, 0
	s_waitcnt lgkmcnt(0)
	s_barrier
	s_and_saveexec_b64 s[36:37], s[30:31]
	s_cbranch_execz .LBB676_78
; %bb.77:
	ds_read_b32 v45, v38 offset:528
	ds_read_b64 v[33:34], v38 offset:536
	v_cmp_eq_u32_e64 s[30:31], 0, v37
	s_waitcnt lgkmcnt(1)
	v_add_u32_e32 v38, v45, v37
	s_waitcnt lgkmcnt(0)
	v_cndmask_b32_e64 v39, 0, v33, s[30:31]
	v_cndmask_b32_e64 v37, 0, v34, s[30:31]
	v_add_co_u32_e64 v35, s[30:31], v39, v35
	v_addc_co_u32_e64 v36, s[30:31], v37, v36, s[30:31]
	v_mov_b32_e32 v37, v38
.LBB676_78:
	s_or_b64 exec, exec, s[36:37]
	v_subrev_co_u32_e64 v38, s[30:31], 1, v42
	v_and_b32_e32 v39, 64, v42
	v_cmp_lt_i32_e64 s[36:37], v38, v39
	v_cndmask_b32_e64 v38, v38, v42, s[36:37]
	v_lshlrev_b32_e32 v38, 2, v38
	ds_bpermute_b32 v46, v38, v37
	ds_bpermute_b32 v47, v38, v35
	;; [unrolled: 1-line block ×3, first 2 shown]
	s_and_saveexec_b64 s[52:53], vcc
	s_cbranch_execz .LBB676_122
; %bb.79:
	v_mov_b32_e32 v39, 0
	ds_read_b32 v49, v39 offset:592
	ds_read_b64 v[35:36], v39 offset:600
	s_and_saveexec_b64 s[36:37], s[30:31]
	s_cbranch_execz .LBB676_81
; %bb.80:
	s_add_i32 s62, s6, 64
	s_mov_b32 s63, 0
	s_lshl_b64 s[64:65], s[62:63], 4
	s_add_u32 s64, s40, s64
	s_addc_u32 s65, s41, s65
	v_mov_b32_e32 v37, 1
	v_mov_b32_e32 v38, s62
	s_waitcnt lgkmcnt(1)
	global_store_dword v39, v49, s[64:65]
	s_waitcnt lgkmcnt(0)
	global_store_dwordx2 v39, v[35:36], s[64:65] offset:8
	s_waitcnt vmcnt(0)
	buffer_wbinvl1_vol
	global_store_byte v38, v37, s[44:45]
.LBB676_81:
	s_or_b64 exec, exec, s[36:37]
	v_xad_u32 v37, v42, -1, s6
	v_add_u32_e32 v38, 64, v37
	global_load_ubyte v50, v38, s[44:45] glc
	s_waitcnt vmcnt(0)
	v_cmp_eq_u16_e32 vcc, 0, v50
	s_and_saveexec_b64 s[36:37], vcc
	s_cbranch_execz .LBB676_85
; %bb.82:
	v_mov_b32_e32 v41, s45
	v_add_co_u32_e32 v40, vcc, s44, v38
	v_addc_co_u32_e32 v41, vcc, 0, v41, vcc
	s_mov_b64 s[62:63], 0
.LBB676_83:                             ; =>This Inner Loop Header: Depth=1
	global_load_ubyte v50, v[40:41], off glc
	s_waitcnt vmcnt(0)
	v_cmp_ne_u16_e32 vcc, 0, v50
	s_or_b64 s[62:63], vcc, s[62:63]
	s_andn2_b64 exec, exec, s[62:63]
	s_cbranch_execnz .LBB676_83
; %bb.84:
	s_or_b64 exec, exec, s[62:63]
.LBB676_85:
	s_or_b64 exec, exec, s[36:37]
	v_mov_b32_e32 v40, s43
	v_mov_b32_e32 v41, s41
	v_cmp_eq_u16_e32 vcc, 1, v50
	v_cndmask_b32_e32 v40, v40, v41, vcc
	v_mov_b32_e32 v41, s42
	v_mov_b32_e32 v43, s40
	v_lshlrev_b64 v[38:39], 4, v[38:39]
	v_cndmask_b32_e32 v41, v41, v43, vcc
	v_add_co_u32_e32 v38, vcc, v41, v38
	v_addc_co_u32_e32 v39, vcc, v40, v39, vcc
	s_waitcnt lgkmcnt(0)
	buffer_wbinvl1_vol
	global_load_dword v65, v[38:39], off
	global_load_dwordx2 v[43:44], v[38:39], off offset:8
	v_and_b32_e32 v51, 63, v42
	v_lshlrev_b64 v[39:40], v42, -1
	v_cmp_ne_u32_e64 s[36:37], 63, v51
	v_cmp_eq_u16_e32 vcc, 2, v50
	v_addc_co_u32_e64 v38, s[36:37], 0, v42, s[36:37]
	v_and_b32_e32 v41, vcc_hi, v40
	v_lshlrev_b32_e32 v52, 2, v38
	v_or_b32_e32 v38, 0x80000000, v41
	v_and_b32_e32 v55, vcc_lo, v39
	v_ffbl_b32_e32 v38, v38
	v_add_u32_e32 v38, 32, v38
	v_ffbl_b32_e32 v55, v55
	v_min_u32_e32 v38, v55, v38
	v_cmp_lt_u32_e32 vcc, v51, v38
	s_waitcnt vmcnt(1)
	ds_bpermute_b32 v53, v52, v65
	s_waitcnt vmcnt(0)
	ds_bpermute_b32 v41, v52, v43
	ds_bpermute_b32 v54, v52, v44
	s_and_saveexec_b64 s[36:37], vcc
	s_cbranch_execz .LBB676_87
; %bb.86:
	v_cmp_eq_u32_e32 vcc, 0, v65
	s_waitcnt lgkmcnt(1)
	v_cndmask_b32_e32 v41, 0, v41, vcc
	v_add_u32_e32 v53, v53, v65
	s_waitcnt lgkmcnt(0)
	v_cndmask_b32_e32 v54, 0, v54, vcc
	v_add_co_u32_e32 v43, vcc, v41, v43
	v_addc_co_u32_e32 v44, vcc, v54, v44, vcc
	v_mov_b32_e32 v65, v53
.LBB676_87:
	s_or_b64 exec, exec, s[36:37]
	v_cmp_gt_u32_e32 vcc, 62, v51
	s_waitcnt lgkmcnt(1)
	v_cndmask_b32_e64 v41, 0, 2, vcc
	v_add_lshl_u32 v53, v41, v42, 2
	ds_bpermute_b32 v55, v53, v65
	ds_bpermute_b32 v41, v53, v43
	ds_bpermute_b32 v56, v53, v44
	s_waitcnt lgkmcnt(3)
	v_add_u32_e32 v54, 2, v51
	v_cmp_le_u32_e32 vcc, v54, v38
	s_and_saveexec_b64 s[36:37], vcc
	s_cbranch_execz .LBB676_89
; %bb.88:
	v_cmp_eq_u32_e32 vcc, 0, v65
	s_waitcnt lgkmcnt(1)
	v_cndmask_b32_e32 v41, 0, v41, vcc
	v_add_u32_e32 v55, v55, v65
	s_waitcnt lgkmcnt(0)
	v_cndmask_b32_e32 v56, 0, v56, vcc
	v_add_co_u32_e32 v43, vcc, v41, v43
	v_addc_co_u32_e32 v44, vcc, v56, v44, vcc
	v_mov_b32_e32 v65, v55
.LBB676_89:
	s_or_b64 exec, exec, s[36:37]
	v_cmp_gt_u32_e32 vcc, 60, v51
	s_waitcnt lgkmcnt(1)
	v_cndmask_b32_e64 v41, 0, 4, vcc
	v_add_lshl_u32 v55, v41, v42, 2
	ds_bpermute_b32 v57, v55, v65
	ds_bpermute_b32 v41, v55, v43
	ds_bpermute_b32 v58, v55, v44
	s_waitcnt lgkmcnt(3)
	v_add_u32_e32 v56, 4, v51
	v_cmp_le_u32_e32 vcc, v56, v38
	;; [unrolled: 24-line block ×4, first 2 shown]
	s_and_saveexec_b64 s[36:37], vcc
	s_cbranch_execz .LBB676_95
; %bb.94:
	v_cmp_eq_u32_e32 vcc, 0, v65
	s_waitcnt lgkmcnt(1)
	v_cndmask_b32_e32 v41, 0, v41, vcc
	v_add_u32_e32 v61, v61, v65
	s_waitcnt lgkmcnt(0)
	v_cndmask_b32_e32 v62, 0, v62, vcc
	v_add_co_u32_e32 v43, vcc, v41, v43
	v_addc_co_u32_e32 v44, vcc, v62, v44, vcc
	v_mov_b32_e32 v65, v61
.LBB676_95:
	s_or_b64 exec, exec, s[36:37]
	s_waitcnt lgkmcnt(1)
	v_mov_b32_e32 v41, 0x80
	s_waitcnt lgkmcnt(0)
	v_lshl_or_b32 v62, v42, 2, v41
	ds_bpermute_b32 v42, v62, v65
	ds_bpermute_b32 v41, v62, v43
	;; [unrolled: 1-line block ×3, first 2 shown]
	v_add_u32_e32 v63, 32, v51
	v_cmp_le_u32_e32 vcc, v63, v38
	s_and_saveexec_b64 s[36:37], vcc
	s_cbranch_execz .LBB676_97
; %bb.96:
	v_cmp_eq_u32_e32 vcc, 0, v65
	s_waitcnt lgkmcnt(1)
	v_cndmask_b32_e32 v41, 0, v41, vcc
	v_add_u32_e32 v38, v42, v65
	s_waitcnt lgkmcnt(0)
	v_cndmask_b32_e32 v42, 0, v61, vcc
	v_add_co_u32_e32 v43, vcc, v41, v43
	v_addc_co_u32_e32 v44, vcc, v42, v44, vcc
	v_mov_b32_e32 v65, v38
.LBB676_97:
	s_or_b64 exec, exec, s[36:37]
	v_mov_b32_e32 v38, 0
	v_mov_b32_e32 v64, 2
	s_branch .LBB676_100
.LBB676_98:                             ;   in Loop: Header=BB676_100 Depth=1
	s_or_b64 exec, exec, s[36:37]
	v_cmp_eq_u32_e32 vcc, 0, v61
	v_cndmask_b32_e32 v43, 0, v43, vcc
	v_cndmask_b32_e32 v44, 0, v44, vcc
	v_add_co_u32_e32 v43, vcc, v43, v41
	v_subrev_u32_e32 v37, 64, v37
	v_add_u32_e32 v65, v66, v61
	v_addc_co_u32_e32 v44, vcc, v44, v42, vcc
	s_mov_b64 s[36:37], 0
.LBB676_99:                             ;   in Loop: Header=BB676_100 Depth=1
	s_and_b64 vcc, exec, s[36:37]
	s_cbranch_vccnz .LBB676_118
.LBB676_100:                            ; =>This Loop Header: Depth=1
                                        ;     Child Loop BB676_103 Depth 2
	s_waitcnt lgkmcnt(1)
	v_mov_b32_e32 v41, v43
	v_cmp_ne_u16_sdwa s[36:37], v50, v64 src0_sel:BYTE_0 src1_sel:DWORD
	v_mov_b32_e32 v42, v44
	s_waitcnt lgkmcnt(0)
	v_mov_b32_e32 v61, v65
	s_cmp_lg_u64 s[36:37], exec
	s_mov_b64 s[36:37], -1
                                        ; implicit-def: $vgpr43_vgpr44
                                        ; implicit-def: $vgpr65
                                        ; implicit-def: $vgpr50
	s_cbranch_scc1 .LBB676_99
; %bb.101:                              ;   in Loop: Header=BB676_100 Depth=1
	global_load_ubyte v50, v37, s[44:45] glc
	s_waitcnt vmcnt(0)
	v_cmp_eq_u16_e32 vcc, 0, v50
	s_and_saveexec_b64 s[36:37], vcc
	s_cbranch_execz .LBB676_105
; %bb.102:                              ;   in Loop: Header=BB676_100 Depth=1
	v_mov_b32_e32 v44, s45
	v_add_co_u32_e32 v43, vcc, s44, v37
	v_addc_co_u32_e32 v44, vcc, 0, v44, vcc
	s_mov_b64 s[62:63], 0
.LBB676_103:                            ;   Parent Loop BB676_100 Depth=1
                                        ; =>  This Inner Loop Header: Depth=2
	global_load_ubyte v50, v[43:44], off glc
	s_waitcnt vmcnt(0)
	v_cmp_ne_u16_e32 vcc, 0, v50
	s_or_b64 s[62:63], vcc, s[62:63]
	s_andn2_b64 exec, exec, s[62:63]
	s_cbranch_execnz .LBB676_103
; %bb.104:                              ;   in Loop: Header=BB676_100 Depth=1
	s_or_b64 exec, exec, s[62:63]
.LBB676_105:                            ;   in Loop: Header=BB676_100 Depth=1
	s_or_b64 exec, exec, s[36:37]
	v_mov_b32_e32 v43, s43
	v_mov_b32_e32 v44, s41
	v_cmp_eq_u16_e32 vcc, 1, v50
	v_cndmask_b32_e32 v65, v43, v44, vcc
	v_mov_b32_e32 v43, s42
	v_mov_b32_e32 v44, s40
	v_cndmask_b32_e32 v66, v43, v44, vcc
	v_lshlrev_b64 v[43:44], 4, v[37:38]
	buffer_wbinvl1_vol
	v_add_co_u32_e32 v43, vcc, v66, v43
	v_addc_co_u32_e32 v44, vcc, v65, v44, vcc
	global_load_dword v66, v[43:44], off
	s_nop 0
	global_load_dwordx2 v[43:44], v[43:44], off offset:8
	v_cmp_eq_u16_e32 vcc, 2, v50
	v_and_b32_e32 v65, vcc_hi, v40
	v_or_b32_e32 v65, 0x80000000, v65
	v_and_b32_e32 v91, vcc_lo, v39
	v_ffbl_b32_e32 v65, v65
	v_add_u32_e32 v65, 32, v65
	v_ffbl_b32_e32 v91, v91
	v_min_u32_e32 v65, v91, v65
	v_cmp_lt_u32_e32 vcc, v51, v65
	s_waitcnt vmcnt(1)
	ds_bpermute_b32 v70, v52, v66
	s_waitcnt vmcnt(0)
	ds_bpermute_b32 v69, v52, v43
	ds_bpermute_b32 v90, v52, v44
	s_and_saveexec_b64 s[36:37], vcc
	s_cbranch_execz .LBB676_107
; %bb.106:                              ;   in Loop: Header=BB676_100 Depth=1
	v_cmp_eq_u32_e32 vcc, 0, v66
	s_waitcnt lgkmcnt(1)
	v_cndmask_b32_e32 v69, 0, v69, vcc
	v_add_u32_e32 v70, v70, v66
	s_waitcnt lgkmcnt(0)
	v_cndmask_b32_e32 v66, 0, v90, vcc
	v_add_co_u32_e32 v43, vcc, v69, v43
	v_addc_co_u32_e32 v44, vcc, v66, v44, vcc
	v_mov_b32_e32 v66, v70
.LBB676_107:                            ;   in Loop: Header=BB676_100 Depth=1
	s_or_b64 exec, exec, s[36:37]
	s_waitcnt lgkmcnt(2)
	ds_bpermute_b32 v70, v53, v66
	s_waitcnt lgkmcnt(2)
	ds_bpermute_b32 v69, v53, v43
	s_waitcnt lgkmcnt(2)
	ds_bpermute_b32 v90, v53, v44
	v_cmp_le_u32_e32 vcc, v54, v65
	s_and_saveexec_b64 s[36:37], vcc
	s_cbranch_execz .LBB676_109
; %bb.108:                              ;   in Loop: Header=BB676_100 Depth=1
	v_cmp_eq_u32_e32 vcc, 0, v66
	s_waitcnt lgkmcnt(1)
	v_cndmask_b32_e32 v69, 0, v69, vcc
	v_add_u32_e32 v70, v70, v66
	s_waitcnt lgkmcnt(0)
	v_cndmask_b32_e32 v66, 0, v90, vcc
	v_add_co_u32_e32 v43, vcc, v69, v43
	v_addc_co_u32_e32 v44, vcc, v66, v44, vcc
	v_mov_b32_e32 v66, v70
.LBB676_109:                            ;   in Loop: Header=BB676_100 Depth=1
	s_or_b64 exec, exec, s[36:37]
	s_waitcnt lgkmcnt(2)
	ds_bpermute_b32 v70, v55, v66
	s_waitcnt lgkmcnt(2)
	ds_bpermute_b32 v69, v55, v43
	s_waitcnt lgkmcnt(2)
	ds_bpermute_b32 v90, v55, v44
	v_cmp_le_u32_e32 vcc, v56, v65
	;; [unrolled: 21-line block ×5, first 2 shown]
	s_and_saveexec_b64 s[36:37], vcc
	s_cbranch_execz .LBB676_98
; %bb.116:                              ;   in Loop: Header=BB676_100 Depth=1
	v_cmp_eq_u32_e32 vcc, 0, v66
	s_waitcnt lgkmcnt(1)
	v_cndmask_b32_e32 v69, 0, v69, vcc
	v_add_u32_e32 v65, v70, v66
	s_waitcnt lgkmcnt(0)
	v_cndmask_b32_e32 v66, 0, v90, vcc
	v_add_co_u32_e32 v43, vcc, v69, v43
	v_addc_co_u32_e32 v44, vcc, v66, v44, vcc
	v_mov_b32_e32 v66, v65
	s_branch .LBB676_98
.LBB676_117:
                                        ; implicit-def: $vgpr33
                                        ; implicit-def: $vgpr35_vgpr36
                                        ; implicit-def: $vgpr37
                                        ; implicit-def: $vgpr63_vgpr64
                                        ; implicit-def: $vgpr39_vgpr40
                                        ; implicit-def: $vgpr41_vgpr42
                                        ; implicit-def: $vgpr43_vgpr44
                                        ; implicit-def: $vgpr45_vgpr46
                                        ; implicit-def: $vgpr47_vgpr48
                                        ; implicit-def: $vgpr49_vgpr50
                                        ; implicit-def: $vgpr51_vgpr52
                                        ; implicit-def: $vgpr53_vgpr54
                                        ; implicit-def: $vgpr55_vgpr56
                                        ; implicit-def: $vgpr57_vgpr58
                                        ; implicit-def: $vgpr59_vgpr60
                                        ; implicit-def: $vgpr61_vgpr62
                                        ; implicit-def: $vgpr65_vgpr66
                                        ; implicit-def: $vgpr69_vgpr70
                                        ; implicit-def: $vgpr34
	s_cbranch_execnz .LBB676_123
	s_branch .LBB676_150
.LBB676_118:
	s_and_saveexec_b64 s[36:37], s[30:31]
	s_cbranch_execz .LBB676_120
; %bb.119:
	s_mov_b32 s7, 0
	v_cmp_eq_u32_e32 vcc, 0, v49
	s_add_i32 s6, s6, 64
	v_cndmask_b32_e32 v37, 0, v41, vcc
	s_lshl_b64 s[40:41], s[6:7], 4
	v_cndmask_b32_e32 v38, 0, v42, vcc
	v_add_co_u32_e32 v37, vcc, v37, v35
	s_add_u32 s40, s42, s40
	v_add_u32_e32 v39, v61, v49
	v_addc_co_u32_e32 v38, vcc, v38, v36, vcc
	s_addc_u32 s41, s43, s41
	v_mov_b32_e32 v40, 0
	global_store_dword v40, v39, s[40:41]
	global_store_dwordx2 v40, v[37:38], s[40:41] offset:8
	v_mov_b32_e32 v37, 2
	v_mov_b32_e32 v38, s6
	s_waitcnt vmcnt(0) lgkmcnt(0)
	buffer_wbinvl1_vol
	global_store_byte v38, v37, s[44:45]
	ds_write_b32 v40, v49 offset:512
	ds_write_b64 v40, v[35:36] offset:520
	ds_write_b32 v40, v61 offset:528
	ds_write_b64 v40, v[41:42] offset:536
.LBB676_120:
	s_or_b64 exec, exec, s[36:37]
	v_cmp_eq_u32_e32 vcc, 0, v0
	s_and_b64 exec, exec, vcc
	s_cbranch_execz .LBB676_122
; %bb.121:
	v_mov_b32_e32 v35, 0
	ds_write_b32 v35, v61 offset:592
	ds_write_b64 v35, v[41:42] offset:600
.LBB676_122:
	s_or_b64 exec, exec, s[52:53]
	v_mov_b32_e32 v38, 0
	s_waitcnt vmcnt(0) lgkmcnt(0)
	s_barrier
	ds_read_b32 v37, v38 offset:592
	ds_read_b64 v[35:36], v38 offset:600
	v_cndmask_b32_e64 v39, v46, v45, s[30:31]
	v_cmp_eq_u32_e32 vcc, 0, v39
	v_cndmask_b32_e64 v33, v47, v33, s[30:31]
	v_cndmask_b32_e64 v34, v48, v34, s[30:31]
	s_waitcnt lgkmcnt(0)
	v_cndmask_b32_e32 v41, 0, v35, vcc
	v_cndmask_b32_e32 v40, 0, v36, vcc
	v_add_co_u32_e32 v33, vcc, v41, v33
	v_addc_co_u32_e32 v40, vcc, v40, v34, vcc
	v_cmp_eq_u32_e32 vcc, 0, v0
	v_cndmask_b32_e64 v34, v39, 0, vcc
	v_cndmask_b32_e32 v64, v40, v36, vcc
	v_cndmask_b32_e32 v63, v33, v35, vcc
	v_cmp_eq_u32_e32 vcc, 0, v73
	v_cndmask_b32_e32 v35, 0, v63, vcc
	v_cndmask_b32_e32 v33, 0, v64, vcc
	v_add_co_u32_e32 v39, vcc, v35, v26
	v_addc_co_u32_e32 v40, vcc, v33, v27, vcc
	v_cndmask_b32_e64 v35, 0, v39, s[28:29]
	v_cndmask_b32_e64 v33, 0, v40, s[28:29]
	v_add_co_u32_e32 v41, vcc, v35, v28
	v_addc_co_u32_e32 v42, vcc, v33, v29, vcc
	v_cndmask_b32_e64 v35, 0, v41, s[26:27]
	v_cndmask_b32_e64 v33, 0, v42, s[26:27]
	;; [unrolled: 4-line block ×11, first 2 shown]
	v_add_co_u32_e32 v61, vcc, v35, v8
	v_add_u32_e32 v34, v37, v34
	v_addc_co_u32_e32 v62, vcc, v33, v9, vcc
	s_barrier
	ds_read_b32 v33, v38 offset:512
	ds_read_b64 v[35:36], v38 offset:520
	ds_read_b32 v37, v38 offset:528
	ds_read_b64 v[90:91], v38 offset:536
	v_cndmask_b32_e64 v65, 0, v61, s[34:35]
	v_cndmask_b32_e64 v66, 0, v62, s[34:35]
	v_add_co_u32_e32 v65, vcc, v65, v2
	v_addc_co_u32_e32 v66, vcc, v66, v3, vcc
	s_waitcnt lgkmcnt(3)
	v_cmp_eq_u32_e32 vcc, 0, v33
	s_waitcnt lgkmcnt(0)
	v_cndmask_b32_e32 v90, 0, v90, vcc
	v_cndmask_b32_e32 v38, 0, v91, vcc
	v_add_co_u32_e32 v35, vcc, v90, v35
	v_cndmask_b32_e64 v70, 0, v66, s[4:5]
	v_cndmask_b32_e64 v69, 0, v65, s[4:5]
	v_addc_co_u32_e32 v36, vcc, v38, v36, vcc
	s_branch .LBB676_150
.LBB676_123:
	s_cmp_eq_u64 s[60:61], 0
	s_cselect_b64 s[4:5], -1, 0
	s_or_b64 s[4:5], s[46:47], s[4:5]
	v_mov_b32_e32 v38, v27
	s_and_b64 vcc, exec, s[4:5]
	v_mov_b32_e32 v37, v26
	s_cbranch_vccnz .LBB676_125
; %bb.124:
	v_mov_b32_e32 v33, 0
	global_load_dwordx2 v[37:38], v33, s[60:61]
.LBB676_125:
	v_cmp_eq_u32_e64 s[26:27], 0, v86
	v_cndmask_b32_e64 v34, 0, v26, s[26:27]
	v_cndmask_b32_e64 v33, 0, v27, s[26:27]
	v_add_co_u32_e32 v34, vcc, v34, v28
	v_cmp_eq_u32_e64 s[24:25], 0, v85
	v_addc_co_u32_e32 v33, vcc, v33, v29, vcc
	v_cndmask_b32_e64 v34, 0, v34, s[24:25]
	v_cndmask_b32_e64 v33, 0, v33, s[24:25]
	v_add_co_u32_e32 v34, vcc, v34, v22
	v_cmp_eq_u32_e64 s[22:23], 0, v74
	v_addc_co_u32_e32 v33, vcc, v33, v23, vcc
	;; [unrolled: 5-line block ×11, first 2 shown]
	v_cndmask_b32_e64 v34, 0, v34, s[6:7]
	v_cndmask_b32_e64 v33, 0, v33, s[6:7]
	v_add_co_u32_e32 v34, vcc, v34, v2
	v_addc_co_u32_e32 v33, vcc, v33, v3, vcc
	v_cmp_eq_u32_e32 vcc, 0, v84
	v_add3_u32 v35, v89, v76, v77
	v_cndmask_b32_e32 v34, 0, v34, vcc
	v_add3_u32 v35, v35, v78, v79
	v_cndmask_b32_e32 v33, 0, v33, vcc
	v_add_co_u32_e64 v34, s[28:29], v34, v4
	v_add3_u32 v35, v35, v80, v81
	v_addc_co_u32_e64 v33, s[28:29], v33, v5, s[28:29]
	v_add3_u32 v35, v35, v82, v83
	v_cmp_eq_u32_e64 s[28:29], 0, v87
	v_add3_u32 v40, v35, v84, v87
	v_cndmask_b32_e64 v35, 0, v33, s[28:29]
	v_cndmask_b32_e64 v33, 0, v34, s[28:29]
	v_add_co_u32_e64 v33, s[28:29], v33, v67
	v_mbcnt_hi_u32_b32 v39, -1, v88
	v_addc_co_u32_e64 v34, s[28:29], v35, v68, s[28:29]
	v_and_b32_e32 v35, 15, v39
	v_mov_b32_dpp v41, v40 row_shr:1 row_mask:0xf bank_mask:0xf
	v_mov_b32_dpp v36, v33 row_shr:1 row_mask:0xf bank_mask:0xf
	;; [unrolled: 1-line block ×3, first 2 shown]
	v_cmp_ne_u32_e64 s[28:29], 0, v35
	s_and_saveexec_b64 s[30:31], s[28:29]
; %bb.126:
	v_cmp_eq_u32_e64 s[28:29], 0, v40
	v_cndmask_b32_e64 v36, 0, v36, s[28:29]
	v_add_u32_e32 v41, v41, v40
	v_cndmask_b32_e64 v40, 0, v42, s[28:29]
	v_add_co_u32_e64 v33, s[28:29], v36, v33
	v_addc_co_u32_e64 v34, s[28:29], v40, v34, s[28:29]
	v_mov_b32_e32 v40, v41
; %bb.127:
	s_or_b64 exec, exec, s[30:31]
	s_nop 0
	v_mov_b32_dpp v41, v40 row_shr:2 row_mask:0xf bank_mask:0xf
	v_mov_b32_dpp v36, v33 row_shr:2 row_mask:0xf bank_mask:0xf
	v_mov_b32_dpp v42, v34 row_shr:2 row_mask:0xf bank_mask:0xf
	v_cmp_lt_u32_e64 s[28:29], 1, v35
	s_and_saveexec_b64 s[30:31], s[28:29]
; %bb.128:
	v_cmp_eq_u32_e64 s[28:29], 0, v40
	v_cndmask_b32_e64 v36, 0, v36, s[28:29]
	v_add_u32_e32 v41, v41, v40
	v_cndmask_b32_e64 v40, 0, v42, s[28:29]
	v_add_co_u32_e64 v33, s[28:29], v36, v33
	v_addc_co_u32_e64 v34, s[28:29], v40, v34, s[28:29]
	v_mov_b32_e32 v40, v41
; %bb.129:
	s_or_b64 exec, exec, s[30:31]
	s_nop 0
	v_mov_b32_dpp v41, v40 row_shr:4 row_mask:0xf bank_mask:0xf
	v_mov_b32_dpp v36, v33 row_shr:4 row_mask:0xf bank_mask:0xf
	v_mov_b32_dpp v42, v34 row_shr:4 row_mask:0xf bank_mask:0xf
	v_cmp_lt_u32_e64 s[28:29], 3, v35
	;; [unrolled: 16-line block ×3, first 2 shown]
	s_and_saveexec_b64 s[30:31], s[28:29]
; %bb.132:
	v_cmp_eq_u32_e64 s[28:29], 0, v40
	v_cndmask_b32_e64 v36, 0, v36, s[28:29]
	v_add_u32_e32 v35, v41, v40
	v_cndmask_b32_e64 v40, 0, v42, s[28:29]
	v_add_co_u32_e64 v33, s[28:29], v36, v33
	v_addc_co_u32_e64 v34, s[28:29], v40, v34, s[28:29]
	v_mov_b32_e32 v40, v35
; %bb.133:
	s_or_b64 exec, exec, s[30:31]
	v_and_b32_e32 v42, 16, v39
	v_mov_b32_dpp v36, v40 row_bcast:15 row_mask:0xf bank_mask:0xf
	v_mov_b32_dpp v35, v33 row_bcast:15 row_mask:0xf bank_mask:0xf
	v_mov_b32_dpp v41, v34 row_bcast:15 row_mask:0xf bank_mask:0xf
	v_cmp_ne_u32_e64 s[28:29], 0, v42
	s_and_saveexec_b64 s[30:31], s[28:29]
; %bb.134:
	v_cmp_eq_u32_e64 s[28:29], 0, v40
	v_cndmask_b32_e64 v35, 0, v35, s[28:29]
	v_add_u32_e32 v36, v36, v40
	v_cndmask_b32_e64 v40, 0, v41, s[28:29]
	v_add_co_u32_e64 v33, s[28:29], v35, v33
	v_addc_co_u32_e64 v34, s[28:29], v40, v34, s[28:29]
	v_mov_b32_e32 v40, v36
; %bb.135:
	s_or_b64 exec, exec, s[30:31]
	s_nop 0
	v_mov_b32_dpp v36, v40 row_bcast:31 row_mask:0xf bank_mask:0xf
	v_mov_b32_dpp v35, v33 row_bcast:31 row_mask:0xf bank_mask:0xf
	;; [unrolled: 1-line block ×3, first 2 shown]
	v_cmp_lt_u32_e64 s[28:29], 31, v39
	s_and_saveexec_b64 s[30:31], s[28:29]
; %bb.136:
	v_cmp_eq_u32_e64 s[28:29], 0, v40
	v_cndmask_b32_e64 v35, 0, v35, s[28:29]
	v_add_u32_e32 v36, v36, v40
	v_cndmask_b32_e64 v40, 0, v41, s[28:29]
	v_add_co_u32_e64 v33, s[28:29], v35, v33
	v_addc_co_u32_e64 v34, s[28:29], v40, v34, s[28:29]
	v_mov_b32_e32 v40, v36
; %bb.137:
	s_or_b64 exec, exec, s[30:31]
	v_lshrrev_b32_e32 v35, 6, v0
	v_or_b32_e32 v36, 63, v0
	v_cmp_eq_u32_e64 s[28:29], v0, v36
	v_lshlrev_b32_e32 v41, 4, v35
	s_and_saveexec_b64 s[30:31], s[28:29]
	s_cbranch_execz .LBB676_139
; %bb.138:
	ds_write_b32 v41, v40 offset:544
	ds_write_b64 v41, v[33:34] offset:552
.LBB676_139:
	s_or_b64 exec, exec, s[30:31]
	v_cmp_gt_u32_e64 s[28:29], 4, v0
	s_waitcnt vmcnt(0) lgkmcnt(0)
	s_barrier
	s_and_saveexec_b64 s[30:31], s[28:29]
	s_cbranch_execz .LBB676_145
; %bb.140:
	v_lshlrev_b32_e32 v42, 4, v0
	ds_read_b32 v43, v42 offset:544
	ds_read_b64 v[35:36], v42 offset:552
	v_and_b32_e32 v44, 3, v39
	v_cmp_ne_u32_e64 s[28:29], 0, v44
	s_waitcnt lgkmcnt(1)
	v_mov_b32_dpp v46, v43 row_shr:1 row_mask:0xf bank_mask:0xf
	s_waitcnt lgkmcnt(0)
	v_mov_b32_dpp v45, v35 row_shr:1 row_mask:0xf bank_mask:0xf
	v_mov_b32_dpp v47, v36 row_shr:1 row_mask:0xf bank_mask:0xf
	s_and_saveexec_b64 s[34:35], s[28:29]
; %bb.141:
	v_cmp_eq_u32_e64 s[28:29], 0, v43
	v_cndmask_b32_e64 v45, 0, v45, s[28:29]
	v_add_u32_e32 v46, v46, v43
	v_cndmask_b32_e64 v43, 0, v47, s[28:29]
	v_add_co_u32_e64 v35, s[28:29], v45, v35
	v_addc_co_u32_e64 v36, s[28:29], v43, v36, s[28:29]
	v_mov_b32_e32 v43, v46
; %bb.142:
	s_or_b64 exec, exec, s[34:35]
	s_nop 0
	v_mov_b32_dpp v46, v43 row_shr:2 row_mask:0xf bank_mask:0xf
	v_mov_b32_dpp v45, v35 row_shr:2 row_mask:0xf bank_mask:0xf
	;; [unrolled: 1-line block ×3, first 2 shown]
	v_cmp_lt_u32_e64 s[28:29], 1, v44
	s_and_saveexec_b64 s[34:35], s[28:29]
; %bb.143:
	v_cmp_eq_u32_e64 s[28:29], 0, v43
	v_cndmask_b32_e64 v45, 0, v45, s[28:29]
	v_add_u32_e32 v44, v46, v43
	v_cndmask_b32_e64 v43, 0, v47, s[28:29]
	v_add_co_u32_e64 v35, s[28:29], v45, v35
	v_addc_co_u32_e64 v36, s[28:29], v43, v36, s[28:29]
	v_mov_b32_e32 v43, v44
; %bb.144:
	s_or_b64 exec, exec, s[34:35]
	ds_write_b32 v42, v43 offset:544
	ds_write_b64 v42, v[35:36] offset:552
.LBB676_145:
	s_or_b64 exec, exec, s[30:31]
	v_mov_b32_e32 v35, v37
	v_cmp_lt_u32_e64 s[28:29], 63, v0
	v_mov_b32_e32 v67, 0
	v_mov_b32_e32 v42, 0
	;; [unrolled: 1-line block ×3, first 2 shown]
	s_waitcnt lgkmcnt(0)
	s_barrier
	s_and_saveexec_b64 s[30:31], s[28:29]
	s_cbranch_execz .LBB676_147
; %bb.146:
	ds_read_b32 v42, v41 offset:528
	ds_read_b64 v[35:36], v41 offset:536
	s_waitcnt lgkmcnt(1)
	v_cmp_eq_u32_e64 s[28:29], 0, v42
	v_cndmask_b32_e64 v43, 0, v37, s[28:29]
	v_cndmask_b32_e64 v41, 0, v38, s[28:29]
	s_waitcnt lgkmcnt(0)
	v_add_co_u32_e64 v35, s[28:29], v43, v35
	v_addc_co_u32_e64 v36, s[28:29], v41, v36, s[28:29]
.LBB676_147:
	s_or_b64 exec, exec, s[30:31]
	v_cmp_eq_u32_e64 s[28:29], 0, v40
	v_cndmask_b32_e64 v43, 0, v35, s[28:29]
	v_add_u32_e32 v41, v42, v40
	v_cndmask_b32_e64 v40, 0, v36, s[28:29]
	v_add_co_u32_e64 v33, s[28:29], v43, v33
	v_addc_co_u32_e64 v34, s[28:29], v40, v34, s[28:29]
	v_subrev_co_u32_e64 v40, s[28:29], 1, v39
	v_and_b32_e32 v43, 64, v39
	v_cmp_lt_i32_e64 s[30:31], v40, v43
	v_cndmask_b32_e64 v39, v40, v39, s[30:31]
	v_lshlrev_b32_e32 v39, 2, v39
	ds_bpermute_b32 v40, v39, v41
	ds_bpermute_b32 v41, v39, v34
	;; [unrolled: 1-line block ×3, first 2 shown]
	v_cmp_eq_u32_e64 s[30:31], 0, v73
	s_waitcnt lgkmcnt(2)
	v_cndmask_b32_e64 v34, v40, v42, s[28:29]
	s_waitcnt lgkmcnt(1)
	v_cndmask_b32_e64 v64, v41, v36, s[28:29]
	s_waitcnt lgkmcnt(0)
	v_cndmask_b32_e64 v63, v33, v35, s[28:29]
	v_cmp_eq_u32_e64 s[28:29], 0, v0
	v_cndmask_b32_e64 v33, v63, v37, s[28:29]
	v_cndmask_b32_e64 v35, v64, v38, s[28:29]
	;; [unrolled: 1-line block ×4, first 2 shown]
	v_add_co_u32_e64 v39, s[30:31], v33, v26
	v_addc_co_u32_e64 v40, s[30:31], v35, v27, s[30:31]
	v_cndmask_b32_e64 v27, 0, v39, s[26:27]
	v_cndmask_b32_e64 v26, 0, v40, s[26:27]
	v_add_co_u32_e64 v41, s[26:27], v27, v28
	v_addc_co_u32_e64 v42, s[26:27], v26, v29, s[26:27]
	v_cndmask_b32_e64 v27, 0, v41, s[24:25]
	v_cndmask_b32_e64 v26, 0, v42, s[24:25]
	;; [unrolled: 4-line block ×11, first 2 shown]
	v_add_co_u32_e64 v61, s[4:5], v7, v8
	v_addc_co_u32_e64 v62, s[4:5], v6, v9, s[4:5]
	v_cndmask_b32_e64 v7, 0, v61, s[6:7]
	ds_read_b32 v33, v67 offset:592
	v_cndmask_b32_e64 v6, 0, v62, s[6:7]
	v_add_co_u32_e64 v65, s[4:5], v7, v2
	v_addc_co_u32_e64 v66, s[4:5], v6, v3, s[4:5]
	ds_read_b64 v[2:3], v67 offset:600
	v_cndmask_b32_e32 v70, 0, v66, vcc
	v_cndmask_b32_e32 v69, 0, v65, vcc
	s_waitcnt lgkmcnt(1)
	v_cmp_eq_u32_e32 vcc, 0, v33
	v_cndmask_b32_e32 v7, 0, v37, vcc
	v_cndmask_b32_e32 v6, 0, v38, vcc
	s_waitcnt lgkmcnt(0)
	v_add_co_u32_e32 v35, vcc, v7, v2
	v_addc_co_u32_e32 v36, vcc, v6, v3, vcc
	s_and_saveexec_b64 s[4:5], s[28:29]
	s_cbranch_execz .LBB676_149
; %bb.148:
	v_mov_b32_e32 v64, v38
	v_mov_b32_e32 v34, 0
	;; [unrolled: 1-line block ×4, first 2 shown]
	global_store_dword v34, v33, s[42:43] offset:1024
	global_store_dwordx2 v34, v[35:36], s[42:43] offset:1032
	s_waitcnt vmcnt(0)
	buffer_wbinvl1_vol
	global_store_byte v34, v2, s[44:45] offset:64
.LBB676_149:
	s_or_b64 exec, exec, s[4:5]
	v_mov_b32_e32 v37, 0
.LBB676_150:
	s_cmp_eq_u64 s[54:55], 0
	s_cselect_b64 s[4:5], -1, 0
	s_or_b64 s[4:5], s[46:47], s[4:5]
	v_mov_b32_e32 v10, 0
	s_and_b64 vcc, exec, s[4:5]
	v_mov_b32_e32 v11, 0
	s_waitcnt vmcnt(0)
	s_barrier
	s_cbranch_vccnz .LBB676_152
; %bb.151:
	v_mov_b32_e32 v2, 0
	global_load_dwordx2 v[10:11], v2, s[54:55]
.LBB676_152:
	s_nop 0
	buffer_load_dword v2, off, s[0:3], 0
	buffer_load_dword v3, off, s[0:3], 0 offset:4
	buffer_load_dword v6, off, s[0:3], 0 offset:8
	;; [unrolled: 1-line block ×14, first 2 shown]
	v_mov_b32_e32 v12, s57
	s_waitcnt vmcnt(15)
	v_add_co_u32_e32 v13, vcc, s56, v10
	v_addc_co_u32_e32 v12, vcc, v12, v11, vcc
	v_add_co_u32_e32 v26, vcc, v13, v37
	v_addc_co_u32_e32 v27, vcc, 0, v12, vcc
	v_add_u32_e32 v25, v34, v73
	v_add_u32_e32 v24, v25, v86
	;; [unrolled: 1-line block ×12, first 2 shown]
	s_movk_i32 s36, 0x100
	v_add_u32_e32 v13, v14, v83
	v_mov_b32_e32 v38, 0
	v_add_u32_e32 v12, v13, v84
	s_mov_b64 s[40:41], -1
	s_waitcnt vmcnt(14)
	v_cmp_eq_u32_e32 vcc, 0, v2
	v_cmp_ne_u32_e64 s[34:35], 0, v2
	v_cndmask_b32_e64 v2, 1, 2, vcc
	s_waitcnt vmcnt(13)
	v_cmp_eq_u32_e32 vcc, 0, v3
	v_cmp_ne_u32_e64 s[30:31], 0, v3
	v_cndmask_b32_e64 v3, 1, 2, vcc
	;; [unrolled: 4-line block ×3, first 2 shown]
	s_waitcnt vmcnt(11)
	v_cmp_eq_u32_e32 vcc, 0, v7
	v_and_b32_e32 v2, v3, v2
	v_cmp_ne_u32_e64 s[26:27], 0, v7
	v_cndmask_b32_e64 v7, 1, 2, vcc
	s_waitcnt vmcnt(10)
	v_cmp_eq_u32_e32 vcc, 0, v8
	v_and_b32_e32 v2, v2, v6
	v_cmp_ne_u32_e64 s[24:25], 0, v8
	v_cndmask_b32_e64 v8, 1, 2, vcc
	;; [unrolled: 5-line block ×7, first 2 shown]
	s_waitcnt vmcnt(4)
	v_cmp_eq_u32_e32 vcc, 0, v87
	v_and_b32_e32 v2, v2, v67
	v_cndmask_b32_e64 v73, 1, 2, vcc
	s_waitcnt vmcnt(3)
	v_cmp_eq_u32_e32 vcc, 0, v88
	v_and_b32_e32 v2, v2, v68
	v_cndmask_b32_e64 v74, 1, 2, vcc
	;; [unrolled: 4-line block ×4, first 2 shown]
	v_and_b32_e32 v2, v2, v75
	s_waitcnt vmcnt(0)
	v_cmp_eq_u32_e32 vcc, 0, v91
	v_and_b32_e32 v2, v2, v76
	v_cndmask_b32_e64 v3, 1, 2, vcc
	v_and_b32_e32 v2, v2, v3
	v_cmp_gt_u32_e32 vcc, s36, v33
	v_cmp_ne_u32_e64 s[12:13], 0, v87
	v_cmp_ne_u32_e64 s[10:11], 0, v88
	;; [unrolled: 1-line block ×5, first 2 shown]
	v_cmp_gt_i16_e64 s[36:37], 2, v2
	s_cbranch_vccz .LBB676_159
; %bb.153:
	s_and_saveexec_b64 s[40:41], s[36:37]
	s_cbranch_execz .LBB676_158
; %bb.154:
	v_cmp_ne_u16_e32 vcc, 1, v2
	s_mov_b64 s[42:43], 0
	s_and_saveexec_b64 s[36:37], vcc
	s_xor_b64 s[36:37], exec, s[36:37]
	s_cbranch_execnz .LBB676_206
; %bb.155:
	s_andn2_saveexec_b64 s[36:37], s[36:37]
	s_cbranch_execnz .LBB676_222
.LBB676_156:
	s_or_b64 exec, exec, s[36:37]
	s_and_b64 exec, exec, s[42:43]
	s_cbranch_execz .LBB676_158
.LBB676_157:
	v_sub_u32_e32 v3, v12, v37
	v_lshrrev_b32_e32 v6, 24, v32
	v_readfirstlane_b32 s36, v26
	v_readfirstlane_b32 s37, v27
	s_nop 4
	global_store_byte v3, v6, s[36:37]
.LBB676_158:
	s_or_b64 exec, exec, s[40:41]
	s_mov_b64 s[40:41], 0
.LBB676_159:
	s_and_b64 vcc, exec, s[40:41]
	s_cbranch_vccz .LBB676_181
; %bb.160:
	v_cmp_gt_i16_e32 vcc, 2, v2
	s_and_saveexec_b64 s[36:37], vcc
	s_cbranch_execz .LBB676_165
; %bb.161:
	v_cmp_ne_u16_e32 vcc, 1, v2
	s_mov_b64 s[42:43], 0
	s_and_saveexec_b64 s[40:41], vcc
	s_xor_b64 s[40:41], exec, s[40:41]
	s_cbranch_execnz .LBB676_223
; %bb.162:
	s_andn2_saveexec_b64 s[4:5], s[40:41]
	s_cbranch_execnz .LBB676_239
.LBB676_163:
	s_or_b64 exec, exec, s[4:5]
	s_and_b64 exec, exec, s[42:43]
.LBB676_164:
	v_sub_u32_e32 v1, v12, v37
	v_lshrrev_b32_e32 v2, 24, v32
	ds_write_b8 v1, v2
.LBB676_165:
	s_or_b64 exec, exec, s[36:37]
	v_cmp_lt_u32_e32 vcc, v0, v33
	s_waitcnt vmcnt(0) lgkmcnt(0)
	s_barrier
	s_and_saveexec_b64 s[4:5], vcc
	s_cbranch_execz .LBB676_180
; %bb.166:
	v_xad_u32 v2, v0, -1, v33
	s_movk_i32 s6, 0x1b00
	s_movk_i32 s8, 0x1aff
	v_cmp_gt_u32_e64 s[6:7], s6, v2
	v_cmp_lt_u32_e32 vcc, s8, v2
	v_mov_b32_e32 v1, v0
	s_and_saveexec_b64 s[8:9], vcc
	s_cbranch_execz .LBB676_177
; %bb.167:
	v_sub_u32_e32 v1, v0, v33
	v_or_b32_e32 v1, 0xff, v1
	v_cmp_ge_u32_e32 vcc, v1, v0
	s_mov_b64 s[12:13], -1
	v_mov_b32_e32 v1, v0
	s_and_saveexec_b64 s[10:11], vcc
	s_cbranch_execz .LBB676_176
; %bb.168:
	v_lshrrev_b32_e32 v28, 8, v2
	v_add_u32_e32 v6, -3, v28
	v_or_b32_e32 v3, 0x300, v0
	v_lshrrev_b32_e32 v7, 2, v6
	v_or_b32_e32 v2, 0x200, v0
	v_or_b32_e32 v1, 0x100, v0
	v_add_u32_e32 v29, 1, v7
	v_cmp_lt_u32_e32 vcc, 11, v6
	v_mov_b32_e32 v9, v3
	v_mov_b32_e32 v32, 0
	;; [unrolled: 1-line block ×5, first 2 shown]
	s_and_saveexec_b64 s[12:13], vcc
	s_cbranch_execz .LBB676_172
; %bb.169:
	v_mov_b32_e32 v9, v3
	v_and_b32_e32 v30, 0x7ffffffc, v29
	s_mov_b32 s16, 0
	s_mov_b64 s[14:15], 0
	v_mov_b32_e32 v31, v0
	v_mov_b32_e32 v8, v2
	;; [unrolled: 1-line block ×4, first 2 shown]
.LBB676_170:                            ; =>This Inner Loop Header: Depth=1
	v_add_co_u32_e32 v1, vcc, v26, v6
	v_addc_co_u32_e32 v2, vcc, 0, v27, vcc
	v_add_co_u32_e32 v67, vcc, v26, v7
	v_addc_co_u32_e32 v68, vcc, 0, v27, vcc
	;; [unrolled: 2-line block ×4, first 2 shown]
	v_add_u32_e32 v75, 0x400, v6
	v_add_co_u32_e32 v75, vcc, v26, v75
	v_add_u32_e32 v77, 0x400, v7
	v_addc_co_u32_e32 v76, vcc, 0, v27, vcc
	v_add_co_u32_e32 v77, vcc, v26, v77
	v_add_u32_e32 v32, 0x400, v8
	v_addc_co_u32_e32 v78, vcc, 0, v27, vcc
	;; [unrolled: 3-line block ×10, first 2 shown]
	v_add_co_u32_e32 v95, vcc, v26, v95
	ds_read_u8 v99, v31
	ds_read_u8 v100, v31 offset:256
	ds_read_u8 v101, v31 offset:512
	;; [unrolled: 1-line block ×7, first 2 shown]
	v_add_u32_e32 v97, 0xc00, v9
	ds_read_u8 v107, v31 offset:2048
	ds_read_u8 v108, v31 offset:2304
	;; [unrolled: 1-line block ×8, first 2 shown]
	v_addc_co_u32_e32 v96, vcc, 0, v27, vcc
	v_add_co_u32_e32 v97, vcc, v26, v97
	v_add_u32_e32 v30, -4, v30
	v_addc_co_u32_e32 v98, vcc, 0, v27, vcc
	s_add_i32 s16, s16, 16
	v_cmp_eq_u32_e32 vcc, 0, v30
	v_add_u32_e32 v9, 0x1000, v9
	v_add_u32_e32 v8, 0x1000, v8
	;; [unrolled: 1-line block ×5, first 2 shown]
	v_mov_b32_e32 v32, s16
	s_or_b64 s[14:15], vcc, s[14:15]
	s_waitcnt lgkmcnt(14)
	global_store_byte v[1:2], v99, off
	global_store_byte v[67:68], v100, off
	s_waitcnt lgkmcnt(13)
	global_store_byte v[71:72], v101, off
	s_waitcnt lgkmcnt(12)
	global_store_byte v[73:74], v102, off
	s_waitcnt lgkmcnt(11)
	global_store_byte v[75:76], v103, off
	s_waitcnt lgkmcnt(10)
	global_store_byte v[77:78], v104, off
	s_waitcnt lgkmcnt(9)
	global_store_byte v[79:80], v105, off
	s_waitcnt lgkmcnt(8)
	global_store_byte v[81:82], v106, off
	s_waitcnt lgkmcnt(7)
	global_store_byte v[83:84], v107, off
	s_waitcnt lgkmcnt(6)
	global_store_byte v[85:86], v108, off
	s_waitcnt lgkmcnt(5)
	global_store_byte v[87:88], v109, off
	s_waitcnt lgkmcnt(4)
	global_store_byte v[89:90], v110, off
	s_waitcnt lgkmcnt(3)
	global_store_byte v[91:92], v111, off
	s_waitcnt lgkmcnt(2)
	global_store_byte v[93:94], v112, off
	s_waitcnt lgkmcnt(1)
	global_store_byte v[95:96], v113, off
	s_waitcnt lgkmcnt(0)
	global_store_byte v[97:98], v114, off
	s_andn2_b64 exec, exec, s[14:15]
	s_cbranch_execnz .LBB676_170
; %bb.171:
	s_or_b64 exec, exec, s[14:15]
.LBB676_172:
	s_or_b64 exec, exec, s[12:13]
	v_and_b32_e32 v1, 3, v29
	v_cmp_ne_u32_e32 vcc, 0, v1
	s_and_saveexec_b64 s[12:13], vcc
	s_cbranch_execz .LBB676_175
; %bb.173:
	v_lshl_or_b32 v2, v32, 8, v0
	s_mov_b64 s[14:15], 0
.LBB676_174:                            ; =>This Inner Loop Header: Depth=1
	v_add_co_u32_e32 v29, vcc, v26, v6
	v_addc_co_u32_e32 v30, vcc, 0, v27, vcc
	v_add_co_u32_e32 v31, vcc, v26, v7
	v_addc_co_u32_e32 v32, vcc, 0, v27, vcc
	;; [unrolled: 2-line block ×3, first 2 shown]
	ds_read_u8 v3, v2
	ds_read_u8 v73, v2 offset:256
	ds_read_u8 v74, v2 offset:512
	;; [unrolled: 1-line block ×3, first 2 shown]
	v_add_co_u32_e32 v71, vcc, v26, v9
	v_addc_co_u32_e32 v72, vcc, 0, v27, vcc
	v_add_u32_e32 v1, -1, v1
	v_cmp_eq_u32_e32 vcc, 0, v1
	v_add_u32_e32 v9, 0x400, v9
	v_add_u32_e32 v8, 0x400, v8
	;; [unrolled: 1-line block ×5, first 2 shown]
	s_or_b64 s[14:15], vcc, s[14:15]
	s_waitcnt lgkmcnt(3)
	global_store_byte v[29:30], v3, off
	s_waitcnt lgkmcnt(2)
	global_store_byte v[31:32], v73, off
	;; [unrolled: 2-line block ×4, first 2 shown]
	s_andn2_b64 exec, exec, s[14:15]
	s_cbranch_execnz .LBB676_174
.LBB676_175:
	s_or_b64 exec, exec, s[12:13]
	v_add_u32_e32 v2, 1, v28
	v_and_b32_e32 v3, 0x1fffffc, v2
	v_cmp_ne_u32_e32 vcc, v2, v3
	v_lshl_or_b32 v1, v3, 8, v0
	s_orn2_b64 s[12:13], vcc, exec
.LBB676_176:
	s_or_b64 exec, exec, s[10:11]
	s_andn2_b64 s[6:7], s[6:7], exec
	s_and_b64 s[10:11], s[12:13], exec
	s_or_b64 s[6:7], s[6:7], s[10:11]
.LBB676_177:
	s_or_b64 exec, exec, s[8:9]
	s_and_b64 exec, exec, s[6:7]
	s_cbranch_execz .LBB676_180
; %bb.178:
	s_mov_b64 s[6:7], 0
.LBB676_179:                            ; =>This Inner Loop Header: Depth=1
	ds_read_u8 v2, v1
	v_readfirstlane_b32 s8, v26
	v_readfirstlane_b32 s9, v27
	s_waitcnt lgkmcnt(0)
	s_nop 3
	global_store_byte v1, v2, s[8:9]
	v_add_u32_e32 v1, 0x100, v1
	v_cmp_ge_u32_e32 vcc, v1, v33
	s_or_b64 s[6:7], vcc, s[6:7]
	s_andn2_b64 exec, exec, s[6:7]
	s_cbranch_execnz .LBB676_179
.LBB676_180:
	s_or_b64 exec, exec, s[4:5]
.LBB676_181:
	v_cmp_eq_u32_e32 vcc, 0, v0
	s_and_b64 s[6:7], vcc, s[50:51]
	s_waitcnt vmcnt(0)
	s_barrier
	s_and_saveexec_b64 s[4:5], s[6:7]
	s_cbranch_execz .LBB676_183
; %bb.182:
	v_mov_b32_e32 v1, 0
	buffer_store_dword v1, off, s[0:3], 0
.LBB676_183:
	s_or_b64 exec, exec, s[4:5]
	s_mul_hi_u32 s4, s33, 0x88888889
	s_lshr_b32 s4, s4, 3
	v_cmp_eq_u32_e32 vcc, s4, v0
	s_and_b64 s[6:7], s[48:49], vcc
	s_and_saveexec_b64 s[4:5], s[6:7]
	s_cbranch_execz .LBB676_185
; %bb.184:
	s_lshl_b32 s6, s33, 2
	v_mov_b32_e32 v1, s6
	s_movk_i32 s6, 0xffc4
	v_mad_i32_i24 v1, v0, s6, v1
	v_mov_b32_e32 v2, 1
	buffer_store_dword v2, v1, s[0:3], 0 offen
.LBB676_185:
	s_or_b64 exec, exec, s[4:5]
	buffer_load_dword v9, off, s[0:3], 0
	buffer_load_dword v26, off, s[0:3], 0 offset:4
	buffer_load_dword v27, off, s[0:3], 0 offset:8
	;; [unrolled: 1-line block ×13, first 2 shown]
	v_add_co_u32_e32 v1, vcc, v69, v4
	buffer_load_dword v69, off, s[0:3], 0 offset:56
	v_lshlrev_b64 v[3:4], 3, v[10:11]
	v_addc_co_u32_e32 v2, vcc, v70, v5, vcc
	v_mov_b32_e32 v5, s59
	v_lshlrev_b64 v[6:7], 3, v[37:38]
	v_add_co_u32_e32 v3, vcc, s58, v3
	v_addc_co_u32_e32 v4, vcc, v5, v4, vcc
	v_cndmask_b32_e64 v8, 0, 1, s[50:51]
	v_add_co_u32_e32 v3, vcc, v3, v6
	v_lshlrev_b32_e32 v70, 3, v8
	v_addc_co_u32_e32 v4, vcc, v4, v7, vcc
	v_add_co_u32_e32 v6, vcc, v3, v70
	v_addc_co_u32_e32 v7, vcc, 0, v4, vcc
	v_add_co_u32_e32 v6, vcc, -8, v6
	v_addc_co_u32_e32 v7, vcc, -1, v7, vcc
	s_cmpk_lg_i32 s33, 0xf00
	s_cselect_b64 s[4:5], -1, 0
	s_and_b64 s[4:5], s[48:49], s[4:5]
	v_sub_u32_e32 v38, v33, v8
	v_cndmask_b32_e64 v75, 0, 1, s[4:5]
	v_add_u32_e32 v5, v38, v75
	s_movk_i32 s36, 0x100
	v_add_u32_e32 v8, v37, v8
	s_mov_b64 s[40:41], -1
	s_waitcnt vmcnt(14)
	v_cmp_eq_u32_e32 vcc, 0, v9
	v_cmp_ne_u32_e64 s[34:35], 0, v9
	v_cndmask_b32_e64 v9, 1, 2, vcc
	s_waitcnt vmcnt(13)
	v_cmp_eq_u32_e32 vcc, 0, v26
	v_cmp_ne_u32_e64 s[30:31], 0, v26
	v_cndmask_b32_e64 v26, 1, 2, vcc
	;; [unrolled: 4-line block ×3, first 2 shown]
	s_waitcnt vmcnt(11)
	v_cmp_eq_u32_e32 vcc, 0, v28
	v_and_b32_e32 v9, v26, v9
	v_cmp_ne_u32_e64 s[26:27], 0, v28
	v_cndmask_b32_e64 v28, 1, 2, vcc
	s_waitcnt vmcnt(10)
	v_cmp_eq_u32_e32 vcc, 0, v29
	v_and_b32_e32 v9, v9, v27
	v_cmp_ne_u32_e64 s[24:25], 0, v29
	v_cndmask_b32_e64 v29, 1, 2, vcc
	;; [unrolled: 5-line block ×5, first 2 shown]
	s_waitcnt vmcnt(6)
	v_cmp_eq_u32_e32 vcc, 0, v67
	v_and_b32_e32 v9, v9, v31
	v_cndmask_b32_e64 v38, 1, 2, vcc
	s_waitcnt vmcnt(5)
	v_cmp_eq_u32_e32 vcc, 0, v68
	v_and_b32_e32 v9, v9, v32
	v_cmp_ne_u32_e64 s[16:17], 0, v67
	v_cndmask_b32_e64 v67, 1, 2, vcc
	s_waitcnt vmcnt(4)
	v_cmp_eq_u32_e32 vcc, 0, v71
	v_and_b32_e32 v9, v9, v38
	v_cmp_ne_u32_e64 s[14:15], 0, v68
	v_cndmask_b32_e64 v68, 1, 2, vcc
	v_and_b32_e32 v9, v9, v67
	s_waitcnt vmcnt(3)
	v_cmp_eq_u32_e32 vcc, 0, v72
	v_and_b32_e32 v9, v9, v68
	v_cndmask_b32_e64 v26, 1, 2, vcc
	s_waitcnt vmcnt(2)
	v_cmp_eq_u32_e32 vcc, 0, v73
	v_and_b32_e32 v9, v9, v26
	v_cndmask_b32_e64 v26, 1, 2, vcc
	;; [unrolled: 4-line block ×4, first 2 shown]
	v_and_b32_e32 v9, v9, v26
	v_cmp_gt_u32_e32 vcc, s36, v5
	v_cmp_ne_u32_e64 s[12:13], 0, v71
	v_cmp_ne_u32_e64 s[8:9], 0, v72
	;; [unrolled: 1-line block ×5, first 2 shown]
	v_cmp_gt_i16_e64 s[36:37], 2, v9
	s_cbranch_vccz .LBB676_192
; %bb.186:
	s_and_saveexec_b64 s[40:41], s[36:37]
	s_cbranch_execz .LBB676_191
; %bb.187:
	v_cmp_ne_u16_e32 vcc, 1, v9
	s_mov_b64 s[42:43], 0
	s_and_saveexec_b64 s[36:37], vcc
	s_xor_b64 s[36:37], exec, s[36:37]
	s_cbranch_execnz .LBB676_240
; %bb.188:
	s_andn2_saveexec_b64 s[36:37], s[36:37]
	s_cbranch_execnz .LBB676_256
.LBB676_189:
	s_or_b64 exec, exec, s[36:37]
	s_and_b64 exec, exec, s[42:43]
	s_cbranch_execz .LBB676_191
.LBB676_190:
	v_sub_u32_e32 v26, v12, v8
	v_mov_b32_e32 v27, 0
	v_lshlrev_b64 v[26:27], 3, v[26:27]
	v_add_co_u32_e32 v26, vcc, v6, v26
	v_addc_co_u32_e32 v27, vcc, v7, v27, vcc
	global_store_dwordx2 v[26:27], v[1:2], off
.LBB676_191:
	s_or_b64 exec, exec, s[40:41]
	s_mov_b64 s[40:41], 0
.LBB676_192:
	s_and_b64 vcc, exec, s[40:41]
	s_cbranch_vccz .LBB676_202
; %bb.193:
	v_cmp_gt_i16_e32 vcc, 2, v9
	s_and_saveexec_b64 s[36:37], vcc
	s_cbranch_execz .LBB676_198
; %bb.194:
	v_cmp_ne_u16_e32 vcc, 1, v9
	s_mov_b64 s[42:43], 0
	s_and_saveexec_b64 s[40:41], vcc
	s_xor_b64 s[40:41], exec, s[40:41]
	s_cbranch_execnz .LBB676_257
; %bb.195:
	s_andn2_saveexec_b64 s[4:5], s[40:41]
	s_cbranch_execnz .LBB676_273
.LBB676_196:
	s_or_b64 exec, exec, s[4:5]
	s_and_b64 exec, exec, s[42:43]
.LBB676_197:
	v_sub_u32_e32 v8, v12, v8
	v_lshlrev_b32_e32 v8, 3, v8
	ds_write_b64 v8, v[1:2]
.LBB676_198:
	s_or_b64 exec, exec, s[36:37]
	v_cmp_lt_u32_e32 vcc, v0, v5
	s_waitcnt vmcnt(0) lgkmcnt(0)
	s_barrier
	s_and_saveexec_b64 s[6:7], vcc
	s_cbranch_execz .LBB676_201
; %bb.199:
	v_lshlrev_b32_e32 v8, 3, v0
	s_mov_b64 s[8:9], 0
	v_mov_b32_e32 v2, 0
	v_mov_b32_e32 v1, v0
.LBB676_200:                            ; =>This Inner Loop Header: Depth=1
	ds_read_b64 v[14:15], v8
	v_lshlrev_b64 v[12:13], 3, v[1:2]
	v_add_u32_e32 v1, 0x100, v1
	v_cmp_ge_u32_e32 vcc, v1, v5
	v_add_co_u32_e64 v12, s[4:5], v6, v12
	v_add_u32_e32 v8, 0x800, v8
	v_addc_co_u32_e64 v13, s[4:5], v7, v13, s[4:5]
	s_or_b64 s[8:9], vcc, s[8:9]
	s_waitcnt lgkmcnt(0)
	global_store_dwordx2 v[12:13], v[14:15], off
	s_andn2_b64 exec, exec, s[8:9]
	s_cbranch_execnz .LBB676_200
.LBB676_201:
	s_or_b64 exec, exec, s[6:7]
.LBB676_202:
	s_movk_i32 s4, 0xff
	v_cmp_eq_u32_e32 vcc, s4, v0
	s_and_b64 s[4:5], vcc, s[48:49]
	s_and_saveexec_b64 s[6:7], s[4:5]
	s_cbranch_execz .LBB676_205
; %bb.203:
	v_add_co_u32_e32 v0, vcc, v33, v37
	v_addc_co_u32_e64 v1, s[4:5], 0, 0, vcc
	v_add_co_u32_e32 v0, vcc, v0, v10
	v_mov_b32_e32 v34, 0
	v_addc_co_u32_e32 v1, vcc, v1, v11, vcc
	s_cmpk_lg_i32 s33, 0xf00
	global_store_dwordx2 v34, v[0:1], s[38:39]
	s_cbranch_scc1 .LBB676_205
; %bb.204:
	v_lshlrev_b64 v[0:1], 3, v[33:34]
	v_add_co_u32_e32 v0, vcc, v3, v0
	v_addc_co_u32_e32 v1, vcc, v4, v1, vcc
	global_store_dwordx2 v[0:1], v[35:36], off offset:-8
.LBB676_205:
	s_endpgm
.LBB676_206:
	s_and_saveexec_b64 s[42:43], s[34:35]
	s_cbranch_execnz .LBB676_274
; %bb.207:
	s_or_b64 exec, exec, s[42:43]
	s_and_saveexec_b64 s[42:43], s[30:31]
	s_cbranch_execnz .LBB676_275
.LBB676_208:
	s_or_b64 exec, exec, s[42:43]
	s_and_saveexec_b64 s[42:43], s[28:29]
	s_cbranch_execnz .LBB676_276
.LBB676_209:
	s_or_b64 exec, exec, s[42:43]
	s_and_saveexec_b64 s[42:43], s[26:27]
	s_cbranch_execnz .LBB676_277
.LBB676_210:
	s_or_b64 exec, exec, s[42:43]
	s_and_saveexec_b64 s[42:43], s[24:25]
	s_cbranch_execnz .LBB676_278
.LBB676_211:
	s_or_b64 exec, exec, s[42:43]
	s_and_saveexec_b64 s[42:43], s[22:23]
	s_cbranch_execnz .LBB676_279
.LBB676_212:
	s_or_b64 exec, exec, s[42:43]
	s_and_saveexec_b64 s[42:43], s[20:21]
	s_cbranch_execnz .LBB676_280
.LBB676_213:
	s_or_b64 exec, exec, s[42:43]
	s_and_saveexec_b64 s[42:43], s[18:19]
	s_cbranch_execnz .LBB676_281
.LBB676_214:
	s_or_b64 exec, exec, s[42:43]
	s_and_saveexec_b64 s[42:43], s[16:17]
	s_cbranch_execnz .LBB676_282
.LBB676_215:
	s_or_b64 exec, exec, s[42:43]
	s_and_saveexec_b64 s[42:43], s[14:15]
	s_cbranch_execnz .LBB676_283
.LBB676_216:
	s_or_b64 exec, exec, s[42:43]
	s_and_saveexec_b64 s[42:43], s[12:13]
	s_cbranch_execnz .LBB676_284
.LBB676_217:
	s_or_b64 exec, exec, s[42:43]
	s_and_saveexec_b64 s[42:43], s[10:11]
	s_cbranch_execnz .LBB676_285
.LBB676_218:
	s_or_b64 exec, exec, s[42:43]
	s_and_saveexec_b64 s[42:43], s[6:7]
	s_cbranch_execnz .LBB676_286
.LBB676_219:
	s_or_b64 exec, exec, s[42:43]
	s_and_saveexec_b64 s[42:43], s[4:5]
	s_cbranch_execz .LBB676_221
.LBB676_220:
	v_sub_u32_e32 v3, v13, v37
	v_readfirstlane_b32 s44, v26
	v_readfirstlane_b32 s45, v27
	s_nop 4
	global_store_byte_d16_hi v3, v32, s[44:45]
.LBB676_221:
	s_or_b64 exec, exec, s[42:43]
	s_and_b64 s[42:43], s[8:9], exec
	s_andn2_saveexec_b64 s[36:37], s[36:37]
	s_cbranch_execz .LBB676_156
.LBB676_222:
	v_sub_u32_e32 v3, v34, v37
	v_readfirstlane_b32 s44, v26
	v_readfirstlane_b32 s45, v27
	v_lshrrev_b32_e32 v6, 8, v30
	s_or_b64 s[42:43], s[42:43], exec
	s_nop 2
	global_store_byte v3, v72, s[44:45]
	v_sub_u32_e32 v3, v25, v37
	global_store_byte v3, v71, s[44:45]
	v_sub_u32_e32 v3, v24, v37
	global_store_byte v3, v1, s[44:45]
	v_sub_u32_e32 v3, v23, v37
	global_store_byte v3, v30, s[44:45]
	v_sub_u32_e32 v3, v22, v37
	global_store_byte v3, v6, s[44:45]
	v_sub_u32_e32 v3, v21, v37
	global_store_byte_d16_hi v3, v30, s[44:45]
	v_sub_u32_e32 v3, v20, v37
	v_lshrrev_b32_e32 v6, 24, v30
	global_store_byte v3, v6, s[44:45]
	v_sub_u32_e32 v3, v19, v37
	global_store_byte v3, v31, s[44:45]
	v_sub_u32_e32 v3, v18, v37
	v_lshrrev_b32_e32 v6, 8, v31
	global_store_byte v3, v6, s[44:45]
	v_sub_u32_e32 v3, v17, v37
	global_store_byte_d16_hi v3, v31, s[44:45]
	v_sub_u32_e32 v3, v16, v37
	v_lshrrev_b32_e32 v6, 24, v31
	global_store_byte v3, v6, s[44:45]
	v_sub_u32_e32 v3, v15, v37
	global_store_byte v3, v32, s[44:45]
	v_sub_u32_e32 v3, v14, v37
	v_lshrrev_b32_e32 v6, 8, v32
	global_store_byte v3, v6, s[44:45]
	v_sub_u32_e32 v3, v13, v37
	global_store_byte_d16_hi v3, v32, s[44:45]
	s_or_b64 exec, exec, s[36:37]
	s_and_b64 exec, exec, s[42:43]
	s_cbranch_execnz .LBB676_157
	s_branch .LBB676_158
.LBB676_223:
	s_and_saveexec_b64 s[42:43], s[34:35]
	s_cbranch_execnz .LBB676_287
; %bb.224:
	s_or_b64 exec, exec, s[42:43]
	s_and_saveexec_b64 s[34:35], s[30:31]
	s_cbranch_execnz .LBB676_288
.LBB676_225:
	s_or_b64 exec, exec, s[34:35]
	s_and_saveexec_b64 s[30:31], s[28:29]
	s_cbranch_execnz .LBB676_289
.LBB676_226:
	s_or_b64 exec, exec, s[30:31]
	s_and_saveexec_b64 s[28:29], s[26:27]
	s_cbranch_execnz .LBB676_290
.LBB676_227:
	s_or_b64 exec, exec, s[28:29]
	s_and_saveexec_b64 s[26:27], s[24:25]
	s_cbranch_execnz .LBB676_291
.LBB676_228:
	s_or_b64 exec, exec, s[26:27]
	s_and_saveexec_b64 s[24:25], s[22:23]
	s_cbranch_execnz .LBB676_292
.LBB676_229:
	s_or_b64 exec, exec, s[24:25]
	s_and_saveexec_b64 s[22:23], s[20:21]
	s_cbranch_execnz .LBB676_293
.LBB676_230:
	s_or_b64 exec, exec, s[22:23]
	s_and_saveexec_b64 s[20:21], s[18:19]
	s_cbranch_execnz .LBB676_294
.LBB676_231:
	s_or_b64 exec, exec, s[20:21]
	s_and_saveexec_b64 s[18:19], s[16:17]
	s_cbranch_execnz .LBB676_295
.LBB676_232:
	s_or_b64 exec, exec, s[18:19]
	s_and_saveexec_b64 s[16:17], s[14:15]
	s_cbranch_execnz .LBB676_296
.LBB676_233:
	s_or_b64 exec, exec, s[16:17]
	s_and_saveexec_b64 s[14:15], s[12:13]
	s_cbranch_execnz .LBB676_297
.LBB676_234:
	s_or_b64 exec, exec, s[14:15]
	s_and_saveexec_b64 s[12:13], s[10:11]
	s_cbranch_execnz .LBB676_298
.LBB676_235:
	s_or_b64 exec, exec, s[12:13]
	s_and_saveexec_b64 s[10:11], s[6:7]
	s_cbranch_execnz .LBB676_299
.LBB676_236:
	s_or_b64 exec, exec, s[10:11]
	s_and_saveexec_b64 s[6:7], s[4:5]
.LBB676_237:
	v_sub_u32_e32 v1, v13, v37
	ds_write_b8_d16_hi v1, v32
.LBB676_238:
	s_or_b64 exec, exec, s[6:7]
	s_and_b64 s[42:43], s[8:9], exec
                                        ; implicit-def: $vgpr72
                                        ; implicit-def: $vgpr71
                                        ; implicit-def: $vgpr1
	s_andn2_saveexec_b64 s[4:5], s[40:41]
	s_cbranch_execz .LBB676_163
.LBB676_239:
	v_sub_u32_e32 v2, v34, v37
	ds_write_b8 v2, v72
	v_sub_u32_e32 v2, v25, v37
	ds_write_b8 v2, v71
	;; [unrolled: 2-line block ×4, first 2 shown]
	v_sub_u32_e32 v1, v22, v37
	v_lshrrev_b32_e32 v2, 8, v30
	ds_write_b8 v1, v2
	v_sub_u32_e32 v1, v21, v37
	ds_write_b8_d16_hi v1, v30
	v_sub_u32_e32 v1, v20, v37
	v_lshrrev_b32_e32 v2, 24, v30
	ds_write_b8 v1, v2
	v_sub_u32_e32 v1, v19, v37
	ds_write_b8 v1, v31
	v_sub_u32_e32 v1, v18, v37
	v_lshrrev_b32_e32 v2, 8, v31
	ds_write_b8 v1, v2
	v_sub_u32_e32 v1, v17, v37
	ds_write_b8_d16_hi v1, v31
	v_sub_u32_e32 v1, v16, v37
	v_lshrrev_b32_e32 v2, 24, v31
	ds_write_b8 v1, v2
	v_sub_u32_e32 v1, v15, v37
	ds_write_b8 v1, v32
	v_sub_u32_e32 v1, v14, v37
	v_lshrrev_b32_e32 v2, 8, v32
	ds_write_b8 v1, v2
	v_sub_u32_e32 v1, v13, v37
	s_or_b64 s[42:43], s[42:43], exec
	ds_write_b8_d16_hi v1, v32
	s_or_b64 exec, exec, s[4:5]
	s_and_b64 exec, exec, s[42:43]
	s_cbranch_execnz .LBB676_164
	s_branch .LBB676_165
.LBB676_240:
	s_and_saveexec_b64 s[42:43], s[34:35]
	s_cbranch_execnz .LBB676_300
; %bb.241:
	s_or_b64 exec, exec, s[42:43]
	s_and_saveexec_b64 s[42:43], s[30:31]
	s_cbranch_execnz .LBB676_301
.LBB676_242:
	s_or_b64 exec, exec, s[42:43]
	s_and_saveexec_b64 s[42:43], s[28:29]
	s_cbranch_execnz .LBB676_302
.LBB676_243:
	s_or_b64 exec, exec, s[42:43]
	s_and_saveexec_b64 s[42:43], s[26:27]
	s_cbranch_execnz .LBB676_303
.LBB676_244:
	s_or_b64 exec, exec, s[42:43]
	s_and_saveexec_b64 s[42:43], s[24:25]
	s_cbranch_execnz .LBB676_304
.LBB676_245:
	s_or_b64 exec, exec, s[42:43]
	s_and_saveexec_b64 s[42:43], s[22:23]
	s_cbranch_execnz .LBB676_305
.LBB676_246:
	s_or_b64 exec, exec, s[42:43]
	s_and_saveexec_b64 s[42:43], s[20:21]
	s_cbranch_execnz .LBB676_306
.LBB676_247:
	s_or_b64 exec, exec, s[42:43]
	s_and_saveexec_b64 s[42:43], s[18:19]
	s_cbranch_execnz .LBB676_307
.LBB676_248:
	s_or_b64 exec, exec, s[42:43]
	s_and_saveexec_b64 s[42:43], s[16:17]
	s_cbranch_execnz .LBB676_308
.LBB676_249:
	s_or_b64 exec, exec, s[42:43]
	s_and_saveexec_b64 s[42:43], s[14:15]
	s_cbranch_execnz .LBB676_309
.LBB676_250:
	s_or_b64 exec, exec, s[42:43]
	s_and_saveexec_b64 s[42:43], s[12:13]
	s_cbranch_execnz .LBB676_310
.LBB676_251:
	s_or_b64 exec, exec, s[42:43]
	s_and_saveexec_b64 s[42:43], s[8:9]
	s_cbranch_execnz .LBB676_311
.LBB676_252:
	s_or_b64 exec, exec, s[42:43]
	s_and_saveexec_b64 s[42:43], s[10:11]
	s_cbranch_execnz .LBB676_312
.LBB676_253:
	s_or_b64 exec, exec, s[42:43]
	s_and_saveexec_b64 s[42:43], s[6:7]
	s_cbranch_execz .LBB676_255
.LBB676_254:
	v_sub_u32_e32 v26, v13, v8
	v_mov_b32_e32 v27, 0
	v_lshlrev_b64 v[26:27], 3, v[26:27]
	v_add_co_u32_e32 v26, vcc, v6, v26
	v_addc_co_u32_e32 v27, vcc, v7, v27, vcc
	global_store_dwordx2 v[26:27], v[65:66], off
.LBB676_255:
	s_or_b64 exec, exec, s[42:43]
	s_and_b64 s[42:43], s[4:5], exec
	s_andn2_saveexec_b64 s[36:37], s[36:37]
	s_cbranch_execz .LBB676_189
.LBB676_256:
	v_sub_u32_e32 v26, v34, v8
	v_mov_b32_e32 v27, 0
	v_lshlrev_b64 v[28:29], 3, v[26:27]
	v_sub_u32_e32 v26, v25, v8
	v_add_co_u32_e32 v28, vcc, v6, v28
	v_addc_co_u32_e32 v29, vcc, v7, v29, vcc
	global_store_dwordx2 v[28:29], v[63:64], off
	v_lshlrev_b64 v[28:29], 3, v[26:27]
	v_sub_u32_e32 v26, v24, v8
	v_add_co_u32_e32 v28, vcc, v6, v28
	v_addc_co_u32_e32 v29, vcc, v7, v29, vcc
	global_store_dwordx2 v[28:29], v[39:40], off
	;; [unrolled: 5-line block ×12, first 2 shown]
	v_lshlrev_b64 v[28:29], 3, v[26:27]
	v_sub_u32_e32 v26, v13, v8
	v_add_co_u32_e32 v28, vcc, v6, v28
	v_lshlrev_b64 v[26:27], 3, v[26:27]
	v_addc_co_u32_e32 v29, vcc, v7, v29, vcc
	v_add_co_u32_e32 v26, vcc, v6, v26
	v_addc_co_u32_e32 v27, vcc, v7, v27, vcc
	s_or_b64 s[42:43], s[42:43], exec
	global_store_dwordx2 v[28:29], v[61:62], off
	global_store_dwordx2 v[26:27], v[65:66], off
	s_or_b64 exec, exec, s[36:37]
	s_and_b64 exec, exec, s[42:43]
	s_cbranch_execnz .LBB676_190
	s_branch .LBB676_191
.LBB676_257:
	s_and_saveexec_b64 s[42:43], s[34:35]
	s_cbranch_execnz .LBB676_313
; %bb.258:
	s_or_b64 exec, exec, s[42:43]
	s_and_saveexec_b64 s[34:35], s[30:31]
	s_cbranch_execnz .LBB676_314
.LBB676_259:
	s_or_b64 exec, exec, s[34:35]
	s_and_saveexec_b64 s[30:31], s[28:29]
	s_cbranch_execnz .LBB676_315
.LBB676_260:
	s_or_b64 exec, exec, s[30:31]
	s_and_saveexec_b64 s[28:29], s[26:27]
	s_cbranch_execnz .LBB676_316
.LBB676_261:
	s_or_b64 exec, exec, s[28:29]
	s_and_saveexec_b64 s[26:27], s[24:25]
	s_cbranch_execnz .LBB676_317
.LBB676_262:
	s_or_b64 exec, exec, s[26:27]
	s_and_saveexec_b64 s[24:25], s[22:23]
	s_cbranch_execnz .LBB676_318
.LBB676_263:
	s_or_b64 exec, exec, s[24:25]
	s_and_saveexec_b64 s[22:23], s[20:21]
	s_cbranch_execnz .LBB676_319
.LBB676_264:
	s_or_b64 exec, exec, s[22:23]
	s_and_saveexec_b64 s[20:21], s[18:19]
	s_cbranch_execnz .LBB676_320
.LBB676_265:
	s_or_b64 exec, exec, s[20:21]
	s_and_saveexec_b64 s[18:19], s[16:17]
	s_cbranch_execnz .LBB676_321
.LBB676_266:
	s_or_b64 exec, exec, s[18:19]
	s_and_saveexec_b64 s[16:17], s[14:15]
	s_cbranch_execnz .LBB676_322
.LBB676_267:
	s_or_b64 exec, exec, s[16:17]
	s_and_saveexec_b64 s[14:15], s[12:13]
	s_cbranch_execnz .LBB676_323
.LBB676_268:
	s_or_b64 exec, exec, s[14:15]
	s_and_saveexec_b64 s[12:13], s[8:9]
	s_cbranch_execnz .LBB676_324
.LBB676_269:
	s_or_b64 exec, exec, s[12:13]
	s_and_saveexec_b64 s[8:9], s[10:11]
	s_cbranch_execnz .LBB676_325
.LBB676_270:
	s_or_b64 exec, exec, s[8:9]
	s_and_saveexec_b64 s[8:9], s[6:7]
.LBB676_271:
	v_sub_u32_e32 v9, v13, v8
	v_lshlrev_b32_e32 v9, 3, v9
	ds_write_b64 v9, v[65:66]
.LBB676_272:
	s_or_b64 exec, exec, s[8:9]
	s_and_b64 s[42:43], s[4:5], exec
                                        ; implicit-def: $vgpr63_vgpr64
                                        ; implicit-def: $vgpr39_vgpr40
                                        ; implicit-def: $vgpr41_vgpr42
                                        ; implicit-def: $vgpr43_vgpr44
                                        ; implicit-def: $vgpr45_vgpr46
                                        ; implicit-def: $vgpr47_vgpr48
                                        ; implicit-def: $vgpr49_vgpr50
                                        ; implicit-def: $vgpr51_vgpr52
                                        ; implicit-def: $vgpr53_vgpr54
                                        ; implicit-def: $vgpr55_vgpr56
                                        ; implicit-def: $vgpr57_vgpr58
                                        ; implicit-def: $vgpr59_vgpr60
                                        ; implicit-def: $vgpr61_vgpr62
                                        ; implicit-def: $vgpr65_vgpr66
                                        ; implicit-def: $vgpr34
                                        ; implicit-def: $vgpr25
                                        ; implicit-def: $vgpr24
                                        ; implicit-def: $vgpr23
                                        ; implicit-def: $vgpr22
                                        ; implicit-def: $vgpr21
                                        ; implicit-def: $vgpr20
                                        ; implicit-def: $vgpr19
                                        ; implicit-def: $vgpr18
                                        ; implicit-def: $vgpr17
                                        ; implicit-def: $vgpr16
                                        ; implicit-def: $vgpr15
                                        ; implicit-def: $vgpr14
                                        ; implicit-def: $vgpr13
	s_andn2_saveexec_b64 s[4:5], s[40:41]
	s_cbranch_execz .LBB676_196
.LBB676_273:
	v_sub_u32_e32 v9, v34, v8
	v_lshlrev_b32_e32 v9, 3, v9
	ds_write_b64 v9, v[63:64]
	v_sub_u32_e32 v9, v25, v8
	v_lshlrev_b32_e32 v9, 3, v9
	ds_write_b64 v9, v[39:40]
	;; [unrolled: 3-line block ×13, first 2 shown]
	v_sub_u32_e32 v9, v13, v8
	v_lshlrev_b32_e32 v9, 3, v9
	s_or_b64 s[42:43], s[42:43], exec
	ds_write_b64 v9, v[65:66]
	s_or_b64 exec, exec, s[4:5]
	s_and_b64 exec, exec, s[42:43]
	s_cbranch_execnz .LBB676_197
	s_branch .LBB676_198
.LBB676_274:
	v_sub_u32_e32 v3, v34, v37
	v_readfirstlane_b32 s44, v26
	v_readfirstlane_b32 s45, v27
	s_nop 4
	global_store_byte v3, v72, s[44:45]
	s_or_b64 exec, exec, s[42:43]
	s_and_saveexec_b64 s[42:43], s[30:31]
	s_cbranch_execz .LBB676_208
.LBB676_275:
	v_sub_u32_e32 v3, v25, v37
	v_readfirstlane_b32 s44, v26
	v_readfirstlane_b32 s45, v27
	s_nop 4
	global_store_byte v3, v71, s[44:45]
	s_or_b64 exec, exec, s[42:43]
	s_and_saveexec_b64 s[42:43], s[28:29]
	s_cbranch_execz .LBB676_209
.LBB676_276:
	v_sub_u32_e32 v3, v24, v37
	v_readfirstlane_b32 s44, v26
	v_readfirstlane_b32 s45, v27
	s_nop 4
	global_store_byte v3, v1, s[44:45]
	s_or_b64 exec, exec, s[42:43]
	s_and_saveexec_b64 s[42:43], s[26:27]
	s_cbranch_execz .LBB676_210
.LBB676_277:
	v_sub_u32_e32 v3, v23, v37
	v_readfirstlane_b32 s44, v26
	v_readfirstlane_b32 s45, v27
	s_nop 4
	global_store_byte v3, v30, s[44:45]
	s_or_b64 exec, exec, s[42:43]
	s_and_saveexec_b64 s[42:43], s[24:25]
	s_cbranch_execz .LBB676_211
.LBB676_278:
	v_sub_u32_e32 v3, v22, v37
	v_lshrrev_b32_e32 v6, 8, v30
	v_readfirstlane_b32 s44, v26
	v_readfirstlane_b32 s45, v27
	s_nop 4
	global_store_byte v3, v6, s[44:45]
	s_or_b64 exec, exec, s[42:43]
	s_and_saveexec_b64 s[42:43], s[22:23]
	s_cbranch_execz .LBB676_212
.LBB676_279:
	v_sub_u32_e32 v3, v21, v37
	v_readfirstlane_b32 s44, v26
	v_readfirstlane_b32 s45, v27
	s_nop 4
	global_store_byte_d16_hi v3, v30, s[44:45]
	s_or_b64 exec, exec, s[42:43]
	s_and_saveexec_b64 s[42:43], s[20:21]
	s_cbranch_execz .LBB676_213
.LBB676_280:
	v_sub_u32_e32 v3, v20, v37
	v_lshrrev_b32_e32 v6, 24, v30
	v_readfirstlane_b32 s44, v26
	v_readfirstlane_b32 s45, v27
	s_nop 4
	global_store_byte v3, v6, s[44:45]
	s_or_b64 exec, exec, s[42:43]
	s_and_saveexec_b64 s[42:43], s[18:19]
	s_cbranch_execz .LBB676_214
.LBB676_281:
	v_sub_u32_e32 v3, v19, v37
	v_readfirstlane_b32 s44, v26
	v_readfirstlane_b32 s45, v27
	s_nop 4
	global_store_byte v3, v31, s[44:45]
	s_or_b64 exec, exec, s[42:43]
	s_and_saveexec_b64 s[42:43], s[16:17]
	s_cbranch_execz .LBB676_215
.LBB676_282:
	v_sub_u32_e32 v3, v18, v37
	v_lshrrev_b32_e32 v6, 8, v31
	v_readfirstlane_b32 s44, v26
	v_readfirstlane_b32 s45, v27
	s_nop 4
	global_store_byte v3, v6, s[44:45]
	s_or_b64 exec, exec, s[42:43]
	s_and_saveexec_b64 s[42:43], s[14:15]
	s_cbranch_execz .LBB676_216
.LBB676_283:
	v_sub_u32_e32 v3, v17, v37
	v_readfirstlane_b32 s44, v26
	v_readfirstlane_b32 s45, v27
	s_nop 4
	global_store_byte_d16_hi v3, v31, s[44:45]
	s_or_b64 exec, exec, s[42:43]
	s_and_saveexec_b64 s[42:43], s[12:13]
	s_cbranch_execz .LBB676_217
.LBB676_284:
	v_sub_u32_e32 v3, v16, v37
	v_lshrrev_b32_e32 v6, 24, v31
	v_readfirstlane_b32 s44, v26
	v_readfirstlane_b32 s45, v27
	s_nop 4
	global_store_byte v3, v6, s[44:45]
	s_or_b64 exec, exec, s[42:43]
	s_and_saveexec_b64 s[42:43], s[10:11]
	s_cbranch_execz .LBB676_218
.LBB676_285:
	v_sub_u32_e32 v3, v15, v37
	v_readfirstlane_b32 s44, v26
	v_readfirstlane_b32 s45, v27
	s_nop 4
	global_store_byte v3, v32, s[44:45]
	s_or_b64 exec, exec, s[42:43]
	s_and_saveexec_b64 s[42:43], s[6:7]
	s_cbranch_execz .LBB676_219
.LBB676_286:
	v_sub_u32_e32 v3, v14, v37
	v_lshrrev_b32_e32 v6, 8, v32
	v_readfirstlane_b32 s44, v26
	v_readfirstlane_b32 s45, v27
	s_nop 4
	global_store_byte v3, v6, s[44:45]
	s_or_b64 exec, exec, s[42:43]
	s_and_saveexec_b64 s[42:43], s[4:5]
	s_cbranch_execnz .LBB676_220
	s_branch .LBB676_221
.LBB676_287:
	v_sub_u32_e32 v2, v34, v37
	ds_write_b8 v2, v72
	s_or_b64 exec, exec, s[42:43]
	s_and_saveexec_b64 s[34:35], s[30:31]
	s_cbranch_execz .LBB676_225
.LBB676_288:
	v_sub_u32_e32 v2, v25, v37
	ds_write_b8 v2, v71
	s_or_b64 exec, exec, s[34:35]
	s_and_saveexec_b64 s[30:31], s[28:29]
	s_cbranch_execz .LBB676_226
.LBB676_289:
	v_sub_u32_e32 v2, v24, v37
	ds_write_b8 v2, v1
	s_or_b64 exec, exec, s[30:31]
	s_and_saveexec_b64 s[28:29], s[26:27]
	s_cbranch_execz .LBB676_227
.LBB676_290:
	v_sub_u32_e32 v1, v23, v37
	ds_write_b8 v1, v30
	s_or_b64 exec, exec, s[28:29]
	s_and_saveexec_b64 s[26:27], s[24:25]
	s_cbranch_execz .LBB676_228
.LBB676_291:
	v_sub_u32_e32 v1, v22, v37
	v_lshrrev_b32_e32 v2, 8, v30
	ds_write_b8 v1, v2
	s_or_b64 exec, exec, s[26:27]
	s_and_saveexec_b64 s[24:25], s[22:23]
	s_cbranch_execz .LBB676_229
.LBB676_292:
	v_sub_u32_e32 v1, v21, v37
	ds_write_b8_d16_hi v1, v30
	s_or_b64 exec, exec, s[24:25]
	s_and_saveexec_b64 s[22:23], s[20:21]
	s_cbranch_execz .LBB676_230
.LBB676_293:
	v_sub_u32_e32 v1, v20, v37
	v_lshrrev_b32_e32 v2, 24, v30
	ds_write_b8 v1, v2
	s_or_b64 exec, exec, s[22:23]
	s_and_saveexec_b64 s[20:21], s[18:19]
	s_cbranch_execz .LBB676_231
.LBB676_294:
	v_sub_u32_e32 v1, v19, v37
	ds_write_b8 v1, v31
	s_or_b64 exec, exec, s[20:21]
	s_and_saveexec_b64 s[18:19], s[16:17]
	s_cbranch_execz .LBB676_232
.LBB676_295:
	v_sub_u32_e32 v1, v18, v37
	v_lshrrev_b32_e32 v2, 8, v31
	ds_write_b8 v1, v2
	s_or_b64 exec, exec, s[18:19]
	s_and_saveexec_b64 s[16:17], s[14:15]
	s_cbranch_execz .LBB676_233
.LBB676_296:
	v_sub_u32_e32 v1, v17, v37
	ds_write_b8_d16_hi v1, v31
	s_or_b64 exec, exec, s[16:17]
	s_and_saveexec_b64 s[14:15], s[12:13]
	s_cbranch_execz .LBB676_234
.LBB676_297:
	v_sub_u32_e32 v1, v16, v37
	v_lshrrev_b32_e32 v2, 24, v31
	ds_write_b8 v1, v2
	s_or_b64 exec, exec, s[14:15]
	s_and_saveexec_b64 s[12:13], s[10:11]
	s_cbranch_execz .LBB676_235
.LBB676_298:
	v_sub_u32_e32 v1, v15, v37
	ds_write_b8 v1, v32
	s_or_b64 exec, exec, s[12:13]
	s_and_saveexec_b64 s[10:11], s[6:7]
	s_cbranch_execz .LBB676_236
.LBB676_299:
	v_sub_u32_e32 v1, v14, v37
	v_lshrrev_b32_e32 v2, 8, v32
	ds_write_b8 v1, v2
	s_or_b64 exec, exec, s[10:11]
	s_and_saveexec_b64 s[6:7], s[4:5]
	s_cbranch_execnz .LBB676_237
	s_branch .LBB676_238
.LBB676_300:
	v_sub_u32_e32 v26, v34, v8
	v_mov_b32_e32 v27, 0
	v_lshlrev_b64 v[26:27], 3, v[26:27]
	v_add_co_u32_e32 v26, vcc, v6, v26
	v_addc_co_u32_e32 v27, vcc, v7, v27, vcc
	global_store_dwordx2 v[26:27], v[63:64], off
	s_or_b64 exec, exec, s[42:43]
	s_and_saveexec_b64 s[42:43], s[30:31]
	s_cbranch_execz .LBB676_242
.LBB676_301:
	v_sub_u32_e32 v26, v25, v8
	v_mov_b32_e32 v27, 0
	v_lshlrev_b64 v[26:27], 3, v[26:27]
	v_add_co_u32_e32 v26, vcc, v6, v26
	v_addc_co_u32_e32 v27, vcc, v7, v27, vcc
	global_store_dwordx2 v[26:27], v[39:40], off
	s_or_b64 exec, exec, s[42:43]
	s_and_saveexec_b64 s[42:43], s[28:29]
	s_cbranch_execz .LBB676_243
.LBB676_302:
	v_sub_u32_e32 v26, v24, v8
	v_mov_b32_e32 v27, 0
	v_lshlrev_b64 v[26:27], 3, v[26:27]
	v_add_co_u32_e32 v26, vcc, v6, v26
	v_addc_co_u32_e32 v27, vcc, v7, v27, vcc
	global_store_dwordx2 v[26:27], v[41:42], off
	s_or_b64 exec, exec, s[42:43]
	s_and_saveexec_b64 s[42:43], s[26:27]
	s_cbranch_execz .LBB676_244
.LBB676_303:
	v_sub_u32_e32 v26, v23, v8
	v_mov_b32_e32 v27, 0
	v_lshlrev_b64 v[26:27], 3, v[26:27]
	v_add_co_u32_e32 v26, vcc, v6, v26
	v_addc_co_u32_e32 v27, vcc, v7, v27, vcc
	global_store_dwordx2 v[26:27], v[43:44], off
	s_or_b64 exec, exec, s[42:43]
	s_and_saveexec_b64 s[42:43], s[24:25]
	s_cbranch_execz .LBB676_245
.LBB676_304:
	v_sub_u32_e32 v26, v22, v8
	v_mov_b32_e32 v27, 0
	v_lshlrev_b64 v[26:27], 3, v[26:27]
	v_add_co_u32_e32 v26, vcc, v6, v26
	v_addc_co_u32_e32 v27, vcc, v7, v27, vcc
	global_store_dwordx2 v[26:27], v[45:46], off
	s_or_b64 exec, exec, s[42:43]
	s_and_saveexec_b64 s[42:43], s[22:23]
	s_cbranch_execz .LBB676_246
.LBB676_305:
	v_sub_u32_e32 v26, v21, v8
	v_mov_b32_e32 v27, 0
	v_lshlrev_b64 v[26:27], 3, v[26:27]
	v_add_co_u32_e32 v26, vcc, v6, v26
	v_addc_co_u32_e32 v27, vcc, v7, v27, vcc
	global_store_dwordx2 v[26:27], v[47:48], off
	s_or_b64 exec, exec, s[42:43]
	s_and_saveexec_b64 s[42:43], s[20:21]
	s_cbranch_execz .LBB676_247
.LBB676_306:
	v_sub_u32_e32 v26, v20, v8
	v_mov_b32_e32 v27, 0
	v_lshlrev_b64 v[26:27], 3, v[26:27]
	v_add_co_u32_e32 v26, vcc, v6, v26
	v_addc_co_u32_e32 v27, vcc, v7, v27, vcc
	global_store_dwordx2 v[26:27], v[49:50], off
	s_or_b64 exec, exec, s[42:43]
	s_and_saveexec_b64 s[42:43], s[18:19]
	s_cbranch_execz .LBB676_248
.LBB676_307:
	v_sub_u32_e32 v26, v19, v8
	v_mov_b32_e32 v27, 0
	v_lshlrev_b64 v[26:27], 3, v[26:27]
	v_add_co_u32_e32 v26, vcc, v6, v26
	v_addc_co_u32_e32 v27, vcc, v7, v27, vcc
	global_store_dwordx2 v[26:27], v[51:52], off
	s_or_b64 exec, exec, s[42:43]
	s_and_saveexec_b64 s[42:43], s[16:17]
	s_cbranch_execz .LBB676_249
.LBB676_308:
	v_sub_u32_e32 v26, v18, v8
	v_mov_b32_e32 v27, 0
	v_lshlrev_b64 v[26:27], 3, v[26:27]
	v_add_co_u32_e32 v26, vcc, v6, v26
	v_addc_co_u32_e32 v27, vcc, v7, v27, vcc
	global_store_dwordx2 v[26:27], v[53:54], off
	s_or_b64 exec, exec, s[42:43]
	s_and_saveexec_b64 s[42:43], s[14:15]
	s_cbranch_execz .LBB676_250
.LBB676_309:
	v_sub_u32_e32 v26, v17, v8
	v_mov_b32_e32 v27, 0
	v_lshlrev_b64 v[26:27], 3, v[26:27]
	v_add_co_u32_e32 v26, vcc, v6, v26
	v_addc_co_u32_e32 v27, vcc, v7, v27, vcc
	global_store_dwordx2 v[26:27], v[55:56], off
	s_or_b64 exec, exec, s[42:43]
	s_and_saveexec_b64 s[42:43], s[12:13]
	s_cbranch_execz .LBB676_251
.LBB676_310:
	v_sub_u32_e32 v26, v16, v8
	v_mov_b32_e32 v27, 0
	v_lshlrev_b64 v[26:27], 3, v[26:27]
	v_add_co_u32_e32 v26, vcc, v6, v26
	v_addc_co_u32_e32 v27, vcc, v7, v27, vcc
	global_store_dwordx2 v[26:27], v[57:58], off
	s_or_b64 exec, exec, s[42:43]
	s_and_saveexec_b64 s[42:43], s[8:9]
	s_cbranch_execz .LBB676_252
.LBB676_311:
	v_sub_u32_e32 v26, v15, v8
	v_mov_b32_e32 v27, 0
	v_lshlrev_b64 v[26:27], 3, v[26:27]
	v_add_co_u32_e32 v26, vcc, v6, v26
	v_addc_co_u32_e32 v27, vcc, v7, v27, vcc
	global_store_dwordx2 v[26:27], v[59:60], off
	s_or_b64 exec, exec, s[42:43]
	s_and_saveexec_b64 s[42:43], s[10:11]
	s_cbranch_execz .LBB676_253
.LBB676_312:
	v_sub_u32_e32 v26, v14, v8
	v_mov_b32_e32 v27, 0
	v_lshlrev_b64 v[26:27], 3, v[26:27]
	v_add_co_u32_e32 v26, vcc, v6, v26
	v_addc_co_u32_e32 v27, vcc, v7, v27, vcc
	global_store_dwordx2 v[26:27], v[61:62], off
	s_or_b64 exec, exec, s[42:43]
	s_and_saveexec_b64 s[42:43], s[6:7]
	s_cbranch_execnz .LBB676_254
	s_branch .LBB676_255
.LBB676_313:
	v_sub_u32_e32 v9, v34, v8
	v_lshlrev_b32_e32 v9, 3, v9
	ds_write_b64 v9, v[63:64]
	s_or_b64 exec, exec, s[42:43]
	s_and_saveexec_b64 s[34:35], s[30:31]
	s_cbranch_execz .LBB676_259
.LBB676_314:
	v_sub_u32_e32 v9, v25, v8
	v_lshlrev_b32_e32 v9, 3, v9
	ds_write_b64 v9, v[39:40]
	s_or_b64 exec, exec, s[34:35]
	s_and_saveexec_b64 s[30:31], s[28:29]
	s_cbranch_execz .LBB676_260
.LBB676_315:
	v_sub_u32_e32 v9, v24, v8
	v_lshlrev_b32_e32 v9, 3, v9
	ds_write_b64 v9, v[41:42]
	s_or_b64 exec, exec, s[30:31]
	s_and_saveexec_b64 s[28:29], s[26:27]
	s_cbranch_execz .LBB676_261
.LBB676_316:
	v_sub_u32_e32 v9, v23, v8
	v_lshlrev_b32_e32 v9, 3, v9
	ds_write_b64 v9, v[43:44]
	s_or_b64 exec, exec, s[28:29]
	s_and_saveexec_b64 s[26:27], s[24:25]
	s_cbranch_execz .LBB676_262
.LBB676_317:
	v_sub_u32_e32 v9, v22, v8
	v_lshlrev_b32_e32 v9, 3, v9
	ds_write_b64 v9, v[45:46]
	s_or_b64 exec, exec, s[26:27]
	s_and_saveexec_b64 s[24:25], s[22:23]
	s_cbranch_execz .LBB676_263
.LBB676_318:
	v_sub_u32_e32 v9, v21, v8
	v_lshlrev_b32_e32 v9, 3, v9
	ds_write_b64 v9, v[47:48]
	s_or_b64 exec, exec, s[24:25]
	s_and_saveexec_b64 s[22:23], s[20:21]
	s_cbranch_execz .LBB676_264
.LBB676_319:
	v_sub_u32_e32 v9, v20, v8
	v_lshlrev_b32_e32 v9, 3, v9
	ds_write_b64 v9, v[49:50]
	s_or_b64 exec, exec, s[22:23]
	s_and_saveexec_b64 s[20:21], s[18:19]
	s_cbranch_execz .LBB676_265
.LBB676_320:
	v_sub_u32_e32 v9, v19, v8
	v_lshlrev_b32_e32 v9, 3, v9
	ds_write_b64 v9, v[51:52]
	s_or_b64 exec, exec, s[20:21]
	s_and_saveexec_b64 s[18:19], s[16:17]
	s_cbranch_execz .LBB676_266
.LBB676_321:
	v_sub_u32_e32 v9, v18, v8
	v_lshlrev_b32_e32 v9, 3, v9
	ds_write_b64 v9, v[53:54]
	s_or_b64 exec, exec, s[18:19]
	s_and_saveexec_b64 s[16:17], s[14:15]
	s_cbranch_execz .LBB676_267
.LBB676_322:
	v_sub_u32_e32 v9, v17, v8
	v_lshlrev_b32_e32 v9, 3, v9
	ds_write_b64 v9, v[55:56]
	s_or_b64 exec, exec, s[16:17]
	s_and_saveexec_b64 s[14:15], s[12:13]
	s_cbranch_execz .LBB676_268
.LBB676_323:
	v_sub_u32_e32 v9, v16, v8
	v_lshlrev_b32_e32 v9, 3, v9
	ds_write_b64 v9, v[57:58]
	s_or_b64 exec, exec, s[14:15]
	s_and_saveexec_b64 s[12:13], s[8:9]
	s_cbranch_execz .LBB676_269
.LBB676_324:
	v_sub_u32_e32 v9, v15, v8
	v_lshlrev_b32_e32 v9, 3, v9
	ds_write_b64 v9, v[59:60]
	s_or_b64 exec, exec, s[12:13]
	s_and_saveexec_b64 s[8:9], s[10:11]
	s_cbranch_execz .LBB676_270
.LBB676_325:
	v_sub_u32_e32 v9, v14, v8
	v_lshlrev_b32_e32 v9, 3, v9
	ds_write_b64 v9, v[61:62]
	s_or_b64 exec, exec, s[8:9]
	s_and_saveexec_b64 s[8:9], s[6:7]
	s_cbranch_execnz .LBB676_271
	s_branch .LBB676_272
	.section	.rodata,"a",@progbits
	.p2align	6, 0x0
	.amdhsa_kernel _ZN7rocprim17ROCPRIM_400000_NS6detail17trampoline_kernelINS0_14default_configENS1_29reduce_by_key_config_selectorIalN6thrust23THRUST_200600_302600_NS4plusIlEEEEZZNS1_33reduce_by_key_impl_wrapped_configILNS1_25lookback_scan_determinismE0ES3_S9_PaNS6_17constant_iteratorIiNS6_11use_defaultESE_EENS6_10device_ptrIaEENSG_IlEEPmS8_NS6_8equal_toIaEEEE10hipError_tPvRmT2_T3_mT4_T5_T6_T7_T8_P12ihipStream_tbENKUlT_T0_E_clISt17integral_constantIbLb0EES13_EEDaSY_SZ_EUlSY_E_NS1_11comp_targetILNS1_3genE2ELNS1_11target_archE906ELNS1_3gpuE6ELNS1_3repE0EEENS1_30default_config_static_selectorELNS0_4arch9wavefront6targetE1EEEvT1_
		.amdhsa_group_segment_fixed_size 30720
		.amdhsa_private_segment_fixed_size 64
		.amdhsa_kernarg_size 144
		.amdhsa_user_sgpr_count 6
		.amdhsa_user_sgpr_private_segment_buffer 1
		.amdhsa_user_sgpr_dispatch_ptr 0
		.amdhsa_user_sgpr_queue_ptr 0
		.amdhsa_user_sgpr_kernarg_segment_ptr 1
		.amdhsa_user_sgpr_dispatch_id 0
		.amdhsa_user_sgpr_flat_scratch_init 0
		.amdhsa_user_sgpr_private_segment_size 0
		.amdhsa_uses_dynamic_stack 0
		.amdhsa_system_sgpr_private_segment_wavefront_offset 1
		.amdhsa_system_sgpr_workgroup_id_x 1
		.amdhsa_system_sgpr_workgroup_id_y 0
		.amdhsa_system_sgpr_workgroup_id_z 0
		.amdhsa_system_sgpr_workgroup_info 0
		.amdhsa_system_vgpr_workitem_id 0
		.amdhsa_next_free_vgpr 115
		.amdhsa_next_free_sgpr 98
		.amdhsa_reserve_vcc 1
		.amdhsa_reserve_flat_scratch 0
		.amdhsa_float_round_mode_32 0
		.amdhsa_float_round_mode_16_64 0
		.amdhsa_float_denorm_mode_32 3
		.amdhsa_float_denorm_mode_16_64 3
		.amdhsa_dx10_clamp 1
		.amdhsa_ieee_mode 1
		.amdhsa_fp16_overflow 0
		.amdhsa_exception_fp_ieee_invalid_op 0
		.amdhsa_exception_fp_denorm_src 0
		.amdhsa_exception_fp_ieee_div_zero 0
		.amdhsa_exception_fp_ieee_overflow 0
		.amdhsa_exception_fp_ieee_underflow 0
		.amdhsa_exception_fp_ieee_inexact 0
		.amdhsa_exception_int_div_zero 0
	.end_amdhsa_kernel
	.section	.text._ZN7rocprim17ROCPRIM_400000_NS6detail17trampoline_kernelINS0_14default_configENS1_29reduce_by_key_config_selectorIalN6thrust23THRUST_200600_302600_NS4plusIlEEEEZZNS1_33reduce_by_key_impl_wrapped_configILNS1_25lookback_scan_determinismE0ES3_S9_PaNS6_17constant_iteratorIiNS6_11use_defaultESE_EENS6_10device_ptrIaEENSG_IlEEPmS8_NS6_8equal_toIaEEEE10hipError_tPvRmT2_T3_mT4_T5_T6_T7_T8_P12ihipStream_tbENKUlT_T0_E_clISt17integral_constantIbLb0EES13_EEDaSY_SZ_EUlSY_E_NS1_11comp_targetILNS1_3genE2ELNS1_11target_archE906ELNS1_3gpuE6ELNS1_3repE0EEENS1_30default_config_static_selectorELNS0_4arch9wavefront6targetE1EEEvT1_,"axG",@progbits,_ZN7rocprim17ROCPRIM_400000_NS6detail17trampoline_kernelINS0_14default_configENS1_29reduce_by_key_config_selectorIalN6thrust23THRUST_200600_302600_NS4plusIlEEEEZZNS1_33reduce_by_key_impl_wrapped_configILNS1_25lookback_scan_determinismE0ES3_S9_PaNS6_17constant_iteratorIiNS6_11use_defaultESE_EENS6_10device_ptrIaEENSG_IlEEPmS8_NS6_8equal_toIaEEEE10hipError_tPvRmT2_T3_mT4_T5_T6_T7_T8_P12ihipStream_tbENKUlT_T0_E_clISt17integral_constantIbLb0EES13_EEDaSY_SZ_EUlSY_E_NS1_11comp_targetILNS1_3genE2ELNS1_11target_archE906ELNS1_3gpuE6ELNS1_3repE0EEENS1_30default_config_static_selectorELNS0_4arch9wavefront6targetE1EEEvT1_,comdat
.Lfunc_end676:
	.size	_ZN7rocprim17ROCPRIM_400000_NS6detail17trampoline_kernelINS0_14default_configENS1_29reduce_by_key_config_selectorIalN6thrust23THRUST_200600_302600_NS4plusIlEEEEZZNS1_33reduce_by_key_impl_wrapped_configILNS1_25lookback_scan_determinismE0ES3_S9_PaNS6_17constant_iteratorIiNS6_11use_defaultESE_EENS6_10device_ptrIaEENSG_IlEEPmS8_NS6_8equal_toIaEEEE10hipError_tPvRmT2_T3_mT4_T5_T6_T7_T8_P12ihipStream_tbENKUlT_T0_E_clISt17integral_constantIbLb0EES13_EEDaSY_SZ_EUlSY_E_NS1_11comp_targetILNS1_3genE2ELNS1_11target_archE906ELNS1_3gpuE6ELNS1_3repE0EEENS1_30default_config_static_selectorELNS0_4arch9wavefront6targetE1EEEvT1_, .Lfunc_end676-_ZN7rocprim17ROCPRIM_400000_NS6detail17trampoline_kernelINS0_14default_configENS1_29reduce_by_key_config_selectorIalN6thrust23THRUST_200600_302600_NS4plusIlEEEEZZNS1_33reduce_by_key_impl_wrapped_configILNS1_25lookback_scan_determinismE0ES3_S9_PaNS6_17constant_iteratorIiNS6_11use_defaultESE_EENS6_10device_ptrIaEENSG_IlEEPmS8_NS6_8equal_toIaEEEE10hipError_tPvRmT2_T3_mT4_T5_T6_T7_T8_P12ihipStream_tbENKUlT_T0_E_clISt17integral_constantIbLb0EES13_EEDaSY_SZ_EUlSY_E_NS1_11comp_targetILNS1_3genE2ELNS1_11target_archE906ELNS1_3gpuE6ELNS1_3repE0EEENS1_30default_config_static_selectorELNS0_4arch9wavefront6targetE1EEEvT1_
                                        ; -- End function
	.set _ZN7rocprim17ROCPRIM_400000_NS6detail17trampoline_kernelINS0_14default_configENS1_29reduce_by_key_config_selectorIalN6thrust23THRUST_200600_302600_NS4plusIlEEEEZZNS1_33reduce_by_key_impl_wrapped_configILNS1_25lookback_scan_determinismE0ES3_S9_PaNS6_17constant_iteratorIiNS6_11use_defaultESE_EENS6_10device_ptrIaEENSG_IlEEPmS8_NS6_8equal_toIaEEEE10hipError_tPvRmT2_T3_mT4_T5_T6_T7_T8_P12ihipStream_tbENKUlT_T0_E_clISt17integral_constantIbLb0EES13_EEDaSY_SZ_EUlSY_E_NS1_11comp_targetILNS1_3genE2ELNS1_11target_archE906ELNS1_3gpuE6ELNS1_3repE0EEENS1_30default_config_static_selectorELNS0_4arch9wavefront6targetE1EEEvT1_.num_vgpr, 115
	.set _ZN7rocprim17ROCPRIM_400000_NS6detail17trampoline_kernelINS0_14default_configENS1_29reduce_by_key_config_selectorIalN6thrust23THRUST_200600_302600_NS4plusIlEEEEZZNS1_33reduce_by_key_impl_wrapped_configILNS1_25lookback_scan_determinismE0ES3_S9_PaNS6_17constant_iteratorIiNS6_11use_defaultESE_EENS6_10device_ptrIaEENSG_IlEEPmS8_NS6_8equal_toIaEEEE10hipError_tPvRmT2_T3_mT4_T5_T6_T7_T8_P12ihipStream_tbENKUlT_T0_E_clISt17integral_constantIbLb0EES13_EEDaSY_SZ_EUlSY_E_NS1_11comp_targetILNS1_3genE2ELNS1_11target_archE906ELNS1_3gpuE6ELNS1_3repE0EEENS1_30default_config_static_selectorELNS0_4arch9wavefront6targetE1EEEvT1_.num_agpr, 0
	.set _ZN7rocprim17ROCPRIM_400000_NS6detail17trampoline_kernelINS0_14default_configENS1_29reduce_by_key_config_selectorIalN6thrust23THRUST_200600_302600_NS4plusIlEEEEZZNS1_33reduce_by_key_impl_wrapped_configILNS1_25lookback_scan_determinismE0ES3_S9_PaNS6_17constant_iteratorIiNS6_11use_defaultESE_EENS6_10device_ptrIaEENSG_IlEEPmS8_NS6_8equal_toIaEEEE10hipError_tPvRmT2_T3_mT4_T5_T6_T7_T8_P12ihipStream_tbENKUlT_T0_E_clISt17integral_constantIbLb0EES13_EEDaSY_SZ_EUlSY_E_NS1_11comp_targetILNS1_3genE2ELNS1_11target_archE906ELNS1_3gpuE6ELNS1_3repE0EEENS1_30default_config_static_selectorELNS0_4arch9wavefront6targetE1EEEvT1_.numbered_sgpr, 66
	.set _ZN7rocprim17ROCPRIM_400000_NS6detail17trampoline_kernelINS0_14default_configENS1_29reduce_by_key_config_selectorIalN6thrust23THRUST_200600_302600_NS4plusIlEEEEZZNS1_33reduce_by_key_impl_wrapped_configILNS1_25lookback_scan_determinismE0ES3_S9_PaNS6_17constant_iteratorIiNS6_11use_defaultESE_EENS6_10device_ptrIaEENSG_IlEEPmS8_NS6_8equal_toIaEEEE10hipError_tPvRmT2_T3_mT4_T5_T6_T7_T8_P12ihipStream_tbENKUlT_T0_E_clISt17integral_constantIbLb0EES13_EEDaSY_SZ_EUlSY_E_NS1_11comp_targetILNS1_3genE2ELNS1_11target_archE906ELNS1_3gpuE6ELNS1_3repE0EEENS1_30default_config_static_selectorELNS0_4arch9wavefront6targetE1EEEvT1_.num_named_barrier, 0
	.set _ZN7rocprim17ROCPRIM_400000_NS6detail17trampoline_kernelINS0_14default_configENS1_29reduce_by_key_config_selectorIalN6thrust23THRUST_200600_302600_NS4plusIlEEEEZZNS1_33reduce_by_key_impl_wrapped_configILNS1_25lookback_scan_determinismE0ES3_S9_PaNS6_17constant_iteratorIiNS6_11use_defaultESE_EENS6_10device_ptrIaEENSG_IlEEPmS8_NS6_8equal_toIaEEEE10hipError_tPvRmT2_T3_mT4_T5_T6_T7_T8_P12ihipStream_tbENKUlT_T0_E_clISt17integral_constantIbLb0EES13_EEDaSY_SZ_EUlSY_E_NS1_11comp_targetILNS1_3genE2ELNS1_11target_archE906ELNS1_3gpuE6ELNS1_3repE0EEENS1_30default_config_static_selectorELNS0_4arch9wavefront6targetE1EEEvT1_.private_seg_size, 64
	.set _ZN7rocprim17ROCPRIM_400000_NS6detail17trampoline_kernelINS0_14default_configENS1_29reduce_by_key_config_selectorIalN6thrust23THRUST_200600_302600_NS4plusIlEEEEZZNS1_33reduce_by_key_impl_wrapped_configILNS1_25lookback_scan_determinismE0ES3_S9_PaNS6_17constant_iteratorIiNS6_11use_defaultESE_EENS6_10device_ptrIaEENSG_IlEEPmS8_NS6_8equal_toIaEEEE10hipError_tPvRmT2_T3_mT4_T5_T6_T7_T8_P12ihipStream_tbENKUlT_T0_E_clISt17integral_constantIbLb0EES13_EEDaSY_SZ_EUlSY_E_NS1_11comp_targetILNS1_3genE2ELNS1_11target_archE906ELNS1_3gpuE6ELNS1_3repE0EEENS1_30default_config_static_selectorELNS0_4arch9wavefront6targetE1EEEvT1_.uses_vcc, 1
	.set _ZN7rocprim17ROCPRIM_400000_NS6detail17trampoline_kernelINS0_14default_configENS1_29reduce_by_key_config_selectorIalN6thrust23THRUST_200600_302600_NS4plusIlEEEEZZNS1_33reduce_by_key_impl_wrapped_configILNS1_25lookback_scan_determinismE0ES3_S9_PaNS6_17constant_iteratorIiNS6_11use_defaultESE_EENS6_10device_ptrIaEENSG_IlEEPmS8_NS6_8equal_toIaEEEE10hipError_tPvRmT2_T3_mT4_T5_T6_T7_T8_P12ihipStream_tbENKUlT_T0_E_clISt17integral_constantIbLb0EES13_EEDaSY_SZ_EUlSY_E_NS1_11comp_targetILNS1_3genE2ELNS1_11target_archE906ELNS1_3gpuE6ELNS1_3repE0EEENS1_30default_config_static_selectorELNS0_4arch9wavefront6targetE1EEEvT1_.uses_flat_scratch, 0
	.set _ZN7rocprim17ROCPRIM_400000_NS6detail17trampoline_kernelINS0_14default_configENS1_29reduce_by_key_config_selectorIalN6thrust23THRUST_200600_302600_NS4plusIlEEEEZZNS1_33reduce_by_key_impl_wrapped_configILNS1_25lookback_scan_determinismE0ES3_S9_PaNS6_17constant_iteratorIiNS6_11use_defaultESE_EENS6_10device_ptrIaEENSG_IlEEPmS8_NS6_8equal_toIaEEEE10hipError_tPvRmT2_T3_mT4_T5_T6_T7_T8_P12ihipStream_tbENKUlT_T0_E_clISt17integral_constantIbLb0EES13_EEDaSY_SZ_EUlSY_E_NS1_11comp_targetILNS1_3genE2ELNS1_11target_archE906ELNS1_3gpuE6ELNS1_3repE0EEENS1_30default_config_static_selectorELNS0_4arch9wavefront6targetE1EEEvT1_.has_dyn_sized_stack, 0
	.set _ZN7rocprim17ROCPRIM_400000_NS6detail17trampoline_kernelINS0_14default_configENS1_29reduce_by_key_config_selectorIalN6thrust23THRUST_200600_302600_NS4plusIlEEEEZZNS1_33reduce_by_key_impl_wrapped_configILNS1_25lookback_scan_determinismE0ES3_S9_PaNS6_17constant_iteratorIiNS6_11use_defaultESE_EENS6_10device_ptrIaEENSG_IlEEPmS8_NS6_8equal_toIaEEEE10hipError_tPvRmT2_T3_mT4_T5_T6_T7_T8_P12ihipStream_tbENKUlT_T0_E_clISt17integral_constantIbLb0EES13_EEDaSY_SZ_EUlSY_E_NS1_11comp_targetILNS1_3genE2ELNS1_11target_archE906ELNS1_3gpuE6ELNS1_3repE0EEENS1_30default_config_static_selectorELNS0_4arch9wavefront6targetE1EEEvT1_.has_recursion, 0
	.set _ZN7rocprim17ROCPRIM_400000_NS6detail17trampoline_kernelINS0_14default_configENS1_29reduce_by_key_config_selectorIalN6thrust23THRUST_200600_302600_NS4plusIlEEEEZZNS1_33reduce_by_key_impl_wrapped_configILNS1_25lookback_scan_determinismE0ES3_S9_PaNS6_17constant_iteratorIiNS6_11use_defaultESE_EENS6_10device_ptrIaEENSG_IlEEPmS8_NS6_8equal_toIaEEEE10hipError_tPvRmT2_T3_mT4_T5_T6_T7_T8_P12ihipStream_tbENKUlT_T0_E_clISt17integral_constantIbLb0EES13_EEDaSY_SZ_EUlSY_E_NS1_11comp_targetILNS1_3genE2ELNS1_11target_archE906ELNS1_3gpuE6ELNS1_3repE0EEENS1_30default_config_static_selectorELNS0_4arch9wavefront6targetE1EEEvT1_.has_indirect_call, 0
	.section	.AMDGPU.csdata,"",@progbits
; Kernel info:
; codeLenInByte = 16936
; TotalNumSgprs: 70
; NumVgprs: 115
; ScratchSize: 64
; MemoryBound: 0
; FloatMode: 240
; IeeeMode: 1
; LDSByteSize: 30720 bytes/workgroup (compile time only)
; SGPRBlocks: 12
; VGPRBlocks: 28
; NumSGPRsForWavesPerEU: 102
; NumVGPRsForWavesPerEU: 115
; Occupancy: 2
; WaveLimiterHint : 1
; COMPUTE_PGM_RSRC2:SCRATCH_EN: 1
; COMPUTE_PGM_RSRC2:USER_SGPR: 6
; COMPUTE_PGM_RSRC2:TRAP_HANDLER: 0
; COMPUTE_PGM_RSRC2:TGID_X_EN: 1
; COMPUTE_PGM_RSRC2:TGID_Y_EN: 0
; COMPUTE_PGM_RSRC2:TGID_Z_EN: 0
; COMPUTE_PGM_RSRC2:TIDIG_COMP_CNT: 0
	.section	.text._ZN7rocprim17ROCPRIM_400000_NS6detail17trampoline_kernelINS0_14default_configENS1_29reduce_by_key_config_selectorIalN6thrust23THRUST_200600_302600_NS4plusIlEEEEZZNS1_33reduce_by_key_impl_wrapped_configILNS1_25lookback_scan_determinismE0ES3_S9_PaNS6_17constant_iteratorIiNS6_11use_defaultESE_EENS6_10device_ptrIaEENSG_IlEEPmS8_NS6_8equal_toIaEEEE10hipError_tPvRmT2_T3_mT4_T5_T6_T7_T8_P12ihipStream_tbENKUlT_T0_E_clISt17integral_constantIbLb0EES13_EEDaSY_SZ_EUlSY_E_NS1_11comp_targetILNS1_3genE10ELNS1_11target_archE1201ELNS1_3gpuE5ELNS1_3repE0EEENS1_30default_config_static_selectorELNS0_4arch9wavefront6targetE1EEEvT1_,"axG",@progbits,_ZN7rocprim17ROCPRIM_400000_NS6detail17trampoline_kernelINS0_14default_configENS1_29reduce_by_key_config_selectorIalN6thrust23THRUST_200600_302600_NS4plusIlEEEEZZNS1_33reduce_by_key_impl_wrapped_configILNS1_25lookback_scan_determinismE0ES3_S9_PaNS6_17constant_iteratorIiNS6_11use_defaultESE_EENS6_10device_ptrIaEENSG_IlEEPmS8_NS6_8equal_toIaEEEE10hipError_tPvRmT2_T3_mT4_T5_T6_T7_T8_P12ihipStream_tbENKUlT_T0_E_clISt17integral_constantIbLb0EES13_EEDaSY_SZ_EUlSY_E_NS1_11comp_targetILNS1_3genE10ELNS1_11target_archE1201ELNS1_3gpuE5ELNS1_3repE0EEENS1_30default_config_static_selectorELNS0_4arch9wavefront6targetE1EEEvT1_,comdat
	.protected	_ZN7rocprim17ROCPRIM_400000_NS6detail17trampoline_kernelINS0_14default_configENS1_29reduce_by_key_config_selectorIalN6thrust23THRUST_200600_302600_NS4plusIlEEEEZZNS1_33reduce_by_key_impl_wrapped_configILNS1_25lookback_scan_determinismE0ES3_S9_PaNS6_17constant_iteratorIiNS6_11use_defaultESE_EENS6_10device_ptrIaEENSG_IlEEPmS8_NS6_8equal_toIaEEEE10hipError_tPvRmT2_T3_mT4_T5_T6_T7_T8_P12ihipStream_tbENKUlT_T0_E_clISt17integral_constantIbLb0EES13_EEDaSY_SZ_EUlSY_E_NS1_11comp_targetILNS1_3genE10ELNS1_11target_archE1201ELNS1_3gpuE5ELNS1_3repE0EEENS1_30default_config_static_selectorELNS0_4arch9wavefront6targetE1EEEvT1_ ; -- Begin function _ZN7rocprim17ROCPRIM_400000_NS6detail17trampoline_kernelINS0_14default_configENS1_29reduce_by_key_config_selectorIalN6thrust23THRUST_200600_302600_NS4plusIlEEEEZZNS1_33reduce_by_key_impl_wrapped_configILNS1_25lookback_scan_determinismE0ES3_S9_PaNS6_17constant_iteratorIiNS6_11use_defaultESE_EENS6_10device_ptrIaEENSG_IlEEPmS8_NS6_8equal_toIaEEEE10hipError_tPvRmT2_T3_mT4_T5_T6_T7_T8_P12ihipStream_tbENKUlT_T0_E_clISt17integral_constantIbLb0EES13_EEDaSY_SZ_EUlSY_E_NS1_11comp_targetILNS1_3genE10ELNS1_11target_archE1201ELNS1_3gpuE5ELNS1_3repE0EEENS1_30default_config_static_selectorELNS0_4arch9wavefront6targetE1EEEvT1_
	.globl	_ZN7rocprim17ROCPRIM_400000_NS6detail17trampoline_kernelINS0_14default_configENS1_29reduce_by_key_config_selectorIalN6thrust23THRUST_200600_302600_NS4plusIlEEEEZZNS1_33reduce_by_key_impl_wrapped_configILNS1_25lookback_scan_determinismE0ES3_S9_PaNS6_17constant_iteratorIiNS6_11use_defaultESE_EENS6_10device_ptrIaEENSG_IlEEPmS8_NS6_8equal_toIaEEEE10hipError_tPvRmT2_T3_mT4_T5_T6_T7_T8_P12ihipStream_tbENKUlT_T0_E_clISt17integral_constantIbLb0EES13_EEDaSY_SZ_EUlSY_E_NS1_11comp_targetILNS1_3genE10ELNS1_11target_archE1201ELNS1_3gpuE5ELNS1_3repE0EEENS1_30default_config_static_selectorELNS0_4arch9wavefront6targetE1EEEvT1_
	.p2align	8
	.type	_ZN7rocprim17ROCPRIM_400000_NS6detail17trampoline_kernelINS0_14default_configENS1_29reduce_by_key_config_selectorIalN6thrust23THRUST_200600_302600_NS4plusIlEEEEZZNS1_33reduce_by_key_impl_wrapped_configILNS1_25lookback_scan_determinismE0ES3_S9_PaNS6_17constant_iteratorIiNS6_11use_defaultESE_EENS6_10device_ptrIaEENSG_IlEEPmS8_NS6_8equal_toIaEEEE10hipError_tPvRmT2_T3_mT4_T5_T6_T7_T8_P12ihipStream_tbENKUlT_T0_E_clISt17integral_constantIbLb0EES13_EEDaSY_SZ_EUlSY_E_NS1_11comp_targetILNS1_3genE10ELNS1_11target_archE1201ELNS1_3gpuE5ELNS1_3repE0EEENS1_30default_config_static_selectorELNS0_4arch9wavefront6targetE1EEEvT1_,@function
_ZN7rocprim17ROCPRIM_400000_NS6detail17trampoline_kernelINS0_14default_configENS1_29reduce_by_key_config_selectorIalN6thrust23THRUST_200600_302600_NS4plusIlEEEEZZNS1_33reduce_by_key_impl_wrapped_configILNS1_25lookback_scan_determinismE0ES3_S9_PaNS6_17constant_iteratorIiNS6_11use_defaultESE_EENS6_10device_ptrIaEENSG_IlEEPmS8_NS6_8equal_toIaEEEE10hipError_tPvRmT2_T3_mT4_T5_T6_T7_T8_P12ihipStream_tbENKUlT_T0_E_clISt17integral_constantIbLb0EES13_EEDaSY_SZ_EUlSY_E_NS1_11comp_targetILNS1_3genE10ELNS1_11target_archE1201ELNS1_3gpuE5ELNS1_3repE0EEENS1_30default_config_static_selectorELNS0_4arch9wavefront6targetE1EEEvT1_: ; @_ZN7rocprim17ROCPRIM_400000_NS6detail17trampoline_kernelINS0_14default_configENS1_29reduce_by_key_config_selectorIalN6thrust23THRUST_200600_302600_NS4plusIlEEEEZZNS1_33reduce_by_key_impl_wrapped_configILNS1_25lookback_scan_determinismE0ES3_S9_PaNS6_17constant_iteratorIiNS6_11use_defaultESE_EENS6_10device_ptrIaEENSG_IlEEPmS8_NS6_8equal_toIaEEEE10hipError_tPvRmT2_T3_mT4_T5_T6_T7_T8_P12ihipStream_tbENKUlT_T0_E_clISt17integral_constantIbLb0EES13_EEDaSY_SZ_EUlSY_E_NS1_11comp_targetILNS1_3genE10ELNS1_11target_archE1201ELNS1_3gpuE5ELNS1_3repE0EEENS1_30default_config_static_selectorELNS0_4arch9wavefront6targetE1EEEvT1_
; %bb.0:
	.section	.rodata,"a",@progbits
	.p2align	6, 0x0
	.amdhsa_kernel _ZN7rocprim17ROCPRIM_400000_NS6detail17trampoline_kernelINS0_14default_configENS1_29reduce_by_key_config_selectorIalN6thrust23THRUST_200600_302600_NS4plusIlEEEEZZNS1_33reduce_by_key_impl_wrapped_configILNS1_25lookback_scan_determinismE0ES3_S9_PaNS6_17constant_iteratorIiNS6_11use_defaultESE_EENS6_10device_ptrIaEENSG_IlEEPmS8_NS6_8equal_toIaEEEE10hipError_tPvRmT2_T3_mT4_T5_T6_T7_T8_P12ihipStream_tbENKUlT_T0_E_clISt17integral_constantIbLb0EES13_EEDaSY_SZ_EUlSY_E_NS1_11comp_targetILNS1_3genE10ELNS1_11target_archE1201ELNS1_3gpuE5ELNS1_3repE0EEENS1_30default_config_static_selectorELNS0_4arch9wavefront6targetE1EEEvT1_
		.amdhsa_group_segment_fixed_size 0
		.amdhsa_private_segment_fixed_size 0
		.amdhsa_kernarg_size 144
		.amdhsa_user_sgpr_count 6
		.amdhsa_user_sgpr_private_segment_buffer 1
		.amdhsa_user_sgpr_dispatch_ptr 0
		.amdhsa_user_sgpr_queue_ptr 0
		.amdhsa_user_sgpr_kernarg_segment_ptr 1
		.amdhsa_user_sgpr_dispatch_id 0
		.amdhsa_user_sgpr_flat_scratch_init 0
		.amdhsa_user_sgpr_private_segment_size 0
		.amdhsa_uses_dynamic_stack 0
		.amdhsa_system_sgpr_private_segment_wavefront_offset 0
		.amdhsa_system_sgpr_workgroup_id_x 1
		.amdhsa_system_sgpr_workgroup_id_y 0
		.amdhsa_system_sgpr_workgroup_id_z 0
		.amdhsa_system_sgpr_workgroup_info 0
		.amdhsa_system_vgpr_workitem_id 0
		.amdhsa_next_free_vgpr 1
		.amdhsa_next_free_sgpr 0
		.amdhsa_reserve_vcc 0
		.amdhsa_reserve_flat_scratch 0
		.amdhsa_float_round_mode_32 0
		.amdhsa_float_round_mode_16_64 0
		.amdhsa_float_denorm_mode_32 3
		.amdhsa_float_denorm_mode_16_64 3
		.amdhsa_dx10_clamp 1
		.amdhsa_ieee_mode 1
		.amdhsa_fp16_overflow 0
		.amdhsa_exception_fp_ieee_invalid_op 0
		.amdhsa_exception_fp_denorm_src 0
		.amdhsa_exception_fp_ieee_div_zero 0
		.amdhsa_exception_fp_ieee_overflow 0
		.amdhsa_exception_fp_ieee_underflow 0
		.amdhsa_exception_fp_ieee_inexact 0
		.amdhsa_exception_int_div_zero 0
	.end_amdhsa_kernel
	.section	.text._ZN7rocprim17ROCPRIM_400000_NS6detail17trampoline_kernelINS0_14default_configENS1_29reduce_by_key_config_selectorIalN6thrust23THRUST_200600_302600_NS4plusIlEEEEZZNS1_33reduce_by_key_impl_wrapped_configILNS1_25lookback_scan_determinismE0ES3_S9_PaNS6_17constant_iteratorIiNS6_11use_defaultESE_EENS6_10device_ptrIaEENSG_IlEEPmS8_NS6_8equal_toIaEEEE10hipError_tPvRmT2_T3_mT4_T5_T6_T7_T8_P12ihipStream_tbENKUlT_T0_E_clISt17integral_constantIbLb0EES13_EEDaSY_SZ_EUlSY_E_NS1_11comp_targetILNS1_3genE10ELNS1_11target_archE1201ELNS1_3gpuE5ELNS1_3repE0EEENS1_30default_config_static_selectorELNS0_4arch9wavefront6targetE1EEEvT1_,"axG",@progbits,_ZN7rocprim17ROCPRIM_400000_NS6detail17trampoline_kernelINS0_14default_configENS1_29reduce_by_key_config_selectorIalN6thrust23THRUST_200600_302600_NS4plusIlEEEEZZNS1_33reduce_by_key_impl_wrapped_configILNS1_25lookback_scan_determinismE0ES3_S9_PaNS6_17constant_iteratorIiNS6_11use_defaultESE_EENS6_10device_ptrIaEENSG_IlEEPmS8_NS6_8equal_toIaEEEE10hipError_tPvRmT2_T3_mT4_T5_T6_T7_T8_P12ihipStream_tbENKUlT_T0_E_clISt17integral_constantIbLb0EES13_EEDaSY_SZ_EUlSY_E_NS1_11comp_targetILNS1_3genE10ELNS1_11target_archE1201ELNS1_3gpuE5ELNS1_3repE0EEENS1_30default_config_static_selectorELNS0_4arch9wavefront6targetE1EEEvT1_,comdat
.Lfunc_end677:
	.size	_ZN7rocprim17ROCPRIM_400000_NS6detail17trampoline_kernelINS0_14default_configENS1_29reduce_by_key_config_selectorIalN6thrust23THRUST_200600_302600_NS4plusIlEEEEZZNS1_33reduce_by_key_impl_wrapped_configILNS1_25lookback_scan_determinismE0ES3_S9_PaNS6_17constant_iteratorIiNS6_11use_defaultESE_EENS6_10device_ptrIaEENSG_IlEEPmS8_NS6_8equal_toIaEEEE10hipError_tPvRmT2_T3_mT4_T5_T6_T7_T8_P12ihipStream_tbENKUlT_T0_E_clISt17integral_constantIbLb0EES13_EEDaSY_SZ_EUlSY_E_NS1_11comp_targetILNS1_3genE10ELNS1_11target_archE1201ELNS1_3gpuE5ELNS1_3repE0EEENS1_30default_config_static_selectorELNS0_4arch9wavefront6targetE1EEEvT1_, .Lfunc_end677-_ZN7rocprim17ROCPRIM_400000_NS6detail17trampoline_kernelINS0_14default_configENS1_29reduce_by_key_config_selectorIalN6thrust23THRUST_200600_302600_NS4plusIlEEEEZZNS1_33reduce_by_key_impl_wrapped_configILNS1_25lookback_scan_determinismE0ES3_S9_PaNS6_17constant_iteratorIiNS6_11use_defaultESE_EENS6_10device_ptrIaEENSG_IlEEPmS8_NS6_8equal_toIaEEEE10hipError_tPvRmT2_T3_mT4_T5_T6_T7_T8_P12ihipStream_tbENKUlT_T0_E_clISt17integral_constantIbLb0EES13_EEDaSY_SZ_EUlSY_E_NS1_11comp_targetILNS1_3genE10ELNS1_11target_archE1201ELNS1_3gpuE5ELNS1_3repE0EEENS1_30default_config_static_selectorELNS0_4arch9wavefront6targetE1EEEvT1_
                                        ; -- End function
	.set _ZN7rocprim17ROCPRIM_400000_NS6detail17trampoline_kernelINS0_14default_configENS1_29reduce_by_key_config_selectorIalN6thrust23THRUST_200600_302600_NS4plusIlEEEEZZNS1_33reduce_by_key_impl_wrapped_configILNS1_25lookback_scan_determinismE0ES3_S9_PaNS6_17constant_iteratorIiNS6_11use_defaultESE_EENS6_10device_ptrIaEENSG_IlEEPmS8_NS6_8equal_toIaEEEE10hipError_tPvRmT2_T3_mT4_T5_T6_T7_T8_P12ihipStream_tbENKUlT_T0_E_clISt17integral_constantIbLb0EES13_EEDaSY_SZ_EUlSY_E_NS1_11comp_targetILNS1_3genE10ELNS1_11target_archE1201ELNS1_3gpuE5ELNS1_3repE0EEENS1_30default_config_static_selectorELNS0_4arch9wavefront6targetE1EEEvT1_.num_vgpr, 0
	.set _ZN7rocprim17ROCPRIM_400000_NS6detail17trampoline_kernelINS0_14default_configENS1_29reduce_by_key_config_selectorIalN6thrust23THRUST_200600_302600_NS4plusIlEEEEZZNS1_33reduce_by_key_impl_wrapped_configILNS1_25lookback_scan_determinismE0ES3_S9_PaNS6_17constant_iteratorIiNS6_11use_defaultESE_EENS6_10device_ptrIaEENSG_IlEEPmS8_NS6_8equal_toIaEEEE10hipError_tPvRmT2_T3_mT4_T5_T6_T7_T8_P12ihipStream_tbENKUlT_T0_E_clISt17integral_constantIbLb0EES13_EEDaSY_SZ_EUlSY_E_NS1_11comp_targetILNS1_3genE10ELNS1_11target_archE1201ELNS1_3gpuE5ELNS1_3repE0EEENS1_30default_config_static_selectorELNS0_4arch9wavefront6targetE1EEEvT1_.num_agpr, 0
	.set _ZN7rocprim17ROCPRIM_400000_NS6detail17trampoline_kernelINS0_14default_configENS1_29reduce_by_key_config_selectorIalN6thrust23THRUST_200600_302600_NS4plusIlEEEEZZNS1_33reduce_by_key_impl_wrapped_configILNS1_25lookback_scan_determinismE0ES3_S9_PaNS6_17constant_iteratorIiNS6_11use_defaultESE_EENS6_10device_ptrIaEENSG_IlEEPmS8_NS6_8equal_toIaEEEE10hipError_tPvRmT2_T3_mT4_T5_T6_T7_T8_P12ihipStream_tbENKUlT_T0_E_clISt17integral_constantIbLb0EES13_EEDaSY_SZ_EUlSY_E_NS1_11comp_targetILNS1_3genE10ELNS1_11target_archE1201ELNS1_3gpuE5ELNS1_3repE0EEENS1_30default_config_static_selectorELNS0_4arch9wavefront6targetE1EEEvT1_.numbered_sgpr, 0
	.set _ZN7rocprim17ROCPRIM_400000_NS6detail17trampoline_kernelINS0_14default_configENS1_29reduce_by_key_config_selectorIalN6thrust23THRUST_200600_302600_NS4plusIlEEEEZZNS1_33reduce_by_key_impl_wrapped_configILNS1_25lookback_scan_determinismE0ES3_S9_PaNS6_17constant_iteratorIiNS6_11use_defaultESE_EENS6_10device_ptrIaEENSG_IlEEPmS8_NS6_8equal_toIaEEEE10hipError_tPvRmT2_T3_mT4_T5_T6_T7_T8_P12ihipStream_tbENKUlT_T0_E_clISt17integral_constantIbLb0EES13_EEDaSY_SZ_EUlSY_E_NS1_11comp_targetILNS1_3genE10ELNS1_11target_archE1201ELNS1_3gpuE5ELNS1_3repE0EEENS1_30default_config_static_selectorELNS0_4arch9wavefront6targetE1EEEvT1_.num_named_barrier, 0
	.set _ZN7rocprim17ROCPRIM_400000_NS6detail17trampoline_kernelINS0_14default_configENS1_29reduce_by_key_config_selectorIalN6thrust23THRUST_200600_302600_NS4plusIlEEEEZZNS1_33reduce_by_key_impl_wrapped_configILNS1_25lookback_scan_determinismE0ES3_S9_PaNS6_17constant_iteratorIiNS6_11use_defaultESE_EENS6_10device_ptrIaEENSG_IlEEPmS8_NS6_8equal_toIaEEEE10hipError_tPvRmT2_T3_mT4_T5_T6_T7_T8_P12ihipStream_tbENKUlT_T0_E_clISt17integral_constantIbLb0EES13_EEDaSY_SZ_EUlSY_E_NS1_11comp_targetILNS1_3genE10ELNS1_11target_archE1201ELNS1_3gpuE5ELNS1_3repE0EEENS1_30default_config_static_selectorELNS0_4arch9wavefront6targetE1EEEvT1_.private_seg_size, 0
	.set _ZN7rocprim17ROCPRIM_400000_NS6detail17trampoline_kernelINS0_14default_configENS1_29reduce_by_key_config_selectorIalN6thrust23THRUST_200600_302600_NS4plusIlEEEEZZNS1_33reduce_by_key_impl_wrapped_configILNS1_25lookback_scan_determinismE0ES3_S9_PaNS6_17constant_iteratorIiNS6_11use_defaultESE_EENS6_10device_ptrIaEENSG_IlEEPmS8_NS6_8equal_toIaEEEE10hipError_tPvRmT2_T3_mT4_T5_T6_T7_T8_P12ihipStream_tbENKUlT_T0_E_clISt17integral_constantIbLb0EES13_EEDaSY_SZ_EUlSY_E_NS1_11comp_targetILNS1_3genE10ELNS1_11target_archE1201ELNS1_3gpuE5ELNS1_3repE0EEENS1_30default_config_static_selectorELNS0_4arch9wavefront6targetE1EEEvT1_.uses_vcc, 0
	.set _ZN7rocprim17ROCPRIM_400000_NS6detail17trampoline_kernelINS0_14default_configENS1_29reduce_by_key_config_selectorIalN6thrust23THRUST_200600_302600_NS4plusIlEEEEZZNS1_33reduce_by_key_impl_wrapped_configILNS1_25lookback_scan_determinismE0ES3_S9_PaNS6_17constant_iteratorIiNS6_11use_defaultESE_EENS6_10device_ptrIaEENSG_IlEEPmS8_NS6_8equal_toIaEEEE10hipError_tPvRmT2_T3_mT4_T5_T6_T7_T8_P12ihipStream_tbENKUlT_T0_E_clISt17integral_constantIbLb0EES13_EEDaSY_SZ_EUlSY_E_NS1_11comp_targetILNS1_3genE10ELNS1_11target_archE1201ELNS1_3gpuE5ELNS1_3repE0EEENS1_30default_config_static_selectorELNS0_4arch9wavefront6targetE1EEEvT1_.uses_flat_scratch, 0
	.set _ZN7rocprim17ROCPRIM_400000_NS6detail17trampoline_kernelINS0_14default_configENS1_29reduce_by_key_config_selectorIalN6thrust23THRUST_200600_302600_NS4plusIlEEEEZZNS1_33reduce_by_key_impl_wrapped_configILNS1_25lookback_scan_determinismE0ES3_S9_PaNS6_17constant_iteratorIiNS6_11use_defaultESE_EENS6_10device_ptrIaEENSG_IlEEPmS8_NS6_8equal_toIaEEEE10hipError_tPvRmT2_T3_mT4_T5_T6_T7_T8_P12ihipStream_tbENKUlT_T0_E_clISt17integral_constantIbLb0EES13_EEDaSY_SZ_EUlSY_E_NS1_11comp_targetILNS1_3genE10ELNS1_11target_archE1201ELNS1_3gpuE5ELNS1_3repE0EEENS1_30default_config_static_selectorELNS0_4arch9wavefront6targetE1EEEvT1_.has_dyn_sized_stack, 0
	.set _ZN7rocprim17ROCPRIM_400000_NS6detail17trampoline_kernelINS0_14default_configENS1_29reduce_by_key_config_selectorIalN6thrust23THRUST_200600_302600_NS4plusIlEEEEZZNS1_33reduce_by_key_impl_wrapped_configILNS1_25lookback_scan_determinismE0ES3_S9_PaNS6_17constant_iteratorIiNS6_11use_defaultESE_EENS6_10device_ptrIaEENSG_IlEEPmS8_NS6_8equal_toIaEEEE10hipError_tPvRmT2_T3_mT4_T5_T6_T7_T8_P12ihipStream_tbENKUlT_T0_E_clISt17integral_constantIbLb0EES13_EEDaSY_SZ_EUlSY_E_NS1_11comp_targetILNS1_3genE10ELNS1_11target_archE1201ELNS1_3gpuE5ELNS1_3repE0EEENS1_30default_config_static_selectorELNS0_4arch9wavefront6targetE1EEEvT1_.has_recursion, 0
	.set _ZN7rocprim17ROCPRIM_400000_NS6detail17trampoline_kernelINS0_14default_configENS1_29reduce_by_key_config_selectorIalN6thrust23THRUST_200600_302600_NS4plusIlEEEEZZNS1_33reduce_by_key_impl_wrapped_configILNS1_25lookback_scan_determinismE0ES3_S9_PaNS6_17constant_iteratorIiNS6_11use_defaultESE_EENS6_10device_ptrIaEENSG_IlEEPmS8_NS6_8equal_toIaEEEE10hipError_tPvRmT2_T3_mT4_T5_T6_T7_T8_P12ihipStream_tbENKUlT_T0_E_clISt17integral_constantIbLb0EES13_EEDaSY_SZ_EUlSY_E_NS1_11comp_targetILNS1_3genE10ELNS1_11target_archE1201ELNS1_3gpuE5ELNS1_3repE0EEENS1_30default_config_static_selectorELNS0_4arch9wavefront6targetE1EEEvT1_.has_indirect_call, 0
	.section	.AMDGPU.csdata,"",@progbits
; Kernel info:
; codeLenInByte = 0
; TotalNumSgprs: 4
; NumVgprs: 0
; ScratchSize: 0
; MemoryBound: 0
; FloatMode: 240
; IeeeMode: 1
; LDSByteSize: 0 bytes/workgroup (compile time only)
; SGPRBlocks: 0
; VGPRBlocks: 0
; NumSGPRsForWavesPerEU: 4
; NumVGPRsForWavesPerEU: 1
; Occupancy: 10
; WaveLimiterHint : 0
; COMPUTE_PGM_RSRC2:SCRATCH_EN: 0
; COMPUTE_PGM_RSRC2:USER_SGPR: 6
; COMPUTE_PGM_RSRC2:TRAP_HANDLER: 0
; COMPUTE_PGM_RSRC2:TGID_X_EN: 1
; COMPUTE_PGM_RSRC2:TGID_Y_EN: 0
; COMPUTE_PGM_RSRC2:TGID_Z_EN: 0
; COMPUTE_PGM_RSRC2:TIDIG_COMP_CNT: 0
	.section	.text._ZN7rocprim17ROCPRIM_400000_NS6detail17trampoline_kernelINS0_14default_configENS1_29reduce_by_key_config_selectorIalN6thrust23THRUST_200600_302600_NS4plusIlEEEEZZNS1_33reduce_by_key_impl_wrapped_configILNS1_25lookback_scan_determinismE0ES3_S9_PaNS6_17constant_iteratorIiNS6_11use_defaultESE_EENS6_10device_ptrIaEENSG_IlEEPmS8_NS6_8equal_toIaEEEE10hipError_tPvRmT2_T3_mT4_T5_T6_T7_T8_P12ihipStream_tbENKUlT_T0_E_clISt17integral_constantIbLb0EES13_EEDaSY_SZ_EUlSY_E_NS1_11comp_targetILNS1_3genE10ELNS1_11target_archE1200ELNS1_3gpuE4ELNS1_3repE0EEENS1_30default_config_static_selectorELNS0_4arch9wavefront6targetE1EEEvT1_,"axG",@progbits,_ZN7rocprim17ROCPRIM_400000_NS6detail17trampoline_kernelINS0_14default_configENS1_29reduce_by_key_config_selectorIalN6thrust23THRUST_200600_302600_NS4plusIlEEEEZZNS1_33reduce_by_key_impl_wrapped_configILNS1_25lookback_scan_determinismE0ES3_S9_PaNS6_17constant_iteratorIiNS6_11use_defaultESE_EENS6_10device_ptrIaEENSG_IlEEPmS8_NS6_8equal_toIaEEEE10hipError_tPvRmT2_T3_mT4_T5_T6_T7_T8_P12ihipStream_tbENKUlT_T0_E_clISt17integral_constantIbLb0EES13_EEDaSY_SZ_EUlSY_E_NS1_11comp_targetILNS1_3genE10ELNS1_11target_archE1200ELNS1_3gpuE4ELNS1_3repE0EEENS1_30default_config_static_selectorELNS0_4arch9wavefront6targetE1EEEvT1_,comdat
	.protected	_ZN7rocprim17ROCPRIM_400000_NS6detail17trampoline_kernelINS0_14default_configENS1_29reduce_by_key_config_selectorIalN6thrust23THRUST_200600_302600_NS4plusIlEEEEZZNS1_33reduce_by_key_impl_wrapped_configILNS1_25lookback_scan_determinismE0ES3_S9_PaNS6_17constant_iteratorIiNS6_11use_defaultESE_EENS6_10device_ptrIaEENSG_IlEEPmS8_NS6_8equal_toIaEEEE10hipError_tPvRmT2_T3_mT4_T5_T6_T7_T8_P12ihipStream_tbENKUlT_T0_E_clISt17integral_constantIbLb0EES13_EEDaSY_SZ_EUlSY_E_NS1_11comp_targetILNS1_3genE10ELNS1_11target_archE1200ELNS1_3gpuE4ELNS1_3repE0EEENS1_30default_config_static_selectorELNS0_4arch9wavefront6targetE1EEEvT1_ ; -- Begin function _ZN7rocprim17ROCPRIM_400000_NS6detail17trampoline_kernelINS0_14default_configENS1_29reduce_by_key_config_selectorIalN6thrust23THRUST_200600_302600_NS4plusIlEEEEZZNS1_33reduce_by_key_impl_wrapped_configILNS1_25lookback_scan_determinismE0ES3_S9_PaNS6_17constant_iteratorIiNS6_11use_defaultESE_EENS6_10device_ptrIaEENSG_IlEEPmS8_NS6_8equal_toIaEEEE10hipError_tPvRmT2_T3_mT4_T5_T6_T7_T8_P12ihipStream_tbENKUlT_T0_E_clISt17integral_constantIbLb0EES13_EEDaSY_SZ_EUlSY_E_NS1_11comp_targetILNS1_3genE10ELNS1_11target_archE1200ELNS1_3gpuE4ELNS1_3repE0EEENS1_30default_config_static_selectorELNS0_4arch9wavefront6targetE1EEEvT1_
	.globl	_ZN7rocprim17ROCPRIM_400000_NS6detail17trampoline_kernelINS0_14default_configENS1_29reduce_by_key_config_selectorIalN6thrust23THRUST_200600_302600_NS4plusIlEEEEZZNS1_33reduce_by_key_impl_wrapped_configILNS1_25lookback_scan_determinismE0ES3_S9_PaNS6_17constant_iteratorIiNS6_11use_defaultESE_EENS6_10device_ptrIaEENSG_IlEEPmS8_NS6_8equal_toIaEEEE10hipError_tPvRmT2_T3_mT4_T5_T6_T7_T8_P12ihipStream_tbENKUlT_T0_E_clISt17integral_constantIbLb0EES13_EEDaSY_SZ_EUlSY_E_NS1_11comp_targetILNS1_3genE10ELNS1_11target_archE1200ELNS1_3gpuE4ELNS1_3repE0EEENS1_30default_config_static_selectorELNS0_4arch9wavefront6targetE1EEEvT1_
	.p2align	8
	.type	_ZN7rocprim17ROCPRIM_400000_NS6detail17trampoline_kernelINS0_14default_configENS1_29reduce_by_key_config_selectorIalN6thrust23THRUST_200600_302600_NS4plusIlEEEEZZNS1_33reduce_by_key_impl_wrapped_configILNS1_25lookback_scan_determinismE0ES3_S9_PaNS6_17constant_iteratorIiNS6_11use_defaultESE_EENS6_10device_ptrIaEENSG_IlEEPmS8_NS6_8equal_toIaEEEE10hipError_tPvRmT2_T3_mT4_T5_T6_T7_T8_P12ihipStream_tbENKUlT_T0_E_clISt17integral_constantIbLb0EES13_EEDaSY_SZ_EUlSY_E_NS1_11comp_targetILNS1_3genE10ELNS1_11target_archE1200ELNS1_3gpuE4ELNS1_3repE0EEENS1_30default_config_static_selectorELNS0_4arch9wavefront6targetE1EEEvT1_,@function
_ZN7rocprim17ROCPRIM_400000_NS6detail17trampoline_kernelINS0_14default_configENS1_29reduce_by_key_config_selectorIalN6thrust23THRUST_200600_302600_NS4plusIlEEEEZZNS1_33reduce_by_key_impl_wrapped_configILNS1_25lookback_scan_determinismE0ES3_S9_PaNS6_17constant_iteratorIiNS6_11use_defaultESE_EENS6_10device_ptrIaEENSG_IlEEPmS8_NS6_8equal_toIaEEEE10hipError_tPvRmT2_T3_mT4_T5_T6_T7_T8_P12ihipStream_tbENKUlT_T0_E_clISt17integral_constantIbLb0EES13_EEDaSY_SZ_EUlSY_E_NS1_11comp_targetILNS1_3genE10ELNS1_11target_archE1200ELNS1_3gpuE4ELNS1_3repE0EEENS1_30default_config_static_selectorELNS0_4arch9wavefront6targetE1EEEvT1_: ; @_ZN7rocprim17ROCPRIM_400000_NS6detail17trampoline_kernelINS0_14default_configENS1_29reduce_by_key_config_selectorIalN6thrust23THRUST_200600_302600_NS4plusIlEEEEZZNS1_33reduce_by_key_impl_wrapped_configILNS1_25lookback_scan_determinismE0ES3_S9_PaNS6_17constant_iteratorIiNS6_11use_defaultESE_EENS6_10device_ptrIaEENSG_IlEEPmS8_NS6_8equal_toIaEEEE10hipError_tPvRmT2_T3_mT4_T5_T6_T7_T8_P12ihipStream_tbENKUlT_T0_E_clISt17integral_constantIbLb0EES13_EEDaSY_SZ_EUlSY_E_NS1_11comp_targetILNS1_3genE10ELNS1_11target_archE1200ELNS1_3gpuE4ELNS1_3repE0EEENS1_30default_config_static_selectorELNS0_4arch9wavefront6targetE1EEEvT1_
; %bb.0:
	.section	.rodata,"a",@progbits
	.p2align	6, 0x0
	.amdhsa_kernel _ZN7rocprim17ROCPRIM_400000_NS6detail17trampoline_kernelINS0_14default_configENS1_29reduce_by_key_config_selectorIalN6thrust23THRUST_200600_302600_NS4plusIlEEEEZZNS1_33reduce_by_key_impl_wrapped_configILNS1_25lookback_scan_determinismE0ES3_S9_PaNS6_17constant_iteratorIiNS6_11use_defaultESE_EENS6_10device_ptrIaEENSG_IlEEPmS8_NS6_8equal_toIaEEEE10hipError_tPvRmT2_T3_mT4_T5_T6_T7_T8_P12ihipStream_tbENKUlT_T0_E_clISt17integral_constantIbLb0EES13_EEDaSY_SZ_EUlSY_E_NS1_11comp_targetILNS1_3genE10ELNS1_11target_archE1200ELNS1_3gpuE4ELNS1_3repE0EEENS1_30default_config_static_selectorELNS0_4arch9wavefront6targetE1EEEvT1_
		.amdhsa_group_segment_fixed_size 0
		.amdhsa_private_segment_fixed_size 0
		.amdhsa_kernarg_size 144
		.amdhsa_user_sgpr_count 6
		.amdhsa_user_sgpr_private_segment_buffer 1
		.amdhsa_user_sgpr_dispatch_ptr 0
		.amdhsa_user_sgpr_queue_ptr 0
		.amdhsa_user_sgpr_kernarg_segment_ptr 1
		.amdhsa_user_sgpr_dispatch_id 0
		.amdhsa_user_sgpr_flat_scratch_init 0
		.amdhsa_user_sgpr_private_segment_size 0
		.amdhsa_uses_dynamic_stack 0
		.amdhsa_system_sgpr_private_segment_wavefront_offset 0
		.amdhsa_system_sgpr_workgroup_id_x 1
		.amdhsa_system_sgpr_workgroup_id_y 0
		.amdhsa_system_sgpr_workgroup_id_z 0
		.amdhsa_system_sgpr_workgroup_info 0
		.amdhsa_system_vgpr_workitem_id 0
		.amdhsa_next_free_vgpr 1
		.amdhsa_next_free_sgpr 0
		.amdhsa_reserve_vcc 0
		.amdhsa_reserve_flat_scratch 0
		.amdhsa_float_round_mode_32 0
		.amdhsa_float_round_mode_16_64 0
		.amdhsa_float_denorm_mode_32 3
		.amdhsa_float_denorm_mode_16_64 3
		.amdhsa_dx10_clamp 1
		.amdhsa_ieee_mode 1
		.amdhsa_fp16_overflow 0
		.amdhsa_exception_fp_ieee_invalid_op 0
		.amdhsa_exception_fp_denorm_src 0
		.amdhsa_exception_fp_ieee_div_zero 0
		.amdhsa_exception_fp_ieee_overflow 0
		.amdhsa_exception_fp_ieee_underflow 0
		.amdhsa_exception_fp_ieee_inexact 0
		.amdhsa_exception_int_div_zero 0
	.end_amdhsa_kernel
	.section	.text._ZN7rocprim17ROCPRIM_400000_NS6detail17trampoline_kernelINS0_14default_configENS1_29reduce_by_key_config_selectorIalN6thrust23THRUST_200600_302600_NS4plusIlEEEEZZNS1_33reduce_by_key_impl_wrapped_configILNS1_25lookback_scan_determinismE0ES3_S9_PaNS6_17constant_iteratorIiNS6_11use_defaultESE_EENS6_10device_ptrIaEENSG_IlEEPmS8_NS6_8equal_toIaEEEE10hipError_tPvRmT2_T3_mT4_T5_T6_T7_T8_P12ihipStream_tbENKUlT_T0_E_clISt17integral_constantIbLb0EES13_EEDaSY_SZ_EUlSY_E_NS1_11comp_targetILNS1_3genE10ELNS1_11target_archE1200ELNS1_3gpuE4ELNS1_3repE0EEENS1_30default_config_static_selectorELNS0_4arch9wavefront6targetE1EEEvT1_,"axG",@progbits,_ZN7rocprim17ROCPRIM_400000_NS6detail17trampoline_kernelINS0_14default_configENS1_29reduce_by_key_config_selectorIalN6thrust23THRUST_200600_302600_NS4plusIlEEEEZZNS1_33reduce_by_key_impl_wrapped_configILNS1_25lookback_scan_determinismE0ES3_S9_PaNS6_17constant_iteratorIiNS6_11use_defaultESE_EENS6_10device_ptrIaEENSG_IlEEPmS8_NS6_8equal_toIaEEEE10hipError_tPvRmT2_T3_mT4_T5_T6_T7_T8_P12ihipStream_tbENKUlT_T0_E_clISt17integral_constantIbLb0EES13_EEDaSY_SZ_EUlSY_E_NS1_11comp_targetILNS1_3genE10ELNS1_11target_archE1200ELNS1_3gpuE4ELNS1_3repE0EEENS1_30default_config_static_selectorELNS0_4arch9wavefront6targetE1EEEvT1_,comdat
.Lfunc_end678:
	.size	_ZN7rocprim17ROCPRIM_400000_NS6detail17trampoline_kernelINS0_14default_configENS1_29reduce_by_key_config_selectorIalN6thrust23THRUST_200600_302600_NS4plusIlEEEEZZNS1_33reduce_by_key_impl_wrapped_configILNS1_25lookback_scan_determinismE0ES3_S9_PaNS6_17constant_iteratorIiNS6_11use_defaultESE_EENS6_10device_ptrIaEENSG_IlEEPmS8_NS6_8equal_toIaEEEE10hipError_tPvRmT2_T3_mT4_T5_T6_T7_T8_P12ihipStream_tbENKUlT_T0_E_clISt17integral_constantIbLb0EES13_EEDaSY_SZ_EUlSY_E_NS1_11comp_targetILNS1_3genE10ELNS1_11target_archE1200ELNS1_3gpuE4ELNS1_3repE0EEENS1_30default_config_static_selectorELNS0_4arch9wavefront6targetE1EEEvT1_, .Lfunc_end678-_ZN7rocprim17ROCPRIM_400000_NS6detail17trampoline_kernelINS0_14default_configENS1_29reduce_by_key_config_selectorIalN6thrust23THRUST_200600_302600_NS4plusIlEEEEZZNS1_33reduce_by_key_impl_wrapped_configILNS1_25lookback_scan_determinismE0ES3_S9_PaNS6_17constant_iteratorIiNS6_11use_defaultESE_EENS6_10device_ptrIaEENSG_IlEEPmS8_NS6_8equal_toIaEEEE10hipError_tPvRmT2_T3_mT4_T5_T6_T7_T8_P12ihipStream_tbENKUlT_T0_E_clISt17integral_constantIbLb0EES13_EEDaSY_SZ_EUlSY_E_NS1_11comp_targetILNS1_3genE10ELNS1_11target_archE1200ELNS1_3gpuE4ELNS1_3repE0EEENS1_30default_config_static_selectorELNS0_4arch9wavefront6targetE1EEEvT1_
                                        ; -- End function
	.set _ZN7rocprim17ROCPRIM_400000_NS6detail17trampoline_kernelINS0_14default_configENS1_29reduce_by_key_config_selectorIalN6thrust23THRUST_200600_302600_NS4plusIlEEEEZZNS1_33reduce_by_key_impl_wrapped_configILNS1_25lookback_scan_determinismE0ES3_S9_PaNS6_17constant_iteratorIiNS6_11use_defaultESE_EENS6_10device_ptrIaEENSG_IlEEPmS8_NS6_8equal_toIaEEEE10hipError_tPvRmT2_T3_mT4_T5_T6_T7_T8_P12ihipStream_tbENKUlT_T0_E_clISt17integral_constantIbLb0EES13_EEDaSY_SZ_EUlSY_E_NS1_11comp_targetILNS1_3genE10ELNS1_11target_archE1200ELNS1_3gpuE4ELNS1_3repE0EEENS1_30default_config_static_selectorELNS0_4arch9wavefront6targetE1EEEvT1_.num_vgpr, 0
	.set _ZN7rocprim17ROCPRIM_400000_NS6detail17trampoline_kernelINS0_14default_configENS1_29reduce_by_key_config_selectorIalN6thrust23THRUST_200600_302600_NS4plusIlEEEEZZNS1_33reduce_by_key_impl_wrapped_configILNS1_25lookback_scan_determinismE0ES3_S9_PaNS6_17constant_iteratorIiNS6_11use_defaultESE_EENS6_10device_ptrIaEENSG_IlEEPmS8_NS6_8equal_toIaEEEE10hipError_tPvRmT2_T3_mT4_T5_T6_T7_T8_P12ihipStream_tbENKUlT_T0_E_clISt17integral_constantIbLb0EES13_EEDaSY_SZ_EUlSY_E_NS1_11comp_targetILNS1_3genE10ELNS1_11target_archE1200ELNS1_3gpuE4ELNS1_3repE0EEENS1_30default_config_static_selectorELNS0_4arch9wavefront6targetE1EEEvT1_.num_agpr, 0
	.set _ZN7rocprim17ROCPRIM_400000_NS6detail17trampoline_kernelINS0_14default_configENS1_29reduce_by_key_config_selectorIalN6thrust23THRUST_200600_302600_NS4plusIlEEEEZZNS1_33reduce_by_key_impl_wrapped_configILNS1_25lookback_scan_determinismE0ES3_S9_PaNS6_17constant_iteratorIiNS6_11use_defaultESE_EENS6_10device_ptrIaEENSG_IlEEPmS8_NS6_8equal_toIaEEEE10hipError_tPvRmT2_T3_mT4_T5_T6_T7_T8_P12ihipStream_tbENKUlT_T0_E_clISt17integral_constantIbLb0EES13_EEDaSY_SZ_EUlSY_E_NS1_11comp_targetILNS1_3genE10ELNS1_11target_archE1200ELNS1_3gpuE4ELNS1_3repE0EEENS1_30default_config_static_selectorELNS0_4arch9wavefront6targetE1EEEvT1_.numbered_sgpr, 0
	.set _ZN7rocprim17ROCPRIM_400000_NS6detail17trampoline_kernelINS0_14default_configENS1_29reduce_by_key_config_selectorIalN6thrust23THRUST_200600_302600_NS4plusIlEEEEZZNS1_33reduce_by_key_impl_wrapped_configILNS1_25lookback_scan_determinismE0ES3_S9_PaNS6_17constant_iteratorIiNS6_11use_defaultESE_EENS6_10device_ptrIaEENSG_IlEEPmS8_NS6_8equal_toIaEEEE10hipError_tPvRmT2_T3_mT4_T5_T6_T7_T8_P12ihipStream_tbENKUlT_T0_E_clISt17integral_constantIbLb0EES13_EEDaSY_SZ_EUlSY_E_NS1_11comp_targetILNS1_3genE10ELNS1_11target_archE1200ELNS1_3gpuE4ELNS1_3repE0EEENS1_30default_config_static_selectorELNS0_4arch9wavefront6targetE1EEEvT1_.num_named_barrier, 0
	.set _ZN7rocprim17ROCPRIM_400000_NS6detail17trampoline_kernelINS0_14default_configENS1_29reduce_by_key_config_selectorIalN6thrust23THRUST_200600_302600_NS4plusIlEEEEZZNS1_33reduce_by_key_impl_wrapped_configILNS1_25lookback_scan_determinismE0ES3_S9_PaNS6_17constant_iteratorIiNS6_11use_defaultESE_EENS6_10device_ptrIaEENSG_IlEEPmS8_NS6_8equal_toIaEEEE10hipError_tPvRmT2_T3_mT4_T5_T6_T7_T8_P12ihipStream_tbENKUlT_T0_E_clISt17integral_constantIbLb0EES13_EEDaSY_SZ_EUlSY_E_NS1_11comp_targetILNS1_3genE10ELNS1_11target_archE1200ELNS1_3gpuE4ELNS1_3repE0EEENS1_30default_config_static_selectorELNS0_4arch9wavefront6targetE1EEEvT1_.private_seg_size, 0
	.set _ZN7rocprim17ROCPRIM_400000_NS6detail17trampoline_kernelINS0_14default_configENS1_29reduce_by_key_config_selectorIalN6thrust23THRUST_200600_302600_NS4plusIlEEEEZZNS1_33reduce_by_key_impl_wrapped_configILNS1_25lookback_scan_determinismE0ES3_S9_PaNS6_17constant_iteratorIiNS6_11use_defaultESE_EENS6_10device_ptrIaEENSG_IlEEPmS8_NS6_8equal_toIaEEEE10hipError_tPvRmT2_T3_mT4_T5_T6_T7_T8_P12ihipStream_tbENKUlT_T0_E_clISt17integral_constantIbLb0EES13_EEDaSY_SZ_EUlSY_E_NS1_11comp_targetILNS1_3genE10ELNS1_11target_archE1200ELNS1_3gpuE4ELNS1_3repE0EEENS1_30default_config_static_selectorELNS0_4arch9wavefront6targetE1EEEvT1_.uses_vcc, 0
	.set _ZN7rocprim17ROCPRIM_400000_NS6detail17trampoline_kernelINS0_14default_configENS1_29reduce_by_key_config_selectorIalN6thrust23THRUST_200600_302600_NS4plusIlEEEEZZNS1_33reduce_by_key_impl_wrapped_configILNS1_25lookback_scan_determinismE0ES3_S9_PaNS6_17constant_iteratorIiNS6_11use_defaultESE_EENS6_10device_ptrIaEENSG_IlEEPmS8_NS6_8equal_toIaEEEE10hipError_tPvRmT2_T3_mT4_T5_T6_T7_T8_P12ihipStream_tbENKUlT_T0_E_clISt17integral_constantIbLb0EES13_EEDaSY_SZ_EUlSY_E_NS1_11comp_targetILNS1_3genE10ELNS1_11target_archE1200ELNS1_3gpuE4ELNS1_3repE0EEENS1_30default_config_static_selectorELNS0_4arch9wavefront6targetE1EEEvT1_.uses_flat_scratch, 0
	.set _ZN7rocprim17ROCPRIM_400000_NS6detail17trampoline_kernelINS0_14default_configENS1_29reduce_by_key_config_selectorIalN6thrust23THRUST_200600_302600_NS4plusIlEEEEZZNS1_33reduce_by_key_impl_wrapped_configILNS1_25lookback_scan_determinismE0ES3_S9_PaNS6_17constant_iteratorIiNS6_11use_defaultESE_EENS6_10device_ptrIaEENSG_IlEEPmS8_NS6_8equal_toIaEEEE10hipError_tPvRmT2_T3_mT4_T5_T6_T7_T8_P12ihipStream_tbENKUlT_T0_E_clISt17integral_constantIbLb0EES13_EEDaSY_SZ_EUlSY_E_NS1_11comp_targetILNS1_3genE10ELNS1_11target_archE1200ELNS1_3gpuE4ELNS1_3repE0EEENS1_30default_config_static_selectorELNS0_4arch9wavefront6targetE1EEEvT1_.has_dyn_sized_stack, 0
	.set _ZN7rocprim17ROCPRIM_400000_NS6detail17trampoline_kernelINS0_14default_configENS1_29reduce_by_key_config_selectorIalN6thrust23THRUST_200600_302600_NS4plusIlEEEEZZNS1_33reduce_by_key_impl_wrapped_configILNS1_25lookback_scan_determinismE0ES3_S9_PaNS6_17constant_iteratorIiNS6_11use_defaultESE_EENS6_10device_ptrIaEENSG_IlEEPmS8_NS6_8equal_toIaEEEE10hipError_tPvRmT2_T3_mT4_T5_T6_T7_T8_P12ihipStream_tbENKUlT_T0_E_clISt17integral_constantIbLb0EES13_EEDaSY_SZ_EUlSY_E_NS1_11comp_targetILNS1_3genE10ELNS1_11target_archE1200ELNS1_3gpuE4ELNS1_3repE0EEENS1_30default_config_static_selectorELNS0_4arch9wavefront6targetE1EEEvT1_.has_recursion, 0
	.set _ZN7rocprim17ROCPRIM_400000_NS6detail17trampoline_kernelINS0_14default_configENS1_29reduce_by_key_config_selectorIalN6thrust23THRUST_200600_302600_NS4plusIlEEEEZZNS1_33reduce_by_key_impl_wrapped_configILNS1_25lookback_scan_determinismE0ES3_S9_PaNS6_17constant_iteratorIiNS6_11use_defaultESE_EENS6_10device_ptrIaEENSG_IlEEPmS8_NS6_8equal_toIaEEEE10hipError_tPvRmT2_T3_mT4_T5_T6_T7_T8_P12ihipStream_tbENKUlT_T0_E_clISt17integral_constantIbLb0EES13_EEDaSY_SZ_EUlSY_E_NS1_11comp_targetILNS1_3genE10ELNS1_11target_archE1200ELNS1_3gpuE4ELNS1_3repE0EEENS1_30default_config_static_selectorELNS0_4arch9wavefront6targetE1EEEvT1_.has_indirect_call, 0
	.section	.AMDGPU.csdata,"",@progbits
; Kernel info:
; codeLenInByte = 0
; TotalNumSgprs: 4
; NumVgprs: 0
; ScratchSize: 0
; MemoryBound: 0
; FloatMode: 240
; IeeeMode: 1
; LDSByteSize: 0 bytes/workgroup (compile time only)
; SGPRBlocks: 0
; VGPRBlocks: 0
; NumSGPRsForWavesPerEU: 4
; NumVGPRsForWavesPerEU: 1
; Occupancy: 10
; WaveLimiterHint : 0
; COMPUTE_PGM_RSRC2:SCRATCH_EN: 0
; COMPUTE_PGM_RSRC2:USER_SGPR: 6
; COMPUTE_PGM_RSRC2:TRAP_HANDLER: 0
; COMPUTE_PGM_RSRC2:TGID_X_EN: 1
; COMPUTE_PGM_RSRC2:TGID_Y_EN: 0
; COMPUTE_PGM_RSRC2:TGID_Z_EN: 0
; COMPUTE_PGM_RSRC2:TIDIG_COMP_CNT: 0
	.section	.text._ZN7rocprim17ROCPRIM_400000_NS6detail17trampoline_kernelINS0_14default_configENS1_29reduce_by_key_config_selectorIalN6thrust23THRUST_200600_302600_NS4plusIlEEEEZZNS1_33reduce_by_key_impl_wrapped_configILNS1_25lookback_scan_determinismE0ES3_S9_PaNS6_17constant_iteratorIiNS6_11use_defaultESE_EENS6_10device_ptrIaEENSG_IlEEPmS8_NS6_8equal_toIaEEEE10hipError_tPvRmT2_T3_mT4_T5_T6_T7_T8_P12ihipStream_tbENKUlT_T0_E_clISt17integral_constantIbLb0EES13_EEDaSY_SZ_EUlSY_E_NS1_11comp_targetILNS1_3genE9ELNS1_11target_archE1100ELNS1_3gpuE3ELNS1_3repE0EEENS1_30default_config_static_selectorELNS0_4arch9wavefront6targetE1EEEvT1_,"axG",@progbits,_ZN7rocprim17ROCPRIM_400000_NS6detail17trampoline_kernelINS0_14default_configENS1_29reduce_by_key_config_selectorIalN6thrust23THRUST_200600_302600_NS4plusIlEEEEZZNS1_33reduce_by_key_impl_wrapped_configILNS1_25lookback_scan_determinismE0ES3_S9_PaNS6_17constant_iteratorIiNS6_11use_defaultESE_EENS6_10device_ptrIaEENSG_IlEEPmS8_NS6_8equal_toIaEEEE10hipError_tPvRmT2_T3_mT4_T5_T6_T7_T8_P12ihipStream_tbENKUlT_T0_E_clISt17integral_constantIbLb0EES13_EEDaSY_SZ_EUlSY_E_NS1_11comp_targetILNS1_3genE9ELNS1_11target_archE1100ELNS1_3gpuE3ELNS1_3repE0EEENS1_30default_config_static_selectorELNS0_4arch9wavefront6targetE1EEEvT1_,comdat
	.protected	_ZN7rocprim17ROCPRIM_400000_NS6detail17trampoline_kernelINS0_14default_configENS1_29reduce_by_key_config_selectorIalN6thrust23THRUST_200600_302600_NS4plusIlEEEEZZNS1_33reduce_by_key_impl_wrapped_configILNS1_25lookback_scan_determinismE0ES3_S9_PaNS6_17constant_iteratorIiNS6_11use_defaultESE_EENS6_10device_ptrIaEENSG_IlEEPmS8_NS6_8equal_toIaEEEE10hipError_tPvRmT2_T3_mT4_T5_T6_T7_T8_P12ihipStream_tbENKUlT_T0_E_clISt17integral_constantIbLb0EES13_EEDaSY_SZ_EUlSY_E_NS1_11comp_targetILNS1_3genE9ELNS1_11target_archE1100ELNS1_3gpuE3ELNS1_3repE0EEENS1_30default_config_static_selectorELNS0_4arch9wavefront6targetE1EEEvT1_ ; -- Begin function _ZN7rocprim17ROCPRIM_400000_NS6detail17trampoline_kernelINS0_14default_configENS1_29reduce_by_key_config_selectorIalN6thrust23THRUST_200600_302600_NS4plusIlEEEEZZNS1_33reduce_by_key_impl_wrapped_configILNS1_25lookback_scan_determinismE0ES3_S9_PaNS6_17constant_iteratorIiNS6_11use_defaultESE_EENS6_10device_ptrIaEENSG_IlEEPmS8_NS6_8equal_toIaEEEE10hipError_tPvRmT2_T3_mT4_T5_T6_T7_T8_P12ihipStream_tbENKUlT_T0_E_clISt17integral_constantIbLb0EES13_EEDaSY_SZ_EUlSY_E_NS1_11comp_targetILNS1_3genE9ELNS1_11target_archE1100ELNS1_3gpuE3ELNS1_3repE0EEENS1_30default_config_static_selectorELNS0_4arch9wavefront6targetE1EEEvT1_
	.globl	_ZN7rocprim17ROCPRIM_400000_NS6detail17trampoline_kernelINS0_14default_configENS1_29reduce_by_key_config_selectorIalN6thrust23THRUST_200600_302600_NS4plusIlEEEEZZNS1_33reduce_by_key_impl_wrapped_configILNS1_25lookback_scan_determinismE0ES3_S9_PaNS6_17constant_iteratorIiNS6_11use_defaultESE_EENS6_10device_ptrIaEENSG_IlEEPmS8_NS6_8equal_toIaEEEE10hipError_tPvRmT2_T3_mT4_T5_T6_T7_T8_P12ihipStream_tbENKUlT_T0_E_clISt17integral_constantIbLb0EES13_EEDaSY_SZ_EUlSY_E_NS1_11comp_targetILNS1_3genE9ELNS1_11target_archE1100ELNS1_3gpuE3ELNS1_3repE0EEENS1_30default_config_static_selectorELNS0_4arch9wavefront6targetE1EEEvT1_
	.p2align	8
	.type	_ZN7rocprim17ROCPRIM_400000_NS6detail17trampoline_kernelINS0_14default_configENS1_29reduce_by_key_config_selectorIalN6thrust23THRUST_200600_302600_NS4plusIlEEEEZZNS1_33reduce_by_key_impl_wrapped_configILNS1_25lookback_scan_determinismE0ES3_S9_PaNS6_17constant_iteratorIiNS6_11use_defaultESE_EENS6_10device_ptrIaEENSG_IlEEPmS8_NS6_8equal_toIaEEEE10hipError_tPvRmT2_T3_mT4_T5_T6_T7_T8_P12ihipStream_tbENKUlT_T0_E_clISt17integral_constantIbLb0EES13_EEDaSY_SZ_EUlSY_E_NS1_11comp_targetILNS1_3genE9ELNS1_11target_archE1100ELNS1_3gpuE3ELNS1_3repE0EEENS1_30default_config_static_selectorELNS0_4arch9wavefront6targetE1EEEvT1_,@function
_ZN7rocprim17ROCPRIM_400000_NS6detail17trampoline_kernelINS0_14default_configENS1_29reduce_by_key_config_selectorIalN6thrust23THRUST_200600_302600_NS4plusIlEEEEZZNS1_33reduce_by_key_impl_wrapped_configILNS1_25lookback_scan_determinismE0ES3_S9_PaNS6_17constant_iteratorIiNS6_11use_defaultESE_EENS6_10device_ptrIaEENSG_IlEEPmS8_NS6_8equal_toIaEEEE10hipError_tPvRmT2_T3_mT4_T5_T6_T7_T8_P12ihipStream_tbENKUlT_T0_E_clISt17integral_constantIbLb0EES13_EEDaSY_SZ_EUlSY_E_NS1_11comp_targetILNS1_3genE9ELNS1_11target_archE1100ELNS1_3gpuE3ELNS1_3repE0EEENS1_30default_config_static_selectorELNS0_4arch9wavefront6targetE1EEEvT1_: ; @_ZN7rocprim17ROCPRIM_400000_NS6detail17trampoline_kernelINS0_14default_configENS1_29reduce_by_key_config_selectorIalN6thrust23THRUST_200600_302600_NS4plusIlEEEEZZNS1_33reduce_by_key_impl_wrapped_configILNS1_25lookback_scan_determinismE0ES3_S9_PaNS6_17constant_iteratorIiNS6_11use_defaultESE_EENS6_10device_ptrIaEENSG_IlEEPmS8_NS6_8equal_toIaEEEE10hipError_tPvRmT2_T3_mT4_T5_T6_T7_T8_P12ihipStream_tbENKUlT_T0_E_clISt17integral_constantIbLb0EES13_EEDaSY_SZ_EUlSY_E_NS1_11comp_targetILNS1_3genE9ELNS1_11target_archE1100ELNS1_3gpuE3ELNS1_3repE0EEENS1_30default_config_static_selectorELNS0_4arch9wavefront6targetE1EEEvT1_
; %bb.0:
	.section	.rodata,"a",@progbits
	.p2align	6, 0x0
	.amdhsa_kernel _ZN7rocprim17ROCPRIM_400000_NS6detail17trampoline_kernelINS0_14default_configENS1_29reduce_by_key_config_selectorIalN6thrust23THRUST_200600_302600_NS4plusIlEEEEZZNS1_33reduce_by_key_impl_wrapped_configILNS1_25lookback_scan_determinismE0ES3_S9_PaNS6_17constant_iteratorIiNS6_11use_defaultESE_EENS6_10device_ptrIaEENSG_IlEEPmS8_NS6_8equal_toIaEEEE10hipError_tPvRmT2_T3_mT4_T5_T6_T7_T8_P12ihipStream_tbENKUlT_T0_E_clISt17integral_constantIbLb0EES13_EEDaSY_SZ_EUlSY_E_NS1_11comp_targetILNS1_3genE9ELNS1_11target_archE1100ELNS1_3gpuE3ELNS1_3repE0EEENS1_30default_config_static_selectorELNS0_4arch9wavefront6targetE1EEEvT1_
		.amdhsa_group_segment_fixed_size 0
		.amdhsa_private_segment_fixed_size 0
		.amdhsa_kernarg_size 144
		.amdhsa_user_sgpr_count 6
		.amdhsa_user_sgpr_private_segment_buffer 1
		.amdhsa_user_sgpr_dispatch_ptr 0
		.amdhsa_user_sgpr_queue_ptr 0
		.amdhsa_user_sgpr_kernarg_segment_ptr 1
		.amdhsa_user_sgpr_dispatch_id 0
		.amdhsa_user_sgpr_flat_scratch_init 0
		.amdhsa_user_sgpr_private_segment_size 0
		.amdhsa_uses_dynamic_stack 0
		.amdhsa_system_sgpr_private_segment_wavefront_offset 0
		.amdhsa_system_sgpr_workgroup_id_x 1
		.amdhsa_system_sgpr_workgroup_id_y 0
		.amdhsa_system_sgpr_workgroup_id_z 0
		.amdhsa_system_sgpr_workgroup_info 0
		.amdhsa_system_vgpr_workitem_id 0
		.amdhsa_next_free_vgpr 1
		.amdhsa_next_free_sgpr 0
		.amdhsa_reserve_vcc 0
		.amdhsa_reserve_flat_scratch 0
		.amdhsa_float_round_mode_32 0
		.amdhsa_float_round_mode_16_64 0
		.amdhsa_float_denorm_mode_32 3
		.amdhsa_float_denorm_mode_16_64 3
		.amdhsa_dx10_clamp 1
		.amdhsa_ieee_mode 1
		.amdhsa_fp16_overflow 0
		.amdhsa_exception_fp_ieee_invalid_op 0
		.amdhsa_exception_fp_denorm_src 0
		.amdhsa_exception_fp_ieee_div_zero 0
		.amdhsa_exception_fp_ieee_overflow 0
		.amdhsa_exception_fp_ieee_underflow 0
		.amdhsa_exception_fp_ieee_inexact 0
		.amdhsa_exception_int_div_zero 0
	.end_amdhsa_kernel
	.section	.text._ZN7rocprim17ROCPRIM_400000_NS6detail17trampoline_kernelINS0_14default_configENS1_29reduce_by_key_config_selectorIalN6thrust23THRUST_200600_302600_NS4plusIlEEEEZZNS1_33reduce_by_key_impl_wrapped_configILNS1_25lookback_scan_determinismE0ES3_S9_PaNS6_17constant_iteratorIiNS6_11use_defaultESE_EENS6_10device_ptrIaEENSG_IlEEPmS8_NS6_8equal_toIaEEEE10hipError_tPvRmT2_T3_mT4_T5_T6_T7_T8_P12ihipStream_tbENKUlT_T0_E_clISt17integral_constantIbLb0EES13_EEDaSY_SZ_EUlSY_E_NS1_11comp_targetILNS1_3genE9ELNS1_11target_archE1100ELNS1_3gpuE3ELNS1_3repE0EEENS1_30default_config_static_selectorELNS0_4arch9wavefront6targetE1EEEvT1_,"axG",@progbits,_ZN7rocprim17ROCPRIM_400000_NS6detail17trampoline_kernelINS0_14default_configENS1_29reduce_by_key_config_selectorIalN6thrust23THRUST_200600_302600_NS4plusIlEEEEZZNS1_33reduce_by_key_impl_wrapped_configILNS1_25lookback_scan_determinismE0ES3_S9_PaNS6_17constant_iteratorIiNS6_11use_defaultESE_EENS6_10device_ptrIaEENSG_IlEEPmS8_NS6_8equal_toIaEEEE10hipError_tPvRmT2_T3_mT4_T5_T6_T7_T8_P12ihipStream_tbENKUlT_T0_E_clISt17integral_constantIbLb0EES13_EEDaSY_SZ_EUlSY_E_NS1_11comp_targetILNS1_3genE9ELNS1_11target_archE1100ELNS1_3gpuE3ELNS1_3repE0EEENS1_30default_config_static_selectorELNS0_4arch9wavefront6targetE1EEEvT1_,comdat
.Lfunc_end679:
	.size	_ZN7rocprim17ROCPRIM_400000_NS6detail17trampoline_kernelINS0_14default_configENS1_29reduce_by_key_config_selectorIalN6thrust23THRUST_200600_302600_NS4plusIlEEEEZZNS1_33reduce_by_key_impl_wrapped_configILNS1_25lookback_scan_determinismE0ES3_S9_PaNS6_17constant_iteratorIiNS6_11use_defaultESE_EENS6_10device_ptrIaEENSG_IlEEPmS8_NS6_8equal_toIaEEEE10hipError_tPvRmT2_T3_mT4_T5_T6_T7_T8_P12ihipStream_tbENKUlT_T0_E_clISt17integral_constantIbLb0EES13_EEDaSY_SZ_EUlSY_E_NS1_11comp_targetILNS1_3genE9ELNS1_11target_archE1100ELNS1_3gpuE3ELNS1_3repE0EEENS1_30default_config_static_selectorELNS0_4arch9wavefront6targetE1EEEvT1_, .Lfunc_end679-_ZN7rocprim17ROCPRIM_400000_NS6detail17trampoline_kernelINS0_14default_configENS1_29reduce_by_key_config_selectorIalN6thrust23THRUST_200600_302600_NS4plusIlEEEEZZNS1_33reduce_by_key_impl_wrapped_configILNS1_25lookback_scan_determinismE0ES3_S9_PaNS6_17constant_iteratorIiNS6_11use_defaultESE_EENS6_10device_ptrIaEENSG_IlEEPmS8_NS6_8equal_toIaEEEE10hipError_tPvRmT2_T3_mT4_T5_T6_T7_T8_P12ihipStream_tbENKUlT_T0_E_clISt17integral_constantIbLb0EES13_EEDaSY_SZ_EUlSY_E_NS1_11comp_targetILNS1_3genE9ELNS1_11target_archE1100ELNS1_3gpuE3ELNS1_3repE0EEENS1_30default_config_static_selectorELNS0_4arch9wavefront6targetE1EEEvT1_
                                        ; -- End function
	.set _ZN7rocprim17ROCPRIM_400000_NS6detail17trampoline_kernelINS0_14default_configENS1_29reduce_by_key_config_selectorIalN6thrust23THRUST_200600_302600_NS4plusIlEEEEZZNS1_33reduce_by_key_impl_wrapped_configILNS1_25lookback_scan_determinismE0ES3_S9_PaNS6_17constant_iteratorIiNS6_11use_defaultESE_EENS6_10device_ptrIaEENSG_IlEEPmS8_NS6_8equal_toIaEEEE10hipError_tPvRmT2_T3_mT4_T5_T6_T7_T8_P12ihipStream_tbENKUlT_T0_E_clISt17integral_constantIbLb0EES13_EEDaSY_SZ_EUlSY_E_NS1_11comp_targetILNS1_3genE9ELNS1_11target_archE1100ELNS1_3gpuE3ELNS1_3repE0EEENS1_30default_config_static_selectorELNS0_4arch9wavefront6targetE1EEEvT1_.num_vgpr, 0
	.set _ZN7rocprim17ROCPRIM_400000_NS6detail17trampoline_kernelINS0_14default_configENS1_29reduce_by_key_config_selectorIalN6thrust23THRUST_200600_302600_NS4plusIlEEEEZZNS1_33reduce_by_key_impl_wrapped_configILNS1_25lookback_scan_determinismE0ES3_S9_PaNS6_17constant_iteratorIiNS6_11use_defaultESE_EENS6_10device_ptrIaEENSG_IlEEPmS8_NS6_8equal_toIaEEEE10hipError_tPvRmT2_T3_mT4_T5_T6_T7_T8_P12ihipStream_tbENKUlT_T0_E_clISt17integral_constantIbLb0EES13_EEDaSY_SZ_EUlSY_E_NS1_11comp_targetILNS1_3genE9ELNS1_11target_archE1100ELNS1_3gpuE3ELNS1_3repE0EEENS1_30default_config_static_selectorELNS0_4arch9wavefront6targetE1EEEvT1_.num_agpr, 0
	.set _ZN7rocprim17ROCPRIM_400000_NS6detail17trampoline_kernelINS0_14default_configENS1_29reduce_by_key_config_selectorIalN6thrust23THRUST_200600_302600_NS4plusIlEEEEZZNS1_33reduce_by_key_impl_wrapped_configILNS1_25lookback_scan_determinismE0ES3_S9_PaNS6_17constant_iteratorIiNS6_11use_defaultESE_EENS6_10device_ptrIaEENSG_IlEEPmS8_NS6_8equal_toIaEEEE10hipError_tPvRmT2_T3_mT4_T5_T6_T7_T8_P12ihipStream_tbENKUlT_T0_E_clISt17integral_constantIbLb0EES13_EEDaSY_SZ_EUlSY_E_NS1_11comp_targetILNS1_3genE9ELNS1_11target_archE1100ELNS1_3gpuE3ELNS1_3repE0EEENS1_30default_config_static_selectorELNS0_4arch9wavefront6targetE1EEEvT1_.numbered_sgpr, 0
	.set _ZN7rocprim17ROCPRIM_400000_NS6detail17trampoline_kernelINS0_14default_configENS1_29reduce_by_key_config_selectorIalN6thrust23THRUST_200600_302600_NS4plusIlEEEEZZNS1_33reduce_by_key_impl_wrapped_configILNS1_25lookback_scan_determinismE0ES3_S9_PaNS6_17constant_iteratorIiNS6_11use_defaultESE_EENS6_10device_ptrIaEENSG_IlEEPmS8_NS6_8equal_toIaEEEE10hipError_tPvRmT2_T3_mT4_T5_T6_T7_T8_P12ihipStream_tbENKUlT_T0_E_clISt17integral_constantIbLb0EES13_EEDaSY_SZ_EUlSY_E_NS1_11comp_targetILNS1_3genE9ELNS1_11target_archE1100ELNS1_3gpuE3ELNS1_3repE0EEENS1_30default_config_static_selectorELNS0_4arch9wavefront6targetE1EEEvT1_.num_named_barrier, 0
	.set _ZN7rocprim17ROCPRIM_400000_NS6detail17trampoline_kernelINS0_14default_configENS1_29reduce_by_key_config_selectorIalN6thrust23THRUST_200600_302600_NS4plusIlEEEEZZNS1_33reduce_by_key_impl_wrapped_configILNS1_25lookback_scan_determinismE0ES3_S9_PaNS6_17constant_iteratorIiNS6_11use_defaultESE_EENS6_10device_ptrIaEENSG_IlEEPmS8_NS6_8equal_toIaEEEE10hipError_tPvRmT2_T3_mT4_T5_T6_T7_T8_P12ihipStream_tbENKUlT_T0_E_clISt17integral_constantIbLb0EES13_EEDaSY_SZ_EUlSY_E_NS1_11comp_targetILNS1_3genE9ELNS1_11target_archE1100ELNS1_3gpuE3ELNS1_3repE0EEENS1_30default_config_static_selectorELNS0_4arch9wavefront6targetE1EEEvT1_.private_seg_size, 0
	.set _ZN7rocprim17ROCPRIM_400000_NS6detail17trampoline_kernelINS0_14default_configENS1_29reduce_by_key_config_selectorIalN6thrust23THRUST_200600_302600_NS4plusIlEEEEZZNS1_33reduce_by_key_impl_wrapped_configILNS1_25lookback_scan_determinismE0ES3_S9_PaNS6_17constant_iteratorIiNS6_11use_defaultESE_EENS6_10device_ptrIaEENSG_IlEEPmS8_NS6_8equal_toIaEEEE10hipError_tPvRmT2_T3_mT4_T5_T6_T7_T8_P12ihipStream_tbENKUlT_T0_E_clISt17integral_constantIbLb0EES13_EEDaSY_SZ_EUlSY_E_NS1_11comp_targetILNS1_3genE9ELNS1_11target_archE1100ELNS1_3gpuE3ELNS1_3repE0EEENS1_30default_config_static_selectorELNS0_4arch9wavefront6targetE1EEEvT1_.uses_vcc, 0
	.set _ZN7rocprim17ROCPRIM_400000_NS6detail17trampoline_kernelINS0_14default_configENS1_29reduce_by_key_config_selectorIalN6thrust23THRUST_200600_302600_NS4plusIlEEEEZZNS1_33reduce_by_key_impl_wrapped_configILNS1_25lookback_scan_determinismE0ES3_S9_PaNS6_17constant_iteratorIiNS6_11use_defaultESE_EENS6_10device_ptrIaEENSG_IlEEPmS8_NS6_8equal_toIaEEEE10hipError_tPvRmT2_T3_mT4_T5_T6_T7_T8_P12ihipStream_tbENKUlT_T0_E_clISt17integral_constantIbLb0EES13_EEDaSY_SZ_EUlSY_E_NS1_11comp_targetILNS1_3genE9ELNS1_11target_archE1100ELNS1_3gpuE3ELNS1_3repE0EEENS1_30default_config_static_selectorELNS0_4arch9wavefront6targetE1EEEvT1_.uses_flat_scratch, 0
	.set _ZN7rocprim17ROCPRIM_400000_NS6detail17trampoline_kernelINS0_14default_configENS1_29reduce_by_key_config_selectorIalN6thrust23THRUST_200600_302600_NS4plusIlEEEEZZNS1_33reduce_by_key_impl_wrapped_configILNS1_25lookback_scan_determinismE0ES3_S9_PaNS6_17constant_iteratorIiNS6_11use_defaultESE_EENS6_10device_ptrIaEENSG_IlEEPmS8_NS6_8equal_toIaEEEE10hipError_tPvRmT2_T3_mT4_T5_T6_T7_T8_P12ihipStream_tbENKUlT_T0_E_clISt17integral_constantIbLb0EES13_EEDaSY_SZ_EUlSY_E_NS1_11comp_targetILNS1_3genE9ELNS1_11target_archE1100ELNS1_3gpuE3ELNS1_3repE0EEENS1_30default_config_static_selectorELNS0_4arch9wavefront6targetE1EEEvT1_.has_dyn_sized_stack, 0
	.set _ZN7rocprim17ROCPRIM_400000_NS6detail17trampoline_kernelINS0_14default_configENS1_29reduce_by_key_config_selectorIalN6thrust23THRUST_200600_302600_NS4plusIlEEEEZZNS1_33reduce_by_key_impl_wrapped_configILNS1_25lookback_scan_determinismE0ES3_S9_PaNS6_17constant_iteratorIiNS6_11use_defaultESE_EENS6_10device_ptrIaEENSG_IlEEPmS8_NS6_8equal_toIaEEEE10hipError_tPvRmT2_T3_mT4_T5_T6_T7_T8_P12ihipStream_tbENKUlT_T0_E_clISt17integral_constantIbLb0EES13_EEDaSY_SZ_EUlSY_E_NS1_11comp_targetILNS1_3genE9ELNS1_11target_archE1100ELNS1_3gpuE3ELNS1_3repE0EEENS1_30default_config_static_selectorELNS0_4arch9wavefront6targetE1EEEvT1_.has_recursion, 0
	.set _ZN7rocprim17ROCPRIM_400000_NS6detail17trampoline_kernelINS0_14default_configENS1_29reduce_by_key_config_selectorIalN6thrust23THRUST_200600_302600_NS4plusIlEEEEZZNS1_33reduce_by_key_impl_wrapped_configILNS1_25lookback_scan_determinismE0ES3_S9_PaNS6_17constant_iteratorIiNS6_11use_defaultESE_EENS6_10device_ptrIaEENSG_IlEEPmS8_NS6_8equal_toIaEEEE10hipError_tPvRmT2_T3_mT4_T5_T6_T7_T8_P12ihipStream_tbENKUlT_T0_E_clISt17integral_constantIbLb0EES13_EEDaSY_SZ_EUlSY_E_NS1_11comp_targetILNS1_3genE9ELNS1_11target_archE1100ELNS1_3gpuE3ELNS1_3repE0EEENS1_30default_config_static_selectorELNS0_4arch9wavefront6targetE1EEEvT1_.has_indirect_call, 0
	.section	.AMDGPU.csdata,"",@progbits
; Kernel info:
; codeLenInByte = 0
; TotalNumSgprs: 4
; NumVgprs: 0
; ScratchSize: 0
; MemoryBound: 0
; FloatMode: 240
; IeeeMode: 1
; LDSByteSize: 0 bytes/workgroup (compile time only)
; SGPRBlocks: 0
; VGPRBlocks: 0
; NumSGPRsForWavesPerEU: 4
; NumVGPRsForWavesPerEU: 1
; Occupancy: 10
; WaveLimiterHint : 0
; COMPUTE_PGM_RSRC2:SCRATCH_EN: 0
; COMPUTE_PGM_RSRC2:USER_SGPR: 6
; COMPUTE_PGM_RSRC2:TRAP_HANDLER: 0
; COMPUTE_PGM_RSRC2:TGID_X_EN: 1
; COMPUTE_PGM_RSRC2:TGID_Y_EN: 0
; COMPUTE_PGM_RSRC2:TGID_Z_EN: 0
; COMPUTE_PGM_RSRC2:TIDIG_COMP_CNT: 0
	.section	.text._ZN7rocprim17ROCPRIM_400000_NS6detail17trampoline_kernelINS0_14default_configENS1_29reduce_by_key_config_selectorIalN6thrust23THRUST_200600_302600_NS4plusIlEEEEZZNS1_33reduce_by_key_impl_wrapped_configILNS1_25lookback_scan_determinismE0ES3_S9_PaNS6_17constant_iteratorIiNS6_11use_defaultESE_EENS6_10device_ptrIaEENSG_IlEEPmS8_NS6_8equal_toIaEEEE10hipError_tPvRmT2_T3_mT4_T5_T6_T7_T8_P12ihipStream_tbENKUlT_T0_E_clISt17integral_constantIbLb0EES13_EEDaSY_SZ_EUlSY_E_NS1_11comp_targetILNS1_3genE8ELNS1_11target_archE1030ELNS1_3gpuE2ELNS1_3repE0EEENS1_30default_config_static_selectorELNS0_4arch9wavefront6targetE1EEEvT1_,"axG",@progbits,_ZN7rocprim17ROCPRIM_400000_NS6detail17trampoline_kernelINS0_14default_configENS1_29reduce_by_key_config_selectorIalN6thrust23THRUST_200600_302600_NS4plusIlEEEEZZNS1_33reduce_by_key_impl_wrapped_configILNS1_25lookback_scan_determinismE0ES3_S9_PaNS6_17constant_iteratorIiNS6_11use_defaultESE_EENS6_10device_ptrIaEENSG_IlEEPmS8_NS6_8equal_toIaEEEE10hipError_tPvRmT2_T3_mT4_T5_T6_T7_T8_P12ihipStream_tbENKUlT_T0_E_clISt17integral_constantIbLb0EES13_EEDaSY_SZ_EUlSY_E_NS1_11comp_targetILNS1_3genE8ELNS1_11target_archE1030ELNS1_3gpuE2ELNS1_3repE0EEENS1_30default_config_static_selectorELNS0_4arch9wavefront6targetE1EEEvT1_,comdat
	.protected	_ZN7rocprim17ROCPRIM_400000_NS6detail17trampoline_kernelINS0_14default_configENS1_29reduce_by_key_config_selectorIalN6thrust23THRUST_200600_302600_NS4plusIlEEEEZZNS1_33reduce_by_key_impl_wrapped_configILNS1_25lookback_scan_determinismE0ES3_S9_PaNS6_17constant_iteratorIiNS6_11use_defaultESE_EENS6_10device_ptrIaEENSG_IlEEPmS8_NS6_8equal_toIaEEEE10hipError_tPvRmT2_T3_mT4_T5_T6_T7_T8_P12ihipStream_tbENKUlT_T0_E_clISt17integral_constantIbLb0EES13_EEDaSY_SZ_EUlSY_E_NS1_11comp_targetILNS1_3genE8ELNS1_11target_archE1030ELNS1_3gpuE2ELNS1_3repE0EEENS1_30default_config_static_selectorELNS0_4arch9wavefront6targetE1EEEvT1_ ; -- Begin function _ZN7rocprim17ROCPRIM_400000_NS6detail17trampoline_kernelINS0_14default_configENS1_29reduce_by_key_config_selectorIalN6thrust23THRUST_200600_302600_NS4plusIlEEEEZZNS1_33reduce_by_key_impl_wrapped_configILNS1_25lookback_scan_determinismE0ES3_S9_PaNS6_17constant_iteratorIiNS6_11use_defaultESE_EENS6_10device_ptrIaEENSG_IlEEPmS8_NS6_8equal_toIaEEEE10hipError_tPvRmT2_T3_mT4_T5_T6_T7_T8_P12ihipStream_tbENKUlT_T0_E_clISt17integral_constantIbLb0EES13_EEDaSY_SZ_EUlSY_E_NS1_11comp_targetILNS1_3genE8ELNS1_11target_archE1030ELNS1_3gpuE2ELNS1_3repE0EEENS1_30default_config_static_selectorELNS0_4arch9wavefront6targetE1EEEvT1_
	.globl	_ZN7rocprim17ROCPRIM_400000_NS6detail17trampoline_kernelINS0_14default_configENS1_29reduce_by_key_config_selectorIalN6thrust23THRUST_200600_302600_NS4plusIlEEEEZZNS1_33reduce_by_key_impl_wrapped_configILNS1_25lookback_scan_determinismE0ES3_S9_PaNS6_17constant_iteratorIiNS6_11use_defaultESE_EENS6_10device_ptrIaEENSG_IlEEPmS8_NS6_8equal_toIaEEEE10hipError_tPvRmT2_T3_mT4_T5_T6_T7_T8_P12ihipStream_tbENKUlT_T0_E_clISt17integral_constantIbLb0EES13_EEDaSY_SZ_EUlSY_E_NS1_11comp_targetILNS1_3genE8ELNS1_11target_archE1030ELNS1_3gpuE2ELNS1_3repE0EEENS1_30default_config_static_selectorELNS0_4arch9wavefront6targetE1EEEvT1_
	.p2align	8
	.type	_ZN7rocprim17ROCPRIM_400000_NS6detail17trampoline_kernelINS0_14default_configENS1_29reduce_by_key_config_selectorIalN6thrust23THRUST_200600_302600_NS4plusIlEEEEZZNS1_33reduce_by_key_impl_wrapped_configILNS1_25lookback_scan_determinismE0ES3_S9_PaNS6_17constant_iteratorIiNS6_11use_defaultESE_EENS6_10device_ptrIaEENSG_IlEEPmS8_NS6_8equal_toIaEEEE10hipError_tPvRmT2_T3_mT4_T5_T6_T7_T8_P12ihipStream_tbENKUlT_T0_E_clISt17integral_constantIbLb0EES13_EEDaSY_SZ_EUlSY_E_NS1_11comp_targetILNS1_3genE8ELNS1_11target_archE1030ELNS1_3gpuE2ELNS1_3repE0EEENS1_30default_config_static_selectorELNS0_4arch9wavefront6targetE1EEEvT1_,@function
_ZN7rocprim17ROCPRIM_400000_NS6detail17trampoline_kernelINS0_14default_configENS1_29reduce_by_key_config_selectorIalN6thrust23THRUST_200600_302600_NS4plusIlEEEEZZNS1_33reduce_by_key_impl_wrapped_configILNS1_25lookback_scan_determinismE0ES3_S9_PaNS6_17constant_iteratorIiNS6_11use_defaultESE_EENS6_10device_ptrIaEENSG_IlEEPmS8_NS6_8equal_toIaEEEE10hipError_tPvRmT2_T3_mT4_T5_T6_T7_T8_P12ihipStream_tbENKUlT_T0_E_clISt17integral_constantIbLb0EES13_EEDaSY_SZ_EUlSY_E_NS1_11comp_targetILNS1_3genE8ELNS1_11target_archE1030ELNS1_3gpuE2ELNS1_3repE0EEENS1_30default_config_static_selectorELNS0_4arch9wavefront6targetE1EEEvT1_: ; @_ZN7rocprim17ROCPRIM_400000_NS6detail17trampoline_kernelINS0_14default_configENS1_29reduce_by_key_config_selectorIalN6thrust23THRUST_200600_302600_NS4plusIlEEEEZZNS1_33reduce_by_key_impl_wrapped_configILNS1_25lookback_scan_determinismE0ES3_S9_PaNS6_17constant_iteratorIiNS6_11use_defaultESE_EENS6_10device_ptrIaEENSG_IlEEPmS8_NS6_8equal_toIaEEEE10hipError_tPvRmT2_T3_mT4_T5_T6_T7_T8_P12ihipStream_tbENKUlT_T0_E_clISt17integral_constantIbLb0EES13_EEDaSY_SZ_EUlSY_E_NS1_11comp_targetILNS1_3genE8ELNS1_11target_archE1030ELNS1_3gpuE2ELNS1_3repE0EEENS1_30default_config_static_selectorELNS0_4arch9wavefront6targetE1EEEvT1_
; %bb.0:
	.section	.rodata,"a",@progbits
	.p2align	6, 0x0
	.amdhsa_kernel _ZN7rocprim17ROCPRIM_400000_NS6detail17trampoline_kernelINS0_14default_configENS1_29reduce_by_key_config_selectorIalN6thrust23THRUST_200600_302600_NS4plusIlEEEEZZNS1_33reduce_by_key_impl_wrapped_configILNS1_25lookback_scan_determinismE0ES3_S9_PaNS6_17constant_iteratorIiNS6_11use_defaultESE_EENS6_10device_ptrIaEENSG_IlEEPmS8_NS6_8equal_toIaEEEE10hipError_tPvRmT2_T3_mT4_T5_T6_T7_T8_P12ihipStream_tbENKUlT_T0_E_clISt17integral_constantIbLb0EES13_EEDaSY_SZ_EUlSY_E_NS1_11comp_targetILNS1_3genE8ELNS1_11target_archE1030ELNS1_3gpuE2ELNS1_3repE0EEENS1_30default_config_static_selectorELNS0_4arch9wavefront6targetE1EEEvT1_
		.amdhsa_group_segment_fixed_size 0
		.amdhsa_private_segment_fixed_size 0
		.amdhsa_kernarg_size 144
		.amdhsa_user_sgpr_count 6
		.amdhsa_user_sgpr_private_segment_buffer 1
		.amdhsa_user_sgpr_dispatch_ptr 0
		.amdhsa_user_sgpr_queue_ptr 0
		.amdhsa_user_sgpr_kernarg_segment_ptr 1
		.amdhsa_user_sgpr_dispatch_id 0
		.amdhsa_user_sgpr_flat_scratch_init 0
		.amdhsa_user_sgpr_private_segment_size 0
		.amdhsa_uses_dynamic_stack 0
		.amdhsa_system_sgpr_private_segment_wavefront_offset 0
		.amdhsa_system_sgpr_workgroup_id_x 1
		.amdhsa_system_sgpr_workgroup_id_y 0
		.amdhsa_system_sgpr_workgroup_id_z 0
		.amdhsa_system_sgpr_workgroup_info 0
		.amdhsa_system_vgpr_workitem_id 0
		.amdhsa_next_free_vgpr 1
		.amdhsa_next_free_sgpr 0
		.amdhsa_reserve_vcc 0
		.amdhsa_reserve_flat_scratch 0
		.amdhsa_float_round_mode_32 0
		.amdhsa_float_round_mode_16_64 0
		.amdhsa_float_denorm_mode_32 3
		.amdhsa_float_denorm_mode_16_64 3
		.amdhsa_dx10_clamp 1
		.amdhsa_ieee_mode 1
		.amdhsa_fp16_overflow 0
		.amdhsa_exception_fp_ieee_invalid_op 0
		.amdhsa_exception_fp_denorm_src 0
		.amdhsa_exception_fp_ieee_div_zero 0
		.amdhsa_exception_fp_ieee_overflow 0
		.amdhsa_exception_fp_ieee_underflow 0
		.amdhsa_exception_fp_ieee_inexact 0
		.amdhsa_exception_int_div_zero 0
	.end_amdhsa_kernel
	.section	.text._ZN7rocprim17ROCPRIM_400000_NS6detail17trampoline_kernelINS0_14default_configENS1_29reduce_by_key_config_selectorIalN6thrust23THRUST_200600_302600_NS4plusIlEEEEZZNS1_33reduce_by_key_impl_wrapped_configILNS1_25lookback_scan_determinismE0ES3_S9_PaNS6_17constant_iteratorIiNS6_11use_defaultESE_EENS6_10device_ptrIaEENSG_IlEEPmS8_NS6_8equal_toIaEEEE10hipError_tPvRmT2_T3_mT4_T5_T6_T7_T8_P12ihipStream_tbENKUlT_T0_E_clISt17integral_constantIbLb0EES13_EEDaSY_SZ_EUlSY_E_NS1_11comp_targetILNS1_3genE8ELNS1_11target_archE1030ELNS1_3gpuE2ELNS1_3repE0EEENS1_30default_config_static_selectorELNS0_4arch9wavefront6targetE1EEEvT1_,"axG",@progbits,_ZN7rocprim17ROCPRIM_400000_NS6detail17trampoline_kernelINS0_14default_configENS1_29reduce_by_key_config_selectorIalN6thrust23THRUST_200600_302600_NS4plusIlEEEEZZNS1_33reduce_by_key_impl_wrapped_configILNS1_25lookback_scan_determinismE0ES3_S9_PaNS6_17constant_iteratorIiNS6_11use_defaultESE_EENS6_10device_ptrIaEENSG_IlEEPmS8_NS6_8equal_toIaEEEE10hipError_tPvRmT2_T3_mT4_T5_T6_T7_T8_P12ihipStream_tbENKUlT_T0_E_clISt17integral_constantIbLb0EES13_EEDaSY_SZ_EUlSY_E_NS1_11comp_targetILNS1_3genE8ELNS1_11target_archE1030ELNS1_3gpuE2ELNS1_3repE0EEENS1_30default_config_static_selectorELNS0_4arch9wavefront6targetE1EEEvT1_,comdat
.Lfunc_end680:
	.size	_ZN7rocprim17ROCPRIM_400000_NS6detail17trampoline_kernelINS0_14default_configENS1_29reduce_by_key_config_selectorIalN6thrust23THRUST_200600_302600_NS4plusIlEEEEZZNS1_33reduce_by_key_impl_wrapped_configILNS1_25lookback_scan_determinismE0ES3_S9_PaNS6_17constant_iteratorIiNS6_11use_defaultESE_EENS6_10device_ptrIaEENSG_IlEEPmS8_NS6_8equal_toIaEEEE10hipError_tPvRmT2_T3_mT4_T5_T6_T7_T8_P12ihipStream_tbENKUlT_T0_E_clISt17integral_constantIbLb0EES13_EEDaSY_SZ_EUlSY_E_NS1_11comp_targetILNS1_3genE8ELNS1_11target_archE1030ELNS1_3gpuE2ELNS1_3repE0EEENS1_30default_config_static_selectorELNS0_4arch9wavefront6targetE1EEEvT1_, .Lfunc_end680-_ZN7rocprim17ROCPRIM_400000_NS6detail17trampoline_kernelINS0_14default_configENS1_29reduce_by_key_config_selectorIalN6thrust23THRUST_200600_302600_NS4plusIlEEEEZZNS1_33reduce_by_key_impl_wrapped_configILNS1_25lookback_scan_determinismE0ES3_S9_PaNS6_17constant_iteratorIiNS6_11use_defaultESE_EENS6_10device_ptrIaEENSG_IlEEPmS8_NS6_8equal_toIaEEEE10hipError_tPvRmT2_T3_mT4_T5_T6_T7_T8_P12ihipStream_tbENKUlT_T0_E_clISt17integral_constantIbLb0EES13_EEDaSY_SZ_EUlSY_E_NS1_11comp_targetILNS1_3genE8ELNS1_11target_archE1030ELNS1_3gpuE2ELNS1_3repE0EEENS1_30default_config_static_selectorELNS0_4arch9wavefront6targetE1EEEvT1_
                                        ; -- End function
	.set _ZN7rocprim17ROCPRIM_400000_NS6detail17trampoline_kernelINS0_14default_configENS1_29reduce_by_key_config_selectorIalN6thrust23THRUST_200600_302600_NS4plusIlEEEEZZNS1_33reduce_by_key_impl_wrapped_configILNS1_25lookback_scan_determinismE0ES3_S9_PaNS6_17constant_iteratorIiNS6_11use_defaultESE_EENS6_10device_ptrIaEENSG_IlEEPmS8_NS6_8equal_toIaEEEE10hipError_tPvRmT2_T3_mT4_T5_T6_T7_T8_P12ihipStream_tbENKUlT_T0_E_clISt17integral_constantIbLb0EES13_EEDaSY_SZ_EUlSY_E_NS1_11comp_targetILNS1_3genE8ELNS1_11target_archE1030ELNS1_3gpuE2ELNS1_3repE0EEENS1_30default_config_static_selectorELNS0_4arch9wavefront6targetE1EEEvT1_.num_vgpr, 0
	.set _ZN7rocprim17ROCPRIM_400000_NS6detail17trampoline_kernelINS0_14default_configENS1_29reduce_by_key_config_selectorIalN6thrust23THRUST_200600_302600_NS4plusIlEEEEZZNS1_33reduce_by_key_impl_wrapped_configILNS1_25lookback_scan_determinismE0ES3_S9_PaNS6_17constant_iteratorIiNS6_11use_defaultESE_EENS6_10device_ptrIaEENSG_IlEEPmS8_NS6_8equal_toIaEEEE10hipError_tPvRmT2_T3_mT4_T5_T6_T7_T8_P12ihipStream_tbENKUlT_T0_E_clISt17integral_constantIbLb0EES13_EEDaSY_SZ_EUlSY_E_NS1_11comp_targetILNS1_3genE8ELNS1_11target_archE1030ELNS1_3gpuE2ELNS1_3repE0EEENS1_30default_config_static_selectorELNS0_4arch9wavefront6targetE1EEEvT1_.num_agpr, 0
	.set _ZN7rocprim17ROCPRIM_400000_NS6detail17trampoline_kernelINS0_14default_configENS1_29reduce_by_key_config_selectorIalN6thrust23THRUST_200600_302600_NS4plusIlEEEEZZNS1_33reduce_by_key_impl_wrapped_configILNS1_25lookback_scan_determinismE0ES3_S9_PaNS6_17constant_iteratorIiNS6_11use_defaultESE_EENS6_10device_ptrIaEENSG_IlEEPmS8_NS6_8equal_toIaEEEE10hipError_tPvRmT2_T3_mT4_T5_T6_T7_T8_P12ihipStream_tbENKUlT_T0_E_clISt17integral_constantIbLb0EES13_EEDaSY_SZ_EUlSY_E_NS1_11comp_targetILNS1_3genE8ELNS1_11target_archE1030ELNS1_3gpuE2ELNS1_3repE0EEENS1_30default_config_static_selectorELNS0_4arch9wavefront6targetE1EEEvT1_.numbered_sgpr, 0
	.set _ZN7rocprim17ROCPRIM_400000_NS6detail17trampoline_kernelINS0_14default_configENS1_29reduce_by_key_config_selectorIalN6thrust23THRUST_200600_302600_NS4plusIlEEEEZZNS1_33reduce_by_key_impl_wrapped_configILNS1_25lookback_scan_determinismE0ES3_S9_PaNS6_17constant_iteratorIiNS6_11use_defaultESE_EENS6_10device_ptrIaEENSG_IlEEPmS8_NS6_8equal_toIaEEEE10hipError_tPvRmT2_T3_mT4_T5_T6_T7_T8_P12ihipStream_tbENKUlT_T0_E_clISt17integral_constantIbLb0EES13_EEDaSY_SZ_EUlSY_E_NS1_11comp_targetILNS1_3genE8ELNS1_11target_archE1030ELNS1_3gpuE2ELNS1_3repE0EEENS1_30default_config_static_selectorELNS0_4arch9wavefront6targetE1EEEvT1_.num_named_barrier, 0
	.set _ZN7rocprim17ROCPRIM_400000_NS6detail17trampoline_kernelINS0_14default_configENS1_29reduce_by_key_config_selectorIalN6thrust23THRUST_200600_302600_NS4plusIlEEEEZZNS1_33reduce_by_key_impl_wrapped_configILNS1_25lookback_scan_determinismE0ES3_S9_PaNS6_17constant_iteratorIiNS6_11use_defaultESE_EENS6_10device_ptrIaEENSG_IlEEPmS8_NS6_8equal_toIaEEEE10hipError_tPvRmT2_T3_mT4_T5_T6_T7_T8_P12ihipStream_tbENKUlT_T0_E_clISt17integral_constantIbLb0EES13_EEDaSY_SZ_EUlSY_E_NS1_11comp_targetILNS1_3genE8ELNS1_11target_archE1030ELNS1_3gpuE2ELNS1_3repE0EEENS1_30default_config_static_selectorELNS0_4arch9wavefront6targetE1EEEvT1_.private_seg_size, 0
	.set _ZN7rocprim17ROCPRIM_400000_NS6detail17trampoline_kernelINS0_14default_configENS1_29reduce_by_key_config_selectorIalN6thrust23THRUST_200600_302600_NS4plusIlEEEEZZNS1_33reduce_by_key_impl_wrapped_configILNS1_25lookback_scan_determinismE0ES3_S9_PaNS6_17constant_iteratorIiNS6_11use_defaultESE_EENS6_10device_ptrIaEENSG_IlEEPmS8_NS6_8equal_toIaEEEE10hipError_tPvRmT2_T3_mT4_T5_T6_T7_T8_P12ihipStream_tbENKUlT_T0_E_clISt17integral_constantIbLb0EES13_EEDaSY_SZ_EUlSY_E_NS1_11comp_targetILNS1_3genE8ELNS1_11target_archE1030ELNS1_3gpuE2ELNS1_3repE0EEENS1_30default_config_static_selectorELNS0_4arch9wavefront6targetE1EEEvT1_.uses_vcc, 0
	.set _ZN7rocprim17ROCPRIM_400000_NS6detail17trampoline_kernelINS0_14default_configENS1_29reduce_by_key_config_selectorIalN6thrust23THRUST_200600_302600_NS4plusIlEEEEZZNS1_33reduce_by_key_impl_wrapped_configILNS1_25lookback_scan_determinismE0ES3_S9_PaNS6_17constant_iteratorIiNS6_11use_defaultESE_EENS6_10device_ptrIaEENSG_IlEEPmS8_NS6_8equal_toIaEEEE10hipError_tPvRmT2_T3_mT4_T5_T6_T7_T8_P12ihipStream_tbENKUlT_T0_E_clISt17integral_constantIbLb0EES13_EEDaSY_SZ_EUlSY_E_NS1_11comp_targetILNS1_3genE8ELNS1_11target_archE1030ELNS1_3gpuE2ELNS1_3repE0EEENS1_30default_config_static_selectorELNS0_4arch9wavefront6targetE1EEEvT1_.uses_flat_scratch, 0
	.set _ZN7rocprim17ROCPRIM_400000_NS6detail17trampoline_kernelINS0_14default_configENS1_29reduce_by_key_config_selectorIalN6thrust23THRUST_200600_302600_NS4plusIlEEEEZZNS1_33reduce_by_key_impl_wrapped_configILNS1_25lookback_scan_determinismE0ES3_S9_PaNS6_17constant_iteratorIiNS6_11use_defaultESE_EENS6_10device_ptrIaEENSG_IlEEPmS8_NS6_8equal_toIaEEEE10hipError_tPvRmT2_T3_mT4_T5_T6_T7_T8_P12ihipStream_tbENKUlT_T0_E_clISt17integral_constantIbLb0EES13_EEDaSY_SZ_EUlSY_E_NS1_11comp_targetILNS1_3genE8ELNS1_11target_archE1030ELNS1_3gpuE2ELNS1_3repE0EEENS1_30default_config_static_selectorELNS0_4arch9wavefront6targetE1EEEvT1_.has_dyn_sized_stack, 0
	.set _ZN7rocprim17ROCPRIM_400000_NS6detail17trampoline_kernelINS0_14default_configENS1_29reduce_by_key_config_selectorIalN6thrust23THRUST_200600_302600_NS4plusIlEEEEZZNS1_33reduce_by_key_impl_wrapped_configILNS1_25lookback_scan_determinismE0ES3_S9_PaNS6_17constant_iteratorIiNS6_11use_defaultESE_EENS6_10device_ptrIaEENSG_IlEEPmS8_NS6_8equal_toIaEEEE10hipError_tPvRmT2_T3_mT4_T5_T6_T7_T8_P12ihipStream_tbENKUlT_T0_E_clISt17integral_constantIbLb0EES13_EEDaSY_SZ_EUlSY_E_NS1_11comp_targetILNS1_3genE8ELNS1_11target_archE1030ELNS1_3gpuE2ELNS1_3repE0EEENS1_30default_config_static_selectorELNS0_4arch9wavefront6targetE1EEEvT1_.has_recursion, 0
	.set _ZN7rocprim17ROCPRIM_400000_NS6detail17trampoline_kernelINS0_14default_configENS1_29reduce_by_key_config_selectorIalN6thrust23THRUST_200600_302600_NS4plusIlEEEEZZNS1_33reduce_by_key_impl_wrapped_configILNS1_25lookback_scan_determinismE0ES3_S9_PaNS6_17constant_iteratorIiNS6_11use_defaultESE_EENS6_10device_ptrIaEENSG_IlEEPmS8_NS6_8equal_toIaEEEE10hipError_tPvRmT2_T3_mT4_T5_T6_T7_T8_P12ihipStream_tbENKUlT_T0_E_clISt17integral_constantIbLb0EES13_EEDaSY_SZ_EUlSY_E_NS1_11comp_targetILNS1_3genE8ELNS1_11target_archE1030ELNS1_3gpuE2ELNS1_3repE0EEENS1_30default_config_static_selectorELNS0_4arch9wavefront6targetE1EEEvT1_.has_indirect_call, 0
	.section	.AMDGPU.csdata,"",@progbits
; Kernel info:
; codeLenInByte = 0
; TotalNumSgprs: 4
; NumVgprs: 0
; ScratchSize: 0
; MemoryBound: 0
; FloatMode: 240
; IeeeMode: 1
; LDSByteSize: 0 bytes/workgroup (compile time only)
; SGPRBlocks: 0
; VGPRBlocks: 0
; NumSGPRsForWavesPerEU: 4
; NumVGPRsForWavesPerEU: 1
; Occupancy: 10
; WaveLimiterHint : 0
; COMPUTE_PGM_RSRC2:SCRATCH_EN: 0
; COMPUTE_PGM_RSRC2:USER_SGPR: 6
; COMPUTE_PGM_RSRC2:TRAP_HANDLER: 0
; COMPUTE_PGM_RSRC2:TGID_X_EN: 1
; COMPUTE_PGM_RSRC2:TGID_Y_EN: 0
; COMPUTE_PGM_RSRC2:TGID_Z_EN: 0
; COMPUTE_PGM_RSRC2:TIDIG_COMP_CNT: 0
	.section	.text._ZN7rocprim17ROCPRIM_400000_NS6detail17trampoline_kernelINS0_14default_configENS1_29reduce_by_key_config_selectorIalN6thrust23THRUST_200600_302600_NS4plusIlEEEEZZNS1_33reduce_by_key_impl_wrapped_configILNS1_25lookback_scan_determinismE0ES3_S9_PaNS6_17constant_iteratorIiNS6_11use_defaultESE_EENS6_10device_ptrIaEENSG_IlEEPmS8_NS6_8equal_toIaEEEE10hipError_tPvRmT2_T3_mT4_T5_T6_T7_T8_P12ihipStream_tbENKUlT_T0_E_clISt17integral_constantIbLb1EES13_EEDaSY_SZ_EUlSY_E_NS1_11comp_targetILNS1_3genE0ELNS1_11target_archE4294967295ELNS1_3gpuE0ELNS1_3repE0EEENS1_30default_config_static_selectorELNS0_4arch9wavefront6targetE1EEEvT1_,"axG",@progbits,_ZN7rocprim17ROCPRIM_400000_NS6detail17trampoline_kernelINS0_14default_configENS1_29reduce_by_key_config_selectorIalN6thrust23THRUST_200600_302600_NS4plusIlEEEEZZNS1_33reduce_by_key_impl_wrapped_configILNS1_25lookback_scan_determinismE0ES3_S9_PaNS6_17constant_iteratorIiNS6_11use_defaultESE_EENS6_10device_ptrIaEENSG_IlEEPmS8_NS6_8equal_toIaEEEE10hipError_tPvRmT2_T3_mT4_T5_T6_T7_T8_P12ihipStream_tbENKUlT_T0_E_clISt17integral_constantIbLb1EES13_EEDaSY_SZ_EUlSY_E_NS1_11comp_targetILNS1_3genE0ELNS1_11target_archE4294967295ELNS1_3gpuE0ELNS1_3repE0EEENS1_30default_config_static_selectorELNS0_4arch9wavefront6targetE1EEEvT1_,comdat
	.protected	_ZN7rocprim17ROCPRIM_400000_NS6detail17trampoline_kernelINS0_14default_configENS1_29reduce_by_key_config_selectorIalN6thrust23THRUST_200600_302600_NS4plusIlEEEEZZNS1_33reduce_by_key_impl_wrapped_configILNS1_25lookback_scan_determinismE0ES3_S9_PaNS6_17constant_iteratorIiNS6_11use_defaultESE_EENS6_10device_ptrIaEENSG_IlEEPmS8_NS6_8equal_toIaEEEE10hipError_tPvRmT2_T3_mT4_T5_T6_T7_T8_P12ihipStream_tbENKUlT_T0_E_clISt17integral_constantIbLb1EES13_EEDaSY_SZ_EUlSY_E_NS1_11comp_targetILNS1_3genE0ELNS1_11target_archE4294967295ELNS1_3gpuE0ELNS1_3repE0EEENS1_30default_config_static_selectorELNS0_4arch9wavefront6targetE1EEEvT1_ ; -- Begin function _ZN7rocprim17ROCPRIM_400000_NS6detail17trampoline_kernelINS0_14default_configENS1_29reduce_by_key_config_selectorIalN6thrust23THRUST_200600_302600_NS4plusIlEEEEZZNS1_33reduce_by_key_impl_wrapped_configILNS1_25lookback_scan_determinismE0ES3_S9_PaNS6_17constant_iteratorIiNS6_11use_defaultESE_EENS6_10device_ptrIaEENSG_IlEEPmS8_NS6_8equal_toIaEEEE10hipError_tPvRmT2_T3_mT4_T5_T6_T7_T8_P12ihipStream_tbENKUlT_T0_E_clISt17integral_constantIbLb1EES13_EEDaSY_SZ_EUlSY_E_NS1_11comp_targetILNS1_3genE0ELNS1_11target_archE4294967295ELNS1_3gpuE0ELNS1_3repE0EEENS1_30default_config_static_selectorELNS0_4arch9wavefront6targetE1EEEvT1_
	.globl	_ZN7rocprim17ROCPRIM_400000_NS6detail17trampoline_kernelINS0_14default_configENS1_29reduce_by_key_config_selectorIalN6thrust23THRUST_200600_302600_NS4plusIlEEEEZZNS1_33reduce_by_key_impl_wrapped_configILNS1_25lookback_scan_determinismE0ES3_S9_PaNS6_17constant_iteratorIiNS6_11use_defaultESE_EENS6_10device_ptrIaEENSG_IlEEPmS8_NS6_8equal_toIaEEEE10hipError_tPvRmT2_T3_mT4_T5_T6_T7_T8_P12ihipStream_tbENKUlT_T0_E_clISt17integral_constantIbLb1EES13_EEDaSY_SZ_EUlSY_E_NS1_11comp_targetILNS1_3genE0ELNS1_11target_archE4294967295ELNS1_3gpuE0ELNS1_3repE0EEENS1_30default_config_static_selectorELNS0_4arch9wavefront6targetE1EEEvT1_
	.p2align	8
	.type	_ZN7rocprim17ROCPRIM_400000_NS6detail17trampoline_kernelINS0_14default_configENS1_29reduce_by_key_config_selectorIalN6thrust23THRUST_200600_302600_NS4plusIlEEEEZZNS1_33reduce_by_key_impl_wrapped_configILNS1_25lookback_scan_determinismE0ES3_S9_PaNS6_17constant_iteratorIiNS6_11use_defaultESE_EENS6_10device_ptrIaEENSG_IlEEPmS8_NS6_8equal_toIaEEEE10hipError_tPvRmT2_T3_mT4_T5_T6_T7_T8_P12ihipStream_tbENKUlT_T0_E_clISt17integral_constantIbLb1EES13_EEDaSY_SZ_EUlSY_E_NS1_11comp_targetILNS1_3genE0ELNS1_11target_archE4294967295ELNS1_3gpuE0ELNS1_3repE0EEENS1_30default_config_static_selectorELNS0_4arch9wavefront6targetE1EEEvT1_,@function
_ZN7rocprim17ROCPRIM_400000_NS6detail17trampoline_kernelINS0_14default_configENS1_29reduce_by_key_config_selectorIalN6thrust23THRUST_200600_302600_NS4plusIlEEEEZZNS1_33reduce_by_key_impl_wrapped_configILNS1_25lookback_scan_determinismE0ES3_S9_PaNS6_17constant_iteratorIiNS6_11use_defaultESE_EENS6_10device_ptrIaEENSG_IlEEPmS8_NS6_8equal_toIaEEEE10hipError_tPvRmT2_T3_mT4_T5_T6_T7_T8_P12ihipStream_tbENKUlT_T0_E_clISt17integral_constantIbLb1EES13_EEDaSY_SZ_EUlSY_E_NS1_11comp_targetILNS1_3genE0ELNS1_11target_archE4294967295ELNS1_3gpuE0ELNS1_3repE0EEENS1_30default_config_static_selectorELNS0_4arch9wavefront6targetE1EEEvT1_: ; @_ZN7rocprim17ROCPRIM_400000_NS6detail17trampoline_kernelINS0_14default_configENS1_29reduce_by_key_config_selectorIalN6thrust23THRUST_200600_302600_NS4plusIlEEEEZZNS1_33reduce_by_key_impl_wrapped_configILNS1_25lookback_scan_determinismE0ES3_S9_PaNS6_17constant_iteratorIiNS6_11use_defaultESE_EENS6_10device_ptrIaEENSG_IlEEPmS8_NS6_8equal_toIaEEEE10hipError_tPvRmT2_T3_mT4_T5_T6_T7_T8_P12ihipStream_tbENKUlT_T0_E_clISt17integral_constantIbLb1EES13_EEDaSY_SZ_EUlSY_E_NS1_11comp_targetILNS1_3genE0ELNS1_11target_archE4294967295ELNS1_3gpuE0ELNS1_3repE0EEENS1_30default_config_static_selectorELNS0_4arch9wavefront6targetE1EEEvT1_
; %bb.0:
	.section	.rodata,"a",@progbits
	.p2align	6, 0x0
	.amdhsa_kernel _ZN7rocprim17ROCPRIM_400000_NS6detail17trampoline_kernelINS0_14default_configENS1_29reduce_by_key_config_selectorIalN6thrust23THRUST_200600_302600_NS4plusIlEEEEZZNS1_33reduce_by_key_impl_wrapped_configILNS1_25lookback_scan_determinismE0ES3_S9_PaNS6_17constant_iteratorIiNS6_11use_defaultESE_EENS6_10device_ptrIaEENSG_IlEEPmS8_NS6_8equal_toIaEEEE10hipError_tPvRmT2_T3_mT4_T5_T6_T7_T8_P12ihipStream_tbENKUlT_T0_E_clISt17integral_constantIbLb1EES13_EEDaSY_SZ_EUlSY_E_NS1_11comp_targetILNS1_3genE0ELNS1_11target_archE4294967295ELNS1_3gpuE0ELNS1_3repE0EEENS1_30default_config_static_selectorELNS0_4arch9wavefront6targetE1EEEvT1_
		.amdhsa_group_segment_fixed_size 0
		.amdhsa_private_segment_fixed_size 0
		.amdhsa_kernarg_size 144
		.amdhsa_user_sgpr_count 6
		.amdhsa_user_sgpr_private_segment_buffer 1
		.amdhsa_user_sgpr_dispatch_ptr 0
		.amdhsa_user_sgpr_queue_ptr 0
		.amdhsa_user_sgpr_kernarg_segment_ptr 1
		.amdhsa_user_sgpr_dispatch_id 0
		.amdhsa_user_sgpr_flat_scratch_init 0
		.amdhsa_user_sgpr_private_segment_size 0
		.amdhsa_uses_dynamic_stack 0
		.amdhsa_system_sgpr_private_segment_wavefront_offset 0
		.amdhsa_system_sgpr_workgroup_id_x 1
		.amdhsa_system_sgpr_workgroup_id_y 0
		.amdhsa_system_sgpr_workgroup_id_z 0
		.amdhsa_system_sgpr_workgroup_info 0
		.amdhsa_system_vgpr_workitem_id 0
		.amdhsa_next_free_vgpr 1
		.amdhsa_next_free_sgpr 0
		.amdhsa_reserve_vcc 0
		.amdhsa_reserve_flat_scratch 0
		.amdhsa_float_round_mode_32 0
		.amdhsa_float_round_mode_16_64 0
		.amdhsa_float_denorm_mode_32 3
		.amdhsa_float_denorm_mode_16_64 3
		.amdhsa_dx10_clamp 1
		.amdhsa_ieee_mode 1
		.amdhsa_fp16_overflow 0
		.amdhsa_exception_fp_ieee_invalid_op 0
		.amdhsa_exception_fp_denorm_src 0
		.amdhsa_exception_fp_ieee_div_zero 0
		.amdhsa_exception_fp_ieee_overflow 0
		.amdhsa_exception_fp_ieee_underflow 0
		.amdhsa_exception_fp_ieee_inexact 0
		.amdhsa_exception_int_div_zero 0
	.end_amdhsa_kernel
	.section	.text._ZN7rocprim17ROCPRIM_400000_NS6detail17trampoline_kernelINS0_14default_configENS1_29reduce_by_key_config_selectorIalN6thrust23THRUST_200600_302600_NS4plusIlEEEEZZNS1_33reduce_by_key_impl_wrapped_configILNS1_25lookback_scan_determinismE0ES3_S9_PaNS6_17constant_iteratorIiNS6_11use_defaultESE_EENS6_10device_ptrIaEENSG_IlEEPmS8_NS6_8equal_toIaEEEE10hipError_tPvRmT2_T3_mT4_T5_T6_T7_T8_P12ihipStream_tbENKUlT_T0_E_clISt17integral_constantIbLb1EES13_EEDaSY_SZ_EUlSY_E_NS1_11comp_targetILNS1_3genE0ELNS1_11target_archE4294967295ELNS1_3gpuE0ELNS1_3repE0EEENS1_30default_config_static_selectorELNS0_4arch9wavefront6targetE1EEEvT1_,"axG",@progbits,_ZN7rocprim17ROCPRIM_400000_NS6detail17trampoline_kernelINS0_14default_configENS1_29reduce_by_key_config_selectorIalN6thrust23THRUST_200600_302600_NS4plusIlEEEEZZNS1_33reduce_by_key_impl_wrapped_configILNS1_25lookback_scan_determinismE0ES3_S9_PaNS6_17constant_iteratorIiNS6_11use_defaultESE_EENS6_10device_ptrIaEENSG_IlEEPmS8_NS6_8equal_toIaEEEE10hipError_tPvRmT2_T3_mT4_T5_T6_T7_T8_P12ihipStream_tbENKUlT_T0_E_clISt17integral_constantIbLb1EES13_EEDaSY_SZ_EUlSY_E_NS1_11comp_targetILNS1_3genE0ELNS1_11target_archE4294967295ELNS1_3gpuE0ELNS1_3repE0EEENS1_30default_config_static_selectorELNS0_4arch9wavefront6targetE1EEEvT1_,comdat
.Lfunc_end681:
	.size	_ZN7rocprim17ROCPRIM_400000_NS6detail17trampoline_kernelINS0_14default_configENS1_29reduce_by_key_config_selectorIalN6thrust23THRUST_200600_302600_NS4plusIlEEEEZZNS1_33reduce_by_key_impl_wrapped_configILNS1_25lookback_scan_determinismE0ES3_S9_PaNS6_17constant_iteratorIiNS6_11use_defaultESE_EENS6_10device_ptrIaEENSG_IlEEPmS8_NS6_8equal_toIaEEEE10hipError_tPvRmT2_T3_mT4_T5_T6_T7_T8_P12ihipStream_tbENKUlT_T0_E_clISt17integral_constantIbLb1EES13_EEDaSY_SZ_EUlSY_E_NS1_11comp_targetILNS1_3genE0ELNS1_11target_archE4294967295ELNS1_3gpuE0ELNS1_3repE0EEENS1_30default_config_static_selectorELNS0_4arch9wavefront6targetE1EEEvT1_, .Lfunc_end681-_ZN7rocprim17ROCPRIM_400000_NS6detail17trampoline_kernelINS0_14default_configENS1_29reduce_by_key_config_selectorIalN6thrust23THRUST_200600_302600_NS4plusIlEEEEZZNS1_33reduce_by_key_impl_wrapped_configILNS1_25lookback_scan_determinismE0ES3_S9_PaNS6_17constant_iteratorIiNS6_11use_defaultESE_EENS6_10device_ptrIaEENSG_IlEEPmS8_NS6_8equal_toIaEEEE10hipError_tPvRmT2_T3_mT4_T5_T6_T7_T8_P12ihipStream_tbENKUlT_T0_E_clISt17integral_constantIbLb1EES13_EEDaSY_SZ_EUlSY_E_NS1_11comp_targetILNS1_3genE0ELNS1_11target_archE4294967295ELNS1_3gpuE0ELNS1_3repE0EEENS1_30default_config_static_selectorELNS0_4arch9wavefront6targetE1EEEvT1_
                                        ; -- End function
	.set _ZN7rocprim17ROCPRIM_400000_NS6detail17trampoline_kernelINS0_14default_configENS1_29reduce_by_key_config_selectorIalN6thrust23THRUST_200600_302600_NS4plusIlEEEEZZNS1_33reduce_by_key_impl_wrapped_configILNS1_25lookback_scan_determinismE0ES3_S9_PaNS6_17constant_iteratorIiNS6_11use_defaultESE_EENS6_10device_ptrIaEENSG_IlEEPmS8_NS6_8equal_toIaEEEE10hipError_tPvRmT2_T3_mT4_T5_T6_T7_T8_P12ihipStream_tbENKUlT_T0_E_clISt17integral_constantIbLb1EES13_EEDaSY_SZ_EUlSY_E_NS1_11comp_targetILNS1_3genE0ELNS1_11target_archE4294967295ELNS1_3gpuE0ELNS1_3repE0EEENS1_30default_config_static_selectorELNS0_4arch9wavefront6targetE1EEEvT1_.num_vgpr, 0
	.set _ZN7rocprim17ROCPRIM_400000_NS6detail17trampoline_kernelINS0_14default_configENS1_29reduce_by_key_config_selectorIalN6thrust23THRUST_200600_302600_NS4plusIlEEEEZZNS1_33reduce_by_key_impl_wrapped_configILNS1_25lookback_scan_determinismE0ES3_S9_PaNS6_17constant_iteratorIiNS6_11use_defaultESE_EENS6_10device_ptrIaEENSG_IlEEPmS8_NS6_8equal_toIaEEEE10hipError_tPvRmT2_T3_mT4_T5_T6_T7_T8_P12ihipStream_tbENKUlT_T0_E_clISt17integral_constantIbLb1EES13_EEDaSY_SZ_EUlSY_E_NS1_11comp_targetILNS1_3genE0ELNS1_11target_archE4294967295ELNS1_3gpuE0ELNS1_3repE0EEENS1_30default_config_static_selectorELNS0_4arch9wavefront6targetE1EEEvT1_.num_agpr, 0
	.set _ZN7rocprim17ROCPRIM_400000_NS6detail17trampoline_kernelINS0_14default_configENS1_29reduce_by_key_config_selectorIalN6thrust23THRUST_200600_302600_NS4plusIlEEEEZZNS1_33reduce_by_key_impl_wrapped_configILNS1_25lookback_scan_determinismE0ES3_S9_PaNS6_17constant_iteratorIiNS6_11use_defaultESE_EENS6_10device_ptrIaEENSG_IlEEPmS8_NS6_8equal_toIaEEEE10hipError_tPvRmT2_T3_mT4_T5_T6_T7_T8_P12ihipStream_tbENKUlT_T0_E_clISt17integral_constantIbLb1EES13_EEDaSY_SZ_EUlSY_E_NS1_11comp_targetILNS1_3genE0ELNS1_11target_archE4294967295ELNS1_3gpuE0ELNS1_3repE0EEENS1_30default_config_static_selectorELNS0_4arch9wavefront6targetE1EEEvT1_.numbered_sgpr, 0
	.set _ZN7rocprim17ROCPRIM_400000_NS6detail17trampoline_kernelINS0_14default_configENS1_29reduce_by_key_config_selectorIalN6thrust23THRUST_200600_302600_NS4plusIlEEEEZZNS1_33reduce_by_key_impl_wrapped_configILNS1_25lookback_scan_determinismE0ES3_S9_PaNS6_17constant_iteratorIiNS6_11use_defaultESE_EENS6_10device_ptrIaEENSG_IlEEPmS8_NS6_8equal_toIaEEEE10hipError_tPvRmT2_T3_mT4_T5_T6_T7_T8_P12ihipStream_tbENKUlT_T0_E_clISt17integral_constantIbLb1EES13_EEDaSY_SZ_EUlSY_E_NS1_11comp_targetILNS1_3genE0ELNS1_11target_archE4294967295ELNS1_3gpuE0ELNS1_3repE0EEENS1_30default_config_static_selectorELNS0_4arch9wavefront6targetE1EEEvT1_.num_named_barrier, 0
	.set _ZN7rocprim17ROCPRIM_400000_NS6detail17trampoline_kernelINS0_14default_configENS1_29reduce_by_key_config_selectorIalN6thrust23THRUST_200600_302600_NS4plusIlEEEEZZNS1_33reduce_by_key_impl_wrapped_configILNS1_25lookback_scan_determinismE0ES3_S9_PaNS6_17constant_iteratorIiNS6_11use_defaultESE_EENS6_10device_ptrIaEENSG_IlEEPmS8_NS6_8equal_toIaEEEE10hipError_tPvRmT2_T3_mT4_T5_T6_T7_T8_P12ihipStream_tbENKUlT_T0_E_clISt17integral_constantIbLb1EES13_EEDaSY_SZ_EUlSY_E_NS1_11comp_targetILNS1_3genE0ELNS1_11target_archE4294967295ELNS1_3gpuE0ELNS1_3repE0EEENS1_30default_config_static_selectorELNS0_4arch9wavefront6targetE1EEEvT1_.private_seg_size, 0
	.set _ZN7rocprim17ROCPRIM_400000_NS6detail17trampoline_kernelINS0_14default_configENS1_29reduce_by_key_config_selectorIalN6thrust23THRUST_200600_302600_NS4plusIlEEEEZZNS1_33reduce_by_key_impl_wrapped_configILNS1_25lookback_scan_determinismE0ES3_S9_PaNS6_17constant_iteratorIiNS6_11use_defaultESE_EENS6_10device_ptrIaEENSG_IlEEPmS8_NS6_8equal_toIaEEEE10hipError_tPvRmT2_T3_mT4_T5_T6_T7_T8_P12ihipStream_tbENKUlT_T0_E_clISt17integral_constantIbLb1EES13_EEDaSY_SZ_EUlSY_E_NS1_11comp_targetILNS1_3genE0ELNS1_11target_archE4294967295ELNS1_3gpuE0ELNS1_3repE0EEENS1_30default_config_static_selectorELNS0_4arch9wavefront6targetE1EEEvT1_.uses_vcc, 0
	.set _ZN7rocprim17ROCPRIM_400000_NS6detail17trampoline_kernelINS0_14default_configENS1_29reduce_by_key_config_selectorIalN6thrust23THRUST_200600_302600_NS4plusIlEEEEZZNS1_33reduce_by_key_impl_wrapped_configILNS1_25lookback_scan_determinismE0ES3_S9_PaNS6_17constant_iteratorIiNS6_11use_defaultESE_EENS6_10device_ptrIaEENSG_IlEEPmS8_NS6_8equal_toIaEEEE10hipError_tPvRmT2_T3_mT4_T5_T6_T7_T8_P12ihipStream_tbENKUlT_T0_E_clISt17integral_constantIbLb1EES13_EEDaSY_SZ_EUlSY_E_NS1_11comp_targetILNS1_3genE0ELNS1_11target_archE4294967295ELNS1_3gpuE0ELNS1_3repE0EEENS1_30default_config_static_selectorELNS0_4arch9wavefront6targetE1EEEvT1_.uses_flat_scratch, 0
	.set _ZN7rocprim17ROCPRIM_400000_NS6detail17trampoline_kernelINS0_14default_configENS1_29reduce_by_key_config_selectorIalN6thrust23THRUST_200600_302600_NS4plusIlEEEEZZNS1_33reduce_by_key_impl_wrapped_configILNS1_25lookback_scan_determinismE0ES3_S9_PaNS6_17constant_iteratorIiNS6_11use_defaultESE_EENS6_10device_ptrIaEENSG_IlEEPmS8_NS6_8equal_toIaEEEE10hipError_tPvRmT2_T3_mT4_T5_T6_T7_T8_P12ihipStream_tbENKUlT_T0_E_clISt17integral_constantIbLb1EES13_EEDaSY_SZ_EUlSY_E_NS1_11comp_targetILNS1_3genE0ELNS1_11target_archE4294967295ELNS1_3gpuE0ELNS1_3repE0EEENS1_30default_config_static_selectorELNS0_4arch9wavefront6targetE1EEEvT1_.has_dyn_sized_stack, 0
	.set _ZN7rocprim17ROCPRIM_400000_NS6detail17trampoline_kernelINS0_14default_configENS1_29reduce_by_key_config_selectorIalN6thrust23THRUST_200600_302600_NS4plusIlEEEEZZNS1_33reduce_by_key_impl_wrapped_configILNS1_25lookback_scan_determinismE0ES3_S9_PaNS6_17constant_iteratorIiNS6_11use_defaultESE_EENS6_10device_ptrIaEENSG_IlEEPmS8_NS6_8equal_toIaEEEE10hipError_tPvRmT2_T3_mT4_T5_T6_T7_T8_P12ihipStream_tbENKUlT_T0_E_clISt17integral_constantIbLb1EES13_EEDaSY_SZ_EUlSY_E_NS1_11comp_targetILNS1_3genE0ELNS1_11target_archE4294967295ELNS1_3gpuE0ELNS1_3repE0EEENS1_30default_config_static_selectorELNS0_4arch9wavefront6targetE1EEEvT1_.has_recursion, 0
	.set _ZN7rocprim17ROCPRIM_400000_NS6detail17trampoline_kernelINS0_14default_configENS1_29reduce_by_key_config_selectorIalN6thrust23THRUST_200600_302600_NS4plusIlEEEEZZNS1_33reduce_by_key_impl_wrapped_configILNS1_25lookback_scan_determinismE0ES3_S9_PaNS6_17constant_iteratorIiNS6_11use_defaultESE_EENS6_10device_ptrIaEENSG_IlEEPmS8_NS6_8equal_toIaEEEE10hipError_tPvRmT2_T3_mT4_T5_T6_T7_T8_P12ihipStream_tbENKUlT_T0_E_clISt17integral_constantIbLb1EES13_EEDaSY_SZ_EUlSY_E_NS1_11comp_targetILNS1_3genE0ELNS1_11target_archE4294967295ELNS1_3gpuE0ELNS1_3repE0EEENS1_30default_config_static_selectorELNS0_4arch9wavefront6targetE1EEEvT1_.has_indirect_call, 0
	.section	.AMDGPU.csdata,"",@progbits
; Kernel info:
; codeLenInByte = 0
; TotalNumSgprs: 4
; NumVgprs: 0
; ScratchSize: 0
; MemoryBound: 0
; FloatMode: 240
; IeeeMode: 1
; LDSByteSize: 0 bytes/workgroup (compile time only)
; SGPRBlocks: 0
; VGPRBlocks: 0
; NumSGPRsForWavesPerEU: 4
; NumVGPRsForWavesPerEU: 1
; Occupancy: 10
; WaveLimiterHint : 0
; COMPUTE_PGM_RSRC2:SCRATCH_EN: 0
; COMPUTE_PGM_RSRC2:USER_SGPR: 6
; COMPUTE_PGM_RSRC2:TRAP_HANDLER: 0
; COMPUTE_PGM_RSRC2:TGID_X_EN: 1
; COMPUTE_PGM_RSRC2:TGID_Y_EN: 0
; COMPUTE_PGM_RSRC2:TGID_Z_EN: 0
; COMPUTE_PGM_RSRC2:TIDIG_COMP_CNT: 0
	.section	.text._ZN7rocprim17ROCPRIM_400000_NS6detail17trampoline_kernelINS0_14default_configENS1_29reduce_by_key_config_selectorIalN6thrust23THRUST_200600_302600_NS4plusIlEEEEZZNS1_33reduce_by_key_impl_wrapped_configILNS1_25lookback_scan_determinismE0ES3_S9_PaNS6_17constant_iteratorIiNS6_11use_defaultESE_EENS6_10device_ptrIaEENSG_IlEEPmS8_NS6_8equal_toIaEEEE10hipError_tPvRmT2_T3_mT4_T5_T6_T7_T8_P12ihipStream_tbENKUlT_T0_E_clISt17integral_constantIbLb1EES13_EEDaSY_SZ_EUlSY_E_NS1_11comp_targetILNS1_3genE5ELNS1_11target_archE942ELNS1_3gpuE9ELNS1_3repE0EEENS1_30default_config_static_selectorELNS0_4arch9wavefront6targetE1EEEvT1_,"axG",@progbits,_ZN7rocprim17ROCPRIM_400000_NS6detail17trampoline_kernelINS0_14default_configENS1_29reduce_by_key_config_selectorIalN6thrust23THRUST_200600_302600_NS4plusIlEEEEZZNS1_33reduce_by_key_impl_wrapped_configILNS1_25lookback_scan_determinismE0ES3_S9_PaNS6_17constant_iteratorIiNS6_11use_defaultESE_EENS6_10device_ptrIaEENSG_IlEEPmS8_NS6_8equal_toIaEEEE10hipError_tPvRmT2_T3_mT4_T5_T6_T7_T8_P12ihipStream_tbENKUlT_T0_E_clISt17integral_constantIbLb1EES13_EEDaSY_SZ_EUlSY_E_NS1_11comp_targetILNS1_3genE5ELNS1_11target_archE942ELNS1_3gpuE9ELNS1_3repE0EEENS1_30default_config_static_selectorELNS0_4arch9wavefront6targetE1EEEvT1_,comdat
	.protected	_ZN7rocprim17ROCPRIM_400000_NS6detail17trampoline_kernelINS0_14default_configENS1_29reduce_by_key_config_selectorIalN6thrust23THRUST_200600_302600_NS4plusIlEEEEZZNS1_33reduce_by_key_impl_wrapped_configILNS1_25lookback_scan_determinismE0ES3_S9_PaNS6_17constant_iteratorIiNS6_11use_defaultESE_EENS6_10device_ptrIaEENSG_IlEEPmS8_NS6_8equal_toIaEEEE10hipError_tPvRmT2_T3_mT4_T5_T6_T7_T8_P12ihipStream_tbENKUlT_T0_E_clISt17integral_constantIbLb1EES13_EEDaSY_SZ_EUlSY_E_NS1_11comp_targetILNS1_3genE5ELNS1_11target_archE942ELNS1_3gpuE9ELNS1_3repE0EEENS1_30default_config_static_selectorELNS0_4arch9wavefront6targetE1EEEvT1_ ; -- Begin function _ZN7rocprim17ROCPRIM_400000_NS6detail17trampoline_kernelINS0_14default_configENS1_29reduce_by_key_config_selectorIalN6thrust23THRUST_200600_302600_NS4plusIlEEEEZZNS1_33reduce_by_key_impl_wrapped_configILNS1_25lookback_scan_determinismE0ES3_S9_PaNS6_17constant_iteratorIiNS6_11use_defaultESE_EENS6_10device_ptrIaEENSG_IlEEPmS8_NS6_8equal_toIaEEEE10hipError_tPvRmT2_T3_mT4_T5_T6_T7_T8_P12ihipStream_tbENKUlT_T0_E_clISt17integral_constantIbLb1EES13_EEDaSY_SZ_EUlSY_E_NS1_11comp_targetILNS1_3genE5ELNS1_11target_archE942ELNS1_3gpuE9ELNS1_3repE0EEENS1_30default_config_static_selectorELNS0_4arch9wavefront6targetE1EEEvT1_
	.globl	_ZN7rocprim17ROCPRIM_400000_NS6detail17trampoline_kernelINS0_14default_configENS1_29reduce_by_key_config_selectorIalN6thrust23THRUST_200600_302600_NS4plusIlEEEEZZNS1_33reduce_by_key_impl_wrapped_configILNS1_25lookback_scan_determinismE0ES3_S9_PaNS6_17constant_iteratorIiNS6_11use_defaultESE_EENS6_10device_ptrIaEENSG_IlEEPmS8_NS6_8equal_toIaEEEE10hipError_tPvRmT2_T3_mT4_T5_T6_T7_T8_P12ihipStream_tbENKUlT_T0_E_clISt17integral_constantIbLb1EES13_EEDaSY_SZ_EUlSY_E_NS1_11comp_targetILNS1_3genE5ELNS1_11target_archE942ELNS1_3gpuE9ELNS1_3repE0EEENS1_30default_config_static_selectorELNS0_4arch9wavefront6targetE1EEEvT1_
	.p2align	8
	.type	_ZN7rocprim17ROCPRIM_400000_NS6detail17trampoline_kernelINS0_14default_configENS1_29reduce_by_key_config_selectorIalN6thrust23THRUST_200600_302600_NS4plusIlEEEEZZNS1_33reduce_by_key_impl_wrapped_configILNS1_25lookback_scan_determinismE0ES3_S9_PaNS6_17constant_iteratorIiNS6_11use_defaultESE_EENS6_10device_ptrIaEENSG_IlEEPmS8_NS6_8equal_toIaEEEE10hipError_tPvRmT2_T3_mT4_T5_T6_T7_T8_P12ihipStream_tbENKUlT_T0_E_clISt17integral_constantIbLb1EES13_EEDaSY_SZ_EUlSY_E_NS1_11comp_targetILNS1_3genE5ELNS1_11target_archE942ELNS1_3gpuE9ELNS1_3repE0EEENS1_30default_config_static_selectorELNS0_4arch9wavefront6targetE1EEEvT1_,@function
_ZN7rocprim17ROCPRIM_400000_NS6detail17trampoline_kernelINS0_14default_configENS1_29reduce_by_key_config_selectorIalN6thrust23THRUST_200600_302600_NS4plusIlEEEEZZNS1_33reduce_by_key_impl_wrapped_configILNS1_25lookback_scan_determinismE0ES3_S9_PaNS6_17constant_iteratorIiNS6_11use_defaultESE_EENS6_10device_ptrIaEENSG_IlEEPmS8_NS6_8equal_toIaEEEE10hipError_tPvRmT2_T3_mT4_T5_T6_T7_T8_P12ihipStream_tbENKUlT_T0_E_clISt17integral_constantIbLb1EES13_EEDaSY_SZ_EUlSY_E_NS1_11comp_targetILNS1_3genE5ELNS1_11target_archE942ELNS1_3gpuE9ELNS1_3repE0EEENS1_30default_config_static_selectorELNS0_4arch9wavefront6targetE1EEEvT1_: ; @_ZN7rocprim17ROCPRIM_400000_NS6detail17trampoline_kernelINS0_14default_configENS1_29reduce_by_key_config_selectorIalN6thrust23THRUST_200600_302600_NS4plusIlEEEEZZNS1_33reduce_by_key_impl_wrapped_configILNS1_25lookback_scan_determinismE0ES3_S9_PaNS6_17constant_iteratorIiNS6_11use_defaultESE_EENS6_10device_ptrIaEENSG_IlEEPmS8_NS6_8equal_toIaEEEE10hipError_tPvRmT2_T3_mT4_T5_T6_T7_T8_P12ihipStream_tbENKUlT_T0_E_clISt17integral_constantIbLb1EES13_EEDaSY_SZ_EUlSY_E_NS1_11comp_targetILNS1_3genE5ELNS1_11target_archE942ELNS1_3gpuE9ELNS1_3repE0EEENS1_30default_config_static_selectorELNS0_4arch9wavefront6targetE1EEEvT1_
; %bb.0:
	.section	.rodata,"a",@progbits
	.p2align	6, 0x0
	.amdhsa_kernel _ZN7rocprim17ROCPRIM_400000_NS6detail17trampoline_kernelINS0_14default_configENS1_29reduce_by_key_config_selectorIalN6thrust23THRUST_200600_302600_NS4plusIlEEEEZZNS1_33reduce_by_key_impl_wrapped_configILNS1_25lookback_scan_determinismE0ES3_S9_PaNS6_17constant_iteratorIiNS6_11use_defaultESE_EENS6_10device_ptrIaEENSG_IlEEPmS8_NS6_8equal_toIaEEEE10hipError_tPvRmT2_T3_mT4_T5_T6_T7_T8_P12ihipStream_tbENKUlT_T0_E_clISt17integral_constantIbLb1EES13_EEDaSY_SZ_EUlSY_E_NS1_11comp_targetILNS1_3genE5ELNS1_11target_archE942ELNS1_3gpuE9ELNS1_3repE0EEENS1_30default_config_static_selectorELNS0_4arch9wavefront6targetE1EEEvT1_
		.amdhsa_group_segment_fixed_size 0
		.amdhsa_private_segment_fixed_size 0
		.amdhsa_kernarg_size 144
		.amdhsa_user_sgpr_count 6
		.amdhsa_user_sgpr_private_segment_buffer 1
		.amdhsa_user_sgpr_dispatch_ptr 0
		.amdhsa_user_sgpr_queue_ptr 0
		.amdhsa_user_sgpr_kernarg_segment_ptr 1
		.amdhsa_user_sgpr_dispatch_id 0
		.amdhsa_user_sgpr_flat_scratch_init 0
		.amdhsa_user_sgpr_private_segment_size 0
		.amdhsa_uses_dynamic_stack 0
		.amdhsa_system_sgpr_private_segment_wavefront_offset 0
		.amdhsa_system_sgpr_workgroup_id_x 1
		.amdhsa_system_sgpr_workgroup_id_y 0
		.amdhsa_system_sgpr_workgroup_id_z 0
		.amdhsa_system_sgpr_workgroup_info 0
		.amdhsa_system_vgpr_workitem_id 0
		.amdhsa_next_free_vgpr 1
		.amdhsa_next_free_sgpr 0
		.amdhsa_reserve_vcc 0
		.amdhsa_reserve_flat_scratch 0
		.amdhsa_float_round_mode_32 0
		.amdhsa_float_round_mode_16_64 0
		.amdhsa_float_denorm_mode_32 3
		.amdhsa_float_denorm_mode_16_64 3
		.amdhsa_dx10_clamp 1
		.amdhsa_ieee_mode 1
		.amdhsa_fp16_overflow 0
		.amdhsa_exception_fp_ieee_invalid_op 0
		.amdhsa_exception_fp_denorm_src 0
		.amdhsa_exception_fp_ieee_div_zero 0
		.amdhsa_exception_fp_ieee_overflow 0
		.amdhsa_exception_fp_ieee_underflow 0
		.amdhsa_exception_fp_ieee_inexact 0
		.amdhsa_exception_int_div_zero 0
	.end_amdhsa_kernel
	.section	.text._ZN7rocprim17ROCPRIM_400000_NS6detail17trampoline_kernelINS0_14default_configENS1_29reduce_by_key_config_selectorIalN6thrust23THRUST_200600_302600_NS4plusIlEEEEZZNS1_33reduce_by_key_impl_wrapped_configILNS1_25lookback_scan_determinismE0ES3_S9_PaNS6_17constant_iteratorIiNS6_11use_defaultESE_EENS6_10device_ptrIaEENSG_IlEEPmS8_NS6_8equal_toIaEEEE10hipError_tPvRmT2_T3_mT4_T5_T6_T7_T8_P12ihipStream_tbENKUlT_T0_E_clISt17integral_constantIbLb1EES13_EEDaSY_SZ_EUlSY_E_NS1_11comp_targetILNS1_3genE5ELNS1_11target_archE942ELNS1_3gpuE9ELNS1_3repE0EEENS1_30default_config_static_selectorELNS0_4arch9wavefront6targetE1EEEvT1_,"axG",@progbits,_ZN7rocprim17ROCPRIM_400000_NS6detail17trampoline_kernelINS0_14default_configENS1_29reduce_by_key_config_selectorIalN6thrust23THRUST_200600_302600_NS4plusIlEEEEZZNS1_33reduce_by_key_impl_wrapped_configILNS1_25lookback_scan_determinismE0ES3_S9_PaNS6_17constant_iteratorIiNS6_11use_defaultESE_EENS6_10device_ptrIaEENSG_IlEEPmS8_NS6_8equal_toIaEEEE10hipError_tPvRmT2_T3_mT4_T5_T6_T7_T8_P12ihipStream_tbENKUlT_T0_E_clISt17integral_constantIbLb1EES13_EEDaSY_SZ_EUlSY_E_NS1_11comp_targetILNS1_3genE5ELNS1_11target_archE942ELNS1_3gpuE9ELNS1_3repE0EEENS1_30default_config_static_selectorELNS0_4arch9wavefront6targetE1EEEvT1_,comdat
.Lfunc_end682:
	.size	_ZN7rocprim17ROCPRIM_400000_NS6detail17trampoline_kernelINS0_14default_configENS1_29reduce_by_key_config_selectorIalN6thrust23THRUST_200600_302600_NS4plusIlEEEEZZNS1_33reduce_by_key_impl_wrapped_configILNS1_25lookback_scan_determinismE0ES3_S9_PaNS6_17constant_iteratorIiNS6_11use_defaultESE_EENS6_10device_ptrIaEENSG_IlEEPmS8_NS6_8equal_toIaEEEE10hipError_tPvRmT2_T3_mT4_T5_T6_T7_T8_P12ihipStream_tbENKUlT_T0_E_clISt17integral_constantIbLb1EES13_EEDaSY_SZ_EUlSY_E_NS1_11comp_targetILNS1_3genE5ELNS1_11target_archE942ELNS1_3gpuE9ELNS1_3repE0EEENS1_30default_config_static_selectorELNS0_4arch9wavefront6targetE1EEEvT1_, .Lfunc_end682-_ZN7rocprim17ROCPRIM_400000_NS6detail17trampoline_kernelINS0_14default_configENS1_29reduce_by_key_config_selectorIalN6thrust23THRUST_200600_302600_NS4plusIlEEEEZZNS1_33reduce_by_key_impl_wrapped_configILNS1_25lookback_scan_determinismE0ES3_S9_PaNS6_17constant_iteratorIiNS6_11use_defaultESE_EENS6_10device_ptrIaEENSG_IlEEPmS8_NS6_8equal_toIaEEEE10hipError_tPvRmT2_T3_mT4_T5_T6_T7_T8_P12ihipStream_tbENKUlT_T0_E_clISt17integral_constantIbLb1EES13_EEDaSY_SZ_EUlSY_E_NS1_11comp_targetILNS1_3genE5ELNS1_11target_archE942ELNS1_3gpuE9ELNS1_3repE0EEENS1_30default_config_static_selectorELNS0_4arch9wavefront6targetE1EEEvT1_
                                        ; -- End function
	.set _ZN7rocprim17ROCPRIM_400000_NS6detail17trampoline_kernelINS0_14default_configENS1_29reduce_by_key_config_selectorIalN6thrust23THRUST_200600_302600_NS4plusIlEEEEZZNS1_33reduce_by_key_impl_wrapped_configILNS1_25lookback_scan_determinismE0ES3_S9_PaNS6_17constant_iteratorIiNS6_11use_defaultESE_EENS6_10device_ptrIaEENSG_IlEEPmS8_NS6_8equal_toIaEEEE10hipError_tPvRmT2_T3_mT4_T5_T6_T7_T8_P12ihipStream_tbENKUlT_T0_E_clISt17integral_constantIbLb1EES13_EEDaSY_SZ_EUlSY_E_NS1_11comp_targetILNS1_3genE5ELNS1_11target_archE942ELNS1_3gpuE9ELNS1_3repE0EEENS1_30default_config_static_selectorELNS0_4arch9wavefront6targetE1EEEvT1_.num_vgpr, 0
	.set _ZN7rocprim17ROCPRIM_400000_NS6detail17trampoline_kernelINS0_14default_configENS1_29reduce_by_key_config_selectorIalN6thrust23THRUST_200600_302600_NS4plusIlEEEEZZNS1_33reduce_by_key_impl_wrapped_configILNS1_25lookback_scan_determinismE0ES3_S9_PaNS6_17constant_iteratorIiNS6_11use_defaultESE_EENS6_10device_ptrIaEENSG_IlEEPmS8_NS6_8equal_toIaEEEE10hipError_tPvRmT2_T3_mT4_T5_T6_T7_T8_P12ihipStream_tbENKUlT_T0_E_clISt17integral_constantIbLb1EES13_EEDaSY_SZ_EUlSY_E_NS1_11comp_targetILNS1_3genE5ELNS1_11target_archE942ELNS1_3gpuE9ELNS1_3repE0EEENS1_30default_config_static_selectorELNS0_4arch9wavefront6targetE1EEEvT1_.num_agpr, 0
	.set _ZN7rocprim17ROCPRIM_400000_NS6detail17trampoline_kernelINS0_14default_configENS1_29reduce_by_key_config_selectorIalN6thrust23THRUST_200600_302600_NS4plusIlEEEEZZNS1_33reduce_by_key_impl_wrapped_configILNS1_25lookback_scan_determinismE0ES3_S9_PaNS6_17constant_iteratorIiNS6_11use_defaultESE_EENS6_10device_ptrIaEENSG_IlEEPmS8_NS6_8equal_toIaEEEE10hipError_tPvRmT2_T3_mT4_T5_T6_T7_T8_P12ihipStream_tbENKUlT_T0_E_clISt17integral_constantIbLb1EES13_EEDaSY_SZ_EUlSY_E_NS1_11comp_targetILNS1_3genE5ELNS1_11target_archE942ELNS1_3gpuE9ELNS1_3repE0EEENS1_30default_config_static_selectorELNS0_4arch9wavefront6targetE1EEEvT1_.numbered_sgpr, 0
	.set _ZN7rocprim17ROCPRIM_400000_NS6detail17trampoline_kernelINS0_14default_configENS1_29reduce_by_key_config_selectorIalN6thrust23THRUST_200600_302600_NS4plusIlEEEEZZNS1_33reduce_by_key_impl_wrapped_configILNS1_25lookback_scan_determinismE0ES3_S9_PaNS6_17constant_iteratorIiNS6_11use_defaultESE_EENS6_10device_ptrIaEENSG_IlEEPmS8_NS6_8equal_toIaEEEE10hipError_tPvRmT2_T3_mT4_T5_T6_T7_T8_P12ihipStream_tbENKUlT_T0_E_clISt17integral_constantIbLb1EES13_EEDaSY_SZ_EUlSY_E_NS1_11comp_targetILNS1_3genE5ELNS1_11target_archE942ELNS1_3gpuE9ELNS1_3repE0EEENS1_30default_config_static_selectorELNS0_4arch9wavefront6targetE1EEEvT1_.num_named_barrier, 0
	.set _ZN7rocprim17ROCPRIM_400000_NS6detail17trampoline_kernelINS0_14default_configENS1_29reduce_by_key_config_selectorIalN6thrust23THRUST_200600_302600_NS4plusIlEEEEZZNS1_33reduce_by_key_impl_wrapped_configILNS1_25lookback_scan_determinismE0ES3_S9_PaNS6_17constant_iteratorIiNS6_11use_defaultESE_EENS6_10device_ptrIaEENSG_IlEEPmS8_NS6_8equal_toIaEEEE10hipError_tPvRmT2_T3_mT4_T5_T6_T7_T8_P12ihipStream_tbENKUlT_T0_E_clISt17integral_constantIbLb1EES13_EEDaSY_SZ_EUlSY_E_NS1_11comp_targetILNS1_3genE5ELNS1_11target_archE942ELNS1_3gpuE9ELNS1_3repE0EEENS1_30default_config_static_selectorELNS0_4arch9wavefront6targetE1EEEvT1_.private_seg_size, 0
	.set _ZN7rocprim17ROCPRIM_400000_NS6detail17trampoline_kernelINS0_14default_configENS1_29reduce_by_key_config_selectorIalN6thrust23THRUST_200600_302600_NS4plusIlEEEEZZNS1_33reduce_by_key_impl_wrapped_configILNS1_25lookback_scan_determinismE0ES3_S9_PaNS6_17constant_iteratorIiNS6_11use_defaultESE_EENS6_10device_ptrIaEENSG_IlEEPmS8_NS6_8equal_toIaEEEE10hipError_tPvRmT2_T3_mT4_T5_T6_T7_T8_P12ihipStream_tbENKUlT_T0_E_clISt17integral_constantIbLb1EES13_EEDaSY_SZ_EUlSY_E_NS1_11comp_targetILNS1_3genE5ELNS1_11target_archE942ELNS1_3gpuE9ELNS1_3repE0EEENS1_30default_config_static_selectorELNS0_4arch9wavefront6targetE1EEEvT1_.uses_vcc, 0
	.set _ZN7rocprim17ROCPRIM_400000_NS6detail17trampoline_kernelINS0_14default_configENS1_29reduce_by_key_config_selectorIalN6thrust23THRUST_200600_302600_NS4plusIlEEEEZZNS1_33reduce_by_key_impl_wrapped_configILNS1_25lookback_scan_determinismE0ES3_S9_PaNS6_17constant_iteratorIiNS6_11use_defaultESE_EENS6_10device_ptrIaEENSG_IlEEPmS8_NS6_8equal_toIaEEEE10hipError_tPvRmT2_T3_mT4_T5_T6_T7_T8_P12ihipStream_tbENKUlT_T0_E_clISt17integral_constantIbLb1EES13_EEDaSY_SZ_EUlSY_E_NS1_11comp_targetILNS1_3genE5ELNS1_11target_archE942ELNS1_3gpuE9ELNS1_3repE0EEENS1_30default_config_static_selectorELNS0_4arch9wavefront6targetE1EEEvT1_.uses_flat_scratch, 0
	.set _ZN7rocprim17ROCPRIM_400000_NS6detail17trampoline_kernelINS0_14default_configENS1_29reduce_by_key_config_selectorIalN6thrust23THRUST_200600_302600_NS4plusIlEEEEZZNS1_33reduce_by_key_impl_wrapped_configILNS1_25lookback_scan_determinismE0ES3_S9_PaNS6_17constant_iteratorIiNS6_11use_defaultESE_EENS6_10device_ptrIaEENSG_IlEEPmS8_NS6_8equal_toIaEEEE10hipError_tPvRmT2_T3_mT4_T5_T6_T7_T8_P12ihipStream_tbENKUlT_T0_E_clISt17integral_constantIbLb1EES13_EEDaSY_SZ_EUlSY_E_NS1_11comp_targetILNS1_3genE5ELNS1_11target_archE942ELNS1_3gpuE9ELNS1_3repE0EEENS1_30default_config_static_selectorELNS0_4arch9wavefront6targetE1EEEvT1_.has_dyn_sized_stack, 0
	.set _ZN7rocprim17ROCPRIM_400000_NS6detail17trampoline_kernelINS0_14default_configENS1_29reduce_by_key_config_selectorIalN6thrust23THRUST_200600_302600_NS4plusIlEEEEZZNS1_33reduce_by_key_impl_wrapped_configILNS1_25lookback_scan_determinismE0ES3_S9_PaNS6_17constant_iteratorIiNS6_11use_defaultESE_EENS6_10device_ptrIaEENSG_IlEEPmS8_NS6_8equal_toIaEEEE10hipError_tPvRmT2_T3_mT4_T5_T6_T7_T8_P12ihipStream_tbENKUlT_T0_E_clISt17integral_constantIbLb1EES13_EEDaSY_SZ_EUlSY_E_NS1_11comp_targetILNS1_3genE5ELNS1_11target_archE942ELNS1_3gpuE9ELNS1_3repE0EEENS1_30default_config_static_selectorELNS0_4arch9wavefront6targetE1EEEvT1_.has_recursion, 0
	.set _ZN7rocprim17ROCPRIM_400000_NS6detail17trampoline_kernelINS0_14default_configENS1_29reduce_by_key_config_selectorIalN6thrust23THRUST_200600_302600_NS4plusIlEEEEZZNS1_33reduce_by_key_impl_wrapped_configILNS1_25lookback_scan_determinismE0ES3_S9_PaNS6_17constant_iteratorIiNS6_11use_defaultESE_EENS6_10device_ptrIaEENSG_IlEEPmS8_NS6_8equal_toIaEEEE10hipError_tPvRmT2_T3_mT4_T5_T6_T7_T8_P12ihipStream_tbENKUlT_T0_E_clISt17integral_constantIbLb1EES13_EEDaSY_SZ_EUlSY_E_NS1_11comp_targetILNS1_3genE5ELNS1_11target_archE942ELNS1_3gpuE9ELNS1_3repE0EEENS1_30default_config_static_selectorELNS0_4arch9wavefront6targetE1EEEvT1_.has_indirect_call, 0
	.section	.AMDGPU.csdata,"",@progbits
; Kernel info:
; codeLenInByte = 0
; TotalNumSgprs: 4
; NumVgprs: 0
; ScratchSize: 0
; MemoryBound: 0
; FloatMode: 240
; IeeeMode: 1
; LDSByteSize: 0 bytes/workgroup (compile time only)
; SGPRBlocks: 0
; VGPRBlocks: 0
; NumSGPRsForWavesPerEU: 4
; NumVGPRsForWavesPerEU: 1
; Occupancy: 10
; WaveLimiterHint : 0
; COMPUTE_PGM_RSRC2:SCRATCH_EN: 0
; COMPUTE_PGM_RSRC2:USER_SGPR: 6
; COMPUTE_PGM_RSRC2:TRAP_HANDLER: 0
; COMPUTE_PGM_RSRC2:TGID_X_EN: 1
; COMPUTE_PGM_RSRC2:TGID_Y_EN: 0
; COMPUTE_PGM_RSRC2:TGID_Z_EN: 0
; COMPUTE_PGM_RSRC2:TIDIG_COMP_CNT: 0
	.section	.text._ZN7rocprim17ROCPRIM_400000_NS6detail17trampoline_kernelINS0_14default_configENS1_29reduce_by_key_config_selectorIalN6thrust23THRUST_200600_302600_NS4plusIlEEEEZZNS1_33reduce_by_key_impl_wrapped_configILNS1_25lookback_scan_determinismE0ES3_S9_PaNS6_17constant_iteratorIiNS6_11use_defaultESE_EENS6_10device_ptrIaEENSG_IlEEPmS8_NS6_8equal_toIaEEEE10hipError_tPvRmT2_T3_mT4_T5_T6_T7_T8_P12ihipStream_tbENKUlT_T0_E_clISt17integral_constantIbLb1EES13_EEDaSY_SZ_EUlSY_E_NS1_11comp_targetILNS1_3genE4ELNS1_11target_archE910ELNS1_3gpuE8ELNS1_3repE0EEENS1_30default_config_static_selectorELNS0_4arch9wavefront6targetE1EEEvT1_,"axG",@progbits,_ZN7rocprim17ROCPRIM_400000_NS6detail17trampoline_kernelINS0_14default_configENS1_29reduce_by_key_config_selectorIalN6thrust23THRUST_200600_302600_NS4plusIlEEEEZZNS1_33reduce_by_key_impl_wrapped_configILNS1_25lookback_scan_determinismE0ES3_S9_PaNS6_17constant_iteratorIiNS6_11use_defaultESE_EENS6_10device_ptrIaEENSG_IlEEPmS8_NS6_8equal_toIaEEEE10hipError_tPvRmT2_T3_mT4_T5_T6_T7_T8_P12ihipStream_tbENKUlT_T0_E_clISt17integral_constantIbLb1EES13_EEDaSY_SZ_EUlSY_E_NS1_11comp_targetILNS1_3genE4ELNS1_11target_archE910ELNS1_3gpuE8ELNS1_3repE0EEENS1_30default_config_static_selectorELNS0_4arch9wavefront6targetE1EEEvT1_,comdat
	.protected	_ZN7rocprim17ROCPRIM_400000_NS6detail17trampoline_kernelINS0_14default_configENS1_29reduce_by_key_config_selectorIalN6thrust23THRUST_200600_302600_NS4plusIlEEEEZZNS1_33reduce_by_key_impl_wrapped_configILNS1_25lookback_scan_determinismE0ES3_S9_PaNS6_17constant_iteratorIiNS6_11use_defaultESE_EENS6_10device_ptrIaEENSG_IlEEPmS8_NS6_8equal_toIaEEEE10hipError_tPvRmT2_T3_mT4_T5_T6_T7_T8_P12ihipStream_tbENKUlT_T0_E_clISt17integral_constantIbLb1EES13_EEDaSY_SZ_EUlSY_E_NS1_11comp_targetILNS1_3genE4ELNS1_11target_archE910ELNS1_3gpuE8ELNS1_3repE0EEENS1_30default_config_static_selectorELNS0_4arch9wavefront6targetE1EEEvT1_ ; -- Begin function _ZN7rocprim17ROCPRIM_400000_NS6detail17trampoline_kernelINS0_14default_configENS1_29reduce_by_key_config_selectorIalN6thrust23THRUST_200600_302600_NS4plusIlEEEEZZNS1_33reduce_by_key_impl_wrapped_configILNS1_25lookback_scan_determinismE0ES3_S9_PaNS6_17constant_iteratorIiNS6_11use_defaultESE_EENS6_10device_ptrIaEENSG_IlEEPmS8_NS6_8equal_toIaEEEE10hipError_tPvRmT2_T3_mT4_T5_T6_T7_T8_P12ihipStream_tbENKUlT_T0_E_clISt17integral_constantIbLb1EES13_EEDaSY_SZ_EUlSY_E_NS1_11comp_targetILNS1_3genE4ELNS1_11target_archE910ELNS1_3gpuE8ELNS1_3repE0EEENS1_30default_config_static_selectorELNS0_4arch9wavefront6targetE1EEEvT1_
	.globl	_ZN7rocprim17ROCPRIM_400000_NS6detail17trampoline_kernelINS0_14default_configENS1_29reduce_by_key_config_selectorIalN6thrust23THRUST_200600_302600_NS4plusIlEEEEZZNS1_33reduce_by_key_impl_wrapped_configILNS1_25lookback_scan_determinismE0ES3_S9_PaNS6_17constant_iteratorIiNS6_11use_defaultESE_EENS6_10device_ptrIaEENSG_IlEEPmS8_NS6_8equal_toIaEEEE10hipError_tPvRmT2_T3_mT4_T5_T6_T7_T8_P12ihipStream_tbENKUlT_T0_E_clISt17integral_constantIbLb1EES13_EEDaSY_SZ_EUlSY_E_NS1_11comp_targetILNS1_3genE4ELNS1_11target_archE910ELNS1_3gpuE8ELNS1_3repE0EEENS1_30default_config_static_selectorELNS0_4arch9wavefront6targetE1EEEvT1_
	.p2align	8
	.type	_ZN7rocprim17ROCPRIM_400000_NS6detail17trampoline_kernelINS0_14default_configENS1_29reduce_by_key_config_selectorIalN6thrust23THRUST_200600_302600_NS4plusIlEEEEZZNS1_33reduce_by_key_impl_wrapped_configILNS1_25lookback_scan_determinismE0ES3_S9_PaNS6_17constant_iteratorIiNS6_11use_defaultESE_EENS6_10device_ptrIaEENSG_IlEEPmS8_NS6_8equal_toIaEEEE10hipError_tPvRmT2_T3_mT4_T5_T6_T7_T8_P12ihipStream_tbENKUlT_T0_E_clISt17integral_constantIbLb1EES13_EEDaSY_SZ_EUlSY_E_NS1_11comp_targetILNS1_3genE4ELNS1_11target_archE910ELNS1_3gpuE8ELNS1_3repE0EEENS1_30default_config_static_selectorELNS0_4arch9wavefront6targetE1EEEvT1_,@function
_ZN7rocprim17ROCPRIM_400000_NS6detail17trampoline_kernelINS0_14default_configENS1_29reduce_by_key_config_selectorIalN6thrust23THRUST_200600_302600_NS4plusIlEEEEZZNS1_33reduce_by_key_impl_wrapped_configILNS1_25lookback_scan_determinismE0ES3_S9_PaNS6_17constant_iteratorIiNS6_11use_defaultESE_EENS6_10device_ptrIaEENSG_IlEEPmS8_NS6_8equal_toIaEEEE10hipError_tPvRmT2_T3_mT4_T5_T6_T7_T8_P12ihipStream_tbENKUlT_T0_E_clISt17integral_constantIbLb1EES13_EEDaSY_SZ_EUlSY_E_NS1_11comp_targetILNS1_3genE4ELNS1_11target_archE910ELNS1_3gpuE8ELNS1_3repE0EEENS1_30default_config_static_selectorELNS0_4arch9wavefront6targetE1EEEvT1_: ; @_ZN7rocprim17ROCPRIM_400000_NS6detail17trampoline_kernelINS0_14default_configENS1_29reduce_by_key_config_selectorIalN6thrust23THRUST_200600_302600_NS4plusIlEEEEZZNS1_33reduce_by_key_impl_wrapped_configILNS1_25lookback_scan_determinismE0ES3_S9_PaNS6_17constant_iteratorIiNS6_11use_defaultESE_EENS6_10device_ptrIaEENSG_IlEEPmS8_NS6_8equal_toIaEEEE10hipError_tPvRmT2_T3_mT4_T5_T6_T7_T8_P12ihipStream_tbENKUlT_T0_E_clISt17integral_constantIbLb1EES13_EEDaSY_SZ_EUlSY_E_NS1_11comp_targetILNS1_3genE4ELNS1_11target_archE910ELNS1_3gpuE8ELNS1_3repE0EEENS1_30default_config_static_selectorELNS0_4arch9wavefront6targetE1EEEvT1_
; %bb.0:
	.section	.rodata,"a",@progbits
	.p2align	6, 0x0
	.amdhsa_kernel _ZN7rocprim17ROCPRIM_400000_NS6detail17trampoline_kernelINS0_14default_configENS1_29reduce_by_key_config_selectorIalN6thrust23THRUST_200600_302600_NS4plusIlEEEEZZNS1_33reduce_by_key_impl_wrapped_configILNS1_25lookback_scan_determinismE0ES3_S9_PaNS6_17constant_iteratorIiNS6_11use_defaultESE_EENS6_10device_ptrIaEENSG_IlEEPmS8_NS6_8equal_toIaEEEE10hipError_tPvRmT2_T3_mT4_T5_T6_T7_T8_P12ihipStream_tbENKUlT_T0_E_clISt17integral_constantIbLb1EES13_EEDaSY_SZ_EUlSY_E_NS1_11comp_targetILNS1_3genE4ELNS1_11target_archE910ELNS1_3gpuE8ELNS1_3repE0EEENS1_30default_config_static_selectorELNS0_4arch9wavefront6targetE1EEEvT1_
		.amdhsa_group_segment_fixed_size 0
		.amdhsa_private_segment_fixed_size 0
		.amdhsa_kernarg_size 144
		.amdhsa_user_sgpr_count 6
		.amdhsa_user_sgpr_private_segment_buffer 1
		.amdhsa_user_sgpr_dispatch_ptr 0
		.amdhsa_user_sgpr_queue_ptr 0
		.amdhsa_user_sgpr_kernarg_segment_ptr 1
		.amdhsa_user_sgpr_dispatch_id 0
		.amdhsa_user_sgpr_flat_scratch_init 0
		.amdhsa_user_sgpr_private_segment_size 0
		.amdhsa_uses_dynamic_stack 0
		.amdhsa_system_sgpr_private_segment_wavefront_offset 0
		.amdhsa_system_sgpr_workgroup_id_x 1
		.amdhsa_system_sgpr_workgroup_id_y 0
		.amdhsa_system_sgpr_workgroup_id_z 0
		.amdhsa_system_sgpr_workgroup_info 0
		.amdhsa_system_vgpr_workitem_id 0
		.amdhsa_next_free_vgpr 1
		.amdhsa_next_free_sgpr 0
		.amdhsa_reserve_vcc 0
		.amdhsa_reserve_flat_scratch 0
		.amdhsa_float_round_mode_32 0
		.amdhsa_float_round_mode_16_64 0
		.amdhsa_float_denorm_mode_32 3
		.amdhsa_float_denorm_mode_16_64 3
		.amdhsa_dx10_clamp 1
		.amdhsa_ieee_mode 1
		.amdhsa_fp16_overflow 0
		.amdhsa_exception_fp_ieee_invalid_op 0
		.amdhsa_exception_fp_denorm_src 0
		.amdhsa_exception_fp_ieee_div_zero 0
		.amdhsa_exception_fp_ieee_overflow 0
		.amdhsa_exception_fp_ieee_underflow 0
		.amdhsa_exception_fp_ieee_inexact 0
		.amdhsa_exception_int_div_zero 0
	.end_amdhsa_kernel
	.section	.text._ZN7rocprim17ROCPRIM_400000_NS6detail17trampoline_kernelINS0_14default_configENS1_29reduce_by_key_config_selectorIalN6thrust23THRUST_200600_302600_NS4plusIlEEEEZZNS1_33reduce_by_key_impl_wrapped_configILNS1_25lookback_scan_determinismE0ES3_S9_PaNS6_17constant_iteratorIiNS6_11use_defaultESE_EENS6_10device_ptrIaEENSG_IlEEPmS8_NS6_8equal_toIaEEEE10hipError_tPvRmT2_T3_mT4_T5_T6_T7_T8_P12ihipStream_tbENKUlT_T0_E_clISt17integral_constantIbLb1EES13_EEDaSY_SZ_EUlSY_E_NS1_11comp_targetILNS1_3genE4ELNS1_11target_archE910ELNS1_3gpuE8ELNS1_3repE0EEENS1_30default_config_static_selectorELNS0_4arch9wavefront6targetE1EEEvT1_,"axG",@progbits,_ZN7rocprim17ROCPRIM_400000_NS6detail17trampoline_kernelINS0_14default_configENS1_29reduce_by_key_config_selectorIalN6thrust23THRUST_200600_302600_NS4plusIlEEEEZZNS1_33reduce_by_key_impl_wrapped_configILNS1_25lookback_scan_determinismE0ES3_S9_PaNS6_17constant_iteratorIiNS6_11use_defaultESE_EENS6_10device_ptrIaEENSG_IlEEPmS8_NS6_8equal_toIaEEEE10hipError_tPvRmT2_T3_mT4_T5_T6_T7_T8_P12ihipStream_tbENKUlT_T0_E_clISt17integral_constantIbLb1EES13_EEDaSY_SZ_EUlSY_E_NS1_11comp_targetILNS1_3genE4ELNS1_11target_archE910ELNS1_3gpuE8ELNS1_3repE0EEENS1_30default_config_static_selectorELNS0_4arch9wavefront6targetE1EEEvT1_,comdat
.Lfunc_end683:
	.size	_ZN7rocprim17ROCPRIM_400000_NS6detail17trampoline_kernelINS0_14default_configENS1_29reduce_by_key_config_selectorIalN6thrust23THRUST_200600_302600_NS4plusIlEEEEZZNS1_33reduce_by_key_impl_wrapped_configILNS1_25lookback_scan_determinismE0ES3_S9_PaNS6_17constant_iteratorIiNS6_11use_defaultESE_EENS6_10device_ptrIaEENSG_IlEEPmS8_NS6_8equal_toIaEEEE10hipError_tPvRmT2_T3_mT4_T5_T6_T7_T8_P12ihipStream_tbENKUlT_T0_E_clISt17integral_constantIbLb1EES13_EEDaSY_SZ_EUlSY_E_NS1_11comp_targetILNS1_3genE4ELNS1_11target_archE910ELNS1_3gpuE8ELNS1_3repE0EEENS1_30default_config_static_selectorELNS0_4arch9wavefront6targetE1EEEvT1_, .Lfunc_end683-_ZN7rocprim17ROCPRIM_400000_NS6detail17trampoline_kernelINS0_14default_configENS1_29reduce_by_key_config_selectorIalN6thrust23THRUST_200600_302600_NS4plusIlEEEEZZNS1_33reduce_by_key_impl_wrapped_configILNS1_25lookback_scan_determinismE0ES3_S9_PaNS6_17constant_iteratorIiNS6_11use_defaultESE_EENS6_10device_ptrIaEENSG_IlEEPmS8_NS6_8equal_toIaEEEE10hipError_tPvRmT2_T3_mT4_T5_T6_T7_T8_P12ihipStream_tbENKUlT_T0_E_clISt17integral_constantIbLb1EES13_EEDaSY_SZ_EUlSY_E_NS1_11comp_targetILNS1_3genE4ELNS1_11target_archE910ELNS1_3gpuE8ELNS1_3repE0EEENS1_30default_config_static_selectorELNS0_4arch9wavefront6targetE1EEEvT1_
                                        ; -- End function
	.set _ZN7rocprim17ROCPRIM_400000_NS6detail17trampoline_kernelINS0_14default_configENS1_29reduce_by_key_config_selectorIalN6thrust23THRUST_200600_302600_NS4plusIlEEEEZZNS1_33reduce_by_key_impl_wrapped_configILNS1_25lookback_scan_determinismE0ES3_S9_PaNS6_17constant_iteratorIiNS6_11use_defaultESE_EENS6_10device_ptrIaEENSG_IlEEPmS8_NS6_8equal_toIaEEEE10hipError_tPvRmT2_T3_mT4_T5_T6_T7_T8_P12ihipStream_tbENKUlT_T0_E_clISt17integral_constantIbLb1EES13_EEDaSY_SZ_EUlSY_E_NS1_11comp_targetILNS1_3genE4ELNS1_11target_archE910ELNS1_3gpuE8ELNS1_3repE0EEENS1_30default_config_static_selectorELNS0_4arch9wavefront6targetE1EEEvT1_.num_vgpr, 0
	.set _ZN7rocprim17ROCPRIM_400000_NS6detail17trampoline_kernelINS0_14default_configENS1_29reduce_by_key_config_selectorIalN6thrust23THRUST_200600_302600_NS4plusIlEEEEZZNS1_33reduce_by_key_impl_wrapped_configILNS1_25lookback_scan_determinismE0ES3_S9_PaNS6_17constant_iteratorIiNS6_11use_defaultESE_EENS6_10device_ptrIaEENSG_IlEEPmS8_NS6_8equal_toIaEEEE10hipError_tPvRmT2_T3_mT4_T5_T6_T7_T8_P12ihipStream_tbENKUlT_T0_E_clISt17integral_constantIbLb1EES13_EEDaSY_SZ_EUlSY_E_NS1_11comp_targetILNS1_3genE4ELNS1_11target_archE910ELNS1_3gpuE8ELNS1_3repE0EEENS1_30default_config_static_selectorELNS0_4arch9wavefront6targetE1EEEvT1_.num_agpr, 0
	.set _ZN7rocprim17ROCPRIM_400000_NS6detail17trampoline_kernelINS0_14default_configENS1_29reduce_by_key_config_selectorIalN6thrust23THRUST_200600_302600_NS4plusIlEEEEZZNS1_33reduce_by_key_impl_wrapped_configILNS1_25lookback_scan_determinismE0ES3_S9_PaNS6_17constant_iteratorIiNS6_11use_defaultESE_EENS6_10device_ptrIaEENSG_IlEEPmS8_NS6_8equal_toIaEEEE10hipError_tPvRmT2_T3_mT4_T5_T6_T7_T8_P12ihipStream_tbENKUlT_T0_E_clISt17integral_constantIbLb1EES13_EEDaSY_SZ_EUlSY_E_NS1_11comp_targetILNS1_3genE4ELNS1_11target_archE910ELNS1_3gpuE8ELNS1_3repE0EEENS1_30default_config_static_selectorELNS0_4arch9wavefront6targetE1EEEvT1_.numbered_sgpr, 0
	.set _ZN7rocprim17ROCPRIM_400000_NS6detail17trampoline_kernelINS0_14default_configENS1_29reduce_by_key_config_selectorIalN6thrust23THRUST_200600_302600_NS4plusIlEEEEZZNS1_33reduce_by_key_impl_wrapped_configILNS1_25lookback_scan_determinismE0ES3_S9_PaNS6_17constant_iteratorIiNS6_11use_defaultESE_EENS6_10device_ptrIaEENSG_IlEEPmS8_NS6_8equal_toIaEEEE10hipError_tPvRmT2_T3_mT4_T5_T6_T7_T8_P12ihipStream_tbENKUlT_T0_E_clISt17integral_constantIbLb1EES13_EEDaSY_SZ_EUlSY_E_NS1_11comp_targetILNS1_3genE4ELNS1_11target_archE910ELNS1_3gpuE8ELNS1_3repE0EEENS1_30default_config_static_selectorELNS0_4arch9wavefront6targetE1EEEvT1_.num_named_barrier, 0
	.set _ZN7rocprim17ROCPRIM_400000_NS6detail17trampoline_kernelINS0_14default_configENS1_29reduce_by_key_config_selectorIalN6thrust23THRUST_200600_302600_NS4plusIlEEEEZZNS1_33reduce_by_key_impl_wrapped_configILNS1_25lookback_scan_determinismE0ES3_S9_PaNS6_17constant_iteratorIiNS6_11use_defaultESE_EENS6_10device_ptrIaEENSG_IlEEPmS8_NS6_8equal_toIaEEEE10hipError_tPvRmT2_T3_mT4_T5_T6_T7_T8_P12ihipStream_tbENKUlT_T0_E_clISt17integral_constantIbLb1EES13_EEDaSY_SZ_EUlSY_E_NS1_11comp_targetILNS1_3genE4ELNS1_11target_archE910ELNS1_3gpuE8ELNS1_3repE0EEENS1_30default_config_static_selectorELNS0_4arch9wavefront6targetE1EEEvT1_.private_seg_size, 0
	.set _ZN7rocprim17ROCPRIM_400000_NS6detail17trampoline_kernelINS0_14default_configENS1_29reduce_by_key_config_selectorIalN6thrust23THRUST_200600_302600_NS4plusIlEEEEZZNS1_33reduce_by_key_impl_wrapped_configILNS1_25lookback_scan_determinismE0ES3_S9_PaNS6_17constant_iteratorIiNS6_11use_defaultESE_EENS6_10device_ptrIaEENSG_IlEEPmS8_NS6_8equal_toIaEEEE10hipError_tPvRmT2_T3_mT4_T5_T6_T7_T8_P12ihipStream_tbENKUlT_T0_E_clISt17integral_constantIbLb1EES13_EEDaSY_SZ_EUlSY_E_NS1_11comp_targetILNS1_3genE4ELNS1_11target_archE910ELNS1_3gpuE8ELNS1_3repE0EEENS1_30default_config_static_selectorELNS0_4arch9wavefront6targetE1EEEvT1_.uses_vcc, 0
	.set _ZN7rocprim17ROCPRIM_400000_NS6detail17trampoline_kernelINS0_14default_configENS1_29reduce_by_key_config_selectorIalN6thrust23THRUST_200600_302600_NS4plusIlEEEEZZNS1_33reduce_by_key_impl_wrapped_configILNS1_25lookback_scan_determinismE0ES3_S9_PaNS6_17constant_iteratorIiNS6_11use_defaultESE_EENS6_10device_ptrIaEENSG_IlEEPmS8_NS6_8equal_toIaEEEE10hipError_tPvRmT2_T3_mT4_T5_T6_T7_T8_P12ihipStream_tbENKUlT_T0_E_clISt17integral_constantIbLb1EES13_EEDaSY_SZ_EUlSY_E_NS1_11comp_targetILNS1_3genE4ELNS1_11target_archE910ELNS1_3gpuE8ELNS1_3repE0EEENS1_30default_config_static_selectorELNS0_4arch9wavefront6targetE1EEEvT1_.uses_flat_scratch, 0
	.set _ZN7rocprim17ROCPRIM_400000_NS6detail17trampoline_kernelINS0_14default_configENS1_29reduce_by_key_config_selectorIalN6thrust23THRUST_200600_302600_NS4plusIlEEEEZZNS1_33reduce_by_key_impl_wrapped_configILNS1_25lookback_scan_determinismE0ES3_S9_PaNS6_17constant_iteratorIiNS6_11use_defaultESE_EENS6_10device_ptrIaEENSG_IlEEPmS8_NS6_8equal_toIaEEEE10hipError_tPvRmT2_T3_mT4_T5_T6_T7_T8_P12ihipStream_tbENKUlT_T0_E_clISt17integral_constantIbLb1EES13_EEDaSY_SZ_EUlSY_E_NS1_11comp_targetILNS1_3genE4ELNS1_11target_archE910ELNS1_3gpuE8ELNS1_3repE0EEENS1_30default_config_static_selectorELNS0_4arch9wavefront6targetE1EEEvT1_.has_dyn_sized_stack, 0
	.set _ZN7rocprim17ROCPRIM_400000_NS6detail17trampoline_kernelINS0_14default_configENS1_29reduce_by_key_config_selectorIalN6thrust23THRUST_200600_302600_NS4plusIlEEEEZZNS1_33reduce_by_key_impl_wrapped_configILNS1_25lookback_scan_determinismE0ES3_S9_PaNS6_17constant_iteratorIiNS6_11use_defaultESE_EENS6_10device_ptrIaEENSG_IlEEPmS8_NS6_8equal_toIaEEEE10hipError_tPvRmT2_T3_mT4_T5_T6_T7_T8_P12ihipStream_tbENKUlT_T0_E_clISt17integral_constantIbLb1EES13_EEDaSY_SZ_EUlSY_E_NS1_11comp_targetILNS1_3genE4ELNS1_11target_archE910ELNS1_3gpuE8ELNS1_3repE0EEENS1_30default_config_static_selectorELNS0_4arch9wavefront6targetE1EEEvT1_.has_recursion, 0
	.set _ZN7rocprim17ROCPRIM_400000_NS6detail17trampoline_kernelINS0_14default_configENS1_29reduce_by_key_config_selectorIalN6thrust23THRUST_200600_302600_NS4plusIlEEEEZZNS1_33reduce_by_key_impl_wrapped_configILNS1_25lookback_scan_determinismE0ES3_S9_PaNS6_17constant_iteratorIiNS6_11use_defaultESE_EENS6_10device_ptrIaEENSG_IlEEPmS8_NS6_8equal_toIaEEEE10hipError_tPvRmT2_T3_mT4_T5_T6_T7_T8_P12ihipStream_tbENKUlT_T0_E_clISt17integral_constantIbLb1EES13_EEDaSY_SZ_EUlSY_E_NS1_11comp_targetILNS1_3genE4ELNS1_11target_archE910ELNS1_3gpuE8ELNS1_3repE0EEENS1_30default_config_static_selectorELNS0_4arch9wavefront6targetE1EEEvT1_.has_indirect_call, 0
	.section	.AMDGPU.csdata,"",@progbits
; Kernel info:
; codeLenInByte = 0
; TotalNumSgprs: 4
; NumVgprs: 0
; ScratchSize: 0
; MemoryBound: 0
; FloatMode: 240
; IeeeMode: 1
; LDSByteSize: 0 bytes/workgroup (compile time only)
; SGPRBlocks: 0
; VGPRBlocks: 0
; NumSGPRsForWavesPerEU: 4
; NumVGPRsForWavesPerEU: 1
; Occupancy: 10
; WaveLimiterHint : 0
; COMPUTE_PGM_RSRC2:SCRATCH_EN: 0
; COMPUTE_PGM_RSRC2:USER_SGPR: 6
; COMPUTE_PGM_RSRC2:TRAP_HANDLER: 0
; COMPUTE_PGM_RSRC2:TGID_X_EN: 1
; COMPUTE_PGM_RSRC2:TGID_Y_EN: 0
; COMPUTE_PGM_RSRC2:TGID_Z_EN: 0
; COMPUTE_PGM_RSRC2:TIDIG_COMP_CNT: 0
	.section	.text._ZN7rocprim17ROCPRIM_400000_NS6detail17trampoline_kernelINS0_14default_configENS1_29reduce_by_key_config_selectorIalN6thrust23THRUST_200600_302600_NS4plusIlEEEEZZNS1_33reduce_by_key_impl_wrapped_configILNS1_25lookback_scan_determinismE0ES3_S9_PaNS6_17constant_iteratorIiNS6_11use_defaultESE_EENS6_10device_ptrIaEENSG_IlEEPmS8_NS6_8equal_toIaEEEE10hipError_tPvRmT2_T3_mT4_T5_T6_T7_T8_P12ihipStream_tbENKUlT_T0_E_clISt17integral_constantIbLb1EES13_EEDaSY_SZ_EUlSY_E_NS1_11comp_targetILNS1_3genE3ELNS1_11target_archE908ELNS1_3gpuE7ELNS1_3repE0EEENS1_30default_config_static_selectorELNS0_4arch9wavefront6targetE1EEEvT1_,"axG",@progbits,_ZN7rocprim17ROCPRIM_400000_NS6detail17trampoline_kernelINS0_14default_configENS1_29reduce_by_key_config_selectorIalN6thrust23THRUST_200600_302600_NS4plusIlEEEEZZNS1_33reduce_by_key_impl_wrapped_configILNS1_25lookback_scan_determinismE0ES3_S9_PaNS6_17constant_iteratorIiNS6_11use_defaultESE_EENS6_10device_ptrIaEENSG_IlEEPmS8_NS6_8equal_toIaEEEE10hipError_tPvRmT2_T3_mT4_T5_T6_T7_T8_P12ihipStream_tbENKUlT_T0_E_clISt17integral_constantIbLb1EES13_EEDaSY_SZ_EUlSY_E_NS1_11comp_targetILNS1_3genE3ELNS1_11target_archE908ELNS1_3gpuE7ELNS1_3repE0EEENS1_30default_config_static_selectorELNS0_4arch9wavefront6targetE1EEEvT1_,comdat
	.protected	_ZN7rocprim17ROCPRIM_400000_NS6detail17trampoline_kernelINS0_14default_configENS1_29reduce_by_key_config_selectorIalN6thrust23THRUST_200600_302600_NS4plusIlEEEEZZNS1_33reduce_by_key_impl_wrapped_configILNS1_25lookback_scan_determinismE0ES3_S9_PaNS6_17constant_iteratorIiNS6_11use_defaultESE_EENS6_10device_ptrIaEENSG_IlEEPmS8_NS6_8equal_toIaEEEE10hipError_tPvRmT2_T3_mT4_T5_T6_T7_T8_P12ihipStream_tbENKUlT_T0_E_clISt17integral_constantIbLb1EES13_EEDaSY_SZ_EUlSY_E_NS1_11comp_targetILNS1_3genE3ELNS1_11target_archE908ELNS1_3gpuE7ELNS1_3repE0EEENS1_30default_config_static_selectorELNS0_4arch9wavefront6targetE1EEEvT1_ ; -- Begin function _ZN7rocprim17ROCPRIM_400000_NS6detail17trampoline_kernelINS0_14default_configENS1_29reduce_by_key_config_selectorIalN6thrust23THRUST_200600_302600_NS4plusIlEEEEZZNS1_33reduce_by_key_impl_wrapped_configILNS1_25lookback_scan_determinismE0ES3_S9_PaNS6_17constant_iteratorIiNS6_11use_defaultESE_EENS6_10device_ptrIaEENSG_IlEEPmS8_NS6_8equal_toIaEEEE10hipError_tPvRmT2_T3_mT4_T5_T6_T7_T8_P12ihipStream_tbENKUlT_T0_E_clISt17integral_constantIbLb1EES13_EEDaSY_SZ_EUlSY_E_NS1_11comp_targetILNS1_3genE3ELNS1_11target_archE908ELNS1_3gpuE7ELNS1_3repE0EEENS1_30default_config_static_selectorELNS0_4arch9wavefront6targetE1EEEvT1_
	.globl	_ZN7rocprim17ROCPRIM_400000_NS6detail17trampoline_kernelINS0_14default_configENS1_29reduce_by_key_config_selectorIalN6thrust23THRUST_200600_302600_NS4plusIlEEEEZZNS1_33reduce_by_key_impl_wrapped_configILNS1_25lookback_scan_determinismE0ES3_S9_PaNS6_17constant_iteratorIiNS6_11use_defaultESE_EENS6_10device_ptrIaEENSG_IlEEPmS8_NS6_8equal_toIaEEEE10hipError_tPvRmT2_T3_mT4_T5_T6_T7_T8_P12ihipStream_tbENKUlT_T0_E_clISt17integral_constantIbLb1EES13_EEDaSY_SZ_EUlSY_E_NS1_11comp_targetILNS1_3genE3ELNS1_11target_archE908ELNS1_3gpuE7ELNS1_3repE0EEENS1_30default_config_static_selectorELNS0_4arch9wavefront6targetE1EEEvT1_
	.p2align	8
	.type	_ZN7rocprim17ROCPRIM_400000_NS6detail17trampoline_kernelINS0_14default_configENS1_29reduce_by_key_config_selectorIalN6thrust23THRUST_200600_302600_NS4plusIlEEEEZZNS1_33reduce_by_key_impl_wrapped_configILNS1_25lookback_scan_determinismE0ES3_S9_PaNS6_17constant_iteratorIiNS6_11use_defaultESE_EENS6_10device_ptrIaEENSG_IlEEPmS8_NS6_8equal_toIaEEEE10hipError_tPvRmT2_T3_mT4_T5_T6_T7_T8_P12ihipStream_tbENKUlT_T0_E_clISt17integral_constantIbLb1EES13_EEDaSY_SZ_EUlSY_E_NS1_11comp_targetILNS1_3genE3ELNS1_11target_archE908ELNS1_3gpuE7ELNS1_3repE0EEENS1_30default_config_static_selectorELNS0_4arch9wavefront6targetE1EEEvT1_,@function
_ZN7rocprim17ROCPRIM_400000_NS6detail17trampoline_kernelINS0_14default_configENS1_29reduce_by_key_config_selectorIalN6thrust23THRUST_200600_302600_NS4plusIlEEEEZZNS1_33reduce_by_key_impl_wrapped_configILNS1_25lookback_scan_determinismE0ES3_S9_PaNS6_17constant_iteratorIiNS6_11use_defaultESE_EENS6_10device_ptrIaEENSG_IlEEPmS8_NS6_8equal_toIaEEEE10hipError_tPvRmT2_T3_mT4_T5_T6_T7_T8_P12ihipStream_tbENKUlT_T0_E_clISt17integral_constantIbLb1EES13_EEDaSY_SZ_EUlSY_E_NS1_11comp_targetILNS1_3genE3ELNS1_11target_archE908ELNS1_3gpuE7ELNS1_3repE0EEENS1_30default_config_static_selectorELNS0_4arch9wavefront6targetE1EEEvT1_: ; @_ZN7rocprim17ROCPRIM_400000_NS6detail17trampoline_kernelINS0_14default_configENS1_29reduce_by_key_config_selectorIalN6thrust23THRUST_200600_302600_NS4plusIlEEEEZZNS1_33reduce_by_key_impl_wrapped_configILNS1_25lookback_scan_determinismE0ES3_S9_PaNS6_17constant_iteratorIiNS6_11use_defaultESE_EENS6_10device_ptrIaEENSG_IlEEPmS8_NS6_8equal_toIaEEEE10hipError_tPvRmT2_T3_mT4_T5_T6_T7_T8_P12ihipStream_tbENKUlT_T0_E_clISt17integral_constantIbLb1EES13_EEDaSY_SZ_EUlSY_E_NS1_11comp_targetILNS1_3genE3ELNS1_11target_archE908ELNS1_3gpuE7ELNS1_3repE0EEENS1_30default_config_static_selectorELNS0_4arch9wavefront6targetE1EEEvT1_
; %bb.0:
	.section	.rodata,"a",@progbits
	.p2align	6, 0x0
	.amdhsa_kernel _ZN7rocprim17ROCPRIM_400000_NS6detail17trampoline_kernelINS0_14default_configENS1_29reduce_by_key_config_selectorIalN6thrust23THRUST_200600_302600_NS4plusIlEEEEZZNS1_33reduce_by_key_impl_wrapped_configILNS1_25lookback_scan_determinismE0ES3_S9_PaNS6_17constant_iteratorIiNS6_11use_defaultESE_EENS6_10device_ptrIaEENSG_IlEEPmS8_NS6_8equal_toIaEEEE10hipError_tPvRmT2_T3_mT4_T5_T6_T7_T8_P12ihipStream_tbENKUlT_T0_E_clISt17integral_constantIbLb1EES13_EEDaSY_SZ_EUlSY_E_NS1_11comp_targetILNS1_3genE3ELNS1_11target_archE908ELNS1_3gpuE7ELNS1_3repE0EEENS1_30default_config_static_selectorELNS0_4arch9wavefront6targetE1EEEvT1_
		.amdhsa_group_segment_fixed_size 0
		.amdhsa_private_segment_fixed_size 0
		.amdhsa_kernarg_size 144
		.amdhsa_user_sgpr_count 6
		.amdhsa_user_sgpr_private_segment_buffer 1
		.amdhsa_user_sgpr_dispatch_ptr 0
		.amdhsa_user_sgpr_queue_ptr 0
		.amdhsa_user_sgpr_kernarg_segment_ptr 1
		.amdhsa_user_sgpr_dispatch_id 0
		.amdhsa_user_sgpr_flat_scratch_init 0
		.amdhsa_user_sgpr_private_segment_size 0
		.amdhsa_uses_dynamic_stack 0
		.amdhsa_system_sgpr_private_segment_wavefront_offset 0
		.amdhsa_system_sgpr_workgroup_id_x 1
		.amdhsa_system_sgpr_workgroup_id_y 0
		.amdhsa_system_sgpr_workgroup_id_z 0
		.amdhsa_system_sgpr_workgroup_info 0
		.amdhsa_system_vgpr_workitem_id 0
		.amdhsa_next_free_vgpr 1
		.amdhsa_next_free_sgpr 0
		.amdhsa_reserve_vcc 0
		.amdhsa_reserve_flat_scratch 0
		.amdhsa_float_round_mode_32 0
		.amdhsa_float_round_mode_16_64 0
		.amdhsa_float_denorm_mode_32 3
		.amdhsa_float_denorm_mode_16_64 3
		.amdhsa_dx10_clamp 1
		.amdhsa_ieee_mode 1
		.amdhsa_fp16_overflow 0
		.amdhsa_exception_fp_ieee_invalid_op 0
		.amdhsa_exception_fp_denorm_src 0
		.amdhsa_exception_fp_ieee_div_zero 0
		.amdhsa_exception_fp_ieee_overflow 0
		.amdhsa_exception_fp_ieee_underflow 0
		.amdhsa_exception_fp_ieee_inexact 0
		.amdhsa_exception_int_div_zero 0
	.end_amdhsa_kernel
	.section	.text._ZN7rocprim17ROCPRIM_400000_NS6detail17trampoline_kernelINS0_14default_configENS1_29reduce_by_key_config_selectorIalN6thrust23THRUST_200600_302600_NS4plusIlEEEEZZNS1_33reduce_by_key_impl_wrapped_configILNS1_25lookback_scan_determinismE0ES3_S9_PaNS6_17constant_iteratorIiNS6_11use_defaultESE_EENS6_10device_ptrIaEENSG_IlEEPmS8_NS6_8equal_toIaEEEE10hipError_tPvRmT2_T3_mT4_T5_T6_T7_T8_P12ihipStream_tbENKUlT_T0_E_clISt17integral_constantIbLb1EES13_EEDaSY_SZ_EUlSY_E_NS1_11comp_targetILNS1_3genE3ELNS1_11target_archE908ELNS1_3gpuE7ELNS1_3repE0EEENS1_30default_config_static_selectorELNS0_4arch9wavefront6targetE1EEEvT1_,"axG",@progbits,_ZN7rocprim17ROCPRIM_400000_NS6detail17trampoline_kernelINS0_14default_configENS1_29reduce_by_key_config_selectorIalN6thrust23THRUST_200600_302600_NS4plusIlEEEEZZNS1_33reduce_by_key_impl_wrapped_configILNS1_25lookback_scan_determinismE0ES3_S9_PaNS6_17constant_iteratorIiNS6_11use_defaultESE_EENS6_10device_ptrIaEENSG_IlEEPmS8_NS6_8equal_toIaEEEE10hipError_tPvRmT2_T3_mT4_T5_T6_T7_T8_P12ihipStream_tbENKUlT_T0_E_clISt17integral_constantIbLb1EES13_EEDaSY_SZ_EUlSY_E_NS1_11comp_targetILNS1_3genE3ELNS1_11target_archE908ELNS1_3gpuE7ELNS1_3repE0EEENS1_30default_config_static_selectorELNS0_4arch9wavefront6targetE1EEEvT1_,comdat
.Lfunc_end684:
	.size	_ZN7rocprim17ROCPRIM_400000_NS6detail17trampoline_kernelINS0_14default_configENS1_29reduce_by_key_config_selectorIalN6thrust23THRUST_200600_302600_NS4plusIlEEEEZZNS1_33reduce_by_key_impl_wrapped_configILNS1_25lookback_scan_determinismE0ES3_S9_PaNS6_17constant_iteratorIiNS6_11use_defaultESE_EENS6_10device_ptrIaEENSG_IlEEPmS8_NS6_8equal_toIaEEEE10hipError_tPvRmT2_T3_mT4_T5_T6_T7_T8_P12ihipStream_tbENKUlT_T0_E_clISt17integral_constantIbLb1EES13_EEDaSY_SZ_EUlSY_E_NS1_11comp_targetILNS1_3genE3ELNS1_11target_archE908ELNS1_3gpuE7ELNS1_3repE0EEENS1_30default_config_static_selectorELNS0_4arch9wavefront6targetE1EEEvT1_, .Lfunc_end684-_ZN7rocprim17ROCPRIM_400000_NS6detail17trampoline_kernelINS0_14default_configENS1_29reduce_by_key_config_selectorIalN6thrust23THRUST_200600_302600_NS4plusIlEEEEZZNS1_33reduce_by_key_impl_wrapped_configILNS1_25lookback_scan_determinismE0ES3_S9_PaNS6_17constant_iteratorIiNS6_11use_defaultESE_EENS6_10device_ptrIaEENSG_IlEEPmS8_NS6_8equal_toIaEEEE10hipError_tPvRmT2_T3_mT4_T5_T6_T7_T8_P12ihipStream_tbENKUlT_T0_E_clISt17integral_constantIbLb1EES13_EEDaSY_SZ_EUlSY_E_NS1_11comp_targetILNS1_3genE3ELNS1_11target_archE908ELNS1_3gpuE7ELNS1_3repE0EEENS1_30default_config_static_selectorELNS0_4arch9wavefront6targetE1EEEvT1_
                                        ; -- End function
	.set _ZN7rocprim17ROCPRIM_400000_NS6detail17trampoline_kernelINS0_14default_configENS1_29reduce_by_key_config_selectorIalN6thrust23THRUST_200600_302600_NS4plusIlEEEEZZNS1_33reduce_by_key_impl_wrapped_configILNS1_25lookback_scan_determinismE0ES3_S9_PaNS6_17constant_iteratorIiNS6_11use_defaultESE_EENS6_10device_ptrIaEENSG_IlEEPmS8_NS6_8equal_toIaEEEE10hipError_tPvRmT2_T3_mT4_T5_T6_T7_T8_P12ihipStream_tbENKUlT_T0_E_clISt17integral_constantIbLb1EES13_EEDaSY_SZ_EUlSY_E_NS1_11comp_targetILNS1_3genE3ELNS1_11target_archE908ELNS1_3gpuE7ELNS1_3repE0EEENS1_30default_config_static_selectorELNS0_4arch9wavefront6targetE1EEEvT1_.num_vgpr, 0
	.set _ZN7rocprim17ROCPRIM_400000_NS6detail17trampoline_kernelINS0_14default_configENS1_29reduce_by_key_config_selectorIalN6thrust23THRUST_200600_302600_NS4plusIlEEEEZZNS1_33reduce_by_key_impl_wrapped_configILNS1_25lookback_scan_determinismE0ES3_S9_PaNS6_17constant_iteratorIiNS6_11use_defaultESE_EENS6_10device_ptrIaEENSG_IlEEPmS8_NS6_8equal_toIaEEEE10hipError_tPvRmT2_T3_mT4_T5_T6_T7_T8_P12ihipStream_tbENKUlT_T0_E_clISt17integral_constantIbLb1EES13_EEDaSY_SZ_EUlSY_E_NS1_11comp_targetILNS1_3genE3ELNS1_11target_archE908ELNS1_3gpuE7ELNS1_3repE0EEENS1_30default_config_static_selectorELNS0_4arch9wavefront6targetE1EEEvT1_.num_agpr, 0
	.set _ZN7rocprim17ROCPRIM_400000_NS6detail17trampoline_kernelINS0_14default_configENS1_29reduce_by_key_config_selectorIalN6thrust23THRUST_200600_302600_NS4plusIlEEEEZZNS1_33reduce_by_key_impl_wrapped_configILNS1_25lookback_scan_determinismE0ES3_S9_PaNS6_17constant_iteratorIiNS6_11use_defaultESE_EENS6_10device_ptrIaEENSG_IlEEPmS8_NS6_8equal_toIaEEEE10hipError_tPvRmT2_T3_mT4_T5_T6_T7_T8_P12ihipStream_tbENKUlT_T0_E_clISt17integral_constantIbLb1EES13_EEDaSY_SZ_EUlSY_E_NS1_11comp_targetILNS1_3genE3ELNS1_11target_archE908ELNS1_3gpuE7ELNS1_3repE0EEENS1_30default_config_static_selectorELNS0_4arch9wavefront6targetE1EEEvT1_.numbered_sgpr, 0
	.set _ZN7rocprim17ROCPRIM_400000_NS6detail17trampoline_kernelINS0_14default_configENS1_29reduce_by_key_config_selectorIalN6thrust23THRUST_200600_302600_NS4plusIlEEEEZZNS1_33reduce_by_key_impl_wrapped_configILNS1_25lookback_scan_determinismE0ES3_S9_PaNS6_17constant_iteratorIiNS6_11use_defaultESE_EENS6_10device_ptrIaEENSG_IlEEPmS8_NS6_8equal_toIaEEEE10hipError_tPvRmT2_T3_mT4_T5_T6_T7_T8_P12ihipStream_tbENKUlT_T0_E_clISt17integral_constantIbLb1EES13_EEDaSY_SZ_EUlSY_E_NS1_11comp_targetILNS1_3genE3ELNS1_11target_archE908ELNS1_3gpuE7ELNS1_3repE0EEENS1_30default_config_static_selectorELNS0_4arch9wavefront6targetE1EEEvT1_.num_named_barrier, 0
	.set _ZN7rocprim17ROCPRIM_400000_NS6detail17trampoline_kernelINS0_14default_configENS1_29reduce_by_key_config_selectorIalN6thrust23THRUST_200600_302600_NS4plusIlEEEEZZNS1_33reduce_by_key_impl_wrapped_configILNS1_25lookback_scan_determinismE0ES3_S9_PaNS6_17constant_iteratorIiNS6_11use_defaultESE_EENS6_10device_ptrIaEENSG_IlEEPmS8_NS6_8equal_toIaEEEE10hipError_tPvRmT2_T3_mT4_T5_T6_T7_T8_P12ihipStream_tbENKUlT_T0_E_clISt17integral_constantIbLb1EES13_EEDaSY_SZ_EUlSY_E_NS1_11comp_targetILNS1_3genE3ELNS1_11target_archE908ELNS1_3gpuE7ELNS1_3repE0EEENS1_30default_config_static_selectorELNS0_4arch9wavefront6targetE1EEEvT1_.private_seg_size, 0
	.set _ZN7rocprim17ROCPRIM_400000_NS6detail17trampoline_kernelINS0_14default_configENS1_29reduce_by_key_config_selectorIalN6thrust23THRUST_200600_302600_NS4plusIlEEEEZZNS1_33reduce_by_key_impl_wrapped_configILNS1_25lookback_scan_determinismE0ES3_S9_PaNS6_17constant_iteratorIiNS6_11use_defaultESE_EENS6_10device_ptrIaEENSG_IlEEPmS8_NS6_8equal_toIaEEEE10hipError_tPvRmT2_T3_mT4_T5_T6_T7_T8_P12ihipStream_tbENKUlT_T0_E_clISt17integral_constantIbLb1EES13_EEDaSY_SZ_EUlSY_E_NS1_11comp_targetILNS1_3genE3ELNS1_11target_archE908ELNS1_3gpuE7ELNS1_3repE0EEENS1_30default_config_static_selectorELNS0_4arch9wavefront6targetE1EEEvT1_.uses_vcc, 0
	.set _ZN7rocprim17ROCPRIM_400000_NS6detail17trampoline_kernelINS0_14default_configENS1_29reduce_by_key_config_selectorIalN6thrust23THRUST_200600_302600_NS4plusIlEEEEZZNS1_33reduce_by_key_impl_wrapped_configILNS1_25lookback_scan_determinismE0ES3_S9_PaNS6_17constant_iteratorIiNS6_11use_defaultESE_EENS6_10device_ptrIaEENSG_IlEEPmS8_NS6_8equal_toIaEEEE10hipError_tPvRmT2_T3_mT4_T5_T6_T7_T8_P12ihipStream_tbENKUlT_T0_E_clISt17integral_constantIbLb1EES13_EEDaSY_SZ_EUlSY_E_NS1_11comp_targetILNS1_3genE3ELNS1_11target_archE908ELNS1_3gpuE7ELNS1_3repE0EEENS1_30default_config_static_selectorELNS0_4arch9wavefront6targetE1EEEvT1_.uses_flat_scratch, 0
	.set _ZN7rocprim17ROCPRIM_400000_NS6detail17trampoline_kernelINS0_14default_configENS1_29reduce_by_key_config_selectorIalN6thrust23THRUST_200600_302600_NS4plusIlEEEEZZNS1_33reduce_by_key_impl_wrapped_configILNS1_25lookback_scan_determinismE0ES3_S9_PaNS6_17constant_iteratorIiNS6_11use_defaultESE_EENS6_10device_ptrIaEENSG_IlEEPmS8_NS6_8equal_toIaEEEE10hipError_tPvRmT2_T3_mT4_T5_T6_T7_T8_P12ihipStream_tbENKUlT_T0_E_clISt17integral_constantIbLb1EES13_EEDaSY_SZ_EUlSY_E_NS1_11comp_targetILNS1_3genE3ELNS1_11target_archE908ELNS1_3gpuE7ELNS1_3repE0EEENS1_30default_config_static_selectorELNS0_4arch9wavefront6targetE1EEEvT1_.has_dyn_sized_stack, 0
	.set _ZN7rocprim17ROCPRIM_400000_NS6detail17trampoline_kernelINS0_14default_configENS1_29reduce_by_key_config_selectorIalN6thrust23THRUST_200600_302600_NS4plusIlEEEEZZNS1_33reduce_by_key_impl_wrapped_configILNS1_25lookback_scan_determinismE0ES3_S9_PaNS6_17constant_iteratorIiNS6_11use_defaultESE_EENS6_10device_ptrIaEENSG_IlEEPmS8_NS6_8equal_toIaEEEE10hipError_tPvRmT2_T3_mT4_T5_T6_T7_T8_P12ihipStream_tbENKUlT_T0_E_clISt17integral_constantIbLb1EES13_EEDaSY_SZ_EUlSY_E_NS1_11comp_targetILNS1_3genE3ELNS1_11target_archE908ELNS1_3gpuE7ELNS1_3repE0EEENS1_30default_config_static_selectorELNS0_4arch9wavefront6targetE1EEEvT1_.has_recursion, 0
	.set _ZN7rocprim17ROCPRIM_400000_NS6detail17trampoline_kernelINS0_14default_configENS1_29reduce_by_key_config_selectorIalN6thrust23THRUST_200600_302600_NS4plusIlEEEEZZNS1_33reduce_by_key_impl_wrapped_configILNS1_25lookback_scan_determinismE0ES3_S9_PaNS6_17constant_iteratorIiNS6_11use_defaultESE_EENS6_10device_ptrIaEENSG_IlEEPmS8_NS6_8equal_toIaEEEE10hipError_tPvRmT2_T3_mT4_T5_T6_T7_T8_P12ihipStream_tbENKUlT_T0_E_clISt17integral_constantIbLb1EES13_EEDaSY_SZ_EUlSY_E_NS1_11comp_targetILNS1_3genE3ELNS1_11target_archE908ELNS1_3gpuE7ELNS1_3repE0EEENS1_30default_config_static_selectorELNS0_4arch9wavefront6targetE1EEEvT1_.has_indirect_call, 0
	.section	.AMDGPU.csdata,"",@progbits
; Kernel info:
; codeLenInByte = 0
; TotalNumSgprs: 4
; NumVgprs: 0
; ScratchSize: 0
; MemoryBound: 0
; FloatMode: 240
; IeeeMode: 1
; LDSByteSize: 0 bytes/workgroup (compile time only)
; SGPRBlocks: 0
; VGPRBlocks: 0
; NumSGPRsForWavesPerEU: 4
; NumVGPRsForWavesPerEU: 1
; Occupancy: 10
; WaveLimiterHint : 0
; COMPUTE_PGM_RSRC2:SCRATCH_EN: 0
; COMPUTE_PGM_RSRC2:USER_SGPR: 6
; COMPUTE_PGM_RSRC2:TRAP_HANDLER: 0
; COMPUTE_PGM_RSRC2:TGID_X_EN: 1
; COMPUTE_PGM_RSRC2:TGID_Y_EN: 0
; COMPUTE_PGM_RSRC2:TGID_Z_EN: 0
; COMPUTE_PGM_RSRC2:TIDIG_COMP_CNT: 0
	.section	.text._ZN7rocprim17ROCPRIM_400000_NS6detail17trampoline_kernelINS0_14default_configENS1_29reduce_by_key_config_selectorIalN6thrust23THRUST_200600_302600_NS4plusIlEEEEZZNS1_33reduce_by_key_impl_wrapped_configILNS1_25lookback_scan_determinismE0ES3_S9_PaNS6_17constant_iteratorIiNS6_11use_defaultESE_EENS6_10device_ptrIaEENSG_IlEEPmS8_NS6_8equal_toIaEEEE10hipError_tPvRmT2_T3_mT4_T5_T6_T7_T8_P12ihipStream_tbENKUlT_T0_E_clISt17integral_constantIbLb1EES13_EEDaSY_SZ_EUlSY_E_NS1_11comp_targetILNS1_3genE2ELNS1_11target_archE906ELNS1_3gpuE6ELNS1_3repE0EEENS1_30default_config_static_selectorELNS0_4arch9wavefront6targetE1EEEvT1_,"axG",@progbits,_ZN7rocprim17ROCPRIM_400000_NS6detail17trampoline_kernelINS0_14default_configENS1_29reduce_by_key_config_selectorIalN6thrust23THRUST_200600_302600_NS4plusIlEEEEZZNS1_33reduce_by_key_impl_wrapped_configILNS1_25lookback_scan_determinismE0ES3_S9_PaNS6_17constant_iteratorIiNS6_11use_defaultESE_EENS6_10device_ptrIaEENSG_IlEEPmS8_NS6_8equal_toIaEEEE10hipError_tPvRmT2_T3_mT4_T5_T6_T7_T8_P12ihipStream_tbENKUlT_T0_E_clISt17integral_constantIbLb1EES13_EEDaSY_SZ_EUlSY_E_NS1_11comp_targetILNS1_3genE2ELNS1_11target_archE906ELNS1_3gpuE6ELNS1_3repE0EEENS1_30default_config_static_selectorELNS0_4arch9wavefront6targetE1EEEvT1_,comdat
	.protected	_ZN7rocprim17ROCPRIM_400000_NS6detail17trampoline_kernelINS0_14default_configENS1_29reduce_by_key_config_selectorIalN6thrust23THRUST_200600_302600_NS4plusIlEEEEZZNS1_33reduce_by_key_impl_wrapped_configILNS1_25lookback_scan_determinismE0ES3_S9_PaNS6_17constant_iteratorIiNS6_11use_defaultESE_EENS6_10device_ptrIaEENSG_IlEEPmS8_NS6_8equal_toIaEEEE10hipError_tPvRmT2_T3_mT4_T5_T6_T7_T8_P12ihipStream_tbENKUlT_T0_E_clISt17integral_constantIbLb1EES13_EEDaSY_SZ_EUlSY_E_NS1_11comp_targetILNS1_3genE2ELNS1_11target_archE906ELNS1_3gpuE6ELNS1_3repE0EEENS1_30default_config_static_selectorELNS0_4arch9wavefront6targetE1EEEvT1_ ; -- Begin function _ZN7rocprim17ROCPRIM_400000_NS6detail17trampoline_kernelINS0_14default_configENS1_29reduce_by_key_config_selectorIalN6thrust23THRUST_200600_302600_NS4plusIlEEEEZZNS1_33reduce_by_key_impl_wrapped_configILNS1_25lookback_scan_determinismE0ES3_S9_PaNS6_17constant_iteratorIiNS6_11use_defaultESE_EENS6_10device_ptrIaEENSG_IlEEPmS8_NS6_8equal_toIaEEEE10hipError_tPvRmT2_T3_mT4_T5_T6_T7_T8_P12ihipStream_tbENKUlT_T0_E_clISt17integral_constantIbLb1EES13_EEDaSY_SZ_EUlSY_E_NS1_11comp_targetILNS1_3genE2ELNS1_11target_archE906ELNS1_3gpuE6ELNS1_3repE0EEENS1_30default_config_static_selectorELNS0_4arch9wavefront6targetE1EEEvT1_
	.globl	_ZN7rocprim17ROCPRIM_400000_NS6detail17trampoline_kernelINS0_14default_configENS1_29reduce_by_key_config_selectorIalN6thrust23THRUST_200600_302600_NS4plusIlEEEEZZNS1_33reduce_by_key_impl_wrapped_configILNS1_25lookback_scan_determinismE0ES3_S9_PaNS6_17constant_iteratorIiNS6_11use_defaultESE_EENS6_10device_ptrIaEENSG_IlEEPmS8_NS6_8equal_toIaEEEE10hipError_tPvRmT2_T3_mT4_T5_T6_T7_T8_P12ihipStream_tbENKUlT_T0_E_clISt17integral_constantIbLb1EES13_EEDaSY_SZ_EUlSY_E_NS1_11comp_targetILNS1_3genE2ELNS1_11target_archE906ELNS1_3gpuE6ELNS1_3repE0EEENS1_30default_config_static_selectorELNS0_4arch9wavefront6targetE1EEEvT1_
	.p2align	8
	.type	_ZN7rocprim17ROCPRIM_400000_NS6detail17trampoline_kernelINS0_14default_configENS1_29reduce_by_key_config_selectorIalN6thrust23THRUST_200600_302600_NS4plusIlEEEEZZNS1_33reduce_by_key_impl_wrapped_configILNS1_25lookback_scan_determinismE0ES3_S9_PaNS6_17constant_iteratorIiNS6_11use_defaultESE_EENS6_10device_ptrIaEENSG_IlEEPmS8_NS6_8equal_toIaEEEE10hipError_tPvRmT2_T3_mT4_T5_T6_T7_T8_P12ihipStream_tbENKUlT_T0_E_clISt17integral_constantIbLb1EES13_EEDaSY_SZ_EUlSY_E_NS1_11comp_targetILNS1_3genE2ELNS1_11target_archE906ELNS1_3gpuE6ELNS1_3repE0EEENS1_30default_config_static_selectorELNS0_4arch9wavefront6targetE1EEEvT1_,@function
_ZN7rocprim17ROCPRIM_400000_NS6detail17trampoline_kernelINS0_14default_configENS1_29reduce_by_key_config_selectorIalN6thrust23THRUST_200600_302600_NS4plusIlEEEEZZNS1_33reduce_by_key_impl_wrapped_configILNS1_25lookback_scan_determinismE0ES3_S9_PaNS6_17constant_iteratorIiNS6_11use_defaultESE_EENS6_10device_ptrIaEENSG_IlEEPmS8_NS6_8equal_toIaEEEE10hipError_tPvRmT2_T3_mT4_T5_T6_T7_T8_P12ihipStream_tbENKUlT_T0_E_clISt17integral_constantIbLb1EES13_EEDaSY_SZ_EUlSY_E_NS1_11comp_targetILNS1_3genE2ELNS1_11target_archE906ELNS1_3gpuE6ELNS1_3repE0EEENS1_30default_config_static_selectorELNS0_4arch9wavefront6targetE1EEEvT1_: ; @_ZN7rocprim17ROCPRIM_400000_NS6detail17trampoline_kernelINS0_14default_configENS1_29reduce_by_key_config_selectorIalN6thrust23THRUST_200600_302600_NS4plusIlEEEEZZNS1_33reduce_by_key_impl_wrapped_configILNS1_25lookback_scan_determinismE0ES3_S9_PaNS6_17constant_iteratorIiNS6_11use_defaultESE_EENS6_10device_ptrIaEENSG_IlEEPmS8_NS6_8equal_toIaEEEE10hipError_tPvRmT2_T3_mT4_T5_T6_T7_T8_P12ihipStream_tbENKUlT_T0_E_clISt17integral_constantIbLb1EES13_EEDaSY_SZ_EUlSY_E_NS1_11comp_targetILNS1_3genE2ELNS1_11target_archE906ELNS1_3gpuE6ELNS1_3repE0EEENS1_30default_config_static_selectorELNS0_4arch9wavefront6targetE1EEEvT1_
; %bb.0:
	s_endpgm
	.section	.rodata,"a",@progbits
	.p2align	6, 0x0
	.amdhsa_kernel _ZN7rocprim17ROCPRIM_400000_NS6detail17trampoline_kernelINS0_14default_configENS1_29reduce_by_key_config_selectorIalN6thrust23THRUST_200600_302600_NS4plusIlEEEEZZNS1_33reduce_by_key_impl_wrapped_configILNS1_25lookback_scan_determinismE0ES3_S9_PaNS6_17constant_iteratorIiNS6_11use_defaultESE_EENS6_10device_ptrIaEENSG_IlEEPmS8_NS6_8equal_toIaEEEE10hipError_tPvRmT2_T3_mT4_T5_T6_T7_T8_P12ihipStream_tbENKUlT_T0_E_clISt17integral_constantIbLb1EES13_EEDaSY_SZ_EUlSY_E_NS1_11comp_targetILNS1_3genE2ELNS1_11target_archE906ELNS1_3gpuE6ELNS1_3repE0EEENS1_30default_config_static_selectorELNS0_4arch9wavefront6targetE1EEEvT1_
		.amdhsa_group_segment_fixed_size 0
		.amdhsa_private_segment_fixed_size 0
		.amdhsa_kernarg_size 144
		.amdhsa_user_sgpr_count 6
		.amdhsa_user_sgpr_private_segment_buffer 1
		.amdhsa_user_sgpr_dispatch_ptr 0
		.amdhsa_user_sgpr_queue_ptr 0
		.amdhsa_user_sgpr_kernarg_segment_ptr 1
		.amdhsa_user_sgpr_dispatch_id 0
		.amdhsa_user_sgpr_flat_scratch_init 0
		.amdhsa_user_sgpr_private_segment_size 0
		.amdhsa_uses_dynamic_stack 0
		.amdhsa_system_sgpr_private_segment_wavefront_offset 0
		.amdhsa_system_sgpr_workgroup_id_x 1
		.amdhsa_system_sgpr_workgroup_id_y 0
		.amdhsa_system_sgpr_workgroup_id_z 0
		.amdhsa_system_sgpr_workgroup_info 0
		.amdhsa_system_vgpr_workitem_id 0
		.amdhsa_next_free_vgpr 1
		.amdhsa_next_free_sgpr 0
		.amdhsa_reserve_vcc 0
		.amdhsa_reserve_flat_scratch 0
		.amdhsa_float_round_mode_32 0
		.amdhsa_float_round_mode_16_64 0
		.amdhsa_float_denorm_mode_32 3
		.amdhsa_float_denorm_mode_16_64 3
		.amdhsa_dx10_clamp 1
		.amdhsa_ieee_mode 1
		.amdhsa_fp16_overflow 0
		.amdhsa_exception_fp_ieee_invalid_op 0
		.amdhsa_exception_fp_denorm_src 0
		.amdhsa_exception_fp_ieee_div_zero 0
		.amdhsa_exception_fp_ieee_overflow 0
		.amdhsa_exception_fp_ieee_underflow 0
		.amdhsa_exception_fp_ieee_inexact 0
		.amdhsa_exception_int_div_zero 0
	.end_amdhsa_kernel
	.section	.text._ZN7rocprim17ROCPRIM_400000_NS6detail17trampoline_kernelINS0_14default_configENS1_29reduce_by_key_config_selectorIalN6thrust23THRUST_200600_302600_NS4plusIlEEEEZZNS1_33reduce_by_key_impl_wrapped_configILNS1_25lookback_scan_determinismE0ES3_S9_PaNS6_17constant_iteratorIiNS6_11use_defaultESE_EENS6_10device_ptrIaEENSG_IlEEPmS8_NS6_8equal_toIaEEEE10hipError_tPvRmT2_T3_mT4_T5_T6_T7_T8_P12ihipStream_tbENKUlT_T0_E_clISt17integral_constantIbLb1EES13_EEDaSY_SZ_EUlSY_E_NS1_11comp_targetILNS1_3genE2ELNS1_11target_archE906ELNS1_3gpuE6ELNS1_3repE0EEENS1_30default_config_static_selectorELNS0_4arch9wavefront6targetE1EEEvT1_,"axG",@progbits,_ZN7rocprim17ROCPRIM_400000_NS6detail17trampoline_kernelINS0_14default_configENS1_29reduce_by_key_config_selectorIalN6thrust23THRUST_200600_302600_NS4plusIlEEEEZZNS1_33reduce_by_key_impl_wrapped_configILNS1_25lookback_scan_determinismE0ES3_S9_PaNS6_17constant_iteratorIiNS6_11use_defaultESE_EENS6_10device_ptrIaEENSG_IlEEPmS8_NS6_8equal_toIaEEEE10hipError_tPvRmT2_T3_mT4_T5_T6_T7_T8_P12ihipStream_tbENKUlT_T0_E_clISt17integral_constantIbLb1EES13_EEDaSY_SZ_EUlSY_E_NS1_11comp_targetILNS1_3genE2ELNS1_11target_archE906ELNS1_3gpuE6ELNS1_3repE0EEENS1_30default_config_static_selectorELNS0_4arch9wavefront6targetE1EEEvT1_,comdat
.Lfunc_end685:
	.size	_ZN7rocprim17ROCPRIM_400000_NS6detail17trampoline_kernelINS0_14default_configENS1_29reduce_by_key_config_selectorIalN6thrust23THRUST_200600_302600_NS4plusIlEEEEZZNS1_33reduce_by_key_impl_wrapped_configILNS1_25lookback_scan_determinismE0ES3_S9_PaNS6_17constant_iteratorIiNS6_11use_defaultESE_EENS6_10device_ptrIaEENSG_IlEEPmS8_NS6_8equal_toIaEEEE10hipError_tPvRmT2_T3_mT4_T5_T6_T7_T8_P12ihipStream_tbENKUlT_T0_E_clISt17integral_constantIbLb1EES13_EEDaSY_SZ_EUlSY_E_NS1_11comp_targetILNS1_3genE2ELNS1_11target_archE906ELNS1_3gpuE6ELNS1_3repE0EEENS1_30default_config_static_selectorELNS0_4arch9wavefront6targetE1EEEvT1_, .Lfunc_end685-_ZN7rocprim17ROCPRIM_400000_NS6detail17trampoline_kernelINS0_14default_configENS1_29reduce_by_key_config_selectorIalN6thrust23THRUST_200600_302600_NS4plusIlEEEEZZNS1_33reduce_by_key_impl_wrapped_configILNS1_25lookback_scan_determinismE0ES3_S9_PaNS6_17constant_iteratorIiNS6_11use_defaultESE_EENS6_10device_ptrIaEENSG_IlEEPmS8_NS6_8equal_toIaEEEE10hipError_tPvRmT2_T3_mT4_T5_T6_T7_T8_P12ihipStream_tbENKUlT_T0_E_clISt17integral_constantIbLb1EES13_EEDaSY_SZ_EUlSY_E_NS1_11comp_targetILNS1_3genE2ELNS1_11target_archE906ELNS1_3gpuE6ELNS1_3repE0EEENS1_30default_config_static_selectorELNS0_4arch9wavefront6targetE1EEEvT1_
                                        ; -- End function
	.set _ZN7rocprim17ROCPRIM_400000_NS6detail17trampoline_kernelINS0_14default_configENS1_29reduce_by_key_config_selectorIalN6thrust23THRUST_200600_302600_NS4plusIlEEEEZZNS1_33reduce_by_key_impl_wrapped_configILNS1_25lookback_scan_determinismE0ES3_S9_PaNS6_17constant_iteratorIiNS6_11use_defaultESE_EENS6_10device_ptrIaEENSG_IlEEPmS8_NS6_8equal_toIaEEEE10hipError_tPvRmT2_T3_mT4_T5_T6_T7_T8_P12ihipStream_tbENKUlT_T0_E_clISt17integral_constantIbLb1EES13_EEDaSY_SZ_EUlSY_E_NS1_11comp_targetILNS1_3genE2ELNS1_11target_archE906ELNS1_3gpuE6ELNS1_3repE0EEENS1_30default_config_static_selectorELNS0_4arch9wavefront6targetE1EEEvT1_.num_vgpr, 0
	.set _ZN7rocprim17ROCPRIM_400000_NS6detail17trampoline_kernelINS0_14default_configENS1_29reduce_by_key_config_selectorIalN6thrust23THRUST_200600_302600_NS4plusIlEEEEZZNS1_33reduce_by_key_impl_wrapped_configILNS1_25lookback_scan_determinismE0ES3_S9_PaNS6_17constant_iteratorIiNS6_11use_defaultESE_EENS6_10device_ptrIaEENSG_IlEEPmS8_NS6_8equal_toIaEEEE10hipError_tPvRmT2_T3_mT4_T5_T6_T7_T8_P12ihipStream_tbENKUlT_T0_E_clISt17integral_constantIbLb1EES13_EEDaSY_SZ_EUlSY_E_NS1_11comp_targetILNS1_3genE2ELNS1_11target_archE906ELNS1_3gpuE6ELNS1_3repE0EEENS1_30default_config_static_selectorELNS0_4arch9wavefront6targetE1EEEvT1_.num_agpr, 0
	.set _ZN7rocprim17ROCPRIM_400000_NS6detail17trampoline_kernelINS0_14default_configENS1_29reduce_by_key_config_selectorIalN6thrust23THRUST_200600_302600_NS4plusIlEEEEZZNS1_33reduce_by_key_impl_wrapped_configILNS1_25lookback_scan_determinismE0ES3_S9_PaNS6_17constant_iteratorIiNS6_11use_defaultESE_EENS6_10device_ptrIaEENSG_IlEEPmS8_NS6_8equal_toIaEEEE10hipError_tPvRmT2_T3_mT4_T5_T6_T7_T8_P12ihipStream_tbENKUlT_T0_E_clISt17integral_constantIbLb1EES13_EEDaSY_SZ_EUlSY_E_NS1_11comp_targetILNS1_3genE2ELNS1_11target_archE906ELNS1_3gpuE6ELNS1_3repE0EEENS1_30default_config_static_selectorELNS0_4arch9wavefront6targetE1EEEvT1_.numbered_sgpr, 0
	.set _ZN7rocprim17ROCPRIM_400000_NS6detail17trampoline_kernelINS0_14default_configENS1_29reduce_by_key_config_selectorIalN6thrust23THRUST_200600_302600_NS4plusIlEEEEZZNS1_33reduce_by_key_impl_wrapped_configILNS1_25lookback_scan_determinismE0ES3_S9_PaNS6_17constant_iteratorIiNS6_11use_defaultESE_EENS6_10device_ptrIaEENSG_IlEEPmS8_NS6_8equal_toIaEEEE10hipError_tPvRmT2_T3_mT4_T5_T6_T7_T8_P12ihipStream_tbENKUlT_T0_E_clISt17integral_constantIbLb1EES13_EEDaSY_SZ_EUlSY_E_NS1_11comp_targetILNS1_3genE2ELNS1_11target_archE906ELNS1_3gpuE6ELNS1_3repE0EEENS1_30default_config_static_selectorELNS0_4arch9wavefront6targetE1EEEvT1_.num_named_barrier, 0
	.set _ZN7rocprim17ROCPRIM_400000_NS6detail17trampoline_kernelINS0_14default_configENS1_29reduce_by_key_config_selectorIalN6thrust23THRUST_200600_302600_NS4plusIlEEEEZZNS1_33reduce_by_key_impl_wrapped_configILNS1_25lookback_scan_determinismE0ES3_S9_PaNS6_17constant_iteratorIiNS6_11use_defaultESE_EENS6_10device_ptrIaEENSG_IlEEPmS8_NS6_8equal_toIaEEEE10hipError_tPvRmT2_T3_mT4_T5_T6_T7_T8_P12ihipStream_tbENKUlT_T0_E_clISt17integral_constantIbLb1EES13_EEDaSY_SZ_EUlSY_E_NS1_11comp_targetILNS1_3genE2ELNS1_11target_archE906ELNS1_3gpuE6ELNS1_3repE0EEENS1_30default_config_static_selectorELNS0_4arch9wavefront6targetE1EEEvT1_.private_seg_size, 0
	.set _ZN7rocprim17ROCPRIM_400000_NS6detail17trampoline_kernelINS0_14default_configENS1_29reduce_by_key_config_selectorIalN6thrust23THRUST_200600_302600_NS4plusIlEEEEZZNS1_33reduce_by_key_impl_wrapped_configILNS1_25lookback_scan_determinismE0ES3_S9_PaNS6_17constant_iteratorIiNS6_11use_defaultESE_EENS6_10device_ptrIaEENSG_IlEEPmS8_NS6_8equal_toIaEEEE10hipError_tPvRmT2_T3_mT4_T5_T6_T7_T8_P12ihipStream_tbENKUlT_T0_E_clISt17integral_constantIbLb1EES13_EEDaSY_SZ_EUlSY_E_NS1_11comp_targetILNS1_3genE2ELNS1_11target_archE906ELNS1_3gpuE6ELNS1_3repE0EEENS1_30default_config_static_selectorELNS0_4arch9wavefront6targetE1EEEvT1_.uses_vcc, 0
	.set _ZN7rocprim17ROCPRIM_400000_NS6detail17trampoline_kernelINS0_14default_configENS1_29reduce_by_key_config_selectorIalN6thrust23THRUST_200600_302600_NS4plusIlEEEEZZNS1_33reduce_by_key_impl_wrapped_configILNS1_25lookback_scan_determinismE0ES3_S9_PaNS6_17constant_iteratorIiNS6_11use_defaultESE_EENS6_10device_ptrIaEENSG_IlEEPmS8_NS6_8equal_toIaEEEE10hipError_tPvRmT2_T3_mT4_T5_T6_T7_T8_P12ihipStream_tbENKUlT_T0_E_clISt17integral_constantIbLb1EES13_EEDaSY_SZ_EUlSY_E_NS1_11comp_targetILNS1_3genE2ELNS1_11target_archE906ELNS1_3gpuE6ELNS1_3repE0EEENS1_30default_config_static_selectorELNS0_4arch9wavefront6targetE1EEEvT1_.uses_flat_scratch, 0
	.set _ZN7rocprim17ROCPRIM_400000_NS6detail17trampoline_kernelINS0_14default_configENS1_29reduce_by_key_config_selectorIalN6thrust23THRUST_200600_302600_NS4plusIlEEEEZZNS1_33reduce_by_key_impl_wrapped_configILNS1_25lookback_scan_determinismE0ES3_S9_PaNS6_17constant_iteratorIiNS6_11use_defaultESE_EENS6_10device_ptrIaEENSG_IlEEPmS8_NS6_8equal_toIaEEEE10hipError_tPvRmT2_T3_mT4_T5_T6_T7_T8_P12ihipStream_tbENKUlT_T0_E_clISt17integral_constantIbLb1EES13_EEDaSY_SZ_EUlSY_E_NS1_11comp_targetILNS1_3genE2ELNS1_11target_archE906ELNS1_3gpuE6ELNS1_3repE0EEENS1_30default_config_static_selectorELNS0_4arch9wavefront6targetE1EEEvT1_.has_dyn_sized_stack, 0
	.set _ZN7rocprim17ROCPRIM_400000_NS6detail17trampoline_kernelINS0_14default_configENS1_29reduce_by_key_config_selectorIalN6thrust23THRUST_200600_302600_NS4plusIlEEEEZZNS1_33reduce_by_key_impl_wrapped_configILNS1_25lookback_scan_determinismE0ES3_S9_PaNS6_17constant_iteratorIiNS6_11use_defaultESE_EENS6_10device_ptrIaEENSG_IlEEPmS8_NS6_8equal_toIaEEEE10hipError_tPvRmT2_T3_mT4_T5_T6_T7_T8_P12ihipStream_tbENKUlT_T0_E_clISt17integral_constantIbLb1EES13_EEDaSY_SZ_EUlSY_E_NS1_11comp_targetILNS1_3genE2ELNS1_11target_archE906ELNS1_3gpuE6ELNS1_3repE0EEENS1_30default_config_static_selectorELNS0_4arch9wavefront6targetE1EEEvT1_.has_recursion, 0
	.set _ZN7rocprim17ROCPRIM_400000_NS6detail17trampoline_kernelINS0_14default_configENS1_29reduce_by_key_config_selectorIalN6thrust23THRUST_200600_302600_NS4plusIlEEEEZZNS1_33reduce_by_key_impl_wrapped_configILNS1_25lookback_scan_determinismE0ES3_S9_PaNS6_17constant_iteratorIiNS6_11use_defaultESE_EENS6_10device_ptrIaEENSG_IlEEPmS8_NS6_8equal_toIaEEEE10hipError_tPvRmT2_T3_mT4_T5_T6_T7_T8_P12ihipStream_tbENKUlT_T0_E_clISt17integral_constantIbLb1EES13_EEDaSY_SZ_EUlSY_E_NS1_11comp_targetILNS1_3genE2ELNS1_11target_archE906ELNS1_3gpuE6ELNS1_3repE0EEENS1_30default_config_static_selectorELNS0_4arch9wavefront6targetE1EEEvT1_.has_indirect_call, 0
	.section	.AMDGPU.csdata,"",@progbits
; Kernel info:
; codeLenInByte = 4
; TotalNumSgprs: 4
; NumVgprs: 0
; ScratchSize: 0
; MemoryBound: 0
; FloatMode: 240
; IeeeMode: 1
; LDSByteSize: 0 bytes/workgroup (compile time only)
; SGPRBlocks: 0
; VGPRBlocks: 0
; NumSGPRsForWavesPerEU: 4
; NumVGPRsForWavesPerEU: 1
; Occupancy: 10
; WaveLimiterHint : 0
; COMPUTE_PGM_RSRC2:SCRATCH_EN: 0
; COMPUTE_PGM_RSRC2:USER_SGPR: 6
; COMPUTE_PGM_RSRC2:TRAP_HANDLER: 0
; COMPUTE_PGM_RSRC2:TGID_X_EN: 1
; COMPUTE_PGM_RSRC2:TGID_Y_EN: 0
; COMPUTE_PGM_RSRC2:TGID_Z_EN: 0
; COMPUTE_PGM_RSRC2:TIDIG_COMP_CNT: 0
	.section	.text._ZN7rocprim17ROCPRIM_400000_NS6detail17trampoline_kernelINS0_14default_configENS1_29reduce_by_key_config_selectorIalN6thrust23THRUST_200600_302600_NS4plusIlEEEEZZNS1_33reduce_by_key_impl_wrapped_configILNS1_25lookback_scan_determinismE0ES3_S9_PaNS6_17constant_iteratorIiNS6_11use_defaultESE_EENS6_10device_ptrIaEENSG_IlEEPmS8_NS6_8equal_toIaEEEE10hipError_tPvRmT2_T3_mT4_T5_T6_T7_T8_P12ihipStream_tbENKUlT_T0_E_clISt17integral_constantIbLb1EES13_EEDaSY_SZ_EUlSY_E_NS1_11comp_targetILNS1_3genE10ELNS1_11target_archE1201ELNS1_3gpuE5ELNS1_3repE0EEENS1_30default_config_static_selectorELNS0_4arch9wavefront6targetE1EEEvT1_,"axG",@progbits,_ZN7rocprim17ROCPRIM_400000_NS6detail17trampoline_kernelINS0_14default_configENS1_29reduce_by_key_config_selectorIalN6thrust23THRUST_200600_302600_NS4plusIlEEEEZZNS1_33reduce_by_key_impl_wrapped_configILNS1_25lookback_scan_determinismE0ES3_S9_PaNS6_17constant_iteratorIiNS6_11use_defaultESE_EENS6_10device_ptrIaEENSG_IlEEPmS8_NS6_8equal_toIaEEEE10hipError_tPvRmT2_T3_mT4_T5_T6_T7_T8_P12ihipStream_tbENKUlT_T0_E_clISt17integral_constantIbLb1EES13_EEDaSY_SZ_EUlSY_E_NS1_11comp_targetILNS1_3genE10ELNS1_11target_archE1201ELNS1_3gpuE5ELNS1_3repE0EEENS1_30default_config_static_selectorELNS0_4arch9wavefront6targetE1EEEvT1_,comdat
	.protected	_ZN7rocprim17ROCPRIM_400000_NS6detail17trampoline_kernelINS0_14default_configENS1_29reduce_by_key_config_selectorIalN6thrust23THRUST_200600_302600_NS4plusIlEEEEZZNS1_33reduce_by_key_impl_wrapped_configILNS1_25lookback_scan_determinismE0ES3_S9_PaNS6_17constant_iteratorIiNS6_11use_defaultESE_EENS6_10device_ptrIaEENSG_IlEEPmS8_NS6_8equal_toIaEEEE10hipError_tPvRmT2_T3_mT4_T5_T6_T7_T8_P12ihipStream_tbENKUlT_T0_E_clISt17integral_constantIbLb1EES13_EEDaSY_SZ_EUlSY_E_NS1_11comp_targetILNS1_3genE10ELNS1_11target_archE1201ELNS1_3gpuE5ELNS1_3repE0EEENS1_30default_config_static_selectorELNS0_4arch9wavefront6targetE1EEEvT1_ ; -- Begin function _ZN7rocprim17ROCPRIM_400000_NS6detail17trampoline_kernelINS0_14default_configENS1_29reduce_by_key_config_selectorIalN6thrust23THRUST_200600_302600_NS4plusIlEEEEZZNS1_33reduce_by_key_impl_wrapped_configILNS1_25lookback_scan_determinismE0ES3_S9_PaNS6_17constant_iteratorIiNS6_11use_defaultESE_EENS6_10device_ptrIaEENSG_IlEEPmS8_NS6_8equal_toIaEEEE10hipError_tPvRmT2_T3_mT4_T5_T6_T7_T8_P12ihipStream_tbENKUlT_T0_E_clISt17integral_constantIbLb1EES13_EEDaSY_SZ_EUlSY_E_NS1_11comp_targetILNS1_3genE10ELNS1_11target_archE1201ELNS1_3gpuE5ELNS1_3repE0EEENS1_30default_config_static_selectorELNS0_4arch9wavefront6targetE1EEEvT1_
	.globl	_ZN7rocprim17ROCPRIM_400000_NS6detail17trampoline_kernelINS0_14default_configENS1_29reduce_by_key_config_selectorIalN6thrust23THRUST_200600_302600_NS4plusIlEEEEZZNS1_33reduce_by_key_impl_wrapped_configILNS1_25lookback_scan_determinismE0ES3_S9_PaNS6_17constant_iteratorIiNS6_11use_defaultESE_EENS6_10device_ptrIaEENSG_IlEEPmS8_NS6_8equal_toIaEEEE10hipError_tPvRmT2_T3_mT4_T5_T6_T7_T8_P12ihipStream_tbENKUlT_T0_E_clISt17integral_constantIbLb1EES13_EEDaSY_SZ_EUlSY_E_NS1_11comp_targetILNS1_3genE10ELNS1_11target_archE1201ELNS1_3gpuE5ELNS1_3repE0EEENS1_30default_config_static_selectorELNS0_4arch9wavefront6targetE1EEEvT1_
	.p2align	8
	.type	_ZN7rocprim17ROCPRIM_400000_NS6detail17trampoline_kernelINS0_14default_configENS1_29reduce_by_key_config_selectorIalN6thrust23THRUST_200600_302600_NS4plusIlEEEEZZNS1_33reduce_by_key_impl_wrapped_configILNS1_25lookback_scan_determinismE0ES3_S9_PaNS6_17constant_iteratorIiNS6_11use_defaultESE_EENS6_10device_ptrIaEENSG_IlEEPmS8_NS6_8equal_toIaEEEE10hipError_tPvRmT2_T3_mT4_T5_T6_T7_T8_P12ihipStream_tbENKUlT_T0_E_clISt17integral_constantIbLb1EES13_EEDaSY_SZ_EUlSY_E_NS1_11comp_targetILNS1_3genE10ELNS1_11target_archE1201ELNS1_3gpuE5ELNS1_3repE0EEENS1_30default_config_static_selectorELNS0_4arch9wavefront6targetE1EEEvT1_,@function
_ZN7rocprim17ROCPRIM_400000_NS6detail17trampoline_kernelINS0_14default_configENS1_29reduce_by_key_config_selectorIalN6thrust23THRUST_200600_302600_NS4plusIlEEEEZZNS1_33reduce_by_key_impl_wrapped_configILNS1_25lookback_scan_determinismE0ES3_S9_PaNS6_17constant_iteratorIiNS6_11use_defaultESE_EENS6_10device_ptrIaEENSG_IlEEPmS8_NS6_8equal_toIaEEEE10hipError_tPvRmT2_T3_mT4_T5_T6_T7_T8_P12ihipStream_tbENKUlT_T0_E_clISt17integral_constantIbLb1EES13_EEDaSY_SZ_EUlSY_E_NS1_11comp_targetILNS1_3genE10ELNS1_11target_archE1201ELNS1_3gpuE5ELNS1_3repE0EEENS1_30default_config_static_selectorELNS0_4arch9wavefront6targetE1EEEvT1_: ; @_ZN7rocprim17ROCPRIM_400000_NS6detail17trampoline_kernelINS0_14default_configENS1_29reduce_by_key_config_selectorIalN6thrust23THRUST_200600_302600_NS4plusIlEEEEZZNS1_33reduce_by_key_impl_wrapped_configILNS1_25lookback_scan_determinismE0ES3_S9_PaNS6_17constant_iteratorIiNS6_11use_defaultESE_EENS6_10device_ptrIaEENSG_IlEEPmS8_NS6_8equal_toIaEEEE10hipError_tPvRmT2_T3_mT4_T5_T6_T7_T8_P12ihipStream_tbENKUlT_T0_E_clISt17integral_constantIbLb1EES13_EEDaSY_SZ_EUlSY_E_NS1_11comp_targetILNS1_3genE10ELNS1_11target_archE1201ELNS1_3gpuE5ELNS1_3repE0EEENS1_30default_config_static_selectorELNS0_4arch9wavefront6targetE1EEEvT1_
; %bb.0:
	.section	.rodata,"a",@progbits
	.p2align	6, 0x0
	.amdhsa_kernel _ZN7rocprim17ROCPRIM_400000_NS6detail17trampoline_kernelINS0_14default_configENS1_29reduce_by_key_config_selectorIalN6thrust23THRUST_200600_302600_NS4plusIlEEEEZZNS1_33reduce_by_key_impl_wrapped_configILNS1_25lookback_scan_determinismE0ES3_S9_PaNS6_17constant_iteratorIiNS6_11use_defaultESE_EENS6_10device_ptrIaEENSG_IlEEPmS8_NS6_8equal_toIaEEEE10hipError_tPvRmT2_T3_mT4_T5_T6_T7_T8_P12ihipStream_tbENKUlT_T0_E_clISt17integral_constantIbLb1EES13_EEDaSY_SZ_EUlSY_E_NS1_11comp_targetILNS1_3genE10ELNS1_11target_archE1201ELNS1_3gpuE5ELNS1_3repE0EEENS1_30default_config_static_selectorELNS0_4arch9wavefront6targetE1EEEvT1_
		.amdhsa_group_segment_fixed_size 0
		.amdhsa_private_segment_fixed_size 0
		.amdhsa_kernarg_size 144
		.amdhsa_user_sgpr_count 6
		.amdhsa_user_sgpr_private_segment_buffer 1
		.amdhsa_user_sgpr_dispatch_ptr 0
		.amdhsa_user_sgpr_queue_ptr 0
		.amdhsa_user_sgpr_kernarg_segment_ptr 1
		.amdhsa_user_sgpr_dispatch_id 0
		.amdhsa_user_sgpr_flat_scratch_init 0
		.amdhsa_user_sgpr_private_segment_size 0
		.amdhsa_uses_dynamic_stack 0
		.amdhsa_system_sgpr_private_segment_wavefront_offset 0
		.amdhsa_system_sgpr_workgroup_id_x 1
		.amdhsa_system_sgpr_workgroup_id_y 0
		.amdhsa_system_sgpr_workgroup_id_z 0
		.amdhsa_system_sgpr_workgroup_info 0
		.amdhsa_system_vgpr_workitem_id 0
		.amdhsa_next_free_vgpr 1
		.amdhsa_next_free_sgpr 0
		.amdhsa_reserve_vcc 0
		.amdhsa_reserve_flat_scratch 0
		.amdhsa_float_round_mode_32 0
		.amdhsa_float_round_mode_16_64 0
		.amdhsa_float_denorm_mode_32 3
		.amdhsa_float_denorm_mode_16_64 3
		.amdhsa_dx10_clamp 1
		.amdhsa_ieee_mode 1
		.amdhsa_fp16_overflow 0
		.amdhsa_exception_fp_ieee_invalid_op 0
		.amdhsa_exception_fp_denorm_src 0
		.amdhsa_exception_fp_ieee_div_zero 0
		.amdhsa_exception_fp_ieee_overflow 0
		.amdhsa_exception_fp_ieee_underflow 0
		.amdhsa_exception_fp_ieee_inexact 0
		.amdhsa_exception_int_div_zero 0
	.end_amdhsa_kernel
	.section	.text._ZN7rocprim17ROCPRIM_400000_NS6detail17trampoline_kernelINS0_14default_configENS1_29reduce_by_key_config_selectorIalN6thrust23THRUST_200600_302600_NS4plusIlEEEEZZNS1_33reduce_by_key_impl_wrapped_configILNS1_25lookback_scan_determinismE0ES3_S9_PaNS6_17constant_iteratorIiNS6_11use_defaultESE_EENS6_10device_ptrIaEENSG_IlEEPmS8_NS6_8equal_toIaEEEE10hipError_tPvRmT2_T3_mT4_T5_T6_T7_T8_P12ihipStream_tbENKUlT_T0_E_clISt17integral_constantIbLb1EES13_EEDaSY_SZ_EUlSY_E_NS1_11comp_targetILNS1_3genE10ELNS1_11target_archE1201ELNS1_3gpuE5ELNS1_3repE0EEENS1_30default_config_static_selectorELNS0_4arch9wavefront6targetE1EEEvT1_,"axG",@progbits,_ZN7rocprim17ROCPRIM_400000_NS6detail17trampoline_kernelINS0_14default_configENS1_29reduce_by_key_config_selectorIalN6thrust23THRUST_200600_302600_NS4plusIlEEEEZZNS1_33reduce_by_key_impl_wrapped_configILNS1_25lookback_scan_determinismE0ES3_S9_PaNS6_17constant_iteratorIiNS6_11use_defaultESE_EENS6_10device_ptrIaEENSG_IlEEPmS8_NS6_8equal_toIaEEEE10hipError_tPvRmT2_T3_mT4_T5_T6_T7_T8_P12ihipStream_tbENKUlT_T0_E_clISt17integral_constantIbLb1EES13_EEDaSY_SZ_EUlSY_E_NS1_11comp_targetILNS1_3genE10ELNS1_11target_archE1201ELNS1_3gpuE5ELNS1_3repE0EEENS1_30default_config_static_selectorELNS0_4arch9wavefront6targetE1EEEvT1_,comdat
.Lfunc_end686:
	.size	_ZN7rocprim17ROCPRIM_400000_NS6detail17trampoline_kernelINS0_14default_configENS1_29reduce_by_key_config_selectorIalN6thrust23THRUST_200600_302600_NS4plusIlEEEEZZNS1_33reduce_by_key_impl_wrapped_configILNS1_25lookback_scan_determinismE0ES3_S9_PaNS6_17constant_iteratorIiNS6_11use_defaultESE_EENS6_10device_ptrIaEENSG_IlEEPmS8_NS6_8equal_toIaEEEE10hipError_tPvRmT2_T3_mT4_T5_T6_T7_T8_P12ihipStream_tbENKUlT_T0_E_clISt17integral_constantIbLb1EES13_EEDaSY_SZ_EUlSY_E_NS1_11comp_targetILNS1_3genE10ELNS1_11target_archE1201ELNS1_3gpuE5ELNS1_3repE0EEENS1_30default_config_static_selectorELNS0_4arch9wavefront6targetE1EEEvT1_, .Lfunc_end686-_ZN7rocprim17ROCPRIM_400000_NS6detail17trampoline_kernelINS0_14default_configENS1_29reduce_by_key_config_selectorIalN6thrust23THRUST_200600_302600_NS4plusIlEEEEZZNS1_33reduce_by_key_impl_wrapped_configILNS1_25lookback_scan_determinismE0ES3_S9_PaNS6_17constant_iteratorIiNS6_11use_defaultESE_EENS6_10device_ptrIaEENSG_IlEEPmS8_NS6_8equal_toIaEEEE10hipError_tPvRmT2_T3_mT4_T5_T6_T7_T8_P12ihipStream_tbENKUlT_T0_E_clISt17integral_constantIbLb1EES13_EEDaSY_SZ_EUlSY_E_NS1_11comp_targetILNS1_3genE10ELNS1_11target_archE1201ELNS1_3gpuE5ELNS1_3repE0EEENS1_30default_config_static_selectorELNS0_4arch9wavefront6targetE1EEEvT1_
                                        ; -- End function
	.set _ZN7rocprim17ROCPRIM_400000_NS6detail17trampoline_kernelINS0_14default_configENS1_29reduce_by_key_config_selectorIalN6thrust23THRUST_200600_302600_NS4plusIlEEEEZZNS1_33reduce_by_key_impl_wrapped_configILNS1_25lookback_scan_determinismE0ES3_S9_PaNS6_17constant_iteratorIiNS6_11use_defaultESE_EENS6_10device_ptrIaEENSG_IlEEPmS8_NS6_8equal_toIaEEEE10hipError_tPvRmT2_T3_mT4_T5_T6_T7_T8_P12ihipStream_tbENKUlT_T0_E_clISt17integral_constantIbLb1EES13_EEDaSY_SZ_EUlSY_E_NS1_11comp_targetILNS1_3genE10ELNS1_11target_archE1201ELNS1_3gpuE5ELNS1_3repE0EEENS1_30default_config_static_selectorELNS0_4arch9wavefront6targetE1EEEvT1_.num_vgpr, 0
	.set _ZN7rocprim17ROCPRIM_400000_NS6detail17trampoline_kernelINS0_14default_configENS1_29reduce_by_key_config_selectorIalN6thrust23THRUST_200600_302600_NS4plusIlEEEEZZNS1_33reduce_by_key_impl_wrapped_configILNS1_25lookback_scan_determinismE0ES3_S9_PaNS6_17constant_iteratorIiNS6_11use_defaultESE_EENS6_10device_ptrIaEENSG_IlEEPmS8_NS6_8equal_toIaEEEE10hipError_tPvRmT2_T3_mT4_T5_T6_T7_T8_P12ihipStream_tbENKUlT_T0_E_clISt17integral_constantIbLb1EES13_EEDaSY_SZ_EUlSY_E_NS1_11comp_targetILNS1_3genE10ELNS1_11target_archE1201ELNS1_3gpuE5ELNS1_3repE0EEENS1_30default_config_static_selectorELNS0_4arch9wavefront6targetE1EEEvT1_.num_agpr, 0
	.set _ZN7rocprim17ROCPRIM_400000_NS6detail17trampoline_kernelINS0_14default_configENS1_29reduce_by_key_config_selectorIalN6thrust23THRUST_200600_302600_NS4plusIlEEEEZZNS1_33reduce_by_key_impl_wrapped_configILNS1_25lookback_scan_determinismE0ES3_S9_PaNS6_17constant_iteratorIiNS6_11use_defaultESE_EENS6_10device_ptrIaEENSG_IlEEPmS8_NS6_8equal_toIaEEEE10hipError_tPvRmT2_T3_mT4_T5_T6_T7_T8_P12ihipStream_tbENKUlT_T0_E_clISt17integral_constantIbLb1EES13_EEDaSY_SZ_EUlSY_E_NS1_11comp_targetILNS1_3genE10ELNS1_11target_archE1201ELNS1_3gpuE5ELNS1_3repE0EEENS1_30default_config_static_selectorELNS0_4arch9wavefront6targetE1EEEvT1_.numbered_sgpr, 0
	.set _ZN7rocprim17ROCPRIM_400000_NS6detail17trampoline_kernelINS0_14default_configENS1_29reduce_by_key_config_selectorIalN6thrust23THRUST_200600_302600_NS4plusIlEEEEZZNS1_33reduce_by_key_impl_wrapped_configILNS1_25lookback_scan_determinismE0ES3_S9_PaNS6_17constant_iteratorIiNS6_11use_defaultESE_EENS6_10device_ptrIaEENSG_IlEEPmS8_NS6_8equal_toIaEEEE10hipError_tPvRmT2_T3_mT4_T5_T6_T7_T8_P12ihipStream_tbENKUlT_T0_E_clISt17integral_constantIbLb1EES13_EEDaSY_SZ_EUlSY_E_NS1_11comp_targetILNS1_3genE10ELNS1_11target_archE1201ELNS1_3gpuE5ELNS1_3repE0EEENS1_30default_config_static_selectorELNS0_4arch9wavefront6targetE1EEEvT1_.num_named_barrier, 0
	.set _ZN7rocprim17ROCPRIM_400000_NS6detail17trampoline_kernelINS0_14default_configENS1_29reduce_by_key_config_selectorIalN6thrust23THRUST_200600_302600_NS4plusIlEEEEZZNS1_33reduce_by_key_impl_wrapped_configILNS1_25lookback_scan_determinismE0ES3_S9_PaNS6_17constant_iteratorIiNS6_11use_defaultESE_EENS6_10device_ptrIaEENSG_IlEEPmS8_NS6_8equal_toIaEEEE10hipError_tPvRmT2_T3_mT4_T5_T6_T7_T8_P12ihipStream_tbENKUlT_T0_E_clISt17integral_constantIbLb1EES13_EEDaSY_SZ_EUlSY_E_NS1_11comp_targetILNS1_3genE10ELNS1_11target_archE1201ELNS1_3gpuE5ELNS1_3repE0EEENS1_30default_config_static_selectorELNS0_4arch9wavefront6targetE1EEEvT1_.private_seg_size, 0
	.set _ZN7rocprim17ROCPRIM_400000_NS6detail17trampoline_kernelINS0_14default_configENS1_29reduce_by_key_config_selectorIalN6thrust23THRUST_200600_302600_NS4plusIlEEEEZZNS1_33reduce_by_key_impl_wrapped_configILNS1_25lookback_scan_determinismE0ES3_S9_PaNS6_17constant_iteratorIiNS6_11use_defaultESE_EENS6_10device_ptrIaEENSG_IlEEPmS8_NS6_8equal_toIaEEEE10hipError_tPvRmT2_T3_mT4_T5_T6_T7_T8_P12ihipStream_tbENKUlT_T0_E_clISt17integral_constantIbLb1EES13_EEDaSY_SZ_EUlSY_E_NS1_11comp_targetILNS1_3genE10ELNS1_11target_archE1201ELNS1_3gpuE5ELNS1_3repE0EEENS1_30default_config_static_selectorELNS0_4arch9wavefront6targetE1EEEvT1_.uses_vcc, 0
	.set _ZN7rocprim17ROCPRIM_400000_NS6detail17trampoline_kernelINS0_14default_configENS1_29reduce_by_key_config_selectorIalN6thrust23THRUST_200600_302600_NS4plusIlEEEEZZNS1_33reduce_by_key_impl_wrapped_configILNS1_25lookback_scan_determinismE0ES3_S9_PaNS6_17constant_iteratorIiNS6_11use_defaultESE_EENS6_10device_ptrIaEENSG_IlEEPmS8_NS6_8equal_toIaEEEE10hipError_tPvRmT2_T3_mT4_T5_T6_T7_T8_P12ihipStream_tbENKUlT_T0_E_clISt17integral_constantIbLb1EES13_EEDaSY_SZ_EUlSY_E_NS1_11comp_targetILNS1_3genE10ELNS1_11target_archE1201ELNS1_3gpuE5ELNS1_3repE0EEENS1_30default_config_static_selectorELNS0_4arch9wavefront6targetE1EEEvT1_.uses_flat_scratch, 0
	.set _ZN7rocprim17ROCPRIM_400000_NS6detail17trampoline_kernelINS0_14default_configENS1_29reduce_by_key_config_selectorIalN6thrust23THRUST_200600_302600_NS4plusIlEEEEZZNS1_33reduce_by_key_impl_wrapped_configILNS1_25lookback_scan_determinismE0ES3_S9_PaNS6_17constant_iteratorIiNS6_11use_defaultESE_EENS6_10device_ptrIaEENSG_IlEEPmS8_NS6_8equal_toIaEEEE10hipError_tPvRmT2_T3_mT4_T5_T6_T7_T8_P12ihipStream_tbENKUlT_T0_E_clISt17integral_constantIbLb1EES13_EEDaSY_SZ_EUlSY_E_NS1_11comp_targetILNS1_3genE10ELNS1_11target_archE1201ELNS1_3gpuE5ELNS1_3repE0EEENS1_30default_config_static_selectorELNS0_4arch9wavefront6targetE1EEEvT1_.has_dyn_sized_stack, 0
	.set _ZN7rocprim17ROCPRIM_400000_NS6detail17trampoline_kernelINS0_14default_configENS1_29reduce_by_key_config_selectorIalN6thrust23THRUST_200600_302600_NS4plusIlEEEEZZNS1_33reduce_by_key_impl_wrapped_configILNS1_25lookback_scan_determinismE0ES3_S9_PaNS6_17constant_iteratorIiNS6_11use_defaultESE_EENS6_10device_ptrIaEENSG_IlEEPmS8_NS6_8equal_toIaEEEE10hipError_tPvRmT2_T3_mT4_T5_T6_T7_T8_P12ihipStream_tbENKUlT_T0_E_clISt17integral_constantIbLb1EES13_EEDaSY_SZ_EUlSY_E_NS1_11comp_targetILNS1_3genE10ELNS1_11target_archE1201ELNS1_3gpuE5ELNS1_3repE0EEENS1_30default_config_static_selectorELNS0_4arch9wavefront6targetE1EEEvT1_.has_recursion, 0
	.set _ZN7rocprim17ROCPRIM_400000_NS6detail17trampoline_kernelINS0_14default_configENS1_29reduce_by_key_config_selectorIalN6thrust23THRUST_200600_302600_NS4plusIlEEEEZZNS1_33reduce_by_key_impl_wrapped_configILNS1_25lookback_scan_determinismE0ES3_S9_PaNS6_17constant_iteratorIiNS6_11use_defaultESE_EENS6_10device_ptrIaEENSG_IlEEPmS8_NS6_8equal_toIaEEEE10hipError_tPvRmT2_T3_mT4_T5_T6_T7_T8_P12ihipStream_tbENKUlT_T0_E_clISt17integral_constantIbLb1EES13_EEDaSY_SZ_EUlSY_E_NS1_11comp_targetILNS1_3genE10ELNS1_11target_archE1201ELNS1_3gpuE5ELNS1_3repE0EEENS1_30default_config_static_selectorELNS0_4arch9wavefront6targetE1EEEvT1_.has_indirect_call, 0
	.section	.AMDGPU.csdata,"",@progbits
; Kernel info:
; codeLenInByte = 0
; TotalNumSgprs: 4
; NumVgprs: 0
; ScratchSize: 0
; MemoryBound: 0
; FloatMode: 240
; IeeeMode: 1
; LDSByteSize: 0 bytes/workgroup (compile time only)
; SGPRBlocks: 0
; VGPRBlocks: 0
; NumSGPRsForWavesPerEU: 4
; NumVGPRsForWavesPerEU: 1
; Occupancy: 10
; WaveLimiterHint : 0
; COMPUTE_PGM_RSRC2:SCRATCH_EN: 0
; COMPUTE_PGM_RSRC2:USER_SGPR: 6
; COMPUTE_PGM_RSRC2:TRAP_HANDLER: 0
; COMPUTE_PGM_RSRC2:TGID_X_EN: 1
; COMPUTE_PGM_RSRC2:TGID_Y_EN: 0
; COMPUTE_PGM_RSRC2:TGID_Z_EN: 0
; COMPUTE_PGM_RSRC2:TIDIG_COMP_CNT: 0
	.section	.text._ZN7rocprim17ROCPRIM_400000_NS6detail17trampoline_kernelINS0_14default_configENS1_29reduce_by_key_config_selectorIalN6thrust23THRUST_200600_302600_NS4plusIlEEEEZZNS1_33reduce_by_key_impl_wrapped_configILNS1_25lookback_scan_determinismE0ES3_S9_PaNS6_17constant_iteratorIiNS6_11use_defaultESE_EENS6_10device_ptrIaEENSG_IlEEPmS8_NS6_8equal_toIaEEEE10hipError_tPvRmT2_T3_mT4_T5_T6_T7_T8_P12ihipStream_tbENKUlT_T0_E_clISt17integral_constantIbLb1EES13_EEDaSY_SZ_EUlSY_E_NS1_11comp_targetILNS1_3genE10ELNS1_11target_archE1200ELNS1_3gpuE4ELNS1_3repE0EEENS1_30default_config_static_selectorELNS0_4arch9wavefront6targetE1EEEvT1_,"axG",@progbits,_ZN7rocprim17ROCPRIM_400000_NS6detail17trampoline_kernelINS0_14default_configENS1_29reduce_by_key_config_selectorIalN6thrust23THRUST_200600_302600_NS4plusIlEEEEZZNS1_33reduce_by_key_impl_wrapped_configILNS1_25lookback_scan_determinismE0ES3_S9_PaNS6_17constant_iteratorIiNS6_11use_defaultESE_EENS6_10device_ptrIaEENSG_IlEEPmS8_NS6_8equal_toIaEEEE10hipError_tPvRmT2_T3_mT4_T5_T6_T7_T8_P12ihipStream_tbENKUlT_T0_E_clISt17integral_constantIbLb1EES13_EEDaSY_SZ_EUlSY_E_NS1_11comp_targetILNS1_3genE10ELNS1_11target_archE1200ELNS1_3gpuE4ELNS1_3repE0EEENS1_30default_config_static_selectorELNS0_4arch9wavefront6targetE1EEEvT1_,comdat
	.protected	_ZN7rocprim17ROCPRIM_400000_NS6detail17trampoline_kernelINS0_14default_configENS1_29reduce_by_key_config_selectorIalN6thrust23THRUST_200600_302600_NS4plusIlEEEEZZNS1_33reduce_by_key_impl_wrapped_configILNS1_25lookback_scan_determinismE0ES3_S9_PaNS6_17constant_iteratorIiNS6_11use_defaultESE_EENS6_10device_ptrIaEENSG_IlEEPmS8_NS6_8equal_toIaEEEE10hipError_tPvRmT2_T3_mT4_T5_T6_T7_T8_P12ihipStream_tbENKUlT_T0_E_clISt17integral_constantIbLb1EES13_EEDaSY_SZ_EUlSY_E_NS1_11comp_targetILNS1_3genE10ELNS1_11target_archE1200ELNS1_3gpuE4ELNS1_3repE0EEENS1_30default_config_static_selectorELNS0_4arch9wavefront6targetE1EEEvT1_ ; -- Begin function _ZN7rocprim17ROCPRIM_400000_NS6detail17trampoline_kernelINS0_14default_configENS1_29reduce_by_key_config_selectorIalN6thrust23THRUST_200600_302600_NS4plusIlEEEEZZNS1_33reduce_by_key_impl_wrapped_configILNS1_25lookback_scan_determinismE0ES3_S9_PaNS6_17constant_iteratorIiNS6_11use_defaultESE_EENS6_10device_ptrIaEENSG_IlEEPmS8_NS6_8equal_toIaEEEE10hipError_tPvRmT2_T3_mT4_T5_T6_T7_T8_P12ihipStream_tbENKUlT_T0_E_clISt17integral_constantIbLb1EES13_EEDaSY_SZ_EUlSY_E_NS1_11comp_targetILNS1_3genE10ELNS1_11target_archE1200ELNS1_3gpuE4ELNS1_3repE0EEENS1_30default_config_static_selectorELNS0_4arch9wavefront6targetE1EEEvT1_
	.globl	_ZN7rocprim17ROCPRIM_400000_NS6detail17trampoline_kernelINS0_14default_configENS1_29reduce_by_key_config_selectorIalN6thrust23THRUST_200600_302600_NS4plusIlEEEEZZNS1_33reduce_by_key_impl_wrapped_configILNS1_25lookback_scan_determinismE0ES3_S9_PaNS6_17constant_iteratorIiNS6_11use_defaultESE_EENS6_10device_ptrIaEENSG_IlEEPmS8_NS6_8equal_toIaEEEE10hipError_tPvRmT2_T3_mT4_T5_T6_T7_T8_P12ihipStream_tbENKUlT_T0_E_clISt17integral_constantIbLb1EES13_EEDaSY_SZ_EUlSY_E_NS1_11comp_targetILNS1_3genE10ELNS1_11target_archE1200ELNS1_3gpuE4ELNS1_3repE0EEENS1_30default_config_static_selectorELNS0_4arch9wavefront6targetE1EEEvT1_
	.p2align	8
	.type	_ZN7rocprim17ROCPRIM_400000_NS6detail17trampoline_kernelINS0_14default_configENS1_29reduce_by_key_config_selectorIalN6thrust23THRUST_200600_302600_NS4plusIlEEEEZZNS1_33reduce_by_key_impl_wrapped_configILNS1_25lookback_scan_determinismE0ES3_S9_PaNS6_17constant_iteratorIiNS6_11use_defaultESE_EENS6_10device_ptrIaEENSG_IlEEPmS8_NS6_8equal_toIaEEEE10hipError_tPvRmT2_T3_mT4_T5_T6_T7_T8_P12ihipStream_tbENKUlT_T0_E_clISt17integral_constantIbLb1EES13_EEDaSY_SZ_EUlSY_E_NS1_11comp_targetILNS1_3genE10ELNS1_11target_archE1200ELNS1_3gpuE4ELNS1_3repE0EEENS1_30default_config_static_selectorELNS0_4arch9wavefront6targetE1EEEvT1_,@function
_ZN7rocprim17ROCPRIM_400000_NS6detail17trampoline_kernelINS0_14default_configENS1_29reduce_by_key_config_selectorIalN6thrust23THRUST_200600_302600_NS4plusIlEEEEZZNS1_33reduce_by_key_impl_wrapped_configILNS1_25lookback_scan_determinismE0ES3_S9_PaNS6_17constant_iteratorIiNS6_11use_defaultESE_EENS6_10device_ptrIaEENSG_IlEEPmS8_NS6_8equal_toIaEEEE10hipError_tPvRmT2_T3_mT4_T5_T6_T7_T8_P12ihipStream_tbENKUlT_T0_E_clISt17integral_constantIbLb1EES13_EEDaSY_SZ_EUlSY_E_NS1_11comp_targetILNS1_3genE10ELNS1_11target_archE1200ELNS1_3gpuE4ELNS1_3repE0EEENS1_30default_config_static_selectorELNS0_4arch9wavefront6targetE1EEEvT1_: ; @_ZN7rocprim17ROCPRIM_400000_NS6detail17trampoline_kernelINS0_14default_configENS1_29reduce_by_key_config_selectorIalN6thrust23THRUST_200600_302600_NS4plusIlEEEEZZNS1_33reduce_by_key_impl_wrapped_configILNS1_25lookback_scan_determinismE0ES3_S9_PaNS6_17constant_iteratorIiNS6_11use_defaultESE_EENS6_10device_ptrIaEENSG_IlEEPmS8_NS6_8equal_toIaEEEE10hipError_tPvRmT2_T3_mT4_T5_T6_T7_T8_P12ihipStream_tbENKUlT_T0_E_clISt17integral_constantIbLb1EES13_EEDaSY_SZ_EUlSY_E_NS1_11comp_targetILNS1_3genE10ELNS1_11target_archE1200ELNS1_3gpuE4ELNS1_3repE0EEENS1_30default_config_static_selectorELNS0_4arch9wavefront6targetE1EEEvT1_
; %bb.0:
	.section	.rodata,"a",@progbits
	.p2align	6, 0x0
	.amdhsa_kernel _ZN7rocprim17ROCPRIM_400000_NS6detail17trampoline_kernelINS0_14default_configENS1_29reduce_by_key_config_selectorIalN6thrust23THRUST_200600_302600_NS4plusIlEEEEZZNS1_33reduce_by_key_impl_wrapped_configILNS1_25lookback_scan_determinismE0ES3_S9_PaNS6_17constant_iteratorIiNS6_11use_defaultESE_EENS6_10device_ptrIaEENSG_IlEEPmS8_NS6_8equal_toIaEEEE10hipError_tPvRmT2_T3_mT4_T5_T6_T7_T8_P12ihipStream_tbENKUlT_T0_E_clISt17integral_constantIbLb1EES13_EEDaSY_SZ_EUlSY_E_NS1_11comp_targetILNS1_3genE10ELNS1_11target_archE1200ELNS1_3gpuE4ELNS1_3repE0EEENS1_30default_config_static_selectorELNS0_4arch9wavefront6targetE1EEEvT1_
		.amdhsa_group_segment_fixed_size 0
		.amdhsa_private_segment_fixed_size 0
		.amdhsa_kernarg_size 144
		.amdhsa_user_sgpr_count 6
		.amdhsa_user_sgpr_private_segment_buffer 1
		.amdhsa_user_sgpr_dispatch_ptr 0
		.amdhsa_user_sgpr_queue_ptr 0
		.amdhsa_user_sgpr_kernarg_segment_ptr 1
		.amdhsa_user_sgpr_dispatch_id 0
		.amdhsa_user_sgpr_flat_scratch_init 0
		.amdhsa_user_sgpr_private_segment_size 0
		.amdhsa_uses_dynamic_stack 0
		.amdhsa_system_sgpr_private_segment_wavefront_offset 0
		.amdhsa_system_sgpr_workgroup_id_x 1
		.amdhsa_system_sgpr_workgroup_id_y 0
		.amdhsa_system_sgpr_workgroup_id_z 0
		.amdhsa_system_sgpr_workgroup_info 0
		.amdhsa_system_vgpr_workitem_id 0
		.amdhsa_next_free_vgpr 1
		.amdhsa_next_free_sgpr 0
		.amdhsa_reserve_vcc 0
		.amdhsa_reserve_flat_scratch 0
		.amdhsa_float_round_mode_32 0
		.amdhsa_float_round_mode_16_64 0
		.amdhsa_float_denorm_mode_32 3
		.amdhsa_float_denorm_mode_16_64 3
		.amdhsa_dx10_clamp 1
		.amdhsa_ieee_mode 1
		.amdhsa_fp16_overflow 0
		.amdhsa_exception_fp_ieee_invalid_op 0
		.amdhsa_exception_fp_denorm_src 0
		.amdhsa_exception_fp_ieee_div_zero 0
		.amdhsa_exception_fp_ieee_overflow 0
		.amdhsa_exception_fp_ieee_underflow 0
		.amdhsa_exception_fp_ieee_inexact 0
		.amdhsa_exception_int_div_zero 0
	.end_amdhsa_kernel
	.section	.text._ZN7rocprim17ROCPRIM_400000_NS6detail17trampoline_kernelINS0_14default_configENS1_29reduce_by_key_config_selectorIalN6thrust23THRUST_200600_302600_NS4plusIlEEEEZZNS1_33reduce_by_key_impl_wrapped_configILNS1_25lookback_scan_determinismE0ES3_S9_PaNS6_17constant_iteratorIiNS6_11use_defaultESE_EENS6_10device_ptrIaEENSG_IlEEPmS8_NS6_8equal_toIaEEEE10hipError_tPvRmT2_T3_mT4_T5_T6_T7_T8_P12ihipStream_tbENKUlT_T0_E_clISt17integral_constantIbLb1EES13_EEDaSY_SZ_EUlSY_E_NS1_11comp_targetILNS1_3genE10ELNS1_11target_archE1200ELNS1_3gpuE4ELNS1_3repE0EEENS1_30default_config_static_selectorELNS0_4arch9wavefront6targetE1EEEvT1_,"axG",@progbits,_ZN7rocprim17ROCPRIM_400000_NS6detail17trampoline_kernelINS0_14default_configENS1_29reduce_by_key_config_selectorIalN6thrust23THRUST_200600_302600_NS4plusIlEEEEZZNS1_33reduce_by_key_impl_wrapped_configILNS1_25lookback_scan_determinismE0ES3_S9_PaNS6_17constant_iteratorIiNS6_11use_defaultESE_EENS6_10device_ptrIaEENSG_IlEEPmS8_NS6_8equal_toIaEEEE10hipError_tPvRmT2_T3_mT4_T5_T6_T7_T8_P12ihipStream_tbENKUlT_T0_E_clISt17integral_constantIbLb1EES13_EEDaSY_SZ_EUlSY_E_NS1_11comp_targetILNS1_3genE10ELNS1_11target_archE1200ELNS1_3gpuE4ELNS1_3repE0EEENS1_30default_config_static_selectorELNS0_4arch9wavefront6targetE1EEEvT1_,comdat
.Lfunc_end687:
	.size	_ZN7rocprim17ROCPRIM_400000_NS6detail17trampoline_kernelINS0_14default_configENS1_29reduce_by_key_config_selectorIalN6thrust23THRUST_200600_302600_NS4plusIlEEEEZZNS1_33reduce_by_key_impl_wrapped_configILNS1_25lookback_scan_determinismE0ES3_S9_PaNS6_17constant_iteratorIiNS6_11use_defaultESE_EENS6_10device_ptrIaEENSG_IlEEPmS8_NS6_8equal_toIaEEEE10hipError_tPvRmT2_T3_mT4_T5_T6_T7_T8_P12ihipStream_tbENKUlT_T0_E_clISt17integral_constantIbLb1EES13_EEDaSY_SZ_EUlSY_E_NS1_11comp_targetILNS1_3genE10ELNS1_11target_archE1200ELNS1_3gpuE4ELNS1_3repE0EEENS1_30default_config_static_selectorELNS0_4arch9wavefront6targetE1EEEvT1_, .Lfunc_end687-_ZN7rocprim17ROCPRIM_400000_NS6detail17trampoline_kernelINS0_14default_configENS1_29reduce_by_key_config_selectorIalN6thrust23THRUST_200600_302600_NS4plusIlEEEEZZNS1_33reduce_by_key_impl_wrapped_configILNS1_25lookback_scan_determinismE0ES3_S9_PaNS6_17constant_iteratorIiNS6_11use_defaultESE_EENS6_10device_ptrIaEENSG_IlEEPmS8_NS6_8equal_toIaEEEE10hipError_tPvRmT2_T3_mT4_T5_T6_T7_T8_P12ihipStream_tbENKUlT_T0_E_clISt17integral_constantIbLb1EES13_EEDaSY_SZ_EUlSY_E_NS1_11comp_targetILNS1_3genE10ELNS1_11target_archE1200ELNS1_3gpuE4ELNS1_3repE0EEENS1_30default_config_static_selectorELNS0_4arch9wavefront6targetE1EEEvT1_
                                        ; -- End function
	.set _ZN7rocprim17ROCPRIM_400000_NS6detail17trampoline_kernelINS0_14default_configENS1_29reduce_by_key_config_selectorIalN6thrust23THRUST_200600_302600_NS4plusIlEEEEZZNS1_33reduce_by_key_impl_wrapped_configILNS1_25lookback_scan_determinismE0ES3_S9_PaNS6_17constant_iteratorIiNS6_11use_defaultESE_EENS6_10device_ptrIaEENSG_IlEEPmS8_NS6_8equal_toIaEEEE10hipError_tPvRmT2_T3_mT4_T5_T6_T7_T8_P12ihipStream_tbENKUlT_T0_E_clISt17integral_constantIbLb1EES13_EEDaSY_SZ_EUlSY_E_NS1_11comp_targetILNS1_3genE10ELNS1_11target_archE1200ELNS1_3gpuE4ELNS1_3repE0EEENS1_30default_config_static_selectorELNS0_4arch9wavefront6targetE1EEEvT1_.num_vgpr, 0
	.set _ZN7rocprim17ROCPRIM_400000_NS6detail17trampoline_kernelINS0_14default_configENS1_29reduce_by_key_config_selectorIalN6thrust23THRUST_200600_302600_NS4plusIlEEEEZZNS1_33reduce_by_key_impl_wrapped_configILNS1_25lookback_scan_determinismE0ES3_S9_PaNS6_17constant_iteratorIiNS6_11use_defaultESE_EENS6_10device_ptrIaEENSG_IlEEPmS8_NS6_8equal_toIaEEEE10hipError_tPvRmT2_T3_mT4_T5_T6_T7_T8_P12ihipStream_tbENKUlT_T0_E_clISt17integral_constantIbLb1EES13_EEDaSY_SZ_EUlSY_E_NS1_11comp_targetILNS1_3genE10ELNS1_11target_archE1200ELNS1_3gpuE4ELNS1_3repE0EEENS1_30default_config_static_selectorELNS0_4arch9wavefront6targetE1EEEvT1_.num_agpr, 0
	.set _ZN7rocprim17ROCPRIM_400000_NS6detail17trampoline_kernelINS0_14default_configENS1_29reduce_by_key_config_selectorIalN6thrust23THRUST_200600_302600_NS4plusIlEEEEZZNS1_33reduce_by_key_impl_wrapped_configILNS1_25lookback_scan_determinismE0ES3_S9_PaNS6_17constant_iteratorIiNS6_11use_defaultESE_EENS6_10device_ptrIaEENSG_IlEEPmS8_NS6_8equal_toIaEEEE10hipError_tPvRmT2_T3_mT4_T5_T6_T7_T8_P12ihipStream_tbENKUlT_T0_E_clISt17integral_constantIbLb1EES13_EEDaSY_SZ_EUlSY_E_NS1_11comp_targetILNS1_3genE10ELNS1_11target_archE1200ELNS1_3gpuE4ELNS1_3repE0EEENS1_30default_config_static_selectorELNS0_4arch9wavefront6targetE1EEEvT1_.numbered_sgpr, 0
	.set _ZN7rocprim17ROCPRIM_400000_NS6detail17trampoline_kernelINS0_14default_configENS1_29reduce_by_key_config_selectorIalN6thrust23THRUST_200600_302600_NS4plusIlEEEEZZNS1_33reduce_by_key_impl_wrapped_configILNS1_25lookback_scan_determinismE0ES3_S9_PaNS6_17constant_iteratorIiNS6_11use_defaultESE_EENS6_10device_ptrIaEENSG_IlEEPmS8_NS6_8equal_toIaEEEE10hipError_tPvRmT2_T3_mT4_T5_T6_T7_T8_P12ihipStream_tbENKUlT_T0_E_clISt17integral_constantIbLb1EES13_EEDaSY_SZ_EUlSY_E_NS1_11comp_targetILNS1_3genE10ELNS1_11target_archE1200ELNS1_3gpuE4ELNS1_3repE0EEENS1_30default_config_static_selectorELNS0_4arch9wavefront6targetE1EEEvT1_.num_named_barrier, 0
	.set _ZN7rocprim17ROCPRIM_400000_NS6detail17trampoline_kernelINS0_14default_configENS1_29reduce_by_key_config_selectorIalN6thrust23THRUST_200600_302600_NS4plusIlEEEEZZNS1_33reduce_by_key_impl_wrapped_configILNS1_25lookback_scan_determinismE0ES3_S9_PaNS6_17constant_iteratorIiNS6_11use_defaultESE_EENS6_10device_ptrIaEENSG_IlEEPmS8_NS6_8equal_toIaEEEE10hipError_tPvRmT2_T3_mT4_T5_T6_T7_T8_P12ihipStream_tbENKUlT_T0_E_clISt17integral_constantIbLb1EES13_EEDaSY_SZ_EUlSY_E_NS1_11comp_targetILNS1_3genE10ELNS1_11target_archE1200ELNS1_3gpuE4ELNS1_3repE0EEENS1_30default_config_static_selectorELNS0_4arch9wavefront6targetE1EEEvT1_.private_seg_size, 0
	.set _ZN7rocprim17ROCPRIM_400000_NS6detail17trampoline_kernelINS0_14default_configENS1_29reduce_by_key_config_selectorIalN6thrust23THRUST_200600_302600_NS4plusIlEEEEZZNS1_33reduce_by_key_impl_wrapped_configILNS1_25lookback_scan_determinismE0ES3_S9_PaNS6_17constant_iteratorIiNS6_11use_defaultESE_EENS6_10device_ptrIaEENSG_IlEEPmS8_NS6_8equal_toIaEEEE10hipError_tPvRmT2_T3_mT4_T5_T6_T7_T8_P12ihipStream_tbENKUlT_T0_E_clISt17integral_constantIbLb1EES13_EEDaSY_SZ_EUlSY_E_NS1_11comp_targetILNS1_3genE10ELNS1_11target_archE1200ELNS1_3gpuE4ELNS1_3repE0EEENS1_30default_config_static_selectorELNS0_4arch9wavefront6targetE1EEEvT1_.uses_vcc, 0
	.set _ZN7rocprim17ROCPRIM_400000_NS6detail17trampoline_kernelINS0_14default_configENS1_29reduce_by_key_config_selectorIalN6thrust23THRUST_200600_302600_NS4plusIlEEEEZZNS1_33reduce_by_key_impl_wrapped_configILNS1_25lookback_scan_determinismE0ES3_S9_PaNS6_17constant_iteratorIiNS6_11use_defaultESE_EENS6_10device_ptrIaEENSG_IlEEPmS8_NS6_8equal_toIaEEEE10hipError_tPvRmT2_T3_mT4_T5_T6_T7_T8_P12ihipStream_tbENKUlT_T0_E_clISt17integral_constantIbLb1EES13_EEDaSY_SZ_EUlSY_E_NS1_11comp_targetILNS1_3genE10ELNS1_11target_archE1200ELNS1_3gpuE4ELNS1_3repE0EEENS1_30default_config_static_selectorELNS0_4arch9wavefront6targetE1EEEvT1_.uses_flat_scratch, 0
	.set _ZN7rocprim17ROCPRIM_400000_NS6detail17trampoline_kernelINS0_14default_configENS1_29reduce_by_key_config_selectorIalN6thrust23THRUST_200600_302600_NS4plusIlEEEEZZNS1_33reduce_by_key_impl_wrapped_configILNS1_25lookback_scan_determinismE0ES3_S9_PaNS6_17constant_iteratorIiNS6_11use_defaultESE_EENS6_10device_ptrIaEENSG_IlEEPmS8_NS6_8equal_toIaEEEE10hipError_tPvRmT2_T3_mT4_T5_T6_T7_T8_P12ihipStream_tbENKUlT_T0_E_clISt17integral_constantIbLb1EES13_EEDaSY_SZ_EUlSY_E_NS1_11comp_targetILNS1_3genE10ELNS1_11target_archE1200ELNS1_3gpuE4ELNS1_3repE0EEENS1_30default_config_static_selectorELNS0_4arch9wavefront6targetE1EEEvT1_.has_dyn_sized_stack, 0
	.set _ZN7rocprim17ROCPRIM_400000_NS6detail17trampoline_kernelINS0_14default_configENS1_29reduce_by_key_config_selectorIalN6thrust23THRUST_200600_302600_NS4plusIlEEEEZZNS1_33reduce_by_key_impl_wrapped_configILNS1_25lookback_scan_determinismE0ES3_S9_PaNS6_17constant_iteratorIiNS6_11use_defaultESE_EENS6_10device_ptrIaEENSG_IlEEPmS8_NS6_8equal_toIaEEEE10hipError_tPvRmT2_T3_mT4_T5_T6_T7_T8_P12ihipStream_tbENKUlT_T0_E_clISt17integral_constantIbLb1EES13_EEDaSY_SZ_EUlSY_E_NS1_11comp_targetILNS1_3genE10ELNS1_11target_archE1200ELNS1_3gpuE4ELNS1_3repE0EEENS1_30default_config_static_selectorELNS0_4arch9wavefront6targetE1EEEvT1_.has_recursion, 0
	.set _ZN7rocprim17ROCPRIM_400000_NS6detail17trampoline_kernelINS0_14default_configENS1_29reduce_by_key_config_selectorIalN6thrust23THRUST_200600_302600_NS4plusIlEEEEZZNS1_33reduce_by_key_impl_wrapped_configILNS1_25lookback_scan_determinismE0ES3_S9_PaNS6_17constant_iteratorIiNS6_11use_defaultESE_EENS6_10device_ptrIaEENSG_IlEEPmS8_NS6_8equal_toIaEEEE10hipError_tPvRmT2_T3_mT4_T5_T6_T7_T8_P12ihipStream_tbENKUlT_T0_E_clISt17integral_constantIbLb1EES13_EEDaSY_SZ_EUlSY_E_NS1_11comp_targetILNS1_3genE10ELNS1_11target_archE1200ELNS1_3gpuE4ELNS1_3repE0EEENS1_30default_config_static_selectorELNS0_4arch9wavefront6targetE1EEEvT1_.has_indirect_call, 0
	.section	.AMDGPU.csdata,"",@progbits
; Kernel info:
; codeLenInByte = 0
; TotalNumSgprs: 4
; NumVgprs: 0
; ScratchSize: 0
; MemoryBound: 0
; FloatMode: 240
; IeeeMode: 1
; LDSByteSize: 0 bytes/workgroup (compile time only)
; SGPRBlocks: 0
; VGPRBlocks: 0
; NumSGPRsForWavesPerEU: 4
; NumVGPRsForWavesPerEU: 1
; Occupancy: 10
; WaveLimiterHint : 0
; COMPUTE_PGM_RSRC2:SCRATCH_EN: 0
; COMPUTE_PGM_RSRC2:USER_SGPR: 6
; COMPUTE_PGM_RSRC2:TRAP_HANDLER: 0
; COMPUTE_PGM_RSRC2:TGID_X_EN: 1
; COMPUTE_PGM_RSRC2:TGID_Y_EN: 0
; COMPUTE_PGM_RSRC2:TGID_Z_EN: 0
; COMPUTE_PGM_RSRC2:TIDIG_COMP_CNT: 0
	.section	.text._ZN7rocprim17ROCPRIM_400000_NS6detail17trampoline_kernelINS0_14default_configENS1_29reduce_by_key_config_selectorIalN6thrust23THRUST_200600_302600_NS4plusIlEEEEZZNS1_33reduce_by_key_impl_wrapped_configILNS1_25lookback_scan_determinismE0ES3_S9_PaNS6_17constant_iteratorIiNS6_11use_defaultESE_EENS6_10device_ptrIaEENSG_IlEEPmS8_NS6_8equal_toIaEEEE10hipError_tPvRmT2_T3_mT4_T5_T6_T7_T8_P12ihipStream_tbENKUlT_T0_E_clISt17integral_constantIbLb1EES13_EEDaSY_SZ_EUlSY_E_NS1_11comp_targetILNS1_3genE9ELNS1_11target_archE1100ELNS1_3gpuE3ELNS1_3repE0EEENS1_30default_config_static_selectorELNS0_4arch9wavefront6targetE1EEEvT1_,"axG",@progbits,_ZN7rocprim17ROCPRIM_400000_NS6detail17trampoline_kernelINS0_14default_configENS1_29reduce_by_key_config_selectorIalN6thrust23THRUST_200600_302600_NS4plusIlEEEEZZNS1_33reduce_by_key_impl_wrapped_configILNS1_25lookback_scan_determinismE0ES3_S9_PaNS6_17constant_iteratorIiNS6_11use_defaultESE_EENS6_10device_ptrIaEENSG_IlEEPmS8_NS6_8equal_toIaEEEE10hipError_tPvRmT2_T3_mT4_T5_T6_T7_T8_P12ihipStream_tbENKUlT_T0_E_clISt17integral_constantIbLb1EES13_EEDaSY_SZ_EUlSY_E_NS1_11comp_targetILNS1_3genE9ELNS1_11target_archE1100ELNS1_3gpuE3ELNS1_3repE0EEENS1_30default_config_static_selectorELNS0_4arch9wavefront6targetE1EEEvT1_,comdat
	.protected	_ZN7rocprim17ROCPRIM_400000_NS6detail17trampoline_kernelINS0_14default_configENS1_29reduce_by_key_config_selectorIalN6thrust23THRUST_200600_302600_NS4plusIlEEEEZZNS1_33reduce_by_key_impl_wrapped_configILNS1_25lookback_scan_determinismE0ES3_S9_PaNS6_17constant_iteratorIiNS6_11use_defaultESE_EENS6_10device_ptrIaEENSG_IlEEPmS8_NS6_8equal_toIaEEEE10hipError_tPvRmT2_T3_mT4_T5_T6_T7_T8_P12ihipStream_tbENKUlT_T0_E_clISt17integral_constantIbLb1EES13_EEDaSY_SZ_EUlSY_E_NS1_11comp_targetILNS1_3genE9ELNS1_11target_archE1100ELNS1_3gpuE3ELNS1_3repE0EEENS1_30default_config_static_selectorELNS0_4arch9wavefront6targetE1EEEvT1_ ; -- Begin function _ZN7rocprim17ROCPRIM_400000_NS6detail17trampoline_kernelINS0_14default_configENS1_29reduce_by_key_config_selectorIalN6thrust23THRUST_200600_302600_NS4plusIlEEEEZZNS1_33reduce_by_key_impl_wrapped_configILNS1_25lookback_scan_determinismE0ES3_S9_PaNS6_17constant_iteratorIiNS6_11use_defaultESE_EENS6_10device_ptrIaEENSG_IlEEPmS8_NS6_8equal_toIaEEEE10hipError_tPvRmT2_T3_mT4_T5_T6_T7_T8_P12ihipStream_tbENKUlT_T0_E_clISt17integral_constantIbLb1EES13_EEDaSY_SZ_EUlSY_E_NS1_11comp_targetILNS1_3genE9ELNS1_11target_archE1100ELNS1_3gpuE3ELNS1_3repE0EEENS1_30default_config_static_selectorELNS0_4arch9wavefront6targetE1EEEvT1_
	.globl	_ZN7rocprim17ROCPRIM_400000_NS6detail17trampoline_kernelINS0_14default_configENS1_29reduce_by_key_config_selectorIalN6thrust23THRUST_200600_302600_NS4plusIlEEEEZZNS1_33reduce_by_key_impl_wrapped_configILNS1_25lookback_scan_determinismE0ES3_S9_PaNS6_17constant_iteratorIiNS6_11use_defaultESE_EENS6_10device_ptrIaEENSG_IlEEPmS8_NS6_8equal_toIaEEEE10hipError_tPvRmT2_T3_mT4_T5_T6_T7_T8_P12ihipStream_tbENKUlT_T0_E_clISt17integral_constantIbLb1EES13_EEDaSY_SZ_EUlSY_E_NS1_11comp_targetILNS1_3genE9ELNS1_11target_archE1100ELNS1_3gpuE3ELNS1_3repE0EEENS1_30default_config_static_selectorELNS0_4arch9wavefront6targetE1EEEvT1_
	.p2align	8
	.type	_ZN7rocprim17ROCPRIM_400000_NS6detail17trampoline_kernelINS0_14default_configENS1_29reduce_by_key_config_selectorIalN6thrust23THRUST_200600_302600_NS4plusIlEEEEZZNS1_33reduce_by_key_impl_wrapped_configILNS1_25lookback_scan_determinismE0ES3_S9_PaNS6_17constant_iteratorIiNS6_11use_defaultESE_EENS6_10device_ptrIaEENSG_IlEEPmS8_NS6_8equal_toIaEEEE10hipError_tPvRmT2_T3_mT4_T5_T6_T7_T8_P12ihipStream_tbENKUlT_T0_E_clISt17integral_constantIbLb1EES13_EEDaSY_SZ_EUlSY_E_NS1_11comp_targetILNS1_3genE9ELNS1_11target_archE1100ELNS1_3gpuE3ELNS1_3repE0EEENS1_30default_config_static_selectorELNS0_4arch9wavefront6targetE1EEEvT1_,@function
_ZN7rocprim17ROCPRIM_400000_NS6detail17trampoline_kernelINS0_14default_configENS1_29reduce_by_key_config_selectorIalN6thrust23THRUST_200600_302600_NS4plusIlEEEEZZNS1_33reduce_by_key_impl_wrapped_configILNS1_25lookback_scan_determinismE0ES3_S9_PaNS6_17constant_iteratorIiNS6_11use_defaultESE_EENS6_10device_ptrIaEENSG_IlEEPmS8_NS6_8equal_toIaEEEE10hipError_tPvRmT2_T3_mT4_T5_T6_T7_T8_P12ihipStream_tbENKUlT_T0_E_clISt17integral_constantIbLb1EES13_EEDaSY_SZ_EUlSY_E_NS1_11comp_targetILNS1_3genE9ELNS1_11target_archE1100ELNS1_3gpuE3ELNS1_3repE0EEENS1_30default_config_static_selectorELNS0_4arch9wavefront6targetE1EEEvT1_: ; @_ZN7rocprim17ROCPRIM_400000_NS6detail17trampoline_kernelINS0_14default_configENS1_29reduce_by_key_config_selectorIalN6thrust23THRUST_200600_302600_NS4plusIlEEEEZZNS1_33reduce_by_key_impl_wrapped_configILNS1_25lookback_scan_determinismE0ES3_S9_PaNS6_17constant_iteratorIiNS6_11use_defaultESE_EENS6_10device_ptrIaEENSG_IlEEPmS8_NS6_8equal_toIaEEEE10hipError_tPvRmT2_T3_mT4_T5_T6_T7_T8_P12ihipStream_tbENKUlT_T0_E_clISt17integral_constantIbLb1EES13_EEDaSY_SZ_EUlSY_E_NS1_11comp_targetILNS1_3genE9ELNS1_11target_archE1100ELNS1_3gpuE3ELNS1_3repE0EEENS1_30default_config_static_selectorELNS0_4arch9wavefront6targetE1EEEvT1_
; %bb.0:
	.section	.rodata,"a",@progbits
	.p2align	6, 0x0
	.amdhsa_kernel _ZN7rocprim17ROCPRIM_400000_NS6detail17trampoline_kernelINS0_14default_configENS1_29reduce_by_key_config_selectorIalN6thrust23THRUST_200600_302600_NS4plusIlEEEEZZNS1_33reduce_by_key_impl_wrapped_configILNS1_25lookback_scan_determinismE0ES3_S9_PaNS6_17constant_iteratorIiNS6_11use_defaultESE_EENS6_10device_ptrIaEENSG_IlEEPmS8_NS6_8equal_toIaEEEE10hipError_tPvRmT2_T3_mT4_T5_T6_T7_T8_P12ihipStream_tbENKUlT_T0_E_clISt17integral_constantIbLb1EES13_EEDaSY_SZ_EUlSY_E_NS1_11comp_targetILNS1_3genE9ELNS1_11target_archE1100ELNS1_3gpuE3ELNS1_3repE0EEENS1_30default_config_static_selectorELNS0_4arch9wavefront6targetE1EEEvT1_
		.amdhsa_group_segment_fixed_size 0
		.amdhsa_private_segment_fixed_size 0
		.amdhsa_kernarg_size 144
		.amdhsa_user_sgpr_count 6
		.amdhsa_user_sgpr_private_segment_buffer 1
		.amdhsa_user_sgpr_dispatch_ptr 0
		.amdhsa_user_sgpr_queue_ptr 0
		.amdhsa_user_sgpr_kernarg_segment_ptr 1
		.amdhsa_user_sgpr_dispatch_id 0
		.amdhsa_user_sgpr_flat_scratch_init 0
		.amdhsa_user_sgpr_private_segment_size 0
		.amdhsa_uses_dynamic_stack 0
		.amdhsa_system_sgpr_private_segment_wavefront_offset 0
		.amdhsa_system_sgpr_workgroup_id_x 1
		.amdhsa_system_sgpr_workgroup_id_y 0
		.amdhsa_system_sgpr_workgroup_id_z 0
		.amdhsa_system_sgpr_workgroup_info 0
		.amdhsa_system_vgpr_workitem_id 0
		.amdhsa_next_free_vgpr 1
		.amdhsa_next_free_sgpr 0
		.amdhsa_reserve_vcc 0
		.amdhsa_reserve_flat_scratch 0
		.amdhsa_float_round_mode_32 0
		.amdhsa_float_round_mode_16_64 0
		.amdhsa_float_denorm_mode_32 3
		.amdhsa_float_denorm_mode_16_64 3
		.amdhsa_dx10_clamp 1
		.amdhsa_ieee_mode 1
		.amdhsa_fp16_overflow 0
		.amdhsa_exception_fp_ieee_invalid_op 0
		.amdhsa_exception_fp_denorm_src 0
		.amdhsa_exception_fp_ieee_div_zero 0
		.amdhsa_exception_fp_ieee_overflow 0
		.amdhsa_exception_fp_ieee_underflow 0
		.amdhsa_exception_fp_ieee_inexact 0
		.amdhsa_exception_int_div_zero 0
	.end_amdhsa_kernel
	.section	.text._ZN7rocprim17ROCPRIM_400000_NS6detail17trampoline_kernelINS0_14default_configENS1_29reduce_by_key_config_selectorIalN6thrust23THRUST_200600_302600_NS4plusIlEEEEZZNS1_33reduce_by_key_impl_wrapped_configILNS1_25lookback_scan_determinismE0ES3_S9_PaNS6_17constant_iteratorIiNS6_11use_defaultESE_EENS6_10device_ptrIaEENSG_IlEEPmS8_NS6_8equal_toIaEEEE10hipError_tPvRmT2_T3_mT4_T5_T6_T7_T8_P12ihipStream_tbENKUlT_T0_E_clISt17integral_constantIbLb1EES13_EEDaSY_SZ_EUlSY_E_NS1_11comp_targetILNS1_3genE9ELNS1_11target_archE1100ELNS1_3gpuE3ELNS1_3repE0EEENS1_30default_config_static_selectorELNS0_4arch9wavefront6targetE1EEEvT1_,"axG",@progbits,_ZN7rocprim17ROCPRIM_400000_NS6detail17trampoline_kernelINS0_14default_configENS1_29reduce_by_key_config_selectorIalN6thrust23THRUST_200600_302600_NS4plusIlEEEEZZNS1_33reduce_by_key_impl_wrapped_configILNS1_25lookback_scan_determinismE0ES3_S9_PaNS6_17constant_iteratorIiNS6_11use_defaultESE_EENS6_10device_ptrIaEENSG_IlEEPmS8_NS6_8equal_toIaEEEE10hipError_tPvRmT2_T3_mT4_T5_T6_T7_T8_P12ihipStream_tbENKUlT_T0_E_clISt17integral_constantIbLb1EES13_EEDaSY_SZ_EUlSY_E_NS1_11comp_targetILNS1_3genE9ELNS1_11target_archE1100ELNS1_3gpuE3ELNS1_3repE0EEENS1_30default_config_static_selectorELNS0_4arch9wavefront6targetE1EEEvT1_,comdat
.Lfunc_end688:
	.size	_ZN7rocprim17ROCPRIM_400000_NS6detail17trampoline_kernelINS0_14default_configENS1_29reduce_by_key_config_selectorIalN6thrust23THRUST_200600_302600_NS4plusIlEEEEZZNS1_33reduce_by_key_impl_wrapped_configILNS1_25lookback_scan_determinismE0ES3_S9_PaNS6_17constant_iteratorIiNS6_11use_defaultESE_EENS6_10device_ptrIaEENSG_IlEEPmS8_NS6_8equal_toIaEEEE10hipError_tPvRmT2_T3_mT4_T5_T6_T7_T8_P12ihipStream_tbENKUlT_T0_E_clISt17integral_constantIbLb1EES13_EEDaSY_SZ_EUlSY_E_NS1_11comp_targetILNS1_3genE9ELNS1_11target_archE1100ELNS1_3gpuE3ELNS1_3repE0EEENS1_30default_config_static_selectorELNS0_4arch9wavefront6targetE1EEEvT1_, .Lfunc_end688-_ZN7rocprim17ROCPRIM_400000_NS6detail17trampoline_kernelINS0_14default_configENS1_29reduce_by_key_config_selectorIalN6thrust23THRUST_200600_302600_NS4plusIlEEEEZZNS1_33reduce_by_key_impl_wrapped_configILNS1_25lookback_scan_determinismE0ES3_S9_PaNS6_17constant_iteratorIiNS6_11use_defaultESE_EENS6_10device_ptrIaEENSG_IlEEPmS8_NS6_8equal_toIaEEEE10hipError_tPvRmT2_T3_mT4_T5_T6_T7_T8_P12ihipStream_tbENKUlT_T0_E_clISt17integral_constantIbLb1EES13_EEDaSY_SZ_EUlSY_E_NS1_11comp_targetILNS1_3genE9ELNS1_11target_archE1100ELNS1_3gpuE3ELNS1_3repE0EEENS1_30default_config_static_selectorELNS0_4arch9wavefront6targetE1EEEvT1_
                                        ; -- End function
	.set _ZN7rocprim17ROCPRIM_400000_NS6detail17trampoline_kernelINS0_14default_configENS1_29reduce_by_key_config_selectorIalN6thrust23THRUST_200600_302600_NS4plusIlEEEEZZNS1_33reduce_by_key_impl_wrapped_configILNS1_25lookback_scan_determinismE0ES3_S9_PaNS6_17constant_iteratorIiNS6_11use_defaultESE_EENS6_10device_ptrIaEENSG_IlEEPmS8_NS6_8equal_toIaEEEE10hipError_tPvRmT2_T3_mT4_T5_T6_T7_T8_P12ihipStream_tbENKUlT_T0_E_clISt17integral_constantIbLb1EES13_EEDaSY_SZ_EUlSY_E_NS1_11comp_targetILNS1_3genE9ELNS1_11target_archE1100ELNS1_3gpuE3ELNS1_3repE0EEENS1_30default_config_static_selectorELNS0_4arch9wavefront6targetE1EEEvT1_.num_vgpr, 0
	.set _ZN7rocprim17ROCPRIM_400000_NS6detail17trampoline_kernelINS0_14default_configENS1_29reduce_by_key_config_selectorIalN6thrust23THRUST_200600_302600_NS4plusIlEEEEZZNS1_33reduce_by_key_impl_wrapped_configILNS1_25lookback_scan_determinismE0ES3_S9_PaNS6_17constant_iteratorIiNS6_11use_defaultESE_EENS6_10device_ptrIaEENSG_IlEEPmS8_NS6_8equal_toIaEEEE10hipError_tPvRmT2_T3_mT4_T5_T6_T7_T8_P12ihipStream_tbENKUlT_T0_E_clISt17integral_constantIbLb1EES13_EEDaSY_SZ_EUlSY_E_NS1_11comp_targetILNS1_3genE9ELNS1_11target_archE1100ELNS1_3gpuE3ELNS1_3repE0EEENS1_30default_config_static_selectorELNS0_4arch9wavefront6targetE1EEEvT1_.num_agpr, 0
	.set _ZN7rocprim17ROCPRIM_400000_NS6detail17trampoline_kernelINS0_14default_configENS1_29reduce_by_key_config_selectorIalN6thrust23THRUST_200600_302600_NS4plusIlEEEEZZNS1_33reduce_by_key_impl_wrapped_configILNS1_25lookback_scan_determinismE0ES3_S9_PaNS6_17constant_iteratorIiNS6_11use_defaultESE_EENS6_10device_ptrIaEENSG_IlEEPmS8_NS6_8equal_toIaEEEE10hipError_tPvRmT2_T3_mT4_T5_T6_T7_T8_P12ihipStream_tbENKUlT_T0_E_clISt17integral_constantIbLb1EES13_EEDaSY_SZ_EUlSY_E_NS1_11comp_targetILNS1_3genE9ELNS1_11target_archE1100ELNS1_3gpuE3ELNS1_3repE0EEENS1_30default_config_static_selectorELNS0_4arch9wavefront6targetE1EEEvT1_.numbered_sgpr, 0
	.set _ZN7rocprim17ROCPRIM_400000_NS6detail17trampoline_kernelINS0_14default_configENS1_29reduce_by_key_config_selectorIalN6thrust23THRUST_200600_302600_NS4plusIlEEEEZZNS1_33reduce_by_key_impl_wrapped_configILNS1_25lookback_scan_determinismE0ES3_S9_PaNS6_17constant_iteratorIiNS6_11use_defaultESE_EENS6_10device_ptrIaEENSG_IlEEPmS8_NS6_8equal_toIaEEEE10hipError_tPvRmT2_T3_mT4_T5_T6_T7_T8_P12ihipStream_tbENKUlT_T0_E_clISt17integral_constantIbLb1EES13_EEDaSY_SZ_EUlSY_E_NS1_11comp_targetILNS1_3genE9ELNS1_11target_archE1100ELNS1_3gpuE3ELNS1_3repE0EEENS1_30default_config_static_selectorELNS0_4arch9wavefront6targetE1EEEvT1_.num_named_barrier, 0
	.set _ZN7rocprim17ROCPRIM_400000_NS6detail17trampoline_kernelINS0_14default_configENS1_29reduce_by_key_config_selectorIalN6thrust23THRUST_200600_302600_NS4plusIlEEEEZZNS1_33reduce_by_key_impl_wrapped_configILNS1_25lookback_scan_determinismE0ES3_S9_PaNS6_17constant_iteratorIiNS6_11use_defaultESE_EENS6_10device_ptrIaEENSG_IlEEPmS8_NS6_8equal_toIaEEEE10hipError_tPvRmT2_T3_mT4_T5_T6_T7_T8_P12ihipStream_tbENKUlT_T0_E_clISt17integral_constantIbLb1EES13_EEDaSY_SZ_EUlSY_E_NS1_11comp_targetILNS1_3genE9ELNS1_11target_archE1100ELNS1_3gpuE3ELNS1_3repE0EEENS1_30default_config_static_selectorELNS0_4arch9wavefront6targetE1EEEvT1_.private_seg_size, 0
	.set _ZN7rocprim17ROCPRIM_400000_NS6detail17trampoline_kernelINS0_14default_configENS1_29reduce_by_key_config_selectorIalN6thrust23THRUST_200600_302600_NS4plusIlEEEEZZNS1_33reduce_by_key_impl_wrapped_configILNS1_25lookback_scan_determinismE0ES3_S9_PaNS6_17constant_iteratorIiNS6_11use_defaultESE_EENS6_10device_ptrIaEENSG_IlEEPmS8_NS6_8equal_toIaEEEE10hipError_tPvRmT2_T3_mT4_T5_T6_T7_T8_P12ihipStream_tbENKUlT_T0_E_clISt17integral_constantIbLb1EES13_EEDaSY_SZ_EUlSY_E_NS1_11comp_targetILNS1_3genE9ELNS1_11target_archE1100ELNS1_3gpuE3ELNS1_3repE0EEENS1_30default_config_static_selectorELNS0_4arch9wavefront6targetE1EEEvT1_.uses_vcc, 0
	.set _ZN7rocprim17ROCPRIM_400000_NS6detail17trampoline_kernelINS0_14default_configENS1_29reduce_by_key_config_selectorIalN6thrust23THRUST_200600_302600_NS4plusIlEEEEZZNS1_33reduce_by_key_impl_wrapped_configILNS1_25lookback_scan_determinismE0ES3_S9_PaNS6_17constant_iteratorIiNS6_11use_defaultESE_EENS6_10device_ptrIaEENSG_IlEEPmS8_NS6_8equal_toIaEEEE10hipError_tPvRmT2_T3_mT4_T5_T6_T7_T8_P12ihipStream_tbENKUlT_T0_E_clISt17integral_constantIbLb1EES13_EEDaSY_SZ_EUlSY_E_NS1_11comp_targetILNS1_3genE9ELNS1_11target_archE1100ELNS1_3gpuE3ELNS1_3repE0EEENS1_30default_config_static_selectorELNS0_4arch9wavefront6targetE1EEEvT1_.uses_flat_scratch, 0
	.set _ZN7rocprim17ROCPRIM_400000_NS6detail17trampoline_kernelINS0_14default_configENS1_29reduce_by_key_config_selectorIalN6thrust23THRUST_200600_302600_NS4plusIlEEEEZZNS1_33reduce_by_key_impl_wrapped_configILNS1_25lookback_scan_determinismE0ES3_S9_PaNS6_17constant_iteratorIiNS6_11use_defaultESE_EENS6_10device_ptrIaEENSG_IlEEPmS8_NS6_8equal_toIaEEEE10hipError_tPvRmT2_T3_mT4_T5_T6_T7_T8_P12ihipStream_tbENKUlT_T0_E_clISt17integral_constantIbLb1EES13_EEDaSY_SZ_EUlSY_E_NS1_11comp_targetILNS1_3genE9ELNS1_11target_archE1100ELNS1_3gpuE3ELNS1_3repE0EEENS1_30default_config_static_selectorELNS0_4arch9wavefront6targetE1EEEvT1_.has_dyn_sized_stack, 0
	.set _ZN7rocprim17ROCPRIM_400000_NS6detail17trampoline_kernelINS0_14default_configENS1_29reduce_by_key_config_selectorIalN6thrust23THRUST_200600_302600_NS4plusIlEEEEZZNS1_33reduce_by_key_impl_wrapped_configILNS1_25lookback_scan_determinismE0ES3_S9_PaNS6_17constant_iteratorIiNS6_11use_defaultESE_EENS6_10device_ptrIaEENSG_IlEEPmS8_NS6_8equal_toIaEEEE10hipError_tPvRmT2_T3_mT4_T5_T6_T7_T8_P12ihipStream_tbENKUlT_T0_E_clISt17integral_constantIbLb1EES13_EEDaSY_SZ_EUlSY_E_NS1_11comp_targetILNS1_3genE9ELNS1_11target_archE1100ELNS1_3gpuE3ELNS1_3repE0EEENS1_30default_config_static_selectorELNS0_4arch9wavefront6targetE1EEEvT1_.has_recursion, 0
	.set _ZN7rocprim17ROCPRIM_400000_NS6detail17trampoline_kernelINS0_14default_configENS1_29reduce_by_key_config_selectorIalN6thrust23THRUST_200600_302600_NS4plusIlEEEEZZNS1_33reduce_by_key_impl_wrapped_configILNS1_25lookback_scan_determinismE0ES3_S9_PaNS6_17constant_iteratorIiNS6_11use_defaultESE_EENS6_10device_ptrIaEENSG_IlEEPmS8_NS6_8equal_toIaEEEE10hipError_tPvRmT2_T3_mT4_T5_T6_T7_T8_P12ihipStream_tbENKUlT_T0_E_clISt17integral_constantIbLb1EES13_EEDaSY_SZ_EUlSY_E_NS1_11comp_targetILNS1_3genE9ELNS1_11target_archE1100ELNS1_3gpuE3ELNS1_3repE0EEENS1_30default_config_static_selectorELNS0_4arch9wavefront6targetE1EEEvT1_.has_indirect_call, 0
	.section	.AMDGPU.csdata,"",@progbits
; Kernel info:
; codeLenInByte = 0
; TotalNumSgprs: 4
; NumVgprs: 0
; ScratchSize: 0
; MemoryBound: 0
; FloatMode: 240
; IeeeMode: 1
; LDSByteSize: 0 bytes/workgroup (compile time only)
; SGPRBlocks: 0
; VGPRBlocks: 0
; NumSGPRsForWavesPerEU: 4
; NumVGPRsForWavesPerEU: 1
; Occupancy: 10
; WaveLimiterHint : 0
; COMPUTE_PGM_RSRC2:SCRATCH_EN: 0
; COMPUTE_PGM_RSRC2:USER_SGPR: 6
; COMPUTE_PGM_RSRC2:TRAP_HANDLER: 0
; COMPUTE_PGM_RSRC2:TGID_X_EN: 1
; COMPUTE_PGM_RSRC2:TGID_Y_EN: 0
; COMPUTE_PGM_RSRC2:TGID_Z_EN: 0
; COMPUTE_PGM_RSRC2:TIDIG_COMP_CNT: 0
	.section	.text._ZN7rocprim17ROCPRIM_400000_NS6detail17trampoline_kernelINS0_14default_configENS1_29reduce_by_key_config_selectorIalN6thrust23THRUST_200600_302600_NS4plusIlEEEEZZNS1_33reduce_by_key_impl_wrapped_configILNS1_25lookback_scan_determinismE0ES3_S9_PaNS6_17constant_iteratorIiNS6_11use_defaultESE_EENS6_10device_ptrIaEENSG_IlEEPmS8_NS6_8equal_toIaEEEE10hipError_tPvRmT2_T3_mT4_T5_T6_T7_T8_P12ihipStream_tbENKUlT_T0_E_clISt17integral_constantIbLb1EES13_EEDaSY_SZ_EUlSY_E_NS1_11comp_targetILNS1_3genE8ELNS1_11target_archE1030ELNS1_3gpuE2ELNS1_3repE0EEENS1_30default_config_static_selectorELNS0_4arch9wavefront6targetE1EEEvT1_,"axG",@progbits,_ZN7rocprim17ROCPRIM_400000_NS6detail17trampoline_kernelINS0_14default_configENS1_29reduce_by_key_config_selectorIalN6thrust23THRUST_200600_302600_NS4plusIlEEEEZZNS1_33reduce_by_key_impl_wrapped_configILNS1_25lookback_scan_determinismE0ES3_S9_PaNS6_17constant_iteratorIiNS6_11use_defaultESE_EENS6_10device_ptrIaEENSG_IlEEPmS8_NS6_8equal_toIaEEEE10hipError_tPvRmT2_T3_mT4_T5_T6_T7_T8_P12ihipStream_tbENKUlT_T0_E_clISt17integral_constantIbLb1EES13_EEDaSY_SZ_EUlSY_E_NS1_11comp_targetILNS1_3genE8ELNS1_11target_archE1030ELNS1_3gpuE2ELNS1_3repE0EEENS1_30default_config_static_selectorELNS0_4arch9wavefront6targetE1EEEvT1_,comdat
	.protected	_ZN7rocprim17ROCPRIM_400000_NS6detail17trampoline_kernelINS0_14default_configENS1_29reduce_by_key_config_selectorIalN6thrust23THRUST_200600_302600_NS4plusIlEEEEZZNS1_33reduce_by_key_impl_wrapped_configILNS1_25lookback_scan_determinismE0ES3_S9_PaNS6_17constant_iteratorIiNS6_11use_defaultESE_EENS6_10device_ptrIaEENSG_IlEEPmS8_NS6_8equal_toIaEEEE10hipError_tPvRmT2_T3_mT4_T5_T6_T7_T8_P12ihipStream_tbENKUlT_T0_E_clISt17integral_constantIbLb1EES13_EEDaSY_SZ_EUlSY_E_NS1_11comp_targetILNS1_3genE8ELNS1_11target_archE1030ELNS1_3gpuE2ELNS1_3repE0EEENS1_30default_config_static_selectorELNS0_4arch9wavefront6targetE1EEEvT1_ ; -- Begin function _ZN7rocprim17ROCPRIM_400000_NS6detail17trampoline_kernelINS0_14default_configENS1_29reduce_by_key_config_selectorIalN6thrust23THRUST_200600_302600_NS4plusIlEEEEZZNS1_33reduce_by_key_impl_wrapped_configILNS1_25lookback_scan_determinismE0ES3_S9_PaNS6_17constant_iteratorIiNS6_11use_defaultESE_EENS6_10device_ptrIaEENSG_IlEEPmS8_NS6_8equal_toIaEEEE10hipError_tPvRmT2_T3_mT4_T5_T6_T7_T8_P12ihipStream_tbENKUlT_T0_E_clISt17integral_constantIbLb1EES13_EEDaSY_SZ_EUlSY_E_NS1_11comp_targetILNS1_3genE8ELNS1_11target_archE1030ELNS1_3gpuE2ELNS1_3repE0EEENS1_30default_config_static_selectorELNS0_4arch9wavefront6targetE1EEEvT1_
	.globl	_ZN7rocprim17ROCPRIM_400000_NS6detail17trampoline_kernelINS0_14default_configENS1_29reduce_by_key_config_selectorIalN6thrust23THRUST_200600_302600_NS4plusIlEEEEZZNS1_33reduce_by_key_impl_wrapped_configILNS1_25lookback_scan_determinismE0ES3_S9_PaNS6_17constant_iteratorIiNS6_11use_defaultESE_EENS6_10device_ptrIaEENSG_IlEEPmS8_NS6_8equal_toIaEEEE10hipError_tPvRmT2_T3_mT4_T5_T6_T7_T8_P12ihipStream_tbENKUlT_T0_E_clISt17integral_constantIbLb1EES13_EEDaSY_SZ_EUlSY_E_NS1_11comp_targetILNS1_3genE8ELNS1_11target_archE1030ELNS1_3gpuE2ELNS1_3repE0EEENS1_30default_config_static_selectorELNS0_4arch9wavefront6targetE1EEEvT1_
	.p2align	8
	.type	_ZN7rocprim17ROCPRIM_400000_NS6detail17trampoline_kernelINS0_14default_configENS1_29reduce_by_key_config_selectorIalN6thrust23THRUST_200600_302600_NS4plusIlEEEEZZNS1_33reduce_by_key_impl_wrapped_configILNS1_25lookback_scan_determinismE0ES3_S9_PaNS6_17constant_iteratorIiNS6_11use_defaultESE_EENS6_10device_ptrIaEENSG_IlEEPmS8_NS6_8equal_toIaEEEE10hipError_tPvRmT2_T3_mT4_T5_T6_T7_T8_P12ihipStream_tbENKUlT_T0_E_clISt17integral_constantIbLb1EES13_EEDaSY_SZ_EUlSY_E_NS1_11comp_targetILNS1_3genE8ELNS1_11target_archE1030ELNS1_3gpuE2ELNS1_3repE0EEENS1_30default_config_static_selectorELNS0_4arch9wavefront6targetE1EEEvT1_,@function
_ZN7rocprim17ROCPRIM_400000_NS6detail17trampoline_kernelINS0_14default_configENS1_29reduce_by_key_config_selectorIalN6thrust23THRUST_200600_302600_NS4plusIlEEEEZZNS1_33reduce_by_key_impl_wrapped_configILNS1_25lookback_scan_determinismE0ES3_S9_PaNS6_17constant_iteratorIiNS6_11use_defaultESE_EENS6_10device_ptrIaEENSG_IlEEPmS8_NS6_8equal_toIaEEEE10hipError_tPvRmT2_T3_mT4_T5_T6_T7_T8_P12ihipStream_tbENKUlT_T0_E_clISt17integral_constantIbLb1EES13_EEDaSY_SZ_EUlSY_E_NS1_11comp_targetILNS1_3genE8ELNS1_11target_archE1030ELNS1_3gpuE2ELNS1_3repE0EEENS1_30default_config_static_selectorELNS0_4arch9wavefront6targetE1EEEvT1_: ; @_ZN7rocprim17ROCPRIM_400000_NS6detail17trampoline_kernelINS0_14default_configENS1_29reduce_by_key_config_selectorIalN6thrust23THRUST_200600_302600_NS4plusIlEEEEZZNS1_33reduce_by_key_impl_wrapped_configILNS1_25lookback_scan_determinismE0ES3_S9_PaNS6_17constant_iteratorIiNS6_11use_defaultESE_EENS6_10device_ptrIaEENSG_IlEEPmS8_NS6_8equal_toIaEEEE10hipError_tPvRmT2_T3_mT4_T5_T6_T7_T8_P12ihipStream_tbENKUlT_T0_E_clISt17integral_constantIbLb1EES13_EEDaSY_SZ_EUlSY_E_NS1_11comp_targetILNS1_3genE8ELNS1_11target_archE1030ELNS1_3gpuE2ELNS1_3repE0EEENS1_30default_config_static_selectorELNS0_4arch9wavefront6targetE1EEEvT1_
; %bb.0:
	.section	.rodata,"a",@progbits
	.p2align	6, 0x0
	.amdhsa_kernel _ZN7rocprim17ROCPRIM_400000_NS6detail17trampoline_kernelINS0_14default_configENS1_29reduce_by_key_config_selectorIalN6thrust23THRUST_200600_302600_NS4plusIlEEEEZZNS1_33reduce_by_key_impl_wrapped_configILNS1_25lookback_scan_determinismE0ES3_S9_PaNS6_17constant_iteratorIiNS6_11use_defaultESE_EENS6_10device_ptrIaEENSG_IlEEPmS8_NS6_8equal_toIaEEEE10hipError_tPvRmT2_T3_mT4_T5_T6_T7_T8_P12ihipStream_tbENKUlT_T0_E_clISt17integral_constantIbLb1EES13_EEDaSY_SZ_EUlSY_E_NS1_11comp_targetILNS1_3genE8ELNS1_11target_archE1030ELNS1_3gpuE2ELNS1_3repE0EEENS1_30default_config_static_selectorELNS0_4arch9wavefront6targetE1EEEvT1_
		.amdhsa_group_segment_fixed_size 0
		.amdhsa_private_segment_fixed_size 0
		.amdhsa_kernarg_size 144
		.amdhsa_user_sgpr_count 6
		.amdhsa_user_sgpr_private_segment_buffer 1
		.amdhsa_user_sgpr_dispatch_ptr 0
		.amdhsa_user_sgpr_queue_ptr 0
		.amdhsa_user_sgpr_kernarg_segment_ptr 1
		.amdhsa_user_sgpr_dispatch_id 0
		.amdhsa_user_sgpr_flat_scratch_init 0
		.amdhsa_user_sgpr_private_segment_size 0
		.amdhsa_uses_dynamic_stack 0
		.amdhsa_system_sgpr_private_segment_wavefront_offset 0
		.amdhsa_system_sgpr_workgroup_id_x 1
		.amdhsa_system_sgpr_workgroup_id_y 0
		.amdhsa_system_sgpr_workgroup_id_z 0
		.amdhsa_system_sgpr_workgroup_info 0
		.amdhsa_system_vgpr_workitem_id 0
		.amdhsa_next_free_vgpr 1
		.amdhsa_next_free_sgpr 0
		.amdhsa_reserve_vcc 0
		.amdhsa_reserve_flat_scratch 0
		.amdhsa_float_round_mode_32 0
		.amdhsa_float_round_mode_16_64 0
		.amdhsa_float_denorm_mode_32 3
		.amdhsa_float_denorm_mode_16_64 3
		.amdhsa_dx10_clamp 1
		.amdhsa_ieee_mode 1
		.amdhsa_fp16_overflow 0
		.amdhsa_exception_fp_ieee_invalid_op 0
		.amdhsa_exception_fp_denorm_src 0
		.amdhsa_exception_fp_ieee_div_zero 0
		.amdhsa_exception_fp_ieee_overflow 0
		.amdhsa_exception_fp_ieee_underflow 0
		.amdhsa_exception_fp_ieee_inexact 0
		.amdhsa_exception_int_div_zero 0
	.end_amdhsa_kernel
	.section	.text._ZN7rocprim17ROCPRIM_400000_NS6detail17trampoline_kernelINS0_14default_configENS1_29reduce_by_key_config_selectorIalN6thrust23THRUST_200600_302600_NS4plusIlEEEEZZNS1_33reduce_by_key_impl_wrapped_configILNS1_25lookback_scan_determinismE0ES3_S9_PaNS6_17constant_iteratorIiNS6_11use_defaultESE_EENS6_10device_ptrIaEENSG_IlEEPmS8_NS6_8equal_toIaEEEE10hipError_tPvRmT2_T3_mT4_T5_T6_T7_T8_P12ihipStream_tbENKUlT_T0_E_clISt17integral_constantIbLb1EES13_EEDaSY_SZ_EUlSY_E_NS1_11comp_targetILNS1_3genE8ELNS1_11target_archE1030ELNS1_3gpuE2ELNS1_3repE0EEENS1_30default_config_static_selectorELNS0_4arch9wavefront6targetE1EEEvT1_,"axG",@progbits,_ZN7rocprim17ROCPRIM_400000_NS6detail17trampoline_kernelINS0_14default_configENS1_29reduce_by_key_config_selectorIalN6thrust23THRUST_200600_302600_NS4plusIlEEEEZZNS1_33reduce_by_key_impl_wrapped_configILNS1_25lookback_scan_determinismE0ES3_S9_PaNS6_17constant_iteratorIiNS6_11use_defaultESE_EENS6_10device_ptrIaEENSG_IlEEPmS8_NS6_8equal_toIaEEEE10hipError_tPvRmT2_T3_mT4_T5_T6_T7_T8_P12ihipStream_tbENKUlT_T0_E_clISt17integral_constantIbLb1EES13_EEDaSY_SZ_EUlSY_E_NS1_11comp_targetILNS1_3genE8ELNS1_11target_archE1030ELNS1_3gpuE2ELNS1_3repE0EEENS1_30default_config_static_selectorELNS0_4arch9wavefront6targetE1EEEvT1_,comdat
.Lfunc_end689:
	.size	_ZN7rocprim17ROCPRIM_400000_NS6detail17trampoline_kernelINS0_14default_configENS1_29reduce_by_key_config_selectorIalN6thrust23THRUST_200600_302600_NS4plusIlEEEEZZNS1_33reduce_by_key_impl_wrapped_configILNS1_25lookback_scan_determinismE0ES3_S9_PaNS6_17constant_iteratorIiNS6_11use_defaultESE_EENS6_10device_ptrIaEENSG_IlEEPmS8_NS6_8equal_toIaEEEE10hipError_tPvRmT2_T3_mT4_T5_T6_T7_T8_P12ihipStream_tbENKUlT_T0_E_clISt17integral_constantIbLb1EES13_EEDaSY_SZ_EUlSY_E_NS1_11comp_targetILNS1_3genE8ELNS1_11target_archE1030ELNS1_3gpuE2ELNS1_3repE0EEENS1_30default_config_static_selectorELNS0_4arch9wavefront6targetE1EEEvT1_, .Lfunc_end689-_ZN7rocprim17ROCPRIM_400000_NS6detail17trampoline_kernelINS0_14default_configENS1_29reduce_by_key_config_selectorIalN6thrust23THRUST_200600_302600_NS4plusIlEEEEZZNS1_33reduce_by_key_impl_wrapped_configILNS1_25lookback_scan_determinismE0ES3_S9_PaNS6_17constant_iteratorIiNS6_11use_defaultESE_EENS6_10device_ptrIaEENSG_IlEEPmS8_NS6_8equal_toIaEEEE10hipError_tPvRmT2_T3_mT4_T5_T6_T7_T8_P12ihipStream_tbENKUlT_T0_E_clISt17integral_constantIbLb1EES13_EEDaSY_SZ_EUlSY_E_NS1_11comp_targetILNS1_3genE8ELNS1_11target_archE1030ELNS1_3gpuE2ELNS1_3repE0EEENS1_30default_config_static_selectorELNS0_4arch9wavefront6targetE1EEEvT1_
                                        ; -- End function
	.set _ZN7rocprim17ROCPRIM_400000_NS6detail17trampoline_kernelINS0_14default_configENS1_29reduce_by_key_config_selectorIalN6thrust23THRUST_200600_302600_NS4plusIlEEEEZZNS1_33reduce_by_key_impl_wrapped_configILNS1_25lookback_scan_determinismE0ES3_S9_PaNS6_17constant_iteratorIiNS6_11use_defaultESE_EENS6_10device_ptrIaEENSG_IlEEPmS8_NS6_8equal_toIaEEEE10hipError_tPvRmT2_T3_mT4_T5_T6_T7_T8_P12ihipStream_tbENKUlT_T0_E_clISt17integral_constantIbLb1EES13_EEDaSY_SZ_EUlSY_E_NS1_11comp_targetILNS1_3genE8ELNS1_11target_archE1030ELNS1_3gpuE2ELNS1_3repE0EEENS1_30default_config_static_selectorELNS0_4arch9wavefront6targetE1EEEvT1_.num_vgpr, 0
	.set _ZN7rocprim17ROCPRIM_400000_NS6detail17trampoline_kernelINS0_14default_configENS1_29reduce_by_key_config_selectorIalN6thrust23THRUST_200600_302600_NS4plusIlEEEEZZNS1_33reduce_by_key_impl_wrapped_configILNS1_25lookback_scan_determinismE0ES3_S9_PaNS6_17constant_iteratorIiNS6_11use_defaultESE_EENS6_10device_ptrIaEENSG_IlEEPmS8_NS6_8equal_toIaEEEE10hipError_tPvRmT2_T3_mT4_T5_T6_T7_T8_P12ihipStream_tbENKUlT_T0_E_clISt17integral_constantIbLb1EES13_EEDaSY_SZ_EUlSY_E_NS1_11comp_targetILNS1_3genE8ELNS1_11target_archE1030ELNS1_3gpuE2ELNS1_3repE0EEENS1_30default_config_static_selectorELNS0_4arch9wavefront6targetE1EEEvT1_.num_agpr, 0
	.set _ZN7rocprim17ROCPRIM_400000_NS6detail17trampoline_kernelINS0_14default_configENS1_29reduce_by_key_config_selectorIalN6thrust23THRUST_200600_302600_NS4plusIlEEEEZZNS1_33reduce_by_key_impl_wrapped_configILNS1_25lookback_scan_determinismE0ES3_S9_PaNS6_17constant_iteratorIiNS6_11use_defaultESE_EENS6_10device_ptrIaEENSG_IlEEPmS8_NS6_8equal_toIaEEEE10hipError_tPvRmT2_T3_mT4_T5_T6_T7_T8_P12ihipStream_tbENKUlT_T0_E_clISt17integral_constantIbLb1EES13_EEDaSY_SZ_EUlSY_E_NS1_11comp_targetILNS1_3genE8ELNS1_11target_archE1030ELNS1_3gpuE2ELNS1_3repE0EEENS1_30default_config_static_selectorELNS0_4arch9wavefront6targetE1EEEvT1_.numbered_sgpr, 0
	.set _ZN7rocprim17ROCPRIM_400000_NS6detail17trampoline_kernelINS0_14default_configENS1_29reduce_by_key_config_selectorIalN6thrust23THRUST_200600_302600_NS4plusIlEEEEZZNS1_33reduce_by_key_impl_wrapped_configILNS1_25lookback_scan_determinismE0ES3_S9_PaNS6_17constant_iteratorIiNS6_11use_defaultESE_EENS6_10device_ptrIaEENSG_IlEEPmS8_NS6_8equal_toIaEEEE10hipError_tPvRmT2_T3_mT4_T5_T6_T7_T8_P12ihipStream_tbENKUlT_T0_E_clISt17integral_constantIbLb1EES13_EEDaSY_SZ_EUlSY_E_NS1_11comp_targetILNS1_3genE8ELNS1_11target_archE1030ELNS1_3gpuE2ELNS1_3repE0EEENS1_30default_config_static_selectorELNS0_4arch9wavefront6targetE1EEEvT1_.num_named_barrier, 0
	.set _ZN7rocprim17ROCPRIM_400000_NS6detail17trampoline_kernelINS0_14default_configENS1_29reduce_by_key_config_selectorIalN6thrust23THRUST_200600_302600_NS4plusIlEEEEZZNS1_33reduce_by_key_impl_wrapped_configILNS1_25lookback_scan_determinismE0ES3_S9_PaNS6_17constant_iteratorIiNS6_11use_defaultESE_EENS6_10device_ptrIaEENSG_IlEEPmS8_NS6_8equal_toIaEEEE10hipError_tPvRmT2_T3_mT4_T5_T6_T7_T8_P12ihipStream_tbENKUlT_T0_E_clISt17integral_constantIbLb1EES13_EEDaSY_SZ_EUlSY_E_NS1_11comp_targetILNS1_3genE8ELNS1_11target_archE1030ELNS1_3gpuE2ELNS1_3repE0EEENS1_30default_config_static_selectorELNS0_4arch9wavefront6targetE1EEEvT1_.private_seg_size, 0
	.set _ZN7rocprim17ROCPRIM_400000_NS6detail17trampoline_kernelINS0_14default_configENS1_29reduce_by_key_config_selectorIalN6thrust23THRUST_200600_302600_NS4plusIlEEEEZZNS1_33reduce_by_key_impl_wrapped_configILNS1_25lookback_scan_determinismE0ES3_S9_PaNS6_17constant_iteratorIiNS6_11use_defaultESE_EENS6_10device_ptrIaEENSG_IlEEPmS8_NS6_8equal_toIaEEEE10hipError_tPvRmT2_T3_mT4_T5_T6_T7_T8_P12ihipStream_tbENKUlT_T0_E_clISt17integral_constantIbLb1EES13_EEDaSY_SZ_EUlSY_E_NS1_11comp_targetILNS1_3genE8ELNS1_11target_archE1030ELNS1_3gpuE2ELNS1_3repE0EEENS1_30default_config_static_selectorELNS0_4arch9wavefront6targetE1EEEvT1_.uses_vcc, 0
	.set _ZN7rocprim17ROCPRIM_400000_NS6detail17trampoline_kernelINS0_14default_configENS1_29reduce_by_key_config_selectorIalN6thrust23THRUST_200600_302600_NS4plusIlEEEEZZNS1_33reduce_by_key_impl_wrapped_configILNS1_25lookback_scan_determinismE0ES3_S9_PaNS6_17constant_iteratorIiNS6_11use_defaultESE_EENS6_10device_ptrIaEENSG_IlEEPmS8_NS6_8equal_toIaEEEE10hipError_tPvRmT2_T3_mT4_T5_T6_T7_T8_P12ihipStream_tbENKUlT_T0_E_clISt17integral_constantIbLb1EES13_EEDaSY_SZ_EUlSY_E_NS1_11comp_targetILNS1_3genE8ELNS1_11target_archE1030ELNS1_3gpuE2ELNS1_3repE0EEENS1_30default_config_static_selectorELNS0_4arch9wavefront6targetE1EEEvT1_.uses_flat_scratch, 0
	.set _ZN7rocprim17ROCPRIM_400000_NS6detail17trampoline_kernelINS0_14default_configENS1_29reduce_by_key_config_selectorIalN6thrust23THRUST_200600_302600_NS4plusIlEEEEZZNS1_33reduce_by_key_impl_wrapped_configILNS1_25lookback_scan_determinismE0ES3_S9_PaNS6_17constant_iteratorIiNS6_11use_defaultESE_EENS6_10device_ptrIaEENSG_IlEEPmS8_NS6_8equal_toIaEEEE10hipError_tPvRmT2_T3_mT4_T5_T6_T7_T8_P12ihipStream_tbENKUlT_T0_E_clISt17integral_constantIbLb1EES13_EEDaSY_SZ_EUlSY_E_NS1_11comp_targetILNS1_3genE8ELNS1_11target_archE1030ELNS1_3gpuE2ELNS1_3repE0EEENS1_30default_config_static_selectorELNS0_4arch9wavefront6targetE1EEEvT1_.has_dyn_sized_stack, 0
	.set _ZN7rocprim17ROCPRIM_400000_NS6detail17trampoline_kernelINS0_14default_configENS1_29reduce_by_key_config_selectorIalN6thrust23THRUST_200600_302600_NS4plusIlEEEEZZNS1_33reduce_by_key_impl_wrapped_configILNS1_25lookback_scan_determinismE0ES3_S9_PaNS6_17constant_iteratorIiNS6_11use_defaultESE_EENS6_10device_ptrIaEENSG_IlEEPmS8_NS6_8equal_toIaEEEE10hipError_tPvRmT2_T3_mT4_T5_T6_T7_T8_P12ihipStream_tbENKUlT_T0_E_clISt17integral_constantIbLb1EES13_EEDaSY_SZ_EUlSY_E_NS1_11comp_targetILNS1_3genE8ELNS1_11target_archE1030ELNS1_3gpuE2ELNS1_3repE0EEENS1_30default_config_static_selectorELNS0_4arch9wavefront6targetE1EEEvT1_.has_recursion, 0
	.set _ZN7rocprim17ROCPRIM_400000_NS6detail17trampoline_kernelINS0_14default_configENS1_29reduce_by_key_config_selectorIalN6thrust23THRUST_200600_302600_NS4plusIlEEEEZZNS1_33reduce_by_key_impl_wrapped_configILNS1_25lookback_scan_determinismE0ES3_S9_PaNS6_17constant_iteratorIiNS6_11use_defaultESE_EENS6_10device_ptrIaEENSG_IlEEPmS8_NS6_8equal_toIaEEEE10hipError_tPvRmT2_T3_mT4_T5_T6_T7_T8_P12ihipStream_tbENKUlT_T0_E_clISt17integral_constantIbLb1EES13_EEDaSY_SZ_EUlSY_E_NS1_11comp_targetILNS1_3genE8ELNS1_11target_archE1030ELNS1_3gpuE2ELNS1_3repE0EEENS1_30default_config_static_selectorELNS0_4arch9wavefront6targetE1EEEvT1_.has_indirect_call, 0
	.section	.AMDGPU.csdata,"",@progbits
; Kernel info:
; codeLenInByte = 0
; TotalNumSgprs: 4
; NumVgprs: 0
; ScratchSize: 0
; MemoryBound: 0
; FloatMode: 240
; IeeeMode: 1
; LDSByteSize: 0 bytes/workgroup (compile time only)
; SGPRBlocks: 0
; VGPRBlocks: 0
; NumSGPRsForWavesPerEU: 4
; NumVGPRsForWavesPerEU: 1
; Occupancy: 10
; WaveLimiterHint : 0
; COMPUTE_PGM_RSRC2:SCRATCH_EN: 0
; COMPUTE_PGM_RSRC2:USER_SGPR: 6
; COMPUTE_PGM_RSRC2:TRAP_HANDLER: 0
; COMPUTE_PGM_RSRC2:TGID_X_EN: 1
; COMPUTE_PGM_RSRC2:TGID_Y_EN: 0
; COMPUTE_PGM_RSRC2:TGID_Z_EN: 0
; COMPUTE_PGM_RSRC2:TIDIG_COMP_CNT: 0
	.section	.text._ZN7rocprim17ROCPRIM_400000_NS6detail17trampoline_kernelINS0_14default_configENS1_29reduce_by_key_config_selectorIalN6thrust23THRUST_200600_302600_NS4plusIlEEEEZZNS1_33reduce_by_key_impl_wrapped_configILNS1_25lookback_scan_determinismE0ES3_S9_PaNS6_17constant_iteratorIiNS6_11use_defaultESE_EENS6_10device_ptrIaEENSG_IlEEPmS8_NS6_8equal_toIaEEEE10hipError_tPvRmT2_T3_mT4_T5_T6_T7_T8_P12ihipStream_tbENKUlT_T0_E_clISt17integral_constantIbLb1EES12_IbLb0EEEEDaSY_SZ_EUlSY_E_NS1_11comp_targetILNS1_3genE0ELNS1_11target_archE4294967295ELNS1_3gpuE0ELNS1_3repE0EEENS1_30default_config_static_selectorELNS0_4arch9wavefront6targetE1EEEvT1_,"axG",@progbits,_ZN7rocprim17ROCPRIM_400000_NS6detail17trampoline_kernelINS0_14default_configENS1_29reduce_by_key_config_selectorIalN6thrust23THRUST_200600_302600_NS4plusIlEEEEZZNS1_33reduce_by_key_impl_wrapped_configILNS1_25lookback_scan_determinismE0ES3_S9_PaNS6_17constant_iteratorIiNS6_11use_defaultESE_EENS6_10device_ptrIaEENSG_IlEEPmS8_NS6_8equal_toIaEEEE10hipError_tPvRmT2_T3_mT4_T5_T6_T7_T8_P12ihipStream_tbENKUlT_T0_E_clISt17integral_constantIbLb1EES12_IbLb0EEEEDaSY_SZ_EUlSY_E_NS1_11comp_targetILNS1_3genE0ELNS1_11target_archE4294967295ELNS1_3gpuE0ELNS1_3repE0EEENS1_30default_config_static_selectorELNS0_4arch9wavefront6targetE1EEEvT1_,comdat
	.protected	_ZN7rocprim17ROCPRIM_400000_NS6detail17trampoline_kernelINS0_14default_configENS1_29reduce_by_key_config_selectorIalN6thrust23THRUST_200600_302600_NS4plusIlEEEEZZNS1_33reduce_by_key_impl_wrapped_configILNS1_25lookback_scan_determinismE0ES3_S9_PaNS6_17constant_iteratorIiNS6_11use_defaultESE_EENS6_10device_ptrIaEENSG_IlEEPmS8_NS6_8equal_toIaEEEE10hipError_tPvRmT2_T3_mT4_T5_T6_T7_T8_P12ihipStream_tbENKUlT_T0_E_clISt17integral_constantIbLb1EES12_IbLb0EEEEDaSY_SZ_EUlSY_E_NS1_11comp_targetILNS1_3genE0ELNS1_11target_archE4294967295ELNS1_3gpuE0ELNS1_3repE0EEENS1_30default_config_static_selectorELNS0_4arch9wavefront6targetE1EEEvT1_ ; -- Begin function _ZN7rocprim17ROCPRIM_400000_NS6detail17trampoline_kernelINS0_14default_configENS1_29reduce_by_key_config_selectorIalN6thrust23THRUST_200600_302600_NS4plusIlEEEEZZNS1_33reduce_by_key_impl_wrapped_configILNS1_25lookback_scan_determinismE0ES3_S9_PaNS6_17constant_iteratorIiNS6_11use_defaultESE_EENS6_10device_ptrIaEENSG_IlEEPmS8_NS6_8equal_toIaEEEE10hipError_tPvRmT2_T3_mT4_T5_T6_T7_T8_P12ihipStream_tbENKUlT_T0_E_clISt17integral_constantIbLb1EES12_IbLb0EEEEDaSY_SZ_EUlSY_E_NS1_11comp_targetILNS1_3genE0ELNS1_11target_archE4294967295ELNS1_3gpuE0ELNS1_3repE0EEENS1_30default_config_static_selectorELNS0_4arch9wavefront6targetE1EEEvT1_
	.globl	_ZN7rocprim17ROCPRIM_400000_NS6detail17trampoline_kernelINS0_14default_configENS1_29reduce_by_key_config_selectorIalN6thrust23THRUST_200600_302600_NS4plusIlEEEEZZNS1_33reduce_by_key_impl_wrapped_configILNS1_25lookback_scan_determinismE0ES3_S9_PaNS6_17constant_iteratorIiNS6_11use_defaultESE_EENS6_10device_ptrIaEENSG_IlEEPmS8_NS6_8equal_toIaEEEE10hipError_tPvRmT2_T3_mT4_T5_T6_T7_T8_P12ihipStream_tbENKUlT_T0_E_clISt17integral_constantIbLb1EES12_IbLb0EEEEDaSY_SZ_EUlSY_E_NS1_11comp_targetILNS1_3genE0ELNS1_11target_archE4294967295ELNS1_3gpuE0ELNS1_3repE0EEENS1_30default_config_static_selectorELNS0_4arch9wavefront6targetE1EEEvT1_
	.p2align	8
	.type	_ZN7rocprim17ROCPRIM_400000_NS6detail17trampoline_kernelINS0_14default_configENS1_29reduce_by_key_config_selectorIalN6thrust23THRUST_200600_302600_NS4plusIlEEEEZZNS1_33reduce_by_key_impl_wrapped_configILNS1_25lookback_scan_determinismE0ES3_S9_PaNS6_17constant_iteratorIiNS6_11use_defaultESE_EENS6_10device_ptrIaEENSG_IlEEPmS8_NS6_8equal_toIaEEEE10hipError_tPvRmT2_T3_mT4_T5_T6_T7_T8_P12ihipStream_tbENKUlT_T0_E_clISt17integral_constantIbLb1EES12_IbLb0EEEEDaSY_SZ_EUlSY_E_NS1_11comp_targetILNS1_3genE0ELNS1_11target_archE4294967295ELNS1_3gpuE0ELNS1_3repE0EEENS1_30default_config_static_selectorELNS0_4arch9wavefront6targetE1EEEvT1_,@function
_ZN7rocprim17ROCPRIM_400000_NS6detail17trampoline_kernelINS0_14default_configENS1_29reduce_by_key_config_selectorIalN6thrust23THRUST_200600_302600_NS4plusIlEEEEZZNS1_33reduce_by_key_impl_wrapped_configILNS1_25lookback_scan_determinismE0ES3_S9_PaNS6_17constant_iteratorIiNS6_11use_defaultESE_EENS6_10device_ptrIaEENSG_IlEEPmS8_NS6_8equal_toIaEEEE10hipError_tPvRmT2_T3_mT4_T5_T6_T7_T8_P12ihipStream_tbENKUlT_T0_E_clISt17integral_constantIbLb1EES12_IbLb0EEEEDaSY_SZ_EUlSY_E_NS1_11comp_targetILNS1_3genE0ELNS1_11target_archE4294967295ELNS1_3gpuE0ELNS1_3repE0EEENS1_30default_config_static_selectorELNS0_4arch9wavefront6targetE1EEEvT1_: ; @_ZN7rocprim17ROCPRIM_400000_NS6detail17trampoline_kernelINS0_14default_configENS1_29reduce_by_key_config_selectorIalN6thrust23THRUST_200600_302600_NS4plusIlEEEEZZNS1_33reduce_by_key_impl_wrapped_configILNS1_25lookback_scan_determinismE0ES3_S9_PaNS6_17constant_iteratorIiNS6_11use_defaultESE_EENS6_10device_ptrIaEENSG_IlEEPmS8_NS6_8equal_toIaEEEE10hipError_tPvRmT2_T3_mT4_T5_T6_T7_T8_P12ihipStream_tbENKUlT_T0_E_clISt17integral_constantIbLb1EES12_IbLb0EEEEDaSY_SZ_EUlSY_E_NS1_11comp_targetILNS1_3genE0ELNS1_11target_archE4294967295ELNS1_3gpuE0ELNS1_3repE0EEENS1_30default_config_static_selectorELNS0_4arch9wavefront6targetE1EEEvT1_
; %bb.0:
	.section	.rodata,"a",@progbits
	.p2align	6, 0x0
	.amdhsa_kernel _ZN7rocprim17ROCPRIM_400000_NS6detail17trampoline_kernelINS0_14default_configENS1_29reduce_by_key_config_selectorIalN6thrust23THRUST_200600_302600_NS4plusIlEEEEZZNS1_33reduce_by_key_impl_wrapped_configILNS1_25lookback_scan_determinismE0ES3_S9_PaNS6_17constant_iteratorIiNS6_11use_defaultESE_EENS6_10device_ptrIaEENSG_IlEEPmS8_NS6_8equal_toIaEEEE10hipError_tPvRmT2_T3_mT4_T5_T6_T7_T8_P12ihipStream_tbENKUlT_T0_E_clISt17integral_constantIbLb1EES12_IbLb0EEEEDaSY_SZ_EUlSY_E_NS1_11comp_targetILNS1_3genE0ELNS1_11target_archE4294967295ELNS1_3gpuE0ELNS1_3repE0EEENS1_30default_config_static_selectorELNS0_4arch9wavefront6targetE1EEEvT1_
		.amdhsa_group_segment_fixed_size 0
		.amdhsa_private_segment_fixed_size 0
		.amdhsa_kernarg_size 144
		.amdhsa_user_sgpr_count 6
		.amdhsa_user_sgpr_private_segment_buffer 1
		.amdhsa_user_sgpr_dispatch_ptr 0
		.amdhsa_user_sgpr_queue_ptr 0
		.amdhsa_user_sgpr_kernarg_segment_ptr 1
		.amdhsa_user_sgpr_dispatch_id 0
		.amdhsa_user_sgpr_flat_scratch_init 0
		.amdhsa_user_sgpr_private_segment_size 0
		.amdhsa_uses_dynamic_stack 0
		.amdhsa_system_sgpr_private_segment_wavefront_offset 0
		.amdhsa_system_sgpr_workgroup_id_x 1
		.amdhsa_system_sgpr_workgroup_id_y 0
		.amdhsa_system_sgpr_workgroup_id_z 0
		.amdhsa_system_sgpr_workgroup_info 0
		.amdhsa_system_vgpr_workitem_id 0
		.amdhsa_next_free_vgpr 1
		.amdhsa_next_free_sgpr 0
		.amdhsa_reserve_vcc 0
		.amdhsa_reserve_flat_scratch 0
		.amdhsa_float_round_mode_32 0
		.amdhsa_float_round_mode_16_64 0
		.amdhsa_float_denorm_mode_32 3
		.amdhsa_float_denorm_mode_16_64 3
		.amdhsa_dx10_clamp 1
		.amdhsa_ieee_mode 1
		.amdhsa_fp16_overflow 0
		.amdhsa_exception_fp_ieee_invalid_op 0
		.amdhsa_exception_fp_denorm_src 0
		.amdhsa_exception_fp_ieee_div_zero 0
		.amdhsa_exception_fp_ieee_overflow 0
		.amdhsa_exception_fp_ieee_underflow 0
		.amdhsa_exception_fp_ieee_inexact 0
		.amdhsa_exception_int_div_zero 0
	.end_amdhsa_kernel
	.section	.text._ZN7rocprim17ROCPRIM_400000_NS6detail17trampoline_kernelINS0_14default_configENS1_29reduce_by_key_config_selectorIalN6thrust23THRUST_200600_302600_NS4plusIlEEEEZZNS1_33reduce_by_key_impl_wrapped_configILNS1_25lookback_scan_determinismE0ES3_S9_PaNS6_17constant_iteratorIiNS6_11use_defaultESE_EENS6_10device_ptrIaEENSG_IlEEPmS8_NS6_8equal_toIaEEEE10hipError_tPvRmT2_T3_mT4_T5_T6_T7_T8_P12ihipStream_tbENKUlT_T0_E_clISt17integral_constantIbLb1EES12_IbLb0EEEEDaSY_SZ_EUlSY_E_NS1_11comp_targetILNS1_3genE0ELNS1_11target_archE4294967295ELNS1_3gpuE0ELNS1_3repE0EEENS1_30default_config_static_selectorELNS0_4arch9wavefront6targetE1EEEvT1_,"axG",@progbits,_ZN7rocprim17ROCPRIM_400000_NS6detail17trampoline_kernelINS0_14default_configENS1_29reduce_by_key_config_selectorIalN6thrust23THRUST_200600_302600_NS4plusIlEEEEZZNS1_33reduce_by_key_impl_wrapped_configILNS1_25lookback_scan_determinismE0ES3_S9_PaNS6_17constant_iteratorIiNS6_11use_defaultESE_EENS6_10device_ptrIaEENSG_IlEEPmS8_NS6_8equal_toIaEEEE10hipError_tPvRmT2_T3_mT4_T5_T6_T7_T8_P12ihipStream_tbENKUlT_T0_E_clISt17integral_constantIbLb1EES12_IbLb0EEEEDaSY_SZ_EUlSY_E_NS1_11comp_targetILNS1_3genE0ELNS1_11target_archE4294967295ELNS1_3gpuE0ELNS1_3repE0EEENS1_30default_config_static_selectorELNS0_4arch9wavefront6targetE1EEEvT1_,comdat
.Lfunc_end690:
	.size	_ZN7rocprim17ROCPRIM_400000_NS6detail17trampoline_kernelINS0_14default_configENS1_29reduce_by_key_config_selectorIalN6thrust23THRUST_200600_302600_NS4plusIlEEEEZZNS1_33reduce_by_key_impl_wrapped_configILNS1_25lookback_scan_determinismE0ES3_S9_PaNS6_17constant_iteratorIiNS6_11use_defaultESE_EENS6_10device_ptrIaEENSG_IlEEPmS8_NS6_8equal_toIaEEEE10hipError_tPvRmT2_T3_mT4_T5_T6_T7_T8_P12ihipStream_tbENKUlT_T0_E_clISt17integral_constantIbLb1EES12_IbLb0EEEEDaSY_SZ_EUlSY_E_NS1_11comp_targetILNS1_3genE0ELNS1_11target_archE4294967295ELNS1_3gpuE0ELNS1_3repE0EEENS1_30default_config_static_selectorELNS0_4arch9wavefront6targetE1EEEvT1_, .Lfunc_end690-_ZN7rocprim17ROCPRIM_400000_NS6detail17trampoline_kernelINS0_14default_configENS1_29reduce_by_key_config_selectorIalN6thrust23THRUST_200600_302600_NS4plusIlEEEEZZNS1_33reduce_by_key_impl_wrapped_configILNS1_25lookback_scan_determinismE0ES3_S9_PaNS6_17constant_iteratorIiNS6_11use_defaultESE_EENS6_10device_ptrIaEENSG_IlEEPmS8_NS6_8equal_toIaEEEE10hipError_tPvRmT2_T3_mT4_T5_T6_T7_T8_P12ihipStream_tbENKUlT_T0_E_clISt17integral_constantIbLb1EES12_IbLb0EEEEDaSY_SZ_EUlSY_E_NS1_11comp_targetILNS1_3genE0ELNS1_11target_archE4294967295ELNS1_3gpuE0ELNS1_3repE0EEENS1_30default_config_static_selectorELNS0_4arch9wavefront6targetE1EEEvT1_
                                        ; -- End function
	.set _ZN7rocprim17ROCPRIM_400000_NS6detail17trampoline_kernelINS0_14default_configENS1_29reduce_by_key_config_selectorIalN6thrust23THRUST_200600_302600_NS4plusIlEEEEZZNS1_33reduce_by_key_impl_wrapped_configILNS1_25lookback_scan_determinismE0ES3_S9_PaNS6_17constant_iteratorIiNS6_11use_defaultESE_EENS6_10device_ptrIaEENSG_IlEEPmS8_NS6_8equal_toIaEEEE10hipError_tPvRmT2_T3_mT4_T5_T6_T7_T8_P12ihipStream_tbENKUlT_T0_E_clISt17integral_constantIbLb1EES12_IbLb0EEEEDaSY_SZ_EUlSY_E_NS1_11comp_targetILNS1_3genE0ELNS1_11target_archE4294967295ELNS1_3gpuE0ELNS1_3repE0EEENS1_30default_config_static_selectorELNS0_4arch9wavefront6targetE1EEEvT1_.num_vgpr, 0
	.set _ZN7rocprim17ROCPRIM_400000_NS6detail17trampoline_kernelINS0_14default_configENS1_29reduce_by_key_config_selectorIalN6thrust23THRUST_200600_302600_NS4plusIlEEEEZZNS1_33reduce_by_key_impl_wrapped_configILNS1_25lookback_scan_determinismE0ES3_S9_PaNS6_17constant_iteratorIiNS6_11use_defaultESE_EENS6_10device_ptrIaEENSG_IlEEPmS8_NS6_8equal_toIaEEEE10hipError_tPvRmT2_T3_mT4_T5_T6_T7_T8_P12ihipStream_tbENKUlT_T0_E_clISt17integral_constantIbLb1EES12_IbLb0EEEEDaSY_SZ_EUlSY_E_NS1_11comp_targetILNS1_3genE0ELNS1_11target_archE4294967295ELNS1_3gpuE0ELNS1_3repE0EEENS1_30default_config_static_selectorELNS0_4arch9wavefront6targetE1EEEvT1_.num_agpr, 0
	.set _ZN7rocprim17ROCPRIM_400000_NS6detail17trampoline_kernelINS0_14default_configENS1_29reduce_by_key_config_selectorIalN6thrust23THRUST_200600_302600_NS4plusIlEEEEZZNS1_33reduce_by_key_impl_wrapped_configILNS1_25lookback_scan_determinismE0ES3_S9_PaNS6_17constant_iteratorIiNS6_11use_defaultESE_EENS6_10device_ptrIaEENSG_IlEEPmS8_NS6_8equal_toIaEEEE10hipError_tPvRmT2_T3_mT4_T5_T6_T7_T8_P12ihipStream_tbENKUlT_T0_E_clISt17integral_constantIbLb1EES12_IbLb0EEEEDaSY_SZ_EUlSY_E_NS1_11comp_targetILNS1_3genE0ELNS1_11target_archE4294967295ELNS1_3gpuE0ELNS1_3repE0EEENS1_30default_config_static_selectorELNS0_4arch9wavefront6targetE1EEEvT1_.numbered_sgpr, 0
	.set _ZN7rocprim17ROCPRIM_400000_NS6detail17trampoline_kernelINS0_14default_configENS1_29reduce_by_key_config_selectorIalN6thrust23THRUST_200600_302600_NS4plusIlEEEEZZNS1_33reduce_by_key_impl_wrapped_configILNS1_25lookback_scan_determinismE0ES3_S9_PaNS6_17constant_iteratorIiNS6_11use_defaultESE_EENS6_10device_ptrIaEENSG_IlEEPmS8_NS6_8equal_toIaEEEE10hipError_tPvRmT2_T3_mT4_T5_T6_T7_T8_P12ihipStream_tbENKUlT_T0_E_clISt17integral_constantIbLb1EES12_IbLb0EEEEDaSY_SZ_EUlSY_E_NS1_11comp_targetILNS1_3genE0ELNS1_11target_archE4294967295ELNS1_3gpuE0ELNS1_3repE0EEENS1_30default_config_static_selectorELNS0_4arch9wavefront6targetE1EEEvT1_.num_named_barrier, 0
	.set _ZN7rocprim17ROCPRIM_400000_NS6detail17trampoline_kernelINS0_14default_configENS1_29reduce_by_key_config_selectorIalN6thrust23THRUST_200600_302600_NS4plusIlEEEEZZNS1_33reduce_by_key_impl_wrapped_configILNS1_25lookback_scan_determinismE0ES3_S9_PaNS6_17constant_iteratorIiNS6_11use_defaultESE_EENS6_10device_ptrIaEENSG_IlEEPmS8_NS6_8equal_toIaEEEE10hipError_tPvRmT2_T3_mT4_T5_T6_T7_T8_P12ihipStream_tbENKUlT_T0_E_clISt17integral_constantIbLb1EES12_IbLb0EEEEDaSY_SZ_EUlSY_E_NS1_11comp_targetILNS1_3genE0ELNS1_11target_archE4294967295ELNS1_3gpuE0ELNS1_3repE0EEENS1_30default_config_static_selectorELNS0_4arch9wavefront6targetE1EEEvT1_.private_seg_size, 0
	.set _ZN7rocprim17ROCPRIM_400000_NS6detail17trampoline_kernelINS0_14default_configENS1_29reduce_by_key_config_selectorIalN6thrust23THRUST_200600_302600_NS4plusIlEEEEZZNS1_33reduce_by_key_impl_wrapped_configILNS1_25lookback_scan_determinismE0ES3_S9_PaNS6_17constant_iteratorIiNS6_11use_defaultESE_EENS6_10device_ptrIaEENSG_IlEEPmS8_NS6_8equal_toIaEEEE10hipError_tPvRmT2_T3_mT4_T5_T6_T7_T8_P12ihipStream_tbENKUlT_T0_E_clISt17integral_constantIbLb1EES12_IbLb0EEEEDaSY_SZ_EUlSY_E_NS1_11comp_targetILNS1_3genE0ELNS1_11target_archE4294967295ELNS1_3gpuE0ELNS1_3repE0EEENS1_30default_config_static_selectorELNS0_4arch9wavefront6targetE1EEEvT1_.uses_vcc, 0
	.set _ZN7rocprim17ROCPRIM_400000_NS6detail17trampoline_kernelINS0_14default_configENS1_29reduce_by_key_config_selectorIalN6thrust23THRUST_200600_302600_NS4plusIlEEEEZZNS1_33reduce_by_key_impl_wrapped_configILNS1_25lookback_scan_determinismE0ES3_S9_PaNS6_17constant_iteratorIiNS6_11use_defaultESE_EENS6_10device_ptrIaEENSG_IlEEPmS8_NS6_8equal_toIaEEEE10hipError_tPvRmT2_T3_mT4_T5_T6_T7_T8_P12ihipStream_tbENKUlT_T0_E_clISt17integral_constantIbLb1EES12_IbLb0EEEEDaSY_SZ_EUlSY_E_NS1_11comp_targetILNS1_3genE0ELNS1_11target_archE4294967295ELNS1_3gpuE0ELNS1_3repE0EEENS1_30default_config_static_selectorELNS0_4arch9wavefront6targetE1EEEvT1_.uses_flat_scratch, 0
	.set _ZN7rocprim17ROCPRIM_400000_NS6detail17trampoline_kernelINS0_14default_configENS1_29reduce_by_key_config_selectorIalN6thrust23THRUST_200600_302600_NS4plusIlEEEEZZNS1_33reduce_by_key_impl_wrapped_configILNS1_25lookback_scan_determinismE0ES3_S9_PaNS6_17constant_iteratorIiNS6_11use_defaultESE_EENS6_10device_ptrIaEENSG_IlEEPmS8_NS6_8equal_toIaEEEE10hipError_tPvRmT2_T3_mT4_T5_T6_T7_T8_P12ihipStream_tbENKUlT_T0_E_clISt17integral_constantIbLb1EES12_IbLb0EEEEDaSY_SZ_EUlSY_E_NS1_11comp_targetILNS1_3genE0ELNS1_11target_archE4294967295ELNS1_3gpuE0ELNS1_3repE0EEENS1_30default_config_static_selectorELNS0_4arch9wavefront6targetE1EEEvT1_.has_dyn_sized_stack, 0
	.set _ZN7rocprim17ROCPRIM_400000_NS6detail17trampoline_kernelINS0_14default_configENS1_29reduce_by_key_config_selectorIalN6thrust23THRUST_200600_302600_NS4plusIlEEEEZZNS1_33reduce_by_key_impl_wrapped_configILNS1_25lookback_scan_determinismE0ES3_S9_PaNS6_17constant_iteratorIiNS6_11use_defaultESE_EENS6_10device_ptrIaEENSG_IlEEPmS8_NS6_8equal_toIaEEEE10hipError_tPvRmT2_T3_mT4_T5_T6_T7_T8_P12ihipStream_tbENKUlT_T0_E_clISt17integral_constantIbLb1EES12_IbLb0EEEEDaSY_SZ_EUlSY_E_NS1_11comp_targetILNS1_3genE0ELNS1_11target_archE4294967295ELNS1_3gpuE0ELNS1_3repE0EEENS1_30default_config_static_selectorELNS0_4arch9wavefront6targetE1EEEvT1_.has_recursion, 0
	.set _ZN7rocprim17ROCPRIM_400000_NS6detail17trampoline_kernelINS0_14default_configENS1_29reduce_by_key_config_selectorIalN6thrust23THRUST_200600_302600_NS4plusIlEEEEZZNS1_33reduce_by_key_impl_wrapped_configILNS1_25lookback_scan_determinismE0ES3_S9_PaNS6_17constant_iteratorIiNS6_11use_defaultESE_EENS6_10device_ptrIaEENSG_IlEEPmS8_NS6_8equal_toIaEEEE10hipError_tPvRmT2_T3_mT4_T5_T6_T7_T8_P12ihipStream_tbENKUlT_T0_E_clISt17integral_constantIbLb1EES12_IbLb0EEEEDaSY_SZ_EUlSY_E_NS1_11comp_targetILNS1_3genE0ELNS1_11target_archE4294967295ELNS1_3gpuE0ELNS1_3repE0EEENS1_30default_config_static_selectorELNS0_4arch9wavefront6targetE1EEEvT1_.has_indirect_call, 0
	.section	.AMDGPU.csdata,"",@progbits
; Kernel info:
; codeLenInByte = 0
; TotalNumSgprs: 4
; NumVgprs: 0
; ScratchSize: 0
; MemoryBound: 0
; FloatMode: 240
; IeeeMode: 1
; LDSByteSize: 0 bytes/workgroup (compile time only)
; SGPRBlocks: 0
; VGPRBlocks: 0
; NumSGPRsForWavesPerEU: 4
; NumVGPRsForWavesPerEU: 1
; Occupancy: 10
; WaveLimiterHint : 0
; COMPUTE_PGM_RSRC2:SCRATCH_EN: 0
; COMPUTE_PGM_RSRC2:USER_SGPR: 6
; COMPUTE_PGM_RSRC2:TRAP_HANDLER: 0
; COMPUTE_PGM_RSRC2:TGID_X_EN: 1
; COMPUTE_PGM_RSRC2:TGID_Y_EN: 0
; COMPUTE_PGM_RSRC2:TGID_Z_EN: 0
; COMPUTE_PGM_RSRC2:TIDIG_COMP_CNT: 0
	.section	.text._ZN7rocprim17ROCPRIM_400000_NS6detail17trampoline_kernelINS0_14default_configENS1_29reduce_by_key_config_selectorIalN6thrust23THRUST_200600_302600_NS4plusIlEEEEZZNS1_33reduce_by_key_impl_wrapped_configILNS1_25lookback_scan_determinismE0ES3_S9_PaNS6_17constant_iteratorIiNS6_11use_defaultESE_EENS6_10device_ptrIaEENSG_IlEEPmS8_NS6_8equal_toIaEEEE10hipError_tPvRmT2_T3_mT4_T5_T6_T7_T8_P12ihipStream_tbENKUlT_T0_E_clISt17integral_constantIbLb1EES12_IbLb0EEEEDaSY_SZ_EUlSY_E_NS1_11comp_targetILNS1_3genE5ELNS1_11target_archE942ELNS1_3gpuE9ELNS1_3repE0EEENS1_30default_config_static_selectorELNS0_4arch9wavefront6targetE1EEEvT1_,"axG",@progbits,_ZN7rocprim17ROCPRIM_400000_NS6detail17trampoline_kernelINS0_14default_configENS1_29reduce_by_key_config_selectorIalN6thrust23THRUST_200600_302600_NS4plusIlEEEEZZNS1_33reduce_by_key_impl_wrapped_configILNS1_25lookback_scan_determinismE0ES3_S9_PaNS6_17constant_iteratorIiNS6_11use_defaultESE_EENS6_10device_ptrIaEENSG_IlEEPmS8_NS6_8equal_toIaEEEE10hipError_tPvRmT2_T3_mT4_T5_T6_T7_T8_P12ihipStream_tbENKUlT_T0_E_clISt17integral_constantIbLb1EES12_IbLb0EEEEDaSY_SZ_EUlSY_E_NS1_11comp_targetILNS1_3genE5ELNS1_11target_archE942ELNS1_3gpuE9ELNS1_3repE0EEENS1_30default_config_static_selectorELNS0_4arch9wavefront6targetE1EEEvT1_,comdat
	.protected	_ZN7rocprim17ROCPRIM_400000_NS6detail17trampoline_kernelINS0_14default_configENS1_29reduce_by_key_config_selectorIalN6thrust23THRUST_200600_302600_NS4plusIlEEEEZZNS1_33reduce_by_key_impl_wrapped_configILNS1_25lookback_scan_determinismE0ES3_S9_PaNS6_17constant_iteratorIiNS6_11use_defaultESE_EENS6_10device_ptrIaEENSG_IlEEPmS8_NS6_8equal_toIaEEEE10hipError_tPvRmT2_T3_mT4_T5_T6_T7_T8_P12ihipStream_tbENKUlT_T0_E_clISt17integral_constantIbLb1EES12_IbLb0EEEEDaSY_SZ_EUlSY_E_NS1_11comp_targetILNS1_3genE5ELNS1_11target_archE942ELNS1_3gpuE9ELNS1_3repE0EEENS1_30default_config_static_selectorELNS0_4arch9wavefront6targetE1EEEvT1_ ; -- Begin function _ZN7rocprim17ROCPRIM_400000_NS6detail17trampoline_kernelINS0_14default_configENS1_29reduce_by_key_config_selectorIalN6thrust23THRUST_200600_302600_NS4plusIlEEEEZZNS1_33reduce_by_key_impl_wrapped_configILNS1_25lookback_scan_determinismE0ES3_S9_PaNS6_17constant_iteratorIiNS6_11use_defaultESE_EENS6_10device_ptrIaEENSG_IlEEPmS8_NS6_8equal_toIaEEEE10hipError_tPvRmT2_T3_mT4_T5_T6_T7_T8_P12ihipStream_tbENKUlT_T0_E_clISt17integral_constantIbLb1EES12_IbLb0EEEEDaSY_SZ_EUlSY_E_NS1_11comp_targetILNS1_3genE5ELNS1_11target_archE942ELNS1_3gpuE9ELNS1_3repE0EEENS1_30default_config_static_selectorELNS0_4arch9wavefront6targetE1EEEvT1_
	.globl	_ZN7rocprim17ROCPRIM_400000_NS6detail17trampoline_kernelINS0_14default_configENS1_29reduce_by_key_config_selectorIalN6thrust23THRUST_200600_302600_NS4plusIlEEEEZZNS1_33reduce_by_key_impl_wrapped_configILNS1_25lookback_scan_determinismE0ES3_S9_PaNS6_17constant_iteratorIiNS6_11use_defaultESE_EENS6_10device_ptrIaEENSG_IlEEPmS8_NS6_8equal_toIaEEEE10hipError_tPvRmT2_T3_mT4_T5_T6_T7_T8_P12ihipStream_tbENKUlT_T0_E_clISt17integral_constantIbLb1EES12_IbLb0EEEEDaSY_SZ_EUlSY_E_NS1_11comp_targetILNS1_3genE5ELNS1_11target_archE942ELNS1_3gpuE9ELNS1_3repE0EEENS1_30default_config_static_selectorELNS0_4arch9wavefront6targetE1EEEvT1_
	.p2align	8
	.type	_ZN7rocprim17ROCPRIM_400000_NS6detail17trampoline_kernelINS0_14default_configENS1_29reduce_by_key_config_selectorIalN6thrust23THRUST_200600_302600_NS4plusIlEEEEZZNS1_33reduce_by_key_impl_wrapped_configILNS1_25lookback_scan_determinismE0ES3_S9_PaNS6_17constant_iteratorIiNS6_11use_defaultESE_EENS6_10device_ptrIaEENSG_IlEEPmS8_NS6_8equal_toIaEEEE10hipError_tPvRmT2_T3_mT4_T5_T6_T7_T8_P12ihipStream_tbENKUlT_T0_E_clISt17integral_constantIbLb1EES12_IbLb0EEEEDaSY_SZ_EUlSY_E_NS1_11comp_targetILNS1_3genE5ELNS1_11target_archE942ELNS1_3gpuE9ELNS1_3repE0EEENS1_30default_config_static_selectorELNS0_4arch9wavefront6targetE1EEEvT1_,@function
_ZN7rocprim17ROCPRIM_400000_NS6detail17trampoline_kernelINS0_14default_configENS1_29reduce_by_key_config_selectorIalN6thrust23THRUST_200600_302600_NS4plusIlEEEEZZNS1_33reduce_by_key_impl_wrapped_configILNS1_25lookback_scan_determinismE0ES3_S9_PaNS6_17constant_iteratorIiNS6_11use_defaultESE_EENS6_10device_ptrIaEENSG_IlEEPmS8_NS6_8equal_toIaEEEE10hipError_tPvRmT2_T3_mT4_T5_T6_T7_T8_P12ihipStream_tbENKUlT_T0_E_clISt17integral_constantIbLb1EES12_IbLb0EEEEDaSY_SZ_EUlSY_E_NS1_11comp_targetILNS1_3genE5ELNS1_11target_archE942ELNS1_3gpuE9ELNS1_3repE0EEENS1_30default_config_static_selectorELNS0_4arch9wavefront6targetE1EEEvT1_: ; @_ZN7rocprim17ROCPRIM_400000_NS6detail17trampoline_kernelINS0_14default_configENS1_29reduce_by_key_config_selectorIalN6thrust23THRUST_200600_302600_NS4plusIlEEEEZZNS1_33reduce_by_key_impl_wrapped_configILNS1_25lookback_scan_determinismE0ES3_S9_PaNS6_17constant_iteratorIiNS6_11use_defaultESE_EENS6_10device_ptrIaEENSG_IlEEPmS8_NS6_8equal_toIaEEEE10hipError_tPvRmT2_T3_mT4_T5_T6_T7_T8_P12ihipStream_tbENKUlT_T0_E_clISt17integral_constantIbLb1EES12_IbLb0EEEEDaSY_SZ_EUlSY_E_NS1_11comp_targetILNS1_3genE5ELNS1_11target_archE942ELNS1_3gpuE9ELNS1_3repE0EEENS1_30default_config_static_selectorELNS0_4arch9wavefront6targetE1EEEvT1_
; %bb.0:
	.section	.rodata,"a",@progbits
	.p2align	6, 0x0
	.amdhsa_kernel _ZN7rocprim17ROCPRIM_400000_NS6detail17trampoline_kernelINS0_14default_configENS1_29reduce_by_key_config_selectorIalN6thrust23THRUST_200600_302600_NS4plusIlEEEEZZNS1_33reduce_by_key_impl_wrapped_configILNS1_25lookback_scan_determinismE0ES3_S9_PaNS6_17constant_iteratorIiNS6_11use_defaultESE_EENS6_10device_ptrIaEENSG_IlEEPmS8_NS6_8equal_toIaEEEE10hipError_tPvRmT2_T3_mT4_T5_T6_T7_T8_P12ihipStream_tbENKUlT_T0_E_clISt17integral_constantIbLb1EES12_IbLb0EEEEDaSY_SZ_EUlSY_E_NS1_11comp_targetILNS1_3genE5ELNS1_11target_archE942ELNS1_3gpuE9ELNS1_3repE0EEENS1_30default_config_static_selectorELNS0_4arch9wavefront6targetE1EEEvT1_
		.amdhsa_group_segment_fixed_size 0
		.amdhsa_private_segment_fixed_size 0
		.amdhsa_kernarg_size 144
		.amdhsa_user_sgpr_count 6
		.amdhsa_user_sgpr_private_segment_buffer 1
		.amdhsa_user_sgpr_dispatch_ptr 0
		.amdhsa_user_sgpr_queue_ptr 0
		.amdhsa_user_sgpr_kernarg_segment_ptr 1
		.amdhsa_user_sgpr_dispatch_id 0
		.amdhsa_user_sgpr_flat_scratch_init 0
		.amdhsa_user_sgpr_private_segment_size 0
		.amdhsa_uses_dynamic_stack 0
		.amdhsa_system_sgpr_private_segment_wavefront_offset 0
		.amdhsa_system_sgpr_workgroup_id_x 1
		.amdhsa_system_sgpr_workgroup_id_y 0
		.amdhsa_system_sgpr_workgroup_id_z 0
		.amdhsa_system_sgpr_workgroup_info 0
		.amdhsa_system_vgpr_workitem_id 0
		.amdhsa_next_free_vgpr 1
		.amdhsa_next_free_sgpr 0
		.amdhsa_reserve_vcc 0
		.amdhsa_reserve_flat_scratch 0
		.amdhsa_float_round_mode_32 0
		.amdhsa_float_round_mode_16_64 0
		.amdhsa_float_denorm_mode_32 3
		.amdhsa_float_denorm_mode_16_64 3
		.amdhsa_dx10_clamp 1
		.amdhsa_ieee_mode 1
		.amdhsa_fp16_overflow 0
		.amdhsa_exception_fp_ieee_invalid_op 0
		.amdhsa_exception_fp_denorm_src 0
		.amdhsa_exception_fp_ieee_div_zero 0
		.amdhsa_exception_fp_ieee_overflow 0
		.amdhsa_exception_fp_ieee_underflow 0
		.amdhsa_exception_fp_ieee_inexact 0
		.amdhsa_exception_int_div_zero 0
	.end_amdhsa_kernel
	.section	.text._ZN7rocprim17ROCPRIM_400000_NS6detail17trampoline_kernelINS0_14default_configENS1_29reduce_by_key_config_selectorIalN6thrust23THRUST_200600_302600_NS4plusIlEEEEZZNS1_33reduce_by_key_impl_wrapped_configILNS1_25lookback_scan_determinismE0ES3_S9_PaNS6_17constant_iteratorIiNS6_11use_defaultESE_EENS6_10device_ptrIaEENSG_IlEEPmS8_NS6_8equal_toIaEEEE10hipError_tPvRmT2_T3_mT4_T5_T6_T7_T8_P12ihipStream_tbENKUlT_T0_E_clISt17integral_constantIbLb1EES12_IbLb0EEEEDaSY_SZ_EUlSY_E_NS1_11comp_targetILNS1_3genE5ELNS1_11target_archE942ELNS1_3gpuE9ELNS1_3repE0EEENS1_30default_config_static_selectorELNS0_4arch9wavefront6targetE1EEEvT1_,"axG",@progbits,_ZN7rocprim17ROCPRIM_400000_NS6detail17trampoline_kernelINS0_14default_configENS1_29reduce_by_key_config_selectorIalN6thrust23THRUST_200600_302600_NS4plusIlEEEEZZNS1_33reduce_by_key_impl_wrapped_configILNS1_25lookback_scan_determinismE0ES3_S9_PaNS6_17constant_iteratorIiNS6_11use_defaultESE_EENS6_10device_ptrIaEENSG_IlEEPmS8_NS6_8equal_toIaEEEE10hipError_tPvRmT2_T3_mT4_T5_T6_T7_T8_P12ihipStream_tbENKUlT_T0_E_clISt17integral_constantIbLb1EES12_IbLb0EEEEDaSY_SZ_EUlSY_E_NS1_11comp_targetILNS1_3genE5ELNS1_11target_archE942ELNS1_3gpuE9ELNS1_3repE0EEENS1_30default_config_static_selectorELNS0_4arch9wavefront6targetE1EEEvT1_,comdat
.Lfunc_end691:
	.size	_ZN7rocprim17ROCPRIM_400000_NS6detail17trampoline_kernelINS0_14default_configENS1_29reduce_by_key_config_selectorIalN6thrust23THRUST_200600_302600_NS4plusIlEEEEZZNS1_33reduce_by_key_impl_wrapped_configILNS1_25lookback_scan_determinismE0ES3_S9_PaNS6_17constant_iteratorIiNS6_11use_defaultESE_EENS6_10device_ptrIaEENSG_IlEEPmS8_NS6_8equal_toIaEEEE10hipError_tPvRmT2_T3_mT4_T5_T6_T7_T8_P12ihipStream_tbENKUlT_T0_E_clISt17integral_constantIbLb1EES12_IbLb0EEEEDaSY_SZ_EUlSY_E_NS1_11comp_targetILNS1_3genE5ELNS1_11target_archE942ELNS1_3gpuE9ELNS1_3repE0EEENS1_30default_config_static_selectorELNS0_4arch9wavefront6targetE1EEEvT1_, .Lfunc_end691-_ZN7rocprim17ROCPRIM_400000_NS6detail17trampoline_kernelINS0_14default_configENS1_29reduce_by_key_config_selectorIalN6thrust23THRUST_200600_302600_NS4plusIlEEEEZZNS1_33reduce_by_key_impl_wrapped_configILNS1_25lookback_scan_determinismE0ES3_S9_PaNS6_17constant_iteratorIiNS6_11use_defaultESE_EENS6_10device_ptrIaEENSG_IlEEPmS8_NS6_8equal_toIaEEEE10hipError_tPvRmT2_T3_mT4_T5_T6_T7_T8_P12ihipStream_tbENKUlT_T0_E_clISt17integral_constantIbLb1EES12_IbLb0EEEEDaSY_SZ_EUlSY_E_NS1_11comp_targetILNS1_3genE5ELNS1_11target_archE942ELNS1_3gpuE9ELNS1_3repE0EEENS1_30default_config_static_selectorELNS0_4arch9wavefront6targetE1EEEvT1_
                                        ; -- End function
	.set _ZN7rocprim17ROCPRIM_400000_NS6detail17trampoline_kernelINS0_14default_configENS1_29reduce_by_key_config_selectorIalN6thrust23THRUST_200600_302600_NS4plusIlEEEEZZNS1_33reduce_by_key_impl_wrapped_configILNS1_25lookback_scan_determinismE0ES3_S9_PaNS6_17constant_iteratorIiNS6_11use_defaultESE_EENS6_10device_ptrIaEENSG_IlEEPmS8_NS6_8equal_toIaEEEE10hipError_tPvRmT2_T3_mT4_T5_T6_T7_T8_P12ihipStream_tbENKUlT_T0_E_clISt17integral_constantIbLb1EES12_IbLb0EEEEDaSY_SZ_EUlSY_E_NS1_11comp_targetILNS1_3genE5ELNS1_11target_archE942ELNS1_3gpuE9ELNS1_3repE0EEENS1_30default_config_static_selectorELNS0_4arch9wavefront6targetE1EEEvT1_.num_vgpr, 0
	.set _ZN7rocprim17ROCPRIM_400000_NS6detail17trampoline_kernelINS0_14default_configENS1_29reduce_by_key_config_selectorIalN6thrust23THRUST_200600_302600_NS4plusIlEEEEZZNS1_33reduce_by_key_impl_wrapped_configILNS1_25lookback_scan_determinismE0ES3_S9_PaNS6_17constant_iteratorIiNS6_11use_defaultESE_EENS6_10device_ptrIaEENSG_IlEEPmS8_NS6_8equal_toIaEEEE10hipError_tPvRmT2_T3_mT4_T5_T6_T7_T8_P12ihipStream_tbENKUlT_T0_E_clISt17integral_constantIbLb1EES12_IbLb0EEEEDaSY_SZ_EUlSY_E_NS1_11comp_targetILNS1_3genE5ELNS1_11target_archE942ELNS1_3gpuE9ELNS1_3repE0EEENS1_30default_config_static_selectorELNS0_4arch9wavefront6targetE1EEEvT1_.num_agpr, 0
	.set _ZN7rocprim17ROCPRIM_400000_NS6detail17trampoline_kernelINS0_14default_configENS1_29reduce_by_key_config_selectorIalN6thrust23THRUST_200600_302600_NS4plusIlEEEEZZNS1_33reduce_by_key_impl_wrapped_configILNS1_25lookback_scan_determinismE0ES3_S9_PaNS6_17constant_iteratorIiNS6_11use_defaultESE_EENS6_10device_ptrIaEENSG_IlEEPmS8_NS6_8equal_toIaEEEE10hipError_tPvRmT2_T3_mT4_T5_T6_T7_T8_P12ihipStream_tbENKUlT_T0_E_clISt17integral_constantIbLb1EES12_IbLb0EEEEDaSY_SZ_EUlSY_E_NS1_11comp_targetILNS1_3genE5ELNS1_11target_archE942ELNS1_3gpuE9ELNS1_3repE0EEENS1_30default_config_static_selectorELNS0_4arch9wavefront6targetE1EEEvT1_.numbered_sgpr, 0
	.set _ZN7rocprim17ROCPRIM_400000_NS6detail17trampoline_kernelINS0_14default_configENS1_29reduce_by_key_config_selectorIalN6thrust23THRUST_200600_302600_NS4plusIlEEEEZZNS1_33reduce_by_key_impl_wrapped_configILNS1_25lookback_scan_determinismE0ES3_S9_PaNS6_17constant_iteratorIiNS6_11use_defaultESE_EENS6_10device_ptrIaEENSG_IlEEPmS8_NS6_8equal_toIaEEEE10hipError_tPvRmT2_T3_mT4_T5_T6_T7_T8_P12ihipStream_tbENKUlT_T0_E_clISt17integral_constantIbLb1EES12_IbLb0EEEEDaSY_SZ_EUlSY_E_NS1_11comp_targetILNS1_3genE5ELNS1_11target_archE942ELNS1_3gpuE9ELNS1_3repE0EEENS1_30default_config_static_selectorELNS0_4arch9wavefront6targetE1EEEvT1_.num_named_barrier, 0
	.set _ZN7rocprim17ROCPRIM_400000_NS6detail17trampoline_kernelINS0_14default_configENS1_29reduce_by_key_config_selectorIalN6thrust23THRUST_200600_302600_NS4plusIlEEEEZZNS1_33reduce_by_key_impl_wrapped_configILNS1_25lookback_scan_determinismE0ES3_S9_PaNS6_17constant_iteratorIiNS6_11use_defaultESE_EENS6_10device_ptrIaEENSG_IlEEPmS8_NS6_8equal_toIaEEEE10hipError_tPvRmT2_T3_mT4_T5_T6_T7_T8_P12ihipStream_tbENKUlT_T0_E_clISt17integral_constantIbLb1EES12_IbLb0EEEEDaSY_SZ_EUlSY_E_NS1_11comp_targetILNS1_3genE5ELNS1_11target_archE942ELNS1_3gpuE9ELNS1_3repE0EEENS1_30default_config_static_selectorELNS0_4arch9wavefront6targetE1EEEvT1_.private_seg_size, 0
	.set _ZN7rocprim17ROCPRIM_400000_NS6detail17trampoline_kernelINS0_14default_configENS1_29reduce_by_key_config_selectorIalN6thrust23THRUST_200600_302600_NS4plusIlEEEEZZNS1_33reduce_by_key_impl_wrapped_configILNS1_25lookback_scan_determinismE0ES3_S9_PaNS6_17constant_iteratorIiNS6_11use_defaultESE_EENS6_10device_ptrIaEENSG_IlEEPmS8_NS6_8equal_toIaEEEE10hipError_tPvRmT2_T3_mT4_T5_T6_T7_T8_P12ihipStream_tbENKUlT_T0_E_clISt17integral_constantIbLb1EES12_IbLb0EEEEDaSY_SZ_EUlSY_E_NS1_11comp_targetILNS1_3genE5ELNS1_11target_archE942ELNS1_3gpuE9ELNS1_3repE0EEENS1_30default_config_static_selectorELNS0_4arch9wavefront6targetE1EEEvT1_.uses_vcc, 0
	.set _ZN7rocprim17ROCPRIM_400000_NS6detail17trampoline_kernelINS0_14default_configENS1_29reduce_by_key_config_selectorIalN6thrust23THRUST_200600_302600_NS4plusIlEEEEZZNS1_33reduce_by_key_impl_wrapped_configILNS1_25lookback_scan_determinismE0ES3_S9_PaNS6_17constant_iteratorIiNS6_11use_defaultESE_EENS6_10device_ptrIaEENSG_IlEEPmS8_NS6_8equal_toIaEEEE10hipError_tPvRmT2_T3_mT4_T5_T6_T7_T8_P12ihipStream_tbENKUlT_T0_E_clISt17integral_constantIbLb1EES12_IbLb0EEEEDaSY_SZ_EUlSY_E_NS1_11comp_targetILNS1_3genE5ELNS1_11target_archE942ELNS1_3gpuE9ELNS1_3repE0EEENS1_30default_config_static_selectorELNS0_4arch9wavefront6targetE1EEEvT1_.uses_flat_scratch, 0
	.set _ZN7rocprim17ROCPRIM_400000_NS6detail17trampoline_kernelINS0_14default_configENS1_29reduce_by_key_config_selectorIalN6thrust23THRUST_200600_302600_NS4plusIlEEEEZZNS1_33reduce_by_key_impl_wrapped_configILNS1_25lookback_scan_determinismE0ES3_S9_PaNS6_17constant_iteratorIiNS6_11use_defaultESE_EENS6_10device_ptrIaEENSG_IlEEPmS8_NS6_8equal_toIaEEEE10hipError_tPvRmT2_T3_mT4_T5_T6_T7_T8_P12ihipStream_tbENKUlT_T0_E_clISt17integral_constantIbLb1EES12_IbLb0EEEEDaSY_SZ_EUlSY_E_NS1_11comp_targetILNS1_3genE5ELNS1_11target_archE942ELNS1_3gpuE9ELNS1_3repE0EEENS1_30default_config_static_selectorELNS0_4arch9wavefront6targetE1EEEvT1_.has_dyn_sized_stack, 0
	.set _ZN7rocprim17ROCPRIM_400000_NS6detail17trampoline_kernelINS0_14default_configENS1_29reduce_by_key_config_selectorIalN6thrust23THRUST_200600_302600_NS4plusIlEEEEZZNS1_33reduce_by_key_impl_wrapped_configILNS1_25lookback_scan_determinismE0ES3_S9_PaNS6_17constant_iteratorIiNS6_11use_defaultESE_EENS6_10device_ptrIaEENSG_IlEEPmS8_NS6_8equal_toIaEEEE10hipError_tPvRmT2_T3_mT4_T5_T6_T7_T8_P12ihipStream_tbENKUlT_T0_E_clISt17integral_constantIbLb1EES12_IbLb0EEEEDaSY_SZ_EUlSY_E_NS1_11comp_targetILNS1_3genE5ELNS1_11target_archE942ELNS1_3gpuE9ELNS1_3repE0EEENS1_30default_config_static_selectorELNS0_4arch9wavefront6targetE1EEEvT1_.has_recursion, 0
	.set _ZN7rocprim17ROCPRIM_400000_NS6detail17trampoline_kernelINS0_14default_configENS1_29reduce_by_key_config_selectorIalN6thrust23THRUST_200600_302600_NS4plusIlEEEEZZNS1_33reduce_by_key_impl_wrapped_configILNS1_25lookback_scan_determinismE0ES3_S9_PaNS6_17constant_iteratorIiNS6_11use_defaultESE_EENS6_10device_ptrIaEENSG_IlEEPmS8_NS6_8equal_toIaEEEE10hipError_tPvRmT2_T3_mT4_T5_T6_T7_T8_P12ihipStream_tbENKUlT_T0_E_clISt17integral_constantIbLb1EES12_IbLb0EEEEDaSY_SZ_EUlSY_E_NS1_11comp_targetILNS1_3genE5ELNS1_11target_archE942ELNS1_3gpuE9ELNS1_3repE0EEENS1_30default_config_static_selectorELNS0_4arch9wavefront6targetE1EEEvT1_.has_indirect_call, 0
	.section	.AMDGPU.csdata,"",@progbits
; Kernel info:
; codeLenInByte = 0
; TotalNumSgprs: 4
; NumVgprs: 0
; ScratchSize: 0
; MemoryBound: 0
; FloatMode: 240
; IeeeMode: 1
; LDSByteSize: 0 bytes/workgroup (compile time only)
; SGPRBlocks: 0
; VGPRBlocks: 0
; NumSGPRsForWavesPerEU: 4
; NumVGPRsForWavesPerEU: 1
; Occupancy: 10
; WaveLimiterHint : 0
; COMPUTE_PGM_RSRC2:SCRATCH_EN: 0
; COMPUTE_PGM_RSRC2:USER_SGPR: 6
; COMPUTE_PGM_RSRC2:TRAP_HANDLER: 0
; COMPUTE_PGM_RSRC2:TGID_X_EN: 1
; COMPUTE_PGM_RSRC2:TGID_Y_EN: 0
; COMPUTE_PGM_RSRC2:TGID_Z_EN: 0
; COMPUTE_PGM_RSRC2:TIDIG_COMP_CNT: 0
	.section	.text._ZN7rocprim17ROCPRIM_400000_NS6detail17trampoline_kernelINS0_14default_configENS1_29reduce_by_key_config_selectorIalN6thrust23THRUST_200600_302600_NS4plusIlEEEEZZNS1_33reduce_by_key_impl_wrapped_configILNS1_25lookback_scan_determinismE0ES3_S9_PaNS6_17constant_iteratorIiNS6_11use_defaultESE_EENS6_10device_ptrIaEENSG_IlEEPmS8_NS6_8equal_toIaEEEE10hipError_tPvRmT2_T3_mT4_T5_T6_T7_T8_P12ihipStream_tbENKUlT_T0_E_clISt17integral_constantIbLb1EES12_IbLb0EEEEDaSY_SZ_EUlSY_E_NS1_11comp_targetILNS1_3genE4ELNS1_11target_archE910ELNS1_3gpuE8ELNS1_3repE0EEENS1_30default_config_static_selectorELNS0_4arch9wavefront6targetE1EEEvT1_,"axG",@progbits,_ZN7rocprim17ROCPRIM_400000_NS6detail17trampoline_kernelINS0_14default_configENS1_29reduce_by_key_config_selectorIalN6thrust23THRUST_200600_302600_NS4plusIlEEEEZZNS1_33reduce_by_key_impl_wrapped_configILNS1_25lookback_scan_determinismE0ES3_S9_PaNS6_17constant_iteratorIiNS6_11use_defaultESE_EENS6_10device_ptrIaEENSG_IlEEPmS8_NS6_8equal_toIaEEEE10hipError_tPvRmT2_T3_mT4_T5_T6_T7_T8_P12ihipStream_tbENKUlT_T0_E_clISt17integral_constantIbLb1EES12_IbLb0EEEEDaSY_SZ_EUlSY_E_NS1_11comp_targetILNS1_3genE4ELNS1_11target_archE910ELNS1_3gpuE8ELNS1_3repE0EEENS1_30default_config_static_selectorELNS0_4arch9wavefront6targetE1EEEvT1_,comdat
	.protected	_ZN7rocprim17ROCPRIM_400000_NS6detail17trampoline_kernelINS0_14default_configENS1_29reduce_by_key_config_selectorIalN6thrust23THRUST_200600_302600_NS4plusIlEEEEZZNS1_33reduce_by_key_impl_wrapped_configILNS1_25lookback_scan_determinismE0ES3_S9_PaNS6_17constant_iteratorIiNS6_11use_defaultESE_EENS6_10device_ptrIaEENSG_IlEEPmS8_NS6_8equal_toIaEEEE10hipError_tPvRmT2_T3_mT4_T5_T6_T7_T8_P12ihipStream_tbENKUlT_T0_E_clISt17integral_constantIbLb1EES12_IbLb0EEEEDaSY_SZ_EUlSY_E_NS1_11comp_targetILNS1_3genE4ELNS1_11target_archE910ELNS1_3gpuE8ELNS1_3repE0EEENS1_30default_config_static_selectorELNS0_4arch9wavefront6targetE1EEEvT1_ ; -- Begin function _ZN7rocprim17ROCPRIM_400000_NS6detail17trampoline_kernelINS0_14default_configENS1_29reduce_by_key_config_selectorIalN6thrust23THRUST_200600_302600_NS4plusIlEEEEZZNS1_33reduce_by_key_impl_wrapped_configILNS1_25lookback_scan_determinismE0ES3_S9_PaNS6_17constant_iteratorIiNS6_11use_defaultESE_EENS6_10device_ptrIaEENSG_IlEEPmS8_NS6_8equal_toIaEEEE10hipError_tPvRmT2_T3_mT4_T5_T6_T7_T8_P12ihipStream_tbENKUlT_T0_E_clISt17integral_constantIbLb1EES12_IbLb0EEEEDaSY_SZ_EUlSY_E_NS1_11comp_targetILNS1_3genE4ELNS1_11target_archE910ELNS1_3gpuE8ELNS1_3repE0EEENS1_30default_config_static_selectorELNS0_4arch9wavefront6targetE1EEEvT1_
	.globl	_ZN7rocprim17ROCPRIM_400000_NS6detail17trampoline_kernelINS0_14default_configENS1_29reduce_by_key_config_selectorIalN6thrust23THRUST_200600_302600_NS4plusIlEEEEZZNS1_33reduce_by_key_impl_wrapped_configILNS1_25lookback_scan_determinismE0ES3_S9_PaNS6_17constant_iteratorIiNS6_11use_defaultESE_EENS6_10device_ptrIaEENSG_IlEEPmS8_NS6_8equal_toIaEEEE10hipError_tPvRmT2_T3_mT4_T5_T6_T7_T8_P12ihipStream_tbENKUlT_T0_E_clISt17integral_constantIbLb1EES12_IbLb0EEEEDaSY_SZ_EUlSY_E_NS1_11comp_targetILNS1_3genE4ELNS1_11target_archE910ELNS1_3gpuE8ELNS1_3repE0EEENS1_30default_config_static_selectorELNS0_4arch9wavefront6targetE1EEEvT1_
	.p2align	8
	.type	_ZN7rocprim17ROCPRIM_400000_NS6detail17trampoline_kernelINS0_14default_configENS1_29reduce_by_key_config_selectorIalN6thrust23THRUST_200600_302600_NS4plusIlEEEEZZNS1_33reduce_by_key_impl_wrapped_configILNS1_25lookback_scan_determinismE0ES3_S9_PaNS6_17constant_iteratorIiNS6_11use_defaultESE_EENS6_10device_ptrIaEENSG_IlEEPmS8_NS6_8equal_toIaEEEE10hipError_tPvRmT2_T3_mT4_T5_T6_T7_T8_P12ihipStream_tbENKUlT_T0_E_clISt17integral_constantIbLb1EES12_IbLb0EEEEDaSY_SZ_EUlSY_E_NS1_11comp_targetILNS1_3genE4ELNS1_11target_archE910ELNS1_3gpuE8ELNS1_3repE0EEENS1_30default_config_static_selectorELNS0_4arch9wavefront6targetE1EEEvT1_,@function
_ZN7rocprim17ROCPRIM_400000_NS6detail17trampoline_kernelINS0_14default_configENS1_29reduce_by_key_config_selectorIalN6thrust23THRUST_200600_302600_NS4plusIlEEEEZZNS1_33reduce_by_key_impl_wrapped_configILNS1_25lookback_scan_determinismE0ES3_S9_PaNS6_17constant_iteratorIiNS6_11use_defaultESE_EENS6_10device_ptrIaEENSG_IlEEPmS8_NS6_8equal_toIaEEEE10hipError_tPvRmT2_T3_mT4_T5_T6_T7_T8_P12ihipStream_tbENKUlT_T0_E_clISt17integral_constantIbLb1EES12_IbLb0EEEEDaSY_SZ_EUlSY_E_NS1_11comp_targetILNS1_3genE4ELNS1_11target_archE910ELNS1_3gpuE8ELNS1_3repE0EEENS1_30default_config_static_selectorELNS0_4arch9wavefront6targetE1EEEvT1_: ; @_ZN7rocprim17ROCPRIM_400000_NS6detail17trampoline_kernelINS0_14default_configENS1_29reduce_by_key_config_selectorIalN6thrust23THRUST_200600_302600_NS4plusIlEEEEZZNS1_33reduce_by_key_impl_wrapped_configILNS1_25lookback_scan_determinismE0ES3_S9_PaNS6_17constant_iteratorIiNS6_11use_defaultESE_EENS6_10device_ptrIaEENSG_IlEEPmS8_NS6_8equal_toIaEEEE10hipError_tPvRmT2_T3_mT4_T5_T6_T7_T8_P12ihipStream_tbENKUlT_T0_E_clISt17integral_constantIbLb1EES12_IbLb0EEEEDaSY_SZ_EUlSY_E_NS1_11comp_targetILNS1_3genE4ELNS1_11target_archE910ELNS1_3gpuE8ELNS1_3repE0EEENS1_30default_config_static_selectorELNS0_4arch9wavefront6targetE1EEEvT1_
; %bb.0:
	.section	.rodata,"a",@progbits
	.p2align	6, 0x0
	.amdhsa_kernel _ZN7rocprim17ROCPRIM_400000_NS6detail17trampoline_kernelINS0_14default_configENS1_29reduce_by_key_config_selectorIalN6thrust23THRUST_200600_302600_NS4plusIlEEEEZZNS1_33reduce_by_key_impl_wrapped_configILNS1_25lookback_scan_determinismE0ES3_S9_PaNS6_17constant_iteratorIiNS6_11use_defaultESE_EENS6_10device_ptrIaEENSG_IlEEPmS8_NS6_8equal_toIaEEEE10hipError_tPvRmT2_T3_mT4_T5_T6_T7_T8_P12ihipStream_tbENKUlT_T0_E_clISt17integral_constantIbLb1EES12_IbLb0EEEEDaSY_SZ_EUlSY_E_NS1_11comp_targetILNS1_3genE4ELNS1_11target_archE910ELNS1_3gpuE8ELNS1_3repE0EEENS1_30default_config_static_selectorELNS0_4arch9wavefront6targetE1EEEvT1_
		.amdhsa_group_segment_fixed_size 0
		.amdhsa_private_segment_fixed_size 0
		.amdhsa_kernarg_size 144
		.amdhsa_user_sgpr_count 6
		.amdhsa_user_sgpr_private_segment_buffer 1
		.amdhsa_user_sgpr_dispatch_ptr 0
		.amdhsa_user_sgpr_queue_ptr 0
		.amdhsa_user_sgpr_kernarg_segment_ptr 1
		.amdhsa_user_sgpr_dispatch_id 0
		.amdhsa_user_sgpr_flat_scratch_init 0
		.amdhsa_user_sgpr_private_segment_size 0
		.amdhsa_uses_dynamic_stack 0
		.amdhsa_system_sgpr_private_segment_wavefront_offset 0
		.amdhsa_system_sgpr_workgroup_id_x 1
		.amdhsa_system_sgpr_workgroup_id_y 0
		.amdhsa_system_sgpr_workgroup_id_z 0
		.amdhsa_system_sgpr_workgroup_info 0
		.amdhsa_system_vgpr_workitem_id 0
		.amdhsa_next_free_vgpr 1
		.amdhsa_next_free_sgpr 0
		.amdhsa_reserve_vcc 0
		.amdhsa_reserve_flat_scratch 0
		.amdhsa_float_round_mode_32 0
		.amdhsa_float_round_mode_16_64 0
		.amdhsa_float_denorm_mode_32 3
		.amdhsa_float_denorm_mode_16_64 3
		.amdhsa_dx10_clamp 1
		.amdhsa_ieee_mode 1
		.amdhsa_fp16_overflow 0
		.amdhsa_exception_fp_ieee_invalid_op 0
		.amdhsa_exception_fp_denorm_src 0
		.amdhsa_exception_fp_ieee_div_zero 0
		.amdhsa_exception_fp_ieee_overflow 0
		.amdhsa_exception_fp_ieee_underflow 0
		.amdhsa_exception_fp_ieee_inexact 0
		.amdhsa_exception_int_div_zero 0
	.end_amdhsa_kernel
	.section	.text._ZN7rocprim17ROCPRIM_400000_NS6detail17trampoline_kernelINS0_14default_configENS1_29reduce_by_key_config_selectorIalN6thrust23THRUST_200600_302600_NS4plusIlEEEEZZNS1_33reduce_by_key_impl_wrapped_configILNS1_25lookback_scan_determinismE0ES3_S9_PaNS6_17constant_iteratorIiNS6_11use_defaultESE_EENS6_10device_ptrIaEENSG_IlEEPmS8_NS6_8equal_toIaEEEE10hipError_tPvRmT2_T3_mT4_T5_T6_T7_T8_P12ihipStream_tbENKUlT_T0_E_clISt17integral_constantIbLb1EES12_IbLb0EEEEDaSY_SZ_EUlSY_E_NS1_11comp_targetILNS1_3genE4ELNS1_11target_archE910ELNS1_3gpuE8ELNS1_3repE0EEENS1_30default_config_static_selectorELNS0_4arch9wavefront6targetE1EEEvT1_,"axG",@progbits,_ZN7rocprim17ROCPRIM_400000_NS6detail17trampoline_kernelINS0_14default_configENS1_29reduce_by_key_config_selectorIalN6thrust23THRUST_200600_302600_NS4plusIlEEEEZZNS1_33reduce_by_key_impl_wrapped_configILNS1_25lookback_scan_determinismE0ES3_S9_PaNS6_17constant_iteratorIiNS6_11use_defaultESE_EENS6_10device_ptrIaEENSG_IlEEPmS8_NS6_8equal_toIaEEEE10hipError_tPvRmT2_T3_mT4_T5_T6_T7_T8_P12ihipStream_tbENKUlT_T0_E_clISt17integral_constantIbLb1EES12_IbLb0EEEEDaSY_SZ_EUlSY_E_NS1_11comp_targetILNS1_3genE4ELNS1_11target_archE910ELNS1_3gpuE8ELNS1_3repE0EEENS1_30default_config_static_selectorELNS0_4arch9wavefront6targetE1EEEvT1_,comdat
.Lfunc_end692:
	.size	_ZN7rocprim17ROCPRIM_400000_NS6detail17trampoline_kernelINS0_14default_configENS1_29reduce_by_key_config_selectorIalN6thrust23THRUST_200600_302600_NS4plusIlEEEEZZNS1_33reduce_by_key_impl_wrapped_configILNS1_25lookback_scan_determinismE0ES3_S9_PaNS6_17constant_iteratorIiNS6_11use_defaultESE_EENS6_10device_ptrIaEENSG_IlEEPmS8_NS6_8equal_toIaEEEE10hipError_tPvRmT2_T3_mT4_T5_T6_T7_T8_P12ihipStream_tbENKUlT_T0_E_clISt17integral_constantIbLb1EES12_IbLb0EEEEDaSY_SZ_EUlSY_E_NS1_11comp_targetILNS1_3genE4ELNS1_11target_archE910ELNS1_3gpuE8ELNS1_3repE0EEENS1_30default_config_static_selectorELNS0_4arch9wavefront6targetE1EEEvT1_, .Lfunc_end692-_ZN7rocprim17ROCPRIM_400000_NS6detail17trampoline_kernelINS0_14default_configENS1_29reduce_by_key_config_selectorIalN6thrust23THRUST_200600_302600_NS4plusIlEEEEZZNS1_33reduce_by_key_impl_wrapped_configILNS1_25lookback_scan_determinismE0ES3_S9_PaNS6_17constant_iteratorIiNS6_11use_defaultESE_EENS6_10device_ptrIaEENSG_IlEEPmS8_NS6_8equal_toIaEEEE10hipError_tPvRmT2_T3_mT4_T5_T6_T7_T8_P12ihipStream_tbENKUlT_T0_E_clISt17integral_constantIbLb1EES12_IbLb0EEEEDaSY_SZ_EUlSY_E_NS1_11comp_targetILNS1_3genE4ELNS1_11target_archE910ELNS1_3gpuE8ELNS1_3repE0EEENS1_30default_config_static_selectorELNS0_4arch9wavefront6targetE1EEEvT1_
                                        ; -- End function
	.set _ZN7rocprim17ROCPRIM_400000_NS6detail17trampoline_kernelINS0_14default_configENS1_29reduce_by_key_config_selectorIalN6thrust23THRUST_200600_302600_NS4plusIlEEEEZZNS1_33reduce_by_key_impl_wrapped_configILNS1_25lookback_scan_determinismE0ES3_S9_PaNS6_17constant_iteratorIiNS6_11use_defaultESE_EENS6_10device_ptrIaEENSG_IlEEPmS8_NS6_8equal_toIaEEEE10hipError_tPvRmT2_T3_mT4_T5_T6_T7_T8_P12ihipStream_tbENKUlT_T0_E_clISt17integral_constantIbLb1EES12_IbLb0EEEEDaSY_SZ_EUlSY_E_NS1_11comp_targetILNS1_3genE4ELNS1_11target_archE910ELNS1_3gpuE8ELNS1_3repE0EEENS1_30default_config_static_selectorELNS0_4arch9wavefront6targetE1EEEvT1_.num_vgpr, 0
	.set _ZN7rocprim17ROCPRIM_400000_NS6detail17trampoline_kernelINS0_14default_configENS1_29reduce_by_key_config_selectorIalN6thrust23THRUST_200600_302600_NS4plusIlEEEEZZNS1_33reduce_by_key_impl_wrapped_configILNS1_25lookback_scan_determinismE0ES3_S9_PaNS6_17constant_iteratorIiNS6_11use_defaultESE_EENS6_10device_ptrIaEENSG_IlEEPmS8_NS6_8equal_toIaEEEE10hipError_tPvRmT2_T3_mT4_T5_T6_T7_T8_P12ihipStream_tbENKUlT_T0_E_clISt17integral_constantIbLb1EES12_IbLb0EEEEDaSY_SZ_EUlSY_E_NS1_11comp_targetILNS1_3genE4ELNS1_11target_archE910ELNS1_3gpuE8ELNS1_3repE0EEENS1_30default_config_static_selectorELNS0_4arch9wavefront6targetE1EEEvT1_.num_agpr, 0
	.set _ZN7rocprim17ROCPRIM_400000_NS6detail17trampoline_kernelINS0_14default_configENS1_29reduce_by_key_config_selectorIalN6thrust23THRUST_200600_302600_NS4plusIlEEEEZZNS1_33reduce_by_key_impl_wrapped_configILNS1_25lookback_scan_determinismE0ES3_S9_PaNS6_17constant_iteratorIiNS6_11use_defaultESE_EENS6_10device_ptrIaEENSG_IlEEPmS8_NS6_8equal_toIaEEEE10hipError_tPvRmT2_T3_mT4_T5_T6_T7_T8_P12ihipStream_tbENKUlT_T0_E_clISt17integral_constantIbLb1EES12_IbLb0EEEEDaSY_SZ_EUlSY_E_NS1_11comp_targetILNS1_3genE4ELNS1_11target_archE910ELNS1_3gpuE8ELNS1_3repE0EEENS1_30default_config_static_selectorELNS0_4arch9wavefront6targetE1EEEvT1_.numbered_sgpr, 0
	.set _ZN7rocprim17ROCPRIM_400000_NS6detail17trampoline_kernelINS0_14default_configENS1_29reduce_by_key_config_selectorIalN6thrust23THRUST_200600_302600_NS4plusIlEEEEZZNS1_33reduce_by_key_impl_wrapped_configILNS1_25lookback_scan_determinismE0ES3_S9_PaNS6_17constant_iteratorIiNS6_11use_defaultESE_EENS6_10device_ptrIaEENSG_IlEEPmS8_NS6_8equal_toIaEEEE10hipError_tPvRmT2_T3_mT4_T5_T6_T7_T8_P12ihipStream_tbENKUlT_T0_E_clISt17integral_constantIbLb1EES12_IbLb0EEEEDaSY_SZ_EUlSY_E_NS1_11comp_targetILNS1_3genE4ELNS1_11target_archE910ELNS1_3gpuE8ELNS1_3repE0EEENS1_30default_config_static_selectorELNS0_4arch9wavefront6targetE1EEEvT1_.num_named_barrier, 0
	.set _ZN7rocprim17ROCPRIM_400000_NS6detail17trampoline_kernelINS0_14default_configENS1_29reduce_by_key_config_selectorIalN6thrust23THRUST_200600_302600_NS4plusIlEEEEZZNS1_33reduce_by_key_impl_wrapped_configILNS1_25lookback_scan_determinismE0ES3_S9_PaNS6_17constant_iteratorIiNS6_11use_defaultESE_EENS6_10device_ptrIaEENSG_IlEEPmS8_NS6_8equal_toIaEEEE10hipError_tPvRmT2_T3_mT4_T5_T6_T7_T8_P12ihipStream_tbENKUlT_T0_E_clISt17integral_constantIbLb1EES12_IbLb0EEEEDaSY_SZ_EUlSY_E_NS1_11comp_targetILNS1_3genE4ELNS1_11target_archE910ELNS1_3gpuE8ELNS1_3repE0EEENS1_30default_config_static_selectorELNS0_4arch9wavefront6targetE1EEEvT1_.private_seg_size, 0
	.set _ZN7rocprim17ROCPRIM_400000_NS6detail17trampoline_kernelINS0_14default_configENS1_29reduce_by_key_config_selectorIalN6thrust23THRUST_200600_302600_NS4plusIlEEEEZZNS1_33reduce_by_key_impl_wrapped_configILNS1_25lookback_scan_determinismE0ES3_S9_PaNS6_17constant_iteratorIiNS6_11use_defaultESE_EENS6_10device_ptrIaEENSG_IlEEPmS8_NS6_8equal_toIaEEEE10hipError_tPvRmT2_T3_mT4_T5_T6_T7_T8_P12ihipStream_tbENKUlT_T0_E_clISt17integral_constantIbLb1EES12_IbLb0EEEEDaSY_SZ_EUlSY_E_NS1_11comp_targetILNS1_3genE4ELNS1_11target_archE910ELNS1_3gpuE8ELNS1_3repE0EEENS1_30default_config_static_selectorELNS0_4arch9wavefront6targetE1EEEvT1_.uses_vcc, 0
	.set _ZN7rocprim17ROCPRIM_400000_NS6detail17trampoline_kernelINS0_14default_configENS1_29reduce_by_key_config_selectorIalN6thrust23THRUST_200600_302600_NS4plusIlEEEEZZNS1_33reduce_by_key_impl_wrapped_configILNS1_25lookback_scan_determinismE0ES3_S9_PaNS6_17constant_iteratorIiNS6_11use_defaultESE_EENS6_10device_ptrIaEENSG_IlEEPmS8_NS6_8equal_toIaEEEE10hipError_tPvRmT2_T3_mT4_T5_T6_T7_T8_P12ihipStream_tbENKUlT_T0_E_clISt17integral_constantIbLb1EES12_IbLb0EEEEDaSY_SZ_EUlSY_E_NS1_11comp_targetILNS1_3genE4ELNS1_11target_archE910ELNS1_3gpuE8ELNS1_3repE0EEENS1_30default_config_static_selectorELNS0_4arch9wavefront6targetE1EEEvT1_.uses_flat_scratch, 0
	.set _ZN7rocprim17ROCPRIM_400000_NS6detail17trampoline_kernelINS0_14default_configENS1_29reduce_by_key_config_selectorIalN6thrust23THRUST_200600_302600_NS4plusIlEEEEZZNS1_33reduce_by_key_impl_wrapped_configILNS1_25lookback_scan_determinismE0ES3_S9_PaNS6_17constant_iteratorIiNS6_11use_defaultESE_EENS6_10device_ptrIaEENSG_IlEEPmS8_NS6_8equal_toIaEEEE10hipError_tPvRmT2_T3_mT4_T5_T6_T7_T8_P12ihipStream_tbENKUlT_T0_E_clISt17integral_constantIbLb1EES12_IbLb0EEEEDaSY_SZ_EUlSY_E_NS1_11comp_targetILNS1_3genE4ELNS1_11target_archE910ELNS1_3gpuE8ELNS1_3repE0EEENS1_30default_config_static_selectorELNS0_4arch9wavefront6targetE1EEEvT1_.has_dyn_sized_stack, 0
	.set _ZN7rocprim17ROCPRIM_400000_NS6detail17trampoline_kernelINS0_14default_configENS1_29reduce_by_key_config_selectorIalN6thrust23THRUST_200600_302600_NS4plusIlEEEEZZNS1_33reduce_by_key_impl_wrapped_configILNS1_25lookback_scan_determinismE0ES3_S9_PaNS6_17constant_iteratorIiNS6_11use_defaultESE_EENS6_10device_ptrIaEENSG_IlEEPmS8_NS6_8equal_toIaEEEE10hipError_tPvRmT2_T3_mT4_T5_T6_T7_T8_P12ihipStream_tbENKUlT_T0_E_clISt17integral_constantIbLb1EES12_IbLb0EEEEDaSY_SZ_EUlSY_E_NS1_11comp_targetILNS1_3genE4ELNS1_11target_archE910ELNS1_3gpuE8ELNS1_3repE0EEENS1_30default_config_static_selectorELNS0_4arch9wavefront6targetE1EEEvT1_.has_recursion, 0
	.set _ZN7rocprim17ROCPRIM_400000_NS6detail17trampoline_kernelINS0_14default_configENS1_29reduce_by_key_config_selectorIalN6thrust23THRUST_200600_302600_NS4plusIlEEEEZZNS1_33reduce_by_key_impl_wrapped_configILNS1_25lookback_scan_determinismE0ES3_S9_PaNS6_17constant_iteratorIiNS6_11use_defaultESE_EENS6_10device_ptrIaEENSG_IlEEPmS8_NS6_8equal_toIaEEEE10hipError_tPvRmT2_T3_mT4_T5_T6_T7_T8_P12ihipStream_tbENKUlT_T0_E_clISt17integral_constantIbLb1EES12_IbLb0EEEEDaSY_SZ_EUlSY_E_NS1_11comp_targetILNS1_3genE4ELNS1_11target_archE910ELNS1_3gpuE8ELNS1_3repE0EEENS1_30default_config_static_selectorELNS0_4arch9wavefront6targetE1EEEvT1_.has_indirect_call, 0
	.section	.AMDGPU.csdata,"",@progbits
; Kernel info:
; codeLenInByte = 0
; TotalNumSgprs: 4
; NumVgprs: 0
; ScratchSize: 0
; MemoryBound: 0
; FloatMode: 240
; IeeeMode: 1
; LDSByteSize: 0 bytes/workgroup (compile time only)
; SGPRBlocks: 0
; VGPRBlocks: 0
; NumSGPRsForWavesPerEU: 4
; NumVGPRsForWavesPerEU: 1
; Occupancy: 10
; WaveLimiterHint : 0
; COMPUTE_PGM_RSRC2:SCRATCH_EN: 0
; COMPUTE_PGM_RSRC2:USER_SGPR: 6
; COMPUTE_PGM_RSRC2:TRAP_HANDLER: 0
; COMPUTE_PGM_RSRC2:TGID_X_EN: 1
; COMPUTE_PGM_RSRC2:TGID_Y_EN: 0
; COMPUTE_PGM_RSRC2:TGID_Z_EN: 0
; COMPUTE_PGM_RSRC2:TIDIG_COMP_CNT: 0
	.section	.text._ZN7rocprim17ROCPRIM_400000_NS6detail17trampoline_kernelINS0_14default_configENS1_29reduce_by_key_config_selectorIalN6thrust23THRUST_200600_302600_NS4plusIlEEEEZZNS1_33reduce_by_key_impl_wrapped_configILNS1_25lookback_scan_determinismE0ES3_S9_PaNS6_17constant_iteratorIiNS6_11use_defaultESE_EENS6_10device_ptrIaEENSG_IlEEPmS8_NS6_8equal_toIaEEEE10hipError_tPvRmT2_T3_mT4_T5_T6_T7_T8_P12ihipStream_tbENKUlT_T0_E_clISt17integral_constantIbLb1EES12_IbLb0EEEEDaSY_SZ_EUlSY_E_NS1_11comp_targetILNS1_3genE3ELNS1_11target_archE908ELNS1_3gpuE7ELNS1_3repE0EEENS1_30default_config_static_selectorELNS0_4arch9wavefront6targetE1EEEvT1_,"axG",@progbits,_ZN7rocprim17ROCPRIM_400000_NS6detail17trampoline_kernelINS0_14default_configENS1_29reduce_by_key_config_selectorIalN6thrust23THRUST_200600_302600_NS4plusIlEEEEZZNS1_33reduce_by_key_impl_wrapped_configILNS1_25lookback_scan_determinismE0ES3_S9_PaNS6_17constant_iteratorIiNS6_11use_defaultESE_EENS6_10device_ptrIaEENSG_IlEEPmS8_NS6_8equal_toIaEEEE10hipError_tPvRmT2_T3_mT4_T5_T6_T7_T8_P12ihipStream_tbENKUlT_T0_E_clISt17integral_constantIbLb1EES12_IbLb0EEEEDaSY_SZ_EUlSY_E_NS1_11comp_targetILNS1_3genE3ELNS1_11target_archE908ELNS1_3gpuE7ELNS1_3repE0EEENS1_30default_config_static_selectorELNS0_4arch9wavefront6targetE1EEEvT1_,comdat
	.protected	_ZN7rocprim17ROCPRIM_400000_NS6detail17trampoline_kernelINS0_14default_configENS1_29reduce_by_key_config_selectorIalN6thrust23THRUST_200600_302600_NS4plusIlEEEEZZNS1_33reduce_by_key_impl_wrapped_configILNS1_25lookback_scan_determinismE0ES3_S9_PaNS6_17constant_iteratorIiNS6_11use_defaultESE_EENS6_10device_ptrIaEENSG_IlEEPmS8_NS6_8equal_toIaEEEE10hipError_tPvRmT2_T3_mT4_T5_T6_T7_T8_P12ihipStream_tbENKUlT_T0_E_clISt17integral_constantIbLb1EES12_IbLb0EEEEDaSY_SZ_EUlSY_E_NS1_11comp_targetILNS1_3genE3ELNS1_11target_archE908ELNS1_3gpuE7ELNS1_3repE0EEENS1_30default_config_static_selectorELNS0_4arch9wavefront6targetE1EEEvT1_ ; -- Begin function _ZN7rocprim17ROCPRIM_400000_NS6detail17trampoline_kernelINS0_14default_configENS1_29reduce_by_key_config_selectorIalN6thrust23THRUST_200600_302600_NS4plusIlEEEEZZNS1_33reduce_by_key_impl_wrapped_configILNS1_25lookback_scan_determinismE0ES3_S9_PaNS6_17constant_iteratorIiNS6_11use_defaultESE_EENS6_10device_ptrIaEENSG_IlEEPmS8_NS6_8equal_toIaEEEE10hipError_tPvRmT2_T3_mT4_T5_T6_T7_T8_P12ihipStream_tbENKUlT_T0_E_clISt17integral_constantIbLb1EES12_IbLb0EEEEDaSY_SZ_EUlSY_E_NS1_11comp_targetILNS1_3genE3ELNS1_11target_archE908ELNS1_3gpuE7ELNS1_3repE0EEENS1_30default_config_static_selectorELNS0_4arch9wavefront6targetE1EEEvT1_
	.globl	_ZN7rocprim17ROCPRIM_400000_NS6detail17trampoline_kernelINS0_14default_configENS1_29reduce_by_key_config_selectorIalN6thrust23THRUST_200600_302600_NS4plusIlEEEEZZNS1_33reduce_by_key_impl_wrapped_configILNS1_25lookback_scan_determinismE0ES3_S9_PaNS6_17constant_iteratorIiNS6_11use_defaultESE_EENS6_10device_ptrIaEENSG_IlEEPmS8_NS6_8equal_toIaEEEE10hipError_tPvRmT2_T3_mT4_T5_T6_T7_T8_P12ihipStream_tbENKUlT_T0_E_clISt17integral_constantIbLb1EES12_IbLb0EEEEDaSY_SZ_EUlSY_E_NS1_11comp_targetILNS1_3genE3ELNS1_11target_archE908ELNS1_3gpuE7ELNS1_3repE0EEENS1_30default_config_static_selectorELNS0_4arch9wavefront6targetE1EEEvT1_
	.p2align	8
	.type	_ZN7rocprim17ROCPRIM_400000_NS6detail17trampoline_kernelINS0_14default_configENS1_29reduce_by_key_config_selectorIalN6thrust23THRUST_200600_302600_NS4plusIlEEEEZZNS1_33reduce_by_key_impl_wrapped_configILNS1_25lookback_scan_determinismE0ES3_S9_PaNS6_17constant_iteratorIiNS6_11use_defaultESE_EENS6_10device_ptrIaEENSG_IlEEPmS8_NS6_8equal_toIaEEEE10hipError_tPvRmT2_T3_mT4_T5_T6_T7_T8_P12ihipStream_tbENKUlT_T0_E_clISt17integral_constantIbLb1EES12_IbLb0EEEEDaSY_SZ_EUlSY_E_NS1_11comp_targetILNS1_3genE3ELNS1_11target_archE908ELNS1_3gpuE7ELNS1_3repE0EEENS1_30default_config_static_selectorELNS0_4arch9wavefront6targetE1EEEvT1_,@function
_ZN7rocprim17ROCPRIM_400000_NS6detail17trampoline_kernelINS0_14default_configENS1_29reduce_by_key_config_selectorIalN6thrust23THRUST_200600_302600_NS4plusIlEEEEZZNS1_33reduce_by_key_impl_wrapped_configILNS1_25lookback_scan_determinismE0ES3_S9_PaNS6_17constant_iteratorIiNS6_11use_defaultESE_EENS6_10device_ptrIaEENSG_IlEEPmS8_NS6_8equal_toIaEEEE10hipError_tPvRmT2_T3_mT4_T5_T6_T7_T8_P12ihipStream_tbENKUlT_T0_E_clISt17integral_constantIbLb1EES12_IbLb0EEEEDaSY_SZ_EUlSY_E_NS1_11comp_targetILNS1_3genE3ELNS1_11target_archE908ELNS1_3gpuE7ELNS1_3repE0EEENS1_30default_config_static_selectorELNS0_4arch9wavefront6targetE1EEEvT1_: ; @_ZN7rocprim17ROCPRIM_400000_NS6detail17trampoline_kernelINS0_14default_configENS1_29reduce_by_key_config_selectorIalN6thrust23THRUST_200600_302600_NS4plusIlEEEEZZNS1_33reduce_by_key_impl_wrapped_configILNS1_25lookback_scan_determinismE0ES3_S9_PaNS6_17constant_iteratorIiNS6_11use_defaultESE_EENS6_10device_ptrIaEENSG_IlEEPmS8_NS6_8equal_toIaEEEE10hipError_tPvRmT2_T3_mT4_T5_T6_T7_T8_P12ihipStream_tbENKUlT_T0_E_clISt17integral_constantIbLb1EES12_IbLb0EEEEDaSY_SZ_EUlSY_E_NS1_11comp_targetILNS1_3genE3ELNS1_11target_archE908ELNS1_3gpuE7ELNS1_3repE0EEENS1_30default_config_static_selectorELNS0_4arch9wavefront6targetE1EEEvT1_
; %bb.0:
	.section	.rodata,"a",@progbits
	.p2align	6, 0x0
	.amdhsa_kernel _ZN7rocprim17ROCPRIM_400000_NS6detail17trampoline_kernelINS0_14default_configENS1_29reduce_by_key_config_selectorIalN6thrust23THRUST_200600_302600_NS4plusIlEEEEZZNS1_33reduce_by_key_impl_wrapped_configILNS1_25lookback_scan_determinismE0ES3_S9_PaNS6_17constant_iteratorIiNS6_11use_defaultESE_EENS6_10device_ptrIaEENSG_IlEEPmS8_NS6_8equal_toIaEEEE10hipError_tPvRmT2_T3_mT4_T5_T6_T7_T8_P12ihipStream_tbENKUlT_T0_E_clISt17integral_constantIbLb1EES12_IbLb0EEEEDaSY_SZ_EUlSY_E_NS1_11comp_targetILNS1_3genE3ELNS1_11target_archE908ELNS1_3gpuE7ELNS1_3repE0EEENS1_30default_config_static_selectorELNS0_4arch9wavefront6targetE1EEEvT1_
		.amdhsa_group_segment_fixed_size 0
		.amdhsa_private_segment_fixed_size 0
		.amdhsa_kernarg_size 144
		.amdhsa_user_sgpr_count 6
		.amdhsa_user_sgpr_private_segment_buffer 1
		.amdhsa_user_sgpr_dispatch_ptr 0
		.amdhsa_user_sgpr_queue_ptr 0
		.amdhsa_user_sgpr_kernarg_segment_ptr 1
		.amdhsa_user_sgpr_dispatch_id 0
		.amdhsa_user_sgpr_flat_scratch_init 0
		.amdhsa_user_sgpr_private_segment_size 0
		.amdhsa_uses_dynamic_stack 0
		.amdhsa_system_sgpr_private_segment_wavefront_offset 0
		.amdhsa_system_sgpr_workgroup_id_x 1
		.amdhsa_system_sgpr_workgroup_id_y 0
		.amdhsa_system_sgpr_workgroup_id_z 0
		.amdhsa_system_sgpr_workgroup_info 0
		.amdhsa_system_vgpr_workitem_id 0
		.amdhsa_next_free_vgpr 1
		.amdhsa_next_free_sgpr 0
		.amdhsa_reserve_vcc 0
		.amdhsa_reserve_flat_scratch 0
		.amdhsa_float_round_mode_32 0
		.amdhsa_float_round_mode_16_64 0
		.amdhsa_float_denorm_mode_32 3
		.amdhsa_float_denorm_mode_16_64 3
		.amdhsa_dx10_clamp 1
		.amdhsa_ieee_mode 1
		.amdhsa_fp16_overflow 0
		.amdhsa_exception_fp_ieee_invalid_op 0
		.amdhsa_exception_fp_denorm_src 0
		.amdhsa_exception_fp_ieee_div_zero 0
		.amdhsa_exception_fp_ieee_overflow 0
		.amdhsa_exception_fp_ieee_underflow 0
		.amdhsa_exception_fp_ieee_inexact 0
		.amdhsa_exception_int_div_zero 0
	.end_amdhsa_kernel
	.section	.text._ZN7rocprim17ROCPRIM_400000_NS6detail17trampoline_kernelINS0_14default_configENS1_29reduce_by_key_config_selectorIalN6thrust23THRUST_200600_302600_NS4plusIlEEEEZZNS1_33reduce_by_key_impl_wrapped_configILNS1_25lookback_scan_determinismE0ES3_S9_PaNS6_17constant_iteratorIiNS6_11use_defaultESE_EENS6_10device_ptrIaEENSG_IlEEPmS8_NS6_8equal_toIaEEEE10hipError_tPvRmT2_T3_mT4_T5_T6_T7_T8_P12ihipStream_tbENKUlT_T0_E_clISt17integral_constantIbLb1EES12_IbLb0EEEEDaSY_SZ_EUlSY_E_NS1_11comp_targetILNS1_3genE3ELNS1_11target_archE908ELNS1_3gpuE7ELNS1_3repE0EEENS1_30default_config_static_selectorELNS0_4arch9wavefront6targetE1EEEvT1_,"axG",@progbits,_ZN7rocprim17ROCPRIM_400000_NS6detail17trampoline_kernelINS0_14default_configENS1_29reduce_by_key_config_selectorIalN6thrust23THRUST_200600_302600_NS4plusIlEEEEZZNS1_33reduce_by_key_impl_wrapped_configILNS1_25lookback_scan_determinismE0ES3_S9_PaNS6_17constant_iteratorIiNS6_11use_defaultESE_EENS6_10device_ptrIaEENSG_IlEEPmS8_NS6_8equal_toIaEEEE10hipError_tPvRmT2_T3_mT4_T5_T6_T7_T8_P12ihipStream_tbENKUlT_T0_E_clISt17integral_constantIbLb1EES12_IbLb0EEEEDaSY_SZ_EUlSY_E_NS1_11comp_targetILNS1_3genE3ELNS1_11target_archE908ELNS1_3gpuE7ELNS1_3repE0EEENS1_30default_config_static_selectorELNS0_4arch9wavefront6targetE1EEEvT1_,comdat
.Lfunc_end693:
	.size	_ZN7rocprim17ROCPRIM_400000_NS6detail17trampoline_kernelINS0_14default_configENS1_29reduce_by_key_config_selectorIalN6thrust23THRUST_200600_302600_NS4plusIlEEEEZZNS1_33reduce_by_key_impl_wrapped_configILNS1_25lookback_scan_determinismE0ES3_S9_PaNS6_17constant_iteratorIiNS6_11use_defaultESE_EENS6_10device_ptrIaEENSG_IlEEPmS8_NS6_8equal_toIaEEEE10hipError_tPvRmT2_T3_mT4_T5_T6_T7_T8_P12ihipStream_tbENKUlT_T0_E_clISt17integral_constantIbLb1EES12_IbLb0EEEEDaSY_SZ_EUlSY_E_NS1_11comp_targetILNS1_3genE3ELNS1_11target_archE908ELNS1_3gpuE7ELNS1_3repE0EEENS1_30default_config_static_selectorELNS0_4arch9wavefront6targetE1EEEvT1_, .Lfunc_end693-_ZN7rocprim17ROCPRIM_400000_NS6detail17trampoline_kernelINS0_14default_configENS1_29reduce_by_key_config_selectorIalN6thrust23THRUST_200600_302600_NS4plusIlEEEEZZNS1_33reduce_by_key_impl_wrapped_configILNS1_25lookback_scan_determinismE0ES3_S9_PaNS6_17constant_iteratorIiNS6_11use_defaultESE_EENS6_10device_ptrIaEENSG_IlEEPmS8_NS6_8equal_toIaEEEE10hipError_tPvRmT2_T3_mT4_T5_T6_T7_T8_P12ihipStream_tbENKUlT_T0_E_clISt17integral_constantIbLb1EES12_IbLb0EEEEDaSY_SZ_EUlSY_E_NS1_11comp_targetILNS1_3genE3ELNS1_11target_archE908ELNS1_3gpuE7ELNS1_3repE0EEENS1_30default_config_static_selectorELNS0_4arch9wavefront6targetE1EEEvT1_
                                        ; -- End function
	.set _ZN7rocprim17ROCPRIM_400000_NS6detail17trampoline_kernelINS0_14default_configENS1_29reduce_by_key_config_selectorIalN6thrust23THRUST_200600_302600_NS4plusIlEEEEZZNS1_33reduce_by_key_impl_wrapped_configILNS1_25lookback_scan_determinismE0ES3_S9_PaNS6_17constant_iteratorIiNS6_11use_defaultESE_EENS6_10device_ptrIaEENSG_IlEEPmS8_NS6_8equal_toIaEEEE10hipError_tPvRmT2_T3_mT4_T5_T6_T7_T8_P12ihipStream_tbENKUlT_T0_E_clISt17integral_constantIbLb1EES12_IbLb0EEEEDaSY_SZ_EUlSY_E_NS1_11comp_targetILNS1_3genE3ELNS1_11target_archE908ELNS1_3gpuE7ELNS1_3repE0EEENS1_30default_config_static_selectorELNS0_4arch9wavefront6targetE1EEEvT1_.num_vgpr, 0
	.set _ZN7rocprim17ROCPRIM_400000_NS6detail17trampoline_kernelINS0_14default_configENS1_29reduce_by_key_config_selectorIalN6thrust23THRUST_200600_302600_NS4plusIlEEEEZZNS1_33reduce_by_key_impl_wrapped_configILNS1_25lookback_scan_determinismE0ES3_S9_PaNS6_17constant_iteratorIiNS6_11use_defaultESE_EENS6_10device_ptrIaEENSG_IlEEPmS8_NS6_8equal_toIaEEEE10hipError_tPvRmT2_T3_mT4_T5_T6_T7_T8_P12ihipStream_tbENKUlT_T0_E_clISt17integral_constantIbLb1EES12_IbLb0EEEEDaSY_SZ_EUlSY_E_NS1_11comp_targetILNS1_3genE3ELNS1_11target_archE908ELNS1_3gpuE7ELNS1_3repE0EEENS1_30default_config_static_selectorELNS0_4arch9wavefront6targetE1EEEvT1_.num_agpr, 0
	.set _ZN7rocprim17ROCPRIM_400000_NS6detail17trampoline_kernelINS0_14default_configENS1_29reduce_by_key_config_selectorIalN6thrust23THRUST_200600_302600_NS4plusIlEEEEZZNS1_33reduce_by_key_impl_wrapped_configILNS1_25lookback_scan_determinismE0ES3_S9_PaNS6_17constant_iteratorIiNS6_11use_defaultESE_EENS6_10device_ptrIaEENSG_IlEEPmS8_NS6_8equal_toIaEEEE10hipError_tPvRmT2_T3_mT4_T5_T6_T7_T8_P12ihipStream_tbENKUlT_T0_E_clISt17integral_constantIbLb1EES12_IbLb0EEEEDaSY_SZ_EUlSY_E_NS1_11comp_targetILNS1_3genE3ELNS1_11target_archE908ELNS1_3gpuE7ELNS1_3repE0EEENS1_30default_config_static_selectorELNS0_4arch9wavefront6targetE1EEEvT1_.numbered_sgpr, 0
	.set _ZN7rocprim17ROCPRIM_400000_NS6detail17trampoline_kernelINS0_14default_configENS1_29reduce_by_key_config_selectorIalN6thrust23THRUST_200600_302600_NS4plusIlEEEEZZNS1_33reduce_by_key_impl_wrapped_configILNS1_25lookback_scan_determinismE0ES3_S9_PaNS6_17constant_iteratorIiNS6_11use_defaultESE_EENS6_10device_ptrIaEENSG_IlEEPmS8_NS6_8equal_toIaEEEE10hipError_tPvRmT2_T3_mT4_T5_T6_T7_T8_P12ihipStream_tbENKUlT_T0_E_clISt17integral_constantIbLb1EES12_IbLb0EEEEDaSY_SZ_EUlSY_E_NS1_11comp_targetILNS1_3genE3ELNS1_11target_archE908ELNS1_3gpuE7ELNS1_3repE0EEENS1_30default_config_static_selectorELNS0_4arch9wavefront6targetE1EEEvT1_.num_named_barrier, 0
	.set _ZN7rocprim17ROCPRIM_400000_NS6detail17trampoline_kernelINS0_14default_configENS1_29reduce_by_key_config_selectorIalN6thrust23THRUST_200600_302600_NS4plusIlEEEEZZNS1_33reduce_by_key_impl_wrapped_configILNS1_25lookback_scan_determinismE0ES3_S9_PaNS6_17constant_iteratorIiNS6_11use_defaultESE_EENS6_10device_ptrIaEENSG_IlEEPmS8_NS6_8equal_toIaEEEE10hipError_tPvRmT2_T3_mT4_T5_T6_T7_T8_P12ihipStream_tbENKUlT_T0_E_clISt17integral_constantIbLb1EES12_IbLb0EEEEDaSY_SZ_EUlSY_E_NS1_11comp_targetILNS1_3genE3ELNS1_11target_archE908ELNS1_3gpuE7ELNS1_3repE0EEENS1_30default_config_static_selectorELNS0_4arch9wavefront6targetE1EEEvT1_.private_seg_size, 0
	.set _ZN7rocprim17ROCPRIM_400000_NS6detail17trampoline_kernelINS0_14default_configENS1_29reduce_by_key_config_selectorIalN6thrust23THRUST_200600_302600_NS4plusIlEEEEZZNS1_33reduce_by_key_impl_wrapped_configILNS1_25lookback_scan_determinismE0ES3_S9_PaNS6_17constant_iteratorIiNS6_11use_defaultESE_EENS6_10device_ptrIaEENSG_IlEEPmS8_NS6_8equal_toIaEEEE10hipError_tPvRmT2_T3_mT4_T5_T6_T7_T8_P12ihipStream_tbENKUlT_T0_E_clISt17integral_constantIbLb1EES12_IbLb0EEEEDaSY_SZ_EUlSY_E_NS1_11comp_targetILNS1_3genE3ELNS1_11target_archE908ELNS1_3gpuE7ELNS1_3repE0EEENS1_30default_config_static_selectorELNS0_4arch9wavefront6targetE1EEEvT1_.uses_vcc, 0
	.set _ZN7rocprim17ROCPRIM_400000_NS6detail17trampoline_kernelINS0_14default_configENS1_29reduce_by_key_config_selectorIalN6thrust23THRUST_200600_302600_NS4plusIlEEEEZZNS1_33reduce_by_key_impl_wrapped_configILNS1_25lookback_scan_determinismE0ES3_S9_PaNS6_17constant_iteratorIiNS6_11use_defaultESE_EENS6_10device_ptrIaEENSG_IlEEPmS8_NS6_8equal_toIaEEEE10hipError_tPvRmT2_T3_mT4_T5_T6_T7_T8_P12ihipStream_tbENKUlT_T0_E_clISt17integral_constantIbLb1EES12_IbLb0EEEEDaSY_SZ_EUlSY_E_NS1_11comp_targetILNS1_3genE3ELNS1_11target_archE908ELNS1_3gpuE7ELNS1_3repE0EEENS1_30default_config_static_selectorELNS0_4arch9wavefront6targetE1EEEvT1_.uses_flat_scratch, 0
	.set _ZN7rocprim17ROCPRIM_400000_NS6detail17trampoline_kernelINS0_14default_configENS1_29reduce_by_key_config_selectorIalN6thrust23THRUST_200600_302600_NS4plusIlEEEEZZNS1_33reduce_by_key_impl_wrapped_configILNS1_25lookback_scan_determinismE0ES3_S9_PaNS6_17constant_iteratorIiNS6_11use_defaultESE_EENS6_10device_ptrIaEENSG_IlEEPmS8_NS6_8equal_toIaEEEE10hipError_tPvRmT2_T3_mT4_T5_T6_T7_T8_P12ihipStream_tbENKUlT_T0_E_clISt17integral_constantIbLb1EES12_IbLb0EEEEDaSY_SZ_EUlSY_E_NS1_11comp_targetILNS1_3genE3ELNS1_11target_archE908ELNS1_3gpuE7ELNS1_3repE0EEENS1_30default_config_static_selectorELNS0_4arch9wavefront6targetE1EEEvT1_.has_dyn_sized_stack, 0
	.set _ZN7rocprim17ROCPRIM_400000_NS6detail17trampoline_kernelINS0_14default_configENS1_29reduce_by_key_config_selectorIalN6thrust23THRUST_200600_302600_NS4plusIlEEEEZZNS1_33reduce_by_key_impl_wrapped_configILNS1_25lookback_scan_determinismE0ES3_S9_PaNS6_17constant_iteratorIiNS6_11use_defaultESE_EENS6_10device_ptrIaEENSG_IlEEPmS8_NS6_8equal_toIaEEEE10hipError_tPvRmT2_T3_mT4_T5_T6_T7_T8_P12ihipStream_tbENKUlT_T0_E_clISt17integral_constantIbLb1EES12_IbLb0EEEEDaSY_SZ_EUlSY_E_NS1_11comp_targetILNS1_3genE3ELNS1_11target_archE908ELNS1_3gpuE7ELNS1_3repE0EEENS1_30default_config_static_selectorELNS0_4arch9wavefront6targetE1EEEvT1_.has_recursion, 0
	.set _ZN7rocprim17ROCPRIM_400000_NS6detail17trampoline_kernelINS0_14default_configENS1_29reduce_by_key_config_selectorIalN6thrust23THRUST_200600_302600_NS4plusIlEEEEZZNS1_33reduce_by_key_impl_wrapped_configILNS1_25lookback_scan_determinismE0ES3_S9_PaNS6_17constant_iteratorIiNS6_11use_defaultESE_EENS6_10device_ptrIaEENSG_IlEEPmS8_NS6_8equal_toIaEEEE10hipError_tPvRmT2_T3_mT4_T5_T6_T7_T8_P12ihipStream_tbENKUlT_T0_E_clISt17integral_constantIbLb1EES12_IbLb0EEEEDaSY_SZ_EUlSY_E_NS1_11comp_targetILNS1_3genE3ELNS1_11target_archE908ELNS1_3gpuE7ELNS1_3repE0EEENS1_30default_config_static_selectorELNS0_4arch9wavefront6targetE1EEEvT1_.has_indirect_call, 0
	.section	.AMDGPU.csdata,"",@progbits
; Kernel info:
; codeLenInByte = 0
; TotalNumSgprs: 4
; NumVgprs: 0
; ScratchSize: 0
; MemoryBound: 0
; FloatMode: 240
; IeeeMode: 1
; LDSByteSize: 0 bytes/workgroup (compile time only)
; SGPRBlocks: 0
; VGPRBlocks: 0
; NumSGPRsForWavesPerEU: 4
; NumVGPRsForWavesPerEU: 1
; Occupancy: 10
; WaveLimiterHint : 0
; COMPUTE_PGM_RSRC2:SCRATCH_EN: 0
; COMPUTE_PGM_RSRC2:USER_SGPR: 6
; COMPUTE_PGM_RSRC2:TRAP_HANDLER: 0
; COMPUTE_PGM_RSRC2:TGID_X_EN: 1
; COMPUTE_PGM_RSRC2:TGID_Y_EN: 0
; COMPUTE_PGM_RSRC2:TGID_Z_EN: 0
; COMPUTE_PGM_RSRC2:TIDIG_COMP_CNT: 0
	.section	.text._ZN7rocprim17ROCPRIM_400000_NS6detail17trampoline_kernelINS0_14default_configENS1_29reduce_by_key_config_selectorIalN6thrust23THRUST_200600_302600_NS4plusIlEEEEZZNS1_33reduce_by_key_impl_wrapped_configILNS1_25lookback_scan_determinismE0ES3_S9_PaNS6_17constant_iteratorIiNS6_11use_defaultESE_EENS6_10device_ptrIaEENSG_IlEEPmS8_NS6_8equal_toIaEEEE10hipError_tPvRmT2_T3_mT4_T5_T6_T7_T8_P12ihipStream_tbENKUlT_T0_E_clISt17integral_constantIbLb1EES12_IbLb0EEEEDaSY_SZ_EUlSY_E_NS1_11comp_targetILNS1_3genE2ELNS1_11target_archE906ELNS1_3gpuE6ELNS1_3repE0EEENS1_30default_config_static_selectorELNS0_4arch9wavefront6targetE1EEEvT1_,"axG",@progbits,_ZN7rocprim17ROCPRIM_400000_NS6detail17trampoline_kernelINS0_14default_configENS1_29reduce_by_key_config_selectorIalN6thrust23THRUST_200600_302600_NS4plusIlEEEEZZNS1_33reduce_by_key_impl_wrapped_configILNS1_25lookback_scan_determinismE0ES3_S9_PaNS6_17constant_iteratorIiNS6_11use_defaultESE_EENS6_10device_ptrIaEENSG_IlEEPmS8_NS6_8equal_toIaEEEE10hipError_tPvRmT2_T3_mT4_T5_T6_T7_T8_P12ihipStream_tbENKUlT_T0_E_clISt17integral_constantIbLb1EES12_IbLb0EEEEDaSY_SZ_EUlSY_E_NS1_11comp_targetILNS1_3genE2ELNS1_11target_archE906ELNS1_3gpuE6ELNS1_3repE0EEENS1_30default_config_static_selectorELNS0_4arch9wavefront6targetE1EEEvT1_,comdat
	.protected	_ZN7rocprim17ROCPRIM_400000_NS6detail17trampoline_kernelINS0_14default_configENS1_29reduce_by_key_config_selectorIalN6thrust23THRUST_200600_302600_NS4plusIlEEEEZZNS1_33reduce_by_key_impl_wrapped_configILNS1_25lookback_scan_determinismE0ES3_S9_PaNS6_17constant_iteratorIiNS6_11use_defaultESE_EENS6_10device_ptrIaEENSG_IlEEPmS8_NS6_8equal_toIaEEEE10hipError_tPvRmT2_T3_mT4_T5_T6_T7_T8_P12ihipStream_tbENKUlT_T0_E_clISt17integral_constantIbLb1EES12_IbLb0EEEEDaSY_SZ_EUlSY_E_NS1_11comp_targetILNS1_3genE2ELNS1_11target_archE906ELNS1_3gpuE6ELNS1_3repE0EEENS1_30default_config_static_selectorELNS0_4arch9wavefront6targetE1EEEvT1_ ; -- Begin function _ZN7rocprim17ROCPRIM_400000_NS6detail17trampoline_kernelINS0_14default_configENS1_29reduce_by_key_config_selectorIalN6thrust23THRUST_200600_302600_NS4plusIlEEEEZZNS1_33reduce_by_key_impl_wrapped_configILNS1_25lookback_scan_determinismE0ES3_S9_PaNS6_17constant_iteratorIiNS6_11use_defaultESE_EENS6_10device_ptrIaEENSG_IlEEPmS8_NS6_8equal_toIaEEEE10hipError_tPvRmT2_T3_mT4_T5_T6_T7_T8_P12ihipStream_tbENKUlT_T0_E_clISt17integral_constantIbLb1EES12_IbLb0EEEEDaSY_SZ_EUlSY_E_NS1_11comp_targetILNS1_3genE2ELNS1_11target_archE906ELNS1_3gpuE6ELNS1_3repE0EEENS1_30default_config_static_selectorELNS0_4arch9wavefront6targetE1EEEvT1_
	.globl	_ZN7rocprim17ROCPRIM_400000_NS6detail17trampoline_kernelINS0_14default_configENS1_29reduce_by_key_config_selectorIalN6thrust23THRUST_200600_302600_NS4plusIlEEEEZZNS1_33reduce_by_key_impl_wrapped_configILNS1_25lookback_scan_determinismE0ES3_S9_PaNS6_17constant_iteratorIiNS6_11use_defaultESE_EENS6_10device_ptrIaEENSG_IlEEPmS8_NS6_8equal_toIaEEEE10hipError_tPvRmT2_T3_mT4_T5_T6_T7_T8_P12ihipStream_tbENKUlT_T0_E_clISt17integral_constantIbLb1EES12_IbLb0EEEEDaSY_SZ_EUlSY_E_NS1_11comp_targetILNS1_3genE2ELNS1_11target_archE906ELNS1_3gpuE6ELNS1_3repE0EEENS1_30default_config_static_selectorELNS0_4arch9wavefront6targetE1EEEvT1_
	.p2align	8
	.type	_ZN7rocprim17ROCPRIM_400000_NS6detail17trampoline_kernelINS0_14default_configENS1_29reduce_by_key_config_selectorIalN6thrust23THRUST_200600_302600_NS4plusIlEEEEZZNS1_33reduce_by_key_impl_wrapped_configILNS1_25lookback_scan_determinismE0ES3_S9_PaNS6_17constant_iteratorIiNS6_11use_defaultESE_EENS6_10device_ptrIaEENSG_IlEEPmS8_NS6_8equal_toIaEEEE10hipError_tPvRmT2_T3_mT4_T5_T6_T7_T8_P12ihipStream_tbENKUlT_T0_E_clISt17integral_constantIbLb1EES12_IbLb0EEEEDaSY_SZ_EUlSY_E_NS1_11comp_targetILNS1_3genE2ELNS1_11target_archE906ELNS1_3gpuE6ELNS1_3repE0EEENS1_30default_config_static_selectorELNS0_4arch9wavefront6targetE1EEEvT1_,@function
_ZN7rocprim17ROCPRIM_400000_NS6detail17trampoline_kernelINS0_14default_configENS1_29reduce_by_key_config_selectorIalN6thrust23THRUST_200600_302600_NS4plusIlEEEEZZNS1_33reduce_by_key_impl_wrapped_configILNS1_25lookback_scan_determinismE0ES3_S9_PaNS6_17constant_iteratorIiNS6_11use_defaultESE_EENS6_10device_ptrIaEENSG_IlEEPmS8_NS6_8equal_toIaEEEE10hipError_tPvRmT2_T3_mT4_T5_T6_T7_T8_P12ihipStream_tbENKUlT_T0_E_clISt17integral_constantIbLb1EES12_IbLb0EEEEDaSY_SZ_EUlSY_E_NS1_11comp_targetILNS1_3genE2ELNS1_11target_archE906ELNS1_3gpuE6ELNS1_3repE0EEENS1_30default_config_static_selectorELNS0_4arch9wavefront6targetE1EEEvT1_: ; @_ZN7rocprim17ROCPRIM_400000_NS6detail17trampoline_kernelINS0_14default_configENS1_29reduce_by_key_config_selectorIalN6thrust23THRUST_200600_302600_NS4plusIlEEEEZZNS1_33reduce_by_key_impl_wrapped_configILNS1_25lookback_scan_determinismE0ES3_S9_PaNS6_17constant_iteratorIiNS6_11use_defaultESE_EENS6_10device_ptrIaEENSG_IlEEPmS8_NS6_8equal_toIaEEEE10hipError_tPvRmT2_T3_mT4_T5_T6_T7_T8_P12ihipStream_tbENKUlT_T0_E_clISt17integral_constantIbLb1EES12_IbLb0EEEEDaSY_SZ_EUlSY_E_NS1_11comp_targetILNS1_3genE2ELNS1_11target_archE906ELNS1_3gpuE6ELNS1_3repE0EEENS1_30default_config_static_selectorELNS0_4arch9wavefront6targetE1EEEvT1_
; %bb.0:
	s_endpgm
	.section	.rodata,"a",@progbits
	.p2align	6, 0x0
	.amdhsa_kernel _ZN7rocprim17ROCPRIM_400000_NS6detail17trampoline_kernelINS0_14default_configENS1_29reduce_by_key_config_selectorIalN6thrust23THRUST_200600_302600_NS4plusIlEEEEZZNS1_33reduce_by_key_impl_wrapped_configILNS1_25lookback_scan_determinismE0ES3_S9_PaNS6_17constant_iteratorIiNS6_11use_defaultESE_EENS6_10device_ptrIaEENSG_IlEEPmS8_NS6_8equal_toIaEEEE10hipError_tPvRmT2_T3_mT4_T5_T6_T7_T8_P12ihipStream_tbENKUlT_T0_E_clISt17integral_constantIbLb1EES12_IbLb0EEEEDaSY_SZ_EUlSY_E_NS1_11comp_targetILNS1_3genE2ELNS1_11target_archE906ELNS1_3gpuE6ELNS1_3repE0EEENS1_30default_config_static_selectorELNS0_4arch9wavefront6targetE1EEEvT1_
		.amdhsa_group_segment_fixed_size 0
		.amdhsa_private_segment_fixed_size 0
		.amdhsa_kernarg_size 144
		.amdhsa_user_sgpr_count 6
		.amdhsa_user_sgpr_private_segment_buffer 1
		.amdhsa_user_sgpr_dispatch_ptr 0
		.amdhsa_user_sgpr_queue_ptr 0
		.amdhsa_user_sgpr_kernarg_segment_ptr 1
		.amdhsa_user_sgpr_dispatch_id 0
		.amdhsa_user_sgpr_flat_scratch_init 0
		.amdhsa_user_sgpr_private_segment_size 0
		.amdhsa_uses_dynamic_stack 0
		.amdhsa_system_sgpr_private_segment_wavefront_offset 0
		.amdhsa_system_sgpr_workgroup_id_x 1
		.amdhsa_system_sgpr_workgroup_id_y 0
		.amdhsa_system_sgpr_workgroup_id_z 0
		.amdhsa_system_sgpr_workgroup_info 0
		.amdhsa_system_vgpr_workitem_id 0
		.amdhsa_next_free_vgpr 1
		.amdhsa_next_free_sgpr 0
		.amdhsa_reserve_vcc 0
		.amdhsa_reserve_flat_scratch 0
		.amdhsa_float_round_mode_32 0
		.amdhsa_float_round_mode_16_64 0
		.amdhsa_float_denorm_mode_32 3
		.amdhsa_float_denorm_mode_16_64 3
		.amdhsa_dx10_clamp 1
		.amdhsa_ieee_mode 1
		.amdhsa_fp16_overflow 0
		.amdhsa_exception_fp_ieee_invalid_op 0
		.amdhsa_exception_fp_denorm_src 0
		.amdhsa_exception_fp_ieee_div_zero 0
		.amdhsa_exception_fp_ieee_overflow 0
		.amdhsa_exception_fp_ieee_underflow 0
		.amdhsa_exception_fp_ieee_inexact 0
		.amdhsa_exception_int_div_zero 0
	.end_amdhsa_kernel
	.section	.text._ZN7rocprim17ROCPRIM_400000_NS6detail17trampoline_kernelINS0_14default_configENS1_29reduce_by_key_config_selectorIalN6thrust23THRUST_200600_302600_NS4plusIlEEEEZZNS1_33reduce_by_key_impl_wrapped_configILNS1_25lookback_scan_determinismE0ES3_S9_PaNS6_17constant_iteratorIiNS6_11use_defaultESE_EENS6_10device_ptrIaEENSG_IlEEPmS8_NS6_8equal_toIaEEEE10hipError_tPvRmT2_T3_mT4_T5_T6_T7_T8_P12ihipStream_tbENKUlT_T0_E_clISt17integral_constantIbLb1EES12_IbLb0EEEEDaSY_SZ_EUlSY_E_NS1_11comp_targetILNS1_3genE2ELNS1_11target_archE906ELNS1_3gpuE6ELNS1_3repE0EEENS1_30default_config_static_selectorELNS0_4arch9wavefront6targetE1EEEvT1_,"axG",@progbits,_ZN7rocprim17ROCPRIM_400000_NS6detail17trampoline_kernelINS0_14default_configENS1_29reduce_by_key_config_selectorIalN6thrust23THRUST_200600_302600_NS4plusIlEEEEZZNS1_33reduce_by_key_impl_wrapped_configILNS1_25lookback_scan_determinismE0ES3_S9_PaNS6_17constant_iteratorIiNS6_11use_defaultESE_EENS6_10device_ptrIaEENSG_IlEEPmS8_NS6_8equal_toIaEEEE10hipError_tPvRmT2_T3_mT4_T5_T6_T7_T8_P12ihipStream_tbENKUlT_T0_E_clISt17integral_constantIbLb1EES12_IbLb0EEEEDaSY_SZ_EUlSY_E_NS1_11comp_targetILNS1_3genE2ELNS1_11target_archE906ELNS1_3gpuE6ELNS1_3repE0EEENS1_30default_config_static_selectorELNS0_4arch9wavefront6targetE1EEEvT1_,comdat
.Lfunc_end694:
	.size	_ZN7rocprim17ROCPRIM_400000_NS6detail17trampoline_kernelINS0_14default_configENS1_29reduce_by_key_config_selectorIalN6thrust23THRUST_200600_302600_NS4plusIlEEEEZZNS1_33reduce_by_key_impl_wrapped_configILNS1_25lookback_scan_determinismE0ES3_S9_PaNS6_17constant_iteratorIiNS6_11use_defaultESE_EENS6_10device_ptrIaEENSG_IlEEPmS8_NS6_8equal_toIaEEEE10hipError_tPvRmT2_T3_mT4_T5_T6_T7_T8_P12ihipStream_tbENKUlT_T0_E_clISt17integral_constantIbLb1EES12_IbLb0EEEEDaSY_SZ_EUlSY_E_NS1_11comp_targetILNS1_3genE2ELNS1_11target_archE906ELNS1_3gpuE6ELNS1_3repE0EEENS1_30default_config_static_selectorELNS0_4arch9wavefront6targetE1EEEvT1_, .Lfunc_end694-_ZN7rocprim17ROCPRIM_400000_NS6detail17trampoline_kernelINS0_14default_configENS1_29reduce_by_key_config_selectorIalN6thrust23THRUST_200600_302600_NS4plusIlEEEEZZNS1_33reduce_by_key_impl_wrapped_configILNS1_25lookback_scan_determinismE0ES3_S9_PaNS6_17constant_iteratorIiNS6_11use_defaultESE_EENS6_10device_ptrIaEENSG_IlEEPmS8_NS6_8equal_toIaEEEE10hipError_tPvRmT2_T3_mT4_T5_T6_T7_T8_P12ihipStream_tbENKUlT_T0_E_clISt17integral_constantIbLb1EES12_IbLb0EEEEDaSY_SZ_EUlSY_E_NS1_11comp_targetILNS1_3genE2ELNS1_11target_archE906ELNS1_3gpuE6ELNS1_3repE0EEENS1_30default_config_static_selectorELNS0_4arch9wavefront6targetE1EEEvT1_
                                        ; -- End function
	.set _ZN7rocprim17ROCPRIM_400000_NS6detail17trampoline_kernelINS0_14default_configENS1_29reduce_by_key_config_selectorIalN6thrust23THRUST_200600_302600_NS4plusIlEEEEZZNS1_33reduce_by_key_impl_wrapped_configILNS1_25lookback_scan_determinismE0ES3_S9_PaNS6_17constant_iteratorIiNS6_11use_defaultESE_EENS6_10device_ptrIaEENSG_IlEEPmS8_NS6_8equal_toIaEEEE10hipError_tPvRmT2_T3_mT4_T5_T6_T7_T8_P12ihipStream_tbENKUlT_T0_E_clISt17integral_constantIbLb1EES12_IbLb0EEEEDaSY_SZ_EUlSY_E_NS1_11comp_targetILNS1_3genE2ELNS1_11target_archE906ELNS1_3gpuE6ELNS1_3repE0EEENS1_30default_config_static_selectorELNS0_4arch9wavefront6targetE1EEEvT1_.num_vgpr, 0
	.set _ZN7rocprim17ROCPRIM_400000_NS6detail17trampoline_kernelINS0_14default_configENS1_29reduce_by_key_config_selectorIalN6thrust23THRUST_200600_302600_NS4plusIlEEEEZZNS1_33reduce_by_key_impl_wrapped_configILNS1_25lookback_scan_determinismE0ES3_S9_PaNS6_17constant_iteratorIiNS6_11use_defaultESE_EENS6_10device_ptrIaEENSG_IlEEPmS8_NS6_8equal_toIaEEEE10hipError_tPvRmT2_T3_mT4_T5_T6_T7_T8_P12ihipStream_tbENKUlT_T0_E_clISt17integral_constantIbLb1EES12_IbLb0EEEEDaSY_SZ_EUlSY_E_NS1_11comp_targetILNS1_3genE2ELNS1_11target_archE906ELNS1_3gpuE6ELNS1_3repE0EEENS1_30default_config_static_selectorELNS0_4arch9wavefront6targetE1EEEvT1_.num_agpr, 0
	.set _ZN7rocprim17ROCPRIM_400000_NS6detail17trampoline_kernelINS0_14default_configENS1_29reduce_by_key_config_selectorIalN6thrust23THRUST_200600_302600_NS4plusIlEEEEZZNS1_33reduce_by_key_impl_wrapped_configILNS1_25lookback_scan_determinismE0ES3_S9_PaNS6_17constant_iteratorIiNS6_11use_defaultESE_EENS6_10device_ptrIaEENSG_IlEEPmS8_NS6_8equal_toIaEEEE10hipError_tPvRmT2_T3_mT4_T5_T6_T7_T8_P12ihipStream_tbENKUlT_T0_E_clISt17integral_constantIbLb1EES12_IbLb0EEEEDaSY_SZ_EUlSY_E_NS1_11comp_targetILNS1_3genE2ELNS1_11target_archE906ELNS1_3gpuE6ELNS1_3repE0EEENS1_30default_config_static_selectorELNS0_4arch9wavefront6targetE1EEEvT1_.numbered_sgpr, 0
	.set _ZN7rocprim17ROCPRIM_400000_NS6detail17trampoline_kernelINS0_14default_configENS1_29reduce_by_key_config_selectorIalN6thrust23THRUST_200600_302600_NS4plusIlEEEEZZNS1_33reduce_by_key_impl_wrapped_configILNS1_25lookback_scan_determinismE0ES3_S9_PaNS6_17constant_iteratorIiNS6_11use_defaultESE_EENS6_10device_ptrIaEENSG_IlEEPmS8_NS6_8equal_toIaEEEE10hipError_tPvRmT2_T3_mT4_T5_T6_T7_T8_P12ihipStream_tbENKUlT_T0_E_clISt17integral_constantIbLb1EES12_IbLb0EEEEDaSY_SZ_EUlSY_E_NS1_11comp_targetILNS1_3genE2ELNS1_11target_archE906ELNS1_3gpuE6ELNS1_3repE0EEENS1_30default_config_static_selectorELNS0_4arch9wavefront6targetE1EEEvT1_.num_named_barrier, 0
	.set _ZN7rocprim17ROCPRIM_400000_NS6detail17trampoline_kernelINS0_14default_configENS1_29reduce_by_key_config_selectorIalN6thrust23THRUST_200600_302600_NS4plusIlEEEEZZNS1_33reduce_by_key_impl_wrapped_configILNS1_25lookback_scan_determinismE0ES3_S9_PaNS6_17constant_iteratorIiNS6_11use_defaultESE_EENS6_10device_ptrIaEENSG_IlEEPmS8_NS6_8equal_toIaEEEE10hipError_tPvRmT2_T3_mT4_T5_T6_T7_T8_P12ihipStream_tbENKUlT_T0_E_clISt17integral_constantIbLb1EES12_IbLb0EEEEDaSY_SZ_EUlSY_E_NS1_11comp_targetILNS1_3genE2ELNS1_11target_archE906ELNS1_3gpuE6ELNS1_3repE0EEENS1_30default_config_static_selectorELNS0_4arch9wavefront6targetE1EEEvT1_.private_seg_size, 0
	.set _ZN7rocprim17ROCPRIM_400000_NS6detail17trampoline_kernelINS0_14default_configENS1_29reduce_by_key_config_selectorIalN6thrust23THRUST_200600_302600_NS4plusIlEEEEZZNS1_33reduce_by_key_impl_wrapped_configILNS1_25lookback_scan_determinismE0ES3_S9_PaNS6_17constant_iteratorIiNS6_11use_defaultESE_EENS6_10device_ptrIaEENSG_IlEEPmS8_NS6_8equal_toIaEEEE10hipError_tPvRmT2_T3_mT4_T5_T6_T7_T8_P12ihipStream_tbENKUlT_T0_E_clISt17integral_constantIbLb1EES12_IbLb0EEEEDaSY_SZ_EUlSY_E_NS1_11comp_targetILNS1_3genE2ELNS1_11target_archE906ELNS1_3gpuE6ELNS1_3repE0EEENS1_30default_config_static_selectorELNS0_4arch9wavefront6targetE1EEEvT1_.uses_vcc, 0
	.set _ZN7rocprim17ROCPRIM_400000_NS6detail17trampoline_kernelINS0_14default_configENS1_29reduce_by_key_config_selectorIalN6thrust23THRUST_200600_302600_NS4plusIlEEEEZZNS1_33reduce_by_key_impl_wrapped_configILNS1_25lookback_scan_determinismE0ES3_S9_PaNS6_17constant_iteratorIiNS6_11use_defaultESE_EENS6_10device_ptrIaEENSG_IlEEPmS8_NS6_8equal_toIaEEEE10hipError_tPvRmT2_T3_mT4_T5_T6_T7_T8_P12ihipStream_tbENKUlT_T0_E_clISt17integral_constantIbLb1EES12_IbLb0EEEEDaSY_SZ_EUlSY_E_NS1_11comp_targetILNS1_3genE2ELNS1_11target_archE906ELNS1_3gpuE6ELNS1_3repE0EEENS1_30default_config_static_selectorELNS0_4arch9wavefront6targetE1EEEvT1_.uses_flat_scratch, 0
	.set _ZN7rocprim17ROCPRIM_400000_NS6detail17trampoline_kernelINS0_14default_configENS1_29reduce_by_key_config_selectorIalN6thrust23THRUST_200600_302600_NS4plusIlEEEEZZNS1_33reduce_by_key_impl_wrapped_configILNS1_25lookback_scan_determinismE0ES3_S9_PaNS6_17constant_iteratorIiNS6_11use_defaultESE_EENS6_10device_ptrIaEENSG_IlEEPmS8_NS6_8equal_toIaEEEE10hipError_tPvRmT2_T3_mT4_T5_T6_T7_T8_P12ihipStream_tbENKUlT_T0_E_clISt17integral_constantIbLb1EES12_IbLb0EEEEDaSY_SZ_EUlSY_E_NS1_11comp_targetILNS1_3genE2ELNS1_11target_archE906ELNS1_3gpuE6ELNS1_3repE0EEENS1_30default_config_static_selectorELNS0_4arch9wavefront6targetE1EEEvT1_.has_dyn_sized_stack, 0
	.set _ZN7rocprim17ROCPRIM_400000_NS6detail17trampoline_kernelINS0_14default_configENS1_29reduce_by_key_config_selectorIalN6thrust23THRUST_200600_302600_NS4plusIlEEEEZZNS1_33reduce_by_key_impl_wrapped_configILNS1_25lookback_scan_determinismE0ES3_S9_PaNS6_17constant_iteratorIiNS6_11use_defaultESE_EENS6_10device_ptrIaEENSG_IlEEPmS8_NS6_8equal_toIaEEEE10hipError_tPvRmT2_T3_mT4_T5_T6_T7_T8_P12ihipStream_tbENKUlT_T0_E_clISt17integral_constantIbLb1EES12_IbLb0EEEEDaSY_SZ_EUlSY_E_NS1_11comp_targetILNS1_3genE2ELNS1_11target_archE906ELNS1_3gpuE6ELNS1_3repE0EEENS1_30default_config_static_selectorELNS0_4arch9wavefront6targetE1EEEvT1_.has_recursion, 0
	.set _ZN7rocprim17ROCPRIM_400000_NS6detail17trampoline_kernelINS0_14default_configENS1_29reduce_by_key_config_selectorIalN6thrust23THRUST_200600_302600_NS4plusIlEEEEZZNS1_33reduce_by_key_impl_wrapped_configILNS1_25lookback_scan_determinismE0ES3_S9_PaNS6_17constant_iteratorIiNS6_11use_defaultESE_EENS6_10device_ptrIaEENSG_IlEEPmS8_NS6_8equal_toIaEEEE10hipError_tPvRmT2_T3_mT4_T5_T6_T7_T8_P12ihipStream_tbENKUlT_T0_E_clISt17integral_constantIbLb1EES12_IbLb0EEEEDaSY_SZ_EUlSY_E_NS1_11comp_targetILNS1_3genE2ELNS1_11target_archE906ELNS1_3gpuE6ELNS1_3repE0EEENS1_30default_config_static_selectorELNS0_4arch9wavefront6targetE1EEEvT1_.has_indirect_call, 0
	.section	.AMDGPU.csdata,"",@progbits
; Kernel info:
; codeLenInByte = 4
; TotalNumSgprs: 4
; NumVgprs: 0
; ScratchSize: 0
; MemoryBound: 0
; FloatMode: 240
; IeeeMode: 1
; LDSByteSize: 0 bytes/workgroup (compile time only)
; SGPRBlocks: 0
; VGPRBlocks: 0
; NumSGPRsForWavesPerEU: 4
; NumVGPRsForWavesPerEU: 1
; Occupancy: 10
; WaveLimiterHint : 0
; COMPUTE_PGM_RSRC2:SCRATCH_EN: 0
; COMPUTE_PGM_RSRC2:USER_SGPR: 6
; COMPUTE_PGM_RSRC2:TRAP_HANDLER: 0
; COMPUTE_PGM_RSRC2:TGID_X_EN: 1
; COMPUTE_PGM_RSRC2:TGID_Y_EN: 0
; COMPUTE_PGM_RSRC2:TGID_Z_EN: 0
; COMPUTE_PGM_RSRC2:TIDIG_COMP_CNT: 0
	.section	.text._ZN7rocprim17ROCPRIM_400000_NS6detail17trampoline_kernelINS0_14default_configENS1_29reduce_by_key_config_selectorIalN6thrust23THRUST_200600_302600_NS4plusIlEEEEZZNS1_33reduce_by_key_impl_wrapped_configILNS1_25lookback_scan_determinismE0ES3_S9_PaNS6_17constant_iteratorIiNS6_11use_defaultESE_EENS6_10device_ptrIaEENSG_IlEEPmS8_NS6_8equal_toIaEEEE10hipError_tPvRmT2_T3_mT4_T5_T6_T7_T8_P12ihipStream_tbENKUlT_T0_E_clISt17integral_constantIbLb1EES12_IbLb0EEEEDaSY_SZ_EUlSY_E_NS1_11comp_targetILNS1_3genE10ELNS1_11target_archE1201ELNS1_3gpuE5ELNS1_3repE0EEENS1_30default_config_static_selectorELNS0_4arch9wavefront6targetE1EEEvT1_,"axG",@progbits,_ZN7rocprim17ROCPRIM_400000_NS6detail17trampoline_kernelINS0_14default_configENS1_29reduce_by_key_config_selectorIalN6thrust23THRUST_200600_302600_NS4plusIlEEEEZZNS1_33reduce_by_key_impl_wrapped_configILNS1_25lookback_scan_determinismE0ES3_S9_PaNS6_17constant_iteratorIiNS6_11use_defaultESE_EENS6_10device_ptrIaEENSG_IlEEPmS8_NS6_8equal_toIaEEEE10hipError_tPvRmT2_T3_mT4_T5_T6_T7_T8_P12ihipStream_tbENKUlT_T0_E_clISt17integral_constantIbLb1EES12_IbLb0EEEEDaSY_SZ_EUlSY_E_NS1_11comp_targetILNS1_3genE10ELNS1_11target_archE1201ELNS1_3gpuE5ELNS1_3repE0EEENS1_30default_config_static_selectorELNS0_4arch9wavefront6targetE1EEEvT1_,comdat
	.protected	_ZN7rocprim17ROCPRIM_400000_NS6detail17trampoline_kernelINS0_14default_configENS1_29reduce_by_key_config_selectorIalN6thrust23THRUST_200600_302600_NS4plusIlEEEEZZNS1_33reduce_by_key_impl_wrapped_configILNS1_25lookback_scan_determinismE0ES3_S9_PaNS6_17constant_iteratorIiNS6_11use_defaultESE_EENS6_10device_ptrIaEENSG_IlEEPmS8_NS6_8equal_toIaEEEE10hipError_tPvRmT2_T3_mT4_T5_T6_T7_T8_P12ihipStream_tbENKUlT_T0_E_clISt17integral_constantIbLb1EES12_IbLb0EEEEDaSY_SZ_EUlSY_E_NS1_11comp_targetILNS1_3genE10ELNS1_11target_archE1201ELNS1_3gpuE5ELNS1_3repE0EEENS1_30default_config_static_selectorELNS0_4arch9wavefront6targetE1EEEvT1_ ; -- Begin function _ZN7rocprim17ROCPRIM_400000_NS6detail17trampoline_kernelINS0_14default_configENS1_29reduce_by_key_config_selectorIalN6thrust23THRUST_200600_302600_NS4plusIlEEEEZZNS1_33reduce_by_key_impl_wrapped_configILNS1_25lookback_scan_determinismE0ES3_S9_PaNS6_17constant_iteratorIiNS6_11use_defaultESE_EENS6_10device_ptrIaEENSG_IlEEPmS8_NS6_8equal_toIaEEEE10hipError_tPvRmT2_T3_mT4_T5_T6_T7_T8_P12ihipStream_tbENKUlT_T0_E_clISt17integral_constantIbLb1EES12_IbLb0EEEEDaSY_SZ_EUlSY_E_NS1_11comp_targetILNS1_3genE10ELNS1_11target_archE1201ELNS1_3gpuE5ELNS1_3repE0EEENS1_30default_config_static_selectorELNS0_4arch9wavefront6targetE1EEEvT1_
	.globl	_ZN7rocprim17ROCPRIM_400000_NS6detail17trampoline_kernelINS0_14default_configENS1_29reduce_by_key_config_selectorIalN6thrust23THRUST_200600_302600_NS4plusIlEEEEZZNS1_33reduce_by_key_impl_wrapped_configILNS1_25lookback_scan_determinismE0ES3_S9_PaNS6_17constant_iteratorIiNS6_11use_defaultESE_EENS6_10device_ptrIaEENSG_IlEEPmS8_NS6_8equal_toIaEEEE10hipError_tPvRmT2_T3_mT4_T5_T6_T7_T8_P12ihipStream_tbENKUlT_T0_E_clISt17integral_constantIbLb1EES12_IbLb0EEEEDaSY_SZ_EUlSY_E_NS1_11comp_targetILNS1_3genE10ELNS1_11target_archE1201ELNS1_3gpuE5ELNS1_3repE0EEENS1_30default_config_static_selectorELNS0_4arch9wavefront6targetE1EEEvT1_
	.p2align	8
	.type	_ZN7rocprim17ROCPRIM_400000_NS6detail17trampoline_kernelINS0_14default_configENS1_29reduce_by_key_config_selectorIalN6thrust23THRUST_200600_302600_NS4plusIlEEEEZZNS1_33reduce_by_key_impl_wrapped_configILNS1_25lookback_scan_determinismE0ES3_S9_PaNS6_17constant_iteratorIiNS6_11use_defaultESE_EENS6_10device_ptrIaEENSG_IlEEPmS8_NS6_8equal_toIaEEEE10hipError_tPvRmT2_T3_mT4_T5_T6_T7_T8_P12ihipStream_tbENKUlT_T0_E_clISt17integral_constantIbLb1EES12_IbLb0EEEEDaSY_SZ_EUlSY_E_NS1_11comp_targetILNS1_3genE10ELNS1_11target_archE1201ELNS1_3gpuE5ELNS1_3repE0EEENS1_30default_config_static_selectorELNS0_4arch9wavefront6targetE1EEEvT1_,@function
_ZN7rocprim17ROCPRIM_400000_NS6detail17trampoline_kernelINS0_14default_configENS1_29reduce_by_key_config_selectorIalN6thrust23THRUST_200600_302600_NS4plusIlEEEEZZNS1_33reduce_by_key_impl_wrapped_configILNS1_25lookback_scan_determinismE0ES3_S9_PaNS6_17constant_iteratorIiNS6_11use_defaultESE_EENS6_10device_ptrIaEENSG_IlEEPmS8_NS6_8equal_toIaEEEE10hipError_tPvRmT2_T3_mT4_T5_T6_T7_T8_P12ihipStream_tbENKUlT_T0_E_clISt17integral_constantIbLb1EES12_IbLb0EEEEDaSY_SZ_EUlSY_E_NS1_11comp_targetILNS1_3genE10ELNS1_11target_archE1201ELNS1_3gpuE5ELNS1_3repE0EEENS1_30default_config_static_selectorELNS0_4arch9wavefront6targetE1EEEvT1_: ; @_ZN7rocprim17ROCPRIM_400000_NS6detail17trampoline_kernelINS0_14default_configENS1_29reduce_by_key_config_selectorIalN6thrust23THRUST_200600_302600_NS4plusIlEEEEZZNS1_33reduce_by_key_impl_wrapped_configILNS1_25lookback_scan_determinismE0ES3_S9_PaNS6_17constant_iteratorIiNS6_11use_defaultESE_EENS6_10device_ptrIaEENSG_IlEEPmS8_NS6_8equal_toIaEEEE10hipError_tPvRmT2_T3_mT4_T5_T6_T7_T8_P12ihipStream_tbENKUlT_T0_E_clISt17integral_constantIbLb1EES12_IbLb0EEEEDaSY_SZ_EUlSY_E_NS1_11comp_targetILNS1_3genE10ELNS1_11target_archE1201ELNS1_3gpuE5ELNS1_3repE0EEENS1_30default_config_static_selectorELNS0_4arch9wavefront6targetE1EEEvT1_
; %bb.0:
	.section	.rodata,"a",@progbits
	.p2align	6, 0x0
	.amdhsa_kernel _ZN7rocprim17ROCPRIM_400000_NS6detail17trampoline_kernelINS0_14default_configENS1_29reduce_by_key_config_selectorIalN6thrust23THRUST_200600_302600_NS4plusIlEEEEZZNS1_33reduce_by_key_impl_wrapped_configILNS1_25lookback_scan_determinismE0ES3_S9_PaNS6_17constant_iteratorIiNS6_11use_defaultESE_EENS6_10device_ptrIaEENSG_IlEEPmS8_NS6_8equal_toIaEEEE10hipError_tPvRmT2_T3_mT4_T5_T6_T7_T8_P12ihipStream_tbENKUlT_T0_E_clISt17integral_constantIbLb1EES12_IbLb0EEEEDaSY_SZ_EUlSY_E_NS1_11comp_targetILNS1_3genE10ELNS1_11target_archE1201ELNS1_3gpuE5ELNS1_3repE0EEENS1_30default_config_static_selectorELNS0_4arch9wavefront6targetE1EEEvT1_
		.amdhsa_group_segment_fixed_size 0
		.amdhsa_private_segment_fixed_size 0
		.amdhsa_kernarg_size 144
		.amdhsa_user_sgpr_count 6
		.amdhsa_user_sgpr_private_segment_buffer 1
		.amdhsa_user_sgpr_dispatch_ptr 0
		.amdhsa_user_sgpr_queue_ptr 0
		.amdhsa_user_sgpr_kernarg_segment_ptr 1
		.amdhsa_user_sgpr_dispatch_id 0
		.amdhsa_user_sgpr_flat_scratch_init 0
		.amdhsa_user_sgpr_private_segment_size 0
		.amdhsa_uses_dynamic_stack 0
		.amdhsa_system_sgpr_private_segment_wavefront_offset 0
		.amdhsa_system_sgpr_workgroup_id_x 1
		.amdhsa_system_sgpr_workgroup_id_y 0
		.amdhsa_system_sgpr_workgroup_id_z 0
		.amdhsa_system_sgpr_workgroup_info 0
		.amdhsa_system_vgpr_workitem_id 0
		.amdhsa_next_free_vgpr 1
		.amdhsa_next_free_sgpr 0
		.amdhsa_reserve_vcc 0
		.amdhsa_reserve_flat_scratch 0
		.amdhsa_float_round_mode_32 0
		.amdhsa_float_round_mode_16_64 0
		.amdhsa_float_denorm_mode_32 3
		.amdhsa_float_denorm_mode_16_64 3
		.amdhsa_dx10_clamp 1
		.amdhsa_ieee_mode 1
		.amdhsa_fp16_overflow 0
		.amdhsa_exception_fp_ieee_invalid_op 0
		.amdhsa_exception_fp_denorm_src 0
		.amdhsa_exception_fp_ieee_div_zero 0
		.amdhsa_exception_fp_ieee_overflow 0
		.amdhsa_exception_fp_ieee_underflow 0
		.amdhsa_exception_fp_ieee_inexact 0
		.amdhsa_exception_int_div_zero 0
	.end_amdhsa_kernel
	.section	.text._ZN7rocprim17ROCPRIM_400000_NS6detail17trampoline_kernelINS0_14default_configENS1_29reduce_by_key_config_selectorIalN6thrust23THRUST_200600_302600_NS4plusIlEEEEZZNS1_33reduce_by_key_impl_wrapped_configILNS1_25lookback_scan_determinismE0ES3_S9_PaNS6_17constant_iteratorIiNS6_11use_defaultESE_EENS6_10device_ptrIaEENSG_IlEEPmS8_NS6_8equal_toIaEEEE10hipError_tPvRmT2_T3_mT4_T5_T6_T7_T8_P12ihipStream_tbENKUlT_T0_E_clISt17integral_constantIbLb1EES12_IbLb0EEEEDaSY_SZ_EUlSY_E_NS1_11comp_targetILNS1_3genE10ELNS1_11target_archE1201ELNS1_3gpuE5ELNS1_3repE0EEENS1_30default_config_static_selectorELNS0_4arch9wavefront6targetE1EEEvT1_,"axG",@progbits,_ZN7rocprim17ROCPRIM_400000_NS6detail17trampoline_kernelINS0_14default_configENS1_29reduce_by_key_config_selectorIalN6thrust23THRUST_200600_302600_NS4plusIlEEEEZZNS1_33reduce_by_key_impl_wrapped_configILNS1_25lookback_scan_determinismE0ES3_S9_PaNS6_17constant_iteratorIiNS6_11use_defaultESE_EENS6_10device_ptrIaEENSG_IlEEPmS8_NS6_8equal_toIaEEEE10hipError_tPvRmT2_T3_mT4_T5_T6_T7_T8_P12ihipStream_tbENKUlT_T0_E_clISt17integral_constantIbLb1EES12_IbLb0EEEEDaSY_SZ_EUlSY_E_NS1_11comp_targetILNS1_3genE10ELNS1_11target_archE1201ELNS1_3gpuE5ELNS1_3repE0EEENS1_30default_config_static_selectorELNS0_4arch9wavefront6targetE1EEEvT1_,comdat
.Lfunc_end695:
	.size	_ZN7rocprim17ROCPRIM_400000_NS6detail17trampoline_kernelINS0_14default_configENS1_29reduce_by_key_config_selectorIalN6thrust23THRUST_200600_302600_NS4plusIlEEEEZZNS1_33reduce_by_key_impl_wrapped_configILNS1_25lookback_scan_determinismE0ES3_S9_PaNS6_17constant_iteratorIiNS6_11use_defaultESE_EENS6_10device_ptrIaEENSG_IlEEPmS8_NS6_8equal_toIaEEEE10hipError_tPvRmT2_T3_mT4_T5_T6_T7_T8_P12ihipStream_tbENKUlT_T0_E_clISt17integral_constantIbLb1EES12_IbLb0EEEEDaSY_SZ_EUlSY_E_NS1_11comp_targetILNS1_3genE10ELNS1_11target_archE1201ELNS1_3gpuE5ELNS1_3repE0EEENS1_30default_config_static_selectorELNS0_4arch9wavefront6targetE1EEEvT1_, .Lfunc_end695-_ZN7rocprim17ROCPRIM_400000_NS6detail17trampoline_kernelINS0_14default_configENS1_29reduce_by_key_config_selectorIalN6thrust23THRUST_200600_302600_NS4plusIlEEEEZZNS1_33reduce_by_key_impl_wrapped_configILNS1_25lookback_scan_determinismE0ES3_S9_PaNS6_17constant_iteratorIiNS6_11use_defaultESE_EENS6_10device_ptrIaEENSG_IlEEPmS8_NS6_8equal_toIaEEEE10hipError_tPvRmT2_T3_mT4_T5_T6_T7_T8_P12ihipStream_tbENKUlT_T0_E_clISt17integral_constantIbLb1EES12_IbLb0EEEEDaSY_SZ_EUlSY_E_NS1_11comp_targetILNS1_3genE10ELNS1_11target_archE1201ELNS1_3gpuE5ELNS1_3repE0EEENS1_30default_config_static_selectorELNS0_4arch9wavefront6targetE1EEEvT1_
                                        ; -- End function
	.set _ZN7rocprim17ROCPRIM_400000_NS6detail17trampoline_kernelINS0_14default_configENS1_29reduce_by_key_config_selectorIalN6thrust23THRUST_200600_302600_NS4plusIlEEEEZZNS1_33reduce_by_key_impl_wrapped_configILNS1_25lookback_scan_determinismE0ES3_S9_PaNS6_17constant_iteratorIiNS6_11use_defaultESE_EENS6_10device_ptrIaEENSG_IlEEPmS8_NS6_8equal_toIaEEEE10hipError_tPvRmT2_T3_mT4_T5_T6_T7_T8_P12ihipStream_tbENKUlT_T0_E_clISt17integral_constantIbLb1EES12_IbLb0EEEEDaSY_SZ_EUlSY_E_NS1_11comp_targetILNS1_3genE10ELNS1_11target_archE1201ELNS1_3gpuE5ELNS1_3repE0EEENS1_30default_config_static_selectorELNS0_4arch9wavefront6targetE1EEEvT1_.num_vgpr, 0
	.set _ZN7rocprim17ROCPRIM_400000_NS6detail17trampoline_kernelINS0_14default_configENS1_29reduce_by_key_config_selectorIalN6thrust23THRUST_200600_302600_NS4plusIlEEEEZZNS1_33reduce_by_key_impl_wrapped_configILNS1_25lookback_scan_determinismE0ES3_S9_PaNS6_17constant_iteratorIiNS6_11use_defaultESE_EENS6_10device_ptrIaEENSG_IlEEPmS8_NS6_8equal_toIaEEEE10hipError_tPvRmT2_T3_mT4_T5_T6_T7_T8_P12ihipStream_tbENKUlT_T0_E_clISt17integral_constantIbLb1EES12_IbLb0EEEEDaSY_SZ_EUlSY_E_NS1_11comp_targetILNS1_3genE10ELNS1_11target_archE1201ELNS1_3gpuE5ELNS1_3repE0EEENS1_30default_config_static_selectorELNS0_4arch9wavefront6targetE1EEEvT1_.num_agpr, 0
	.set _ZN7rocprim17ROCPRIM_400000_NS6detail17trampoline_kernelINS0_14default_configENS1_29reduce_by_key_config_selectorIalN6thrust23THRUST_200600_302600_NS4plusIlEEEEZZNS1_33reduce_by_key_impl_wrapped_configILNS1_25lookback_scan_determinismE0ES3_S9_PaNS6_17constant_iteratorIiNS6_11use_defaultESE_EENS6_10device_ptrIaEENSG_IlEEPmS8_NS6_8equal_toIaEEEE10hipError_tPvRmT2_T3_mT4_T5_T6_T7_T8_P12ihipStream_tbENKUlT_T0_E_clISt17integral_constantIbLb1EES12_IbLb0EEEEDaSY_SZ_EUlSY_E_NS1_11comp_targetILNS1_3genE10ELNS1_11target_archE1201ELNS1_3gpuE5ELNS1_3repE0EEENS1_30default_config_static_selectorELNS0_4arch9wavefront6targetE1EEEvT1_.numbered_sgpr, 0
	.set _ZN7rocprim17ROCPRIM_400000_NS6detail17trampoline_kernelINS0_14default_configENS1_29reduce_by_key_config_selectorIalN6thrust23THRUST_200600_302600_NS4plusIlEEEEZZNS1_33reduce_by_key_impl_wrapped_configILNS1_25lookback_scan_determinismE0ES3_S9_PaNS6_17constant_iteratorIiNS6_11use_defaultESE_EENS6_10device_ptrIaEENSG_IlEEPmS8_NS6_8equal_toIaEEEE10hipError_tPvRmT2_T3_mT4_T5_T6_T7_T8_P12ihipStream_tbENKUlT_T0_E_clISt17integral_constantIbLb1EES12_IbLb0EEEEDaSY_SZ_EUlSY_E_NS1_11comp_targetILNS1_3genE10ELNS1_11target_archE1201ELNS1_3gpuE5ELNS1_3repE0EEENS1_30default_config_static_selectorELNS0_4arch9wavefront6targetE1EEEvT1_.num_named_barrier, 0
	.set _ZN7rocprim17ROCPRIM_400000_NS6detail17trampoline_kernelINS0_14default_configENS1_29reduce_by_key_config_selectorIalN6thrust23THRUST_200600_302600_NS4plusIlEEEEZZNS1_33reduce_by_key_impl_wrapped_configILNS1_25lookback_scan_determinismE0ES3_S9_PaNS6_17constant_iteratorIiNS6_11use_defaultESE_EENS6_10device_ptrIaEENSG_IlEEPmS8_NS6_8equal_toIaEEEE10hipError_tPvRmT2_T3_mT4_T5_T6_T7_T8_P12ihipStream_tbENKUlT_T0_E_clISt17integral_constantIbLb1EES12_IbLb0EEEEDaSY_SZ_EUlSY_E_NS1_11comp_targetILNS1_3genE10ELNS1_11target_archE1201ELNS1_3gpuE5ELNS1_3repE0EEENS1_30default_config_static_selectorELNS0_4arch9wavefront6targetE1EEEvT1_.private_seg_size, 0
	.set _ZN7rocprim17ROCPRIM_400000_NS6detail17trampoline_kernelINS0_14default_configENS1_29reduce_by_key_config_selectorIalN6thrust23THRUST_200600_302600_NS4plusIlEEEEZZNS1_33reduce_by_key_impl_wrapped_configILNS1_25lookback_scan_determinismE0ES3_S9_PaNS6_17constant_iteratorIiNS6_11use_defaultESE_EENS6_10device_ptrIaEENSG_IlEEPmS8_NS6_8equal_toIaEEEE10hipError_tPvRmT2_T3_mT4_T5_T6_T7_T8_P12ihipStream_tbENKUlT_T0_E_clISt17integral_constantIbLb1EES12_IbLb0EEEEDaSY_SZ_EUlSY_E_NS1_11comp_targetILNS1_3genE10ELNS1_11target_archE1201ELNS1_3gpuE5ELNS1_3repE0EEENS1_30default_config_static_selectorELNS0_4arch9wavefront6targetE1EEEvT1_.uses_vcc, 0
	.set _ZN7rocprim17ROCPRIM_400000_NS6detail17trampoline_kernelINS0_14default_configENS1_29reduce_by_key_config_selectorIalN6thrust23THRUST_200600_302600_NS4plusIlEEEEZZNS1_33reduce_by_key_impl_wrapped_configILNS1_25lookback_scan_determinismE0ES3_S9_PaNS6_17constant_iteratorIiNS6_11use_defaultESE_EENS6_10device_ptrIaEENSG_IlEEPmS8_NS6_8equal_toIaEEEE10hipError_tPvRmT2_T3_mT4_T5_T6_T7_T8_P12ihipStream_tbENKUlT_T0_E_clISt17integral_constantIbLb1EES12_IbLb0EEEEDaSY_SZ_EUlSY_E_NS1_11comp_targetILNS1_3genE10ELNS1_11target_archE1201ELNS1_3gpuE5ELNS1_3repE0EEENS1_30default_config_static_selectorELNS0_4arch9wavefront6targetE1EEEvT1_.uses_flat_scratch, 0
	.set _ZN7rocprim17ROCPRIM_400000_NS6detail17trampoline_kernelINS0_14default_configENS1_29reduce_by_key_config_selectorIalN6thrust23THRUST_200600_302600_NS4plusIlEEEEZZNS1_33reduce_by_key_impl_wrapped_configILNS1_25lookback_scan_determinismE0ES3_S9_PaNS6_17constant_iteratorIiNS6_11use_defaultESE_EENS6_10device_ptrIaEENSG_IlEEPmS8_NS6_8equal_toIaEEEE10hipError_tPvRmT2_T3_mT4_T5_T6_T7_T8_P12ihipStream_tbENKUlT_T0_E_clISt17integral_constantIbLb1EES12_IbLb0EEEEDaSY_SZ_EUlSY_E_NS1_11comp_targetILNS1_3genE10ELNS1_11target_archE1201ELNS1_3gpuE5ELNS1_3repE0EEENS1_30default_config_static_selectorELNS0_4arch9wavefront6targetE1EEEvT1_.has_dyn_sized_stack, 0
	.set _ZN7rocprim17ROCPRIM_400000_NS6detail17trampoline_kernelINS0_14default_configENS1_29reduce_by_key_config_selectorIalN6thrust23THRUST_200600_302600_NS4plusIlEEEEZZNS1_33reduce_by_key_impl_wrapped_configILNS1_25lookback_scan_determinismE0ES3_S9_PaNS6_17constant_iteratorIiNS6_11use_defaultESE_EENS6_10device_ptrIaEENSG_IlEEPmS8_NS6_8equal_toIaEEEE10hipError_tPvRmT2_T3_mT4_T5_T6_T7_T8_P12ihipStream_tbENKUlT_T0_E_clISt17integral_constantIbLb1EES12_IbLb0EEEEDaSY_SZ_EUlSY_E_NS1_11comp_targetILNS1_3genE10ELNS1_11target_archE1201ELNS1_3gpuE5ELNS1_3repE0EEENS1_30default_config_static_selectorELNS0_4arch9wavefront6targetE1EEEvT1_.has_recursion, 0
	.set _ZN7rocprim17ROCPRIM_400000_NS6detail17trampoline_kernelINS0_14default_configENS1_29reduce_by_key_config_selectorIalN6thrust23THRUST_200600_302600_NS4plusIlEEEEZZNS1_33reduce_by_key_impl_wrapped_configILNS1_25lookback_scan_determinismE0ES3_S9_PaNS6_17constant_iteratorIiNS6_11use_defaultESE_EENS6_10device_ptrIaEENSG_IlEEPmS8_NS6_8equal_toIaEEEE10hipError_tPvRmT2_T3_mT4_T5_T6_T7_T8_P12ihipStream_tbENKUlT_T0_E_clISt17integral_constantIbLb1EES12_IbLb0EEEEDaSY_SZ_EUlSY_E_NS1_11comp_targetILNS1_3genE10ELNS1_11target_archE1201ELNS1_3gpuE5ELNS1_3repE0EEENS1_30default_config_static_selectorELNS0_4arch9wavefront6targetE1EEEvT1_.has_indirect_call, 0
	.section	.AMDGPU.csdata,"",@progbits
; Kernel info:
; codeLenInByte = 0
; TotalNumSgprs: 4
; NumVgprs: 0
; ScratchSize: 0
; MemoryBound: 0
; FloatMode: 240
; IeeeMode: 1
; LDSByteSize: 0 bytes/workgroup (compile time only)
; SGPRBlocks: 0
; VGPRBlocks: 0
; NumSGPRsForWavesPerEU: 4
; NumVGPRsForWavesPerEU: 1
; Occupancy: 10
; WaveLimiterHint : 0
; COMPUTE_PGM_RSRC2:SCRATCH_EN: 0
; COMPUTE_PGM_RSRC2:USER_SGPR: 6
; COMPUTE_PGM_RSRC2:TRAP_HANDLER: 0
; COMPUTE_PGM_RSRC2:TGID_X_EN: 1
; COMPUTE_PGM_RSRC2:TGID_Y_EN: 0
; COMPUTE_PGM_RSRC2:TGID_Z_EN: 0
; COMPUTE_PGM_RSRC2:TIDIG_COMP_CNT: 0
	.section	.text._ZN7rocprim17ROCPRIM_400000_NS6detail17trampoline_kernelINS0_14default_configENS1_29reduce_by_key_config_selectorIalN6thrust23THRUST_200600_302600_NS4plusIlEEEEZZNS1_33reduce_by_key_impl_wrapped_configILNS1_25lookback_scan_determinismE0ES3_S9_PaNS6_17constant_iteratorIiNS6_11use_defaultESE_EENS6_10device_ptrIaEENSG_IlEEPmS8_NS6_8equal_toIaEEEE10hipError_tPvRmT2_T3_mT4_T5_T6_T7_T8_P12ihipStream_tbENKUlT_T0_E_clISt17integral_constantIbLb1EES12_IbLb0EEEEDaSY_SZ_EUlSY_E_NS1_11comp_targetILNS1_3genE10ELNS1_11target_archE1200ELNS1_3gpuE4ELNS1_3repE0EEENS1_30default_config_static_selectorELNS0_4arch9wavefront6targetE1EEEvT1_,"axG",@progbits,_ZN7rocprim17ROCPRIM_400000_NS6detail17trampoline_kernelINS0_14default_configENS1_29reduce_by_key_config_selectorIalN6thrust23THRUST_200600_302600_NS4plusIlEEEEZZNS1_33reduce_by_key_impl_wrapped_configILNS1_25lookback_scan_determinismE0ES3_S9_PaNS6_17constant_iteratorIiNS6_11use_defaultESE_EENS6_10device_ptrIaEENSG_IlEEPmS8_NS6_8equal_toIaEEEE10hipError_tPvRmT2_T3_mT4_T5_T6_T7_T8_P12ihipStream_tbENKUlT_T0_E_clISt17integral_constantIbLb1EES12_IbLb0EEEEDaSY_SZ_EUlSY_E_NS1_11comp_targetILNS1_3genE10ELNS1_11target_archE1200ELNS1_3gpuE4ELNS1_3repE0EEENS1_30default_config_static_selectorELNS0_4arch9wavefront6targetE1EEEvT1_,comdat
	.protected	_ZN7rocprim17ROCPRIM_400000_NS6detail17trampoline_kernelINS0_14default_configENS1_29reduce_by_key_config_selectorIalN6thrust23THRUST_200600_302600_NS4plusIlEEEEZZNS1_33reduce_by_key_impl_wrapped_configILNS1_25lookback_scan_determinismE0ES3_S9_PaNS6_17constant_iteratorIiNS6_11use_defaultESE_EENS6_10device_ptrIaEENSG_IlEEPmS8_NS6_8equal_toIaEEEE10hipError_tPvRmT2_T3_mT4_T5_T6_T7_T8_P12ihipStream_tbENKUlT_T0_E_clISt17integral_constantIbLb1EES12_IbLb0EEEEDaSY_SZ_EUlSY_E_NS1_11comp_targetILNS1_3genE10ELNS1_11target_archE1200ELNS1_3gpuE4ELNS1_3repE0EEENS1_30default_config_static_selectorELNS0_4arch9wavefront6targetE1EEEvT1_ ; -- Begin function _ZN7rocprim17ROCPRIM_400000_NS6detail17trampoline_kernelINS0_14default_configENS1_29reduce_by_key_config_selectorIalN6thrust23THRUST_200600_302600_NS4plusIlEEEEZZNS1_33reduce_by_key_impl_wrapped_configILNS1_25lookback_scan_determinismE0ES3_S9_PaNS6_17constant_iteratorIiNS6_11use_defaultESE_EENS6_10device_ptrIaEENSG_IlEEPmS8_NS6_8equal_toIaEEEE10hipError_tPvRmT2_T3_mT4_T5_T6_T7_T8_P12ihipStream_tbENKUlT_T0_E_clISt17integral_constantIbLb1EES12_IbLb0EEEEDaSY_SZ_EUlSY_E_NS1_11comp_targetILNS1_3genE10ELNS1_11target_archE1200ELNS1_3gpuE4ELNS1_3repE0EEENS1_30default_config_static_selectorELNS0_4arch9wavefront6targetE1EEEvT1_
	.globl	_ZN7rocprim17ROCPRIM_400000_NS6detail17trampoline_kernelINS0_14default_configENS1_29reduce_by_key_config_selectorIalN6thrust23THRUST_200600_302600_NS4plusIlEEEEZZNS1_33reduce_by_key_impl_wrapped_configILNS1_25lookback_scan_determinismE0ES3_S9_PaNS6_17constant_iteratorIiNS6_11use_defaultESE_EENS6_10device_ptrIaEENSG_IlEEPmS8_NS6_8equal_toIaEEEE10hipError_tPvRmT2_T3_mT4_T5_T6_T7_T8_P12ihipStream_tbENKUlT_T0_E_clISt17integral_constantIbLb1EES12_IbLb0EEEEDaSY_SZ_EUlSY_E_NS1_11comp_targetILNS1_3genE10ELNS1_11target_archE1200ELNS1_3gpuE4ELNS1_3repE0EEENS1_30default_config_static_selectorELNS0_4arch9wavefront6targetE1EEEvT1_
	.p2align	8
	.type	_ZN7rocprim17ROCPRIM_400000_NS6detail17trampoline_kernelINS0_14default_configENS1_29reduce_by_key_config_selectorIalN6thrust23THRUST_200600_302600_NS4plusIlEEEEZZNS1_33reduce_by_key_impl_wrapped_configILNS1_25lookback_scan_determinismE0ES3_S9_PaNS6_17constant_iteratorIiNS6_11use_defaultESE_EENS6_10device_ptrIaEENSG_IlEEPmS8_NS6_8equal_toIaEEEE10hipError_tPvRmT2_T3_mT4_T5_T6_T7_T8_P12ihipStream_tbENKUlT_T0_E_clISt17integral_constantIbLb1EES12_IbLb0EEEEDaSY_SZ_EUlSY_E_NS1_11comp_targetILNS1_3genE10ELNS1_11target_archE1200ELNS1_3gpuE4ELNS1_3repE0EEENS1_30default_config_static_selectorELNS0_4arch9wavefront6targetE1EEEvT1_,@function
_ZN7rocprim17ROCPRIM_400000_NS6detail17trampoline_kernelINS0_14default_configENS1_29reduce_by_key_config_selectorIalN6thrust23THRUST_200600_302600_NS4plusIlEEEEZZNS1_33reduce_by_key_impl_wrapped_configILNS1_25lookback_scan_determinismE0ES3_S9_PaNS6_17constant_iteratorIiNS6_11use_defaultESE_EENS6_10device_ptrIaEENSG_IlEEPmS8_NS6_8equal_toIaEEEE10hipError_tPvRmT2_T3_mT4_T5_T6_T7_T8_P12ihipStream_tbENKUlT_T0_E_clISt17integral_constantIbLb1EES12_IbLb0EEEEDaSY_SZ_EUlSY_E_NS1_11comp_targetILNS1_3genE10ELNS1_11target_archE1200ELNS1_3gpuE4ELNS1_3repE0EEENS1_30default_config_static_selectorELNS0_4arch9wavefront6targetE1EEEvT1_: ; @_ZN7rocprim17ROCPRIM_400000_NS6detail17trampoline_kernelINS0_14default_configENS1_29reduce_by_key_config_selectorIalN6thrust23THRUST_200600_302600_NS4plusIlEEEEZZNS1_33reduce_by_key_impl_wrapped_configILNS1_25lookback_scan_determinismE0ES3_S9_PaNS6_17constant_iteratorIiNS6_11use_defaultESE_EENS6_10device_ptrIaEENSG_IlEEPmS8_NS6_8equal_toIaEEEE10hipError_tPvRmT2_T3_mT4_T5_T6_T7_T8_P12ihipStream_tbENKUlT_T0_E_clISt17integral_constantIbLb1EES12_IbLb0EEEEDaSY_SZ_EUlSY_E_NS1_11comp_targetILNS1_3genE10ELNS1_11target_archE1200ELNS1_3gpuE4ELNS1_3repE0EEENS1_30default_config_static_selectorELNS0_4arch9wavefront6targetE1EEEvT1_
; %bb.0:
	.section	.rodata,"a",@progbits
	.p2align	6, 0x0
	.amdhsa_kernel _ZN7rocprim17ROCPRIM_400000_NS6detail17trampoline_kernelINS0_14default_configENS1_29reduce_by_key_config_selectorIalN6thrust23THRUST_200600_302600_NS4plusIlEEEEZZNS1_33reduce_by_key_impl_wrapped_configILNS1_25lookback_scan_determinismE0ES3_S9_PaNS6_17constant_iteratorIiNS6_11use_defaultESE_EENS6_10device_ptrIaEENSG_IlEEPmS8_NS6_8equal_toIaEEEE10hipError_tPvRmT2_T3_mT4_T5_T6_T7_T8_P12ihipStream_tbENKUlT_T0_E_clISt17integral_constantIbLb1EES12_IbLb0EEEEDaSY_SZ_EUlSY_E_NS1_11comp_targetILNS1_3genE10ELNS1_11target_archE1200ELNS1_3gpuE4ELNS1_3repE0EEENS1_30default_config_static_selectorELNS0_4arch9wavefront6targetE1EEEvT1_
		.amdhsa_group_segment_fixed_size 0
		.amdhsa_private_segment_fixed_size 0
		.amdhsa_kernarg_size 144
		.amdhsa_user_sgpr_count 6
		.amdhsa_user_sgpr_private_segment_buffer 1
		.amdhsa_user_sgpr_dispatch_ptr 0
		.amdhsa_user_sgpr_queue_ptr 0
		.amdhsa_user_sgpr_kernarg_segment_ptr 1
		.amdhsa_user_sgpr_dispatch_id 0
		.amdhsa_user_sgpr_flat_scratch_init 0
		.amdhsa_user_sgpr_private_segment_size 0
		.amdhsa_uses_dynamic_stack 0
		.amdhsa_system_sgpr_private_segment_wavefront_offset 0
		.amdhsa_system_sgpr_workgroup_id_x 1
		.amdhsa_system_sgpr_workgroup_id_y 0
		.amdhsa_system_sgpr_workgroup_id_z 0
		.amdhsa_system_sgpr_workgroup_info 0
		.amdhsa_system_vgpr_workitem_id 0
		.amdhsa_next_free_vgpr 1
		.amdhsa_next_free_sgpr 0
		.amdhsa_reserve_vcc 0
		.amdhsa_reserve_flat_scratch 0
		.amdhsa_float_round_mode_32 0
		.amdhsa_float_round_mode_16_64 0
		.amdhsa_float_denorm_mode_32 3
		.amdhsa_float_denorm_mode_16_64 3
		.amdhsa_dx10_clamp 1
		.amdhsa_ieee_mode 1
		.amdhsa_fp16_overflow 0
		.amdhsa_exception_fp_ieee_invalid_op 0
		.amdhsa_exception_fp_denorm_src 0
		.amdhsa_exception_fp_ieee_div_zero 0
		.amdhsa_exception_fp_ieee_overflow 0
		.amdhsa_exception_fp_ieee_underflow 0
		.amdhsa_exception_fp_ieee_inexact 0
		.amdhsa_exception_int_div_zero 0
	.end_amdhsa_kernel
	.section	.text._ZN7rocprim17ROCPRIM_400000_NS6detail17trampoline_kernelINS0_14default_configENS1_29reduce_by_key_config_selectorIalN6thrust23THRUST_200600_302600_NS4plusIlEEEEZZNS1_33reduce_by_key_impl_wrapped_configILNS1_25lookback_scan_determinismE0ES3_S9_PaNS6_17constant_iteratorIiNS6_11use_defaultESE_EENS6_10device_ptrIaEENSG_IlEEPmS8_NS6_8equal_toIaEEEE10hipError_tPvRmT2_T3_mT4_T5_T6_T7_T8_P12ihipStream_tbENKUlT_T0_E_clISt17integral_constantIbLb1EES12_IbLb0EEEEDaSY_SZ_EUlSY_E_NS1_11comp_targetILNS1_3genE10ELNS1_11target_archE1200ELNS1_3gpuE4ELNS1_3repE0EEENS1_30default_config_static_selectorELNS0_4arch9wavefront6targetE1EEEvT1_,"axG",@progbits,_ZN7rocprim17ROCPRIM_400000_NS6detail17trampoline_kernelINS0_14default_configENS1_29reduce_by_key_config_selectorIalN6thrust23THRUST_200600_302600_NS4plusIlEEEEZZNS1_33reduce_by_key_impl_wrapped_configILNS1_25lookback_scan_determinismE0ES3_S9_PaNS6_17constant_iteratorIiNS6_11use_defaultESE_EENS6_10device_ptrIaEENSG_IlEEPmS8_NS6_8equal_toIaEEEE10hipError_tPvRmT2_T3_mT4_T5_T6_T7_T8_P12ihipStream_tbENKUlT_T0_E_clISt17integral_constantIbLb1EES12_IbLb0EEEEDaSY_SZ_EUlSY_E_NS1_11comp_targetILNS1_3genE10ELNS1_11target_archE1200ELNS1_3gpuE4ELNS1_3repE0EEENS1_30default_config_static_selectorELNS0_4arch9wavefront6targetE1EEEvT1_,comdat
.Lfunc_end696:
	.size	_ZN7rocprim17ROCPRIM_400000_NS6detail17trampoline_kernelINS0_14default_configENS1_29reduce_by_key_config_selectorIalN6thrust23THRUST_200600_302600_NS4plusIlEEEEZZNS1_33reduce_by_key_impl_wrapped_configILNS1_25lookback_scan_determinismE0ES3_S9_PaNS6_17constant_iteratorIiNS6_11use_defaultESE_EENS6_10device_ptrIaEENSG_IlEEPmS8_NS6_8equal_toIaEEEE10hipError_tPvRmT2_T3_mT4_T5_T6_T7_T8_P12ihipStream_tbENKUlT_T0_E_clISt17integral_constantIbLb1EES12_IbLb0EEEEDaSY_SZ_EUlSY_E_NS1_11comp_targetILNS1_3genE10ELNS1_11target_archE1200ELNS1_3gpuE4ELNS1_3repE0EEENS1_30default_config_static_selectorELNS0_4arch9wavefront6targetE1EEEvT1_, .Lfunc_end696-_ZN7rocprim17ROCPRIM_400000_NS6detail17trampoline_kernelINS0_14default_configENS1_29reduce_by_key_config_selectorIalN6thrust23THRUST_200600_302600_NS4plusIlEEEEZZNS1_33reduce_by_key_impl_wrapped_configILNS1_25lookback_scan_determinismE0ES3_S9_PaNS6_17constant_iteratorIiNS6_11use_defaultESE_EENS6_10device_ptrIaEENSG_IlEEPmS8_NS6_8equal_toIaEEEE10hipError_tPvRmT2_T3_mT4_T5_T6_T7_T8_P12ihipStream_tbENKUlT_T0_E_clISt17integral_constantIbLb1EES12_IbLb0EEEEDaSY_SZ_EUlSY_E_NS1_11comp_targetILNS1_3genE10ELNS1_11target_archE1200ELNS1_3gpuE4ELNS1_3repE0EEENS1_30default_config_static_selectorELNS0_4arch9wavefront6targetE1EEEvT1_
                                        ; -- End function
	.set _ZN7rocprim17ROCPRIM_400000_NS6detail17trampoline_kernelINS0_14default_configENS1_29reduce_by_key_config_selectorIalN6thrust23THRUST_200600_302600_NS4plusIlEEEEZZNS1_33reduce_by_key_impl_wrapped_configILNS1_25lookback_scan_determinismE0ES3_S9_PaNS6_17constant_iteratorIiNS6_11use_defaultESE_EENS6_10device_ptrIaEENSG_IlEEPmS8_NS6_8equal_toIaEEEE10hipError_tPvRmT2_T3_mT4_T5_T6_T7_T8_P12ihipStream_tbENKUlT_T0_E_clISt17integral_constantIbLb1EES12_IbLb0EEEEDaSY_SZ_EUlSY_E_NS1_11comp_targetILNS1_3genE10ELNS1_11target_archE1200ELNS1_3gpuE4ELNS1_3repE0EEENS1_30default_config_static_selectorELNS0_4arch9wavefront6targetE1EEEvT1_.num_vgpr, 0
	.set _ZN7rocprim17ROCPRIM_400000_NS6detail17trampoline_kernelINS0_14default_configENS1_29reduce_by_key_config_selectorIalN6thrust23THRUST_200600_302600_NS4plusIlEEEEZZNS1_33reduce_by_key_impl_wrapped_configILNS1_25lookback_scan_determinismE0ES3_S9_PaNS6_17constant_iteratorIiNS6_11use_defaultESE_EENS6_10device_ptrIaEENSG_IlEEPmS8_NS6_8equal_toIaEEEE10hipError_tPvRmT2_T3_mT4_T5_T6_T7_T8_P12ihipStream_tbENKUlT_T0_E_clISt17integral_constantIbLb1EES12_IbLb0EEEEDaSY_SZ_EUlSY_E_NS1_11comp_targetILNS1_3genE10ELNS1_11target_archE1200ELNS1_3gpuE4ELNS1_3repE0EEENS1_30default_config_static_selectorELNS0_4arch9wavefront6targetE1EEEvT1_.num_agpr, 0
	.set _ZN7rocprim17ROCPRIM_400000_NS6detail17trampoline_kernelINS0_14default_configENS1_29reduce_by_key_config_selectorIalN6thrust23THRUST_200600_302600_NS4plusIlEEEEZZNS1_33reduce_by_key_impl_wrapped_configILNS1_25lookback_scan_determinismE0ES3_S9_PaNS6_17constant_iteratorIiNS6_11use_defaultESE_EENS6_10device_ptrIaEENSG_IlEEPmS8_NS6_8equal_toIaEEEE10hipError_tPvRmT2_T3_mT4_T5_T6_T7_T8_P12ihipStream_tbENKUlT_T0_E_clISt17integral_constantIbLb1EES12_IbLb0EEEEDaSY_SZ_EUlSY_E_NS1_11comp_targetILNS1_3genE10ELNS1_11target_archE1200ELNS1_3gpuE4ELNS1_3repE0EEENS1_30default_config_static_selectorELNS0_4arch9wavefront6targetE1EEEvT1_.numbered_sgpr, 0
	.set _ZN7rocprim17ROCPRIM_400000_NS6detail17trampoline_kernelINS0_14default_configENS1_29reduce_by_key_config_selectorIalN6thrust23THRUST_200600_302600_NS4plusIlEEEEZZNS1_33reduce_by_key_impl_wrapped_configILNS1_25lookback_scan_determinismE0ES3_S9_PaNS6_17constant_iteratorIiNS6_11use_defaultESE_EENS6_10device_ptrIaEENSG_IlEEPmS8_NS6_8equal_toIaEEEE10hipError_tPvRmT2_T3_mT4_T5_T6_T7_T8_P12ihipStream_tbENKUlT_T0_E_clISt17integral_constantIbLb1EES12_IbLb0EEEEDaSY_SZ_EUlSY_E_NS1_11comp_targetILNS1_3genE10ELNS1_11target_archE1200ELNS1_3gpuE4ELNS1_3repE0EEENS1_30default_config_static_selectorELNS0_4arch9wavefront6targetE1EEEvT1_.num_named_barrier, 0
	.set _ZN7rocprim17ROCPRIM_400000_NS6detail17trampoline_kernelINS0_14default_configENS1_29reduce_by_key_config_selectorIalN6thrust23THRUST_200600_302600_NS4plusIlEEEEZZNS1_33reduce_by_key_impl_wrapped_configILNS1_25lookback_scan_determinismE0ES3_S9_PaNS6_17constant_iteratorIiNS6_11use_defaultESE_EENS6_10device_ptrIaEENSG_IlEEPmS8_NS6_8equal_toIaEEEE10hipError_tPvRmT2_T3_mT4_T5_T6_T7_T8_P12ihipStream_tbENKUlT_T0_E_clISt17integral_constantIbLb1EES12_IbLb0EEEEDaSY_SZ_EUlSY_E_NS1_11comp_targetILNS1_3genE10ELNS1_11target_archE1200ELNS1_3gpuE4ELNS1_3repE0EEENS1_30default_config_static_selectorELNS0_4arch9wavefront6targetE1EEEvT1_.private_seg_size, 0
	.set _ZN7rocprim17ROCPRIM_400000_NS6detail17trampoline_kernelINS0_14default_configENS1_29reduce_by_key_config_selectorIalN6thrust23THRUST_200600_302600_NS4plusIlEEEEZZNS1_33reduce_by_key_impl_wrapped_configILNS1_25lookback_scan_determinismE0ES3_S9_PaNS6_17constant_iteratorIiNS6_11use_defaultESE_EENS6_10device_ptrIaEENSG_IlEEPmS8_NS6_8equal_toIaEEEE10hipError_tPvRmT2_T3_mT4_T5_T6_T7_T8_P12ihipStream_tbENKUlT_T0_E_clISt17integral_constantIbLb1EES12_IbLb0EEEEDaSY_SZ_EUlSY_E_NS1_11comp_targetILNS1_3genE10ELNS1_11target_archE1200ELNS1_3gpuE4ELNS1_3repE0EEENS1_30default_config_static_selectorELNS0_4arch9wavefront6targetE1EEEvT1_.uses_vcc, 0
	.set _ZN7rocprim17ROCPRIM_400000_NS6detail17trampoline_kernelINS0_14default_configENS1_29reduce_by_key_config_selectorIalN6thrust23THRUST_200600_302600_NS4plusIlEEEEZZNS1_33reduce_by_key_impl_wrapped_configILNS1_25lookback_scan_determinismE0ES3_S9_PaNS6_17constant_iteratorIiNS6_11use_defaultESE_EENS6_10device_ptrIaEENSG_IlEEPmS8_NS6_8equal_toIaEEEE10hipError_tPvRmT2_T3_mT4_T5_T6_T7_T8_P12ihipStream_tbENKUlT_T0_E_clISt17integral_constantIbLb1EES12_IbLb0EEEEDaSY_SZ_EUlSY_E_NS1_11comp_targetILNS1_3genE10ELNS1_11target_archE1200ELNS1_3gpuE4ELNS1_3repE0EEENS1_30default_config_static_selectorELNS0_4arch9wavefront6targetE1EEEvT1_.uses_flat_scratch, 0
	.set _ZN7rocprim17ROCPRIM_400000_NS6detail17trampoline_kernelINS0_14default_configENS1_29reduce_by_key_config_selectorIalN6thrust23THRUST_200600_302600_NS4plusIlEEEEZZNS1_33reduce_by_key_impl_wrapped_configILNS1_25lookback_scan_determinismE0ES3_S9_PaNS6_17constant_iteratorIiNS6_11use_defaultESE_EENS6_10device_ptrIaEENSG_IlEEPmS8_NS6_8equal_toIaEEEE10hipError_tPvRmT2_T3_mT4_T5_T6_T7_T8_P12ihipStream_tbENKUlT_T0_E_clISt17integral_constantIbLb1EES12_IbLb0EEEEDaSY_SZ_EUlSY_E_NS1_11comp_targetILNS1_3genE10ELNS1_11target_archE1200ELNS1_3gpuE4ELNS1_3repE0EEENS1_30default_config_static_selectorELNS0_4arch9wavefront6targetE1EEEvT1_.has_dyn_sized_stack, 0
	.set _ZN7rocprim17ROCPRIM_400000_NS6detail17trampoline_kernelINS0_14default_configENS1_29reduce_by_key_config_selectorIalN6thrust23THRUST_200600_302600_NS4plusIlEEEEZZNS1_33reduce_by_key_impl_wrapped_configILNS1_25lookback_scan_determinismE0ES3_S9_PaNS6_17constant_iteratorIiNS6_11use_defaultESE_EENS6_10device_ptrIaEENSG_IlEEPmS8_NS6_8equal_toIaEEEE10hipError_tPvRmT2_T3_mT4_T5_T6_T7_T8_P12ihipStream_tbENKUlT_T0_E_clISt17integral_constantIbLb1EES12_IbLb0EEEEDaSY_SZ_EUlSY_E_NS1_11comp_targetILNS1_3genE10ELNS1_11target_archE1200ELNS1_3gpuE4ELNS1_3repE0EEENS1_30default_config_static_selectorELNS0_4arch9wavefront6targetE1EEEvT1_.has_recursion, 0
	.set _ZN7rocprim17ROCPRIM_400000_NS6detail17trampoline_kernelINS0_14default_configENS1_29reduce_by_key_config_selectorIalN6thrust23THRUST_200600_302600_NS4plusIlEEEEZZNS1_33reduce_by_key_impl_wrapped_configILNS1_25lookback_scan_determinismE0ES3_S9_PaNS6_17constant_iteratorIiNS6_11use_defaultESE_EENS6_10device_ptrIaEENSG_IlEEPmS8_NS6_8equal_toIaEEEE10hipError_tPvRmT2_T3_mT4_T5_T6_T7_T8_P12ihipStream_tbENKUlT_T0_E_clISt17integral_constantIbLb1EES12_IbLb0EEEEDaSY_SZ_EUlSY_E_NS1_11comp_targetILNS1_3genE10ELNS1_11target_archE1200ELNS1_3gpuE4ELNS1_3repE0EEENS1_30default_config_static_selectorELNS0_4arch9wavefront6targetE1EEEvT1_.has_indirect_call, 0
	.section	.AMDGPU.csdata,"",@progbits
; Kernel info:
; codeLenInByte = 0
; TotalNumSgprs: 4
; NumVgprs: 0
; ScratchSize: 0
; MemoryBound: 0
; FloatMode: 240
; IeeeMode: 1
; LDSByteSize: 0 bytes/workgroup (compile time only)
; SGPRBlocks: 0
; VGPRBlocks: 0
; NumSGPRsForWavesPerEU: 4
; NumVGPRsForWavesPerEU: 1
; Occupancy: 10
; WaveLimiterHint : 0
; COMPUTE_PGM_RSRC2:SCRATCH_EN: 0
; COMPUTE_PGM_RSRC2:USER_SGPR: 6
; COMPUTE_PGM_RSRC2:TRAP_HANDLER: 0
; COMPUTE_PGM_RSRC2:TGID_X_EN: 1
; COMPUTE_PGM_RSRC2:TGID_Y_EN: 0
; COMPUTE_PGM_RSRC2:TGID_Z_EN: 0
; COMPUTE_PGM_RSRC2:TIDIG_COMP_CNT: 0
	.section	.text._ZN7rocprim17ROCPRIM_400000_NS6detail17trampoline_kernelINS0_14default_configENS1_29reduce_by_key_config_selectorIalN6thrust23THRUST_200600_302600_NS4plusIlEEEEZZNS1_33reduce_by_key_impl_wrapped_configILNS1_25lookback_scan_determinismE0ES3_S9_PaNS6_17constant_iteratorIiNS6_11use_defaultESE_EENS6_10device_ptrIaEENSG_IlEEPmS8_NS6_8equal_toIaEEEE10hipError_tPvRmT2_T3_mT4_T5_T6_T7_T8_P12ihipStream_tbENKUlT_T0_E_clISt17integral_constantIbLb1EES12_IbLb0EEEEDaSY_SZ_EUlSY_E_NS1_11comp_targetILNS1_3genE9ELNS1_11target_archE1100ELNS1_3gpuE3ELNS1_3repE0EEENS1_30default_config_static_selectorELNS0_4arch9wavefront6targetE1EEEvT1_,"axG",@progbits,_ZN7rocprim17ROCPRIM_400000_NS6detail17trampoline_kernelINS0_14default_configENS1_29reduce_by_key_config_selectorIalN6thrust23THRUST_200600_302600_NS4plusIlEEEEZZNS1_33reduce_by_key_impl_wrapped_configILNS1_25lookback_scan_determinismE0ES3_S9_PaNS6_17constant_iteratorIiNS6_11use_defaultESE_EENS6_10device_ptrIaEENSG_IlEEPmS8_NS6_8equal_toIaEEEE10hipError_tPvRmT2_T3_mT4_T5_T6_T7_T8_P12ihipStream_tbENKUlT_T0_E_clISt17integral_constantIbLb1EES12_IbLb0EEEEDaSY_SZ_EUlSY_E_NS1_11comp_targetILNS1_3genE9ELNS1_11target_archE1100ELNS1_3gpuE3ELNS1_3repE0EEENS1_30default_config_static_selectorELNS0_4arch9wavefront6targetE1EEEvT1_,comdat
	.protected	_ZN7rocprim17ROCPRIM_400000_NS6detail17trampoline_kernelINS0_14default_configENS1_29reduce_by_key_config_selectorIalN6thrust23THRUST_200600_302600_NS4plusIlEEEEZZNS1_33reduce_by_key_impl_wrapped_configILNS1_25lookback_scan_determinismE0ES3_S9_PaNS6_17constant_iteratorIiNS6_11use_defaultESE_EENS6_10device_ptrIaEENSG_IlEEPmS8_NS6_8equal_toIaEEEE10hipError_tPvRmT2_T3_mT4_T5_T6_T7_T8_P12ihipStream_tbENKUlT_T0_E_clISt17integral_constantIbLb1EES12_IbLb0EEEEDaSY_SZ_EUlSY_E_NS1_11comp_targetILNS1_3genE9ELNS1_11target_archE1100ELNS1_3gpuE3ELNS1_3repE0EEENS1_30default_config_static_selectorELNS0_4arch9wavefront6targetE1EEEvT1_ ; -- Begin function _ZN7rocprim17ROCPRIM_400000_NS6detail17trampoline_kernelINS0_14default_configENS1_29reduce_by_key_config_selectorIalN6thrust23THRUST_200600_302600_NS4plusIlEEEEZZNS1_33reduce_by_key_impl_wrapped_configILNS1_25lookback_scan_determinismE0ES3_S9_PaNS6_17constant_iteratorIiNS6_11use_defaultESE_EENS6_10device_ptrIaEENSG_IlEEPmS8_NS6_8equal_toIaEEEE10hipError_tPvRmT2_T3_mT4_T5_T6_T7_T8_P12ihipStream_tbENKUlT_T0_E_clISt17integral_constantIbLb1EES12_IbLb0EEEEDaSY_SZ_EUlSY_E_NS1_11comp_targetILNS1_3genE9ELNS1_11target_archE1100ELNS1_3gpuE3ELNS1_3repE0EEENS1_30default_config_static_selectorELNS0_4arch9wavefront6targetE1EEEvT1_
	.globl	_ZN7rocprim17ROCPRIM_400000_NS6detail17trampoline_kernelINS0_14default_configENS1_29reduce_by_key_config_selectorIalN6thrust23THRUST_200600_302600_NS4plusIlEEEEZZNS1_33reduce_by_key_impl_wrapped_configILNS1_25lookback_scan_determinismE0ES3_S9_PaNS6_17constant_iteratorIiNS6_11use_defaultESE_EENS6_10device_ptrIaEENSG_IlEEPmS8_NS6_8equal_toIaEEEE10hipError_tPvRmT2_T3_mT4_T5_T6_T7_T8_P12ihipStream_tbENKUlT_T0_E_clISt17integral_constantIbLb1EES12_IbLb0EEEEDaSY_SZ_EUlSY_E_NS1_11comp_targetILNS1_3genE9ELNS1_11target_archE1100ELNS1_3gpuE3ELNS1_3repE0EEENS1_30default_config_static_selectorELNS0_4arch9wavefront6targetE1EEEvT1_
	.p2align	8
	.type	_ZN7rocprim17ROCPRIM_400000_NS6detail17trampoline_kernelINS0_14default_configENS1_29reduce_by_key_config_selectorIalN6thrust23THRUST_200600_302600_NS4plusIlEEEEZZNS1_33reduce_by_key_impl_wrapped_configILNS1_25lookback_scan_determinismE0ES3_S9_PaNS6_17constant_iteratorIiNS6_11use_defaultESE_EENS6_10device_ptrIaEENSG_IlEEPmS8_NS6_8equal_toIaEEEE10hipError_tPvRmT2_T3_mT4_T5_T6_T7_T8_P12ihipStream_tbENKUlT_T0_E_clISt17integral_constantIbLb1EES12_IbLb0EEEEDaSY_SZ_EUlSY_E_NS1_11comp_targetILNS1_3genE9ELNS1_11target_archE1100ELNS1_3gpuE3ELNS1_3repE0EEENS1_30default_config_static_selectorELNS0_4arch9wavefront6targetE1EEEvT1_,@function
_ZN7rocprim17ROCPRIM_400000_NS6detail17trampoline_kernelINS0_14default_configENS1_29reduce_by_key_config_selectorIalN6thrust23THRUST_200600_302600_NS4plusIlEEEEZZNS1_33reduce_by_key_impl_wrapped_configILNS1_25lookback_scan_determinismE0ES3_S9_PaNS6_17constant_iteratorIiNS6_11use_defaultESE_EENS6_10device_ptrIaEENSG_IlEEPmS8_NS6_8equal_toIaEEEE10hipError_tPvRmT2_T3_mT4_T5_T6_T7_T8_P12ihipStream_tbENKUlT_T0_E_clISt17integral_constantIbLb1EES12_IbLb0EEEEDaSY_SZ_EUlSY_E_NS1_11comp_targetILNS1_3genE9ELNS1_11target_archE1100ELNS1_3gpuE3ELNS1_3repE0EEENS1_30default_config_static_selectorELNS0_4arch9wavefront6targetE1EEEvT1_: ; @_ZN7rocprim17ROCPRIM_400000_NS6detail17trampoline_kernelINS0_14default_configENS1_29reduce_by_key_config_selectorIalN6thrust23THRUST_200600_302600_NS4plusIlEEEEZZNS1_33reduce_by_key_impl_wrapped_configILNS1_25lookback_scan_determinismE0ES3_S9_PaNS6_17constant_iteratorIiNS6_11use_defaultESE_EENS6_10device_ptrIaEENSG_IlEEPmS8_NS6_8equal_toIaEEEE10hipError_tPvRmT2_T3_mT4_T5_T6_T7_T8_P12ihipStream_tbENKUlT_T0_E_clISt17integral_constantIbLb1EES12_IbLb0EEEEDaSY_SZ_EUlSY_E_NS1_11comp_targetILNS1_3genE9ELNS1_11target_archE1100ELNS1_3gpuE3ELNS1_3repE0EEENS1_30default_config_static_selectorELNS0_4arch9wavefront6targetE1EEEvT1_
; %bb.0:
	.section	.rodata,"a",@progbits
	.p2align	6, 0x0
	.amdhsa_kernel _ZN7rocprim17ROCPRIM_400000_NS6detail17trampoline_kernelINS0_14default_configENS1_29reduce_by_key_config_selectorIalN6thrust23THRUST_200600_302600_NS4plusIlEEEEZZNS1_33reduce_by_key_impl_wrapped_configILNS1_25lookback_scan_determinismE0ES3_S9_PaNS6_17constant_iteratorIiNS6_11use_defaultESE_EENS6_10device_ptrIaEENSG_IlEEPmS8_NS6_8equal_toIaEEEE10hipError_tPvRmT2_T3_mT4_T5_T6_T7_T8_P12ihipStream_tbENKUlT_T0_E_clISt17integral_constantIbLb1EES12_IbLb0EEEEDaSY_SZ_EUlSY_E_NS1_11comp_targetILNS1_3genE9ELNS1_11target_archE1100ELNS1_3gpuE3ELNS1_3repE0EEENS1_30default_config_static_selectorELNS0_4arch9wavefront6targetE1EEEvT1_
		.amdhsa_group_segment_fixed_size 0
		.amdhsa_private_segment_fixed_size 0
		.amdhsa_kernarg_size 144
		.amdhsa_user_sgpr_count 6
		.amdhsa_user_sgpr_private_segment_buffer 1
		.amdhsa_user_sgpr_dispatch_ptr 0
		.amdhsa_user_sgpr_queue_ptr 0
		.amdhsa_user_sgpr_kernarg_segment_ptr 1
		.amdhsa_user_sgpr_dispatch_id 0
		.amdhsa_user_sgpr_flat_scratch_init 0
		.amdhsa_user_sgpr_private_segment_size 0
		.amdhsa_uses_dynamic_stack 0
		.amdhsa_system_sgpr_private_segment_wavefront_offset 0
		.amdhsa_system_sgpr_workgroup_id_x 1
		.amdhsa_system_sgpr_workgroup_id_y 0
		.amdhsa_system_sgpr_workgroup_id_z 0
		.amdhsa_system_sgpr_workgroup_info 0
		.amdhsa_system_vgpr_workitem_id 0
		.amdhsa_next_free_vgpr 1
		.amdhsa_next_free_sgpr 0
		.amdhsa_reserve_vcc 0
		.amdhsa_reserve_flat_scratch 0
		.amdhsa_float_round_mode_32 0
		.amdhsa_float_round_mode_16_64 0
		.amdhsa_float_denorm_mode_32 3
		.amdhsa_float_denorm_mode_16_64 3
		.amdhsa_dx10_clamp 1
		.amdhsa_ieee_mode 1
		.amdhsa_fp16_overflow 0
		.amdhsa_exception_fp_ieee_invalid_op 0
		.amdhsa_exception_fp_denorm_src 0
		.amdhsa_exception_fp_ieee_div_zero 0
		.amdhsa_exception_fp_ieee_overflow 0
		.amdhsa_exception_fp_ieee_underflow 0
		.amdhsa_exception_fp_ieee_inexact 0
		.amdhsa_exception_int_div_zero 0
	.end_amdhsa_kernel
	.section	.text._ZN7rocprim17ROCPRIM_400000_NS6detail17trampoline_kernelINS0_14default_configENS1_29reduce_by_key_config_selectorIalN6thrust23THRUST_200600_302600_NS4plusIlEEEEZZNS1_33reduce_by_key_impl_wrapped_configILNS1_25lookback_scan_determinismE0ES3_S9_PaNS6_17constant_iteratorIiNS6_11use_defaultESE_EENS6_10device_ptrIaEENSG_IlEEPmS8_NS6_8equal_toIaEEEE10hipError_tPvRmT2_T3_mT4_T5_T6_T7_T8_P12ihipStream_tbENKUlT_T0_E_clISt17integral_constantIbLb1EES12_IbLb0EEEEDaSY_SZ_EUlSY_E_NS1_11comp_targetILNS1_3genE9ELNS1_11target_archE1100ELNS1_3gpuE3ELNS1_3repE0EEENS1_30default_config_static_selectorELNS0_4arch9wavefront6targetE1EEEvT1_,"axG",@progbits,_ZN7rocprim17ROCPRIM_400000_NS6detail17trampoline_kernelINS0_14default_configENS1_29reduce_by_key_config_selectorIalN6thrust23THRUST_200600_302600_NS4plusIlEEEEZZNS1_33reduce_by_key_impl_wrapped_configILNS1_25lookback_scan_determinismE0ES3_S9_PaNS6_17constant_iteratorIiNS6_11use_defaultESE_EENS6_10device_ptrIaEENSG_IlEEPmS8_NS6_8equal_toIaEEEE10hipError_tPvRmT2_T3_mT4_T5_T6_T7_T8_P12ihipStream_tbENKUlT_T0_E_clISt17integral_constantIbLb1EES12_IbLb0EEEEDaSY_SZ_EUlSY_E_NS1_11comp_targetILNS1_3genE9ELNS1_11target_archE1100ELNS1_3gpuE3ELNS1_3repE0EEENS1_30default_config_static_selectorELNS0_4arch9wavefront6targetE1EEEvT1_,comdat
.Lfunc_end697:
	.size	_ZN7rocprim17ROCPRIM_400000_NS6detail17trampoline_kernelINS0_14default_configENS1_29reduce_by_key_config_selectorIalN6thrust23THRUST_200600_302600_NS4plusIlEEEEZZNS1_33reduce_by_key_impl_wrapped_configILNS1_25lookback_scan_determinismE0ES3_S9_PaNS6_17constant_iteratorIiNS6_11use_defaultESE_EENS6_10device_ptrIaEENSG_IlEEPmS8_NS6_8equal_toIaEEEE10hipError_tPvRmT2_T3_mT4_T5_T6_T7_T8_P12ihipStream_tbENKUlT_T0_E_clISt17integral_constantIbLb1EES12_IbLb0EEEEDaSY_SZ_EUlSY_E_NS1_11comp_targetILNS1_3genE9ELNS1_11target_archE1100ELNS1_3gpuE3ELNS1_3repE0EEENS1_30default_config_static_selectorELNS0_4arch9wavefront6targetE1EEEvT1_, .Lfunc_end697-_ZN7rocprim17ROCPRIM_400000_NS6detail17trampoline_kernelINS0_14default_configENS1_29reduce_by_key_config_selectorIalN6thrust23THRUST_200600_302600_NS4plusIlEEEEZZNS1_33reduce_by_key_impl_wrapped_configILNS1_25lookback_scan_determinismE0ES3_S9_PaNS6_17constant_iteratorIiNS6_11use_defaultESE_EENS6_10device_ptrIaEENSG_IlEEPmS8_NS6_8equal_toIaEEEE10hipError_tPvRmT2_T3_mT4_T5_T6_T7_T8_P12ihipStream_tbENKUlT_T0_E_clISt17integral_constantIbLb1EES12_IbLb0EEEEDaSY_SZ_EUlSY_E_NS1_11comp_targetILNS1_3genE9ELNS1_11target_archE1100ELNS1_3gpuE3ELNS1_3repE0EEENS1_30default_config_static_selectorELNS0_4arch9wavefront6targetE1EEEvT1_
                                        ; -- End function
	.set _ZN7rocprim17ROCPRIM_400000_NS6detail17trampoline_kernelINS0_14default_configENS1_29reduce_by_key_config_selectorIalN6thrust23THRUST_200600_302600_NS4plusIlEEEEZZNS1_33reduce_by_key_impl_wrapped_configILNS1_25lookback_scan_determinismE0ES3_S9_PaNS6_17constant_iteratorIiNS6_11use_defaultESE_EENS6_10device_ptrIaEENSG_IlEEPmS8_NS6_8equal_toIaEEEE10hipError_tPvRmT2_T3_mT4_T5_T6_T7_T8_P12ihipStream_tbENKUlT_T0_E_clISt17integral_constantIbLb1EES12_IbLb0EEEEDaSY_SZ_EUlSY_E_NS1_11comp_targetILNS1_3genE9ELNS1_11target_archE1100ELNS1_3gpuE3ELNS1_3repE0EEENS1_30default_config_static_selectorELNS0_4arch9wavefront6targetE1EEEvT1_.num_vgpr, 0
	.set _ZN7rocprim17ROCPRIM_400000_NS6detail17trampoline_kernelINS0_14default_configENS1_29reduce_by_key_config_selectorIalN6thrust23THRUST_200600_302600_NS4plusIlEEEEZZNS1_33reduce_by_key_impl_wrapped_configILNS1_25lookback_scan_determinismE0ES3_S9_PaNS6_17constant_iteratorIiNS6_11use_defaultESE_EENS6_10device_ptrIaEENSG_IlEEPmS8_NS6_8equal_toIaEEEE10hipError_tPvRmT2_T3_mT4_T5_T6_T7_T8_P12ihipStream_tbENKUlT_T0_E_clISt17integral_constantIbLb1EES12_IbLb0EEEEDaSY_SZ_EUlSY_E_NS1_11comp_targetILNS1_3genE9ELNS1_11target_archE1100ELNS1_3gpuE3ELNS1_3repE0EEENS1_30default_config_static_selectorELNS0_4arch9wavefront6targetE1EEEvT1_.num_agpr, 0
	.set _ZN7rocprim17ROCPRIM_400000_NS6detail17trampoline_kernelINS0_14default_configENS1_29reduce_by_key_config_selectorIalN6thrust23THRUST_200600_302600_NS4plusIlEEEEZZNS1_33reduce_by_key_impl_wrapped_configILNS1_25lookback_scan_determinismE0ES3_S9_PaNS6_17constant_iteratorIiNS6_11use_defaultESE_EENS6_10device_ptrIaEENSG_IlEEPmS8_NS6_8equal_toIaEEEE10hipError_tPvRmT2_T3_mT4_T5_T6_T7_T8_P12ihipStream_tbENKUlT_T0_E_clISt17integral_constantIbLb1EES12_IbLb0EEEEDaSY_SZ_EUlSY_E_NS1_11comp_targetILNS1_3genE9ELNS1_11target_archE1100ELNS1_3gpuE3ELNS1_3repE0EEENS1_30default_config_static_selectorELNS0_4arch9wavefront6targetE1EEEvT1_.numbered_sgpr, 0
	.set _ZN7rocprim17ROCPRIM_400000_NS6detail17trampoline_kernelINS0_14default_configENS1_29reduce_by_key_config_selectorIalN6thrust23THRUST_200600_302600_NS4plusIlEEEEZZNS1_33reduce_by_key_impl_wrapped_configILNS1_25lookback_scan_determinismE0ES3_S9_PaNS6_17constant_iteratorIiNS6_11use_defaultESE_EENS6_10device_ptrIaEENSG_IlEEPmS8_NS6_8equal_toIaEEEE10hipError_tPvRmT2_T3_mT4_T5_T6_T7_T8_P12ihipStream_tbENKUlT_T0_E_clISt17integral_constantIbLb1EES12_IbLb0EEEEDaSY_SZ_EUlSY_E_NS1_11comp_targetILNS1_3genE9ELNS1_11target_archE1100ELNS1_3gpuE3ELNS1_3repE0EEENS1_30default_config_static_selectorELNS0_4arch9wavefront6targetE1EEEvT1_.num_named_barrier, 0
	.set _ZN7rocprim17ROCPRIM_400000_NS6detail17trampoline_kernelINS0_14default_configENS1_29reduce_by_key_config_selectorIalN6thrust23THRUST_200600_302600_NS4plusIlEEEEZZNS1_33reduce_by_key_impl_wrapped_configILNS1_25lookback_scan_determinismE0ES3_S9_PaNS6_17constant_iteratorIiNS6_11use_defaultESE_EENS6_10device_ptrIaEENSG_IlEEPmS8_NS6_8equal_toIaEEEE10hipError_tPvRmT2_T3_mT4_T5_T6_T7_T8_P12ihipStream_tbENKUlT_T0_E_clISt17integral_constantIbLb1EES12_IbLb0EEEEDaSY_SZ_EUlSY_E_NS1_11comp_targetILNS1_3genE9ELNS1_11target_archE1100ELNS1_3gpuE3ELNS1_3repE0EEENS1_30default_config_static_selectorELNS0_4arch9wavefront6targetE1EEEvT1_.private_seg_size, 0
	.set _ZN7rocprim17ROCPRIM_400000_NS6detail17trampoline_kernelINS0_14default_configENS1_29reduce_by_key_config_selectorIalN6thrust23THRUST_200600_302600_NS4plusIlEEEEZZNS1_33reduce_by_key_impl_wrapped_configILNS1_25lookback_scan_determinismE0ES3_S9_PaNS6_17constant_iteratorIiNS6_11use_defaultESE_EENS6_10device_ptrIaEENSG_IlEEPmS8_NS6_8equal_toIaEEEE10hipError_tPvRmT2_T3_mT4_T5_T6_T7_T8_P12ihipStream_tbENKUlT_T0_E_clISt17integral_constantIbLb1EES12_IbLb0EEEEDaSY_SZ_EUlSY_E_NS1_11comp_targetILNS1_3genE9ELNS1_11target_archE1100ELNS1_3gpuE3ELNS1_3repE0EEENS1_30default_config_static_selectorELNS0_4arch9wavefront6targetE1EEEvT1_.uses_vcc, 0
	.set _ZN7rocprim17ROCPRIM_400000_NS6detail17trampoline_kernelINS0_14default_configENS1_29reduce_by_key_config_selectorIalN6thrust23THRUST_200600_302600_NS4plusIlEEEEZZNS1_33reduce_by_key_impl_wrapped_configILNS1_25lookback_scan_determinismE0ES3_S9_PaNS6_17constant_iteratorIiNS6_11use_defaultESE_EENS6_10device_ptrIaEENSG_IlEEPmS8_NS6_8equal_toIaEEEE10hipError_tPvRmT2_T3_mT4_T5_T6_T7_T8_P12ihipStream_tbENKUlT_T0_E_clISt17integral_constantIbLb1EES12_IbLb0EEEEDaSY_SZ_EUlSY_E_NS1_11comp_targetILNS1_3genE9ELNS1_11target_archE1100ELNS1_3gpuE3ELNS1_3repE0EEENS1_30default_config_static_selectorELNS0_4arch9wavefront6targetE1EEEvT1_.uses_flat_scratch, 0
	.set _ZN7rocprim17ROCPRIM_400000_NS6detail17trampoline_kernelINS0_14default_configENS1_29reduce_by_key_config_selectorIalN6thrust23THRUST_200600_302600_NS4plusIlEEEEZZNS1_33reduce_by_key_impl_wrapped_configILNS1_25lookback_scan_determinismE0ES3_S9_PaNS6_17constant_iteratorIiNS6_11use_defaultESE_EENS6_10device_ptrIaEENSG_IlEEPmS8_NS6_8equal_toIaEEEE10hipError_tPvRmT2_T3_mT4_T5_T6_T7_T8_P12ihipStream_tbENKUlT_T0_E_clISt17integral_constantIbLb1EES12_IbLb0EEEEDaSY_SZ_EUlSY_E_NS1_11comp_targetILNS1_3genE9ELNS1_11target_archE1100ELNS1_3gpuE3ELNS1_3repE0EEENS1_30default_config_static_selectorELNS0_4arch9wavefront6targetE1EEEvT1_.has_dyn_sized_stack, 0
	.set _ZN7rocprim17ROCPRIM_400000_NS6detail17trampoline_kernelINS0_14default_configENS1_29reduce_by_key_config_selectorIalN6thrust23THRUST_200600_302600_NS4plusIlEEEEZZNS1_33reduce_by_key_impl_wrapped_configILNS1_25lookback_scan_determinismE0ES3_S9_PaNS6_17constant_iteratorIiNS6_11use_defaultESE_EENS6_10device_ptrIaEENSG_IlEEPmS8_NS6_8equal_toIaEEEE10hipError_tPvRmT2_T3_mT4_T5_T6_T7_T8_P12ihipStream_tbENKUlT_T0_E_clISt17integral_constantIbLb1EES12_IbLb0EEEEDaSY_SZ_EUlSY_E_NS1_11comp_targetILNS1_3genE9ELNS1_11target_archE1100ELNS1_3gpuE3ELNS1_3repE0EEENS1_30default_config_static_selectorELNS0_4arch9wavefront6targetE1EEEvT1_.has_recursion, 0
	.set _ZN7rocprim17ROCPRIM_400000_NS6detail17trampoline_kernelINS0_14default_configENS1_29reduce_by_key_config_selectorIalN6thrust23THRUST_200600_302600_NS4plusIlEEEEZZNS1_33reduce_by_key_impl_wrapped_configILNS1_25lookback_scan_determinismE0ES3_S9_PaNS6_17constant_iteratorIiNS6_11use_defaultESE_EENS6_10device_ptrIaEENSG_IlEEPmS8_NS6_8equal_toIaEEEE10hipError_tPvRmT2_T3_mT4_T5_T6_T7_T8_P12ihipStream_tbENKUlT_T0_E_clISt17integral_constantIbLb1EES12_IbLb0EEEEDaSY_SZ_EUlSY_E_NS1_11comp_targetILNS1_3genE9ELNS1_11target_archE1100ELNS1_3gpuE3ELNS1_3repE0EEENS1_30default_config_static_selectorELNS0_4arch9wavefront6targetE1EEEvT1_.has_indirect_call, 0
	.section	.AMDGPU.csdata,"",@progbits
; Kernel info:
; codeLenInByte = 0
; TotalNumSgprs: 4
; NumVgprs: 0
; ScratchSize: 0
; MemoryBound: 0
; FloatMode: 240
; IeeeMode: 1
; LDSByteSize: 0 bytes/workgroup (compile time only)
; SGPRBlocks: 0
; VGPRBlocks: 0
; NumSGPRsForWavesPerEU: 4
; NumVGPRsForWavesPerEU: 1
; Occupancy: 10
; WaveLimiterHint : 0
; COMPUTE_PGM_RSRC2:SCRATCH_EN: 0
; COMPUTE_PGM_RSRC2:USER_SGPR: 6
; COMPUTE_PGM_RSRC2:TRAP_HANDLER: 0
; COMPUTE_PGM_RSRC2:TGID_X_EN: 1
; COMPUTE_PGM_RSRC2:TGID_Y_EN: 0
; COMPUTE_PGM_RSRC2:TGID_Z_EN: 0
; COMPUTE_PGM_RSRC2:TIDIG_COMP_CNT: 0
	.section	.text._ZN7rocprim17ROCPRIM_400000_NS6detail17trampoline_kernelINS0_14default_configENS1_29reduce_by_key_config_selectorIalN6thrust23THRUST_200600_302600_NS4plusIlEEEEZZNS1_33reduce_by_key_impl_wrapped_configILNS1_25lookback_scan_determinismE0ES3_S9_PaNS6_17constant_iteratorIiNS6_11use_defaultESE_EENS6_10device_ptrIaEENSG_IlEEPmS8_NS6_8equal_toIaEEEE10hipError_tPvRmT2_T3_mT4_T5_T6_T7_T8_P12ihipStream_tbENKUlT_T0_E_clISt17integral_constantIbLb1EES12_IbLb0EEEEDaSY_SZ_EUlSY_E_NS1_11comp_targetILNS1_3genE8ELNS1_11target_archE1030ELNS1_3gpuE2ELNS1_3repE0EEENS1_30default_config_static_selectorELNS0_4arch9wavefront6targetE1EEEvT1_,"axG",@progbits,_ZN7rocprim17ROCPRIM_400000_NS6detail17trampoline_kernelINS0_14default_configENS1_29reduce_by_key_config_selectorIalN6thrust23THRUST_200600_302600_NS4plusIlEEEEZZNS1_33reduce_by_key_impl_wrapped_configILNS1_25lookback_scan_determinismE0ES3_S9_PaNS6_17constant_iteratorIiNS6_11use_defaultESE_EENS6_10device_ptrIaEENSG_IlEEPmS8_NS6_8equal_toIaEEEE10hipError_tPvRmT2_T3_mT4_T5_T6_T7_T8_P12ihipStream_tbENKUlT_T0_E_clISt17integral_constantIbLb1EES12_IbLb0EEEEDaSY_SZ_EUlSY_E_NS1_11comp_targetILNS1_3genE8ELNS1_11target_archE1030ELNS1_3gpuE2ELNS1_3repE0EEENS1_30default_config_static_selectorELNS0_4arch9wavefront6targetE1EEEvT1_,comdat
	.protected	_ZN7rocprim17ROCPRIM_400000_NS6detail17trampoline_kernelINS0_14default_configENS1_29reduce_by_key_config_selectorIalN6thrust23THRUST_200600_302600_NS4plusIlEEEEZZNS1_33reduce_by_key_impl_wrapped_configILNS1_25lookback_scan_determinismE0ES3_S9_PaNS6_17constant_iteratorIiNS6_11use_defaultESE_EENS6_10device_ptrIaEENSG_IlEEPmS8_NS6_8equal_toIaEEEE10hipError_tPvRmT2_T3_mT4_T5_T6_T7_T8_P12ihipStream_tbENKUlT_T0_E_clISt17integral_constantIbLb1EES12_IbLb0EEEEDaSY_SZ_EUlSY_E_NS1_11comp_targetILNS1_3genE8ELNS1_11target_archE1030ELNS1_3gpuE2ELNS1_3repE0EEENS1_30default_config_static_selectorELNS0_4arch9wavefront6targetE1EEEvT1_ ; -- Begin function _ZN7rocprim17ROCPRIM_400000_NS6detail17trampoline_kernelINS0_14default_configENS1_29reduce_by_key_config_selectorIalN6thrust23THRUST_200600_302600_NS4plusIlEEEEZZNS1_33reduce_by_key_impl_wrapped_configILNS1_25lookback_scan_determinismE0ES3_S9_PaNS6_17constant_iteratorIiNS6_11use_defaultESE_EENS6_10device_ptrIaEENSG_IlEEPmS8_NS6_8equal_toIaEEEE10hipError_tPvRmT2_T3_mT4_T5_T6_T7_T8_P12ihipStream_tbENKUlT_T0_E_clISt17integral_constantIbLb1EES12_IbLb0EEEEDaSY_SZ_EUlSY_E_NS1_11comp_targetILNS1_3genE8ELNS1_11target_archE1030ELNS1_3gpuE2ELNS1_3repE0EEENS1_30default_config_static_selectorELNS0_4arch9wavefront6targetE1EEEvT1_
	.globl	_ZN7rocprim17ROCPRIM_400000_NS6detail17trampoline_kernelINS0_14default_configENS1_29reduce_by_key_config_selectorIalN6thrust23THRUST_200600_302600_NS4plusIlEEEEZZNS1_33reduce_by_key_impl_wrapped_configILNS1_25lookback_scan_determinismE0ES3_S9_PaNS6_17constant_iteratorIiNS6_11use_defaultESE_EENS6_10device_ptrIaEENSG_IlEEPmS8_NS6_8equal_toIaEEEE10hipError_tPvRmT2_T3_mT4_T5_T6_T7_T8_P12ihipStream_tbENKUlT_T0_E_clISt17integral_constantIbLb1EES12_IbLb0EEEEDaSY_SZ_EUlSY_E_NS1_11comp_targetILNS1_3genE8ELNS1_11target_archE1030ELNS1_3gpuE2ELNS1_3repE0EEENS1_30default_config_static_selectorELNS0_4arch9wavefront6targetE1EEEvT1_
	.p2align	8
	.type	_ZN7rocprim17ROCPRIM_400000_NS6detail17trampoline_kernelINS0_14default_configENS1_29reduce_by_key_config_selectorIalN6thrust23THRUST_200600_302600_NS4plusIlEEEEZZNS1_33reduce_by_key_impl_wrapped_configILNS1_25lookback_scan_determinismE0ES3_S9_PaNS6_17constant_iteratorIiNS6_11use_defaultESE_EENS6_10device_ptrIaEENSG_IlEEPmS8_NS6_8equal_toIaEEEE10hipError_tPvRmT2_T3_mT4_T5_T6_T7_T8_P12ihipStream_tbENKUlT_T0_E_clISt17integral_constantIbLb1EES12_IbLb0EEEEDaSY_SZ_EUlSY_E_NS1_11comp_targetILNS1_3genE8ELNS1_11target_archE1030ELNS1_3gpuE2ELNS1_3repE0EEENS1_30default_config_static_selectorELNS0_4arch9wavefront6targetE1EEEvT1_,@function
_ZN7rocprim17ROCPRIM_400000_NS6detail17trampoline_kernelINS0_14default_configENS1_29reduce_by_key_config_selectorIalN6thrust23THRUST_200600_302600_NS4plusIlEEEEZZNS1_33reduce_by_key_impl_wrapped_configILNS1_25lookback_scan_determinismE0ES3_S9_PaNS6_17constant_iteratorIiNS6_11use_defaultESE_EENS6_10device_ptrIaEENSG_IlEEPmS8_NS6_8equal_toIaEEEE10hipError_tPvRmT2_T3_mT4_T5_T6_T7_T8_P12ihipStream_tbENKUlT_T0_E_clISt17integral_constantIbLb1EES12_IbLb0EEEEDaSY_SZ_EUlSY_E_NS1_11comp_targetILNS1_3genE8ELNS1_11target_archE1030ELNS1_3gpuE2ELNS1_3repE0EEENS1_30default_config_static_selectorELNS0_4arch9wavefront6targetE1EEEvT1_: ; @_ZN7rocprim17ROCPRIM_400000_NS6detail17trampoline_kernelINS0_14default_configENS1_29reduce_by_key_config_selectorIalN6thrust23THRUST_200600_302600_NS4plusIlEEEEZZNS1_33reduce_by_key_impl_wrapped_configILNS1_25lookback_scan_determinismE0ES3_S9_PaNS6_17constant_iteratorIiNS6_11use_defaultESE_EENS6_10device_ptrIaEENSG_IlEEPmS8_NS6_8equal_toIaEEEE10hipError_tPvRmT2_T3_mT4_T5_T6_T7_T8_P12ihipStream_tbENKUlT_T0_E_clISt17integral_constantIbLb1EES12_IbLb0EEEEDaSY_SZ_EUlSY_E_NS1_11comp_targetILNS1_3genE8ELNS1_11target_archE1030ELNS1_3gpuE2ELNS1_3repE0EEENS1_30default_config_static_selectorELNS0_4arch9wavefront6targetE1EEEvT1_
; %bb.0:
	.section	.rodata,"a",@progbits
	.p2align	6, 0x0
	.amdhsa_kernel _ZN7rocprim17ROCPRIM_400000_NS6detail17trampoline_kernelINS0_14default_configENS1_29reduce_by_key_config_selectorIalN6thrust23THRUST_200600_302600_NS4plusIlEEEEZZNS1_33reduce_by_key_impl_wrapped_configILNS1_25lookback_scan_determinismE0ES3_S9_PaNS6_17constant_iteratorIiNS6_11use_defaultESE_EENS6_10device_ptrIaEENSG_IlEEPmS8_NS6_8equal_toIaEEEE10hipError_tPvRmT2_T3_mT4_T5_T6_T7_T8_P12ihipStream_tbENKUlT_T0_E_clISt17integral_constantIbLb1EES12_IbLb0EEEEDaSY_SZ_EUlSY_E_NS1_11comp_targetILNS1_3genE8ELNS1_11target_archE1030ELNS1_3gpuE2ELNS1_3repE0EEENS1_30default_config_static_selectorELNS0_4arch9wavefront6targetE1EEEvT1_
		.amdhsa_group_segment_fixed_size 0
		.amdhsa_private_segment_fixed_size 0
		.amdhsa_kernarg_size 144
		.amdhsa_user_sgpr_count 6
		.amdhsa_user_sgpr_private_segment_buffer 1
		.amdhsa_user_sgpr_dispatch_ptr 0
		.amdhsa_user_sgpr_queue_ptr 0
		.amdhsa_user_sgpr_kernarg_segment_ptr 1
		.amdhsa_user_sgpr_dispatch_id 0
		.amdhsa_user_sgpr_flat_scratch_init 0
		.amdhsa_user_sgpr_private_segment_size 0
		.amdhsa_uses_dynamic_stack 0
		.amdhsa_system_sgpr_private_segment_wavefront_offset 0
		.amdhsa_system_sgpr_workgroup_id_x 1
		.amdhsa_system_sgpr_workgroup_id_y 0
		.amdhsa_system_sgpr_workgroup_id_z 0
		.amdhsa_system_sgpr_workgroup_info 0
		.amdhsa_system_vgpr_workitem_id 0
		.amdhsa_next_free_vgpr 1
		.amdhsa_next_free_sgpr 0
		.amdhsa_reserve_vcc 0
		.amdhsa_reserve_flat_scratch 0
		.amdhsa_float_round_mode_32 0
		.amdhsa_float_round_mode_16_64 0
		.amdhsa_float_denorm_mode_32 3
		.amdhsa_float_denorm_mode_16_64 3
		.amdhsa_dx10_clamp 1
		.amdhsa_ieee_mode 1
		.amdhsa_fp16_overflow 0
		.amdhsa_exception_fp_ieee_invalid_op 0
		.amdhsa_exception_fp_denorm_src 0
		.amdhsa_exception_fp_ieee_div_zero 0
		.amdhsa_exception_fp_ieee_overflow 0
		.amdhsa_exception_fp_ieee_underflow 0
		.amdhsa_exception_fp_ieee_inexact 0
		.amdhsa_exception_int_div_zero 0
	.end_amdhsa_kernel
	.section	.text._ZN7rocprim17ROCPRIM_400000_NS6detail17trampoline_kernelINS0_14default_configENS1_29reduce_by_key_config_selectorIalN6thrust23THRUST_200600_302600_NS4plusIlEEEEZZNS1_33reduce_by_key_impl_wrapped_configILNS1_25lookback_scan_determinismE0ES3_S9_PaNS6_17constant_iteratorIiNS6_11use_defaultESE_EENS6_10device_ptrIaEENSG_IlEEPmS8_NS6_8equal_toIaEEEE10hipError_tPvRmT2_T3_mT4_T5_T6_T7_T8_P12ihipStream_tbENKUlT_T0_E_clISt17integral_constantIbLb1EES12_IbLb0EEEEDaSY_SZ_EUlSY_E_NS1_11comp_targetILNS1_3genE8ELNS1_11target_archE1030ELNS1_3gpuE2ELNS1_3repE0EEENS1_30default_config_static_selectorELNS0_4arch9wavefront6targetE1EEEvT1_,"axG",@progbits,_ZN7rocprim17ROCPRIM_400000_NS6detail17trampoline_kernelINS0_14default_configENS1_29reduce_by_key_config_selectorIalN6thrust23THRUST_200600_302600_NS4plusIlEEEEZZNS1_33reduce_by_key_impl_wrapped_configILNS1_25lookback_scan_determinismE0ES3_S9_PaNS6_17constant_iteratorIiNS6_11use_defaultESE_EENS6_10device_ptrIaEENSG_IlEEPmS8_NS6_8equal_toIaEEEE10hipError_tPvRmT2_T3_mT4_T5_T6_T7_T8_P12ihipStream_tbENKUlT_T0_E_clISt17integral_constantIbLb1EES12_IbLb0EEEEDaSY_SZ_EUlSY_E_NS1_11comp_targetILNS1_3genE8ELNS1_11target_archE1030ELNS1_3gpuE2ELNS1_3repE0EEENS1_30default_config_static_selectorELNS0_4arch9wavefront6targetE1EEEvT1_,comdat
.Lfunc_end698:
	.size	_ZN7rocprim17ROCPRIM_400000_NS6detail17trampoline_kernelINS0_14default_configENS1_29reduce_by_key_config_selectorIalN6thrust23THRUST_200600_302600_NS4plusIlEEEEZZNS1_33reduce_by_key_impl_wrapped_configILNS1_25lookback_scan_determinismE0ES3_S9_PaNS6_17constant_iteratorIiNS6_11use_defaultESE_EENS6_10device_ptrIaEENSG_IlEEPmS8_NS6_8equal_toIaEEEE10hipError_tPvRmT2_T3_mT4_T5_T6_T7_T8_P12ihipStream_tbENKUlT_T0_E_clISt17integral_constantIbLb1EES12_IbLb0EEEEDaSY_SZ_EUlSY_E_NS1_11comp_targetILNS1_3genE8ELNS1_11target_archE1030ELNS1_3gpuE2ELNS1_3repE0EEENS1_30default_config_static_selectorELNS0_4arch9wavefront6targetE1EEEvT1_, .Lfunc_end698-_ZN7rocprim17ROCPRIM_400000_NS6detail17trampoline_kernelINS0_14default_configENS1_29reduce_by_key_config_selectorIalN6thrust23THRUST_200600_302600_NS4plusIlEEEEZZNS1_33reduce_by_key_impl_wrapped_configILNS1_25lookback_scan_determinismE0ES3_S9_PaNS6_17constant_iteratorIiNS6_11use_defaultESE_EENS6_10device_ptrIaEENSG_IlEEPmS8_NS6_8equal_toIaEEEE10hipError_tPvRmT2_T3_mT4_T5_T6_T7_T8_P12ihipStream_tbENKUlT_T0_E_clISt17integral_constantIbLb1EES12_IbLb0EEEEDaSY_SZ_EUlSY_E_NS1_11comp_targetILNS1_3genE8ELNS1_11target_archE1030ELNS1_3gpuE2ELNS1_3repE0EEENS1_30default_config_static_selectorELNS0_4arch9wavefront6targetE1EEEvT1_
                                        ; -- End function
	.set _ZN7rocprim17ROCPRIM_400000_NS6detail17trampoline_kernelINS0_14default_configENS1_29reduce_by_key_config_selectorIalN6thrust23THRUST_200600_302600_NS4plusIlEEEEZZNS1_33reduce_by_key_impl_wrapped_configILNS1_25lookback_scan_determinismE0ES3_S9_PaNS6_17constant_iteratorIiNS6_11use_defaultESE_EENS6_10device_ptrIaEENSG_IlEEPmS8_NS6_8equal_toIaEEEE10hipError_tPvRmT2_T3_mT4_T5_T6_T7_T8_P12ihipStream_tbENKUlT_T0_E_clISt17integral_constantIbLb1EES12_IbLb0EEEEDaSY_SZ_EUlSY_E_NS1_11comp_targetILNS1_3genE8ELNS1_11target_archE1030ELNS1_3gpuE2ELNS1_3repE0EEENS1_30default_config_static_selectorELNS0_4arch9wavefront6targetE1EEEvT1_.num_vgpr, 0
	.set _ZN7rocprim17ROCPRIM_400000_NS6detail17trampoline_kernelINS0_14default_configENS1_29reduce_by_key_config_selectorIalN6thrust23THRUST_200600_302600_NS4plusIlEEEEZZNS1_33reduce_by_key_impl_wrapped_configILNS1_25lookback_scan_determinismE0ES3_S9_PaNS6_17constant_iteratorIiNS6_11use_defaultESE_EENS6_10device_ptrIaEENSG_IlEEPmS8_NS6_8equal_toIaEEEE10hipError_tPvRmT2_T3_mT4_T5_T6_T7_T8_P12ihipStream_tbENKUlT_T0_E_clISt17integral_constantIbLb1EES12_IbLb0EEEEDaSY_SZ_EUlSY_E_NS1_11comp_targetILNS1_3genE8ELNS1_11target_archE1030ELNS1_3gpuE2ELNS1_3repE0EEENS1_30default_config_static_selectorELNS0_4arch9wavefront6targetE1EEEvT1_.num_agpr, 0
	.set _ZN7rocprim17ROCPRIM_400000_NS6detail17trampoline_kernelINS0_14default_configENS1_29reduce_by_key_config_selectorIalN6thrust23THRUST_200600_302600_NS4plusIlEEEEZZNS1_33reduce_by_key_impl_wrapped_configILNS1_25lookback_scan_determinismE0ES3_S9_PaNS6_17constant_iteratorIiNS6_11use_defaultESE_EENS6_10device_ptrIaEENSG_IlEEPmS8_NS6_8equal_toIaEEEE10hipError_tPvRmT2_T3_mT4_T5_T6_T7_T8_P12ihipStream_tbENKUlT_T0_E_clISt17integral_constantIbLb1EES12_IbLb0EEEEDaSY_SZ_EUlSY_E_NS1_11comp_targetILNS1_3genE8ELNS1_11target_archE1030ELNS1_3gpuE2ELNS1_3repE0EEENS1_30default_config_static_selectorELNS0_4arch9wavefront6targetE1EEEvT1_.numbered_sgpr, 0
	.set _ZN7rocprim17ROCPRIM_400000_NS6detail17trampoline_kernelINS0_14default_configENS1_29reduce_by_key_config_selectorIalN6thrust23THRUST_200600_302600_NS4plusIlEEEEZZNS1_33reduce_by_key_impl_wrapped_configILNS1_25lookback_scan_determinismE0ES3_S9_PaNS6_17constant_iteratorIiNS6_11use_defaultESE_EENS6_10device_ptrIaEENSG_IlEEPmS8_NS6_8equal_toIaEEEE10hipError_tPvRmT2_T3_mT4_T5_T6_T7_T8_P12ihipStream_tbENKUlT_T0_E_clISt17integral_constantIbLb1EES12_IbLb0EEEEDaSY_SZ_EUlSY_E_NS1_11comp_targetILNS1_3genE8ELNS1_11target_archE1030ELNS1_3gpuE2ELNS1_3repE0EEENS1_30default_config_static_selectorELNS0_4arch9wavefront6targetE1EEEvT1_.num_named_barrier, 0
	.set _ZN7rocprim17ROCPRIM_400000_NS6detail17trampoline_kernelINS0_14default_configENS1_29reduce_by_key_config_selectorIalN6thrust23THRUST_200600_302600_NS4plusIlEEEEZZNS1_33reduce_by_key_impl_wrapped_configILNS1_25lookback_scan_determinismE0ES3_S9_PaNS6_17constant_iteratorIiNS6_11use_defaultESE_EENS6_10device_ptrIaEENSG_IlEEPmS8_NS6_8equal_toIaEEEE10hipError_tPvRmT2_T3_mT4_T5_T6_T7_T8_P12ihipStream_tbENKUlT_T0_E_clISt17integral_constantIbLb1EES12_IbLb0EEEEDaSY_SZ_EUlSY_E_NS1_11comp_targetILNS1_3genE8ELNS1_11target_archE1030ELNS1_3gpuE2ELNS1_3repE0EEENS1_30default_config_static_selectorELNS0_4arch9wavefront6targetE1EEEvT1_.private_seg_size, 0
	.set _ZN7rocprim17ROCPRIM_400000_NS6detail17trampoline_kernelINS0_14default_configENS1_29reduce_by_key_config_selectorIalN6thrust23THRUST_200600_302600_NS4plusIlEEEEZZNS1_33reduce_by_key_impl_wrapped_configILNS1_25lookback_scan_determinismE0ES3_S9_PaNS6_17constant_iteratorIiNS6_11use_defaultESE_EENS6_10device_ptrIaEENSG_IlEEPmS8_NS6_8equal_toIaEEEE10hipError_tPvRmT2_T3_mT4_T5_T6_T7_T8_P12ihipStream_tbENKUlT_T0_E_clISt17integral_constantIbLb1EES12_IbLb0EEEEDaSY_SZ_EUlSY_E_NS1_11comp_targetILNS1_3genE8ELNS1_11target_archE1030ELNS1_3gpuE2ELNS1_3repE0EEENS1_30default_config_static_selectorELNS0_4arch9wavefront6targetE1EEEvT1_.uses_vcc, 0
	.set _ZN7rocprim17ROCPRIM_400000_NS6detail17trampoline_kernelINS0_14default_configENS1_29reduce_by_key_config_selectorIalN6thrust23THRUST_200600_302600_NS4plusIlEEEEZZNS1_33reduce_by_key_impl_wrapped_configILNS1_25lookback_scan_determinismE0ES3_S9_PaNS6_17constant_iteratorIiNS6_11use_defaultESE_EENS6_10device_ptrIaEENSG_IlEEPmS8_NS6_8equal_toIaEEEE10hipError_tPvRmT2_T3_mT4_T5_T6_T7_T8_P12ihipStream_tbENKUlT_T0_E_clISt17integral_constantIbLb1EES12_IbLb0EEEEDaSY_SZ_EUlSY_E_NS1_11comp_targetILNS1_3genE8ELNS1_11target_archE1030ELNS1_3gpuE2ELNS1_3repE0EEENS1_30default_config_static_selectorELNS0_4arch9wavefront6targetE1EEEvT1_.uses_flat_scratch, 0
	.set _ZN7rocprim17ROCPRIM_400000_NS6detail17trampoline_kernelINS0_14default_configENS1_29reduce_by_key_config_selectorIalN6thrust23THRUST_200600_302600_NS4plusIlEEEEZZNS1_33reduce_by_key_impl_wrapped_configILNS1_25lookback_scan_determinismE0ES3_S9_PaNS6_17constant_iteratorIiNS6_11use_defaultESE_EENS6_10device_ptrIaEENSG_IlEEPmS8_NS6_8equal_toIaEEEE10hipError_tPvRmT2_T3_mT4_T5_T6_T7_T8_P12ihipStream_tbENKUlT_T0_E_clISt17integral_constantIbLb1EES12_IbLb0EEEEDaSY_SZ_EUlSY_E_NS1_11comp_targetILNS1_3genE8ELNS1_11target_archE1030ELNS1_3gpuE2ELNS1_3repE0EEENS1_30default_config_static_selectorELNS0_4arch9wavefront6targetE1EEEvT1_.has_dyn_sized_stack, 0
	.set _ZN7rocprim17ROCPRIM_400000_NS6detail17trampoline_kernelINS0_14default_configENS1_29reduce_by_key_config_selectorIalN6thrust23THRUST_200600_302600_NS4plusIlEEEEZZNS1_33reduce_by_key_impl_wrapped_configILNS1_25lookback_scan_determinismE0ES3_S9_PaNS6_17constant_iteratorIiNS6_11use_defaultESE_EENS6_10device_ptrIaEENSG_IlEEPmS8_NS6_8equal_toIaEEEE10hipError_tPvRmT2_T3_mT4_T5_T6_T7_T8_P12ihipStream_tbENKUlT_T0_E_clISt17integral_constantIbLb1EES12_IbLb0EEEEDaSY_SZ_EUlSY_E_NS1_11comp_targetILNS1_3genE8ELNS1_11target_archE1030ELNS1_3gpuE2ELNS1_3repE0EEENS1_30default_config_static_selectorELNS0_4arch9wavefront6targetE1EEEvT1_.has_recursion, 0
	.set _ZN7rocprim17ROCPRIM_400000_NS6detail17trampoline_kernelINS0_14default_configENS1_29reduce_by_key_config_selectorIalN6thrust23THRUST_200600_302600_NS4plusIlEEEEZZNS1_33reduce_by_key_impl_wrapped_configILNS1_25lookback_scan_determinismE0ES3_S9_PaNS6_17constant_iteratorIiNS6_11use_defaultESE_EENS6_10device_ptrIaEENSG_IlEEPmS8_NS6_8equal_toIaEEEE10hipError_tPvRmT2_T3_mT4_T5_T6_T7_T8_P12ihipStream_tbENKUlT_T0_E_clISt17integral_constantIbLb1EES12_IbLb0EEEEDaSY_SZ_EUlSY_E_NS1_11comp_targetILNS1_3genE8ELNS1_11target_archE1030ELNS1_3gpuE2ELNS1_3repE0EEENS1_30default_config_static_selectorELNS0_4arch9wavefront6targetE1EEEvT1_.has_indirect_call, 0
	.section	.AMDGPU.csdata,"",@progbits
; Kernel info:
; codeLenInByte = 0
; TotalNumSgprs: 4
; NumVgprs: 0
; ScratchSize: 0
; MemoryBound: 0
; FloatMode: 240
; IeeeMode: 1
; LDSByteSize: 0 bytes/workgroup (compile time only)
; SGPRBlocks: 0
; VGPRBlocks: 0
; NumSGPRsForWavesPerEU: 4
; NumVGPRsForWavesPerEU: 1
; Occupancy: 10
; WaveLimiterHint : 0
; COMPUTE_PGM_RSRC2:SCRATCH_EN: 0
; COMPUTE_PGM_RSRC2:USER_SGPR: 6
; COMPUTE_PGM_RSRC2:TRAP_HANDLER: 0
; COMPUTE_PGM_RSRC2:TGID_X_EN: 1
; COMPUTE_PGM_RSRC2:TGID_Y_EN: 0
; COMPUTE_PGM_RSRC2:TGID_Z_EN: 0
; COMPUTE_PGM_RSRC2:TIDIG_COMP_CNT: 0
	.section	.text._ZN7rocprim17ROCPRIM_400000_NS6detail17trampoline_kernelINS0_14default_configENS1_29reduce_by_key_config_selectorIalN6thrust23THRUST_200600_302600_NS4plusIlEEEEZZNS1_33reduce_by_key_impl_wrapped_configILNS1_25lookback_scan_determinismE0ES3_S9_PaNS6_17constant_iteratorIiNS6_11use_defaultESE_EENS6_10device_ptrIaEENSG_IlEEPmS8_NS6_8equal_toIaEEEE10hipError_tPvRmT2_T3_mT4_T5_T6_T7_T8_P12ihipStream_tbENKUlT_T0_E_clISt17integral_constantIbLb0EES12_IbLb1EEEEDaSY_SZ_EUlSY_E_NS1_11comp_targetILNS1_3genE0ELNS1_11target_archE4294967295ELNS1_3gpuE0ELNS1_3repE0EEENS1_30default_config_static_selectorELNS0_4arch9wavefront6targetE1EEEvT1_,"axG",@progbits,_ZN7rocprim17ROCPRIM_400000_NS6detail17trampoline_kernelINS0_14default_configENS1_29reduce_by_key_config_selectorIalN6thrust23THRUST_200600_302600_NS4plusIlEEEEZZNS1_33reduce_by_key_impl_wrapped_configILNS1_25lookback_scan_determinismE0ES3_S9_PaNS6_17constant_iteratorIiNS6_11use_defaultESE_EENS6_10device_ptrIaEENSG_IlEEPmS8_NS6_8equal_toIaEEEE10hipError_tPvRmT2_T3_mT4_T5_T6_T7_T8_P12ihipStream_tbENKUlT_T0_E_clISt17integral_constantIbLb0EES12_IbLb1EEEEDaSY_SZ_EUlSY_E_NS1_11comp_targetILNS1_3genE0ELNS1_11target_archE4294967295ELNS1_3gpuE0ELNS1_3repE0EEENS1_30default_config_static_selectorELNS0_4arch9wavefront6targetE1EEEvT1_,comdat
	.protected	_ZN7rocprim17ROCPRIM_400000_NS6detail17trampoline_kernelINS0_14default_configENS1_29reduce_by_key_config_selectorIalN6thrust23THRUST_200600_302600_NS4plusIlEEEEZZNS1_33reduce_by_key_impl_wrapped_configILNS1_25lookback_scan_determinismE0ES3_S9_PaNS6_17constant_iteratorIiNS6_11use_defaultESE_EENS6_10device_ptrIaEENSG_IlEEPmS8_NS6_8equal_toIaEEEE10hipError_tPvRmT2_T3_mT4_T5_T6_T7_T8_P12ihipStream_tbENKUlT_T0_E_clISt17integral_constantIbLb0EES12_IbLb1EEEEDaSY_SZ_EUlSY_E_NS1_11comp_targetILNS1_3genE0ELNS1_11target_archE4294967295ELNS1_3gpuE0ELNS1_3repE0EEENS1_30default_config_static_selectorELNS0_4arch9wavefront6targetE1EEEvT1_ ; -- Begin function _ZN7rocprim17ROCPRIM_400000_NS6detail17trampoline_kernelINS0_14default_configENS1_29reduce_by_key_config_selectorIalN6thrust23THRUST_200600_302600_NS4plusIlEEEEZZNS1_33reduce_by_key_impl_wrapped_configILNS1_25lookback_scan_determinismE0ES3_S9_PaNS6_17constant_iteratorIiNS6_11use_defaultESE_EENS6_10device_ptrIaEENSG_IlEEPmS8_NS6_8equal_toIaEEEE10hipError_tPvRmT2_T3_mT4_T5_T6_T7_T8_P12ihipStream_tbENKUlT_T0_E_clISt17integral_constantIbLb0EES12_IbLb1EEEEDaSY_SZ_EUlSY_E_NS1_11comp_targetILNS1_3genE0ELNS1_11target_archE4294967295ELNS1_3gpuE0ELNS1_3repE0EEENS1_30default_config_static_selectorELNS0_4arch9wavefront6targetE1EEEvT1_
	.globl	_ZN7rocprim17ROCPRIM_400000_NS6detail17trampoline_kernelINS0_14default_configENS1_29reduce_by_key_config_selectorIalN6thrust23THRUST_200600_302600_NS4plusIlEEEEZZNS1_33reduce_by_key_impl_wrapped_configILNS1_25lookback_scan_determinismE0ES3_S9_PaNS6_17constant_iteratorIiNS6_11use_defaultESE_EENS6_10device_ptrIaEENSG_IlEEPmS8_NS6_8equal_toIaEEEE10hipError_tPvRmT2_T3_mT4_T5_T6_T7_T8_P12ihipStream_tbENKUlT_T0_E_clISt17integral_constantIbLb0EES12_IbLb1EEEEDaSY_SZ_EUlSY_E_NS1_11comp_targetILNS1_3genE0ELNS1_11target_archE4294967295ELNS1_3gpuE0ELNS1_3repE0EEENS1_30default_config_static_selectorELNS0_4arch9wavefront6targetE1EEEvT1_
	.p2align	8
	.type	_ZN7rocprim17ROCPRIM_400000_NS6detail17trampoline_kernelINS0_14default_configENS1_29reduce_by_key_config_selectorIalN6thrust23THRUST_200600_302600_NS4plusIlEEEEZZNS1_33reduce_by_key_impl_wrapped_configILNS1_25lookback_scan_determinismE0ES3_S9_PaNS6_17constant_iteratorIiNS6_11use_defaultESE_EENS6_10device_ptrIaEENSG_IlEEPmS8_NS6_8equal_toIaEEEE10hipError_tPvRmT2_T3_mT4_T5_T6_T7_T8_P12ihipStream_tbENKUlT_T0_E_clISt17integral_constantIbLb0EES12_IbLb1EEEEDaSY_SZ_EUlSY_E_NS1_11comp_targetILNS1_3genE0ELNS1_11target_archE4294967295ELNS1_3gpuE0ELNS1_3repE0EEENS1_30default_config_static_selectorELNS0_4arch9wavefront6targetE1EEEvT1_,@function
_ZN7rocprim17ROCPRIM_400000_NS6detail17trampoline_kernelINS0_14default_configENS1_29reduce_by_key_config_selectorIalN6thrust23THRUST_200600_302600_NS4plusIlEEEEZZNS1_33reduce_by_key_impl_wrapped_configILNS1_25lookback_scan_determinismE0ES3_S9_PaNS6_17constant_iteratorIiNS6_11use_defaultESE_EENS6_10device_ptrIaEENSG_IlEEPmS8_NS6_8equal_toIaEEEE10hipError_tPvRmT2_T3_mT4_T5_T6_T7_T8_P12ihipStream_tbENKUlT_T0_E_clISt17integral_constantIbLb0EES12_IbLb1EEEEDaSY_SZ_EUlSY_E_NS1_11comp_targetILNS1_3genE0ELNS1_11target_archE4294967295ELNS1_3gpuE0ELNS1_3repE0EEENS1_30default_config_static_selectorELNS0_4arch9wavefront6targetE1EEEvT1_: ; @_ZN7rocprim17ROCPRIM_400000_NS6detail17trampoline_kernelINS0_14default_configENS1_29reduce_by_key_config_selectorIalN6thrust23THRUST_200600_302600_NS4plusIlEEEEZZNS1_33reduce_by_key_impl_wrapped_configILNS1_25lookback_scan_determinismE0ES3_S9_PaNS6_17constant_iteratorIiNS6_11use_defaultESE_EENS6_10device_ptrIaEENSG_IlEEPmS8_NS6_8equal_toIaEEEE10hipError_tPvRmT2_T3_mT4_T5_T6_T7_T8_P12ihipStream_tbENKUlT_T0_E_clISt17integral_constantIbLb0EES12_IbLb1EEEEDaSY_SZ_EUlSY_E_NS1_11comp_targetILNS1_3genE0ELNS1_11target_archE4294967295ELNS1_3gpuE0ELNS1_3repE0EEENS1_30default_config_static_selectorELNS0_4arch9wavefront6targetE1EEEvT1_
; %bb.0:
	.section	.rodata,"a",@progbits
	.p2align	6, 0x0
	.amdhsa_kernel _ZN7rocprim17ROCPRIM_400000_NS6detail17trampoline_kernelINS0_14default_configENS1_29reduce_by_key_config_selectorIalN6thrust23THRUST_200600_302600_NS4plusIlEEEEZZNS1_33reduce_by_key_impl_wrapped_configILNS1_25lookback_scan_determinismE0ES3_S9_PaNS6_17constant_iteratorIiNS6_11use_defaultESE_EENS6_10device_ptrIaEENSG_IlEEPmS8_NS6_8equal_toIaEEEE10hipError_tPvRmT2_T3_mT4_T5_T6_T7_T8_P12ihipStream_tbENKUlT_T0_E_clISt17integral_constantIbLb0EES12_IbLb1EEEEDaSY_SZ_EUlSY_E_NS1_11comp_targetILNS1_3genE0ELNS1_11target_archE4294967295ELNS1_3gpuE0ELNS1_3repE0EEENS1_30default_config_static_selectorELNS0_4arch9wavefront6targetE1EEEvT1_
		.amdhsa_group_segment_fixed_size 0
		.amdhsa_private_segment_fixed_size 0
		.amdhsa_kernarg_size 144
		.amdhsa_user_sgpr_count 6
		.amdhsa_user_sgpr_private_segment_buffer 1
		.amdhsa_user_sgpr_dispatch_ptr 0
		.amdhsa_user_sgpr_queue_ptr 0
		.amdhsa_user_sgpr_kernarg_segment_ptr 1
		.amdhsa_user_sgpr_dispatch_id 0
		.amdhsa_user_sgpr_flat_scratch_init 0
		.amdhsa_user_sgpr_private_segment_size 0
		.amdhsa_uses_dynamic_stack 0
		.amdhsa_system_sgpr_private_segment_wavefront_offset 0
		.amdhsa_system_sgpr_workgroup_id_x 1
		.amdhsa_system_sgpr_workgroup_id_y 0
		.amdhsa_system_sgpr_workgroup_id_z 0
		.amdhsa_system_sgpr_workgroup_info 0
		.amdhsa_system_vgpr_workitem_id 0
		.amdhsa_next_free_vgpr 1
		.amdhsa_next_free_sgpr 0
		.amdhsa_reserve_vcc 0
		.amdhsa_reserve_flat_scratch 0
		.amdhsa_float_round_mode_32 0
		.amdhsa_float_round_mode_16_64 0
		.amdhsa_float_denorm_mode_32 3
		.amdhsa_float_denorm_mode_16_64 3
		.amdhsa_dx10_clamp 1
		.amdhsa_ieee_mode 1
		.amdhsa_fp16_overflow 0
		.amdhsa_exception_fp_ieee_invalid_op 0
		.amdhsa_exception_fp_denorm_src 0
		.amdhsa_exception_fp_ieee_div_zero 0
		.amdhsa_exception_fp_ieee_overflow 0
		.amdhsa_exception_fp_ieee_underflow 0
		.amdhsa_exception_fp_ieee_inexact 0
		.amdhsa_exception_int_div_zero 0
	.end_amdhsa_kernel
	.section	.text._ZN7rocprim17ROCPRIM_400000_NS6detail17trampoline_kernelINS0_14default_configENS1_29reduce_by_key_config_selectorIalN6thrust23THRUST_200600_302600_NS4plusIlEEEEZZNS1_33reduce_by_key_impl_wrapped_configILNS1_25lookback_scan_determinismE0ES3_S9_PaNS6_17constant_iteratorIiNS6_11use_defaultESE_EENS6_10device_ptrIaEENSG_IlEEPmS8_NS6_8equal_toIaEEEE10hipError_tPvRmT2_T3_mT4_T5_T6_T7_T8_P12ihipStream_tbENKUlT_T0_E_clISt17integral_constantIbLb0EES12_IbLb1EEEEDaSY_SZ_EUlSY_E_NS1_11comp_targetILNS1_3genE0ELNS1_11target_archE4294967295ELNS1_3gpuE0ELNS1_3repE0EEENS1_30default_config_static_selectorELNS0_4arch9wavefront6targetE1EEEvT1_,"axG",@progbits,_ZN7rocprim17ROCPRIM_400000_NS6detail17trampoline_kernelINS0_14default_configENS1_29reduce_by_key_config_selectorIalN6thrust23THRUST_200600_302600_NS4plusIlEEEEZZNS1_33reduce_by_key_impl_wrapped_configILNS1_25lookback_scan_determinismE0ES3_S9_PaNS6_17constant_iteratorIiNS6_11use_defaultESE_EENS6_10device_ptrIaEENSG_IlEEPmS8_NS6_8equal_toIaEEEE10hipError_tPvRmT2_T3_mT4_T5_T6_T7_T8_P12ihipStream_tbENKUlT_T0_E_clISt17integral_constantIbLb0EES12_IbLb1EEEEDaSY_SZ_EUlSY_E_NS1_11comp_targetILNS1_3genE0ELNS1_11target_archE4294967295ELNS1_3gpuE0ELNS1_3repE0EEENS1_30default_config_static_selectorELNS0_4arch9wavefront6targetE1EEEvT1_,comdat
.Lfunc_end699:
	.size	_ZN7rocprim17ROCPRIM_400000_NS6detail17trampoline_kernelINS0_14default_configENS1_29reduce_by_key_config_selectorIalN6thrust23THRUST_200600_302600_NS4plusIlEEEEZZNS1_33reduce_by_key_impl_wrapped_configILNS1_25lookback_scan_determinismE0ES3_S9_PaNS6_17constant_iteratorIiNS6_11use_defaultESE_EENS6_10device_ptrIaEENSG_IlEEPmS8_NS6_8equal_toIaEEEE10hipError_tPvRmT2_T3_mT4_T5_T6_T7_T8_P12ihipStream_tbENKUlT_T0_E_clISt17integral_constantIbLb0EES12_IbLb1EEEEDaSY_SZ_EUlSY_E_NS1_11comp_targetILNS1_3genE0ELNS1_11target_archE4294967295ELNS1_3gpuE0ELNS1_3repE0EEENS1_30default_config_static_selectorELNS0_4arch9wavefront6targetE1EEEvT1_, .Lfunc_end699-_ZN7rocprim17ROCPRIM_400000_NS6detail17trampoline_kernelINS0_14default_configENS1_29reduce_by_key_config_selectorIalN6thrust23THRUST_200600_302600_NS4plusIlEEEEZZNS1_33reduce_by_key_impl_wrapped_configILNS1_25lookback_scan_determinismE0ES3_S9_PaNS6_17constant_iteratorIiNS6_11use_defaultESE_EENS6_10device_ptrIaEENSG_IlEEPmS8_NS6_8equal_toIaEEEE10hipError_tPvRmT2_T3_mT4_T5_T6_T7_T8_P12ihipStream_tbENKUlT_T0_E_clISt17integral_constantIbLb0EES12_IbLb1EEEEDaSY_SZ_EUlSY_E_NS1_11comp_targetILNS1_3genE0ELNS1_11target_archE4294967295ELNS1_3gpuE0ELNS1_3repE0EEENS1_30default_config_static_selectorELNS0_4arch9wavefront6targetE1EEEvT1_
                                        ; -- End function
	.set _ZN7rocprim17ROCPRIM_400000_NS6detail17trampoline_kernelINS0_14default_configENS1_29reduce_by_key_config_selectorIalN6thrust23THRUST_200600_302600_NS4plusIlEEEEZZNS1_33reduce_by_key_impl_wrapped_configILNS1_25lookback_scan_determinismE0ES3_S9_PaNS6_17constant_iteratorIiNS6_11use_defaultESE_EENS6_10device_ptrIaEENSG_IlEEPmS8_NS6_8equal_toIaEEEE10hipError_tPvRmT2_T3_mT4_T5_T6_T7_T8_P12ihipStream_tbENKUlT_T0_E_clISt17integral_constantIbLb0EES12_IbLb1EEEEDaSY_SZ_EUlSY_E_NS1_11comp_targetILNS1_3genE0ELNS1_11target_archE4294967295ELNS1_3gpuE0ELNS1_3repE0EEENS1_30default_config_static_selectorELNS0_4arch9wavefront6targetE1EEEvT1_.num_vgpr, 0
	.set _ZN7rocprim17ROCPRIM_400000_NS6detail17trampoline_kernelINS0_14default_configENS1_29reduce_by_key_config_selectorIalN6thrust23THRUST_200600_302600_NS4plusIlEEEEZZNS1_33reduce_by_key_impl_wrapped_configILNS1_25lookback_scan_determinismE0ES3_S9_PaNS6_17constant_iteratorIiNS6_11use_defaultESE_EENS6_10device_ptrIaEENSG_IlEEPmS8_NS6_8equal_toIaEEEE10hipError_tPvRmT2_T3_mT4_T5_T6_T7_T8_P12ihipStream_tbENKUlT_T0_E_clISt17integral_constantIbLb0EES12_IbLb1EEEEDaSY_SZ_EUlSY_E_NS1_11comp_targetILNS1_3genE0ELNS1_11target_archE4294967295ELNS1_3gpuE0ELNS1_3repE0EEENS1_30default_config_static_selectorELNS0_4arch9wavefront6targetE1EEEvT1_.num_agpr, 0
	.set _ZN7rocprim17ROCPRIM_400000_NS6detail17trampoline_kernelINS0_14default_configENS1_29reduce_by_key_config_selectorIalN6thrust23THRUST_200600_302600_NS4plusIlEEEEZZNS1_33reduce_by_key_impl_wrapped_configILNS1_25lookback_scan_determinismE0ES3_S9_PaNS6_17constant_iteratorIiNS6_11use_defaultESE_EENS6_10device_ptrIaEENSG_IlEEPmS8_NS6_8equal_toIaEEEE10hipError_tPvRmT2_T3_mT4_T5_T6_T7_T8_P12ihipStream_tbENKUlT_T0_E_clISt17integral_constantIbLb0EES12_IbLb1EEEEDaSY_SZ_EUlSY_E_NS1_11comp_targetILNS1_3genE0ELNS1_11target_archE4294967295ELNS1_3gpuE0ELNS1_3repE0EEENS1_30default_config_static_selectorELNS0_4arch9wavefront6targetE1EEEvT1_.numbered_sgpr, 0
	.set _ZN7rocprim17ROCPRIM_400000_NS6detail17trampoline_kernelINS0_14default_configENS1_29reduce_by_key_config_selectorIalN6thrust23THRUST_200600_302600_NS4plusIlEEEEZZNS1_33reduce_by_key_impl_wrapped_configILNS1_25lookback_scan_determinismE0ES3_S9_PaNS6_17constant_iteratorIiNS6_11use_defaultESE_EENS6_10device_ptrIaEENSG_IlEEPmS8_NS6_8equal_toIaEEEE10hipError_tPvRmT2_T3_mT4_T5_T6_T7_T8_P12ihipStream_tbENKUlT_T0_E_clISt17integral_constantIbLb0EES12_IbLb1EEEEDaSY_SZ_EUlSY_E_NS1_11comp_targetILNS1_3genE0ELNS1_11target_archE4294967295ELNS1_3gpuE0ELNS1_3repE0EEENS1_30default_config_static_selectorELNS0_4arch9wavefront6targetE1EEEvT1_.num_named_barrier, 0
	.set _ZN7rocprim17ROCPRIM_400000_NS6detail17trampoline_kernelINS0_14default_configENS1_29reduce_by_key_config_selectorIalN6thrust23THRUST_200600_302600_NS4plusIlEEEEZZNS1_33reduce_by_key_impl_wrapped_configILNS1_25lookback_scan_determinismE0ES3_S9_PaNS6_17constant_iteratorIiNS6_11use_defaultESE_EENS6_10device_ptrIaEENSG_IlEEPmS8_NS6_8equal_toIaEEEE10hipError_tPvRmT2_T3_mT4_T5_T6_T7_T8_P12ihipStream_tbENKUlT_T0_E_clISt17integral_constantIbLb0EES12_IbLb1EEEEDaSY_SZ_EUlSY_E_NS1_11comp_targetILNS1_3genE0ELNS1_11target_archE4294967295ELNS1_3gpuE0ELNS1_3repE0EEENS1_30default_config_static_selectorELNS0_4arch9wavefront6targetE1EEEvT1_.private_seg_size, 0
	.set _ZN7rocprim17ROCPRIM_400000_NS6detail17trampoline_kernelINS0_14default_configENS1_29reduce_by_key_config_selectorIalN6thrust23THRUST_200600_302600_NS4plusIlEEEEZZNS1_33reduce_by_key_impl_wrapped_configILNS1_25lookback_scan_determinismE0ES3_S9_PaNS6_17constant_iteratorIiNS6_11use_defaultESE_EENS6_10device_ptrIaEENSG_IlEEPmS8_NS6_8equal_toIaEEEE10hipError_tPvRmT2_T3_mT4_T5_T6_T7_T8_P12ihipStream_tbENKUlT_T0_E_clISt17integral_constantIbLb0EES12_IbLb1EEEEDaSY_SZ_EUlSY_E_NS1_11comp_targetILNS1_3genE0ELNS1_11target_archE4294967295ELNS1_3gpuE0ELNS1_3repE0EEENS1_30default_config_static_selectorELNS0_4arch9wavefront6targetE1EEEvT1_.uses_vcc, 0
	.set _ZN7rocprim17ROCPRIM_400000_NS6detail17trampoline_kernelINS0_14default_configENS1_29reduce_by_key_config_selectorIalN6thrust23THRUST_200600_302600_NS4plusIlEEEEZZNS1_33reduce_by_key_impl_wrapped_configILNS1_25lookback_scan_determinismE0ES3_S9_PaNS6_17constant_iteratorIiNS6_11use_defaultESE_EENS6_10device_ptrIaEENSG_IlEEPmS8_NS6_8equal_toIaEEEE10hipError_tPvRmT2_T3_mT4_T5_T6_T7_T8_P12ihipStream_tbENKUlT_T0_E_clISt17integral_constantIbLb0EES12_IbLb1EEEEDaSY_SZ_EUlSY_E_NS1_11comp_targetILNS1_3genE0ELNS1_11target_archE4294967295ELNS1_3gpuE0ELNS1_3repE0EEENS1_30default_config_static_selectorELNS0_4arch9wavefront6targetE1EEEvT1_.uses_flat_scratch, 0
	.set _ZN7rocprim17ROCPRIM_400000_NS6detail17trampoline_kernelINS0_14default_configENS1_29reduce_by_key_config_selectorIalN6thrust23THRUST_200600_302600_NS4plusIlEEEEZZNS1_33reduce_by_key_impl_wrapped_configILNS1_25lookback_scan_determinismE0ES3_S9_PaNS6_17constant_iteratorIiNS6_11use_defaultESE_EENS6_10device_ptrIaEENSG_IlEEPmS8_NS6_8equal_toIaEEEE10hipError_tPvRmT2_T3_mT4_T5_T6_T7_T8_P12ihipStream_tbENKUlT_T0_E_clISt17integral_constantIbLb0EES12_IbLb1EEEEDaSY_SZ_EUlSY_E_NS1_11comp_targetILNS1_3genE0ELNS1_11target_archE4294967295ELNS1_3gpuE0ELNS1_3repE0EEENS1_30default_config_static_selectorELNS0_4arch9wavefront6targetE1EEEvT1_.has_dyn_sized_stack, 0
	.set _ZN7rocprim17ROCPRIM_400000_NS6detail17trampoline_kernelINS0_14default_configENS1_29reduce_by_key_config_selectorIalN6thrust23THRUST_200600_302600_NS4plusIlEEEEZZNS1_33reduce_by_key_impl_wrapped_configILNS1_25lookback_scan_determinismE0ES3_S9_PaNS6_17constant_iteratorIiNS6_11use_defaultESE_EENS6_10device_ptrIaEENSG_IlEEPmS8_NS6_8equal_toIaEEEE10hipError_tPvRmT2_T3_mT4_T5_T6_T7_T8_P12ihipStream_tbENKUlT_T0_E_clISt17integral_constantIbLb0EES12_IbLb1EEEEDaSY_SZ_EUlSY_E_NS1_11comp_targetILNS1_3genE0ELNS1_11target_archE4294967295ELNS1_3gpuE0ELNS1_3repE0EEENS1_30default_config_static_selectorELNS0_4arch9wavefront6targetE1EEEvT1_.has_recursion, 0
	.set _ZN7rocprim17ROCPRIM_400000_NS6detail17trampoline_kernelINS0_14default_configENS1_29reduce_by_key_config_selectorIalN6thrust23THRUST_200600_302600_NS4plusIlEEEEZZNS1_33reduce_by_key_impl_wrapped_configILNS1_25lookback_scan_determinismE0ES3_S9_PaNS6_17constant_iteratorIiNS6_11use_defaultESE_EENS6_10device_ptrIaEENSG_IlEEPmS8_NS6_8equal_toIaEEEE10hipError_tPvRmT2_T3_mT4_T5_T6_T7_T8_P12ihipStream_tbENKUlT_T0_E_clISt17integral_constantIbLb0EES12_IbLb1EEEEDaSY_SZ_EUlSY_E_NS1_11comp_targetILNS1_3genE0ELNS1_11target_archE4294967295ELNS1_3gpuE0ELNS1_3repE0EEENS1_30default_config_static_selectorELNS0_4arch9wavefront6targetE1EEEvT1_.has_indirect_call, 0
	.section	.AMDGPU.csdata,"",@progbits
; Kernel info:
; codeLenInByte = 0
; TotalNumSgprs: 4
; NumVgprs: 0
; ScratchSize: 0
; MemoryBound: 0
; FloatMode: 240
; IeeeMode: 1
; LDSByteSize: 0 bytes/workgroup (compile time only)
; SGPRBlocks: 0
; VGPRBlocks: 0
; NumSGPRsForWavesPerEU: 4
; NumVGPRsForWavesPerEU: 1
; Occupancy: 10
; WaveLimiterHint : 0
; COMPUTE_PGM_RSRC2:SCRATCH_EN: 0
; COMPUTE_PGM_RSRC2:USER_SGPR: 6
; COMPUTE_PGM_RSRC2:TRAP_HANDLER: 0
; COMPUTE_PGM_RSRC2:TGID_X_EN: 1
; COMPUTE_PGM_RSRC2:TGID_Y_EN: 0
; COMPUTE_PGM_RSRC2:TGID_Z_EN: 0
; COMPUTE_PGM_RSRC2:TIDIG_COMP_CNT: 0
	.section	.text._ZN7rocprim17ROCPRIM_400000_NS6detail17trampoline_kernelINS0_14default_configENS1_29reduce_by_key_config_selectorIalN6thrust23THRUST_200600_302600_NS4plusIlEEEEZZNS1_33reduce_by_key_impl_wrapped_configILNS1_25lookback_scan_determinismE0ES3_S9_PaNS6_17constant_iteratorIiNS6_11use_defaultESE_EENS6_10device_ptrIaEENSG_IlEEPmS8_NS6_8equal_toIaEEEE10hipError_tPvRmT2_T3_mT4_T5_T6_T7_T8_P12ihipStream_tbENKUlT_T0_E_clISt17integral_constantIbLb0EES12_IbLb1EEEEDaSY_SZ_EUlSY_E_NS1_11comp_targetILNS1_3genE5ELNS1_11target_archE942ELNS1_3gpuE9ELNS1_3repE0EEENS1_30default_config_static_selectorELNS0_4arch9wavefront6targetE1EEEvT1_,"axG",@progbits,_ZN7rocprim17ROCPRIM_400000_NS6detail17trampoline_kernelINS0_14default_configENS1_29reduce_by_key_config_selectorIalN6thrust23THRUST_200600_302600_NS4plusIlEEEEZZNS1_33reduce_by_key_impl_wrapped_configILNS1_25lookback_scan_determinismE0ES3_S9_PaNS6_17constant_iteratorIiNS6_11use_defaultESE_EENS6_10device_ptrIaEENSG_IlEEPmS8_NS6_8equal_toIaEEEE10hipError_tPvRmT2_T3_mT4_T5_T6_T7_T8_P12ihipStream_tbENKUlT_T0_E_clISt17integral_constantIbLb0EES12_IbLb1EEEEDaSY_SZ_EUlSY_E_NS1_11comp_targetILNS1_3genE5ELNS1_11target_archE942ELNS1_3gpuE9ELNS1_3repE0EEENS1_30default_config_static_selectorELNS0_4arch9wavefront6targetE1EEEvT1_,comdat
	.protected	_ZN7rocprim17ROCPRIM_400000_NS6detail17trampoline_kernelINS0_14default_configENS1_29reduce_by_key_config_selectorIalN6thrust23THRUST_200600_302600_NS4plusIlEEEEZZNS1_33reduce_by_key_impl_wrapped_configILNS1_25lookback_scan_determinismE0ES3_S9_PaNS6_17constant_iteratorIiNS6_11use_defaultESE_EENS6_10device_ptrIaEENSG_IlEEPmS8_NS6_8equal_toIaEEEE10hipError_tPvRmT2_T3_mT4_T5_T6_T7_T8_P12ihipStream_tbENKUlT_T0_E_clISt17integral_constantIbLb0EES12_IbLb1EEEEDaSY_SZ_EUlSY_E_NS1_11comp_targetILNS1_3genE5ELNS1_11target_archE942ELNS1_3gpuE9ELNS1_3repE0EEENS1_30default_config_static_selectorELNS0_4arch9wavefront6targetE1EEEvT1_ ; -- Begin function _ZN7rocprim17ROCPRIM_400000_NS6detail17trampoline_kernelINS0_14default_configENS1_29reduce_by_key_config_selectorIalN6thrust23THRUST_200600_302600_NS4plusIlEEEEZZNS1_33reduce_by_key_impl_wrapped_configILNS1_25lookback_scan_determinismE0ES3_S9_PaNS6_17constant_iteratorIiNS6_11use_defaultESE_EENS6_10device_ptrIaEENSG_IlEEPmS8_NS6_8equal_toIaEEEE10hipError_tPvRmT2_T3_mT4_T5_T6_T7_T8_P12ihipStream_tbENKUlT_T0_E_clISt17integral_constantIbLb0EES12_IbLb1EEEEDaSY_SZ_EUlSY_E_NS1_11comp_targetILNS1_3genE5ELNS1_11target_archE942ELNS1_3gpuE9ELNS1_3repE0EEENS1_30default_config_static_selectorELNS0_4arch9wavefront6targetE1EEEvT1_
	.globl	_ZN7rocprim17ROCPRIM_400000_NS6detail17trampoline_kernelINS0_14default_configENS1_29reduce_by_key_config_selectorIalN6thrust23THRUST_200600_302600_NS4plusIlEEEEZZNS1_33reduce_by_key_impl_wrapped_configILNS1_25lookback_scan_determinismE0ES3_S9_PaNS6_17constant_iteratorIiNS6_11use_defaultESE_EENS6_10device_ptrIaEENSG_IlEEPmS8_NS6_8equal_toIaEEEE10hipError_tPvRmT2_T3_mT4_T5_T6_T7_T8_P12ihipStream_tbENKUlT_T0_E_clISt17integral_constantIbLb0EES12_IbLb1EEEEDaSY_SZ_EUlSY_E_NS1_11comp_targetILNS1_3genE5ELNS1_11target_archE942ELNS1_3gpuE9ELNS1_3repE0EEENS1_30default_config_static_selectorELNS0_4arch9wavefront6targetE1EEEvT1_
	.p2align	8
	.type	_ZN7rocprim17ROCPRIM_400000_NS6detail17trampoline_kernelINS0_14default_configENS1_29reduce_by_key_config_selectorIalN6thrust23THRUST_200600_302600_NS4plusIlEEEEZZNS1_33reduce_by_key_impl_wrapped_configILNS1_25lookback_scan_determinismE0ES3_S9_PaNS6_17constant_iteratorIiNS6_11use_defaultESE_EENS6_10device_ptrIaEENSG_IlEEPmS8_NS6_8equal_toIaEEEE10hipError_tPvRmT2_T3_mT4_T5_T6_T7_T8_P12ihipStream_tbENKUlT_T0_E_clISt17integral_constantIbLb0EES12_IbLb1EEEEDaSY_SZ_EUlSY_E_NS1_11comp_targetILNS1_3genE5ELNS1_11target_archE942ELNS1_3gpuE9ELNS1_3repE0EEENS1_30default_config_static_selectorELNS0_4arch9wavefront6targetE1EEEvT1_,@function
_ZN7rocprim17ROCPRIM_400000_NS6detail17trampoline_kernelINS0_14default_configENS1_29reduce_by_key_config_selectorIalN6thrust23THRUST_200600_302600_NS4plusIlEEEEZZNS1_33reduce_by_key_impl_wrapped_configILNS1_25lookback_scan_determinismE0ES3_S9_PaNS6_17constant_iteratorIiNS6_11use_defaultESE_EENS6_10device_ptrIaEENSG_IlEEPmS8_NS6_8equal_toIaEEEE10hipError_tPvRmT2_T3_mT4_T5_T6_T7_T8_P12ihipStream_tbENKUlT_T0_E_clISt17integral_constantIbLb0EES12_IbLb1EEEEDaSY_SZ_EUlSY_E_NS1_11comp_targetILNS1_3genE5ELNS1_11target_archE942ELNS1_3gpuE9ELNS1_3repE0EEENS1_30default_config_static_selectorELNS0_4arch9wavefront6targetE1EEEvT1_: ; @_ZN7rocprim17ROCPRIM_400000_NS6detail17trampoline_kernelINS0_14default_configENS1_29reduce_by_key_config_selectorIalN6thrust23THRUST_200600_302600_NS4plusIlEEEEZZNS1_33reduce_by_key_impl_wrapped_configILNS1_25lookback_scan_determinismE0ES3_S9_PaNS6_17constant_iteratorIiNS6_11use_defaultESE_EENS6_10device_ptrIaEENSG_IlEEPmS8_NS6_8equal_toIaEEEE10hipError_tPvRmT2_T3_mT4_T5_T6_T7_T8_P12ihipStream_tbENKUlT_T0_E_clISt17integral_constantIbLb0EES12_IbLb1EEEEDaSY_SZ_EUlSY_E_NS1_11comp_targetILNS1_3genE5ELNS1_11target_archE942ELNS1_3gpuE9ELNS1_3repE0EEENS1_30default_config_static_selectorELNS0_4arch9wavefront6targetE1EEEvT1_
; %bb.0:
	.section	.rodata,"a",@progbits
	.p2align	6, 0x0
	.amdhsa_kernel _ZN7rocprim17ROCPRIM_400000_NS6detail17trampoline_kernelINS0_14default_configENS1_29reduce_by_key_config_selectorIalN6thrust23THRUST_200600_302600_NS4plusIlEEEEZZNS1_33reduce_by_key_impl_wrapped_configILNS1_25lookback_scan_determinismE0ES3_S9_PaNS6_17constant_iteratorIiNS6_11use_defaultESE_EENS6_10device_ptrIaEENSG_IlEEPmS8_NS6_8equal_toIaEEEE10hipError_tPvRmT2_T3_mT4_T5_T6_T7_T8_P12ihipStream_tbENKUlT_T0_E_clISt17integral_constantIbLb0EES12_IbLb1EEEEDaSY_SZ_EUlSY_E_NS1_11comp_targetILNS1_3genE5ELNS1_11target_archE942ELNS1_3gpuE9ELNS1_3repE0EEENS1_30default_config_static_selectorELNS0_4arch9wavefront6targetE1EEEvT1_
		.amdhsa_group_segment_fixed_size 0
		.amdhsa_private_segment_fixed_size 0
		.amdhsa_kernarg_size 144
		.amdhsa_user_sgpr_count 6
		.amdhsa_user_sgpr_private_segment_buffer 1
		.amdhsa_user_sgpr_dispatch_ptr 0
		.amdhsa_user_sgpr_queue_ptr 0
		.amdhsa_user_sgpr_kernarg_segment_ptr 1
		.amdhsa_user_sgpr_dispatch_id 0
		.amdhsa_user_sgpr_flat_scratch_init 0
		.amdhsa_user_sgpr_private_segment_size 0
		.amdhsa_uses_dynamic_stack 0
		.amdhsa_system_sgpr_private_segment_wavefront_offset 0
		.amdhsa_system_sgpr_workgroup_id_x 1
		.amdhsa_system_sgpr_workgroup_id_y 0
		.amdhsa_system_sgpr_workgroup_id_z 0
		.amdhsa_system_sgpr_workgroup_info 0
		.amdhsa_system_vgpr_workitem_id 0
		.amdhsa_next_free_vgpr 1
		.amdhsa_next_free_sgpr 0
		.amdhsa_reserve_vcc 0
		.amdhsa_reserve_flat_scratch 0
		.amdhsa_float_round_mode_32 0
		.amdhsa_float_round_mode_16_64 0
		.amdhsa_float_denorm_mode_32 3
		.amdhsa_float_denorm_mode_16_64 3
		.amdhsa_dx10_clamp 1
		.amdhsa_ieee_mode 1
		.amdhsa_fp16_overflow 0
		.amdhsa_exception_fp_ieee_invalid_op 0
		.amdhsa_exception_fp_denorm_src 0
		.amdhsa_exception_fp_ieee_div_zero 0
		.amdhsa_exception_fp_ieee_overflow 0
		.amdhsa_exception_fp_ieee_underflow 0
		.amdhsa_exception_fp_ieee_inexact 0
		.amdhsa_exception_int_div_zero 0
	.end_amdhsa_kernel
	.section	.text._ZN7rocprim17ROCPRIM_400000_NS6detail17trampoline_kernelINS0_14default_configENS1_29reduce_by_key_config_selectorIalN6thrust23THRUST_200600_302600_NS4plusIlEEEEZZNS1_33reduce_by_key_impl_wrapped_configILNS1_25lookback_scan_determinismE0ES3_S9_PaNS6_17constant_iteratorIiNS6_11use_defaultESE_EENS6_10device_ptrIaEENSG_IlEEPmS8_NS6_8equal_toIaEEEE10hipError_tPvRmT2_T3_mT4_T5_T6_T7_T8_P12ihipStream_tbENKUlT_T0_E_clISt17integral_constantIbLb0EES12_IbLb1EEEEDaSY_SZ_EUlSY_E_NS1_11comp_targetILNS1_3genE5ELNS1_11target_archE942ELNS1_3gpuE9ELNS1_3repE0EEENS1_30default_config_static_selectorELNS0_4arch9wavefront6targetE1EEEvT1_,"axG",@progbits,_ZN7rocprim17ROCPRIM_400000_NS6detail17trampoline_kernelINS0_14default_configENS1_29reduce_by_key_config_selectorIalN6thrust23THRUST_200600_302600_NS4plusIlEEEEZZNS1_33reduce_by_key_impl_wrapped_configILNS1_25lookback_scan_determinismE0ES3_S9_PaNS6_17constant_iteratorIiNS6_11use_defaultESE_EENS6_10device_ptrIaEENSG_IlEEPmS8_NS6_8equal_toIaEEEE10hipError_tPvRmT2_T3_mT4_T5_T6_T7_T8_P12ihipStream_tbENKUlT_T0_E_clISt17integral_constantIbLb0EES12_IbLb1EEEEDaSY_SZ_EUlSY_E_NS1_11comp_targetILNS1_3genE5ELNS1_11target_archE942ELNS1_3gpuE9ELNS1_3repE0EEENS1_30default_config_static_selectorELNS0_4arch9wavefront6targetE1EEEvT1_,comdat
.Lfunc_end700:
	.size	_ZN7rocprim17ROCPRIM_400000_NS6detail17trampoline_kernelINS0_14default_configENS1_29reduce_by_key_config_selectorIalN6thrust23THRUST_200600_302600_NS4plusIlEEEEZZNS1_33reduce_by_key_impl_wrapped_configILNS1_25lookback_scan_determinismE0ES3_S9_PaNS6_17constant_iteratorIiNS6_11use_defaultESE_EENS6_10device_ptrIaEENSG_IlEEPmS8_NS6_8equal_toIaEEEE10hipError_tPvRmT2_T3_mT4_T5_T6_T7_T8_P12ihipStream_tbENKUlT_T0_E_clISt17integral_constantIbLb0EES12_IbLb1EEEEDaSY_SZ_EUlSY_E_NS1_11comp_targetILNS1_3genE5ELNS1_11target_archE942ELNS1_3gpuE9ELNS1_3repE0EEENS1_30default_config_static_selectorELNS0_4arch9wavefront6targetE1EEEvT1_, .Lfunc_end700-_ZN7rocprim17ROCPRIM_400000_NS6detail17trampoline_kernelINS0_14default_configENS1_29reduce_by_key_config_selectorIalN6thrust23THRUST_200600_302600_NS4plusIlEEEEZZNS1_33reduce_by_key_impl_wrapped_configILNS1_25lookback_scan_determinismE0ES3_S9_PaNS6_17constant_iteratorIiNS6_11use_defaultESE_EENS6_10device_ptrIaEENSG_IlEEPmS8_NS6_8equal_toIaEEEE10hipError_tPvRmT2_T3_mT4_T5_T6_T7_T8_P12ihipStream_tbENKUlT_T0_E_clISt17integral_constantIbLb0EES12_IbLb1EEEEDaSY_SZ_EUlSY_E_NS1_11comp_targetILNS1_3genE5ELNS1_11target_archE942ELNS1_3gpuE9ELNS1_3repE0EEENS1_30default_config_static_selectorELNS0_4arch9wavefront6targetE1EEEvT1_
                                        ; -- End function
	.set _ZN7rocprim17ROCPRIM_400000_NS6detail17trampoline_kernelINS0_14default_configENS1_29reduce_by_key_config_selectorIalN6thrust23THRUST_200600_302600_NS4plusIlEEEEZZNS1_33reduce_by_key_impl_wrapped_configILNS1_25lookback_scan_determinismE0ES3_S9_PaNS6_17constant_iteratorIiNS6_11use_defaultESE_EENS6_10device_ptrIaEENSG_IlEEPmS8_NS6_8equal_toIaEEEE10hipError_tPvRmT2_T3_mT4_T5_T6_T7_T8_P12ihipStream_tbENKUlT_T0_E_clISt17integral_constantIbLb0EES12_IbLb1EEEEDaSY_SZ_EUlSY_E_NS1_11comp_targetILNS1_3genE5ELNS1_11target_archE942ELNS1_3gpuE9ELNS1_3repE0EEENS1_30default_config_static_selectorELNS0_4arch9wavefront6targetE1EEEvT1_.num_vgpr, 0
	.set _ZN7rocprim17ROCPRIM_400000_NS6detail17trampoline_kernelINS0_14default_configENS1_29reduce_by_key_config_selectorIalN6thrust23THRUST_200600_302600_NS4plusIlEEEEZZNS1_33reduce_by_key_impl_wrapped_configILNS1_25lookback_scan_determinismE0ES3_S9_PaNS6_17constant_iteratorIiNS6_11use_defaultESE_EENS6_10device_ptrIaEENSG_IlEEPmS8_NS6_8equal_toIaEEEE10hipError_tPvRmT2_T3_mT4_T5_T6_T7_T8_P12ihipStream_tbENKUlT_T0_E_clISt17integral_constantIbLb0EES12_IbLb1EEEEDaSY_SZ_EUlSY_E_NS1_11comp_targetILNS1_3genE5ELNS1_11target_archE942ELNS1_3gpuE9ELNS1_3repE0EEENS1_30default_config_static_selectorELNS0_4arch9wavefront6targetE1EEEvT1_.num_agpr, 0
	.set _ZN7rocprim17ROCPRIM_400000_NS6detail17trampoline_kernelINS0_14default_configENS1_29reduce_by_key_config_selectorIalN6thrust23THRUST_200600_302600_NS4plusIlEEEEZZNS1_33reduce_by_key_impl_wrapped_configILNS1_25lookback_scan_determinismE0ES3_S9_PaNS6_17constant_iteratorIiNS6_11use_defaultESE_EENS6_10device_ptrIaEENSG_IlEEPmS8_NS6_8equal_toIaEEEE10hipError_tPvRmT2_T3_mT4_T5_T6_T7_T8_P12ihipStream_tbENKUlT_T0_E_clISt17integral_constantIbLb0EES12_IbLb1EEEEDaSY_SZ_EUlSY_E_NS1_11comp_targetILNS1_3genE5ELNS1_11target_archE942ELNS1_3gpuE9ELNS1_3repE0EEENS1_30default_config_static_selectorELNS0_4arch9wavefront6targetE1EEEvT1_.numbered_sgpr, 0
	.set _ZN7rocprim17ROCPRIM_400000_NS6detail17trampoline_kernelINS0_14default_configENS1_29reduce_by_key_config_selectorIalN6thrust23THRUST_200600_302600_NS4plusIlEEEEZZNS1_33reduce_by_key_impl_wrapped_configILNS1_25lookback_scan_determinismE0ES3_S9_PaNS6_17constant_iteratorIiNS6_11use_defaultESE_EENS6_10device_ptrIaEENSG_IlEEPmS8_NS6_8equal_toIaEEEE10hipError_tPvRmT2_T3_mT4_T5_T6_T7_T8_P12ihipStream_tbENKUlT_T0_E_clISt17integral_constantIbLb0EES12_IbLb1EEEEDaSY_SZ_EUlSY_E_NS1_11comp_targetILNS1_3genE5ELNS1_11target_archE942ELNS1_3gpuE9ELNS1_3repE0EEENS1_30default_config_static_selectorELNS0_4arch9wavefront6targetE1EEEvT1_.num_named_barrier, 0
	.set _ZN7rocprim17ROCPRIM_400000_NS6detail17trampoline_kernelINS0_14default_configENS1_29reduce_by_key_config_selectorIalN6thrust23THRUST_200600_302600_NS4plusIlEEEEZZNS1_33reduce_by_key_impl_wrapped_configILNS1_25lookback_scan_determinismE0ES3_S9_PaNS6_17constant_iteratorIiNS6_11use_defaultESE_EENS6_10device_ptrIaEENSG_IlEEPmS8_NS6_8equal_toIaEEEE10hipError_tPvRmT2_T3_mT4_T5_T6_T7_T8_P12ihipStream_tbENKUlT_T0_E_clISt17integral_constantIbLb0EES12_IbLb1EEEEDaSY_SZ_EUlSY_E_NS1_11comp_targetILNS1_3genE5ELNS1_11target_archE942ELNS1_3gpuE9ELNS1_3repE0EEENS1_30default_config_static_selectorELNS0_4arch9wavefront6targetE1EEEvT1_.private_seg_size, 0
	.set _ZN7rocprim17ROCPRIM_400000_NS6detail17trampoline_kernelINS0_14default_configENS1_29reduce_by_key_config_selectorIalN6thrust23THRUST_200600_302600_NS4plusIlEEEEZZNS1_33reduce_by_key_impl_wrapped_configILNS1_25lookback_scan_determinismE0ES3_S9_PaNS6_17constant_iteratorIiNS6_11use_defaultESE_EENS6_10device_ptrIaEENSG_IlEEPmS8_NS6_8equal_toIaEEEE10hipError_tPvRmT2_T3_mT4_T5_T6_T7_T8_P12ihipStream_tbENKUlT_T0_E_clISt17integral_constantIbLb0EES12_IbLb1EEEEDaSY_SZ_EUlSY_E_NS1_11comp_targetILNS1_3genE5ELNS1_11target_archE942ELNS1_3gpuE9ELNS1_3repE0EEENS1_30default_config_static_selectorELNS0_4arch9wavefront6targetE1EEEvT1_.uses_vcc, 0
	.set _ZN7rocprim17ROCPRIM_400000_NS6detail17trampoline_kernelINS0_14default_configENS1_29reduce_by_key_config_selectorIalN6thrust23THRUST_200600_302600_NS4plusIlEEEEZZNS1_33reduce_by_key_impl_wrapped_configILNS1_25lookback_scan_determinismE0ES3_S9_PaNS6_17constant_iteratorIiNS6_11use_defaultESE_EENS6_10device_ptrIaEENSG_IlEEPmS8_NS6_8equal_toIaEEEE10hipError_tPvRmT2_T3_mT4_T5_T6_T7_T8_P12ihipStream_tbENKUlT_T0_E_clISt17integral_constantIbLb0EES12_IbLb1EEEEDaSY_SZ_EUlSY_E_NS1_11comp_targetILNS1_3genE5ELNS1_11target_archE942ELNS1_3gpuE9ELNS1_3repE0EEENS1_30default_config_static_selectorELNS0_4arch9wavefront6targetE1EEEvT1_.uses_flat_scratch, 0
	.set _ZN7rocprim17ROCPRIM_400000_NS6detail17trampoline_kernelINS0_14default_configENS1_29reduce_by_key_config_selectorIalN6thrust23THRUST_200600_302600_NS4plusIlEEEEZZNS1_33reduce_by_key_impl_wrapped_configILNS1_25lookback_scan_determinismE0ES3_S9_PaNS6_17constant_iteratorIiNS6_11use_defaultESE_EENS6_10device_ptrIaEENSG_IlEEPmS8_NS6_8equal_toIaEEEE10hipError_tPvRmT2_T3_mT4_T5_T6_T7_T8_P12ihipStream_tbENKUlT_T0_E_clISt17integral_constantIbLb0EES12_IbLb1EEEEDaSY_SZ_EUlSY_E_NS1_11comp_targetILNS1_3genE5ELNS1_11target_archE942ELNS1_3gpuE9ELNS1_3repE0EEENS1_30default_config_static_selectorELNS0_4arch9wavefront6targetE1EEEvT1_.has_dyn_sized_stack, 0
	.set _ZN7rocprim17ROCPRIM_400000_NS6detail17trampoline_kernelINS0_14default_configENS1_29reduce_by_key_config_selectorIalN6thrust23THRUST_200600_302600_NS4plusIlEEEEZZNS1_33reduce_by_key_impl_wrapped_configILNS1_25lookback_scan_determinismE0ES3_S9_PaNS6_17constant_iteratorIiNS6_11use_defaultESE_EENS6_10device_ptrIaEENSG_IlEEPmS8_NS6_8equal_toIaEEEE10hipError_tPvRmT2_T3_mT4_T5_T6_T7_T8_P12ihipStream_tbENKUlT_T0_E_clISt17integral_constantIbLb0EES12_IbLb1EEEEDaSY_SZ_EUlSY_E_NS1_11comp_targetILNS1_3genE5ELNS1_11target_archE942ELNS1_3gpuE9ELNS1_3repE0EEENS1_30default_config_static_selectorELNS0_4arch9wavefront6targetE1EEEvT1_.has_recursion, 0
	.set _ZN7rocprim17ROCPRIM_400000_NS6detail17trampoline_kernelINS0_14default_configENS1_29reduce_by_key_config_selectorIalN6thrust23THRUST_200600_302600_NS4plusIlEEEEZZNS1_33reduce_by_key_impl_wrapped_configILNS1_25lookback_scan_determinismE0ES3_S9_PaNS6_17constant_iteratorIiNS6_11use_defaultESE_EENS6_10device_ptrIaEENSG_IlEEPmS8_NS6_8equal_toIaEEEE10hipError_tPvRmT2_T3_mT4_T5_T6_T7_T8_P12ihipStream_tbENKUlT_T0_E_clISt17integral_constantIbLb0EES12_IbLb1EEEEDaSY_SZ_EUlSY_E_NS1_11comp_targetILNS1_3genE5ELNS1_11target_archE942ELNS1_3gpuE9ELNS1_3repE0EEENS1_30default_config_static_selectorELNS0_4arch9wavefront6targetE1EEEvT1_.has_indirect_call, 0
	.section	.AMDGPU.csdata,"",@progbits
; Kernel info:
; codeLenInByte = 0
; TotalNumSgprs: 4
; NumVgprs: 0
; ScratchSize: 0
; MemoryBound: 0
; FloatMode: 240
; IeeeMode: 1
; LDSByteSize: 0 bytes/workgroup (compile time only)
; SGPRBlocks: 0
; VGPRBlocks: 0
; NumSGPRsForWavesPerEU: 4
; NumVGPRsForWavesPerEU: 1
; Occupancy: 10
; WaveLimiterHint : 0
; COMPUTE_PGM_RSRC2:SCRATCH_EN: 0
; COMPUTE_PGM_RSRC2:USER_SGPR: 6
; COMPUTE_PGM_RSRC2:TRAP_HANDLER: 0
; COMPUTE_PGM_RSRC2:TGID_X_EN: 1
; COMPUTE_PGM_RSRC2:TGID_Y_EN: 0
; COMPUTE_PGM_RSRC2:TGID_Z_EN: 0
; COMPUTE_PGM_RSRC2:TIDIG_COMP_CNT: 0
	.section	.text._ZN7rocprim17ROCPRIM_400000_NS6detail17trampoline_kernelINS0_14default_configENS1_29reduce_by_key_config_selectorIalN6thrust23THRUST_200600_302600_NS4plusIlEEEEZZNS1_33reduce_by_key_impl_wrapped_configILNS1_25lookback_scan_determinismE0ES3_S9_PaNS6_17constant_iteratorIiNS6_11use_defaultESE_EENS6_10device_ptrIaEENSG_IlEEPmS8_NS6_8equal_toIaEEEE10hipError_tPvRmT2_T3_mT4_T5_T6_T7_T8_P12ihipStream_tbENKUlT_T0_E_clISt17integral_constantIbLb0EES12_IbLb1EEEEDaSY_SZ_EUlSY_E_NS1_11comp_targetILNS1_3genE4ELNS1_11target_archE910ELNS1_3gpuE8ELNS1_3repE0EEENS1_30default_config_static_selectorELNS0_4arch9wavefront6targetE1EEEvT1_,"axG",@progbits,_ZN7rocprim17ROCPRIM_400000_NS6detail17trampoline_kernelINS0_14default_configENS1_29reduce_by_key_config_selectorIalN6thrust23THRUST_200600_302600_NS4plusIlEEEEZZNS1_33reduce_by_key_impl_wrapped_configILNS1_25lookback_scan_determinismE0ES3_S9_PaNS6_17constant_iteratorIiNS6_11use_defaultESE_EENS6_10device_ptrIaEENSG_IlEEPmS8_NS6_8equal_toIaEEEE10hipError_tPvRmT2_T3_mT4_T5_T6_T7_T8_P12ihipStream_tbENKUlT_T0_E_clISt17integral_constantIbLb0EES12_IbLb1EEEEDaSY_SZ_EUlSY_E_NS1_11comp_targetILNS1_3genE4ELNS1_11target_archE910ELNS1_3gpuE8ELNS1_3repE0EEENS1_30default_config_static_selectorELNS0_4arch9wavefront6targetE1EEEvT1_,comdat
	.protected	_ZN7rocprim17ROCPRIM_400000_NS6detail17trampoline_kernelINS0_14default_configENS1_29reduce_by_key_config_selectorIalN6thrust23THRUST_200600_302600_NS4plusIlEEEEZZNS1_33reduce_by_key_impl_wrapped_configILNS1_25lookback_scan_determinismE0ES3_S9_PaNS6_17constant_iteratorIiNS6_11use_defaultESE_EENS6_10device_ptrIaEENSG_IlEEPmS8_NS6_8equal_toIaEEEE10hipError_tPvRmT2_T3_mT4_T5_T6_T7_T8_P12ihipStream_tbENKUlT_T0_E_clISt17integral_constantIbLb0EES12_IbLb1EEEEDaSY_SZ_EUlSY_E_NS1_11comp_targetILNS1_3genE4ELNS1_11target_archE910ELNS1_3gpuE8ELNS1_3repE0EEENS1_30default_config_static_selectorELNS0_4arch9wavefront6targetE1EEEvT1_ ; -- Begin function _ZN7rocprim17ROCPRIM_400000_NS6detail17trampoline_kernelINS0_14default_configENS1_29reduce_by_key_config_selectorIalN6thrust23THRUST_200600_302600_NS4plusIlEEEEZZNS1_33reduce_by_key_impl_wrapped_configILNS1_25lookback_scan_determinismE0ES3_S9_PaNS6_17constant_iteratorIiNS6_11use_defaultESE_EENS6_10device_ptrIaEENSG_IlEEPmS8_NS6_8equal_toIaEEEE10hipError_tPvRmT2_T3_mT4_T5_T6_T7_T8_P12ihipStream_tbENKUlT_T0_E_clISt17integral_constantIbLb0EES12_IbLb1EEEEDaSY_SZ_EUlSY_E_NS1_11comp_targetILNS1_3genE4ELNS1_11target_archE910ELNS1_3gpuE8ELNS1_3repE0EEENS1_30default_config_static_selectorELNS0_4arch9wavefront6targetE1EEEvT1_
	.globl	_ZN7rocprim17ROCPRIM_400000_NS6detail17trampoline_kernelINS0_14default_configENS1_29reduce_by_key_config_selectorIalN6thrust23THRUST_200600_302600_NS4plusIlEEEEZZNS1_33reduce_by_key_impl_wrapped_configILNS1_25lookback_scan_determinismE0ES3_S9_PaNS6_17constant_iteratorIiNS6_11use_defaultESE_EENS6_10device_ptrIaEENSG_IlEEPmS8_NS6_8equal_toIaEEEE10hipError_tPvRmT2_T3_mT4_T5_T6_T7_T8_P12ihipStream_tbENKUlT_T0_E_clISt17integral_constantIbLb0EES12_IbLb1EEEEDaSY_SZ_EUlSY_E_NS1_11comp_targetILNS1_3genE4ELNS1_11target_archE910ELNS1_3gpuE8ELNS1_3repE0EEENS1_30default_config_static_selectorELNS0_4arch9wavefront6targetE1EEEvT1_
	.p2align	8
	.type	_ZN7rocprim17ROCPRIM_400000_NS6detail17trampoline_kernelINS0_14default_configENS1_29reduce_by_key_config_selectorIalN6thrust23THRUST_200600_302600_NS4plusIlEEEEZZNS1_33reduce_by_key_impl_wrapped_configILNS1_25lookback_scan_determinismE0ES3_S9_PaNS6_17constant_iteratorIiNS6_11use_defaultESE_EENS6_10device_ptrIaEENSG_IlEEPmS8_NS6_8equal_toIaEEEE10hipError_tPvRmT2_T3_mT4_T5_T6_T7_T8_P12ihipStream_tbENKUlT_T0_E_clISt17integral_constantIbLb0EES12_IbLb1EEEEDaSY_SZ_EUlSY_E_NS1_11comp_targetILNS1_3genE4ELNS1_11target_archE910ELNS1_3gpuE8ELNS1_3repE0EEENS1_30default_config_static_selectorELNS0_4arch9wavefront6targetE1EEEvT1_,@function
_ZN7rocprim17ROCPRIM_400000_NS6detail17trampoline_kernelINS0_14default_configENS1_29reduce_by_key_config_selectorIalN6thrust23THRUST_200600_302600_NS4plusIlEEEEZZNS1_33reduce_by_key_impl_wrapped_configILNS1_25lookback_scan_determinismE0ES3_S9_PaNS6_17constant_iteratorIiNS6_11use_defaultESE_EENS6_10device_ptrIaEENSG_IlEEPmS8_NS6_8equal_toIaEEEE10hipError_tPvRmT2_T3_mT4_T5_T6_T7_T8_P12ihipStream_tbENKUlT_T0_E_clISt17integral_constantIbLb0EES12_IbLb1EEEEDaSY_SZ_EUlSY_E_NS1_11comp_targetILNS1_3genE4ELNS1_11target_archE910ELNS1_3gpuE8ELNS1_3repE0EEENS1_30default_config_static_selectorELNS0_4arch9wavefront6targetE1EEEvT1_: ; @_ZN7rocprim17ROCPRIM_400000_NS6detail17trampoline_kernelINS0_14default_configENS1_29reduce_by_key_config_selectorIalN6thrust23THRUST_200600_302600_NS4plusIlEEEEZZNS1_33reduce_by_key_impl_wrapped_configILNS1_25lookback_scan_determinismE0ES3_S9_PaNS6_17constant_iteratorIiNS6_11use_defaultESE_EENS6_10device_ptrIaEENSG_IlEEPmS8_NS6_8equal_toIaEEEE10hipError_tPvRmT2_T3_mT4_T5_T6_T7_T8_P12ihipStream_tbENKUlT_T0_E_clISt17integral_constantIbLb0EES12_IbLb1EEEEDaSY_SZ_EUlSY_E_NS1_11comp_targetILNS1_3genE4ELNS1_11target_archE910ELNS1_3gpuE8ELNS1_3repE0EEENS1_30default_config_static_selectorELNS0_4arch9wavefront6targetE1EEEvT1_
; %bb.0:
	.section	.rodata,"a",@progbits
	.p2align	6, 0x0
	.amdhsa_kernel _ZN7rocprim17ROCPRIM_400000_NS6detail17trampoline_kernelINS0_14default_configENS1_29reduce_by_key_config_selectorIalN6thrust23THRUST_200600_302600_NS4plusIlEEEEZZNS1_33reduce_by_key_impl_wrapped_configILNS1_25lookback_scan_determinismE0ES3_S9_PaNS6_17constant_iteratorIiNS6_11use_defaultESE_EENS6_10device_ptrIaEENSG_IlEEPmS8_NS6_8equal_toIaEEEE10hipError_tPvRmT2_T3_mT4_T5_T6_T7_T8_P12ihipStream_tbENKUlT_T0_E_clISt17integral_constantIbLb0EES12_IbLb1EEEEDaSY_SZ_EUlSY_E_NS1_11comp_targetILNS1_3genE4ELNS1_11target_archE910ELNS1_3gpuE8ELNS1_3repE0EEENS1_30default_config_static_selectorELNS0_4arch9wavefront6targetE1EEEvT1_
		.amdhsa_group_segment_fixed_size 0
		.amdhsa_private_segment_fixed_size 0
		.amdhsa_kernarg_size 144
		.amdhsa_user_sgpr_count 6
		.amdhsa_user_sgpr_private_segment_buffer 1
		.amdhsa_user_sgpr_dispatch_ptr 0
		.amdhsa_user_sgpr_queue_ptr 0
		.amdhsa_user_sgpr_kernarg_segment_ptr 1
		.amdhsa_user_sgpr_dispatch_id 0
		.amdhsa_user_sgpr_flat_scratch_init 0
		.amdhsa_user_sgpr_private_segment_size 0
		.amdhsa_uses_dynamic_stack 0
		.amdhsa_system_sgpr_private_segment_wavefront_offset 0
		.amdhsa_system_sgpr_workgroup_id_x 1
		.amdhsa_system_sgpr_workgroup_id_y 0
		.amdhsa_system_sgpr_workgroup_id_z 0
		.amdhsa_system_sgpr_workgroup_info 0
		.amdhsa_system_vgpr_workitem_id 0
		.amdhsa_next_free_vgpr 1
		.amdhsa_next_free_sgpr 0
		.amdhsa_reserve_vcc 0
		.amdhsa_reserve_flat_scratch 0
		.amdhsa_float_round_mode_32 0
		.amdhsa_float_round_mode_16_64 0
		.amdhsa_float_denorm_mode_32 3
		.amdhsa_float_denorm_mode_16_64 3
		.amdhsa_dx10_clamp 1
		.amdhsa_ieee_mode 1
		.amdhsa_fp16_overflow 0
		.amdhsa_exception_fp_ieee_invalid_op 0
		.amdhsa_exception_fp_denorm_src 0
		.amdhsa_exception_fp_ieee_div_zero 0
		.amdhsa_exception_fp_ieee_overflow 0
		.amdhsa_exception_fp_ieee_underflow 0
		.amdhsa_exception_fp_ieee_inexact 0
		.amdhsa_exception_int_div_zero 0
	.end_amdhsa_kernel
	.section	.text._ZN7rocprim17ROCPRIM_400000_NS6detail17trampoline_kernelINS0_14default_configENS1_29reduce_by_key_config_selectorIalN6thrust23THRUST_200600_302600_NS4plusIlEEEEZZNS1_33reduce_by_key_impl_wrapped_configILNS1_25lookback_scan_determinismE0ES3_S9_PaNS6_17constant_iteratorIiNS6_11use_defaultESE_EENS6_10device_ptrIaEENSG_IlEEPmS8_NS6_8equal_toIaEEEE10hipError_tPvRmT2_T3_mT4_T5_T6_T7_T8_P12ihipStream_tbENKUlT_T0_E_clISt17integral_constantIbLb0EES12_IbLb1EEEEDaSY_SZ_EUlSY_E_NS1_11comp_targetILNS1_3genE4ELNS1_11target_archE910ELNS1_3gpuE8ELNS1_3repE0EEENS1_30default_config_static_selectorELNS0_4arch9wavefront6targetE1EEEvT1_,"axG",@progbits,_ZN7rocprim17ROCPRIM_400000_NS6detail17trampoline_kernelINS0_14default_configENS1_29reduce_by_key_config_selectorIalN6thrust23THRUST_200600_302600_NS4plusIlEEEEZZNS1_33reduce_by_key_impl_wrapped_configILNS1_25lookback_scan_determinismE0ES3_S9_PaNS6_17constant_iteratorIiNS6_11use_defaultESE_EENS6_10device_ptrIaEENSG_IlEEPmS8_NS6_8equal_toIaEEEE10hipError_tPvRmT2_T3_mT4_T5_T6_T7_T8_P12ihipStream_tbENKUlT_T0_E_clISt17integral_constantIbLb0EES12_IbLb1EEEEDaSY_SZ_EUlSY_E_NS1_11comp_targetILNS1_3genE4ELNS1_11target_archE910ELNS1_3gpuE8ELNS1_3repE0EEENS1_30default_config_static_selectorELNS0_4arch9wavefront6targetE1EEEvT1_,comdat
.Lfunc_end701:
	.size	_ZN7rocprim17ROCPRIM_400000_NS6detail17trampoline_kernelINS0_14default_configENS1_29reduce_by_key_config_selectorIalN6thrust23THRUST_200600_302600_NS4plusIlEEEEZZNS1_33reduce_by_key_impl_wrapped_configILNS1_25lookback_scan_determinismE0ES3_S9_PaNS6_17constant_iteratorIiNS6_11use_defaultESE_EENS6_10device_ptrIaEENSG_IlEEPmS8_NS6_8equal_toIaEEEE10hipError_tPvRmT2_T3_mT4_T5_T6_T7_T8_P12ihipStream_tbENKUlT_T0_E_clISt17integral_constantIbLb0EES12_IbLb1EEEEDaSY_SZ_EUlSY_E_NS1_11comp_targetILNS1_3genE4ELNS1_11target_archE910ELNS1_3gpuE8ELNS1_3repE0EEENS1_30default_config_static_selectorELNS0_4arch9wavefront6targetE1EEEvT1_, .Lfunc_end701-_ZN7rocprim17ROCPRIM_400000_NS6detail17trampoline_kernelINS0_14default_configENS1_29reduce_by_key_config_selectorIalN6thrust23THRUST_200600_302600_NS4plusIlEEEEZZNS1_33reduce_by_key_impl_wrapped_configILNS1_25lookback_scan_determinismE0ES3_S9_PaNS6_17constant_iteratorIiNS6_11use_defaultESE_EENS6_10device_ptrIaEENSG_IlEEPmS8_NS6_8equal_toIaEEEE10hipError_tPvRmT2_T3_mT4_T5_T6_T7_T8_P12ihipStream_tbENKUlT_T0_E_clISt17integral_constantIbLb0EES12_IbLb1EEEEDaSY_SZ_EUlSY_E_NS1_11comp_targetILNS1_3genE4ELNS1_11target_archE910ELNS1_3gpuE8ELNS1_3repE0EEENS1_30default_config_static_selectorELNS0_4arch9wavefront6targetE1EEEvT1_
                                        ; -- End function
	.set _ZN7rocprim17ROCPRIM_400000_NS6detail17trampoline_kernelINS0_14default_configENS1_29reduce_by_key_config_selectorIalN6thrust23THRUST_200600_302600_NS4plusIlEEEEZZNS1_33reduce_by_key_impl_wrapped_configILNS1_25lookback_scan_determinismE0ES3_S9_PaNS6_17constant_iteratorIiNS6_11use_defaultESE_EENS6_10device_ptrIaEENSG_IlEEPmS8_NS6_8equal_toIaEEEE10hipError_tPvRmT2_T3_mT4_T5_T6_T7_T8_P12ihipStream_tbENKUlT_T0_E_clISt17integral_constantIbLb0EES12_IbLb1EEEEDaSY_SZ_EUlSY_E_NS1_11comp_targetILNS1_3genE4ELNS1_11target_archE910ELNS1_3gpuE8ELNS1_3repE0EEENS1_30default_config_static_selectorELNS0_4arch9wavefront6targetE1EEEvT1_.num_vgpr, 0
	.set _ZN7rocprim17ROCPRIM_400000_NS6detail17trampoline_kernelINS0_14default_configENS1_29reduce_by_key_config_selectorIalN6thrust23THRUST_200600_302600_NS4plusIlEEEEZZNS1_33reduce_by_key_impl_wrapped_configILNS1_25lookback_scan_determinismE0ES3_S9_PaNS6_17constant_iteratorIiNS6_11use_defaultESE_EENS6_10device_ptrIaEENSG_IlEEPmS8_NS6_8equal_toIaEEEE10hipError_tPvRmT2_T3_mT4_T5_T6_T7_T8_P12ihipStream_tbENKUlT_T0_E_clISt17integral_constantIbLb0EES12_IbLb1EEEEDaSY_SZ_EUlSY_E_NS1_11comp_targetILNS1_3genE4ELNS1_11target_archE910ELNS1_3gpuE8ELNS1_3repE0EEENS1_30default_config_static_selectorELNS0_4arch9wavefront6targetE1EEEvT1_.num_agpr, 0
	.set _ZN7rocprim17ROCPRIM_400000_NS6detail17trampoline_kernelINS0_14default_configENS1_29reduce_by_key_config_selectorIalN6thrust23THRUST_200600_302600_NS4plusIlEEEEZZNS1_33reduce_by_key_impl_wrapped_configILNS1_25lookback_scan_determinismE0ES3_S9_PaNS6_17constant_iteratorIiNS6_11use_defaultESE_EENS6_10device_ptrIaEENSG_IlEEPmS8_NS6_8equal_toIaEEEE10hipError_tPvRmT2_T3_mT4_T5_T6_T7_T8_P12ihipStream_tbENKUlT_T0_E_clISt17integral_constantIbLb0EES12_IbLb1EEEEDaSY_SZ_EUlSY_E_NS1_11comp_targetILNS1_3genE4ELNS1_11target_archE910ELNS1_3gpuE8ELNS1_3repE0EEENS1_30default_config_static_selectorELNS0_4arch9wavefront6targetE1EEEvT1_.numbered_sgpr, 0
	.set _ZN7rocprim17ROCPRIM_400000_NS6detail17trampoline_kernelINS0_14default_configENS1_29reduce_by_key_config_selectorIalN6thrust23THRUST_200600_302600_NS4plusIlEEEEZZNS1_33reduce_by_key_impl_wrapped_configILNS1_25lookback_scan_determinismE0ES3_S9_PaNS6_17constant_iteratorIiNS6_11use_defaultESE_EENS6_10device_ptrIaEENSG_IlEEPmS8_NS6_8equal_toIaEEEE10hipError_tPvRmT2_T3_mT4_T5_T6_T7_T8_P12ihipStream_tbENKUlT_T0_E_clISt17integral_constantIbLb0EES12_IbLb1EEEEDaSY_SZ_EUlSY_E_NS1_11comp_targetILNS1_3genE4ELNS1_11target_archE910ELNS1_3gpuE8ELNS1_3repE0EEENS1_30default_config_static_selectorELNS0_4arch9wavefront6targetE1EEEvT1_.num_named_barrier, 0
	.set _ZN7rocprim17ROCPRIM_400000_NS6detail17trampoline_kernelINS0_14default_configENS1_29reduce_by_key_config_selectorIalN6thrust23THRUST_200600_302600_NS4plusIlEEEEZZNS1_33reduce_by_key_impl_wrapped_configILNS1_25lookback_scan_determinismE0ES3_S9_PaNS6_17constant_iteratorIiNS6_11use_defaultESE_EENS6_10device_ptrIaEENSG_IlEEPmS8_NS6_8equal_toIaEEEE10hipError_tPvRmT2_T3_mT4_T5_T6_T7_T8_P12ihipStream_tbENKUlT_T0_E_clISt17integral_constantIbLb0EES12_IbLb1EEEEDaSY_SZ_EUlSY_E_NS1_11comp_targetILNS1_3genE4ELNS1_11target_archE910ELNS1_3gpuE8ELNS1_3repE0EEENS1_30default_config_static_selectorELNS0_4arch9wavefront6targetE1EEEvT1_.private_seg_size, 0
	.set _ZN7rocprim17ROCPRIM_400000_NS6detail17trampoline_kernelINS0_14default_configENS1_29reduce_by_key_config_selectorIalN6thrust23THRUST_200600_302600_NS4plusIlEEEEZZNS1_33reduce_by_key_impl_wrapped_configILNS1_25lookback_scan_determinismE0ES3_S9_PaNS6_17constant_iteratorIiNS6_11use_defaultESE_EENS6_10device_ptrIaEENSG_IlEEPmS8_NS6_8equal_toIaEEEE10hipError_tPvRmT2_T3_mT4_T5_T6_T7_T8_P12ihipStream_tbENKUlT_T0_E_clISt17integral_constantIbLb0EES12_IbLb1EEEEDaSY_SZ_EUlSY_E_NS1_11comp_targetILNS1_3genE4ELNS1_11target_archE910ELNS1_3gpuE8ELNS1_3repE0EEENS1_30default_config_static_selectorELNS0_4arch9wavefront6targetE1EEEvT1_.uses_vcc, 0
	.set _ZN7rocprim17ROCPRIM_400000_NS6detail17trampoline_kernelINS0_14default_configENS1_29reduce_by_key_config_selectorIalN6thrust23THRUST_200600_302600_NS4plusIlEEEEZZNS1_33reduce_by_key_impl_wrapped_configILNS1_25lookback_scan_determinismE0ES3_S9_PaNS6_17constant_iteratorIiNS6_11use_defaultESE_EENS6_10device_ptrIaEENSG_IlEEPmS8_NS6_8equal_toIaEEEE10hipError_tPvRmT2_T3_mT4_T5_T6_T7_T8_P12ihipStream_tbENKUlT_T0_E_clISt17integral_constantIbLb0EES12_IbLb1EEEEDaSY_SZ_EUlSY_E_NS1_11comp_targetILNS1_3genE4ELNS1_11target_archE910ELNS1_3gpuE8ELNS1_3repE0EEENS1_30default_config_static_selectorELNS0_4arch9wavefront6targetE1EEEvT1_.uses_flat_scratch, 0
	.set _ZN7rocprim17ROCPRIM_400000_NS6detail17trampoline_kernelINS0_14default_configENS1_29reduce_by_key_config_selectorIalN6thrust23THRUST_200600_302600_NS4plusIlEEEEZZNS1_33reduce_by_key_impl_wrapped_configILNS1_25lookback_scan_determinismE0ES3_S9_PaNS6_17constant_iteratorIiNS6_11use_defaultESE_EENS6_10device_ptrIaEENSG_IlEEPmS8_NS6_8equal_toIaEEEE10hipError_tPvRmT2_T3_mT4_T5_T6_T7_T8_P12ihipStream_tbENKUlT_T0_E_clISt17integral_constantIbLb0EES12_IbLb1EEEEDaSY_SZ_EUlSY_E_NS1_11comp_targetILNS1_3genE4ELNS1_11target_archE910ELNS1_3gpuE8ELNS1_3repE0EEENS1_30default_config_static_selectorELNS0_4arch9wavefront6targetE1EEEvT1_.has_dyn_sized_stack, 0
	.set _ZN7rocprim17ROCPRIM_400000_NS6detail17trampoline_kernelINS0_14default_configENS1_29reduce_by_key_config_selectorIalN6thrust23THRUST_200600_302600_NS4plusIlEEEEZZNS1_33reduce_by_key_impl_wrapped_configILNS1_25lookback_scan_determinismE0ES3_S9_PaNS6_17constant_iteratorIiNS6_11use_defaultESE_EENS6_10device_ptrIaEENSG_IlEEPmS8_NS6_8equal_toIaEEEE10hipError_tPvRmT2_T3_mT4_T5_T6_T7_T8_P12ihipStream_tbENKUlT_T0_E_clISt17integral_constantIbLb0EES12_IbLb1EEEEDaSY_SZ_EUlSY_E_NS1_11comp_targetILNS1_3genE4ELNS1_11target_archE910ELNS1_3gpuE8ELNS1_3repE0EEENS1_30default_config_static_selectorELNS0_4arch9wavefront6targetE1EEEvT1_.has_recursion, 0
	.set _ZN7rocprim17ROCPRIM_400000_NS6detail17trampoline_kernelINS0_14default_configENS1_29reduce_by_key_config_selectorIalN6thrust23THRUST_200600_302600_NS4plusIlEEEEZZNS1_33reduce_by_key_impl_wrapped_configILNS1_25lookback_scan_determinismE0ES3_S9_PaNS6_17constant_iteratorIiNS6_11use_defaultESE_EENS6_10device_ptrIaEENSG_IlEEPmS8_NS6_8equal_toIaEEEE10hipError_tPvRmT2_T3_mT4_T5_T6_T7_T8_P12ihipStream_tbENKUlT_T0_E_clISt17integral_constantIbLb0EES12_IbLb1EEEEDaSY_SZ_EUlSY_E_NS1_11comp_targetILNS1_3genE4ELNS1_11target_archE910ELNS1_3gpuE8ELNS1_3repE0EEENS1_30default_config_static_selectorELNS0_4arch9wavefront6targetE1EEEvT1_.has_indirect_call, 0
	.section	.AMDGPU.csdata,"",@progbits
; Kernel info:
; codeLenInByte = 0
; TotalNumSgprs: 4
; NumVgprs: 0
; ScratchSize: 0
; MemoryBound: 0
; FloatMode: 240
; IeeeMode: 1
; LDSByteSize: 0 bytes/workgroup (compile time only)
; SGPRBlocks: 0
; VGPRBlocks: 0
; NumSGPRsForWavesPerEU: 4
; NumVGPRsForWavesPerEU: 1
; Occupancy: 10
; WaveLimiterHint : 0
; COMPUTE_PGM_RSRC2:SCRATCH_EN: 0
; COMPUTE_PGM_RSRC2:USER_SGPR: 6
; COMPUTE_PGM_RSRC2:TRAP_HANDLER: 0
; COMPUTE_PGM_RSRC2:TGID_X_EN: 1
; COMPUTE_PGM_RSRC2:TGID_Y_EN: 0
; COMPUTE_PGM_RSRC2:TGID_Z_EN: 0
; COMPUTE_PGM_RSRC2:TIDIG_COMP_CNT: 0
	.section	.text._ZN7rocprim17ROCPRIM_400000_NS6detail17trampoline_kernelINS0_14default_configENS1_29reduce_by_key_config_selectorIalN6thrust23THRUST_200600_302600_NS4plusIlEEEEZZNS1_33reduce_by_key_impl_wrapped_configILNS1_25lookback_scan_determinismE0ES3_S9_PaNS6_17constant_iteratorIiNS6_11use_defaultESE_EENS6_10device_ptrIaEENSG_IlEEPmS8_NS6_8equal_toIaEEEE10hipError_tPvRmT2_T3_mT4_T5_T6_T7_T8_P12ihipStream_tbENKUlT_T0_E_clISt17integral_constantIbLb0EES12_IbLb1EEEEDaSY_SZ_EUlSY_E_NS1_11comp_targetILNS1_3genE3ELNS1_11target_archE908ELNS1_3gpuE7ELNS1_3repE0EEENS1_30default_config_static_selectorELNS0_4arch9wavefront6targetE1EEEvT1_,"axG",@progbits,_ZN7rocprim17ROCPRIM_400000_NS6detail17trampoline_kernelINS0_14default_configENS1_29reduce_by_key_config_selectorIalN6thrust23THRUST_200600_302600_NS4plusIlEEEEZZNS1_33reduce_by_key_impl_wrapped_configILNS1_25lookback_scan_determinismE0ES3_S9_PaNS6_17constant_iteratorIiNS6_11use_defaultESE_EENS6_10device_ptrIaEENSG_IlEEPmS8_NS6_8equal_toIaEEEE10hipError_tPvRmT2_T3_mT4_T5_T6_T7_T8_P12ihipStream_tbENKUlT_T0_E_clISt17integral_constantIbLb0EES12_IbLb1EEEEDaSY_SZ_EUlSY_E_NS1_11comp_targetILNS1_3genE3ELNS1_11target_archE908ELNS1_3gpuE7ELNS1_3repE0EEENS1_30default_config_static_selectorELNS0_4arch9wavefront6targetE1EEEvT1_,comdat
	.protected	_ZN7rocprim17ROCPRIM_400000_NS6detail17trampoline_kernelINS0_14default_configENS1_29reduce_by_key_config_selectorIalN6thrust23THRUST_200600_302600_NS4plusIlEEEEZZNS1_33reduce_by_key_impl_wrapped_configILNS1_25lookback_scan_determinismE0ES3_S9_PaNS6_17constant_iteratorIiNS6_11use_defaultESE_EENS6_10device_ptrIaEENSG_IlEEPmS8_NS6_8equal_toIaEEEE10hipError_tPvRmT2_T3_mT4_T5_T6_T7_T8_P12ihipStream_tbENKUlT_T0_E_clISt17integral_constantIbLb0EES12_IbLb1EEEEDaSY_SZ_EUlSY_E_NS1_11comp_targetILNS1_3genE3ELNS1_11target_archE908ELNS1_3gpuE7ELNS1_3repE0EEENS1_30default_config_static_selectorELNS0_4arch9wavefront6targetE1EEEvT1_ ; -- Begin function _ZN7rocprim17ROCPRIM_400000_NS6detail17trampoline_kernelINS0_14default_configENS1_29reduce_by_key_config_selectorIalN6thrust23THRUST_200600_302600_NS4plusIlEEEEZZNS1_33reduce_by_key_impl_wrapped_configILNS1_25lookback_scan_determinismE0ES3_S9_PaNS6_17constant_iteratorIiNS6_11use_defaultESE_EENS6_10device_ptrIaEENSG_IlEEPmS8_NS6_8equal_toIaEEEE10hipError_tPvRmT2_T3_mT4_T5_T6_T7_T8_P12ihipStream_tbENKUlT_T0_E_clISt17integral_constantIbLb0EES12_IbLb1EEEEDaSY_SZ_EUlSY_E_NS1_11comp_targetILNS1_3genE3ELNS1_11target_archE908ELNS1_3gpuE7ELNS1_3repE0EEENS1_30default_config_static_selectorELNS0_4arch9wavefront6targetE1EEEvT1_
	.globl	_ZN7rocprim17ROCPRIM_400000_NS6detail17trampoline_kernelINS0_14default_configENS1_29reduce_by_key_config_selectorIalN6thrust23THRUST_200600_302600_NS4plusIlEEEEZZNS1_33reduce_by_key_impl_wrapped_configILNS1_25lookback_scan_determinismE0ES3_S9_PaNS6_17constant_iteratorIiNS6_11use_defaultESE_EENS6_10device_ptrIaEENSG_IlEEPmS8_NS6_8equal_toIaEEEE10hipError_tPvRmT2_T3_mT4_T5_T6_T7_T8_P12ihipStream_tbENKUlT_T0_E_clISt17integral_constantIbLb0EES12_IbLb1EEEEDaSY_SZ_EUlSY_E_NS1_11comp_targetILNS1_3genE3ELNS1_11target_archE908ELNS1_3gpuE7ELNS1_3repE0EEENS1_30default_config_static_selectorELNS0_4arch9wavefront6targetE1EEEvT1_
	.p2align	8
	.type	_ZN7rocprim17ROCPRIM_400000_NS6detail17trampoline_kernelINS0_14default_configENS1_29reduce_by_key_config_selectorIalN6thrust23THRUST_200600_302600_NS4plusIlEEEEZZNS1_33reduce_by_key_impl_wrapped_configILNS1_25lookback_scan_determinismE0ES3_S9_PaNS6_17constant_iteratorIiNS6_11use_defaultESE_EENS6_10device_ptrIaEENSG_IlEEPmS8_NS6_8equal_toIaEEEE10hipError_tPvRmT2_T3_mT4_T5_T6_T7_T8_P12ihipStream_tbENKUlT_T0_E_clISt17integral_constantIbLb0EES12_IbLb1EEEEDaSY_SZ_EUlSY_E_NS1_11comp_targetILNS1_3genE3ELNS1_11target_archE908ELNS1_3gpuE7ELNS1_3repE0EEENS1_30default_config_static_selectorELNS0_4arch9wavefront6targetE1EEEvT1_,@function
_ZN7rocprim17ROCPRIM_400000_NS6detail17trampoline_kernelINS0_14default_configENS1_29reduce_by_key_config_selectorIalN6thrust23THRUST_200600_302600_NS4plusIlEEEEZZNS1_33reduce_by_key_impl_wrapped_configILNS1_25lookback_scan_determinismE0ES3_S9_PaNS6_17constant_iteratorIiNS6_11use_defaultESE_EENS6_10device_ptrIaEENSG_IlEEPmS8_NS6_8equal_toIaEEEE10hipError_tPvRmT2_T3_mT4_T5_T6_T7_T8_P12ihipStream_tbENKUlT_T0_E_clISt17integral_constantIbLb0EES12_IbLb1EEEEDaSY_SZ_EUlSY_E_NS1_11comp_targetILNS1_3genE3ELNS1_11target_archE908ELNS1_3gpuE7ELNS1_3repE0EEENS1_30default_config_static_selectorELNS0_4arch9wavefront6targetE1EEEvT1_: ; @_ZN7rocprim17ROCPRIM_400000_NS6detail17trampoline_kernelINS0_14default_configENS1_29reduce_by_key_config_selectorIalN6thrust23THRUST_200600_302600_NS4plusIlEEEEZZNS1_33reduce_by_key_impl_wrapped_configILNS1_25lookback_scan_determinismE0ES3_S9_PaNS6_17constant_iteratorIiNS6_11use_defaultESE_EENS6_10device_ptrIaEENSG_IlEEPmS8_NS6_8equal_toIaEEEE10hipError_tPvRmT2_T3_mT4_T5_T6_T7_T8_P12ihipStream_tbENKUlT_T0_E_clISt17integral_constantIbLb0EES12_IbLb1EEEEDaSY_SZ_EUlSY_E_NS1_11comp_targetILNS1_3genE3ELNS1_11target_archE908ELNS1_3gpuE7ELNS1_3repE0EEENS1_30default_config_static_selectorELNS0_4arch9wavefront6targetE1EEEvT1_
; %bb.0:
	.section	.rodata,"a",@progbits
	.p2align	6, 0x0
	.amdhsa_kernel _ZN7rocprim17ROCPRIM_400000_NS6detail17trampoline_kernelINS0_14default_configENS1_29reduce_by_key_config_selectorIalN6thrust23THRUST_200600_302600_NS4plusIlEEEEZZNS1_33reduce_by_key_impl_wrapped_configILNS1_25lookback_scan_determinismE0ES3_S9_PaNS6_17constant_iteratorIiNS6_11use_defaultESE_EENS6_10device_ptrIaEENSG_IlEEPmS8_NS6_8equal_toIaEEEE10hipError_tPvRmT2_T3_mT4_T5_T6_T7_T8_P12ihipStream_tbENKUlT_T0_E_clISt17integral_constantIbLb0EES12_IbLb1EEEEDaSY_SZ_EUlSY_E_NS1_11comp_targetILNS1_3genE3ELNS1_11target_archE908ELNS1_3gpuE7ELNS1_3repE0EEENS1_30default_config_static_selectorELNS0_4arch9wavefront6targetE1EEEvT1_
		.amdhsa_group_segment_fixed_size 0
		.amdhsa_private_segment_fixed_size 0
		.amdhsa_kernarg_size 144
		.amdhsa_user_sgpr_count 6
		.amdhsa_user_sgpr_private_segment_buffer 1
		.amdhsa_user_sgpr_dispatch_ptr 0
		.amdhsa_user_sgpr_queue_ptr 0
		.amdhsa_user_sgpr_kernarg_segment_ptr 1
		.amdhsa_user_sgpr_dispatch_id 0
		.amdhsa_user_sgpr_flat_scratch_init 0
		.amdhsa_user_sgpr_private_segment_size 0
		.amdhsa_uses_dynamic_stack 0
		.amdhsa_system_sgpr_private_segment_wavefront_offset 0
		.amdhsa_system_sgpr_workgroup_id_x 1
		.amdhsa_system_sgpr_workgroup_id_y 0
		.amdhsa_system_sgpr_workgroup_id_z 0
		.amdhsa_system_sgpr_workgroup_info 0
		.amdhsa_system_vgpr_workitem_id 0
		.amdhsa_next_free_vgpr 1
		.amdhsa_next_free_sgpr 0
		.amdhsa_reserve_vcc 0
		.amdhsa_reserve_flat_scratch 0
		.amdhsa_float_round_mode_32 0
		.amdhsa_float_round_mode_16_64 0
		.amdhsa_float_denorm_mode_32 3
		.amdhsa_float_denorm_mode_16_64 3
		.amdhsa_dx10_clamp 1
		.amdhsa_ieee_mode 1
		.amdhsa_fp16_overflow 0
		.amdhsa_exception_fp_ieee_invalid_op 0
		.amdhsa_exception_fp_denorm_src 0
		.amdhsa_exception_fp_ieee_div_zero 0
		.amdhsa_exception_fp_ieee_overflow 0
		.amdhsa_exception_fp_ieee_underflow 0
		.amdhsa_exception_fp_ieee_inexact 0
		.amdhsa_exception_int_div_zero 0
	.end_amdhsa_kernel
	.section	.text._ZN7rocprim17ROCPRIM_400000_NS6detail17trampoline_kernelINS0_14default_configENS1_29reduce_by_key_config_selectorIalN6thrust23THRUST_200600_302600_NS4plusIlEEEEZZNS1_33reduce_by_key_impl_wrapped_configILNS1_25lookback_scan_determinismE0ES3_S9_PaNS6_17constant_iteratorIiNS6_11use_defaultESE_EENS6_10device_ptrIaEENSG_IlEEPmS8_NS6_8equal_toIaEEEE10hipError_tPvRmT2_T3_mT4_T5_T6_T7_T8_P12ihipStream_tbENKUlT_T0_E_clISt17integral_constantIbLb0EES12_IbLb1EEEEDaSY_SZ_EUlSY_E_NS1_11comp_targetILNS1_3genE3ELNS1_11target_archE908ELNS1_3gpuE7ELNS1_3repE0EEENS1_30default_config_static_selectorELNS0_4arch9wavefront6targetE1EEEvT1_,"axG",@progbits,_ZN7rocprim17ROCPRIM_400000_NS6detail17trampoline_kernelINS0_14default_configENS1_29reduce_by_key_config_selectorIalN6thrust23THRUST_200600_302600_NS4plusIlEEEEZZNS1_33reduce_by_key_impl_wrapped_configILNS1_25lookback_scan_determinismE0ES3_S9_PaNS6_17constant_iteratorIiNS6_11use_defaultESE_EENS6_10device_ptrIaEENSG_IlEEPmS8_NS6_8equal_toIaEEEE10hipError_tPvRmT2_T3_mT4_T5_T6_T7_T8_P12ihipStream_tbENKUlT_T0_E_clISt17integral_constantIbLb0EES12_IbLb1EEEEDaSY_SZ_EUlSY_E_NS1_11comp_targetILNS1_3genE3ELNS1_11target_archE908ELNS1_3gpuE7ELNS1_3repE0EEENS1_30default_config_static_selectorELNS0_4arch9wavefront6targetE1EEEvT1_,comdat
.Lfunc_end702:
	.size	_ZN7rocprim17ROCPRIM_400000_NS6detail17trampoline_kernelINS0_14default_configENS1_29reduce_by_key_config_selectorIalN6thrust23THRUST_200600_302600_NS4plusIlEEEEZZNS1_33reduce_by_key_impl_wrapped_configILNS1_25lookback_scan_determinismE0ES3_S9_PaNS6_17constant_iteratorIiNS6_11use_defaultESE_EENS6_10device_ptrIaEENSG_IlEEPmS8_NS6_8equal_toIaEEEE10hipError_tPvRmT2_T3_mT4_T5_T6_T7_T8_P12ihipStream_tbENKUlT_T0_E_clISt17integral_constantIbLb0EES12_IbLb1EEEEDaSY_SZ_EUlSY_E_NS1_11comp_targetILNS1_3genE3ELNS1_11target_archE908ELNS1_3gpuE7ELNS1_3repE0EEENS1_30default_config_static_selectorELNS0_4arch9wavefront6targetE1EEEvT1_, .Lfunc_end702-_ZN7rocprim17ROCPRIM_400000_NS6detail17trampoline_kernelINS0_14default_configENS1_29reduce_by_key_config_selectorIalN6thrust23THRUST_200600_302600_NS4plusIlEEEEZZNS1_33reduce_by_key_impl_wrapped_configILNS1_25lookback_scan_determinismE0ES3_S9_PaNS6_17constant_iteratorIiNS6_11use_defaultESE_EENS6_10device_ptrIaEENSG_IlEEPmS8_NS6_8equal_toIaEEEE10hipError_tPvRmT2_T3_mT4_T5_T6_T7_T8_P12ihipStream_tbENKUlT_T0_E_clISt17integral_constantIbLb0EES12_IbLb1EEEEDaSY_SZ_EUlSY_E_NS1_11comp_targetILNS1_3genE3ELNS1_11target_archE908ELNS1_3gpuE7ELNS1_3repE0EEENS1_30default_config_static_selectorELNS0_4arch9wavefront6targetE1EEEvT1_
                                        ; -- End function
	.set _ZN7rocprim17ROCPRIM_400000_NS6detail17trampoline_kernelINS0_14default_configENS1_29reduce_by_key_config_selectorIalN6thrust23THRUST_200600_302600_NS4plusIlEEEEZZNS1_33reduce_by_key_impl_wrapped_configILNS1_25lookback_scan_determinismE0ES3_S9_PaNS6_17constant_iteratorIiNS6_11use_defaultESE_EENS6_10device_ptrIaEENSG_IlEEPmS8_NS6_8equal_toIaEEEE10hipError_tPvRmT2_T3_mT4_T5_T6_T7_T8_P12ihipStream_tbENKUlT_T0_E_clISt17integral_constantIbLb0EES12_IbLb1EEEEDaSY_SZ_EUlSY_E_NS1_11comp_targetILNS1_3genE3ELNS1_11target_archE908ELNS1_3gpuE7ELNS1_3repE0EEENS1_30default_config_static_selectorELNS0_4arch9wavefront6targetE1EEEvT1_.num_vgpr, 0
	.set _ZN7rocprim17ROCPRIM_400000_NS6detail17trampoline_kernelINS0_14default_configENS1_29reduce_by_key_config_selectorIalN6thrust23THRUST_200600_302600_NS4plusIlEEEEZZNS1_33reduce_by_key_impl_wrapped_configILNS1_25lookback_scan_determinismE0ES3_S9_PaNS6_17constant_iteratorIiNS6_11use_defaultESE_EENS6_10device_ptrIaEENSG_IlEEPmS8_NS6_8equal_toIaEEEE10hipError_tPvRmT2_T3_mT4_T5_T6_T7_T8_P12ihipStream_tbENKUlT_T0_E_clISt17integral_constantIbLb0EES12_IbLb1EEEEDaSY_SZ_EUlSY_E_NS1_11comp_targetILNS1_3genE3ELNS1_11target_archE908ELNS1_3gpuE7ELNS1_3repE0EEENS1_30default_config_static_selectorELNS0_4arch9wavefront6targetE1EEEvT1_.num_agpr, 0
	.set _ZN7rocprim17ROCPRIM_400000_NS6detail17trampoline_kernelINS0_14default_configENS1_29reduce_by_key_config_selectorIalN6thrust23THRUST_200600_302600_NS4plusIlEEEEZZNS1_33reduce_by_key_impl_wrapped_configILNS1_25lookback_scan_determinismE0ES3_S9_PaNS6_17constant_iteratorIiNS6_11use_defaultESE_EENS6_10device_ptrIaEENSG_IlEEPmS8_NS6_8equal_toIaEEEE10hipError_tPvRmT2_T3_mT4_T5_T6_T7_T8_P12ihipStream_tbENKUlT_T0_E_clISt17integral_constantIbLb0EES12_IbLb1EEEEDaSY_SZ_EUlSY_E_NS1_11comp_targetILNS1_3genE3ELNS1_11target_archE908ELNS1_3gpuE7ELNS1_3repE0EEENS1_30default_config_static_selectorELNS0_4arch9wavefront6targetE1EEEvT1_.numbered_sgpr, 0
	.set _ZN7rocprim17ROCPRIM_400000_NS6detail17trampoline_kernelINS0_14default_configENS1_29reduce_by_key_config_selectorIalN6thrust23THRUST_200600_302600_NS4plusIlEEEEZZNS1_33reduce_by_key_impl_wrapped_configILNS1_25lookback_scan_determinismE0ES3_S9_PaNS6_17constant_iteratorIiNS6_11use_defaultESE_EENS6_10device_ptrIaEENSG_IlEEPmS8_NS6_8equal_toIaEEEE10hipError_tPvRmT2_T3_mT4_T5_T6_T7_T8_P12ihipStream_tbENKUlT_T0_E_clISt17integral_constantIbLb0EES12_IbLb1EEEEDaSY_SZ_EUlSY_E_NS1_11comp_targetILNS1_3genE3ELNS1_11target_archE908ELNS1_3gpuE7ELNS1_3repE0EEENS1_30default_config_static_selectorELNS0_4arch9wavefront6targetE1EEEvT1_.num_named_barrier, 0
	.set _ZN7rocprim17ROCPRIM_400000_NS6detail17trampoline_kernelINS0_14default_configENS1_29reduce_by_key_config_selectorIalN6thrust23THRUST_200600_302600_NS4plusIlEEEEZZNS1_33reduce_by_key_impl_wrapped_configILNS1_25lookback_scan_determinismE0ES3_S9_PaNS6_17constant_iteratorIiNS6_11use_defaultESE_EENS6_10device_ptrIaEENSG_IlEEPmS8_NS6_8equal_toIaEEEE10hipError_tPvRmT2_T3_mT4_T5_T6_T7_T8_P12ihipStream_tbENKUlT_T0_E_clISt17integral_constantIbLb0EES12_IbLb1EEEEDaSY_SZ_EUlSY_E_NS1_11comp_targetILNS1_3genE3ELNS1_11target_archE908ELNS1_3gpuE7ELNS1_3repE0EEENS1_30default_config_static_selectorELNS0_4arch9wavefront6targetE1EEEvT1_.private_seg_size, 0
	.set _ZN7rocprim17ROCPRIM_400000_NS6detail17trampoline_kernelINS0_14default_configENS1_29reduce_by_key_config_selectorIalN6thrust23THRUST_200600_302600_NS4plusIlEEEEZZNS1_33reduce_by_key_impl_wrapped_configILNS1_25lookback_scan_determinismE0ES3_S9_PaNS6_17constant_iteratorIiNS6_11use_defaultESE_EENS6_10device_ptrIaEENSG_IlEEPmS8_NS6_8equal_toIaEEEE10hipError_tPvRmT2_T3_mT4_T5_T6_T7_T8_P12ihipStream_tbENKUlT_T0_E_clISt17integral_constantIbLb0EES12_IbLb1EEEEDaSY_SZ_EUlSY_E_NS1_11comp_targetILNS1_3genE3ELNS1_11target_archE908ELNS1_3gpuE7ELNS1_3repE0EEENS1_30default_config_static_selectorELNS0_4arch9wavefront6targetE1EEEvT1_.uses_vcc, 0
	.set _ZN7rocprim17ROCPRIM_400000_NS6detail17trampoline_kernelINS0_14default_configENS1_29reduce_by_key_config_selectorIalN6thrust23THRUST_200600_302600_NS4plusIlEEEEZZNS1_33reduce_by_key_impl_wrapped_configILNS1_25lookback_scan_determinismE0ES3_S9_PaNS6_17constant_iteratorIiNS6_11use_defaultESE_EENS6_10device_ptrIaEENSG_IlEEPmS8_NS6_8equal_toIaEEEE10hipError_tPvRmT2_T3_mT4_T5_T6_T7_T8_P12ihipStream_tbENKUlT_T0_E_clISt17integral_constantIbLb0EES12_IbLb1EEEEDaSY_SZ_EUlSY_E_NS1_11comp_targetILNS1_3genE3ELNS1_11target_archE908ELNS1_3gpuE7ELNS1_3repE0EEENS1_30default_config_static_selectorELNS0_4arch9wavefront6targetE1EEEvT1_.uses_flat_scratch, 0
	.set _ZN7rocprim17ROCPRIM_400000_NS6detail17trampoline_kernelINS0_14default_configENS1_29reduce_by_key_config_selectorIalN6thrust23THRUST_200600_302600_NS4plusIlEEEEZZNS1_33reduce_by_key_impl_wrapped_configILNS1_25lookback_scan_determinismE0ES3_S9_PaNS6_17constant_iteratorIiNS6_11use_defaultESE_EENS6_10device_ptrIaEENSG_IlEEPmS8_NS6_8equal_toIaEEEE10hipError_tPvRmT2_T3_mT4_T5_T6_T7_T8_P12ihipStream_tbENKUlT_T0_E_clISt17integral_constantIbLb0EES12_IbLb1EEEEDaSY_SZ_EUlSY_E_NS1_11comp_targetILNS1_3genE3ELNS1_11target_archE908ELNS1_3gpuE7ELNS1_3repE0EEENS1_30default_config_static_selectorELNS0_4arch9wavefront6targetE1EEEvT1_.has_dyn_sized_stack, 0
	.set _ZN7rocprim17ROCPRIM_400000_NS6detail17trampoline_kernelINS0_14default_configENS1_29reduce_by_key_config_selectorIalN6thrust23THRUST_200600_302600_NS4plusIlEEEEZZNS1_33reduce_by_key_impl_wrapped_configILNS1_25lookback_scan_determinismE0ES3_S9_PaNS6_17constant_iteratorIiNS6_11use_defaultESE_EENS6_10device_ptrIaEENSG_IlEEPmS8_NS6_8equal_toIaEEEE10hipError_tPvRmT2_T3_mT4_T5_T6_T7_T8_P12ihipStream_tbENKUlT_T0_E_clISt17integral_constantIbLb0EES12_IbLb1EEEEDaSY_SZ_EUlSY_E_NS1_11comp_targetILNS1_3genE3ELNS1_11target_archE908ELNS1_3gpuE7ELNS1_3repE0EEENS1_30default_config_static_selectorELNS0_4arch9wavefront6targetE1EEEvT1_.has_recursion, 0
	.set _ZN7rocprim17ROCPRIM_400000_NS6detail17trampoline_kernelINS0_14default_configENS1_29reduce_by_key_config_selectorIalN6thrust23THRUST_200600_302600_NS4plusIlEEEEZZNS1_33reduce_by_key_impl_wrapped_configILNS1_25lookback_scan_determinismE0ES3_S9_PaNS6_17constant_iteratorIiNS6_11use_defaultESE_EENS6_10device_ptrIaEENSG_IlEEPmS8_NS6_8equal_toIaEEEE10hipError_tPvRmT2_T3_mT4_T5_T6_T7_T8_P12ihipStream_tbENKUlT_T0_E_clISt17integral_constantIbLb0EES12_IbLb1EEEEDaSY_SZ_EUlSY_E_NS1_11comp_targetILNS1_3genE3ELNS1_11target_archE908ELNS1_3gpuE7ELNS1_3repE0EEENS1_30default_config_static_selectorELNS0_4arch9wavefront6targetE1EEEvT1_.has_indirect_call, 0
	.section	.AMDGPU.csdata,"",@progbits
; Kernel info:
; codeLenInByte = 0
; TotalNumSgprs: 4
; NumVgprs: 0
; ScratchSize: 0
; MemoryBound: 0
; FloatMode: 240
; IeeeMode: 1
; LDSByteSize: 0 bytes/workgroup (compile time only)
; SGPRBlocks: 0
; VGPRBlocks: 0
; NumSGPRsForWavesPerEU: 4
; NumVGPRsForWavesPerEU: 1
; Occupancy: 10
; WaveLimiterHint : 0
; COMPUTE_PGM_RSRC2:SCRATCH_EN: 0
; COMPUTE_PGM_RSRC2:USER_SGPR: 6
; COMPUTE_PGM_RSRC2:TRAP_HANDLER: 0
; COMPUTE_PGM_RSRC2:TGID_X_EN: 1
; COMPUTE_PGM_RSRC2:TGID_Y_EN: 0
; COMPUTE_PGM_RSRC2:TGID_Z_EN: 0
; COMPUTE_PGM_RSRC2:TIDIG_COMP_CNT: 0
	.section	.text._ZN7rocprim17ROCPRIM_400000_NS6detail17trampoline_kernelINS0_14default_configENS1_29reduce_by_key_config_selectorIalN6thrust23THRUST_200600_302600_NS4plusIlEEEEZZNS1_33reduce_by_key_impl_wrapped_configILNS1_25lookback_scan_determinismE0ES3_S9_PaNS6_17constant_iteratorIiNS6_11use_defaultESE_EENS6_10device_ptrIaEENSG_IlEEPmS8_NS6_8equal_toIaEEEE10hipError_tPvRmT2_T3_mT4_T5_T6_T7_T8_P12ihipStream_tbENKUlT_T0_E_clISt17integral_constantIbLb0EES12_IbLb1EEEEDaSY_SZ_EUlSY_E_NS1_11comp_targetILNS1_3genE2ELNS1_11target_archE906ELNS1_3gpuE6ELNS1_3repE0EEENS1_30default_config_static_selectorELNS0_4arch9wavefront6targetE1EEEvT1_,"axG",@progbits,_ZN7rocprim17ROCPRIM_400000_NS6detail17trampoline_kernelINS0_14default_configENS1_29reduce_by_key_config_selectorIalN6thrust23THRUST_200600_302600_NS4plusIlEEEEZZNS1_33reduce_by_key_impl_wrapped_configILNS1_25lookback_scan_determinismE0ES3_S9_PaNS6_17constant_iteratorIiNS6_11use_defaultESE_EENS6_10device_ptrIaEENSG_IlEEPmS8_NS6_8equal_toIaEEEE10hipError_tPvRmT2_T3_mT4_T5_T6_T7_T8_P12ihipStream_tbENKUlT_T0_E_clISt17integral_constantIbLb0EES12_IbLb1EEEEDaSY_SZ_EUlSY_E_NS1_11comp_targetILNS1_3genE2ELNS1_11target_archE906ELNS1_3gpuE6ELNS1_3repE0EEENS1_30default_config_static_selectorELNS0_4arch9wavefront6targetE1EEEvT1_,comdat
	.protected	_ZN7rocprim17ROCPRIM_400000_NS6detail17trampoline_kernelINS0_14default_configENS1_29reduce_by_key_config_selectorIalN6thrust23THRUST_200600_302600_NS4plusIlEEEEZZNS1_33reduce_by_key_impl_wrapped_configILNS1_25lookback_scan_determinismE0ES3_S9_PaNS6_17constant_iteratorIiNS6_11use_defaultESE_EENS6_10device_ptrIaEENSG_IlEEPmS8_NS6_8equal_toIaEEEE10hipError_tPvRmT2_T3_mT4_T5_T6_T7_T8_P12ihipStream_tbENKUlT_T0_E_clISt17integral_constantIbLb0EES12_IbLb1EEEEDaSY_SZ_EUlSY_E_NS1_11comp_targetILNS1_3genE2ELNS1_11target_archE906ELNS1_3gpuE6ELNS1_3repE0EEENS1_30default_config_static_selectorELNS0_4arch9wavefront6targetE1EEEvT1_ ; -- Begin function _ZN7rocprim17ROCPRIM_400000_NS6detail17trampoline_kernelINS0_14default_configENS1_29reduce_by_key_config_selectorIalN6thrust23THRUST_200600_302600_NS4plusIlEEEEZZNS1_33reduce_by_key_impl_wrapped_configILNS1_25lookback_scan_determinismE0ES3_S9_PaNS6_17constant_iteratorIiNS6_11use_defaultESE_EENS6_10device_ptrIaEENSG_IlEEPmS8_NS6_8equal_toIaEEEE10hipError_tPvRmT2_T3_mT4_T5_T6_T7_T8_P12ihipStream_tbENKUlT_T0_E_clISt17integral_constantIbLb0EES12_IbLb1EEEEDaSY_SZ_EUlSY_E_NS1_11comp_targetILNS1_3genE2ELNS1_11target_archE906ELNS1_3gpuE6ELNS1_3repE0EEENS1_30default_config_static_selectorELNS0_4arch9wavefront6targetE1EEEvT1_
	.globl	_ZN7rocprim17ROCPRIM_400000_NS6detail17trampoline_kernelINS0_14default_configENS1_29reduce_by_key_config_selectorIalN6thrust23THRUST_200600_302600_NS4plusIlEEEEZZNS1_33reduce_by_key_impl_wrapped_configILNS1_25lookback_scan_determinismE0ES3_S9_PaNS6_17constant_iteratorIiNS6_11use_defaultESE_EENS6_10device_ptrIaEENSG_IlEEPmS8_NS6_8equal_toIaEEEE10hipError_tPvRmT2_T3_mT4_T5_T6_T7_T8_P12ihipStream_tbENKUlT_T0_E_clISt17integral_constantIbLb0EES12_IbLb1EEEEDaSY_SZ_EUlSY_E_NS1_11comp_targetILNS1_3genE2ELNS1_11target_archE906ELNS1_3gpuE6ELNS1_3repE0EEENS1_30default_config_static_selectorELNS0_4arch9wavefront6targetE1EEEvT1_
	.p2align	8
	.type	_ZN7rocprim17ROCPRIM_400000_NS6detail17trampoline_kernelINS0_14default_configENS1_29reduce_by_key_config_selectorIalN6thrust23THRUST_200600_302600_NS4plusIlEEEEZZNS1_33reduce_by_key_impl_wrapped_configILNS1_25lookback_scan_determinismE0ES3_S9_PaNS6_17constant_iteratorIiNS6_11use_defaultESE_EENS6_10device_ptrIaEENSG_IlEEPmS8_NS6_8equal_toIaEEEE10hipError_tPvRmT2_T3_mT4_T5_T6_T7_T8_P12ihipStream_tbENKUlT_T0_E_clISt17integral_constantIbLb0EES12_IbLb1EEEEDaSY_SZ_EUlSY_E_NS1_11comp_targetILNS1_3genE2ELNS1_11target_archE906ELNS1_3gpuE6ELNS1_3repE0EEENS1_30default_config_static_selectorELNS0_4arch9wavefront6targetE1EEEvT1_,@function
_ZN7rocprim17ROCPRIM_400000_NS6detail17trampoline_kernelINS0_14default_configENS1_29reduce_by_key_config_selectorIalN6thrust23THRUST_200600_302600_NS4plusIlEEEEZZNS1_33reduce_by_key_impl_wrapped_configILNS1_25lookback_scan_determinismE0ES3_S9_PaNS6_17constant_iteratorIiNS6_11use_defaultESE_EENS6_10device_ptrIaEENSG_IlEEPmS8_NS6_8equal_toIaEEEE10hipError_tPvRmT2_T3_mT4_T5_T6_T7_T8_P12ihipStream_tbENKUlT_T0_E_clISt17integral_constantIbLb0EES12_IbLb1EEEEDaSY_SZ_EUlSY_E_NS1_11comp_targetILNS1_3genE2ELNS1_11target_archE906ELNS1_3gpuE6ELNS1_3repE0EEENS1_30default_config_static_selectorELNS0_4arch9wavefront6targetE1EEEvT1_: ; @_ZN7rocprim17ROCPRIM_400000_NS6detail17trampoline_kernelINS0_14default_configENS1_29reduce_by_key_config_selectorIalN6thrust23THRUST_200600_302600_NS4plusIlEEEEZZNS1_33reduce_by_key_impl_wrapped_configILNS1_25lookback_scan_determinismE0ES3_S9_PaNS6_17constant_iteratorIiNS6_11use_defaultESE_EENS6_10device_ptrIaEENSG_IlEEPmS8_NS6_8equal_toIaEEEE10hipError_tPvRmT2_T3_mT4_T5_T6_T7_T8_P12ihipStream_tbENKUlT_T0_E_clISt17integral_constantIbLb0EES12_IbLb1EEEEDaSY_SZ_EUlSY_E_NS1_11comp_targetILNS1_3genE2ELNS1_11target_archE906ELNS1_3gpuE6ELNS1_3repE0EEENS1_30default_config_static_selectorELNS0_4arch9wavefront6targetE1EEEvT1_
; %bb.0:
	s_load_dwordx4 s[56:59], s[4:5], 0x20
	s_load_dwordx2 s[60:61], s[4:5], 0x30
	s_load_dwordx2 s[36:37], s[4:5], 0x80
	s_add_u32 s0, s0, s7
	s_addc_u32 s1, s1, 0
	v_cmp_ne_u32_e64 s[6:7], 0, v0
	v_cmp_eq_u32_e64 s[38:39], 0, v0
	s_and_saveexec_b64 s[8:9], s[38:39]
	s_cbranch_execz .LBB703_4
; %bb.1:
	s_mov_b64 s[12:13], exec
	v_mbcnt_lo_u32_b32 v1, s12, 0
	v_mbcnt_hi_u32_b32 v1, s13, v1
	v_cmp_eq_u32_e32 vcc, 0, v1
                                        ; implicit-def: $vgpr2
	s_and_saveexec_b64 s[10:11], vcc
	s_cbranch_execz .LBB703_3
; %bb.2:
	s_load_dwordx2 s[14:15], s[4:5], 0x88
	s_bcnt1_i32_b64 s12, s[12:13]
	v_mov_b32_e32 v2, 0
	v_mov_b32_e32 v3, s12
	s_waitcnt lgkmcnt(0)
	global_atomic_add v2, v2, v3, s[14:15] glc
.LBB703_3:
	s_or_b64 exec, exec, s[10:11]
	s_waitcnt vmcnt(0)
	v_readfirstlane_b32 s10, v2
	v_add_u32_e32 v1, s10, v1
	v_mov_b32_e32 v2, 0
	ds_write_b32 v2, v1
.LBB703_4:
	s_or_b64 exec, exec, s[8:9]
	s_load_dwordx4 s[8:11], s[4:5], 0x0
	s_load_dword s12, s[4:5], 0x18
	s_load_dwordx16 s[40:55], s[4:5], 0x40
	v_mov_b32_e32 v1, 0
	s_waitcnt lgkmcnt(0)
	s_barrier
	ds_read_b32 v1, v1
	s_mul_i32 s4, s48, s47
	s_mul_hi_u32 s5, s48, s46
	s_add_i32 s4, s5, s4
	s_mul_i32 s5, s49, s46
	s_add_i32 s5, s4, s5
	s_add_u32 s8, s8, s10
	s_mul_i32 s4, s48, s46
	s_addc_u32 s9, s9, s11
	s_waitcnt lgkmcnt(0)
	v_readfirstlane_b32 s64, v1
	s_movk_i32 s10, 0xf00
	v_mul_lo_u32 v1, v1, s10
	s_add_u32 s4, s4, s64
	s_addc_u32 s5, s5, 0
	s_add_u32 s14, s50, -1
	s_addc_u32 s15, s51, -1
	v_mov_b32_e32 v2, s9
	v_add_co_u32_e32 v33, vcc, s8, v1
	s_cmp_eq_u64 s[4:5], s[14:15]
	v_addc_co_u32_e32 v34, vcc, 0, v2, vcc
	s_cselect_b64 s[48:49], -1, 0
	s_cmp_lg_u64 s[4:5], s[14:15]
	s_mov_b64 s[10:11], -1
	s_cselect_b64 s[8:9], -1, 0
	s_mul_i32 s33, s14, 0xfffff100
	s_and_b64 vcc, exec, s[48:49]
	v_mad_u32_u24 v2, v0, 14, v0
	s_barrier
	s_cbranch_vccnz .LBB703_6
; %bb.5:
	v_readfirstlane_b32 s10, v33
	v_readfirstlane_b32 s11, v34
	s_nop 4
	global_load_ubyte v1, v0, s[10:11]
	global_load_ubyte v6, v0, s[10:11] offset:256
	global_load_ubyte v7, v0, s[10:11] offset:512
	;; [unrolled: 1-line block ×14, first 2 shown]
	s_ashr_i32 s13, s12, 31
	v_mov_b32_e32 v4, s12
	v_mul_u32_u24_e32 v3, 15, v0
	v_mad_i32_i24 v20, v0, -7, v2
	v_mov_b32_e32 v5, s13
	s_waitcnt vmcnt(14)
	ds_write_b8 v0, v1
	s_waitcnt vmcnt(13)
	ds_write_b8 v0, v6 offset:256
	s_waitcnt vmcnt(12)
	ds_write_b8 v0, v7 offset:512
	;; [unrolled: 2-line block ×14, first 2 shown]
	s_waitcnt lgkmcnt(0)
	s_barrier
	ds_read_u8 v72, v2
	ds_read_u8 v71, v2 offset:1
	ds_read_u8 v1, v2 offset:2
	ds_read_b96 v[30:32], v2 offset:3
	s_waitcnt lgkmcnt(0)
	s_barrier
	ds_write2st64_b64 v20, v[4:5], v[4:5] offset1:4
	ds_write2st64_b64 v20, v[4:5], v[4:5] offset0:8 offset1:12
	ds_write2st64_b64 v20, v[4:5], v[4:5] offset0:16 offset1:20
	;; [unrolled: 1-line block ×6, first 2 shown]
	ds_write_b64 v20, v[4:5] offset:28672
	s_waitcnt lgkmcnt(0)
	s_barrier
	s_add_i32 s33, s33, s52
	s_cbranch_execz .LBB703_7
	s_branch .LBB703_38
.LBB703_6:
                                        ; implicit-def: $vgpr30
                                        ; implicit-def: $vgpr72
                                        ; implicit-def: $vgpr71
                                        ; implicit-def: $vgpr1
                                        ; implicit-def: $vgpr3
	s_andn2_b64 vcc, exec, s[10:11]
	s_add_i32 s33, s33, s52
	s_cbranch_vccnz .LBB703_38
.LBB703_7:
	v_cmp_gt_u32_e32 vcc, s33, v0
                                        ; implicit-def: $vgpr1
	s_and_saveexec_b64 s[10:11], vcc
	s_cbranch_execz .LBB703_9
; %bb.8:
	v_readfirstlane_b32 s14, v33
	v_readfirstlane_b32 s15, v34
	s_nop 4
	global_load_ubyte v1, v0, s[14:15]
.LBB703_9:
	s_or_b64 exec, exec, s[10:11]
	v_or_b32_e32 v3, 0x100, v0
	v_cmp_gt_u32_e32 vcc, s33, v3
                                        ; implicit-def: $vgpr3
	s_and_saveexec_b64 s[10:11], vcc
	s_cbranch_execz .LBB703_11
; %bb.10:
	v_readfirstlane_b32 s14, v33
	v_readfirstlane_b32 s15, v34
	s_nop 4
	global_load_ubyte v3, v0, s[14:15] offset:256
.LBB703_11:
	s_or_b64 exec, exec, s[10:11]
	v_or_b32_e32 v4, 0x200, v0
	v_cmp_gt_u32_e32 vcc, s33, v4
                                        ; implicit-def: $vgpr4
	s_and_saveexec_b64 s[10:11], vcc
	s_cbranch_execz .LBB703_13
; %bb.12:
	v_readfirstlane_b32 s14, v33
	v_readfirstlane_b32 s15, v34
	s_nop 4
	global_load_ubyte v4, v0, s[14:15] offset:512
.LBB703_13:
	s_or_b64 exec, exec, s[10:11]
	v_or_b32_e32 v5, 0x300, v0
	v_cmp_gt_u32_e32 vcc, s33, v5
                                        ; implicit-def: $vgpr5
	s_and_saveexec_b64 s[10:11], vcc
	s_cbranch_execz .LBB703_15
; %bb.14:
	v_readfirstlane_b32 s14, v33
	v_readfirstlane_b32 s15, v34
	s_nop 4
	global_load_ubyte v5, v0, s[14:15] offset:768
.LBB703_15:
	s_or_b64 exec, exec, s[10:11]
	v_or_b32_e32 v6, 0x400, v0
	v_cmp_gt_u32_e32 vcc, s33, v6
                                        ; implicit-def: $vgpr6
	s_and_saveexec_b64 s[10:11], vcc
	s_cbranch_execz .LBB703_17
; %bb.16:
	v_readfirstlane_b32 s14, v33
	v_readfirstlane_b32 s15, v34
	s_nop 4
	global_load_ubyte v6, v0, s[14:15] offset:1024
.LBB703_17:
	s_or_b64 exec, exec, s[10:11]
	v_or_b32_e32 v7, 0x500, v0
	v_cmp_gt_u32_e32 vcc, s33, v7
                                        ; implicit-def: $vgpr7
	s_and_saveexec_b64 s[10:11], vcc
	s_cbranch_execz .LBB703_19
; %bb.18:
	v_readfirstlane_b32 s14, v33
	v_readfirstlane_b32 s15, v34
	s_nop 4
	global_load_ubyte v7, v0, s[14:15] offset:1280
.LBB703_19:
	s_or_b64 exec, exec, s[10:11]
	v_or_b32_e32 v8, 0x600, v0
	v_cmp_gt_u32_e32 vcc, s33, v8
                                        ; implicit-def: $vgpr8
	s_and_saveexec_b64 s[10:11], vcc
	s_cbranch_execz .LBB703_21
; %bb.20:
	v_readfirstlane_b32 s14, v33
	v_readfirstlane_b32 s15, v34
	s_nop 4
	global_load_ubyte v8, v0, s[14:15] offset:1536
.LBB703_21:
	s_or_b64 exec, exec, s[10:11]
	v_or_b32_e32 v9, 0x700, v0
	v_cmp_gt_u32_e32 vcc, s33, v9
                                        ; implicit-def: $vgpr9
	s_and_saveexec_b64 s[10:11], vcc
	s_cbranch_execz .LBB703_23
; %bb.22:
	v_readfirstlane_b32 s14, v33
	v_readfirstlane_b32 s15, v34
	s_nop 4
	global_load_ubyte v9, v0, s[14:15] offset:1792
.LBB703_23:
	s_or_b64 exec, exec, s[10:11]
	v_or_b32_e32 v10, 0x800, v0
	v_cmp_gt_u32_e32 vcc, s33, v10
                                        ; implicit-def: $vgpr10
	s_and_saveexec_b64 s[10:11], vcc
	s_cbranch_execz .LBB703_25
; %bb.24:
	v_readfirstlane_b32 s14, v33
	v_readfirstlane_b32 s15, v34
	s_nop 4
	global_load_ubyte v10, v0, s[14:15] offset:2048
.LBB703_25:
	s_or_b64 exec, exec, s[10:11]
	v_or_b32_e32 v11, 0x900, v0
	v_cmp_gt_u32_e32 vcc, s33, v11
                                        ; implicit-def: $vgpr11
	s_and_saveexec_b64 s[10:11], vcc
	s_cbranch_execz .LBB703_27
; %bb.26:
	v_readfirstlane_b32 s14, v33
	v_readfirstlane_b32 s15, v34
	s_nop 4
	global_load_ubyte v11, v0, s[14:15] offset:2304
.LBB703_27:
	s_or_b64 exec, exec, s[10:11]
	v_or_b32_e32 v12, 0xa00, v0
	v_cmp_gt_u32_e32 vcc, s33, v12
                                        ; implicit-def: $vgpr12
	s_and_saveexec_b64 s[10:11], vcc
	s_cbranch_execz .LBB703_29
; %bb.28:
	v_readfirstlane_b32 s14, v33
	v_readfirstlane_b32 s15, v34
	s_nop 4
	global_load_ubyte v12, v0, s[14:15] offset:2560
.LBB703_29:
	s_or_b64 exec, exec, s[10:11]
	v_or_b32_e32 v13, 0xb00, v0
	v_cmp_gt_u32_e32 vcc, s33, v13
                                        ; implicit-def: $vgpr13
	s_and_saveexec_b64 s[10:11], vcc
	s_cbranch_execz .LBB703_31
; %bb.30:
	v_readfirstlane_b32 s14, v33
	v_readfirstlane_b32 s15, v34
	s_nop 4
	global_load_ubyte v13, v0, s[14:15] offset:2816
.LBB703_31:
	s_or_b64 exec, exec, s[10:11]
	v_or_b32_e32 v14, 0xc00, v0
	v_cmp_gt_u32_e32 vcc, s33, v14
                                        ; implicit-def: $vgpr14
	s_and_saveexec_b64 s[10:11], vcc
	s_cbranch_execz .LBB703_33
; %bb.32:
	v_readfirstlane_b32 s14, v33
	v_readfirstlane_b32 s15, v34
	s_nop 4
	global_load_ubyte v14, v0, s[14:15] offset:3072
.LBB703_33:
	s_or_b64 exec, exec, s[10:11]
	v_or_b32_e32 v15, 0xd00, v0
	v_cmp_gt_u32_e32 vcc, s33, v15
                                        ; implicit-def: $vgpr15
	s_and_saveexec_b64 s[10:11], vcc
	s_cbranch_execz .LBB703_35
; %bb.34:
	v_readfirstlane_b32 s14, v33
	v_readfirstlane_b32 s15, v34
	s_nop 4
	global_load_ubyte v15, v0, s[14:15] offset:3328
.LBB703_35:
	s_or_b64 exec, exec, s[10:11]
	v_or_b32_e32 v16, 0xe00, v0
	v_cmp_gt_u32_e32 vcc, s33, v16
                                        ; implicit-def: $vgpr16
	s_and_saveexec_b64 s[10:11], vcc
	s_cbranch_execz .LBB703_37
; %bb.36:
	v_readfirstlane_b32 s14, v33
	v_readfirstlane_b32 s15, v34
	s_nop 4
	global_load_ubyte v16, v0, s[14:15] offset:3584
.LBB703_37:
	s_or_b64 exec, exec, s[10:11]
	s_waitcnt vmcnt(0)
	ds_write_b8 v0, v1
	ds_write_b8 v0, v3 offset:256
	ds_write_b8 v0, v4 offset:512
	;; [unrolled: 1-line block ×14, first 2 shown]
	s_waitcnt lgkmcnt(0)
	s_barrier
	ds_read_u8 v72, v2
	ds_read_u8 v71, v2 offset:1
	ds_read_u8 v1, v2 offset:2
	ds_read_b96 v[30:32], v2 offset:3
	s_ashr_i32 s13, s12, 31
	v_mov_b32_e32 v4, s12
	v_mul_u32_u24_e32 v3, 15, v0
	v_mad_i32_i24 v2, v0, -7, v2
	v_mov_b32_e32 v5, s13
	s_waitcnt lgkmcnt(0)
	s_barrier
	ds_write2st64_b64 v2, v[4:5], v[4:5] offset1:4
	ds_write2st64_b64 v2, v[4:5], v[4:5] offset0:8 offset1:12
	ds_write2st64_b64 v2, v[4:5], v[4:5] offset0:16 offset1:20
	;; [unrolled: 1-line block ×6, first 2 shown]
	ds_write_b64 v2, v[4:5] offset:28672
	s_waitcnt lgkmcnt(0)
	s_barrier
.LBB703_38:
	v_lshlrev_b32_e32 v26, 3, v3
	ds_read_b64 v[67:68], v26 offset:112
	ds_read2_b64 v[2:5], v26 offset0:12 offset1:13
	ds_read2_b64 v[6:9], v26 offset0:10 offset1:11
	ds_read2_b64 v[10:13], v26 offset0:8 offset1:9
	ds_read2_b64 v[14:17], v26 offset0:6 offset1:7
	ds_read2_b64 v[18:21], v26 offset0:4 offset1:5
	ds_read2_b64 v[22:25], v26 offset0:2 offset1:3
	ds_read2_b64 v[26:29], v26 offset1:1
	s_cmp_eq_u64 s[4:5], 0
	s_cselect_b64 s[50:51], -1, 0
	s_cmp_lg_u64 s[4:5], 0
	s_mov_b64 s[10:11], 0
	s_cselect_b64 s[12:13], -1, 0
	s_and_b64 vcc, exec, s[8:9]
	s_waitcnt lgkmcnt(0)
	s_barrier
	s_cbranch_vccz .LBB703_43
; %bb.39:
	s_and_b64 vcc, exec, s[12:13]
	s_cbranch_vccz .LBB703_44
; %bb.40:
	global_load_ubyte v35, v[33:34], off offset:-1
	s_movk_i32 s10, 0xff
	v_lshrrev_b32_e32 v36, 24, v32
	v_and_b32_sdwa v37, v32, s10 dst_sel:DWORD dst_unused:UNUSED_PAD src0_sel:WORD_1 src1_sel:DWORD
	v_cmp_ne_u16_e32 vcc, v37, v36
	ds_write_b8 v0, v36
	v_cndmask_b32_e64 v36, 0, 1, vcc
	buffer_store_dword v36, off, s[0:3], 0 offset:56
	v_lshrrev_b32_e32 v36, 8, v32
	v_cmp_ne_u16_sdwa s[8:9], v36, v37 src0_sel:BYTE_0 src1_sel:DWORD
	v_cndmask_b32_e64 v37, 0, 1, s[8:9]
	v_cmp_ne_u16_sdwa s[8:9], v32, v36 src0_sel:BYTE_0 src1_sel:BYTE_0
	v_cndmask_b32_e64 v36, 0, 1, s[8:9]
	v_cmp_ne_u16_sdwa s[8:9], v31, v32 src0_sel:BYTE_3 src1_sel:BYTE_0
	buffer_store_dword v36, off, s[0:3], 0 offset:48
	v_cndmask_b32_e64 v36, 0, 1, s[8:9]
	buffer_store_dword v36, off, s[0:3], 0 offset:44
	v_and_b32_sdwa v36, v31, s10 dst_sel:DWORD dst_unused:UNUSED_PAD src0_sel:WORD_1 src1_sel:DWORD
	v_cmp_ne_u16_sdwa s[8:9], v36, v31 src0_sel:DWORD src1_sel:BYTE_3
	buffer_store_dword v37, off, s[0:3], 0 offset:52
	v_cndmask_b32_e64 v37, 0, 1, s[8:9]
	buffer_store_dword v37, off, s[0:3], 0 offset:40
	v_lshrrev_b32_e32 v37, 8, v31
	v_cmp_ne_u16_sdwa s[8:9], v37, v36 src0_sel:BYTE_0 src1_sel:DWORD
	v_cndmask_b32_e64 v36, 0, 1, s[8:9]
	v_cmp_ne_u16_sdwa s[8:9], v31, v37 src0_sel:BYTE_0 src1_sel:BYTE_0
	buffer_store_dword v36, off, s[0:3], 0 offset:36
	v_cndmask_b32_e64 v36, 0, 1, s[8:9]
	v_cmp_ne_u16_sdwa s[8:9], v30, v31 src0_sel:BYTE_3 src1_sel:BYTE_0
	buffer_store_dword v36, off, s[0:3], 0 offset:32
	v_cndmask_b32_e64 v36, 0, 1, s[8:9]
	buffer_store_dword v36, off, s[0:3], 0 offset:28
	v_and_b32_sdwa v36, v30, s10 dst_sel:DWORD dst_unused:UNUSED_PAD src0_sel:WORD_1 src1_sel:DWORD
	v_cmp_ne_u16_sdwa s[8:9], v36, v30 src0_sel:DWORD src1_sel:BYTE_3
	v_cndmask_b32_e64 v37, 0, 1, s[8:9]
	buffer_store_dword v37, off, s[0:3], 0 offset:24
	v_lshrrev_b32_e32 v37, 8, v30
	v_cmp_ne_u16_sdwa s[8:9], v37, v36 src0_sel:BYTE_0 src1_sel:DWORD
	v_cndmask_b32_e64 v36, 0, 1, s[8:9]
	v_cmp_ne_u16_sdwa s[8:9], v30, v37 src0_sel:BYTE_0 src1_sel:BYTE_0
	buffer_store_dword v36, off, s[0:3], 0 offset:20
	v_cndmask_b32_e64 v36, 0, 1, s[8:9]
	v_cmp_ne_u16_sdwa s[8:9], v1, v30 src0_sel:BYTE_0 src1_sel:BYTE_0
	buffer_store_dword v36, off, s[0:3], 0 offset:16
	;; [unrolled: 3-line block ×4, first 2 shown]
	v_cndmask_b32_e64 v36, 0, 1, s[8:9]
	buffer_store_dword v36, off, s[0:3], 0 offset:4
	s_waitcnt vmcnt(0) lgkmcnt(0)
	s_barrier
	s_and_saveexec_b64 s[8:9], s[6:7]
; %bb.41:
	v_add_u32_e32 v35, -1, v0
	ds_read_u8 v35, v35
; %bb.42:
	s_or_b64 exec, exec, s[8:9]
	s_waitcnt lgkmcnt(0)
	v_cmp_ne_u16_sdwa s[14:15], v35, v72 src0_sel:BYTE_0 src1_sel:BYTE_0
	s_mov_b64 s[10:11], -1
	s_branch .LBB703_48
.LBB703_43:
                                        ; implicit-def: $sgpr14_sgpr15
	s_cbranch_execnz .LBB703_49
	s_branch .LBB703_57
.LBB703_44:
                                        ; implicit-def: $sgpr14_sgpr15
	s_cbranch_execz .LBB703_48
; %bb.45:
	s_movk_i32 s14, 0xff
	v_lshrrev_b32_e32 v35, 24, v32
	v_and_b32_sdwa v36, v32, s14 dst_sel:DWORD dst_unused:UNUSED_PAD src0_sel:WORD_1 src1_sel:DWORD
	v_cmp_ne_u16_e32 vcc, v36, v35
	ds_write_b8 v0, v35
	v_cndmask_b32_e64 v35, 0, 1, vcc
	buffer_store_dword v35, off, s[0:3], 0 offset:56
	v_lshrrev_b32_e32 v35, 8, v32
	v_cmp_ne_u16_sdwa s[8:9], v35, v36 src0_sel:BYTE_0 src1_sel:DWORD
	v_cndmask_b32_e64 v36, 0, 1, s[8:9]
	v_cmp_ne_u16_sdwa s[8:9], v32, v35 src0_sel:BYTE_0 src1_sel:BYTE_0
	v_cndmask_b32_e64 v35, 0, 1, s[8:9]
	v_cmp_ne_u16_sdwa s[8:9], v31, v32 src0_sel:BYTE_3 src1_sel:BYTE_0
	buffer_store_dword v35, off, s[0:3], 0 offset:48
	v_cndmask_b32_e64 v35, 0, 1, s[8:9]
	buffer_store_dword v35, off, s[0:3], 0 offset:44
	v_and_b32_sdwa v35, v31, s14 dst_sel:DWORD dst_unused:UNUSED_PAD src0_sel:WORD_1 src1_sel:DWORD
	v_cmp_ne_u16_sdwa s[8:9], v35, v31 src0_sel:DWORD src1_sel:BYTE_3
	buffer_store_dword v36, off, s[0:3], 0 offset:52
	v_cndmask_b32_e64 v36, 0, 1, s[8:9]
	buffer_store_dword v36, off, s[0:3], 0 offset:40
	v_lshrrev_b32_e32 v36, 8, v31
	v_cmp_ne_u16_sdwa s[8:9], v36, v35 src0_sel:BYTE_0 src1_sel:DWORD
	v_cndmask_b32_e64 v35, 0, 1, s[8:9]
	v_cmp_ne_u16_sdwa s[8:9], v31, v36 src0_sel:BYTE_0 src1_sel:BYTE_0
	buffer_store_dword v35, off, s[0:3], 0 offset:36
	v_cndmask_b32_e64 v35, 0, 1, s[8:9]
	v_cmp_ne_u16_sdwa s[8:9], v30, v31 src0_sel:BYTE_3 src1_sel:BYTE_0
	buffer_store_dword v35, off, s[0:3], 0 offset:32
	v_cndmask_b32_e64 v35, 0, 1, s[8:9]
	buffer_store_dword v35, off, s[0:3], 0 offset:28
	v_and_b32_sdwa v35, v30, s14 dst_sel:DWORD dst_unused:UNUSED_PAD src0_sel:WORD_1 src1_sel:DWORD
	v_cmp_ne_u16_sdwa s[8:9], v35, v30 src0_sel:DWORD src1_sel:BYTE_3
	v_cndmask_b32_e64 v36, 0, 1, s[8:9]
	buffer_store_dword v36, off, s[0:3], 0 offset:24
	v_lshrrev_b32_e32 v36, 8, v30
	v_cmp_ne_u16_sdwa s[8:9], v36, v35 src0_sel:BYTE_0 src1_sel:DWORD
	v_cndmask_b32_e64 v35, 0, 1, s[8:9]
	v_cmp_ne_u16_sdwa s[8:9], v30, v36 src0_sel:BYTE_0 src1_sel:BYTE_0
	buffer_store_dword v35, off, s[0:3], 0 offset:20
	v_cndmask_b32_e64 v35, 0, 1, s[8:9]
	v_cmp_ne_u16_sdwa s[8:9], v1, v30 src0_sel:BYTE_0 src1_sel:BYTE_0
	buffer_store_dword v35, off, s[0:3], 0 offset:16
	;; [unrolled: 3-line block ×4, first 2 shown]
	v_cndmask_b32_e64 v35, 0, 1, s[8:9]
	buffer_store_dword v35, off, s[0:3], 0 offset:4
	v_mov_b32_e32 v35, 1
	s_waitcnt vmcnt(0) lgkmcnt(0)
	s_barrier
	buffer_store_dword v35, off, s[0:3], 0
                                        ; implicit-def: $sgpr14_sgpr15
	s_and_saveexec_b64 s[8:9], s[6:7]
	s_xor_b64 s[8:9], exec, s[8:9]
	s_cbranch_execz .LBB703_47
; %bb.46:
	v_add_u32_e32 v35, -1, v0
	ds_read_u8 v35, v35
	s_or_b64 s[10:11], s[10:11], exec
	s_waitcnt lgkmcnt(0)
	v_cmp_ne_u16_sdwa s[14:15], v35, v72 src0_sel:DWORD src1_sel:BYTE_0
.LBB703_47:
	s_or_b64 exec, exec, s[8:9]
.LBB703_48:
	s_branch .LBB703_57
.LBB703_49:
	s_mul_hi_u32 s8, s4, 0xfffff100
	s_mulk_i32 s5, 0xf100
	s_sub_i32 s8, s8, s4
	s_add_i32 s5, s8, s5
	s_mulk_i32 s4, 0xf100
	s_add_u32 s8, s4, s52
	s_addc_u32 s9, s5, s53
	s_and_b64 vcc, exec, s[12:13]
	v_mad_u32_u24 v35, v0, 15, 14
	v_mad_u32_u24 v61, v0, 15, 13
	;; [unrolled: 1-line block ×4, first 2 shown]
	v_cmp_ne_u16_sdwa s[20:21], v31, v32 src0_sel:BYTE_3 src1_sel:BYTE_0
	v_mad_u32_u24 v55, v0, 15, 10
	v_mad_u32_u24 v53, v0, 15, 9
	;; [unrolled: 1-line block ×4, first 2 shown]
	v_cmp_ne_u16_sdwa s[18:19], v30, v31 src0_sel:BYTE_3 src1_sel:BYTE_0
	v_mad_u32_u24 v47, v0, 15, 6
	v_mad_u32_u24 v45, v0, 15, 5
	;; [unrolled: 1-line block ×4, first 2 shown]
	v_cmp_ne_u16_sdwa s[16:17], v1, v30 src0_sel:BYTE_0 src1_sel:BYTE_0
	v_mad_u32_u24 v39, v0, 15, 2
	v_cmp_ne_u16_sdwa s[14:15], v71, v1 src0_sel:BYTE_0 src1_sel:BYTE_0
	v_mad_u32_u24 v37, v0, 15, 1
	v_cmp_ne_u16_sdwa s[12:13], v72, v71 src0_sel:BYTE_0 src1_sel:BYTE_0
	s_cbranch_vccz .LBB703_53
; %bb.50:
	global_load_ubyte v63, v[33:34], off offset:-1
	v_mov_b32_e32 v36, 0
	s_movk_i32 s10, 0xff
	v_lshrrev_b32_e32 v34, 24, v32
	v_cmp_gt_u64_e32 vcc, s[8:9], v[35:36]
	v_and_b32_sdwa v38, v32, s10 dst_sel:DWORD dst_unused:UNUSED_PAD src0_sel:WORD_1 src1_sel:DWORD
	v_cmp_ne_u16_e64 s[4:5], v38, v34
	s_and_b64 s[4:5], vcc, s[4:5]
	ds_write_b8 v0, v34
	v_cndmask_b32_e64 v34, 0, 1, s[4:5]
	v_mov_b32_e32 v62, v36
	buffer_store_dword v34, off, s[0:3], 0 offset:56
	v_cmp_gt_u64_e32 vcc, s[8:9], v[61:62]
	v_lshrrev_b32_e32 v34, 8, v32
	v_cmp_ne_u16_sdwa s[4:5], v34, v38 src0_sel:BYTE_0 src1_sel:DWORD
	v_mov_b32_e32 v60, v36
	s_and_b64 s[4:5], vcc, s[4:5]
	v_cmp_gt_u64_e32 vcc, s[8:9], v[59:60]
	v_cndmask_b32_e64 v38, 0, 1, s[4:5]
	v_cmp_ne_u16_sdwa s[4:5], v32, v34 src0_sel:BYTE_0 src1_sel:BYTE_0
	v_mov_b32_e32 v58, v36
	s_and_b64 s[4:5], vcc, s[4:5]
	v_cmp_gt_u64_e32 vcc, s[8:9], v[57:58]
	v_cndmask_b32_e64 v34, 0, 1, s[4:5]
	s_and_b64 s[4:5], vcc, s[20:21]
	buffer_store_dword v34, off, s[0:3], 0 offset:48
	v_cndmask_b32_e64 v34, 0, 1, s[4:5]
	v_mov_b32_e32 v56, v36
	buffer_store_dword v34, off, s[0:3], 0 offset:44
	v_cmp_gt_u64_e32 vcc, s[8:9], v[55:56]
	v_and_b32_sdwa v34, v31, s10 dst_sel:DWORD dst_unused:UNUSED_PAD src0_sel:WORD_1 src1_sel:DWORD
	v_cmp_ne_u16_sdwa s[4:5], v34, v31 src0_sel:DWORD src1_sel:BYTE_3
	s_and_b64 s[4:5], vcc, s[4:5]
	buffer_store_dword v38, off, s[0:3], 0 offset:52
	v_cndmask_b32_e64 v38, 0, 1, s[4:5]
	v_mov_b32_e32 v54, v36
	buffer_store_dword v38, off, s[0:3], 0 offset:40
	v_cmp_gt_u64_e32 vcc, s[8:9], v[53:54]
	v_lshrrev_b32_e32 v38, 8, v31
	v_cmp_ne_u16_sdwa s[4:5], v38, v34 src0_sel:BYTE_0 src1_sel:DWORD
	v_mov_b32_e32 v52, v36
	s_and_b64 s[4:5], vcc, s[4:5]
	v_cmp_gt_u64_e32 vcc, s[8:9], v[51:52]
	v_cndmask_b32_e64 v34, 0, 1, s[4:5]
	v_cmp_ne_u16_sdwa s[4:5], v31, v38 src0_sel:BYTE_0 src1_sel:BYTE_0
	v_mov_b32_e32 v50, v36
	s_and_b64 s[4:5], vcc, s[4:5]
	v_cmp_gt_u64_e32 vcc, s[8:9], v[49:50]
	buffer_store_dword v34, off, s[0:3], 0 offset:36
	v_cndmask_b32_e64 v34, 0, 1, s[4:5]
	s_and_b64 s[4:5], vcc, s[18:19]
	buffer_store_dword v34, off, s[0:3], 0 offset:32
	v_cndmask_b32_e64 v34, 0, 1, s[4:5]
	v_mov_b32_e32 v48, v36
	buffer_store_dword v34, off, s[0:3], 0 offset:28
	v_cmp_gt_u64_e32 vcc, s[8:9], v[47:48]
	v_and_b32_sdwa v34, v30, s10 dst_sel:DWORD dst_unused:UNUSED_PAD src0_sel:WORD_1 src1_sel:DWORD
	v_cmp_ne_u16_sdwa s[4:5], v34, v30 src0_sel:DWORD src1_sel:BYTE_3
	s_and_b64 s[4:5], vcc, s[4:5]
	v_cndmask_b32_e64 v38, 0, 1, s[4:5]
	v_mov_b32_e32 v46, v36
	buffer_store_dword v38, off, s[0:3], 0 offset:24
	v_cmp_gt_u64_e32 vcc, s[8:9], v[45:46]
	v_lshrrev_b32_e32 v38, 8, v30
	v_cmp_ne_u16_sdwa s[4:5], v38, v34 src0_sel:BYTE_0 src1_sel:DWORD
	v_mov_b32_e32 v44, v36
	s_and_b64 s[4:5], vcc, s[4:5]
	v_cmp_gt_u64_e32 vcc, s[8:9], v[43:44]
	v_cndmask_b32_e64 v34, 0, 1, s[4:5]
	v_cmp_ne_u16_sdwa s[4:5], v30, v38 src0_sel:BYTE_0 src1_sel:BYTE_0
	v_mov_b32_e32 v42, v36
	s_and_b64 s[4:5], vcc, s[4:5]
	v_cmp_gt_u64_e32 vcc, s[8:9], v[41:42]
	v_mov_b32_e32 v40, v36
	buffer_store_dword v34, off, s[0:3], 0 offset:20
	v_cndmask_b32_e64 v34, 0, 1, s[4:5]
	s_and_b64 s[4:5], vcc, s[16:17]
	v_cmp_gt_u64_e32 vcc, s[8:9], v[39:40]
	v_mov_b32_e32 v38, v36
	buffer_store_dword v34, off, s[0:3], 0 offset:16
	v_cndmask_b32_e64 v34, 0, 1, s[4:5]
	s_and_b64 s[4:5], vcc, s[14:15]
	v_cmp_gt_u64_e32 vcc, s[8:9], v[37:38]
	buffer_store_dword v34, off, s[0:3], 0 offset:12
	v_cndmask_b32_e64 v34, 0, 1, s[4:5]
	s_and_b64 s[4:5], vcc, s[12:13]
	v_mul_u32_u24_e32 v33, 15, v0
	buffer_store_dword v34, off, s[0:3], 0 offset:8
	v_cndmask_b32_e64 v34, 0, 1, s[4:5]
	buffer_store_dword v34, off, s[0:3], 0 offset:4
	s_waitcnt vmcnt(0) lgkmcnt(0)
	s_barrier
	s_and_saveexec_b64 s[4:5], s[6:7]
; %bb.51:
	v_add_u32_e32 v34, -1, v0
	ds_read_u8 v63, v34
; %bb.52:
	s_or_b64 exec, exec, s[4:5]
	v_mov_b32_e32 v34, v36
	v_cmp_gt_u64_e32 vcc, s[8:9], v[33:34]
	s_waitcnt lgkmcnt(0)
	v_cmp_ne_u16_sdwa s[4:5], v63, v72 src0_sel:BYTE_0 src1_sel:BYTE_0
	s_and_b64 s[14:15], vcc, s[4:5]
	s_mov_b64 s[10:11], -1
	s_branch .LBB703_57
.LBB703_53:
                                        ; implicit-def: $sgpr14_sgpr15
	s_cbranch_execz .LBB703_57
; %bb.54:
	v_mov_b32_e32 v36, 0
	s_movk_i32 s12, 0xff
	v_lshrrev_b32_e32 v33, 24, v32
	v_cmp_gt_u64_e32 vcc, s[8:9], v[35:36]
	v_and_b32_sdwa v34, v32, s12 dst_sel:DWORD dst_unused:UNUSED_PAD src0_sel:WORD_1 src1_sel:DWORD
	v_cmp_ne_u16_e64 s[4:5], v34, v33
	s_and_b64 s[4:5], vcc, s[4:5]
	ds_write_b8 v0, v33
	v_cndmask_b32_e64 v33, 0, 1, s[4:5]
	v_mov_b32_e32 v62, v36
	buffer_store_dword v33, off, s[0:3], 0 offset:56
	v_cmp_gt_u64_e32 vcc, s[8:9], v[61:62]
	v_lshrrev_b32_e32 v33, 8, v32
	v_cmp_ne_u16_sdwa s[4:5], v33, v34 src0_sel:BYTE_0 src1_sel:DWORD
	v_mov_b32_e32 v60, v36
	s_and_b64 s[4:5], vcc, s[4:5]
	v_cmp_gt_u64_e32 vcc, s[8:9], v[59:60]
	v_cndmask_b32_e64 v34, 0, 1, s[4:5]
	v_cmp_ne_u16_sdwa s[4:5], v32, v33 src0_sel:BYTE_0 src1_sel:BYTE_0
	v_mov_b32_e32 v58, v36
	s_and_b64 s[4:5], vcc, s[4:5]
	v_cmp_gt_u64_e32 vcc, s[8:9], v[57:58]
	v_cndmask_b32_e64 v33, 0, 1, s[4:5]
	v_cmp_ne_u16_sdwa s[4:5], v31, v32 src0_sel:BYTE_3 src1_sel:BYTE_0
	s_and_b64 s[4:5], vcc, s[4:5]
	buffer_store_dword v33, off, s[0:3], 0 offset:48
	v_cndmask_b32_e64 v33, 0, 1, s[4:5]
	v_mov_b32_e32 v56, v36
	buffer_store_dword v33, off, s[0:3], 0 offset:44
	v_cmp_gt_u64_e32 vcc, s[8:9], v[55:56]
	v_and_b32_sdwa v33, v31, s12 dst_sel:DWORD dst_unused:UNUSED_PAD src0_sel:WORD_1 src1_sel:DWORD
	v_cmp_ne_u16_sdwa s[4:5], v33, v31 src0_sel:DWORD src1_sel:BYTE_3
	s_and_b64 s[4:5], vcc, s[4:5]
	buffer_store_dword v34, off, s[0:3], 0 offset:52
	v_cndmask_b32_e64 v34, 0, 1, s[4:5]
	v_mov_b32_e32 v54, v36
	buffer_store_dword v34, off, s[0:3], 0 offset:40
	v_cmp_gt_u64_e32 vcc, s[8:9], v[53:54]
	v_lshrrev_b32_e32 v34, 8, v31
	v_cmp_ne_u16_sdwa s[4:5], v34, v33 src0_sel:BYTE_0 src1_sel:DWORD
	v_mov_b32_e32 v52, v36
	s_and_b64 s[4:5], vcc, s[4:5]
	v_cmp_gt_u64_e32 vcc, s[8:9], v[51:52]
	v_cndmask_b32_e64 v33, 0, 1, s[4:5]
	v_cmp_ne_u16_sdwa s[4:5], v31, v34 src0_sel:BYTE_0 src1_sel:BYTE_0
	v_mov_b32_e32 v50, v36
	s_and_b64 s[4:5], vcc, s[4:5]
	v_cmp_gt_u64_e32 vcc, s[8:9], v[49:50]
	buffer_store_dword v33, off, s[0:3], 0 offset:36
	v_cndmask_b32_e64 v33, 0, 1, s[4:5]
	v_cmp_ne_u16_sdwa s[4:5], v30, v31 src0_sel:BYTE_3 src1_sel:BYTE_0
	s_and_b64 s[4:5], vcc, s[4:5]
	buffer_store_dword v33, off, s[0:3], 0 offset:32
	v_cndmask_b32_e64 v33, 0, 1, s[4:5]
	v_mov_b32_e32 v48, v36
	buffer_store_dword v33, off, s[0:3], 0 offset:28
	v_cmp_gt_u64_e32 vcc, s[8:9], v[47:48]
	v_and_b32_sdwa v33, v30, s12 dst_sel:DWORD dst_unused:UNUSED_PAD src0_sel:WORD_1 src1_sel:DWORD
	v_cmp_ne_u16_sdwa s[4:5], v33, v30 src0_sel:DWORD src1_sel:BYTE_3
	s_and_b64 s[4:5], vcc, s[4:5]
	v_cndmask_b32_e64 v34, 0, 1, s[4:5]
	v_mov_b32_e32 v46, v36
	buffer_store_dword v34, off, s[0:3], 0 offset:24
	v_cmp_gt_u64_e32 vcc, s[8:9], v[45:46]
	v_lshrrev_b32_e32 v34, 8, v30
	v_cmp_ne_u16_sdwa s[4:5], v34, v33 src0_sel:BYTE_0 src1_sel:DWORD
	v_mov_b32_e32 v44, v36
	s_and_b64 s[4:5], vcc, s[4:5]
	v_cmp_gt_u64_e32 vcc, s[8:9], v[43:44]
	v_cndmask_b32_e64 v33, 0, 1, s[4:5]
	v_cmp_ne_u16_sdwa s[4:5], v30, v34 src0_sel:BYTE_0 src1_sel:BYTE_0
	v_mov_b32_e32 v42, v36
	s_and_b64 s[4:5], vcc, s[4:5]
	v_cmp_gt_u64_e32 vcc, s[8:9], v[41:42]
	buffer_store_dword v33, off, s[0:3], 0 offset:20
	v_cndmask_b32_e64 v33, 0, 1, s[4:5]
	v_cmp_ne_u16_sdwa s[4:5], v1, v30 src0_sel:BYTE_0 src1_sel:BYTE_0
	v_mov_b32_e32 v40, v36
	s_and_b64 s[4:5], vcc, s[4:5]
	v_cmp_gt_u64_e32 vcc, s[8:9], v[39:40]
	buffer_store_dword v33, off, s[0:3], 0 offset:16
	;; [unrolled: 6-line block ×3, first 2 shown]
	v_cndmask_b32_e64 v33, 0, 1, s[4:5]
	v_cmp_ne_u16_sdwa s[4:5], v72, v71 src0_sel:BYTE_0 src1_sel:BYTE_0
	s_and_b64 s[4:5], vcc, s[4:5]
	buffer_store_dword v33, off, s[0:3], 0 offset:8
	v_mov_b32_e32 v33, 1
	v_cndmask_b32_e64 v34, 0, 1, s[4:5]
	buffer_store_dword v34, off, s[0:3], 0 offset:4
	s_waitcnt vmcnt(0) lgkmcnt(0)
	s_barrier
	buffer_store_dword v33, off, s[0:3], 0
                                        ; implicit-def: $sgpr14_sgpr15
	s_and_saveexec_b64 s[4:5], s[6:7]
	s_cbranch_execz .LBB703_56
; %bb.55:
	v_add_u32_e32 v33, -1, v0
	ds_read_u8 v33, v33
	v_mul_u32_u24_e32 v35, 15, v0
	v_cmp_gt_u64_e32 vcc, s[8:9], v[35:36]
	s_or_b64 s[10:11], s[10:11], exec
	s_waitcnt lgkmcnt(0)
	v_cmp_ne_u16_sdwa s[6:7], v33, v72 src0_sel:BYTE_0 src1_sel:BYTE_0
	s_and_b64 s[14:15], vcc, s[6:7]
.LBB703_56:
	s_or_b64 exec, exec, s[4:5]
.LBB703_57:
	v_mov_b32_e32 v73, 1
	s_and_saveexec_b64 s[4:5], s[10:11]
	s_cbranch_execz .LBB703_59
; %bb.58:
	v_cndmask_b32_e64 v73, 0, 1, s[14:15]
	buffer_store_dword v73, off, s[0:3], 0
.LBB703_59:
	s_or_b64 exec, exec, s[4:5]
	buffer_load_dword v86, off, s[0:3], 0 offset:4
	buffer_load_dword v85, off, s[0:3], 0 offset:8
	;; [unrolled: 1-line block ×14, first 2 shown]
	s_cmp_eq_u64 s[46:47], 0
	s_cselect_b64 s[46:47], -1, 0
	s_cmp_lg_u32 s64, 0
	v_mbcnt_lo_u32_b32 v88, -1, 0
	s_waitcnt vmcnt(13)
	v_cmp_eq_u32_e64 s[30:31], 0, v86
	s_waitcnt vmcnt(12)
	v_add3_u32 v33, v86, v73, v85
	v_cmp_eq_u32_e64 s[28:29], 0, v85
	s_waitcnt vmcnt(11)
	v_cmp_eq_u32_e64 s[26:27], 0, v74
	s_waitcnt vmcnt(10)
	;; [unrolled: 2-line block ×12, first 2 shown]
	v_cmp_eq_u32_e32 vcc, 0, v87
	v_add3_u32 v89, v33, v74, v75
	s_cbranch_scc0 .LBB703_121
; %bb.60:
	v_cndmask_b32_e64 v34, 0, v26, s[30:31]
	v_cndmask_b32_e64 v33, 0, v27, s[30:31]
	v_add_co_u32_e64 v34, s[4:5], v34, v28
	v_addc_co_u32_e64 v33, s[4:5], v33, v29, s[4:5]
	v_cndmask_b32_e64 v34, 0, v34, s[28:29]
	v_cndmask_b32_e64 v33, 0, v33, s[28:29]
	v_add_co_u32_e64 v34, s[4:5], v34, v22
	v_addc_co_u32_e64 v33, s[4:5], v33, v23, s[4:5]
	;; [unrolled: 4-line block ×11, first 2 shown]
	v_cndmask_b32_e64 v34, 0, v34, s[8:9]
	v_add3_u32 v35, v89, v76, v77
	v_cndmask_b32_e64 v33, 0, v33, s[8:9]
	v_add_co_u32_e64 v34, s[4:5], v34, v2
	v_add3_u32 v35, v35, v78, v79
	v_addc_co_u32_e64 v33, s[4:5], v33, v3, s[4:5]
	v_cndmask_b32_e64 v34, 0, v34, s[6:7]
	v_add3_u32 v35, v35, v80, v81
	v_cndmask_b32_e64 v33, 0, v33, s[6:7]
	v_add_co_u32_e64 v34, s[4:5], v34, v4
	v_add3_u32 v35, v35, v82, v83
	v_addc_co_u32_e64 v33, s[4:5], v33, v5, s[4:5]
	v_cndmask_b32_e32 v34, 0, v34, vcc
	v_add3_u32 v37, v35, v84, v87
	v_cndmask_b32_e32 v33, 0, v33, vcc
	v_add_co_u32_e32 v35, vcc, v34, v67
	v_mbcnt_hi_u32_b32 v42, -1, v88
	v_addc_co_u32_e32 v36, vcc, v33, v68, vcc
	v_and_b32_e32 v33, 15, v42
	v_mov_b32_dpp v38, v37 row_shr:1 row_mask:0xf bank_mask:0xf
	v_mov_b32_dpp v34, v35 row_shr:1 row_mask:0xf bank_mask:0xf
	;; [unrolled: 1-line block ×3, first 2 shown]
	v_cmp_ne_u32_e32 vcc, 0, v33
	s_and_saveexec_b64 s[4:5], vcc
; %bb.61:
	v_cmp_eq_u32_e32 vcc, 0, v37
	v_cndmask_b32_e32 v34, 0, v34, vcc
	v_add_u32_e32 v38, v38, v37
	v_cndmask_b32_e32 v37, 0, v39, vcc
	v_add_co_u32_e32 v35, vcc, v34, v35
	v_addc_co_u32_e32 v36, vcc, v37, v36, vcc
	v_mov_b32_e32 v37, v38
; %bb.62:
	s_or_b64 exec, exec, s[4:5]
	s_nop 0
	v_mov_b32_dpp v38, v37 row_shr:2 row_mask:0xf bank_mask:0xf
	v_mov_b32_dpp v34, v35 row_shr:2 row_mask:0xf bank_mask:0xf
	v_mov_b32_dpp v39, v36 row_shr:2 row_mask:0xf bank_mask:0xf
	v_cmp_lt_u32_e32 vcc, 1, v33
	s_and_saveexec_b64 s[4:5], vcc
; %bb.63:
	v_cmp_eq_u32_e32 vcc, 0, v37
	v_cndmask_b32_e32 v34, 0, v34, vcc
	v_add_u32_e32 v38, v38, v37
	v_cndmask_b32_e32 v37, 0, v39, vcc
	v_add_co_u32_e32 v35, vcc, v34, v35
	v_addc_co_u32_e32 v36, vcc, v37, v36, vcc
	v_mov_b32_e32 v37, v38
; %bb.64:
	s_or_b64 exec, exec, s[4:5]
	s_nop 0
	v_mov_b32_dpp v38, v37 row_shr:4 row_mask:0xf bank_mask:0xf
	v_mov_b32_dpp v34, v35 row_shr:4 row_mask:0xf bank_mask:0xf
	v_mov_b32_dpp v39, v36 row_shr:4 row_mask:0xf bank_mask:0xf
	v_cmp_lt_u32_e32 vcc, 3, v33
	;; [unrolled: 16-line block ×3, first 2 shown]
	s_and_saveexec_b64 s[4:5], vcc
; %bb.67:
	v_cmp_eq_u32_e32 vcc, 0, v37
	v_cndmask_b32_e32 v34, 0, v34, vcc
	v_add_u32_e32 v33, v38, v37
	v_cndmask_b32_e32 v37, 0, v39, vcc
	v_add_co_u32_e32 v35, vcc, v34, v35
	v_addc_co_u32_e32 v36, vcc, v37, v36, vcc
	v_mov_b32_e32 v37, v33
; %bb.68:
	s_or_b64 exec, exec, s[4:5]
	v_and_b32_e32 v39, 16, v42
	v_mov_b32_dpp v34, v37 row_bcast:15 row_mask:0xf bank_mask:0xf
	v_mov_b32_dpp v33, v35 row_bcast:15 row_mask:0xf bank_mask:0xf
	;; [unrolled: 1-line block ×3, first 2 shown]
	v_cmp_ne_u32_e32 vcc, 0, v39
	s_and_saveexec_b64 s[4:5], vcc
; %bb.69:
	v_cmp_eq_u32_e32 vcc, 0, v37
	v_cndmask_b32_e32 v33, 0, v33, vcc
	v_add_u32_e32 v34, v34, v37
	v_cndmask_b32_e32 v37, 0, v38, vcc
	v_add_co_u32_e32 v35, vcc, v33, v35
	v_addc_co_u32_e32 v36, vcc, v37, v36, vcc
	v_mov_b32_e32 v37, v34
; %bb.70:
	s_or_b64 exec, exec, s[4:5]
	s_nop 0
	v_mov_b32_dpp v34, v37 row_bcast:31 row_mask:0xf bank_mask:0xf
	v_mov_b32_dpp v33, v35 row_bcast:31 row_mask:0xf bank_mask:0xf
	;; [unrolled: 1-line block ×3, first 2 shown]
	v_cmp_lt_u32_e32 vcc, 31, v42
	s_and_saveexec_b64 s[4:5], vcc
; %bb.71:
	v_cmp_eq_u32_e32 vcc, 0, v37
	v_cndmask_b32_e32 v33, 0, v33, vcc
	v_add_u32_e32 v34, v34, v37
	v_cndmask_b32_e32 v37, 0, v38, vcc
	v_add_co_u32_e32 v35, vcc, v33, v35
	v_addc_co_u32_e32 v36, vcc, v37, v36, vcc
	v_mov_b32_e32 v37, v34
; %bb.72:
	s_or_b64 exec, exec, s[4:5]
	v_lshrrev_b32_e32 v33, 6, v0
	v_or_b32_e32 v34, 63, v0
	v_cmp_eq_u32_e32 vcc, v0, v34
	v_lshlrev_b32_e32 v38, 4, v33
	s_and_saveexec_b64 s[4:5], vcc
	s_cbranch_execz .LBB703_74
; %bb.73:
	ds_write_b32 v38, v37 offset:544
	ds_write_b64 v38, v[35:36] offset:552
.LBB703_74:
	s_or_b64 exec, exec, s[4:5]
	v_cmp_gt_u32_e32 vcc, 4, v0
	s_waitcnt lgkmcnt(0)
	s_barrier
	s_and_saveexec_b64 s[4:5], vcc
	s_cbranch_execz .LBB703_80
; %bb.75:
	v_lshlrev_b32_e32 v39, 4, v0
	ds_read_b32 v40, v39 offset:544
	ds_read_b64 v[33:34], v39 offset:552
	v_and_b32_e32 v41, 3, v42
	v_cmp_ne_u32_e32 vcc, 0, v41
	s_waitcnt lgkmcnt(1)
	v_mov_b32_dpp v44, v40 row_shr:1 row_mask:0xf bank_mask:0xf
	s_waitcnt lgkmcnt(0)
	v_mov_b32_dpp v43, v33 row_shr:1 row_mask:0xf bank_mask:0xf
	v_mov_b32_dpp v45, v34 row_shr:1 row_mask:0xf bank_mask:0xf
	s_and_saveexec_b64 s[34:35], vcc
; %bb.76:
	v_cmp_eq_u32_e32 vcc, 0, v40
	v_cndmask_b32_e32 v43, 0, v43, vcc
	v_add_u32_e32 v44, v44, v40
	v_cndmask_b32_e32 v40, 0, v45, vcc
	v_add_co_u32_e32 v33, vcc, v43, v33
	v_addc_co_u32_e32 v34, vcc, v40, v34, vcc
	v_mov_b32_e32 v40, v44
; %bb.77:
	s_or_b64 exec, exec, s[34:35]
	s_nop 0
	v_mov_b32_dpp v44, v40 row_shr:2 row_mask:0xf bank_mask:0xf
	v_mov_b32_dpp v43, v33 row_shr:2 row_mask:0xf bank_mask:0xf
	;; [unrolled: 1-line block ×3, first 2 shown]
	v_cmp_lt_u32_e32 vcc, 1, v41
	s_and_saveexec_b64 s[34:35], vcc
; %bb.78:
	v_cmp_eq_u32_e32 vcc, 0, v40
	v_cndmask_b32_e32 v43, 0, v43, vcc
	v_add_u32_e32 v41, v44, v40
	v_cndmask_b32_e32 v40, 0, v45, vcc
	v_add_co_u32_e32 v33, vcc, v43, v33
	v_addc_co_u32_e32 v34, vcc, v40, v34, vcc
	v_mov_b32_e32 v40, v41
; %bb.79:
	s_or_b64 exec, exec, s[34:35]
	ds_write_b32 v39, v40 offset:544
	ds_write_b64 v39, v[33:34] offset:552
.LBB703_80:
	s_or_b64 exec, exec, s[4:5]
	v_mov_b32_e32 v33, 0
	v_cmp_gt_u32_e32 vcc, 64, v0
	v_cmp_lt_u32_e64 s[4:5], 63, v0
	v_mov_b32_e32 v34, 0
	v_mov_b32_e32 v45, 0
	s_waitcnt lgkmcnt(0)
	s_barrier
	s_and_saveexec_b64 s[34:35], s[4:5]
	s_cbranch_execz .LBB703_82
; %bb.81:
	ds_read_b32 v45, v38 offset:528
	ds_read_b64 v[33:34], v38 offset:536
	v_cmp_eq_u32_e64 s[4:5], 0, v37
	s_waitcnt lgkmcnt(1)
	v_add_u32_e32 v38, v45, v37
	s_waitcnt lgkmcnt(0)
	v_cndmask_b32_e64 v39, 0, v33, s[4:5]
	v_cndmask_b32_e64 v37, 0, v34, s[4:5]
	v_add_co_u32_e64 v35, s[4:5], v39, v35
	v_addc_co_u32_e64 v36, s[4:5], v37, v36, s[4:5]
	v_mov_b32_e32 v37, v38
.LBB703_82:
	s_or_b64 exec, exec, s[34:35]
	v_subrev_co_u32_e64 v38, s[34:35], 1, v42
	v_and_b32_e32 v39, 64, v42
	v_cmp_lt_i32_e64 s[4:5], v38, v39
	v_cndmask_b32_e64 v38, v38, v42, s[4:5]
	v_lshlrev_b32_e32 v38, 2, v38
	ds_bpermute_b32 v46, v38, v37
	ds_bpermute_b32 v47, v38, v35
	;; [unrolled: 1-line block ×3, first 2 shown]
	s_and_saveexec_b64 s[52:53], vcc
	s_cbranch_execz .LBB703_126
; %bb.83:
	v_mov_b32_e32 v39, 0
	ds_read_b32 v49, v39 offset:592
	ds_read_b64 v[35:36], v39 offset:600
	s_and_saveexec_b64 s[4:5], s[34:35]
	s_cbranch_execz .LBB703_85
; %bb.84:
	s_add_i32 s62, s64, 64
	s_mov_b32 s63, 0
	s_lshl_b64 s[66:67], s[62:63], 4
	s_add_u32 s66, s40, s66
	s_addc_u32 s67, s41, s67
	v_mov_b32_e32 v37, 1
	v_mov_b32_e32 v38, s62
	s_waitcnt lgkmcnt(1)
	global_store_dword v39, v49, s[66:67]
	s_waitcnt lgkmcnt(0)
	global_store_dwordx2 v39, v[35:36], s[66:67] offset:8
	s_waitcnt vmcnt(0)
	buffer_wbinvl1_vol
	global_store_byte v38, v37, s[44:45]
.LBB703_85:
	s_or_b64 exec, exec, s[4:5]
	v_xad_u32 v37, v42, -1, s64
	v_add_u32_e32 v38, 64, v37
	global_load_ubyte v50, v38, s[44:45] glc
	s_waitcnt vmcnt(0)
	v_cmp_eq_u16_e32 vcc, 0, v50
	s_and_saveexec_b64 s[4:5], vcc
	s_cbranch_execz .LBB703_89
; %bb.86:
	v_mov_b32_e32 v41, s45
	v_add_co_u32_e32 v40, vcc, s44, v38
	v_addc_co_u32_e32 v41, vcc, 0, v41, vcc
	s_mov_b64 s[62:63], 0
.LBB703_87:                             ; =>This Inner Loop Header: Depth=1
	global_load_ubyte v50, v[40:41], off glc
	s_waitcnt vmcnt(0)
	v_cmp_ne_u16_e32 vcc, 0, v50
	s_or_b64 s[62:63], vcc, s[62:63]
	s_andn2_b64 exec, exec, s[62:63]
	s_cbranch_execnz .LBB703_87
; %bb.88:
	s_or_b64 exec, exec, s[62:63]
.LBB703_89:
	s_or_b64 exec, exec, s[4:5]
	v_mov_b32_e32 v40, s43
	v_mov_b32_e32 v41, s41
	v_cmp_eq_u16_e32 vcc, 1, v50
	v_cndmask_b32_e32 v40, v40, v41, vcc
	v_mov_b32_e32 v41, s42
	v_mov_b32_e32 v43, s40
	v_lshlrev_b64 v[38:39], 4, v[38:39]
	v_cndmask_b32_e32 v41, v41, v43, vcc
	v_add_co_u32_e32 v38, vcc, v41, v38
	v_addc_co_u32_e32 v39, vcc, v40, v39, vcc
	s_waitcnt lgkmcnt(0)
	buffer_wbinvl1_vol
	global_load_dword v65, v[38:39], off
	global_load_dwordx2 v[43:44], v[38:39], off offset:8
	v_and_b32_e32 v51, 63, v42
	v_lshlrev_b64 v[39:40], v42, -1
	v_cmp_ne_u32_e64 s[4:5], 63, v51
	v_cmp_eq_u16_e32 vcc, 2, v50
	v_addc_co_u32_e64 v38, s[4:5], 0, v42, s[4:5]
	v_and_b32_e32 v41, vcc_hi, v40
	v_lshlrev_b32_e32 v52, 2, v38
	v_or_b32_e32 v38, 0x80000000, v41
	v_and_b32_e32 v55, vcc_lo, v39
	v_ffbl_b32_e32 v38, v38
	v_add_u32_e32 v38, 32, v38
	v_ffbl_b32_e32 v55, v55
	v_min_u32_e32 v38, v55, v38
	v_cmp_lt_u32_e32 vcc, v51, v38
	s_waitcnt vmcnt(1)
	ds_bpermute_b32 v53, v52, v65
	s_waitcnt vmcnt(0)
	ds_bpermute_b32 v41, v52, v43
	ds_bpermute_b32 v54, v52, v44
	s_and_saveexec_b64 s[4:5], vcc
	s_cbranch_execz .LBB703_91
; %bb.90:
	v_cmp_eq_u32_e32 vcc, 0, v65
	s_waitcnt lgkmcnt(1)
	v_cndmask_b32_e32 v41, 0, v41, vcc
	v_add_u32_e32 v53, v53, v65
	s_waitcnt lgkmcnt(0)
	v_cndmask_b32_e32 v54, 0, v54, vcc
	v_add_co_u32_e32 v43, vcc, v41, v43
	v_addc_co_u32_e32 v44, vcc, v54, v44, vcc
	v_mov_b32_e32 v65, v53
.LBB703_91:
	s_or_b64 exec, exec, s[4:5]
	v_cmp_gt_u32_e32 vcc, 62, v51
	s_waitcnt lgkmcnt(1)
	v_cndmask_b32_e64 v41, 0, 2, vcc
	v_add_lshl_u32 v53, v41, v42, 2
	ds_bpermute_b32 v55, v53, v65
	ds_bpermute_b32 v41, v53, v43
	ds_bpermute_b32 v56, v53, v44
	s_waitcnt lgkmcnt(3)
	v_add_u32_e32 v54, 2, v51
	v_cmp_le_u32_e32 vcc, v54, v38
	s_and_saveexec_b64 s[4:5], vcc
	s_cbranch_execz .LBB703_93
; %bb.92:
	v_cmp_eq_u32_e32 vcc, 0, v65
	s_waitcnt lgkmcnt(1)
	v_cndmask_b32_e32 v41, 0, v41, vcc
	v_add_u32_e32 v55, v55, v65
	s_waitcnt lgkmcnt(0)
	v_cndmask_b32_e32 v56, 0, v56, vcc
	v_add_co_u32_e32 v43, vcc, v41, v43
	v_addc_co_u32_e32 v44, vcc, v56, v44, vcc
	v_mov_b32_e32 v65, v55
.LBB703_93:
	s_or_b64 exec, exec, s[4:5]
	v_cmp_gt_u32_e32 vcc, 60, v51
	s_waitcnt lgkmcnt(1)
	v_cndmask_b32_e64 v41, 0, 4, vcc
	v_add_lshl_u32 v55, v41, v42, 2
	ds_bpermute_b32 v57, v55, v65
	ds_bpermute_b32 v41, v55, v43
	ds_bpermute_b32 v58, v55, v44
	s_waitcnt lgkmcnt(3)
	v_add_u32_e32 v56, 4, v51
	v_cmp_le_u32_e32 vcc, v56, v38
	;; [unrolled: 24-line block ×4, first 2 shown]
	s_and_saveexec_b64 s[4:5], vcc
	s_cbranch_execz .LBB703_99
; %bb.98:
	v_cmp_eq_u32_e32 vcc, 0, v65
	s_waitcnt lgkmcnt(1)
	v_cndmask_b32_e32 v41, 0, v41, vcc
	v_add_u32_e32 v61, v61, v65
	s_waitcnt lgkmcnt(0)
	v_cndmask_b32_e32 v62, 0, v62, vcc
	v_add_co_u32_e32 v43, vcc, v41, v43
	v_addc_co_u32_e32 v44, vcc, v62, v44, vcc
	v_mov_b32_e32 v65, v61
.LBB703_99:
	s_or_b64 exec, exec, s[4:5]
	s_waitcnt lgkmcnt(1)
	v_mov_b32_e32 v41, 0x80
	s_waitcnt lgkmcnt(0)
	v_lshl_or_b32 v62, v42, 2, v41
	ds_bpermute_b32 v42, v62, v65
	ds_bpermute_b32 v41, v62, v43
	;; [unrolled: 1-line block ×3, first 2 shown]
	v_add_u32_e32 v63, 32, v51
	v_cmp_le_u32_e32 vcc, v63, v38
	s_and_saveexec_b64 s[4:5], vcc
	s_cbranch_execz .LBB703_101
; %bb.100:
	v_cmp_eq_u32_e32 vcc, 0, v65
	s_waitcnt lgkmcnt(1)
	v_cndmask_b32_e32 v41, 0, v41, vcc
	v_add_u32_e32 v38, v42, v65
	s_waitcnt lgkmcnt(0)
	v_cndmask_b32_e32 v42, 0, v61, vcc
	v_add_co_u32_e32 v43, vcc, v41, v43
	v_addc_co_u32_e32 v44, vcc, v42, v44, vcc
	v_mov_b32_e32 v65, v38
.LBB703_101:
	s_or_b64 exec, exec, s[4:5]
	v_mov_b32_e32 v38, 0
	v_mov_b32_e32 v64, 2
	s_branch .LBB703_104
.LBB703_102:                            ;   in Loop: Header=BB703_104 Depth=1
	s_or_b64 exec, exec, s[4:5]
	v_cmp_eq_u32_e32 vcc, 0, v61
	v_cndmask_b32_e32 v43, 0, v43, vcc
	v_cndmask_b32_e32 v44, 0, v44, vcc
	v_add_co_u32_e32 v43, vcc, v43, v41
	v_subrev_u32_e32 v37, 64, v37
	v_add_u32_e32 v65, v66, v61
	v_addc_co_u32_e32 v44, vcc, v44, v42, vcc
	s_mov_b64 s[4:5], 0
.LBB703_103:                            ;   in Loop: Header=BB703_104 Depth=1
	s_and_b64 vcc, exec, s[4:5]
	s_cbranch_vccnz .LBB703_122
.LBB703_104:                            ; =>This Loop Header: Depth=1
                                        ;     Child Loop BB703_107 Depth 2
	s_waitcnt lgkmcnt(1)
	v_mov_b32_e32 v41, v43
	v_cmp_ne_u16_sdwa s[4:5], v50, v64 src0_sel:BYTE_0 src1_sel:DWORD
	v_mov_b32_e32 v42, v44
	s_waitcnt lgkmcnt(0)
	v_mov_b32_e32 v61, v65
	s_cmp_lg_u64 s[4:5], exec
	s_mov_b64 s[4:5], -1
                                        ; implicit-def: $vgpr43_vgpr44
                                        ; implicit-def: $vgpr65
                                        ; implicit-def: $vgpr50
	s_cbranch_scc1 .LBB703_103
; %bb.105:                              ;   in Loop: Header=BB703_104 Depth=1
	global_load_ubyte v50, v37, s[44:45] glc
	s_waitcnt vmcnt(0)
	v_cmp_eq_u16_e32 vcc, 0, v50
	s_and_saveexec_b64 s[4:5], vcc
	s_cbranch_execz .LBB703_109
; %bb.106:                              ;   in Loop: Header=BB703_104 Depth=1
	v_mov_b32_e32 v44, s45
	v_add_co_u32_e32 v43, vcc, s44, v37
	v_addc_co_u32_e32 v44, vcc, 0, v44, vcc
	s_mov_b64 s[62:63], 0
.LBB703_107:                            ;   Parent Loop BB703_104 Depth=1
                                        ; =>  This Inner Loop Header: Depth=2
	global_load_ubyte v50, v[43:44], off glc
	s_waitcnt vmcnt(0)
	v_cmp_ne_u16_e32 vcc, 0, v50
	s_or_b64 s[62:63], vcc, s[62:63]
	s_andn2_b64 exec, exec, s[62:63]
	s_cbranch_execnz .LBB703_107
; %bb.108:                              ;   in Loop: Header=BB703_104 Depth=1
	s_or_b64 exec, exec, s[62:63]
.LBB703_109:                            ;   in Loop: Header=BB703_104 Depth=1
	s_or_b64 exec, exec, s[4:5]
	v_mov_b32_e32 v43, s43
	v_mov_b32_e32 v44, s41
	v_cmp_eq_u16_e32 vcc, 1, v50
	v_cndmask_b32_e32 v65, v43, v44, vcc
	v_mov_b32_e32 v43, s42
	v_mov_b32_e32 v44, s40
	v_cndmask_b32_e32 v66, v43, v44, vcc
	v_lshlrev_b64 v[43:44], 4, v[37:38]
	buffer_wbinvl1_vol
	v_add_co_u32_e32 v43, vcc, v66, v43
	v_addc_co_u32_e32 v44, vcc, v65, v44, vcc
	global_load_dword v66, v[43:44], off
	s_nop 0
	global_load_dwordx2 v[43:44], v[43:44], off offset:8
	v_cmp_eq_u16_e32 vcc, 2, v50
	v_and_b32_e32 v65, vcc_hi, v40
	v_or_b32_e32 v65, 0x80000000, v65
	v_and_b32_e32 v91, vcc_lo, v39
	v_ffbl_b32_e32 v65, v65
	v_add_u32_e32 v65, 32, v65
	v_ffbl_b32_e32 v91, v91
	v_min_u32_e32 v65, v91, v65
	v_cmp_lt_u32_e32 vcc, v51, v65
	s_waitcnt vmcnt(1)
	ds_bpermute_b32 v70, v52, v66
	s_waitcnt vmcnt(0)
	ds_bpermute_b32 v69, v52, v43
	ds_bpermute_b32 v90, v52, v44
	s_and_saveexec_b64 s[4:5], vcc
	s_cbranch_execz .LBB703_111
; %bb.110:                              ;   in Loop: Header=BB703_104 Depth=1
	v_cmp_eq_u32_e32 vcc, 0, v66
	s_waitcnt lgkmcnt(1)
	v_cndmask_b32_e32 v69, 0, v69, vcc
	v_add_u32_e32 v70, v70, v66
	s_waitcnt lgkmcnt(0)
	v_cndmask_b32_e32 v66, 0, v90, vcc
	v_add_co_u32_e32 v43, vcc, v69, v43
	v_addc_co_u32_e32 v44, vcc, v66, v44, vcc
	v_mov_b32_e32 v66, v70
.LBB703_111:                            ;   in Loop: Header=BB703_104 Depth=1
	s_or_b64 exec, exec, s[4:5]
	s_waitcnt lgkmcnt(2)
	ds_bpermute_b32 v70, v53, v66
	s_waitcnt lgkmcnt(2)
	ds_bpermute_b32 v69, v53, v43
	s_waitcnt lgkmcnt(2)
	ds_bpermute_b32 v90, v53, v44
	v_cmp_le_u32_e32 vcc, v54, v65
	s_and_saveexec_b64 s[4:5], vcc
	s_cbranch_execz .LBB703_113
; %bb.112:                              ;   in Loop: Header=BB703_104 Depth=1
	v_cmp_eq_u32_e32 vcc, 0, v66
	s_waitcnt lgkmcnt(1)
	v_cndmask_b32_e32 v69, 0, v69, vcc
	v_add_u32_e32 v70, v70, v66
	s_waitcnt lgkmcnt(0)
	v_cndmask_b32_e32 v66, 0, v90, vcc
	v_add_co_u32_e32 v43, vcc, v69, v43
	v_addc_co_u32_e32 v44, vcc, v66, v44, vcc
	v_mov_b32_e32 v66, v70
.LBB703_113:                            ;   in Loop: Header=BB703_104 Depth=1
	s_or_b64 exec, exec, s[4:5]
	s_waitcnt lgkmcnt(2)
	ds_bpermute_b32 v70, v55, v66
	s_waitcnt lgkmcnt(2)
	ds_bpermute_b32 v69, v55, v43
	s_waitcnt lgkmcnt(2)
	ds_bpermute_b32 v90, v55, v44
	v_cmp_le_u32_e32 vcc, v56, v65
	;; [unrolled: 21-line block ×5, first 2 shown]
	s_and_saveexec_b64 s[4:5], vcc
	s_cbranch_execz .LBB703_102
; %bb.120:                              ;   in Loop: Header=BB703_104 Depth=1
	v_cmp_eq_u32_e32 vcc, 0, v66
	s_waitcnt lgkmcnt(1)
	v_cndmask_b32_e32 v69, 0, v69, vcc
	v_add_u32_e32 v65, v70, v66
	s_waitcnt lgkmcnt(0)
	v_cndmask_b32_e32 v66, 0, v90, vcc
	v_add_co_u32_e32 v43, vcc, v69, v43
	v_addc_co_u32_e32 v44, vcc, v66, v44, vcc
	v_mov_b32_e32 v66, v65
	s_branch .LBB703_102
.LBB703_121:
                                        ; implicit-def: $vgpr33
                                        ; implicit-def: $vgpr35_vgpr36
                                        ; implicit-def: $vgpr37
                                        ; implicit-def: $vgpr63_vgpr64
                                        ; implicit-def: $vgpr39_vgpr40
                                        ; implicit-def: $vgpr41_vgpr42
                                        ; implicit-def: $vgpr43_vgpr44
                                        ; implicit-def: $vgpr45_vgpr46
                                        ; implicit-def: $vgpr47_vgpr48
                                        ; implicit-def: $vgpr49_vgpr50
                                        ; implicit-def: $vgpr51_vgpr52
                                        ; implicit-def: $vgpr53_vgpr54
                                        ; implicit-def: $vgpr55_vgpr56
                                        ; implicit-def: $vgpr57_vgpr58
                                        ; implicit-def: $vgpr59_vgpr60
                                        ; implicit-def: $vgpr61_vgpr62
                                        ; implicit-def: $vgpr65_vgpr66
                                        ; implicit-def: $vgpr69_vgpr70
                                        ; implicit-def: $vgpr34
	s_cbranch_execnz .LBB703_127
	s_branch .LBB703_154
.LBB703_122:
	s_and_saveexec_b64 s[4:5], s[34:35]
	s_cbranch_execz .LBB703_124
; %bb.123:
	s_mov_b32 s41, 0
	v_cmp_eq_u32_e32 vcc, 0, v49
	s_add_i32 s40, s64, 64
	v_cndmask_b32_e32 v37, 0, v41, vcc
	s_lshl_b64 s[62:63], s[40:41], 4
	v_cndmask_b32_e32 v38, 0, v42, vcc
	v_add_co_u32_e32 v37, vcc, v37, v35
	s_add_u32 s62, s42, s62
	v_add_u32_e32 v39, v61, v49
	v_addc_co_u32_e32 v38, vcc, v38, v36, vcc
	s_addc_u32 s63, s43, s63
	v_mov_b32_e32 v40, 0
	global_store_dword v40, v39, s[62:63]
	global_store_dwordx2 v40, v[37:38], s[62:63] offset:8
	v_mov_b32_e32 v37, 2
	v_mov_b32_e32 v38, s40
	s_waitcnt vmcnt(0) lgkmcnt(0)
	buffer_wbinvl1_vol
	global_store_byte v38, v37, s[44:45]
	ds_write_b32 v40, v49 offset:512
	ds_write_b64 v40, v[35:36] offset:520
	ds_write_b32 v40, v61 offset:528
	ds_write_b64 v40, v[41:42] offset:536
.LBB703_124:
	s_or_b64 exec, exec, s[4:5]
	s_and_b64 exec, exec, s[38:39]
	s_cbranch_execz .LBB703_126
; %bb.125:
	v_mov_b32_e32 v35, 0
	ds_write_b32 v35, v61 offset:592
	ds_write_b64 v35, v[41:42] offset:600
.LBB703_126:
	s_or_b64 exec, exec, s[52:53]
	v_mov_b32_e32 v38, 0
	s_waitcnt vmcnt(0) lgkmcnt(0)
	s_barrier
	ds_read_b32 v37, v38 offset:592
	ds_read_b64 v[35:36], v38 offset:600
	v_cndmask_b32_e64 v39, v46, v45, s[34:35]
	v_cmp_eq_u32_e32 vcc, 0, v39
	v_cndmask_b32_e64 v33, v47, v33, s[34:35]
	v_cndmask_b32_e64 v34, v48, v34, s[34:35]
	s_waitcnt lgkmcnt(0)
	v_cndmask_b32_e32 v41, 0, v35, vcc
	v_cndmask_b32_e32 v40, 0, v36, vcc
	v_add_co_u32_e32 v33, vcc, v41, v33
	v_addc_co_u32_e32 v40, vcc, v40, v34, vcc
	v_cndmask_b32_e64 v63, v33, v35, s[38:39]
	v_cmp_eq_u32_e32 vcc, 0, v73
	v_cndmask_b32_e64 v64, v40, v36, s[38:39]
	v_cndmask_b32_e32 v35, 0, v63, vcc
	v_cndmask_b32_e64 v34, v39, 0, s[38:39]
	v_cndmask_b32_e32 v33, 0, v64, vcc
	v_add_co_u32_e32 v39, vcc, v35, v26
	v_addc_co_u32_e32 v40, vcc, v33, v27, vcc
	v_cndmask_b32_e64 v35, 0, v39, s[30:31]
	v_cndmask_b32_e64 v33, 0, v40, s[30:31]
	v_add_co_u32_e32 v41, vcc, v35, v28
	v_addc_co_u32_e32 v42, vcc, v33, v29, vcc
	v_cndmask_b32_e64 v35, 0, v41, s[28:29]
	v_cndmask_b32_e64 v33, 0, v42, s[28:29]
	;; [unrolled: 4-line block ×11, first 2 shown]
	v_add_co_u32_e32 v61, vcc, v35, v8
	v_add_u32_e32 v34, v37, v34
	v_addc_co_u32_e32 v62, vcc, v33, v9, vcc
	s_barrier
	ds_read_b32 v33, v38 offset:512
	ds_read_b64 v[35:36], v38 offset:520
	ds_read_b32 v37, v38 offset:528
	ds_read_b64 v[90:91], v38 offset:536
	v_cndmask_b32_e64 v65, 0, v61, s[8:9]
	v_cndmask_b32_e64 v66, 0, v62, s[8:9]
	v_add_co_u32_e32 v65, vcc, v65, v2
	v_addc_co_u32_e32 v66, vcc, v66, v3, vcc
	s_waitcnt lgkmcnt(3)
	v_cmp_eq_u32_e32 vcc, 0, v33
	s_waitcnt lgkmcnt(0)
	v_cndmask_b32_e32 v90, 0, v90, vcc
	v_cndmask_b32_e32 v38, 0, v91, vcc
	v_add_co_u32_e32 v35, vcc, v90, v35
	v_cndmask_b32_e64 v70, 0, v66, s[6:7]
	v_cndmask_b32_e64 v69, 0, v65, s[6:7]
	v_addc_co_u32_e32 v36, vcc, v38, v36, vcc
	s_branch .LBB703_154
.LBB703_127:
	s_cmp_eq_u64 s[36:37], 0
	s_cselect_b64 s[4:5], -1, 0
	s_or_b64 s[4:5], s[46:47], s[4:5]
	v_mov_b32_e32 v38, v27
	s_and_b64 vcc, exec, s[4:5]
	v_mov_b32_e32 v37, v26
	s_cbranch_vccnz .LBB703_129
; %bb.128:
	v_mov_b32_e32 v33, 0
	global_load_dwordx2 v[37:38], v33, s[36:37]
.LBB703_129:
	v_cmp_eq_u32_e64 s[28:29], 0, v86
	v_cndmask_b32_e64 v34, 0, v26, s[28:29]
	v_cndmask_b32_e64 v33, 0, v27, s[28:29]
	v_add_co_u32_e32 v34, vcc, v34, v28
	v_cmp_eq_u32_e64 s[26:27], 0, v85
	v_addc_co_u32_e32 v33, vcc, v33, v29, vcc
	v_cndmask_b32_e64 v34, 0, v34, s[26:27]
	v_cndmask_b32_e64 v33, 0, v33, s[26:27]
	v_add_co_u32_e32 v34, vcc, v34, v22
	v_cmp_eq_u32_e64 s[24:25], 0, v74
	v_addc_co_u32_e32 v33, vcc, v33, v23, vcc
	;; [unrolled: 5-line block ×11, first 2 shown]
	v_cndmask_b32_e64 v34, 0, v34, s[8:9]
	v_cndmask_b32_e64 v33, 0, v33, s[8:9]
	v_add_co_u32_e32 v34, vcc, v34, v2
	v_addc_co_u32_e32 v33, vcc, v33, v3, vcc
	v_cmp_eq_u32_e32 vcc, 0, v84
	v_add3_u32 v35, v89, v76, v77
	v_cndmask_b32_e32 v34, 0, v34, vcc
	v_add3_u32 v35, v35, v78, v79
	v_cndmask_b32_e32 v33, 0, v33, vcc
	v_add_co_u32_e64 v34, s[4:5], v34, v4
	v_add3_u32 v35, v35, v80, v81
	v_addc_co_u32_e64 v33, s[4:5], v33, v5, s[4:5]
	v_add3_u32 v35, v35, v82, v83
	v_cmp_eq_u32_e64 s[4:5], 0, v87
	v_add3_u32 v40, v35, v84, v87
	v_cndmask_b32_e64 v35, 0, v33, s[4:5]
	v_cndmask_b32_e64 v33, 0, v34, s[4:5]
	v_add_co_u32_e64 v33, s[4:5], v33, v67
	v_mbcnt_hi_u32_b32 v39, -1, v88
	v_addc_co_u32_e64 v34, s[4:5], v35, v68, s[4:5]
	v_and_b32_e32 v35, 15, v39
	v_mov_b32_dpp v41, v40 row_shr:1 row_mask:0xf bank_mask:0xf
	v_mov_b32_dpp v36, v33 row_shr:1 row_mask:0xf bank_mask:0xf
	;; [unrolled: 1-line block ×3, first 2 shown]
	v_cmp_ne_u32_e64 s[4:5], 0, v35
	s_and_saveexec_b64 s[30:31], s[4:5]
; %bb.130:
	v_cmp_eq_u32_e64 s[4:5], 0, v40
	v_cndmask_b32_e64 v36, 0, v36, s[4:5]
	v_add_u32_e32 v41, v41, v40
	v_cndmask_b32_e64 v40, 0, v42, s[4:5]
	v_add_co_u32_e64 v33, s[4:5], v36, v33
	v_addc_co_u32_e64 v34, s[4:5], v40, v34, s[4:5]
	v_mov_b32_e32 v40, v41
; %bb.131:
	s_or_b64 exec, exec, s[30:31]
	s_nop 0
	v_mov_b32_dpp v41, v40 row_shr:2 row_mask:0xf bank_mask:0xf
	v_mov_b32_dpp v36, v33 row_shr:2 row_mask:0xf bank_mask:0xf
	v_mov_b32_dpp v42, v34 row_shr:2 row_mask:0xf bank_mask:0xf
	v_cmp_lt_u32_e64 s[4:5], 1, v35
	s_and_saveexec_b64 s[30:31], s[4:5]
; %bb.132:
	v_cmp_eq_u32_e64 s[4:5], 0, v40
	v_cndmask_b32_e64 v36, 0, v36, s[4:5]
	v_add_u32_e32 v41, v41, v40
	v_cndmask_b32_e64 v40, 0, v42, s[4:5]
	v_add_co_u32_e64 v33, s[4:5], v36, v33
	v_addc_co_u32_e64 v34, s[4:5], v40, v34, s[4:5]
	v_mov_b32_e32 v40, v41
; %bb.133:
	s_or_b64 exec, exec, s[30:31]
	s_nop 0
	v_mov_b32_dpp v41, v40 row_shr:4 row_mask:0xf bank_mask:0xf
	v_mov_b32_dpp v36, v33 row_shr:4 row_mask:0xf bank_mask:0xf
	v_mov_b32_dpp v42, v34 row_shr:4 row_mask:0xf bank_mask:0xf
	v_cmp_lt_u32_e64 s[4:5], 3, v35
	;; [unrolled: 16-line block ×3, first 2 shown]
	s_and_saveexec_b64 s[30:31], s[4:5]
; %bb.136:
	v_cmp_eq_u32_e64 s[4:5], 0, v40
	v_cndmask_b32_e64 v36, 0, v36, s[4:5]
	v_add_u32_e32 v35, v41, v40
	v_cndmask_b32_e64 v40, 0, v42, s[4:5]
	v_add_co_u32_e64 v33, s[4:5], v36, v33
	v_addc_co_u32_e64 v34, s[4:5], v40, v34, s[4:5]
	v_mov_b32_e32 v40, v35
; %bb.137:
	s_or_b64 exec, exec, s[30:31]
	v_and_b32_e32 v42, 16, v39
	v_mov_b32_dpp v36, v40 row_bcast:15 row_mask:0xf bank_mask:0xf
	v_mov_b32_dpp v35, v33 row_bcast:15 row_mask:0xf bank_mask:0xf
	v_mov_b32_dpp v41, v34 row_bcast:15 row_mask:0xf bank_mask:0xf
	v_cmp_ne_u32_e64 s[4:5], 0, v42
	s_and_saveexec_b64 s[30:31], s[4:5]
; %bb.138:
	v_cmp_eq_u32_e64 s[4:5], 0, v40
	v_cndmask_b32_e64 v35, 0, v35, s[4:5]
	v_add_u32_e32 v36, v36, v40
	v_cndmask_b32_e64 v40, 0, v41, s[4:5]
	v_add_co_u32_e64 v33, s[4:5], v35, v33
	v_addc_co_u32_e64 v34, s[4:5], v40, v34, s[4:5]
	v_mov_b32_e32 v40, v36
; %bb.139:
	s_or_b64 exec, exec, s[30:31]
	s_nop 0
	v_mov_b32_dpp v36, v40 row_bcast:31 row_mask:0xf bank_mask:0xf
	v_mov_b32_dpp v35, v33 row_bcast:31 row_mask:0xf bank_mask:0xf
	;; [unrolled: 1-line block ×3, first 2 shown]
	v_cmp_lt_u32_e64 s[4:5], 31, v39
	s_and_saveexec_b64 s[30:31], s[4:5]
; %bb.140:
	v_cmp_eq_u32_e64 s[4:5], 0, v40
	v_cndmask_b32_e64 v35, 0, v35, s[4:5]
	v_add_u32_e32 v36, v36, v40
	v_cndmask_b32_e64 v40, 0, v41, s[4:5]
	v_add_co_u32_e64 v33, s[4:5], v35, v33
	v_addc_co_u32_e64 v34, s[4:5], v40, v34, s[4:5]
	v_mov_b32_e32 v40, v36
; %bb.141:
	s_or_b64 exec, exec, s[30:31]
	v_lshrrev_b32_e32 v35, 6, v0
	v_or_b32_e32 v36, 63, v0
	v_cmp_eq_u32_e64 s[4:5], v0, v36
	v_lshlrev_b32_e32 v41, 4, v35
	s_and_saveexec_b64 s[30:31], s[4:5]
	s_cbranch_execz .LBB703_143
; %bb.142:
	ds_write_b32 v41, v40 offset:544
	ds_write_b64 v41, v[33:34] offset:552
.LBB703_143:
	s_or_b64 exec, exec, s[30:31]
	v_cmp_gt_u32_e64 s[4:5], 4, v0
	s_waitcnt vmcnt(0) lgkmcnt(0)
	s_barrier
	s_and_saveexec_b64 s[30:31], s[4:5]
	s_cbranch_execz .LBB703_149
; %bb.144:
	v_lshlrev_b32_e32 v42, 4, v0
	ds_read_b32 v43, v42 offset:544
	ds_read_b64 v[35:36], v42 offset:552
	v_and_b32_e32 v44, 3, v39
	v_cmp_ne_u32_e64 s[4:5], 0, v44
	s_waitcnt lgkmcnt(1)
	v_mov_b32_dpp v46, v43 row_shr:1 row_mask:0xf bank_mask:0xf
	s_waitcnt lgkmcnt(0)
	v_mov_b32_dpp v45, v35 row_shr:1 row_mask:0xf bank_mask:0xf
	v_mov_b32_dpp v47, v36 row_shr:1 row_mask:0xf bank_mask:0xf
	s_and_saveexec_b64 s[34:35], s[4:5]
; %bb.145:
	v_cmp_eq_u32_e64 s[4:5], 0, v43
	v_cndmask_b32_e64 v45, 0, v45, s[4:5]
	v_add_u32_e32 v46, v46, v43
	v_cndmask_b32_e64 v43, 0, v47, s[4:5]
	v_add_co_u32_e64 v35, s[4:5], v45, v35
	v_addc_co_u32_e64 v36, s[4:5], v43, v36, s[4:5]
	v_mov_b32_e32 v43, v46
; %bb.146:
	s_or_b64 exec, exec, s[34:35]
	s_nop 0
	v_mov_b32_dpp v46, v43 row_shr:2 row_mask:0xf bank_mask:0xf
	v_mov_b32_dpp v45, v35 row_shr:2 row_mask:0xf bank_mask:0xf
	v_mov_b32_dpp v47, v36 row_shr:2 row_mask:0xf bank_mask:0xf
	v_cmp_lt_u32_e64 s[4:5], 1, v44
	s_and_saveexec_b64 s[34:35], s[4:5]
; %bb.147:
	v_cmp_eq_u32_e64 s[4:5], 0, v43
	v_cndmask_b32_e64 v45, 0, v45, s[4:5]
	v_add_u32_e32 v44, v46, v43
	v_cndmask_b32_e64 v43, 0, v47, s[4:5]
	v_add_co_u32_e64 v35, s[4:5], v45, v35
	v_addc_co_u32_e64 v36, s[4:5], v43, v36, s[4:5]
	v_mov_b32_e32 v43, v44
; %bb.148:
	s_or_b64 exec, exec, s[34:35]
	ds_write_b32 v42, v43 offset:544
	ds_write_b64 v42, v[35:36] offset:552
.LBB703_149:
	s_or_b64 exec, exec, s[30:31]
	v_mov_b32_e32 v35, v37
	v_cmp_lt_u32_e64 s[4:5], 63, v0
	v_mov_b32_e32 v67, 0
	v_mov_b32_e32 v42, 0
	;; [unrolled: 1-line block ×3, first 2 shown]
	s_waitcnt lgkmcnt(0)
	s_barrier
	s_and_saveexec_b64 s[30:31], s[4:5]
	s_cbranch_execz .LBB703_151
; %bb.150:
	ds_read_b32 v42, v41 offset:528
	ds_read_b64 v[35:36], v41 offset:536
	s_waitcnt lgkmcnt(1)
	v_cmp_eq_u32_e64 s[4:5], 0, v42
	v_cndmask_b32_e64 v43, 0, v37, s[4:5]
	v_cndmask_b32_e64 v41, 0, v38, s[4:5]
	s_waitcnt lgkmcnt(0)
	v_add_co_u32_e64 v35, s[4:5], v43, v35
	v_addc_co_u32_e64 v36, s[4:5], v41, v36, s[4:5]
.LBB703_151:
	s_or_b64 exec, exec, s[30:31]
	v_cmp_eq_u32_e64 s[4:5], 0, v40
	v_cndmask_b32_e64 v43, 0, v35, s[4:5]
	v_add_u32_e32 v41, v42, v40
	v_cndmask_b32_e64 v40, 0, v36, s[4:5]
	v_add_co_u32_e64 v33, s[4:5], v43, v33
	v_addc_co_u32_e64 v34, s[4:5], v40, v34, s[4:5]
	v_subrev_co_u32_e64 v40, s[4:5], 1, v39
	v_and_b32_e32 v43, 64, v39
	v_cmp_lt_i32_e64 s[30:31], v40, v43
	v_cndmask_b32_e64 v39, v40, v39, s[30:31]
	v_lshlrev_b32_e32 v39, 2, v39
	ds_bpermute_b32 v33, v39, v33
	ds_bpermute_b32 v40, v39, v41
	;; [unrolled: 1-line block ×3, first 2 shown]
	s_waitcnt lgkmcnt(2)
	v_cndmask_b32_e64 v63, v33, v35, s[4:5]
	s_waitcnt lgkmcnt(1)
	v_cndmask_b32_e64 v34, v40, v42, s[4:5]
	;; [unrolled: 2-line block ×3, first 2 shown]
	v_cndmask_b32_e64 v33, v63, v37, s[38:39]
	v_cmp_eq_u32_e64 s[4:5], 0, v73
	v_cndmask_b32_e64 v35, v64, v38, s[38:39]
	v_cndmask_b32_e64 v33, 0, v33, s[4:5]
	;; [unrolled: 1-line block ×3, first 2 shown]
	v_add_co_u32_e64 v39, s[4:5], v33, v26
	v_addc_co_u32_e64 v40, s[4:5], v35, v27, s[4:5]
	v_cndmask_b32_e64 v27, 0, v39, s[28:29]
	v_cndmask_b32_e64 v26, 0, v40, s[28:29]
	v_add_co_u32_e64 v41, s[4:5], v27, v28
	v_addc_co_u32_e64 v42, s[4:5], v26, v29, s[4:5]
	v_cndmask_b32_e64 v27, 0, v41, s[26:27]
	v_cndmask_b32_e64 v26, 0, v42, s[26:27]
	;; [unrolled: 4-line block ×11, first 2 shown]
	v_add_co_u32_e64 v61, s[4:5], v7, v8
	v_addc_co_u32_e64 v62, s[4:5], v6, v9, s[4:5]
	v_cndmask_b32_e64 v7, 0, v61, s[8:9]
	ds_read_b32 v33, v67 offset:592
	v_cndmask_b32_e64 v6, 0, v62, s[8:9]
	v_add_co_u32_e64 v65, s[4:5], v7, v2
	v_addc_co_u32_e64 v66, s[4:5], v6, v3, s[4:5]
	ds_read_b64 v[2:3], v67 offset:600
	v_cndmask_b32_e32 v70, 0, v66, vcc
	v_cndmask_b32_e32 v69, 0, v65, vcc
	s_waitcnt lgkmcnt(1)
	v_cmp_eq_u32_e32 vcc, 0, v33
	v_cndmask_b32_e32 v7, 0, v37, vcc
	v_cndmask_b32_e32 v6, 0, v38, vcc
	s_waitcnt lgkmcnt(0)
	v_add_co_u32_e32 v35, vcc, v7, v2
	v_addc_co_u32_e32 v36, vcc, v6, v3, vcc
	s_and_saveexec_b64 s[4:5], s[38:39]
	s_cbranch_execz .LBB703_153
; %bb.152:
	v_mov_b32_e32 v64, v38
	v_mov_b32_e32 v34, 0
	;; [unrolled: 1-line block ×4, first 2 shown]
	global_store_dword v34, v33, s[42:43] offset:1024
	global_store_dwordx2 v34, v[35:36], s[42:43] offset:1032
	s_waitcnt vmcnt(0)
	buffer_wbinvl1_vol
	global_store_byte v34, v2, s[44:45] offset:64
.LBB703_153:
	s_or_b64 exec, exec, s[4:5]
	v_mov_b32_e32 v37, 0
.LBB703_154:
	s_cmp_eq_u64 s[54:55], 0
	s_cselect_b64 s[4:5], -1, 0
	s_or_b64 s[4:5], s[46:47], s[4:5]
	v_mov_b32_e32 v10, 0
	s_and_b64 vcc, exec, s[4:5]
	v_mov_b32_e32 v11, 0
	s_waitcnt vmcnt(0)
	s_barrier
	s_cbranch_vccnz .LBB703_156
; %bb.155:
	v_mov_b32_e32 v2, 0
	global_load_dwordx2 v[10:11], v2, s[54:55]
.LBB703_156:
	s_nop 0
	buffer_load_dword v2, off, s[0:3], 0
	buffer_load_dword v3, off, s[0:3], 0 offset:4
	buffer_load_dword v6, off, s[0:3], 0 offset:8
	;; [unrolled: 1-line block ×14, first 2 shown]
	v_mov_b32_e32 v12, s57
	s_waitcnt vmcnt(15)
	v_add_co_u32_e32 v13, vcc, s56, v10
	v_addc_co_u32_e32 v12, vcc, v12, v11, vcc
	v_add_co_u32_e32 v26, vcc, v13, v37
	v_addc_co_u32_e32 v27, vcc, 0, v12, vcc
	v_add_u32_e32 v25, v34, v73
	v_add_u32_e32 v24, v25, v86
	;; [unrolled: 1-line block ×12, first 2 shown]
	s_movk_i32 s4, 0x100
	v_add_u32_e32 v13, v14, v83
	v_mov_b32_e32 v38, 0
	v_add_u32_e32 v12, v13, v84
	s_mov_b64 s[40:41], -1
	s_waitcnt vmcnt(14)
	v_cmp_eq_u32_e32 vcc, 0, v2
	v_cmp_ne_u32_e64 s[36:37], 0, v2
	v_cndmask_b32_e64 v2, 1, 2, vcc
	s_waitcnt vmcnt(13)
	v_cmp_eq_u32_e32 vcc, 0, v3
	v_cmp_ne_u32_e64 s[34:35], 0, v3
	v_cndmask_b32_e64 v3, 1, 2, vcc
	;; [unrolled: 4-line block ×3, first 2 shown]
	s_waitcnt vmcnt(11)
	v_cmp_eq_u32_e32 vcc, 0, v7
	v_and_b32_e32 v2, v3, v2
	v_cmp_ne_u32_e64 s[28:29], 0, v7
	v_cndmask_b32_e64 v7, 1, 2, vcc
	s_waitcnt vmcnt(10)
	v_cmp_eq_u32_e32 vcc, 0, v8
	v_and_b32_e32 v2, v2, v6
	v_cmp_ne_u32_e64 s[26:27], 0, v8
	v_cndmask_b32_e64 v8, 1, 2, vcc
	;; [unrolled: 5-line block ×7, first 2 shown]
	s_waitcnt vmcnt(4)
	v_cmp_eq_u32_e32 vcc, 0, v87
	v_and_b32_e32 v2, v2, v67
	v_cndmask_b32_e64 v73, 1, 2, vcc
	s_waitcnt vmcnt(3)
	v_cmp_eq_u32_e32 vcc, 0, v88
	v_and_b32_e32 v2, v2, v68
	v_cndmask_b32_e64 v74, 1, 2, vcc
	s_waitcnt vmcnt(2)
	v_cmp_eq_u32_e32 vcc, 0, v89
	v_and_b32_e32 v2, v2, v73
	v_cndmask_b32_e64 v75, 1, 2, vcc
	s_waitcnt vmcnt(1)
	v_cmp_eq_u32_e32 vcc, 0, v90
	v_and_b32_e32 v2, v2, v74
	v_cndmask_b32_e64 v76, 1, 2, vcc
	v_and_b32_e32 v2, v2, v75
	s_waitcnt vmcnt(0)
	v_cmp_eq_u32_e32 vcc, 0, v91
	v_and_b32_e32 v2, v2, v76
	v_cndmask_b32_e64 v3, 1, 2, vcc
	v_and_b32_e32 v2, v2, v3
	v_cmp_gt_u32_e32 vcc, s4, v33
	v_cmp_ne_u32_e64 s[14:15], 0, v87
	v_cmp_ne_u32_e64 s[12:13], 0, v88
	;; [unrolled: 1-line block ×5, first 2 shown]
	v_cmp_gt_i16_e64 s[4:5], 2, v2
	s_cbranch_vccz .LBB703_163
; %bb.157:
	s_and_saveexec_b64 s[40:41], s[4:5]
	s_cbranch_execz .LBB703_162
; %bb.158:
	v_cmp_ne_u16_e32 vcc, 1, v2
	s_mov_b64 s[42:43], 0
	s_and_saveexec_b64 s[4:5], vcc
	s_xor_b64 s[4:5], exec, s[4:5]
	s_cbranch_execnz .LBB703_210
; %bb.159:
	s_andn2_saveexec_b64 s[4:5], s[4:5]
	s_cbranch_execnz .LBB703_226
.LBB703_160:
	s_or_b64 exec, exec, s[4:5]
	s_and_b64 exec, exec, s[42:43]
	s_cbranch_execz .LBB703_162
.LBB703_161:
	v_sub_u32_e32 v3, v12, v37
	v_lshrrev_b32_e32 v6, 24, v32
	v_readfirstlane_b32 s4, v26
	v_readfirstlane_b32 s5, v27
	s_nop 4
	global_store_byte v3, v6, s[4:5]
.LBB703_162:
	s_or_b64 exec, exec, s[40:41]
	s_mov_b64 s[40:41], 0
.LBB703_163:
	s_and_b64 vcc, exec, s[40:41]
	s_cbranch_vccz .LBB703_185
; %bb.164:
	v_cmp_gt_i16_e32 vcc, 2, v2
	s_and_saveexec_b64 s[4:5], vcc
	s_cbranch_execz .LBB703_169
; %bb.165:
	v_cmp_ne_u16_e32 vcc, 1, v2
	s_mov_b64 s[42:43], 0
	s_and_saveexec_b64 s[40:41], vcc
	s_xor_b64 s[40:41], exec, s[40:41]
	s_cbranch_execnz .LBB703_227
; %bb.166:
	s_andn2_saveexec_b64 s[6:7], s[40:41]
	s_cbranch_execnz .LBB703_243
.LBB703_167:
	s_or_b64 exec, exec, s[6:7]
	s_and_b64 exec, exec, s[42:43]
.LBB703_168:
	v_sub_u32_e32 v1, v12, v37
	v_lshrrev_b32_e32 v2, 24, v32
	ds_write_b8 v1, v2
.LBB703_169:
	s_or_b64 exec, exec, s[4:5]
	v_cmp_lt_u32_e32 vcc, v0, v33
	s_waitcnt vmcnt(0) lgkmcnt(0)
	s_barrier
	s_and_saveexec_b64 s[4:5], vcc
	s_cbranch_execz .LBB703_184
; %bb.170:
	v_xad_u32 v2, v0, -1, v33
	s_movk_i32 s6, 0x1b00
	s_movk_i32 s8, 0x1aff
	v_cmp_gt_u32_e64 s[6:7], s6, v2
	v_cmp_lt_u32_e32 vcc, s8, v2
	v_mov_b32_e32 v1, v0
	s_and_saveexec_b64 s[8:9], vcc
	s_cbranch_execz .LBB703_181
; %bb.171:
	v_sub_u32_e32 v1, v0, v33
	v_or_b32_e32 v1, 0xff, v1
	v_cmp_ge_u32_e32 vcc, v1, v0
	s_mov_b64 s[12:13], -1
	v_mov_b32_e32 v1, v0
	s_and_saveexec_b64 s[10:11], vcc
	s_cbranch_execz .LBB703_180
; %bb.172:
	v_lshrrev_b32_e32 v28, 8, v2
	v_add_u32_e32 v6, -3, v28
	v_or_b32_e32 v3, 0x300, v0
	v_lshrrev_b32_e32 v7, 2, v6
	v_or_b32_e32 v2, 0x200, v0
	v_or_b32_e32 v1, 0x100, v0
	v_add_u32_e32 v29, 1, v7
	v_cmp_lt_u32_e32 vcc, 11, v6
	v_mov_b32_e32 v9, v3
	v_mov_b32_e32 v32, 0
	;; [unrolled: 1-line block ×5, first 2 shown]
	s_and_saveexec_b64 s[12:13], vcc
	s_cbranch_execz .LBB703_176
; %bb.173:
	v_mov_b32_e32 v9, v3
	v_and_b32_e32 v30, 0x7ffffffc, v29
	s_mov_b32 s16, 0
	s_mov_b64 s[14:15], 0
	v_mov_b32_e32 v31, v0
	v_mov_b32_e32 v8, v2
	;; [unrolled: 1-line block ×4, first 2 shown]
.LBB703_174:                            ; =>This Inner Loop Header: Depth=1
	v_add_co_u32_e32 v1, vcc, v26, v6
	v_addc_co_u32_e32 v2, vcc, 0, v27, vcc
	v_add_co_u32_e32 v67, vcc, v26, v7
	v_addc_co_u32_e32 v68, vcc, 0, v27, vcc
	;; [unrolled: 2-line block ×4, first 2 shown]
	v_add_u32_e32 v75, 0x400, v6
	v_add_co_u32_e32 v75, vcc, v26, v75
	v_add_u32_e32 v77, 0x400, v7
	v_addc_co_u32_e32 v76, vcc, 0, v27, vcc
	v_add_co_u32_e32 v77, vcc, v26, v77
	v_add_u32_e32 v32, 0x400, v8
	v_addc_co_u32_e32 v78, vcc, 0, v27, vcc
	;; [unrolled: 3-line block ×10, first 2 shown]
	v_add_co_u32_e32 v95, vcc, v26, v95
	ds_read_u8 v99, v31
	ds_read_u8 v100, v31 offset:256
	ds_read_u8 v101, v31 offset:512
	;; [unrolled: 1-line block ×7, first 2 shown]
	v_add_u32_e32 v97, 0xc00, v9
	ds_read_u8 v107, v31 offset:2048
	ds_read_u8 v108, v31 offset:2304
	ds_read_u8 v109, v31 offset:2560
	ds_read_u8 v110, v31 offset:2816
	ds_read_u8 v111, v31 offset:3072
	ds_read_u8 v112, v31 offset:3328
	ds_read_u8 v113, v31 offset:3584
	ds_read_u8 v114, v31 offset:3840
	v_addc_co_u32_e32 v96, vcc, 0, v27, vcc
	v_add_co_u32_e32 v97, vcc, v26, v97
	v_add_u32_e32 v30, -4, v30
	v_addc_co_u32_e32 v98, vcc, 0, v27, vcc
	s_add_i32 s16, s16, 16
	v_cmp_eq_u32_e32 vcc, 0, v30
	v_add_u32_e32 v9, 0x1000, v9
	v_add_u32_e32 v8, 0x1000, v8
	;; [unrolled: 1-line block ×5, first 2 shown]
	v_mov_b32_e32 v32, s16
	s_or_b64 s[14:15], vcc, s[14:15]
	s_waitcnt lgkmcnt(14)
	global_store_byte v[1:2], v99, off
	global_store_byte v[67:68], v100, off
	s_waitcnt lgkmcnt(13)
	global_store_byte v[71:72], v101, off
	s_waitcnt lgkmcnt(12)
	;; [unrolled: 2-line block ×14, first 2 shown]
	global_store_byte v[97:98], v114, off
	s_andn2_b64 exec, exec, s[14:15]
	s_cbranch_execnz .LBB703_174
; %bb.175:
	s_or_b64 exec, exec, s[14:15]
.LBB703_176:
	s_or_b64 exec, exec, s[12:13]
	v_and_b32_e32 v1, 3, v29
	v_cmp_ne_u32_e32 vcc, 0, v1
	s_and_saveexec_b64 s[12:13], vcc
	s_cbranch_execz .LBB703_179
; %bb.177:
	v_lshl_or_b32 v2, v32, 8, v0
	s_mov_b64 s[14:15], 0
.LBB703_178:                            ; =>This Inner Loop Header: Depth=1
	v_add_co_u32_e32 v29, vcc, v26, v6
	v_addc_co_u32_e32 v30, vcc, 0, v27, vcc
	v_add_co_u32_e32 v31, vcc, v26, v7
	v_addc_co_u32_e32 v32, vcc, 0, v27, vcc
	;; [unrolled: 2-line block ×3, first 2 shown]
	ds_read_u8 v3, v2
	ds_read_u8 v73, v2 offset:256
	ds_read_u8 v74, v2 offset:512
	;; [unrolled: 1-line block ×3, first 2 shown]
	v_add_co_u32_e32 v71, vcc, v26, v9
	v_addc_co_u32_e32 v72, vcc, 0, v27, vcc
	v_add_u32_e32 v1, -1, v1
	v_cmp_eq_u32_e32 vcc, 0, v1
	v_add_u32_e32 v9, 0x400, v9
	v_add_u32_e32 v8, 0x400, v8
	;; [unrolled: 1-line block ×5, first 2 shown]
	s_or_b64 s[14:15], vcc, s[14:15]
	s_waitcnt lgkmcnt(3)
	global_store_byte v[29:30], v3, off
	s_waitcnt lgkmcnt(2)
	global_store_byte v[31:32], v73, off
	;; [unrolled: 2-line block ×4, first 2 shown]
	s_andn2_b64 exec, exec, s[14:15]
	s_cbranch_execnz .LBB703_178
.LBB703_179:
	s_or_b64 exec, exec, s[12:13]
	v_add_u32_e32 v2, 1, v28
	v_and_b32_e32 v3, 0x1fffffc, v2
	v_cmp_ne_u32_e32 vcc, v2, v3
	v_lshl_or_b32 v1, v3, 8, v0
	s_orn2_b64 s[12:13], vcc, exec
.LBB703_180:
	s_or_b64 exec, exec, s[10:11]
	s_andn2_b64 s[6:7], s[6:7], exec
	s_and_b64 s[10:11], s[12:13], exec
	s_or_b64 s[6:7], s[6:7], s[10:11]
.LBB703_181:
	s_or_b64 exec, exec, s[8:9]
	s_and_b64 exec, exec, s[6:7]
	s_cbranch_execz .LBB703_184
; %bb.182:
	s_mov_b64 s[6:7], 0
.LBB703_183:                            ; =>This Inner Loop Header: Depth=1
	ds_read_u8 v2, v1
	v_readfirstlane_b32 s8, v26
	v_readfirstlane_b32 s9, v27
	s_waitcnt lgkmcnt(0)
	s_nop 3
	global_store_byte v1, v2, s[8:9]
	v_add_u32_e32 v1, 0x100, v1
	v_cmp_ge_u32_e32 vcc, v1, v33
	s_or_b64 s[6:7], vcc, s[6:7]
	s_andn2_b64 exec, exec, s[6:7]
	s_cbranch_execnz .LBB703_183
.LBB703_184:
	s_or_b64 exec, exec, s[4:5]
.LBB703_185:
	s_and_b64 s[6:7], s[38:39], s[50:51]
	s_waitcnt vmcnt(0)
	s_barrier
	s_and_saveexec_b64 s[4:5], s[6:7]
	s_cbranch_execz .LBB703_187
; %bb.186:
	v_mov_b32_e32 v1, 0
	buffer_store_dword v1, off, s[0:3], 0
.LBB703_187:
	s_or_b64 exec, exec, s[4:5]
	s_mul_hi_u32 s4, s33, 0x88888889
	s_lshr_b32 s4, s4, 3
	v_cmp_eq_u32_e32 vcc, s4, v0
	s_and_b64 s[6:7], vcc, s[48:49]
	s_and_saveexec_b64 s[4:5], s[6:7]
	s_cbranch_execz .LBB703_189
; %bb.188:
	s_lshl_b32 s6, s33, 2
	v_mov_b32_e32 v1, s6
	s_movk_i32 s6, 0xffc4
	v_mad_i32_i24 v1, v0, s6, v1
	v_mov_b32_e32 v2, 1
	buffer_store_dword v2, v1, s[0:3], 0 offen
.LBB703_189:
	s_or_b64 exec, exec, s[4:5]
	buffer_load_dword v9, off, s[0:3], 0
	buffer_load_dword v26, off, s[0:3], 0 offset:4
	buffer_load_dword v27, off, s[0:3], 0 offset:8
	;; [unrolled: 1-line block ×13, first 2 shown]
	v_add_co_u32_e32 v1, vcc, v69, v4
	buffer_load_dword v69, off, s[0:3], 0 offset:56
	v_lshlrev_b64 v[3:4], 3, v[10:11]
	v_addc_co_u32_e32 v2, vcc, v70, v5, vcc
	v_mov_b32_e32 v5, s59
	v_lshlrev_b64 v[6:7], 3, v[37:38]
	v_add_co_u32_e32 v3, vcc, s58, v3
	v_addc_co_u32_e32 v4, vcc, v5, v4, vcc
	v_cndmask_b32_e64 v8, 0, 1, s[50:51]
	v_add_co_u32_e32 v3, vcc, v3, v6
	v_lshlrev_b32_e32 v70, 3, v8
	v_addc_co_u32_e32 v4, vcc, v4, v7, vcc
	v_add_co_u32_e32 v6, vcc, v3, v70
	v_addc_co_u32_e32 v7, vcc, 0, v4, vcc
	v_add_co_u32_e32 v6, vcc, -8, v6
	v_addc_co_u32_e32 v7, vcc, -1, v7, vcc
	s_cmpk_lg_i32 s33, 0xf00
	s_cselect_b64 s[4:5], -1, 0
	s_and_b64 s[4:5], s[4:5], s[48:49]
	v_sub_u32_e32 v38, v33, v8
	v_cndmask_b32_e64 v75, 0, 1, s[4:5]
	v_add_u32_e32 v5, v38, v75
	s_movk_i32 s36, 0x100
	v_add_u32_e32 v8, v37, v8
	s_mov_b64 s[38:39], -1
	s_waitcnt vmcnt(14)
	v_cmp_eq_u32_e32 vcc, 0, v9
	v_cmp_ne_u32_e64 s[34:35], 0, v9
	v_cndmask_b32_e64 v9, 1, 2, vcc
	s_waitcnt vmcnt(13)
	v_cmp_eq_u32_e32 vcc, 0, v26
	v_cmp_ne_u32_e64 s[30:31], 0, v26
	v_cndmask_b32_e64 v26, 1, 2, vcc
	;; [unrolled: 4-line block ×3, first 2 shown]
	s_waitcnt vmcnt(11)
	v_cmp_eq_u32_e32 vcc, 0, v28
	v_and_b32_e32 v9, v26, v9
	v_cmp_ne_u32_e64 s[26:27], 0, v28
	v_cndmask_b32_e64 v28, 1, 2, vcc
	s_waitcnt vmcnt(10)
	v_cmp_eq_u32_e32 vcc, 0, v29
	v_and_b32_e32 v9, v9, v27
	v_cmp_ne_u32_e64 s[24:25], 0, v29
	v_cndmask_b32_e64 v29, 1, 2, vcc
	;; [unrolled: 5-line block ×5, first 2 shown]
	s_waitcnt vmcnt(6)
	v_cmp_eq_u32_e32 vcc, 0, v67
	v_and_b32_e32 v9, v9, v31
	v_cndmask_b32_e64 v38, 1, 2, vcc
	s_waitcnt vmcnt(5)
	v_cmp_eq_u32_e32 vcc, 0, v68
	v_and_b32_e32 v9, v9, v32
	v_cmp_ne_u32_e64 s[16:17], 0, v67
	v_cndmask_b32_e64 v67, 1, 2, vcc
	s_waitcnt vmcnt(4)
	v_cmp_eq_u32_e32 vcc, 0, v71
	v_and_b32_e32 v9, v9, v38
	v_cmp_ne_u32_e64 s[14:15], 0, v68
	v_cndmask_b32_e64 v68, 1, 2, vcc
	v_and_b32_e32 v9, v9, v67
	s_waitcnt vmcnt(3)
	v_cmp_eq_u32_e32 vcc, 0, v72
	v_and_b32_e32 v9, v9, v68
	v_cndmask_b32_e64 v26, 1, 2, vcc
	s_waitcnt vmcnt(2)
	v_cmp_eq_u32_e32 vcc, 0, v73
	v_and_b32_e32 v9, v9, v26
	v_cndmask_b32_e64 v26, 1, 2, vcc
	;; [unrolled: 4-line block ×4, first 2 shown]
	v_and_b32_e32 v9, v9, v26
	v_cmp_gt_u32_e32 vcc, s36, v5
	v_cmp_ne_u32_e64 s[12:13], 0, v71
	v_cmp_ne_u32_e64 s[8:9], 0, v72
	;; [unrolled: 1-line block ×5, first 2 shown]
	v_cmp_gt_i16_e64 s[36:37], 2, v9
	s_cbranch_vccz .LBB703_196
; %bb.190:
	s_and_saveexec_b64 s[38:39], s[36:37]
	s_cbranch_execz .LBB703_195
; %bb.191:
	v_cmp_ne_u16_e32 vcc, 1, v9
	s_mov_b64 s[40:41], 0
	s_and_saveexec_b64 s[36:37], vcc
	s_xor_b64 s[36:37], exec, s[36:37]
	s_cbranch_execnz .LBB703_244
; %bb.192:
	s_andn2_saveexec_b64 s[36:37], s[36:37]
	s_cbranch_execnz .LBB703_260
.LBB703_193:
	s_or_b64 exec, exec, s[36:37]
	s_and_b64 exec, exec, s[40:41]
	s_cbranch_execz .LBB703_195
.LBB703_194:
	v_sub_u32_e32 v26, v12, v8
	v_mov_b32_e32 v27, 0
	v_lshlrev_b64 v[26:27], 3, v[26:27]
	v_add_co_u32_e32 v26, vcc, v6, v26
	v_addc_co_u32_e32 v27, vcc, v7, v27, vcc
	global_store_dwordx2 v[26:27], v[1:2], off
.LBB703_195:
	s_or_b64 exec, exec, s[38:39]
	s_mov_b64 s[38:39], 0
.LBB703_196:
	s_and_b64 vcc, exec, s[38:39]
	s_cbranch_vccz .LBB703_206
; %bb.197:
	v_cmp_gt_i16_e32 vcc, 2, v9
	s_and_saveexec_b64 s[36:37], vcc
	s_cbranch_execz .LBB703_202
; %bb.198:
	v_cmp_ne_u16_e32 vcc, 1, v9
	s_mov_b64 s[40:41], 0
	s_and_saveexec_b64 s[38:39], vcc
	s_xor_b64 s[38:39], exec, s[38:39]
	s_cbranch_execnz .LBB703_261
; %bb.199:
	s_andn2_saveexec_b64 s[4:5], s[38:39]
	s_cbranch_execnz .LBB703_277
.LBB703_200:
	s_or_b64 exec, exec, s[4:5]
	s_and_b64 exec, exec, s[40:41]
.LBB703_201:
	v_sub_u32_e32 v8, v12, v8
	v_lshlrev_b32_e32 v8, 3, v8
	ds_write_b64 v8, v[1:2]
.LBB703_202:
	s_or_b64 exec, exec, s[36:37]
	v_cmp_lt_u32_e32 vcc, v0, v5
	s_waitcnt vmcnt(0) lgkmcnt(0)
	s_barrier
	s_and_saveexec_b64 s[6:7], vcc
	s_cbranch_execz .LBB703_205
; %bb.203:
	v_lshlrev_b32_e32 v8, 3, v0
	s_mov_b64 s[8:9], 0
	v_mov_b32_e32 v2, 0
	v_mov_b32_e32 v1, v0
.LBB703_204:                            ; =>This Inner Loop Header: Depth=1
	ds_read_b64 v[14:15], v8
	v_lshlrev_b64 v[12:13], 3, v[1:2]
	v_add_u32_e32 v1, 0x100, v1
	v_cmp_ge_u32_e32 vcc, v1, v5
	v_add_co_u32_e64 v12, s[4:5], v6, v12
	v_add_u32_e32 v8, 0x800, v8
	v_addc_co_u32_e64 v13, s[4:5], v7, v13, s[4:5]
	s_or_b64 s[8:9], vcc, s[8:9]
	s_waitcnt lgkmcnt(0)
	global_store_dwordx2 v[12:13], v[14:15], off
	s_andn2_b64 exec, exec, s[8:9]
	s_cbranch_execnz .LBB703_204
.LBB703_205:
	s_or_b64 exec, exec, s[6:7]
.LBB703_206:
	s_movk_i32 s4, 0xff
	v_cmp_eq_u32_e32 vcc, s4, v0
	s_and_b64 s[4:5], vcc, s[48:49]
	s_and_saveexec_b64 s[6:7], s[4:5]
	s_cbranch_execz .LBB703_209
; %bb.207:
	v_add_co_u32_e32 v0, vcc, v33, v37
	v_addc_co_u32_e64 v1, s[4:5], 0, 0, vcc
	v_add_co_u32_e32 v0, vcc, v0, v10
	v_mov_b32_e32 v34, 0
	v_addc_co_u32_e32 v1, vcc, v1, v11, vcc
	s_cmpk_lg_i32 s33, 0xf00
	global_store_dwordx2 v34, v[0:1], s[60:61]
	s_cbranch_scc1 .LBB703_209
; %bb.208:
	v_lshlrev_b64 v[0:1], 3, v[33:34]
	v_add_co_u32_e32 v0, vcc, v3, v0
	v_addc_co_u32_e32 v1, vcc, v4, v1, vcc
	global_store_dwordx2 v[0:1], v[35:36], off offset:-8
.LBB703_209:
	s_endpgm
.LBB703_210:
	s_and_saveexec_b64 s[42:43], s[36:37]
	s_cbranch_execnz .LBB703_278
; %bb.211:
	s_or_b64 exec, exec, s[42:43]
	s_and_saveexec_b64 s[42:43], s[34:35]
	s_cbranch_execnz .LBB703_279
.LBB703_212:
	s_or_b64 exec, exec, s[42:43]
	s_and_saveexec_b64 s[42:43], s[30:31]
	s_cbranch_execnz .LBB703_280
.LBB703_213:
	s_or_b64 exec, exec, s[42:43]
	s_and_saveexec_b64 s[42:43], s[28:29]
	s_cbranch_execnz .LBB703_281
.LBB703_214:
	s_or_b64 exec, exec, s[42:43]
	s_and_saveexec_b64 s[42:43], s[26:27]
	s_cbranch_execnz .LBB703_282
.LBB703_215:
	s_or_b64 exec, exec, s[42:43]
	s_and_saveexec_b64 s[42:43], s[24:25]
	s_cbranch_execnz .LBB703_283
.LBB703_216:
	s_or_b64 exec, exec, s[42:43]
	s_and_saveexec_b64 s[42:43], s[22:23]
	s_cbranch_execnz .LBB703_284
.LBB703_217:
	s_or_b64 exec, exec, s[42:43]
	s_and_saveexec_b64 s[42:43], s[20:21]
	s_cbranch_execnz .LBB703_285
.LBB703_218:
	s_or_b64 exec, exec, s[42:43]
	s_and_saveexec_b64 s[42:43], s[18:19]
	s_cbranch_execnz .LBB703_286
.LBB703_219:
	s_or_b64 exec, exec, s[42:43]
	s_and_saveexec_b64 s[42:43], s[16:17]
	s_cbranch_execnz .LBB703_287
.LBB703_220:
	s_or_b64 exec, exec, s[42:43]
	s_and_saveexec_b64 s[42:43], s[14:15]
	s_cbranch_execnz .LBB703_288
.LBB703_221:
	s_or_b64 exec, exec, s[42:43]
	s_and_saveexec_b64 s[42:43], s[12:13]
	s_cbranch_execnz .LBB703_289
.LBB703_222:
	s_or_b64 exec, exec, s[42:43]
	s_and_saveexec_b64 s[42:43], s[8:9]
	s_cbranch_execnz .LBB703_290
.LBB703_223:
	s_or_b64 exec, exec, s[42:43]
	s_and_saveexec_b64 s[42:43], s[6:7]
	s_cbranch_execz .LBB703_225
.LBB703_224:
	v_sub_u32_e32 v3, v13, v37
	v_readfirstlane_b32 s44, v26
	v_readfirstlane_b32 s45, v27
	s_nop 4
	global_store_byte_d16_hi v3, v32, s[44:45]
.LBB703_225:
	s_or_b64 exec, exec, s[42:43]
	s_and_b64 s[42:43], s[10:11], exec
	s_andn2_saveexec_b64 s[4:5], s[4:5]
	s_cbranch_execz .LBB703_160
.LBB703_226:
	v_sub_u32_e32 v3, v34, v37
	v_readfirstlane_b32 s44, v26
	v_readfirstlane_b32 s45, v27
	v_lshrrev_b32_e32 v6, 8, v30
	s_or_b64 s[42:43], s[42:43], exec
	s_nop 2
	global_store_byte v3, v72, s[44:45]
	v_sub_u32_e32 v3, v25, v37
	global_store_byte v3, v71, s[44:45]
	v_sub_u32_e32 v3, v24, v37
	;; [unrolled: 2-line block ×5, first 2 shown]
	global_store_byte_d16_hi v3, v30, s[44:45]
	v_sub_u32_e32 v3, v20, v37
	v_lshrrev_b32_e32 v6, 24, v30
	global_store_byte v3, v6, s[44:45]
	v_sub_u32_e32 v3, v19, v37
	global_store_byte v3, v31, s[44:45]
	v_sub_u32_e32 v3, v18, v37
	v_lshrrev_b32_e32 v6, 8, v31
	global_store_byte v3, v6, s[44:45]
	v_sub_u32_e32 v3, v17, v37
	global_store_byte_d16_hi v3, v31, s[44:45]
	v_sub_u32_e32 v3, v16, v37
	v_lshrrev_b32_e32 v6, 24, v31
	global_store_byte v3, v6, s[44:45]
	v_sub_u32_e32 v3, v15, v37
	global_store_byte v3, v32, s[44:45]
	v_sub_u32_e32 v3, v14, v37
	v_lshrrev_b32_e32 v6, 8, v32
	global_store_byte v3, v6, s[44:45]
	v_sub_u32_e32 v3, v13, v37
	global_store_byte_d16_hi v3, v32, s[44:45]
	s_or_b64 exec, exec, s[4:5]
	s_and_b64 exec, exec, s[42:43]
	s_cbranch_execnz .LBB703_161
	s_branch .LBB703_162
.LBB703_227:
	s_and_saveexec_b64 s[42:43], s[36:37]
	s_cbranch_execnz .LBB703_291
; %bb.228:
	s_or_b64 exec, exec, s[42:43]
	s_and_saveexec_b64 s[36:37], s[34:35]
	s_cbranch_execnz .LBB703_292
.LBB703_229:
	s_or_b64 exec, exec, s[36:37]
	s_and_saveexec_b64 s[34:35], s[30:31]
	s_cbranch_execnz .LBB703_293
.LBB703_230:
	s_or_b64 exec, exec, s[34:35]
	s_and_saveexec_b64 s[30:31], s[28:29]
	s_cbranch_execnz .LBB703_294
.LBB703_231:
	s_or_b64 exec, exec, s[30:31]
	s_and_saveexec_b64 s[28:29], s[26:27]
	s_cbranch_execnz .LBB703_295
.LBB703_232:
	s_or_b64 exec, exec, s[28:29]
	s_and_saveexec_b64 s[26:27], s[24:25]
	s_cbranch_execnz .LBB703_296
.LBB703_233:
	s_or_b64 exec, exec, s[26:27]
	s_and_saveexec_b64 s[24:25], s[22:23]
	s_cbranch_execnz .LBB703_297
.LBB703_234:
	s_or_b64 exec, exec, s[24:25]
	s_and_saveexec_b64 s[22:23], s[20:21]
	s_cbranch_execnz .LBB703_298
.LBB703_235:
	s_or_b64 exec, exec, s[22:23]
	s_and_saveexec_b64 s[20:21], s[18:19]
	s_cbranch_execnz .LBB703_299
.LBB703_236:
	s_or_b64 exec, exec, s[20:21]
	s_and_saveexec_b64 s[18:19], s[16:17]
	s_cbranch_execnz .LBB703_300
.LBB703_237:
	s_or_b64 exec, exec, s[18:19]
	s_and_saveexec_b64 s[16:17], s[14:15]
	s_cbranch_execnz .LBB703_301
.LBB703_238:
	s_or_b64 exec, exec, s[16:17]
	s_and_saveexec_b64 s[14:15], s[12:13]
	s_cbranch_execnz .LBB703_302
.LBB703_239:
	s_or_b64 exec, exec, s[14:15]
	s_and_saveexec_b64 s[12:13], s[8:9]
	s_cbranch_execnz .LBB703_303
.LBB703_240:
	s_or_b64 exec, exec, s[12:13]
	s_and_saveexec_b64 s[8:9], s[6:7]
.LBB703_241:
	v_sub_u32_e32 v1, v13, v37
	ds_write_b8_d16_hi v1, v32
.LBB703_242:
	s_or_b64 exec, exec, s[8:9]
	s_and_b64 s[42:43], s[10:11], exec
                                        ; implicit-def: $vgpr72
                                        ; implicit-def: $vgpr71
                                        ; implicit-def: $vgpr1
	s_andn2_saveexec_b64 s[6:7], s[40:41]
	s_cbranch_execz .LBB703_167
.LBB703_243:
	v_sub_u32_e32 v2, v34, v37
	ds_write_b8 v2, v72
	v_sub_u32_e32 v2, v25, v37
	ds_write_b8 v2, v71
	;; [unrolled: 2-line block ×4, first 2 shown]
	v_sub_u32_e32 v1, v22, v37
	v_lshrrev_b32_e32 v2, 8, v30
	ds_write_b8 v1, v2
	v_sub_u32_e32 v1, v21, v37
	ds_write_b8_d16_hi v1, v30
	v_sub_u32_e32 v1, v20, v37
	v_lshrrev_b32_e32 v2, 24, v30
	ds_write_b8 v1, v2
	v_sub_u32_e32 v1, v19, v37
	ds_write_b8 v1, v31
	v_sub_u32_e32 v1, v18, v37
	v_lshrrev_b32_e32 v2, 8, v31
	ds_write_b8 v1, v2
	v_sub_u32_e32 v1, v17, v37
	ds_write_b8_d16_hi v1, v31
	v_sub_u32_e32 v1, v16, v37
	v_lshrrev_b32_e32 v2, 24, v31
	ds_write_b8 v1, v2
	v_sub_u32_e32 v1, v15, v37
	ds_write_b8 v1, v32
	v_sub_u32_e32 v1, v14, v37
	v_lshrrev_b32_e32 v2, 8, v32
	ds_write_b8 v1, v2
	v_sub_u32_e32 v1, v13, v37
	s_or_b64 s[42:43], s[42:43], exec
	ds_write_b8_d16_hi v1, v32
	s_or_b64 exec, exec, s[6:7]
	s_and_b64 exec, exec, s[42:43]
	s_cbranch_execnz .LBB703_168
	s_branch .LBB703_169
.LBB703_244:
	s_and_saveexec_b64 s[40:41], s[34:35]
	s_cbranch_execnz .LBB703_304
; %bb.245:
	s_or_b64 exec, exec, s[40:41]
	s_and_saveexec_b64 s[40:41], s[30:31]
	s_cbranch_execnz .LBB703_305
.LBB703_246:
	s_or_b64 exec, exec, s[40:41]
	s_and_saveexec_b64 s[40:41], s[28:29]
	s_cbranch_execnz .LBB703_306
.LBB703_247:
	s_or_b64 exec, exec, s[40:41]
	s_and_saveexec_b64 s[40:41], s[26:27]
	s_cbranch_execnz .LBB703_307
.LBB703_248:
	s_or_b64 exec, exec, s[40:41]
	s_and_saveexec_b64 s[40:41], s[24:25]
	s_cbranch_execnz .LBB703_308
.LBB703_249:
	s_or_b64 exec, exec, s[40:41]
	s_and_saveexec_b64 s[40:41], s[22:23]
	s_cbranch_execnz .LBB703_309
.LBB703_250:
	s_or_b64 exec, exec, s[40:41]
	s_and_saveexec_b64 s[40:41], s[20:21]
	s_cbranch_execnz .LBB703_310
.LBB703_251:
	s_or_b64 exec, exec, s[40:41]
	s_and_saveexec_b64 s[40:41], s[18:19]
	s_cbranch_execnz .LBB703_311
.LBB703_252:
	s_or_b64 exec, exec, s[40:41]
	s_and_saveexec_b64 s[40:41], s[16:17]
	s_cbranch_execnz .LBB703_312
.LBB703_253:
	s_or_b64 exec, exec, s[40:41]
	s_and_saveexec_b64 s[40:41], s[14:15]
	s_cbranch_execnz .LBB703_313
.LBB703_254:
	s_or_b64 exec, exec, s[40:41]
	s_and_saveexec_b64 s[40:41], s[12:13]
	s_cbranch_execnz .LBB703_314
.LBB703_255:
	s_or_b64 exec, exec, s[40:41]
	s_and_saveexec_b64 s[40:41], s[8:9]
	s_cbranch_execnz .LBB703_315
.LBB703_256:
	s_or_b64 exec, exec, s[40:41]
	s_and_saveexec_b64 s[40:41], s[10:11]
	s_cbranch_execnz .LBB703_316
.LBB703_257:
	s_or_b64 exec, exec, s[40:41]
	s_and_saveexec_b64 s[40:41], s[6:7]
	s_cbranch_execz .LBB703_259
.LBB703_258:
	v_sub_u32_e32 v26, v13, v8
	v_mov_b32_e32 v27, 0
	v_lshlrev_b64 v[26:27], 3, v[26:27]
	v_add_co_u32_e32 v26, vcc, v6, v26
	v_addc_co_u32_e32 v27, vcc, v7, v27, vcc
	global_store_dwordx2 v[26:27], v[65:66], off
.LBB703_259:
	s_or_b64 exec, exec, s[40:41]
	s_and_b64 s[40:41], s[4:5], exec
	s_andn2_saveexec_b64 s[36:37], s[36:37]
	s_cbranch_execz .LBB703_193
.LBB703_260:
	v_sub_u32_e32 v26, v34, v8
	v_mov_b32_e32 v27, 0
	v_lshlrev_b64 v[28:29], 3, v[26:27]
	v_sub_u32_e32 v26, v25, v8
	v_add_co_u32_e32 v28, vcc, v6, v28
	v_addc_co_u32_e32 v29, vcc, v7, v29, vcc
	global_store_dwordx2 v[28:29], v[63:64], off
	v_lshlrev_b64 v[28:29], 3, v[26:27]
	v_sub_u32_e32 v26, v24, v8
	v_add_co_u32_e32 v28, vcc, v6, v28
	v_addc_co_u32_e32 v29, vcc, v7, v29, vcc
	global_store_dwordx2 v[28:29], v[39:40], off
	;; [unrolled: 5-line block ×12, first 2 shown]
	v_lshlrev_b64 v[28:29], 3, v[26:27]
	v_sub_u32_e32 v26, v13, v8
	v_add_co_u32_e32 v28, vcc, v6, v28
	v_lshlrev_b64 v[26:27], 3, v[26:27]
	v_addc_co_u32_e32 v29, vcc, v7, v29, vcc
	v_add_co_u32_e32 v26, vcc, v6, v26
	v_addc_co_u32_e32 v27, vcc, v7, v27, vcc
	s_or_b64 s[40:41], s[40:41], exec
	global_store_dwordx2 v[28:29], v[61:62], off
	global_store_dwordx2 v[26:27], v[65:66], off
	s_or_b64 exec, exec, s[36:37]
	s_and_b64 exec, exec, s[40:41]
	s_cbranch_execnz .LBB703_194
	s_branch .LBB703_195
.LBB703_261:
	s_and_saveexec_b64 s[40:41], s[34:35]
	s_cbranch_execnz .LBB703_317
; %bb.262:
	s_or_b64 exec, exec, s[40:41]
	s_and_saveexec_b64 s[34:35], s[30:31]
	s_cbranch_execnz .LBB703_318
.LBB703_263:
	s_or_b64 exec, exec, s[34:35]
	s_and_saveexec_b64 s[30:31], s[28:29]
	s_cbranch_execnz .LBB703_319
.LBB703_264:
	s_or_b64 exec, exec, s[30:31]
	s_and_saveexec_b64 s[28:29], s[26:27]
	s_cbranch_execnz .LBB703_320
.LBB703_265:
	s_or_b64 exec, exec, s[28:29]
	s_and_saveexec_b64 s[26:27], s[24:25]
	s_cbranch_execnz .LBB703_321
.LBB703_266:
	s_or_b64 exec, exec, s[26:27]
	s_and_saveexec_b64 s[24:25], s[22:23]
	s_cbranch_execnz .LBB703_322
.LBB703_267:
	s_or_b64 exec, exec, s[24:25]
	s_and_saveexec_b64 s[22:23], s[20:21]
	s_cbranch_execnz .LBB703_323
.LBB703_268:
	s_or_b64 exec, exec, s[22:23]
	s_and_saveexec_b64 s[20:21], s[18:19]
	s_cbranch_execnz .LBB703_324
.LBB703_269:
	s_or_b64 exec, exec, s[20:21]
	s_and_saveexec_b64 s[18:19], s[16:17]
	s_cbranch_execnz .LBB703_325
.LBB703_270:
	s_or_b64 exec, exec, s[18:19]
	s_and_saveexec_b64 s[16:17], s[14:15]
	s_cbranch_execnz .LBB703_326
.LBB703_271:
	s_or_b64 exec, exec, s[16:17]
	s_and_saveexec_b64 s[14:15], s[12:13]
	s_cbranch_execnz .LBB703_327
.LBB703_272:
	s_or_b64 exec, exec, s[14:15]
	s_and_saveexec_b64 s[12:13], s[8:9]
	s_cbranch_execnz .LBB703_328
.LBB703_273:
	s_or_b64 exec, exec, s[12:13]
	s_and_saveexec_b64 s[8:9], s[10:11]
	s_cbranch_execnz .LBB703_329
.LBB703_274:
	s_or_b64 exec, exec, s[8:9]
	s_and_saveexec_b64 s[8:9], s[6:7]
.LBB703_275:
	v_sub_u32_e32 v9, v13, v8
	v_lshlrev_b32_e32 v9, 3, v9
	ds_write_b64 v9, v[65:66]
.LBB703_276:
	s_or_b64 exec, exec, s[8:9]
	s_and_b64 s[40:41], s[4:5], exec
                                        ; implicit-def: $vgpr63_vgpr64
                                        ; implicit-def: $vgpr39_vgpr40
                                        ; implicit-def: $vgpr41_vgpr42
                                        ; implicit-def: $vgpr43_vgpr44
                                        ; implicit-def: $vgpr45_vgpr46
                                        ; implicit-def: $vgpr47_vgpr48
                                        ; implicit-def: $vgpr49_vgpr50
                                        ; implicit-def: $vgpr51_vgpr52
                                        ; implicit-def: $vgpr53_vgpr54
                                        ; implicit-def: $vgpr55_vgpr56
                                        ; implicit-def: $vgpr57_vgpr58
                                        ; implicit-def: $vgpr59_vgpr60
                                        ; implicit-def: $vgpr61_vgpr62
                                        ; implicit-def: $vgpr65_vgpr66
                                        ; implicit-def: $vgpr34
                                        ; implicit-def: $vgpr25
                                        ; implicit-def: $vgpr24
                                        ; implicit-def: $vgpr23
                                        ; implicit-def: $vgpr22
                                        ; implicit-def: $vgpr21
                                        ; implicit-def: $vgpr20
                                        ; implicit-def: $vgpr19
                                        ; implicit-def: $vgpr18
                                        ; implicit-def: $vgpr17
                                        ; implicit-def: $vgpr16
                                        ; implicit-def: $vgpr15
                                        ; implicit-def: $vgpr14
                                        ; implicit-def: $vgpr13
	s_andn2_saveexec_b64 s[4:5], s[38:39]
	s_cbranch_execz .LBB703_200
.LBB703_277:
	v_sub_u32_e32 v9, v34, v8
	v_lshlrev_b32_e32 v9, 3, v9
	ds_write_b64 v9, v[63:64]
	v_sub_u32_e32 v9, v25, v8
	v_lshlrev_b32_e32 v9, 3, v9
	ds_write_b64 v9, v[39:40]
	;; [unrolled: 3-line block ×13, first 2 shown]
	v_sub_u32_e32 v9, v13, v8
	v_lshlrev_b32_e32 v9, 3, v9
	s_or_b64 s[40:41], s[40:41], exec
	ds_write_b64 v9, v[65:66]
	s_or_b64 exec, exec, s[4:5]
	s_and_b64 exec, exec, s[40:41]
	s_cbranch_execnz .LBB703_201
	s_branch .LBB703_202
.LBB703_278:
	v_sub_u32_e32 v3, v34, v37
	v_readfirstlane_b32 s44, v26
	v_readfirstlane_b32 s45, v27
	s_nop 4
	global_store_byte v3, v72, s[44:45]
	s_or_b64 exec, exec, s[42:43]
	s_and_saveexec_b64 s[42:43], s[34:35]
	s_cbranch_execz .LBB703_212
.LBB703_279:
	v_sub_u32_e32 v3, v25, v37
	v_readfirstlane_b32 s44, v26
	v_readfirstlane_b32 s45, v27
	s_nop 4
	global_store_byte v3, v71, s[44:45]
	s_or_b64 exec, exec, s[42:43]
	s_and_saveexec_b64 s[42:43], s[30:31]
	s_cbranch_execz .LBB703_213
.LBB703_280:
	v_sub_u32_e32 v3, v24, v37
	v_readfirstlane_b32 s44, v26
	v_readfirstlane_b32 s45, v27
	s_nop 4
	global_store_byte v3, v1, s[44:45]
	s_or_b64 exec, exec, s[42:43]
	s_and_saveexec_b64 s[42:43], s[28:29]
	s_cbranch_execz .LBB703_214
.LBB703_281:
	v_sub_u32_e32 v3, v23, v37
	v_readfirstlane_b32 s44, v26
	v_readfirstlane_b32 s45, v27
	s_nop 4
	global_store_byte v3, v30, s[44:45]
	s_or_b64 exec, exec, s[42:43]
	s_and_saveexec_b64 s[42:43], s[26:27]
	s_cbranch_execz .LBB703_215
.LBB703_282:
	v_sub_u32_e32 v3, v22, v37
	v_lshrrev_b32_e32 v6, 8, v30
	v_readfirstlane_b32 s44, v26
	v_readfirstlane_b32 s45, v27
	s_nop 4
	global_store_byte v3, v6, s[44:45]
	s_or_b64 exec, exec, s[42:43]
	s_and_saveexec_b64 s[42:43], s[24:25]
	s_cbranch_execz .LBB703_216
.LBB703_283:
	v_sub_u32_e32 v3, v21, v37
	v_readfirstlane_b32 s44, v26
	v_readfirstlane_b32 s45, v27
	s_nop 4
	global_store_byte_d16_hi v3, v30, s[44:45]
	s_or_b64 exec, exec, s[42:43]
	s_and_saveexec_b64 s[42:43], s[22:23]
	s_cbranch_execz .LBB703_217
.LBB703_284:
	v_sub_u32_e32 v3, v20, v37
	v_lshrrev_b32_e32 v6, 24, v30
	v_readfirstlane_b32 s44, v26
	v_readfirstlane_b32 s45, v27
	s_nop 4
	global_store_byte v3, v6, s[44:45]
	s_or_b64 exec, exec, s[42:43]
	s_and_saveexec_b64 s[42:43], s[20:21]
	s_cbranch_execz .LBB703_218
.LBB703_285:
	v_sub_u32_e32 v3, v19, v37
	v_readfirstlane_b32 s44, v26
	v_readfirstlane_b32 s45, v27
	s_nop 4
	global_store_byte v3, v31, s[44:45]
	s_or_b64 exec, exec, s[42:43]
	s_and_saveexec_b64 s[42:43], s[18:19]
	s_cbranch_execz .LBB703_219
.LBB703_286:
	v_sub_u32_e32 v3, v18, v37
	v_lshrrev_b32_e32 v6, 8, v31
	v_readfirstlane_b32 s44, v26
	v_readfirstlane_b32 s45, v27
	s_nop 4
	global_store_byte v3, v6, s[44:45]
	s_or_b64 exec, exec, s[42:43]
	s_and_saveexec_b64 s[42:43], s[16:17]
	s_cbranch_execz .LBB703_220
.LBB703_287:
	v_sub_u32_e32 v3, v17, v37
	v_readfirstlane_b32 s44, v26
	v_readfirstlane_b32 s45, v27
	s_nop 4
	global_store_byte_d16_hi v3, v31, s[44:45]
	s_or_b64 exec, exec, s[42:43]
	s_and_saveexec_b64 s[42:43], s[14:15]
	s_cbranch_execz .LBB703_221
.LBB703_288:
	v_sub_u32_e32 v3, v16, v37
	v_lshrrev_b32_e32 v6, 24, v31
	v_readfirstlane_b32 s44, v26
	v_readfirstlane_b32 s45, v27
	s_nop 4
	global_store_byte v3, v6, s[44:45]
	s_or_b64 exec, exec, s[42:43]
	s_and_saveexec_b64 s[42:43], s[12:13]
	s_cbranch_execz .LBB703_222
.LBB703_289:
	v_sub_u32_e32 v3, v15, v37
	v_readfirstlane_b32 s44, v26
	v_readfirstlane_b32 s45, v27
	s_nop 4
	global_store_byte v3, v32, s[44:45]
	s_or_b64 exec, exec, s[42:43]
	s_and_saveexec_b64 s[42:43], s[8:9]
	s_cbranch_execz .LBB703_223
.LBB703_290:
	v_sub_u32_e32 v3, v14, v37
	v_lshrrev_b32_e32 v6, 8, v32
	v_readfirstlane_b32 s44, v26
	v_readfirstlane_b32 s45, v27
	s_nop 4
	global_store_byte v3, v6, s[44:45]
	s_or_b64 exec, exec, s[42:43]
	s_and_saveexec_b64 s[42:43], s[6:7]
	s_cbranch_execnz .LBB703_224
	s_branch .LBB703_225
.LBB703_291:
	v_sub_u32_e32 v2, v34, v37
	ds_write_b8 v2, v72
	s_or_b64 exec, exec, s[42:43]
	s_and_saveexec_b64 s[36:37], s[34:35]
	s_cbranch_execz .LBB703_229
.LBB703_292:
	v_sub_u32_e32 v2, v25, v37
	ds_write_b8 v2, v71
	s_or_b64 exec, exec, s[36:37]
	s_and_saveexec_b64 s[34:35], s[30:31]
	s_cbranch_execz .LBB703_230
.LBB703_293:
	v_sub_u32_e32 v2, v24, v37
	ds_write_b8 v2, v1
	s_or_b64 exec, exec, s[34:35]
	s_and_saveexec_b64 s[30:31], s[28:29]
	s_cbranch_execz .LBB703_231
.LBB703_294:
	v_sub_u32_e32 v1, v23, v37
	ds_write_b8 v1, v30
	s_or_b64 exec, exec, s[30:31]
	s_and_saveexec_b64 s[28:29], s[26:27]
	s_cbranch_execz .LBB703_232
.LBB703_295:
	v_sub_u32_e32 v1, v22, v37
	v_lshrrev_b32_e32 v2, 8, v30
	ds_write_b8 v1, v2
	s_or_b64 exec, exec, s[28:29]
	s_and_saveexec_b64 s[26:27], s[24:25]
	s_cbranch_execz .LBB703_233
.LBB703_296:
	v_sub_u32_e32 v1, v21, v37
	ds_write_b8_d16_hi v1, v30
	s_or_b64 exec, exec, s[26:27]
	s_and_saveexec_b64 s[24:25], s[22:23]
	s_cbranch_execz .LBB703_234
.LBB703_297:
	v_sub_u32_e32 v1, v20, v37
	v_lshrrev_b32_e32 v2, 24, v30
	ds_write_b8 v1, v2
	s_or_b64 exec, exec, s[24:25]
	s_and_saveexec_b64 s[22:23], s[20:21]
	s_cbranch_execz .LBB703_235
.LBB703_298:
	v_sub_u32_e32 v1, v19, v37
	ds_write_b8 v1, v31
	s_or_b64 exec, exec, s[22:23]
	s_and_saveexec_b64 s[20:21], s[18:19]
	s_cbranch_execz .LBB703_236
.LBB703_299:
	v_sub_u32_e32 v1, v18, v37
	v_lshrrev_b32_e32 v2, 8, v31
	ds_write_b8 v1, v2
	s_or_b64 exec, exec, s[20:21]
	s_and_saveexec_b64 s[18:19], s[16:17]
	s_cbranch_execz .LBB703_237
.LBB703_300:
	v_sub_u32_e32 v1, v17, v37
	ds_write_b8_d16_hi v1, v31
	s_or_b64 exec, exec, s[18:19]
	s_and_saveexec_b64 s[16:17], s[14:15]
	s_cbranch_execz .LBB703_238
.LBB703_301:
	v_sub_u32_e32 v1, v16, v37
	v_lshrrev_b32_e32 v2, 24, v31
	ds_write_b8 v1, v2
	s_or_b64 exec, exec, s[16:17]
	s_and_saveexec_b64 s[14:15], s[12:13]
	s_cbranch_execz .LBB703_239
.LBB703_302:
	v_sub_u32_e32 v1, v15, v37
	ds_write_b8 v1, v32
	s_or_b64 exec, exec, s[14:15]
	s_and_saveexec_b64 s[12:13], s[8:9]
	s_cbranch_execz .LBB703_240
.LBB703_303:
	v_sub_u32_e32 v1, v14, v37
	v_lshrrev_b32_e32 v2, 8, v32
	ds_write_b8 v1, v2
	s_or_b64 exec, exec, s[12:13]
	s_and_saveexec_b64 s[8:9], s[6:7]
	s_cbranch_execnz .LBB703_241
	s_branch .LBB703_242
.LBB703_304:
	v_sub_u32_e32 v26, v34, v8
	v_mov_b32_e32 v27, 0
	v_lshlrev_b64 v[26:27], 3, v[26:27]
	v_add_co_u32_e32 v26, vcc, v6, v26
	v_addc_co_u32_e32 v27, vcc, v7, v27, vcc
	global_store_dwordx2 v[26:27], v[63:64], off
	s_or_b64 exec, exec, s[40:41]
	s_and_saveexec_b64 s[40:41], s[30:31]
	s_cbranch_execz .LBB703_246
.LBB703_305:
	v_sub_u32_e32 v26, v25, v8
	v_mov_b32_e32 v27, 0
	v_lshlrev_b64 v[26:27], 3, v[26:27]
	v_add_co_u32_e32 v26, vcc, v6, v26
	v_addc_co_u32_e32 v27, vcc, v7, v27, vcc
	global_store_dwordx2 v[26:27], v[39:40], off
	s_or_b64 exec, exec, s[40:41]
	s_and_saveexec_b64 s[40:41], s[28:29]
	s_cbranch_execz .LBB703_247
.LBB703_306:
	v_sub_u32_e32 v26, v24, v8
	v_mov_b32_e32 v27, 0
	v_lshlrev_b64 v[26:27], 3, v[26:27]
	v_add_co_u32_e32 v26, vcc, v6, v26
	v_addc_co_u32_e32 v27, vcc, v7, v27, vcc
	global_store_dwordx2 v[26:27], v[41:42], off
	s_or_b64 exec, exec, s[40:41]
	s_and_saveexec_b64 s[40:41], s[26:27]
	s_cbranch_execz .LBB703_248
.LBB703_307:
	v_sub_u32_e32 v26, v23, v8
	v_mov_b32_e32 v27, 0
	v_lshlrev_b64 v[26:27], 3, v[26:27]
	v_add_co_u32_e32 v26, vcc, v6, v26
	v_addc_co_u32_e32 v27, vcc, v7, v27, vcc
	global_store_dwordx2 v[26:27], v[43:44], off
	s_or_b64 exec, exec, s[40:41]
	s_and_saveexec_b64 s[40:41], s[24:25]
	s_cbranch_execz .LBB703_249
.LBB703_308:
	v_sub_u32_e32 v26, v22, v8
	v_mov_b32_e32 v27, 0
	v_lshlrev_b64 v[26:27], 3, v[26:27]
	v_add_co_u32_e32 v26, vcc, v6, v26
	v_addc_co_u32_e32 v27, vcc, v7, v27, vcc
	global_store_dwordx2 v[26:27], v[45:46], off
	s_or_b64 exec, exec, s[40:41]
	s_and_saveexec_b64 s[40:41], s[22:23]
	s_cbranch_execz .LBB703_250
.LBB703_309:
	v_sub_u32_e32 v26, v21, v8
	v_mov_b32_e32 v27, 0
	v_lshlrev_b64 v[26:27], 3, v[26:27]
	v_add_co_u32_e32 v26, vcc, v6, v26
	v_addc_co_u32_e32 v27, vcc, v7, v27, vcc
	global_store_dwordx2 v[26:27], v[47:48], off
	s_or_b64 exec, exec, s[40:41]
	s_and_saveexec_b64 s[40:41], s[20:21]
	s_cbranch_execz .LBB703_251
.LBB703_310:
	v_sub_u32_e32 v26, v20, v8
	v_mov_b32_e32 v27, 0
	v_lshlrev_b64 v[26:27], 3, v[26:27]
	v_add_co_u32_e32 v26, vcc, v6, v26
	v_addc_co_u32_e32 v27, vcc, v7, v27, vcc
	global_store_dwordx2 v[26:27], v[49:50], off
	s_or_b64 exec, exec, s[40:41]
	s_and_saveexec_b64 s[40:41], s[18:19]
	s_cbranch_execz .LBB703_252
.LBB703_311:
	v_sub_u32_e32 v26, v19, v8
	v_mov_b32_e32 v27, 0
	v_lshlrev_b64 v[26:27], 3, v[26:27]
	v_add_co_u32_e32 v26, vcc, v6, v26
	v_addc_co_u32_e32 v27, vcc, v7, v27, vcc
	global_store_dwordx2 v[26:27], v[51:52], off
	s_or_b64 exec, exec, s[40:41]
	s_and_saveexec_b64 s[40:41], s[16:17]
	s_cbranch_execz .LBB703_253
.LBB703_312:
	v_sub_u32_e32 v26, v18, v8
	v_mov_b32_e32 v27, 0
	v_lshlrev_b64 v[26:27], 3, v[26:27]
	v_add_co_u32_e32 v26, vcc, v6, v26
	v_addc_co_u32_e32 v27, vcc, v7, v27, vcc
	global_store_dwordx2 v[26:27], v[53:54], off
	s_or_b64 exec, exec, s[40:41]
	s_and_saveexec_b64 s[40:41], s[14:15]
	s_cbranch_execz .LBB703_254
.LBB703_313:
	v_sub_u32_e32 v26, v17, v8
	v_mov_b32_e32 v27, 0
	v_lshlrev_b64 v[26:27], 3, v[26:27]
	v_add_co_u32_e32 v26, vcc, v6, v26
	v_addc_co_u32_e32 v27, vcc, v7, v27, vcc
	global_store_dwordx2 v[26:27], v[55:56], off
	s_or_b64 exec, exec, s[40:41]
	s_and_saveexec_b64 s[40:41], s[12:13]
	s_cbranch_execz .LBB703_255
.LBB703_314:
	v_sub_u32_e32 v26, v16, v8
	v_mov_b32_e32 v27, 0
	v_lshlrev_b64 v[26:27], 3, v[26:27]
	v_add_co_u32_e32 v26, vcc, v6, v26
	v_addc_co_u32_e32 v27, vcc, v7, v27, vcc
	global_store_dwordx2 v[26:27], v[57:58], off
	s_or_b64 exec, exec, s[40:41]
	s_and_saveexec_b64 s[40:41], s[8:9]
	s_cbranch_execz .LBB703_256
.LBB703_315:
	v_sub_u32_e32 v26, v15, v8
	v_mov_b32_e32 v27, 0
	v_lshlrev_b64 v[26:27], 3, v[26:27]
	v_add_co_u32_e32 v26, vcc, v6, v26
	v_addc_co_u32_e32 v27, vcc, v7, v27, vcc
	global_store_dwordx2 v[26:27], v[59:60], off
	s_or_b64 exec, exec, s[40:41]
	s_and_saveexec_b64 s[40:41], s[10:11]
	s_cbranch_execz .LBB703_257
.LBB703_316:
	v_sub_u32_e32 v26, v14, v8
	v_mov_b32_e32 v27, 0
	v_lshlrev_b64 v[26:27], 3, v[26:27]
	v_add_co_u32_e32 v26, vcc, v6, v26
	v_addc_co_u32_e32 v27, vcc, v7, v27, vcc
	global_store_dwordx2 v[26:27], v[61:62], off
	s_or_b64 exec, exec, s[40:41]
	s_and_saveexec_b64 s[40:41], s[6:7]
	s_cbranch_execnz .LBB703_258
	s_branch .LBB703_259
.LBB703_317:
	v_sub_u32_e32 v9, v34, v8
	v_lshlrev_b32_e32 v9, 3, v9
	ds_write_b64 v9, v[63:64]
	s_or_b64 exec, exec, s[40:41]
	s_and_saveexec_b64 s[34:35], s[30:31]
	s_cbranch_execz .LBB703_263
.LBB703_318:
	v_sub_u32_e32 v9, v25, v8
	v_lshlrev_b32_e32 v9, 3, v9
	ds_write_b64 v9, v[39:40]
	s_or_b64 exec, exec, s[34:35]
	s_and_saveexec_b64 s[30:31], s[28:29]
	s_cbranch_execz .LBB703_264
.LBB703_319:
	v_sub_u32_e32 v9, v24, v8
	v_lshlrev_b32_e32 v9, 3, v9
	ds_write_b64 v9, v[41:42]
	s_or_b64 exec, exec, s[30:31]
	s_and_saveexec_b64 s[28:29], s[26:27]
	s_cbranch_execz .LBB703_265
.LBB703_320:
	v_sub_u32_e32 v9, v23, v8
	v_lshlrev_b32_e32 v9, 3, v9
	ds_write_b64 v9, v[43:44]
	s_or_b64 exec, exec, s[28:29]
	s_and_saveexec_b64 s[26:27], s[24:25]
	s_cbranch_execz .LBB703_266
.LBB703_321:
	v_sub_u32_e32 v9, v22, v8
	v_lshlrev_b32_e32 v9, 3, v9
	ds_write_b64 v9, v[45:46]
	s_or_b64 exec, exec, s[26:27]
	s_and_saveexec_b64 s[24:25], s[22:23]
	s_cbranch_execz .LBB703_267
.LBB703_322:
	v_sub_u32_e32 v9, v21, v8
	v_lshlrev_b32_e32 v9, 3, v9
	ds_write_b64 v9, v[47:48]
	s_or_b64 exec, exec, s[24:25]
	s_and_saveexec_b64 s[22:23], s[20:21]
	s_cbranch_execz .LBB703_268
.LBB703_323:
	v_sub_u32_e32 v9, v20, v8
	v_lshlrev_b32_e32 v9, 3, v9
	ds_write_b64 v9, v[49:50]
	s_or_b64 exec, exec, s[22:23]
	s_and_saveexec_b64 s[20:21], s[18:19]
	s_cbranch_execz .LBB703_269
.LBB703_324:
	v_sub_u32_e32 v9, v19, v8
	v_lshlrev_b32_e32 v9, 3, v9
	ds_write_b64 v9, v[51:52]
	s_or_b64 exec, exec, s[20:21]
	s_and_saveexec_b64 s[18:19], s[16:17]
	s_cbranch_execz .LBB703_270
.LBB703_325:
	v_sub_u32_e32 v9, v18, v8
	v_lshlrev_b32_e32 v9, 3, v9
	ds_write_b64 v9, v[53:54]
	s_or_b64 exec, exec, s[18:19]
	s_and_saveexec_b64 s[16:17], s[14:15]
	s_cbranch_execz .LBB703_271
.LBB703_326:
	v_sub_u32_e32 v9, v17, v8
	v_lshlrev_b32_e32 v9, 3, v9
	ds_write_b64 v9, v[55:56]
	s_or_b64 exec, exec, s[16:17]
	s_and_saveexec_b64 s[14:15], s[12:13]
	s_cbranch_execz .LBB703_272
.LBB703_327:
	v_sub_u32_e32 v9, v16, v8
	v_lshlrev_b32_e32 v9, 3, v9
	ds_write_b64 v9, v[57:58]
	s_or_b64 exec, exec, s[14:15]
	s_and_saveexec_b64 s[12:13], s[8:9]
	s_cbranch_execz .LBB703_273
.LBB703_328:
	v_sub_u32_e32 v9, v15, v8
	v_lshlrev_b32_e32 v9, 3, v9
	ds_write_b64 v9, v[59:60]
	s_or_b64 exec, exec, s[12:13]
	s_and_saveexec_b64 s[8:9], s[10:11]
	s_cbranch_execz .LBB703_274
.LBB703_329:
	v_sub_u32_e32 v9, v14, v8
	v_lshlrev_b32_e32 v9, 3, v9
	ds_write_b64 v9, v[61:62]
	s_or_b64 exec, exec, s[8:9]
	s_and_saveexec_b64 s[8:9], s[6:7]
	s_cbranch_execnz .LBB703_275
	s_branch .LBB703_276
	.section	.rodata,"a",@progbits
	.p2align	6, 0x0
	.amdhsa_kernel _ZN7rocprim17ROCPRIM_400000_NS6detail17trampoline_kernelINS0_14default_configENS1_29reduce_by_key_config_selectorIalN6thrust23THRUST_200600_302600_NS4plusIlEEEEZZNS1_33reduce_by_key_impl_wrapped_configILNS1_25lookback_scan_determinismE0ES3_S9_PaNS6_17constant_iteratorIiNS6_11use_defaultESE_EENS6_10device_ptrIaEENSG_IlEEPmS8_NS6_8equal_toIaEEEE10hipError_tPvRmT2_T3_mT4_T5_T6_T7_T8_P12ihipStream_tbENKUlT_T0_E_clISt17integral_constantIbLb0EES12_IbLb1EEEEDaSY_SZ_EUlSY_E_NS1_11comp_targetILNS1_3genE2ELNS1_11target_archE906ELNS1_3gpuE6ELNS1_3repE0EEENS1_30default_config_static_selectorELNS0_4arch9wavefront6targetE1EEEvT1_
		.amdhsa_group_segment_fixed_size 30720
		.amdhsa_private_segment_fixed_size 64
		.amdhsa_kernarg_size 144
		.amdhsa_user_sgpr_count 6
		.amdhsa_user_sgpr_private_segment_buffer 1
		.amdhsa_user_sgpr_dispatch_ptr 0
		.amdhsa_user_sgpr_queue_ptr 0
		.amdhsa_user_sgpr_kernarg_segment_ptr 1
		.amdhsa_user_sgpr_dispatch_id 0
		.amdhsa_user_sgpr_flat_scratch_init 0
		.amdhsa_user_sgpr_private_segment_size 0
		.amdhsa_uses_dynamic_stack 0
		.amdhsa_system_sgpr_private_segment_wavefront_offset 1
		.amdhsa_system_sgpr_workgroup_id_x 1
		.amdhsa_system_sgpr_workgroup_id_y 0
		.amdhsa_system_sgpr_workgroup_id_z 0
		.amdhsa_system_sgpr_workgroup_info 0
		.amdhsa_system_vgpr_workitem_id 0
		.amdhsa_next_free_vgpr 115
		.amdhsa_next_free_sgpr 98
		.amdhsa_reserve_vcc 1
		.amdhsa_reserve_flat_scratch 0
		.amdhsa_float_round_mode_32 0
		.amdhsa_float_round_mode_16_64 0
		.amdhsa_float_denorm_mode_32 3
		.amdhsa_float_denorm_mode_16_64 3
		.amdhsa_dx10_clamp 1
		.amdhsa_ieee_mode 1
		.amdhsa_fp16_overflow 0
		.amdhsa_exception_fp_ieee_invalid_op 0
		.amdhsa_exception_fp_denorm_src 0
		.amdhsa_exception_fp_ieee_div_zero 0
		.amdhsa_exception_fp_ieee_overflow 0
		.amdhsa_exception_fp_ieee_underflow 0
		.amdhsa_exception_fp_ieee_inexact 0
		.amdhsa_exception_int_div_zero 0
	.end_amdhsa_kernel
	.section	.text._ZN7rocprim17ROCPRIM_400000_NS6detail17trampoline_kernelINS0_14default_configENS1_29reduce_by_key_config_selectorIalN6thrust23THRUST_200600_302600_NS4plusIlEEEEZZNS1_33reduce_by_key_impl_wrapped_configILNS1_25lookback_scan_determinismE0ES3_S9_PaNS6_17constant_iteratorIiNS6_11use_defaultESE_EENS6_10device_ptrIaEENSG_IlEEPmS8_NS6_8equal_toIaEEEE10hipError_tPvRmT2_T3_mT4_T5_T6_T7_T8_P12ihipStream_tbENKUlT_T0_E_clISt17integral_constantIbLb0EES12_IbLb1EEEEDaSY_SZ_EUlSY_E_NS1_11comp_targetILNS1_3genE2ELNS1_11target_archE906ELNS1_3gpuE6ELNS1_3repE0EEENS1_30default_config_static_selectorELNS0_4arch9wavefront6targetE1EEEvT1_,"axG",@progbits,_ZN7rocprim17ROCPRIM_400000_NS6detail17trampoline_kernelINS0_14default_configENS1_29reduce_by_key_config_selectorIalN6thrust23THRUST_200600_302600_NS4plusIlEEEEZZNS1_33reduce_by_key_impl_wrapped_configILNS1_25lookback_scan_determinismE0ES3_S9_PaNS6_17constant_iteratorIiNS6_11use_defaultESE_EENS6_10device_ptrIaEENSG_IlEEPmS8_NS6_8equal_toIaEEEE10hipError_tPvRmT2_T3_mT4_T5_T6_T7_T8_P12ihipStream_tbENKUlT_T0_E_clISt17integral_constantIbLb0EES12_IbLb1EEEEDaSY_SZ_EUlSY_E_NS1_11comp_targetILNS1_3genE2ELNS1_11target_archE906ELNS1_3gpuE6ELNS1_3repE0EEENS1_30default_config_static_selectorELNS0_4arch9wavefront6targetE1EEEvT1_,comdat
.Lfunc_end703:
	.size	_ZN7rocprim17ROCPRIM_400000_NS6detail17trampoline_kernelINS0_14default_configENS1_29reduce_by_key_config_selectorIalN6thrust23THRUST_200600_302600_NS4plusIlEEEEZZNS1_33reduce_by_key_impl_wrapped_configILNS1_25lookback_scan_determinismE0ES3_S9_PaNS6_17constant_iteratorIiNS6_11use_defaultESE_EENS6_10device_ptrIaEENSG_IlEEPmS8_NS6_8equal_toIaEEEE10hipError_tPvRmT2_T3_mT4_T5_T6_T7_T8_P12ihipStream_tbENKUlT_T0_E_clISt17integral_constantIbLb0EES12_IbLb1EEEEDaSY_SZ_EUlSY_E_NS1_11comp_targetILNS1_3genE2ELNS1_11target_archE906ELNS1_3gpuE6ELNS1_3repE0EEENS1_30default_config_static_selectorELNS0_4arch9wavefront6targetE1EEEvT1_, .Lfunc_end703-_ZN7rocprim17ROCPRIM_400000_NS6detail17trampoline_kernelINS0_14default_configENS1_29reduce_by_key_config_selectorIalN6thrust23THRUST_200600_302600_NS4plusIlEEEEZZNS1_33reduce_by_key_impl_wrapped_configILNS1_25lookback_scan_determinismE0ES3_S9_PaNS6_17constant_iteratorIiNS6_11use_defaultESE_EENS6_10device_ptrIaEENSG_IlEEPmS8_NS6_8equal_toIaEEEE10hipError_tPvRmT2_T3_mT4_T5_T6_T7_T8_P12ihipStream_tbENKUlT_T0_E_clISt17integral_constantIbLb0EES12_IbLb1EEEEDaSY_SZ_EUlSY_E_NS1_11comp_targetILNS1_3genE2ELNS1_11target_archE906ELNS1_3gpuE6ELNS1_3repE0EEENS1_30default_config_static_selectorELNS0_4arch9wavefront6targetE1EEEvT1_
                                        ; -- End function
	.set _ZN7rocprim17ROCPRIM_400000_NS6detail17trampoline_kernelINS0_14default_configENS1_29reduce_by_key_config_selectorIalN6thrust23THRUST_200600_302600_NS4plusIlEEEEZZNS1_33reduce_by_key_impl_wrapped_configILNS1_25lookback_scan_determinismE0ES3_S9_PaNS6_17constant_iteratorIiNS6_11use_defaultESE_EENS6_10device_ptrIaEENSG_IlEEPmS8_NS6_8equal_toIaEEEE10hipError_tPvRmT2_T3_mT4_T5_T6_T7_T8_P12ihipStream_tbENKUlT_T0_E_clISt17integral_constantIbLb0EES12_IbLb1EEEEDaSY_SZ_EUlSY_E_NS1_11comp_targetILNS1_3genE2ELNS1_11target_archE906ELNS1_3gpuE6ELNS1_3repE0EEENS1_30default_config_static_selectorELNS0_4arch9wavefront6targetE1EEEvT1_.num_vgpr, 115
	.set _ZN7rocprim17ROCPRIM_400000_NS6detail17trampoline_kernelINS0_14default_configENS1_29reduce_by_key_config_selectorIalN6thrust23THRUST_200600_302600_NS4plusIlEEEEZZNS1_33reduce_by_key_impl_wrapped_configILNS1_25lookback_scan_determinismE0ES3_S9_PaNS6_17constant_iteratorIiNS6_11use_defaultESE_EENS6_10device_ptrIaEENSG_IlEEPmS8_NS6_8equal_toIaEEEE10hipError_tPvRmT2_T3_mT4_T5_T6_T7_T8_P12ihipStream_tbENKUlT_T0_E_clISt17integral_constantIbLb0EES12_IbLb1EEEEDaSY_SZ_EUlSY_E_NS1_11comp_targetILNS1_3genE2ELNS1_11target_archE906ELNS1_3gpuE6ELNS1_3repE0EEENS1_30default_config_static_selectorELNS0_4arch9wavefront6targetE1EEEvT1_.num_agpr, 0
	.set _ZN7rocprim17ROCPRIM_400000_NS6detail17trampoline_kernelINS0_14default_configENS1_29reduce_by_key_config_selectorIalN6thrust23THRUST_200600_302600_NS4plusIlEEEEZZNS1_33reduce_by_key_impl_wrapped_configILNS1_25lookback_scan_determinismE0ES3_S9_PaNS6_17constant_iteratorIiNS6_11use_defaultESE_EENS6_10device_ptrIaEENSG_IlEEPmS8_NS6_8equal_toIaEEEE10hipError_tPvRmT2_T3_mT4_T5_T6_T7_T8_P12ihipStream_tbENKUlT_T0_E_clISt17integral_constantIbLb0EES12_IbLb1EEEEDaSY_SZ_EUlSY_E_NS1_11comp_targetILNS1_3genE2ELNS1_11target_archE906ELNS1_3gpuE6ELNS1_3repE0EEENS1_30default_config_static_selectorELNS0_4arch9wavefront6targetE1EEEvT1_.numbered_sgpr, 68
	.set _ZN7rocprim17ROCPRIM_400000_NS6detail17trampoline_kernelINS0_14default_configENS1_29reduce_by_key_config_selectorIalN6thrust23THRUST_200600_302600_NS4plusIlEEEEZZNS1_33reduce_by_key_impl_wrapped_configILNS1_25lookback_scan_determinismE0ES3_S9_PaNS6_17constant_iteratorIiNS6_11use_defaultESE_EENS6_10device_ptrIaEENSG_IlEEPmS8_NS6_8equal_toIaEEEE10hipError_tPvRmT2_T3_mT4_T5_T6_T7_T8_P12ihipStream_tbENKUlT_T0_E_clISt17integral_constantIbLb0EES12_IbLb1EEEEDaSY_SZ_EUlSY_E_NS1_11comp_targetILNS1_3genE2ELNS1_11target_archE906ELNS1_3gpuE6ELNS1_3repE0EEENS1_30default_config_static_selectorELNS0_4arch9wavefront6targetE1EEEvT1_.num_named_barrier, 0
	.set _ZN7rocprim17ROCPRIM_400000_NS6detail17trampoline_kernelINS0_14default_configENS1_29reduce_by_key_config_selectorIalN6thrust23THRUST_200600_302600_NS4plusIlEEEEZZNS1_33reduce_by_key_impl_wrapped_configILNS1_25lookback_scan_determinismE0ES3_S9_PaNS6_17constant_iteratorIiNS6_11use_defaultESE_EENS6_10device_ptrIaEENSG_IlEEPmS8_NS6_8equal_toIaEEEE10hipError_tPvRmT2_T3_mT4_T5_T6_T7_T8_P12ihipStream_tbENKUlT_T0_E_clISt17integral_constantIbLb0EES12_IbLb1EEEEDaSY_SZ_EUlSY_E_NS1_11comp_targetILNS1_3genE2ELNS1_11target_archE906ELNS1_3gpuE6ELNS1_3repE0EEENS1_30default_config_static_selectorELNS0_4arch9wavefront6targetE1EEEvT1_.private_seg_size, 64
	.set _ZN7rocprim17ROCPRIM_400000_NS6detail17trampoline_kernelINS0_14default_configENS1_29reduce_by_key_config_selectorIalN6thrust23THRUST_200600_302600_NS4plusIlEEEEZZNS1_33reduce_by_key_impl_wrapped_configILNS1_25lookback_scan_determinismE0ES3_S9_PaNS6_17constant_iteratorIiNS6_11use_defaultESE_EENS6_10device_ptrIaEENSG_IlEEPmS8_NS6_8equal_toIaEEEE10hipError_tPvRmT2_T3_mT4_T5_T6_T7_T8_P12ihipStream_tbENKUlT_T0_E_clISt17integral_constantIbLb0EES12_IbLb1EEEEDaSY_SZ_EUlSY_E_NS1_11comp_targetILNS1_3genE2ELNS1_11target_archE906ELNS1_3gpuE6ELNS1_3repE0EEENS1_30default_config_static_selectorELNS0_4arch9wavefront6targetE1EEEvT1_.uses_vcc, 1
	.set _ZN7rocprim17ROCPRIM_400000_NS6detail17trampoline_kernelINS0_14default_configENS1_29reduce_by_key_config_selectorIalN6thrust23THRUST_200600_302600_NS4plusIlEEEEZZNS1_33reduce_by_key_impl_wrapped_configILNS1_25lookback_scan_determinismE0ES3_S9_PaNS6_17constant_iteratorIiNS6_11use_defaultESE_EENS6_10device_ptrIaEENSG_IlEEPmS8_NS6_8equal_toIaEEEE10hipError_tPvRmT2_T3_mT4_T5_T6_T7_T8_P12ihipStream_tbENKUlT_T0_E_clISt17integral_constantIbLb0EES12_IbLb1EEEEDaSY_SZ_EUlSY_E_NS1_11comp_targetILNS1_3genE2ELNS1_11target_archE906ELNS1_3gpuE6ELNS1_3repE0EEENS1_30default_config_static_selectorELNS0_4arch9wavefront6targetE1EEEvT1_.uses_flat_scratch, 0
	.set _ZN7rocprim17ROCPRIM_400000_NS6detail17trampoline_kernelINS0_14default_configENS1_29reduce_by_key_config_selectorIalN6thrust23THRUST_200600_302600_NS4plusIlEEEEZZNS1_33reduce_by_key_impl_wrapped_configILNS1_25lookback_scan_determinismE0ES3_S9_PaNS6_17constant_iteratorIiNS6_11use_defaultESE_EENS6_10device_ptrIaEENSG_IlEEPmS8_NS6_8equal_toIaEEEE10hipError_tPvRmT2_T3_mT4_T5_T6_T7_T8_P12ihipStream_tbENKUlT_T0_E_clISt17integral_constantIbLb0EES12_IbLb1EEEEDaSY_SZ_EUlSY_E_NS1_11comp_targetILNS1_3genE2ELNS1_11target_archE906ELNS1_3gpuE6ELNS1_3repE0EEENS1_30default_config_static_selectorELNS0_4arch9wavefront6targetE1EEEvT1_.has_dyn_sized_stack, 0
	.set _ZN7rocprim17ROCPRIM_400000_NS6detail17trampoline_kernelINS0_14default_configENS1_29reduce_by_key_config_selectorIalN6thrust23THRUST_200600_302600_NS4plusIlEEEEZZNS1_33reduce_by_key_impl_wrapped_configILNS1_25lookback_scan_determinismE0ES3_S9_PaNS6_17constant_iteratorIiNS6_11use_defaultESE_EENS6_10device_ptrIaEENSG_IlEEPmS8_NS6_8equal_toIaEEEE10hipError_tPvRmT2_T3_mT4_T5_T6_T7_T8_P12ihipStream_tbENKUlT_T0_E_clISt17integral_constantIbLb0EES12_IbLb1EEEEDaSY_SZ_EUlSY_E_NS1_11comp_targetILNS1_3genE2ELNS1_11target_archE906ELNS1_3gpuE6ELNS1_3repE0EEENS1_30default_config_static_selectorELNS0_4arch9wavefront6targetE1EEEvT1_.has_recursion, 0
	.set _ZN7rocprim17ROCPRIM_400000_NS6detail17trampoline_kernelINS0_14default_configENS1_29reduce_by_key_config_selectorIalN6thrust23THRUST_200600_302600_NS4plusIlEEEEZZNS1_33reduce_by_key_impl_wrapped_configILNS1_25lookback_scan_determinismE0ES3_S9_PaNS6_17constant_iteratorIiNS6_11use_defaultESE_EENS6_10device_ptrIaEENSG_IlEEPmS8_NS6_8equal_toIaEEEE10hipError_tPvRmT2_T3_mT4_T5_T6_T7_T8_P12ihipStream_tbENKUlT_T0_E_clISt17integral_constantIbLb0EES12_IbLb1EEEEDaSY_SZ_EUlSY_E_NS1_11comp_targetILNS1_3genE2ELNS1_11target_archE906ELNS1_3gpuE6ELNS1_3repE0EEENS1_30default_config_static_selectorELNS0_4arch9wavefront6targetE1EEEvT1_.has_indirect_call, 0
	.section	.AMDGPU.csdata,"",@progbits
; Kernel info:
; codeLenInByte = 17228
; TotalNumSgprs: 72
; NumVgprs: 115
; ScratchSize: 64
; MemoryBound: 0
; FloatMode: 240
; IeeeMode: 1
; LDSByteSize: 30720 bytes/workgroup (compile time only)
; SGPRBlocks: 12
; VGPRBlocks: 28
; NumSGPRsForWavesPerEU: 102
; NumVGPRsForWavesPerEU: 115
; Occupancy: 2
; WaveLimiterHint : 1
; COMPUTE_PGM_RSRC2:SCRATCH_EN: 1
; COMPUTE_PGM_RSRC2:USER_SGPR: 6
; COMPUTE_PGM_RSRC2:TRAP_HANDLER: 0
; COMPUTE_PGM_RSRC2:TGID_X_EN: 1
; COMPUTE_PGM_RSRC2:TGID_Y_EN: 0
; COMPUTE_PGM_RSRC2:TGID_Z_EN: 0
; COMPUTE_PGM_RSRC2:TIDIG_COMP_CNT: 0
	.section	.text._ZN7rocprim17ROCPRIM_400000_NS6detail17trampoline_kernelINS0_14default_configENS1_29reduce_by_key_config_selectorIalN6thrust23THRUST_200600_302600_NS4plusIlEEEEZZNS1_33reduce_by_key_impl_wrapped_configILNS1_25lookback_scan_determinismE0ES3_S9_PaNS6_17constant_iteratorIiNS6_11use_defaultESE_EENS6_10device_ptrIaEENSG_IlEEPmS8_NS6_8equal_toIaEEEE10hipError_tPvRmT2_T3_mT4_T5_T6_T7_T8_P12ihipStream_tbENKUlT_T0_E_clISt17integral_constantIbLb0EES12_IbLb1EEEEDaSY_SZ_EUlSY_E_NS1_11comp_targetILNS1_3genE10ELNS1_11target_archE1201ELNS1_3gpuE5ELNS1_3repE0EEENS1_30default_config_static_selectorELNS0_4arch9wavefront6targetE1EEEvT1_,"axG",@progbits,_ZN7rocprim17ROCPRIM_400000_NS6detail17trampoline_kernelINS0_14default_configENS1_29reduce_by_key_config_selectorIalN6thrust23THRUST_200600_302600_NS4plusIlEEEEZZNS1_33reduce_by_key_impl_wrapped_configILNS1_25lookback_scan_determinismE0ES3_S9_PaNS6_17constant_iteratorIiNS6_11use_defaultESE_EENS6_10device_ptrIaEENSG_IlEEPmS8_NS6_8equal_toIaEEEE10hipError_tPvRmT2_T3_mT4_T5_T6_T7_T8_P12ihipStream_tbENKUlT_T0_E_clISt17integral_constantIbLb0EES12_IbLb1EEEEDaSY_SZ_EUlSY_E_NS1_11comp_targetILNS1_3genE10ELNS1_11target_archE1201ELNS1_3gpuE5ELNS1_3repE0EEENS1_30default_config_static_selectorELNS0_4arch9wavefront6targetE1EEEvT1_,comdat
	.protected	_ZN7rocprim17ROCPRIM_400000_NS6detail17trampoline_kernelINS0_14default_configENS1_29reduce_by_key_config_selectorIalN6thrust23THRUST_200600_302600_NS4plusIlEEEEZZNS1_33reduce_by_key_impl_wrapped_configILNS1_25lookback_scan_determinismE0ES3_S9_PaNS6_17constant_iteratorIiNS6_11use_defaultESE_EENS6_10device_ptrIaEENSG_IlEEPmS8_NS6_8equal_toIaEEEE10hipError_tPvRmT2_T3_mT4_T5_T6_T7_T8_P12ihipStream_tbENKUlT_T0_E_clISt17integral_constantIbLb0EES12_IbLb1EEEEDaSY_SZ_EUlSY_E_NS1_11comp_targetILNS1_3genE10ELNS1_11target_archE1201ELNS1_3gpuE5ELNS1_3repE0EEENS1_30default_config_static_selectorELNS0_4arch9wavefront6targetE1EEEvT1_ ; -- Begin function _ZN7rocprim17ROCPRIM_400000_NS6detail17trampoline_kernelINS0_14default_configENS1_29reduce_by_key_config_selectorIalN6thrust23THRUST_200600_302600_NS4plusIlEEEEZZNS1_33reduce_by_key_impl_wrapped_configILNS1_25lookback_scan_determinismE0ES3_S9_PaNS6_17constant_iteratorIiNS6_11use_defaultESE_EENS6_10device_ptrIaEENSG_IlEEPmS8_NS6_8equal_toIaEEEE10hipError_tPvRmT2_T3_mT4_T5_T6_T7_T8_P12ihipStream_tbENKUlT_T0_E_clISt17integral_constantIbLb0EES12_IbLb1EEEEDaSY_SZ_EUlSY_E_NS1_11comp_targetILNS1_3genE10ELNS1_11target_archE1201ELNS1_3gpuE5ELNS1_3repE0EEENS1_30default_config_static_selectorELNS0_4arch9wavefront6targetE1EEEvT1_
	.globl	_ZN7rocprim17ROCPRIM_400000_NS6detail17trampoline_kernelINS0_14default_configENS1_29reduce_by_key_config_selectorIalN6thrust23THRUST_200600_302600_NS4plusIlEEEEZZNS1_33reduce_by_key_impl_wrapped_configILNS1_25lookback_scan_determinismE0ES3_S9_PaNS6_17constant_iteratorIiNS6_11use_defaultESE_EENS6_10device_ptrIaEENSG_IlEEPmS8_NS6_8equal_toIaEEEE10hipError_tPvRmT2_T3_mT4_T5_T6_T7_T8_P12ihipStream_tbENKUlT_T0_E_clISt17integral_constantIbLb0EES12_IbLb1EEEEDaSY_SZ_EUlSY_E_NS1_11comp_targetILNS1_3genE10ELNS1_11target_archE1201ELNS1_3gpuE5ELNS1_3repE0EEENS1_30default_config_static_selectorELNS0_4arch9wavefront6targetE1EEEvT1_
	.p2align	8
	.type	_ZN7rocprim17ROCPRIM_400000_NS6detail17trampoline_kernelINS0_14default_configENS1_29reduce_by_key_config_selectorIalN6thrust23THRUST_200600_302600_NS4plusIlEEEEZZNS1_33reduce_by_key_impl_wrapped_configILNS1_25lookback_scan_determinismE0ES3_S9_PaNS6_17constant_iteratorIiNS6_11use_defaultESE_EENS6_10device_ptrIaEENSG_IlEEPmS8_NS6_8equal_toIaEEEE10hipError_tPvRmT2_T3_mT4_T5_T6_T7_T8_P12ihipStream_tbENKUlT_T0_E_clISt17integral_constantIbLb0EES12_IbLb1EEEEDaSY_SZ_EUlSY_E_NS1_11comp_targetILNS1_3genE10ELNS1_11target_archE1201ELNS1_3gpuE5ELNS1_3repE0EEENS1_30default_config_static_selectorELNS0_4arch9wavefront6targetE1EEEvT1_,@function
_ZN7rocprim17ROCPRIM_400000_NS6detail17trampoline_kernelINS0_14default_configENS1_29reduce_by_key_config_selectorIalN6thrust23THRUST_200600_302600_NS4plusIlEEEEZZNS1_33reduce_by_key_impl_wrapped_configILNS1_25lookback_scan_determinismE0ES3_S9_PaNS6_17constant_iteratorIiNS6_11use_defaultESE_EENS6_10device_ptrIaEENSG_IlEEPmS8_NS6_8equal_toIaEEEE10hipError_tPvRmT2_T3_mT4_T5_T6_T7_T8_P12ihipStream_tbENKUlT_T0_E_clISt17integral_constantIbLb0EES12_IbLb1EEEEDaSY_SZ_EUlSY_E_NS1_11comp_targetILNS1_3genE10ELNS1_11target_archE1201ELNS1_3gpuE5ELNS1_3repE0EEENS1_30default_config_static_selectorELNS0_4arch9wavefront6targetE1EEEvT1_: ; @_ZN7rocprim17ROCPRIM_400000_NS6detail17trampoline_kernelINS0_14default_configENS1_29reduce_by_key_config_selectorIalN6thrust23THRUST_200600_302600_NS4plusIlEEEEZZNS1_33reduce_by_key_impl_wrapped_configILNS1_25lookback_scan_determinismE0ES3_S9_PaNS6_17constant_iteratorIiNS6_11use_defaultESE_EENS6_10device_ptrIaEENSG_IlEEPmS8_NS6_8equal_toIaEEEE10hipError_tPvRmT2_T3_mT4_T5_T6_T7_T8_P12ihipStream_tbENKUlT_T0_E_clISt17integral_constantIbLb0EES12_IbLb1EEEEDaSY_SZ_EUlSY_E_NS1_11comp_targetILNS1_3genE10ELNS1_11target_archE1201ELNS1_3gpuE5ELNS1_3repE0EEENS1_30default_config_static_selectorELNS0_4arch9wavefront6targetE1EEEvT1_
; %bb.0:
	.section	.rodata,"a",@progbits
	.p2align	6, 0x0
	.amdhsa_kernel _ZN7rocprim17ROCPRIM_400000_NS6detail17trampoline_kernelINS0_14default_configENS1_29reduce_by_key_config_selectorIalN6thrust23THRUST_200600_302600_NS4plusIlEEEEZZNS1_33reduce_by_key_impl_wrapped_configILNS1_25lookback_scan_determinismE0ES3_S9_PaNS6_17constant_iteratorIiNS6_11use_defaultESE_EENS6_10device_ptrIaEENSG_IlEEPmS8_NS6_8equal_toIaEEEE10hipError_tPvRmT2_T3_mT4_T5_T6_T7_T8_P12ihipStream_tbENKUlT_T0_E_clISt17integral_constantIbLb0EES12_IbLb1EEEEDaSY_SZ_EUlSY_E_NS1_11comp_targetILNS1_3genE10ELNS1_11target_archE1201ELNS1_3gpuE5ELNS1_3repE0EEENS1_30default_config_static_selectorELNS0_4arch9wavefront6targetE1EEEvT1_
		.amdhsa_group_segment_fixed_size 0
		.amdhsa_private_segment_fixed_size 0
		.amdhsa_kernarg_size 144
		.amdhsa_user_sgpr_count 6
		.amdhsa_user_sgpr_private_segment_buffer 1
		.amdhsa_user_sgpr_dispatch_ptr 0
		.amdhsa_user_sgpr_queue_ptr 0
		.amdhsa_user_sgpr_kernarg_segment_ptr 1
		.amdhsa_user_sgpr_dispatch_id 0
		.amdhsa_user_sgpr_flat_scratch_init 0
		.amdhsa_user_sgpr_private_segment_size 0
		.amdhsa_uses_dynamic_stack 0
		.amdhsa_system_sgpr_private_segment_wavefront_offset 0
		.amdhsa_system_sgpr_workgroup_id_x 1
		.amdhsa_system_sgpr_workgroup_id_y 0
		.amdhsa_system_sgpr_workgroup_id_z 0
		.amdhsa_system_sgpr_workgroup_info 0
		.amdhsa_system_vgpr_workitem_id 0
		.amdhsa_next_free_vgpr 1
		.amdhsa_next_free_sgpr 0
		.amdhsa_reserve_vcc 0
		.amdhsa_reserve_flat_scratch 0
		.amdhsa_float_round_mode_32 0
		.amdhsa_float_round_mode_16_64 0
		.amdhsa_float_denorm_mode_32 3
		.amdhsa_float_denorm_mode_16_64 3
		.amdhsa_dx10_clamp 1
		.amdhsa_ieee_mode 1
		.amdhsa_fp16_overflow 0
		.amdhsa_exception_fp_ieee_invalid_op 0
		.amdhsa_exception_fp_denorm_src 0
		.amdhsa_exception_fp_ieee_div_zero 0
		.amdhsa_exception_fp_ieee_overflow 0
		.amdhsa_exception_fp_ieee_underflow 0
		.amdhsa_exception_fp_ieee_inexact 0
		.amdhsa_exception_int_div_zero 0
	.end_amdhsa_kernel
	.section	.text._ZN7rocprim17ROCPRIM_400000_NS6detail17trampoline_kernelINS0_14default_configENS1_29reduce_by_key_config_selectorIalN6thrust23THRUST_200600_302600_NS4plusIlEEEEZZNS1_33reduce_by_key_impl_wrapped_configILNS1_25lookback_scan_determinismE0ES3_S9_PaNS6_17constant_iteratorIiNS6_11use_defaultESE_EENS6_10device_ptrIaEENSG_IlEEPmS8_NS6_8equal_toIaEEEE10hipError_tPvRmT2_T3_mT4_T5_T6_T7_T8_P12ihipStream_tbENKUlT_T0_E_clISt17integral_constantIbLb0EES12_IbLb1EEEEDaSY_SZ_EUlSY_E_NS1_11comp_targetILNS1_3genE10ELNS1_11target_archE1201ELNS1_3gpuE5ELNS1_3repE0EEENS1_30default_config_static_selectorELNS0_4arch9wavefront6targetE1EEEvT1_,"axG",@progbits,_ZN7rocprim17ROCPRIM_400000_NS6detail17trampoline_kernelINS0_14default_configENS1_29reduce_by_key_config_selectorIalN6thrust23THRUST_200600_302600_NS4plusIlEEEEZZNS1_33reduce_by_key_impl_wrapped_configILNS1_25lookback_scan_determinismE0ES3_S9_PaNS6_17constant_iteratorIiNS6_11use_defaultESE_EENS6_10device_ptrIaEENSG_IlEEPmS8_NS6_8equal_toIaEEEE10hipError_tPvRmT2_T3_mT4_T5_T6_T7_T8_P12ihipStream_tbENKUlT_T0_E_clISt17integral_constantIbLb0EES12_IbLb1EEEEDaSY_SZ_EUlSY_E_NS1_11comp_targetILNS1_3genE10ELNS1_11target_archE1201ELNS1_3gpuE5ELNS1_3repE0EEENS1_30default_config_static_selectorELNS0_4arch9wavefront6targetE1EEEvT1_,comdat
.Lfunc_end704:
	.size	_ZN7rocprim17ROCPRIM_400000_NS6detail17trampoline_kernelINS0_14default_configENS1_29reduce_by_key_config_selectorIalN6thrust23THRUST_200600_302600_NS4plusIlEEEEZZNS1_33reduce_by_key_impl_wrapped_configILNS1_25lookback_scan_determinismE0ES3_S9_PaNS6_17constant_iteratorIiNS6_11use_defaultESE_EENS6_10device_ptrIaEENSG_IlEEPmS8_NS6_8equal_toIaEEEE10hipError_tPvRmT2_T3_mT4_T5_T6_T7_T8_P12ihipStream_tbENKUlT_T0_E_clISt17integral_constantIbLb0EES12_IbLb1EEEEDaSY_SZ_EUlSY_E_NS1_11comp_targetILNS1_3genE10ELNS1_11target_archE1201ELNS1_3gpuE5ELNS1_3repE0EEENS1_30default_config_static_selectorELNS0_4arch9wavefront6targetE1EEEvT1_, .Lfunc_end704-_ZN7rocprim17ROCPRIM_400000_NS6detail17trampoline_kernelINS0_14default_configENS1_29reduce_by_key_config_selectorIalN6thrust23THRUST_200600_302600_NS4plusIlEEEEZZNS1_33reduce_by_key_impl_wrapped_configILNS1_25lookback_scan_determinismE0ES3_S9_PaNS6_17constant_iteratorIiNS6_11use_defaultESE_EENS6_10device_ptrIaEENSG_IlEEPmS8_NS6_8equal_toIaEEEE10hipError_tPvRmT2_T3_mT4_T5_T6_T7_T8_P12ihipStream_tbENKUlT_T0_E_clISt17integral_constantIbLb0EES12_IbLb1EEEEDaSY_SZ_EUlSY_E_NS1_11comp_targetILNS1_3genE10ELNS1_11target_archE1201ELNS1_3gpuE5ELNS1_3repE0EEENS1_30default_config_static_selectorELNS0_4arch9wavefront6targetE1EEEvT1_
                                        ; -- End function
	.set _ZN7rocprim17ROCPRIM_400000_NS6detail17trampoline_kernelINS0_14default_configENS1_29reduce_by_key_config_selectorIalN6thrust23THRUST_200600_302600_NS4plusIlEEEEZZNS1_33reduce_by_key_impl_wrapped_configILNS1_25lookback_scan_determinismE0ES3_S9_PaNS6_17constant_iteratorIiNS6_11use_defaultESE_EENS6_10device_ptrIaEENSG_IlEEPmS8_NS6_8equal_toIaEEEE10hipError_tPvRmT2_T3_mT4_T5_T6_T7_T8_P12ihipStream_tbENKUlT_T0_E_clISt17integral_constantIbLb0EES12_IbLb1EEEEDaSY_SZ_EUlSY_E_NS1_11comp_targetILNS1_3genE10ELNS1_11target_archE1201ELNS1_3gpuE5ELNS1_3repE0EEENS1_30default_config_static_selectorELNS0_4arch9wavefront6targetE1EEEvT1_.num_vgpr, 0
	.set _ZN7rocprim17ROCPRIM_400000_NS6detail17trampoline_kernelINS0_14default_configENS1_29reduce_by_key_config_selectorIalN6thrust23THRUST_200600_302600_NS4plusIlEEEEZZNS1_33reduce_by_key_impl_wrapped_configILNS1_25lookback_scan_determinismE0ES3_S9_PaNS6_17constant_iteratorIiNS6_11use_defaultESE_EENS6_10device_ptrIaEENSG_IlEEPmS8_NS6_8equal_toIaEEEE10hipError_tPvRmT2_T3_mT4_T5_T6_T7_T8_P12ihipStream_tbENKUlT_T0_E_clISt17integral_constantIbLb0EES12_IbLb1EEEEDaSY_SZ_EUlSY_E_NS1_11comp_targetILNS1_3genE10ELNS1_11target_archE1201ELNS1_3gpuE5ELNS1_3repE0EEENS1_30default_config_static_selectorELNS0_4arch9wavefront6targetE1EEEvT1_.num_agpr, 0
	.set _ZN7rocprim17ROCPRIM_400000_NS6detail17trampoline_kernelINS0_14default_configENS1_29reduce_by_key_config_selectorIalN6thrust23THRUST_200600_302600_NS4plusIlEEEEZZNS1_33reduce_by_key_impl_wrapped_configILNS1_25lookback_scan_determinismE0ES3_S9_PaNS6_17constant_iteratorIiNS6_11use_defaultESE_EENS6_10device_ptrIaEENSG_IlEEPmS8_NS6_8equal_toIaEEEE10hipError_tPvRmT2_T3_mT4_T5_T6_T7_T8_P12ihipStream_tbENKUlT_T0_E_clISt17integral_constantIbLb0EES12_IbLb1EEEEDaSY_SZ_EUlSY_E_NS1_11comp_targetILNS1_3genE10ELNS1_11target_archE1201ELNS1_3gpuE5ELNS1_3repE0EEENS1_30default_config_static_selectorELNS0_4arch9wavefront6targetE1EEEvT1_.numbered_sgpr, 0
	.set _ZN7rocprim17ROCPRIM_400000_NS6detail17trampoline_kernelINS0_14default_configENS1_29reduce_by_key_config_selectorIalN6thrust23THRUST_200600_302600_NS4plusIlEEEEZZNS1_33reduce_by_key_impl_wrapped_configILNS1_25lookback_scan_determinismE0ES3_S9_PaNS6_17constant_iteratorIiNS6_11use_defaultESE_EENS6_10device_ptrIaEENSG_IlEEPmS8_NS6_8equal_toIaEEEE10hipError_tPvRmT2_T3_mT4_T5_T6_T7_T8_P12ihipStream_tbENKUlT_T0_E_clISt17integral_constantIbLb0EES12_IbLb1EEEEDaSY_SZ_EUlSY_E_NS1_11comp_targetILNS1_3genE10ELNS1_11target_archE1201ELNS1_3gpuE5ELNS1_3repE0EEENS1_30default_config_static_selectorELNS0_4arch9wavefront6targetE1EEEvT1_.num_named_barrier, 0
	.set _ZN7rocprim17ROCPRIM_400000_NS6detail17trampoline_kernelINS0_14default_configENS1_29reduce_by_key_config_selectorIalN6thrust23THRUST_200600_302600_NS4plusIlEEEEZZNS1_33reduce_by_key_impl_wrapped_configILNS1_25lookback_scan_determinismE0ES3_S9_PaNS6_17constant_iteratorIiNS6_11use_defaultESE_EENS6_10device_ptrIaEENSG_IlEEPmS8_NS6_8equal_toIaEEEE10hipError_tPvRmT2_T3_mT4_T5_T6_T7_T8_P12ihipStream_tbENKUlT_T0_E_clISt17integral_constantIbLb0EES12_IbLb1EEEEDaSY_SZ_EUlSY_E_NS1_11comp_targetILNS1_3genE10ELNS1_11target_archE1201ELNS1_3gpuE5ELNS1_3repE0EEENS1_30default_config_static_selectorELNS0_4arch9wavefront6targetE1EEEvT1_.private_seg_size, 0
	.set _ZN7rocprim17ROCPRIM_400000_NS6detail17trampoline_kernelINS0_14default_configENS1_29reduce_by_key_config_selectorIalN6thrust23THRUST_200600_302600_NS4plusIlEEEEZZNS1_33reduce_by_key_impl_wrapped_configILNS1_25lookback_scan_determinismE0ES3_S9_PaNS6_17constant_iteratorIiNS6_11use_defaultESE_EENS6_10device_ptrIaEENSG_IlEEPmS8_NS6_8equal_toIaEEEE10hipError_tPvRmT2_T3_mT4_T5_T6_T7_T8_P12ihipStream_tbENKUlT_T0_E_clISt17integral_constantIbLb0EES12_IbLb1EEEEDaSY_SZ_EUlSY_E_NS1_11comp_targetILNS1_3genE10ELNS1_11target_archE1201ELNS1_3gpuE5ELNS1_3repE0EEENS1_30default_config_static_selectorELNS0_4arch9wavefront6targetE1EEEvT1_.uses_vcc, 0
	.set _ZN7rocprim17ROCPRIM_400000_NS6detail17trampoline_kernelINS0_14default_configENS1_29reduce_by_key_config_selectorIalN6thrust23THRUST_200600_302600_NS4plusIlEEEEZZNS1_33reduce_by_key_impl_wrapped_configILNS1_25lookback_scan_determinismE0ES3_S9_PaNS6_17constant_iteratorIiNS6_11use_defaultESE_EENS6_10device_ptrIaEENSG_IlEEPmS8_NS6_8equal_toIaEEEE10hipError_tPvRmT2_T3_mT4_T5_T6_T7_T8_P12ihipStream_tbENKUlT_T0_E_clISt17integral_constantIbLb0EES12_IbLb1EEEEDaSY_SZ_EUlSY_E_NS1_11comp_targetILNS1_3genE10ELNS1_11target_archE1201ELNS1_3gpuE5ELNS1_3repE0EEENS1_30default_config_static_selectorELNS0_4arch9wavefront6targetE1EEEvT1_.uses_flat_scratch, 0
	.set _ZN7rocprim17ROCPRIM_400000_NS6detail17trampoline_kernelINS0_14default_configENS1_29reduce_by_key_config_selectorIalN6thrust23THRUST_200600_302600_NS4plusIlEEEEZZNS1_33reduce_by_key_impl_wrapped_configILNS1_25lookback_scan_determinismE0ES3_S9_PaNS6_17constant_iteratorIiNS6_11use_defaultESE_EENS6_10device_ptrIaEENSG_IlEEPmS8_NS6_8equal_toIaEEEE10hipError_tPvRmT2_T3_mT4_T5_T6_T7_T8_P12ihipStream_tbENKUlT_T0_E_clISt17integral_constantIbLb0EES12_IbLb1EEEEDaSY_SZ_EUlSY_E_NS1_11comp_targetILNS1_3genE10ELNS1_11target_archE1201ELNS1_3gpuE5ELNS1_3repE0EEENS1_30default_config_static_selectorELNS0_4arch9wavefront6targetE1EEEvT1_.has_dyn_sized_stack, 0
	.set _ZN7rocprim17ROCPRIM_400000_NS6detail17trampoline_kernelINS0_14default_configENS1_29reduce_by_key_config_selectorIalN6thrust23THRUST_200600_302600_NS4plusIlEEEEZZNS1_33reduce_by_key_impl_wrapped_configILNS1_25lookback_scan_determinismE0ES3_S9_PaNS6_17constant_iteratorIiNS6_11use_defaultESE_EENS6_10device_ptrIaEENSG_IlEEPmS8_NS6_8equal_toIaEEEE10hipError_tPvRmT2_T3_mT4_T5_T6_T7_T8_P12ihipStream_tbENKUlT_T0_E_clISt17integral_constantIbLb0EES12_IbLb1EEEEDaSY_SZ_EUlSY_E_NS1_11comp_targetILNS1_3genE10ELNS1_11target_archE1201ELNS1_3gpuE5ELNS1_3repE0EEENS1_30default_config_static_selectorELNS0_4arch9wavefront6targetE1EEEvT1_.has_recursion, 0
	.set _ZN7rocprim17ROCPRIM_400000_NS6detail17trampoline_kernelINS0_14default_configENS1_29reduce_by_key_config_selectorIalN6thrust23THRUST_200600_302600_NS4plusIlEEEEZZNS1_33reduce_by_key_impl_wrapped_configILNS1_25lookback_scan_determinismE0ES3_S9_PaNS6_17constant_iteratorIiNS6_11use_defaultESE_EENS6_10device_ptrIaEENSG_IlEEPmS8_NS6_8equal_toIaEEEE10hipError_tPvRmT2_T3_mT4_T5_T6_T7_T8_P12ihipStream_tbENKUlT_T0_E_clISt17integral_constantIbLb0EES12_IbLb1EEEEDaSY_SZ_EUlSY_E_NS1_11comp_targetILNS1_3genE10ELNS1_11target_archE1201ELNS1_3gpuE5ELNS1_3repE0EEENS1_30default_config_static_selectorELNS0_4arch9wavefront6targetE1EEEvT1_.has_indirect_call, 0
	.section	.AMDGPU.csdata,"",@progbits
; Kernel info:
; codeLenInByte = 0
; TotalNumSgprs: 4
; NumVgprs: 0
; ScratchSize: 0
; MemoryBound: 0
; FloatMode: 240
; IeeeMode: 1
; LDSByteSize: 0 bytes/workgroup (compile time only)
; SGPRBlocks: 0
; VGPRBlocks: 0
; NumSGPRsForWavesPerEU: 4
; NumVGPRsForWavesPerEU: 1
; Occupancy: 10
; WaveLimiterHint : 0
; COMPUTE_PGM_RSRC2:SCRATCH_EN: 0
; COMPUTE_PGM_RSRC2:USER_SGPR: 6
; COMPUTE_PGM_RSRC2:TRAP_HANDLER: 0
; COMPUTE_PGM_RSRC2:TGID_X_EN: 1
; COMPUTE_PGM_RSRC2:TGID_Y_EN: 0
; COMPUTE_PGM_RSRC2:TGID_Z_EN: 0
; COMPUTE_PGM_RSRC2:TIDIG_COMP_CNT: 0
	.section	.text._ZN7rocprim17ROCPRIM_400000_NS6detail17trampoline_kernelINS0_14default_configENS1_29reduce_by_key_config_selectorIalN6thrust23THRUST_200600_302600_NS4plusIlEEEEZZNS1_33reduce_by_key_impl_wrapped_configILNS1_25lookback_scan_determinismE0ES3_S9_PaNS6_17constant_iteratorIiNS6_11use_defaultESE_EENS6_10device_ptrIaEENSG_IlEEPmS8_NS6_8equal_toIaEEEE10hipError_tPvRmT2_T3_mT4_T5_T6_T7_T8_P12ihipStream_tbENKUlT_T0_E_clISt17integral_constantIbLb0EES12_IbLb1EEEEDaSY_SZ_EUlSY_E_NS1_11comp_targetILNS1_3genE10ELNS1_11target_archE1200ELNS1_3gpuE4ELNS1_3repE0EEENS1_30default_config_static_selectorELNS0_4arch9wavefront6targetE1EEEvT1_,"axG",@progbits,_ZN7rocprim17ROCPRIM_400000_NS6detail17trampoline_kernelINS0_14default_configENS1_29reduce_by_key_config_selectorIalN6thrust23THRUST_200600_302600_NS4plusIlEEEEZZNS1_33reduce_by_key_impl_wrapped_configILNS1_25lookback_scan_determinismE0ES3_S9_PaNS6_17constant_iteratorIiNS6_11use_defaultESE_EENS6_10device_ptrIaEENSG_IlEEPmS8_NS6_8equal_toIaEEEE10hipError_tPvRmT2_T3_mT4_T5_T6_T7_T8_P12ihipStream_tbENKUlT_T0_E_clISt17integral_constantIbLb0EES12_IbLb1EEEEDaSY_SZ_EUlSY_E_NS1_11comp_targetILNS1_3genE10ELNS1_11target_archE1200ELNS1_3gpuE4ELNS1_3repE0EEENS1_30default_config_static_selectorELNS0_4arch9wavefront6targetE1EEEvT1_,comdat
	.protected	_ZN7rocprim17ROCPRIM_400000_NS6detail17trampoline_kernelINS0_14default_configENS1_29reduce_by_key_config_selectorIalN6thrust23THRUST_200600_302600_NS4plusIlEEEEZZNS1_33reduce_by_key_impl_wrapped_configILNS1_25lookback_scan_determinismE0ES3_S9_PaNS6_17constant_iteratorIiNS6_11use_defaultESE_EENS6_10device_ptrIaEENSG_IlEEPmS8_NS6_8equal_toIaEEEE10hipError_tPvRmT2_T3_mT4_T5_T6_T7_T8_P12ihipStream_tbENKUlT_T0_E_clISt17integral_constantIbLb0EES12_IbLb1EEEEDaSY_SZ_EUlSY_E_NS1_11comp_targetILNS1_3genE10ELNS1_11target_archE1200ELNS1_3gpuE4ELNS1_3repE0EEENS1_30default_config_static_selectorELNS0_4arch9wavefront6targetE1EEEvT1_ ; -- Begin function _ZN7rocprim17ROCPRIM_400000_NS6detail17trampoline_kernelINS0_14default_configENS1_29reduce_by_key_config_selectorIalN6thrust23THRUST_200600_302600_NS4plusIlEEEEZZNS1_33reduce_by_key_impl_wrapped_configILNS1_25lookback_scan_determinismE0ES3_S9_PaNS6_17constant_iteratorIiNS6_11use_defaultESE_EENS6_10device_ptrIaEENSG_IlEEPmS8_NS6_8equal_toIaEEEE10hipError_tPvRmT2_T3_mT4_T5_T6_T7_T8_P12ihipStream_tbENKUlT_T0_E_clISt17integral_constantIbLb0EES12_IbLb1EEEEDaSY_SZ_EUlSY_E_NS1_11comp_targetILNS1_3genE10ELNS1_11target_archE1200ELNS1_3gpuE4ELNS1_3repE0EEENS1_30default_config_static_selectorELNS0_4arch9wavefront6targetE1EEEvT1_
	.globl	_ZN7rocprim17ROCPRIM_400000_NS6detail17trampoline_kernelINS0_14default_configENS1_29reduce_by_key_config_selectorIalN6thrust23THRUST_200600_302600_NS4plusIlEEEEZZNS1_33reduce_by_key_impl_wrapped_configILNS1_25lookback_scan_determinismE0ES3_S9_PaNS6_17constant_iteratorIiNS6_11use_defaultESE_EENS6_10device_ptrIaEENSG_IlEEPmS8_NS6_8equal_toIaEEEE10hipError_tPvRmT2_T3_mT4_T5_T6_T7_T8_P12ihipStream_tbENKUlT_T0_E_clISt17integral_constantIbLb0EES12_IbLb1EEEEDaSY_SZ_EUlSY_E_NS1_11comp_targetILNS1_3genE10ELNS1_11target_archE1200ELNS1_3gpuE4ELNS1_3repE0EEENS1_30default_config_static_selectorELNS0_4arch9wavefront6targetE1EEEvT1_
	.p2align	8
	.type	_ZN7rocprim17ROCPRIM_400000_NS6detail17trampoline_kernelINS0_14default_configENS1_29reduce_by_key_config_selectorIalN6thrust23THRUST_200600_302600_NS4plusIlEEEEZZNS1_33reduce_by_key_impl_wrapped_configILNS1_25lookback_scan_determinismE0ES3_S9_PaNS6_17constant_iteratorIiNS6_11use_defaultESE_EENS6_10device_ptrIaEENSG_IlEEPmS8_NS6_8equal_toIaEEEE10hipError_tPvRmT2_T3_mT4_T5_T6_T7_T8_P12ihipStream_tbENKUlT_T0_E_clISt17integral_constantIbLb0EES12_IbLb1EEEEDaSY_SZ_EUlSY_E_NS1_11comp_targetILNS1_3genE10ELNS1_11target_archE1200ELNS1_3gpuE4ELNS1_3repE0EEENS1_30default_config_static_selectorELNS0_4arch9wavefront6targetE1EEEvT1_,@function
_ZN7rocprim17ROCPRIM_400000_NS6detail17trampoline_kernelINS0_14default_configENS1_29reduce_by_key_config_selectorIalN6thrust23THRUST_200600_302600_NS4plusIlEEEEZZNS1_33reduce_by_key_impl_wrapped_configILNS1_25lookback_scan_determinismE0ES3_S9_PaNS6_17constant_iteratorIiNS6_11use_defaultESE_EENS6_10device_ptrIaEENSG_IlEEPmS8_NS6_8equal_toIaEEEE10hipError_tPvRmT2_T3_mT4_T5_T6_T7_T8_P12ihipStream_tbENKUlT_T0_E_clISt17integral_constantIbLb0EES12_IbLb1EEEEDaSY_SZ_EUlSY_E_NS1_11comp_targetILNS1_3genE10ELNS1_11target_archE1200ELNS1_3gpuE4ELNS1_3repE0EEENS1_30default_config_static_selectorELNS0_4arch9wavefront6targetE1EEEvT1_: ; @_ZN7rocprim17ROCPRIM_400000_NS6detail17trampoline_kernelINS0_14default_configENS1_29reduce_by_key_config_selectorIalN6thrust23THRUST_200600_302600_NS4plusIlEEEEZZNS1_33reduce_by_key_impl_wrapped_configILNS1_25lookback_scan_determinismE0ES3_S9_PaNS6_17constant_iteratorIiNS6_11use_defaultESE_EENS6_10device_ptrIaEENSG_IlEEPmS8_NS6_8equal_toIaEEEE10hipError_tPvRmT2_T3_mT4_T5_T6_T7_T8_P12ihipStream_tbENKUlT_T0_E_clISt17integral_constantIbLb0EES12_IbLb1EEEEDaSY_SZ_EUlSY_E_NS1_11comp_targetILNS1_3genE10ELNS1_11target_archE1200ELNS1_3gpuE4ELNS1_3repE0EEENS1_30default_config_static_selectorELNS0_4arch9wavefront6targetE1EEEvT1_
; %bb.0:
	.section	.rodata,"a",@progbits
	.p2align	6, 0x0
	.amdhsa_kernel _ZN7rocprim17ROCPRIM_400000_NS6detail17trampoline_kernelINS0_14default_configENS1_29reduce_by_key_config_selectorIalN6thrust23THRUST_200600_302600_NS4plusIlEEEEZZNS1_33reduce_by_key_impl_wrapped_configILNS1_25lookback_scan_determinismE0ES3_S9_PaNS6_17constant_iteratorIiNS6_11use_defaultESE_EENS6_10device_ptrIaEENSG_IlEEPmS8_NS6_8equal_toIaEEEE10hipError_tPvRmT2_T3_mT4_T5_T6_T7_T8_P12ihipStream_tbENKUlT_T0_E_clISt17integral_constantIbLb0EES12_IbLb1EEEEDaSY_SZ_EUlSY_E_NS1_11comp_targetILNS1_3genE10ELNS1_11target_archE1200ELNS1_3gpuE4ELNS1_3repE0EEENS1_30default_config_static_selectorELNS0_4arch9wavefront6targetE1EEEvT1_
		.amdhsa_group_segment_fixed_size 0
		.amdhsa_private_segment_fixed_size 0
		.amdhsa_kernarg_size 144
		.amdhsa_user_sgpr_count 6
		.amdhsa_user_sgpr_private_segment_buffer 1
		.amdhsa_user_sgpr_dispatch_ptr 0
		.amdhsa_user_sgpr_queue_ptr 0
		.amdhsa_user_sgpr_kernarg_segment_ptr 1
		.amdhsa_user_sgpr_dispatch_id 0
		.amdhsa_user_sgpr_flat_scratch_init 0
		.amdhsa_user_sgpr_private_segment_size 0
		.amdhsa_uses_dynamic_stack 0
		.amdhsa_system_sgpr_private_segment_wavefront_offset 0
		.amdhsa_system_sgpr_workgroup_id_x 1
		.amdhsa_system_sgpr_workgroup_id_y 0
		.amdhsa_system_sgpr_workgroup_id_z 0
		.amdhsa_system_sgpr_workgroup_info 0
		.amdhsa_system_vgpr_workitem_id 0
		.amdhsa_next_free_vgpr 1
		.amdhsa_next_free_sgpr 0
		.amdhsa_reserve_vcc 0
		.amdhsa_reserve_flat_scratch 0
		.amdhsa_float_round_mode_32 0
		.amdhsa_float_round_mode_16_64 0
		.amdhsa_float_denorm_mode_32 3
		.amdhsa_float_denorm_mode_16_64 3
		.amdhsa_dx10_clamp 1
		.amdhsa_ieee_mode 1
		.amdhsa_fp16_overflow 0
		.amdhsa_exception_fp_ieee_invalid_op 0
		.amdhsa_exception_fp_denorm_src 0
		.amdhsa_exception_fp_ieee_div_zero 0
		.amdhsa_exception_fp_ieee_overflow 0
		.amdhsa_exception_fp_ieee_underflow 0
		.amdhsa_exception_fp_ieee_inexact 0
		.amdhsa_exception_int_div_zero 0
	.end_amdhsa_kernel
	.section	.text._ZN7rocprim17ROCPRIM_400000_NS6detail17trampoline_kernelINS0_14default_configENS1_29reduce_by_key_config_selectorIalN6thrust23THRUST_200600_302600_NS4plusIlEEEEZZNS1_33reduce_by_key_impl_wrapped_configILNS1_25lookback_scan_determinismE0ES3_S9_PaNS6_17constant_iteratorIiNS6_11use_defaultESE_EENS6_10device_ptrIaEENSG_IlEEPmS8_NS6_8equal_toIaEEEE10hipError_tPvRmT2_T3_mT4_T5_T6_T7_T8_P12ihipStream_tbENKUlT_T0_E_clISt17integral_constantIbLb0EES12_IbLb1EEEEDaSY_SZ_EUlSY_E_NS1_11comp_targetILNS1_3genE10ELNS1_11target_archE1200ELNS1_3gpuE4ELNS1_3repE0EEENS1_30default_config_static_selectorELNS0_4arch9wavefront6targetE1EEEvT1_,"axG",@progbits,_ZN7rocprim17ROCPRIM_400000_NS6detail17trampoline_kernelINS0_14default_configENS1_29reduce_by_key_config_selectorIalN6thrust23THRUST_200600_302600_NS4plusIlEEEEZZNS1_33reduce_by_key_impl_wrapped_configILNS1_25lookback_scan_determinismE0ES3_S9_PaNS6_17constant_iteratorIiNS6_11use_defaultESE_EENS6_10device_ptrIaEENSG_IlEEPmS8_NS6_8equal_toIaEEEE10hipError_tPvRmT2_T3_mT4_T5_T6_T7_T8_P12ihipStream_tbENKUlT_T0_E_clISt17integral_constantIbLb0EES12_IbLb1EEEEDaSY_SZ_EUlSY_E_NS1_11comp_targetILNS1_3genE10ELNS1_11target_archE1200ELNS1_3gpuE4ELNS1_3repE0EEENS1_30default_config_static_selectorELNS0_4arch9wavefront6targetE1EEEvT1_,comdat
.Lfunc_end705:
	.size	_ZN7rocprim17ROCPRIM_400000_NS6detail17trampoline_kernelINS0_14default_configENS1_29reduce_by_key_config_selectorIalN6thrust23THRUST_200600_302600_NS4plusIlEEEEZZNS1_33reduce_by_key_impl_wrapped_configILNS1_25lookback_scan_determinismE0ES3_S9_PaNS6_17constant_iteratorIiNS6_11use_defaultESE_EENS6_10device_ptrIaEENSG_IlEEPmS8_NS6_8equal_toIaEEEE10hipError_tPvRmT2_T3_mT4_T5_T6_T7_T8_P12ihipStream_tbENKUlT_T0_E_clISt17integral_constantIbLb0EES12_IbLb1EEEEDaSY_SZ_EUlSY_E_NS1_11comp_targetILNS1_3genE10ELNS1_11target_archE1200ELNS1_3gpuE4ELNS1_3repE0EEENS1_30default_config_static_selectorELNS0_4arch9wavefront6targetE1EEEvT1_, .Lfunc_end705-_ZN7rocprim17ROCPRIM_400000_NS6detail17trampoline_kernelINS0_14default_configENS1_29reduce_by_key_config_selectorIalN6thrust23THRUST_200600_302600_NS4plusIlEEEEZZNS1_33reduce_by_key_impl_wrapped_configILNS1_25lookback_scan_determinismE0ES3_S9_PaNS6_17constant_iteratorIiNS6_11use_defaultESE_EENS6_10device_ptrIaEENSG_IlEEPmS8_NS6_8equal_toIaEEEE10hipError_tPvRmT2_T3_mT4_T5_T6_T7_T8_P12ihipStream_tbENKUlT_T0_E_clISt17integral_constantIbLb0EES12_IbLb1EEEEDaSY_SZ_EUlSY_E_NS1_11comp_targetILNS1_3genE10ELNS1_11target_archE1200ELNS1_3gpuE4ELNS1_3repE0EEENS1_30default_config_static_selectorELNS0_4arch9wavefront6targetE1EEEvT1_
                                        ; -- End function
	.set _ZN7rocprim17ROCPRIM_400000_NS6detail17trampoline_kernelINS0_14default_configENS1_29reduce_by_key_config_selectorIalN6thrust23THRUST_200600_302600_NS4plusIlEEEEZZNS1_33reduce_by_key_impl_wrapped_configILNS1_25lookback_scan_determinismE0ES3_S9_PaNS6_17constant_iteratorIiNS6_11use_defaultESE_EENS6_10device_ptrIaEENSG_IlEEPmS8_NS6_8equal_toIaEEEE10hipError_tPvRmT2_T3_mT4_T5_T6_T7_T8_P12ihipStream_tbENKUlT_T0_E_clISt17integral_constantIbLb0EES12_IbLb1EEEEDaSY_SZ_EUlSY_E_NS1_11comp_targetILNS1_3genE10ELNS1_11target_archE1200ELNS1_3gpuE4ELNS1_3repE0EEENS1_30default_config_static_selectorELNS0_4arch9wavefront6targetE1EEEvT1_.num_vgpr, 0
	.set _ZN7rocprim17ROCPRIM_400000_NS6detail17trampoline_kernelINS0_14default_configENS1_29reduce_by_key_config_selectorIalN6thrust23THRUST_200600_302600_NS4plusIlEEEEZZNS1_33reduce_by_key_impl_wrapped_configILNS1_25lookback_scan_determinismE0ES3_S9_PaNS6_17constant_iteratorIiNS6_11use_defaultESE_EENS6_10device_ptrIaEENSG_IlEEPmS8_NS6_8equal_toIaEEEE10hipError_tPvRmT2_T3_mT4_T5_T6_T7_T8_P12ihipStream_tbENKUlT_T0_E_clISt17integral_constantIbLb0EES12_IbLb1EEEEDaSY_SZ_EUlSY_E_NS1_11comp_targetILNS1_3genE10ELNS1_11target_archE1200ELNS1_3gpuE4ELNS1_3repE0EEENS1_30default_config_static_selectorELNS0_4arch9wavefront6targetE1EEEvT1_.num_agpr, 0
	.set _ZN7rocprim17ROCPRIM_400000_NS6detail17trampoline_kernelINS0_14default_configENS1_29reduce_by_key_config_selectorIalN6thrust23THRUST_200600_302600_NS4plusIlEEEEZZNS1_33reduce_by_key_impl_wrapped_configILNS1_25lookback_scan_determinismE0ES3_S9_PaNS6_17constant_iteratorIiNS6_11use_defaultESE_EENS6_10device_ptrIaEENSG_IlEEPmS8_NS6_8equal_toIaEEEE10hipError_tPvRmT2_T3_mT4_T5_T6_T7_T8_P12ihipStream_tbENKUlT_T0_E_clISt17integral_constantIbLb0EES12_IbLb1EEEEDaSY_SZ_EUlSY_E_NS1_11comp_targetILNS1_3genE10ELNS1_11target_archE1200ELNS1_3gpuE4ELNS1_3repE0EEENS1_30default_config_static_selectorELNS0_4arch9wavefront6targetE1EEEvT1_.numbered_sgpr, 0
	.set _ZN7rocprim17ROCPRIM_400000_NS6detail17trampoline_kernelINS0_14default_configENS1_29reduce_by_key_config_selectorIalN6thrust23THRUST_200600_302600_NS4plusIlEEEEZZNS1_33reduce_by_key_impl_wrapped_configILNS1_25lookback_scan_determinismE0ES3_S9_PaNS6_17constant_iteratorIiNS6_11use_defaultESE_EENS6_10device_ptrIaEENSG_IlEEPmS8_NS6_8equal_toIaEEEE10hipError_tPvRmT2_T3_mT4_T5_T6_T7_T8_P12ihipStream_tbENKUlT_T0_E_clISt17integral_constantIbLb0EES12_IbLb1EEEEDaSY_SZ_EUlSY_E_NS1_11comp_targetILNS1_3genE10ELNS1_11target_archE1200ELNS1_3gpuE4ELNS1_3repE0EEENS1_30default_config_static_selectorELNS0_4arch9wavefront6targetE1EEEvT1_.num_named_barrier, 0
	.set _ZN7rocprim17ROCPRIM_400000_NS6detail17trampoline_kernelINS0_14default_configENS1_29reduce_by_key_config_selectorIalN6thrust23THRUST_200600_302600_NS4plusIlEEEEZZNS1_33reduce_by_key_impl_wrapped_configILNS1_25lookback_scan_determinismE0ES3_S9_PaNS6_17constant_iteratorIiNS6_11use_defaultESE_EENS6_10device_ptrIaEENSG_IlEEPmS8_NS6_8equal_toIaEEEE10hipError_tPvRmT2_T3_mT4_T5_T6_T7_T8_P12ihipStream_tbENKUlT_T0_E_clISt17integral_constantIbLb0EES12_IbLb1EEEEDaSY_SZ_EUlSY_E_NS1_11comp_targetILNS1_3genE10ELNS1_11target_archE1200ELNS1_3gpuE4ELNS1_3repE0EEENS1_30default_config_static_selectorELNS0_4arch9wavefront6targetE1EEEvT1_.private_seg_size, 0
	.set _ZN7rocprim17ROCPRIM_400000_NS6detail17trampoline_kernelINS0_14default_configENS1_29reduce_by_key_config_selectorIalN6thrust23THRUST_200600_302600_NS4plusIlEEEEZZNS1_33reduce_by_key_impl_wrapped_configILNS1_25lookback_scan_determinismE0ES3_S9_PaNS6_17constant_iteratorIiNS6_11use_defaultESE_EENS6_10device_ptrIaEENSG_IlEEPmS8_NS6_8equal_toIaEEEE10hipError_tPvRmT2_T3_mT4_T5_T6_T7_T8_P12ihipStream_tbENKUlT_T0_E_clISt17integral_constantIbLb0EES12_IbLb1EEEEDaSY_SZ_EUlSY_E_NS1_11comp_targetILNS1_3genE10ELNS1_11target_archE1200ELNS1_3gpuE4ELNS1_3repE0EEENS1_30default_config_static_selectorELNS0_4arch9wavefront6targetE1EEEvT1_.uses_vcc, 0
	.set _ZN7rocprim17ROCPRIM_400000_NS6detail17trampoline_kernelINS0_14default_configENS1_29reduce_by_key_config_selectorIalN6thrust23THRUST_200600_302600_NS4plusIlEEEEZZNS1_33reduce_by_key_impl_wrapped_configILNS1_25lookback_scan_determinismE0ES3_S9_PaNS6_17constant_iteratorIiNS6_11use_defaultESE_EENS6_10device_ptrIaEENSG_IlEEPmS8_NS6_8equal_toIaEEEE10hipError_tPvRmT2_T3_mT4_T5_T6_T7_T8_P12ihipStream_tbENKUlT_T0_E_clISt17integral_constantIbLb0EES12_IbLb1EEEEDaSY_SZ_EUlSY_E_NS1_11comp_targetILNS1_3genE10ELNS1_11target_archE1200ELNS1_3gpuE4ELNS1_3repE0EEENS1_30default_config_static_selectorELNS0_4arch9wavefront6targetE1EEEvT1_.uses_flat_scratch, 0
	.set _ZN7rocprim17ROCPRIM_400000_NS6detail17trampoline_kernelINS0_14default_configENS1_29reduce_by_key_config_selectorIalN6thrust23THRUST_200600_302600_NS4plusIlEEEEZZNS1_33reduce_by_key_impl_wrapped_configILNS1_25lookback_scan_determinismE0ES3_S9_PaNS6_17constant_iteratorIiNS6_11use_defaultESE_EENS6_10device_ptrIaEENSG_IlEEPmS8_NS6_8equal_toIaEEEE10hipError_tPvRmT2_T3_mT4_T5_T6_T7_T8_P12ihipStream_tbENKUlT_T0_E_clISt17integral_constantIbLb0EES12_IbLb1EEEEDaSY_SZ_EUlSY_E_NS1_11comp_targetILNS1_3genE10ELNS1_11target_archE1200ELNS1_3gpuE4ELNS1_3repE0EEENS1_30default_config_static_selectorELNS0_4arch9wavefront6targetE1EEEvT1_.has_dyn_sized_stack, 0
	.set _ZN7rocprim17ROCPRIM_400000_NS6detail17trampoline_kernelINS0_14default_configENS1_29reduce_by_key_config_selectorIalN6thrust23THRUST_200600_302600_NS4plusIlEEEEZZNS1_33reduce_by_key_impl_wrapped_configILNS1_25lookback_scan_determinismE0ES3_S9_PaNS6_17constant_iteratorIiNS6_11use_defaultESE_EENS6_10device_ptrIaEENSG_IlEEPmS8_NS6_8equal_toIaEEEE10hipError_tPvRmT2_T3_mT4_T5_T6_T7_T8_P12ihipStream_tbENKUlT_T0_E_clISt17integral_constantIbLb0EES12_IbLb1EEEEDaSY_SZ_EUlSY_E_NS1_11comp_targetILNS1_3genE10ELNS1_11target_archE1200ELNS1_3gpuE4ELNS1_3repE0EEENS1_30default_config_static_selectorELNS0_4arch9wavefront6targetE1EEEvT1_.has_recursion, 0
	.set _ZN7rocprim17ROCPRIM_400000_NS6detail17trampoline_kernelINS0_14default_configENS1_29reduce_by_key_config_selectorIalN6thrust23THRUST_200600_302600_NS4plusIlEEEEZZNS1_33reduce_by_key_impl_wrapped_configILNS1_25lookback_scan_determinismE0ES3_S9_PaNS6_17constant_iteratorIiNS6_11use_defaultESE_EENS6_10device_ptrIaEENSG_IlEEPmS8_NS6_8equal_toIaEEEE10hipError_tPvRmT2_T3_mT4_T5_T6_T7_T8_P12ihipStream_tbENKUlT_T0_E_clISt17integral_constantIbLb0EES12_IbLb1EEEEDaSY_SZ_EUlSY_E_NS1_11comp_targetILNS1_3genE10ELNS1_11target_archE1200ELNS1_3gpuE4ELNS1_3repE0EEENS1_30default_config_static_selectorELNS0_4arch9wavefront6targetE1EEEvT1_.has_indirect_call, 0
	.section	.AMDGPU.csdata,"",@progbits
; Kernel info:
; codeLenInByte = 0
; TotalNumSgprs: 4
; NumVgprs: 0
; ScratchSize: 0
; MemoryBound: 0
; FloatMode: 240
; IeeeMode: 1
; LDSByteSize: 0 bytes/workgroup (compile time only)
; SGPRBlocks: 0
; VGPRBlocks: 0
; NumSGPRsForWavesPerEU: 4
; NumVGPRsForWavesPerEU: 1
; Occupancy: 10
; WaveLimiterHint : 0
; COMPUTE_PGM_RSRC2:SCRATCH_EN: 0
; COMPUTE_PGM_RSRC2:USER_SGPR: 6
; COMPUTE_PGM_RSRC2:TRAP_HANDLER: 0
; COMPUTE_PGM_RSRC2:TGID_X_EN: 1
; COMPUTE_PGM_RSRC2:TGID_Y_EN: 0
; COMPUTE_PGM_RSRC2:TGID_Z_EN: 0
; COMPUTE_PGM_RSRC2:TIDIG_COMP_CNT: 0
	.section	.text._ZN7rocprim17ROCPRIM_400000_NS6detail17trampoline_kernelINS0_14default_configENS1_29reduce_by_key_config_selectorIalN6thrust23THRUST_200600_302600_NS4plusIlEEEEZZNS1_33reduce_by_key_impl_wrapped_configILNS1_25lookback_scan_determinismE0ES3_S9_PaNS6_17constant_iteratorIiNS6_11use_defaultESE_EENS6_10device_ptrIaEENSG_IlEEPmS8_NS6_8equal_toIaEEEE10hipError_tPvRmT2_T3_mT4_T5_T6_T7_T8_P12ihipStream_tbENKUlT_T0_E_clISt17integral_constantIbLb0EES12_IbLb1EEEEDaSY_SZ_EUlSY_E_NS1_11comp_targetILNS1_3genE9ELNS1_11target_archE1100ELNS1_3gpuE3ELNS1_3repE0EEENS1_30default_config_static_selectorELNS0_4arch9wavefront6targetE1EEEvT1_,"axG",@progbits,_ZN7rocprim17ROCPRIM_400000_NS6detail17trampoline_kernelINS0_14default_configENS1_29reduce_by_key_config_selectorIalN6thrust23THRUST_200600_302600_NS4plusIlEEEEZZNS1_33reduce_by_key_impl_wrapped_configILNS1_25lookback_scan_determinismE0ES3_S9_PaNS6_17constant_iteratorIiNS6_11use_defaultESE_EENS6_10device_ptrIaEENSG_IlEEPmS8_NS6_8equal_toIaEEEE10hipError_tPvRmT2_T3_mT4_T5_T6_T7_T8_P12ihipStream_tbENKUlT_T0_E_clISt17integral_constantIbLb0EES12_IbLb1EEEEDaSY_SZ_EUlSY_E_NS1_11comp_targetILNS1_3genE9ELNS1_11target_archE1100ELNS1_3gpuE3ELNS1_3repE0EEENS1_30default_config_static_selectorELNS0_4arch9wavefront6targetE1EEEvT1_,comdat
	.protected	_ZN7rocprim17ROCPRIM_400000_NS6detail17trampoline_kernelINS0_14default_configENS1_29reduce_by_key_config_selectorIalN6thrust23THRUST_200600_302600_NS4plusIlEEEEZZNS1_33reduce_by_key_impl_wrapped_configILNS1_25lookback_scan_determinismE0ES3_S9_PaNS6_17constant_iteratorIiNS6_11use_defaultESE_EENS6_10device_ptrIaEENSG_IlEEPmS8_NS6_8equal_toIaEEEE10hipError_tPvRmT2_T3_mT4_T5_T6_T7_T8_P12ihipStream_tbENKUlT_T0_E_clISt17integral_constantIbLb0EES12_IbLb1EEEEDaSY_SZ_EUlSY_E_NS1_11comp_targetILNS1_3genE9ELNS1_11target_archE1100ELNS1_3gpuE3ELNS1_3repE0EEENS1_30default_config_static_selectorELNS0_4arch9wavefront6targetE1EEEvT1_ ; -- Begin function _ZN7rocprim17ROCPRIM_400000_NS6detail17trampoline_kernelINS0_14default_configENS1_29reduce_by_key_config_selectorIalN6thrust23THRUST_200600_302600_NS4plusIlEEEEZZNS1_33reduce_by_key_impl_wrapped_configILNS1_25lookback_scan_determinismE0ES3_S9_PaNS6_17constant_iteratorIiNS6_11use_defaultESE_EENS6_10device_ptrIaEENSG_IlEEPmS8_NS6_8equal_toIaEEEE10hipError_tPvRmT2_T3_mT4_T5_T6_T7_T8_P12ihipStream_tbENKUlT_T0_E_clISt17integral_constantIbLb0EES12_IbLb1EEEEDaSY_SZ_EUlSY_E_NS1_11comp_targetILNS1_3genE9ELNS1_11target_archE1100ELNS1_3gpuE3ELNS1_3repE0EEENS1_30default_config_static_selectorELNS0_4arch9wavefront6targetE1EEEvT1_
	.globl	_ZN7rocprim17ROCPRIM_400000_NS6detail17trampoline_kernelINS0_14default_configENS1_29reduce_by_key_config_selectorIalN6thrust23THRUST_200600_302600_NS4plusIlEEEEZZNS1_33reduce_by_key_impl_wrapped_configILNS1_25lookback_scan_determinismE0ES3_S9_PaNS6_17constant_iteratorIiNS6_11use_defaultESE_EENS6_10device_ptrIaEENSG_IlEEPmS8_NS6_8equal_toIaEEEE10hipError_tPvRmT2_T3_mT4_T5_T6_T7_T8_P12ihipStream_tbENKUlT_T0_E_clISt17integral_constantIbLb0EES12_IbLb1EEEEDaSY_SZ_EUlSY_E_NS1_11comp_targetILNS1_3genE9ELNS1_11target_archE1100ELNS1_3gpuE3ELNS1_3repE0EEENS1_30default_config_static_selectorELNS0_4arch9wavefront6targetE1EEEvT1_
	.p2align	8
	.type	_ZN7rocprim17ROCPRIM_400000_NS6detail17trampoline_kernelINS0_14default_configENS1_29reduce_by_key_config_selectorIalN6thrust23THRUST_200600_302600_NS4plusIlEEEEZZNS1_33reduce_by_key_impl_wrapped_configILNS1_25lookback_scan_determinismE0ES3_S9_PaNS6_17constant_iteratorIiNS6_11use_defaultESE_EENS6_10device_ptrIaEENSG_IlEEPmS8_NS6_8equal_toIaEEEE10hipError_tPvRmT2_T3_mT4_T5_T6_T7_T8_P12ihipStream_tbENKUlT_T0_E_clISt17integral_constantIbLb0EES12_IbLb1EEEEDaSY_SZ_EUlSY_E_NS1_11comp_targetILNS1_3genE9ELNS1_11target_archE1100ELNS1_3gpuE3ELNS1_3repE0EEENS1_30default_config_static_selectorELNS0_4arch9wavefront6targetE1EEEvT1_,@function
_ZN7rocprim17ROCPRIM_400000_NS6detail17trampoline_kernelINS0_14default_configENS1_29reduce_by_key_config_selectorIalN6thrust23THRUST_200600_302600_NS4plusIlEEEEZZNS1_33reduce_by_key_impl_wrapped_configILNS1_25lookback_scan_determinismE0ES3_S9_PaNS6_17constant_iteratorIiNS6_11use_defaultESE_EENS6_10device_ptrIaEENSG_IlEEPmS8_NS6_8equal_toIaEEEE10hipError_tPvRmT2_T3_mT4_T5_T6_T7_T8_P12ihipStream_tbENKUlT_T0_E_clISt17integral_constantIbLb0EES12_IbLb1EEEEDaSY_SZ_EUlSY_E_NS1_11comp_targetILNS1_3genE9ELNS1_11target_archE1100ELNS1_3gpuE3ELNS1_3repE0EEENS1_30default_config_static_selectorELNS0_4arch9wavefront6targetE1EEEvT1_: ; @_ZN7rocprim17ROCPRIM_400000_NS6detail17trampoline_kernelINS0_14default_configENS1_29reduce_by_key_config_selectorIalN6thrust23THRUST_200600_302600_NS4plusIlEEEEZZNS1_33reduce_by_key_impl_wrapped_configILNS1_25lookback_scan_determinismE0ES3_S9_PaNS6_17constant_iteratorIiNS6_11use_defaultESE_EENS6_10device_ptrIaEENSG_IlEEPmS8_NS6_8equal_toIaEEEE10hipError_tPvRmT2_T3_mT4_T5_T6_T7_T8_P12ihipStream_tbENKUlT_T0_E_clISt17integral_constantIbLb0EES12_IbLb1EEEEDaSY_SZ_EUlSY_E_NS1_11comp_targetILNS1_3genE9ELNS1_11target_archE1100ELNS1_3gpuE3ELNS1_3repE0EEENS1_30default_config_static_selectorELNS0_4arch9wavefront6targetE1EEEvT1_
; %bb.0:
	.section	.rodata,"a",@progbits
	.p2align	6, 0x0
	.amdhsa_kernel _ZN7rocprim17ROCPRIM_400000_NS6detail17trampoline_kernelINS0_14default_configENS1_29reduce_by_key_config_selectorIalN6thrust23THRUST_200600_302600_NS4plusIlEEEEZZNS1_33reduce_by_key_impl_wrapped_configILNS1_25lookback_scan_determinismE0ES3_S9_PaNS6_17constant_iteratorIiNS6_11use_defaultESE_EENS6_10device_ptrIaEENSG_IlEEPmS8_NS6_8equal_toIaEEEE10hipError_tPvRmT2_T3_mT4_T5_T6_T7_T8_P12ihipStream_tbENKUlT_T0_E_clISt17integral_constantIbLb0EES12_IbLb1EEEEDaSY_SZ_EUlSY_E_NS1_11comp_targetILNS1_3genE9ELNS1_11target_archE1100ELNS1_3gpuE3ELNS1_3repE0EEENS1_30default_config_static_selectorELNS0_4arch9wavefront6targetE1EEEvT1_
		.amdhsa_group_segment_fixed_size 0
		.amdhsa_private_segment_fixed_size 0
		.amdhsa_kernarg_size 144
		.amdhsa_user_sgpr_count 6
		.amdhsa_user_sgpr_private_segment_buffer 1
		.amdhsa_user_sgpr_dispatch_ptr 0
		.amdhsa_user_sgpr_queue_ptr 0
		.amdhsa_user_sgpr_kernarg_segment_ptr 1
		.amdhsa_user_sgpr_dispatch_id 0
		.amdhsa_user_sgpr_flat_scratch_init 0
		.amdhsa_user_sgpr_private_segment_size 0
		.amdhsa_uses_dynamic_stack 0
		.amdhsa_system_sgpr_private_segment_wavefront_offset 0
		.amdhsa_system_sgpr_workgroup_id_x 1
		.amdhsa_system_sgpr_workgroup_id_y 0
		.amdhsa_system_sgpr_workgroup_id_z 0
		.amdhsa_system_sgpr_workgroup_info 0
		.amdhsa_system_vgpr_workitem_id 0
		.amdhsa_next_free_vgpr 1
		.amdhsa_next_free_sgpr 0
		.amdhsa_reserve_vcc 0
		.amdhsa_reserve_flat_scratch 0
		.amdhsa_float_round_mode_32 0
		.amdhsa_float_round_mode_16_64 0
		.amdhsa_float_denorm_mode_32 3
		.amdhsa_float_denorm_mode_16_64 3
		.amdhsa_dx10_clamp 1
		.amdhsa_ieee_mode 1
		.amdhsa_fp16_overflow 0
		.amdhsa_exception_fp_ieee_invalid_op 0
		.amdhsa_exception_fp_denorm_src 0
		.amdhsa_exception_fp_ieee_div_zero 0
		.amdhsa_exception_fp_ieee_overflow 0
		.amdhsa_exception_fp_ieee_underflow 0
		.amdhsa_exception_fp_ieee_inexact 0
		.amdhsa_exception_int_div_zero 0
	.end_amdhsa_kernel
	.section	.text._ZN7rocprim17ROCPRIM_400000_NS6detail17trampoline_kernelINS0_14default_configENS1_29reduce_by_key_config_selectorIalN6thrust23THRUST_200600_302600_NS4plusIlEEEEZZNS1_33reduce_by_key_impl_wrapped_configILNS1_25lookback_scan_determinismE0ES3_S9_PaNS6_17constant_iteratorIiNS6_11use_defaultESE_EENS6_10device_ptrIaEENSG_IlEEPmS8_NS6_8equal_toIaEEEE10hipError_tPvRmT2_T3_mT4_T5_T6_T7_T8_P12ihipStream_tbENKUlT_T0_E_clISt17integral_constantIbLb0EES12_IbLb1EEEEDaSY_SZ_EUlSY_E_NS1_11comp_targetILNS1_3genE9ELNS1_11target_archE1100ELNS1_3gpuE3ELNS1_3repE0EEENS1_30default_config_static_selectorELNS0_4arch9wavefront6targetE1EEEvT1_,"axG",@progbits,_ZN7rocprim17ROCPRIM_400000_NS6detail17trampoline_kernelINS0_14default_configENS1_29reduce_by_key_config_selectorIalN6thrust23THRUST_200600_302600_NS4plusIlEEEEZZNS1_33reduce_by_key_impl_wrapped_configILNS1_25lookback_scan_determinismE0ES3_S9_PaNS6_17constant_iteratorIiNS6_11use_defaultESE_EENS6_10device_ptrIaEENSG_IlEEPmS8_NS6_8equal_toIaEEEE10hipError_tPvRmT2_T3_mT4_T5_T6_T7_T8_P12ihipStream_tbENKUlT_T0_E_clISt17integral_constantIbLb0EES12_IbLb1EEEEDaSY_SZ_EUlSY_E_NS1_11comp_targetILNS1_3genE9ELNS1_11target_archE1100ELNS1_3gpuE3ELNS1_3repE0EEENS1_30default_config_static_selectorELNS0_4arch9wavefront6targetE1EEEvT1_,comdat
.Lfunc_end706:
	.size	_ZN7rocprim17ROCPRIM_400000_NS6detail17trampoline_kernelINS0_14default_configENS1_29reduce_by_key_config_selectorIalN6thrust23THRUST_200600_302600_NS4plusIlEEEEZZNS1_33reduce_by_key_impl_wrapped_configILNS1_25lookback_scan_determinismE0ES3_S9_PaNS6_17constant_iteratorIiNS6_11use_defaultESE_EENS6_10device_ptrIaEENSG_IlEEPmS8_NS6_8equal_toIaEEEE10hipError_tPvRmT2_T3_mT4_T5_T6_T7_T8_P12ihipStream_tbENKUlT_T0_E_clISt17integral_constantIbLb0EES12_IbLb1EEEEDaSY_SZ_EUlSY_E_NS1_11comp_targetILNS1_3genE9ELNS1_11target_archE1100ELNS1_3gpuE3ELNS1_3repE0EEENS1_30default_config_static_selectorELNS0_4arch9wavefront6targetE1EEEvT1_, .Lfunc_end706-_ZN7rocprim17ROCPRIM_400000_NS6detail17trampoline_kernelINS0_14default_configENS1_29reduce_by_key_config_selectorIalN6thrust23THRUST_200600_302600_NS4plusIlEEEEZZNS1_33reduce_by_key_impl_wrapped_configILNS1_25lookback_scan_determinismE0ES3_S9_PaNS6_17constant_iteratorIiNS6_11use_defaultESE_EENS6_10device_ptrIaEENSG_IlEEPmS8_NS6_8equal_toIaEEEE10hipError_tPvRmT2_T3_mT4_T5_T6_T7_T8_P12ihipStream_tbENKUlT_T0_E_clISt17integral_constantIbLb0EES12_IbLb1EEEEDaSY_SZ_EUlSY_E_NS1_11comp_targetILNS1_3genE9ELNS1_11target_archE1100ELNS1_3gpuE3ELNS1_3repE0EEENS1_30default_config_static_selectorELNS0_4arch9wavefront6targetE1EEEvT1_
                                        ; -- End function
	.set _ZN7rocprim17ROCPRIM_400000_NS6detail17trampoline_kernelINS0_14default_configENS1_29reduce_by_key_config_selectorIalN6thrust23THRUST_200600_302600_NS4plusIlEEEEZZNS1_33reduce_by_key_impl_wrapped_configILNS1_25lookback_scan_determinismE0ES3_S9_PaNS6_17constant_iteratorIiNS6_11use_defaultESE_EENS6_10device_ptrIaEENSG_IlEEPmS8_NS6_8equal_toIaEEEE10hipError_tPvRmT2_T3_mT4_T5_T6_T7_T8_P12ihipStream_tbENKUlT_T0_E_clISt17integral_constantIbLb0EES12_IbLb1EEEEDaSY_SZ_EUlSY_E_NS1_11comp_targetILNS1_3genE9ELNS1_11target_archE1100ELNS1_3gpuE3ELNS1_3repE0EEENS1_30default_config_static_selectorELNS0_4arch9wavefront6targetE1EEEvT1_.num_vgpr, 0
	.set _ZN7rocprim17ROCPRIM_400000_NS6detail17trampoline_kernelINS0_14default_configENS1_29reduce_by_key_config_selectorIalN6thrust23THRUST_200600_302600_NS4plusIlEEEEZZNS1_33reduce_by_key_impl_wrapped_configILNS1_25lookback_scan_determinismE0ES3_S9_PaNS6_17constant_iteratorIiNS6_11use_defaultESE_EENS6_10device_ptrIaEENSG_IlEEPmS8_NS6_8equal_toIaEEEE10hipError_tPvRmT2_T3_mT4_T5_T6_T7_T8_P12ihipStream_tbENKUlT_T0_E_clISt17integral_constantIbLb0EES12_IbLb1EEEEDaSY_SZ_EUlSY_E_NS1_11comp_targetILNS1_3genE9ELNS1_11target_archE1100ELNS1_3gpuE3ELNS1_3repE0EEENS1_30default_config_static_selectorELNS0_4arch9wavefront6targetE1EEEvT1_.num_agpr, 0
	.set _ZN7rocprim17ROCPRIM_400000_NS6detail17trampoline_kernelINS0_14default_configENS1_29reduce_by_key_config_selectorIalN6thrust23THRUST_200600_302600_NS4plusIlEEEEZZNS1_33reduce_by_key_impl_wrapped_configILNS1_25lookback_scan_determinismE0ES3_S9_PaNS6_17constant_iteratorIiNS6_11use_defaultESE_EENS6_10device_ptrIaEENSG_IlEEPmS8_NS6_8equal_toIaEEEE10hipError_tPvRmT2_T3_mT4_T5_T6_T7_T8_P12ihipStream_tbENKUlT_T0_E_clISt17integral_constantIbLb0EES12_IbLb1EEEEDaSY_SZ_EUlSY_E_NS1_11comp_targetILNS1_3genE9ELNS1_11target_archE1100ELNS1_3gpuE3ELNS1_3repE0EEENS1_30default_config_static_selectorELNS0_4arch9wavefront6targetE1EEEvT1_.numbered_sgpr, 0
	.set _ZN7rocprim17ROCPRIM_400000_NS6detail17trampoline_kernelINS0_14default_configENS1_29reduce_by_key_config_selectorIalN6thrust23THRUST_200600_302600_NS4plusIlEEEEZZNS1_33reduce_by_key_impl_wrapped_configILNS1_25lookback_scan_determinismE0ES3_S9_PaNS6_17constant_iteratorIiNS6_11use_defaultESE_EENS6_10device_ptrIaEENSG_IlEEPmS8_NS6_8equal_toIaEEEE10hipError_tPvRmT2_T3_mT4_T5_T6_T7_T8_P12ihipStream_tbENKUlT_T0_E_clISt17integral_constantIbLb0EES12_IbLb1EEEEDaSY_SZ_EUlSY_E_NS1_11comp_targetILNS1_3genE9ELNS1_11target_archE1100ELNS1_3gpuE3ELNS1_3repE0EEENS1_30default_config_static_selectorELNS0_4arch9wavefront6targetE1EEEvT1_.num_named_barrier, 0
	.set _ZN7rocprim17ROCPRIM_400000_NS6detail17trampoline_kernelINS0_14default_configENS1_29reduce_by_key_config_selectorIalN6thrust23THRUST_200600_302600_NS4plusIlEEEEZZNS1_33reduce_by_key_impl_wrapped_configILNS1_25lookback_scan_determinismE0ES3_S9_PaNS6_17constant_iteratorIiNS6_11use_defaultESE_EENS6_10device_ptrIaEENSG_IlEEPmS8_NS6_8equal_toIaEEEE10hipError_tPvRmT2_T3_mT4_T5_T6_T7_T8_P12ihipStream_tbENKUlT_T0_E_clISt17integral_constantIbLb0EES12_IbLb1EEEEDaSY_SZ_EUlSY_E_NS1_11comp_targetILNS1_3genE9ELNS1_11target_archE1100ELNS1_3gpuE3ELNS1_3repE0EEENS1_30default_config_static_selectorELNS0_4arch9wavefront6targetE1EEEvT1_.private_seg_size, 0
	.set _ZN7rocprim17ROCPRIM_400000_NS6detail17trampoline_kernelINS0_14default_configENS1_29reduce_by_key_config_selectorIalN6thrust23THRUST_200600_302600_NS4plusIlEEEEZZNS1_33reduce_by_key_impl_wrapped_configILNS1_25lookback_scan_determinismE0ES3_S9_PaNS6_17constant_iteratorIiNS6_11use_defaultESE_EENS6_10device_ptrIaEENSG_IlEEPmS8_NS6_8equal_toIaEEEE10hipError_tPvRmT2_T3_mT4_T5_T6_T7_T8_P12ihipStream_tbENKUlT_T0_E_clISt17integral_constantIbLb0EES12_IbLb1EEEEDaSY_SZ_EUlSY_E_NS1_11comp_targetILNS1_3genE9ELNS1_11target_archE1100ELNS1_3gpuE3ELNS1_3repE0EEENS1_30default_config_static_selectorELNS0_4arch9wavefront6targetE1EEEvT1_.uses_vcc, 0
	.set _ZN7rocprim17ROCPRIM_400000_NS6detail17trampoline_kernelINS0_14default_configENS1_29reduce_by_key_config_selectorIalN6thrust23THRUST_200600_302600_NS4plusIlEEEEZZNS1_33reduce_by_key_impl_wrapped_configILNS1_25lookback_scan_determinismE0ES3_S9_PaNS6_17constant_iteratorIiNS6_11use_defaultESE_EENS6_10device_ptrIaEENSG_IlEEPmS8_NS6_8equal_toIaEEEE10hipError_tPvRmT2_T3_mT4_T5_T6_T7_T8_P12ihipStream_tbENKUlT_T0_E_clISt17integral_constantIbLb0EES12_IbLb1EEEEDaSY_SZ_EUlSY_E_NS1_11comp_targetILNS1_3genE9ELNS1_11target_archE1100ELNS1_3gpuE3ELNS1_3repE0EEENS1_30default_config_static_selectorELNS0_4arch9wavefront6targetE1EEEvT1_.uses_flat_scratch, 0
	.set _ZN7rocprim17ROCPRIM_400000_NS6detail17trampoline_kernelINS0_14default_configENS1_29reduce_by_key_config_selectorIalN6thrust23THRUST_200600_302600_NS4plusIlEEEEZZNS1_33reduce_by_key_impl_wrapped_configILNS1_25lookback_scan_determinismE0ES3_S9_PaNS6_17constant_iteratorIiNS6_11use_defaultESE_EENS6_10device_ptrIaEENSG_IlEEPmS8_NS6_8equal_toIaEEEE10hipError_tPvRmT2_T3_mT4_T5_T6_T7_T8_P12ihipStream_tbENKUlT_T0_E_clISt17integral_constantIbLb0EES12_IbLb1EEEEDaSY_SZ_EUlSY_E_NS1_11comp_targetILNS1_3genE9ELNS1_11target_archE1100ELNS1_3gpuE3ELNS1_3repE0EEENS1_30default_config_static_selectorELNS0_4arch9wavefront6targetE1EEEvT1_.has_dyn_sized_stack, 0
	.set _ZN7rocprim17ROCPRIM_400000_NS6detail17trampoline_kernelINS0_14default_configENS1_29reduce_by_key_config_selectorIalN6thrust23THRUST_200600_302600_NS4plusIlEEEEZZNS1_33reduce_by_key_impl_wrapped_configILNS1_25lookback_scan_determinismE0ES3_S9_PaNS6_17constant_iteratorIiNS6_11use_defaultESE_EENS6_10device_ptrIaEENSG_IlEEPmS8_NS6_8equal_toIaEEEE10hipError_tPvRmT2_T3_mT4_T5_T6_T7_T8_P12ihipStream_tbENKUlT_T0_E_clISt17integral_constantIbLb0EES12_IbLb1EEEEDaSY_SZ_EUlSY_E_NS1_11comp_targetILNS1_3genE9ELNS1_11target_archE1100ELNS1_3gpuE3ELNS1_3repE0EEENS1_30default_config_static_selectorELNS0_4arch9wavefront6targetE1EEEvT1_.has_recursion, 0
	.set _ZN7rocprim17ROCPRIM_400000_NS6detail17trampoline_kernelINS0_14default_configENS1_29reduce_by_key_config_selectorIalN6thrust23THRUST_200600_302600_NS4plusIlEEEEZZNS1_33reduce_by_key_impl_wrapped_configILNS1_25lookback_scan_determinismE0ES3_S9_PaNS6_17constant_iteratorIiNS6_11use_defaultESE_EENS6_10device_ptrIaEENSG_IlEEPmS8_NS6_8equal_toIaEEEE10hipError_tPvRmT2_T3_mT4_T5_T6_T7_T8_P12ihipStream_tbENKUlT_T0_E_clISt17integral_constantIbLb0EES12_IbLb1EEEEDaSY_SZ_EUlSY_E_NS1_11comp_targetILNS1_3genE9ELNS1_11target_archE1100ELNS1_3gpuE3ELNS1_3repE0EEENS1_30default_config_static_selectorELNS0_4arch9wavefront6targetE1EEEvT1_.has_indirect_call, 0
	.section	.AMDGPU.csdata,"",@progbits
; Kernel info:
; codeLenInByte = 0
; TotalNumSgprs: 4
; NumVgprs: 0
; ScratchSize: 0
; MemoryBound: 0
; FloatMode: 240
; IeeeMode: 1
; LDSByteSize: 0 bytes/workgroup (compile time only)
; SGPRBlocks: 0
; VGPRBlocks: 0
; NumSGPRsForWavesPerEU: 4
; NumVGPRsForWavesPerEU: 1
; Occupancy: 10
; WaveLimiterHint : 0
; COMPUTE_PGM_RSRC2:SCRATCH_EN: 0
; COMPUTE_PGM_RSRC2:USER_SGPR: 6
; COMPUTE_PGM_RSRC2:TRAP_HANDLER: 0
; COMPUTE_PGM_RSRC2:TGID_X_EN: 1
; COMPUTE_PGM_RSRC2:TGID_Y_EN: 0
; COMPUTE_PGM_RSRC2:TGID_Z_EN: 0
; COMPUTE_PGM_RSRC2:TIDIG_COMP_CNT: 0
	.section	.text._ZN7rocprim17ROCPRIM_400000_NS6detail17trampoline_kernelINS0_14default_configENS1_29reduce_by_key_config_selectorIalN6thrust23THRUST_200600_302600_NS4plusIlEEEEZZNS1_33reduce_by_key_impl_wrapped_configILNS1_25lookback_scan_determinismE0ES3_S9_PaNS6_17constant_iteratorIiNS6_11use_defaultESE_EENS6_10device_ptrIaEENSG_IlEEPmS8_NS6_8equal_toIaEEEE10hipError_tPvRmT2_T3_mT4_T5_T6_T7_T8_P12ihipStream_tbENKUlT_T0_E_clISt17integral_constantIbLb0EES12_IbLb1EEEEDaSY_SZ_EUlSY_E_NS1_11comp_targetILNS1_3genE8ELNS1_11target_archE1030ELNS1_3gpuE2ELNS1_3repE0EEENS1_30default_config_static_selectorELNS0_4arch9wavefront6targetE1EEEvT1_,"axG",@progbits,_ZN7rocprim17ROCPRIM_400000_NS6detail17trampoline_kernelINS0_14default_configENS1_29reduce_by_key_config_selectorIalN6thrust23THRUST_200600_302600_NS4plusIlEEEEZZNS1_33reduce_by_key_impl_wrapped_configILNS1_25lookback_scan_determinismE0ES3_S9_PaNS6_17constant_iteratorIiNS6_11use_defaultESE_EENS6_10device_ptrIaEENSG_IlEEPmS8_NS6_8equal_toIaEEEE10hipError_tPvRmT2_T3_mT4_T5_T6_T7_T8_P12ihipStream_tbENKUlT_T0_E_clISt17integral_constantIbLb0EES12_IbLb1EEEEDaSY_SZ_EUlSY_E_NS1_11comp_targetILNS1_3genE8ELNS1_11target_archE1030ELNS1_3gpuE2ELNS1_3repE0EEENS1_30default_config_static_selectorELNS0_4arch9wavefront6targetE1EEEvT1_,comdat
	.protected	_ZN7rocprim17ROCPRIM_400000_NS6detail17trampoline_kernelINS0_14default_configENS1_29reduce_by_key_config_selectorIalN6thrust23THRUST_200600_302600_NS4plusIlEEEEZZNS1_33reduce_by_key_impl_wrapped_configILNS1_25lookback_scan_determinismE0ES3_S9_PaNS6_17constant_iteratorIiNS6_11use_defaultESE_EENS6_10device_ptrIaEENSG_IlEEPmS8_NS6_8equal_toIaEEEE10hipError_tPvRmT2_T3_mT4_T5_T6_T7_T8_P12ihipStream_tbENKUlT_T0_E_clISt17integral_constantIbLb0EES12_IbLb1EEEEDaSY_SZ_EUlSY_E_NS1_11comp_targetILNS1_3genE8ELNS1_11target_archE1030ELNS1_3gpuE2ELNS1_3repE0EEENS1_30default_config_static_selectorELNS0_4arch9wavefront6targetE1EEEvT1_ ; -- Begin function _ZN7rocprim17ROCPRIM_400000_NS6detail17trampoline_kernelINS0_14default_configENS1_29reduce_by_key_config_selectorIalN6thrust23THRUST_200600_302600_NS4plusIlEEEEZZNS1_33reduce_by_key_impl_wrapped_configILNS1_25lookback_scan_determinismE0ES3_S9_PaNS6_17constant_iteratorIiNS6_11use_defaultESE_EENS6_10device_ptrIaEENSG_IlEEPmS8_NS6_8equal_toIaEEEE10hipError_tPvRmT2_T3_mT4_T5_T6_T7_T8_P12ihipStream_tbENKUlT_T0_E_clISt17integral_constantIbLb0EES12_IbLb1EEEEDaSY_SZ_EUlSY_E_NS1_11comp_targetILNS1_3genE8ELNS1_11target_archE1030ELNS1_3gpuE2ELNS1_3repE0EEENS1_30default_config_static_selectorELNS0_4arch9wavefront6targetE1EEEvT1_
	.globl	_ZN7rocprim17ROCPRIM_400000_NS6detail17trampoline_kernelINS0_14default_configENS1_29reduce_by_key_config_selectorIalN6thrust23THRUST_200600_302600_NS4plusIlEEEEZZNS1_33reduce_by_key_impl_wrapped_configILNS1_25lookback_scan_determinismE0ES3_S9_PaNS6_17constant_iteratorIiNS6_11use_defaultESE_EENS6_10device_ptrIaEENSG_IlEEPmS8_NS6_8equal_toIaEEEE10hipError_tPvRmT2_T3_mT4_T5_T6_T7_T8_P12ihipStream_tbENKUlT_T0_E_clISt17integral_constantIbLb0EES12_IbLb1EEEEDaSY_SZ_EUlSY_E_NS1_11comp_targetILNS1_3genE8ELNS1_11target_archE1030ELNS1_3gpuE2ELNS1_3repE0EEENS1_30default_config_static_selectorELNS0_4arch9wavefront6targetE1EEEvT1_
	.p2align	8
	.type	_ZN7rocprim17ROCPRIM_400000_NS6detail17trampoline_kernelINS0_14default_configENS1_29reduce_by_key_config_selectorIalN6thrust23THRUST_200600_302600_NS4plusIlEEEEZZNS1_33reduce_by_key_impl_wrapped_configILNS1_25lookback_scan_determinismE0ES3_S9_PaNS6_17constant_iteratorIiNS6_11use_defaultESE_EENS6_10device_ptrIaEENSG_IlEEPmS8_NS6_8equal_toIaEEEE10hipError_tPvRmT2_T3_mT4_T5_T6_T7_T8_P12ihipStream_tbENKUlT_T0_E_clISt17integral_constantIbLb0EES12_IbLb1EEEEDaSY_SZ_EUlSY_E_NS1_11comp_targetILNS1_3genE8ELNS1_11target_archE1030ELNS1_3gpuE2ELNS1_3repE0EEENS1_30default_config_static_selectorELNS0_4arch9wavefront6targetE1EEEvT1_,@function
_ZN7rocprim17ROCPRIM_400000_NS6detail17trampoline_kernelINS0_14default_configENS1_29reduce_by_key_config_selectorIalN6thrust23THRUST_200600_302600_NS4plusIlEEEEZZNS1_33reduce_by_key_impl_wrapped_configILNS1_25lookback_scan_determinismE0ES3_S9_PaNS6_17constant_iteratorIiNS6_11use_defaultESE_EENS6_10device_ptrIaEENSG_IlEEPmS8_NS6_8equal_toIaEEEE10hipError_tPvRmT2_T3_mT4_T5_T6_T7_T8_P12ihipStream_tbENKUlT_T0_E_clISt17integral_constantIbLb0EES12_IbLb1EEEEDaSY_SZ_EUlSY_E_NS1_11comp_targetILNS1_3genE8ELNS1_11target_archE1030ELNS1_3gpuE2ELNS1_3repE0EEENS1_30default_config_static_selectorELNS0_4arch9wavefront6targetE1EEEvT1_: ; @_ZN7rocprim17ROCPRIM_400000_NS6detail17trampoline_kernelINS0_14default_configENS1_29reduce_by_key_config_selectorIalN6thrust23THRUST_200600_302600_NS4plusIlEEEEZZNS1_33reduce_by_key_impl_wrapped_configILNS1_25lookback_scan_determinismE0ES3_S9_PaNS6_17constant_iteratorIiNS6_11use_defaultESE_EENS6_10device_ptrIaEENSG_IlEEPmS8_NS6_8equal_toIaEEEE10hipError_tPvRmT2_T3_mT4_T5_T6_T7_T8_P12ihipStream_tbENKUlT_T0_E_clISt17integral_constantIbLb0EES12_IbLb1EEEEDaSY_SZ_EUlSY_E_NS1_11comp_targetILNS1_3genE8ELNS1_11target_archE1030ELNS1_3gpuE2ELNS1_3repE0EEENS1_30default_config_static_selectorELNS0_4arch9wavefront6targetE1EEEvT1_
; %bb.0:
	.section	.rodata,"a",@progbits
	.p2align	6, 0x0
	.amdhsa_kernel _ZN7rocprim17ROCPRIM_400000_NS6detail17trampoline_kernelINS0_14default_configENS1_29reduce_by_key_config_selectorIalN6thrust23THRUST_200600_302600_NS4plusIlEEEEZZNS1_33reduce_by_key_impl_wrapped_configILNS1_25lookback_scan_determinismE0ES3_S9_PaNS6_17constant_iteratorIiNS6_11use_defaultESE_EENS6_10device_ptrIaEENSG_IlEEPmS8_NS6_8equal_toIaEEEE10hipError_tPvRmT2_T3_mT4_T5_T6_T7_T8_P12ihipStream_tbENKUlT_T0_E_clISt17integral_constantIbLb0EES12_IbLb1EEEEDaSY_SZ_EUlSY_E_NS1_11comp_targetILNS1_3genE8ELNS1_11target_archE1030ELNS1_3gpuE2ELNS1_3repE0EEENS1_30default_config_static_selectorELNS0_4arch9wavefront6targetE1EEEvT1_
		.amdhsa_group_segment_fixed_size 0
		.amdhsa_private_segment_fixed_size 0
		.amdhsa_kernarg_size 144
		.amdhsa_user_sgpr_count 6
		.amdhsa_user_sgpr_private_segment_buffer 1
		.amdhsa_user_sgpr_dispatch_ptr 0
		.amdhsa_user_sgpr_queue_ptr 0
		.amdhsa_user_sgpr_kernarg_segment_ptr 1
		.amdhsa_user_sgpr_dispatch_id 0
		.amdhsa_user_sgpr_flat_scratch_init 0
		.amdhsa_user_sgpr_private_segment_size 0
		.amdhsa_uses_dynamic_stack 0
		.amdhsa_system_sgpr_private_segment_wavefront_offset 0
		.amdhsa_system_sgpr_workgroup_id_x 1
		.amdhsa_system_sgpr_workgroup_id_y 0
		.amdhsa_system_sgpr_workgroup_id_z 0
		.amdhsa_system_sgpr_workgroup_info 0
		.amdhsa_system_vgpr_workitem_id 0
		.amdhsa_next_free_vgpr 1
		.amdhsa_next_free_sgpr 0
		.amdhsa_reserve_vcc 0
		.amdhsa_reserve_flat_scratch 0
		.amdhsa_float_round_mode_32 0
		.amdhsa_float_round_mode_16_64 0
		.amdhsa_float_denorm_mode_32 3
		.amdhsa_float_denorm_mode_16_64 3
		.amdhsa_dx10_clamp 1
		.amdhsa_ieee_mode 1
		.amdhsa_fp16_overflow 0
		.amdhsa_exception_fp_ieee_invalid_op 0
		.amdhsa_exception_fp_denorm_src 0
		.amdhsa_exception_fp_ieee_div_zero 0
		.amdhsa_exception_fp_ieee_overflow 0
		.amdhsa_exception_fp_ieee_underflow 0
		.amdhsa_exception_fp_ieee_inexact 0
		.amdhsa_exception_int_div_zero 0
	.end_amdhsa_kernel
	.section	.text._ZN7rocprim17ROCPRIM_400000_NS6detail17trampoline_kernelINS0_14default_configENS1_29reduce_by_key_config_selectorIalN6thrust23THRUST_200600_302600_NS4plusIlEEEEZZNS1_33reduce_by_key_impl_wrapped_configILNS1_25lookback_scan_determinismE0ES3_S9_PaNS6_17constant_iteratorIiNS6_11use_defaultESE_EENS6_10device_ptrIaEENSG_IlEEPmS8_NS6_8equal_toIaEEEE10hipError_tPvRmT2_T3_mT4_T5_T6_T7_T8_P12ihipStream_tbENKUlT_T0_E_clISt17integral_constantIbLb0EES12_IbLb1EEEEDaSY_SZ_EUlSY_E_NS1_11comp_targetILNS1_3genE8ELNS1_11target_archE1030ELNS1_3gpuE2ELNS1_3repE0EEENS1_30default_config_static_selectorELNS0_4arch9wavefront6targetE1EEEvT1_,"axG",@progbits,_ZN7rocprim17ROCPRIM_400000_NS6detail17trampoline_kernelINS0_14default_configENS1_29reduce_by_key_config_selectorIalN6thrust23THRUST_200600_302600_NS4plusIlEEEEZZNS1_33reduce_by_key_impl_wrapped_configILNS1_25lookback_scan_determinismE0ES3_S9_PaNS6_17constant_iteratorIiNS6_11use_defaultESE_EENS6_10device_ptrIaEENSG_IlEEPmS8_NS6_8equal_toIaEEEE10hipError_tPvRmT2_T3_mT4_T5_T6_T7_T8_P12ihipStream_tbENKUlT_T0_E_clISt17integral_constantIbLb0EES12_IbLb1EEEEDaSY_SZ_EUlSY_E_NS1_11comp_targetILNS1_3genE8ELNS1_11target_archE1030ELNS1_3gpuE2ELNS1_3repE0EEENS1_30default_config_static_selectorELNS0_4arch9wavefront6targetE1EEEvT1_,comdat
.Lfunc_end707:
	.size	_ZN7rocprim17ROCPRIM_400000_NS6detail17trampoline_kernelINS0_14default_configENS1_29reduce_by_key_config_selectorIalN6thrust23THRUST_200600_302600_NS4plusIlEEEEZZNS1_33reduce_by_key_impl_wrapped_configILNS1_25lookback_scan_determinismE0ES3_S9_PaNS6_17constant_iteratorIiNS6_11use_defaultESE_EENS6_10device_ptrIaEENSG_IlEEPmS8_NS6_8equal_toIaEEEE10hipError_tPvRmT2_T3_mT4_T5_T6_T7_T8_P12ihipStream_tbENKUlT_T0_E_clISt17integral_constantIbLb0EES12_IbLb1EEEEDaSY_SZ_EUlSY_E_NS1_11comp_targetILNS1_3genE8ELNS1_11target_archE1030ELNS1_3gpuE2ELNS1_3repE0EEENS1_30default_config_static_selectorELNS0_4arch9wavefront6targetE1EEEvT1_, .Lfunc_end707-_ZN7rocprim17ROCPRIM_400000_NS6detail17trampoline_kernelINS0_14default_configENS1_29reduce_by_key_config_selectorIalN6thrust23THRUST_200600_302600_NS4plusIlEEEEZZNS1_33reduce_by_key_impl_wrapped_configILNS1_25lookback_scan_determinismE0ES3_S9_PaNS6_17constant_iteratorIiNS6_11use_defaultESE_EENS6_10device_ptrIaEENSG_IlEEPmS8_NS6_8equal_toIaEEEE10hipError_tPvRmT2_T3_mT4_T5_T6_T7_T8_P12ihipStream_tbENKUlT_T0_E_clISt17integral_constantIbLb0EES12_IbLb1EEEEDaSY_SZ_EUlSY_E_NS1_11comp_targetILNS1_3genE8ELNS1_11target_archE1030ELNS1_3gpuE2ELNS1_3repE0EEENS1_30default_config_static_selectorELNS0_4arch9wavefront6targetE1EEEvT1_
                                        ; -- End function
	.set _ZN7rocprim17ROCPRIM_400000_NS6detail17trampoline_kernelINS0_14default_configENS1_29reduce_by_key_config_selectorIalN6thrust23THRUST_200600_302600_NS4plusIlEEEEZZNS1_33reduce_by_key_impl_wrapped_configILNS1_25lookback_scan_determinismE0ES3_S9_PaNS6_17constant_iteratorIiNS6_11use_defaultESE_EENS6_10device_ptrIaEENSG_IlEEPmS8_NS6_8equal_toIaEEEE10hipError_tPvRmT2_T3_mT4_T5_T6_T7_T8_P12ihipStream_tbENKUlT_T0_E_clISt17integral_constantIbLb0EES12_IbLb1EEEEDaSY_SZ_EUlSY_E_NS1_11comp_targetILNS1_3genE8ELNS1_11target_archE1030ELNS1_3gpuE2ELNS1_3repE0EEENS1_30default_config_static_selectorELNS0_4arch9wavefront6targetE1EEEvT1_.num_vgpr, 0
	.set _ZN7rocprim17ROCPRIM_400000_NS6detail17trampoline_kernelINS0_14default_configENS1_29reduce_by_key_config_selectorIalN6thrust23THRUST_200600_302600_NS4plusIlEEEEZZNS1_33reduce_by_key_impl_wrapped_configILNS1_25lookback_scan_determinismE0ES3_S9_PaNS6_17constant_iteratorIiNS6_11use_defaultESE_EENS6_10device_ptrIaEENSG_IlEEPmS8_NS6_8equal_toIaEEEE10hipError_tPvRmT2_T3_mT4_T5_T6_T7_T8_P12ihipStream_tbENKUlT_T0_E_clISt17integral_constantIbLb0EES12_IbLb1EEEEDaSY_SZ_EUlSY_E_NS1_11comp_targetILNS1_3genE8ELNS1_11target_archE1030ELNS1_3gpuE2ELNS1_3repE0EEENS1_30default_config_static_selectorELNS0_4arch9wavefront6targetE1EEEvT1_.num_agpr, 0
	.set _ZN7rocprim17ROCPRIM_400000_NS6detail17trampoline_kernelINS0_14default_configENS1_29reduce_by_key_config_selectorIalN6thrust23THRUST_200600_302600_NS4plusIlEEEEZZNS1_33reduce_by_key_impl_wrapped_configILNS1_25lookback_scan_determinismE0ES3_S9_PaNS6_17constant_iteratorIiNS6_11use_defaultESE_EENS6_10device_ptrIaEENSG_IlEEPmS8_NS6_8equal_toIaEEEE10hipError_tPvRmT2_T3_mT4_T5_T6_T7_T8_P12ihipStream_tbENKUlT_T0_E_clISt17integral_constantIbLb0EES12_IbLb1EEEEDaSY_SZ_EUlSY_E_NS1_11comp_targetILNS1_3genE8ELNS1_11target_archE1030ELNS1_3gpuE2ELNS1_3repE0EEENS1_30default_config_static_selectorELNS0_4arch9wavefront6targetE1EEEvT1_.numbered_sgpr, 0
	.set _ZN7rocprim17ROCPRIM_400000_NS6detail17trampoline_kernelINS0_14default_configENS1_29reduce_by_key_config_selectorIalN6thrust23THRUST_200600_302600_NS4plusIlEEEEZZNS1_33reduce_by_key_impl_wrapped_configILNS1_25lookback_scan_determinismE0ES3_S9_PaNS6_17constant_iteratorIiNS6_11use_defaultESE_EENS6_10device_ptrIaEENSG_IlEEPmS8_NS6_8equal_toIaEEEE10hipError_tPvRmT2_T3_mT4_T5_T6_T7_T8_P12ihipStream_tbENKUlT_T0_E_clISt17integral_constantIbLb0EES12_IbLb1EEEEDaSY_SZ_EUlSY_E_NS1_11comp_targetILNS1_3genE8ELNS1_11target_archE1030ELNS1_3gpuE2ELNS1_3repE0EEENS1_30default_config_static_selectorELNS0_4arch9wavefront6targetE1EEEvT1_.num_named_barrier, 0
	.set _ZN7rocprim17ROCPRIM_400000_NS6detail17trampoline_kernelINS0_14default_configENS1_29reduce_by_key_config_selectorIalN6thrust23THRUST_200600_302600_NS4plusIlEEEEZZNS1_33reduce_by_key_impl_wrapped_configILNS1_25lookback_scan_determinismE0ES3_S9_PaNS6_17constant_iteratorIiNS6_11use_defaultESE_EENS6_10device_ptrIaEENSG_IlEEPmS8_NS6_8equal_toIaEEEE10hipError_tPvRmT2_T3_mT4_T5_T6_T7_T8_P12ihipStream_tbENKUlT_T0_E_clISt17integral_constantIbLb0EES12_IbLb1EEEEDaSY_SZ_EUlSY_E_NS1_11comp_targetILNS1_3genE8ELNS1_11target_archE1030ELNS1_3gpuE2ELNS1_3repE0EEENS1_30default_config_static_selectorELNS0_4arch9wavefront6targetE1EEEvT1_.private_seg_size, 0
	.set _ZN7rocprim17ROCPRIM_400000_NS6detail17trampoline_kernelINS0_14default_configENS1_29reduce_by_key_config_selectorIalN6thrust23THRUST_200600_302600_NS4plusIlEEEEZZNS1_33reduce_by_key_impl_wrapped_configILNS1_25lookback_scan_determinismE0ES3_S9_PaNS6_17constant_iteratorIiNS6_11use_defaultESE_EENS6_10device_ptrIaEENSG_IlEEPmS8_NS6_8equal_toIaEEEE10hipError_tPvRmT2_T3_mT4_T5_T6_T7_T8_P12ihipStream_tbENKUlT_T0_E_clISt17integral_constantIbLb0EES12_IbLb1EEEEDaSY_SZ_EUlSY_E_NS1_11comp_targetILNS1_3genE8ELNS1_11target_archE1030ELNS1_3gpuE2ELNS1_3repE0EEENS1_30default_config_static_selectorELNS0_4arch9wavefront6targetE1EEEvT1_.uses_vcc, 0
	.set _ZN7rocprim17ROCPRIM_400000_NS6detail17trampoline_kernelINS0_14default_configENS1_29reduce_by_key_config_selectorIalN6thrust23THRUST_200600_302600_NS4plusIlEEEEZZNS1_33reduce_by_key_impl_wrapped_configILNS1_25lookback_scan_determinismE0ES3_S9_PaNS6_17constant_iteratorIiNS6_11use_defaultESE_EENS6_10device_ptrIaEENSG_IlEEPmS8_NS6_8equal_toIaEEEE10hipError_tPvRmT2_T3_mT4_T5_T6_T7_T8_P12ihipStream_tbENKUlT_T0_E_clISt17integral_constantIbLb0EES12_IbLb1EEEEDaSY_SZ_EUlSY_E_NS1_11comp_targetILNS1_3genE8ELNS1_11target_archE1030ELNS1_3gpuE2ELNS1_3repE0EEENS1_30default_config_static_selectorELNS0_4arch9wavefront6targetE1EEEvT1_.uses_flat_scratch, 0
	.set _ZN7rocprim17ROCPRIM_400000_NS6detail17trampoline_kernelINS0_14default_configENS1_29reduce_by_key_config_selectorIalN6thrust23THRUST_200600_302600_NS4plusIlEEEEZZNS1_33reduce_by_key_impl_wrapped_configILNS1_25lookback_scan_determinismE0ES3_S9_PaNS6_17constant_iteratorIiNS6_11use_defaultESE_EENS6_10device_ptrIaEENSG_IlEEPmS8_NS6_8equal_toIaEEEE10hipError_tPvRmT2_T3_mT4_T5_T6_T7_T8_P12ihipStream_tbENKUlT_T0_E_clISt17integral_constantIbLb0EES12_IbLb1EEEEDaSY_SZ_EUlSY_E_NS1_11comp_targetILNS1_3genE8ELNS1_11target_archE1030ELNS1_3gpuE2ELNS1_3repE0EEENS1_30default_config_static_selectorELNS0_4arch9wavefront6targetE1EEEvT1_.has_dyn_sized_stack, 0
	.set _ZN7rocprim17ROCPRIM_400000_NS6detail17trampoline_kernelINS0_14default_configENS1_29reduce_by_key_config_selectorIalN6thrust23THRUST_200600_302600_NS4plusIlEEEEZZNS1_33reduce_by_key_impl_wrapped_configILNS1_25lookback_scan_determinismE0ES3_S9_PaNS6_17constant_iteratorIiNS6_11use_defaultESE_EENS6_10device_ptrIaEENSG_IlEEPmS8_NS6_8equal_toIaEEEE10hipError_tPvRmT2_T3_mT4_T5_T6_T7_T8_P12ihipStream_tbENKUlT_T0_E_clISt17integral_constantIbLb0EES12_IbLb1EEEEDaSY_SZ_EUlSY_E_NS1_11comp_targetILNS1_3genE8ELNS1_11target_archE1030ELNS1_3gpuE2ELNS1_3repE0EEENS1_30default_config_static_selectorELNS0_4arch9wavefront6targetE1EEEvT1_.has_recursion, 0
	.set _ZN7rocprim17ROCPRIM_400000_NS6detail17trampoline_kernelINS0_14default_configENS1_29reduce_by_key_config_selectorIalN6thrust23THRUST_200600_302600_NS4plusIlEEEEZZNS1_33reduce_by_key_impl_wrapped_configILNS1_25lookback_scan_determinismE0ES3_S9_PaNS6_17constant_iteratorIiNS6_11use_defaultESE_EENS6_10device_ptrIaEENSG_IlEEPmS8_NS6_8equal_toIaEEEE10hipError_tPvRmT2_T3_mT4_T5_T6_T7_T8_P12ihipStream_tbENKUlT_T0_E_clISt17integral_constantIbLb0EES12_IbLb1EEEEDaSY_SZ_EUlSY_E_NS1_11comp_targetILNS1_3genE8ELNS1_11target_archE1030ELNS1_3gpuE2ELNS1_3repE0EEENS1_30default_config_static_selectorELNS0_4arch9wavefront6targetE1EEEvT1_.has_indirect_call, 0
	.section	.AMDGPU.csdata,"",@progbits
; Kernel info:
; codeLenInByte = 0
; TotalNumSgprs: 4
; NumVgprs: 0
; ScratchSize: 0
; MemoryBound: 0
; FloatMode: 240
; IeeeMode: 1
; LDSByteSize: 0 bytes/workgroup (compile time only)
; SGPRBlocks: 0
; VGPRBlocks: 0
; NumSGPRsForWavesPerEU: 4
; NumVGPRsForWavesPerEU: 1
; Occupancy: 10
; WaveLimiterHint : 0
; COMPUTE_PGM_RSRC2:SCRATCH_EN: 0
; COMPUTE_PGM_RSRC2:USER_SGPR: 6
; COMPUTE_PGM_RSRC2:TRAP_HANDLER: 0
; COMPUTE_PGM_RSRC2:TGID_X_EN: 1
; COMPUTE_PGM_RSRC2:TGID_Y_EN: 0
; COMPUTE_PGM_RSRC2:TGID_Z_EN: 0
; COMPUTE_PGM_RSRC2:TIDIG_COMP_CNT: 0
	.section	.text._ZN7rocprim17ROCPRIM_400000_NS6detail17trampoline_kernelINS0_14default_configENS1_22reduce_config_selectorIN6thrust23THRUST_200600_302600_NS5tupleIblNS6_9null_typeES8_S8_S8_S8_S8_S8_S8_EEEEZNS1_11reduce_implILb1ES3_NS6_12zip_iteratorINS7_INS6_11hip_rocprim26transform_input_iterator_tIbPaNS6_6detail10functional5actorINSH_9compositeIJNSH_27transparent_binary_operatorINS6_8equal_toIvEEEENSI_INSH_8argumentILj0EEEEENSH_5valueIaEEEEEEEEENSD_19counting_iterator_tIlEES8_S8_S8_S8_S8_S8_S8_S8_EEEEPS9_S9_NSD_9__find_if7functorIS9_EEEE10hipError_tPvRmT1_T2_T3_mT4_P12ihipStream_tbEUlT_E0_NS1_11comp_targetILNS1_3genE0ELNS1_11target_archE4294967295ELNS1_3gpuE0ELNS1_3repE0EEENS1_30default_config_static_selectorELNS0_4arch9wavefront6targetE1EEEvS17_,"axG",@progbits,_ZN7rocprim17ROCPRIM_400000_NS6detail17trampoline_kernelINS0_14default_configENS1_22reduce_config_selectorIN6thrust23THRUST_200600_302600_NS5tupleIblNS6_9null_typeES8_S8_S8_S8_S8_S8_S8_EEEEZNS1_11reduce_implILb1ES3_NS6_12zip_iteratorINS7_INS6_11hip_rocprim26transform_input_iterator_tIbPaNS6_6detail10functional5actorINSH_9compositeIJNSH_27transparent_binary_operatorINS6_8equal_toIvEEEENSI_INSH_8argumentILj0EEEEENSH_5valueIaEEEEEEEEENSD_19counting_iterator_tIlEES8_S8_S8_S8_S8_S8_S8_S8_EEEEPS9_S9_NSD_9__find_if7functorIS9_EEEE10hipError_tPvRmT1_T2_T3_mT4_P12ihipStream_tbEUlT_E0_NS1_11comp_targetILNS1_3genE0ELNS1_11target_archE4294967295ELNS1_3gpuE0ELNS1_3repE0EEENS1_30default_config_static_selectorELNS0_4arch9wavefront6targetE1EEEvS17_,comdat
	.protected	_ZN7rocprim17ROCPRIM_400000_NS6detail17trampoline_kernelINS0_14default_configENS1_22reduce_config_selectorIN6thrust23THRUST_200600_302600_NS5tupleIblNS6_9null_typeES8_S8_S8_S8_S8_S8_S8_EEEEZNS1_11reduce_implILb1ES3_NS6_12zip_iteratorINS7_INS6_11hip_rocprim26transform_input_iterator_tIbPaNS6_6detail10functional5actorINSH_9compositeIJNSH_27transparent_binary_operatorINS6_8equal_toIvEEEENSI_INSH_8argumentILj0EEEEENSH_5valueIaEEEEEEEEENSD_19counting_iterator_tIlEES8_S8_S8_S8_S8_S8_S8_S8_EEEEPS9_S9_NSD_9__find_if7functorIS9_EEEE10hipError_tPvRmT1_T2_T3_mT4_P12ihipStream_tbEUlT_E0_NS1_11comp_targetILNS1_3genE0ELNS1_11target_archE4294967295ELNS1_3gpuE0ELNS1_3repE0EEENS1_30default_config_static_selectorELNS0_4arch9wavefront6targetE1EEEvS17_ ; -- Begin function _ZN7rocprim17ROCPRIM_400000_NS6detail17trampoline_kernelINS0_14default_configENS1_22reduce_config_selectorIN6thrust23THRUST_200600_302600_NS5tupleIblNS6_9null_typeES8_S8_S8_S8_S8_S8_S8_EEEEZNS1_11reduce_implILb1ES3_NS6_12zip_iteratorINS7_INS6_11hip_rocprim26transform_input_iterator_tIbPaNS6_6detail10functional5actorINSH_9compositeIJNSH_27transparent_binary_operatorINS6_8equal_toIvEEEENSI_INSH_8argumentILj0EEEEENSH_5valueIaEEEEEEEEENSD_19counting_iterator_tIlEES8_S8_S8_S8_S8_S8_S8_S8_EEEEPS9_S9_NSD_9__find_if7functorIS9_EEEE10hipError_tPvRmT1_T2_T3_mT4_P12ihipStream_tbEUlT_E0_NS1_11comp_targetILNS1_3genE0ELNS1_11target_archE4294967295ELNS1_3gpuE0ELNS1_3repE0EEENS1_30default_config_static_selectorELNS0_4arch9wavefront6targetE1EEEvS17_
	.globl	_ZN7rocprim17ROCPRIM_400000_NS6detail17trampoline_kernelINS0_14default_configENS1_22reduce_config_selectorIN6thrust23THRUST_200600_302600_NS5tupleIblNS6_9null_typeES8_S8_S8_S8_S8_S8_S8_EEEEZNS1_11reduce_implILb1ES3_NS6_12zip_iteratorINS7_INS6_11hip_rocprim26transform_input_iterator_tIbPaNS6_6detail10functional5actorINSH_9compositeIJNSH_27transparent_binary_operatorINS6_8equal_toIvEEEENSI_INSH_8argumentILj0EEEEENSH_5valueIaEEEEEEEEENSD_19counting_iterator_tIlEES8_S8_S8_S8_S8_S8_S8_S8_EEEEPS9_S9_NSD_9__find_if7functorIS9_EEEE10hipError_tPvRmT1_T2_T3_mT4_P12ihipStream_tbEUlT_E0_NS1_11comp_targetILNS1_3genE0ELNS1_11target_archE4294967295ELNS1_3gpuE0ELNS1_3repE0EEENS1_30default_config_static_selectorELNS0_4arch9wavefront6targetE1EEEvS17_
	.p2align	8
	.type	_ZN7rocprim17ROCPRIM_400000_NS6detail17trampoline_kernelINS0_14default_configENS1_22reduce_config_selectorIN6thrust23THRUST_200600_302600_NS5tupleIblNS6_9null_typeES8_S8_S8_S8_S8_S8_S8_EEEEZNS1_11reduce_implILb1ES3_NS6_12zip_iteratorINS7_INS6_11hip_rocprim26transform_input_iterator_tIbPaNS6_6detail10functional5actorINSH_9compositeIJNSH_27transparent_binary_operatorINS6_8equal_toIvEEEENSI_INSH_8argumentILj0EEEEENSH_5valueIaEEEEEEEEENSD_19counting_iterator_tIlEES8_S8_S8_S8_S8_S8_S8_S8_EEEEPS9_S9_NSD_9__find_if7functorIS9_EEEE10hipError_tPvRmT1_T2_T3_mT4_P12ihipStream_tbEUlT_E0_NS1_11comp_targetILNS1_3genE0ELNS1_11target_archE4294967295ELNS1_3gpuE0ELNS1_3repE0EEENS1_30default_config_static_selectorELNS0_4arch9wavefront6targetE1EEEvS17_,@function
_ZN7rocprim17ROCPRIM_400000_NS6detail17trampoline_kernelINS0_14default_configENS1_22reduce_config_selectorIN6thrust23THRUST_200600_302600_NS5tupleIblNS6_9null_typeES8_S8_S8_S8_S8_S8_S8_EEEEZNS1_11reduce_implILb1ES3_NS6_12zip_iteratorINS7_INS6_11hip_rocprim26transform_input_iterator_tIbPaNS6_6detail10functional5actorINSH_9compositeIJNSH_27transparent_binary_operatorINS6_8equal_toIvEEEENSI_INSH_8argumentILj0EEEEENSH_5valueIaEEEEEEEEENSD_19counting_iterator_tIlEES8_S8_S8_S8_S8_S8_S8_S8_EEEEPS9_S9_NSD_9__find_if7functorIS9_EEEE10hipError_tPvRmT1_T2_T3_mT4_P12ihipStream_tbEUlT_E0_NS1_11comp_targetILNS1_3genE0ELNS1_11target_archE4294967295ELNS1_3gpuE0ELNS1_3repE0EEENS1_30default_config_static_selectorELNS0_4arch9wavefront6targetE1EEEvS17_: ; @_ZN7rocprim17ROCPRIM_400000_NS6detail17trampoline_kernelINS0_14default_configENS1_22reduce_config_selectorIN6thrust23THRUST_200600_302600_NS5tupleIblNS6_9null_typeES8_S8_S8_S8_S8_S8_S8_EEEEZNS1_11reduce_implILb1ES3_NS6_12zip_iteratorINS7_INS6_11hip_rocprim26transform_input_iterator_tIbPaNS6_6detail10functional5actorINSH_9compositeIJNSH_27transparent_binary_operatorINS6_8equal_toIvEEEENSI_INSH_8argumentILj0EEEEENSH_5valueIaEEEEEEEEENSD_19counting_iterator_tIlEES8_S8_S8_S8_S8_S8_S8_S8_EEEEPS9_S9_NSD_9__find_if7functorIS9_EEEE10hipError_tPvRmT1_T2_T3_mT4_P12ihipStream_tbEUlT_E0_NS1_11comp_targetILNS1_3genE0ELNS1_11target_archE4294967295ELNS1_3gpuE0ELNS1_3repE0EEENS1_30default_config_static_selectorELNS0_4arch9wavefront6targetE1EEEvS17_
; %bb.0:
	.section	.rodata,"a",@progbits
	.p2align	6, 0x0
	.amdhsa_kernel _ZN7rocprim17ROCPRIM_400000_NS6detail17trampoline_kernelINS0_14default_configENS1_22reduce_config_selectorIN6thrust23THRUST_200600_302600_NS5tupleIblNS6_9null_typeES8_S8_S8_S8_S8_S8_S8_EEEEZNS1_11reduce_implILb1ES3_NS6_12zip_iteratorINS7_INS6_11hip_rocprim26transform_input_iterator_tIbPaNS6_6detail10functional5actorINSH_9compositeIJNSH_27transparent_binary_operatorINS6_8equal_toIvEEEENSI_INSH_8argumentILj0EEEEENSH_5valueIaEEEEEEEEENSD_19counting_iterator_tIlEES8_S8_S8_S8_S8_S8_S8_S8_EEEEPS9_S9_NSD_9__find_if7functorIS9_EEEE10hipError_tPvRmT1_T2_T3_mT4_P12ihipStream_tbEUlT_E0_NS1_11comp_targetILNS1_3genE0ELNS1_11target_archE4294967295ELNS1_3gpuE0ELNS1_3repE0EEENS1_30default_config_static_selectorELNS0_4arch9wavefront6targetE1EEEvS17_
		.amdhsa_group_segment_fixed_size 0
		.amdhsa_private_segment_fixed_size 0
		.amdhsa_kernarg_size 88
		.amdhsa_user_sgpr_count 6
		.amdhsa_user_sgpr_private_segment_buffer 1
		.amdhsa_user_sgpr_dispatch_ptr 0
		.amdhsa_user_sgpr_queue_ptr 0
		.amdhsa_user_sgpr_kernarg_segment_ptr 1
		.amdhsa_user_sgpr_dispatch_id 0
		.amdhsa_user_sgpr_flat_scratch_init 0
		.amdhsa_user_sgpr_private_segment_size 0
		.amdhsa_uses_dynamic_stack 0
		.amdhsa_system_sgpr_private_segment_wavefront_offset 0
		.amdhsa_system_sgpr_workgroup_id_x 1
		.amdhsa_system_sgpr_workgroup_id_y 0
		.amdhsa_system_sgpr_workgroup_id_z 0
		.amdhsa_system_sgpr_workgroup_info 0
		.amdhsa_system_vgpr_workitem_id 0
		.amdhsa_next_free_vgpr 1
		.amdhsa_next_free_sgpr 0
		.amdhsa_reserve_vcc 0
		.amdhsa_reserve_flat_scratch 0
		.amdhsa_float_round_mode_32 0
		.amdhsa_float_round_mode_16_64 0
		.amdhsa_float_denorm_mode_32 3
		.amdhsa_float_denorm_mode_16_64 3
		.amdhsa_dx10_clamp 1
		.amdhsa_ieee_mode 1
		.amdhsa_fp16_overflow 0
		.amdhsa_exception_fp_ieee_invalid_op 0
		.amdhsa_exception_fp_denorm_src 0
		.amdhsa_exception_fp_ieee_div_zero 0
		.amdhsa_exception_fp_ieee_overflow 0
		.amdhsa_exception_fp_ieee_underflow 0
		.amdhsa_exception_fp_ieee_inexact 0
		.amdhsa_exception_int_div_zero 0
	.end_amdhsa_kernel
	.section	.text._ZN7rocprim17ROCPRIM_400000_NS6detail17trampoline_kernelINS0_14default_configENS1_22reduce_config_selectorIN6thrust23THRUST_200600_302600_NS5tupleIblNS6_9null_typeES8_S8_S8_S8_S8_S8_S8_EEEEZNS1_11reduce_implILb1ES3_NS6_12zip_iteratorINS7_INS6_11hip_rocprim26transform_input_iterator_tIbPaNS6_6detail10functional5actorINSH_9compositeIJNSH_27transparent_binary_operatorINS6_8equal_toIvEEEENSI_INSH_8argumentILj0EEEEENSH_5valueIaEEEEEEEEENSD_19counting_iterator_tIlEES8_S8_S8_S8_S8_S8_S8_S8_EEEEPS9_S9_NSD_9__find_if7functorIS9_EEEE10hipError_tPvRmT1_T2_T3_mT4_P12ihipStream_tbEUlT_E0_NS1_11comp_targetILNS1_3genE0ELNS1_11target_archE4294967295ELNS1_3gpuE0ELNS1_3repE0EEENS1_30default_config_static_selectorELNS0_4arch9wavefront6targetE1EEEvS17_,"axG",@progbits,_ZN7rocprim17ROCPRIM_400000_NS6detail17trampoline_kernelINS0_14default_configENS1_22reduce_config_selectorIN6thrust23THRUST_200600_302600_NS5tupleIblNS6_9null_typeES8_S8_S8_S8_S8_S8_S8_EEEEZNS1_11reduce_implILb1ES3_NS6_12zip_iteratorINS7_INS6_11hip_rocprim26transform_input_iterator_tIbPaNS6_6detail10functional5actorINSH_9compositeIJNSH_27transparent_binary_operatorINS6_8equal_toIvEEEENSI_INSH_8argumentILj0EEEEENSH_5valueIaEEEEEEEEENSD_19counting_iterator_tIlEES8_S8_S8_S8_S8_S8_S8_S8_EEEEPS9_S9_NSD_9__find_if7functorIS9_EEEE10hipError_tPvRmT1_T2_T3_mT4_P12ihipStream_tbEUlT_E0_NS1_11comp_targetILNS1_3genE0ELNS1_11target_archE4294967295ELNS1_3gpuE0ELNS1_3repE0EEENS1_30default_config_static_selectorELNS0_4arch9wavefront6targetE1EEEvS17_,comdat
.Lfunc_end708:
	.size	_ZN7rocprim17ROCPRIM_400000_NS6detail17trampoline_kernelINS0_14default_configENS1_22reduce_config_selectorIN6thrust23THRUST_200600_302600_NS5tupleIblNS6_9null_typeES8_S8_S8_S8_S8_S8_S8_EEEEZNS1_11reduce_implILb1ES3_NS6_12zip_iteratorINS7_INS6_11hip_rocprim26transform_input_iterator_tIbPaNS6_6detail10functional5actorINSH_9compositeIJNSH_27transparent_binary_operatorINS6_8equal_toIvEEEENSI_INSH_8argumentILj0EEEEENSH_5valueIaEEEEEEEEENSD_19counting_iterator_tIlEES8_S8_S8_S8_S8_S8_S8_S8_EEEEPS9_S9_NSD_9__find_if7functorIS9_EEEE10hipError_tPvRmT1_T2_T3_mT4_P12ihipStream_tbEUlT_E0_NS1_11comp_targetILNS1_3genE0ELNS1_11target_archE4294967295ELNS1_3gpuE0ELNS1_3repE0EEENS1_30default_config_static_selectorELNS0_4arch9wavefront6targetE1EEEvS17_, .Lfunc_end708-_ZN7rocprim17ROCPRIM_400000_NS6detail17trampoline_kernelINS0_14default_configENS1_22reduce_config_selectorIN6thrust23THRUST_200600_302600_NS5tupleIblNS6_9null_typeES8_S8_S8_S8_S8_S8_S8_EEEEZNS1_11reduce_implILb1ES3_NS6_12zip_iteratorINS7_INS6_11hip_rocprim26transform_input_iterator_tIbPaNS6_6detail10functional5actorINSH_9compositeIJNSH_27transparent_binary_operatorINS6_8equal_toIvEEEENSI_INSH_8argumentILj0EEEEENSH_5valueIaEEEEEEEEENSD_19counting_iterator_tIlEES8_S8_S8_S8_S8_S8_S8_S8_EEEEPS9_S9_NSD_9__find_if7functorIS9_EEEE10hipError_tPvRmT1_T2_T3_mT4_P12ihipStream_tbEUlT_E0_NS1_11comp_targetILNS1_3genE0ELNS1_11target_archE4294967295ELNS1_3gpuE0ELNS1_3repE0EEENS1_30default_config_static_selectorELNS0_4arch9wavefront6targetE1EEEvS17_
                                        ; -- End function
	.set _ZN7rocprim17ROCPRIM_400000_NS6detail17trampoline_kernelINS0_14default_configENS1_22reduce_config_selectorIN6thrust23THRUST_200600_302600_NS5tupleIblNS6_9null_typeES8_S8_S8_S8_S8_S8_S8_EEEEZNS1_11reduce_implILb1ES3_NS6_12zip_iteratorINS7_INS6_11hip_rocprim26transform_input_iterator_tIbPaNS6_6detail10functional5actorINSH_9compositeIJNSH_27transparent_binary_operatorINS6_8equal_toIvEEEENSI_INSH_8argumentILj0EEEEENSH_5valueIaEEEEEEEEENSD_19counting_iterator_tIlEES8_S8_S8_S8_S8_S8_S8_S8_EEEEPS9_S9_NSD_9__find_if7functorIS9_EEEE10hipError_tPvRmT1_T2_T3_mT4_P12ihipStream_tbEUlT_E0_NS1_11comp_targetILNS1_3genE0ELNS1_11target_archE4294967295ELNS1_3gpuE0ELNS1_3repE0EEENS1_30default_config_static_selectorELNS0_4arch9wavefront6targetE1EEEvS17_.num_vgpr, 0
	.set _ZN7rocprim17ROCPRIM_400000_NS6detail17trampoline_kernelINS0_14default_configENS1_22reduce_config_selectorIN6thrust23THRUST_200600_302600_NS5tupleIblNS6_9null_typeES8_S8_S8_S8_S8_S8_S8_EEEEZNS1_11reduce_implILb1ES3_NS6_12zip_iteratorINS7_INS6_11hip_rocprim26transform_input_iterator_tIbPaNS6_6detail10functional5actorINSH_9compositeIJNSH_27transparent_binary_operatorINS6_8equal_toIvEEEENSI_INSH_8argumentILj0EEEEENSH_5valueIaEEEEEEEEENSD_19counting_iterator_tIlEES8_S8_S8_S8_S8_S8_S8_S8_EEEEPS9_S9_NSD_9__find_if7functorIS9_EEEE10hipError_tPvRmT1_T2_T3_mT4_P12ihipStream_tbEUlT_E0_NS1_11comp_targetILNS1_3genE0ELNS1_11target_archE4294967295ELNS1_3gpuE0ELNS1_3repE0EEENS1_30default_config_static_selectorELNS0_4arch9wavefront6targetE1EEEvS17_.num_agpr, 0
	.set _ZN7rocprim17ROCPRIM_400000_NS6detail17trampoline_kernelINS0_14default_configENS1_22reduce_config_selectorIN6thrust23THRUST_200600_302600_NS5tupleIblNS6_9null_typeES8_S8_S8_S8_S8_S8_S8_EEEEZNS1_11reduce_implILb1ES3_NS6_12zip_iteratorINS7_INS6_11hip_rocprim26transform_input_iterator_tIbPaNS6_6detail10functional5actorINSH_9compositeIJNSH_27transparent_binary_operatorINS6_8equal_toIvEEEENSI_INSH_8argumentILj0EEEEENSH_5valueIaEEEEEEEEENSD_19counting_iterator_tIlEES8_S8_S8_S8_S8_S8_S8_S8_EEEEPS9_S9_NSD_9__find_if7functorIS9_EEEE10hipError_tPvRmT1_T2_T3_mT4_P12ihipStream_tbEUlT_E0_NS1_11comp_targetILNS1_3genE0ELNS1_11target_archE4294967295ELNS1_3gpuE0ELNS1_3repE0EEENS1_30default_config_static_selectorELNS0_4arch9wavefront6targetE1EEEvS17_.numbered_sgpr, 0
	.set _ZN7rocprim17ROCPRIM_400000_NS6detail17trampoline_kernelINS0_14default_configENS1_22reduce_config_selectorIN6thrust23THRUST_200600_302600_NS5tupleIblNS6_9null_typeES8_S8_S8_S8_S8_S8_S8_EEEEZNS1_11reduce_implILb1ES3_NS6_12zip_iteratorINS7_INS6_11hip_rocprim26transform_input_iterator_tIbPaNS6_6detail10functional5actorINSH_9compositeIJNSH_27transparent_binary_operatorINS6_8equal_toIvEEEENSI_INSH_8argumentILj0EEEEENSH_5valueIaEEEEEEEEENSD_19counting_iterator_tIlEES8_S8_S8_S8_S8_S8_S8_S8_EEEEPS9_S9_NSD_9__find_if7functorIS9_EEEE10hipError_tPvRmT1_T2_T3_mT4_P12ihipStream_tbEUlT_E0_NS1_11comp_targetILNS1_3genE0ELNS1_11target_archE4294967295ELNS1_3gpuE0ELNS1_3repE0EEENS1_30default_config_static_selectorELNS0_4arch9wavefront6targetE1EEEvS17_.num_named_barrier, 0
	.set _ZN7rocprim17ROCPRIM_400000_NS6detail17trampoline_kernelINS0_14default_configENS1_22reduce_config_selectorIN6thrust23THRUST_200600_302600_NS5tupleIblNS6_9null_typeES8_S8_S8_S8_S8_S8_S8_EEEEZNS1_11reduce_implILb1ES3_NS6_12zip_iteratorINS7_INS6_11hip_rocprim26transform_input_iterator_tIbPaNS6_6detail10functional5actorINSH_9compositeIJNSH_27transparent_binary_operatorINS6_8equal_toIvEEEENSI_INSH_8argumentILj0EEEEENSH_5valueIaEEEEEEEEENSD_19counting_iterator_tIlEES8_S8_S8_S8_S8_S8_S8_S8_EEEEPS9_S9_NSD_9__find_if7functorIS9_EEEE10hipError_tPvRmT1_T2_T3_mT4_P12ihipStream_tbEUlT_E0_NS1_11comp_targetILNS1_3genE0ELNS1_11target_archE4294967295ELNS1_3gpuE0ELNS1_3repE0EEENS1_30default_config_static_selectorELNS0_4arch9wavefront6targetE1EEEvS17_.private_seg_size, 0
	.set _ZN7rocprim17ROCPRIM_400000_NS6detail17trampoline_kernelINS0_14default_configENS1_22reduce_config_selectorIN6thrust23THRUST_200600_302600_NS5tupleIblNS6_9null_typeES8_S8_S8_S8_S8_S8_S8_EEEEZNS1_11reduce_implILb1ES3_NS6_12zip_iteratorINS7_INS6_11hip_rocprim26transform_input_iterator_tIbPaNS6_6detail10functional5actorINSH_9compositeIJNSH_27transparent_binary_operatorINS6_8equal_toIvEEEENSI_INSH_8argumentILj0EEEEENSH_5valueIaEEEEEEEEENSD_19counting_iterator_tIlEES8_S8_S8_S8_S8_S8_S8_S8_EEEEPS9_S9_NSD_9__find_if7functorIS9_EEEE10hipError_tPvRmT1_T2_T3_mT4_P12ihipStream_tbEUlT_E0_NS1_11comp_targetILNS1_3genE0ELNS1_11target_archE4294967295ELNS1_3gpuE0ELNS1_3repE0EEENS1_30default_config_static_selectorELNS0_4arch9wavefront6targetE1EEEvS17_.uses_vcc, 0
	.set _ZN7rocprim17ROCPRIM_400000_NS6detail17trampoline_kernelINS0_14default_configENS1_22reduce_config_selectorIN6thrust23THRUST_200600_302600_NS5tupleIblNS6_9null_typeES8_S8_S8_S8_S8_S8_S8_EEEEZNS1_11reduce_implILb1ES3_NS6_12zip_iteratorINS7_INS6_11hip_rocprim26transform_input_iterator_tIbPaNS6_6detail10functional5actorINSH_9compositeIJNSH_27transparent_binary_operatorINS6_8equal_toIvEEEENSI_INSH_8argumentILj0EEEEENSH_5valueIaEEEEEEEEENSD_19counting_iterator_tIlEES8_S8_S8_S8_S8_S8_S8_S8_EEEEPS9_S9_NSD_9__find_if7functorIS9_EEEE10hipError_tPvRmT1_T2_T3_mT4_P12ihipStream_tbEUlT_E0_NS1_11comp_targetILNS1_3genE0ELNS1_11target_archE4294967295ELNS1_3gpuE0ELNS1_3repE0EEENS1_30default_config_static_selectorELNS0_4arch9wavefront6targetE1EEEvS17_.uses_flat_scratch, 0
	.set _ZN7rocprim17ROCPRIM_400000_NS6detail17trampoline_kernelINS0_14default_configENS1_22reduce_config_selectorIN6thrust23THRUST_200600_302600_NS5tupleIblNS6_9null_typeES8_S8_S8_S8_S8_S8_S8_EEEEZNS1_11reduce_implILb1ES3_NS6_12zip_iteratorINS7_INS6_11hip_rocprim26transform_input_iterator_tIbPaNS6_6detail10functional5actorINSH_9compositeIJNSH_27transparent_binary_operatorINS6_8equal_toIvEEEENSI_INSH_8argumentILj0EEEEENSH_5valueIaEEEEEEEEENSD_19counting_iterator_tIlEES8_S8_S8_S8_S8_S8_S8_S8_EEEEPS9_S9_NSD_9__find_if7functorIS9_EEEE10hipError_tPvRmT1_T2_T3_mT4_P12ihipStream_tbEUlT_E0_NS1_11comp_targetILNS1_3genE0ELNS1_11target_archE4294967295ELNS1_3gpuE0ELNS1_3repE0EEENS1_30default_config_static_selectorELNS0_4arch9wavefront6targetE1EEEvS17_.has_dyn_sized_stack, 0
	.set _ZN7rocprim17ROCPRIM_400000_NS6detail17trampoline_kernelINS0_14default_configENS1_22reduce_config_selectorIN6thrust23THRUST_200600_302600_NS5tupleIblNS6_9null_typeES8_S8_S8_S8_S8_S8_S8_EEEEZNS1_11reduce_implILb1ES3_NS6_12zip_iteratorINS7_INS6_11hip_rocprim26transform_input_iterator_tIbPaNS6_6detail10functional5actorINSH_9compositeIJNSH_27transparent_binary_operatorINS6_8equal_toIvEEEENSI_INSH_8argumentILj0EEEEENSH_5valueIaEEEEEEEEENSD_19counting_iterator_tIlEES8_S8_S8_S8_S8_S8_S8_S8_EEEEPS9_S9_NSD_9__find_if7functorIS9_EEEE10hipError_tPvRmT1_T2_T3_mT4_P12ihipStream_tbEUlT_E0_NS1_11comp_targetILNS1_3genE0ELNS1_11target_archE4294967295ELNS1_3gpuE0ELNS1_3repE0EEENS1_30default_config_static_selectorELNS0_4arch9wavefront6targetE1EEEvS17_.has_recursion, 0
	.set _ZN7rocprim17ROCPRIM_400000_NS6detail17trampoline_kernelINS0_14default_configENS1_22reduce_config_selectorIN6thrust23THRUST_200600_302600_NS5tupleIblNS6_9null_typeES8_S8_S8_S8_S8_S8_S8_EEEEZNS1_11reduce_implILb1ES3_NS6_12zip_iteratorINS7_INS6_11hip_rocprim26transform_input_iterator_tIbPaNS6_6detail10functional5actorINSH_9compositeIJNSH_27transparent_binary_operatorINS6_8equal_toIvEEEENSI_INSH_8argumentILj0EEEEENSH_5valueIaEEEEEEEEENSD_19counting_iterator_tIlEES8_S8_S8_S8_S8_S8_S8_S8_EEEEPS9_S9_NSD_9__find_if7functorIS9_EEEE10hipError_tPvRmT1_T2_T3_mT4_P12ihipStream_tbEUlT_E0_NS1_11comp_targetILNS1_3genE0ELNS1_11target_archE4294967295ELNS1_3gpuE0ELNS1_3repE0EEENS1_30default_config_static_selectorELNS0_4arch9wavefront6targetE1EEEvS17_.has_indirect_call, 0
	.section	.AMDGPU.csdata,"",@progbits
; Kernel info:
; codeLenInByte = 0
; TotalNumSgprs: 4
; NumVgprs: 0
; ScratchSize: 0
; MemoryBound: 0
; FloatMode: 240
; IeeeMode: 1
; LDSByteSize: 0 bytes/workgroup (compile time only)
; SGPRBlocks: 0
; VGPRBlocks: 0
; NumSGPRsForWavesPerEU: 4
; NumVGPRsForWavesPerEU: 1
; Occupancy: 10
; WaveLimiterHint : 0
; COMPUTE_PGM_RSRC2:SCRATCH_EN: 0
; COMPUTE_PGM_RSRC2:USER_SGPR: 6
; COMPUTE_PGM_RSRC2:TRAP_HANDLER: 0
; COMPUTE_PGM_RSRC2:TGID_X_EN: 1
; COMPUTE_PGM_RSRC2:TGID_Y_EN: 0
; COMPUTE_PGM_RSRC2:TGID_Z_EN: 0
; COMPUTE_PGM_RSRC2:TIDIG_COMP_CNT: 0
	.section	.text._ZN7rocprim17ROCPRIM_400000_NS6detail17trampoline_kernelINS0_14default_configENS1_22reduce_config_selectorIN6thrust23THRUST_200600_302600_NS5tupleIblNS6_9null_typeES8_S8_S8_S8_S8_S8_S8_EEEEZNS1_11reduce_implILb1ES3_NS6_12zip_iteratorINS7_INS6_11hip_rocprim26transform_input_iterator_tIbPaNS6_6detail10functional5actorINSH_9compositeIJNSH_27transparent_binary_operatorINS6_8equal_toIvEEEENSI_INSH_8argumentILj0EEEEENSH_5valueIaEEEEEEEEENSD_19counting_iterator_tIlEES8_S8_S8_S8_S8_S8_S8_S8_EEEEPS9_S9_NSD_9__find_if7functorIS9_EEEE10hipError_tPvRmT1_T2_T3_mT4_P12ihipStream_tbEUlT_E0_NS1_11comp_targetILNS1_3genE5ELNS1_11target_archE942ELNS1_3gpuE9ELNS1_3repE0EEENS1_30default_config_static_selectorELNS0_4arch9wavefront6targetE1EEEvS17_,"axG",@progbits,_ZN7rocprim17ROCPRIM_400000_NS6detail17trampoline_kernelINS0_14default_configENS1_22reduce_config_selectorIN6thrust23THRUST_200600_302600_NS5tupleIblNS6_9null_typeES8_S8_S8_S8_S8_S8_S8_EEEEZNS1_11reduce_implILb1ES3_NS6_12zip_iteratorINS7_INS6_11hip_rocprim26transform_input_iterator_tIbPaNS6_6detail10functional5actorINSH_9compositeIJNSH_27transparent_binary_operatorINS6_8equal_toIvEEEENSI_INSH_8argumentILj0EEEEENSH_5valueIaEEEEEEEEENSD_19counting_iterator_tIlEES8_S8_S8_S8_S8_S8_S8_S8_EEEEPS9_S9_NSD_9__find_if7functorIS9_EEEE10hipError_tPvRmT1_T2_T3_mT4_P12ihipStream_tbEUlT_E0_NS1_11comp_targetILNS1_3genE5ELNS1_11target_archE942ELNS1_3gpuE9ELNS1_3repE0EEENS1_30default_config_static_selectorELNS0_4arch9wavefront6targetE1EEEvS17_,comdat
	.protected	_ZN7rocprim17ROCPRIM_400000_NS6detail17trampoline_kernelINS0_14default_configENS1_22reduce_config_selectorIN6thrust23THRUST_200600_302600_NS5tupleIblNS6_9null_typeES8_S8_S8_S8_S8_S8_S8_EEEEZNS1_11reduce_implILb1ES3_NS6_12zip_iteratorINS7_INS6_11hip_rocprim26transform_input_iterator_tIbPaNS6_6detail10functional5actorINSH_9compositeIJNSH_27transparent_binary_operatorINS6_8equal_toIvEEEENSI_INSH_8argumentILj0EEEEENSH_5valueIaEEEEEEEEENSD_19counting_iterator_tIlEES8_S8_S8_S8_S8_S8_S8_S8_EEEEPS9_S9_NSD_9__find_if7functorIS9_EEEE10hipError_tPvRmT1_T2_T3_mT4_P12ihipStream_tbEUlT_E0_NS1_11comp_targetILNS1_3genE5ELNS1_11target_archE942ELNS1_3gpuE9ELNS1_3repE0EEENS1_30default_config_static_selectorELNS0_4arch9wavefront6targetE1EEEvS17_ ; -- Begin function _ZN7rocprim17ROCPRIM_400000_NS6detail17trampoline_kernelINS0_14default_configENS1_22reduce_config_selectorIN6thrust23THRUST_200600_302600_NS5tupleIblNS6_9null_typeES8_S8_S8_S8_S8_S8_S8_EEEEZNS1_11reduce_implILb1ES3_NS6_12zip_iteratorINS7_INS6_11hip_rocprim26transform_input_iterator_tIbPaNS6_6detail10functional5actorINSH_9compositeIJNSH_27transparent_binary_operatorINS6_8equal_toIvEEEENSI_INSH_8argumentILj0EEEEENSH_5valueIaEEEEEEEEENSD_19counting_iterator_tIlEES8_S8_S8_S8_S8_S8_S8_S8_EEEEPS9_S9_NSD_9__find_if7functorIS9_EEEE10hipError_tPvRmT1_T2_T3_mT4_P12ihipStream_tbEUlT_E0_NS1_11comp_targetILNS1_3genE5ELNS1_11target_archE942ELNS1_3gpuE9ELNS1_3repE0EEENS1_30default_config_static_selectorELNS0_4arch9wavefront6targetE1EEEvS17_
	.globl	_ZN7rocprim17ROCPRIM_400000_NS6detail17trampoline_kernelINS0_14default_configENS1_22reduce_config_selectorIN6thrust23THRUST_200600_302600_NS5tupleIblNS6_9null_typeES8_S8_S8_S8_S8_S8_S8_EEEEZNS1_11reduce_implILb1ES3_NS6_12zip_iteratorINS7_INS6_11hip_rocprim26transform_input_iterator_tIbPaNS6_6detail10functional5actorINSH_9compositeIJNSH_27transparent_binary_operatorINS6_8equal_toIvEEEENSI_INSH_8argumentILj0EEEEENSH_5valueIaEEEEEEEEENSD_19counting_iterator_tIlEES8_S8_S8_S8_S8_S8_S8_S8_EEEEPS9_S9_NSD_9__find_if7functorIS9_EEEE10hipError_tPvRmT1_T2_T3_mT4_P12ihipStream_tbEUlT_E0_NS1_11comp_targetILNS1_3genE5ELNS1_11target_archE942ELNS1_3gpuE9ELNS1_3repE0EEENS1_30default_config_static_selectorELNS0_4arch9wavefront6targetE1EEEvS17_
	.p2align	8
	.type	_ZN7rocprim17ROCPRIM_400000_NS6detail17trampoline_kernelINS0_14default_configENS1_22reduce_config_selectorIN6thrust23THRUST_200600_302600_NS5tupleIblNS6_9null_typeES8_S8_S8_S8_S8_S8_S8_EEEEZNS1_11reduce_implILb1ES3_NS6_12zip_iteratorINS7_INS6_11hip_rocprim26transform_input_iterator_tIbPaNS6_6detail10functional5actorINSH_9compositeIJNSH_27transparent_binary_operatorINS6_8equal_toIvEEEENSI_INSH_8argumentILj0EEEEENSH_5valueIaEEEEEEEEENSD_19counting_iterator_tIlEES8_S8_S8_S8_S8_S8_S8_S8_EEEEPS9_S9_NSD_9__find_if7functorIS9_EEEE10hipError_tPvRmT1_T2_T3_mT4_P12ihipStream_tbEUlT_E0_NS1_11comp_targetILNS1_3genE5ELNS1_11target_archE942ELNS1_3gpuE9ELNS1_3repE0EEENS1_30default_config_static_selectorELNS0_4arch9wavefront6targetE1EEEvS17_,@function
_ZN7rocprim17ROCPRIM_400000_NS6detail17trampoline_kernelINS0_14default_configENS1_22reduce_config_selectorIN6thrust23THRUST_200600_302600_NS5tupleIblNS6_9null_typeES8_S8_S8_S8_S8_S8_S8_EEEEZNS1_11reduce_implILb1ES3_NS6_12zip_iteratorINS7_INS6_11hip_rocprim26transform_input_iterator_tIbPaNS6_6detail10functional5actorINSH_9compositeIJNSH_27transparent_binary_operatorINS6_8equal_toIvEEEENSI_INSH_8argumentILj0EEEEENSH_5valueIaEEEEEEEEENSD_19counting_iterator_tIlEES8_S8_S8_S8_S8_S8_S8_S8_EEEEPS9_S9_NSD_9__find_if7functorIS9_EEEE10hipError_tPvRmT1_T2_T3_mT4_P12ihipStream_tbEUlT_E0_NS1_11comp_targetILNS1_3genE5ELNS1_11target_archE942ELNS1_3gpuE9ELNS1_3repE0EEENS1_30default_config_static_selectorELNS0_4arch9wavefront6targetE1EEEvS17_: ; @_ZN7rocprim17ROCPRIM_400000_NS6detail17trampoline_kernelINS0_14default_configENS1_22reduce_config_selectorIN6thrust23THRUST_200600_302600_NS5tupleIblNS6_9null_typeES8_S8_S8_S8_S8_S8_S8_EEEEZNS1_11reduce_implILb1ES3_NS6_12zip_iteratorINS7_INS6_11hip_rocprim26transform_input_iterator_tIbPaNS6_6detail10functional5actorINSH_9compositeIJNSH_27transparent_binary_operatorINS6_8equal_toIvEEEENSI_INSH_8argumentILj0EEEEENSH_5valueIaEEEEEEEEENSD_19counting_iterator_tIlEES8_S8_S8_S8_S8_S8_S8_S8_EEEEPS9_S9_NSD_9__find_if7functorIS9_EEEE10hipError_tPvRmT1_T2_T3_mT4_P12ihipStream_tbEUlT_E0_NS1_11comp_targetILNS1_3genE5ELNS1_11target_archE942ELNS1_3gpuE9ELNS1_3repE0EEENS1_30default_config_static_selectorELNS0_4arch9wavefront6targetE1EEEvS17_
; %bb.0:
	.section	.rodata,"a",@progbits
	.p2align	6, 0x0
	.amdhsa_kernel _ZN7rocprim17ROCPRIM_400000_NS6detail17trampoline_kernelINS0_14default_configENS1_22reduce_config_selectorIN6thrust23THRUST_200600_302600_NS5tupleIblNS6_9null_typeES8_S8_S8_S8_S8_S8_S8_EEEEZNS1_11reduce_implILb1ES3_NS6_12zip_iteratorINS7_INS6_11hip_rocprim26transform_input_iterator_tIbPaNS6_6detail10functional5actorINSH_9compositeIJNSH_27transparent_binary_operatorINS6_8equal_toIvEEEENSI_INSH_8argumentILj0EEEEENSH_5valueIaEEEEEEEEENSD_19counting_iterator_tIlEES8_S8_S8_S8_S8_S8_S8_S8_EEEEPS9_S9_NSD_9__find_if7functorIS9_EEEE10hipError_tPvRmT1_T2_T3_mT4_P12ihipStream_tbEUlT_E0_NS1_11comp_targetILNS1_3genE5ELNS1_11target_archE942ELNS1_3gpuE9ELNS1_3repE0EEENS1_30default_config_static_selectorELNS0_4arch9wavefront6targetE1EEEvS17_
		.amdhsa_group_segment_fixed_size 0
		.amdhsa_private_segment_fixed_size 0
		.amdhsa_kernarg_size 88
		.amdhsa_user_sgpr_count 6
		.amdhsa_user_sgpr_private_segment_buffer 1
		.amdhsa_user_sgpr_dispatch_ptr 0
		.amdhsa_user_sgpr_queue_ptr 0
		.amdhsa_user_sgpr_kernarg_segment_ptr 1
		.amdhsa_user_sgpr_dispatch_id 0
		.amdhsa_user_sgpr_flat_scratch_init 0
		.amdhsa_user_sgpr_private_segment_size 0
		.amdhsa_uses_dynamic_stack 0
		.amdhsa_system_sgpr_private_segment_wavefront_offset 0
		.amdhsa_system_sgpr_workgroup_id_x 1
		.amdhsa_system_sgpr_workgroup_id_y 0
		.amdhsa_system_sgpr_workgroup_id_z 0
		.amdhsa_system_sgpr_workgroup_info 0
		.amdhsa_system_vgpr_workitem_id 0
		.amdhsa_next_free_vgpr 1
		.amdhsa_next_free_sgpr 0
		.amdhsa_reserve_vcc 0
		.amdhsa_reserve_flat_scratch 0
		.amdhsa_float_round_mode_32 0
		.amdhsa_float_round_mode_16_64 0
		.amdhsa_float_denorm_mode_32 3
		.amdhsa_float_denorm_mode_16_64 3
		.amdhsa_dx10_clamp 1
		.amdhsa_ieee_mode 1
		.amdhsa_fp16_overflow 0
		.amdhsa_exception_fp_ieee_invalid_op 0
		.amdhsa_exception_fp_denorm_src 0
		.amdhsa_exception_fp_ieee_div_zero 0
		.amdhsa_exception_fp_ieee_overflow 0
		.amdhsa_exception_fp_ieee_underflow 0
		.amdhsa_exception_fp_ieee_inexact 0
		.amdhsa_exception_int_div_zero 0
	.end_amdhsa_kernel
	.section	.text._ZN7rocprim17ROCPRIM_400000_NS6detail17trampoline_kernelINS0_14default_configENS1_22reduce_config_selectorIN6thrust23THRUST_200600_302600_NS5tupleIblNS6_9null_typeES8_S8_S8_S8_S8_S8_S8_EEEEZNS1_11reduce_implILb1ES3_NS6_12zip_iteratorINS7_INS6_11hip_rocprim26transform_input_iterator_tIbPaNS6_6detail10functional5actorINSH_9compositeIJNSH_27transparent_binary_operatorINS6_8equal_toIvEEEENSI_INSH_8argumentILj0EEEEENSH_5valueIaEEEEEEEEENSD_19counting_iterator_tIlEES8_S8_S8_S8_S8_S8_S8_S8_EEEEPS9_S9_NSD_9__find_if7functorIS9_EEEE10hipError_tPvRmT1_T2_T3_mT4_P12ihipStream_tbEUlT_E0_NS1_11comp_targetILNS1_3genE5ELNS1_11target_archE942ELNS1_3gpuE9ELNS1_3repE0EEENS1_30default_config_static_selectorELNS0_4arch9wavefront6targetE1EEEvS17_,"axG",@progbits,_ZN7rocprim17ROCPRIM_400000_NS6detail17trampoline_kernelINS0_14default_configENS1_22reduce_config_selectorIN6thrust23THRUST_200600_302600_NS5tupleIblNS6_9null_typeES8_S8_S8_S8_S8_S8_S8_EEEEZNS1_11reduce_implILb1ES3_NS6_12zip_iteratorINS7_INS6_11hip_rocprim26transform_input_iterator_tIbPaNS6_6detail10functional5actorINSH_9compositeIJNSH_27transparent_binary_operatorINS6_8equal_toIvEEEENSI_INSH_8argumentILj0EEEEENSH_5valueIaEEEEEEEEENSD_19counting_iterator_tIlEES8_S8_S8_S8_S8_S8_S8_S8_EEEEPS9_S9_NSD_9__find_if7functorIS9_EEEE10hipError_tPvRmT1_T2_T3_mT4_P12ihipStream_tbEUlT_E0_NS1_11comp_targetILNS1_3genE5ELNS1_11target_archE942ELNS1_3gpuE9ELNS1_3repE0EEENS1_30default_config_static_selectorELNS0_4arch9wavefront6targetE1EEEvS17_,comdat
.Lfunc_end709:
	.size	_ZN7rocprim17ROCPRIM_400000_NS6detail17trampoline_kernelINS0_14default_configENS1_22reduce_config_selectorIN6thrust23THRUST_200600_302600_NS5tupleIblNS6_9null_typeES8_S8_S8_S8_S8_S8_S8_EEEEZNS1_11reduce_implILb1ES3_NS6_12zip_iteratorINS7_INS6_11hip_rocprim26transform_input_iterator_tIbPaNS6_6detail10functional5actorINSH_9compositeIJNSH_27transparent_binary_operatorINS6_8equal_toIvEEEENSI_INSH_8argumentILj0EEEEENSH_5valueIaEEEEEEEEENSD_19counting_iterator_tIlEES8_S8_S8_S8_S8_S8_S8_S8_EEEEPS9_S9_NSD_9__find_if7functorIS9_EEEE10hipError_tPvRmT1_T2_T3_mT4_P12ihipStream_tbEUlT_E0_NS1_11comp_targetILNS1_3genE5ELNS1_11target_archE942ELNS1_3gpuE9ELNS1_3repE0EEENS1_30default_config_static_selectorELNS0_4arch9wavefront6targetE1EEEvS17_, .Lfunc_end709-_ZN7rocprim17ROCPRIM_400000_NS6detail17trampoline_kernelINS0_14default_configENS1_22reduce_config_selectorIN6thrust23THRUST_200600_302600_NS5tupleIblNS6_9null_typeES8_S8_S8_S8_S8_S8_S8_EEEEZNS1_11reduce_implILb1ES3_NS6_12zip_iteratorINS7_INS6_11hip_rocprim26transform_input_iterator_tIbPaNS6_6detail10functional5actorINSH_9compositeIJNSH_27transparent_binary_operatorINS6_8equal_toIvEEEENSI_INSH_8argumentILj0EEEEENSH_5valueIaEEEEEEEEENSD_19counting_iterator_tIlEES8_S8_S8_S8_S8_S8_S8_S8_EEEEPS9_S9_NSD_9__find_if7functorIS9_EEEE10hipError_tPvRmT1_T2_T3_mT4_P12ihipStream_tbEUlT_E0_NS1_11comp_targetILNS1_3genE5ELNS1_11target_archE942ELNS1_3gpuE9ELNS1_3repE0EEENS1_30default_config_static_selectorELNS0_4arch9wavefront6targetE1EEEvS17_
                                        ; -- End function
	.set _ZN7rocprim17ROCPRIM_400000_NS6detail17trampoline_kernelINS0_14default_configENS1_22reduce_config_selectorIN6thrust23THRUST_200600_302600_NS5tupleIblNS6_9null_typeES8_S8_S8_S8_S8_S8_S8_EEEEZNS1_11reduce_implILb1ES3_NS6_12zip_iteratorINS7_INS6_11hip_rocprim26transform_input_iterator_tIbPaNS6_6detail10functional5actorINSH_9compositeIJNSH_27transparent_binary_operatorINS6_8equal_toIvEEEENSI_INSH_8argumentILj0EEEEENSH_5valueIaEEEEEEEEENSD_19counting_iterator_tIlEES8_S8_S8_S8_S8_S8_S8_S8_EEEEPS9_S9_NSD_9__find_if7functorIS9_EEEE10hipError_tPvRmT1_T2_T3_mT4_P12ihipStream_tbEUlT_E0_NS1_11comp_targetILNS1_3genE5ELNS1_11target_archE942ELNS1_3gpuE9ELNS1_3repE0EEENS1_30default_config_static_selectorELNS0_4arch9wavefront6targetE1EEEvS17_.num_vgpr, 0
	.set _ZN7rocprim17ROCPRIM_400000_NS6detail17trampoline_kernelINS0_14default_configENS1_22reduce_config_selectorIN6thrust23THRUST_200600_302600_NS5tupleIblNS6_9null_typeES8_S8_S8_S8_S8_S8_S8_EEEEZNS1_11reduce_implILb1ES3_NS6_12zip_iteratorINS7_INS6_11hip_rocprim26transform_input_iterator_tIbPaNS6_6detail10functional5actorINSH_9compositeIJNSH_27transparent_binary_operatorINS6_8equal_toIvEEEENSI_INSH_8argumentILj0EEEEENSH_5valueIaEEEEEEEEENSD_19counting_iterator_tIlEES8_S8_S8_S8_S8_S8_S8_S8_EEEEPS9_S9_NSD_9__find_if7functorIS9_EEEE10hipError_tPvRmT1_T2_T3_mT4_P12ihipStream_tbEUlT_E0_NS1_11comp_targetILNS1_3genE5ELNS1_11target_archE942ELNS1_3gpuE9ELNS1_3repE0EEENS1_30default_config_static_selectorELNS0_4arch9wavefront6targetE1EEEvS17_.num_agpr, 0
	.set _ZN7rocprim17ROCPRIM_400000_NS6detail17trampoline_kernelINS0_14default_configENS1_22reduce_config_selectorIN6thrust23THRUST_200600_302600_NS5tupleIblNS6_9null_typeES8_S8_S8_S8_S8_S8_S8_EEEEZNS1_11reduce_implILb1ES3_NS6_12zip_iteratorINS7_INS6_11hip_rocprim26transform_input_iterator_tIbPaNS6_6detail10functional5actorINSH_9compositeIJNSH_27transparent_binary_operatorINS6_8equal_toIvEEEENSI_INSH_8argumentILj0EEEEENSH_5valueIaEEEEEEEEENSD_19counting_iterator_tIlEES8_S8_S8_S8_S8_S8_S8_S8_EEEEPS9_S9_NSD_9__find_if7functorIS9_EEEE10hipError_tPvRmT1_T2_T3_mT4_P12ihipStream_tbEUlT_E0_NS1_11comp_targetILNS1_3genE5ELNS1_11target_archE942ELNS1_3gpuE9ELNS1_3repE0EEENS1_30default_config_static_selectorELNS0_4arch9wavefront6targetE1EEEvS17_.numbered_sgpr, 0
	.set _ZN7rocprim17ROCPRIM_400000_NS6detail17trampoline_kernelINS0_14default_configENS1_22reduce_config_selectorIN6thrust23THRUST_200600_302600_NS5tupleIblNS6_9null_typeES8_S8_S8_S8_S8_S8_S8_EEEEZNS1_11reduce_implILb1ES3_NS6_12zip_iteratorINS7_INS6_11hip_rocprim26transform_input_iterator_tIbPaNS6_6detail10functional5actorINSH_9compositeIJNSH_27transparent_binary_operatorINS6_8equal_toIvEEEENSI_INSH_8argumentILj0EEEEENSH_5valueIaEEEEEEEEENSD_19counting_iterator_tIlEES8_S8_S8_S8_S8_S8_S8_S8_EEEEPS9_S9_NSD_9__find_if7functorIS9_EEEE10hipError_tPvRmT1_T2_T3_mT4_P12ihipStream_tbEUlT_E0_NS1_11comp_targetILNS1_3genE5ELNS1_11target_archE942ELNS1_3gpuE9ELNS1_3repE0EEENS1_30default_config_static_selectorELNS0_4arch9wavefront6targetE1EEEvS17_.num_named_barrier, 0
	.set _ZN7rocprim17ROCPRIM_400000_NS6detail17trampoline_kernelINS0_14default_configENS1_22reduce_config_selectorIN6thrust23THRUST_200600_302600_NS5tupleIblNS6_9null_typeES8_S8_S8_S8_S8_S8_S8_EEEEZNS1_11reduce_implILb1ES3_NS6_12zip_iteratorINS7_INS6_11hip_rocprim26transform_input_iterator_tIbPaNS6_6detail10functional5actorINSH_9compositeIJNSH_27transparent_binary_operatorINS6_8equal_toIvEEEENSI_INSH_8argumentILj0EEEEENSH_5valueIaEEEEEEEEENSD_19counting_iterator_tIlEES8_S8_S8_S8_S8_S8_S8_S8_EEEEPS9_S9_NSD_9__find_if7functorIS9_EEEE10hipError_tPvRmT1_T2_T3_mT4_P12ihipStream_tbEUlT_E0_NS1_11comp_targetILNS1_3genE5ELNS1_11target_archE942ELNS1_3gpuE9ELNS1_3repE0EEENS1_30default_config_static_selectorELNS0_4arch9wavefront6targetE1EEEvS17_.private_seg_size, 0
	.set _ZN7rocprim17ROCPRIM_400000_NS6detail17trampoline_kernelINS0_14default_configENS1_22reduce_config_selectorIN6thrust23THRUST_200600_302600_NS5tupleIblNS6_9null_typeES8_S8_S8_S8_S8_S8_S8_EEEEZNS1_11reduce_implILb1ES3_NS6_12zip_iteratorINS7_INS6_11hip_rocprim26transform_input_iterator_tIbPaNS6_6detail10functional5actorINSH_9compositeIJNSH_27transparent_binary_operatorINS6_8equal_toIvEEEENSI_INSH_8argumentILj0EEEEENSH_5valueIaEEEEEEEEENSD_19counting_iterator_tIlEES8_S8_S8_S8_S8_S8_S8_S8_EEEEPS9_S9_NSD_9__find_if7functorIS9_EEEE10hipError_tPvRmT1_T2_T3_mT4_P12ihipStream_tbEUlT_E0_NS1_11comp_targetILNS1_3genE5ELNS1_11target_archE942ELNS1_3gpuE9ELNS1_3repE0EEENS1_30default_config_static_selectorELNS0_4arch9wavefront6targetE1EEEvS17_.uses_vcc, 0
	.set _ZN7rocprim17ROCPRIM_400000_NS6detail17trampoline_kernelINS0_14default_configENS1_22reduce_config_selectorIN6thrust23THRUST_200600_302600_NS5tupleIblNS6_9null_typeES8_S8_S8_S8_S8_S8_S8_EEEEZNS1_11reduce_implILb1ES3_NS6_12zip_iteratorINS7_INS6_11hip_rocprim26transform_input_iterator_tIbPaNS6_6detail10functional5actorINSH_9compositeIJNSH_27transparent_binary_operatorINS6_8equal_toIvEEEENSI_INSH_8argumentILj0EEEEENSH_5valueIaEEEEEEEEENSD_19counting_iterator_tIlEES8_S8_S8_S8_S8_S8_S8_S8_EEEEPS9_S9_NSD_9__find_if7functorIS9_EEEE10hipError_tPvRmT1_T2_T3_mT4_P12ihipStream_tbEUlT_E0_NS1_11comp_targetILNS1_3genE5ELNS1_11target_archE942ELNS1_3gpuE9ELNS1_3repE0EEENS1_30default_config_static_selectorELNS0_4arch9wavefront6targetE1EEEvS17_.uses_flat_scratch, 0
	.set _ZN7rocprim17ROCPRIM_400000_NS6detail17trampoline_kernelINS0_14default_configENS1_22reduce_config_selectorIN6thrust23THRUST_200600_302600_NS5tupleIblNS6_9null_typeES8_S8_S8_S8_S8_S8_S8_EEEEZNS1_11reduce_implILb1ES3_NS6_12zip_iteratorINS7_INS6_11hip_rocprim26transform_input_iterator_tIbPaNS6_6detail10functional5actorINSH_9compositeIJNSH_27transparent_binary_operatorINS6_8equal_toIvEEEENSI_INSH_8argumentILj0EEEEENSH_5valueIaEEEEEEEEENSD_19counting_iterator_tIlEES8_S8_S8_S8_S8_S8_S8_S8_EEEEPS9_S9_NSD_9__find_if7functorIS9_EEEE10hipError_tPvRmT1_T2_T3_mT4_P12ihipStream_tbEUlT_E0_NS1_11comp_targetILNS1_3genE5ELNS1_11target_archE942ELNS1_3gpuE9ELNS1_3repE0EEENS1_30default_config_static_selectorELNS0_4arch9wavefront6targetE1EEEvS17_.has_dyn_sized_stack, 0
	.set _ZN7rocprim17ROCPRIM_400000_NS6detail17trampoline_kernelINS0_14default_configENS1_22reduce_config_selectorIN6thrust23THRUST_200600_302600_NS5tupleIblNS6_9null_typeES8_S8_S8_S8_S8_S8_S8_EEEEZNS1_11reduce_implILb1ES3_NS6_12zip_iteratorINS7_INS6_11hip_rocprim26transform_input_iterator_tIbPaNS6_6detail10functional5actorINSH_9compositeIJNSH_27transparent_binary_operatorINS6_8equal_toIvEEEENSI_INSH_8argumentILj0EEEEENSH_5valueIaEEEEEEEEENSD_19counting_iterator_tIlEES8_S8_S8_S8_S8_S8_S8_S8_EEEEPS9_S9_NSD_9__find_if7functorIS9_EEEE10hipError_tPvRmT1_T2_T3_mT4_P12ihipStream_tbEUlT_E0_NS1_11comp_targetILNS1_3genE5ELNS1_11target_archE942ELNS1_3gpuE9ELNS1_3repE0EEENS1_30default_config_static_selectorELNS0_4arch9wavefront6targetE1EEEvS17_.has_recursion, 0
	.set _ZN7rocprim17ROCPRIM_400000_NS6detail17trampoline_kernelINS0_14default_configENS1_22reduce_config_selectorIN6thrust23THRUST_200600_302600_NS5tupleIblNS6_9null_typeES8_S8_S8_S8_S8_S8_S8_EEEEZNS1_11reduce_implILb1ES3_NS6_12zip_iteratorINS7_INS6_11hip_rocprim26transform_input_iterator_tIbPaNS6_6detail10functional5actorINSH_9compositeIJNSH_27transparent_binary_operatorINS6_8equal_toIvEEEENSI_INSH_8argumentILj0EEEEENSH_5valueIaEEEEEEEEENSD_19counting_iterator_tIlEES8_S8_S8_S8_S8_S8_S8_S8_EEEEPS9_S9_NSD_9__find_if7functorIS9_EEEE10hipError_tPvRmT1_T2_T3_mT4_P12ihipStream_tbEUlT_E0_NS1_11comp_targetILNS1_3genE5ELNS1_11target_archE942ELNS1_3gpuE9ELNS1_3repE0EEENS1_30default_config_static_selectorELNS0_4arch9wavefront6targetE1EEEvS17_.has_indirect_call, 0
	.section	.AMDGPU.csdata,"",@progbits
; Kernel info:
; codeLenInByte = 0
; TotalNumSgprs: 4
; NumVgprs: 0
; ScratchSize: 0
; MemoryBound: 0
; FloatMode: 240
; IeeeMode: 1
; LDSByteSize: 0 bytes/workgroup (compile time only)
; SGPRBlocks: 0
; VGPRBlocks: 0
; NumSGPRsForWavesPerEU: 4
; NumVGPRsForWavesPerEU: 1
; Occupancy: 10
; WaveLimiterHint : 0
; COMPUTE_PGM_RSRC2:SCRATCH_EN: 0
; COMPUTE_PGM_RSRC2:USER_SGPR: 6
; COMPUTE_PGM_RSRC2:TRAP_HANDLER: 0
; COMPUTE_PGM_RSRC2:TGID_X_EN: 1
; COMPUTE_PGM_RSRC2:TGID_Y_EN: 0
; COMPUTE_PGM_RSRC2:TGID_Z_EN: 0
; COMPUTE_PGM_RSRC2:TIDIG_COMP_CNT: 0
	.section	.text._ZN7rocprim17ROCPRIM_400000_NS6detail17trampoline_kernelINS0_14default_configENS1_22reduce_config_selectorIN6thrust23THRUST_200600_302600_NS5tupleIblNS6_9null_typeES8_S8_S8_S8_S8_S8_S8_EEEEZNS1_11reduce_implILb1ES3_NS6_12zip_iteratorINS7_INS6_11hip_rocprim26transform_input_iterator_tIbPaNS6_6detail10functional5actorINSH_9compositeIJNSH_27transparent_binary_operatorINS6_8equal_toIvEEEENSI_INSH_8argumentILj0EEEEENSH_5valueIaEEEEEEEEENSD_19counting_iterator_tIlEES8_S8_S8_S8_S8_S8_S8_S8_EEEEPS9_S9_NSD_9__find_if7functorIS9_EEEE10hipError_tPvRmT1_T2_T3_mT4_P12ihipStream_tbEUlT_E0_NS1_11comp_targetILNS1_3genE4ELNS1_11target_archE910ELNS1_3gpuE8ELNS1_3repE0EEENS1_30default_config_static_selectorELNS0_4arch9wavefront6targetE1EEEvS17_,"axG",@progbits,_ZN7rocprim17ROCPRIM_400000_NS6detail17trampoline_kernelINS0_14default_configENS1_22reduce_config_selectorIN6thrust23THRUST_200600_302600_NS5tupleIblNS6_9null_typeES8_S8_S8_S8_S8_S8_S8_EEEEZNS1_11reduce_implILb1ES3_NS6_12zip_iteratorINS7_INS6_11hip_rocprim26transform_input_iterator_tIbPaNS6_6detail10functional5actorINSH_9compositeIJNSH_27transparent_binary_operatorINS6_8equal_toIvEEEENSI_INSH_8argumentILj0EEEEENSH_5valueIaEEEEEEEEENSD_19counting_iterator_tIlEES8_S8_S8_S8_S8_S8_S8_S8_EEEEPS9_S9_NSD_9__find_if7functorIS9_EEEE10hipError_tPvRmT1_T2_T3_mT4_P12ihipStream_tbEUlT_E0_NS1_11comp_targetILNS1_3genE4ELNS1_11target_archE910ELNS1_3gpuE8ELNS1_3repE0EEENS1_30default_config_static_selectorELNS0_4arch9wavefront6targetE1EEEvS17_,comdat
	.protected	_ZN7rocprim17ROCPRIM_400000_NS6detail17trampoline_kernelINS0_14default_configENS1_22reduce_config_selectorIN6thrust23THRUST_200600_302600_NS5tupleIblNS6_9null_typeES8_S8_S8_S8_S8_S8_S8_EEEEZNS1_11reduce_implILb1ES3_NS6_12zip_iteratorINS7_INS6_11hip_rocprim26transform_input_iterator_tIbPaNS6_6detail10functional5actorINSH_9compositeIJNSH_27transparent_binary_operatorINS6_8equal_toIvEEEENSI_INSH_8argumentILj0EEEEENSH_5valueIaEEEEEEEEENSD_19counting_iterator_tIlEES8_S8_S8_S8_S8_S8_S8_S8_EEEEPS9_S9_NSD_9__find_if7functorIS9_EEEE10hipError_tPvRmT1_T2_T3_mT4_P12ihipStream_tbEUlT_E0_NS1_11comp_targetILNS1_3genE4ELNS1_11target_archE910ELNS1_3gpuE8ELNS1_3repE0EEENS1_30default_config_static_selectorELNS0_4arch9wavefront6targetE1EEEvS17_ ; -- Begin function _ZN7rocprim17ROCPRIM_400000_NS6detail17trampoline_kernelINS0_14default_configENS1_22reduce_config_selectorIN6thrust23THRUST_200600_302600_NS5tupleIblNS6_9null_typeES8_S8_S8_S8_S8_S8_S8_EEEEZNS1_11reduce_implILb1ES3_NS6_12zip_iteratorINS7_INS6_11hip_rocprim26transform_input_iterator_tIbPaNS6_6detail10functional5actorINSH_9compositeIJNSH_27transparent_binary_operatorINS6_8equal_toIvEEEENSI_INSH_8argumentILj0EEEEENSH_5valueIaEEEEEEEEENSD_19counting_iterator_tIlEES8_S8_S8_S8_S8_S8_S8_S8_EEEEPS9_S9_NSD_9__find_if7functorIS9_EEEE10hipError_tPvRmT1_T2_T3_mT4_P12ihipStream_tbEUlT_E0_NS1_11comp_targetILNS1_3genE4ELNS1_11target_archE910ELNS1_3gpuE8ELNS1_3repE0EEENS1_30default_config_static_selectorELNS0_4arch9wavefront6targetE1EEEvS17_
	.globl	_ZN7rocprim17ROCPRIM_400000_NS6detail17trampoline_kernelINS0_14default_configENS1_22reduce_config_selectorIN6thrust23THRUST_200600_302600_NS5tupleIblNS6_9null_typeES8_S8_S8_S8_S8_S8_S8_EEEEZNS1_11reduce_implILb1ES3_NS6_12zip_iteratorINS7_INS6_11hip_rocprim26transform_input_iterator_tIbPaNS6_6detail10functional5actorINSH_9compositeIJNSH_27transparent_binary_operatorINS6_8equal_toIvEEEENSI_INSH_8argumentILj0EEEEENSH_5valueIaEEEEEEEEENSD_19counting_iterator_tIlEES8_S8_S8_S8_S8_S8_S8_S8_EEEEPS9_S9_NSD_9__find_if7functorIS9_EEEE10hipError_tPvRmT1_T2_T3_mT4_P12ihipStream_tbEUlT_E0_NS1_11comp_targetILNS1_3genE4ELNS1_11target_archE910ELNS1_3gpuE8ELNS1_3repE0EEENS1_30default_config_static_selectorELNS0_4arch9wavefront6targetE1EEEvS17_
	.p2align	8
	.type	_ZN7rocprim17ROCPRIM_400000_NS6detail17trampoline_kernelINS0_14default_configENS1_22reduce_config_selectorIN6thrust23THRUST_200600_302600_NS5tupleIblNS6_9null_typeES8_S8_S8_S8_S8_S8_S8_EEEEZNS1_11reduce_implILb1ES3_NS6_12zip_iteratorINS7_INS6_11hip_rocprim26transform_input_iterator_tIbPaNS6_6detail10functional5actorINSH_9compositeIJNSH_27transparent_binary_operatorINS6_8equal_toIvEEEENSI_INSH_8argumentILj0EEEEENSH_5valueIaEEEEEEEEENSD_19counting_iterator_tIlEES8_S8_S8_S8_S8_S8_S8_S8_EEEEPS9_S9_NSD_9__find_if7functorIS9_EEEE10hipError_tPvRmT1_T2_T3_mT4_P12ihipStream_tbEUlT_E0_NS1_11comp_targetILNS1_3genE4ELNS1_11target_archE910ELNS1_3gpuE8ELNS1_3repE0EEENS1_30default_config_static_selectorELNS0_4arch9wavefront6targetE1EEEvS17_,@function
_ZN7rocprim17ROCPRIM_400000_NS6detail17trampoline_kernelINS0_14default_configENS1_22reduce_config_selectorIN6thrust23THRUST_200600_302600_NS5tupleIblNS6_9null_typeES8_S8_S8_S8_S8_S8_S8_EEEEZNS1_11reduce_implILb1ES3_NS6_12zip_iteratorINS7_INS6_11hip_rocprim26transform_input_iterator_tIbPaNS6_6detail10functional5actorINSH_9compositeIJNSH_27transparent_binary_operatorINS6_8equal_toIvEEEENSI_INSH_8argumentILj0EEEEENSH_5valueIaEEEEEEEEENSD_19counting_iterator_tIlEES8_S8_S8_S8_S8_S8_S8_S8_EEEEPS9_S9_NSD_9__find_if7functorIS9_EEEE10hipError_tPvRmT1_T2_T3_mT4_P12ihipStream_tbEUlT_E0_NS1_11comp_targetILNS1_3genE4ELNS1_11target_archE910ELNS1_3gpuE8ELNS1_3repE0EEENS1_30default_config_static_selectorELNS0_4arch9wavefront6targetE1EEEvS17_: ; @_ZN7rocprim17ROCPRIM_400000_NS6detail17trampoline_kernelINS0_14default_configENS1_22reduce_config_selectorIN6thrust23THRUST_200600_302600_NS5tupleIblNS6_9null_typeES8_S8_S8_S8_S8_S8_S8_EEEEZNS1_11reduce_implILb1ES3_NS6_12zip_iteratorINS7_INS6_11hip_rocprim26transform_input_iterator_tIbPaNS6_6detail10functional5actorINSH_9compositeIJNSH_27transparent_binary_operatorINS6_8equal_toIvEEEENSI_INSH_8argumentILj0EEEEENSH_5valueIaEEEEEEEEENSD_19counting_iterator_tIlEES8_S8_S8_S8_S8_S8_S8_S8_EEEEPS9_S9_NSD_9__find_if7functorIS9_EEEE10hipError_tPvRmT1_T2_T3_mT4_P12ihipStream_tbEUlT_E0_NS1_11comp_targetILNS1_3genE4ELNS1_11target_archE910ELNS1_3gpuE8ELNS1_3repE0EEENS1_30default_config_static_selectorELNS0_4arch9wavefront6targetE1EEEvS17_
; %bb.0:
	.section	.rodata,"a",@progbits
	.p2align	6, 0x0
	.amdhsa_kernel _ZN7rocprim17ROCPRIM_400000_NS6detail17trampoline_kernelINS0_14default_configENS1_22reduce_config_selectorIN6thrust23THRUST_200600_302600_NS5tupleIblNS6_9null_typeES8_S8_S8_S8_S8_S8_S8_EEEEZNS1_11reduce_implILb1ES3_NS6_12zip_iteratorINS7_INS6_11hip_rocprim26transform_input_iterator_tIbPaNS6_6detail10functional5actorINSH_9compositeIJNSH_27transparent_binary_operatorINS6_8equal_toIvEEEENSI_INSH_8argumentILj0EEEEENSH_5valueIaEEEEEEEEENSD_19counting_iterator_tIlEES8_S8_S8_S8_S8_S8_S8_S8_EEEEPS9_S9_NSD_9__find_if7functorIS9_EEEE10hipError_tPvRmT1_T2_T3_mT4_P12ihipStream_tbEUlT_E0_NS1_11comp_targetILNS1_3genE4ELNS1_11target_archE910ELNS1_3gpuE8ELNS1_3repE0EEENS1_30default_config_static_selectorELNS0_4arch9wavefront6targetE1EEEvS17_
		.amdhsa_group_segment_fixed_size 0
		.amdhsa_private_segment_fixed_size 0
		.amdhsa_kernarg_size 88
		.amdhsa_user_sgpr_count 6
		.amdhsa_user_sgpr_private_segment_buffer 1
		.amdhsa_user_sgpr_dispatch_ptr 0
		.amdhsa_user_sgpr_queue_ptr 0
		.amdhsa_user_sgpr_kernarg_segment_ptr 1
		.amdhsa_user_sgpr_dispatch_id 0
		.amdhsa_user_sgpr_flat_scratch_init 0
		.amdhsa_user_sgpr_private_segment_size 0
		.amdhsa_uses_dynamic_stack 0
		.amdhsa_system_sgpr_private_segment_wavefront_offset 0
		.amdhsa_system_sgpr_workgroup_id_x 1
		.amdhsa_system_sgpr_workgroup_id_y 0
		.amdhsa_system_sgpr_workgroup_id_z 0
		.amdhsa_system_sgpr_workgroup_info 0
		.amdhsa_system_vgpr_workitem_id 0
		.amdhsa_next_free_vgpr 1
		.amdhsa_next_free_sgpr 0
		.amdhsa_reserve_vcc 0
		.amdhsa_reserve_flat_scratch 0
		.amdhsa_float_round_mode_32 0
		.amdhsa_float_round_mode_16_64 0
		.amdhsa_float_denorm_mode_32 3
		.amdhsa_float_denorm_mode_16_64 3
		.amdhsa_dx10_clamp 1
		.amdhsa_ieee_mode 1
		.amdhsa_fp16_overflow 0
		.amdhsa_exception_fp_ieee_invalid_op 0
		.amdhsa_exception_fp_denorm_src 0
		.amdhsa_exception_fp_ieee_div_zero 0
		.amdhsa_exception_fp_ieee_overflow 0
		.amdhsa_exception_fp_ieee_underflow 0
		.amdhsa_exception_fp_ieee_inexact 0
		.amdhsa_exception_int_div_zero 0
	.end_amdhsa_kernel
	.section	.text._ZN7rocprim17ROCPRIM_400000_NS6detail17trampoline_kernelINS0_14default_configENS1_22reduce_config_selectorIN6thrust23THRUST_200600_302600_NS5tupleIblNS6_9null_typeES8_S8_S8_S8_S8_S8_S8_EEEEZNS1_11reduce_implILb1ES3_NS6_12zip_iteratorINS7_INS6_11hip_rocprim26transform_input_iterator_tIbPaNS6_6detail10functional5actorINSH_9compositeIJNSH_27transparent_binary_operatorINS6_8equal_toIvEEEENSI_INSH_8argumentILj0EEEEENSH_5valueIaEEEEEEEEENSD_19counting_iterator_tIlEES8_S8_S8_S8_S8_S8_S8_S8_EEEEPS9_S9_NSD_9__find_if7functorIS9_EEEE10hipError_tPvRmT1_T2_T3_mT4_P12ihipStream_tbEUlT_E0_NS1_11comp_targetILNS1_3genE4ELNS1_11target_archE910ELNS1_3gpuE8ELNS1_3repE0EEENS1_30default_config_static_selectorELNS0_4arch9wavefront6targetE1EEEvS17_,"axG",@progbits,_ZN7rocprim17ROCPRIM_400000_NS6detail17trampoline_kernelINS0_14default_configENS1_22reduce_config_selectorIN6thrust23THRUST_200600_302600_NS5tupleIblNS6_9null_typeES8_S8_S8_S8_S8_S8_S8_EEEEZNS1_11reduce_implILb1ES3_NS6_12zip_iteratorINS7_INS6_11hip_rocprim26transform_input_iterator_tIbPaNS6_6detail10functional5actorINSH_9compositeIJNSH_27transparent_binary_operatorINS6_8equal_toIvEEEENSI_INSH_8argumentILj0EEEEENSH_5valueIaEEEEEEEEENSD_19counting_iterator_tIlEES8_S8_S8_S8_S8_S8_S8_S8_EEEEPS9_S9_NSD_9__find_if7functorIS9_EEEE10hipError_tPvRmT1_T2_T3_mT4_P12ihipStream_tbEUlT_E0_NS1_11comp_targetILNS1_3genE4ELNS1_11target_archE910ELNS1_3gpuE8ELNS1_3repE0EEENS1_30default_config_static_selectorELNS0_4arch9wavefront6targetE1EEEvS17_,comdat
.Lfunc_end710:
	.size	_ZN7rocprim17ROCPRIM_400000_NS6detail17trampoline_kernelINS0_14default_configENS1_22reduce_config_selectorIN6thrust23THRUST_200600_302600_NS5tupleIblNS6_9null_typeES8_S8_S8_S8_S8_S8_S8_EEEEZNS1_11reduce_implILb1ES3_NS6_12zip_iteratorINS7_INS6_11hip_rocprim26transform_input_iterator_tIbPaNS6_6detail10functional5actorINSH_9compositeIJNSH_27transparent_binary_operatorINS6_8equal_toIvEEEENSI_INSH_8argumentILj0EEEEENSH_5valueIaEEEEEEEEENSD_19counting_iterator_tIlEES8_S8_S8_S8_S8_S8_S8_S8_EEEEPS9_S9_NSD_9__find_if7functorIS9_EEEE10hipError_tPvRmT1_T2_T3_mT4_P12ihipStream_tbEUlT_E0_NS1_11comp_targetILNS1_3genE4ELNS1_11target_archE910ELNS1_3gpuE8ELNS1_3repE0EEENS1_30default_config_static_selectorELNS0_4arch9wavefront6targetE1EEEvS17_, .Lfunc_end710-_ZN7rocprim17ROCPRIM_400000_NS6detail17trampoline_kernelINS0_14default_configENS1_22reduce_config_selectorIN6thrust23THRUST_200600_302600_NS5tupleIblNS6_9null_typeES8_S8_S8_S8_S8_S8_S8_EEEEZNS1_11reduce_implILb1ES3_NS6_12zip_iteratorINS7_INS6_11hip_rocprim26transform_input_iterator_tIbPaNS6_6detail10functional5actorINSH_9compositeIJNSH_27transparent_binary_operatorINS6_8equal_toIvEEEENSI_INSH_8argumentILj0EEEEENSH_5valueIaEEEEEEEEENSD_19counting_iterator_tIlEES8_S8_S8_S8_S8_S8_S8_S8_EEEEPS9_S9_NSD_9__find_if7functorIS9_EEEE10hipError_tPvRmT1_T2_T3_mT4_P12ihipStream_tbEUlT_E0_NS1_11comp_targetILNS1_3genE4ELNS1_11target_archE910ELNS1_3gpuE8ELNS1_3repE0EEENS1_30default_config_static_selectorELNS0_4arch9wavefront6targetE1EEEvS17_
                                        ; -- End function
	.set _ZN7rocprim17ROCPRIM_400000_NS6detail17trampoline_kernelINS0_14default_configENS1_22reduce_config_selectorIN6thrust23THRUST_200600_302600_NS5tupleIblNS6_9null_typeES8_S8_S8_S8_S8_S8_S8_EEEEZNS1_11reduce_implILb1ES3_NS6_12zip_iteratorINS7_INS6_11hip_rocprim26transform_input_iterator_tIbPaNS6_6detail10functional5actorINSH_9compositeIJNSH_27transparent_binary_operatorINS6_8equal_toIvEEEENSI_INSH_8argumentILj0EEEEENSH_5valueIaEEEEEEEEENSD_19counting_iterator_tIlEES8_S8_S8_S8_S8_S8_S8_S8_EEEEPS9_S9_NSD_9__find_if7functorIS9_EEEE10hipError_tPvRmT1_T2_T3_mT4_P12ihipStream_tbEUlT_E0_NS1_11comp_targetILNS1_3genE4ELNS1_11target_archE910ELNS1_3gpuE8ELNS1_3repE0EEENS1_30default_config_static_selectorELNS0_4arch9wavefront6targetE1EEEvS17_.num_vgpr, 0
	.set _ZN7rocprim17ROCPRIM_400000_NS6detail17trampoline_kernelINS0_14default_configENS1_22reduce_config_selectorIN6thrust23THRUST_200600_302600_NS5tupleIblNS6_9null_typeES8_S8_S8_S8_S8_S8_S8_EEEEZNS1_11reduce_implILb1ES3_NS6_12zip_iteratorINS7_INS6_11hip_rocprim26transform_input_iterator_tIbPaNS6_6detail10functional5actorINSH_9compositeIJNSH_27transparent_binary_operatorINS6_8equal_toIvEEEENSI_INSH_8argumentILj0EEEEENSH_5valueIaEEEEEEEEENSD_19counting_iterator_tIlEES8_S8_S8_S8_S8_S8_S8_S8_EEEEPS9_S9_NSD_9__find_if7functorIS9_EEEE10hipError_tPvRmT1_T2_T3_mT4_P12ihipStream_tbEUlT_E0_NS1_11comp_targetILNS1_3genE4ELNS1_11target_archE910ELNS1_3gpuE8ELNS1_3repE0EEENS1_30default_config_static_selectorELNS0_4arch9wavefront6targetE1EEEvS17_.num_agpr, 0
	.set _ZN7rocprim17ROCPRIM_400000_NS6detail17trampoline_kernelINS0_14default_configENS1_22reduce_config_selectorIN6thrust23THRUST_200600_302600_NS5tupleIblNS6_9null_typeES8_S8_S8_S8_S8_S8_S8_EEEEZNS1_11reduce_implILb1ES3_NS6_12zip_iteratorINS7_INS6_11hip_rocprim26transform_input_iterator_tIbPaNS6_6detail10functional5actorINSH_9compositeIJNSH_27transparent_binary_operatorINS6_8equal_toIvEEEENSI_INSH_8argumentILj0EEEEENSH_5valueIaEEEEEEEEENSD_19counting_iterator_tIlEES8_S8_S8_S8_S8_S8_S8_S8_EEEEPS9_S9_NSD_9__find_if7functorIS9_EEEE10hipError_tPvRmT1_T2_T3_mT4_P12ihipStream_tbEUlT_E0_NS1_11comp_targetILNS1_3genE4ELNS1_11target_archE910ELNS1_3gpuE8ELNS1_3repE0EEENS1_30default_config_static_selectorELNS0_4arch9wavefront6targetE1EEEvS17_.numbered_sgpr, 0
	.set _ZN7rocprim17ROCPRIM_400000_NS6detail17trampoline_kernelINS0_14default_configENS1_22reduce_config_selectorIN6thrust23THRUST_200600_302600_NS5tupleIblNS6_9null_typeES8_S8_S8_S8_S8_S8_S8_EEEEZNS1_11reduce_implILb1ES3_NS6_12zip_iteratorINS7_INS6_11hip_rocprim26transform_input_iterator_tIbPaNS6_6detail10functional5actorINSH_9compositeIJNSH_27transparent_binary_operatorINS6_8equal_toIvEEEENSI_INSH_8argumentILj0EEEEENSH_5valueIaEEEEEEEEENSD_19counting_iterator_tIlEES8_S8_S8_S8_S8_S8_S8_S8_EEEEPS9_S9_NSD_9__find_if7functorIS9_EEEE10hipError_tPvRmT1_T2_T3_mT4_P12ihipStream_tbEUlT_E0_NS1_11comp_targetILNS1_3genE4ELNS1_11target_archE910ELNS1_3gpuE8ELNS1_3repE0EEENS1_30default_config_static_selectorELNS0_4arch9wavefront6targetE1EEEvS17_.num_named_barrier, 0
	.set _ZN7rocprim17ROCPRIM_400000_NS6detail17trampoline_kernelINS0_14default_configENS1_22reduce_config_selectorIN6thrust23THRUST_200600_302600_NS5tupleIblNS6_9null_typeES8_S8_S8_S8_S8_S8_S8_EEEEZNS1_11reduce_implILb1ES3_NS6_12zip_iteratorINS7_INS6_11hip_rocprim26transform_input_iterator_tIbPaNS6_6detail10functional5actorINSH_9compositeIJNSH_27transparent_binary_operatorINS6_8equal_toIvEEEENSI_INSH_8argumentILj0EEEEENSH_5valueIaEEEEEEEEENSD_19counting_iterator_tIlEES8_S8_S8_S8_S8_S8_S8_S8_EEEEPS9_S9_NSD_9__find_if7functorIS9_EEEE10hipError_tPvRmT1_T2_T3_mT4_P12ihipStream_tbEUlT_E0_NS1_11comp_targetILNS1_3genE4ELNS1_11target_archE910ELNS1_3gpuE8ELNS1_3repE0EEENS1_30default_config_static_selectorELNS0_4arch9wavefront6targetE1EEEvS17_.private_seg_size, 0
	.set _ZN7rocprim17ROCPRIM_400000_NS6detail17trampoline_kernelINS0_14default_configENS1_22reduce_config_selectorIN6thrust23THRUST_200600_302600_NS5tupleIblNS6_9null_typeES8_S8_S8_S8_S8_S8_S8_EEEEZNS1_11reduce_implILb1ES3_NS6_12zip_iteratorINS7_INS6_11hip_rocprim26transform_input_iterator_tIbPaNS6_6detail10functional5actorINSH_9compositeIJNSH_27transparent_binary_operatorINS6_8equal_toIvEEEENSI_INSH_8argumentILj0EEEEENSH_5valueIaEEEEEEEEENSD_19counting_iterator_tIlEES8_S8_S8_S8_S8_S8_S8_S8_EEEEPS9_S9_NSD_9__find_if7functorIS9_EEEE10hipError_tPvRmT1_T2_T3_mT4_P12ihipStream_tbEUlT_E0_NS1_11comp_targetILNS1_3genE4ELNS1_11target_archE910ELNS1_3gpuE8ELNS1_3repE0EEENS1_30default_config_static_selectorELNS0_4arch9wavefront6targetE1EEEvS17_.uses_vcc, 0
	.set _ZN7rocprim17ROCPRIM_400000_NS6detail17trampoline_kernelINS0_14default_configENS1_22reduce_config_selectorIN6thrust23THRUST_200600_302600_NS5tupleIblNS6_9null_typeES8_S8_S8_S8_S8_S8_S8_EEEEZNS1_11reduce_implILb1ES3_NS6_12zip_iteratorINS7_INS6_11hip_rocprim26transform_input_iterator_tIbPaNS6_6detail10functional5actorINSH_9compositeIJNSH_27transparent_binary_operatorINS6_8equal_toIvEEEENSI_INSH_8argumentILj0EEEEENSH_5valueIaEEEEEEEEENSD_19counting_iterator_tIlEES8_S8_S8_S8_S8_S8_S8_S8_EEEEPS9_S9_NSD_9__find_if7functorIS9_EEEE10hipError_tPvRmT1_T2_T3_mT4_P12ihipStream_tbEUlT_E0_NS1_11comp_targetILNS1_3genE4ELNS1_11target_archE910ELNS1_3gpuE8ELNS1_3repE0EEENS1_30default_config_static_selectorELNS0_4arch9wavefront6targetE1EEEvS17_.uses_flat_scratch, 0
	.set _ZN7rocprim17ROCPRIM_400000_NS6detail17trampoline_kernelINS0_14default_configENS1_22reduce_config_selectorIN6thrust23THRUST_200600_302600_NS5tupleIblNS6_9null_typeES8_S8_S8_S8_S8_S8_S8_EEEEZNS1_11reduce_implILb1ES3_NS6_12zip_iteratorINS7_INS6_11hip_rocprim26transform_input_iterator_tIbPaNS6_6detail10functional5actorINSH_9compositeIJNSH_27transparent_binary_operatorINS6_8equal_toIvEEEENSI_INSH_8argumentILj0EEEEENSH_5valueIaEEEEEEEEENSD_19counting_iterator_tIlEES8_S8_S8_S8_S8_S8_S8_S8_EEEEPS9_S9_NSD_9__find_if7functorIS9_EEEE10hipError_tPvRmT1_T2_T3_mT4_P12ihipStream_tbEUlT_E0_NS1_11comp_targetILNS1_3genE4ELNS1_11target_archE910ELNS1_3gpuE8ELNS1_3repE0EEENS1_30default_config_static_selectorELNS0_4arch9wavefront6targetE1EEEvS17_.has_dyn_sized_stack, 0
	.set _ZN7rocprim17ROCPRIM_400000_NS6detail17trampoline_kernelINS0_14default_configENS1_22reduce_config_selectorIN6thrust23THRUST_200600_302600_NS5tupleIblNS6_9null_typeES8_S8_S8_S8_S8_S8_S8_EEEEZNS1_11reduce_implILb1ES3_NS6_12zip_iteratorINS7_INS6_11hip_rocprim26transform_input_iterator_tIbPaNS6_6detail10functional5actorINSH_9compositeIJNSH_27transparent_binary_operatorINS6_8equal_toIvEEEENSI_INSH_8argumentILj0EEEEENSH_5valueIaEEEEEEEEENSD_19counting_iterator_tIlEES8_S8_S8_S8_S8_S8_S8_S8_EEEEPS9_S9_NSD_9__find_if7functorIS9_EEEE10hipError_tPvRmT1_T2_T3_mT4_P12ihipStream_tbEUlT_E0_NS1_11comp_targetILNS1_3genE4ELNS1_11target_archE910ELNS1_3gpuE8ELNS1_3repE0EEENS1_30default_config_static_selectorELNS0_4arch9wavefront6targetE1EEEvS17_.has_recursion, 0
	.set _ZN7rocprim17ROCPRIM_400000_NS6detail17trampoline_kernelINS0_14default_configENS1_22reduce_config_selectorIN6thrust23THRUST_200600_302600_NS5tupleIblNS6_9null_typeES8_S8_S8_S8_S8_S8_S8_EEEEZNS1_11reduce_implILb1ES3_NS6_12zip_iteratorINS7_INS6_11hip_rocprim26transform_input_iterator_tIbPaNS6_6detail10functional5actorINSH_9compositeIJNSH_27transparent_binary_operatorINS6_8equal_toIvEEEENSI_INSH_8argumentILj0EEEEENSH_5valueIaEEEEEEEEENSD_19counting_iterator_tIlEES8_S8_S8_S8_S8_S8_S8_S8_EEEEPS9_S9_NSD_9__find_if7functorIS9_EEEE10hipError_tPvRmT1_T2_T3_mT4_P12ihipStream_tbEUlT_E0_NS1_11comp_targetILNS1_3genE4ELNS1_11target_archE910ELNS1_3gpuE8ELNS1_3repE0EEENS1_30default_config_static_selectorELNS0_4arch9wavefront6targetE1EEEvS17_.has_indirect_call, 0
	.section	.AMDGPU.csdata,"",@progbits
; Kernel info:
; codeLenInByte = 0
; TotalNumSgprs: 4
; NumVgprs: 0
; ScratchSize: 0
; MemoryBound: 0
; FloatMode: 240
; IeeeMode: 1
; LDSByteSize: 0 bytes/workgroup (compile time only)
; SGPRBlocks: 0
; VGPRBlocks: 0
; NumSGPRsForWavesPerEU: 4
; NumVGPRsForWavesPerEU: 1
; Occupancy: 10
; WaveLimiterHint : 0
; COMPUTE_PGM_RSRC2:SCRATCH_EN: 0
; COMPUTE_PGM_RSRC2:USER_SGPR: 6
; COMPUTE_PGM_RSRC2:TRAP_HANDLER: 0
; COMPUTE_PGM_RSRC2:TGID_X_EN: 1
; COMPUTE_PGM_RSRC2:TGID_Y_EN: 0
; COMPUTE_PGM_RSRC2:TGID_Z_EN: 0
; COMPUTE_PGM_RSRC2:TIDIG_COMP_CNT: 0
	.section	.text._ZN7rocprim17ROCPRIM_400000_NS6detail17trampoline_kernelINS0_14default_configENS1_22reduce_config_selectorIN6thrust23THRUST_200600_302600_NS5tupleIblNS6_9null_typeES8_S8_S8_S8_S8_S8_S8_EEEEZNS1_11reduce_implILb1ES3_NS6_12zip_iteratorINS7_INS6_11hip_rocprim26transform_input_iterator_tIbPaNS6_6detail10functional5actorINSH_9compositeIJNSH_27transparent_binary_operatorINS6_8equal_toIvEEEENSI_INSH_8argumentILj0EEEEENSH_5valueIaEEEEEEEEENSD_19counting_iterator_tIlEES8_S8_S8_S8_S8_S8_S8_S8_EEEEPS9_S9_NSD_9__find_if7functorIS9_EEEE10hipError_tPvRmT1_T2_T3_mT4_P12ihipStream_tbEUlT_E0_NS1_11comp_targetILNS1_3genE3ELNS1_11target_archE908ELNS1_3gpuE7ELNS1_3repE0EEENS1_30default_config_static_selectorELNS0_4arch9wavefront6targetE1EEEvS17_,"axG",@progbits,_ZN7rocprim17ROCPRIM_400000_NS6detail17trampoline_kernelINS0_14default_configENS1_22reduce_config_selectorIN6thrust23THRUST_200600_302600_NS5tupleIblNS6_9null_typeES8_S8_S8_S8_S8_S8_S8_EEEEZNS1_11reduce_implILb1ES3_NS6_12zip_iteratorINS7_INS6_11hip_rocprim26transform_input_iterator_tIbPaNS6_6detail10functional5actorINSH_9compositeIJNSH_27transparent_binary_operatorINS6_8equal_toIvEEEENSI_INSH_8argumentILj0EEEEENSH_5valueIaEEEEEEEEENSD_19counting_iterator_tIlEES8_S8_S8_S8_S8_S8_S8_S8_EEEEPS9_S9_NSD_9__find_if7functorIS9_EEEE10hipError_tPvRmT1_T2_T3_mT4_P12ihipStream_tbEUlT_E0_NS1_11comp_targetILNS1_3genE3ELNS1_11target_archE908ELNS1_3gpuE7ELNS1_3repE0EEENS1_30default_config_static_selectorELNS0_4arch9wavefront6targetE1EEEvS17_,comdat
	.protected	_ZN7rocprim17ROCPRIM_400000_NS6detail17trampoline_kernelINS0_14default_configENS1_22reduce_config_selectorIN6thrust23THRUST_200600_302600_NS5tupleIblNS6_9null_typeES8_S8_S8_S8_S8_S8_S8_EEEEZNS1_11reduce_implILb1ES3_NS6_12zip_iteratorINS7_INS6_11hip_rocprim26transform_input_iterator_tIbPaNS6_6detail10functional5actorINSH_9compositeIJNSH_27transparent_binary_operatorINS6_8equal_toIvEEEENSI_INSH_8argumentILj0EEEEENSH_5valueIaEEEEEEEEENSD_19counting_iterator_tIlEES8_S8_S8_S8_S8_S8_S8_S8_EEEEPS9_S9_NSD_9__find_if7functorIS9_EEEE10hipError_tPvRmT1_T2_T3_mT4_P12ihipStream_tbEUlT_E0_NS1_11comp_targetILNS1_3genE3ELNS1_11target_archE908ELNS1_3gpuE7ELNS1_3repE0EEENS1_30default_config_static_selectorELNS0_4arch9wavefront6targetE1EEEvS17_ ; -- Begin function _ZN7rocprim17ROCPRIM_400000_NS6detail17trampoline_kernelINS0_14default_configENS1_22reduce_config_selectorIN6thrust23THRUST_200600_302600_NS5tupleIblNS6_9null_typeES8_S8_S8_S8_S8_S8_S8_EEEEZNS1_11reduce_implILb1ES3_NS6_12zip_iteratorINS7_INS6_11hip_rocprim26transform_input_iterator_tIbPaNS6_6detail10functional5actorINSH_9compositeIJNSH_27transparent_binary_operatorINS6_8equal_toIvEEEENSI_INSH_8argumentILj0EEEEENSH_5valueIaEEEEEEEEENSD_19counting_iterator_tIlEES8_S8_S8_S8_S8_S8_S8_S8_EEEEPS9_S9_NSD_9__find_if7functorIS9_EEEE10hipError_tPvRmT1_T2_T3_mT4_P12ihipStream_tbEUlT_E0_NS1_11comp_targetILNS1_3genE3ELNS1_11target_archE908ELNS1_3gpuE7ELNS1_3repE0EEENS1_30default_config_static_selectorELNS0_4arch9wavefront6targetE1EEEvS17_
	.globl	_ZN7rocprim17ROCPRIM_400000_NS6detail17trampoline_kernelINS0_14default_configENS1_22reduce_config_selectorIN6thrust23THRUST_200600_302600_NS5tupleIblNS6_9null_typeES8_S8_S8_S8_S8_S8_S8_EEEEZNS1_11reduce_implILb1ES3_NS6_12zip_iteratorINS7_INS6_11hip_rocprim26transform_input_iterator_tIbPaNS6_6detail10functional5actorINSH_9compositeIJNSH_27transparent_binary_operatorINS6_8equal_toIvEEEENSI_INSH_8argumentILj0EEEEENSH_5valueIaEEEEEEEEENSD_19counting_iterator_tIlEES8_S8_S8_S8_S8_S8_S8_S8_EEEEPS9_S9_NSD_9__find_if7functorIS9_EEEE10hipError_tPvRmT1_T2_T3_mT4_P12ihipStream_tbEUlT_E0_NS1_11comp_targetILNS1_3genE3ELNS1_11target_archE908ELNS1_3gpuE7ELNS1_3repE0EEENS1_30default_config_static_selectorELNS0_4arch9wavefront6targetE1EEEvS17_
	.p2align	8
	.type	_ZN7rocprim17ROCPRIM_400000_NS6detail17trampoline_kernelINS0_14default_configENS1_22reduce_config_selectorIN6thrust23THRUST_200600_302600_NS5tupleIblNS6_9null_typeES8_S8_S8_S8_S8_S8_S8_EEEEZNS1_11reduce_implILb1ES3_NS6_12zip_iteratorINS7_INS6_11hip_rocprim26transform_input_iterator_tIbPaNS6_6detail10functional5actorINSH_9compositeIJNSH_27transparent_binary_operatorINS6_8equal_toIvEEEENSI_INSH_8argumentILj0EEEEENSH_5valueIaEEEEEEEEENSD_19counting_iterator_tIlEES8_S8_S8_S8_S8_S8_S8_S8_EEEEPS9_S9_NSD_9__find_if7functorIS9_EEEE10hipError_tPvRmT1_T2_T3_mT4_P12ihipStream_tbEUlT_E0_NS1_11comp_targetILNS1_3genE3ELNS1_11target_archE908ELNS1_3gpuE7ELNS1_3repE0EEENS1_30default_config_static_selectorELNS0_4arch9wavefront6targetE1EEEvS17_,@function
_ZN7rocprim17ROCPRIM_400000_NS6detail17trampoline_kernelINS0_14default_configENS1_22reduce_config_selectorIN6thrust23THRUST_200600_302600_NS5tupleIblNS6_9null_typeES8_S8_S8_S8_S8_S8_S8_EEEEZNS1_11reduce_implILb1ES3_NS6_12zip_iteratorINS7_INS6_11hip_rocprim26transform_input_iterator_tIbPaNS6_6detail10functional5actorINSH_9compositeIJNSH_27transparent_binary_operatorINS6_8equal_toIvEEEENSI_INSH_8argumentILj0EEEEENSH_5valueIaEEEEEEEEENSD_19counting_iterator_tIlEES8_S8_S8_S8_S8_S8_S8_S8_EEEEPS9_S9_NSD_9__find_if7functorIS9_EEEE10hipError_tPvRmT1_T2_T3_mT4_P12ihipStream_tbEUlT_E0_NS1_11comp_targetILNS1_3genE3ELNS1_11target_archE908ELNS1_3gpuE7ELNS1_3repE0EEENS1_30default_config_static_selectorELNS0_4arch9wavefront6targetE1EEEvS17_: ; @_ZN7rocprim17ROCPRIM_400000_NS6detail17trampoline_kernelINS0_14default_configENS1_22reduce_config_selectorIN6thrust23THRUST_200600_302600_NS5tupleIblNS6_9null_typeES8_S8_S8_S8_S8_S8_S8_EEEEZNS1_11reduce_implILb1ES3_NS6_12zip_iteratorINS7_INS6_11hip_rocprim26transform_input_iterator_tIbPaNS6_6detail10functional5actorINSH_9compositeIJNSH_27transparent_binary_operatorINS6_8equal_toIvEEEENSI_INSH_8argumentILj0EEEEENSH_5valueIaEEEEEEEEENSD_19counting_iterator_tIlEES8_S8_S8_S8_S8_S8_S8_S8_EEEEPS9_S9_NSD_9__find_if7functorIS9_EEEE10hipError_tPvRmT1_T2_T3_mT4_P12ihipStream_tbEUlT_E0_NS1_11comp_targetILNS1_3genE3ELNS1_11target_archE908ELNS1_3gpuE7ELNS1_3repE0EEENS1_30default_config_static_selectorELNS0_4arch9wavefront6targetE1EEEvS17_
; %bb.0:
	.section	.rodata,"a",@progbits
	.p2align	6, 0x0
	.amdhsa_kernel _ZN7rocprim17ROCPRIM_400000_NS6detail17trampoline_kernelINS0_14default_configENS1_22reduce_config_selectorIN6thrust23THRUST_200600_302600_NS5tupleIblNS6_9null_typeES8_S8_S8_S8_S8_S8_S8_EEEEZNS1_11reduce_implILb1ES3_NS6_12zip_iteratorINS7_INS6_11hip_rocprim26transform_input_iterator_tIbPaNS6_6detail10functional5actorINSH_9compositeIJNSH_27transparent_binary_operatorINS6_8equal_toIvEEEENSI_INSH_8argumentILj0EEEEENSH_5valueIaEEEEEEEEENSD_19counting_iterator_tIlEES8_S8_S8_S8_S8_S8_S8_S8_EEEEPS9_S9_NSD_9__find_if7functorIS9_EEEE10hipError_tPvRmT1_T2_T3_mT4_P12ihipStream_tbEUlT_E0_NS1_11comp_targetILNS1_3genE3ELNS1_11target_archE908ELNS1_3gpuE7ELNS1_3repE0EEENS1_30default_config_static_selectorELNS0_4arch9wavefront6targetE1EEEvS17_
		.amdhsa_group_segment_fixed_size 0
		.amdhsa_private_segment_fixed_size 0
		.amdhsa_kernarg_size 88
		.amdhsa_user_sgpr_count 6
		.amdhsa_user_sgpr_private_segment_buffer 1
		.amdhsa_user_sgpr_dispatch_ptr 0
		.amdhsa_user_sgpr_queue_ptr 0
		.amdhsa_user_sgpr_kernarg_segment_ptr 1
		.amdhsa_user_sgpr_dispatch_id 0
		.amdhsa_user_sgpr_flat_scratch_init 0
		.amdhsa_user_sgpr_private_segment_size 0
		.amdhsa_uses_dynamic_stack 0
		.amdhsa_system_sgpr_private_segment_wavefront_offset 0
		.amdhsa_system_sgpr_workgroup_id_x 1
		.amdhsa_system_sgpr_workgroup_id_y 0
		.amdhsa_system_sgpr_workgroup_id_z 0
		.amdhsa_system_sgpr_workgroup_info 0
		.amdhsa_system_vgpr_workitem_id 0
		.amdhsa_next_free_vgpr 1
		.amdhsa_next_free_sgpr 0
		.amdhsa_reserve_vcc 0
		.amdhsa_reserve_flat_scratch 0
		.amdhsa_float_round_mode_32 0
		.amdhsa_float_round_mode_16_64 0
		.amdhsa_float_denorm_mode_32 3
		.amdhsa_float_denorm_mode_16_64 3
		.amdhsa_dx10_clamp 1
		.amdhsa_ieee_mode 1
		.amdhsa_fp16_overflow 0
		.amdhsa_exception_fp_ieee_invalid_op 0
		.amdhsa_exception_fp_denorm_src 0
		.amdhsa_exception_fp_ieee_div_zero 0
		.amdhsa_exception_fp_ieee_overflow 0
		.amdhsa_exception_fp_ieee_underflow 0
		.amdhsa_exception_fp_ieee_inexact 0
		.amdhsa_exception_int_div_zero 0
	.end_amdhsa_kernel
	.section	.text._ZN7rocprim17ROCPRIM_400000_NS6detail17trampoline_kernelINS0_14default_configENS1_22reduce_config_selectorIN6thrust23THRUST_200600_302600_NS5tupleIblNS6_9null_typeES8_S8_S8_S8_S8_S8_S8_EEEEZNS1_11reduce_implILb1ES3_NS6_12zip_iteratorINS7_INS6_11hip_rocprim26transform_input_iterator_tIbPaNS6_6detail10functional5actorINSH_9compositeIJNSH_27transparent_binary_operatorINS6_8equal_toIvEEEENSI_INSH_8argumentILj0EEEEENSH_5valueIaEEEEEEEEENSD_19counting_iterator_tIlEES8_S8_S8_S8_S8_S8_S8_S8_EEEEPS9_S9_NSD_9__find_if7functorIS9_EEEE10hipError_tPvRmT1_T2_T3_mT4_P12ihipStream_tbEUlT_E0_NS1_11comp_targetILNS1_3genE3ELNS1_11target_archE908ELNS1_3gpuE7ELNS1_3repE0EEENS1_30default_config_static_selectorELNS0_4arch9wavefront6targetE1EEEvS17_,"axG",@progbits,_ZN7rocprim17ROCPRIM_400000_NS6detail17trampoline_kernelINS0_14default_configENS1_22reduce_config_selectorIN6thrust23THRUST_200600_302600_NS5tupleIblNS6_9null_typeES8_S8_S8_S8_S8_S8_S8_EEEEZNS1_11reduce_implILb1ES3_NS6_12zip_iteratorINS7_INS6_11hip_rocprim26transform_input_iterator_tIbPaNS6_6detail10functional5actorINSH_9compositeIJNSH_27transparent_binary_operatorINS6_8equal_toIvEEEENSI_INSH_8argumentILj0EEEEENSH_5valueIaEEEEEEEEENSD_19counting_iterator_tIlEES8_S8_S8_S8_S8_S8_S8_S8_EEEEPS9_S9_NSD_9__find_if7functorIS9_EEEE10hipError_tPvRmT1_T2_T3_mT4_P12ihipStream_tbEUlT_E0_NS1_11comp_targetILNS1_3genE3ELNS1_11target_archE908ELNS1_3gpuE7ELNS1_3repE0EEENS1_30default_config_static_selectorELNS0_4arch9wavefront6targetE1EEEvS17_,comdat
.Lfunc_end711:
	.size	_ZN7rocprim17ROCPRIM_400000_NS6detail17trampoline_kernelINS0_14default_configENS1_22reduce_config_selectorIN6thrust23THRUST_200600_302600_NS5tupleIblNS6_9null_typeES8_S8_S8_S8_S8_S8_S8_EEEEZNS1_11reduce_implILb1ES3_NS6_12zip_iteratorINS7_INS6_11hip_rocprim26transform_input_iterator_tIbPaNS6_6detail10functional5actorINSH_9compositeIJNSH_27transparent_binary_operatorINS6_8equal_toIvEEEENSI_INSH_8argumentILj0EEEEENSH_5valueIaEEEEEEEEENSD_19counting_iterator_tIlEES8_S8_S8_S8_S8_S8_S8_S8_EEEEPS9_S9_NSD_9__find_if7functorIS9_EEEE10hipError_tPvRmT1_T2_T3_mT4_P12ihipStream_tbEUlT_E0_NS1_11comp_targetILNS1_3genE3ELNS1_11target_archE908ELNS1_3gpuE7ELNS1_3repE0EEENS1_30default_config_static_selectorELNS0_4arch9wavefront6targetE1EEEvS17_, .Lfunc_end711-_ZN7rocprim17ROCPRIM_400000_NS6detail17trampoline_kernelINS0_14default_configENS1_22reduce_config_selectorIN6thrust23THRUST_200600_302600_NS5tupleIblNS6_9null_typeES8_S8_S8_S8_S8_S8_S8_EEEEZNS1_11reduce_implILb1ES3_NS6_12zip_iteratorINS7_INS6_11hip_rocprim26transform_input_iterator_tIbPaNS6_6detail10functional5actorINSH_9compositeIJNSH_27transparent_binary_operatorINS6_8equal_toIvEEEENSI_INSH_8argumentILj0EEEEENSH_5valueIaEEEEEEEEENSD_19counting_iterator_tIlEES8_S8_S8_S8_S8_S8_S8_S8_EEEEPS9_S9_NSD_9__find_if7functorIS9_EEEE10hipError_tPvRmT1_T2_T3_mT4_P12ihipStream_tbEUlT_E0_NS1_11comp_targetILNS1_3genE3ELNS1_11target_archE908ELNS1_3gpuE7ELNS1_3repE0EEENS1_30default_config_static_selectorELNS0_4arch9wavefront6targetE1EEEvS17_
                                        ; -- End function
	.set _ZN7rocprim17ROCPRIM_400000_NS6detail17trampoline_kernelINS0_14default_configENS1_22reduce_config_selectorIN6thrust23THRUST_200600_302600_NS5tupleIblNS6_9null_typeES8_S8_S8_S8_S8_S8_S8_EEEEZNS1_11reduce_implILb1ES3_NS6_12zip_iteratorINS7_INS6_11hip_rocprim26transform_input_iterator_tIbPaNS6_6detail10functional5actorINSH_9compositeIJNSH_27transparent_binary_operatorINS6_8equal_toIvEEEENSI_INSH_8argumentILj0EEEEENSH_5valueIaEEEEEEEEENSD_19counting_iterator_tIlEES8_S8_S8_S8_S8_S8_S8_S8_EEEEPS9_S9_NSD_9__find_if7functorIS9_EEEE10hipError_tPvRmT1_T2_T3_mT4_P12ihipStream_tbEUlT_E0_NS1_11comp_targetILNS1_3genE3ELNS1_11target_archE908ELNS1_3gpuE7ELNS1_3repE0EEENS1_30default_config_static_selectorELNS0_4arch9wavefront6targetE1EEEvS17_.num_vgpr, 0
	.set _ZN7rocprim17ROCPRIM_400000_NS6detail17trampoline_kernelINS0_14default_configENS1_22reduce_config_selectorIN6thrust23THRUST_200600_302600_NS5tupleIblNS6_9null_typeES8_S8_S8_S8_S8_S8_S8_EEEEZNS1_11reduce_implILb1ES3_NS6_12zip_iteratorINS7_INS6_11hip_rocprim26transform_input_iterator_tIbPaNS6_6detail10functional5actorINSH_9compositeIJNSH_27transparent_binary_operatorINS6_8equal_toIvEEEENSI_INSH_8argumentILj0EEEEENSH_5valueIaEEEEEEEEENSD_19counting_iterator_tIlEES8_S8_S8_S8_S8_S8_S8_S8_EEEEPS9_S9_NSD_9__find_if7functorIS9_EEEE10hipError_tPvRmT1_T2_T3_mT4_P12ihipStream_tbEUlT_E0_NS1_11comp_targetILNS1_3genE3ELNS1_11target_archE908ELNS1_3gpuE7ELNS1_3repE0EEENS1_30default_config_static_selectorELNS0_4arch9wavefront6targetE1EEEvS17_.num_agpr, 0
	.set _ZN7rocprim17ROCPRIM_400000_NS6detail17trampoline_kernelINS0_14default_configENS1_22reduce_config_selectorIN6thrust23THRUST_200600_302600_NS5tupleIblNS6_9null_typeES8_S8_S8_S8_S8_S8_S8_EEEEZNS1_11reduce_implILb1ES3_NS6_12zip_iteratorINS7_INS6_11hip_rocprim26transform_input_iterator_tIbPaNS6_6detail10functional5actorINSH_9compositeIJNSH_27transparent_binary_operatorINS6_8equal_toIvEEEENSI_INSH_8argumentILj0EEEEENSH_5valueIaEEEEEEEEENSD_19counting_iterator_tIlEES8_S8_S8_S8_S8_S8_S8_S8_EEEEPS9_S9_NSD_9__find_if7functorIS9_EEEE10hipError_tPvRmT1_T2_T3_mT4_P12ihipStream_tbEUlT_E0_NS1_11comp_targetILNS1_3genE3ELNS1_11target_archE908ELNS1_3gpuE7ELNS1_3repE0EEENS1_30default_config_static_selectorELNS0_4arch9wavefront6targetE1EEEvS17_.numbered_sgpr, 0
	.set _ZN7rocprim17ROCPRIM_400000_NS6detail17trampoline_kernelINS0_14default_configENS1_22reduce_config_selectorIN6thrust23THRUST_200600_302600_NS5tupleIblNS6_9null_typeES8_S8_S8_S8_S8_S8_S8_EEEEZNS1_11reduce_implILb1ES3_NS6_12zip_iteratorINS7_INS6_11hip_rocprim26transform_input_iterator_tIbPaNS6_6detail10functional5actorINSH_9compositeIJNSH_27transparent_binary_operatorINS6_8equal_toIvEEEENSI_INSH_8argumentILj0EEEEENSH_5valueIaEEEEEEEEENSD_19counting_iterator_tIlEES8_S8_S8_S8_S8_S8_S8_S8_EEEEPS9_S9_NSD_9__find_if7functorIS9_EEEE10hipError_tPvRmT1_T2_T3_mT4_P12ihipStream_tbEUlT_E0_NS1_11comp_targetILNS1_3genE3ELNS1_11target_archE908ELNS1_3gpuE7ELNS1_3repE0EEENS1_30default_config_static_selectorELNS0_4arch9wavefront6targetE1EEEvS17_.num_named_barrier, 0
	.set _ZN7rocprim17ROCPRIM_400000_NS6detail17trampoline_kernelINS0_14default_configENS1_22reduce_config_selectorIN6thrust23THRUST_200600_302600_NS5tupleIblNS6_9null_typeES8_S8_S8_S8_S8_S8_S8_EEEEZNS1_11reduce_implILb1ES3_NS6_12zip_iteratorINS7_INS6_11hip_rocprim26transform_input_iterator_tIbPaNS6_6detail10functional5actorINSH_9compositeIJNSH_27transparent_binary_operatorINS6_8equal_toIvEEEENSI_INSH_8argumentILj0EEEEENSH_5valueIaEEEEEEEEENSD_19counting_iterator_tIlEES8_S8_S8_S8_S8_S8_S8_S8_EEEEPS9_S9_NSD_9__find_if7functorIS9_EEEE10hipError_tPvRmT1_T2_T3_mT4_P12ihipStream_tbEUlT_E0_NS1_11comp_targetILNS1_3genE3ELNS1_11target_archE908ELNS1_3gpuE7ELNS1_3repE0EEENS1_30default_config_static_selectorELNS0_4arch9wavefront6targetE1EEEvS17_.private_seg_size, 0
	.set _ZN7rocprim17ROCPRIM_400000_NS6detail17trampoline_kernelINS0_14default_configENS1_22reduce_config_selectorIN6thrust23THRUST_200600_302600_NS5tupleIblNS6_9null_typeES8_S8_S8_S8_S8_S8_S8_EEEEZNS1_11reduce_implILb1ES3_NS6_12zip_iteratorINS7_INS6_11hip_rocprim26transform_input_iterator_tIbPaNS6_6detail10functional5actorINSH_9compositeIJNSH_27transparent_binary_operatorINS6_8equal_toIvEEEENSI_INSH_8argumentILj0EEEEENSH_5valueIaEEEEEEEEENSD_19counting_iterator_tIlEES8_S8_S8_S8_S8_S8_S8_S8_EEEEPS9_S9_NSD_9__find_if7functorIS9_EEEE10hipError_tPvRmT1_T2_T3_mT4_P12ihipStream_tbEUlT_E0_NS1_11comp_targetILNS1_3genE3ELNS1_11target_archE908ELNS1_3gpuE7ELNS1_3repE0EEENS1_30default_config_static_selectorELNS0_4arch9wavefront6targetE1EEEvS17_.uses_vcc, 0
	.set _ZN7rocprim17ROCPRIM_400000_NS6detail17trampoline_kernelINS0_14default_configENS1_22reduce_config_selectorIN6thrust23THRUST_200600_302600_NS5tupleIblNS6_9null_typeES8_S8_S8_S8_S8_S8_S8_EEEEZNS1_11reduce_implILb1ES3_NS6_12zip_iteratorINS7_INS6_11hip_rocprim26transform_input_iterator_tIbPaNS6_6detail10functional5actorINSH_9compositeIJNSH_27transparent_binary_operatorINS6_8equal_toIvEEEENSI_INSH_8argumentILj0EEEEENSH_5valueIaEEEEEEEEENSD_19counting_iterator_tIlEES8_S8_S8_S8_S8_S8_S8_S8_EEEEPS9_S9_NSD_9__find_if7functorIS9_EEEE10hipError_tPvRmT1_T2_T3_mT4_P12ihipStream_tbEUlT_E0_NS1_11comp_targetILNS1_3genE3ELNS1_11target_archE908ELNS1_3gpuE7ELNS1_3repE0EEENS1_30default_config_static_selectorELNS0_4arch9wavefront6targetE1EEEvS17_.uses_flat_scratch, 0
	.set _ZN7rocprim17ROCPRIM_400000_NS6detail17trampoline_kernelINS0_14default_configENS1_22reduce_config_selectorIN6thrust23THRUST_200600_302600_NS5tupleIblNS6_9null_typeES8_S8_S8_S8_S8_S8_S8_EEEEZNS1_11reduce_implILb1ES3_NS6_12zip_iteratorINS7_INS6_11hip_rocprim26transform_input_iterator_tIbPaNS6_6detail10functional5actorINSH_9compositeIJNSH_27transparent_binary_operatorINS6_8equal_toIvEEEENSI_INSH_8argumentILj0EEEEENSH_5valueIaEEEEEEEEENSD_19counting_iterator_tIlEES8_S8_S8_S8_S8_S8_S8_S8_EEEEPS9_S9_NSD_9__find_if7functorIS9_EEEE10hipError_tPvRmT1_T2_T3_mT4_P12ihipStream_tbEUlT_E0_NS1_11comp_targetILNS1_3genE3ELNS1_11target_archE908ELNS1_3gpuE7ELNS1_3repE0EEENS1_30default_config_static_selectorELNS0_4arch9wavefront6targetE1EEEvS17_.has_dyn_sized_stack, 0
	.set _ZN7rocprim17ROCPRIM_400000_NS6detail17trampoline_kernelINS0_14default_configENS1_22reduce_config_selectorIN6thrust23THRUST_200600_302600_NS5tupleIblNS6_9null_typeES8_S8_S8_S8_S8_S8_S8_EEEEZNS1_11reduce_implILb1ES3_NS6_12zip_iteratorINS7_INS6_11hip_rocprim26transform_input_iterator_tIbPaNS6_6detail10functional5actorINSH_9compositeIJNSH_27transparent_binary_operatorINS6_8equal_toIvEEEENSI_INSH_8argumentILj0EEEEENSH_5valueIaEEEEEEEEENSD_19counting_iterator_tIlEES8_S8_S8_S8_S8_S8_S8_S8_EEEEPS9_S9_NSD_9__find_if7functorIS9_EEEE10hipError_tPvRmT1_T2_T3_mT4_P12ihipStream_tbEUlT_E0_NS1_11comp_targetILNS1_3genE3ELNS1_11target_archE908ELNS1_3gpuE7ELNS1_3repE0EEENS1_30default_config_static_selectorELNS0_4arch9wavefront6targetE1EEEvS17_.has_recursion, 0
	.set _ZN7rocprim17ROCPRIM_400000_NS6detail17trampoline_kernelINS0_14default_configENS1_22reduce_config_selectorIN6thrust23THRUST_200600_302600_NS5tupleIblNS6_9null_typeES8_S8_S8_S8_S8_S8_S8_EEEEZNS1_11reduce_implILb1ES3_NS6_12zip_iteratorINS7_INS6_11hip_rocprim26transform_input_iterator_tIbPaNS6_6detail10functional5actorINSH_9compositeIJNSH_27transparent_binary_operatorINS6_8equal_toIvEEEENSI_INSH_8argumentILj0EEEEENSH_5valueIaEEEEEEEEENSD_19counting_iterator_tIlEES8_S8_S8_S8_S8_S8_S8_S8_EEEEPS9_S9_NSD_9__find_if7functorIS9_EEEE10hipError_tPvRmT1_T2_T3_mT4_P12ihipStream_tbEUlT_E0_NS1_11comp_targetILNS1_3genE3ELNS1_11target_archE908ELNS1_3gpuE7ELNS1_3repE0EEENS1_30default_config_static_selectorELNS0_4arch9wavefront6targetE1EEEvS17_.has_indirect_call, 0
	.section	.AMDGPU.csdata,"",@progbits
; Kernel info:
; codeLenInByte = 0
; TotalNumSgprs: 4
; NumVgprs: 0
; ScratchSize: 0
; MemoryBound: 0
; FloatMode: 240
; IeeeMode: 1
; LDSByteSize: 0 bytes/workgroup (compile time only)
; SGPRBlocks: 0
; VGPRBlocks: 0
; NumSGPRsForWavesPerEU: 4
; NumVGPRsForWavesPerEU: 1
; Occupancy: 10
; WaveLimiterHint : 0
; COMPUTE_PGM_RSRC2:SCRATCH_EN: 0
; COMPUTE_PGM_RSRC2:USER_SGPR: 6
; COMPUTE_PGM_RSRC2:TRAP_HANDLER: 0
; COMPUTE_PGM_RSRC2:TGID_X_EN: 1
; COMPUTE_PGM_RSRC2:TGID_Y_EN: 0
; COMPUTE_PGM_RSRC2:TGID_Z_EN: 0
; COMPUTE_PGM_RSRC2:TIDIG_COMP_CNT: 0
	.section	.text._ZN7rocprim17ROCPRIM_400000_NS6detail17trampoline_kernelINS0_14default_configENS1_22reduce_config_selectorIN6thrust23THRUST_200600_302600_NS5tupleIblNS6_9null_typeES8_S8_S8_S8_S8_S8_S8_EEEEZNS1_11reduce_implILb1ES3_NS6_12zip_iteratorINS7_INS6_11hip_rocprim26transform_input_iterator_tIbPaNS6_6detail10functional5actorINSH_9compositeIJNSH_27transparent_binary_operatorINS6_8equal_toIvEEEENSI_INSH_8argumentILj0EEEEENSH_5valueIaEEEEEEEEENSD_19counting_iterator_tIlEES8_S8_S8_S8_S8_S8_S8_S8_EEEEPS9_S9_NSD_9__find_if7functorIS9_EEEE10hipError_tPvRmT1_T2_T3_mT4_P12ihipStream_tbEUlT_E0_NS1_11comp_targetILNS1_3genE2ELNS1_11target_archE906ELNS1_3gpuE6ELNS1_3repE0EEENS1_30default_config_static_selectorELNS0_4arch9wavefront6targetE1EEEvS17_,"axG",@progbits,_ZN7rocprim17ROCPRIM_400000_NS6detail17trampoline_kernelINS0_14default_configENS1_22reduce_config_selectorIN6thrust23THRUST_200600_302600_NS5tupleIblNS6_9null_typeES8_S8_S8_S8_S8_S8_S8_EEEEZNS1_11reduce_implILb1ES3_NS6_12zip_iteratorINS7_INS6_11hip_rocprim26transform_input_iterator_tIbPaNS6_6detail10functional5actorINSH_9compositeIJNSH_27transparent_binary_operatorINS6_8equal_toIvEEEENSI_INSH_8argumentILj0EEEEENSH_5valueIaEEEEEEEEENSD_19counting_iterator_tIlEES8_S8_S8_S8_S8_S8_S8_S8_EEEEPS9_S9_NSD_9__find_if7functorIS9_EEEE10hipError_tPvRmT1_T2_T3_mT4_P12ihipStream_tbEUlT_E0_NS1_11comp_targetILNS1_3genE2ELNS1_11target_archE906ELNS1_3gpuE6ELNS1_3repE0EEENS1_30default_config_static_selectorELNS0_4arch9wavefront6targetE1EEEvS17_,comdat
	.protected	_ZN7rocprim17ROCPRIM_400000_NS6detail17trampoline_kernelINS0_14default_configENS1_22reduce_config_selectorIN6thrust23THRUST_200600_302600_NS5tupleIblNS6_9null_typeES8_S8_S8_S8_S8_S8_S8_EEEEZNS1_11reduce_implILb1ES3_NS6_12zip_iteratorINS7_INS6_11hip_rocprim26transform_input_iterator_tIbPaNS6_6detail10functional5actorINSH_9compositeIJNSH_27transparent_binary_operatorINS6_8equal_toIvEEEENSI_INSH_8argumentILj0EEEEENSH_5valueIaEEEEEEEEENSD_19counting_iterator_tIlEES8_S8_S8_S8_S8_S8_S8_S8_EEEEPS9_S9_NSD_9__find_if7functorIS9_EEEE10hipError_tPvRmT1_T2_T3_mT4_P12ihipStream_tbEUlT_E0_NS1_11comp_targetILNS1_3genE2ELNS1_11target_archE906ELNS1_3gpuE6ELNS1_3repE0EEENS1_30default_config_static_selectorELNS0_4arch9wavefront6targetE1EEEvS17_ ; -- Begin function _ZN7rocprim17ROCPRIM_400000_NS6detail17trampoline_kernelINS0_14default_configENS1_22reduce_config_selectorIN6thrust23THRUST_200600_302600_NS5tupleIblNS6_9null_typeES8_S8_S8_S8_S8_S8_S8_EEEEZNS1_11reduce_implILb1ES3_NS6_12zip_iteratorINS7_INS6_11hip_rocprim26transform_input_iterator_tIbPaNS6_6detail10functional5actorINSH_9compositeIJNSH_27transparent_binary_operatorINS6_8equal_toIvEEEENSI_INSH_8argumentILj0EEEEENSH_5valueIaEEEEEEEEENSD_19counting_iterator_tIlEES8_S8_S8_S8_S8_S8_S8_S8_EEEEPS9_S9_NSD_9__find_if7functorIS9_EEEE10hipError_tPvRmT1_T2_T3_mT4_P12ihipStream_tbEUlT_E0_NS1_11comp_targetILNS1_3genE2ELNS1_11target_archE906ELNS1_3gpuE6ELNS1_3repE0EEENS1_30default_config_static_selectorELNS0_4arch9wavefront6targetE1EEEvS17_
	.globl	_ZN7rocprim17ROCPRIM_400000_NS6detail17trampoline_kernelINS0_14default_configENS1_22reduce_config_selectorIN6thrust23THRUST_200600_302600_NS5tupleIblNS6_9null_typeES8_S8_S8_S8_S8_S8_S8_EEEEZNS1_11reduce_implILb1ES3_NS6_12zip_iteratorINS7_INS6_11hip_rocprim26transform_input_iterator_tIbPaNS6_6detail10functional5actorINSH_9compositeIJNSH_27transparent_binary_operatorINS6_8equal_toIvEEEENSI_INSH_8argumentILj0EEEEENSH_5valueIaEEEEEEEEENSD_19counting_iterator_tIlEES8_S8_S8_S8_S8_S8_S8_S8_EEEEPS9_S9_NSD_9__find_if7functorIS9_EEEE10hipError_tPvRmT1_T2_T3_mT4_P12ihipStream_tbEUlT_E0_NS1_11comp_targetILNS1_3genE2ELNS1_11target_archE906ELNS1_3gpuE6ELNS1_3repE0EEENS1_30default_config_static_selectorELNS0_4arch9wavefront6targetE1EEEvS17_
	.p2align	8
	.type	_ZN7rocprim17ROCPRIM_400000_NS6detail17trampoline_kernelINS0_14default_configENS1_22reduce_config_selectorIN6thrust23THRUST_200600_302600_NS5tupleIblNS6_9null_typeES8_S8_S8_S8_S8_S8_S8_EEEEZNS1_11reduce_implILb1ES3_NS6_12zip_iteratorINS7_INS6_11hip_rocprim26transform_input_iterator_tIbPaNS6_6detail10functional5actorINSH_9compositeIJNSH_27transparent_binary_operatorINS6_8equal_toIvEEEENSI_INSH_8argumentILj0EEEEENSH_5valueIaEEEEEEEEENSD_19counting_iterator_tIlEES8_S8_S8_S8_S8_S8_S8_S8_EEEEPS9_S9_NSD_9__find_if7functorIS9_EEEE10hipError_tPvRmT1_T2_T3_mT4_P12ihipStream_tbEUlT_E0_NS1_11comp_targetILNS1_3genE2ELNS1_11target_archE906ELNS1_3gpuE6ELNS1_3repE0EEENS1_30default_config_static_selectorELNS0_4arch9wavefront6targetE1EEEvS17_,@function
_ZN7rocprim17ROCPRIM_400000_NS6detail17trampoline_kernelINS0_14default_configENS1_22reduce_config_selectorIN6thrust23THRUST_200600_302600_NS5tupleIblNS6_9null_typeES8_S8_S8_S8_S8_S8_S8_EEEEZNS1_11reduce_implILb1ES3_NS6_12zip_iteratorINS7_INS6_11hip_rocprim26transform_input_iterator_tIbPaNS6_6detail10functional5actorINSH_9compositeIJNSH_27transparent_binary_operatorINS6_8equal_toIvEEEENSI_INSH_8argumentILj0EEEEENSH_5valueIaEEEEEEEEENSD_19counting_iterator_tIlEES8_S8_S8_S8_S8_S8_S8_S8_EEEEPS9_S9_NSD_9__find_if7functorIS9_EEEE10hipError_tPvRmT1_T2_T3_mT4_P12ihipStream_tbEUlT_E0_NS1_11comp_targetILNS1_3genE2ELNS1_11target_archE906ELNS1_3gpuE6ELNS1_3repE0EEENS1_30default_config_static_selectorELNS0_4arch9wavefront6targetE1EEEvS17_: ; @_ZN7rocprim17ROCPRIM_400000_NS6detail17trampoline_kernelINS0_14default_configENS1_22reduce_config_selectorIN6thrust23THRUST_200600_302600_NS5tupleIblNS6_9null_typeES8_S8_S8_S8_S8_S8_S8_EEEEZNS1_11reduce_implILb1ES3_NS6_12zip_iteratorINS7_INS6_11hip_rocprim26transform_input_iterator_tIbPaNS6_6detail10functional5actorINSH_9compositeIJNSH_27transparent_binary_operatorINS6_8equal_toIvEEEENSI_INSH_8argumentILj0EEEEENSH_5valueIaEEEEEEEEENSD_19counting_iterator_tIlEES8_S8_S8_S8_S8_S8_S8_S8_EEEEPS9_S9_NSD_9__find_if7functorIS9_EEEE10hipError_tPvRmT1_T2_T3_mT4_P12ihipStream_tbEUlT_E0_NS1_11comp_targetILNS1_3genE2ELNS1_11target_archE906ELNS1_3gpuE6ELNS1_3repE0EEENS1_30default_config_static_selectorELNS0_4arch9wavefront6targetE1EEEvS17_
; %bb.0:
	s_load_dwordx2 s[0:1], s[4:5], 0x0
	s_load_dword s2, s[4:5], 0x8
	s_load_dwordx8 s[12:19], s[4:5], 0x10
	s_load_dwordx4 s[20:23], s[4:5], 0x30
	s_mov_b32 s7, 0
	v_mbcnt_lo_u32_b32 v8, -1, 0
	s_waitcnt lgkmcnt(0)
	s_lshr_b32 s26, s2, 16
	s_add_u32 s2, s0, s14
	s_addc_u32 s3, s1, s15
	s_lshl_b32 s27, s6, 8
	s_lshr_b64 s[0:1], s[16:17], 8
	s_add_u32 s24, s2, s27
	s_addc_u32 s25, s3, 0
	s_add_u32 s2, s12, s27
	s_addc_u32 s3, s13, 0
	;; [unrolled: 2-line block ×3, first 2 shown]
	s_cmp_lg_u64 s[0:1], s[6:7]
	s_cbranch_scc0 .LBB712_10
; %bb.1:
	global_load_ubyte v1, v0, s[24:25] offset:128
	global_load_ubyte v2, v0, s[24:25]
	v_mov_b32_e32 v4, s15
	v_add_co_u32_e32 v6, vcc, s14, v0
	v_addc_co_u32_e32 v4, vcc, 0, v4, vcc
	v_add_co_u32_e32 v7, vcc, 0x80, v6
	s_and_b32 s2, s26, 0xff
	v_addc_co_u32_e32 v9, vcc, 0, v4, vcc
	v_mbcnt_hi_u32_b32 v3, -1, v8
	v_lshlrev_b32_e32 v5, 2, v3
	v_or_b32_e32 v11, 0xfc, v5
	s_waitcnt vmcnt(1)
	v_cmp_eq_u16_sdwa s[0:1], v1, s2 src0_sel:BYTE_0 src1_sel:DWORD
	s_waitcnt vmcnt(0)
	v_cmp_eq_u16_e32 vcc, s2, v2
	v_cndmask_b32_e32 v2, v9, v4, vcc
	v_cndmask_b32_e32 v1, v7, v6, vcc
	s_or_b64 s[0:1], vcc, s[0:1]
	v_mov_b32_dpp v7, v2 quad_perm:[1,0,3,2] row_mask:0xf bank_mask:0xf bound_ctrl:1
	v_mov_b32_dpp v6, v1 quad_perm:[1,0,3,2] row_mask:0xf bank_mask:0xf bound_ctrl:1
	v_cndmask_b32_e64 v4, 0, 1, s[0:1]
	v_cmp_lt_i64_e32 vcc, v[1:2], v[6:7]
	s_and_b64 vcc, s[0:1], vcc
	v_mov_b32_dpp v9, v4 quad_perm:[1,0,3,2] row_mask:0xf bank_mask:0xf bound_ctrl:1
	v_and_b32_e32 v9, 1, v9
	v_cndmask_b32_e32 v6, v6, v1, vcc
	v_cndmask_b32_e32 v7, v7, v2, vcc
	v_cmp_eq_u32_e32 vcc, 1, v9
	v_cndmask_b32_e32 v2, v2, v7, vcc
	v_cndmask_b32_e32 v1, v1, v6, vcc
	v_cndmask_b32_e64 v4, v4, 1, vcc
	v_mov_b32_dpp v7, v2 quad_perm:[2,3,0,1] row_mask:0xf bank_mask:0xf bound_ctrl:1
	v_mov_b32_dpp v6, v1 quad_perm:[2,3,0,1] row_mask:0xf bank_mask:0xf bound_ctrl:1
	v_and_b32_e32 v10, 1, v4
	v_cmp_lt_i64_e64 s[0:1], v[1:2], v[6:7]
	v_mov_b32_dpp v9, v4 quad_perm:[2,3,0,1] row_mask:0xf bank_mask:0xf bound_ctrl:1
	v_cmp_eq_u32_e32 vcc, 1, v10
	v_and_b32_e32 v9, 1, v9
	s_and_b64 vcc, vcc, s[0:1]
	v_cmp_eq_u32_e64 s[2:3], 1, v9
	v_cndmask_b32_e32 v6, v6, v1, vcc
	v_cndmask_b32_e32 v7, v7, v2, vcc
	v_cndmask_b32_e64 v1, v1, v6, s[2:3]
	v_cndmask_b32_e64 v2, v2, v7, s[2:3]
	;; [unrolled: 1-line block ×3, first 2 shown]
	v_mov_b32_dpp v6, v1 row_ror:4 row_mask:0xf bank_mask:0xf bound_ctrl:1
	v_mov_b32_dpp v7, v2 row_ror:4 row_mask:0xf bank_mask:0xf bound_ctrl:1
	v_and_b32_e32 v10, 1, v4
	v_cmp_lt_i64_e64 s[2:3], v[1:2], v[6:7]
	v_mov_b32_dpp v9, v4 row_ror:4 row_mask:0xf bank_mask:0xf bound_ctrl:1
	v_cmp_eq_u32_e32 vcc, 1, v10
	v_and_b32_e32 v9, 1, v9
	s_and_b64 vcc, vcc, s[2:3]
	v_cmp_eq_u32_e64 s[0:1], 1, v9
	v_cndmask_b32_e32 v6, v6, v1, vcc
	v_cndmask_b32_e32 v7, v7, v2, vcc
	v_cndmask_b32_e64 v1, v1, v6, s[0:1]
	v_cndmask_b32_e64 v2, v2, v7, s[0:1]
	;; [unrolled: 1-line block ×3, first 2 shown]
	v_mov_b32_dpp v6, v1 row_ror:8 row_mask:0xf bank_mask:0xf bound_ctrl:1
	v_mov_b32_dpp v7, v2 row_ror:8 row_mask:0xf bank_mask:0xf bound_ctrl:1
	v_and_b32_e32 v10, 1, v4
	v_cmp_lt_i64_e64 s[2:3], v[1:2], v[6:7]
	v_mov_b32_dpp v9, v4 row_ror:8 row_mask:0xf bank_mask:0xf bound_ctrl:1
	v_cmp_eq_u32_e64 s[8:9], 1, v10
	v_and_b32_e32 v9, 1, v9
	s_and_b64 s[2:3], s[8:9], s[2:3]
	v_cmp_eq_u32_e64 s[10:11], 1, v9
	v_cndmask_b32_e64 v6, v6, v1, s[2:3]
	v_cndmask_b32_e64 v7, v7, v2, s[2:3]
	;; [unrolled: 1-line block ×5, first 2 shown]
	v_mov_b32_dpp v9, v4 row_bcast:15 row_mask:0xf bank_mask:0xf bound_ctrl:1
	v_mov_b32_dpp v6, v1 row_bcast:15 row_mask:0xf bank_mask:0xf bound_ctrl:1
	;; [unrolled: 1-line block ×3, first 2 shown]
	v_and_b32_e32 v10, 1, v4
	v_and_b32_e32 v9, 1, v9
	v_cmp_lt_i64_e64 s[2:3], v[1:2], v[6:7]
	v_cmp_eq_u32_e32 vcc, 1, v10
	v_cmp_eq_u32_e64 s[0:1], 1, v9
	v_cndmask_b32_e64 v4, v4, 1, s[0:1]
	s_and_b64 vcc, vcc, s[2:3]
	v_cndmask_b32_e32 v6, v6, v1, vcc
	v_mov_b32_dpp v9, v4 row_bcast:31 row_mask:0xf bank_mask:0xf bound_ctrl:1
	v_cndmask_b32_e32 v7, v7, v2, vcc
	v_and_b32_e32 v10, 1, v4
	v_and_b32_e32 v9, 1, v9
	v_cndmask_b32_e64 v1, v1, v6, s[0:1]
	v_cndmask_b32_e64 v2, v2, v7, s[0:1]
	v_cmp_eq_u32_e64 s[12:13], 1, v10
	v_cmp_eq_u32_e64 s[8:9], 1, v9
	v_mov_b32_dpp v9, v1 row_bcast:31 row_mask:0xf bank_mask:0xf bound_ctrl:1
	v_mov_b32_dpp v10, v2 row_bcast:31 row_mask:0xf bank_mask:0xf bound_ctrl:1
	v_cmp_lt_i64_e32 vcc, v[1:2], v[9:10]
	v_cndmask_b32_e64 v4, v4, 1, s[8:9]
	s_and_b64 vcc, s[12:13], vcc
	ds_bpermute_b32 v7, v11, v4
	v_cndmask_b32_e32 v4, v9, v1, vcc
	v_cndmask_b32_e32 v6, v10, v2, vcc
	v_cndmask_b32_e64 v1, v1, v4, s[8:9]
	v_cndmask_b32_e64 v2, v2, v6, s[8:9]
	ds_bpermute_b32 v1, v11, v1
	ds_bpermute_b32 v2, v11, v2
	v_cmp_eq_u32_e32 vcc, 0, v3
	s_and_saveexec_b64 s[0:1], vcc
	s_cbranch_execz .LBB712_3
; %bb.2:
	v_lshrrev_b32_e32 v4, 2, v0
	v_and_b32_e32 v4, 16, v4
	s_waitcnt lgkmcnt(2)
	ds_write_b8 v4, v7
	s_waitcnt lgkmcnt(1)
	ds_write_b64 v4, v[1:2] offset:8
.LBB712_3:
	s_or_b64 exec, exec, s[0:1]
	v_cmp_gt_u32_e32 vcc, 64, v0
	s_waitcnt lgkmcnt(0)
	s_barrier
	s_and_saveexec_b64 s[0:1], vcc
	s_cbranch_execz .LBB712_9
; %bb.4:
	v_and_b32_e32 v1, 1, v3
	v_lshlrev_b32_e32 v1, 4, v1
	ds_read_u8 v9, v1
	ds_read_b64 v[3:4], v1 offset:8
	v_or_b32_e32 v2, 4, v5
	s_waitcnt lgkmcnt(1)
	v_and_b32_e32 v1, 0xff, v9
	ds_bpermute_b32 v10, v2, v1
	s_waitcnt lgkmcnt(1)
	ds_bpermute_b32 v5, v2, v3
	ds_bpermute_b32 v6, v2, v4
	s_waitcnt lgkmcnt(2)
	v_and_b32_e32 v1, v9, v10
	v_and_b32_e32 v1, 1, v1
	v_cmp_eq_u32_e32 vcc, 1, v1
                                        ; implicit-def: $vgpr1_vgpr2
	s_and_saveexec_b64 s[2:3], vcc
	s_xor_b64 s[2:3], exec, s[2:3]
	s_cbranch_execz .LBB712_6
; %bb.5:
	s_waitcnt lgkmcnt(0)
	v_cmp_lt_i64_e32 vcc, v[5:6], v[3:4]
                                        ; implicit-def: $vgpr9
                                        ; implicit-def: $vgpr10
	v_cndmask_b32_e32 v2, v4, v6, vcc
	v_cndmask_b32_e32 v1, v3, v5, vcc
                                        ; implicit-def: $vgpr5_vgpr6
                                        ; implicit-def: $vgpr3_vgpr4
.LBB712_6:
	s_or_saveexec_b64 s[2:3], s[2:3]
	v_mov_b32_e32 v7, 1
	s_xor_b64 exec, exec, s[2:3]
	s_cbranch_execz .LBB712_8
; %bb.7:
	v_and_b32_e32 v1, 1, v9
	v_cmp_eq_u32_e32 vcc, 1, v1
	s_waitcnt lgkmcnt(0)
	v_cndmask_b32_e32 v2, v6, v4, vcc
	v_cndmask_b32_e32 v1, v5, v3, vcc
	v_cndmask_b32_e64 v7, v10, 1, vcc
.LBB712_8:
	s_or_b64 exec, exec, s[2:3]
.LBB712_9:
	s_or_b64 exec, exec, s[0:1]
	s_load_dword s10, s[4:5], 0x40
	s_load_dwordx2 s[8:9], s[4:5], 0x48
	s_branch .LBB712_62
.LBB712_10:
                                        ; implicit-def: $vgpr1_vgpr2
                                        ; implicit-def: $vgpr7
	s_load_dword s10, s[4:5], 0x40
	s_load_dwordx2 s[8:9], s[4:5], 0x48
	s_cbranch_execz .LBB712_62
; %bb.11:
	s_sub_i32 s11, s16, s27
	v_mov_b32_e32 v3, 0
	v_mov_b32_e32 v1, 0
	v_cmp_gt_u32_e32 vcc, s11, v0
	s_waitcnt lgkmcnt(0)
	v_mov_b32_e32 v5, 0
	v_mov_b32_e32 v4, 0
	;; [unrolled: 1-line block ×4, first 2 shown]
	s_and_saveexec_b64 s[0:1], vcc
	s_cbranch_execz .LBB712_13
; %bb.12:
	global_load_ubyte v6, v0, s[24:25]
	v_mov_b32_e32 v2, s15
	v_add_co_u32_e32 v1, vcc, s14, v0
	s_and_b32 s2, s26, 0xff
	v_addc_co_u32_e32 v2, vcc, 0, v2, vcc
	s_waitcnt vmcnt(0)
	v_cmp_eq_u16_e32 vcc, s2, v6
	v_cndmask_b32_e64 v6, 0, 1, vcc
.LBB712_13:
	s_or_b64 exec, exec, s[0:1]
	v_or_b32_e32 v7, 0x80, v0
	v_cmp_gt_u32_e32 vcc, s11, v7
	s_and_saveexec_b64 s[2:3], vcc
	s_cbranch_execz .LBB712_15
; %bb.14:
	global_load_ubyte v5, v0, s[24:25] offset:128
	v_mov_b32_e32 v4, s15
	v_add_co_u32_e64 v3, s[0:1], s14, v7
	s_and_b32 s4, s26, 0xff
	v_addc_co_u32_e64 v4, s[0:1], 0, v4, s[0:1]
	s_waitcnt vmcnt(0)
	v_cmp_eq_u16_e64 s[0:1], s4, v5
	v_cndmask_b32_e64 v5, 0, 1, s[0:1]
.LBB712_15:
	s_or_b64 exec, exec, s[2:3]
	v_and_b32_e32 v9, 0xffff, v5
	v_and_b32_e32 v5, 1, v5
	v_cmp_eq_u32_e64 s[0:1], 1, v5
	v_and_b32_e32 v5, 1, v6
	v_cmp_lt_i64_e64 s[2:3], v[3:4], v[1:2]
	v_cmp_eq_u32_e64 s[4:5], 1, v5
	v_and_b32_e32 v7, 0xffff, v6
	v_cndmask_b32_e64 v5, v9, 1, s[4:5]
	s_and_b64 s[0:1], s[0:1], s[2:3]
	v_cndmask_b32_e64 v6, v2, v4, s[0:1]
	v_cndmask_b32_e64 v9, v1, v3, s[0:1]
	v_cndmask_b32_e32 v7, v7, v5, vcc
	v_mbcnt_hi_u32_b32 v5, -1, v8
	v_cndmask_b32_e64 v3, v3, v9, s[4:5]
	v_cndmask_b32_e64 v4, v4, v6, s[4:5]
	v_and_b32_e32 v6, 63, v5
	v_cndmask_b32_e32 v2, v2, v4, vcc
	v_cndmask_b32_e32 v1, v1, v3, vcc
	v_cmp_ne_u32_e32 vcc, 63, v6
	v_addc_co_u32_e32 v3, vcc, 0, v5, vcc
	v_lshlrev_b32_e32 v4, 2, v3
	ds_bpermute_b32 v9, v4, v7
	ds_bpermute_b32 v3, v4, v1
	;; [unrolled: 1-line block ×3, first 2 shown]
	s_min_u32 s4, s11, 0x80
	v_and_b32_e32 v8, 64, v0
	v_sub_u32_e64 v8, s4, v8 clamp
	v_add_u32_e32 v10, 1, v6
	v_cmp_lt_u32_e32 vcc, v10, v8
	s_and_saveexec_b64 s[0:1], vcc
	s_cbranch_execz .LBB712_21
; %bb.16:
	s_waitcnt lgkmcnt(2)
	v_and_b32_e32 v10, v9, v7
	v_cmp_ne_u32_e32 vcc, 0, v10
	s_and_saveexec_b64 s[2:3], vcc
	s_xor_b64 s[2:3], exec, s[2:3]
	s_cbranch_execz .LBB712_18
; %bb.17:
	s_waitcnt lgkmcnt(0)
	v_cmp_lt_i64_e32 vcc, v[3:4], v[1:2]
                                        ; implicit-def: $vgpr7
                                        ; implicit-def: $vgpr9
	v_cndmask_b32_e32 v2, v2, v4, vcc
	v_cndmask_b32_e32 v1, v1, v3, vcc
                                        ; implicit-def: $vgpr3_vgpr4
.LBB712_18:
	s_or_saveexec_b64 s[2:3], s[2:3]
	v_mov_b32_e32 v10, 1
	s_xor_b64 exec, exec, s[2:3]
	s_cbranch_execz .LBB712_20
; %bb.19:
	v_and_b32_e32 v7, 1, v7
	v_cmp_eq_u32_e32 vcc, 1, v7
	s_waitcnt lgkmcnt(1)
	v_cndmask_b32_e32 v1, v3, v1, vcc
	v_and_b32_e32 v3, 0xff, v9
	s_waitcnt lgkmcnt(0)
	v_cndmask_b32_e32 v2, v4, v2, vcc
	v_cndmask_b32_e64 v10, v3, 1, vcc
.LBB712_20:
	s_or_b64 exec, exec, s[2:3]
	v_mov_b32_e32 v7, v10
.LBB712_21:
	s_or_b64 exec, exec, s[0:1]
	v_cmp_gt_u32_e32 vcc, 62, v6
	s_waitcnt lgkmcnt(1)
	v_cndmask_b32_e64 v3, 0, 2, vcc
	s_waitcnt lgkmcnt(0)
	v_add_lshl_u32 v4, v3, v5, 2
	ds_bpermute_b32 v9, v4, v7
	ds_bpermute_b32 v3, v4, v1
	ds_bpermute_b32 v4, v4, v2
	v_add_u32_e32 v10, 2, v6
	v_cmp_lt_u32_e32 vcc, v10, v8
	s_and_saveexec_b64 s[0:1], vcc
	s_cbranch_execz .LBB712_27
; %bb.22:
	s_waitcnt lgkmcnt(2)
	v_and_b32_e32 v10, v7, v9
	v_and_b32_e32 v10, 1, v10
	v_cmp_eq_u32_e32 vcc, 1, v10
	s_and_saveexec_b64 s[2:3], vcc
	s_xor_b64 s[2:3], exec, s[2:3]
	s_cbranch_execz .LBB712_24
; %bb.23:
	s_waitcnt lgkmcnt(0)
	v_cmp_lt_i64_e32 vcc, v[3:4], v[1:2]
                                        ; implicit-def: $vgpr7
                                        ; implicit-def: $vgpr9
	v_cndmask_b32_e32 v2, v2, v4, vcc
	v_cndmask_b32_e32 v1, v1, v3, vcc
                                        ; implicit-def: $vgpr3_vgpr4
.LBB712_24:
	s_or_saveexec_b64 s[2:3], s[2:3]
	v_mov_b32_e32 v10, 1
	s_xor_b64 exec, exec, s[2:3]
	s_cbranch_execz .LBB712_26
; %bb.25:
	v_and_b32_e32 v7, 1, v7
	v_cmp_eq_u32_e32 vcc, 1, v7
	s_waitcnt lgkmcnt(1)
	v_cndmask_b32_e32 v1, v3, v1, vcc
	v_and_b32_e32 v3, 0xff, v9
	s_waitcnt lgkmcnt(0)
	v_cndmask_b32_e32 v2, v4, v2, vcc
	v_cndmask_b32_e64 v10, v3, 1, vcc
.LBB712_26:
	s_or_b64 exec, exec, s[2:3]
	v_mov_b32_e32 v7, v10
.LBB712_27:
	s_or_b64 exec, exec, s[0:1]
	v_cmp_gt_u32_e32 vcc, 60, v6
	s_waitcnt lgkmcnt(1)
	v_cndmask_b32_e64 v3, 0, 4, vcc
	s_waitcnt lgkmcnt(0)
	v_add_lshl_u32 v4, v3, v5, 2
	ds_bpermute_b32 v9, v4, v7
	ds_bpermute_b32 v3, v4, v1
	ds_bpermute_b32 v4, v4, v2
	v_add_u32_e32 v10, 4, v6
	v_cmp_lt_u32_e32 vcc, v10, v8
	s_and_saveexec_b64 s[0:1], vcc
	s_cbranch_execz .LBB712_33
; %bb.28:
	s_waitcnt lgkmcnt(2)
	v_and_b32_e32 v10, v7, v9
	v_and_b32_e32 v10, 1, v10
	v_cmp_eq_u32_e32 vcc, 1, v10
	s_and_saveexec_b64 s[2:3], vcc
	s_xor_b64 s[2:3], exec, s[2:3]
	s_cbranch_execz .LBB712_30
; %bb.29:
	s_waitcnt lgkmcnt(0)
	v_cmp_lt_i64_e32 vcc, v[3:4], v[1:2]
                                        ; implicit-def: $vgpr7
                                        ; implicit-def: $vgpr9
	v_cndmask_b32_e32 v2, v2, v4, vcc
	v_cndmask_b32_e32 v1, v1, v3, vcc
                                        ; implicit-def: $vgpr3_vgpr4
.LBB712_30:
	s_or_saveexec_b64 s[2:3], s[2:3]
	v_mov_b32_e32 v10, 1
	s_xor_b64 exec, exec, s[2:3]
	s_cbranch_execz .LBB712_32
; %bb.31:
	v_and_b32_e32 v7, 1, v7
	v_cmp_eq_u32_e32 vcc, 1, v7
	s_waitcnt lgkmcnt(1)
	v_cndmask_b32_e32 v1, v3, v1, vcc
	v_and_b32_e32 v3, 0xff, v9
	s_waitcnt lgkmcnt(0)
	v_cndmask_b32_e32 v2, v4, v2, vcc
	v_cndmask_b32_e64 v10, v3, 1, vcc
.LBB712_32:
	s_or_b64 exec, exec, s[2:3]
	v_mov_b32_e32 v7, v10
.LBB712_33:
	;; [unrolled: 47-line block ×4, first 2 shown]
	s_or_b64 exec, exec, s[0:1]
	s_waitcnt lgkmcnt(2)
	v_lshlrev_b32_e32 v9, 2, v5
	s_waitcnt lgkmcnt(0)
	v_or_b32_e32 v4, 0x80, v9
	ds_bpermute_b32 v10, v4, v7
	ds_bpermute_b32 v3, v4, v1
	;; [unrolled: 1-line block ×3, first 2 shown]
	v_add_u32_e32 v6, 32, v6
	v_cmp_lt_u32_e32 vcc, v6, v8
	v_mov_b32_e32 v6, v7
	s_and_saveexec_b64 s[0:1], vcc
	s_cbranch_execz .LBB712_51
; %bb.46:
	s_waitcnt lgkmcnt(2)
	v_and_b32_e32 v6, v7, v10
	v_and_b32_e32 v6, 1, v6
	v_cmp_eq_u32_e32 vcc, 1, v6
	s_and_saveexec_b64 s[2:3], vcc
	s_xor_b64 s[2:3], exec, s[2:3]
	s_cbranch_execz .LBB712_48
; %bb.47:
	s_waitcnt lgkmcnt(0)
	v_cmp_lt_i64_e32 vcc, v[3:4], v[1:2]
                                        ; implicit-def: $vgpr7
                                        ; implicit-def: $vgpr10
	v_cndmask_b32_e32 v2, v2, v4, vcc
	v_cndmask_b32_e32 v1, v1, v3, vcc
                                        ; implicit-def: $vgpr3_vgpr4
.LBB712_48:
	s_or_saveexec_b64 s[2:3], s[2:3]
	v_mov_b32_e32 v6, 1
	s_xor_b64 exec, exec, s[2:3]
	s_cbranch_execz .LBB712_50
; %bb.49:
	v_and_b32_e32 v6, 1, v7
	v_cmp_eq_u32_e32 vcc, 1, v6
	v_cndmask_b32_e64 v6, v10, 1, vcc
	s_waitcnt lgkmcnt(0)
	v_cndmask_b32_e32 v2, v4, v2, vcc
	v_cndmask_b32_e32 v1, v3, v1, vcc
.LBB712_50:
	s_or_b64 exec, exec, s[2:3]
	v_and_b32_e32 v7, 0xff, v6
.LBB712_51:
	s_or_b64 exec, exec, s[0:1]
	v_cmp_eq_u32_e32 vcc, 0, v5
	s_and_saveexec_b64 s[0:1], vcc
	s_cbranch_execz .LBB712_53
; %bb.52:
	s_waitcnt lgkmcnt(1)
	v_lshrrev_b32_e32 v3, 2, v0
	v_and_b32_e32 v3, 16, v3
	ds_write_b8 v3, v6 offset:32
	ds_write_b64 v3, v[1:2] offset:40
.LBB712_53:
	s_or_b64 exec, exec, s[0:1]
	v_cmp_gt_u32_e32 vcc, 2, v0
	s_waitcnt lgkmcnt(0)
	s_barrier
	s_and_saveexec_b64 s[0:1], vcc
	s_cbranch_execz .LBB712_61
; %bb.54:
	v_lshlrev_b32_e32 v1, 4, v5
	ds_read_u8 v6, v1 offset:32
	ds_read_b64 v[1:2], v1 offset:40
	v_or_b32_e32 v4, 4, v9
	s_add_i32 s4, s4, 63
	v_and_b32_e32 v5, 1, v5
	s_waitcnt lgkmcnt(1)
	v_and_b32_e32 v7, 0xff, v6
	s_waitcnt lgkmcnt(0)
	ds_bpermute_b32 v3, v4, v1
	ds_bpermute_b32 v8, v4, v7
	;; [unrolled: 1-line block ×3, first 2 shown]
	s_lshr_b32 s2, s4, 6
	v_add_u32_e32 v5, 1, v5
	v_cmp_gt_u32_e32 vcc, s2, v5
	s_and_saveexec_b64 s[2:3], vcc
	s_cbranch_execz .LBB712_60
; %bb.55:
	s_waitcnt lgkmcnt(1)
	v_and_b32_e32 v5, v7, v8
	v_and_b32_e32 v5, 1, v5
	v_cmp_eq_u32_e32 vcc, 1, v5
	s_and_saveexec_b64 s[4:5], vcc
	s_xor_b64 s[4:5], exec, s[4:5]
	s_cbranch_execz .LBB712_57
; %bb.56:
	s_waitcnt lgkmcnt(0)
	v_cmp_lt_i64_e32 vcc, v[3:4], v[1:2]
                                        ; implicit-def: $vgpr6
                                        ; implicit-def: $vgpr8
	v_cndmask_b32_e32 v2, v2, v4, vcc
	v_cndmask_b32_e32 v1, v1, v3, vcc
                                        ; implicit-def: $vgpr3_vgpr4
.LBB712_57:
	s_or_saveexec_b64 s[4:5], s[4:5]
	v_mov_b32_e32 v7, 1
	s_xor_b64 exec, exec, s[4:5]
	s_cbranch_execz .LBB712_59
; %bb.58:
	v_and_b32_e32 v5, 1, v6
	v_cmp_eq_u32_e32 vcc, 1, v5
	s_waitcnt lgkmcnt(0)
	v_cndmask_b32_e32 v2, v4, v2, vcc
	v_cndmask_b32_e32 v1, v3, v1, vcc
	v_cndmask_b32_e64 v7, v8, 1, vcc
.LBB712_59:
	s_or_b64 exec, exec, s[4:5]
.LBB712_60:
	s_or_b64 exec, exec, s[2:3]
.LBB712_61:
	s_or_b64 exec, exec, s[0:1]
.LBB712_62:
	v_cmp_eq_u32_e32 vcc, 0, v0
	s_and_saveexec_b64 s[0:1], vcc
	s_cbranch_execnz .LBB712_64
; %bb.63:
	s_endpgm
.LBB712_64:
	s_mul_i32 s0, s22, s21
	s_mul_hi_u32 s1, s22, s20
	s_add_i32 s0, s1, s0
	s_mul_i32 s1, s23, s20
	s_add_i32 s1, s0, s1
	s_mul_i32 s0, s22, s20
	s_lshl_b64 s[0:1], s[0:1], 4
	s_add_u32 s2, s18, s0
	s_addc_u32 s3, s19, s1
	s_cmp_eq_u64 s[16:17], 0
	s_waitcnt lgkmcnt(0)
	v_mov_b32_e32 v0, s9
	s_cselect_b64 vcc, -1, 0
	v_cndmask_b32_e32 v2, v2, v0, vcc
	v_mov_b32_e32 v0, s8
	s_lshl_b64 s[0:1], s[6:7], 4
	v_cndmask_b32_e32 v1, v1, v0, vcc
	v_mov_b32_e32 v0, s10
	s_add_u32 s0, s2, s0
	v_cndmask_b32_e32 v0, v7, v0, vcc
	s_addc_u32 s1, s3, s1
	v_mov_b32_e32 v3, 0
	global_store_byte v3, v0, s[0:1]
	global_store_dwordx2 v3, v[1:2], s[0:1] offset:8
	s_endpgm
	.section	.rodata,"a",@progbits
	.p2align	6, 0x0
	.amdhsa_kernel _ZN7rocprim17ROCPRIM_400000_NS6detail17trampoline_kernelINS0_14default_configENS1_22reduce_config_selectorIN6thrust23THRUST_200600_302600_NS5tupleIblNS6_9null_typeES8_S8_S8_S8_S8_S8_S8_EEEEZNS1_11reduce_implILb1ES3_NS6_12zip_iteratorINS7_INS6_11hip_rocprim26transform_input_iterator_tIbPaNS6_6detail10functional5actorINSH_9compositeIJNSH_27transparent_binary_operatorINS6_8equal_toIvEEEENSI_INSH_8argumentILj0EEEEENSH_5valueIaEEEEEEEEENSD_19counting_iterator_tIlEES8_S8_S8_S8_S8_S8_S8_S8_EEEEPS9_S9_NSD_9__find_if7functorIS9_EEEE10hipError_tPvRmT1_T2_T3_mT4_P12ihipStream_tbEUlT_E0_NS1_11comp_targetILNS1_3genE2ELNS1_11target_archE906ELNS1_3gpuE6ELNS1_3repE0EEENS1_30default_config_static_selectorELNS0_4arch9wavefront6targetE1EEEvS17_
		.amdhsa_group_segment_fixed_size 64
		.amdhsa_private_segment_fixed_size 0
		.amdhsa_kernarg_size 88
		.amdhsa_user_sgpr_count 6
		.amdhsa_user_sgpr_private_segment_buffer 1
		.amdhsa_user_sgpr_dispatch_ptr 0
		.amdhsa_user_sgpr_queue_ptr 0
		.amdhsa_user_sgpr_kernarg_segment_ptr 1
		.amdhsa_user_sgpr_dispatch_id 0
		.amdhsa_user_sgpr_flat_scratch_init 0
		.amdhsa_user_sgpr_private_segment_size 0
		.amdhsa_uses_dynamic_stack 0
		.amdhsa_system_sgpr_private_segment_wavefront_offset 0
		.amdhsa_system_sgpr_workgroup_id_x 1
		.amdhsa_system_sgpr_workgroup_id_y 0
		.amdhsa_system_sgpr_workgroup_id_z 0
		.amdhsa_system_sgpr_workgroup_info 0
		.amdhsa_system_vgpr_workitem_id 0
		.amdhsa_next_free_vgpr 12
		.amdhsa_next_free_sgpr 28
		.amdhsa_reserve_vcc 1
		.amdhsa_reserve_flat_scratch 0
		.amdhsa_float_round_mode_32 0
		.amdhsa_float_round_mode_16_64 0
		.amdhsa_float_denorm_mode_32 3
		.amdhsa_float_denorm_mode_16_64 3
		.amdhsa_dx10_clamp 1
		.amdhsa_ieee_mode 1
		.amdhsa_fp16_overflow 0
		.amdhsa_exception_fp_ieee_invalid_op 0
		.amdhsa_exception_fp_denorm_src 0
		.amdhsa_exception_fp_ieee_div_zero 0
		.amdhsa_exception_fp_ieee_overflow 0
		.amdhsa_exception_fp_ieee_underflow 0
		.amdhsa_exception_fp_ieee_inexact 0
		.amdhsa_exception_int_div_zero 0
	.end_amdhsa_kernel
	.section	.text._ZN7rocprim17ROCPRIM_400000_NS6detail17trampoline_kernelINS0_14default_configENS1_22reduce_config_selectorIN6thrust23THRUST_200600_302600_NS5tupleIblNS6_9null_typeES8_S8_S8_S8_S8_S8_S8_EEEEZNS1_11reduce_implILb1ES3_NS6_12zip_iteratorINS7_INS6_11hip_rocprim26transform_input_iterator_tIbPaNS6_6detail10functional5actorINSH_9compositeIJNSH_27transparent_binary_operatorINS6_8equal_toIvEEEENSI_INSH_8argumentILj0EEEEENSH_5valueIaEEEEEEEEENSD_19counting_iterator_tIlEES8_S8_S8_S8_S8_S8_S8_S8_EEEEPS9_S9_NSD_9__find_if7functorIS9_EEEE10hipError_tPvRmT1_T2_T3_mT4_P12ihipStream_tbEUlT_E0_NS1_11comp_targetILNS1_3genE2ELNS1_11target_archE906ELNS1_3gpuE6ELNS1_3repE0EEENS1_30default_config_static_selectorELNS0_4arch9wavefront6targetE1EEEvS17_,"axG",@progbits,_ZN7rocprim17ROCPRIM_400000_NS6detail17trampoline_kernelINS0_14default_configENS1_22reduce_config_selectorIN6thrust23THRUST_200600_302600_NS5tupleIblNS6_9null_typeES8_S8_S8_S8_S8_S8_S8_EEEEZNS1_11reduce_implILb1ES3_NS6_12zip_iteratorINS7_INS6_11hip_rocprim26transform_input_iterator_tIbPaNS6_6detail10functional5actorINSH_9compositeIJNSH_27transparent_binary_operatorINS6_8equal_toIvEEEENSI_INSH_8argumentILj0EEEEENSH_5valueIaEEEEEEEEENSD_19counting_iterator_tIlEES8_S8_S8_S8_S8_S8_S8_S8_EEEEPS9_S9_NSD_9__find_if7functorIS9_EEEE10hipError_tPvRmT1_T2_T3_mT4_P12ihipStream_tbEUlT_E0_NS1_11comp_targetILNS1_3genE2ELNS1_11target_archE906ELNS1_3gpuE6ELNS1_3repE0EEENS1_30default_config_static_selectorELNS0_4arch9wavefront6targetE1EEEvS17_,comdat
.Lfunc_end712:
	.size	_ZN7rocprim17ROCPRIM_400000_NS6detail17trampoline_kernelINS0_14default_configENS1_22reduce_config_selectorIN6thrust23THRUST_200600_302600_NS5tupleIblNS6_9null_typeES8_S8_S8_S8_S8_S8_S8_EEEEZNS1_11reduce_implILb1ES3_NS6_12zip_iteratorINS7_INS6_11hip_rocprim26transform_input_iterator_tIbPaNS6_6detail10functional5actorINSH_9compositeIJNSH_27transparent_binary_operatorINS6_8equal_toIvEEEENSI_INSH_8argumentILj0EEEEENSH_5valueIaEEEEEEEEENSD_19counting_iterator_tIlEES8_S8_S8_S8_S8_S8_S8_S8_EEEEPS9_S9_NSD_9__find_if7functorIS9_EEEE10hipError_tPvRmT1_T2_T3_mT4_P12ihipStream_tbEUlT_E0_NS1_11comp_targetILNS1_3genE2ELNS1_11target_archE906ELNS1_3gpuE6ELNS1_3repE0EEENS1_30default_config_static_selectorELNS0_4arch9wavefront6targetE1EEEvS17_, .Lfunc_end712-_ZN7rocprim17ROCPRIM_400000_NS6detail17trampoline_kernelINS0_14default_configENS1_22reduce_config_selectorIN6thrust23THRUST_200600_302600_NS5tupleIblNS6_9null_typeES8_S8_S8_S8_S8_S8_S8_EEEEZNS1_11reduce_implILb1ES3_NS6_12zip_iteratorINS7_INS6_11hip_rocprim26transform_input_iterator_tIbPaNS6_6detail10functional5actorINSH_9compositeIJNSH_27transparent_binary_operatorINS6_8equal_toIvEEEENSI_INSH_8argumentILj0EEEEENSH_5valueIaEEEEEEEEENSD_19counting_iterator_tIlEES8_S8_S8_S8_S8_S8_S8_S8_EEEEPS9_S9_NSD_9__find_if7functorIS9_EEEE10hipError_tPvRmT1_T2_T3_mT4_P12ihipStream_tbEUlT_E0_NS1_11comp_targetILNS1_3genE2ELNS1_11target_archE906ELNS1_3gpuE6ELNS1_3repE0EEENS1_30default_config_static_selectorELNS0_4arch9wavefront6targetE1EEEvS17_
                                        ; -- End function
	.set _ZN7rocprim17ROCPRIM_400000_NS6detail17trampoline_kernelINS0_14default_configENS1_22reduce_config_selectorIN6thrust23THRUST_200600_302600_NS5tupleIblNS6_9null_typeES8_S8_S8_S8_S8_S8_S8_EEEEZNS1_11reduce_implILb1ES3_NS6_12zip_iteratorINS7_INS6_11hip_rocprim26transform_input_iterator_tIbPaNS6_6detail10functional5actorINSH_9compositeIJNSH_27transparent_binary_operatorINS6_8equal_toIvEEEENSI_INSH_8argumentILj0EEEEENSH_5valueIaEEEEEEEEENSD_19counting_iterator_tIlEES8_S8_S8_S8_S8_S8_S8_S8_EEEEPS9_S9_NSD_9__find_if7functorIS9_EEEE10hipError_tPvRmT1_T2_T3_mT4_P12ihipStream_tbEUlT_E0_NS1_11comp_targetILNS1_3genE2ELNS1_11target_archE906ELNS1_3gpuE6ELNS1_3repE0EEENS1_30default_config_static_selectorELNS0_4arch9wavefront6targetE1EEEvS17_.num_vgpr, 12
	.set _ZN7rocprim17ROCPRIM_400000_NS6detail17trampoline_kernelINS0_14default_configENS1_22reduce_config_selectorIN6thrust23THRUST_200600_302600_NS5tupleIblNS6_9null_typeES8_S8_S8_S8_S8_S8_S8_EEEEZNS1_11reduce_implILb1ES3_NS6_12zip_iteratorINS7_INS6_11hip_rocprim26transform_input_iterator_tIbPaNS6_6detail10functional5actorINSH_9compositeIJNSH_27transparent_binary_operatorINS6_8equal_toIvEEEENSI_INSH_8argumentILj0EEEEENSH_5valueIaEEEEEEEEENSD_19counting_iterator_tIlEES8_S8_S8_S8_S8_S8_S8_S8_EEEEPS9_S9_NSD_9__find_if7functorIS9_EEEE10hipError_tPvRmT1_T2_T3_mT4_P12ihipStream_tbEUlT_E0_NS1_11comp_targetILNS1_3genE2ELNS1_11target_archE906ELNS1_3gpuE6ELNS1_3repE0EEENS1_30default_config_static_selectorELNS0_4arch9wavefront6targetE1EEEvS17_.num_agpr, 0
	.set _ZN7rocprim17ROCPRIM_400000_NS6detail17trampoline_kernelINS0_14default_configENS1_22reduce_config_selectorIN6thrust23THRUST_200600_302600_NS5tupleIblNS6_9null_typeES8_S8_S8_S8_S8_S8_S8_EEEEZNS1_11reduce_implILb1ES3_NS6_12zip_iteratorINS7_INS6_11hip_rocprim26transform_input_iterator_tIbPaNS6_6detail10functional5actorINSH_9compositeIJNSH_27transparent_binary_operatorINS6_8equal_toIvEEEENSI_INSH_8argumentILj0EEEEENSH_5valueIaEEEEEEEEENSD_19counting_iterator_tIlEES8_S8_S8_S8_S8_S8_S8_S8_EEEEPS9_S9_NSD_9__find_if7functorIS9_EEEE10hipError_tPvRmT1_T2_T3_mT4_P12ihipStream_tbEUlT_E0_NS1_11comp_targetILNS1_3genE2ELNS1_11target_archE906ELNS1_3gpuE6ELNS1_3repE0EEENS1_30default_config_static_selectorELNS0_4arch9wavefront6targetE1EEEvS17_.numbered_sgpr, 28
	.set _ZN7rocprim17ROCPRIM_400000_NS6detail17trampoline_kernelINS0_14default_configENS1_22reduce_config_selectorIN6thrust23THRUST_200600_302600_NS5tupleIblNS6_9null_typeES8_S8_S8_S8_S8_S8_S8_EEEEZNS1_11reduce_implILb1ES3_NS6_12zip_iteratorINS7_INS6_11hip_rocprim26transform_input_iterator_tIbPaNS6_6detail10functional5actorINSH_9compositeIJNSH_27transparent_binary_operatorINS6_8equal_toIvEEEENSI_INSH_8argumentILj0EEEEENSH_5valueIaEEEEEEEEENSD_19counting_iterator_tIlEES8_S8_S8_S8_S8_S8_S8_S8_EEEEPS9_S9_NSD_9__find_if7functorIS9_EEEE10hipError_tPvRmT1_T2_T3_mT4_P12ihipStream_tbEUlT_E0_NS1_11comp_targetILNS1_3genE2ELNS1_11target_archE906ELNS1_3gpuE6ELNS1_3repE0EEENS1_30default_config_static_selectorELNS0_4arch9wavefront6targetE1EEEvS17_.num_named_barrier, 0
	.set _ZN7rocprim17ROCPRIM_400000_NS6detail17trampoline_kernelINS0_14default_configENS1_22reduce_config_selectorIN6thrust23THRUST_200600_302600_NS5tupleIblNS6_9null_typeES8_S8_S8_S8_S8_S8_S8_EEEEZNS1_11reduce_implILb1ES3_NS6_12zip_iteratorINS7_INS6_11hip_rocprim26transform_input_iterator_tIbPaNS6_6detail10functional5actorINSH_9compositeIJNSH_27transparent_binary_operatorINS6_8equal_toIvEEEENSI_INSH_8argumentILj0EEEEENSH_5valueIaEEEEEEEEENSD_19counting_iterator_tIlEES8_S8_S8_S8_S8_S8_S8_S8_EEEEPS9_S9_NSD_9__find_if7functorIS9_EEEE10hipError_tPvRmT1_T2_T3_mT4_P12ihipStream_tbEUlT_E0_NS1_11comp_targetILNS1_3genE2ELNS1_11target_archE906ELNS1_3gpuE6ELNS1_3repE0EEENS1_30default_config_static_selectorELNS0_4arch9wavefront6targetE1EEEvS17_.private_seg_size, 0
	.set _ZN7rocprim17ROCPRIM_400000_NS6detail17trampoline_kernelINS0_14default_configENS1_22reduce_config_selectorIN6thrust23THRUST_200600_302600_NS5tupleIblNS6_9null_typeES8_S8_S8_S8_S8_S8_S8_EEEEZNS1_11reduce_implILb1ES3_NS6_12zip_iteratorINS7_INS6_11hip_rocprim26transform_input_iterator_tIbPaNS6_6detail10functional5actorINSH_9compositeIJNSH_27transparent_binary_operatorINS6_8equal_toIvEEEENSI_INSH_8argumentILj0EEEEENSH_5valueIaEEEEEEEEENSD_19counting_iterator_tIlEES8_S8_S8_S8_S8_S8_S8_S8_EEEEPS9_S9_NSD_9__find_if7functorIS9_EEEE10hipError_tPvRmT1_T2_T3_mT4_P12ihipStream_tbEUlT_E0_NS1_11comp_targetILNS1_3genE2ELNS1_11target_archE906ELNS1_3gpuE6ELNS1_3repE0EEENS1_30default_config_static_selectorELNS0_4arch9wavefront6targetE1EEEvS17_.uses_vcc, 1
	.set _ZN7rocprim17ROCPRIM_400000_NS6detail17trampoline_kernelINS0_14default_configENS1_22reduce_config_selectorIN6thrust23THRUST_200600_302600_NS5tupleIblNS6_9null_typeES8_S8_S8_S8_S8_S8_S8_EEEEZNS1_11reduce_implILb1ES3_NS6_12zip_iteratorINS7_INS6_11hip_rocprim26transform_input_iterator_tIbPaNS6_6detail10functional5actorINSH_9compositeIJNSH_27transparent_binary_operatorINS6_8equal_toIvEEEENSI_INSH_8argumentILj0EEEEENSH_5valueIaEEEEEEEEENSD_19counting_iterator_tIlEES8_S8_S8_S8_S8_S8_S8_S8_EEEEPS9_S9_NSD_9__find_if7functorIS9_EEEE10hipError_tPvRmT1_T2_T3_mT4_P12ihipStream_tbEUlT_E0_NS1_11comp_targetILNS1_3genE2ELNS1_11target_archE906ELNS1_3gpuE6ELNS1_3repE0EEENS1_30default_config_static_selectorELNS0_4arch9wavefront6targetE1EEEvS17_.uses_flat_scratch, 0
	.set _ZN7rocprim17ROCPRIM_400000_NS6detail17trampoline_kernelINS0_14default_configENS1_22reduce_config_selectorIN6thrust23THRUST_200600_302600_NS5tupleIblNS6_9null_typeES8_S8_S8_S8_S8_S8_S8_EEEEZNS1_11reduce_implILb1ES3_NS6_12zip_iteratorINS7_INS6_11hip_rocprim26transform_input_iterator_tIbPaNS6_6detail10functional5actorINSH_9compositeIJNSH_27transparent_binary_operatorINS6_8equal_toIvEEEENSI_INSH_8argumentILj0EEEEENSH_5valueIaEEEEEEEEENSD_19counting_iterator_tIlEES8_S8_S8_S8_S8_S8_S8_S8_EEEEPS9_S9_NSD_9__find_if7functorIS9_EEEE10hipError_tPvRmT1_T2_T3_mT4_P12ihipStream_tbEUlT_E0_NS1_11comp_targetILNS1_3genE2ELNS1_11target_archE906ELNS1_3gpuE6ELNS1_3repE0EEENS1_30default_config_static_selectorELNS0_4arch9wavefront6targetE1EEEvS17_.has_dyn_sized_stack, 0
	.set _ZN7rocprim17ROCPRIM_400000_NS6detail17trampoline_kernelINS0_14default_configENS1_22reduce_config_selectorIN6thrust23THRUST_200600_302600_NS5tupleIblNS6_9null_typeES8_S8_S8_S8_S8_S8_S8_EEEEZNS1_11reduce_implILb1ES3_NS6_12zip_iteratorINS7_INS6_11hip_rocprim26transform_input_iterator_tIbPaNS6_6detail10functional5actorINSH_9compositeIJNSH_27transparent_binary_operatorINS6_8equal_toIvEEEENSI_INSH_8argumentILj0EEEEENSH_5valueIaEEEEEEEEENSD_19counting_iterator_tIlEES8_S8_S8_S8_S8_S8_S8_S8_EEEEPS9_S9_NSD_9__find_if7functorIS9_EEEE10hipError_tPvRmT1_T2_T3_mT4_P12ihipStream_tbEUlT_E0_NS1_11comp_targetILNS1_3genE2ELNS1_11target_archE906ELNS1_3gpuE6ELNS1_3repE0EEENS1_30default_config_static_selectorELNS0_4arch9wavefront6targetE1EEEvS17_.has_recursion, 0
	.set _ZN7rocprim17ROCPRIM_400000_NS6detail17trampoline_kernelINS0_14default_configENS1_22reduce_config_selectorIN6thrust23THRUST_200600_302600_NS5tupleIblNS6_9null_typeES8_S8_S8_S8_S8_S8_S8_EEEEZNS1_11reduce_implILb1ES3_NS6_12zip_iteratorINS7_INS6_11hip_rocprim26transform_input_iterator_tIbPaNS6_6detail10functional5actorINSH_9compositeIJNSH_27transparent_binary_operatorINS6_8equal_toIvEEEENSI_INSH_8argumentILj0EEEEENSH_5valueIaEEEEEEEEENSD_19counting_iterator_tIlEES8_S8_S8_S8_S8_S8_S8_S8_EEEEPS9_S9_NSD_9__find_if7functorIS9_EEEE10hipError_tPvRmT1_T2_T3_mT4_P12ihipStream_tbEUlT_E0_NS1_11comp_targetILNS1_3genE2ELNS1_11target_archE906ELNS1_3gpuE6ELNS1_3repE0EEENS1_30default_config_static_selectorELNS0_4arch9wavefront6targetE1EEEvS17_.has_indirect_call, 0
	.section	.AMDGPU.csdata,"",@progbits
; Kernel info:
; codeLenInByte = 2756
; TotalNumSgprs: 32
; NumVgprs: 12
; ScratchSize: 0
; MemoryBound: 0
; FloatMode: 240
; IeeeMode: 1
; LDSByteSize: 64 bytes/workgroup (compile time only)
; SGPRBlocks: 3
; VGPRBlocks: 2
; NumSGPRsForWavesPerEU: 32
; NumVGPRsForWavesPerEU: 12
; Occupancy: 10
; WaveLimiterHint : 1
; COMPUTE_PGM_RSRC2:SCRATCH_EN: 0
; COMPUTE_PGM_RSRC2:USER_SGPR: 6
; COMPUTE_PGM_RSRC2:TRAP_HANDLER: 0
; COMPUTE_PGM_RSRC2:TGID_X_EN: 1
; COMPUTE_PGM_RSRC2:TGID_Y_EN: 0
; COMPUTE_PGM_RSRC2:TGID_Z_EN: 0
; COMPUTE_PGM_RSRC2:TIDIG_COMP_CNT: 0
	.section	.text._ZN7rocprim17ROCPRIM_400000_NS6detail17trampoline_kernelINS0_14default_configENS1_22reduce_config_selectorIN6thrust23THRUST_200600_302600_NS5tupleIblNS6_9null_typeES8_S8_S8_S8_S8_S8_S8_EEEEZNS1_11reduce_implILb1ES3_NS6_12zip_iteratorINS7_INS6_11hip_rocprim26transform_input_iterator_tIbPaNS6_6detail10functional5actorINSH_9compositeIJNSH_27transparent_binary_operatorINS6_8equal_toIvEEEENSI_INSH_8argumentILj0EEEEENSH_5valueIaEEEEEEEEENSD_19counting_iterator_tIlEES8_S8_S8_S8_S8_S8_S8_S8_EEEEPS9_S9_NSD_9__find_if7functorIS9_EEEE10hipError_tPvRmT1_T2_T3_mT4_P12ihipStream_tbEUlT_E0_NS1_11comp_targetILNS1_3genE10ELNS1_11target_archE1201ELNS1_3gpuE5ELNS1_3repE0EEENS1_30default_config_static_selectorELNS0_4arch9wavefront6targetE1EEEvS17_,"axG",@progbits,_ZN7rocprim17ROCPRIM_400000_NS6detail17trampoline_kernelINS0_14default_configENS1_22reduce_config_selectorIN6thrust23THRUST_200600_302600_NS5tupleIblNS6_9null_typeES8_S8_S8_S8_S8_S8_S8_EEEEZNS1_11reduce_implILb1ES3_NS6_12zip_iteratorINS7_INS6_11hip_rocprim26transform_input_iterator_tIbPaNS6_6detail10functional5actorINSH_9compositeIJNSH_27transparent_binary_operatorINS6_8equal_toIvEEEENSI_INSH_8argumentILj0EEEEENSH_5valueIaEEEEEEEEENSD_19counting_iterator_tIlEES8_S8_S8_S8_S8_S8_S8_S8_EEEEPS9_S9_NSD_9__find_if7functorIS9_EEEE10hipError_tPvRmT1_T2_T3_mT4_P12ihipStream_tbEUlT_E0_NS1_11comp_targetILNS1_3genE10ELNS1_11target_archE1201ELNS1_3gpuE5ELNS1_3repE0EEENS1_30default_config_static_selectorELNS0_4arch9wavefront6targetE1EEEvS17_,comdat
	.protected	_ZN7rocprim17ROCPRIM_400000_NS6detail17trampoline_kernelINS0_14default_configENS1_22reduce_config_selectorIN6thrust23THRUST_200600_302600_NS5tupleIblNS6_9null_typeES8_S8_S8_S8_S8_S8_S8_EEEEZNS1_11reduce_implILb1ES3_NS6_12zip_iteratorINS7_INS6_11hip_rocprim26transform_input_iterator_tIbPaNS6_6detail10functional5actorINSH_9compositeIJNSH_27transparent_binary_operatorINS6_8equal_toIvEEEENSI_INSH_8argumentILj0EEEEENSH_5valueIaEEEEEEEEENSD_19counting_iterator_tIlEES8_S8_S8_S8_S8_S8_S8_S8_EEEEPS9_S9_NSD_9__find_if7functorIS9_EEEE10hipError_tPvRmT1_T2_T3_mT4_P12ihipStream_tbEUlT_E0_NS1_11comp_targetILNS1_3genE10ELNS1_11target_archE1201ELNS1_3gpuE5ELNS1_3repE0EEENS1_30default_config_static_selectorELNS0_4arch9wavefront6targetE1EEEvS17_ ; -- Begin function _ZN7rocprim17ROCPRIM_400000_NS6detail17trampoline_kernelINS0_14default_configENS1_22reduce_config_selectorIN6thrust23THRUST_200600_302600_NS5tupleIblNS6_9null_typeES8_S8_S8_S8_S8_S8_S8_EEEEZNS1_11reduce_implILb1ES3_NS6_12zip_iteratorINS7_INS6_11hip_rocprim26transform_input_iterator_tIbPaNS6_6detail10functional5actorINSH_9compositeIJNSH_27transparent_binary_operatorINS6_8equal_toIvEEEENSI_INSH_8argumentILj0EEEEENSH_5valueIaEEEEEEEEENSD_19counting_iterator_tIlEES8_S8_S8_S8_S8_S8_S8_S8_EEEEPS9_S9_NSD_9__find_if7functorIS9_EEEE10hipError_tPvRmT1_T2_T3_mT4_P12ihipStream_tbEUlT_E0_NS1_11comp_targetILNS1_3genE10ELNS1_11target_archE1201ELNS1_3gpuE5ELNS1_3repE0EEENS1_30default_config_static_selectorELNS0_4arch9wavefront6targetE1EEEvS17_
	.globl	_ZN7rocprim17ROCPRIM_400000_NS6detail17trampoline_kernelINS0_14default_configENS1_22reduce_config_selectorIN6thrust23THRUST_200600_302600_NS5tupleIblNS6_9null_typeES8_S8_S8_S8_S8_S8_S8_EEEEZNS1_11reduce_implILb1ES3_NS6_12zip_iteratorINS7_INS6_11hip_rocprim26transform_input_iterator_tIbPaNS6_6detail10functional5actorINSH_9compositeIJNSH_27transparent_binary_operatorINS6_8equal_toIvEEEENSI_INSH_8argumentILj0EEEEENSH_5valueIaEEEEEEEEENSD_19counting_iterator_tIlEES8_S8_S8_S8_S8_S8_S8_S8_EEEEPS9_S9_NSD_9__find_if7functorIS9_EEEE10hipError_tPvRmT1_T2_T3_mT4_P12ihipStream_tbEUlT_E0_NS1_11comp_targetILNS1_3genE10ELNS1_11target_archE1201ELNS1_3gpuE5ELNS1_3repE0EEENS1_30default_config_static_selectorELNS0_4arch9wavefront6targetE1EEEvS17_
	.p2align	8
	.type	_ZN7rocprim17ROCPRIM_400000_NS6detail17trampoline_kernelINS0_14default_configENS1_22reduce_config_selectorIN6thrust23THRUST_200600_302600_NS5tupleIblNS6_9null_typeES8_S8_S8_S8_S8_S8_S8_EEEEZNS1_11reduce_implILb1ES3_NS6_12zip_iteratorINS7_INS6_11hip_rocprim26transform_input_iterator_tIbPaNS6_6detail10functional5actorINSH_9compositeIJNSH_27transparent_binary_operatorINS6_8equal_toIvEEEENSI_INSH_8argumentILj0EEEEENSH_5valueIaEEEEEEEEENSD_19counting_iterator_tIlEES8_S8_S8_S8_S8_S8_S8_S8_EEEEPS9_S9_NSD_9__find_if7functorIS9_EEEE10hipError_tPvRmT1_T2_T3_mT4_P12ihipStream_tbEUlT_E0_NS1_11comp_targetILNS1_3genE10ELNS1_11target_archE1201ELNS1_3gpuE5ELNS1_3repE0EEENS1_30default_config_static_selectorELNS0_4arch9wavefront6targetE1EEEvS17_,@function
_ZN7rocprim17ROCPRIM_400000_NS6detail17trampoline_kernelINS0_14default_configENS1_22reduce_config_selectorIN6thrust23THRUST_200600_302600_NS5tupleIblNS6_9null_typeES8_S8_S8_S8_S8_S8_S8_EEEEZNS1_11reduce_implILb1ES3_NS6_12zip_iteratorINS7_INS6_11hip_rocprim26transform_input_iterator_tIbPaNS6_6detail10functional5actorINSH_9compositeIJNSH_27transparent_binary_operatorINS6_8equal_toIvEEEENSI_INSH_8argumentILj0EEEEENSH_5valueIaEEEEEEEEENSD_19counting_iterator_tIlEES8_S8_S8_S8_S8_S8_S8_S8_EEEEPS9_S9_NSD_9__find_if7functorIS9_EEEE10hipError_tPvRmT1_T2_T3_mT4_P12ihipStream_tbEUlT_E0_NS1_11comp_targetILNS1_3genE10ELNS1_11target_archE1201ELNS1_3gpuE5ELNS1_3repE0EEENS1_30default_config_static_selectorELNS0_4arch9wavefront6targetE1EEEvS17_: ; @_ZN7rocprim17ROCPRIM_400000_NS6detail17trampoline_kernelINS0_14default_configENS1_22reduce_config_selectorIN6thrust23THRUST_200600_302600_NS5tupleIblNS6_9null_typeES8_S8_S8_S8_S8_S8_S8_EEEEZNS1_11reduce_implILb1ES3_NS6_12zip_iteratorINS7_INS6_11hip_rocprim26transform_input_iterator_tIbPaNS6_6detail10functional5actorINSH_9compositeIJNSH_27transparent_binary_operatorINS6_8equal_toIvEEEENSI_INSH_8argumentILj0EEEEENSH_5valueIaEEEEEEEEENSD_19counting_iterator_tIlEES8_S8_S8_S8_S8_S8_S8_S8_EEEEPS9_S9_NSD_9__find_if7functorIS9_EEEE10hipError_tPvRmT1_T2_T3_mT4_P12ihipStream_tbEUlT_E0_NS1_11comp_targetILNS1_3genE10ELNS1_11target_archE1201ELNS1_3gpuE5ELNS1_3repE0EEENS1_30default_config_static_selectorELNS0_4arch9wavefront6targetE1EEEvS17_
; %bb.0:
	.section	.rodata,"a",@progbits
	.p2align	6, 0x0
	.amdhsa_kernel _ZN7rocprim17ROCPRIM_400000_NS6detail17trampoline_kernelINS0_14default_configENS1_22reduce_config_selectorIN6thrust23THRUST_200600_302600_NS5tupleIblNS6_9null_typeES8_S8_S8_S8_S8_S8_S8_EEEEZNS1_11reduce_implILb1ES3_NS6_12zip_iteratorINS7_INS6_11hip_rocprim26transform_input_iterator_tIbPaNS6_6detail10functional5actorINSH_9compositeIJNSH_27transparent_binary_operatorINS6_8equal_toIvEEEENSI_INSH_8argumentILj0EEEEENSH_5valueIaEEEEEEEEENSD_19counting_iterator_tIlEES8_S8_S8_S8_S8_S8_S8_S8_EEEEPS9_S9_NSD_9__find_if7functorIS9_EEEE10hipError_tPvRmT1_T2_T3_mT4_P12ihipStream_tbEUlT_E0_NS1_11comp_targetILNS1_3genE10ELNS1_11target_archE1201ELNS1_3gpuE5ELNS1_3repE0EEENS1_30default_config_static_selectorELNS0_4arch9wavefront6targetE1EEEvS17_
		.amdhsa_group_segment_fixed_size 0
		.amdhsa_private_segment_fixed_size 0
		.amdhsa_kernarg_size 88
		.amdhsa_user_sgpr_count 6
		.amdhsa_user_sgpr_private_segment_buffer 1
		.amdhsa_user_sgpr_dispatch_ptr 0
		.amdhsa_user_sgpr_queue_ptr 0
		.amdhsa_user_sgpr_kernarg_segment_ptr 1
		.amdhsa_user_sgpr_dispatch_id 0
		.amdhsa_user_sgpr_flat_scratch_init 0
		.amdhsa_user_sgpr_private_segment_size 0
		.amdhsa_uses_dynamic_stack 0
		.amdhsa_system_sgpr_private_segment_wavefront_offset 0
		.amdhsa_system_sgpr_workgroup_id_x 1
		.amdhsa_system_sgpr_workgroup_id_y 0
		.amdhsa_system_sgpr_workgroup_id_z 0
		.amdhsa_system_sgpr_workgroup_info 0
		.amdhsa_system_vgpr_workitem_id 0
		.amdhsa_next_free_vgpr 1
		.amdhsa_next_free_sgpr 0
		.amdhsa_reserve_vcc 0
		.amdhsa_reserve_flat_scratch 0
		.amdhsa_float_round_mode_32 0
		.amdhsa_float_round_mode_16_64 0
		.amdhsa_float_denorm_mode_32 3
		.amdhsa_float_denorm_mode_16_64 3
		.amdhsa_dx10_clamp 1
		.amdhsa_ieee_mode 1
		.amdhsa_fp16_overflow 0
		.amdhsa_exception_fp_ieee_invalid_op 0
		.amdhsa_exception_fp_denorm_src 0
		.amdhsa_exception_fp_ieee_div_zero 0
		.amdhsa_exception_fp_ieee_overflow 0
		.amdhsa_exception_fp_ieee_underflow 0
		.amdhsa_exception_fp_ieee_inexact 0
		.amdhsa_exception_int_div_zero 0
	.end_amdhsa_kernel
	.section	.text._ZN7rocprim17ROCPRIM_400000_NS6detail17trampoline_kernelINS0_14default_configENS1_22reduce_config_selectorIN6thrust23THRUST_200600_302600_NS5tupleIblNS6_9null_typeES8_S8_S8_S8_S8_S8_S8_EEEEZNS1_11reduce_implILb1ES3_NS6_12zip_iteratorINS7_INS6_11hip_rocprim26transform_input_iterator_tIbPaNS6_6detail10functional5actorINSH_9compositeIJNSH_27transparent_binary_operatorINS6_8equal_toIvEEEENSI_INSH_8argumentILj0EEEEENSH_5valueIaEEEEEEEEENSD_19counting_iterator_tIlEES8_S8_S8_S8_S8_S8_S8_S8_EEEEPS9_S9_NSD_9__find_if7functorIS9_EEEE10hipError_tPvRmT1_T2_T3_mT4_P12ihipStream_tbEUlT_E0_NS1_11comp_targetILNS1_3genE10ELNS1_11target_archE1201ELNS1_3gpuE5ELNS1_3repE0EEENS1_30default_config_static_selectorELNS0_4arch9wavefront6targetE1EEEvS17_,"axG",@progbits,_ZN7rocprim17ROCPRIM_400000_NS6detail17trampoline_kernelINS0_14default_configENS1_22reduce_config_selectorIN6thrust23THRUST_200600_302600_NS5tupleIblNS6_9null_typeES8_S8_S8_S8_S8_S8_S8_EEEEZNS1_11reduce_implILb1ES3_NS6_12zip_iteratorINS7_INS6_11hip_rocprim26transform_input_iterator_tIbPaNS6_6detail10functional5actorINSH_9compositeIJNSH_27transparent_binary_operatorINS6_8equal_toIvEEEENSI_INSH_8argumentILj0EEEEENSH_5valueIaEEEEEEEEENSD_19counting_iterator_tIlEES8_S8_S8_S8_S8_S8_S8_S8_EEEEPS9_S9_NSD_9__find_if7functorIS9_EEEE10hipError_tPvRmT1_T2_T3_mT4_P12ihipStream_tbEUlT_E0_NS1_11comp_targetILNS1_3genE10ELNS1_11target_archE1201ELNS1_3gpuE5ELNS1_3repE0EEENS1_30default_config_static_selectorELNS0_4arch9wavefront6targetE1EEEvS17_,comdat
.Lfunc_end713:
	.size	_ZN7rocprim17ROCPRIM_400000_NS6detail17trampoline_kernelINS0_14default_configENS1_22reduce_config_selectorIN6thrust23THRUST_200600_302600_NS5tupleIblNS6_9null_typeES8_S8_S8_S8_S8_S8_S8_EEEEZNS1_11reduce_implILb1ES3_NS6_12zip_iteratorINS7_INS6_11hip_rocprim26transform_input_iterator_tIbPaNS6_6detail10functional5actorINSH_9compositeIJNSH_27transparent_binary_operatorINS6_8equal_toIvEEEENSI_INSH_8argumentILj0EEEEENSH_5valueIaEEEEEEEEENSD_19counting_iterator_tIlEES8_S8_S8_S8_S8_S8_S8_S8_EEEEPS9_S9_NSD_9__find_if7functorIS9_EEEE10hipError_tPvRmT1_T2_T3_mT4_P12ihipStream_tbEUlT_E0_NS1_11comp_targetILNS1_3genE10ELNS1_11target_archE1201ELNS1_3gpuE5ELNS1_3repE0EEENS1_30default_config_static_selectorELNS0_4arch9wavefront6targetE1EEEvS17_, .Lfunc_end713-_ZN7rocprim17ROCPRIM_400000_NS6detail17trampoline_kernelINS0_14default_configENS1_22reduce_config_selectorIN6thrust23THRUST_200600_302600_NS5tupleIblNS6_9null_typeES8_S8_S8_S8_S8_S8_S8_EEEEZNS1_11reduce_implILb1ES3_NS6_12zip_iteratorINS7_INS6_11hip_rocprim26transform_input_iterator_tIbPaNS6_6detail10functional5actorINSH_9compositeIJNSH_27transparent_binary_operatorINS6_8equal_toIvEEEENSI_INSH_8argumentILj0EEEEENSH_5valueIaEEEEEEEEENSD_19counting_iterator_tIlEES8_S8_S8_S8_S8_S8_S8_S8_EEEEPS9_S9_NSD_9__find_if7functorIS9_EEEE10hipError_tPvRmT1_T2_T3_mT4_P12ihipStream_tbEUlT_E0_NS1_11comp_targetILNS1_3genE10ELNS1_11target_archE1201ELNS1_3gpuE5ELNS1_3repE0EEENS1_30default_config_static_selectorELNS0_4arch9wavefront6targetE1EEEvS17_
                                        ; -- End function
	.set _ZN7rocprim17ROCPRIM_400000_NS6detail17trampoline_kernelINS0_14default_configENS1_22reduce_config_selectorIN6thrust23THRUST_200600_302600_NS5tupleIblNS6_9null_typeES8_S8_S8_S8_S8_S8_S8_EEEEZNS1_11reduce_implILb1ES3_NS6_12zip_iteratorINS7_INS6_11hip_rocprim26transform_input_iterator_tIbPaNS6_6detail10functional5actorINSH_9compositeIJNSH_27transparent_binary_operatorINS6_8equal_toIvEEEENSI_INSH_8argumentILj0EEEEENSH_5valueIaEEEEEEEEENSD_19counting_iterator_tIlEES8_S8_S8_S8_S8_S8_S8_S8_EEEEPS9_S9_NSD_9__find_if7functorIS9_EEEE10hipError_tPvRmT1_T2_T3_mT4_P12ihipStream_tbEUlT_E0_NS1_11comp_targetILNS1_3genE10ELNS1_11target_archE1201ELNS1_3gpuE5ELNS1_3repE0EEENS1_30default_config_static_selectorELNS0_4arch9wavefront6targetE1EEEvS17_.num_vgpr, 0
	.set _ZN7rocprim17ROCPRIM_400000_NS6detail17trampoline_kernelINS0_14default_configENS1_22reduce_config_selectorIN6thrust23THRUST_200600_302600_NS5tupleIblNS6_9null_typeES8_S8_S8_S8_S8_S8_S8_EEEEZNS1_11reduce_implILb1ES3_NS6_12zip_iteratorINS7_INS6_11hip_rocprim26transform_input_iterator_tIbPaNS6_6detail10functional5actorINSH_9compositeIJNSH_27transparent_binary_operatorINS6_8equal_toIvEEEENSI_INSH_8argumentILj0EEEEENSH_5valueIaEEEEEEEEENSD_19counting_iterator_tIlEES8_S8_S8_S8_S8_S8_S8_S8_EEEEPS9_S9_NSD_9__find_if7functorIS9_EEEE10hipError_tPvRmT1_T2_T3_mT4_P12ihipStream_tbEUlT_E0_NS1_11comp_targetILNS1_3genE10ELNS1_11target_archE1201ELNS1_3gpuE5ELNS1_3repE0EEENS1_30default_config_static_selectorELNS0_4arch9wavefront6targetE1EEEvS17_.num_agpr, 0
	.set _ZN7rocprim17ROCPRIM_400000_NS6detail17trampoline_kernelINS0_14default_configENS1_22reduce_config_selectorIN6thrust23THRUST_200600_302600_NS5tupleIblNS6_9null_typeES8_S8_S8_S8_S8_S8_S8_EEEEZNS1_11reduce_implILb1ES3_NS6_12zip_iteratorINS7_INS6_11hip_rocprim26transform_input_iterator_tIbPaNS6_6detail10functional5actorINSH_9compositeIJNSH_27transparent_binary_operatorINS6_8equal_toIvEEEENSI_INSH_8argumentILj0EEEEENSH_5valueIaEEEEEEEEENSD_19counting_iterator_tIlEES8_S8_S8_S8_S8_S8_S8_S8_EEEEPS9_S9_NSD_9__find_if7functorIS9_EEEE10hipError_tPvRmT1_T2_T3_mT4_P12ihipStream_tbEUlT_E0_NS1_11comp_targetILNS1_3genE10ELNS1_11target_archE1201ELNS1_3gpuE5ELNS1_3repE0EEENS1_30default_config_static_selectorELNS0_4arch9wavefront6targetE1EEEvS17_.numbered_sgpr, 0
	.set _ZN7rocprim17ROCPRIM_400000_NS6detail17trampoline_kernelINS0_14default_configENS1_22reduce_config_selectorIN6thrust23THRUST_200600_302600_NS5tupleIblNS6_9null_typeES8_S8_S8_S8_S8_S8_S8_EEEEZNS1_11reduce_implILb1ES3_NS6_12zip_iteratorINS7_INS6_11hip_rocprim26transform_input_iterator_tIbPaNS6_6detail10functional5actorINSH_9compositeIJNSH_27transparent_binary_operatorINS6_8equal_toIvEEEENSI_INSH_8argumentILj0EEEEENSH_5valueIaEEEEEEEEENSD_19counting_iterator_tIlEES8_S8_S8_S8_S8_S8_S8_S8_EEEEPS9_S9_NSD_9__find_if7functorIS9_EEEE10hipError_tPvRmT1_T2_T3_mT4_P12ihipStream_tbEUlT_E0_NS1_11comp_targetILNS1_3genE10ELNS1_11target_archE1201ELNS1_3gpuE5ELNS1_3repE0EEENS1_30default_config_static_selectorELNS0_4arch9wavefront6targetE1EEEvS17_.num_named_barrier, 0
	.set _ZN7rocprim17ROCPRIM_400000_NS6detail17trampoline_kernelINS0_14default_configENS1_22reduce_config_selectorIN6thrust23THRUST_200600_302600_NS5tupleIblNS6_9null_typeES8_S8_S8_S8_S8_S8_S8_EEEEZNS1_11reduce_implILb1ES3_NS6_12zip_iteratorINS7_INS6_11hip_rocprim26transform_input_iterator_tIbPaNS6_6detail10functional5actorINSH_9compositeIJNSH_27transparent_binary_operatorINS6_8equal_toIvEEEENSI_INSH_8argumentILj0EEEEENSH_5valueIaEEEEEEEEENSD_19counting_iterator_tIlEES8_S8_S8_S8_S8_S8_S8_S8_EEEEPS9_S9_NSD_9__find_if7functorIS9_EEEE10hipError_tPvRmT1_T2_T3_mT4_P12ihipStream_tbEUlT_E0_NS1_11comp_targetILNS1_3genE10ELNS1_11target_archE1201ELNS1_3gpuE5ELNS1_3repE0EEENS1_30default_config_static_selectorELNS0_4arch9wavefront6targetE1EEEvS17_.private_seg_size, 0
	.set _ZN7rocprim17ROCPRIM_400000_NS6detail17trampoline_kernelINS0_14default_configENS1_22reduce_config_selectorIN6thrust23THRUST_200600_302600_NS5tupleIblNS6_9null_typeES8_S8_S8_S8_S8_S8_S8_EEEEZNS1_11reduce_implILb1ES3_NS6_12zip_iteratorINS7_INS6_11hip_rocprim26transform_input_iterator_tIbPaNS6_6detail10functional5actorINSH_9compositeIJNSH_27transparent_binary_operatorINS6_8equal_toIvEEEENSI_INSH_8argumentILj0EEEEENSH_5valueIaEEEEEEEEENSD_19counting_iterator_tIlEES8_S8_S8_S8_S8_S8_S8_S8_EEEEPS9_S9_NSD_9__find_if7functorIS9_EEEE10hipError_tPvRmT1_T2_T3_mT4_P12ihipStream_tbEUlT_E0_NS1_11comp_targetILNS1_3genE10ELNS1_11target_archE1201ELNS1_3gpuE5ELNS1_3repE0EEENS1_30default_config_static_selectorELNS0_4arch9wavefront6targetE1EEEvS17_.uses_vcc, 0
	.set _ZN7rocprim17ROCPRIM_400000_NS6detail17trampoline_kernelINS0_14default_configENS1_22reduce_config_selectorIN6thrust23THRUST_200600_302600_NS5tupleIblNS6_9null_typeES8_S8_S8_S8_S8_S8_S8_EEEEZNS1_11reduce_implILb1ES3_NS6_12zip_iteratorINS7_INS6_11hip_rocprim26transform_input_iterator_tIbPaNS6_6detail10functional5actorINSH_9compositeIJNSH_27transparent_binary_operatorINS6_8equal_toIvEEEENSI_INSH_8argumentILj0EEEEENSH_5valueIaEEEEEEEEENSD_19counting_iterator_tIlEES8_S8_S8_S8_S8_S8_S8_S8_EEEEPS9_S9_NSD_9__find_if7functorIS9_EEEE10hipError_tPvRmT1_T2_T3_mT4_P12ihipStream_tbEUlT_E0_NS1_11comp_targetILNS1_3genE10ELNS1_11target_archE1201ELNS1_3gpuE5ELNS1_3repE0EEENS1_30default_config_static_selectorELNS0_4arch9wavefront6targetE1EEEvS17_.uses_flat_scratch, 0
	.set _ZN7rocprim17ROCPRIM_400000_NS6detail17trampoline_kernelINS0_14default_configENS1_22reduce_config_selectorIN6thrust23THRUST_200600_302600_NS5tupleIblNS6_9null_typeES8_S8_S8_S8_S8_S8_S8_EEEEZNS1_11reduce_implILb1ES3_NS6_12zip_iteratorINS7_INS6_11hip_rocprim26transform_input_iterator_tIbPaNS6_6detail10functional5actorINSH_9compositeIJNSH_27transparent_binary_operatorINS6_8equal_toIvEEEENSI_INSH_8argumentILj0EEEEENSH_5valueIaEEEEEEEEENSD_19counting_iterator_tIlEES8_S8_S8_S8_S8_S8_S8_S8_EEEEPS9_S9_NSD_9__find_if7functorIS9_EEEE10hipError_tPvRmT1_T2_T3_mT4_P12ihipStream_tbEUlT_E0_NS1_11comp_targetILNS1_3genE10ELNS1_11target_archE1201ELNS1_3gpuE5ELNS1_3repE0EEENS1_30default_config_static_selectorELNS0_4arch9wavefront6targetE1EEEvS17_.has_dyn_sized_stack, 0
	.set _ZN7rocprim17ROCPRIM_400000_NS6detail17trampoline_kernelINS0_14default_configENS1_22reduce_config_selectorIN6thrust23THRUST_200600_302600_NS5tupleIblNS6_9null_typeES8_S8_S8_S8_S8_S8_S8_EEEEZNS1_11reduce_implILb1ES3_NS6_12zip_iteratorINS7_INS6_11hip_rocprim26transform_input_iterator_tIbPaNS6_6detail10functional5actorINSH_9compositeIJNSH_27transparent_binary_operatorINS6_8equal_toIvEEEENSI_INSH_8argumentILj0EEEEENSH_5valueIaEEEEEEEEENSD_19counting_iterator_tIlEES8_S8_S8_S8_S8_S8_S8_S8_EEEEPS9_S9_NSD_9__find_if7functorIS9_EEEE10hipError_tPvRmT1_T2_T3_mT4_P12ihipStream_tbEUlT_E0_NS1_11comp_targetILNS1_3genE10ELNS1_11target_archE1201ELNS1_3gpuE5ELNS1_3repE0EEENS1_30default_config_static_selectorELNS0_4arch9wavefront6targetE1EEEvS17_.has_recursion, 0
	.set _ZN7rocprim17ROCPRIM_400000_NS6detail17trampoline_kernelINS0_14default_configENS1_22reduce_config_selectorIN6thrust23THRUST_200600_302600_NS5tupleIblNS6_9null_typeES8_S8_S8_S8_S8_S8_S8_EEEEZNS1_11reduce_implILb1ES3_NS6_12zip_iteratorINS7_INS6_11hip_rocprim26transform_input_iterator_tIbPaNS6_6detail10functional5actorINSH_9compositeIJNSH_27transparent_binary_operatorINS6_8equal_toIvEEEENSI_INSH_8argumentILj0EEEEENSH_5valueIaEEEEEEEEENSD_19counting_iterator_tIlEES8_S8_S8_S8_S8_S8_S8_S8_EEEEPS9_S9_NSD_9__find_if7functorIS9_EEEE10hipError_tPvRmT1_T2_T3_mT4_P12ihipStream_tbEUlT_E0_NS1_11comp_targetILNS1_3genE10ELNS1_11target_archE1201ELNS1_3gpuE5ELNS1_3repE0EEENS1_30default_config_static_selectorELNS0_4arch9wavefront6targetE1EEEvS17_.has_indirect_call, 0
	.section	.AMDGPU.csdata,"",@progbits
; Kernel info:
; codeLenInByte = 0
; TotalNumSgprs: 4
; NumVgprs: 0
; ScratchSize: 0
; MemoryBound: 0
; FloatMode: 240
; IeeeMode: 1
; LDSByteSize: 0 bytes/workgroup (compile time only)
; SGPRBlocks: 0
; VGPRBlocks: 0
; NumSGPRsForWavesPerEU: 4
; NumVGPRsForWavesPerEU: 1
; Occupancy: 10
; WaveLimiterHint : 0
; COMPUTE_PGM_RSRC2:SCRATCH_EN: 0
; COMPUTE_PGM_RSRC2:USER_SGPR: 6
; COMPUTE_PGM_RSRC2:TRAP_HANDLER: 0
; COMPUTE_PGM_RSRC2:TGID_X_EN: 1
; COMPUTE_PGM_RSRC2:TGID_Y_EN: 0
; COMPUTE_PGM_RSRC2:TGID_Z_EN: 0
; COMPUTE_PGM_RSRC2:TIDIG_COMP_CNT: 0
	.section	.text._ZN7rocprim17ROCPRIM_400000_NS6detail17trampoline_kernelINS0_14default_configENS1_22reduce_config_selectorIN6thrust23THRUST_200600_302600_NS5tupleIblNS6_9null_typeES8_S8_S8_S8_S8_S8_S8_EEEEZNS1_11reduce_implILb1ES3_NS6_12zip_iteratorINS7_INS6_11hip_rocprim26transform_input_iterator_tIbPaNS6_6detail10functional5actorINSH_9compositeIJNSH_27transparent_binary_operatorINS6_8equal_toIvEEEENSI_INSH_8argumentILj0EEEEENSH_5valueIaEEEEEEEEENSD_19counting_iterator_tIlEES8_S8_S8_S8_S8_S8_S8_S8_EEEEPS9_S9_NSD_9__find_if7functorIS9_EEEE10hipError_tPvRmT1_T2_T3_mT4_P12ihipStream_tbEUlT_E0_NS1_11comp_targetILNS1_3genE10ELNS1_11target_archE1200ELNS1_3gpuE4ELNS1_3repE0EEENS1_30default_config_static_selectorELNS0_4arch9wavefront6targetE1EEEvS17_,"axG",@progbits,_ZN7rocprim17ROCPRIM_400000_NS6detail17trampoline_kernelINS0_14default_configENS1_22reduce_config_selectorIN6thrust23THRUST_200600_302600_NS5tupleIblNS6_9null_typeES8_S8_S8_S8_S8_S8_S8_EEEEZNS1_11reduce_implILb1ES3_NS6_12zip_iteratorINS7_INS6_11hip_rocprim26transform_input_iterator_tIbPaNS6_6detail10functional5actorINSH_9compositeIJNSH_27transparent_binary_operatorINS6_8equal_toIvEEEENSI_INSH_8argumentILj0EEEEENSH_5valueIaEEEEEEEEENSD_19counting_iterator_tIlEES8_S8_S8_S8_S8_S8_S8_S8_EEEEPS9_S9_NSD_9__find_if7functorIS9_EEEE10hipError_tPvRmT1_T2_T3_mT4_P12ihipStream_tbEUlT_E0_NS1_11comp_targetILNS1_3genE10ELNS1_11target_archE1200ELNS1_3gpuE4ELNS1_3repE0EEENS1_30default_config_static_selectorELNS0_4arch9wavefront6targetE1EEEvS17_,comdat
	.protected	_ZN7rocprim17ROCPRIM_400000_NS6detail17trampoline_kernelINS0_14default_configENS1_22reduce_config_selectorIN6thrust23THRUST_200600_302600_NS5tupleIblNS6_9null_typeES8_S8_S8_S8_S8_S8_S8_EEEEZNS1_11reduce_implILb1ES3_NS6_12zip_iteratorINS7_INS6_11hip_rocprim26transform_input_iterator_tIbPaNS6_6detail10functional5actorINSH_9compositeIJNSH_27transparent_binary_operatorINS6_8equal_toIvEEEENSI_INSH_8argumentILj0EEEEENSH_5valueIaEEEEEEEEENSD_19counting_iterator_tIlEES8_S8_S8_S8_S8_S8_S8_S8_EEEEPS9_S9_NSD_9__find_if7functorIS9_EEEE10hipError_tPvRmT1_T2_T3_mT4_P12ihipStream_tbEUlT_E0_NS1_11comp_targetILNS1_3genE10ELNS1_11target_archE1200ELNS1_3gpuE4ELNS1_3repE0EEENS1_30default_config_static_selectorELNS0_4arch9wavefront6targetE1EEEvS17_ ; -- Begin function _ZN7rocprim17ROCPRIM_400000_NS6detail17trampoline_kernelINS0_14default_configENS1_22reduce_config_selectorIN6thrust23THRUST_200600_302600_NS5tupleIblNS6_9null_typeES8_S8_S8_S8_S8_S8_S8_EEEEZNS1_11reduce_implILb1ES3_NS6_12zip_iteratorINS7_INS6_11hip_rocprim26transform_input_iterator_tIbPaNS6_6detail10functional5actorINSH_9compositeIJNSH_27transparent_binary_operatorINS6_8equal_toIvEEEENSI_INSH_8argumentILj0EEEEENSH_5valueIaEEEEEEEEENSD_19counting_iterator_tIlEES8_S8_S8_S8_S8_S8_S8_S8_EEEEPS9_S9_NSD_9__find_if7functorIS9_EEEE10hipError_tPvRmT1_T2_T3_mT4_P12ihipStream_tbEUlT_E0_NS1_11comp_targetILNS1_3genE10ELNS1_11target_archE1200ELNS1_3gpuE4ELNS1_3repE0EEENS1_30default_config_static_selectorELNS0_4arch9wavefront6targetE1EEEvS17_
	.globl	_ZN7rocprim17ROCPRIM_400000_NS6detail17trampoline_kernelINS0_14default_configENS1_22reduce_config_selectorIN6thrust23THRUST_200600_302600_NS5tupleIblNS6_9null_typeES8_S8_S8_S8_S8_S8_S8_EEEEZNS1_11reduce_implILb1ES3_NS6_12zip_iteratorINS7_INS6_11hip_rocprim26transform_input_iterator_tIbPaNS6_6detail10functional5actorINSH_9compositeIJNSH_27transparent_binary_operatorINS6_8equal_toIvEEEENSI_INSH_8argumentILj0EEEEENSH_5valueIaEEEEEEEEENSD_19counting_iterator_tIlEES8_S8_S8_S8_S8_S8_S8_S8_EEEEPS9_S9_NSD_9__find_if7functorIS9_EEEE10hipError_tPvRmT1_T2_T3_mT4_P12ihipStream_tbEUlT_E0_NS1_11comp_targetILNS1_3genE10ELNS1_11target_archE1200ELNS1_3gpuE4ELNS1_3repE0EEENS1_30default_config_static_selectorELNS0_4arch9wavefront6targetE1EEEvS17_
	.p2align	8
	.type	_ZN7rocprim17ROCPRIM_400000_NS6detail17trampoline_kernelINS0_14default_configENS1_22reduce_config_selectorIN6thrust23THRUST_200600_302600_NS5tupleIblNS6_9null_typeES8_S8_S8_S8_S8_S8_S8_EEEEZNS1_11reduce_implILb1ES3_NS6_12zip_iteratorINS7_INS6_11hip_rocprim26transform_input_iterator_tIbPaNS6_6detail10functional5actorINSH_9compositeIJNSH_27transparent_binary_operatorINS6_8equal_toIvEEEENSI_INSH_8argumentILj0EEEEENSH_5valueIaEEEEEEEEENSD_19counting_iterator_tIlEES8_S8_S8_S8_S8_S8_S8_S8_EEEEPS9_S9_NSD_9__find_if7functorIS9_EEEE10hipError_tPvRmT1_T2_T3_mT4_P12ihipStream_tbEUlT_E0_NS1_11comp_targetILNS1_3genE10ELNS1_11target_archE1200ELNS1_3gpuE4ELNS1_3repE0EEENS1_30default_config_static_selectorELNS0_4arch9wavefront6targetE1EEEvS17_,@function
_ZN7rocprim17ROCPRIM_400000_NS6detail17trampoline_kernelINS0_14default_configENS1_22reduce_config_selectorIN6thrust23THRUST_200600_302600_NS5tupleIblNS6_9null_typeES8_S8_S8_S8_S8_S8_S8_EEEEZNS1_11reduce_implILb1ES3_NS6_12zip_iteratorINS7_INS6_11hip_rocprim26transform_input_iterator_tIbPaNS6_6detail10functional5actorINSH_9compositeIJNSH_27transparent_binary_operatorINS6_8equal_toIvEEEENSI_INSH_8argumentILj0EEEEENSH_5valueIaEEEEEEEEENSD_19counting_iterator_tIlEES8_S8_S8_S8_S8_S8_S8_S8_EEEEPS9_S9_NSD_9__find_if7functorIS9_EEEE10hipError_tPvRmT1_T2_T3_mT4_P12ihipStream_tbEUlT_E0_NS1_11comp_targetILNS1_3genE10ELNS1_11target_archE1200ELNS1_3gpuE4ELNS1_3repE0EEENS1_30default_config_static_selectorELNS0_4arch9wavefront6targetE1EEEvS17_: ; @_ZN7rocprim17ROCPRIM_400000_NS6detail17trampoline_kernelINS0_14default_configENS1_22reduce_config_selectorIN6thrust23THRUST_200600_302600_NS5tupleIblNS6_9null_typeES8_S8_S8_S8_S8_S8_S8_EEEEZNS1_11reduce_implILb1ES3_NS6_12zip_iteratorINS7_INS6_11hip_rocprim26transform_input_iterator_tIbPaNS6_6detail10functional5actorINSH_9compositeIJNSH_27transparent_binary_operatorINS6_8equal_toIvEEEENSI_INSH_8argumentILj0EEEEENSH_5valueIaEEEEEEEEENSD_19counting_iterator_tIlEES8_S8_S8_S8_S8_S8_S8_S8_EEEEPS9_S9_NSD_9__find_if7functorIS9_EEEE10hipError_tPvRmT1_T2_T3_mT4_P12ihipStream_tbEUlT_E0_NS1_11comp_targetILNS1_3genE10ELNS1_11target_archE1200ELNS1_3gpuE4ELNS1_3repE0EEENS1_30default_config_static_selectorELNS0_4arch9wavefront6targetE1EEEvS17_
; %bb.0:
	.section	.rodata,"a",@progbits
	.p2align	6, 0x0
	.amdhsa_kernel _ZN7rocprim17ROCPRIM_400000_NS6detail17trampoline_kernelINS0_14default_configENS1_22reduce_config_selectorIN6thrust23THRUST_200600_302600_NS5tupleIblNS6_9null_typeES8_S8_S8_S8_S8_S8_S8_EEEEZNS1_11reduce_implILb1ES3_NS6_12zip_iteratorINS7_INS6_11hip_rocprim26transform_input_iterator_tIbPaNS6_6detail10functional5actorINSH_9compositeIJNSH_27transparent_binary_operatorINS6_8equal_toIvEEEENSI_INSH_8argumentILj0EEEEENSH_5valueIaEEEEEEEEENSD_19counting_iterator_tIlEES8_S8_S8_S8_S8_S8_S8_S8_EEEEPS9_S9_NSD_9__find_if7functorIS9_EEEE10hipError_tPvRmT1_T2_T3_mT4_P12ihipStream_tbEUlT_E0_NS1_11comp_targetILNS1_3genE10ELNS1_11target_archE1200ELNS1_3gpuE4ELNS1_3repE0EEENS1_30default_config_static_selectorELNS0_4arch9wavefront6targetE1EEEvS17_
		.amdhsa_group_segment_fixed_size 0
		.amdhsa_private_segment_fixed_size 0
		.amdhsa_kernarg_size 88
		.amdhsa_user_sgpr_count 6
		.amdhsa_user_sgpr_private_segment_buffer 1
		.amdhsa_user_sgpr_dispatch_ptr 0
		.amdhsa_user_sgpr_queue_ptr 0
		.amdhsa_user_sgpr_kernarg_segment_ptr 1
		.amdhsa_user_sgpr_dispatch_id 0
		.amdhsa_user_sgpr_flat_scratch_init 0
		.amdhsa_user_sgpr_private_segment_size 0
		.amdhsa_uses_dynamic_stack 0
		.amdhsa_system_sgpr_private_segment_wavefront_offset 0
		.amdhsa_system_sgpr_workgroup_id_x 1
		.amdhsa_system_sgpr_workgroup_id_y 0
		.amdhsa_system_sgpr_workgroup_id_z 0
		.amdhsa_system_sgpr_workgroup_info 0
		.amdhsa_system_vgpr_workitem_id 0
		.amdhsa_next_free_vgpr 1
		.amdhsa_next_free_sgpr 0
		.amdhsa_reserve_vcc 0
		.amdhsa_reserve_flat_scratch 0
		.amdhsa_float_round_mode_32 0
		.amdhsa_float_round_mode_16_64 0
		.amdhsa_float_denorm_mode_32 3
		.amdhsa_float_denorm_mode_16_64 3
		.amdhsa_dx10_clamp 1
		.amdhsa_ieee_mode 1
		.amdhsa_fp16_overflow 0
		.amdhsa_exception_fp_ieee_invalid_op 0
		.amdhsa_exception_fp_denorm_src 0
		.amdhsa_exception_fp_ieee_div_zero 0
		.amdhsa_exception_fp_ieee_overflow 0
		.amdhsa_exception_fp_ieee_underflow 0
		.amdhsa_exception_fp_ieee_inexact 0
		.amdhsa_exception_int_div_zero 0
	.end_amdhsa_kernel
	.section	.text._ZN7rocprim17ROCPRIM_400000_NS6detail17trampoline_kernelINS0_14default_configENS1_22reduce_config_selectorIN6thrust23THRUST_200600_302600_NS5tupleIblNS6_9null_typeES8_S8_S8_S8_S8_S8_S8_EEEEZNS1_11reduce_implILb1ES3_NS6_12zip_iteratorINS7_INS6_11hip_rocprim26transform_input_iterator_tIbPaNS6_6detail10functional5actorINSH_9compositeIJNSH_27transparent_binary_operatorINS6_8equal_toIvEEEENSI_INSH_8argumentILj0EEEEENSH_5valueIaEEEEEEEEENSD_19counting_iterator_tIlEES8_S8_S8_S8_S8_S8_S8_S8_EEEEPS9_S9_NSD_9__find_if7functorIS9_EEEE10hipError_tPvRmT1_T2_T3_mT4_P12ihipStream_tbEUlT_E0_NS1_11comp_targetILNS1_3genE10ELNS1_11target_archE1200ELNS1_3gpuE4ELNS1_3repE0EEENS1_30default_config_static_selectorELNS0_4arch9wavefront6targetE1EEEvS17_,"axG",@progbits,_ZN7rocprim17ROCPRIM_400000_NS6detail17trampoline_kernelINS0_14default_configENS1_22reduce_config_selectorIN6thrust23THRUST_200600_302600_NS5tupleIblNS6_9null_typeES8_S8_S8_S8_S8_S8_S8_EEEEZNS1_11reduce_implILb1ES3_NS6_12zip_iteratorINS7_INS6_11hip_rocprim26transform_input_iterator_tIbPaNS6_6detail10functional5actorINSH_9compositeIJNSH_27transparent_binary_operatorINS6_8equal_toIvEEEENSI_INSH_8argumentILj0EEEEENSH_5valueIaEEEEEEEEENSD_19counting_iterator_tIlEES8_S8_S8_S8_S8_S8_S8_S8_EEEEPS9_S9_NSD_9__find_if7functorIS9_EEEE10hipError_tPvRmT1_T2_T3_mT4_P12ihipStream_tbEUlT_E0_NS1_11comp_targetILNS1_3genE10ELNS1_11target_archE1200ELNS1_3gpuE4ELNS1_3repE0EEENS1_30default_config_static_selectorELNS0_4arch9wavefront6targetE1EEEvS17_,comdat
.Lfunc_end714:
	.size	_ZN7rocprim17ROCPRIM_400000_NS6detail17trampoline_kernelINS0_14default_configENS1_22reduce_config_selectorIN6thrust23THRUST_200600_302600_NS5tupleIblNS6_9null_typeES8_S8_S8_S8_S8_S8_S8_EEEEZNS1_11reduce_implILb1ES3_NS6_12zip_iteratorINS7_INS6_11hip_rocprim26transform_input_iterator_tIbPaNS6_6detail10functional5actorINSH_9compositeIJNSH_27transparent_binary_operatorINS6_8equal_toIvEEEENSI_INSH_8argumentILj0EEEEENSH_5valueIaEEEEEEEEENSD_19counting_iterator_tIlEES8_S8_S8_S8_S8_S8_S8_S8_EEEEPS9_S9_NSD_9__find_if7functorIS9_EEEE10hipError_tPvRmT1_T2_T3_mT4_P12ihipStream_tbEUlT_E0_NS1_11comp_targetILNS1_3genE10ELNS1_11target_archE1200ELNS1_3gpuE4ELNS1_3repE0EEENS1_30default_config_static_selectorELNS0_4arch9wavefront6targetE1EEEvS17_, .Lfunc_end714-_ZN7rocprim17ROCPRIM_400000_NS6detail17trampoline_kernelINS0_14default_configENS1_22reduce_config_selectorIN6thrust23THRUST_200600_302600_NS5tupleIblNS6_9null_typeES8_S8_S8_S8_S8_S8_S8_EEEEZNS1_11reduce_implILb1ES3_NS6_12zip_iteratorINS7_INS6_11hip_rocprim26transform_input_iterator_tIbPaNS6_6detail10functional5actorINSH_9compositeIJNSH_27transparent_binary_operatorINS6_8equal_toIvEEEENSI_INSH_8argumentILj0EEEEENSH_5valueIaEEEEEEEEENSD_19counting_iterator_tIlEES8_S8_S8_S8_S8_S8_S8_S8_EEEEPS9_S9_NSD_9__find_if7functorIS9_EEEE10hipError_tPvRmT1_T2_T3_mT4_P12ihipStream_tbEUlT_E0_NS1_11comp_targetILNS1_3genE10ELNS1_11target_archE1200ELNS1_3gpuE4ELNS1_3repE0EEENS1_30default_config_static_selectorELNS0_4arch9wavefront6targetE1EEEvS17_
                                        ; -- End function
	.set _ZN7rocprim17ROCPRIM_400000_NS6detail17trampoline_kernelINS0_14default_configENS1_22reduce_config_selectorIN6thrust23THRUST_200600_302600_NS5tupleIblNS6_9null_typeES8_S8_S8_S8_S8_S8_S8_EEEEZNS1_11reduce_implILb1ES3_NS6_12zip_iteratorINS7_INS6_11hip_rocprim26transform_input_iterator_tIbPaNS6_6detail10functional5actorINSH_9compositeIJNSH_27transparent_binary_operatorINS6_8equal_toIvEEEENSI_INSH_8argumentILj0EEEEENSH_5valueIaEEEEEEEEENSD_19counting_iterator_tIlEES8_S8_S8_S8_S8_S8_S8_S8_EEEEPS9_S9_NSD_9__find_if7functorIS9_EEEE10hipError_tPvRmT1_T2_T3_mT4_P12ihipStream_tbEUlT_E0_NS1_11comp_targetILNS1_3genE10ELNS1_11target_archE1200ELNS1_3gpuE4ELNS1_3repE0EEENS1_30default_config_static_selectorELNS0_4arch9wavefront6targetE1EEEvS17_.num_vgpr, 0
	.set _ZN7rocprim17ROCPRIM_400000_NS6detail17trampoline_kernelINS0_14default_configENS1_22reduce_config_selectorIN6thrust23THRUST_200600_302600_NS5tupleIblNS6_9null_typeES8_S8_S8_S8_S8_S8_S8_EEEEZNS1_11reduce_implILb1ES3_NS6_12zip_iteratorINS7_INS6_11hip_rocprim26transform_input_iterator_tIbPaNS6_6detail10functional5actorINSH_9compositeIJNSH_27transparent_binary_operatorINS6_8equal_toIvEEEENSI_INSH_8argumentILj0EEEEENSH_5valueIaEEEEEEEEENSD_19counting_iterator_tIlEES8_S8_S8_S8_S8_S8_S8_S8_EEEEPS9_S9_NSD_9__find_if7functorIS9_EEEE10hipError_tPvRmT1_T2_T3_mT4_P12ihipStream_tbEUlT_E0_NS1_11comp_targetILNS1_3genE10ELNS1_11target_archE1200ELNS1_3gpuE4ELNS1_3repE0EEENS1_30default_config_static_selectorELNS0_4arch9wavefront6targetE1EEEvS17_.num_agpr, 0
	.set _ZN7rocprim17ROCPRIM_400000_NS6detail17trampoline_kernelINS0_14default_configENS1_22reduce_config_selectorIN6thrust23THRUST_200600_302600_NS5tupleIblNS6_9null_typeES8_S8_S8_S8_S8_S8_S8_EEEEZNS1_11reduce_implILb1ES3_NS6_12zip_iteratorINS7_INS6_11hip_rocprim26transform_input_iterator_tIbPaNS6_6detail10functional5actorINSH_9compositeIJNSH_27transparent_binary_operatorINS6_8equal_toIvEEEENSI_INSH_8argumentILj0EEEEENSH_5valueIaEEEEEEEEENSD_19counting_iterator_tIlEES8_S8_S8_S8_S8_S8_S8_S8_EEEEPS9_S9_NSD_9__find_if7functorIS9_EEEE10hipError_tPvRmT1_T2_T3_mT4_P12ihipStream_tbEUlT_E0_NS1_11comp_targetILNS1_3genE10ELNS1_11target_archE1200ELNS1_3gpuE4ELNS1_3repE0EEENS1_30default_config_static_selectorELNS0_4arch9wavefront6targetE1EEEvS17_.numbered_sgpr, 0
	.set _ZN7rocprim17ROCPRIM_400000_NS6detail17trampoline_kernelINS0_14default_configENS1_22reduce_config_selectorIN6thrust23THRUST_200600_302600_NS5tupleIblNS6_9null_typeES8_S8_S8_S8_S8_S8_S8_EEEEZNS1_11reduce_implILb1ES3_NS6_12zip_iteratorINS7_INS6_11hip_rocprim26transform_input_iterator_tIbPaNS6_6detail10functional5actorINSH_9compositeIJNSH_27transparent_binary_operatorINS6_8equal_toIvEEEENSI_INSH_8argumentILj0EEEEENSH_5valueIaEEEEEEEEENSD_19counting_iterator_tIlEES8_S8_S8_S8_S8_S8_S8_S8_EEEEPS9_S9_NSD_9__find_if7functorIS9_EEEE10hipError_tPvRmT1_T2_T3_mT4_P12ihipStream_tbEUlT_E0_NS1_11comp_targetILNS1_3genE10ELNS1_11target_archE1200ELNS1_3gpuE4ELNS1_3repE0EEENS1_30default_config_static_selectorELNS0_4arch9wavefront6targetE1EEEvS17_.num_named_barrier, 0
	.set _ZN7rocprim17ROCPRIM_400000_NS6detail17trampoline_kernelINS0_14default_configENS1_22reduce_config_selectorIN6thrust23THRUST_200600_302600_NS5tupleIblNS6_9null_typeES8_S8_S8_S8_S8_S8_S8_EEEEZNS1_11reduce_implILb1ES3_NS6_12zip_iteratorINS7_INS6_11hip_rocprim26transform_input_iterator_tIbPaNS6_6detail10functional5actorINSH_9compositeIJNSH_27transparent_binary_operatorINS6_8equal_toIvEEEENSI_INSH_8argumentILj0EEEEENSH_5valueIaEEEEEEEEENSD_19counting_iterator_tIlEES8_S8_S8_S8_S8_S8_S8_S8_EEEEPS9_S9_NSD_9__find_if7functorIS9_EEEE10hipError_tPvRmT1_T2_T3_mT4_P12ihipStream_tbEUlT_E0_NS1_11comp_targetILNS1_3genE10ELNS1_11target_archE1200ELNS1_3gpuE4ELNS1_3repE0EEENS1_30default_config_static_selectorELNS0_4arch9wavefront6targetE1EEEvS17_.private_seg_size, 0
	.set _ZN7rocprim17ROCPRIM_400000_NS6detail17trampoline_kernelINS0_14default_configENS1_22reduce_config_selectorIN6thrust23THRUST_200600_302600_NS5tupleIblNS6_9null_typeES8_S8_S8_S8_S8_S8_S8_EEEEZNS1_11reduce_implILb1ES3_NS6_12zip_iteratorINS7_INS6_11hip_rocprim26transform_input_iterator_tIbPaNS6_6detail10functional5actorINSH_9compositeIJNSH_27transparent_binary_operatorINS6_8equal_toIvEEEENSI_INSH_8argumentILj0EEEEENSH_5valueIaEEEEEEEEENSD_19counting_iterator_tIlEES8_S8_S8_S8_S8_S8_S8_S8_EEEEPS9_S9_NSD_9__find_if7functorIS9_EEEE10hipError_tPvRmT1_T2_T3_mT4_P12ihipStream_tbEUlT_E0_NS1_11comp_targetILNS1_3genE10ELNS1_11target_archE1200ELNS1_3gpuE4ELNS1_3repE0EEENS1_30default_config_static_selectorELNS0_4arch9wavefront6targetE1EEEvS17_.uses_vcc, 0
	.set _ZN7rocprim17ROCPRIM_400000_NS6detail17trampoline_kernelINS0_14default_configENS1_22reduce_config_selectorIN6thrust23THRUST_200600_302600_NS5tupleIblNS6_9null_typeES8_S8_S8_S8_S8_S8_S8_EEEEZNS1_11reduce_implILb1ES3_NS6_12zip_iteratorINS7_INS6_11hip_rocprim26transform_input_iterator_tIbPaNS6_6detail10functional5actorINSH_9compositeIJNSH_27transparent_binary_operatorINS6_8equal_toIvEEEENSI_INSH_8argumentILj0EEEEENSH_5valueIaEEEEEEEEENSD_19counting_iterator_tIlEES8_S8_S8_S8_S8_S8_S8_S8_EEEEPS9_S9_NSD_9__find_if7functorIS9_EEEE10hipError_tPvRmT1_T2_T3_mT4_P12ihipStream_tbEUlT_E0_NS1_11comp_targetILNS1_3genE10ELNS1_11target_archE1200ELNS1_3gpuE4ELNS1_3repE0EEENS1_30default_config_static_selectorELNS0_4arch9wavefront6targetE1EEEvS17_.uses_flat_scratch, 0
	.set _ZN7rocprim17ROCPRIM_400000_NS6detail17trampoline_kernelINS0_14default_configENS1_22reduce_config_selectorIN6thrust23THRUST_200600_302600_NS5tupleIblNS6_9null_typeES8_S8_S8_S8_S8_S8_S8_EEEEZNS1_11reduce_implILb1ES3_NS6_12zip_iteratorINS7_INS6_11hip_rocprim26transform_input_iterator_tIbPaNS6_6detail10functional5actorINSH_9compositeIJNSH_27transparent_binary_operatorINS6_8equal_toIvEEEENSI_INSH_8argumentILj0EEEEENSH_5valueIaEEEEEEEEENSD_19counting_iterator_tIlEES8_S8_S8_S8_S8_S8_S8_S8_EEEEPS9_S9_NSD_9__find_if7functorIS9_EEEE10hipError_tPvRmT1_T2_T3_mT4_P12ihipStream_tbEUlT_E0_NS1_11comp_targetILNS1_3genE10ELNS1_11target_archE1200ELNS1_3gpuE4ELNS1_3repE0EEENS1_30default_config_static_selectorELNS0_4arch9wavefront6targetE1EEEvS17_.has_dyn_sized_stack, 0
	.set _ZN7rocprim17ROCPRIM_400000_NS6detail17trampoline_kernelINS0_14default_configENS1_22reduce_config_selectorIN6thrust23THRUST_200600_302600_NS5tupleIblNS6_9null_typeES8_S8_S8_S8_S8_S8_S8_EEEEZNS1_11reduce_implILb1ES3_NS6_12zip_iteratorINS7_INS6_11hip_rocprim26transform_input_iterator_tIbPaNS6_6detail10functional5actorINSH_9compositeIJNSH_27transparent_binary_operatorINS6_8equal_toIvEEEENSI_INSH_8argumentILj0EEEEENSH_5valueIaEEEEEEEEENSD_19counting_iterator_tIlEES8_S8_S8_S8_S8_S8_S8_S8_EEEEPS9_S9_NSD_9__find_if7functorIS9_EEEE10hipError_tPvRmT1_T2_T3_mT4_P12ihipStream_tbEUlT_E0_NS1_11comp_targetILNS1_3genE10ELNS1_11target_archE1200ELNS1_3gpuE4ELNS1_3repE0EEENS1_30default_config_static_selectorELNS0_4arch9wavefront6targetE1EEEvS17_.has_recursion, 0
	.set _ZN7rocprim17ROCPRIM_400000_NS6detail17trampoline_kernelINS0_14default_configENS1_22reduce_config_selectorIN6thrust23THRUST_200600_302600_NS5tupleIblNS6_9null_typeES8_S8_S8_S8_S8_S8_S8_EEEEZNS1_11reduce_implILb1ES3_NS6_12zip_iteratorINS7_INS6_11hip_rocprim26transform_input_iterator_tIbPaNS6_6detail10functional5actorINSH_9compositeIJNSH_27transparent_binary_operatorINS6_8equal_toIvEEEENSI_INSH_8argumentILj0EEEEENSH_5valueIaEEEEEEEEENSD_19counting_iterator_tIlEES8_S8_S8_S8_S8_S8_S8_S8_EEEEPS9_S9_NSD_9__find_if7functorIS9_EEEE10hipError_tPvRmT1_T2_T3_mT4_P12ihipStream_tbEUlT_E0_NS1_11comp_targetILNS1_3genE10ELNS1_11target_archE1200ELNS1_3gpuE4ELNS1_3repE0EEENS1_30default_config_static_selectorELNS0_4arch9wavefront6targetE1EEEvS17_.has_indirect_call, 0
	.section	.AMDGPU.csdata,"",@progbits
; Kernel info:
; codeLenInByte = 0
; TotalNumSgprs: 4
; NumVgprs: 0
; ScratchSize: 0
; MemoryBound: 0
; FloatMode: 240
; IeeeMode: 1
; LDSByteSize: 0 bytes/workgroup (compile time only)
; SGPRBlocks: 0
; VGPRBlocks: 0
; NumSGPRsForWavesPerEU: 4
; NumVGPRsForWavesPerEU: 1
; Occupancy: 10
; WaveLimiterHint : 0
; COMPUTE_PGM_RSRC2:SCRATCH_EN: 0
; COMPUTE_PGM_RSRC2:USER_SGPR: 6
; COMPUTE_PGM_RSRC2:TRAP_HANDLER: 0
; COMPUTE_PGM_RSRC2:TGID_X_EN: 1
; COMPUTE_PGM_RSRC2:TGID_Y_EN: 0
; COMPUTE_PGM_RSRC2:TGID_Z_EN: 0
; COMPUTE_PGM_RSRC2:TIDIG_COMP_CNT: 0
	.section	.text._ZN7rocprim17ROCPRIM_400000_NS6detail17trampoline_kernelINS0_14default_configENS1_22reduce_config_selectorIN6thrust23THRUST_200600_302600_NS5tupleIblNS6_9null_typeES8_S8_S8_S8_S8_S8_S8_EEEEZNS1_11reduce_implILb1ES3_NS6_12zip_iteratorINS7_INS6_11hip_rocprim26transform_input_iterator_tIbPaNS6_6detail10functional5actorINSH_9compositeIJNSH_27transparent_binary_operatorINS6_8equal_toIvEEEENSI_INSH_8argumentILj0EEEEENSH_5valueIaEEEEEEEEENSD_19counting_iterator_tIlEES8_S8_S8_S8_S8_S8_S8_S8_EEEEPS9_S9_NSD_9__find_if7functorIS9_EEEE10hipError_tPvRmT1_T2_T3_mT4_P12ihipStream_tbEUlT_E0_NS1_11comp_targetILNS1_3genE9ELNS1_11target_archE1100ELNS1_3gpuE3ELNS1_3repE0EEENS1_30default_config_static_selectorELNS0_4arch9wavefront6targetE1EEEvS17_,"axG",@progbits,_ZN7rocprim17ROCPRIM_400000_NS6detail17trampoline_kernelINS0_14default_configENS1_22reduce_config_selectorIN6thrust23THRUST_200600_302600_NS5tupleIblNS6_9null_typeES8_S8_S8_S8_S8_S8_S8_EEEEZNS1_11reduce_implILb1ES3_NS6_12zip_iteratorINS7_INS6_11hip_rocprim26transform_input_iterator_tIbPaNS6_6detail10functional5actorINSH_9compositeIJNSH_27transparent_binary_operatorINS6_8equal_toIvEEEENSI_INSH_8argumentILj0EEEEENSH_5valueIaEEEEEEEEENSD_19counting_iterator_tIlEES8_S8_S8_S8_S8_S8_S8_S8_EEEEPS9_S9_NSD_9__find_if7functorIS9_EEEE10hipError_tPvRmT1_T2_T3_mT4_P12ihipStream_tbEUlT_E0_NS1_11comp_targetILNS1_3genE9ELNS1_11target_archE1100ELNS1_3gpuE3ELNS1_3repE0EEENS1_30default_config_static_selectorELNS0_4arch9wavefront6targetE1EEEvS17_,comdat
	.protected	_ZN7rocprim17ROCPRIM_400000_NS6detail17trampoline_kernelINS0_14default_configENS1_22reduce_config_selectorIN6thrust23THRUST_200600_302600_NS5tupleIblNS6_9null_typeES8_S8_S8_S8_S8_S8_S8_EEEEZNS1_11reduce_implILb1ES3_NS6_12zip_iteratorINS7_INS6_11hip_rocprim26transform_input_iterator_tIbPaNS6_6detail10functional5actorINSH_9compositeIJNSH_27transparent_binary_operatorINS6_8equal_toIvEEEENSI_INSH_8argumentILj0EEEEENSH_5valueIaEEEEEEEEENSD_19counting_iterator_tIlEES8_S8_S8_S8_S8_S8_S8_S8_EEEEPS9_S9_NSD_9__find_if7functorIS9_EEEE10hipError_tPvRmT1_T2_T3_mT4_P12ihipStream_tbEUlT_E0_NS1_11comp_targetILNS1_3genE9ELNS1_11target_archE1100ELNS1_3gpuE3ELNS1_3repE0EEENS1_30default_config_static_selectorELNS0_4arch9wavefront6targetE1EEEvS17_ ; -- Begin function _ZN7rocprim17ROCPRIM_400000_NS6detail17trampoline_kernelINS0_14default_configENS1_22reduce_config_selectorIN6thrust23THRUST_200600_302600_NS5tupleIblNS6_9null_typeES8_S8_S8_S8_S8_S8_S8_EEEEZNS1_11reduce_implILb1ES3_NS6_12zip_iteratorINS7_INS6_11hip_rocprim26transform_input_iterator_tIbPaNS6_6detail10functional5actorINSH_9compositeIJNSH_27transparent_binary_operatorINS6_8equal_toIvEEEENSI_INSH_8argumentILj0EEEEENSH_5valueIaEEEEEEEEENSD_19counting_iterator_tIlEES8_S8_S8_S8_S8_S8_S8_S8_EEEEPS9_S9_NSD_9__find_if7functorIS9_EEEE10hipError_tPvRmT1_T2_T3_mT4_P12ihipStream_tbEUlT_E0_NS1_11comp_targetILNS1_3genE9ELNS1_11target_archE1100ELNS1_3gpuE3ELNS1_3repE0EEENS1_30default_config_static_selectorELNS0_4arch9wavefront6targetE1EEEvS17_
	.globl	_ZN7rocprim17ROCPRIM_400000_NS6detail17trampoline_kernelINS0_14default_configENS1_22reduce_config_selectorIN6thrust23THRUST_200600_302600_NS5tupleIblNS6_9null_typeES8_S8_S8_S8_S8_S8_S8_EEEEZNS1_11reduce_implILb1ES3_NS6_12zip_iteratorINS7_INS6_11hip_rocprim26transform_input_iterator_tIbPaNS6_6detail10functional5actorINSH_9compositeIJNSH_27transparent_binary_operatorINS6_8equal_toIvEEEENSI_INSH_8argumentILj0EEEEENSH_5valueIaEEEEEEEEENSD_19counting_iterator_tIlEES8_S8_S8_S8_S8_S8_S8_S8_EEEEPS9_S9_NSD_9__find_if7functorIS9_EEEE10hipError_tPvRmT1_T2_T3_mT4_P12ihipStream_tbEUlT_E0_NS1_11comp_targetILNS1_3genE9ELNS1_11target_archE1100ELNS1_3gpuE3ELNS1_3repE0EEENS1_30default_config_static_selectorELNS0_4arch9wavefront6targetE1EEEvS17_
	.p2align	8
	.type	_ZN7rocprim17ROCPRIM_400000_NS6detail17trampoline_kernelINS0_14default_configENS1_22reduce_config_selectorIN6thrust23THRUST_200600_302600_NS5tupleIblNS6_9null_typeES8_S8_S8_S8_S8_S8_S8_EEEEZNS1_11reduce_implILb1ES3_NS6_12zip_iteratorINS7_INS6_11hip_rocprim26transform_input_iterator_tIbPaNS6_6detail10functional5actorINSH_9compositeIJNSH_27transparent_binary_operatorINS6_8equal_toIvEEEENSI_INSH_8argumentILj0EEEEENSH_5valueIaEEEEEEEEENSD_19counting_iterator_tIlEES8_S8_S8_S8_S8_S8_S8_S8_EEEEPS9_S9_NSD_9__find_if7functorIS9_EEEE10hipError_tPvRmT1_T2_T3_mT4_P12ihipStream_tbEUlT_E0_NS1_11comp_targetILNS1_3genE9ELNS1_11target_archE1100ELNS1_3gpuE3ELNS1_3repE0EEENS1_30default_config_static_selectorELNS0_4arch9wavefront6targetE1EEEvS17_,@function
_ZN7rocprim17ROCPRIM_400000_NS6detail17trampoline_kernelINS0_14default_configENS1_22reduce_config_selectorIN6thrust23THRUST_200600_302600_NS5tupleIblNS6_9null_typeES8_S8_S8_S8_S8_S8_S8_EEEEZNS1_11reduce_implILb1ES3_NS6_12zip_iteratorINS7_INS6_11hip_rocprim26transform_input_iterator_tIbPaNS6_6detail10functional5actorINSH_9compositeIJNSH_27transparent_binary_operatorINS6_8equal_toIvEEEENSI_INSH_8argumentILj0EEEEENSH_5valueIaEEEEEEEEENSD_19counting_iterator_tIlEES8_S8_S8_S8_S8_S8_S8_S8_EEEEPS9_S9_NSD_9__find_if7functorIS9_EEEE10hipError_tPvRmT1_T2_T3_mT4_P12ihipStream_tbEUlT_E0_NS1_11comp_targetILNS1_3genE9ELNS1_11target_archE1100ELNS1_3gpuE3ELNS1_3repE0EEENS1_30default_config_static_selectorELNS0_4arch9wavefront6targetE1EEEvS17_: ; @_ZN7rocprim17ROCPRIM_400000_NS6detail17trampoline_kernelINS0_14default_configENS1_22reduce_config_selectorIN6thrust23THRUST_200600_302600_NS5tupleIblNS6_9null_typeES8_S8_S8_S8_S8_S8_S8_EEEEZNS1_11reduce_implILb1ES3_NS6_12zip_iteratorINS7_INS6_11hip_rocprim26transform_input_iterator_tIbPaNS6_6detail10functional5actorINSH_9compositeIJNSH_27transparent_binary_operatorINS6_8equal_toIvEEEENSI_INSH_8argumentILj0EEEEENSH_5valueIaEEEEEEEEENSD_19counting_iterator_tIlEES8_S8_S8_S8_S8_S8_S8_S8_EEEEPS9_S9_NSD_9__find_if7functorIS9_EEEE10hipError_tPvRmT1_T2_T3_mT4_P12ihipStream_tbEUlT_E0_NS1_11comp_targetILNS1_3genE9ELNS1_11target_archE1100ELNS1_3gpuE3ELNS1_3repE0EEENS1_30default_config_static_selectorELNS0_4arch9wavefront6targetE1EEEvS17_
; %bb.0:
	.section	.rodata,"a",@progbits
	.p2align	6, 0x0
	.amdhsa_kernel _ZN7rocprim17ROCPRIM_400000_NS6detail17trampoline_kernelINS0_14default_configENS1_22reduce_config_selectorIN6thrust23THRUST_200600_302600_NS5tupleIblNS6_9null_typeES8_S8_S8_S8_S8_S8_S8_EEEEZNS1_11reduce_implILb1ES3_NS6_12zip_iteratorINS7_INS6_11hip_rocprim26transform_input_iterator_tIbPaNS6_6detail10functional5actorINSH_9compositeIJNSH_27transparent_binary_operatorINS6_8equal_toIvEEEENSI_INSH_8argumentILj0EEEEENSH_5valueIaEEEEEEEEENSD_19counting_iterator_tIlEES8_S8_S8_S8_S8_S8_S8_S8_EEEEPS9_S9_NSD_9__find_if7functorIS9_EEEE10hipError_tPvRmT1_T2_T3_mT4_P12ihipStream_tbEUlT_E0_NS1_11comp_targetILNS1_3genE9ELNS1_11target_archE1100ELNS1_3gpuE3ELNS1_3repE0EEENS1_30default_config_static_selectorELNS0_4arch9wavefront6targetE1EEEvS17_
		.amdhsa_group_segment_fixed_size 0
		.amdhsa_private_segment_fixed_size 0
		.amdhsa_kernarg_size 88
		.amdhsa_user_sgpr_count 6
		.amdhsa_user_sgpr_private_segment_buffer 1
		.amdhsa_user_sgpr_dispatch_ptr 0
		.amdhsa_user_sgpr_queue_ptr 0
		.amdhsa_user_sgpr_kernarg_segment_ptr 1
		.amdhsa_user_sgpr_dispatch_id 0
		.amdhsa_user_sgpr_flat_scratch_init 0
		.amdhsa_user_sgpr_private_segment_size 0
		.amdhsa_uses_dynamic_stack 0
		.amdhsa_system_sgpr_private_segment_wavefront_offset 0
		.amdhsa_system_sgpr_workgroup_id_x 1
		.amdhsa_system_sgpr_workgroup_id_y 0
		.amdhsa_system_sgpr_workgroup_id_z 0
		.amdhsa_system_sgpr_workgroup_info 0
		.amdhsa_system_vgpr_workitem_id 0
		.amdhsa_next_free_vgpr 1
		.amdhsa_next_free_sgpr 0
		.amdhsa_reserve_vcc 0
		.amdhsa_reserve_flat_scratch 0
		.amdhsa_float_round_mode_32 0
		.amdhsa_float_round_mode_16_64 0
		.amdhsa_float_denorm_mode_32 3
		.amdhsa_float_denorm_mode_16_64 3
		.amdhsa_dx10_clamp 1
		.amdhsa_ieee_mode 1
		.amdhsa_fp16_overflow 0
		.amdhsa_exception_fp_ieee_invalid_op 0
		.amdhsa_exception_fp_denorm_src 0
		.amdhsa_exception_fp_ieee_div_zero 0
		.amdhsa_exception_fp_ieee_overflow 0
		.amdhsa_exception_fp_ieee_underflow 0
		.amdhsa_exception_fp_ieee_inexact 0
		.amdhsa_exception_int_div_zero 0
	.end_amdhsa_kernel
	.section	.text._ZN7rocprim17ROCPRIM_400000_NS6detail17trampoline_kernelINS0_14default_configENS1_22reduce_config_selectorIN6thrust23THRUST_200600_302600_NS5tupleIblNS6_9null_typeES8_S8_S8_S8_S8_S8_S8_EEEEZNS1_11reduce_implILb1ES3_NS6_12zip_iteratorINS7_INS6_11hip_rocprim26transform_input_iterator_tIbPaNS6_6detail10functional5actorINSH_9compositeIJNSH_27transparent_binary_operatorINS6_8equal_toIvEEEENSI_INSH_8argumentILj0EEEEENSH_5valueIaEEEEEEEEENSD_19counting_iterator_tIlEES8_S8_S8_S8_S8_S8_S8_S8_EEEEPS9_S9_NSD_9__find_if7functorIS9_EEEE10hipError_tPvRmT1_T2_T3_mT4_P12ihipStream_tbEUlT_E0_NS1_11comp_targetILNS1_3genE9ELNS1_11target_archE1100ELNS1_3gpuE3ELNS1_3repE0EEENS1_30default_config_static_selectorELNS0_4arch9wavefront6targetE1EEEvS17_,"axG",@progbits,_ZN7rocprim17ROCPRIM_400000_NS6detail17trampoline_kernelINS0_14default_configENS1_22reduce_config_selectorIN6thrust23THRUST_200600_302600_NS5tupleIblNS6_9null_typeES8_S8_S8_S8_S8_S8_S8_EEEEZNS1_11reduce_implILb1ES3_NS6_12zip_iteratorINS7_INS6_11hip_rocprim26transform_input_iterator_tIbPaNS6_6detail10functional5actorINSH_9compositeIJNSH_27transparent_binary_operatorINS6_8equal_toIvEEEENSI_INSH_8argumentILj0EEEEENSH_5valueIaEEEEEEEEENSD_19counting_iterator_tIlEES8_S8_S8_S8_S8_S8_S8_S8_EEEEPS9_S9_NSD_9__find_if7functorIS9_EEEE10hipError_tPvRmT1_T2_T3_mT4_P12ihipStream_tbEUlT_E0_NS1_11comp_targetILNS1_3genE9ELNS1_11target_archE1100ELNS1_3gpuE3ELNS1_3repE0EEENS1_30default_config_static_selectorELNS0_4arch9wavefront6targetE1EEEvS17_,comdat
.Lfunc_end715:
	.size	_ZN7rocprim17ROCPRIM_400000_NS6detail17trampoline_kernelINS0_14default_configENS1_22reduce_config_selectorIN6thrust23THRUST_200600_302600_NS5tupleIblNS6_9null_typeES8_S8_S8_S8_S8_S8_S8_EEEEZNS1_11reduce_implILb1ES3_NS6_12zip_iteratorINS7_INS6_11hip_rocprim26transform_input_iterator_tIbPaNS6_6detail10functional5actorINSH_9compositeIJNSH_27transparent_binary_operatorINS6_8equal_toIvEEEENSI_INSH_8argumentILj0EEEEENSH_5valueIaEEEEEEEEENSD_19counting_iterator_tIlEES8_S8_S8_S8_S8_S8_S8_S8_EEEEPS9_S9_NSD_9__find_if7functorIS9_EEEE10hipError_tPvRmT1_T2_T3_mT4_P12ihipStream_tbEUlT_E0_NS1_11comp_targetILNS1_3genE9ELNS1_11target_archE1100ELNS1_3gpuE3ELNS1_3repE0EEENS1_30default_config_static_selectorELNS0_4arch9wavefront6targetE1EEEvS17_, .Lfunc_end715-_ZN7rocprim17ROCPRIM_400000_NS6detail17trampoline_kernelINS0_14default_configENS1_22reduce_config_selectorIN6thrust23THRUST_200600_302600_NS5tupleIblNS6_9null_typeES8_S8_S8_S8_S8_S8_S8_EEEEZNS1_11reduce_implILb1ES3_NS6_12zip_iteratorINS7_INS6_11hip_rocprim26transform_input_iterator_tIbPaNS6_6detail10functional5actorINSH_9compositeIJNSH_27transparent_binary_operatorINS6_8equal_toIvEEEENSI_INSH_8argumentILj0EEEEENSH_5valueIaEEEEEEEEENSD_19counting_iterator_tIlEES8_S8_S8_S8_S8_S8_S8_S8_EEEEPS9_S9_NSD_9__find_if7functorIS9_EEEE10hipError_tPvRmT1_T2_T3_mT4_P12ihipStream_tbEUlT_E0_NS1_11comp_targetILNS1_3genE9ELNS1_11target_archE1100ELNS1_3gpuE3ELNS1_3repE0EEENS1_30default_config_static_selectorELNS0_4arch9wavefront6targetE1EEEvS17_
                                        ; -- End function
	.set _ZN7rocprim17ROCPRIM_400000_NS6detail17trampoline_kernelINS0_14default_configENS1_22reduce_config_selectorIN6thrust23THRUST_200600_302600_NS5tupleIblNS6_9null_typeES8_S8_S8_S8_S8_S8_S8_EEEEZNS1_11reduce_implILb1ES3_NS6_12zip_iteratorINS7_INS6_11hip_rocprim26transform_input_iterator_tIbPaNS6_6detail10functional5actorINSH_9compositeIJNSH_27transparent_binary_operatorINS6_8equal_toIvEEEENSI_INSH_8argumentILj0EEEEENSH_5valueIaEEEEEEEEENSD_19counting_iterator_tIlEES8_S8_S8_S8_S8_S8_S8_S8_EEEEPS9_S9_NSD_9__find_if7functorIS9_EEEE10hipError_tPvRmT1_T2_T3_mT4_P12ihipStream_tbEUlT_E0_NS1_11comp_targetILNS1_3genE9ELNS1_11target_archE1100ELNS1_3gpuE3ELNS1_3repE0EEENS1_30default_config_static_selectorELNS0_4arch9wavefront6targetE1EEEvS17_.num_vgpr, 0
	.set _ZN7rocprim17ROCPRIM_400000_NS6detail17trampoline_kernelINS0_14default_configENS1_22reduce_config_selectorIN6thrust23THRUST_200600_302600_NS5tupleIblNS6_9null_typeES8_S8_S8_S8_S8_S8_S8_EEEEZNS1_11reduce_implILb1ES3_NS6_12zip_iteratorINS7_INS6_11hip_rocprim26transform_input_iterator_tIbPaNS6_6detail10functional5actorINSH_9compositeIJNSH_27transparent_binary_operatorINS6_8equal_toIvEEEENSI_INSH_8argumentILj0EEEEENSH_5valueIaEEEEEEEEENSD_19counting_iterator_tIlEES8_S8_S8_S8_S8_S8_S8_S8_EEEEPS9_S9_NSD_9__find_if7functorIS9_EEEE10hipError_tPvRmT1_T2_T3_mT4_P12ihipStream_tbEUlT_E0_NS1_11comp_targetILNS1_3genE9ELNS1_11target_archE1100ELNS1_3gpuE3ELNS1_3repE0EEENS1_30default_config_static_selectorELNS0_4arch9wavefront6targetE1EEEvS17_.num_agpr, 0
	.set _ZN7rocprim17ROCPRIM_400000_NS6detail17trampoline_kernelINS0_14default_configENS1_22reduce_config_selectorIN6thrust23THRUST_200600_302600_NS5tupleIblNS6_9null_typeES8_S8_S8_S8_S8_S8_S8_EEEEZNS1_11reduce_implILb1ES3_NS6_12zip_iteratorINS7_INS6_11hip_rocprim26transform_input_iterator_tIbPaNS6_6detail10functional5actorINSH_9compositeIJNSH_27transparent_binary_operatorINS6_8equal_toIvEEEENSI_INSH_8argumentILj0EEEEENSH_5valueIaEEEEEEEEENSD_19counting_iterator_tIlEES8_S8_S8_S8_S8_S8_S8_S8_EEEEPS9_S9_NSD_9__find_if7functorIS9_EEEE10hipError_tPvRmT1_T2_T3_mT4_P12ihipStream_tbEUlT_E0_NS1_11comp_targetILNS1_3genE9ELNS1_11target_archE1100ELNS1_3gpuE3ELNS1_3repE0EEENS1_30default_config_static_selectorELNS0_4arch9wavefront6targetE1EEEvS17_.numbered_sgpr, 0
	.set _ZN7rocprim17ROCPRIM_400000_NS6detail17trampoline_kernelINS0_14default_configENS1_22reduce_config_selectorIN6thrust23THRUST_200600_302600_NS5tupleIblNS6_9null_typeES8_S8_S8_S8_S8_S8_S8_EEEEZNS1_11reduce_implILb1ES3_NS6_12zip_iteratorINS7_INS6_11hip_rocprim26transform_input_iterator_tIbPaNS6_6detail10functional5actorINSH_9compositeIJNSH_27transparent_binary_operatorINS6_8equal_toIvEEEENSI_INSH_8argumentILj0EEEEENSH_5valueIaEEEEEEEEENSD_19counting_iterator_tIlEES8_S8_S8_S8_S8_S8_S8_S8_EEEEPS9_S9_NSD_9__find_if7functorIS9_EEEE10hipError_tPvRmT1_T2_T3_mT4_P12ihipStream_tbEUlT_E0_NS1_11comp_targetILNS1_3genE9ELNS1_11target_archE1100ELNS1_3gpuE3ELNS1_3repE0EEENS1_30default_config_static_selectorELNS0_4arch9wavefront6targetE1EEEvS17_.num_named_barrier, 0
	.set _ZN7rocprim17ROCPRIM_400000_NS6detail17trampoline_kernelINS0_14default_configENS1_22reduce_config_selectorIN6thrust23THRUST_200600_302600_NS5tupleIblNS6_9null_typeES8_S8_S8_S8_S8_S8_S8_EEEEZNS1_11reduce_implILb1ES3_NS6_12zip_iteratorINS7_INS6_11hip_rocprim26transform_input_iterator_tIbPaNS6_6detail10functional5actorINSH_9compositeIJNSH_27transparent_binary_operatorINS6_8equal_toIvEEEENSI_INSH_8argumentILj0EEEEENSH_5valueIaEEEEEEEEENSD_19counting_iterator_tIlEES8_S8_S8_S8_S8_S8_S8_S8_EEEEPS9_S9_NSD_9__find_if7functorIS9_EEEE10hipError_tPvRmT1_T2_T3_mT4_P12ihipStream_tbEUlT_E0_NS1_11comp_targetILNS1_3genE9ELNS1_11target_archE1100ELNS1_3gpuE3ELNS1_3repE0EEENS1_30default_config_static_selectorELNS0_4arch9wavefront6targetE1EEEvS17_.private_seg_size, 0
	.set _ZN7rocprim17ROCPRIM_400000_NS6detail17trampoline_kernelINS0_14default_configENS1_22reduce_config_selectorIN6thrust23THRUST_200600_302600_NS5tupleIblNS6_9null_typeES8_S8_S8_S8_S8_S8_S8_EEEEZNS1_11reduce_implILb1ES3_NS6_12zip_iteratorINS7_INS6_11hip_rocprim26transform_input_iterator_tIbPaNS6_6detail10functional5actorINSH_9compositeIJNSH_27transparent_binary_operatorINS6_8equal_toIvEEEENSI_INSH_8argumentILj0EEEEENSH_5valueIaEEEEEEEEENSD_19counting_iterator_tIlEES8_S8_S8_S8_S8_S8_S8_S8_EEEEPS9_S9_NSD_9__find_if7functorIS9_EEEE10hipError_tPvRmT1_T2_T3_mT4_P12ihipStream_tbEUlT_E0_NS1_11comp_targetILNS1_3genE9ELNS1_11target_archE1100ELNS1_3gpuE3ELNS1_3repE0EEENS1_30default_config_static_selectorELNS0_4arch9wavefront6targetE1EEEvS17_.uses_vcc, 0
	.set _ZN7rocprim17ROCPRIM_400000_NS6detail17trampoline_kernelINS0_14default_configENS1_22reduce_config_selectorIN6thrust23THRUST_200600_302600_NS5tupleIblNS6_9null_typeES8_S8_S8_S8_S8_S8_S8_EEEEZNS1_11reduce_implILb1ES3_NS6_12zip_iteratorINS7_INS6_11hip_rocprim26transform_input_iterator_tIbPaNS6_6detail10functional5actorINSH_9compositeIJNSH_27transparent_binary_operatorINS6_8equal_toIvEEEENSI_INSH_8argumentILj0EEEEENSH_5valueIaEEEEEEEEENSD_19counting_iterator_tIlEES8_S8_S8_S8_S8_S8_S8_S8_EEEEPS9_S9_NSD_9__find_if7functorIS9_EEEE10hipError_tPvRmT1_T2_T3_mT4_P12ihipStream_tbEUlT_E0_NS1_11comp_targetILNS1_3genE9ELNS1_11target_archE1100ELNS1_3gpuE3ELNS1_3repE0EEENS1_30default_config_static_selectorELNS0_4arch9wavefront6targetE1EEEvS17_.uses_flat_scratch, 0
	.set _ZN7rocprim17ROCPRIM_400000_NS6detail17trampoline_kernelINS0_14default_configENS1_22reduce_config_selectorIN6thrust23THRUST_200600_302600_NS5tupleIblNS6_9null_typeES8_S8_S8_S8_S8_S8_S8_EEEEZNS1_11reduce_implILb1ES3_NS6_12zip_iteratorINS7_INS6_11hip_rocprim26transform_input_iterator_tIbPaNS6_6detail10functional5actorINSH_9compositeIJNSH_27transparent_binary_operatorINS6_8equal_toIvEEEENSI_INSH_8argumentILj0EEEEENSH_5valueIaEEEEEEEEENSD_19counting_iterator_tIlEES8_S8_S8_S8_S8_S8_S8_S8_EEEEPS9_S9_NSD_9__find_if7functorIS9_EEEE10hipError_tPvRmT1_T2_T3_mT4_P12ihipStream_tbEUlT_E0_NS1_11comp_targetILNS1_3genE9ELNS1_11target_archE1100ELNS1_3gpuE3ELNS1_3repE0EEENS1_30default_config_static_selectorELNS0_4arch9wavefront6targetE1EEEvS17_.has_dyn_sized_stack, 0
	.set _ZN7rocprim17ROCPRIM_400000_NS6detail17trampoline_kernelINS0_14default_configENS1_22reduce_config_selectorIN6thrust23THRUST_200600_302600_NS5tupleIblNS6_9null_typeES8_S8_S8_S8_S8_S8_S8_EEEEZNS1_11reduce_implILb1ES3_NS6_12zip_iteratorINS7_INS6_11hip_rocprim26transform_input_iterator_tIbPaNS6_6detail10functional5actorINSH_9compositeIJNSH_27transparent_binary_operatorINS6_8equal_toIvEEEENSI_INSH_8argumentILj0EEEEENSH_5valueIaEEEEEEEEENSD_19counting_iterator_tIlEES8_S8_S8_S8_S8_S8_S8_S8_EEEEPS9_S9_NSD_9__find_if7functorIS9_EEEE10hipError_tPvRmT1_T2_T3_mT4_P12ihipStream_tbEUlT_E0_NS1_11comp_targetILNS1_3genE9ELNS1_11target_archE1100ELNS1_3gpuE3ELNS1_3repE0EEENS1_30default_config_static_selectorELNS0_4arch9wavefront6targetE1EEEvS17_.has_recursion, 0
	.set _ZN7rocprim17ROCPRIM_400000_NS6detail17trampoline_kernelINS0_14default_configENS1_22reduce_config_selectorIN6thrust23THRUST_200600_302600_NS5tupleIblNS6_9null_typeES8_S8_S8_S8_S8_S8_S8_EEEEZNS1_11reduce_implILb1ES3_NS6_12zip_iteratorINS7_INS6_11hip_rocprim26transform_input_iterator_tIbPaNS6_6detail10functional5actorINSH_9compositeIJNSH_27transparent_binary_operatorINS6_8equal_toIvEEEENSI_INSH_8argumentILj0EEEEENSH_5valueIaEEEEEEEEENSD_19counting_iterator_tIlEES8_S8_S8_S8_S8_S8_S8_S8_EEEEPS9_S9_NSD_9__find_if7functorIS9_EEEE10hipError_tPvRmT1_T2_T3_mT4_P12ihipStream_tbEUlT_E0_NS1_11comp_targetILNS1_3genE9ELNS1_11target_archE1100ELNS1_3gpuE3ELNS1_3repE0EEENS1_30default_config_static_selectorELNS0_4arch9wavefront6targetE1EEEvS17_.has_indirect_call, 0
	.section	.AMDGPU.csdata,"",@progbits
; Kernel info:
; codeLenInByte = 0
; TotalNumSgprs: 4
; NumVgprs: 0
; ScratchSize: 0
; MemoryBound: 0
; FloatMode: 240
; IeeeMode: 1
; LDSByteSize: 0 bytes/workgroup (compile time only)
; SGPRBlocks: 0
; VGPRBlocks: 0
; NumSGPRsForWavesPerEU: 4
; NumVGPRsForWavesPerEU: 1
; Occupancy: 10
; WaveLimiterHint : 0
; COMPUTE_PGM_RSRC2:SCRATCH_EN: 0
; COMPUTE_PGM_RSRC2:USER_SGPR: 6
; COMPUTE_PGM_RSRC2:TRAP_HANDLER: 0
; COMPUTE_PGM_RSRC2:TGID_X_EN: 1
; COMPUTE_PGM_RSRC2:TGID_Y_EN: 0
; COMPUTE_PGM_RSRC2:TGID_Z_EN: 0
; COMPUTE_PGM_RSRC2:TIDIG_COMP_CNT: 0
	.section	.text._ZN7rocprim17ROCPRIM_400000_NS6detail17trampoline_kernelINS0_14default_configENS1_22reduce_config_selectorIN6thrust23THRUST_200600_302600_NS5tupleIblNS6_9null_typeES8_S8_S8_S8_S8_S8_S8_EEEEZNS1_11reduce_implILb1ES3_NS6_12zip_iteratorINS7_INS6_11hip_rocprim26transform_input_iterator_tIbPaNS6_6detail10functional5actorINSH_9compositeIJNSH_27transparent_binary_operatorINS6_8equal_toIvEEEENSI_INSH_8argumentILj0EEEEENSH_5valueIaEEEEEEEEENSD_19counting_iterator_tIlEES8_S8_S8_S8_S8_S8_S8_S8_EEEEPS9_S9_NSD_9__find_if7functorIS9_EEEE10hipError_tPvRmT1_T2_T3_mT4_P12ihipStream_tbEUlT_E0_NS1_11comp_targetILNS1_3genE8ELNS1_11target_archE1030ELNS1_3gpuE2ELNS1_3repE0EEENS1_30default_config_static_selectorELNS0_4arch9wavefront6targetE1EEEvS17_,"axG",@progbits,_ZN7rocprim17ROCPRIM_400000_NS6detail17trampoline_kernelINS0_14default_configENS1_22reduce_config_selectorIN6thrust23THRUST_200600_302600_NS5tupleIblNS6_9null_typeES8_S8_S8_S8_S8_S8_S8_EEEEZNS1_11reduce_implILb1ES3_NS6_12zip_iteratorINS7_INS6_11hip_rocprim26transform_input_iterator_tIbPaNS6_6detail10functional5actorINSH_9compositeIJNSH_27transparent_binary_operatorINS6_8equal_toIvEEEENSI_INSH_8argumentILj0EEEEENSH_5valueIaEEEEEEEEENSD_19counting_iterator_tIlEES8_S8_S8_S8_S8_S8_S8_S8_EEEEPS9_S9_NSD_9__find_if7functorIS9_EEEE10hipError_tPvRmT1_T2_T3_mT4_P12ihipStream_tbEUlT_E0_NS1_11comp_targetILNS1_3genE8ELNS1_11target_archE1030ELNS1_3gpuE2ELNS1_3repE0EEENS1_30default_config_static_selectorELNS0_4arch9wavefront6targetE1EEEvS17_,comdat
	.protected	_ZN7rocprim17ROCPRIM_400000_NS6detail17trampoline_kernelINS0_14default_configENS1_22reduce_config_selectorIN6thrust23THRUST_200600_302600_NS5tupleIblNS6_9null_typeES8_S8_S8_S8_S8_S8_S8_EEEEZNS1_11reduce_implILb1ES3_NS6_12zip_iteratorINS7_INS6_11hip_rocprim26transform_input_iterator_tIbPaNS6_6detail10functional5actorINSH_9compositeIJNSH_27transparent_binary_operatorINS6_8equal_toIvEEEENSI_INSH_8argumentILj0EEEEENSH_5valueIaEEEEEEEEENSD_19counting_iterator_tIlEES8_S8_S8_S8_S8_S8_S8_S8_EEEEPS9_S9_NSD_9__find_if7functorIS9_EEEE10hipError_tPvRmT1_T2_T3_mT4_P12ihipStream_tbEUlT_E0_NS1_11comp_targetILNS1_3genE8ELNS1_11target_archE1030ELNS1_3gpuE2ELNS1_3repE0EEENS1_30default_config_static_selectorELNS0_4arch9wavefront6targetE1EEEvS17_ ; -- Begin function _ZN7rocprim17ROCPRIM_400000_NS6detail17trampoline_kernelINS0_14default_configENS1_22reduce_config_selectorIN6thrust23THRUST_200600_302600_NS5tupleIblNS6_9null_typeES8_S8_S8_S8_S8_S8_S8_EEEEZNS1_11reduce_implILb1ES3_NS6_12zip_iteratorINS7_INS6_11hip_rocprim26transform_input_iterator_tIbPaNS6_6detail10functional5actorINSH_9compositeIJNSH_27transparent_binary_operatorINS6_8equal_toIvEEEENSI_INSH_8argumentILj0EEEEENSH_5valueIaEEEEEEEEENSD_19counting_iterator_tIlEES8_S8_S8_S8_S8_S8_S8_S8_EEEEPS9_S9_NSD_9__find_if7functorIS9_EEEE10hipError_tPvRmT1_T2_T3_mT4_P12ihipStream_tbEUlT_E0_NS1_11comp_targetILNS1_3genE8ELNS1_11target_archE1030ELNS1_3gpuE2ELNS1_3repE0EEENS1_30default_config_static_selectorELNS0_4arch9wavefront6targetE1EEEvS17_
	.globl	_ZN7rocprim17ROCPRIM_400000_NS6detail17trampoline_kernelINS0_14default_configENS1_22reduce_config_selectorIN6thrust23THRUST_200600_302600_NS5tupleIblNS6_9null_typeES8_S8_S8_S8_S8_S8_S8_EEEEZNS1_11reduce_implILb1ES3_NS6_12zip_iteratorINS7_INS6_11hip_rocprim26transform_input_iterator_tIbPaNS6_6detail10functional5actorINSH_9compositeIJNSH_27transparent_binary_operatorINS6_8equal_toIvEEEENSI_INSH_8argumentILj0EEEEENSH_5valueIaEEEEEEEEENSD_19counting_iterator_tIlEES8_S8_S8_S8_S8_S8_S8_S8_EEEEPS9_S9_NSD_9__find_if7functorIS9_EEEE10hipError_tPvRmT1_T2_T3_mT4_P12ihipStream_tbEUlT_E0_NS1_11comp_targetILNS1_3genE8ELNS1_11target_archE1030ELNS1_3gpuE2ELNS1_3repE0EEENS1_30default_config_static_selectorELNS0_4arch9wavefront6targetE1EEEvS17_
	.p2align	8
	.type	_ZN7rocprim17ROCPRIM_400000_NS6detail17trampoline_kernelINS0_14default_configENS1_22reduce_config_selectorIN6thrust23THRUST_200600_302600_NS5tupleIblNS6_9null_typeES8_S8_S8_S8_S8_S8_S8_EEEEZNS1_11reduce_implILb1ES3_NS6_12zip_iteratorINS7_INS6_11hip_rocprim26transform_input_iterator_tIbPaNS6_6detail10functional5actorINSH_9compositeIJNSH_27transparent_binary_operatorINS6_8equal_toIvEEEENSI_INSH_8argumentILj0EEEEENSH_5valueIaEEEEEEEEENSD_19counting_iterator_tIlEES8_S8_S8_S8_S8_S8_S8_S8_EEEEPS9_S9_NSD_9__find_if7functorIS9_EEEE10hipError_tPvRmT1_T2_T3_mT4_P12ihipStream_tbEUlT_E0_NS1_11comp_targetILNS1_3genE8ELNS1_11target_archE1030ELNS1_3gpuE2ELNS1_3repE0EEENS1_30default_config_static_selectorELNS0_4arch9wavefront6targetE1EEEvS17_,@function
_ZN7rocprim17ROCPRIM_400000_NS6detail17trampoline_kernelINS0_14default_configENS1_22reduce_config_selectorIN6thrust23THRUST_200600_302600_NS5tupleIblNS6_9null_typeES8_S8_S8_S8_S8_S8_S8_EEEEZNS1_11reduce_implILb1ES3_NS6_12zip_iteratorINS7_INS6_11hip_rocprim26transform_input_iterator_tIbPaNS6_6detail10functional5actorINSH_9compositeIJNSH_27transparent_binary_operatorINS6_8equal_toIvEEEENSI_INSH_8argumentILj0EEEEENSH_5valueIaEEEEEEEEENSD_19counting_iterator_tIlEES8_S8_S8_S8_S8_S8_S8_S8_EEEEPS9_S9_NSD_9__find_if7functorIS9_EEEE10hipError_tPvRmT1_T2_T3_mT4_P12ihipStream_tbEUlT_E0_NS1_11comp_targetILNS1_3genE8ELNS1_11target_archE1030ELNS1_3gpuE2ELNS1_3repE0EEENS1_30default_config_static_selectorELNS0_4arch9wavefront6targetE1EEEvS17_: ; @_ZN7rocprim17ROCPRIM_400000_NS6detail17trampoline_kernelINS0_14default_configENS1_22reduce_config_selectorIN6thrust23THRUST_200600_302600_NS5tupleIblNS6_9null_typeES8_S8_S8_S8_S8_S8_S8_EEEEZNS1_11reduce_implILb1ES3_NS6_12zip_iteratorINS7_INS6_11hip_rocprim26transform_input_iterator_tIbPaNS6_6detail10functional5actorINSH_9compositeIJNSH_27transparent_binary_operatorINS6_8equal_toIvEEEENSI_INSH_8argumentILj0EEEEENSH_5valueIaEEEEEEEEENSD_19counting_iterator_tIlEES8_S8_S8_S8_S8_S8_S8_S8_EEEEPS9_S9_NSD_9__find_if7functorIS9_EEEE10hipError_tPvRmT1_T2_T3_mT4_P12ihipStream_tbEUlT_E0_NS1_11comp_targetILNS1_3genE8ELNS1_11target_archE1030ELNS1_3gpuE2ELNS1_3repE0EEENS1_30default_config_static_selectorELNS0_4arch9wavefront6targetE1EEEvS17_
; %bb.0:
	.section	.rodata,"a",@progbits
	.p2align	6, 0x0
	.amdhsa_kernel _ZN7rocprim17ROCPRIM_400000_NS6detail17trampoline_kernelINS0_14default_configENS1_22reduce_config_selectorIN6thrust23THRUST_200600_302600_NS5tupleIblNS6_9null_typeES8_S8_S8_S8_S8_S8_S8_EEEEZNS1_11reduce_implILb1ES3_NS6_12zip_iteratorINS7_INS6_11hip_rocprim26transform_input_iterator_tIbPaNS6_6detail10functional5actorINSH_9compositeIJNSH_27transparent_binary_operatorINS6_8equal_toIvEEEENSI_INSH_8argumentILj0EEEEENSH_5valueIaEEEEEEEEENSD_19counting_iterator_tIlEES8_S8_S8_S8_S8_S8_S8_S8_EEEEPS9_S9_NSD_9__find_if7functorIS9_EEEE10hipError_tPvRmT1_T2_T3_mT4_P12ihipStream_tbEUlT_E0_NS1_11comp_targetILNS1_3genE8ELNS1_11target_archE1030ELNS1_3gpuE2ELNS1_3repE0EEENS1_30default_config_static_selectorELNS0_4arch9wavefront6targetE1EEEvS17_
		.amdhsa_group_segment_fixed_size 0
		.amdhsa_private_segment_fixed_size 0
		.amdhsa_kernarg_size 88
		.amdhsa_user_sgpr_count 6
		.amdhsa_user_sgpr_private_segment_buffer 1
		.amdhsa_user_sgpr_dispatch_ptr 0
		.amdhsa_user_sgpr_queue_ptr 0
		.amdhsa_user_sgpr_kernarg_segment_ptr 1
		.amdhsa_user_sgpr_dispatch_id 0
		.amdhsa_user_sgpr_flat_scratch_init 0
		.amdhsa_user_sgpr_private_segment_size 0
		.amdhsa_uses_dynamic_stack 0
		.amdhsa_system_sgpr_private_segment_wavefront_offset 0
		.amdhsa_system_sgpr_workgroup_id_x 1
		.amdhsa_system_sgpr_workgroup_id_y 0
		.amdhsa_system_sgpr_workgroup_id_z 0
		.amdhsa_system_sgpr_workgroup_info 0
		.amdhsa_system_vgpr_workitem_id 0
		.amdhsa_next_free_vgpr 1
		.amdhsa_next_free_sgpr 0
		.amdhsa_reserve_vcc 0
		.amdhsa_reserve_flat_scratch 0
		.amdhsa_float_round_mode_32 0
		.amdhsa_float_round_mode_16_64 0
		.amdhsa_float_denorm_mode_32 3
		.amdhsa_float_denorm_mode_16_64 3
		.amdhsa_dx10_clamp 1
		.amdhsa_ieee_mode 1
		.amdhsa_fp16_overflow 0
		.amdhsa_exception_fp_ieee_invalid_op 0
		.amdhsa_exception_fp_denorm_src 0
		.amdhsa_exception_fp_ieee_div_zero 0
		.amdhsa_exception_fp_ieee_overflow 0
		.amdhsa_exception_fp_ieee_underflow 0
		.amdhsa_exception_fp_ieee_inexact 0
		.amdhsa_exception_int_div_zero 0
	.end_amdhsa_kernel
	.section	.text._ZN7rocprim17ROCPRIM_400000_NS6detail17trampoline_kernelINS0_14default_configENS1_22reduce_config_selectorIN6thrust23THRUST_200600_302600_NS5tupleIblNS6_9null_typeES8_S8_S8_S8_S8_S8_S8_EEEEZNS1_11reduce_implILb1ES3_NS6_12zip_iteratorINS7_INS6_11hip_rocprim26transform_input_iterator_tIbPaNS6_6detail10functional5actorINSH_9compositeIJNSH_27transparent_binary_operatorINS6_8equal_toIvEEEENSI_INSH_8argumentILj0EEEEENSH_5valueIaEEEEEEEEENSD_19counting_iterator_tIlEES8_S8_S8_S8_S8_S8_S8_S8_EEEEPS9_S9_NSD_9__find_if7functorIS9_EEEE10hipError_tPvRmT1_T2_T3_mT4_P12ihipStream_tbEUlT_E0_NS1_11comp_targetILNS1_3genE8ELNS1_11target_archE1030ELNS1_3gpuE2ELNS1_3repE0EEENS1_30default_config_static_selectorELNS0_4arch9wavefront6targetE1EEEvS17_,"axG",@progbits,_ZN7rocprim17ROCPRIM_400000_NS6detail17trampoline_kernelINS0_14default_configENS1_22reduce_config_selectorIN6thrust23THRUST_200600_302600_NS5tupleIblNS6_9null_typeES8_S8_S8_S8_S8_S8_S8_EEEEZNS1_11reduce_implILb1ES3_NS6_12zip_iteratorINS7_INS6_11hip_rocprim26transform_input_iterator_tIbPaNS6_6detail10functional5actorINSH_9compositeIJNSH_27transparent_binary_operatorINS6_8equal_toIvEEEENSI_INSH_8argumentILj0EEEEENSH_5valueIaEEEEEEEEENSD_19counting_iterator_tIlEES8_S8_S8_S8_S8_S8_S8_S8_EEEEPS9_S9_NSD_9__find_if7functorIS9_EEEE10hipError_tPvRmT1_T2_T3_mT4_P12ihipStream_tbEUlT_E0_NS1_11comp_targetILNS1_3genE8ELNS1_11target_archE1030ELNS1_3gpuE2ELNS1_3repE0EEENS1_30default_config_static_selectorELNS0_4arch9wavefront6targetE1EEEvS17_,comdat
.Lfunc_end716:
	.size	_ZN7rocprim17ROCPRIM_400000_NS6detail17trampoline_kernelINS0_14default_configENS1_22reduce_config_selectorIN6thrust23THRUST_200600_302600_NS5tupleIblNS6_9null_typeES8_S8_S8_S8_S8_S8_S8_EEEEZNS1_11reduce_implILb1ES3_NS6_12zip_iteratorINS7_INS6_11hip_rocprim26transform_input_iterator_tIbPaNS6_6detail10functional5actorINSH_9compositeIJNSH_27transparent_binary_operatorINS6_8equal_toIvEEEENSI_INSH_8argumentILj0EEEEENSH_5valueIaEEEEEEEEENSD_19counting_iterator_tIlEES8_S8_S8_S8_S8_S8_S8_S8_EEEEPS9_S9_NSD_9__find_if7functorIS9_EEEE10hipError_tPvRmT1_T2_T3_mT4_P12ihipStream_tbEUlT_E0_NS1_11comp_targetILNS1_3genE8ELNS1_11target_archE1030ELNS1_3gpuE2ELNS1_3repE0EEENS1_30default_config_static_selectorELNS0_4arch9wavefront6targetE1EEEvS17_, .Lfunc_end716-_ZN7rocprim17ROCPRIM_400000_NS6detail17trampoline_kernelINS0_14default_configENS1_22reduce_config_selectorIN6thrust23THRUST_200600_302600_NS5tupleIblNS6_9null_typeES8_S8_S8_S8_S8_S8_S8_EEEEZNS1_11reduce_implILb1ES3_NS6_12zip_iteratorINS7_INS6_11hip_rocprim26transform_input_iterator_tIbPaNS6_6detail10functional5actorINSH_9compositeIJNSH_27transparent_binary_operatorINS6_8equal_toIvEEEENSI_INSH_8argumentILj0EEEEENSH_5valueIaEEEEEEEEENSD_19counting_iterator_tIlEES8_S8_S8_S8_S8_S8_S8_S8_EEEEPS9_S9_NSD_9__find_if7functorIS9_EEEE10hipError_tPvRmT1_T2_T3_mT4_P12ihipStream_tbEUlT_E0_NS1_11comp_targetILNS1_3genE8ELNS1_11target_archE1030ELNS1_3gpuE2ELNS1_3repE0EEENS1_30default_config_static_selectorELNS0_4arch9wavefront6targetE1EEEvS17_
                                        ; -- End function
	.set _ZN7rocprim17ROCPRIM_400000_NS6detail17trampoline_kernelINS0_14default_configENS1_22reduce_config_selectorIN6thrust23THRUST_200600_302600_NS5tupleIblNS6_9null_typeES8_S8_S8_S8_S8_S8_S8_EEEEZNS1_11reduce_implILb1ES3_NS6_12zip_iteratorINS7_INS6_11hip_rocprim26transform_input_iterator_tIbPaNS6_6detail10functional5actorINSH_9compositeIJNSH_27transparent_binary_operatorINS6_8equal_toIvEEEENSI_INSH_8argumentILj0EEEEENSH_5valueIaEEEEEEEEENSD_19counting_iterator_tIlEES8_S8_S8_S8_S8_S8_S8_S8_EEEEPS9_S9_NSD_9__find_if7functorIS9_EEEE10hipError_tPvRmT1_T2_T3_mT4_P12ihipStream_tbEUlT_E0_NS1_11comp_targetILNS1_3genE8ELNS1_11target_archE1030ELNS1_3gpuE2ELNS1_3repE0EEENS1_30default_config_static_selectorELNS0_4arch9wavefront6targetE1EEEvS17_.num_vgpr, 0
	.set _ZN7rocprim17ROCPRIM_400000_NS6detail17trampoline_kernelINS0_14default_configENS1_22reduce_config_selectorIN6thrust23THRUST_200600_302600_NS5tupleIblNS6_9null_typeES8_S8_S8_S8_S8_S8_S8_EEEEZNS1_11reduce_implILb1ES3_NS6_12zip_iteratorINS7_INS6_11hip_rocprim26transform_input_iterator_tIbPaNS6_6detail10functional5actorINSH_9compositeIJNSH_27transparent_binary_operatorINS6_8equal_toIvEEEENSI_INSH_8argumentILj0EEEEENSH_5valueIaEEEEEEEEENSD_19counting_iterator_tIlEES8_S8_S8_S8_S8_S8_S8_S8_EEEEPS9_S9_NSD_9__find_if7functorIS9_EEEE10hipError_tPvRmT1_T2_T3_mT4_P12ihipStream_tbEUlT_E0_NS1_11comp_targetILNS1_3genE8ELNS1_11target_archE1030ELNS1_3gpuE2ELNS1_3repE0EEENS1_30default_config_static_selectorELNS0_4arch9wavefront6targetE1EEEvS17_.num_agpr, 0
	.set _ZN7rocprim17ROCPRIM_400000_NS6detail17trampoline_kernelINS0_14default_configENS1_22reduce_config_selectorIN6thrust23THRUST_200600_302600_NS5tupleIblNS6_9null_typeES8_S8_S8_S8_S8_S8_S8_EEEEZNS1_11reduce_implILb1ES3_NS6_12zip_iteratorINS7_INS6_11hip_rocprim26transform_input_iterator_tIbPaNS6_6detail10functional5actorINSH_9compositeIJNSH_27transparent_binary_operatorINS6_8equal_toIvEEEENSI_INSH_8argumentILj0EEEEENSH_5valueIaEEEEEEEEENSD_19counting_iterator_tIlEES8_S8_S8_S8_S8_S8_S8_S8_EEEEPS9_S9_NSD_9__find_if7functorIS9_EEEE10hipError_tPvRmT1_T2_T3_mT4_P12ihipStream_tbEUlT_E0_NS1_11comp_targetILNS1_3genE8ELNS1_11target_archE1030ELNS1_3gpuE2ELNS1_3repE0EEENS1_30default_config_static_selectorELNS0_4arch9wavefront6targetE1EEEvS17_.numbered_sgpr, 0
	.set _ZN7rocprim17ROCPRIM_400000_NS6detail17trampoline_kernelINS0_14default_configENS1_22reduce_config_selectorIN6thrust23THRUST_200600_302600_NS5tupleIblNS6_9null_typeES8_S8_S8_S8_S8_S8_S8_EEEEZNS1_11reduce_implILb1ES3_NS6_12zip_iteratorINS7_INS6_11hip_rocprim26transform_input_iterator_tIbPaNS6_6detail10functional5actorINSH_9compositeIJNSH_27transparent_binary_operatorINS6_8equal_toIvEEEENSI_INSH_8argumentILj0EEEEENSH_5valueIaEEEEEEEEENSD_19counting_iterator_tIlEES8_S8_S8_S8_S8_S8_S8_S8_EEEEPS9_S9_NSD_9__find_if7functorIS9_EEEE10hipError_tPvRmT1_T2_T3_mT4_P12ihipStream_tbEUlT_E0_NS1_11comp_targetILNS1_3genE8ELNS1_11target_archE1030ELNS1_3gpuE2ELNS1_3repE0EEENS1_30default_config_static_selectorELNS0_4arch9wavefront6targetE1EEEvS17_.num_named_barrier, 0
	.set _ZN7rocprim17ROCPRIM_400000_NS6detail17trampoline_kernelINS0_14default_configENS1_22reduce_config_selectorIN6thrust23THRUST_200600_302600_NS5tupleIblNS6_9null_typeES8_S8_S8_S8_S8_S8_S8_EEEEZNS1_11reduce_implILb1ES3_NS6_12zip_iteratorINS7_INS6_11hip_rocprim26transform_input_iterator_tIbPaNS6_6detail10functional5actorINSH_9compositeIJNSH_27transparent_binary_operatorINS6_8equal_toIvEEEENSI_INSH_8argumentILj0EEEEENSH_5valueIaEEEEEEEEENSD_19counting_iterator_tIlEES8_S8_S8_S8_S8_S8_S8_S8_EEEEPS9_S9_NSD_9__find_if7functorIS9_EEEE10hipError_tPvRmT1_T2_T3_mT4_P12ihipStream_tbEUlT_E0_NS1_11comp_targetILNS1_3genE8ELNS1_11target_archE1030ELNS1_3gpuE2ELNS1_3repE0EEENS1_30default_config_static_selectorELNS0_4arch9wavefront6targetE1EEEvS17_.private_seg_size, 0
	.set _ZN7rocprim17ROCPRIM_400000_NS6detail17trampoline_kernelINS0_14default_configENS1_22reduce_config_selectorIN6thrust23THRUST_200600_302600_NS5tupleIblNS6_9null_typeES8_S8_S8_S8_S8_S8_S8_EEEEZNS1_11reduce_implILb1ES3_NS6_12zip_iteratorINS7_INS6_11hip_rocprim26transform_input_iterator_tIbPaNS6_6detail10functional5actorINSH_9compositeIJNSH_27transparent_binary_operatorINS6_8equal_toIvEEEENSI_INSH_8argumentILj0EEEEENSH_5valueIaEEEEEEEEENSD_19counting_iterator_tIlEES8_S8_S8_S8_S8_S8_S8_S8_EEEEPS9_S9_NSD_9__find_if7functorIS9_EEEE10hipError_tPvRmT1_T2_T3_mT4_P12ihipStream_tbEUlT_E0_NS1_11comp_targetILNS1_3genE8ELNS1_11target_archE1030ELNS1_3gpuE2ELNS1_3repE0EEENS1_30default_config_static_selectorELNS0_4arch9wavefront6targetE1EEEvS17_.uses_vcc, 0
	.set _ZN7rocprim17ROCPRIM_400000_NS6detail17trampoline_kernelINS0_14default_configENS1_22reduce_config_selectorIN6thrust23THRUST_200600_302600_NS5tupleIblNS6_9null_typeES8_S8_S8_S8_S8_S8_S8_EEEEZNS1_11reduce_implILb1ES3_NS6_12zip_iteratorINS7_INS6_11hip_rocprim26transform_input_iterator_tIbPaNS6_6detail10functional5actorINSH_9compositeIJNSH_27transparent_binary_operatorINS6_8equal_toIvEEEENSI_INSH_8argumentILj0EEEEENSH_5valueIaEEEEEEEEENSD_19counting_iterator_tIlEES8_S8_S8_S8_S8_S8_S8_S8_EEEEPS9_S9_NSD_9__find_if7functorIS9_EEEE10hipError_tPvRmT1_T2_T3_mT4_P12ihipStream_tbEUlT_E0_NS1_11comp_targetILNS1_3genE8ELNS1_11target_archE1030ELNS1_3gpuE2ELNS1_3repE0EEENS1_30default_config_static_selectorELNS0_4arch9wavefront6targetE1EEEvS17_.uses_flat_scratch, 0
	.set _ZN7rocprim17ROCPRIM_400000_NS6detail17trampoline_kernelINS0_14default_configENS1_22reduce_config_selectorIN6thrust23THRUST_200600_302600_NS5tupleIblNS6_9null_typeES8_S8_S8_S8_S8_S8_S8_EEEEZNS1_11reduce_implILb1ES3_NS6_12zip_iteratorINS7_INS6_11hip_rocprim26transform_input_iterator_tIbPaNS6_6detail10functional5actorINSH_9compositeIJNSH_27transparent_binary_operatorINS6_8equal_toIvEEEENSI_INSH_8argumentILj0EEEEENSH_5valueIaEEEEEEEEENSD_19counting_iterator_tIlEES8_S8_S8_S8_S8_S8_S8_S8_EEEEPS9_S9_NSD_9__find_if7functorIS9_EEEE10hipError_tPvRmT1_T2_T3_mT4_P12ihipStream_tbEUlT_E0_NS1_11comp_targetILNS1_3genE8ELNS1_11target_archE1030ELNS1_3gpuE2ELNS1_3repE0EEENS1_30default_config_static_selectorELNS0_4arch9wavefront6targetE1EEEvS17_.has_dyn_sized_stack, 0
	.set _ZN7rocprim17ROCPRIM_400000_NS6detail17trampoline_kernelINS0_14default_configENS1_22reduce_config_selectorIN6thrust23THRUST_200600_302600_NS5tupleIblNS6_9null_typeES8_S8_S8_S8_S8_S8_S8_EEEEZNS1_11reduce_implILb1ES3_NS6_12zip_iteratorINS7_INS6_11hip_rocprim26transform_input_iterator_tIbPaNS6_6detail10functional5actorINSH_9compositeIJNSH_27transparent_binary_operatorINS6_8equal_toIvEEEENSI_INSH_8argumentILj0EEEEENSH_5valueIaEEEEEEEEENSD_19counting_iterator_tIlEES8_S8_S8_S8_S8_S8_S8_S8_EEEEPS9_S9_NSD_9__find_if7functorIS9_EEEE10hipError_tPvRmT1_T2_T3_mT4_P12ihipStream_tbEUlT_E0_NS1_11comp_targetILNS1_3genE8ELNS1_11target_archE1030ELNS1_3gpuE2ELNS1_3repE0EEENS1_30default_config_static_selectorELNS0_4arch9wavefront6targetE1EEEvS17_.has_recursion, 0
	.set _ZN7rocprim17ROCPRIM_400000_NS6detail17trampoline_kernelINS0_14default_configENS1_22reduce_config_selectorIN6thrust23THRUST_200600_302600_NS5tupleIblNS6_9null_typeES8_S8_S8_S8_S8_S8_S8_EEEEZNS1_11reduce_implILb1ES3_NS6_12zip_iteratorINS7_INS6_11hip_rocprim26transform_input_iterator_tIbPaNS6_6detail10functional5actorINSH_9compositeIJNSH_27transparent_binary_operatorINS6_8equal_toIvEEEENSI_INSH_8argumentILj0EEEEENSH_5valueIaEEEEEEEEENSD_19counting_iterator_tIlEES8_S8_S8_S8_S8_S8_S8_S8_EEEEPS9_S9_NSD_9__find_if7functorIS9_EEEE10hipError_tPvRmT1_T2_T3_mT4_P12ihipStream_tbEUlT_E0_NS1_11comp_targetILNS1_3genE8ELNS1_11target_archE1030ELNS1_3gpuE2ELNS1_3repE0EEENS1_30default_config_static_selectorELNS0_4arch9wavefront6targetE1EEEvS17_.has_indirect_call, 0
	.section	.AMDGPU.csdata,"",@progbits
; Kernel info:
; codeLenInByte = 0
; TotalNumSgprs: 4
; NumVgprs: 0
; ScratchSize: 0
; MemoryBound: 0
; FloatMode: 240
; IeeeMode: 1
; LDSByteSize: 0 bytes/workgroup (compile time only)
; SGPRBlocks: 0
; VGPRBlocks: 0
; NumSGPRsForWavesPerEU: 4
; NumVGPRsForWavesPerEU: 1
; Occupancy: 10
; WaveLimiterHint : 0
; COMPUTE_PGM_RSRC2:SCRATCH_EN: 0
; COMPUTE_PGM_RSRC2:USER_SGPR: 6
; COMPUTE_PGM_RSRC2:TRAP_HANDLER: 0
; COMPUTE_PGM_RSRC2:TGID_X_EN: 1
; COMPUTE_PGM_RSRC2:TGID_Y_EN: 0
; COMPUTE_PGM_RSRC2:TGID_Z_EN: 0
; COMPUTE_PGM_RSRC2:TIDIG_COMP_CNT: 0
	.section	.text._ZN7rocprim17ROCPRIM_400000_NS6detail17trampoline_kernelINS0_14default_configENS1_22reduce_config_selectorIN6thrust23THRUST_200600_302600_NS5tupleIblNS6_9null_typeES8_S8_S8_S8_S8_S8_S8_EEEEZNS1_11reduce_implILb1ES3_NS6_12zip_iteratorINS7_INS6_11hip_rocprim26transform_input_iterator_tIbPaNS6_6detail10functional5actorINSH_9compositeIJNSH_27transparent_binary_operatorINS6_8equal_toIvEEEENSI_INSH_8argumentILj0EEEEENSH_5valueIaEEEEEEEEENSD_19counting_iterator_tIlEES8_S8_S8_S8_S8_S8_S8_S8_EEEEPS9_S9_NSD_9__find_if7functorIS9_EEEE10hipError_tPvRmT1_T2_T3_mT4_P12ihipStream_tbEUlT_E1_NS1_11comp_targetILNS1_3genE0ELNS1_11target_archE4294967295ELNS1_3gpuE0ELNS1_3repE0EEENS1_30default_config_static_selectorELNS0_4arch9wavefront6targetE1EEEvS17_,"axG",@progbits,_ZN7rocprim17ROCPRIM_400000_NS6detail17trampoline_kernelINS0_14default_configENS1_22reduce_config_selectorIN6thrust23THRUST_200600_302600_NS5tupleIblNS6_9null_typeES8_S8_S8_S8_S8_S8_S8_EEEEZNS1_11reduce_implILb1ES3_NS6_12zip_iteratorINS7_INS6_11hip_rocprim26transform_input_iterator_tIbPaNS6_6detail10functional5actorINSH_9compositeIJNSH_27transparent_binary_operatorINS6_8equal_toIvEEEENSI_INSH_8argumentILj0EEEEENSH_5valueIaEEEEEEEEENSD_19counting_iterator_tIlEES8_S8_S8_S8_S8_S8_S8_S8_EEEEPS9_S9_NSD_9__find_if7functorIS9_EEEE10hipError_tPvRmT1_T2_T3_mT4_P12ihipStream_tbEUlT_E1_NS1_11comp_targetILNS1_3genE0ELNS1_11target_archE4294967295ELNS1_3gpuE0ELNS1_3repE0EEENS1_30default_config_static_selectorELNS0_4arch9wavefront6targetE1EEEvS17_,comdat
	.protected	_ZN7rocprim17ROCPRIM_400000_NS6detail17trampoline_kernelINS0_14default_configENS1_22reduce_config_selectorIN6thrust23THRUST_200600_302600_NS5tupleIblNS6_9null_typeES8_S8_S8_S8_S8_S8_S8_EEEEZNS1_11reduce_implILb1ES3_NS6_12zip_iteratorINS7_INS6_11hip_rocprim26transform_input_iterator_tIbPaNS6_6detail10functional5actorINSH_9compositeIJNSH_27transparent_binary_operatorINS6_8equal_toIvEEEENSI_INSH_8argumentILj0EEEEENSH_5valueIaEEEEEEEEENSD_19counting_iterator_tIlEES8_S8_S8_S8_S8_S8_S8_S8_EEEEPS9_S9_NSD_9__find_if7functorIS9_EEEE10hipError_tPvRmT1_T2_T3_mT4_P12ihipStream_tbEUlT_E1_NS1_11comp_targetILNS1_3genE0ELNS1_11target_archE4294967295ELNS1_3gpuE0ELNS1_3repE0EEENS1_30default_config_static_selectorELNS0_4arch9wavefront6targetE1EEEvS17_ ; -- Begin function _ZN7rocprim17ROCPRIM_400000_NS6detail17trampoline_kernelINS0_14default_configENS1_22reduce_config_selectorIN6thrust23THRUST_200600_302600_NS5tupleIblNS6_9null_typeES8_S8_S8_S8_S8_S8_S8_EEEEZNS1_11reduce_implILb1ES3_NS6_12zip_iteratorINS7_INS6_11hip_rocprim26transform_input_iterator_tIbPaNS6_6detail10functional5actorINSH_9compositeIJNSH_27transparent_binary_operatorINS6_8equal_toIvEEEENSI_INSH_8argumentILj0EEEEENSH_5valueIaEEEEEEEEENSD_19counting_iterator_tIlEES8_S8_S8_S8_S8_S8_S8_S8_EEEEPS9_S9_NSD_9__find_if7functorIS9_EEEE10hipError_tPvRmT1_T2_T3_mT4_P12ihipStream_tbEUlT_E1_NS1_11comp_targetILNS1_3genE0ELNS1_11target_archE4294967295ELNS1_3gpuE0ELNS1_3repE0EEENS1_30default_config_static_selectorELNS0_4arch9wavefront6targetE1EEEvS17_
	.globl	_ZN7rocprim17ROCPRIM_400000_NS6detail17trampoline_kernelINS0_14default_configENS1_22reduce_config_selectorIN6thrust23THRUST_200600_302600_NS5tupleIblNS6_9null_typeES8_S8_S8_S8_S8_S8_S8_EEEEZNS1_11reduce_implILb1ES3_NS6_12zip_iteratorINS7_INS6_11hip_rocprim26transform_input_iterator_tIbPaNS6_6detail10functional5actorINSH_9compositeIJNSH_27transparent_binary_operatorINS6_8equal_toIvEEEENSI_INSH_8argumentILj0EEEEENSH_5valueIaEEEEEEEEENSD_19counting_iterator_tIlEES8_S8_S8_S8_S8_S8_S8_S8_EEEEPS9_S9_NSD_9__find_if7functorIS9_EEEE10hipError_tPvRmT1_T2_T3_mT4_P12ihipStream_tbEUlT_E1_NS1_11comp_targetILNS1_3genE0ELNS1_11target_archE4294967295ELNS1_3gpuE0ELNS1_3repE0EEENS1_30default_config_static_selectorELNS0_4arch9wavefront6targetE1EEEvS17_
	.p2align	8
	.type	_ZN7rocprim17ROCPRIM_400000_NS6detail17trampoline_kernelINS0_14default_configENS1_22reduce_config_selectorIN6thrust23THRUST_200600_302600_NS5tupleIblNS6_9null_typeES8_S8_S8_S8_S8_S8_S8_EEEEZNS1_11reduce_implILb1ES3_NS6_12zip_iteratorINS7_INS6_11hip_rocprim26transform_input_iterator_tIbPaNS6_6detail10functional5actorINSH_9compositeIJNSH_27transparent_binary_operatorINS6_8equal_toIvEEEENSI_INSH_8argumentILj0EEEEENSH_5valueIaEEEEEEEEENSD_19counting_iterator_tIlEES8_S8_S8_S8_S8_S8_S8_S8_EEEEPS9_S9_NSD_9__find_if7functorIS9_EEEE10hipError_tPvRmT1_T2_T3_mT4_P12ihipStream_tbEUlT_E1_NS1_11comp_targetILNS1_3genE0ELNS1_11target_archE4294967295ELNS1_3gpuE0ELNS1_3repE0EEENS1_30default_config_static_selectorELNS0_4arch9wavefront6targetE1EEEvS17_,@function
_ZN7rocprim17ROCPRIM_400000_NS6detail17trampoline_kernelINS0_14default_configENS1_22reduce_config_selectorIN6thrust23THRUST_200600_302600_NS5tupleIblNS6_9null_typeES8_S8_S8_S8_S8_S8_S8_EEEEZNS1_11reduce_implILb1ES3_NS6_12zip_iteratorINS7_INS6_11hip_rocprim26transform_input_iterator_tIbPaNS6_6detail10functional5actorINSH_9compositeIJNSH_27transparent_binary_operatorINS6_8equal_toIvEEEENSI_INSH_8argumentILj0EEEEENSH_5valueIaEEEEEEEEENSD_19counting_iterator_tIlEES8_S8_S8_S8_S8_S8_S8_S8_EEEEPS9_S9_NSD_9__find_if7functorIS9_EEEE10hipError_tPvRmT1_T2_T3_mT4_P12ihipStream_tbEUlT_E1_NS1_11comp_targetILNS1_3genE0ELNS1_11target_archE4294967295ELNS1_3gpuE0ELNS1_3repE0EEENS1_30default_config_static_selectorELNS0_4arch9wavefront6targetE1EEEvS17_: ; @_ZN7rocprim17ROCPRIM_400000_NS6detail17trampoline_kernelINS0_14default_configENS1_22reduce_config_selectorIN6thrust23THRUST_200600_302600_NS5tupleIblNS6_9null_typeES8_S8_S8_S8_S8_S8_S8_EEEEZNS1_11reduce_implILb1ES3_NS6_12zip_iteratorINS7_INS6_11hip_rocprim26transform_input_iterator_tIbPaNS6_6detail10functional5actorINSH_9compositeIJNSH_27transparent_binary_operatorINS6_8equal_toIvEEEENSI_INSH_8argumentILj0EEEEENSH_5valueIaEEEEEEEEENSD_19counting_iterator_tIlEES8_S8_S8_S8_S8_S8_S8_S8_EEEEPS9_S9_NSD_9__find_if7functorIS9_EEEE10hipError_tPvRmT1_T2_T3_mT4_P12ihipStream_tbEUlT_E1_NS1_11comp_targetILNS1_3genE0ELNS1_11target_archE4294967295ELNS1_3gpuE0ELNS1_3repE0EEENS1_30default_config_static_selectorELNS0_4arch9wavefront6targetE1EEEvS17_
; %bb.0:
	.section	.rodata,"a",@progbits
	.p2align	6, 0x0
	.amdhsa_kernel _ZN7rocprim17ROCPRIM_400000_NS6detail17trampoline_kernelINS0_14default_configENS1_22reduce_config_selectorIN6thrust23THRUST_200600_302600_NS5tupleIblNS6_9null_typeES8_S8_S8_S8_S8_S8_S8_EEEEZNS1_11reduce_implILb1ES3_NS6_12zip_iteratorINS7_INS6_11hip_rocprim26transform_input_iterator_tIbPaNS6_6detail10functional5actorINSH_9compositeIJNSH_27transparent_binary_operatorINS6_8equal_toIvEEEENSI_INSH_8argumentILj0EEEEENSH_5valueIaEEEEEEEEENSD_19counting_iterator_tIlEES8_S8_S8_S8_S8_S8_S8_S8_EEEEPS9_S9_NSD_9__find_if7functorIS9_EEEE10hipError_tPvRmT1_T2_T3_mT4_P12ihipStream_tbEUlT_E1_NS1_11comp_targetILNS1_3genE0ELNS1_11target_archE4294967295ELNS1_3gpuE0ELNS1_3repE0EEENS1_30default_config_static_selectorELNS0_4arch9wavefront6targetE1EEEvS17_
		.amdhsa_group_segment_fixed_size 0
		.amdhsa_private_segment_fixed_size 0
		.amdhsa_kernarg_size 72
		.amdhsa_user_sgpr_count 6
		.amdhsa_user_sgpr_private_segment_buffer 1
		.amdhsa_user_sgpr_dispatch_ptr 0
		.amdhsa_user_sgpr_queue_ptr 0
		.amdhsa_user_sgpr_kernarg_segment_ptr 1
		.amdhsa_user_sgpr_dispatch_id 0
		.amdhsa_user_sgpr_flat_scratch_init 0
		.amdhsa_user_sgpr_private_segment_size 0
		.amdhsa_uses_dynamic_stack 0
		.amdhsa_system_sgpr_private_segment_wavefront_offset 0
		.amdhsa_system_sgpr_workgroup_id_x 1
		.amdhsa_system_sgpr_workgroup_id_y 0
		.amdhsa_system_sgpr_workgroup_id_z 0
		.amdhsa_system_sgpr_workgroup_info 0
		.amdhsa_system_vgpr_workitem_id 0
		.amdhsa_next_free_vgpr 1
		.amdhsa_next_free_sgpr 0
		.amdhsa_reserve_vcc 0
		.amdhsa_reserve_flat_scratch 0
		.amdhsa_float_round_mode_32 0
		.amdhsa_float_round_mode_16_64 0
		.amdhsa_float_denorm_mode_32 3
		.amdhsa_float_denorm_mode_16_64 3
		.amdhsa_dx10_clamp 1
		.amdhsa_ieee_mode 1
		.amdhsa_fp16_overflow 0
		.amdhsa_exception_fp_ieee_invalid_op 0
		.amdhsa_exception_fp_denorm_src 0
		.amdhsa_exception_fp_ieee_div_zero 0
		.amdhsa_exception_fp_ieee_overflow 0
		.amdhsa_exception_fp_ieee_underflow 0
		.amdhsa_exception_fp_ieee_inexact 0
		.amdhsa_exception_int_div_zero 0
	.end_amdhsa_kernel
	.section	.text._ZN7rocprim17ROCPRIM_400000_NS6detail17trampoline_kernelINS0_14default_configENS1_22reduce_config_selectorIN6thrust23THRUST_200600_302600_NS5tupleIblNS6_9null_typeES8_S8_S8_S8_S8_S8_S8_EEEEZNS1_11reduce_implILb1ES3_NS6_12zip_iteratorINS7_INS6_11hip_rocprim26transform_input_iterator_tIbPaNS6_6detail10functional5actorINSH_9compositeIJNSH_27transparent_binary_operatorINS6_8equal_toIvEEEENSI_INSH_8argumentILj0EEEEENSH_5valueIaEEEEEEEEENSD_19counting_iterator_tIlEES8_S8_S8_S8_S8_S8_S8_S8_EEEEPS9_S9_NSD_9__find_if7functorIS9_EEEE10hipError_tPvRmT1_T2_T3_mT4_P12ihipStream_tbEUlT_E1_NS1_11comp_targetILNS1_3genE0ELNS1_11target_archE4294967295ELNS1_3gpuE0ELNS1_3repE0EEENS1_30default_config_static_selectorELNS0_4arch9wavefront6targetE1EEEvS17_,"axG",@progbits,_ZN7rocprim17ROCPRIM_400000_NS6detail17trampoline_kernelINS0_14default_configENS1_22reduce_config_selectorIN6thrust23THRUST_200600_302600_NS5tupleIblNS6_9null_typeES8_S8_S8_S8_S8_S8_S8_EEEEZNS1_11reduce_implILb1ES3_NS6_12zip_iteratorINS7_INS6_11hip_rocprim26transform_input_iterator_tIbPaNS6_6detail10functional5actorINSH_9compositeIJNSH_27transparent_binary_operatorINS6_8equal_toIvEEEENSI_INSH_8argumentILj0EEEEENSH_5valueIaEEEEEEEEENSD_19counting_iterator_tIlEES8_S8_S8_S8_S8_S8_S8_S8_EEEEPS9_S9_NSD_9__find_if7functorIS9_EEEE10hipError_tPvRmT1_T2_T3_mT4_P12ihipStream_tbEUlT_E1_NS1_11comp_targetILNS1_3genE0ELNS1_11target_archE4294967295ELNS1_3gpuE0ELNS1_3repE0EEENS1_30default_config_static_selectorELNS0_4arch9wavefront6targetE1EEEvS17_,comdat
.Lfunc_end717:
	.size	_ZN7rocprim17ROCPRIM_400000_NS6detail17trampoline_kernelINS0_14default_configENS1_22reduce_config_selectorIN6thrust23THRUST_200600_302600_NS5tupleIblNS6_9null_typeES8_S8_S8_S8_S8_S8_S8_EEEEZNS1_11reduce_implILb1ES3_NS6_12zip_iteratorINS7_INS6_11hip_rocprim26transform_input_iterator_tIbPaNS6_6detail10functional5actorINSH_9compositeIJNSH_27transparent_binary_operatorINS6_8equal_toIvEEEENSI_INSH_8argumentILj0EEEEENSH_5valueIaEEEEEEEEENSD_19counting_iterator_tIlEES8_S8_S8_S8_S8_S8_S8_S8_EEEEPS9_S9_NSD_9__find_if7functorIS9_EEEE10hipError_tPvRmT1_T2_T3_mT4_P12ihipStream_tbEUlT_E1_NS1_11comp_targetILNS1_3genE0ELNS1_11target_archE4294967295ELNS1_3gpuE0ELNS1_3repE0EEENS1_30default_config_static_selectorELNS0_4arch9wavefront6targetE1EEEvS17_, .Lfunc_end717-_ZN7rocprim17ROCPRIM_400000_NS6detail17trampoline_kernelINS0_14default_configENS1_22reduce_config_selectorIN6thrust23THRUST_200600_302600_NS5tupleIblNS6_9null_typeES8_S8_S8_S8_S8_S8_S8_EEEEZNS1_11reduce_implILb1ES3_NS6_12zip_iteratorINS7_INS6_11hip_rocprim26transform_input_iterator_tIbPaNS6_6detail10functional5actorINSH_9compositeIJNSH_27transparent_binary_operatorINS6_8equal_toIvEEEENSI_INSH_8argumentILj0EEEEENSH_5valueIaEEEEEEEEENSD_19counting_iterator_tIlEES8_S8_S8_S8_S8_S8_S8_S8_EEEEPS9_S9_NSD_9__find_if7functorIS9_EEEE10hipError_tPvRmT1_T2_T3_mT4_P12ihipStream_tbEUlT_E1_NS1_11comp_targetILNS1_3genE0ELNS1_11target_archE4294967295ELNS1_3gpuE0ELNS1_3repE0EEENS1_30default_config_static_selectorELNS0_4arch9wavefront6targetE1EEEvS17_
                                        ; -- End function
	.set _ZN7rocprim17ROCPRIM_400000_NS6detail17trampoline_kernelINS0_14default_configENS1_22reduce_config_selectorIN6thrust23THRUST_200600_302600_NS5tupleIblNS6_9null_typeES8_S8_S8_S8_S8_S8_S8_EEEEZNS1_11reduce_implILb1ES3_NS6_12zip_iteratorINS7_INS6_11hip_rocprim26transform_input_iterator_tIbPaNS6_6detail10functional5actorINSH_9compositeIJNSH_27transparent_binary_operatorINS6_8equal_toIvEEEENSI_INSH_8argumentILj0EEEEENSH_5valueIaEEEEEEEEENSD_19counting_iterator_tIlEES8_S8_S8_S8_S8_S8_S8_S8_EEEEPS9_S9_NSD_9__find_if7functorIS9_EEEE10hipError_tPvRmT1_T2_T3_mT4_P12ihipStream_tbEUlT_E1_NS1_11comp_targetILNS1_3genE0ELNS1_11target_archE4294967295ELNS1_3gpuE0ELNS1_3repE0EEENS1_30default_config_static_selectorELNS0_4arch9wavefront6targetE1EEEvS17_.num_vgpr, 0
	.set _ZN7rocprim17ROCPRIM_400000_NS6detail17trampoline_kernelINS0_14default_configENS1_22reduce_config_selectorIN6thrust23THRUST_200600_302600_NS5tupleIblNS6_9null_typeES8_S8_S8_S8_S8_S8_S8_EEEEZNS1_11reduce_implILb1ES3_NS6_12zip_iteratorINS7_INS6_11hip_rocprim26transform_input_iterator_tIbPaNS6_6detail10functional5actorINSH_9compositeIJNSH_27transparent_binary_operatorINS6_8equal_toIvEEEENSI_INSH_8argumentILj0EEEEENSH_5valueIaEEEEEEEEENSD_19counting_iterator_tIlEES8_S8_S8_S8_S8_S8_S8_S8_EEEEPS9_S9_NSD_9__find_if7functorIS9_EEEE10hipError_tPvRmT1_T2_T3_mT4_P12ihipStream_tbEUlT_E1_NS1_11comp_targetILNS1_3genE0ELNS1_11target_archE4294967295ELNS1_3gpuE0ELNS1_3repE0EEENS1_30default_config_static_selectorELNS0_4arch9wavefront6targetE1EEEvS17_.num_agpr, 0
	.set _ZN7rocprim17ROCPRIM_400000_NS6detail17trampoline_kernelINS0_14default_configENS1_22reduce_config_selectorIN6thrust23THRUST_200600_302600_NS5tupleIblNS6_9null_typeES8_S8_S8_S8_S8_S8_S8_EEEEZNS1_11reduce_implILb1ES3_NS6_12zip_iteratorINS7_INS6_11hip_rocprim26transform_input_iterator_tIbPaNS6_6detail10functional5actorINSH_9compositeIJNSH_27transparent_binary_operatorINS6_8equal_toIvEEEENSI_INSH_8argumentILj0EEEEENSH_5valueIaEEEEEEEEENSD_19counting_iterator_tIlEES8_S8_S8_S8_S8_S8_S8_S8_EEEEPS9_S9_NSD_9__find_if7functorIS9_EEEE10hipError_tPvRmT1_T2_T3_mT4_P12ihipStream_tbEUlT_E1_NS1_11comp_targetILNS1_3genE0ELNS1_11target_archE4294967295ELNS1_3gpuE0ELNS1_3repE0EEENS1_30default_config_static_selectorELNS0_4arch9wavefront6targetE1EEEvS17_.numbered_sgpr, 0
	.set _ZN7rocprim17ROCPRIM_400000_NS6detail17trampoline_kernelINS0_14default_configENS1_22reduce_config_selectorIN6thrust23THRUST_200600_302600_NS5tupleIblNS6_9null_typeES8_S8_S8_S8_S8_S8_S8_EEEEZNS1_11reduce_implILb1ES3_NS6_12zip_iteratorINS7_INS6_11hip_rocprim26transform_input_iterator_tIbPaNS6_6detail10functional5actorINSH_9compositeIJNSH_27transparent_binary_operatorINS6_8equal_toIvEEEENSI_INSH_8argumentILj0EEEEENSH_5valueIaEEEEEEEEENSD_19counting_iterator_tIlEES8_S8_S8_S8_S8_S8_S8_S8_EEEEPS9_S9_NSD_9__find_if7functorIS9_EEEE10hipError_tPvRmT1_T2_T3_mT4_P12ihipStream_tbEUlT_E1_NS1_11comp_targetILNS1_3genE0ELNS1_11target_archE4294967295ELNS1_3gpuE0ELNS1_3repE0EEENS1_30default_config_static_selectorELNS0_4arch9wavefront6targetE1EEEvS17_.num_named_barrier, 0
	.set _ZN7rocprim17ROCPRIM_400000_NS6detail17trampoline_kernelINS0_14default_configENS1_22reduce_config_selectorIN6thrust23THRUST_200600_302600_NS5tupleIblNS6_9null_typeES8_S8_S8_S8_S8_S8_S8_EEEEZNS1_11reduce_implILb1ES3_NS6_12zip_iteratorINS7_INS6_11hip_rocprim26transform_input_iterator_tIbPaNS6_6detail10functional5actorINSH_9compositeIJNSH_27transparent_binary_operatorINS6_8equal_toIvEEEENSI_INSH_8argumentILj0EEEEENSH_5valueIaEEEEEEEEENSD_19counting_iterator_tIlEES8_S8_S8_S8_S8_S8_S8_S8_EEEEPS9_S9_NSD_9__find_if7functorIS9_EEEE10hipError_tPvRmT1_T2_T3_mT4_P12ihipStream_tbEUlT_E1_NS1_11comp_targetILNS1_3genE0ELNS1_11target_archE4294967295ELNS1_3gpuE0ELNS1_3repE0EEENS1_30default_config_static_selectorELNS0_4arch9wavefront6targetE1EEEvS17_.private_seg_size, 0
	.set _ZN7rocprim17ROCPRIM_400000_NS6detail17trampoline_kernelINS0_14default_configENS1_22reduce_config_selectorIN6thrust23THRUST_200600_302600_NS5tupleIblNS6_9null_typeES8_S8_S8_S8_S8_S8_S8_EEEEZNS1_11reduce_implILb1ES3_NS6_12zip_iteratorINS7_INS6_11hip_rocprim26transform_input_iterator_tIbPaNS6_6detail10functional5actorINSH_9compositeIJNSH_27transparent_binary_operatorINS6_8equal_toIvEEEENSI_INSH_8argumentILj0EEEEENSH_5valueIaEEEEEEEEENSD_19counting_iterator_tIlEES8_S8_S8_S8_S8_S8_S8_S8_EEEEPS9_S9_NSD_9__find_if7functorIS9_EEEE10hipError_tPvRmT1_T2_T3_mT4_P12ihipStream_tbEUlT_E1_NS1_11comp_targetILNS1_3genE0ELNS1_11target_archE4294967295ELNS1_3gpuE0ELNS1_3repE0EEENS1_30default_config_static_selectorELNS0_4arch9wavefront6targetE1EEEvS17_.uses_vcc, 0
	.set _ZN7rocprim17ROCPRIM_400000_NS6detail17trampoline_kernelINS0_14default_configENS1_22reduce_config_selectorIN6thrust23THRUST_200600_302600_NS5tupleIblNS6_9null_typeES8_S8_S8_S8_S8_S8_S8_EEEEZNS1_11reduce_implILb1ES3_NS6_12zip_iteratorINS7_INS6_11hip_rocprim26transform_input_iterator_tIbPaNS6_6detail10functional5actorINSH_9compositeIJNSH_27transparent_binary_operatorINS6_8equal_toIvEEEENSI_INSH_8argumentILj0EEEEENSH_5valueIaEEEEEEEEENSD_19counting_iterator_tIlEES8_S8_S8_S8_S8_S8_S8_S8_EEEEPS9_S9_NSD_9__find_if7functorIS9_EEEE10hipError_tPvRmT1_T2_T3_mT4_P12ihipStream_tbEUlT_E1_NS1_11comp_targetILNS1_3genE0ELNS1_11target_archE4294967295ELNS1_3gpuE0ELNS1_3repE0EEENS1_30default_config_static_selectorELNS0_4arch9wavefront6targetE1EEEvS17_.uses_flat_scratch, 0
	.set _ZN7rocprim17ROCPRIM_400000_NS6detail17trampoline_kernelINS0_14default_configENS1_22reduce_config_selectorIN6thrust23THRUST_200600_302600_NS5tupleIblNS6_9null_typeES8_S8_S8_S8_S8_S8_S8_EEEEZNS1_11reduce_implILb1ES3_NS6_12zip_iteratorINS7_INS6_11hip_rocprim26transform_input_iterator_tIbPaNS6_6detail10functional5actorINSH_9compositeIJNSH_27transparent_binary_operatorINS6_8equal_toIvEEEENSI_INSH_8argumentILj0EEEEENSH_5valueIaEEEEEEEEENSD_19counting_iterator_tIlEES8_S8_S8_S8_S8_S8_S8_S8_EEEEPS9_S9_NSD_9__find_if7functorIS9_EEEE10hipError_tPvRmT1_T2_T3_mT4_P12ihipStream_tbEUlT_E1_NS1_11comp_targetILNS1_3genE0ELNS1_11target_archE4294967295ELNS1_3gpuE0ELNS1_3repE0EEENS1_30default_config_static_selectorELNS0_4arch9wavefront6targetE1EEEvS17_.has_dyn_sized_stack, 0
	.set _ZN7rocprim17ROCPRIM_400000_NS6detail17trampoline_kernelINS0_14default_configENS1_22reduce_config_selectorIN6thrust23THRUST_200600_302600_NS5tupleIblNS6_9null_typeES8_S8_S8_S8_S8_S8_S8_EEEEZNS1_11reduce_implILb1ES3_NS6_12zip_iteratorINS7_INS6_11hip_rocprim26transform_input_iterator_tIbPaNS6_6detail10functional5actorINSH_9compositeIJNSH_27transparent_binary_operatorINS6_8equal_toIvEEEENSI_INSH_8argumentILj0EEEEENSH_5valueIaEEEEEEEEENSD_19counting_iterator_tIlEES8_S8_S8_S8_S8_S8_S8_S8_EEEEPS9_S9_NSD_9__find_if7functorIS9_EEEE10hipError_tPvRmT1_T2_T3_mT4_P12ihipStream_tbEUlT_E1_NS1_11comp_targetILNS1_3genE0ELNS1_11target_archE4294967295ELNS1_3gpuE0ELNS1_3repE0EEENS1_30default_config_static_selectorELNS0_4arch9wavefront6targetE1EEEvS17_.has_recursion, 0
	.set _ZN7rocprim17ROCPRIM_400000_NS6detail17trampoline_kernelINS0_14default_configENS1_22reduce_config_selectorIN6thrust23THRUST_200600_302600_NS5tupleIblNS6_9null_typeES8_S8_S8_S8_S8_S8_S8_EEEEZNS1_11reduce_implILb1ES3_NS6_12zip_iteratorINS7_INS6_11hip_rocprim26transform_input_iterator_tIbPaNS6_6detail10functional5actorINSH_9compositeIJNSH_27transparent_binary_operatorINS6_8equal_toIvEEEENSI_INSH_8argumentILj0EEEEENSH_5valueIaEEEEEEEEENSD_19counting_iterator_tIlEES8_S8_S8_S8_S8_S8_S8_S8_EEEEPS9_S9_NSD_9__find_if7functorIS9_EEEE10hipError_tPvRmT1_T2_T3_mT4_P12ihipStream_tbEUlT_E1_NS1_11comp_targetILNS1_3genE0ELNS1_11target_archE4294967295ELNS1_3gpuE0ELNS1_3repE0EEENS1_30default_config_static_selectorELNS0_4arch9wavefront6targetE1EEEvS17_.has_indirect_call, 0
	.section	.AMDGPU.csdata,"",@progbits
; Kernel info:
; codeLenInByte = 0
; TotalNumSgprs: 4
; NumVgprs: 0
; ScratchSize: 0
; MemoryBound: 0
; FloatMode: 240
; IeeeMode: 1
; LDSByteSize: 0 bytes/workgroup (compile time only)
; SGPRBlocks: 0
; VGPRBlocks: 0
; NumSGPRsForWavesPerEU: 4
; NumVGPRsForWavesPerEU: 1
; Occupancy: 10
; WaveLimiterHint : 0
; COMPUTE_PGM_RSRC2:SCRATCH_EN: 0
; COMPUTE_PGM_RSRC2:USER_SGPR: 6
; COMPUTE_PGM_RSRC2:TRAP_HANDLER: 0
; COMPUTE_PGM_RSRC2:TGID_X_EN: 1
; COMPUTE_PGM_RSRC2:TGID_Y_EN: 0
; COMPUTE_PGM_RSRC2:TGID_Z_EN: 0
; COMPUTE_PGM_RSRC2:TIDIG_COMP_CNT: 0
	.section	.text._ZN7rocprim17ROCPRIM_400000_NS6detail17trampoline_kernelINS0_14default_configENS1_22reduce_config_selectorIN6thrust23THRUST_200600_302600_NS5tupleIblNS6_9null_typeES8_S8_S8_S8_S8_S8_S8_EEEEZNS1_11reduce_implILb1ES3_NS6_12zip_iteratorINS7_INS6_11hip_rocprim26transform_input_iterator_tIbPaNS6_6detail10functional5actorINSH_9compositeIJNSH_27transparent_binary_operatorINS6_8equal_toIvEEEENSI_INSH_8argumentILj0EEEEENSH_5valueIaEEEEEEEEENSD_19counting_iterator_tIlEES8_S8_S8_S8_S8_S8_S8_S8_EEEEPS9_S9_NSD_9__find_if7functorIS9_EEEE10hipError_tPvRmT1_T2_T3_mT4_P12ihipStream_tbEUlT_E1_NS1_11comp_targetILNS1_3genE5ELNS1_11target_archE942ELNS1_3gpuE9ELNS1_3repE0EEENS1_30default_config_static_selectorELNS0_4arch9wavefront6targetE1EEEvS17_,"axG",@progbits,_ZN7rocprim17ROCPRIM_400000_NS6detail17trampoline_kernelINS0_14default_configENS1_22reduce_config_selectorIN6thrust23THRUST_200600_302600_NS5tupleIblNS6_9null_typeES8_S8_S8_S8_S8_S8_S8_EEEEZNS1_11reduce_implILb1ES3_NS6_12zip_iteratorINS7_INS6_11hip_rocprim26transform_input_iterator_tIbPaNS6_6detail10functional5actorINSH_9compositeIJNSH_27transparent_binary_operatorINS6_8equal_toIvEEEENSI_INSH_8argumentILj0EEEEENSH_5valueIaEEEEEEEEENSD_19counting_iterator_tIlEES8_S8_S8_S8_S8_S8_S8_S8_EEEEPS9_S9_NSD_9__find_if7functorIS9_EEEE10hipError_tPvRmT1_T2_T3_mT4_P12ihipStream_tbEUlT_E1_NS1_11comp_targetILNS1_3genE5ELNS1_11target_archE942ELNS1_3gpuE9ELNS1_3repE0EEENS1_30default_config_static_selectorELNS0_4arch9wavefront6targetE1EEEvS17_,comdat
	.protected	_ZN7rocprim17ROCPRIM_400000_NS6detail17trampoline_kernelINS0_14default_configENS1_22reduce_config_selectorIN6thrust23THRUST_200600_302600_NS5tupleIblNS6_9null_typeES8_S8_S8_S8_S8_S8_S8_EEEEZNS1_11reduce_implILb1ES3_NS6_12zip_iteratorINS7_INS6_11hip_rocprim26transform_input_iterator_tIbPaNS6_6detail10functional5actorINSH_9compositeIJNSH_27transparent_binary_operatorINS6_8equal_toIvEEEENSI_INSH_8argumentILj0EEEEENSH_5valueIaEEEEEEEEENSD_19counting_iterator_tIlEES8_S8_S8_S8_S8_S8_S8_S8_EEEEPS9_S9_NSD_9__find_if7functorIS9_EEEE10hipError_tPvRmT1_T2_T3_mT4_P12ihipStream_tbEUlT_E1_NS1_11comp_targetILNS1_3genE5ELNS1_11target_archE942ELNS1_3gpuE9ELNS1_3repE0EEENS1_30default_config_static_selectorELNS0_4arch9wavefront6targetE1EEEvS17_ ; -- Begin function _ZN7rocprim17ROCPRIM_400000_NS6detail17trampoline_kernelINS0_14default_configENS1_22reduce_config_selectorIN6thrust23THRUST_200600_302600_NS5tupleIblNS6_9null_typeES8_S8_S8_S8_S8_S8_S8_EEEEZNS1_11reduce_implILb1ES3_NS6_12zip_iteratorINS7_INS6_11hip_rocprim26transform_input_iterator_tIbPaNS6_6detail10functional5actorINSH_9compositeIJNSH_27transparent_binary_operatorINS6_8equal_toIvEEEENSI_INSH_8argumentILj0EEEEENSH_5valueIaEEEEEEEEENSD_19counting_iterator_tIlEES8_S8_S8_S8_S8_S8_S8_S8_EEEEPS9_S9_NSD_9__find_if7functorIS9_EEEE10hipError_tPvRmT1_T2_T3_mT4_P12ihipStream_tbEUlT_E1_NS1_11comp_targetILNS1_3genE5ELNS1_11target_archE942ELNS1_3gpuE9ELNS1_3repE0EEENS1_30default_config_static_selectorELNS0_4arch9wavefront6targetE1EEEvS17_
	.globl	_ZN7rocprim17ROCPRIM_400000_NS6detail17trampoline_kernelINS0_14default_configENS1_22reduce_config_selectorIN6thrust23THRUST_200600_302600_NS5tupleIblNS6_9null_typeES8_S8_S8_S8_S8_S8_S8_EEEEZNS1_11reduce_implILb1ES3_NS6_12zip_iteratorINS7_INS6_11hip_rocprim26transform_input_iterator_tIbPaNS6_6detail10functional5actorINSH_9compositeIJNSH_27transparent_binary_operatorINS6_8equal_toIvEEEENSI_INSH_8argumentILj0EEEEENSH_5valueIaEEEEEEEEENSD_19counting_iterator_tIlEES8_S8_S8_S8_S8_S8_S8_S8_EEEEPS9_S9_NSD_9__find_if7functorIS9_EEEE10hipError_tPvRmT1_T2_T3_mT4_P12ihipStream_tbEUlT_E1_NS1_11comp_targetILNS1_3genE5ELNS1_11target_archE942ELNS1_3gpuE9ELNS1_3repE0EEENS1_30default_config_static_selectorELNS0_4arch9wavefront6targetE1EEEvS17_
	.p2align	8
	.type	_ZN7rocprim17ROCPRIM_400000_NS6detail17trampoline_kernelINS0_14default_configENS1_22reduce_config_selectorIN6thrust23THRUST_200600_302600_NS5tupleIblNS6_9null_typeES8_S8_S8_S8_S8_S8_S8_EEEEZNS1_11reduce_implILb1ES3_NS6_12zip_iteratorINS7_INS6_11hip_rocprim26transform_input_iterator_tIbPaNS6_6detail10functional5actorINSH_9compositeIJNSH_27transparent_binary_operatorINS6_8equal_toIvEEEENSI_INSH_8argumentILj0EEEEENSH_5valueIaEEEEEEEEENSD_19counting_iterator_tIlEES8_S8_S8_S8_S8_S8_S8_S8_EEEEPS9_S9_NSD_9__find_if7functorIS9_EEEE10hipError_tPvRmT1_T2_T3_mT4_P12ihipStream_tbEUlT_E1_NS1_11comp_targetILNS1_3genE5ELNS1_11target_archE942ELNS1_3gpuE9ELNS1_3repE0EEENS1_30default_config_static_selectorELNS0_4arch9wavefront6targetE1EEEvS17_,@function
_ZN7rocprim17ROCPRIM_400000_NS6detail17trampoline_kernelINS0_14default_configENS1_22reduce_config_selectorIN6thrust23THRUST_200600_302600_NS5tupleIblNS6_9null_typeES8_S8_S8_S8_S8_S8_S8_EEEEZNS1_11reduce_implILb1ES3_NS6_12zip_iteratorINS7_INS6_11hip_rocprim26transform_input_iterator_tIbPaNS6_6detail10functional5actorINSH_9compositeIJNSH_27transparent_binary_operatorINS6_8equal_toIvEEEENSI_INSH_8argumentILj0EEEEENSH_5valueIaEEEEEEEEENSD_19counting_iterator_tIlEES8_S8_S8_S8_S8_S8_S8_S8_EEEEPS9_S9_NSD_9__find_if7functorIS9_EEEE10hipError_tPvRmT1_T2_T3_mT4_P12ihipStream_tbEUlT_E1_NS1_11comp_targetILNS1_3genE5ELNS1_11target_archE942ELNS1_3gpuE9ELNS1_3repE0EEENS1_30default_config_static_selectorELNS0_4arch9wavefront6targetE1EEEvS17_: ; @_ZN7rocprim17ROCPRIM_400000_NS6detail17trampoline_kernelINS0_14default_configENS1_22reduce_config_selectorIN6thrust23THRUST_200600_302600_NS5tupleIblNS6_9null_typeES8_S8_S8_S8_S8_S8_S8_EEEEZNS1_11reduce_implILb1ES3_NS6_12zip_iteratorINS7_INS6_11hip_rocprim26transform_input_iterator_tIbPaNS6_6detail10functional5actorINSH_9compositeIJNSH_27transparent_binary_operatorINS6_8equal_toIvEEEENSI_INSH_8argumentILj0EEEEENSH_5valueIaEEEEEEEEENSD_19counting_iterator_tIlEES8_S8_S8_S8_S8_S8_S8_S8_EEEEPS9_S9_NSD_9__find_if7functorIS9_EEEE10hipError_tPvRmT1_T2_T3_mT4_P12ihipStream_tbEUlT_E1_NS1_11comp_targetILNS1_3genE5ELNS1_11target_archE942ELNS1_3gpuE9ELNS1_3repE0EEENS1_30default_config_static_selectorELNS0_4arch9wavefront6targetE1EEEvS17_
; %bb.0:
	.section	.rodata,"a",@progbits
	.p2align	6, 0x0
	.amdhsa_kernel _ZN7rocprim17ROCPRIM_400000_NS6detail17trampoline_kernelINS0_14default_configENS1_22reduce_config_selectorIN6thrust23THRUST_200600_302600_NS5tupleIblNS6_9null_typeES8_S8_S8_S8_S8_S8_S8_EEEEZNS1_11reduce_implILb1ES3_NS6_12zip_iteratorINS7_INS6_11hip_rocprim26transform_input_iterator_tIbPaNS6_6detail10functional5actorINSH_9compositeIJNSH_27transparent_binary_operatorINS6_8equal_toIvEEEENSI_INSH_8argumentILj0EEEEENSH_5valueIaEEEEEEEEENSD_19counting_iterator_tIlEES8_S8_S8_S8_S8_S8_S8_S8_EEEEPS9_S9_NSD_9__find_if7functorIS9_EEEE10hipError_tPvRmT1_T2_T3_mT4_P12ihipStream_tbEUlT_E1_NS1_11comp_targetILNS1_3genE5ELNS1_11target_archE942ELNS1_3gpuE9ELNS1_3repE0EEENS1_30default_config_static_selectorELNS0_4arch9wavefront6targetE1EEEvS17_
		.amdhsa_group_segment_fixed_size 0
		.amdhsa_private_segment_fixed_size 0
		.amdhsa_kernarg_size 72
		.amdhsa_user_sgpr_count 6
		.amdhsa_user_sgpr_private_segment_buffer 1
		.amdhsa_user_sgpr_dispatch_ptr 0
		.amdhsa_user_sgpr_queue_ptr 0
		.amdhsa_user_sgpr_kernarg_segment_ptr 1
		.amdhsa_user_sgpr_dispatch_id 0
		.amdhsa_user_sgpr_flat_scratch_init 0
		.amdhsa_user_sgpr_private_segment_size 0
		.amdhsa_uses_dynamic_stack 0
		.amdhsa_system_sgpr_private_segment_wavefront_offset 0
		.amdhsa_system_sgpr_workgroup_id_x 1
		.amdhsa_system_sgpr_workgroup_id_y 0
		.amdhsa_system_sgpr_workgroup_id_z 0
		.amdhsa_system_sgpr_workgroup_info 0
		.amdhsa_system_vgpr_workitem_id 0
		.amdhsa_next_free_vgpr 1
		.amdhsa_next_free_sgpr 0
		.amdhsa_reserve_vcc 0
		.amdhsa_reserve_flat_scratch 0
		.amdhsa_float_round_mode_32 0
		.amdhsa_float_round_mode_16_64 0
		.amdhsa_float_denorm_mode_32 3
		.amdhsa_float_denorm_mode_16_64 3
		.amdhsa_dx10_clamp 1
		.amdhsa_ieee_mode 1
		.amdhsa_fp16_overflow 0
		.amdhsa_exception_fp_ieee_invalid_op 0
		.amdhsa_exception_fp_denorm_src 0
		.amdhsa_exception_fp_ieee_div_zero 0
		.amdhsa_exception_fp_ieee_overflow 0
		.amdhsa_exception_fp_ieee_underflow 0
		.amdhsa_exception_fp_ieee_inexact 0
		.amdhsa_exception_int_div_zero 0
	.end_amdhsa_kernel
	.section	.text._ZN7rocprim17ROCPRIM_400000_NS6detail17trampoline_kernelINS0_14default_configENS1_22reduce_config_selectorIN6thrust23THRUST_200600_302600_NS5tupleIblNS6_9null_typeES8_S8_S8_S8_S8_S8_S8_EEEEZNS1_11reduce_implILb1ES3_NS6_12zip_iteratorINS7_INS6_11hip_rocprim26transform_input_iterator_tIbPaNS6_6detail10functional5actorINSH_9compositeIJNSH_27transparent_binary_operatorINS6_8equal_toIvEEEENSI_INSH_8argumentILj0EEEEENSH_5valueIaEEEEEEEEENSD_19counting_iterator_tIlEES8_S8_S8_S8_S8_S8_S8_S8_EEEEPS9_S9_NSD_9__find_if7functorIS9_EEEE10hipError_tPvRmT1_T2_T3_mT4_P12ihipStream_tbEUlT_E1_NS1_11comp_targetILNS1_3genE5ELNS1_11target_archE942ELNS1_3gpuE9ELNS1_3repE0EEENS1_30default_config_static_selectorELNS0_4arch9wavefront6targetE1EEEvS17_,"axG",@progbits,_ZN7rocprim17ROCPRIM_400000_NS6detail17trampoline_kernelINS0_14default_configENS1_22reduce_config_selectorIN6thrust23THRUST_200600_302600_NS5tupleIblNS6_9null_typeES8_S8_S8_S8_S8_S8_S8_EEEEZNS1_11reduce_implILb1ES3_NS6_12zip_iteratorINS7_INS6_11hip_rocprim26transform_input_iterator_tIbPaNS6_6detail10functional5actorINSH_9compositeIJNSH_27transparent_binary_operatorINS6_8equal_toIvEEEENSI_INSH_8argumentILj0EEEEENSH_5valueIaEEEEEEEEENSD_19counting_iterator_tIlEES8_S8_S8_S8_S8_S8_S8_S8_EEEEPS9_S9_NSD_9__find_if7functorIS9_EEEE10hipError_tPvRmT1_T2_T3_mT4_P12ihipStream_tbEUlT_E1_NS1_11comp_targetILNS1_3genE5ELNS1_11target_archE942ELNS1_3gpuE9ELNS1_3repE0EEENS1_30default_config_static_selectorELNS0_4arch9wavefront6targetE1EEEvS17_,comdat
.Lfunc_end718:
	.size	_ZN7rocprim17ROCPRIM_400000_NS6detail17trampoline_kernelINS0_14default_configENS1_22reduce_config_selectorIN6thrust23THRUST_200600_302600_NS5tupleIblNS6_9null_typeES8_S8_S8_S8_S8_S8_S8_EEEEZNS1_11reduce_implILb1ES3_NS6_12zip_iteratorINS7_INS6_11hip_rocprim26transform_input_iterator_tIbPaNS6_6detail10functional5actorINSH_9compositeIJNSH_27transparent_binary_operatorINS6_8equal_toIvEEEENSI_INSH_8argumentILj0EEEEENSH_5valueIaEEEEEEEEENSD_19counting_iterator_tIlEES8_S8_S8_S8_S8_S8_S8_S8_EEEEPS9_S9_NSD_9__find_if7functorIS9_EEEE10hipError_tPvRmT1_T2_T3_mT4_P12ihipStream_tbEUlT_E1_NS1_11comp_targetILNS1_3genE5ELNS1_11target_archE942ELNS1_3gpuE9ELNS1_3repE0EEENS1_30default_config_static_selectorELNS0_4arch9wavefront6targetE1EEEvS17_, .Lfunc_end718-_ZN7rocprim17ROCPRIM_400000_NS6detail17trampoline_kernelINS0_14default_configENS1_22reduce_config_selectorIN6thrust23THRUST_200600_302600_NS5tupleIblNS6_9null_typeES8_S8_S8_S8_S8_S8_S8_EEEEZNS1_11reduce_implILb1ES3_NS6_12zip_iteratorINS7_INS6_11hip_rocprim26transform_input_iterator_tIbPaNS6_6detail10functional5actorINSH_9compositeIJNSH_27transparent_binary_operatorINS6_8equal_toIvEEEENSI_INSH_8argumentILj0EEEEENSH_5valueIaEEEEEEEEENSD_19counting_iterator_tIlEES8_S8_S8_S8_S8_S8_S8_S8_EEEEPS9_S9_NSD_9__find_if7functorIS9_EEEE10hipError_tPvRmT1_T2_T3_mT4_P12ihipStream_tbEUlT_E1_NS1_11comp_targetILNS1_3genE5ELNS1_11target_archE942ELNS1_3gpuE9ELNS1_3repE0EEENS1_30default_config_static_selectorELNS0_4arch9wavefront6targetE1EEEvS17_
                                        ; -- End function
	.set _ZN7rocprim17ROCPRIM_400000_NS6detail17trampoline_kernelINS0_14default_configENS1_22reduce_config_selectorIN6thrust23THRUST_200600_302600_NS5tupleIblNS6_9null_typeES8_S8_S8_S8_S8_S8_S8_EEEEZNS1_11reduce_implILb1ES3_NS6_12zip_iteratorINS7_INS6_11hip_rocprim26transform_input_iterator_tIbPaNS6_6detail10functional5actorINSH_9compositeIJNSH_27transparent_binary_operatorINS6_8equal_toIvEEEENSI_INSH_8argumentILj0EEEEENSH_5valueIaEEEEEEEEENSD_19counting_iterator_tIlEES8_S8_S8_S8_S8_S8_S8_S8_EEEEPS9_S9_NSD_9__find_if7functorIS9_EEEE10hipError_tPvRmT1_T2_T3_mT4_P12ihipStream_tbEUlT_E1_NS1_11comp_targetILNS1_3genE5ELNS1_11target_archE942ELNS1_3gpuE9ELNS1_3repE0EEENS1_30default_config_static_selectorELNS0_4arch9wavefront6targetE1EEEvS17_.num_vgpr, 0
	.set _ZN7rocprim17ROCPRIM_400000_NS6detail17trampoline_kernelINS0_14default_configENS1_22reduce_config_selectorIN6thrust23THRUST_200600_302600_NS5tupleIblNS6_9null_typeES8_S8_S8_S8_S8_S8_S8_EEEEZNS1_11reduce_implILb1ES3_NS6_12zip_iteratorINS7_INS6_11hip_rocprim26transform_input_iterator_tIbPaNS6_6detail10functional5actorINSH_9compositeIJNSH_27transparent_binary_operatorINS6_8equal_toIvEEEENSI_INSH_8argumentILj0EEEEENSH_5valueIaEEEEEEEEENSD_19counting_iterator_tIlEES8_S8_S8_S8_S8_S8_S8_S8_EEEEPS9_S9_NSD_9__find_if7functorIS9_EEEE10hipError_tPvRmT1_T2_T3_mT4_P12ihipStream_tbEUlT_E1_NS1_11comp_targetILNS1_3genE5ELNS1_11target_archE942ELNS1_3gpuE9ELNS1_3repE0EEENS1_30default_config_static_selectorELNS0_4arch9wavefront6targetE1EEEvS17_.num_agpr, 0
	.set _ZN7rocprim17ROCPRIM_400000_NS6detail17trampoline_kernelINS0_14default_configENS1_22reduce_config_selectorIN6thrust23THRUST_200600_302600_NS5tupleIblNS6_9null_typeES8_S8_S8_S8_S8_S8_S8_EEEEZNS1_11reduce_implILb1ES3_NS6_12zip_iteratorINS7_INS6_11hip_rocprim26transform_input_iterator_tIbPaNS6_6detail10functional5actorINSH_9compositeIJNSH_27transparent_binary_operatorINS6_8equal_toIvEEEENSI_INSH_8argumentILj0EEEEENSH_5valueIaEEEEEEEEENSD_19counting_iterator_tIlEES8_S8_S8_S8_S8_S8_S8_S8_EEEEPS9_S9_NSD_9__find_if7functorIS9_EEEE10hipError_tPvRmT1_T2_T3_mT4_P12ihipStream_tbEUlT_E1_NS1_11comp_targetILNS1_3genE5ELNS1_11target_archE942ELNS1_3gpuE9ELNS1_3repE0EEENS1_30default_config_static_selectorELNS0_4arch9wavefront6targetE1EEEvS17_.numbered_sgpr, 0
	.set _ZN7rocprim17ROCPRIM_400000_NS6detail17trampoline_kernelINS0_14default_configENS1_22reduce_config_selectorIN6thrust23THRUST_200600_302600_NS5tupleIblNS6_9null_typeES8_S8_S8_S8_S8_S8_S8_EEEEZNS1_11reduce_implILb1ES3_NS6_12zip_iteratorINS7_INS6_11hip_rocprim26transform_input_iterator_tIbPaNS6_6detail10functional5actorINSH_9compositeIJNSH_27transparent_binary_operatorINS6_8equal_toIvEEEENSI_INSH_8argumentILj0EEEEENSH_5valueIaEEEEEEEEENSD_19counting_iterator_tIlEES8_S8_S8_S8_S8_S8_S8_S8_EEEEPS9_S9_NSD_9__find_if7functorIS9_EEEE10hipError_tPvRmT1_T2_T3_mT4_P12ihipStream_tbEUlT_E1_NS1_11comp_targetILNS1_3genE5ELNS1_11target_archE942ELNS1_3gpuE9ELNS1_3repE0EEENS1_30default_config_static_selectorELNS0_4arch9wavefront6targetE1EEEvS17_.num_named_barrier, 0
	.set _ZN7rocprim17ROCPRIM_400000_NS6detail17trampoline_kernelINS0_14default_configENS1_22reduce_config_selectorIN6thrust23THRUST_200600_302600_NS5tupleIblNS6_9null_typeES8_S8_S8_S8_S8_S8_S8_EEEEZNS1_11reduce_implILb1ES3_NS6_12zip_iteratorINS7_INS6_11hip_rocprim26transform_input_iterator_tIbPaNS6_6detail10functional5actorINSH_9compositeIJNSH_27transparent_binary_operatorINS6_8equal_toIvEEEENSI_INSH_8argumentILj0EEEEENSH_5valueIaEEEEEEEEENSD_19counting_iterator_tIlEES8_S8_S8_S8_S8_S8_S8_S8_EEEEPS9_S9_NSD_9__find_if7functorIS9_EEEE10hipError_tPvRmT1_T2_T3_mT4_P12ihipStream_tbEUlT_E1_NS1_11comp_targetILNS1_3genE5ELNS1_11target_archE942ELNS1_3gpuE9ELNS1_3repE0EEENS1_30default_config_static_selectorELNS0_4arch9wavefront6targetE1EEEvS17_.private_seg_size, 0
	.set _ZN7rocprim17ROCPRIM_400000_NS6detail17trampoline_kernelINS0_14default_configENS1_22reduce_config_selectorIN6thrust23THRUST_200600_302600_NS5tupleIblNS6_9null_typeES8_S8_S8_S8_S8_S8_S8_EEEEZNS1_11reduce_implILb1ES3_NS6_12zip_iteratorINS7_INS6_11hip_rocprim26transform_input_iterator_tIbPaNS6_6detail10functional5actorINSH_9compositeIJNSH_27transparent_binary_operatorINS6_8equal_toIvEEEENSI_INSH_8argumentILj0EEEEENSH_5valueIaEEEEEEEEENSD_19counting_iterator_tIlEES8_S8_S8_S8_S8_S8_S8_S8_EEEEPS9_S9_NSD_9__find_if7functorIS9_EEEE10hipError_tPvRmT1_T2_T3_mT4_P12ihipStream_tbEUlT_E1_NS1_11comp_targetILNS1_3genE5ELNS1_11target_archE942ELNS1_3gpuE9ELNS1_3repE0EEENS1_30default_config_static_selectorELNS0_4arch9wavefront6targetE1EEEvS17_.uses_vcc, 0
	.set _ZN7rocprim17ROCPRIM_400000_NS6detail17trampoline_kernelINS0_14default_configENS1_22reduce_config_selectorIN6thrust23THRUST_200600_302600_NS5tupleIblNS6_9null_typeES8_S8_S8_S8_S8_S8_S8_EEEEZNS1_11reduce_implILb1ES3_NS6_12zip_iteratorINS7_INS6_11hip_rocprim26transform_input_iterator_tIbPaNS6_6detail10functional5actorINSH_9compositeIJNSH_27transparent_binary_operatorINS6_8equal_toIvEEEENSI_INSH_8argumentILj0EEEEENSH_5valueIaEEEEEEEEENSD_19counting_iterator_tIlEES8_S8_S8_S8_S8_S8_S8_S8_EEEEPS9_S9_NSD_9__find_if7functorIS9_EEEE10hipError_tPvRmT1_T2_T3_mT4_P12ihipStream_tbEUlT_E1_NS1_11comp_targetILNS1_3genE5ELNS1_11target_archE942ELNS1_3gpuE9ELNS1_3repE0EEENS1_30default_config_static_selectorELNS0_4arch9wavefront6targetE1EEEvS17_.uses_flat_scratch, 0
	.set _ZN7rocprim17ROCPRIM_400000_NS6detail17trampoline_kernelINS0_14default_configENS1_22reduce_config_selectorIN6thrust23THRUST_200600_302600_NS5tupleIblNS6_9null_typeES8_S8_S8_S8_S8_S8_S8_EEEEZNS1_11reduce_implILb1ES3_NS6_12zip_iteratorINS7_INS6_11hip_rocprim26transform_input_iterator_tIbPaNS6_6detail10functional5actorINSH_9compositeIJNSH_27transparent_binary_operatorINS6_8equal_toIvEEEENSI_INSH_8argumentILj0EEEEENSH_5valueIaEEEEEEEEENSD_19counting_iterator_tIlEES8_S8_S8_S8_S8_S8_S8_S8_EEEEPS9_S9_NSD_9__find_if7functorIS9_EEEE10hipError_tPvRmT1_T2_T3_mT4_P12ihipStream_tbEUlT_E1_NS1_11comp_targetILNS1_3genE5ELNS1_11target_archE942ELNS1_3gpuE9ELNS1_3repE0EEENS1_30default_config_static_selectorELNS0_4arch9wavefront6targetE1EEEvS17_.has_dyn_sized_stack, 0
	.set _ZN7rocprim17ROCPRIM_400000_NS6detail17trampoline_kernelINS0_14default_configENS1_22reduce_config_selectorIN6thrust23THRUST_200600_302600_NS5tupleIblNS6_9null_typeES8_S8_S8_S8_S8_S8_S8_EEEEZNS1_11reduce_implILb1ES3_NS6_12zip_iteratorINS7_INS6_11hip_rocprim26transform_input_iterator_tIbPaNS6_6detail10functional5actorINSH_9compositeIJNSH_27transparent_binary_operatorINS6_8equal_toIvEEEENSI_INSH_8argumentILj0EEEEENSH_5valueIaEEEEEEEEENSD_19counting_iterator_tIlEES8_S8_S8_S8_S8_S8_S8_S8_EEEEPS9_S9_NSD_9__find_if7functorIS9_EEEE10hipError_tPvRmT1_T2_T3_mT4_P12ihipStream_tbEUlT_E1_NS1_11comp_targetILNS1_3genE5ELNS1_11target_archE942ELNS1_3gpuE9ELNS1_3repE0EEENS1_30default_config_static_selectorELNS0_4arch9wavefront6targetE1EEEvS17_.has_recursion, 0
	.set _ZN7rocprim17ROCPRIM_400000_NS6detail17trampoline_kernelINS0_14default_configENS1_22reduce_config_selectorIN6thrust23THRUST_200600_302600_NS5tupleIblNS6_9null_typeES8_S8_S8_S8_S8_S8_S8_EEEEZNS1_11reduce_implILb1ES3_NS6_12zip_iteratorINS7_INS6_11hip_rocprim26transform_input_iterator_tIbPaNS6_6detail10functional5actorINSH_9compositeIJNSH_27transparent_binary_operatorINS6_8equal_toIvEEEENSI_INSH_8argumentILj0EEEEENSH_5valueIaEEEEEEEEENSD_19counting_iterator_tIlEES8_S8_S8_S8_S8_S8_S8_S8_EEEEPS9_S9_NSD_9__find_if7functorIS9_EEEE10hipError_tPvRmT1_T2_T3_mT4_P12ihipStream_tbEUlT_E1_NS1_11comp_targetILNS1_3genE5ELNS1_11target_archE942ELNS1_3gpuE9ELNS1_3repE0EEENS1_30default_config_static_selectorELNS0_4arch9wavefront6targetE1EEEvS17_.has_indirect_call, 0
	.section	.AMDGPU.csdata,"",@progbits
; Kernel info:
; codeLenInByte = 0
; TotalNumSgprs: 4
; NumVgprs: 0
; ScratchSize: 0
; MemoryBound: 0
; FloatMode: 240
; IeeeMode: 1
; LDSByteSize: 0 bytes/workgroup (compile time only)
; SGPRBlocks: 0
; VGPRBlocks: 0
; NumSGPRsForWavesPerEU: 4
; NumVGPRsForWavesPerEU: 1
; Occupancy: 10
; WaveLimiterHint : 0
; COMPUTE_PGM_RSRC2:SCRATCH_EN: 0
; COMPUTE_PGM_RSRC2:USER_SGPR: 6
; COMPUTE_PGM_RSRC2:TRAP_HANDLER: 0
; COMPUTE_PGM_RSRC2:TGID_X_EN: 1
; COMPUTE_PGM_RSRC2:TGID_Y_EN: 0
; COMPUTE_PGM_RSRC2:TGID_Z_EN: 0
; COMPUTE_PGM_RSRC2:TIDIG_COMP_CNT: 0
	.section	.text._ZN7rocprim17ROCPRIM_400000_NS6detail17trampoline_kernelINS0_14default_configENS1_22reduce_config_selectorIN6thrust23THRUST_200600_302600_NS5tupleIblNS6_9null_typeES8_S8_S8_S8_S8_S8_S8_EEEEZNS1_11reduce_implILb1ES3_NS6_12zip_iteratorINS7_INS6_11hip_rocprim26transform_input_iterator_tIbPaNS6_6detail10functional5actorINSH_9compositeIJNSH_27transparent_binary_operatorINS6_8equal_toIvEEEENSI_INSH_8argumentILj0EEEEENSH_5valueIaEEEEEEEEENSD_19counting_iterator_tIlEES8_S8_S8_S8_S8_S8_S8_S8_EEEEPS9_S9_NSD_9__find_if7functorIS9_EEEE10hipError_tPvRmT1_T2_T3_mT4_P12ihipStream_tbEUlT_E1_NS1_11comp_targetILNS1_3genE4ELNS1_11target_archE910ELNS1_3gpuE8ELNS1_3repE0EEENS1_30default_config_static_selectorELNS0_4arch9wavefront6targetE1EEEvS17_,"axG",@progbits,_ZN7rocprim17ROCPRIM_400000_NS6detail17trampoline_kernelINS0_14default_configENS1_22reduce_config_selectorIN6thrust23THRUST_200600_302600_NS5tupleIblNS6_9null_typeES8_S8_S8_S8_S8_S8_S8_EEEEZNS1_11reduce_implILb1ES3_NS6_12zip_iteratorINS7_INS6_11hip_rocprim26transform_input_iterator_tIbPaNS6_6detail10functional5actorINSH_9compositeIJNSH_27transparent_binary_operatorINS6_8equal_toIvEEEENSI_INSH_8argumentILj0EEEEENSH_5valueIaEEEEEEEEENSD_19counting_iterator_tIlEES8_S8_S8_S8_S8_S8_S8_S8_EEEEPS9_S9_NSD_9__find_if7functorIS9_EEEE10hipError_tPvRmT1_T2_T3_mT4_P12ihipStream_tbEUlT_E1_NS1_11comp_targetILNS1_3genE4ELNS1_11target_archE910ELNS1_3gpuE8ELNS1_3repE0EEENS1_30default_config_static_selectorELNS0_4arch9wavefront6targetE1EEEvS17_,comdat
	.protected	_ZN7rocprim17ROCPRIM_400000_NS6detail17trampoline_kernelINS0_14default_configENS1_22reduce_config_selectorIN6thrust23THRUST_200600_302600_NS5tupleIblNS6_9null_typeES8_S8_S8_S8_S8_S8_S8_EEEEZNS1_11reduce_implILb1ES3_NS6_12zip_iteratorINS7_INS6_11hip_rocprim26transform_input_iterator_tIbPaNS6_6detail10functional5actorINSH_9compositeIJNSH_27transparent_binary_operatorINS6_8equal_toIvEEEENSI_INSH_8argumentILj0EEEEENSH_5valueIaEEEEEEEEENSD_19counting_iterator_tIlEES8_S8_S8_S8_S8_S8_S8_S8_EEEEPS9_S9_NSD_9__find_if7functorIS9_EEEE10hipError_tPvRmT1_T2_T3_mT4_P12ihipStream_tbEUlT_E1_NS1_11comp_targetILNS1_3genE4ELNS1_11target_archE910ELNS1_3gpuE8ELNS1_3repE0EEENS1_30default_config_static_selectorELNS0_4arch9wavefront6targetE1EEEvS17_ ; -- Begin function _ZN7rocprim17ROCPRIM_400000_NS6detail17trampoline_kernelINS0_14default_configENS1_22reduce_config_selectorIN6thrust23THRUST_200600_302600_NS5tupleIblNS6_9null_typeES8_S8_S8_S8_S8_S8_S8_EEEEZNS1_11reduce_implILb1ES3_NS6_12zip_iteratorINS7_INS6_11hip_rocprim26transform_input_iterator_tIbPaNS6_6detail10functional5actorINSH_9compositeIJNSH_27transparent_binary_operatorINS6_8equal_toIvEEEENSI_INSH_8argumentILj0EEEEENSH_5valueIaEEEEEEEEENSD_19counting_iterator_tIlEES8_S8_S8_S8_S8_S8_S8_S8_EEEEPS9_S9_NSD_9__find_if7functorIS9_EEEE10hipError_tPvRmT1_T2_T3_mT4_P12ihipStream_tbEUlT_E1_NS1_11comp_targetILNS1_3genE4ELNS1_11target_archE910ELNS1_3gpuE8ELNS1_3repE0EEENS1_30default_config_static_selectorELNS0_4arch9wavefront6targetE1EEEvS17_
	.globl	_ZN7rocprim17ROCPRIM_400000_NS6detail17trampoline_kernelINS0_14default_configENS1_22reduce_config_selectorIN6thrust23THRUST_200600_302600_NS5tupleIblNS6_9null_typeES8_S8_S8_S8_S8_S8_S8_EEEEZNS1_11reduce_implILb1ES3_NS6_12zip_iteratorINS7_INS6_11hip_rocprim26transform_input_iterator_tIbPaNS6_6detail10functional5actorINSH_9compositeIJNSH_27transparent_binary_operatorINS6_8equal_toIvEEEENSI_INSH_8argumentILj0EEEEENSH_5valueIaEEEEEEEEENSD_19counting_iterator_tIlEES8_S8_S8_S8_S8_S8_S8_S8_EEEEPS9_S9_NSD_9__find_if7functorIS9_EEEE10hipError_tPvRmT1_T2_T3_mT4_P12ihipStream_tbEUlT_E1_NS1_11comp_targetILNS1_3genE4ELNS1_11target_archE910ELNS1_3gpuE8ELNS1_3repE0EEENS1_30default_config_static_selectorELNS0_4arch9wavefront6targetE1EEEvS17_
	.p2align	8
	.type	_ZN7rocprim17ROCPRIM_400000_NS6detail17trampoline_kernelINS0_14default_configENS1_22reduce_config_selectorIN6thrust23THRUST_200600_302600_NS5tupleIblNS6_9null_typeES8_S8_S8_S8_S8_S8_S8_EEEEZNS1_11reduce_implILb1ES3_NS6_12zip_iteratorINS7_INS6_11hip_rocprim26transform_input_iterator_tIbPaNS6_6detail10functional5actorINSH_9compositeIJNSH_27transparent_binary_operatorINS6_8equal_toIvEEEENSI_INSH_8argumentILj0EEEEENSH_5valueIaEEEEEEEEENSD_19counting_iterator_tIlEES8_S8_S8_S8_S8_S8_S8_S8_EEEEPS9_S9_NSD_9__find_if7functorIS9_EEEE10hipError_tPvRmT1_T2_T3_mT4_P12ihipStream_tbEUlT_E1_NS1_11comp_targetILNS1_3genE4ELNS1_11target_archE910ELNS1_3gpuE8ELNS1_3repE0EEENS1_30default_config_static_selectorELNS0_4arch9wavefront6targetE1EEEvS17_,@function
_ZN7rocprim17ROCPRIM_400000_NS6detail17trampoline_kernelINS0_14default_configENS1_22reduce_config_selectorIN6thrust23THRUST_200600_302600_NS5tupleIblNS6_9null_typeES8_S8_S8_S8_S8_S8_S8_EEEEZNS1_11reduce_implILb1ES3_NS6_12zip_iteratorINS7_INS6_11hip_rocprim26transform_input_iterator_tIbPaNS6_6detail10functional5actorINSH_9compositeIJNSH_27transparent_binary_operatorINS6_8equal_toIvEEEENSI_INSH_8argumentILj0EEEEENSH_5valueIaEEEEEEEEENSD_19counting_iterator_tIlEES8_S8_S8_S8_S8_S8_S8_S8_EEEEPS9_S9_NSD_9__find_if7functorIS9_EEEE10hipError_tPvRmT1_T2_T3_mT4_P12ihipStream_tbEUlT_E1_NS1_11comp_targetILNS1_3genE4ELNS1_11target_archE910ELNS1_3gpuE8ELNS1_3repE0EEENS1_30default_config_static_selectorELNS0_4arch9wavefront6targetE1EEEvS17_: ; @_ZN7rocprim17ROCPRIM_400000_NS6detail17trampoline_kernelINS0_14default_configENS1_22reduce_config_selectorIN6thrust23THRUST_200600_302600_NS5tupleIblNS6_9null_typeES8_S8_S8_S8_S8_S8_S8_EEEEZNS1_11reduce_implILb1ES3_NS6_12zip_iteratorINS7_INS6_11hip_rocprim26transform_input_iterator_tIbPaNS6_6detail10functional5actorINSH_9compositeIJNSH_27transparent_binary_operatorINS6_8equal_toIvEEEENSI_INSH_8argumentILj0EEEEENSH_5valueIaEEEEEEEEENSD_19counting_iterator_tIlEES8_S8_S8_S8_S8_S8_S8_S8_EEEEPS9_S9_NSD_9__find_if7functorIS9_EEEE10hipError_tPvRmT1_T2_T3_mT4_P12ihipStream_tbEUlT_E1_NS1_11comp_targetILNS1_3genE4ELNS1_11target_archE910ELNS1_3gpuE8ELNS1_3repE0EEENS1_30default_config_static_selectorELNS0_4arch9wavefront6targetE1EEEvS17_
; %bb.0:
	.section	.rodata,"a",@progbits
	.p2align	6, 0x0
	.amdhsa_kernel _ZN7rocprim17ROCPRIM_400000_NS6detail17trampoline_kernelINS0_14default_configENS1_22reduce_config_selectorIN6thrust23THRUST_200600_302600_NS5tupleIblNS6_9null_typeES8_S8_S8_S8_S8_S8_S8_EEEEZNS1_11reduce_implILb1ES3_NS6_12zip_iteratorINS7_INS6_11hip_rocprim26transform_input_iterator_tIbPaNS6_6detail10functional5actorINSH_9compositeIJNSH_27transparent_binary_operatorINS6_8equal_toIvEEEENSI_INSH_8argumentILj0EEEEENSH_5valueIaEEEEEEEEENSD_19counting_iterator_tIlEES8_S8_S8_S8_S8_S8_S8_S8_EEEEPS9_S9_NSD_9__find_if7functorIS9_EEEE10hipError_tPvRmT1_T2_T3_mT4_P12ihipStream_tbEUlT_E1_NS1_11comp_targetILNS1_3genE4ELNS1_11target_archE910ELNS1_3gpuE8ELNS1_3repE0EEENS1_30default_config_static_selectorELNS0_4arch9wavefront6targetE1EEEvS17_
		.amdhsa_group_segment_fixed_size 0
		.amdhsa_private_segment_fixed_size 0
		.amdhsa_kernarg_size 72
		.amdhsa_user_sgpr_count 6
		.amdhsa_user_sgpr_private_segment_buffer 1
		.amdhsa_user_sgpr_dispatch_ptr 0
		.amdhsa_user_sgpr_queue_ptr 0
		.amdhsa_user_sgpr_kernarg_segment_ptr 1
		.amdhsa_user_sgpr_dispatch_id 0
		.amdhsa_user_sgpr_flat_scratch_init 0
		.amdhsa_user_sgpr_private_segment_size 0
		.amdhsa_uses_dynamic_stack 0
		.amdhsa_system_sgpr_private_segment_wavefront_offset 0
		.amdhsa_system_sgpr_workgroup_id_x 1
		.amdhsa_system_sgpr_workgroup_id_y 0
		.amdhsa_system_sgpr_workgroup_id_z 0
		.amdhsa_system_sgpr_workgroup_info 0
		.amdhsa_system_vgpr_workitem_id 0
		.amdhsa_next_free_vgpr 1
		.amdhsa_next_free_sgpr 0
		.amdhsa_reserve_vcc 0
		.amdhsa_reserve_flat_scratch 0
		.amdhsa_float_round_mode_32 0
		.amdhsa_float_round_mode_16_64 0
		.amdhsa_float_denorm_mode_32 3
		.amdhsa_float_denorm_mode_16_64 3
		.amdhsa_dx10_clamp 1
		.amdhsa_ieee_mode 1
		.amdhsa_fp16_overflow 0
		.amdhsa_exception_fp_ieee_invalid_op 0
		.amdhsa_exception_fp_denorm_src 0
		.amdhsa_exception_fp_ieee_div_zero 0
		.amdhsa_exception_fp_ieee_overflow 0
		.amdhsa_exception_fp_ieee_underflow 0
		.amdhsa_exception_fp_ieee_inexact 0
		.amdhsa_exception_int_div_zero 0
	.end_amdhsa_kernel
	.section	.text._ZN7rocprim17ROCPRIM_400000_NS6detail17trampoline_kernelINS0_14default_configENS1_22reduce_config_selectorIN6thrust23THRUST_200600_302600_NS5tupleIblNS6_9null_typeES8_S8_S8_S8_S8_S8_S8_EEEEZNS1_11reduce_implILb1ES3_NS6_12zip_iteratorINS7_INS6_11hip_rocprim26transform_input_iterator_tIbPaNS6_6detail10functional5actorINSH_9compositeIJNSH_27transparent_binary_operatorINS6_8equal_toIvEEEENSI_INSH_8argumentILj0EEEEENSH_5valueIaEEEEEEEEENSD_19counting_iterator_tIlEES8_S8_S8_S8_S8_S8_S8_S8_EEEEPS9_S9_NSD_9__find_if7functorIS9_EEEE10hipError_tPvRmT1_T2_T3_mT4_P12ihipStream_tbEUlT_E1_NS1_11comp_targetILNS1_3genE4ELNS1_11target_archE910ELNS1_3gpuE8ELNS1_3repE0EEENS1_30default_config_static_selectorELNS0_4arch9wavefront6targetE1EEEvS17_,"axG",@progbits,_ZN7rocprim17ROCPRIM_400000_NS6detail17trampoline_kernelINS0_14default_configENS1_22reduce_config_selectorIN6thrust23THRUST_200600_302600_NS5tupleIblNS6_9null_typeES8_S8_S8_S8_S8_S8_S8_EEEEZNS1_11reduce_implILb1ES3_NS6_12zip_iteratorINS7_INS6_11hip_rocprim26transform_input_iterator_tIbPaNS6_6detail10functional5actorINSH_9compositeIJNSH_27transparent_binary_operatorINS6_8equal_toIvEEEENSI_INSH_8argumentILj0EEEEENSH_5valueIaEEEEEEEEENSD_19counting_iterator_tIlEES8_S8_S8_S8_S8_S8_S8_S8_EEEEPS9_S9_NSD_9__find_if7functorIS9_EEEE10hipError_tPvRmT1_T2_T3_mT4_P12ihipStream_tbEUlT_E1_NS1_11comp_targetILNS1_3genE4ELNS1_11target_archE910ELNS1_3gpuE8ELNS1_3repE0EEENS1_30default_config_static_selectorELNS0_4arch9wavefront6targetE1EEEvS17_,comdat
.Lfunc_end719:
	.size	_ZN7rocprim17ROCPRIM_400000_NS6detail17trampoline_kernelINS0_14default_configENS1_22reduce_config_selectorIN6thrust23THRUST_200600_302600_NS5tupleIblNS6_9null_typeES8_S8_S8_S8_S8_S8_S8_EEEEZNS1_11reduce_implILb1ES3_NS6_12zip_iteratorINS7_INS6_11hip_rocprim26transform_input_iterator_tIbPaNS6_6detail10functional5actorINSH_9compositeIJNSH_27transparent_binary_operatorINS6_8equal_toIvEEEENSI_INSH_8argumentILj0EEEEENSH_5valueIaEEEEEEEEENSD_19counting_iterator_tIlEES8_S8_S8_S8_S8_S8_S8_S8_EEEEPS9_S9_NSD_9__find_if7functorIS9_EEEE10hipError_tPvRmT1_T2_T3_mT4_P12ihipStream_tbEUlT_E1_NS1_11comp_targetILNS1_3genE4ELNS1_11target_archE910ELNS1_3gpuE8ELNS1_3repE0EEENS1_30default_config_static_selectorELNS0_4arch9wavefront6targetE1EEEvS17_, .Lfunc_end719-_ZN7rocprim17ROCPRIM_400000_NS6detail17trampoline_kernelINS0_14default_configENS1_22reduce_config_selectorIN6thrust23THRUST_200600_302600_NS5tupleIblNS6_9null_typeES8_S8_S8_S8_S8_S8_S8_EEEEZNS1_11reduce_implILb1ES3_NS6_12zip_iteratorINS7_INS6_11hip_rocprim26transform_input_iterator_tIbPaNS6_6detail10functional5actorINSH_9compositeIJNSH_27transparent_binary_operatorINS6_8equal_toIvEEEENSI_INSH_8argumentILj0EEEEENSH_5valueIaEEEEEEEEENSD_19counting_iterator_tIlEES8_S8_S8_S8_S8_S8_S8_S8_EEEEPS9_S9_NSD_9__find_if7functorIS9_EEEE10hipError_tPvRmT1_T2_T3_mT4_P12ihipStream_tbEUlT_E1_NS1_11comp_targetILNS1_3genE4ELNS1_11target_archE910ELNS1_3gpuE8ELNS1_3repE0EEENS1_30default_config_static_selectorELNS0_4arch9wavefront6targetE1EEEvS17_
                                        ; -- End function
	.set _ZN7rocprim17ROCPRIM_400000_NS6detail17trampoline_kernelINS0_14default_configENS1_22reduce_config_selectorIN6thrust23THRUST_200600_302600_NS5tupleIblNS6_9null_typeES8_S8_S8_S8_S8_S8_S8_EEEEZNS1_11reduce_implILb1ES3_NS6_12zip_iteratorINS7_INS6_11hip_rocprim26transform_input_iterator_tIbPaNS6_6detail10functional5actorINSH_9compositeIJNSH_27transparent_binary_operatorINS6_8equal_toIvEEEENSI_INSH_8argumentILj0EEEEENSH_5valueIaEEEEEEEEENSD_19counting_iterator_tIlEES8_S8_S8_S8_S8_S8_S8_S8_EEEEPS9_S9_NSD_9__find_if7functorIS9_EEEE10hipError_tPvRmT1_T2_T3_mT4_P12ihipStream_tbEUlT_E1_NS1_11comp_targetILNS1_3genE4ELNS1_11target_archE910ELNS1_3gpuE8ELNS1_3repE0EEENS1_30default_config_static_selectorELNS0_4arch9wavefront6targetE1EEEvS17_.num_vgpr, 0
	.set _ZN7rocprim17ROCPRIM_400000_NS6detail17trampoline_kernelINS0_14default_configENS1_22reduce_config_selectorIN6thrust23THRUST_200600_302600_NS5tupleIblNS6_9null_typeES8_S8_S8_S8_S8_S8_S8_EEEEZNS1_11reduce_implILb1ES3_NS6_12zip_iteratorINS7_INS6_11hip_rocprim26transform_input_iterator_tIbPaNS6_6detail10functional5actorINSH_9compositeIJNSH_27transparent_binary_operatorINS6_8equal_toIvEEEENSI_INSH_8argumentILj0EEEEENSH_5valueIaEEEEEEEEENSD_19counting_iterator_tIlEES8_S8_S8_S8_S8_S8_S8_S8_EEEEPS9_S9_NSD_9__find_if7functorIS9_EEEE10hipError_tPvRmT1_T2_T3_mT4_P12ihipStream_tbEUlT_E1_NS1_11comp_targetILNS1_3genE4ELNS1_11target_archE910ELNS1_3gpuE8ELNS1_3repE0EEENS1_30default_config_static_selectorELNS0_4arch9wavefront6targetE1EEEvS17_.num_agpr, 0
	.set _ZN7rocprim17ROCPRIM_400000_NS6detail17trampoline_kernelINS0_14default_configENS1_22reduce_config_selectorIN6thrust23THRUST_200600_302600_NS5tupleIblNS6_9null_typeES8_S8_S8_S8_S8_S8_S8_EEEEZNS1_11reduce_implILb1ES3_NS6_12zip_iteratorINS7_INS6_11hip_rocprim26transform_input_iterator_tIbPaNS6_6detail10functional5actorINSH_9compositeIJNSH_27transparent_binary_operatorINS6_8equal_toIvEEEENSI_INSH_8argumentILj0EEEEENSH_5valueIaEEEEEEEEENSD_19counting_iterator_tIlEES8_S8_S8_S8_S8_S8_S8_S8_EEEEPS9_S9_NSD_9__find_if7functorIS9_EEEE10hipError_tPvRmT1_T2_T3_mT4_P12ihipStream_tbEUlT_E1_NS1_11comp_targetILNS1_3genE4ELNS1_11target_archE910ELNS1_3gpuE8ELNS1_3repE0EEENS1_30default_config_static_selectorELNS0_4arch9wavefront6targetE1EEEvS17_.numbered_sgpr, 0
	.set _ZN7rocprim17ROCPRIM_400000_NS6detail17trampoline_kernelINS0_14default_configENS1_22reduce_config_selectorIN6thrust23THRUST_200600_302600_NS5tupleIblNS6_9null_typeES8_S8_S8_S8_S8_S8_S8_EEEEZNS1_11reduce_implILb1ES3_NS6_12zip_iteratorINS7_INS6_11hip_rocprim26transform_input_iterator_tIbPaNS6_6detail10functional5actorINSH_9compositeIJNSH_27transparent_binary_operatorINS6_8equal_toIvEEEENSI_INSH_8argumentILj0EEEEENSH_5valueIaEEEEEEEEENSD_19counting_iterator_tIlEES8_S8_S8_S8_S8_S8_S8_S8_EEEEPS9_S9_NSD_9__find_if7functorIS9_EEEE10hipError_tPvRmT1_T2_T3_mT4_P12ihipStream_tbEUlT_E1_NS1_11comp_targetILNS1_3genE4ELNS1_11target_archE910ELNS1_3gpuE8ELNS1_3repE0EEENS1_30default_config_static_selectorELNS0_4arch9wavefront6targetE1EEEvS17_.num_named_barrier, 0
	.set _ZN7rocprim17ROCPRIM_400000_NS6detail17trampoline_kernelINS0_14default_configENS1_22reduce_config_selectorIN6thrust23THRUST_200600_302600_NS5tupleIblNS6_9null_typeES8_S8_S8_S8_S8_S8_S8_EEEEZNS1_11reduce_implILb1ES3_NS6_12zip_iteratorINS7_INS6_11hip_rocprim26transform_input_iterator_tIbPaNS6_6detail10functional5actorINSH_9compositeIJNSH_27transparent_binary_operatorINS6_8equal_toIvEEEENSI_INSH_8argumentILj0EEEEENSH_5valueIaEEEEEEEEENSD_19counting_iterator_tIlEES8_S8_S8_S8_S8_S8_S8_S8_EEEEPS9_S9_NSD_9__find_if7functorIS9_EEEE10hipError_tPvRmT1_T2_T3_mT4_P12ihipStream_tbEUlT_E1_NS1_11comp_targetILNS1_3genE4ELNS1_11target_archE910ELNS1_3gpuE8ELNS1_3repE0EEENS1_30default_config_static_selectorELNS0_4arch9wavefront6targetE1EEEvS17_.private_seg_size, 0
	.set _ZN7rocprim17ROCPRIM_400000_NS6detail17trampoline_kernelINS0_14default_configENS1_22reduce_config_selectorIN6thrust23THRUST_200600_302600_NS5tupleIblNS6_9null_typeES8_S8_S8_S8_S8_S8_S8_EEEEZNS1_11reduce_implILb1ES3_NS6_12zip_iteratorINS7_INS6_11hip_rocprim26transform_input_iterator_tIbPaNS6_6detail10functional5actorINSH_9compositeIJNSH_27transparent_binary_operatorINS6_8equal_toIvEEEENSI_INSH_8argumentILj0EEEEENSH_5valueIaEEEEEEEEENSD_19counting_iterator_tIlEES8_S8_S8_S8_S8_S8_S8_S8_EEEEPS9_S9_NSD_9__find_if7functorIS9_EEEE10hipError_tPvRmT1_T2_T3_mT4_P12ihipStream_tbEUlT_E1_NS1_11comp_targetILNS1_3genE4ELNS1_11target_archE910ELNS1_3gpuE8ELNS1_3repE0EEENS1_30default_config_static_selectorELNS0_4arch9wavefront6targetE1EEEvS17_.uses_vcc, 0
	.set _ZN7rocprim17ROCPRIM_400000_NS6detail17trampoline_kernelINS0_14default_configENS1_22reduce_config_selectorIN6thrust23THRUST_200600_302600_NS5tupleIblNS6_9null_typeES8_S8_S8_S8_S8_S8_S8_EEEEZNS1_11reduce_implILb1ES3_NS6_12zip_iteratorINS7_INS6_11hip_rocprim26transform_input_iterator_tIbPaNS6_6detail10functional5actorINSH_9compositeIJNSH_27transparent_binary_operatorINS6_8equal_toIvEEEENSI_INSH_8argumentILj0EEEEENSH_5valueIaEEEEEEEEENSD_19counting_iterator_tIlEES8_S8_S8_S8_S8_S8_S8_S8_EEEEPS9_S9_NSD_9__find_if7functorIS9_EEEE10hipError_tPvRmT1_T2_T3_mT4_P12ihipStream_tbEUlT_E1_NS1_11comp_targetILNS1_3genE4ELNS1_11target_archE910ELNS1_3gpuE8ELNS1_3repE0EEENS1_30default_config_static_selectorELNS0_4arch9wavefront6targetE1EEEvS17_.uses_flat_scratch, 0
	.set _ZN7rocprim17ROCPRIM_400000_NS6detail17trampoline_kernelINS0_14default_configENS1_22reduce_config_selectorIN6thrust23THRUST_200600_302600_NS5tupleIblNS6_9null_typeES8_S8_S8_S8_S8_S8_S8_EEEEZNS1_11reduce_implILb1ES3_NS6_12zip_iteratorINS7_INS6_11hip_rocprim26transform_input_iterator_tIbPaNS6_6detail10functional5actorINSH_9compositeIJNSH_27transparent_binary_operatorINS6_8equal_toIvEEEENSI_INSH_8argumentILj0EEEEENSH_5valueIaEEEEEEEEENSD_19counting_iterator_tIlEES8_S8_S8_S8_S8_S8_S8_S8_EEEEPS9_S9_NSD_9__find_if7functorIS9_EEEE10hipError_tPvRmT1_T2_T3_mT4_P12ihipStream_tbEUlT_E1_NS1_11comp_targetILNS1_3genE4ELNS1_11target_archE910ELNS1_3gpuE8ELNS1_3repE0EEENS1_30default_config_static_selectorELNS0_4arch9wavefront6targetE1EEEvS17_.has_dyn_sized_stack, 0
	.set _ZN7rocprim17ROCPRIM_400000_NS6detail17trampoline_kernelINS0_14default_configENS1_22reduce_config_selectorIN6thrust23THRUST_200600_302600_NS5tupleIblNS6_9null_typeES8_S8_S8_S8_S8_S8_S8_EEEEZNS1_11reduce_implILb1ES3_NS6_12zip_iteratorINS7_INS6_11hip_rocprim26transform_input_iterator_tIbPaNS6_6detail10functional5actorINSH_9compositeIJNSH_27transparent_binary_operatorINS6_8equal_toIvEEEENSI_INSH_8argumentILj0EEEEENSH_5valueIaEEEEEEEEENSD_19counting_iterator_tIlEES8_S8_S8_S8_S8_S8_S8_S8_EEEEPS9_S9_NSD_9__find_if7functorIS9_EEEE10hipError_tPvRmT1_T2_T3_mT4_P12ihipStream_tbEUlT_E1_NS1_11comp_targetILNS1_3genE4ELNS1_11target_archE910ELNS1_3gpuE8ELNS1_3repE0EEENS1_30default_config_static_selectorELNS0_4arch9wavefront6targetE1EEEvS17_.has_recursion, 0
	.set _ZN7rocprim17ROCPRIM_400000_NS6detail17trampoline_kernelINS0_14default_configENS1_22reduce_config_selectorIN6thrust23THRUST_200600_302600_NS5tupleIblNS6_9null_typeES8_S8_S8_S8_S8_S8_S8_EEEEZNS1_11reduce_implILb1ES3_NS6_12zip_iteratorINS7_INS6_11hip_rocprim26transform_input_iterator_tIbPaNS6_6detail10functional5actorINSH_9compositeIJNSH_27transparent_binary_operatorINS6_8equal_toIvEEEENSI_INSH_8argumentILj0EEEEENSH_5valueIaEEEEEEEEENSD_19counting_iterator_tIlEES8_S8_S8_S8_S8_S8_S8_S8_EEEEPS9_S9_NSD_9__find_if7functorIS9_EEEE10hipError_tPvRmT1_T2_T3_mT4_P12ihipStream_tbEUlT_E1_NS1_11comp_targetILNS1_3genE4ELNS1_11target_archE910ELNS1_3gpuE8ELNS1_3repE0EEENS1_30default_config_static_selectorELNS0_4arch9wavefront6targetE1EEEvS17_.has_indirect_call, 0
	.section	.AMDGPU.csdata,"",@progbits
; Kernel info:
; codeLenInByte = 0
; TotalNumSgprs: 4
; NumVgprs: 0
; ScratchSize: 0
; MemoryBound: 0
; FloatMode: 240
; IeeeMode: 1
; LDSByteSize: 0 bytes/workgroup (compile time only)
; SGPRBlocks: 0
; VGPRBlocks: 0
; NumSGPRsForWavesPerEU: 4
; NumVGPRsForWavesPerEU: 1
; Occupancy: 10
; WaveLimiterHint : 0
; COMPUTE_PGM_RSRC2:SCRATCH_EN: 0
; COMPUTE_PGM_RSRC2:USER_SGPR: 6
; COMPUTE_PGM_RSRC2:TRAP_HANDLER: 0
; COMPUTE_PGM_RSRC2:TGID_X_EN: 1
; COMPUTE_PGM_RSRC2:TGID_Y_EN: 0
; COMPUTE_PGM_RSRC2:TGID_Z_EN: 0
; COMPUTE_PGM_RSRC2:TIDIG_COMP_CNT: 0
	.section	.text._ZN7rocprim17ROCPRIM_400000_NS6detail17trampoline_kernelINS0_14default_configENS1_22reduce_config_selectorIN6thrust23THRUST_200600_302600_NS5tupleIblNS6_9null_typeES8_S8_S8_S8_S8_S8_S8_EEEEZNS1_11reduce_implILb1ES3_NS6_12zip_iteratorINS7_INS6_11hip_rocprim26transform_input_iterator_tIbPaNS6_6detail10functional5actorINSH_9compositeIJNSH_27transparent_binary_operatorINS6_8equal_toIvEEEENSI_INSH_8argumentILj0EEEEENSH_5valueIaEEEEEEEEENSD_19counting_iterator_tIlEES8_S8_S8_S8_S8_S8_S8_S8_EEEEPS9_S9_NSD_9__find_if7functorIS9_EEEE10hipError_tPvRmT1_T2_T3_mT4_P12ihipStream_tbEUlT_E1_NS1_11comp_targetILNS1_3genE3ELNS1_11target_archE908ELNS1_3gpuE7ELNS1_3repE0EEENS1_30default_config_static_selectorELNS0_4arch9wavefront6targetE1EEEvS17_,"axG",@progbits,_ZN7rocprim17ROCPRIM_400000_NS6detail17trampoline_kernelINS0_14default_configENS1_22reduce_config_selectorIN6thrust23THRUST_200600_302600_NS5tupleIblNS6_9null_typeES8_S8_S8_S8_S8_S8_S8_EEEEZNS1_11reduce_implILb1ES3_NS6_12zip_iteratorINS7_INS6_11hip_rocprim26transform_input_iterator_tIbPaNS6_6detail10functional5actorINSH_9compositeIJNSH_27transparent_binary_operatorINS6_8equal_toIvEEEENSI_INSH_8argumentILj0EEEEENSH_5valueIaEEEEEEEEENSD_19counting_iterator_tIlEES8_S8_S8_S8_S8_S8_S8_S8_EEEEPS9_S9_NSD_9__find_if7functorIS9_EEEE10hipError_tPvRmT1_T2_T3_mT4_P12ihipStream_tbEUlT_E1_NS1_11comp_targetILNS1_3genE3ELNS1_11target_archE908ELNS1_3gpuE7ELNS1_3repE0EEENS1_30default_config_static_selectorELNS0_4arch9wavefront6targetE1EEEvS17_,comdat
	.protected	_ZN7rocprim17ROCPRIM_400000_NS6detail17trampoline_kernelINS0_14default_configENS1_22reduce_config_selectorIN6thrust23THRUST_200600_302600_NS5tupleIblNS6_9null_typeES8_S8_S8_S8_S8_S8_S8_EEEEZNS1_11reduce_implILb1ES3_NS6_12zip_iteratorINS7_INS6_11hip_rocprim26transform_input_iterator_tIbPaNS6_6detail10functional5actorINSH_9compositeIJNSH_27transparent_binary_operatorINS6_8equal_toIvEEEENSI_INSH_8argumentILj0EEEEENSH_5valueIaEEEEEEEEENSD_19counting_iterator_tIlEES8_S8_S8_S8_S8_S8_S8_S8_EEEEPS9_S9_NSD_9__find_if7functorIS9_EEEE10hipError_tPvRmT1_T2_T3_mT4_P12ihipStream_tbEUlT_E1_NS1_11comp_targetILNS1_3genE3ELNS1_11target_archE908ELNS1_3gpuE7ELNS1_3repE0EEENS1_30default_config_static_selectorELNS0_4arch9wavefront6targetE1EEEvS17_ ; -- Begin function _ZN7rocprim17ROCPRIM_400000_NS6detail17trampoline_kernelINS0_14default_configENS1_22reduce_config_selectorIN6thrust23THRUST_200600_302600_NS5tupleIblNS6_9null_typeES8_S8_S8_S8_S8_S8_S8_EEEEZNS1_11reduce_implILb1ES3_NS6_12zip_iteratorINS7_INS6_11hip_rocprim26transform_input_iterator_tIbPaNS6_6detail10functional5actorINSH_9compositeIJNSH_27transparent_binary_operatorINS6_8equal_toIvEEEENSI_INSH_8argumentILj0EEEEENSH_5valueIaEEEEEEEEENSD_19counting_iterator_tIlEES8_S8_S8_S8_S8_S8_S8_S8_EEEEPS9_S9_NSD_9__find_if7functorIS9_EEEE10hipError_tPvRmT1_T2_T3_mT4_P12ihipStream_tbEUlT_E1_NS1_11comp_targetILNS1_3genE3ELNS1_11target_archE908ELNS1_3gpuE7ELNS1_3repE0EEENS1_30default_config_static_selectorELNS0_4arch9wavefront6targetE1EEEvS17_
	.globl	_ZN7rocprim17ROCPRIM_400000_NS6detail17trampoline_kernelINS0_14default_configENS1_22reduce_config_selectorIN6thrust23THRUST_200600_302600_NS5tupleIblNS6_9null_typeES8_S8_S8_S8_S8_S8_S8_EEEEZNS1_11reduce_implILb1ES3_NS6_12zip_iteratorINS7_INS6_11hip_rocprim26transform_input_iterator_tIbPaNS6_6detail10functional5actorINSH_9compositeIJNSH_27transparent_binary_operatorINS6_8equal_toIvEEEENSI_INSH_8argumentILj0EEEEENSH_5valueIaEEEEEEEEENSD_19counting_iterator_tIlEES8_S8_S8_S8_S8_S8_S8_S8_EEEEPS9_S9_NSD_9__find_if7functorIS9_EEEE10hipError_tPvRmT1_T2_T3_mT4_P12ihipStream_tbEUlT_E1_NS1_11comp_targetILNS1_3genE3ELNS1_11target_archE908ELNS1_3gpuE7ELNS1_3repE0EEENS1_30default_config_static_selectorELNS0_4arch9wavefront6targetE1EEEvS17_
	.p2align	8
	.type	_ZN7rocprim17ROCPRIM_400000_NS6detail17trampoline_kernelINS0_14default_configENS1_22reduce_config_selectorIN6thrust23THRUST_200600_302600_NS5tupleIblNS6_9null_typeES8_S8_S8_S8_S8_S8_S8_EEEEZNS1_11reduce_implILb1ES3_NS6_12zip_iteratorINS7_INS6_11hip_rocprim26transform_input_iterator_tIbPaNS6_6detail10functional5actorINSH_9compositeIJNSH_27transparent_binary_operatorINS6_8equal_toIvEEEENSI_INSH_8argumentILj0EEEEENSH_5valueIaEEEEEEEEENSD_19counting_iterator_tIlEES8_S8_S8_S8_S8_S8_S8_S8_EEEEPS9_S9_NSD_9__find_if7functorIS9_EEEE10hipError_tPvRmT1_T2_T3_mT4_P12ihipStream_tbEUlT_E1_NS1_11comp_targetILNS1_3genE3ELNS1_11target_archE908ELNS1_3gpuE7ELNS1_3repE0EEENS1_30default_config_static_selectorELNS0_4arch9wavefront6targetE1EEEvS17_,@function
_ZN7rocprim17ROCPRIM_400000_NS6detail17trampoline_kernelINS0_14default_configENS1_22reduce_config_selectorIN6thrust23THRUST_200600_302600_NS5tupleIblNS6_9null_typeES8_S8_S8_S8_S8_S8_S8_EEEEZNS1_11reduce_implILb1ES3_NS6_12zip_iteratorINS7_INS6_11hip_rocprim26transform_input_iterator_tIbPaNS6_6detail10functional5actorINSH_9compositeIJNSH_27transparent_binary_operatorINS6_8equal_toIvEEEENSI_INSH_8argumentILj0EEEEENSH_5valueIaEEEEEEEEENSD_19counting_iterator_tIlEES8_S8_S8_S8_S8_S8_S8_S8_EEEEPS9_S9_NSD_9__find_if7functorIS9_EEEE10hipError_tPvRmT1_T2_T3_mT4_P12ihipStream_tbEUlT_E1_NS1_11comp_targetILNS1_3genE3ELNS1_11target_archE908ELNS1_3gpuE7ELNS1_3repE0EEENS1_30default_config_static_selectorELNS0_4arch9wavefront6targetE1EEEvS17_: ; @_ZN7rocprim17ROCPRIM_400000_NS6detail17trampoline_kernelINS0_14default_configENS1_22reduce_config_selectorIN6thrust23THRUST_200600_302600_NS5tupleIblNS6_9null_typeES8_S8_S8_S8_S8_S8_S8_EEEEZNS1_11reduce_implILb1ES3_NS6_12zip_iteratorINS7_INS6_11hip_rocprim26transform_input_iterator_tIbPaNS6_6detail10functional5actorINSH_9compositeIJNSH_27transparent_binary_operatorINS6_8equal_toIvEEEENSI_INSH_8argumentILj0EEEEENSH_5valueIaEEEEEEEEENSD_19counting_iterator_tIlEES8_S8_S8_S8_S8_S8_S8_S8_EEEEPS9_S9_NSD_9__find_if7functorIS9_EEEE10hipError_tPvRmT1_T2_T3_mT4_P12ihipStream_tbEUlT_E1_NS1_11comp_targetILNS1_3genE3ELNS1_11target_archE908ELNS1_3gpuE7ELNS1_3repE0EEENS1_30default_config_static_selectorELNS0_4arch9wavefront6targetE1EEEvS17_
; %bb.0:
	.section	.rodata,"a",@progbits
	.p2align	6, 0x0
	.amdhsa_kernel _ZN7rocprim17ROCPRIM_400000_NS6detail17trampoline_kernelINS0_14default_configENS1_22reduce_config_selectorIN6thrust23THRUST_200600_302600_NS5tupleIblNS6_9null_typeES8_S8_S8_S8_S8_S8_S8_EEEEZNS1_11reduce_implILb1ES3_NS6_12zip_iteratorINS7_INS6_11hip_rocprim26transform_input_iterator_tIbPaNS6_6detail10functional5actorINSH_9compositeIJNSH_27transparent_binary_operatorINS6_8equal_toIvEEEENSI_INSH_8argumentILj0EEEEENSH_5valueIaEEEEEEEEENSD_19counting_iterator_tIlEES8_S8_S8_S8_S8_S8_S8_S8_EEEEPS9_S9_NSD_9__find_if7functorIS9_EEEE10hipError_tPvRmT1_T2_T3_mT4_P12ihipStream_tbEUlT_E1_NS1_11comp_targetILNS1_3genE3ELNS1_11target_archE908ELNS1_3gpuE7ELNS1_3repE0EEENS1_30default_config_static_selectorELNS0_4arch9wavefront6targetE1EEEvS17_
		.amdhsa_group_segment_fixed_size 0
		.amdhsa_private_segment_fixed_size 0
		.amdhsa_kernarg_size 72
		.amdhsa_user_sgpr_count 6
		.amdhsa_user_sgpr_private_segment_buffer 1
		.amdhsa_user_sgpr_dispatch_ptr 0
		.amdhsa_user_sgpr_queue_ptr 0
		.amdhsa_user_sgpr_kernarg_segment_ptr 1
		.amdhsa_user_sgpr_dispatch_id 0
		.amdhsa_user_sgpr_flat_scratch_init 0
		.amdhsa_user_sgpr_private_segment_size 0
		.amdhsa_uses_dynamic_stack 0
		.amdhsa_system_sgpr_private_segment_wavefront_offset 0
		.amdhsa_system_sgpr_workgroup_id_x 1
		.amdhsa_system_sgpr_workgroup_id_y 0
		.amdhsa_system_sgpr_workgroup_id_z 0
		.amdhsa_system_sgpr_workgroup_info 0
		.amdhsa_system_vgpr_workitem_id 0
		.amdhsa_next_free_vgpr 1
		.amdhsa_next_free_sgpr 0
		.amdhsa_reserve_vcc 0
		.amdhsa_reserve_flat_scratch 0
		.amdhsa_float_round_mode_32 0
		.amdhsa_float_round_mode_16_64 0
		.amdhsa_float_denorm_mode_32 3
		.amdhsa_float_denorm_mode_16_64 3
		.amdhsa_dx10_clamp 1
		.amdhsa_ieee_mode 1
		.amdhsa_fp16_overflow 0
		.amdhsa_exception_fp_ieee_invalid_op 0
		.amdhsa_exception_fp_denorm_src 0
		.amdhsa_exception_fp_ieee_div_zero 0
		.amdhsa_exception_fp_ieee_overflow 0
		.amdhsa_exception_fp_ieee_underflow 0
		.amdhsa_exception_fp_ieee_inexact 0
		.amdhsa_exception_int_div_zero 0
	.end_amdhsa_kernel
	.section	.text._ZN7rocprim17ROCPRIM_400000_NS6detail17trampoline_kernelINS0_14default_configENS1_22reduce_config_selectorIN6thrust23THRUST_200600_302600_NS5tupleIblNS6_9null_typeES8_S8_S8_S8_S8_S8_S8_EEEEZNS1_11reduce_implILb1ES3_NS6_12zip_iteratorINS7_INS6_11hip_rocprim26transform_input_iterator_tIbPaNS6_6detail10functional5actorINSH_9compositeIJNSH_27transparent_binary_operatorINS6_8equal_toIvEEEENSI_INSH_8argumentILj0EEEEENSH_5valueIaEEEEEEEEENSD_19counting_iterator_tIlEES8_S8_S8_S8_S8_S8_S8_S8_EEEEPS9_S9_NSD_9__find_if7functorIS9_EEEE10hipError_tPvRmT1_T2_T3_mT4_P12ihipStream_tbEUlT_E1_NS1_11comp_targetILNS1_3genE3ELNS1_11target_archE908ELNS1_3gpuE7ELNS1_3repE0EEENS1_30default_config_static_selectorELNS0_4arch9wavefront6targetE1EEEvS17_,"axG",@progbits,_ZN7rocprim17ROCPRIM_400000_NS6detail17trampoline_kernelINS0_14default_configENS1_22reduce_config_selectorIN6thrust23THRUST_200600_302600_NS5tupleIblNS6_9null_typeES8_S8_S8_S8_S8_S8_S8_EEEEZNS1_11reduce_implILb1ES3_NS6_12zip_iteratorINS7_INS6_11hip_rocprim26transform_input_iterator_tIbPaNS6_6detail10functional5actorINSH_9compositeIJNSH_27transparent_binary_operatorINS6_8equal_toIvEEEENSI_INSH_8argumentILj0EEEEENSH_5valueIaEEEEEEEEENSD_19counting_iterator_tIlEES8_S8_S8_S8_S8_S8_S8_S8_EEEEPS9_S9_NSD_9__find_if7functorIS9_EEEE10hipError_tPvRmT1_T2_T3_mT4_P12ihipStream_tbEUlT_E1_NS1_11comp_targetILNS1_3genE3ELNS1_11target_archE908ELNS1_3gpuE7ELNS1_3repE0EEENS1_30default_config_static_selectorELNS0_4arch9wavefront6targetE1EEEvS17_,comdat
.Lfunc_end720:
	.size	_ZN7rocprim17ROCPRIM_400000_NS6detail17trampoline_kernelINS0_14default_configENS1_22reduce_config_selectorIN6thrust23THRUST_200600_302600_NS5tupleIblNS6_9null_typeES8_S8_S8_S8_S8_S8_S8_EEEEZNS1_11reduce_implILb1ES3_NS6_12zip_iteratorINS7_INS6_11hip_rocprim26transform_input_iterator_tIbPaNS6_6detail10functional5actorINSH_9compositeIJNSH_27transparent_binary_operatorINS6_8equal_toIvEEEENSI_INSH_8argumentILj0EEEEENSH_5valueIaEEEEEEEEENSD_19counting_iterator_tIlEES8_S8_S8_S8_S8_S8_S8_S8_EEEEPS9_S9_NSD_9__find_if7functorIS9_EEEE10hipError_tPvRmT1_T2_T3_mT4_P12ihipStream_tbEUlT_E1_NS1_11comp_targetILNS1_3genE3ELNS1_11target_archE908ELNS1_3gpuE7ELNS1_3repE0EEENS1_30default_config_static_selectorELNS0_4arch9wavefront6targetE1EEEvS17_, .Lfunc_end720-_ZN7rocprim17ROCPRIM_400000_NS6detail17trampoline_kernelINS0_14default_configENS1_22reduce_config_selectorIN6thrust23THRUST_200600_302600_NS5tupleIblNS6_9null_typeES8_S8_S8_S8_S8_S8_S8_EEEEZNS1_11reduce_implILb1ES3_NS6_12zip_iteratorINS7_INS6_11hip_rocprim26transform_input_iterator_tIbPaNS6_6detail10functional5actorINSH_9compositeIJNSH_27transparent_binary_operatorINS6_8equal_toIvEEEENSI_INSH_8argumentILj0EEEEENSH_5valueIaEEEEEEEEENSD_19counting_iterator_tIlEES8_S8_S8_S8_S8_S8_S8_S8_EEEEPS9_S9_NSD_9__find_if7functorIS9_EEEE10hipError_tPvRmT1_T2_T3_mT4_P12ihipStream_tbEUlT_E1_NS1_11comp_targetILNS1_3genE3ELNS1_11target_archE908ELNS1_3gpuE7ELNS1_3repE0EEENS1_30default_config_static_selectorELNS0_4arch9wavefront6targetE1EEEvS17_
                                        ; -- End function
	.set _ZN7rocprim17ROCPRIM_400000_NS6detail17trampoline_kernelINS0_14default_configENS1_22reduce_config_selectorIN6thrust23THRUST_200600_302600_NS5tupleIblNS6_9null_typeES8_S8_S8_S8_S8_S8_S8_EEEEZNS1_11reduce_implILb1ES3_NS6_12zip_iteratorINS7_INS6_11hip_rocprim26transform_input_iterator_tIbPaNS6_6detail10functional5actorINSH_9compositeIJNSH_27transparent_binary_operatorINS6_8equal_toIvEEEENSI_INSH_8argumentILj0EEEEENSH_5valueIaEEEEEEEEENSD_19counting_iterator_tIlEES8_S8_S8_S8_S8_S8_S8_S8_EEEEPS9_S9_NSD_9__find_if7functorIS9_EEEE10hipError_tPvRmT1_T2_T3_mT4_P12ihipStream_tbEUlT_E1_NS1_11comp_targetILNS1_3genE3ELNS1_11target_archE908ELNS1_3gpuE7ELNS1_3repE0EEENS1_30default_config_static_selectorELNS0_4arch9wavefront6targetE1EEEvS17_.num_vgpr, 0
	.set _ZN7rocprim17ROCPRIM_400000_NS6detail17trampoline_kernelINS0_14default_configENS1_22reduce_config_selectorIN6thrust23THRUST_200600_302600_NS5tupleIblNS6_9null_typeES8_S8_S8_S8_S8_S8_S8_EEEEZNS1_11reduce_implILb1ES3_NS6_12zip_iteratorINS7_INS6_11hip_rocprim26transform_input_iterator_tIbPaNS6_6detail10functional5actorINSH_9compositeIJNSH_27transparent_binary_operatorINS6_8equal_toIvEEEENSI_INSH_8argumentILj0EEEEENSH_5valueIaEEEEEEEEENSD_19counting_iterator_tIlEES8_S8_S8_S8_S8_S8_S8_S8_EEEEPS9_S9_NSD_9__find_if7functorIS9_EEEE10hipError_tPvRmT1_T2_T3_mT4_P12ihipStream_tbEUlT_E1_NS1_11comp_targetILNS1_3genE3ELNS1_11target_archE908ELNS1_3gpuE7ELNS1_3repE0EEENS1_30default_config_static_selectorELNS0_4arch9wavefront6targetE1EEEvS17_.num_agpr, 0
	.set _ZN7rocprim17ROCPRIM_400000_NS6detail17trampoline_kernelINS0_14default_configENS1_22reduce_config_selectorIN6thrust23THRUST_200600_302600_NS5tupleIblNS6_9null_typeES8_S8_S8_S8_S8_S8_S8_EEEEZNS1_11reduce_implILb1ES3_NS6_12zip_iteratorINS7_INS6_11hip_rocprim26transform_input_iterator_tIbPaNS6_6detail10functional5actorINSH_9compositeIJNSH_27transparent_binary_operatorINS6_8equal_toIvEEEENSI_INSH_8argumentILj0EEEEENSH_5valueIaEEEEEEEEENSD_19counting_iterator_tIlEES8_S8_S8_S8_S8_S8_S8_S8_EEEEPS9_S9_NSD_9__find_if7functorIS9_EEEE10hipError_tPvRmT1_T2_T3_mT4_P12ihipStream_tbEUlT_E1_NS1_11comp_targetILNS1_3genE3ELNS1_11target_archE908ELNS1_3gpuE7ELNS1_3repE0EEENS1_30default_config_static_selectorELNS0_4arch9wavefront6targetE1EEEvS17_.numbered_sgpr, 0
	.set _ZN7rocprim17ROCPRIM_400000_NS6detail17trampoline_kernelINS0_14default_configENS1_22reduce_config_selectorIN6thrust23THRUST_200600_302600_NS5tupleIblNS6_9null_typeES8_S8_S8_S8_S8_S8_S8_EEEEZNS1_11reduce_implILb1ES3_NS6_12zip_iteratorINS7_INS6_11hip_rocprim26transform_input_iterator_tIbPaNS6_6detail10functional5actorINSH_9compositeIJNSH_27transparent_binary_operatorINS6_8equal_toIvEEEENSI_INSH_8argumentILj0EEEEENSH_5valueIaEEEEEEEEENSD_19counting_iterator_tIlEES8_S8_S8_S8_S8_S8_S8_S8_EEEEPS9_S9_NSD_9__find_if7functorIS9_EEEE10hipError_tPvRmT1_T2_T3_mT4_P12ihipStream_tbEUlT_E1_NS1_11comp_targetILNS1_3genE3ELNS1_11target_archE908ELNS1_3gpuE7ELNS1_3repE0EEENS1_30default_config_static_selectorELNS0_4arch9wavefront6targetE1EEEvS17_.num_named_barrier, 0
	.set _ZN7rocprim17ROCPRIM_400000_NS6detail17trampoline_kernelINS0_14default_configENS1_22reduce_config_selectorIN6thrust23THRUST_200600_302600_NS5tupleIblNS6_9null_typeES8_S8_S8_S8_S8_S8_S8_EEEEZNS1_11reduce_implILb1ES3_NS6_12zip_iteratorINS7_INS6_11hip_rocprim26transform_input_iterator_tIbPaNS6_6detail10functional5actorINSH_9compositeIJNSH_27transparent_binary_operatorINS6_8equal_toIvEEEENSI_INSH_8argumentILj0EEEEENSH_5valueIaEEEEEEEEENSD_19counting_iterator_tIlEES8_S8_S8_S8_S8_S8_S8_S8_EEEEPS9_S9_NSD_9__find_if7functorIS9_EEEE10hipError_tPvRmT1_T2_T3_mT4_P12ihipStream_tbEUlT_E1_NS1_11comp_targetILNS1_3genE3ELNS1_11target_archE908ELNS1_3gpuE7ELNS1_3repE0EEENS1_30default_config_static_selectorELNS0_4arch9wavefront6targetE1EEEvS17_.private_seg_size, 0
	.set _ZN7rocprim17ROCPRIM_400000_NS6detail17trampoline_kernelINS0_14default_configENS1_22reduce_config_selectorIN6thrust23THRUST_200600_302600_NS5tupleIblNS6_9null_typeES8_S8_S8_S8_S8_S8_S8_EEEEZNS1_11reduce_implILb1ES3_NS6_12zip_iteratorINS7_INS6_11hip_rocprim26transform_input_iterator_tIbPaNS6_6detail10functional5actorINSH_9compositeIJNSH_27transparent_binary_operatorINS6_8equal_toIvEEEENSI_INSH_8argumentILj0EEEEENSH_5valueIaEEEEEEEEENSD_19counting_iterator_tIlEES8_S8_S8_S8_S8_S8_S8_S8_EEEEPS9_S9_NSD_9__find_if7functorIS9_EEEE10hipError_tPvRmT1_T2_T3_mT4_P12ihipStream_tbEUlT_E1_NS1_11comp_targetILNS1_3genE3ELNS1_11target_archE908ELNS1_3gpuE7ELNS1_3repE0EEENS1_30default_config_static_selectorELNS0_4arch9wavefront6targetE1EEEvS17_.uses_vcc, 0
	.set _ZN7rocprim17ROCPRIM_400000_NS6detail17trampoline_kernelINS0_14default_configENS1_22reduce_config_selectorIN6thrust23THRUST_200600_302600_NS5tupleIblNS6_9null_typeES8_S8_S8_S8_S8_S8_S8_EEEEZNS1_11reduce_implILb1ES3_NS6_12zip_iteratorINS7_INS6_11hip_rocprim26transform_input_iterator_tIbPaNS6_6detail10functional5actorINSH_9compositeIJNSH_27transparent_binary_operatorINS6_8equal_toIvEEEENSI_INSH_8argumentILj0EEEEENSH_5valueIaEEEEEEEEENSD_19counting_iterator_tIlEES8_S8_S8_S8_S8_S8_S8_S8_EEEEPS9_S9_NSD_9__find_if7functorIS9_EEEE10hipError_tPvRmT1_T2_T3_mT4_P12ihipStream_tbEUlT_E1_NS1_11comp_targetILNS1_3genE3ELNS1_11target_archE908ELNS1_3gpuE7ELNS1_3repE0EEENS1_30default_config_static_selectorELNS0_4arch9wavefront6targetE1EEEvS17_.uses_flat_scratch, 0
	.set _ZN7rocprim17ROCPRIM_400000_NS6detail17trampoline_kernelINS0_14default_configENS1_22reduce_config_selectorIN6thrust23THRUST_200600_302600_NS5tupleIblNS6_9null_typeES8_S8_S8_S8_S8_S8_S8_EEEEZNS1_11reduce_implILb1ES3_NS6_12zip_iteratorINS7_INS6_11hip_rocprim26transform_input_iterator_tIbPaNS6_6detail10functional5actorINSH_9compositeIJNSH_27transparent_binary_operatorINS6_8equal_toIvEEEENSI_INSH_8argumentILj0EEEEENSH_5valueIaEEEEEEEEENSD_19counting_iterator_tIlEES8_S8_S8_S8_S8_S8_S8_S8_EEEEPS9_S9_NSD_9__find_if7functorIS9_EEEE10hipError_tPvRmT1_T2_T3_mT4_P12ihipStream_tbEUlT_E1_NS1_11comp_targetILNS1_3genE3ELNS1_11target_archE908ELNS1_3gpuE7ELNS1_3repE0EEENS1_30default_config_static_selectorELNS0_4arch9wavefront6targetE1EEEvS17_.has_dyn_sized_stack, 0
	.set _ZN7rocprim17ROCPRIM_400000_NS6detail17trampoline_kernelINS0_14default_configENS1_22reduce_config_selectorIN6thrust23THRUST_200600_302600_NS5tupleIblNS6_9null_typeES8_S8_S8_S8_S8_S8_S8_EEEEZNS1_11reduce_implILb1ES3_NS6_12zip_iteratorINS7_INS6_11hip_rocprim26transform_input_iterator_tIbPaNS6_6detail10functional5actorINSH_9compositeIJNSH_27transparent_binary_operatorINS6_8equal_toIvEEEENSI_INSH_8argumentILj0EEEEENSH_5valueIaEEEEEEEEENSD_19counting_iterator_tIlEES8_S8_S8_S8_S8_S8_S8_S8_EEEEPS9_S9_NSD_9__find_if7functorIS9_EEEE10hipError_tPvRmT1_T2_T3_mT4_P12ihipStream_tbEUlT_E1_NS1_11comp_targetILNS1_3genE3ELNS1_11target_archE908ELNS1_3gpuE7ELNS1_3repE0EEENS1_30default_config_static_selectorELNS0_4arch9wavefront6targetE1EEEvS17_.has_recursion, 0
	.set _ZN7rocprim17ROCPRIM_400000_NS6detail17trampoline_kernelINS0_14default_configENS1_22reduce_config_selectorIN6thrust23THRUST_200600_302600_NS5tupleIblNS6_9null_typeES8_S8_S8_S8_S8_S8_S8_EEEEZNS1_11reduce_implILb1ES3_NS6_12zip_iteratorINS7_INS6_11hip_rocprim26transform_input_iterator_tIbPaNS6_6detail10functional5actorINSH_9compositeIJNSH_27transparent_binary_operatorINS6_8equal_toIvEEEENSI_INSH_8argumentILj0EEEEENSH_5valueIaEEEEEEEEENSD_19counting_iterator_tIlEES8_S8_S8_S8_S8_S8_S8_S8_EEEEPS9_S9_NSD_9__find_if7functorIS9_EEEE10hipError_tPvRmT1_T2_T3_mT4_P12ihipStream_tbEUlT_E1_NS1_11comp_targetILNS1_3genE3ELNS1_11target_archE908ELNS1_3gpuE7ELNS1_3repE0EEENS1_30default_config_static_selectorELNS0_4arch9wavefront6targetE1EEEvS17_.has_indirect_call, 0
	.section	.AMDGPU.csdata,"",@progbits
; Kernel info:
; codeLenInByte = 0
; TotalNumSgprs: 4
; NumVgprs: 0
; ScratchSize: 0
; MemoryBound: 0
; FloatMode: 240
; IeeeMode: 1
; LDSByteSize: 0 bytes/workgroup (compile time only)
; SGPRBlocks: 0
; VGPRBlocks: 0
; NumSGPRsForWavesPerEU: 4
; NumVGPRsForWavesPerEU: 1
; Occupancy: 10
; WaveLimiterHint : 0
; COMPUTE_PGM_RSRC2:SCRATCH_EN: 0
; COMPUTE_PGM_RSRC2:USER_SGPR: 6
; COMPUTE_PGM_RSRC2:TRAP_HANDLER: 0
; COMPUTE_PGM_RSRC2:TGID_X_EN: 1
; COMPUTE_PGM_RSRC2:TGID_Y_EN: 0
; COMPUTE_PGM_RSRC2:TGID_Z_EN: 0
; COMPUTE_PGM_RSRC2:TIDIG_COMP_CNT: 0
	.section	.text._ZN7rocprim17ROCPRIM_400000_NS6detail17trampoline_kernelINS0_14default_configENS1_22reduce_config_selectorIN6thrust23THRUST_200600_302600_NS5tupleIblNS6_9null_typeES8_S8_S8_S8_S8_S8_S8_EEEEZNS1_11reduce_implILb1ES3_NS6_12zip_iteratorINS7_INS6_11hip_rocprim26transform_input_iterator_tIbPaNS6_6detail10functional5actorINSH_9compositeIJNSH_27transparent_binary_operatorINS6_8equal_toIvEEEENSI_INSH_8argumentILj0EEEEENSH_5valueIaEEEEEEEEENSD_19counting_iterator_tIlEES8_S8_S8_S8_S8_S8_S8_S8_EEEEPS9_S9_NSD_9__find_if7functorIS9_EEEE10hipError_tPvRmT1_T2_T3_mT4_P12ihipStream_tbEUlT_E1_NS1_11comp_targetILNS1_3genE2ELNS1_11target_archE906ELNS1_3gpuE6ELNS1_3repE0EEENS1_30default_config_static_selectorELNS0_4arch9wavefront6targetE1EEEvS17_,"axG",@progbits,_ZN7rocprim17ROCPRIM_400000_NS6detail17trampoline_kernelINS0_14default_configENS1_22reduce_config_selectorIN6thrust23THRUST_200600_302600_NS5tupleIblNS6_9null_typeES8_S8_S8_S8_S8_S8_S8_EEEEZNS1_11reduce_implILb1ES3_NS6_12zip_iteratorINS7_INS6_11hip_rocprim26transform_input_iterator_tIbPaNS6_6detail10functional5actorINSH_9compositeIJNSH_27transparent_binary_operatorINS6_8equal_toIvEEEENSI_INSH_8argumentILj0EEEEENSH_5valueIaEEEEEEEEENSD_19counting_iterator_tIlEES8_S8_S8_S8_S8_S8_S8_S8_EEEEPS9_S9_NSD_9__find_if7functorIS9_EEEE10hipError_tPvRmT1_T2_T3_mT4_P12ihipStream_tbEUlT_E1_NS1_11comp_targetILNS1_3genE2ELNS1_11target_archE906ELNS1_3gpuE6ELNS1_3repE0EEENS1_30default_config_static_selectorELNS0_4arch9wavefront6targetE1EEEvS17_,comdat
	.protected	_ZN7rocprim17ROCPRIM_400000_NS6detail17trampoline_kernelINS0_14default_configENS1_22reduce_config_selectorIN6thrust23THRUST_200600_302600_NS5tupleIblNS6_9null_typeES8_S8_S8_S8_S8_S8_S8_EEEEZNS1_11reduce_implILb1ES3_NS6_12zip_iteratorINS7_INS6_11hip_rocprim26transform_input_iterator_tIbPaNS6_6detail10functional5actorINSH_9compositeIJNSH_27transparent_binary_operatorINS6_8equal_toIvEEEENSI_INSH_8argumentILj0EEEEENSH_5valueIaEEEEEEEEENSD_19counting_iterator_tIlEES8_S8_S8_S8_S8_S8_S8_S8_EEEEPS9_S9_NSD_9__find_if7functorIS9_EEEE10hipError_tPvRmT1_T2_T3_mT4_P12ihipStream_tbEUlT_E1_NS1_11comp_targetILNS1_3genE2ELNS1_11target_archE906ELNS1_3gpuE6ELNS1_3repE0EEENS1_30default_config_static_selectorELNS0_4arch9wavefront6targetE1EEEvS17_ ; -- Begin function _ZN7rocprim17ROCPRIM_400000_NS6detail17trampoline_kernelINS0_14default_configENS1_22reduce_config_selectorIN6thrust23THRUST_200600_302600_NS5tupleIblNS6_9null_typeES8_S8_S8_S8_S8_S8_S8_EEEEZNS1_11reduce_implILb1ES3_NS6_12zip_iteratorINS7_INS6_11hip_rocprim26transform_input_iterator_tIbPaNS6_6detail10functional5actorINSH_9compositeIJNSH_27transparent_binary_operatorINS6_8equal_toIvEEEENSI_INSH_8argumentILj0EEEEENSH_5valueIaEEEEEEEEENSD_19counting_iterator_tIlEES8_S8_S8_S8_S8_S8_S8_S8_EEEEPS9_S9_NSD_9__find_if7functorIS9_EEEE10hipError_tPvRmT1_T2_T3_mT4_P12ihipStream_tbEUlT_E1_NS1_11comp_targetILNS1_3genE2ELNS1_11target_archE906ELNS1_3gpuE6ELNS1_3repE0EEENS1_30default_config_static_selectorELNS0_4arch9wavefront6targetE1EEEvS17_
	.globl	_ZN7rocprim17ROCPRIM_400000_NS6detail17trampoline_kernelINS0_14default_configENS1_22reduce_config_selectorIN6thrust23THRUST_200600_302600_NS5tupleIblNS6_9null_typeES8_S8_S8_S8_S8_S8_S8_EEEEZNS1_11reduce_implILb1ES3_NS6_12zip_iteratorINS7_INS6_11hip_rocprim26transform_input_iterator_tIbPaNS6_6detail10functional5actorINSH_9compositeIJNSH_27transparent_binary_operatorINS6_8equal_toIvEEEENSI_INSH_8argumentILj0EEEEENSH_5valueIaEEEEEEEEENSD_19counting_iterator_tIlEES8_S8_S8_S8_S8_S8_S8_S8_EEEEPS9_S9_NSD_9__find_if7functorIS9_EEEE10hipError_tPvRmT1_T2_T3_mT4_P12ihipStream_tbEUlT_E1_NS1_11comp_targetILNS1_3genE2ELNS1_11target_archE906ELNS1_3gpuE6ELNS1_3repE0EEENS1_30default_config_static_selectorELNS0_4arch9wavefront6targetE1EEEvS17_
	.p2align	8
	.type	_ZN7rocprim17ROCPRIM_400000_NS6detail17trampoline_kernelINS0_14default_configENS1_22reduce_config_selectorIN6thrust23THRUST_200600_302600_NS5tupleIblNS6_9null_typeES8_S8_S8_S8_S8_S8_S8_EEEEZNS1_11reduce_implILb1ES3_NS6_12zip_iteratorINS7_INS6_11hip_rocprim26transform_input_iterator_tIbPaNS6_6detail10functional5actorINSH_9compositeIJNSH_27transparent_binary_operatorINS6_8equal_toIvEEEENSI_INSH_8argumentILj0EEEEENSH_5valueIaEEEEEEEEENSD_19counting_iterator_tIlEES8_S8_S8_S8_S8_S8_S8_S8_EEEEPS9_S9_NSD_9__find_if7functorIS9_EEEE10hipError_tPvRmT1_T2_T3_mT4_P12ihipStream_tbEUlT_E1_NS1_11comp_targetILNS1_3genE2ELNS1_11target_archE906ELNS1_3gpuE6ELNS1_3repE0EEENS1_30default_config_static_selectorELNS0_4arch9wavefront6targetE1EEEvS17_,@function
_ZN7rocprim17ROCPRIM_400000_NS6detail17trampoline_kernelINS0_14default_configENS1_22reduce_config_selectorIN6thrust23THRUST_200600_302600_NS5tupleIblNS6_9null_typeES8_S8_S8_S8_S8_S8_S8_EEEEZNS1_11reduce_implILb1ES3_NS6_12zip_iteratorINS7_INS6_11hip_rocprim26transform_input_iterator_tIbPaNS6_6detail10functional5actorINSH_9compositeIJNSH_27transparent_binary_operatorINS6_8equal_toIvEEEENSI_INSH_8argumentILj0EEEEENSH_5valueIaEEEEEEEEENSD_19counting_iterator_tIlEES8_S8_S8_S8_S8_S8_S8_S8_EEEEPS9_S9_NSD_9__find_if7functorIS9_EEEE10hipError_tPvRmT1_T2_T3_mT4_P12ihipStream_tbEUlT_E1_NS1_11comp_targetILNS1_3genE2ELNS1_11target_archE906ELNS1_3gpuE6ELNS1_3repE0EEENS1_30default_config_static_selectorELNS0_4arch9wavefront6targetE1EEEvS17_: ; @_ZN7rocprim17ROCPRIM_400000_NS6detail17trampoline_kernelINS0_14default_configENS1_22reduce_config_selectorIN6thrust23THRUST_200600_302600_NS5tupleIblNS6_9null_typeES8_S8_S8_S8_S8_S8_S8_EEEEZNS1_11reduce_implILb1ES3_NS6_12zip_iteratorINS7_INS6_11hip_rocprim26transform_input_iterator_tIbPaNS6_6detail10functional5actorINSH_9compositeIJNSH_27transparent_binary_operatorINS6_8equal_toIvEEEENSI_INSH_8argumentILj0EEEEENSH_5valueIaEEEEEEEEENSD_19counting_iterator_tIlEES8_S8_S8_S8_S8_S8_S8_S8_EEEEPS9_S9_NSD_9__find_if7functorIS9_EEEE10hipError_tPvRmT1_T2_T3_mT4_P12ihipStream_tbEUlT_E1_NS1_11comp_targetILNS1_3genE2ELNS1_11target_archE906ELNS1_3gpuE6ELNS1_3repE0EEENS1_30default_config_static_selectorELNS0_4arch9wavefront6targetE1EEEvS17_
; %bb.0:
	s_load_dword s33, s[4:5], 0x4
	s_load_dwordx2 s[24:25], s[4:5], 0x8
	s_load_dword s0, s[4:5], 0x10
	s_load_dwordx4 s[20:23], s[4:5], 0x18
	s_load_dword s30, s[4:5], 0x30
	s_load_dwordx2 s[18:19], s[4:5], 0x38
	s_waitcnt lgkmcnt(0)
	s_lshr_b32 s31, s0, 16
	s_cmp_lt_i32 s33, 4
	s_cbranch_scc1 .LBB721_13
; %bb.1:
	s_cmp_gt_i32 s33, 7
	s_cbranch_scc0 .LBB721_14
; %bb.2:
	s_cmp_eq_u32 s33, 8
	s_mov_b64 s[26:27], 0
	s_cbranch_scc0 .LBB721_15
; %bb.3:
	s_lshl_b32 s12, s6, 10
	s_lshr_b64 s[0:1], s[22:23], 10
	s_add_u32 s16, s24, s12
	s_addc_u32 s17, s25, 0
	s_add_u32 s35, s20, s12
	s_mov_b32 s7, 0
	s_addc_u32 s36, s21, 0
	s_cmp_lg_u64 s[0:1], s[6:7]
	s_cbranch_scc0 .LBB721_28
; %bb.4:
	global_load_ubyte v1, v0, s[16:17] offset:256
	global_load_ubyte v2, v0, s[16:17] offset:512
	;; [unrolled: 1-line block ×7, first 2 shown]
	global_load_ubyte v9, v0, s[16:17]
	v_mov_b32_e32 v3, s36
	v_add_co_u32_e32 v18, vcc, s35, v0
	s_and_b32 s8, s31, 0xff
	v_addc_co_u32_e32 v19, vcc, 0, v3, vcc
	v_mov_b32_e32 v10, 0x100
	v_mov_b32_e32 v11, 0x80
	v_mov_b32_e32 v12, 0x200
	v_mov_b32_e32 v13, 0x180
	v_mov_b32_e32 v14, 0x300
	v_mov_b32_e32 v15, 0x280
	v_mov_b32_e32 v16, 0x380
	v_mbcnt_lo_u32_b32 v17, -1, 0
	v_mbcnt_hi_u32_b32 v3, -1, v17
	s_waitcnt vmcnt(7)
	v_cmp_eq_u16_sdwa s[10:11], v1, s8 src0_sel:BYTE_0 src1_sel:DWORD
	s_waitcnt vmcnt(6)
	v_cmp_eq_u16_sdwa s[14:15], v2, s8 src0_sel:BYTE_0 src1_sel:DWORD
	;; [unrolled: 2-line block ×4, first 2 shown]
	s_waitcnt vmcnt(3)
	v_cmp_eq_u16_e32 vcc, s8, v6
	v_cndmask_b32_e32 v1, v10, v11, vcc
	s_waitcnt vmcnt(2)
	v_cmp_eq_u16_e64 s[0:1], s8, v7
	s_waitcnt vmcnt(1)
	v_cmp_eq_u16_e64 s[2:3], s8, v8
	;; [unrolled: 2-line block ×3, first 2 shown]
	v_cndmask_b32_e64 v1, v1, 0, s[8:9]
	s_or_b64 s[8:9], s[8:9], vcc
	s_or_b64 vcc, s[8:9], s[10:11]
	v_cndmask_b32_e64 v2, v12, v13, s[0:1]
	s_or_b64 s[0:1], vcc, s[0:1]
	v_cndmask_b32_e32 v1, v2, v1, vcc
	s_or_b64 vcc, s[0:1], s[14:15]
	v_cndmask_b32_e64 v4, v14, v15, s[2:3]
	s_or_b64 s[0:1], vcc, s[2:3]
	v_cndmask_b32_e32 v1, v4, v1, vcc
	s_or_b64 vcc, s[0:1], s[28:29]
	v_cndmask_b32_e32 v1, v16, v1, vcc
	v_add_co_u32_e64 v1, s[0:1], v18, v1
	v_addc_co_u32_e64 v2, s[0:1], 0, v19, s[0:1]
	s_or_b64 s[0:1], vcc, s[38:39]
	v_mov_b32_dpp v4, v1 quad_perm:[1,0,3,2] row_mask:0xf bank_mask:0xf bound_ctrl:1
	v_mov_b32_dpp v5, v2 quad_perm:[1,0,3,2] row_mask:0xf bank_mask:0xf bound_ctrl:1
	v_cndmask_b32_e64 v6, 0, 1, s[0:1]
	v_cmp_lt_i64_e32 vcc, v[1:2], v[4:5]
	s_and_b64 vcc, s[0:1], vcc
	v_mov_b32_dpp v7, v6 quad_perm:[1,0,3,2] row_mask:0xf bank_mask:0xf bound_ctrl:1
	v_and_b32_e32 v7, 1, v7
	v_cndmask_b32_e32 v4, v4, v1, vcc
	v_cndmask_b32_e32 v5, v5, v2, vcc
	v_cmp_eq_u32_e32 vcc, 1, v7
	v_cndmask_b32_e32 v2, v2, v5, vcc
	v_cndmask_b32_e32 v1, v1, v4, vcc
	v_cndmask_b32_e64 v6, v6, 1, vcc
	v_mov_b32_dpp v5, v2 quad_perm:[2,3,0,1] row_mask:0xf bank_mask:0xf bound_ctrl:1
	v_mov_b32_dpp v4, v1 quad_perm:[2,3,0,1] row_mask:0xf bank_mask:0xf bound_ctrl:1
	v_and_b32_e32 v8, 1, v6
	v_cmp_lt_i64_e64 s[0:1], v[1:2], v[4:5]
	v_mov_b32_dpp v7, v6 quad_perm:[2,3,0,1] row_mask:0xf bank_mask:0xf bound_ctrl:1
	v_cmp_eq_u32_e32 vcc, 1, v8
	v_and_b32_e32 v7, 1, v7
	s_and_b64 vcc, vcc, s[0:1]
	v_cmp_eq_u32_e64 s[2:3], 1, v7
	v_cndmask_b32_e32 v4, v4, v1, vcc
	v_cndmask_b32_e32 v5, v5, v2, vcc
	v_cndmask_b32_e64 v1, v1, v4, s[2:3]
	v_cndmask_b32_e64 v2, v2, v5, s[2:3]
	;; [unrolled: 1-line block ×3, first 2 shown]
	v_mov_b32_dpp v4, v1 row_ror:4 row_mask:0xf bank_mask:0xf bound_ctrl:1
	v_mov_b32_dpp v5, v2 row_ror:4 row_mask:0xf bank_mask:0xf bound_ctrl:1
	v_and_b32_e32 v8, 1, v6
	v_cmp_lt_i64_e64 s[2:3], v[1:2], v[4:5]
	v_mov_b32_dpp v7, v6 row_ror:4 row_mask:0xf bank_mask:0xf bound_ctrl:1
	v_cmp_eq_u32_e32 vcc, 1, v8
	v_and_b32_e32 v7, 1, v7
	s_and_b64 vcc, vcc, s[2:3]
	v_cmp_eq_u32_e64 s[0:1], 1, v7
	v_cndmask_b32_e32 v4, v4, v1, vcc
	v_cndmask_b32_e32 v5, v5, v2, vcc
	v_cndmask_b32_e64 v1, v1, v4, s[0:1]
	v_cndmask_b32_e64 v2, v2, v5, s[0:1]
	;; [unrolled: 1-line block ×3, first 2 shown]
	v_mov_b32_dpp v4, v1 row_ror:8 row_mask:0xf bank_mask:0xf bound_ctrl:1
	v_mov_b32_dpp v5, v2 row_ror:8 row_mask:0xf bank_mask:0xf bound_ctrl:1
	v_and_b32_e32 v8, 1, v6
	v_cmp_lt_i64_e32 vcc, v[1:2], v[4:5]
	v_mov_b32_dpp v7, v6 row_ror:8 row_mask:0xf bank_mask:0xf bound_ctrl:1
	v_cmp_eq_u32_e64 s[8:9], 1, v8
	v_and_b32_e32 v7, 1, v7
	s_and_b64 vcc, s[8:9], vcc
	v_cmp_eq_u32_e64 s[10:11], 1, v7
	v_cndmask_b32_e32 v4, v4, v1, vcc
	v_cndmask_b32_e32 v5, v5, v2, vcc
	v_cndmask_b32_e64 v1, v1, v4, s[10:11]
	v_cndmask_b32_e64 v2, v2, v5, s[10:11]
	;; [unrolled: 1-line block ×3, first 2 shown]
	v_mov_b32_dpp v4, v1 row_bcast:15 row_mask:0xf bank_mask:0xf bound_ctrl:1
	v_mov_b32_dpp v5, v2 row_bcast:15 row_mask:0xf bank_mask:0xf bound_ctrl:1
	v_and_b32_e32 v8, 1, v6
	v_cmp_lt_i64_e32 vcc, v[1:2], v[4:5]
	v_mov_b32_dpp v7, v6 row_bcast:15 row_mask:0xf bank_mask:0xf bound_ctrl:1
	v_cmp_eq_u32_e64 s[0:1], 1, v8
	v_and_b32_e32 v7, 1, v7
	s_and_b64 vcc, s[0:1], vcc
	v_cmp_eq_u32_e64 s[2:3], 1, v7
	v_cndmask_b32_e32 v4, v4, v1, vcc
	v_cndmask_b32_e32 v5, v5, v2, vcc
	v_cndmask_b32_e64 v1, v1, v4, s[2:3]
	v_cndmask_b32_e64 v2, v2, v5, s[2:3]
	;; [unrolled: 1-line block ×3, first 2 shown]
	v_mov_b32_dpp v4, v1 row_bcast:31 row_mask:0xf bank_mask:0xf bound_ctrl:1
	v_mov_b32_dpp v5, v2 row_bcast:31 row_mask:0xf bank_mask:0xf bound_ctrl:1
	v_and_b32_e32 v8, 1, v6
	v_cmp_lt_i64_e64 s[0:1], v[1:2], v[4:5]
	v_mov_b32_dpp v7, v6 row_bcast:31 row_mask:0xf bank_mask:0xf bound_ctrl:1
	v_cmp_eq_u32_e32 vcc, 1, v8
	v_and_b32_e32 v7, 1, v7
	s_and_b64 vcc, vcc, s[0:1]
	v_cmp_eq_u32_e64 s[2:3], 1, v7
	v_cndmask_b32_e32 v5, v5, v2, vcc
	v_cndmask_b32_e32 v4, v4, v1, vcc
	v_cndmask_b32_e64 v2, v2, v5, s[2:3]
	v_lshlrev_b32_e32 v5, 2, v3
	v_cndmask_b32_e64 v6, v6, 1, s[2:3]
	v_cndmask_b32_e64 v1, v1, v4, s[2:3]
	v_or_b32_e32 v4, 0xfc, v5
	ds_bpermute_b32 v17, v4, v6
	ds_bpermute_b32 v1, v4, v1
	;; [unrolled: 1-line block ×3, first 2 shown]
	v_cmp_eq_u32_e32 vcc, 0, v3
	s_and_saveexec_b64 s[0:1], vcc
	s_cbranch_execz .LBB721_6
; %bb.5:
	v_lshrrev_b32_e32 v4, 2, v0
	v_and_b32_e32 v4, 16, v4
	s_waitcnt lgkmcnt(2)
	ds_write_b8 v4, v17 offset:96
	s_waitcnt lgkmcnt(1)
	ds_write_b64 v4, v[1:2] offset:104
.LBB721_6:
	s_or_b64 exec, exec, s[0:1]
	v_cmp_gt_u32_e32 vcc, 64, v0
	s_waitcnt lgkmcnt(0)
	s_barrier
	s_and_saveexec_b64 s[0:1], vcc
	s_cbranch_execz .LBB721_12
; %bb.7:
	v_and_b32_e32 v1, 1, v3
	v_lshlrev_b32_e32 v1, 4, v1
	ds_read_u8 v7, v1 offset:96
	ds_read_b64 v[3:4], v1 offset:104
	v_or_b32_e32 v2, 4, v5
	s_waitcnt lgkmcnt(1)
	v_and_b32_e32 v1, 0xff, v7
	ds_bpermute_b32 v8, v2, v1
	s_waitcnt lgkmcnt(1)
	ds_bpermute_b32 v5, v2, v3
	ds_bpermute_b32 v6, v2, v4
	s_waitcnt lgkmcnt(2)
	v_and_b32_e32 v1, v7, v8
	v_and_b32_e32 v1, 1, v1
	v_cmp_eq_u32_e32 vcc, 1, v1
                                        ; implicit-def: $vgpr1_vgpr2
	s_and_saveexec_b64 s[2:3], vcc
	s_xor_b64 s[2:3], exec, s[2:3]
	s_cbranch_execz .LBB721_9
; %bb.8:
	s_waitcnt lgkmcnt(0)
	v_cmp_lt_i64_e32 vcc, v[5:6], v[3:4]
                                        ; implicit-def: $vgpr7
                                        ; implicit-def: $vgpr8
	v_cndmask_b32_e32 v2, v4, v6, vcc
	v_cndmask_b32_e32 v1, v3, v5, vcc
                                        ; implicit-def: $vgpr5_vgpr6
                                        ; implicit-def: $vgpr3_vgpr4
.LBB721_9:
	s_or_saveexec_b64 s[2:3], s[2:3]
	v_mov_b32_e32 v17, 1
	s_xor_b64 exec, exec, s[2:3]
	s_cbranch_execz .LBB721_11
; %bb.10:
	v_and_b32_e32 v1, 1, v7
	v_cmp_eq_u32_e32 vcc, 1, v1
	s_waitcnt lgkmcnt(0)
	v_cndmask_b32_e32 v2, v6, v4, vcc
	v_cndmask_b32_e32 v1, v5, v3, vcc
	v_cndmask_b32_e64 v17, v8, 1, vcc
.LBB721_11:
	s_or_b64 exec, exec, s[2:3]
.LBB721_12:
	s_or_b64 exec, exec, s[0:1]
	s_branch .LBB721_145
.LBB721_13:
	s_mov_b64 s[14:15], 0
                                        ; implicit-def: $vgpr3_vgpr4
                                        ; implicit-def: $vgpr5
                                        ; implicit-def: $vgpr1_vgpr2
	s_cbranch_execnz .LBB721_219
	s_branch .LBB721_306
.LBB721_14:
	s_mov_b64 s[26:27], -1
.LBB721_15:
	s_mov_b64 s[14:15], 0
                                        ; implicit-def: $vgpr3_vgpr4
                                        ; implicit-def: $vgpr5
                                        ; implicit-def: $vgpr1_vgpr2
	s_and_b64 vcc, exec, s[26:27]
	s_cbranch_vccz .LBB721_150
.LBB721_16:
	s_cmp_eq_u32 s33, 4
	s_cbranch_scc0 .LBB721_27
; %bb.17:
	s_lshl_b32 s28, s6, 9
	s_lshr_b64 s[0:1], s[22:23], 9
	s_add_u32 s16, s24, s28
	s_addc_u32 s17, s25, 0
	s_add_u32 s26, s20, s28
	s_mov_b32 s7, 0
	s_addc_u32 s27, s21, 0
	s_cmp_lg_u64 s[0:1], s[6:7]
	s_cbranch_scc0 .LBB721_51
; %bb.18:
	global_load_ubyte v1, v0, s[16:17] offset:256
	global_load_ubyte v2, v0, s[16:17] offset:384
	s_waitcnt lgkmcnt(0)
	global_load_ubyte v4, v0, s[16:17] offset:128
	global_load_ubyte v6, v0, s[16:17]
	v_mov_b32_e32 v3, s27
	v_add_co_u32_e32 v10, vcc, s26, v0
	s_and_b32 s0, s31, 0xff
	v_addc_co_u32_e32 v11, vcc, 0, v3, vcc
	v_mov_b32_e32 v7, 0x100
	v_mov_b32_e32 v8, 0x80
	;; [unrolled: 1-line block ×3, first 2 shown]
	v_mbcnt_lo_u32_b32 v5, -1, 0
	v_mbcnt_hi_u32_b32 v3, -1, v5
	v_lshlrev_b32_e32 v5, 2, v3
	v_or_b32_e32 v12, 0xfc, v5
	s_waitcnt vmcnt(3)
	v_cmp_eq_u16_sdwa s[2:3], v1, s0 src0_sel:BYTE_0 src1_sel:DWORD
	s_waitcnt vmcnt(2)
	v_cmp_eq_u16_sdwa s[8:9], v2, s0 src0_sel:BYTE_0 src1_sel:DWORD
	s_waitcnt vmcnt(1)
	v_cmp_eq_u16_e32 vcc, s0, v4
	v_cndmask_b32_e32 v1, v7, v8, vcc
	s_waitcnt vmcnt(0)
	v_cmp_eq_u16_e64 s[0:1], s0, v6
	v_cndmask_b32_e64 v1, v1, 0, s[0:1]
	s_or_b64 s[0:1], s[0:1], vcc
	s_or_b64 vcc, s[0:1], s[2:3]
	v_cndmask_b32_e32 v1, v9, v1, vcc
	v_add_co_u32_e64 v1, s[0:1], v10, v1
	v_addc_co_u32_e64 v2, s[0:1], 0, v11, s[0:1]
	s_or_b64 s[0:1], vcc, s[8:9]
	v_mov_b32_dpp v6, v1 quad_perm:[1,0,3,2] row_mask:0xf bank_mask:0xf bound_ctrl:1
	v_mov_b32_dpp v7, v2 quad_perm:[1,0,3,2] row_mask:0xf bank_mask:0xf bound_ctrl:1
	v_cndmask_b32_e64 v4, 0, 1, s[0:1]
	v_cmp_lt_i64_e32 vcc, v[1:2], v[6:7]
	s_and_b64 vcc, s[0:1], vcc
	v_mov_b32_dpp v8, v4 quad_perm:[1,0,3,2] row_mask:0xf bank_mask:0xf bound_ctrl:1
	v_and_b32_e32 v8, 1, v8
	v_cndmask_b32_e32 v6, v6, v1, vcc
	v_cndmask_b32_e32 v7, v7, v2, vcc
	v_cmp_eq_u32_e32 vcc, 1, v8
	v_cndmask_b32_e32 v2, v2, v7, vcc
	v_cndmask_b32_e32 v1, v1, v6, vcc
	v_cndmask_b32_e64 v4, v4, 1, vcc
	v_mov_b32_dpp v7, v2 quad_perm:[2,3,0,1] row_mask:0xf bank_mask:0xf bound_ctrl:1
	v_mov_b32_dpp v6, v1 quad_perm:[2,3,0,1] row_mask:0xf bank_mask:0xf bound_ctrl:1
	v_and_b32_e32 v9, 1, v4
	v_cmp_lt_i64_e64 s[0:1], v[1:2], v[6:7]
	v_mov_b32_dpp v8, v4 quad_perm:[2,3,0,1] row_mask:0xf bank_mask:0xf bound_ctrl:1
	v_cmp_eq_u32_e32 vcc, 1, v9
	v_and_b32_e32 v8, 1, v8
	s_and_b64 vcc, vcc, s[0:1]
	v_cmp_eq_u32_e64 s[2:3], 1, v8
	v_cndmask_b32_e32 v6, v6, v1, vcc
	v_cndmask_b32_e32 v7, v7, v2, vcc
	v_cndmask_b32_e64 v1, v1, v6, s[2:3]
	v_cndmask_b32_e64 v2, v2, v7, s[2:3]
	;; [unrolled: 1-line block ×3, first 2 shown]
	v_mov_b32_dpp v6, v1 row_ror:4 row_mask:0xf bank_mask:0xf bound_ctrl:1
	v_mov_b32_dpp v7, v2 row_ror:4 row_mask:0xf bank_mask:0xf bound_ctrl:1
	v_and_b32_e32 v9, 1, v4
	v_cmp_lt_i64_e64 s[2:3], v[1:2], v[6:7]
	v_mov_b32_dpp v8, v4 row_ror:4 row_mask:0xf bank_mask:0xf bound_ctrl:1
	v_cmp_eq_u32_e32 vcc, 1, v9
	v_and_b32_e32 v8, 1, v8
	s_and_b64 vcc, vcc, s[2:3]
	v_cmp_eq_u32_e64 s[0:1], 1, v8
	v_cndmask_b32_e32 v6, v6, v1, vcc
	v_cndmask_b32_e32 v7, v7, v2, vcc
	v_cndmask_b32_e64 v1, v1, v6, s[0:1]
	v_cndmask_b32_e64 v2, v2, v7, s[0:1]
	;; [unrolled: 1-line block ×3, first 2 shown]
	v_mov_b32_dpp v6, v1 row_ror:8 row_mask:0xf bank_mask:0xf bound_ctrl:1
	v_mov_b32_dpp v7, v2 row_ror:8 row_mask:0xf bank_mask:0xf bound_ctrl:1
	v_and_b32_e32 v9, 1, v4
	v_cmp_lt_i64_e64 s[2:3], v[1:2], v[6:7]
	v_mov_b32_dpp v8, v4 row_ror:8 row_mask:0xf bank_mask:0xf bound_ctrl:1
	v_cmp_eq_u32_e64 s[8:9], 1, v9
	v_and_b32_e32 v8, 1, v8
	s_and_b64 s[2:3], s[8:9], s[2:3]
	v_cmp_eq_u32_e64 s[10:11], 1, v8
	v_cndmask_b32_e64 v6, v6, v1, s[2:3]
	v_cndmask_b32_e64 v7, v7, v2, s[2:3]
	;; [unrolled: 1-line block ×5, first 2 shown]
	v_mov_b32_dpp v6, v1 row_bcast:15 row_mask:0xf bank_mask:0xf bound_ctrl:1
	v_mov_b32_dpp v7, v2 row_bcast:15 row_mask:0xf bank_mask:0xf bound_ctrl:1
	v_and_b32_e32 v9, 1, v4
	v_cmp_lt_i64_e64 s[2:3], v[1:2], v[6:7]
	v_mov_b32_dpp v8, v4 row_bcast:15 row_mask:0xf bank_mask:0xf bound_ctrl:1
	v_cmp_eq_u32_e32 vcc, 1, v9
	v_and_b32_e32 v8, 1, v8
	s_and_b64 vcc, vcc, s[2:3]
	v_cmp_eq_u32_e64 s[0:1], 1, v8
	v_cndmask_b32_e32 v6, v6, v1, vcc
	v_cndmask_b32_e32 v7, v7, v2, vcc
	v_cndmask_b32_e64 v4, v4, 1, s[0:1]
	v_cndmask_b32_e64 v1, v1, v6, s[0:1]
	;; [unrolled: 1-line block ×3, first 2 shown]
	v_mov_b32_dpp v8, v4 row_bcast:31 row_mask:0xf bank_mask:0xf bound_ctrl:1
	v_mov_b32_dpp v6, v1 row_bcast:31 row_mask:0xf bank_mask:0xf bound_ctrl:1
	;; [unrolled: 1-line block ×3, first 2 shown]
	v_and_b32_e32 v9, 1, v4
	v_and_b32_e32 v8, 1, v8
	v_cmp_lt_i64_e32 vcc, v[1:2], v[6:7]
	v_cmp_eq_u32_e64 s[12:13], 1, v9
	v_cmp_eq_u32_e64 s[8:9], 1, v8
	v_cndmask_b32_e64 v4, v4, 1, s[8:9]
	s_and_b64 vcc, s[12:13], vcc
	ds_bpermute_b32 v9, v12, v4
	v_cndmask_b32_e32 v4, v6, v1, vcc
	v_cndmask_b32_e32 v6, v7, v2, vcc
	v_cndmask_b32_e64 v1, v1, v4, s[8:9]
	v_cndmask_b32_e64 v2, v2, v6, s[8:9]
	ds_bpermute_b32 v1, v12, v1
	ds_bpermute_b32 v2, v12, v2
	v_cmp_eq_u32_e32 vcc, 0, v3
	s_and_saveexec_b64 s[0:1], vcc
	s_cbranch_execz .LBB721_20
; %bb.19:
	v_lshrrev_b32_e32 v4, 2, v0
	v_and_b32_e32 v4, 16, v4
	s_waitcnt lgkmcnt(2)
	ds_write_b8 v4, v9 offset:64
	s_waitcnt lgkmcnt(1)
	ds_write_b64 v4, v[1:2] offset:72
.LBB721_20:
	s_or_b64 exec, exec, s[0:1]
	v_cmp_gt_u32_e32 vcc, 64, v0
	s_waitcnt lgkmcnt(0)
	s_barrier
	s_and_saveexec_b64 s[0:1], vcc
	s_cbranch_execz .LBB721_26
; %bb.21:
	v_and_b32_e32 v1, 1, v3
	v_lshlrev_b32_e32 v1, 4, v1
	ds_read_u8 v7, v1 offset:64
	ds_read_b64 v[3:4], v1 offset:72
	v_or_b32_e32 v2, 4, v5
	s_waitcnt lgkmcnt(1)
	v_and_b32_e32 v1, 0xff, v7
	ds_bpermute_b32 v8, v2, v1
	s_waitcnt lgkmcnt(1)
	ds_bpermute_b32 v5, v2, v3
	ds_bpermute_b32 v6, v2, v4
	s_waitcnt lgkmcnt(2)
	v_and_b32_e32 v1, v7, v8
	v_and_b32_e32 v1, 1, v1
	v_cmp_eq_u32_e32 vcc, 1, v1
                                        ; implicit-def: $vgpr1_vgpr2
	s_and_saveexec_b64 s[2:3], vcc
	s_xor_b64 s[2:3], exec, s[2:3]
	s_cbranch_execz .LBB721_23
; %bb.22:
	s_waitcnt lgkmcnt(0)
	v_cmp_lt_i64_e32 vcc, v[5:6], v[3:4]
                                        ; implicit-def: $vgpr7
                                        ; implicit-def: $vgpr8
	v_cndmask_b32_e32 v2, v4, v6, vcc
	v_cndmask_b32_e32 v1, v3, v5, vcc
                                        ; implicit-def: $vgpr5_vgpr6
                                        ; implicit-def: $vgpr3_vgpr4
.LBB721_23:
	s_or_saveexec_b64 s[2:3], s[2:3]
	v_mov_b32_e32 v9, 1
	s_xor_b64 exec, exec, s[2:3]
	s_cbranch_execz .LBB721_25
; %bb.24:
	v_and_b32_e32 v1, 1, v7
	v_cmp_eq_u32_e32 vcc, 1, v1
	s_waitcnt lgkmcnt(0)
	v_cndmask_b32_e32 v2, v6, v4, vcc
	v_cndmask_b32_e32 v1, v5, v3, vcc
	v_cndmask_b32_e64 v9, v8, 1, vcc
.LBB721_25:
	s_or_b64 exec, exec, s[2:3]
.LBB721_26:
	s_or_b64 exec, exec, s[0:1]
	s_branch .LBB721_214
.LBB721_27:
                                        ; implicit-def: $vgpr3_vgpr4
                                        ; implicit-def: $vgpr5
                                        ; implicit-def: $vgpr1_vgpr2
	s_branch .LBB721_306
.LBB721_28:
                                        ; implicit-def: $vgpr1_vgpr2
                                        ; implicit-def: $vgpr17
	s_cbranch_execz .LBB721_145
; %bb.29:
	s_sub_i32 s34, s22, s12
	v_mov_b32_e32 v15, 0
	v_mov_b32_e32 v1, 0
	v_cmp_gt_u32_e32 vcc, s34, v0
	v_mov_b32_e32 v24, 0
	v_mov_b32_e32 v16, 0
	;; [unrolled: 1-line block ×4, first 2 shown]
	s_and_saveexec_b64 s[0:1], vcc
	s_cbranch_execz .LBB721_31
; %bb.30:
	global_load_ubyte v3, v0, s[16:17]
	v_mov_b32_e32 v2, s36
	v_add_co_u32_e32 v1, vcc, s35, v0
	s_and_b32 s2, s31, 0xff
	v_addc_co_u32_e32 v2, vcc, 0, v2, vcc
	s_waitcnt vmcnt(0)
	v_cmp_eq_u16_e32 vcc, s2, v3
	v_cndmask_b32_e64 v17, 0, 1, vcc
.LBB721_31:
	s_or_b64 exec, exec, s[0:1]
	v_or_b32_e32 v3, 0x80, v0
	v_cmp_gt_u32_e64 s[14:15], s34, v3
	s_and_saveexec_b64 s[0:1], s[14:15]
	s_cbranch_execz .LBB721_33
; %bb.32:
	global_load_ubyte v4, v0, s[16:17] offset:128
	s_waitcnt lgkmcnt(1)
	v_mov_b32_e32 v5, s36
	v_add_co_u32_e32 v15, vcc, s35, v3
	s_and_b32 s2, s31, 0xff
	v_addc_co_u32_e32 v16, vcc, 0, v5, vcc
	s_waitcnt vmcnt(0)
	v_cmp_eq_u16_e32 vcc, s2, v4
	v_cndmask_b32_e64 v24, 0, 1, vcc
.LBB721_33:
	s_or_b64 exec, exec, s[0:1]
	v_or_b32_e32 v3, 0x100, v0
	v_mov_b32_e32 v11, 0
	v_mov_b32_e32 v13, 0
	v_cmp_gt_u32_e64 s[12:13], s34, v3
	v_mov_b32_e32 v22, 0
	v_mov_b32_e32 v12, 0
	;; [unrolled: 1-line block ×4, first 2 shown]
	s_and_saveexec_b64 s[0:1], s[12:13]
	s_cbranch_execz .LBB721_35
; %bb.34:
	global_load_ubyte v4, v0, s[16:17] offset:256
	s_waitcnt lgkmcnt(1)
	v_mov_b32_e32 v5, s36
	v_add_co_u32_e32 v13, vcc, s35, v3
	s_and_b32 s2, s31, 0xff
	v_addc_co_u32_e32 v14, vcc, 0, v5, vcc
	s_waitcnt vmcnt(0)
	v_cmp_eq_u16_e32 vcc, s2, v4
	v_cndmask_b32_e64 v23, 0, 1, vcc
.LBB721_35:
	s_or_b64 exec, exec, s[0:1]
	v_or_b32_e32 v3, 0x180, v0
	v_cmp_gt_u32_e64 s[10:11], s34, v3
	s_and_saveexec_b64 s[0:1], s[10:11]
	s_cbranch_execz .LBB721_37
; %bb.36:
	global_load_ubyte v4, v0, s[16:17] offset:384
	s_waitcnt lgkmcnt(1)
	v_mov_b32_e32 v5, s36
	v_add_co_u32_e32 v11, vcc, s35, v3
	s_and_b32 s2, s31, 0xff
	v_addc_co_u32_e32 v12, vcc, 0, v5, vcc
	s_waitcnt vmcnt(0)
	v_cmp_eq_u16_e32 vcc, s2, v4
	v_cndmask_b32_e64 v22, 0, 1, vcc
.LBB721_37:
	s_or_b64 exec, exec, s[0:1]
	v_or_b32_e32 v3, 0x200, v0
	v_mov_b32_e32 v7, 0
	v_mov_b32_e32 v9, 0
	v_cmp_gt_u32_e64 s[8:9], s34, v3
	v_mov_b32_e32 v20, 0
	v_mov_b32_e32 v8, 0
	;; [unrolled: 1-line block ×4, first 2 shown]
	s_and_saveexec_b64 s[0:1], s[8:9]
	s_cbranch_execz .LBB721_39
; %bb.38:
	global_load_ubyte v4, v0, s[16:17] offset:512
	s_waitcnt lgkmcnt(1)
	v_mov_b32_e32 v5, s36
	v_add_co_u32_e32 v9, vcc, s35, v3
	s_and_b32 s2, s31, 0xff
	v_addc_co_u32_e32 v10, vcc, 0, v5, vcc
	s_waitcnt vmcnt(0)
	v_cmp_eq_u16_e32 vcc, s2, v4
	v_cndmask_b32_e64 v21, 0, 1, vcc
.LBB721_39:
	s_or_b64 exec, exec, s[0:1]
	v_or_b32_e32 v3, 0x280, v0
	v_cmp_gt_u32_e64 s[2:3], s34, v3
	s_and_saveexec_b64 s[0:1], s[2:3]
	s_cbranch_execz .LBB721_41
; %bb.40:
	global_load_ubyte v4, v0, s[16:17] offset:640
	s_waitcnt lgkmcnt(1)
	v_mov_b32_e32 v5, s36
	v_add_co_u32_e32 v7, vcc, s35, v3
	s_and_b32 s28, s31, 0xff
	v_addc_co_u32_e32 v8, vcc, 0, v5, vcc
	s_waitcnt vmcnt(0)
	v_cmp_eq_u16_e32 vcc, s28, v4
	v_cndmask_b32_e64 v20, 0, 1, vcc
.LBB721_41:
	s_or_b64 exec, exec, s[0:1]
	v_or_b32_e32 v25, 0x300, v0
	v_mov_b32_e32 v3, 0
	s_waitcnt lgkmcnt(0)
	v_mov_b32_e32 v5, 0
	v_cmp_gt_u32_e64 s[0:1], s34, v25
	v_mov_b32_e32 v4, 0
	v_mov_b32_e32 v18, 0
	;; [unrolled: 1-line block ×4, first 2 shown]
	s_and_saveexec_b64 s[28:29], s[0:1]
	s_cbranch_execz .LBB721_43
; %bb.42:
	global_load_ubyte v19, v0, s[16:17] offset:768
	v_mov_b32_e32 v6, s36
	v_add_co_u32_e32 v5, vcc, s35, v25
	s_and_b32 s37, s31, 0xff
	v_addc_co_u32_e32 v6, vcc, 0, v6, vcc
	s_waitcnt vmcnt(0)
	v_cmp_eq_u16_e32 vcc, s37, v19
	v_cndmask_b32_e64 v19, 0, 1, vcc
.LBB721_43:
	s_or_b64 exec, exec, s[28:29]
	v_or_b32_e32 v25, 0x380, v0
	v_cmp_gt_u32_e32 vcc, s34, v25
	s_and_saveexec_b64 s[28:29], vcc
	s_cbranch_execnz .LBB721_62
; %bb.44:
	s_or_b64 exec, exec, s[28:29]
	s_and_saveexec_b64 s[28:29], s[14:15]
	s_cbranch_execnz .LBB721_63
.LBB721_45:
	s_or_b64 exec, exec, s[28:29]
	s_and_saveexec_b64 s[16:17], s[12:13]
	s_cbranch_execnz .LBB721_68
.LBB721_46:
	s_or_b64 exec, exec, s[16:17]
	s_and_saveexec_b64 s[14:15], s[10:11]
	s_cbranch_execnz .LBB721_73
.LBB721_47:
	s_or_b64 exec, exec, s[14:15]
	s_and_saveexec_b64 s[12:13], s[8:9]
	s_cbranch_execnz .LBB721_78
.LBB721_48:
	s_or_b64 exec, exec, s[12:13]
	s_and_saveexec_b64 s[10:11], s[2:3]
	s_cbranch_execnz .LBB721_83
.LBB721_49:
	s_or_b64 exec, exec, s[10:11]
	s_and_saveexec_b64 s[8:9], s[0:1]
	s_cbranch_execnz .LBB721_88
.LBB721_50:
	s_or_b64 exec, exec, s[8:9]
	s_and_saveexec_b64 s[2:3], vcc
	s_cbranch_execnz .LBB721_93
	s_branch .LBB721_98
.LBB721_51:
                                        ; implicit-def: $vgpr1_vgpr2
                                        ; implicit-def: $vgpr9
	s_cbranch_execz .LBB721_214
; %bb.52:
	s_sub_i32 s12, s22, s28
	s_waitcnt lgkmcnt(1)
	v_mov_b32_e32 v7, 0
	v_mov_b32_e32 v1, 0
	v_cmp_gt_u32_e32 vcc, s12, v0
	v_mov_b32_e32 v12, 0
	v_mov_b32_e32 v8, 0
	;; [unrolled: 1-line block ×4, first 2 shown]
	s_and_saveexec_b64 s[0:1], vcc
	s_cbranch_execz .LBB721_54
; %bb.53:
	global_load_ubyte v3, v0, s[16:17]
	v_mov_b32_e32 v2, s27
	v_add_co_u32_e32 v1, vcc, s26, v0
	s_and_b32 s2, s31, 0xff
	v_addc_co_u32_e32 v2, vcc, 0, v2, vcc
	s_waitcnt vmcnt(0)
	v_cmp_eq_u16_e32 vcc, s2, v3
	v_cndmask_b32_e64 v9, 0, 1, vcc
.LBB721_54:
	s_or_b64 exec, exec, s[0:1]
	v_or_b32_e32 v3, 0x80, v0
	v_cmp_gt_u32_e64 s[2:3], s12, v3
	s_and_saveexec_b64 s[0:1], s[2:3]
	s_cbranch_execz .LBB721_56
; %bb.55:
	s_waitcnt lgkmcnt(0)
	global_load_ubyte v4, v0, s[16:17] offset:128
	v_mov_b32_e32 v5, s27
	v_add_co_u32_e32 v7, vcc, s26, v3
	s_and_b32 s8, s31, 0xff
	v_addc_co_u32_e32 v8, vcc, 0, v5, vcc
	s_waitcnt vmcnt(0)
	v_cmp_eq_u16_e32 vcc, s8, v4
	v_cndmask_b32_e64 v12, 0, 1, vcc
.LBB721_56:
	s_or_b64 exec, exec, s[0:1]
	v_or_b32_e32 v13, 0x100, v0
	s_waitcnt lgkmcnt(0)
	v_mov_b32_e32 v3, 0
	v_mov_b32_e32 v5, 0
	v_cmp_gt_u32_e64 s[0:1], s12, v13
	v_mov_b32_e32 v10, 0
	v_mov_b32_e32 v4, 0
	;; [unrolled: 1-line block ×4, first 2 shown]
	s_and_saveexec_b64 s[8:9], s[0:1]
	s_cbranch_execz .LBB721_58
; %bb.57:
	global_load_ubyte v11, v0, s[16:17] offset:256
	v_mov_b32_e32 v6, s27
	v_add_co_u32_e32 v5, vcc, s26, v13
	s_and_b32 s10, s31, 0xff
	v_addc_co_u32_e32 v6, vcc, 0, v6, vcc
	s_waitcnt vmcnt(0)
	v_cmp_eq_u16_e32 vcc, s10, v11
	v_cndmask_b32_e64 v11, 0, 1, vcc
.LBB721_58:
	s_or_b64 exec, exec, s[8:9]
	v_or_b32_e32 v13, 0x180, v0
	v_cmp_gt_u32_e32 vcc, s12, v13
	s_and_saveexec_b64 s[10:11], vcc
	s_cbranch_execnz .LBB721_151
; %bb.59:
	s_or_b64 exec, exec, s[10:11]
	s_and_saveexec_b64 s[10:11], s[2:3]
	s_cbranch_execnz .LBB721_152
.LBB721_60:
	s_or_b64 exec, exec, s[10:11]
	s_and_saveexec_b64 s[8:9], s[0:1]
	s_cbranch_execnz .LBB721_157
.LBB721_61:
	s_or_b64 exec, exec, s[8:9]
	s_and_saveexec_b64 s[2:3], vcc
	s_cbranch_execnz .LBB721_162
	s_branch .LBB721_167
.LBB721_62:
	global_load_ubyte v18, v0, s[16:17] offset:896
	v_mov_b32_e32 v4, s36
	v_add_co_u32_e64 v3, s[16:17], s35, v25
	s_and_b32 s36, s31, 0xff
	v_addc_co_u32_e64 v4, s[16:17], 0, v4, s[16:17]
	s_waitcnt vmcnt(0)
	v_cmp_eq_u16_e64 s[16:17], s36, v18
	v_cndmask_b32_e64 v18, 0, 1, s[16:17]
	s_or_b64 exec, exec, s[28:29]
	s_and_saveexec_b64 s[28:29], s[14:15]
	s_cbranch_execz .LBB721_45
.LBB721_63:
	v_and_b32_e32 v17, 1, v17
	v_cmp_eq_u32_e64 s[14:15], 1, v17
	v_and_b32_e32 v17, 1, v24
	v_cmp_eq_u32_e64 s[16:17], 1, v17
	s_and_b64 s[16:17], s[14:15], s[16:17]
	s_xor_b64 s[16:17], s[16:17], -1
                                        ; implicit-def: $vgpr17
	s_and_saveexec_b64 s[36:37], s[16:17]
	s_xor_b64 s[16:17], exec, s[36:37]
; %bb.64:
	v_and_b32_e32 v17, 0xffff, v24
	v_cndmask_b32_e64 v17, v17, 1, s[14:15]
	v_cndmask_b32_e64 v2, v16, v2, s[14:15]
	;; [unrolled: 1-line block ×3, first 2 shown]
                                        ; implicit-def: $vgpr15_vgpr16
; %bb.65:
	s_andn2_saveexec_b64 s[16:17], s[16:17]
; %bb.66:
	v_cmp_lt_i64_e64 s[14:15], v[15:16], v[1:2]
	v_mov_b32_e32 v17, 1
	v_cndmask_b32_e64 v2, v2, v16, s[14:15]
	v_cndmask_b32_e64 v1, v1, v15, s[14:15]
; %bb.67:
	s_or_b64 exec, exec, s[16:17]
	s_or_b64 exec, exec, s[28:29]
	s_and_saveexec_b64 s[16:17], s[12:13]
	s_cbranch_execz .LBB721_46
.LBB721_68:
	v_and_b32_e32 v15, 1, v17
	v_cmp_eq_u32_e64 s[12:13], 1, v15
	v_and_b32_e32 v15, 1, v23
	v_cmp_eq_u32_e64 s[14:15], 1, v15
	s_and_b64 s[14:15], s[12:13], s[14:15]
	s_xor_b64 s[14:15], s[14:15], -1
                                        ; implicit-def: $vgpr17
	s_and_saveexec_b64 s[28:29], s[14:15]
	s_xor_b64 s[14:15], exec, s[28:29]
; %bb.69:
	v_and_b32_e32 v15, 0xffff, v23
	v_cndmask_b32_e64 v17, v15, 1, s[12:13]
	v_cndmask_b32_e64 v2, v14, v2, s[12:13]
	;; [unrolled: 1-line block ×3, first 2 shown]
                                        ; implicit-def: $vgpr13_vgpr14
; %bb.70:
	s_andn2_saveexec_b64 s[14:15], s[14:15]
; %bb.71:
	v_cmp_lt_i64_e64 s[12:13], v[13:14], v[1:2]
	v_mov_b32_e32 v17, 1
	v_cndmask_b32_e64 v2, v2, v14, s[12:13]
	v_cndmask_b32_e64 v1, v1, v13, s[12:13]
; %bb.72:
	s_or_b64 exec, exec, s[14:15]
	s_or_b64 exec, exec, s[16:17]
	s_and_saveexec_b64 s[14:15], s[10:11]
	s_cbranch_execz .LBB721_47
.LBB721_73:
	v_and_b32_e32 v13, 1, v17
	v_cmp_eq_u32_e64 s[10:11], 1, v13
	v_and_b32_e32 v13, 1, v22
	v_cmp_eq_u32_e64 s[12:13], 1, v13
	s_and_b64 s[12:13], s[10:11], s[12:13]
	s_xor_b64 s[12:13], s[12:13], -1
                                        ; implicit-def: $vgpr17
	s_and_saveexec_b64 s[16:17], s[12:13]
	s_xor_b64 s[12:13], exec, s[16:17]
; %bb.74:
	v_and_b32_e32 v13, 0xffff, v22
	v_cndmask_b32_e64 v17, v13, 1, s[10:11]
	v_cndmask_b32_e64 v2, v12, v2, s[10:11]
	;; [unrolled: 1-line block ×3, first 2 shown]
                                        ; implicit-def: $vgpr11_vgpr12
; %bb.75:
	s_andn2_saveexec_b64 s[12:13], s[12:13]
; %bb.76:
	v_cmp_lt_i64_e64 s[10:11], v[11:12], v[1:2]
	v_mov_b32_e32 v17, 1
	v_cndmask_b32_e64 v2, v2, v12, s[10:11]
	v_cndmask_b32_e64 v1, v1, v11, s[10:11]
; %bb.77:
	s_or_b64 exec, exec, s[12:13]
	s_or_b64 exec, exec, s[14:15]
	s_and_saveexec_b64 s[12:13], s[8:9]
	s_cbranch_execz .LBB721_48
.LBB721_78:
	v_and_b32_e32 v11, 1, v17
	v_cmp_eq_u32_e64 s[8:9], 1, v11
	v_and_b32_e32 v11, 1, v21
	v_cmp_eq_u32_e64 s[10:11], 1, v11
	s_and_b64 s[10:11], s[8:9], s[10:11]
	s_xor_b64 s[10:11], s[10:11], -1
                                        ; implicit-def: $vgpr17
	s_and_saveexec_b64 s[14:15], s[10:11]
	s_xor_b64 s[10:11], exec, s[14:15]
; %bb.79:
	v_and_b32_e32 v11, 0xffff, v21
	v_cndmask_b32_e64 v17, v11, 1, s[8:9]
	v_cndmask_b32_e64 v2, v10, v2, s[8:9]
	;; [unrolled: 1-line block ×3, first 2 shown]
                                        ; implicit-def: $vgpr9_vgpr10
; %bb.80:
	s_andn2_saveexec_b64 s[10:11], s[10:11]
; %bb.81:
	v_cmp_lt_i64_e64 s[8:9], v[9:10], v[1:2]
	v_mov_b32_e32 v17, 1
	v_cndmask_b32_e64 v2, v2, v10, s[8:9]
	v_cndmask_b32_e64 v1, v1, v9, s[8:9]
; %bb.82:
	s_or_b64 exec, exec, s[10:11]
	s_or_b64 exec, exec, s[12:13]
	s_and_saveexec_b64 s[10:11], s[2:3]
	s_cbranch_execz .LBB721_49
.LBB721_83:
	v_and_b32_e32 v9, 1, v17
	v_cmp_eq_u32_e64 s[2:3], 1, v9
	v_and_b32_e32 v9, 1, v20
	v_cmp_eq_u32_e64 s[8:9], 1, v9
	s_and_b64 s[8:9], s[2:3], s[8:9]
	s_xor_b64 s[8:9], s[8:9], -1
                                        ; implicit-def: $vgpr17
	s_and_saveexec_b64 s[12:13], s[8:9]
	s_xor_b64 s[8:9], exec, s[12:13]
; %bb.84:
	v_and_b32_e32 v9, 0xffff, v20
	v_cndmask_b32_e64 v17, v9, 1, s[2:3]
	v_cndmask_b32_e64 v2, v8, v2, s[2:3]
	;; [unrolled: 1-line block ×3, first 2 shown]
                                        ; implicit-def: $vgpr7_vgpr8
; %bb.85:
	s_andn2_saveexec_b64 s[8:9], s[8:9]
; %bb.86:
	v_cmp_lt_i64_e64 s[2:3], v[7:8], v[1:2]
	v_mov_b32_e32 v17, 1
	v_cndmask_b32_e64 v2, v2, v8, s[2:3]
	v_cndmask_b32_e64 v1, v1, v7, s[2:3]
; %bb.87:
	s_or_b64 exec, exec, s[8:9]
	s_or_b64 exec, exec, s[10:11]
	s_and_saveexec_b64 s[8:9], s[0:1]
	s_cbranch_execz .LBB721_50
.LBB721_88:
	v_and_b32_e32 v7, 1, v17
	v_cmp_eq_u32_e64 s[0:1], 1, v7
	v_and_b32_e32 v7, 1, v19
	v_cmp_eq_u32_e64 s[2:3], 1, v7
	s_and_b64 s[2:3], s[0:1], s[2:3]
	s_xor_b64 s[2:3], s[2:3], -1
                                        ; implicit-def: $vgpr17
	s_and_saveexec_b64 s[10:11], s[2:3]
	s_xor_b64 s[2:3], exec, s[10:11]
; %bb.89:
	v_and_b32_e32 v7, 0xffff, v19
	v_cndmask_b32_e64 v17, v7, 1, s[0:1]
	v_cndmask_b32_e64 v2, v6, v2, s[0:1]
	;; [unrolled: 1-line block ×3, first 2 shown]
                                        ; implicit-def: $vgpr5_vgpr6
; %bb.90:
	s_andn2_saveexec_b64 s[2:3], s[2:3]
; %bb.91:
	v_cmp_lt_i64_e64 s[0:1], v[5:6], v[1:2]
	v_mov_b32_e32 v17, 1
	v_cndmask_b32_e64 v2, v2, v6, s[0:1]
	v_cndmask_b32_e64 v1, v1, v5, s[0:1]
; %bb.92:
	s_or_b64 exec, exec, s[2:3]
	s_or_b64 exec, exec, s[8:9]
	s_and_saveexec_b64 s[2:3], vcc
	s_cbranch_execz .LBB721_98
.LBB721_93:
	v_and_b32_e32 v5, 1, v17
	v_cmp_eq_u32_e32 vcc, 1, v5
	v_and_b32_e32 v5, 1, v18
	v_cmp_eq_u32_e64 s[0:1], 1, v5
	s_and_b64 s[0:1], vcc, s[0:1]
	s_xor_b64 s[0:1], s[0:1], -1
                                        ; implicit-def: $vgpr17
	s_and_saveexec_b64 s[8:9], s[0:1]
	s_xor_b64 s[0:1], exec, s[8:9]
; %bb.94:
	v_and_b32_e32 v5, 0xffff, v18
	v_cndmask_b32_e64 v17, v5, 1, vcc
	v_cndmask_b32_e32 v2, v4, v2, vcc
	v_cndmask_b32_e32 v1, v3, v1, vcc
                                        ; implicit-def: $vgpr3_vgpr4
; %bb.95:
	s_andn2_saveexec_b64 s[0:1], s[0:1]
; %bb.96:
	v_cmp_lt_i64_e32 vcc, v[3:4], v[1:2]
	v_mov_b32_e32 v17, 1
	v_cndmask_b32_e32 v2, v2, v4, vcc
	v_cndmask_b32_e32 v1, v1, v3, vcc
; %bb.97:
	s_or_b64 exec, exec, s[0:1]
.LBB721_98:
	s_or_b64 exec, exec, s[2:3]
	v_mbcnt_lo_u32_b32 v3, -1, 0
	v_mbcnt_hi_u32_b32 v5, -1, v3
	v_and_b32_e32 v6, 63, v5
	v_cmp_ne_u32_e32 vcc, 63, v6
	v_addc_co_u32_e32 v3, vcc, 0, v5, vcc
	v_lshlrev_b32_e32 v4, 2, v3
	ds_bpermute_b32 v8, v4, v17
	ds_bpermute_b32 v3, v4, v1
	;; [unrolled: 1-line block ×3, first 2 shown]
	s_min_u32 s8, s34, 0x80
	v_and_b32_e32 v7, 64, v0
	v_sub_u32_e64 v7, s8, v7 clamp
	v_add_u32_e32 v9, 1, v6
	v_cmp_lt_u32_e32 vcc, v9, v7
	s_and_saveexec_b64 s[0:1], vcc
	s_xor_b64 s[0:1], exec, s[0:1]
	s_cbranch_execz .LBB721_104
; %bb.99:
	s_waitcnt lgkmcnt(2)
	v_and_b32_e32 v9, v8, v17
	v_cmp_ne_u32_e32 vcc, 0, v9
	s_and_saveexec_b64 s[2:3], vcc
	s_xor_b64 s[2:3], exec, s[2:3]
	s_cbranch_execz .LBB721_101
; %bb.100:
	s_waitcnt lgkmcnt(0)
	v_cmp_lt_i64_e32 vcc, v[3:4], v[1:2]
                                        ; implicit-def: $vgpr17
                                        ; implicit-def: $vgpr8
	v_cndmask_b32_e32 v2, v2, v4, vcc
	v_cndmask_b32_e32 v1, v1, v3, vcc
                                        ; implicit-def: $vgpr3_vgpr4
.LBB721_101:
	s_or_saveexec_b64 s[2:3], s[2:3]
	v_mov_b32_e32 v9, 1
	s_xor_b64 exec, exec, s[2:3]
	s_cbranch_execz .LBB721_103
; %bb.102:
	v_and_b32_e32 v9, 1, v17
	v_cmp_eq_u32_e32 vcc, 1, v9
	s_waitcnt lgkmcnt(1)
	v_cndmask_b32_e32 v1, v3, v1, vcc
	v_and_b32_e32 v3, 0xff, v8
	s_waitcnt lgkmcnt(0)
	v_cndmask_b32_e32 v2, v4, v2, vcc
	v_cndmask_b32_e64 v9, v3, 1, vcc
.LBB721_103:
	s_or_b64 exec, exec, s[2:3]
	v_mov_b32_e32 v17, v9
.LBB721_104:
	s_or_b64 exec, exec, s[0:1]
	v_cmp_gt_u32_e32 vcc, 62, v6
	s_waitcnt lgkmcnt(1)
	v_cndmask_b32_e64 v3, 0, 2, vcc
	s_waitcnt lgkmcnt(0)
	v_add_lshl_u32 v4, v3, v5, 2
	ds_bpermute_b32 v8, v4, v17
	ds_bpermute_b32 v3, v4, v1
	ds_bpermute_b32 v4, v4, v2
	v_add_u32_e32 v9, 2, v6
	v_cmp_lt_u32_e32 vcc, v9, v7
	s_and_saveexec_b64 s[0:1], vcc
	s_cbranch_execz .LBB721_110
; %bb.105:
	s_waitcnt lgkmcnt(2)
	v_and_b32_e32 v9, v17, v8
	v_and_b32_e32 v9, 1, v9
	v_cmp_eq_u32_e32 vcc, 1, v9
	s_and_saveexec_b64 s[2:3], vcc
	s_xor_b64 s[2:3], exec, s[2:3]
	s_cbranch_execz .LBB721_107
; %bb.106:
	s_waitcnt lgkmcnt(0)
	v_cmp_lt_i64_e32 vcc, v[3:4], v[1:2]
                                        ; implicit-def: $vgpr17
                                        ; implicit-def: $vgpr8
	v_cndmask_b32_e32 v2, v2, v4, vcc
	v_cndmask_b32_e32 v1, v1, v3, vcc
                                        ; implicit-def: $vgpr3_vgpr4
.LBB721_107:
	s_or_saveexec_b64 s[2:3], s[2:3]
	v_mov_b32_e32 v9, 1
	s_xor_b64 exec, exec, s[2:3]
	s_cbranch_execz .LBB721_109
; %bb.108:
	v_and_b32_e32 v9, 1, v17
	v_cmp_eq_u32_e32 vcc, 1, v9
	s_waitcnt lgkmcnt(1)
	v_cndmask_b32_e32 v1, v3, v1, vcc
	v_and_b32_e32 v3, 0xff, v8
	s_waitcnt lgkmcnt(0)
	v_cndmask_b32_e32 v2, v4, v2, vcc
	v_cndmask_b32_e64 v9, v3, 1, vcc
.LBB721_109:
	s_or_b64 exec, exec, s[2:3]
	v_mov_b32_e32 v17, v9
.LBB721_110:
	s_or_b64 exec, exec, s[0:1]
	v_cmp_gt_u32_e32 vcc, 60, v6
	s_waitcnt lgkmcnt(1)
	v_cndmask_b32_e64 v3, 0, 4, vcc
	s_waitcnt lgkmcnt(0)
	v_add_lshl_u32 v4, v3, v5, 2
	ds_bpermute_b32 v8, v4, v17
	ds_bpermute_b32 v3, v4, v1
	ds_bpermute_b32 v4, v4, v2
	v_add_u32_e32 v9, 4, v6
	v_cmp_lt_u32_e32 vcc, v9, v7
	s_and_saveexec_b64 s[0:1], vcc
	s_cbranch_execz .LBB721_116
; %bb.111:
	s_waitcnt lgkmcnt(2)
	v_and_b32_e32 v9, v17, v8
	v_and_b32_e32 v9, 1, v9
	v_cmp_eq_u32_e32 vcc, 1, v9
	s_and_saveexec_b64 s[2:3], vcc
	s_xor_b64 s[2:3], exec, s[2:3]
	s_cbranch_execz .LBB721_113
; %bb.112:
	s_waitcnt lgkmcnt(0)
	v_cmp_lt_i64_e32 vcc, v[3:4], v[1:2]
                                        ; implicit-def: $vgpr17
                                        ; implicit-def: $vgpr8
	v_cndmask_b32_e32 v2, v2, v4, vcc
	v_cndmask_b32_e32 v1, v1, v3, vcc
                                        ; implicit-def: $vgpr3_vgpr4
.LBB721_113:
	s_or_saveexec_b64 s[2:3], s[2:3]
	v_mov_b32_e32 v9, 1
	s_xor_b64 exec, exec, s[2:3]
	s_cbranch_execz .LBB721_115
; %bb.114:
	v_and_b32_e32 v9, 1, v17
	v_cmp_eq_u32_e32 vcc, 1, v9
	s_waitcnt lgkmcnt(1)
	v_cndmask_b32_e32 v1, v3, v1, vcc
	v_and_b32_e32 v3, 0xff, v8
	s_waitcnt lgkmcnt(0)
	v_cndmask_b32_e32 v2, v4, v2, vcc
	v_cndmask_b32_e64 v9, v3, 1, vcc
.LBB721_115:
	s_or_b64 exec, exec, s[2:3]
	v_mov_b32_e32 v17, v9
.LBB721_116:
	;; [unrolled: 47-line block ×4, first 2 shown]
	s_or_b64 exec, exec, s[0:1]
	s_waitcnt lgkmcnt(2)
	v_lshlrev_b32_e32 v8, 2, v5
	s_waitcnt lgkmcnt(0)
	v_or_b32_e32 v4, 0x80, v8
	ds_bpermute_b32 v9, v4, v17
	ds_bpermute_b32 v3, v4, v1
	;; [unrolled: 1-line block ×3, first 2 shown]
	v_add_u32_e32 v6, 32, v6
	v_cmp_lt_u32_e32 vcc, v6, v7
	v_mov_b32_e32 v6, v17
	s_and_saveexec_b64 s[0:1], vcc
	s_cbranch_execz .LBB721_134
; %bb.129:
	s_waitcnt lgkmcnt(2)
	v_and_b32_e32 v6, v17, v9
	v_and_b32_e32 v6, 1, v6
	v_cmp_eq_u32_e32 vcc, 1, v6
	s_and_saveexec_b64 s[2:3], vcc
	s_xor_b64 s[2:3], exec, s[2:3]
	s_cbranch_execz .LBB721_131
; %bb.130:
	s_waitcnt lgkmcnt(0)
	v_cmp_lt_i64_e32 vcc, v[3:4], v[1:2]
                                        ; implicit-def: $vgpr17
                                        ; implicit-def: $vgpr9
	v_cndmask_b32_e32 v2, v2, v4, vcc
	v_cndmask_b32_e32 v1, v1, v3, vcc
                                        ; implicit-def: $vgpr3_vgpr4
.LBB721_131:
	s_or_saveexec_b64 s[2:3], s[2:3]
	v_mov_b32_e32 v6, 1
	s_xor_b64 exec, exec, s[2:3]
	s_cbranch_execz .LBB721_133
; %bb.132:
	v_and_b32_e32 v6, 1, v17
	v_cmp_eq_u32_e32 vcc, 1, v6
	v_cndmask_b32_e64 v6, v9, 1, vcc
	s_waitcnt lgkmcnt(0)
	v_cndmask_b32_e32 v2, v4, v2, vcc
	v_cndmask_b32_e32 v1, v3, v1, vcc
.LBB721_133:
	s_or_b64 exec, exec, s[2:3]
	v_and_b32_e32 v17, 0xff, v6
.LBB721_134:
	s_or_b64 exec, exec, s[0:1]
	v_cmp_eq_u32_e32 vcc, 0, v5
	s_and_saveexec_b64 s[0:1], vcc
	s_cbranch_execz .LBB721_136
; %bb.135:
	s_waitcnt lgkmcnt(1)
	v_lshrrev_b32_e32 v3, 2, v0
	v_and_b32_e32 v3, 16, v3
	ds_write_b8 v3, v6 offset:128
	ds_write_b64 v3, v[1:2] offset:136
.LBB721_136:
	s_or_b64 exec, exec, s[0:1]
	v_cmp_gt_u32_e32 vcc, 2, v0
	s_waitcnt lgkmcnt(0)
	s_barrier
	s_and_saveexec_b64 s[0:1], vcc
	s_cbranch_execz .LBB721_144
; %bb.137:
	v_lshlrev_b32_e32 v1, 4, v5
	ds_read_u8 v6, v1 offset:128
	ds_read_b64 v[1:2], v1 offset:136
	v_or_b32_e32 v4, 4, v8
	s_add_i32 s8, s8, 63
	v_and_b32_e32 v5, 1, v5
	s_waitcnt lgkmcnt(1)
	v_and_b32_e32 v17, 0xff, v6
	s_waitcnt lgkmcnt(0)
	ds_bpermute_b32 v3, v4, v1
	ds_bpermute_b32 v7, v4, v17
	;; [unrolled: 1-line block ×3, first 2 shown]
	s_lshr_b32 s2, s8, 6
	v_add_u32_e32 v5, 1, v5
	v_cmp_gt_u32_e32 vcc, s2, v5
	s_and_saveexec_b64 s[2:3], vcc
	s_cbranch_execz .LBB721_143
; %bb.138:
	s_waitcnt lgkmcnt(1)
	v_and_b32_e32 v5, v17, v7
	v_and_b32_e32 v5, 1, v5
	v_cmp_eq_u32_e32 vcc, 1, v5
	s_and_saveexec_b64 s[8:9], vcc
	s_xor_b64 s[8:9], exec, s[8:9]
	s_cbranch_execz .LBB721_140
; %bb.139:
	s_waitcnt lgkmcnt(0)
	v_cmp_lt_i64_e32 vcc, v[3:4], v[1:2]
                                        ; implicit-def: $vgpr6
                                        ; implicit-def: $vgpr7
	v_cndmask_b32_e32 v2, v2, v4, vcc
	v_cndmask_b32_e32 v1, v1, v3, vcc
                                        ; implicit-def: $vgpr3_vgpr4
.LBB721_140:
	s_or_saveexec_b64 s[8:9], s[8:9]
	v_mov_b32_e32 v17, 1
	s_xor_b64 exec, exec, s[8:9]
	s_cbranch_execz .LBB721_142
; %bb.141:
	v_and_b32_e32 v5, 1, v6
	v_cmp_eq_u32_e32 vcc, 1, v5
	s_waitcnt lgkmcnt(0)
	v_cndmask_b32_e32 v2, v4, v2, vcc
	v_cndmask_b32_e32 v1, v3, v1, vcc
	v_cndmask_b32_e64 v17, v7, 1, vcc
.LBB721_142:
	s_or_b64 exec, exec, s[8:9]
.LBB721_143:
	s_or_b64 exec, exec, s[2:3]
.LBB721_144:
	s_or_b64 exec, exec, s[0:1]
.LBB721_145:
	v_cmp_eq_u32_e32 vcc, 0, v0
	s_mov_b64 s[14:15], 0
                                        ; implicit-def: $vgpr3_vgpr4
                                        ; implicit-def: $vgpr5
	s_and_saveexec_b64 s[0:1], vcc
	s_xor_b64 s[8:9], exec, s[0:1]
	s_cbranch_execz .LBB721_149
; %bb.146:
	s_waitcnt lgkmcnt(0)
	v_mov_b32_e32 v3, s18
	s_cmp_eq_u64 s[22:23], 0
	v_mov_b32_e32 v4, s19
	v_mov_b32_e32 v5, s30
	s_cbranch_scc1 .LBB721_148
; %bb.147:
	v_and_b32_e32 v3, 1, v17
	v_cmp_gt_i64_e64 s[0:1], s[18:19], v[1:2]
	s_bitcmp1_b32 s30, 0
	v_cmp_eq_u32_e32 vcc, 1, v3
	s_cselect_b64 s[2:3], -1, 0
	v_mov_b32_e32 v3, s18
	s_and_b64 vcc, vcc, s[0:1]
	v_mov_b32_e32 v4, s19
	v_cndmask_b32_e32 v3, v3, v1, vcc
	v_cndmask_b32_e32 v4, v4, v2, vcc
	v_cndmask_b32_e64 v5, v17, 1, s[2:3]
	v_cndmask_b32_e64 v4, v2, v4, s[2:3]
	;; [unrolled: 1-line block ×3, first 2 shown]
.LBB721_148:
	s_mov_b64 s[14:15], exec
.LBB721_149:
	s_or_b64 exec, exec, s[8:9]
	v_mov_b32_e32 v1, s6
	v_mov_b32_e32 v2, s7
	s_and_b64 vcc, exec, s[26:27]
	s_cbranch_vccnz .LBB721_16
.LBB721_150:
	s_branch .LBB721_306
.LBB721_151:
	global_load_ubyte v10, v0, s[16:17] offset:384
	v_mov_b32_e32 v4, s27
	v_add_co_u32_e64 v3, s[8:9], s26, v13
	s_and_b32 s13, s31, 0xff
	v_addc_co_u32_e64 v4, s[8:9], 0, v4, s[8:9]
	s_waitcnt vmcnt(0)
	v_cmp_eq_u16_e64 s[8:9], s13, v10
	v_cndmask_b32_e64 v10, 0, 1, s[8:9]
	s_or_b64 exec, exec, s[10:11]
	s_and_saveexec_b64 s[10:11], s[2:3]
	s_cbranch_execz .LBB721_60
.LBB721_152:
	v_and_b32_e32 v9, 1, v9
	v_cmp_eq_u32_e64 s[2:3], 1, v9
	v_and_b32_e32 v9, 1, v12
	v_cmp_eq_u32_e64 s[8:9], 1, v9
	s_and_b64 s[8:9], s[2:3], s[8:9]
	s_xor_b64 s[8:9], s[8:9], -1
                                        ; implicit-def: $vgpr9
	s_and_saveexec_b64 s[16:17], s[8:9]
	s_xor_b64 s[8:9], exec, s[16:17]
; %bb.153:
	v_and_b32_e32 v9, 0xffff, v12
	v_cndmask_b32_e64 v9, v9, 1, s[2:3]
	v_cndmask_b32_e64 v2, v8, v2, s[2:3]
	;; [unrolled: 1-line block ×3, first 2 shown]
                                        ; implicit-def: $vgpr7_vgpr8
; %bb.154:
	s_andn2_saveexec_b64 s[8:9], s[8:9]
; %bb.155:
	v_cmp_lt_i64_e64 s[2:3], v[7:8], v[1:2]
	v_mov_b32_e32 v9, 1
	v_cndmask_b32_e64 v2, v2, v8, s[2:3]
	v_cndmask_b32_e64 v1, v1, v7, s[2:3]
; %bb.156:
	s_or_b64 exec, exec, s[8:9]
	s_or_b64 exec, exec, s[10:11]
	s_and_saveexec_b64 s[8:9], s[0:1]
	s_cbranch_execz .LBB721_61
.LBB721_157:
	v_and_b32_e32 v7, 1, v9
	v_cmp_eq_u32_e64 s[0:1], 1, v7
	v_and_b32_e32 v7, 1, v11
	v_cmp_eq_u32_e64 s[2:3], 1, v7
	s_and_b64 s[2:3], s[0:1], s[2:3]
	s_xor_b64 s[2:3], s[2:3], -1
                                        ; implicit-def: $vgpr9
	s_and_saveexec_b64 s[10:11], s[2:3]
	s_xor_b64 s[2:3], exec, s[10:11]
; %bb.158:
	v_and_b32_e32 v7, 0xffff, v11
	v_cndmask_b32_e64 v9, v7, 1, s[0:1]
	v_cndmask_b32_e64 v2, v6, v2, s[0:1]
	;; [unrolled: 1-line block ×3, first 2 shown]
                                        ; implicit-def: $vgpr5_vgpr6
; %bb.159:
	s_andn2_saveexec_b64 s[2:3], s[2:3]
; %bb.160:
	v_cmp_lt_i64_e64 s[0:1], v[5:6], v[1:2]
	v_mov_b32_e32 v9, 1
	v_cndmask_b32_e64 v2, v2, v6, s[0:1]
	v_cndmask_b32_e64 v1, v1, v5, s[0:1]
; %bb.161:
	s_or_b64 exec, exec, s[2:3]
	s_or_b64 exec, exec, s[8:9]
	s_and_saveexec_b64 s[2:3], vcc
	s_cbranch_execz .LBB721_167
.LBB721_162:
	v_and_b32_e32 v5, 1, v9
	v_cmp_eq_u32_e32 vcc, 1, v5
	v_and_b32_e32 v5, 1, v10
	v_cmp_eq_u32_e64 s[0:1], 1, v5
	s_and_b64 s[0:1], vcc, s[0:1]
	s_xor_b64 s[0:1], s[0:1], -1
                                        ; implicit-def: $vgpr9
	s_and_saveexec_b64 s[8:9], s[0:1]
	s_xor_b64 s[0:1], exec, s[8:9]
; %bb.163:
	v_and_b32_e32 v5, 0xffff, v10
	v_cndmask_b32_e64 v9, v5, 1, vcc
	v_cndmask_b32_e32 v2, v4, v2, vcc
	v_cndmask_b32_e32 v1, v3, v1, vcc
                                        ; implicit-def: $vgpr3_vgpr4
; %bb.164:
	s_andn2_saveexec_b64 s[0:1], s[0:1]
; %bb.165:
	v_cmp_lt_i64_e32 vcc, v[3:4], v[1:2]
	v_mov_b32_e32 v9, 1
	v_cndmask_b32_e32 v2, v2, v4, vcc
	v_cndmask_b32_e32 v1, v1, v3, vcc
; %bb.166:
	s_or_b64 exec, exec, s[0:1]
.LBB721_167:
	s_or_b64 exec, exec, s[2:3]
	v_mbcnt_lo_u32_b32 v3, -1, 0
	v_mbcnt_hi_u32_b32 v5, -1, v3
	v_and_b32_e32 v6, 63, v5
	v_cmp_ne_u32_e32 vcc, 63, v6
	v_addc_co_u32_e32 v3, vcc, 0, v5, vcc
	v_lshlrev_b32_e32 v4, 2, v3
	ds_bpermute_b32 v8, v4, v9
	ds_bpermute_b32 v3, v4, v1
	ds_bpermute_b32 v4, v4, v2
	s_min_u32 s8, s12, 0x80
	v_and_b32_e32 v7, 64, v0
	v_sub_u32_e64 v7, s8, v7 clamp
	v_add_u32_e32 v10, 1, v6
	v_cmp_lt_u32_e32 vcc, v10, v7
	s_and_saveexec_b64 s[0:1], vcc
	s_xor_b64 s[0:1], exec, s[0:1]
	s_cbranch_execz .LBB721_173
; %bb.168:
	s_waitcnt lgkmcnt(2)
	v_and_b32_e32 v10, v8, v9
	v_cmp_ne_u32_e32 vcc, 0, v10
	s_and_saveexec_b64 s[2:3], vcc
	s_xor_b64 s[2:3], exec, s[2:3]
	s_cbranch_execz .LBB721_170
; %bb.169:
	s_waitcnt lgkmcnt(0)
	v_cmp_lt_i64_e32 vcc, v[3:4], v[1:2]
                                        ; implicit-def: $vgpr9
                                        ; implicit-def: $vgpr8
	v_cndmask_b32_e32 v2, v2, v4, vcc
	v_cndmask_b32_e32 v1, v1, v3, vcc
                                        ; implicit-def: $vgpr3_vgpr4
.LBB721_170:
	s_or_saveexec_b64 s[2:3], s[2:3]
	v_mov_b32_e32 v10, 1
	s_xor_b64 exec, exec, s[2:3]
	s_cbranch_execz .LBB721_172
; %bb.171:
	v_and_b32_e32 v9, 1, v9
	v_cmp_eq_u32_e32 vcc, 1, v9
	s_waitcnt lgkmcnt(1)
	v_cndmask_b32_e32 v1, v3, v1, vcc
	v_and_b32_e32 v3, 0xff, v8
	s_waitcnt lgkmcnt(0)
	v_cndmask_b32_e32 v2, v4, v2, vcc
	v_cndmask_b32_e64 v10, v3, 1, vcc
.LBB721_172:
	s_or_b64 exec, exec, s[2:3]
	v_mov_b32_e32 v9, v10
.LBB721_173:
	s_or_b64 exec, exec, s[0:1]
	v_cmp_gt_u32_e32 vcc, 62, v6
	s_waitcnt lgkmcnt(1)
	v_cndmask_b32_e64 v3, 0, 2, vcc
	s_waitcnt lgkmcnt(0)
	v_add_lshl_u32 v4, v3, v5, 2
	ds_bpermute_b32 v8, v4, v9
	ds_bpermute_b32 v3, v4, v1
	ds_bpermute_b32 v4, v4, v2
	v_add_u32_e32 v10, 2, v6
	v_cmp_lt_u32_e32 vcc, v10, v7
	s_and_saveexec_b64 s[0:1], vcc
	s_cbranch_execz .LBB721_179
; %bb.174:
	s_waitcnt lgkmcnt(2)
	v_and_b32_e32 v10, v9, v8
	v_and_b32_e32 v10, 1, v10
	v_cmp_eq_u32_e32 vcc, 1, v10
	s_and_saveexec_b64 s[2:3], vcc
	s_xor_b64 s[2:3], exec, s[2:3]
	s_cbranch_execz .LBB721_176
; %bb.175:
	s_waitcnt lgkmcnt(0)
	v_cmp_lt_i64_e32 vcc, v[3:4], v[1:2]
                                        ; implicit-def: $vgpr9
                                        ; implicit-def: $vgpr8
	v_cndmask_b32_e32 v2, v2, v4, vcc
	v_cndmask_b32_e32 v1, v1, v3, vcc
                                        ; implicit-def: $vgpr3_vgpr4
.LBB721_176:
	s_or_saveexec_b64 s[2:3], s[2:3]
	v_mov_b32_e32 v10, 1
	s_xor_b64 exec, exec, s[2:3]
	s_cbranch_execz .LBB721_178
; %bb.177:
	v_and_b32_e32 v9, 1, v9
	v_cmp_eq_u32_e32 vcc, 1, v9
	s_waitcnt lgkmcnt(1)
	v_cndmask_b32_e32 v1, v3, v1, vcc
	v_and_b32_e32 v3, 0xff, v8
	s_waitcnt lgkmcnt(0)
	v_cndmask_b32_e32 v2, v4, v2, vcc
	v_cndmask_b32_e64 v10, v3, 1, vcc
.LBB721_178:
	s_or_b64 exec, exec, s[2:3]
	v_mov_b32_e32 v9, v10
.LBB721_179:
	s_or_b64 exec, exec, s[0:1]
	v_cmp_gt_u32_e32 vcc, 60, v6
	s_waitcnt lgkmcnt(1)
	v_cndmask_b32_e64 v3, 0, 4, vcc
	s_waitcnt lgkmcnt(0)
	v_add_lshl_u32 v4, v3, v5, 2
	ds_bpermute_b32 v8, v4, v9
	ds_bpermute_b32 v3, v4, v1
	ds_bpermute_b32 v4, v4, v2
	v_add_u32_e32 v10, 4, v6
	v_cmp_lt_u32_e32 vcc, v10, v7
	s_and_saveexec_b64 s[0:1], vcc
	s_cbranch_execz .LBB721_185
; %bb.180:
	s_waitcnt lgkmcnt(2)
	v_and_b32_e32 v10, v9, v8
	v_and_b32_e32 v10, 1, v10
	v_cmp_eq_u32_e32 vcc, 1, v10
	s_and_saveexec_b64 s[2:3], vcc
	s_xor_b64 s[2:3], exec, s[2:3]
	s_cbranch_execz .LBB721_182
; %bb.181:
	s_waitcnt lgkmcnt(0)
	v_cmp_lt_i64_e32 vcc, v[3:4], v[1:2]
                                        ; implicit-def: $vgpr9
                                        ; implicit-def: $vgpr8
	v_cndmask_b32_e32 v2, v2, v4, vcc
	v_cndmask_b32_e32 v1, v1, v3, vcc
                                        ; implicit-def: $vgpr3_vgpr4
.LBB721_182:
	s_or_saveexec_b64 s[2:3], s[2:3]
	v_mov_b32_e32 v10, 1
	s_xor_b64 exec, exec, s[2:3]
	s_cbranch_execz .LBB721_184
; %bb.183:
	v_and_b32_e32 v9, 1, v9
	v_cmp_eq_u32_e32 vcc, 1, v9
	s_waitcnt lgkmcnt(1)
	v_cndmask_b32_e32 v1, v3, v1, vcc
	v_and_b32_e32 v3, 0xff, v8
	s_waitcnt lgkmcnt(0)
	v_cndmask_b32_e32 v2, v4, v2, vcc
	v_cndmask_b32_e64 v10, v3, 1, vcc
.LBB721_184:
	s_or_b64 exec, exec, s[2:3]
	v_mov_b32_e32 v9, v10
.LBB721_185:
	;; [unrolled: 47-line block ×4, first 2 shown]
	s_or_b64 exec, exec, s[0:1]
	s_waitcnt lgkmcnt(2)
	v_lshlrev_b32_e32 v8, 2, v5
	s_waitcnt lgkmcnt(0)
	v_or_b32_e32 v4, 0x80, v8
	ds_bpermute_b32 v10, v4, v9
	ds_bpermute_b32 v3, v4, v1
	;; [unrolled: 1-line block ×3, first 2 shown]
	v_add_u32_e32 v6, 32, v6
	v_cmp_lt_u32_e32 vcc, v6, v7
	v_mov_b32_e32 v6, v9
	s_and_saveexec_b64 s[0:1], vcc
	s_cbranch_execz .LBB721_203
; %bb.198:
	s_waitcnt lgkmcnt(2)
	v_and_b32_e32 v6, v9, v10
	v_and_b32_e32 v6, 1, v6
	v_cmp_eq_u32_e32 vcc, 1, v6
	s_and_saveexec_b64 s[2:3], vcc
	s_xor_b64 s[2:3], exec, s[2:3]
	s_cbranch_execz .LBB721_200
; %bb.199:
	s_waitcnt lgkmcnt(0)
	v_cmp_lt_i64_e32 vcc, v[3:4], v[1:2]
                                        ; implicit-def: $vgpr9
                                        ; implicit-def: $vgpr10
	v_cndmask_b32_e32 v2, v2, v4, vcc
	v_cndmask_b32_e32 v1, v1, v3, vcc
                                        ; implicit-def: $vgpr3_vgpr4
.LBB721_200:
	s_or_saveexec_b64 s[2:3], s[2:3]
	v_mov_b32_e32 v6, 1
	s_xor_b64 exec, exec, s[2:3]
	s_cbranch_execz .LBB721_202
; %bb.201:
	v_and_b32_e32 v6, 1, v9
	v_cmp_eq_u32_e32 vcc, 1, v6
	v_cndmask_b32_e64 v6, v10, 1, vcc
	s_waitcnt lgkmcnt(0)
	v_cndmask_b32_e32 v2, v4, v2, vcc
	v_cndmask_b32_e32 v1, v3, v1, vcc
.LBB721_202:
	s_or_b64 exec, exec, s[2:3]
	v_and_b32_e32 v9, 0xff, v6
.LBB721_203:
	s_or_b64 exec, exec, s[0:1]
	v_cmp_eq_u32_e32 vcc, 0, v5
	s_and_saveexec_b64 s[0:1], vcc
	s_cbranch_execz .LBB721_205
; %bb.204:
	s_waitcnt lgkmcnt(1)
	v_lshrrev_b32_e32 v3, 2, v0
	v_and_b32_e32 v3, 16, v3
	ds_write_b8 v3, v6 offset:128
	ds_write_b64 v3, v[1:2] offset:136
.LBB721_205:
	s_or_b64 exec, exec, s[0:1]
	v_cmp_gt_u32_e32 vcc, 2, v0
	s_waitcnt lgkmcnt(0)
	s_barrier
	s_and_saveexec_b64 s[0:1], vcc
	s_cbranch_execz .LBB721_213
; %bb.206:
	v_lshlrev_b32_e32 v1, 4, v5
	ds_read_u8 v6, v1 offset:128
	ds_read_b64 v[1:2], v1 offset:136
	v_or_b32_e32 v4, 4, v8
	s_add_i32 s8, s8, 63
	v_and_b32_e32 v5, 1, v5
	s_waitcnt lgkmcnt(1)
	v_and_b32_e32 v9, 0xff, v6
	s_waitcnt lgkmcnt(0)
	ds_bpermute_b32 v3, v4, v1
	ds_bpermute_b32 v7, v4, v9
	;; [unrolled: 1-line block ×3, first 2 shown]
	s_lshr_b32 s2, s8, 6
	v_add_u32_e32 v5, 1, v5
	v_cmp_gt_u32_e32 vcc, s2, v5
	s_and_saveexec_b64 s[2:3], vcc
	s_cbranch_execz .LBB721_212
; %bb.207:
	s_waitcnt lgkmcnt(1)
	v_and_b32_e32 v5, v9, v7
	v_and_b32_e32 v5, 1, v5
	v_cmp_eq_u32_e32 vcc, 1, v5
	s_and_saveexec_b64 s[8:9], vcc
	s_xor_b64 s[8:9], exec, s[8:9]
	s_cbranch_execz .LBB721_209
; %bb.208:
	s_waitcnt lgkmcnt(0)
	v_cmp_lt_i64_e32 vcc, v[3:4], v[1:2]
                                        ; implicit-def: $vgpr6
                                        ; implicit-def: $vgpr7
	v_cndmask_b32_e32 v2, v2, v4, vcc
	v_cndmask_b32_e32 v1, v1, v3, vcc
                                        ; implicit-def: $vgpr3_vgpr4
.LBB721_209:
	s_or_saveexec_b64 s[8:9], s[8:9]
	v_mov_b32_e32 v9, 1
	s_xor_b64 exec, exec, s[8:9]
	s_cbranch_execz .LBB721_211
; %bb.210:
	v_and_b32_e32 v5, 1, v6
	v_cmp_eq_u32_e32 vcc, 1, v5
	s_waitcnt lgkmcnt(0)
	v_cndmask_b32_e32 v2, v4, v2, vcc
	v_cndmask_b32_e32 v1, v3, v1, vcc
	v_cndmask_b32_e64 v9, v7, 1, vcc
.LBB721_211:
	s_or_b64 exec, exec, s[8:9]
.LBB721_212:
	s_or_b64 exec, exec, s[2:3]
.LBB721_213:
	s_or_b64 exec, exec, s[0:1]
.LBB721_214:
	v_cmp_eq_u32_e32 vcc, 0, v0
                                        ; implicit-def: $vgpr3_vgpr4
                                        ; implicit-def: $vgpr5
	s_and_saveexec_b64 s[0:1], vcc
	s_xor_b64 s[8:9], exec, s[0:1]
	s_cbranch_execz .LBB721_218
; %bb.215:
	s_waitcnt lgkmcnt(0)
	v_mov_b32_e32 v3, s18
	s_cmp_eq_u64 s[22:23], 0
	v_mov_b32_e32 v4, s19
	v_mov_b32_e32 v5, s30
	s_cbranch_scc1 .LBB721_217
; %bb.216:
	v_and_b32_e32 v3, 1, v9
	v_cmp_gt_i64_e64 s[0:1], s[18:19], v[1:2]
	s_bitcmp1_b32 s30, 0
	v_cmp_eq_u32_e32 vcc, 1, v3
	s_cselect_b64 s[2:3], -1, 0
	v_mov_b32_e32 v3, s18
	s_and_b64 vcc, vcc, s[0:1]
	v_mov_b32_e32 v4, s19
	v_cndmask_b32_e32 v3, v3, v1, vcc
	v_cndmask_b32_e32 v4, v4, v2, vcc
	v_cndmask_b32_e64 v5, v9, 1, s[2:3]
	v_cndmask_b32_e64 v4, v2, v4, s[2:3]
	;; [unrolled: 1-line block ×3, first 2 shown]
.LBB721_217:
	s_or_b64 s[14:15], s[14:15], exec
.LBB721_218:
	s_or_b64 exec, exec, s[8:9]
	v_mov_b32_e32 v1, s6
	v_mov_b32_e32 v2, s7
	s_branch .LBB721_306
.LBB721_219:
	s_cmp_gt_i32 s33, 1
	s_cbranch_scc0 .LBB721_231
; %bb.220:
	s_cmp_eq_u32 s33, 2
	s_cbranch_scc0 .LBB721_232
; %bb.221:
	s_lshl_b32 s28, s6, 8
	s_lshr_b64 s[0:1], s[22:23], 8
	s_add_u32 s16, s24, s28
	s_addc_u32 s17, s25, 0
	s_add_u32 s26, s20, s28
	s_mov_b32 s7, 0
	s_addc_u32 s27, s21, 0
	s_cmp_lg_u64 s[0:1], s[6:7]
	s_cbranch_scc0 .LBB721_233
; %bb.222:
	global_load_ubyte v1, v0, s[16:17] offset:128
	global_load_ubyte v2, v0, s[16:17]
	s_waitcnt lgkmcnt(2)
	v_mov_b32_e32 v3, s27
	s_waitcnt lgkmcnt(0)
	v_add_co_u32_e32 v6, vcc, s26, v0
	v_addc_co_u32_e32 v7, vcc, 0, v3, vcc
	v_mbcnt_lo_u32_b32 v4, -1, 0
	v_add_co_u32_e32 v8, vcc, 0x80, v6
	s_and_b32 s2, s31, 0xff
	v_mbcnt_hi_u32_b32 v3, -1, v4
	v_addc_co_u32_e32 v4, vcc, 0, v7, vcc
	v_lshlrev_b32_e32 v5, 2, v3
	v_or_b32_e32 v10, 0xfc, v5
	s_waitcnt vmcnt(1)
	v_cmp_eq_u16_sdwa s[0:1], v1, s2 src0_sel:BYTE_0 src1_sel:DWORD
	s_waitcnt vmcnt(0)
	v_cmp_eq_u16_e32 vcc, s2, v2
	v_cndmask_b32_e32 v2, v4, v7, vcc
	v_cndmask_b32_e32 v1, v8, v6, vcc
	s_or_b64 s[0:1], vcc, s[0:1]
	v_mov_b32_dpp v7, v2 quad_perm:[1,0,3,2] row_mask:0xf bank_mask:0xf bound_ctrl:1
	v_mov_b32_dpp v6, v1 quad_perm:[1,0,3,2] row_mask:0xf bank_mask:0xf bound_ctrl:1
	v_cndmask_b32_e64 v4, 0, 1, s[0:1]
	v_cmp_lt_i64_e32 vcc, v[1:2], v[6:7]
	s_and_b64 vcc, s[0:1], vcc
	v_mov_b32_dpp v8, v4 quad_perm:[1,0,3,2] row_mask:0xf bank_mask:0xf bound_ctrl:1
	v_and_b32_e32 v8, 1, v8
	v_cndmask_b32_e32 v6, v6, v1, vcc
	v_cndmask_b32_e32 v7, v7, v2, vcc
	v_cmp_eq_u32_e32 vcc, 1, v8
	v_cndmask_b32_e32 v2, v2, v7, vcc
	v_cndmask_b32_e32 v1, v1, v6, vcc
	v_cndmask_b32_e64 v4, v4, 1, vcc
	v_mov_b32_dpp v7, v2 quad_perm:[2,3,0,1] row_mask:0xf bank_mask:0xf bound_ctrl:1
	v_mov_b32_dpp v6, v1 quad_perm:[2,3,0,1] row_mask:0xf bank_mask:0xf bound_ctrl:1
	v_and_b32_e32 v9, 1, v4
	v_cmp_lt_i64_e64 s[0:1], v[1:2], v[6:7]
	v_mov_b32_dpp v8, v4 quad_perm:[2,3,0,1] row_mask:0xf bank_mask:0xf bound_ctrl:1
	v_cmp_eq_u32_e32 vcc, 1, v9
	v_and_b32_e32 v8, 1, v8
	s_and_b64 vcc, vcc, s[0:1]
	v_cmp_eq_u32_e64 s[2:3], 1, v8
	v_cndmask_b32_e32 v6, v6, v1, vcc
	v_cndmask_b32_e32 v7, v7, v2, vcc
	v_cndmask_b32_e64 v1, v1, v6, s[2:3]
	v_cndmask_b32_e64 v2, v2, v7, s[2:3]
	;; [unrolled: 1-line block ×3, first 2 shown]
	v_mov_b32_dpp v6, v1 row_ror:4 row_mask:0xf bank_mask:0xf bound_ctrl:1
	v_mov_b32_dpp v7, v2 row_ror:4 row_mask:0xf bank_mask:0xf bound_ctrl:1
	v_and_b32_e32 v9, 1, v4
	v_cmp_lt_i64_e64 s[2:3], v[1:2], v[6:7]
	v_mov_b32_dpp v8, v4 row_ror:4 row_mask:0xf bank_mask:0xf bound_ctrl:1
	v_cmp_eq_u32_e32 vcc, 1, v9
	v_and_b32_e32 v8, 1, v8
	s_and_b64 vcc, vcc, s[2:3]
	v_cmp_eq_u32_e64 s[0:1], 1, v8
	v_cndmask_b32_e32 v6, v6, v1, vcc
	v_cndmask_b32_e32 v7, v7, v2, vcc
	v_cndmask_b32_e64 v1, v1, v6, s[0:1]
	v_cndmask_b32_e64 v2, v2, v7, s[0:1]
	;; [unrolled: 1-line block ×3, first 2 shown]
	v_mov_b32_dpp v6, v1 row_ror:8 row_mask:0xf bank_mask:0xf bound_ctrl:1
	v_mov_b32_dpp v7, v2 row_ror:8 row_mask:0xf bank_mask:0xf bound_ctrl:1
	v_and_b32_e32 v9, 1, v4
	v_cmp_lt_i64_e64 s[2:3], v[1:2], v[6:7]
	v_mov_b32_dpp v8, v4 row_ror:8 row_mask:0xf bank_mask:0xf bound_ctrl:1
	v_cmp_eq_u32_e64 s[8:9], 1, v9
	v_and_b32_e32 v8, 1, v8
	s_and_b64 s[2:3], s[8:9], s[2:3]
	v_cmp_eq_u32_e64 s[10:11], 1, v8
	v_cndmask_b32_e64 v6, v6, v1, s[2:3]
	v_cndmask_b32_e64 v7, v7, v2, s[2:3]
	v_cndmask_b32_e64 v4, v4, 1, s[10:11]
	v_cndmask_b32_e64 v1, v1, v6, s[10:11]
	v_cndmask_b32_e64 v2, v2, v7, s[10:11]
	v_mov_b32_dpp v8, v4 row_bcast:15 row_mask:0xf bank_mask:0xf bound_ctrl:1
	v_mov_b32_dpp v6, v1 row_bcast:15 row_mask:0xf bank_mask:0xf bound_ctrl:1
	;; [unrolled: 1-line block ×3, first 2 shown]
	v_and_b32_e32 v9, 1, v4
	v_and_b32_e32 v8, 1, v8
	v_cmp_lt_i64_e64 s[2:3], v[1:2], v[6:7]
	v_cmp_eq_u32_e32 vcc, 1, v9
	v_cmp_eq_u32_e64 s[0:1], 1, v8
	v_cndmask_b32_e64 v4, v4, 1, s[0:1]
	s_and_b64 vcc, vcc, s[2:3]
	v_cndmask_b32_e32 v6, v6, v1, vcc
	v_mov_b32_dpp v8, v4 row_bcast:31 row_mask:0xf bank_mask:0xf bound_ctrl:1
	v_cndmask_b32_e32 v7, v7, v2, vcc
	v_and_b32_e32 v9, 1, v4
	v_and_b32_e32 v8, 1, v8
	v_cndmask_b32_e64 v1, v1, v6, s[0:1]
	v_cndmask_b32_e64 v2, v2, v7, s[0:1]
	v_cmp_eq_u32_e64 s[12:13], 1, v9
	v_cmp_eq_u32_e64 s[8:9], 1, v8
	v_mov_b32_dpp v8, v1 row_bcast:31 row_mask:0xf bank_mask:0xf bound_ctrl:1
	v_mov_b32_dpp v9, v2 row_bcast:31 row_mask:0xf bank_mask:0xf bound_ctrl:1
	v_cmp_lt_i64_e32 vcc, v[1:2], v[8:9]
	v_cndmask_b32_e64 v4, v4, 1, s[8:9]
	s_and_b64 vcc, s[12:13], vcc
	ds_bpermute_b32 v7, v10, v4
	v_cndmask_b32_e32 v4, v8, v1, vcc
	v_cndmask_b32_e32 v6, v9, v2, vcc
	v_cndmask_b32_e64 v1, v1, v4, s[8:9]
	v_cndmask_b32_e64 v2, v2, v6, s[8:9]
	ds_bpermute_b32 v1, v10, v1
	ds_bpermute_b32 v2, v10, v2
	v_cmp_eq_u32_e32 vcc, 0, v3
	s_and_saveexec_b64 s[0:1], vcc
	s_cbranch_execz .LBB721_224
; %bb.223:
	v_lshrrev_b32_e32 v4, 2, v0
	v_and_b32_e32 v4, 16, v4
	s_waitcnt lgkmcnt(2)
	ds_write_b8 v4, v7 offset:32
	s_waitcnt lgkmcnt(1)
	ds_write_b64 v4, v[1:2] offset:40
.LBB721_224:
	s_or_b64 exec, exec, s[0:1]
	v_cmp_gt_u32_e32 vcc, 64, v0
	s_waitcnt lgkmcnt(0)
	s_barrier
	s_and_saveexec_b64 s[0:1], vcc
	s_cbranch_execz .LBB721_230
; %bb.225:
	v_and_b32_e32 v1, 1, v3
	v_lshlrev_b32_e32 v1, 4, v1
	ds_read_u8 v8, v1 offset:32
	ds_read_b64 v[3:4], v1 offset:40
	v_or_b32_e32 v2, 4, v5
	s_waitcnt lgkmcnt(1)
	v_and_b32_e32 v1, 0xff, v8
	ds_bpermute_b32 v9, v2, v1
	s_waitcnt lgkmcnt(1)
	ds_bpermute_b32 v5, v2, v3
	ds_bpermute_b32 v6, v2, v4
	s_waitcnt lgkmcnt(2)
	v_and_b32_e32 v1, v8, v9
	v_and_b32_e32 v1, 1, v1
	v_cmp_eq_u32_e32 vcc, 1, v1
                                        ; implicit-def: $vgpr1_vgpr2
	s_and_saveexec_b64 s[2:3], vcc
	s_xor_b64 s[2:3], exec, s[2:3]
	s_cbranch_execz .LBB721_227
; %bb.226:
	s_waitcnt lgkmcnt(0)
	v_cmp_lt_i64_e32 vcc, v[5:6], v[3:4]
                                        ; implicit-def: $vgpr8
                                        ; implicit-def: $vgpr9
	v_cndmask_b32_e32 v2, v4, v6, vcc
	v_cndmask_b32_e32 v1, v3, v5, vcc
                                        ; implicit-def: $vgpr5_vgpr6
                                        ; implicit-def: $vgpr3_vgpr4
.LBB721_227:
	s_or_saveexec_b64 s[2:3], s[2:3]
	v_mov_b32_e32 v7, 1
	s_xor_b64 exec, exec, s[2:3]
	s_cbranch_execz .LBB721_229
; %bb.228:
	v_and_b32_e32 v1, 1, v8
	v_cmp_eq_u32_e32 vcc, 1, v1
	s_waitcnt lgkmcnt(0)
	v_cndmask_b32_e32 v2, v6, v4, vcc
	v_cndmask_b32_e32 v1, v5, v3, vcc
	v_cndmask_b32_e64 v7, v9, 1, vcc
.LBB721_229:
	s_or_b64 exec, exec, s[2:3]
.LBB721_230:
	s_or_b64 exec, exec, s[0:1]
	s_branch .LBB721_285
.LBB721_231:
                                        ; implicit-def: $vgpr3_vgpr4
                                        ; implicit-def: $vgpr5
                                        ; implicit-def: $vgpr1_vgpr2
	s_cbranch_execnz .LBB721_290
	s_branch .LBB721_306
.LBB721_232:
                                        ; implicit-def: $vgpr3_vgpr4
                                        ; implicit-def: $vgpr5
                                        ; implicit-def: $vgpr1_vgpr2
	s_branch .LBB721_306
.LBB721_233:
                                        ; implicit-def: $vgpr1_vgpr2
                                        ; implicit-def: $vgpr7
	s_cbranch_execz .LBB721_285
; %bb.234:
	s_sub_i32 s10, s22, s28
	s_waitcnt lgkmcnt(0)
	v_mov_b32_e32 v3, 0
	v_mov_b32_e32 v1, 0
	v_cmp_gt_u32_e32 vcc, s10, v0
	v_mov_b32_e32 v5, 0
	v_mov_b32_e32 v4, 0
	;; [unrolled: 1-line block ×4, first 2 shown]
	s_and_saveexec_b64 s[0:1], vcc
	s_cbranch_execz .LBB721_236
; %bb.235:
	global_load_ubyte v6, v0, s[16:17]
	v_mov_b32_e32 v2, s27
	v_add_co_u32_e32 v1, vcc, s26, v0
	s_and_b32 s2, s31, 0xff
	v_addc_co_u32_e32 v2, vcc, 0, v2, vcc
	s_waitcnt vmcnt(0)
	v_cmp_eq_u16_e32 vcc, s2, v6
	v_cndmask_b32_e64 v6, 0, 1, vcc
.LBB721_236:
	s_or_b64 exec, exec, s[0:1]
	v_or_b32_e32 v7, 0x80, v0
	v_cmp_gt_u32_e32 vcc, s10, v7
	s_and_saveexec_b64 s[2:3], vcc
	s_cbranch_execz .LBB721_238
; %bb.237:
	global_load_ubyte v5, v0, s[16:17] offset:128
	v_mov_b32_e32 v4, s27
	v_add_co_u32_e64 v3, s[0:1], s26, v7
	s_and_b32 s8, s31, 0xff
	v_addc_co_u32_e64 v4, s[0:1], 0, v4, s[0:1]
	s_waitcnt vmcnt(0)
	v_cmp_eq_u16_e64 s[0:1], s8, v5
	v_cndmask_b32_e64 v5, 0, 1, s[0:1]
.LBB721_238:
	s_or_b64 exec, exec, s[2:3]
	v_and_b32_e32 v8, 0xffff, v5
	v_and_b32_e32 v5, 1, v5
	v_cmp_lt_i64_e64 s[2:3], v[3:4], v[1:2]
	v_cmp_eq_u32_e64 s[0:1], 1, v5
	v_and_b32_e32 v5, 1, v6
	v_cmp_eq_u32_e64 s[8:9], 1, v5
	s_and_b64 s[0:1], s[0:1], s[2:3]
	v_cndmask_b32_e64 v5, v8, 1, s[8:9]
	v_cndmask_b32_e64 v8, v1, v3, s[0:1]
	;; [unrolled: 1-line block ×3, first 2 shown]
	v_and_b32_e32 v7, 0xffff, v6
	v_cndmask_b32_e32 v1, v1, v3, vcc
	v_mbcnt_lo_u32_b32 v3, -1, 0
	v_cndmask_b32_e64 v6, v2, v4, s[0:1]
	v_cndmask_b32_e32 v7, v7, v5, vcc
	v_mbcnt_hi_u32_b32 v5, -1, v3
	v_cndmask_b32_e64 v4, v4, v6, s[8:9]
	v_and_b32_e32 v6, 63, v5
	v_cndmask_b32_e32 v2, v2, v4, vcc
	v_cmp_ne_u32_e32 vcc, 63, v6
	v_addc_co_u32_e32 v3, vcc, 0, v5, vcc
	v_lshlrev_b32_e32 v4, 2, v3
	ds_bpermute_b32 v9, v4, v7
	ds_bpermute_b32 v3, v4, v1
	;; [unrolled: 1-line block ×3, first 2 shown]
	s_min_u32 s8, s10, 0x80
	v_and_b32_e32 v8, 64, v0
	v_sub_u32_e64 v8, s8, v8 clamp
	v_add_u32_e32 v10, 1, v6
	v_cmp_lt_u32_e32 vcc, v10, v8
	s_and_saveexec_b64 s[0:1], vcc
	s_cbranch_execz .LBB721_244
; %bb.239:
	s_waitcnt lgkmcnt(2)
	v_and_b32_e32 v10, v9, v7
	v_cmp_ne_u32_e32 vcc, 0, v10
	s_and_saveexec_b64 s[2:3], vcc
	s_xor_b64 s[2:3], exec, s[2:3]
	s_cbranch_execz .LBB721_241
; %bb.240:
	s_waitcnt lgkmcnt(0)
	v_cmp_lt_i64_e32 vcc, v[3:4], v[1:2]
                                        ; implicit-def: $vgpr7
                                        ; implicit-def: $vgpr9
	v_cndmask_b32_e32 v2, v2, v4, vcc
	v_cndmask_b32_e32 v1, v1, v3, vcc
                                        ; implicit-def: $vgpr3_vgpr4
.LBB721_241:
	s_or_saveexec_b64 s[2:3], s[2:3]
	v_mov_b32_e32 v10, 1
	s_xor_b64 exec, exec, s[2:3]
	s_cbranch_execz .LBB721_243
; %bb.242:
	v_and_b32_e32 v7, 1, v7
	v_cmp_eq_u32_e32 vcc, 1, v7
	s_waitcnt lgkmcnt(1)
	v_cndmask_b32_e32 v1, v3, v1, vcc
	v_and_b32_e32 v3, 0xff, v9
	s_waitcnt lgkmcnt(0)
	v_cndmask_b32_e32 v2, v4, v2, vcc
	v_cndmask_b32_e64 v10, v3, 1, vcc
.LBB721_243:
	s_or_b64 exec, exec, s[2:3]
	v_mov_b32_e32 v7, v10
.LBB721_244:
	s_or_b64 exec, exec, s[0:1]
	v_cmp_gt_u32_e32 vcc, 62, v6
	s_waitcnt lgkmcnt(1)
	v_cndmask_b32_e64 v3, 0, 2, vcc
	s_waitcnt lgkmcnt(0)
	v_add_lshl_u32 v4, v3, v5, 2
	ds_bpermute_b32 v9, v4, v7
	ds_bpermute_b32 v3, v4, v1
	ds_bpermute_b32 v4, v4, v2
	v_add_u32_e32 v10, 2, v6
	v_cmp_lt_u32_e32 vcc, v10, v8
	s_and_saveexec_b64 s[0:1], vcc
	s_cbranch_execz .LBB721_250
; %bb.245:
	s_waitcnt lgkmcnt(2)
	v_and_b32_e32 v10, v7, v9
	v_and_b32_e32 v10, 1, v10
	v_cmp_eq_u32_e32 vcc, 1, v10
	s_and_saveexec_b64 s[2:3], vcc
	s_xor_b64 s[2:3], exec, s[2:3]
	s_cbranch_execz .LBB721_247
; %bb.246:
	s_waitcnt lgkmcnt(0)
	v_cmp_lt_i64_e32 vcc, v[3:4], v[1:2]
                                        ; implicit-def: $vgpr7
                                        ; implicit-def: $vgpr9
	v_cndmask_b32_e32 v2, v2, v4, vcc
	v_cndmask_b32_e32 v1, v1, v3, vcc
                                        ; implicit-def: $vgpr3_vgpr4
.LBB721_247:
	s_or_saveexec_b64 s[2:3], s[2:3]
	v_mov_b32_e32 v10, 1
	s_xor_b64 exec, exec, s[2:3]
	s_cbranch_execz .LBB721_249
; %bb.248:
	v_and_b32_e32 v7, 1, v7
	v_cmp_eq_u32_e32 vcc, 1, v7
	s_waitcnt lgkmcnt(1)
	v_cndmask_b32_e32 v1, v3, v1, vcc
	v_and_b32_e32 v3, 0xff, v9
	s_waitcnt lgkmcnt(0)
	v_cndmask_b32_e32 v2, v4, v2, vcc
	v_cndmask_b32_e64 v10, v3, 1, vcc
.LBB721_249:
	s_or_b64 exec, exec, s[2:3]
	v_mov_b32_e32 v7, v10
.LBB721_250:
	s_or_b64 exec, exec, s[0:1]
	v_cmp_gt_u32_e32 vcc, 60, v6
	s_waitcnt lgkmcnt(1)
	v_cndmask_b32_e64 v3, 0, 4, vcc
	s_waitcnt lgkmcnt(0)
	v_add_lshl_u32 v4, v3, v5, 2
	ds_bpermute_b32 v9, v4, v7
	ds_bpermute_b32 v3, v4, v1
	ds_bpermute_b32 v4, v4, v2
	v_add_u32_e32 v10, 4, v6
	v_cmp_lt_u32_e32 vcc, v10, v8
	s_and_saveexec_b64 s[0:1], vcc
	s_cbranch_execz .LBB721_256
; %bb.251:
	s_waitcnt lgkmcnt(2)
	v_and_b32_e32 v10, v7, v9
	v_and_b32_e32 v10, 1, v10
	v_cmp_eq_u32_e32 vcc, 1, v10
	s_and_saveexec_b64 s[2:3], vcc
	s_xor_b64 s[2:3], exec, s[2:3]
	s_cbranch_execz .LBB721_253
; %bb.252:
	s_waitcnt lgkmcnt(0)
	v_cmp_lt_i64_e32 vcc, v[3:4], v[1:2]
                                        ; implicit-def: $vgpr7
                                        ; implicit-def: $vgpr9
	v_cndmask_b32_e32 v2, v2, v4, vcc
	v_cndmask_b32_e32 v1, v1, v3, vcc
                                        ; implicit-def: $vgpr3_vgpr4
.LBB721_253:
	s_or_saveexec_b64 s[2:3], s[2:3]
	v_mov_b32_e32 v10, 1
	s_xor_b64 exec, exec, s[2:3]
	s_cbranch_execz .LBB721_255
; %bb.254:
	v_and_b32_e32 v7, 1, v7
	v_cmp_eq_u32_e32 vcc, 1, v7
	s_waitcnt lgkmcnt(1)
	v_cndmask_b32_e32 v1, v3, v1, vcc
	v_and_b32_e32 v3, 0xff, v9
	s_waitcnt lgkmcnt(0)
	v_cndmask_b32_e32 v2, v4, v2, vcc
	v_cndmask_b32_e64 v10, v3, 1, vcc
.LBB721_255:
	s_or_b64 exec, exec, s[2:3]
	v_mov_b32_e32 v7, v10
.LBB721_256:
	s_or_b64 exec, exec, s[0:1]
	v_cmp_gt_u32_e32 vcc, 56, v6
	s_waitcnt lgkmcnt(1)
	v_cndmask_b32_e64 v3, 0, 8, vcc
	s_waitcnt lgkmcnt(0)
	v_add_lshl_u32 v4, v3, v5, 2
	ds_bpermute_b32 v9, v4, v7
	ds_bpermute_b32 v3, v4, v1
	ds_bpermute_b32 v4, v4, v2
	v_add_u32_e32 v10, 8, v6
	v_cmp_lt_u32_e32 vcc, v10, v8
	s_and_saveexec_b64 s[0:1], vcc
	s_cbranch_execz .LBB721_262
; %bb.257:
	s_waitcnt lgkmcnt(2)
	v_and_b32_e32 v10, v7, v9
	v_and_b32_e32 v10, 1, v10
	v_cmp_eq_u32_e32 vcc, 1, v10
	s_and_saveexec_b64 s[2:3], vcc
	s_xor_b64 s[2:3], exec, s[2:3]
	s_cbranch_execz .LBB721_259
; %bb.258:
	s_waitcnt lgkmcnt(0)
	v_cmp_lt_i64_e32 vcc, v[3:4], v[1:2]
                                        ; implicit-def: $vgpr7
                                        ; implicit-def: $vgpr9
	v_cndmask_b32_e32 v2, v2, v4, vcc
	v_cndmask_b32_e32 v1, v1, v3, vcc
                                        ; implicit-def: $vgpr3_vgpr4
.LBB721_259:
	s_or_saveexec_b64 s[2:3], s[2:3]
	v_mov_b32_e32 v10, 1
	s_xor_b64 exec, exec, s[2:3]
	s_cbranch_execz .LBB721_261
; %bb.260:
	v_and_b32_e32 v7, 1, v7
	v_cmp_eq_u32_e32 vcc, 1, v7
	s_waitcnt lgkmcnt(1)
	v_cndmask_b32_e32 v1, v3, v1, vcc
	v_and_b32_e32 v3, 0xff, v9
	s_waitcnt lgkmcnt(0)
	v_cndmask_b32_e32 v2, v4, v2, vcc
	v_cndmask_b32_e64 v10, v3, 1, vcc
.LBB721_261:
	s_or_b64 exec, exec, s[2:3]
	v_mov_b32_e32 v7, v10
.LBB721_262:
	s_or_b64 exec, exec, s[0:1]
	v_cmp_gt_u32_e32 vcc, 48, v6
	s_waitcnt lgkmcnt(1)
	v_cndmask_b32_e64 v3, 0, 16, vcc
	s_waitcnt lgkmcnt(0)
	v_add_lshl_u32 v4, v3, v5, 2
	ds_bpermute_b32 v9, v4, v7
	ds_bpermute_b32 v3, v4, v1
	ds_bpermute_b32 v4, v4, v2
	v_add_u32_e32 v10, 16, v6
	v_cmp_lt_u32_e32 vcc, v10, v8
	s_and_saveexec_b64 s[0:1], vcc
	s_cbranch_execz .LBB721_268
; %bb.263:
	s_waitcnt lgkmcnt(2)
	v_and_b32_e32 v10, v7, v9
	v_and_b32_e32 v10, 1, v10
	v_cmp_eq_u32_e32 vcc, 1, v10
	s_and_saveexec_b64 s[2:3], vcc
	s_xor_b64 s[2:3], exec, s[2:3]
	s_cbranch_execz .LBB721_265
; %bb.264:
	s_waitcnt lgkmcnt(0)
	v_cmp_lt_i64_e32 vcc, v[3:4], v[1:2]
                                        ; implicit-def: $vgpr7
                                        ; implicit-def: $vgpr9
	v_cndmask_b32_e32 v2, v2, v4, vcc
	v_cndmask_b32_e32 v1, v1, v3, vcc
                                        ; implicit-def: $vgpr3_vgpr4
.LBB721_265:
	s_or_saveexec_b64 s[2:3], s[2:3]
	v_mov_b32_e32 v10, 1
	s_xor_b64 exec, exec, s[2:3]
	s_cbranch_execz .LBB721_267
; %bb.266:
	v_and_b32_e32 v7, 1, v7
	v_cmp_eq_u32_e32 vcc, 1, v7
	s_waitcnt lgkmcnt(1)
	v_cndmask_b32_e32 v1, v3, v1, vcc
	v_and_b32_e32 v3, 0xff, v9
	s_waitcnt lgkmcnt(0)
	v_cndmask_b32_e32 v2, v4, v2, vcc
	v_cndmask_b32_e64 v10, v3, 1, vcc
.LBB721_267:
	s_or_b64 exec, exec, s[2:3]
	v_mov_b32_e32 v7, v10
.LBB721_268:
	s_or_b64 exec, exec, s[0:1]
	s_waitcnt lgkmcnt(2)
	v_lshlrev_b32_e32 v9, 2, v5
	s_waitcnt lgkmcnt(0)
	v_or_b32_e32 v4, 0x80, v9
	ds_bpermute_b32 v10, v4, v7
	ds_bpermute_b32 v3, v4, v1
	;; [unrolled: 1-line block ×3, first 2 shown]
	v_add_u32_e32 v6, 32, v6
	v_cmp_lt_u32_e32 vcc, v6, v8
	v_mov_b32_e32 v6, v7
	s_and_saveexec_b64 s[0:1], vcc
	s_cbranch_execz .LBB721_274
; %bb.269:
	s_waitcnt lgkmcnt(2)
	v_and_b32_e32 v6, v7, v10
	v_and_b32_e32 v6, 1, v6
	v_cmp_eq_u32_e32 vcc, 1, v6
	s_and_saveexec_b64 s[2:3], vcc
	s_xor_b64 s[2:3], exec, s[2:3]
	s_cbranch_execz .LBB721_271
; %bb.270:
	s_waitcnt lgkmcnt(0)
	v_cmp_lt_i64_e32 vcc, v[3:4], v[1:2]
                                        ; implicit-def: $vgpr7
                                        ; implicit-def: $vgpr10
	v_cndmask_b32_e32 v2, v2, v4, vcc
	v_cndmask_b32_e32 v1, v1, v3, vcc
                                        ; implicit-def: $vgpr3_vgpr4
.LBB721_271:
	s_or_saveexec_b64 s[2:3], s[2:3]
	v_mov_b32_e32 v6, 1
	s_xor_b64 exec, exec, s[2:3]
	s_cbranch_execz .LBB721_273
; %bb.272:
	v_and_b32_e32 v6, 1, v7
	v_cmp_eq_u32_e32 vcc, 1, v6
	v_cndmask_b32_e64 v6, v10, 1, vcc
	s_waitcnt lgkmcnt(0)
	v_cndmask_b32_e32 v2, v4, v2, vcc
	v_cndmask_b32_e32 v1, v3, v1, vcc
.LBB721_273:
	s_or_b64 exec, exec, s[2:3]
	v_and_b32_e32 v7, 0xff, v6
.LBB721_274:
	s_or_b64 exec, exec, s[0:1]
	v_cmp_eq_u32_e32 vcc, 0, v5
	s_and_saveexec_b64 s[0:1], vcc
	s_cbranch_execz .LBB721_276
; %bb.275:
	s_waitcnt lgkmcnt(1)
	v_lshrrev_b32_e32 v3, 2, v0
	v_and_b32_e32 v3, 16, v3
	ds_write_b8 v3, v6 offset:128
	ds_write_b64 v3, v[1:2] offset:136
.LBB721_276:
	s_or_b64 exec, exec, s[0:1]
	v_cmp_gt_u32_e32 vcc, 2, v0
	s_waitcnt lgkmcnt(0)
	s_barrier
	s_and_saveexec_b64 s[0:1], vcc
	s_cbranch_execz .LBB721_284
; %bb.277:
	v_lshlrev_b32_e32 v1, 4, v5
	ds_read_u8 v6, v1 offset:128
	ds_read_b64 v[1:2], v1 offset:136
	v_or_b32_e32 v4, 4, v9
	s_add_i32 s8, s8, 63
	v_and_b32_e32 v5, 1, v5
	s_waitcnt lgkmcnt(1)
	v_and_b32_e32 v7, 0xff, v6
	s_waitcnt lgkmcnt(0)
	ds_bpermute_b32 v3, v4, v1
	ds_bpermute_b32 v8, v4, v7
	;; [unrolled: 1-line block ×3, first 2 shown]
	s_lshr_b32 s2, s8, 6
	v_add_u32_e32 v5, 1, v5
	v_cmp_gt_u32_e32 vcc, s2, v5
	s_and_saveexec_b64 s[2:3], vcc
	s_cbranch_execz .LBB721_283
; %bb.278:
	s_waitcnt lgkmcnt(1)
	v_and_b32_e32 v5, v7, v8
	v_and_b32_e32 v5, 1, v5
	v_cmp_eq_u32_e32 vcc, 1, v5
	s_and_saveexec_b64 s[8:9], vcc
	s_xor_b64 s[8:9], exec, s[8:9]
	s_cbranch_execz .LBB721_280
; %bb.279:
	s_waitcnt lgkmcnt(0)
	v_cmp_lt_i64_e32 vcc, v[3:4], v[1:2]
                                        ; implicit-def: $vgpr6
                                        ; implicit-def: $vgpr8
	v_cndmask_b32_e32 v2, v2, v4, vcc
	v_cndmask_b32_e32 v1, v1, v3, vcc
                                        ; implicit-def: $vgpr3_vgpr4
.LBB721_280:
	s_or_saveexec_b64 s[8:9], s[8:9]
	v_mov_b32_e32 v7, 1
	s_xor_b64 exec, exec, s[8:9]
	s_cbranch_execz .LBB721_282
; %bb.281:
	v_and_b32_e32 v5, 1, v6
	v_cmp_eq_u32_e32 vcc, 1, v5
	s_waitcnt lgkmcnt(0)
	v_cndmask_b32_e32 v2, v4, v2, vcc
	v_cndmask_b32_e32 v1, v3, v1, vcc
	v_cndmask_b32_e64 v7, v8, 1, vcc
.LBB721_282:
	s_or_b64 exec, exec, s[8:9]
.LBB721_283:
	s_or_b64 exec, exec, s[2:3]
.LBB721_284:
	s_or_b64 exec, exec, s[0:1]
.LBB721_285:
	v_cmp_eq_u32_e32 vcc, 0, v0
                                        ; implicit-def: $vgpr3_vgpr4
                                        ; implicit-def: $vgpr5
	s_and_saveexec_b64 s[0:1], vcc
	s_xor_b64 s[8:9], exec, s[0:1]
	s_cbranch_execz .LBB721_289
; %bb.286:
	s_waitcnt lgkmcnt(0)
	v_mov_b32_e32 v3, s18
	s_cmp_eq_u64 s[22:23], 0
	v_mov_b32_e32 v4, s19
	v_mov_b32_e32 v5, s30
	s_cbranch_scc1 .LBB721_288
; %bb.287:
	v_and_b32_e32 v3, 1, v7
	v_cmp_gt_i64_e64 s[0:1], s[18:19], v[1:2]
	s_bitcmp1_b32 s30, 0
	v_cmp_eq_u32_e32 vcc, 1, v3
	s_cselect_b64 s[2:3], -1, 0
	v_mov_b32_e32 v3, s18
	s_and_b64 vcc, vcc, s[0:1]
	v_mov_b32_e32 v4, s19
	v_cndmask_b32_e32 v3, v3, v1, vcc
	v_cndmask_b32_e32 v4, v4, v2, vcc
	v_cndmask_b32_e64 v5, v7, 1, s[2:3]
	v_cndmask_b32_e64 v4, v2, v4, s[2:3]
	;; [unrolled: 1-line block ×3, first 2 shown]
.LBB721_288:
	s_or_b64 s[14:15], s[14:15], exec
.LBB721_289:
	s_or_b64 exec, exec, s[8:9]
	v_mov_b32_e32 v1, s6
	v_mov_b32_e32 v2, s7
	s_branch .LBB721_306
.LBB721_290:
	s_cmp_eq_u32 s33, 1
	s_cbranch_scc0 .LBB721_305
; %bb.291:
	s_lshl_b32 s8, s6, 7
	s_mov_b32 s7, 0
	s_lshr_b64 s[0:1], s[22:23], 7
	s_cmp_lg_u64 s[0:1], s[6:7]
	s_cbranch_scc0 .LBB721_309
; %bb.292:
	s_add_u32 s0, s24, s8
	s_addc_u32 s1, s25, 0
	s_waitcnt lgkmcnt(1)
	global_load_ubyte v5, v0, s[0:1]
	s_add_u32 s0, s20, s8
	s_addc_u32 s1, s21, 0
	v_mov_b32_e32 v2, s1
	v_add_co_u32_e32 v1, vcc, s0, v0
	s_and_b32 s2, s31, 0xff
	v_addc_co_u32_e32 v2, vcc, 0, v2, vcc
	v_mov_b32_dpp v3, v1 quad_perm:[1,0,3,2] row_mask:0xf bank_mask:0xf bound_ctrl:1
	s_waitcnt lgkmcnt(0)
	v_mov_b32_dpp v4, v2 quad_perm:[1,0,3,2] row_mask:0xf bank_mask:0xf bound_ctrl:1
	v_cmp_lt_i64_e32 vcc, v[1:2], v[3:4]
                                        ; implicit-def: $vgpr7
	s_waitcnt vmcnt(0)
	v_cmp_eq_u16_e64 s[0:1], s2, v5
	v_cndmask_b32_e64 v5, 0, 1, s[0:1]
	s_and_b64 vcc, s[0:1], vcc
	v_cndmask_b32_e32 v3, v3, v1, vcc
	v_mov_b32_dpp v5, v5 quad_perm:[1,0,3,2] row_mask:0xf bank_mask:0xf bound_ctrl:1
	v_and_b32_e32 v5, 1, v5
	v_cndmask_b32_e32 v4, v4, v2, vcc
	v_cmp_eq_u32_e32 vcc, 1, v5
	s_or_b64 s[0:1], vcc, s[0:1]
	v_cndmask_b32_e32 v3, v1, v3, vcc
	v_cndmask_b32_e64 v1, 0, 1, s[0:1]
	v_cndmask_b32_e32 v4, v2, v4, vcc
	v_mov_b32_dpp v5, v3 quad_perm:[2,3,0,1] row_mask:0xf bank_mask:0xf bound_ctrl:1
	v_mov_b32_dpp v1, v1 quad_perm:[2,3,0,1] row_mask:0xf bank_mask:0xf bound_ctrl:1
	v_and_b32_e32 v1, 1, v1
	v_cmp_eq_u32_e32 vcc, 1, v1
	s_and_b64 s[2:3], vcc, s[0:1]
	v_mov_b32_dpp v6, v4 quad_perm:[2,3,0,1] row_mask:0xf bank_mask:0xf bound_ctrl:1
	s_xor_b64 s[2:3], s[2:3], -1
                                        ; implicit-def: $vgpr1_vgpr2
	s_and_saveexec_b64 s[10:11], s[2:3]
	s_xor_b64 s[2:3], exec, s[10:11]
; %bb.293:
	s_or_b64 s[0:1], vcc, s[0:1]
	v_cndmask_b32_e32 v2, v4, v6, vcc
	v_cndmask_b32_e32 v1, v3, v5, vcc
	v_cndmask_b32_e64 v7, 0, 1, s[0:1]
                                        ; implicit-def: $vgpr3_vgpr4
                                        ; implicit-def: $vgpr5_vgpr6
; %bb.294:
	s_andn2_saveexec_b64 s[0:1], s[2:3]
; %bb.295:
	v_cmp_lt_i64_e32 vcc, v[3:4], v[5:6]
	v_mov_b32_e32 v7, 1
	v_cndmask_b32_e32 v2, v6, v4, vcc
	v_cndmask_b32_e32 v1, v5, v3, vcc
; %bb.296:
	s_or_b64 exec, exec, s[0:1]
	s_nop 0
	v_mov_b32_dpp v4, v1 row_ror:4 row_mask:0xf bank_mask:0xf bound_ctrl:1
	v_mov_b32_dpp v5, v2 row_ror:4 row_mask:0xf bank_mask:0xf bound_ctrl:1
	v_and_b32_e32 v8, 1, v7
	v_cmp_lt_i64_e64 s[0:1], v[1:2], v[4:5]
	v_mov_b32_dpp v6, v7 row_ror:4 row_mask:0xf bank_mask:0xf bound_ctrl:1
	v_cmp_eq_u32_e32 vcc, 1, v8
	v_and_b32_e32 v6, 1, v6
	s_and_b64 vcc, vcc, s[0:1]
	v_cmp_eq_u32_e64 s[2:3], 1, v6
	v_cndmask_b32_e32 v4, v4, v1, vcc
	v_cndmask_b32_e32 v5, v5, v2, vcc
	v_cndmask_b32_e64 v2, v2, v5, s[2:3]
	v_cndmask_b32_e64 v1, v1, v4, s[2:3]
	;; [unrolled: 1-line block ×3, first 2 shown]
	v_mov_b32_dpp v5, v2 row_ror:8 row_mask:0xf bank_mask:0xf bound_ctrl:1
	v_mov_b32_dpp v4, v1 row_ror:8 row_mask:0xf bank_mask:0xf bound_ctrl:1
	v_and_b32_e32 v8, 1, v6
	v_cmp_lt_i64_e64 s[0:1], v[1:2], v[4:5]
	v_mov_b32_dpp v7, v6 row_ror:8 row_mask:0xf bank_mask:0xf bound_ctrl:1
	v_cmp_eq_u32_e32 vcc, 1, v8
	v_and_b32_e32 v7, 1, v7
	s_and_b64 vcc, vcc, s[0:1]
	v_cmp_eq_u32_e64 s[2:3], 1, v7
	v_cndmask_b32_e32 v4, v4, v1, vcc
	v_cndmask_b32_e32 v5, v5, v2, vcc
	v_cndmask_b32_e64 v2, v2, v5, s[2:3]
	v_cndmask_b32_e64 v1, v1, v4, s[2:3]
	;; [unrolled: 1-line block ×3, first 2 shown]
	v_mov_b32_dpp v5, v2 row_bcast:15 row_mask:0xf bank_mask:0xf bound_ctrl:1
	v_mov_b32_dpp v4, v1 row_bcast:15 row_mask:0xf bank_mask:0xf bound_ctrl:1
	v_and_b32_e32 v8, 1, v6
	v_cmp_lt_i64_e64 s[0:1], v[1:2], v[4:5]
	v_mov_b32_dpp v7, v6 row_bcast:15 row_mask:0xf bank_mask:0xf bound_ctrl:1
	v_cmp_eq_u32_e32 vcc, 1, v8
	v_and_b32_e32 v7, 1, v7
	s_and_b64 vcc, vcc, s[0:1]
	v_cmp_eq_u32_e64 s[2:3], 1, v7
	v_cndmask_b32_e32 v4, v4, v1, vcc
	v_cndmask_b32_e32 v5, v5, v2, vcc
	v_cndmask_b32_e64 v2, v2, v5, s[2:3]
	v_cndmask_b32_e64 v1, v1, v4, s[2:3]
	;; [unrolled: 1-line block ×3, first 2 shown]
	v_mov_b32_dpp v5, v2 row_bcast:31 row_mask:0xf bank_mask:0xf bound_ctrl:1
	v_mov_b32_dpp v4, v1 row_bcast:31 row_mask:0xf bank_mask:0xf bound_ctrl:1
	v_and_b32_e32 v8, 1, v6
	v_cmp_lt_i64_e64 s[0:1], v[1:2], v[4:5]
	v_mov_b32_dpp v7, v6 row_bcast:31 row_mask:0xf bank_mask:0xf bound_ctrl:1
	v_cmp_eq_u32_e32 vcc, 1, v8
	v_mbcnt_lo_u32_b32 v3, -1, 0
	v_and_b32_e32 v7, 1, v7
	s_and_b64 vcc, vcc, s[0:1]
	v_mbcnt_hi_u32_b32 v3, -1, v3
	v_cmp_eq_u32_e64 s[2:3], 1, v7
	v_cndmask_b32_e32 v5, v5, v2, vcc
	v_cndmask_b32_e32 v4, v4, v1, vcc
	v_cndmask_b32_e64 v2, v2, v5, s[2:3]
	v_lshlrev_b32_e32 v5, 2, v3
	v_cndmask_b32_e64 v6, v6, 1, s[2:3]
	v_cndmask_b32_e64 v1, v1, v4, s[2:3]
	v_or_b32_e32 v4, 0xfc, v5
	ds_bpermute_b32 v7, v4, v6
	ds_bpermute_b32 v1, v4, v1
	;; [unrolled: 1-line block ×3, first 2 shown]
	v_cmp_eq_u32_e32 vcc, 0, v3
	s_and_saveexec_b64 s[0:1], vcc
	s_cbranch_execz .LBB721_298
; %bb.297:
	v_lshrrev_b32_e32 v4, 2, v0
	v_and_b32_e32 v4, 16, v4
	s_waitcnt lgkmcnt(2)
	ds_write_b8 v4, v7
	s_waitcnt lgkmcnt(1)
	ds_write_b64 v4, v[1:2] offset:8
.LBB721_298:
	s_or_b64 exec, exec, s[0:1]
	v_cmp_gt_u32_e32 vcc, 64, v0
	s_waitcnt lgkmcnt(0)
	s_barrier
	s_and_saveexec_b64 s[0:1], vcc
	s_cbranch_execz .LBB721_304
; %bb.299:
	v_and_b32_e32 v1, 1, v3
	v_lshlrev_b32_e32 v1, 4, v1
	ds_read_u8 v8, v1
	ds_read_b64 v[3:4], v1 offset:8
	v_or_b32_e32 v2, 4, v5
	s_waitcnt lgkmcnt(1)
	v_and_b32_e32 v1, 0xff, v8
	ds_bpermute_b32 v9, v2, v1
	s_waitcnt lgkmcnt(1)
	ds_bpermute_b32 v5, v2, v3
	ds_bpermute_b32 v6, v2, v4
	s_waitcnt lgkmcnt(2)
	v_and_b32_e32 v1, v8, v9
	v_and_b32_e32 v1, 1, v1
	v_cmp_eq_u32_e32 vcc, 1, v1
                                        ; implicit-def: $vgpr1_vgpr2
	s_and_saveexec_b64 s[2:3], vcc
	s_xor_b64 s[2:3], exec, s[2:3]
	s_cbranch_execz .LBB721_301
; %bb.300:
	s_waitcnt lgkmcnt(0)
	v_cmp_lt_i64_e32 vcc, v[5:6], v[3:4]
                                        ; implicit-def: $vgpr8
                                        ; implicit-def: $vgpr9
	v_cndmask_b32_e32 v2, v4, v6, vcc
	v_cndmask_b32_e32 v1, v3, v5, vcc
                                        ; implicit-def: $vgpr5_vgpr6
                                        ; implicit-def: $vgpr3_vgpr4
.LBB721_301:
	s_or_saveexec_b64 s[2:3], s[2:3]
	v_mov_b32_e32 v7, 1
	s_xor_b64 exec, exec, s[2:3]
	s_cbranch_execz .LBB721_303
; %bb.302:
	v_and_b32_e32 v1, 1, v8
	v_cmp_eq_u32_e32 vcc, 1, v1
	s_waitcnt lgkmcnt(0)
	v_cndmask_b32_e32 v2, v6, v4, vcc
	v_cndmask_b32_e32 v1, v5, v3, vcc
	v_cndmask_b32_e64 v7, v9, 1, vcc
.LBB721_303:
	s_or_b64 exec, exec, s[2:3]
.LBB721_304:
	s_or_b64 exec, exec, s[0:1]
	s_branch .LBB721_359
.LBB721_305:
                                        ; implicit-def: $vgpr3_vgpr4
                                        ; implicit-def: $vgpr5
                                        ; implicit-def: $vgpr1_vgpr2
.LBB721_306:
	s_and_saveexec_b64 s[0:1], s[14:15]
	s_cbranch_execz .LBB721_308
.LBB721_307:
	s_load_dwordx2 s[0:1], s[4:5], 0x28
	v_lshlrev_b64 v[0:1], 4, v[1:2]
	s_waitcnt lgkmcnt(0)
	v_mov_b32_e32 v2, s1
	v_add_co_u32_e32 v0, vcc, s0, v0
	v_addc_co_u32_e32 v1, vcc, v2, v1, vcc
	global_store_byte v[0:1], v5, off
	global_store_dwordx2 v[0:1], v[3:4], off offset:8
.LBB721_308:
	s_endpgm
.LBB721_309:
                                        ; implicit-def: $vgpr1_vgpr2
                                        ; implicit-def: $vgpr7
	s_cbranch_execz .LBB721_359
; %bb.310:
	s_sub_i32 s2, s22, s8
	v_mov_b32_e32 v1, 0
	v_cmp_gt_u32_e32 vcc, s2, v0
	v_mov_b32_e32 v2, 0
	v_mov_b32_e32 v9, 0
	s_and_saveexec_b64 s[0:1], vcc
	s_cbranch_execz .LBB721_312
; %bb.311:
	s_add_u32 s10, s24, s8
	s_addc_u32 s11, s25, 0
	s_waitcnt lgkmcnt(2)
	global_load_ubyte v3, v0, s[10:11]
	s_add_u32 s3, s20, s8
	s_addc_u32 s8, s21, 0
	v_mov_b32_e32 v2, s8
	v_add_co_u32_e32 v1, vcc, s3, v0
	s_and_b32 s9, s31, 0xff
	v_addc_co_u32_e32 v2, vcc, 0, v2, vcc
	s_waitcnt vmcnt(0)
	v_cmp_eq_u16_e32 vcc, s9, v3
	v_cndmask_b32_e64 v9, 0, 1, vcc
.LBB721_312:
	s_or_b64 exec, exec, s[0:1]
	s_waitcnt lgkmcnt(2)
	v_mbcnt_lo_u32_b32 v3, -1, 0
	s_waitcnt lgkmcnt(1)
	v_mbcnt_hi_u32_b32 v5, -1, v3
	s_waitcnt lgkmcnt(0)
	v_and_b32_e32 v6, 63, v5
	v_cmp_ne_u32_e32 vcc, 63, v6
	v_addc_co_u32_e32 v3, vcc, 0, v5, vcc
	v_and_b32_e32 v7, 0xffff, v9
	v_lshlrev_b32_e32 v4, 2, v3
	ds_bpermute_b32 v10, v4, v7
	ds_bpermute_b32 v3, v4, v1
	;; [unrolled: 1-line block ×3, first 2 shown]
	s_min_u32 s8, s2, 0x80
	v_and_b32_e32 v8, 64, v0
	v_sub_u32_e64 v8, s8, v8 clamp
	v_add_u32_e32 v11, 1, v6
	v_cmp_lt_u32_e32 vcc, v11, v8
	s_and_saveexec_b64 s[0:1], vcc
	s_cbranch_execz .LBB721_318
; %bb.313:
	s_waitcnt lgkmcnt(2)
	v_and_b32_e32 v7, v10, v7
	v_and_b32_e32 v7, 1, v7
	v_cmp_eq_u32_e32 vcc, 1, v7
	s_and_saveexec_b64 s[2:3], vcc
	s_xor_b64 s[2:3], exec, s[2:3]
	s_cbranch_execz .LBB721_315
; %bb.314:
	s_waitcnt lgkmcnt(0)
	v_cmp_lt_i64_e32 vcc, v[3:4], v[1:2]
                                        ; implicit-def: $vgpr9
                                        ; implicit-def: $vgpr10
	v_cndmask_b32_e32 v2, v2, v4, vcc
	v_cndmask_b32_e32 v1, v1, v3, vcc
                                        ; implicit-def: $vgpr3_vgpr4
.LBB721_315:
	s_or_saveexec_b64 s[2:3], s[2:3]
	v_mov_b32_e32 v7, 1
	s_xor_b64 exec, exec, s[2:3]
	s_cbranch_execz .LBB721_317
; %bb.316:
	v_and_b32_e32 v7, 1, v9
	v_cmp_eq_u32_e32 vcc, 1, v7
	s_waitcnt lgkmcnt(1)
	v_cndmask_b32_e32 v1, v3, v1, vcc
	v_and_b32_e32 v3, 0xff, v10
	s_waitcnt lgkmcnt(0)
	v_cndmask_b32_e32 v2, v4, v2, vcc
	v_cndmask_b32_e64 v7, v3, 1, vcc
.LBB721_317:
	s_or_b64 exec, exec, s[2:3]
.LBB721_318:
	s_or_b64 exec, exec, s[0:1]
	v_cmp_gt_u32_e32 vcc, 62, v6
	s_waitcnt lgkmcnt(1)
	v_cndmask_b32_e64 v3, 0, 2, vcc
	s_waitcnt lgkmcnt(0)
	v_add_lshl_u32 v4, v3, v5, 2
	ds_bpermute_b32 v9, v4, v7
	ds_bpermute_b32 v3, v4, v1
	ds_bpermute_b32 v4, v4, v2
	v_add_u32_e32 v10, 2, v6
	v_cmp_lt_u32_e32 vcc, v10, v8
	s_and_saveexec_b64 s[0:1], vcc
	s_cbranch_execz .LBB721_324
; %bb.319:
	s_waitcnt lgkmcnt(2)
	v_and_b32_e32 v10, v7, v9
	v_and_b32_e32 v10, 1, v10
	v_cmp_eq_u32_e32 vcc, 1, v10
	s_and_saveexec_b64 s[2:3], vcc
	s_xor_b64 s[2:3], exec, s[2:3]
	s_cbranch_execz .LBB721_321
; %bb.320:
	s_waitcnt lgkmcnt(0)
	v_cmp_lt_i64_e32 vcc, v[3:4], v[1:2]
                                        ; implicit-def: $vgpr7
                                        ; implicit-def: $vgpr9
	v_cndmask_b32_e32 v2, v2, v4, vcc
	v_cndmask_b32_e32 v1, v1, v3, vcc
                                        ; implicit-def: $vgpr3_vgpr4
.LBB721_321:
	s_or_saveexec_b64 s[2:3], s[2:3]
	v_mov_b32_e32 v10, 1
	s_xor_b64 exec, exec, s[2:3]
	s_cbranch_execz .LBB721_323
; %bb.322:
	v_and_b32_e32 v7, 1, v7
	v_cmp_eq_u32_e32 vcc, 1, v7
	s_waitcnt lgkmcnt(1)
	v_cndmask_b32_e32 v1, v3, v1, vcc
	v_and_b32_e32 v3, 0xff, v9
	s_waitcnt lgkmcnt(0)
	v_cndmask_b32_e32 v2, v4, v2, vcc
	v_cndmask_b32_e64 v10, v3, 1, vcc
.LBB721_323:
	s_or_b64 exec, exec, s[2:3]
	v_mov_b32_e32 v7, v10
.LBB721_324:
	s_or_b64 exec, exec, s[0:1]
	v_cmp_gt_u32_e32 vcc, 60, v6
	s_waitcnt lgkmcnt(1)
	v_cndmask_b32_e64 v3, 0, 4, vcc
	s_waitcnt lgkmcnt(0)
	v_add_lshl_u32 v4, v3, v5, 2
	ds_bpermute_b32 v9, v4, v7
	ds_bpermute_b32 v3, v4, v1
	ds_bpermute_b32 v4, v4, v2
	v_add_u32_e32 v10, 4, v6
	v_cmp_lt_u32_e32 vcc, v10, v8
	s_and_saveexec_b64 s[0:1], vcc
	s_cbranch_execz .LBB721_330
; %bb.325:
	s_waitcnt lgkmcnt(2)
	v_and_b32_e32 v10, v7, v9
	v_and_b32_e32 v10, 1, v10
	v_cmp_eq_u32_e32 vcc, 1, v10
	s_and_saveexec_b64 s[2:3], vcc
	s_xor_b64 s[2:3], exec, s[2:3]
	s_cbranch_execz .LBB721_327
; %bb.326:
	s_waitcnt lgkmcnt(0)
	v_cmp_lt_i64_e32 vcc, v[3:4], v[1:2]
                                        ; implicit-def: $vgpr7
                                        ; implicit-def: $vgpr9
	v_cndmask_b32_e32 v2, v2, v4, vcc
	v_cndmask_b32_e32 v1, v1, v3, vcc
                                        ; implicit-def: $vgpr3_vgpr4
.LBB721_327:
	s_or_saveexec_b64 s[2:3], s[2:3]
	v_mov_b32_e32 v10, 1
	s_xor_b64 exec, exec, s[2:3]
	s_cbranch_execz .LBB721_329
; %bb.328:
	v_and_b32_e32 v7, 1, v7
	v_cmp_eq_u32_e32 vcc, 1, v7
	s_waitcnt lgkmcnt(1)
	v_cndmask_b32_e32 v1, v3, v1, vcc
	v_and_b32_e32 v3, 0xff, v9
	s_waitcnt lgkmcnt(0)
	v_cndmask_b32_e32 v2, v4, v2, vcc
	v_cndmask_b32_e64 v10, v3, 1, vcc
.LBB721_329:
	s_or_b64 exec, exec, s[2:3]
	v_mov_b32_e32 v7, v10
.LBB721_330:
	;; [unrolled: 47-line block ×4, first 2 shown]
	s_or_b64 exec, exec, s[0:1]
	s_waitcnt lgkmcnt(2)
	v_lshlrev_b32_e32 v9, 2, v5
	s_waitcnt lgkmcnt(0)
	v_or_b32_e32 v4, 0x80, v9
	ds_bpermute_b32 v10, v4, v7
	ds_bpermute_b32 v3, v4, v1
	;; [unrolled: 1-line block ×3, first 2 shown]
	v_add_u32_e32 v6, 32, v6
	v_cmp_lt_u32_e32 vcc, v6, v8
	v_mov_b32_e32 v6, v7
	s_and_saveexec_b64 s[0:1], vcc
	s_cbranch_execz .LBB721_348
; %bb.343:
	s_waitcnt lgkmcnt(2)
	v_and_b32_e32 v6, v7, v10
	v_and_b32_e32 v6, 1, v6
	v_cmp_eq_u32_e32 vcc, 1, v6
	s_and_saveexec_b64 s[2:3], vcc
	s_xor_b64 s[2:3], exec, s[2:3]
	s_cbranch_execz .LBB721_345
; %bb.344:
	s_waitcnt lgkmcnt(0)
	v_cmp_lt_i64_e32 vcc, v[3:4], v[1:2]
                                        ; implicit-def: $vgpr7
                                        ; implicit-def: $vgpr10
	v_cndmask_b32_e32 v2, v2, v4, vcc
	v_cndmask_b32_e32 v1, v1, v3, vcc
                                        ; implicit-def: $vgpr3_vgpr4
.LBB721_345:
	s_or_saveexec_b64 s[2:3], s[2:3]
	v_mov_b32_e32 v6, 1
	s_xor_b64 exec, exec, s[2:3]
	s_cbranch_execz .LBB721_347
; %bb.346:
	v_and_b32_e32 v6, 1, v7
	v_cmp_eq_u32_e32 vcc, 1, v6
	v_cndmask_b32_e64 v6, v10, 1, vcc
	s_waitcnt lgkmcnt(0)
	v_cndmask_b32_e32 v2, v4, v2, vcc
	v_cndmask_b32_e32 v1, v3, v1, vcc
.LBB721_347:
	s_or_b64 exec, exec, s[2:3]
	v_and_b32_e32 v7, 0xff, v6
.LBB721_348:
	s_or_b64 exec, exec, s[0:1]
	v_cmp_eq_u32_e32 vcc, 0, v5
	s_and_saveexec_b64 s[0:1], vcc
	s_cbranch_execz .LBB721_350
; %bb.349:
	s_waitcnt lgkmcnt(1)
	v_lshrrev_b32_e32 v3, 2, v0
	v_and_b32_e32 v3, 16, v3
	ds_write_b8 v3, v6 offset:128
	ds_write_b64 v3, v[1:2] offset:136
.LBB721_350:
	s_or_b64 exec, exec, s[0:1]
	v_cmp_gt_u32_e32 vcc, 2, v0
	s_waitcnt lgkmcnt(0)
	s_barrier
	s_and_saveexec_b64 s[0:1], vcc
	s_cbranch_execz .LBB721_358
; %bb.351:
	v_lshlrev_b32_e32 v1, 4, v5
	ds_read_u8 v6, v1 offset:128
	ds_read_b64 v[1:2], v1 offset:136
	v_or_b32_e32 v4, 4, v9
	s_add_i32 s8, s8, 63
	v_and_b32_e32 v5, 1, v5
	s_waitcnt lgkmcnt(1)
	v_and_b32_e32 v7, 0xff, v6
	s_waitcnt lgkmcnt(0)
	ds_bpermute_b32 v3, v4, v1
	ds_bpermute_b32 v8, v4, v7
	;; [unrolled: 1-line block ×3, first 2 shown]
	s_lshr_b32 s2, s8, 6
	v_add_u32_e32 v5, 1, v5
	v_cmp_gt_u32_e32 vcc, s2, v5
	s_and_saveexec_b64 s[2:3], vcc
	s_cbranch_execz .LBB721_357
; %bb.352:
	s_waitcnt lgkmcnt(1)
	v_and_b32_e32 v5, v7, v8
	v_and_b32_e32 v5, 1, v5
	v_cmp_eq_u32_e32 vcc, 1, v5
	s_and_saveexec_b64 s[8:9], vcc
	s_xor_b64 s[8:9], exec, s[8:9]
	s_cbranch_execz .LBB721_354
; %bb.353:
	s_waitcnt lgkmcnt(0)
	v_cmp_lt_i64_e32 vcc, v[3:4], v[1:2]
                                        ; implicit-def: $vgpr6
                                        ; implicit-def: $vgpr8
	v_cndmask_b32_e32 v2, v2, v4, vcc
	v_cndmask_b32_e32 v1, v1, v3, vcc
                                        ; implicit-def: $vgpr3_vgpr4
.LBB721_354:
	s_or_saveexec_b64 s[8:9], s[8:9]
	v_mov_b32_e32 v7, 1
	s_xor_b64 exec, exec, s[8:9]
	s_cbranch_execz .LBB721_356
; %bb.355:
	v_and_b32_e32 v5, 1, v6
	v_cmp_eq_u32_e32 vcc, 1, v5
	s_waitcnt lgkmcnt(0)
	v_cndmask_b32_e32 v2, v4, v2, vcc
	v_cndmask_b32_e32 v1, v3, v1, vcc
	v_cndmask_b32_e64 v7, v8, 1, vcc
.LBB721_356:
	s_or_b64 exec, exec, s[8:9]
.LBB721_357:
	s_or_b64 exec, exec, s[2:3]
.LBB721_358:
	s_or_b64 exec, exec, s[0:1]
.LBB721_359:
	v_cmp_eq_u32_e32 vcc, 0, v0
                                        ; implicit-def: $vgpr3_vgpr4
                                        ; implicit-def: $vgpr5
	s_and_saveexec_b64 s[8:9], vcc
	s_cbranch_execz .LBB721_363
; %bb.360:
	s_waitcnt lgkmcnt(0)
	v_mov_b32_e32 v3, s18
	s_cmp_eq_u64 s[22:23], 0
	v_mov_b32_e32 v4, s19
	v_mov_b32_e32 v5, s30
	s_cbranch_scc1 .LBB721_362
; %bb.361:
	v_and_b32_e32 v0, 1, v7
	v_cmp_gt_i64_e64 s[0:1], s[18:19], v[1:2]
	s_bitcmp1_b32 s30, 0
	v_cmp_eq_u32_e32 vcc, 1, v0
	s_cselect_b64 s[2:3], -1, 0
	v_mov_b32_e32 v0, s18
	s_and_b64 vcc, vcc, s[0:1]
	v_mov_b32_e32 v3, s19
	v_cndmask_b32_e32 v0, v0, v1, vcc
	v_cndmask_b32_e32 v3, v3, v2, vcc
	v_cndmask_b32_e64 v5, v7, 1, s[2:3]
	v_cndmask_b32_e64 v4, v2, v3, s[2:3]
	;; [unrolled: 1-line block ×3, first 2 shown]
.LBB721_362:
	s_or_b64 s[14:15], s[14:15], exec
.LBB721_363:
	s_or_b64 exec, exec, s[8:9]
	v_mov_b32_e32 v1, s6
	v_mov_b32_e32 v2, s7
	s_and_saveexec_b64 s[0:1], s[14:15]
	s_cbranch_execnz .LBB721_307
	s_branch .LBB721_308
	.section	.rodata,"a",@progbits
	.p2align	6, 0x0
	.amdhsa_kernel _ZN7rocprim17ROCPRIM_400000_NS6detail17trampoline_kernelINS0_14default_configENS1_22reduce_config_selectorIN6thrust23THRUST_200600_302600_NS5tupleIblNS6_9null_typeES8_S8_S8_S8_S8_S8_S8_EEEEZNS1_11reduce_implILb1ES3_NS6_12zip_iteratorINS7_INS6_11hip_rocprim26transform_input_iterator_tIbPaNS6_6detail10functional5actorINSH_9compositeIJNSH_27transparent_binary_operatorINS6_8equal_toIvEEEENSI_INSH_8argumentILj0EEEEENSH_5valueIaEEEEEEEEENSD_19counting_iterator_tIlEES8_S8_S8_S8_S8_S8_S8_S8_EEEEPS9_S9_NSD_9__find_if7functorIS9_EEEE10hipError_tPvRmT1_T2_T3_mT4_P12ihipStream_tbEUlT_E1_NS1_11comp_targetILNS1_3genE2ELNS1_11target_archE906ELNS1_3gpuE6ELNS1_3repE0EEENS1_30default_config_static_selectorELNS0_4arch9wavefront6targetE1EEEvS17_
		.amdhsa_group_segment_fixed_size 160
		.amdhsa_private_segment_fixed_size 0
		.amdhsa_kernarg_size 72
		.amdhsa_user_sgpr_count 6
		.amdhsa_user_sgpr_private_segment_buffer 1
		.amdhsa_user_sgpr_dispatch_ptr 0
		.amdhsa_user_sgpr_queue_ptr 0
		.amdhsa_user_sgpr_kernarg_segment_ptr 1
		.amdhsa_user_sgpr_dispatch_id 0
		.amdhsa_user_sgpr_flat_scratch_init 0
		.amdhsa_user_sgpr_private_segment_size 0
		.amdhsa_uses_dynamic_stack 0
		.amdhsa_system_sgpr_private_segment_wavefront_offset 0
		.amdhsa_system_sgpr_workgroup_id_x 1
		.amdhsa_system_sgpr_workgroup_id_y 0
		.amdhsa_system_sgpr_workgroup_id_z 0
		.amdhsa_system_sgpr_workgroup_info 0
		.amdhsa_system_vgpr_workitem_id 0
		.amdhsa_next_free_vgpr 26
		.amdhsa_next_free_sgpr 40
		.amdhsa_reserve_vcc 1
		.amdhsa_reserve_flat_scratch 0
		.amdhsa_float_round_mode_32 0
		.amdhsa_float_round_mode_16_64 0
		.amdhsa_float_denorm_mode_32 3
		.amdhsa_float_denorm_mode_16_64 3
		.amdhsa_dx10_clamp 1
		.amdhsa_ieee_mode 1
		.amdhsa_fp16_overflow 0
		.amdhsa_exception_fp_ieee_invalid_op 0
		.amdhsa_exception_fp_denorm_src 0
		.amdhsa_exception_fp_ieee_div_zero 0
		.amdhsa_exception_fp_ieee_overflow 0
		.amdhsa_exception_fp_ieee_underflow 0
		.amdhsa_exception_fp_ieee_inexact 0
		.amdhsa_exception_int_div_zero 0
	.end_amdhsa_kernel
	.section	.text._ZN7rocprim17ROCPRIM_400000_NS6detail17trampoline_kernelINS0_14default_configENS1_22reduce_config_selectorIN6thrust23THRUST_200600_302600_NS5tupleIblNS6_9null_typeES8_S8_S8_S8_S8_S8_S8_EEEEZNS1_11reduce_implILb1ES3_NS6_12zip_iteratorINS7_INS6_11hip_rocprim26transform_input_iterator_tIbPaNS6_6detail10functional5actorINSH_9compositeIJNSH_27transparent_binary_operatorINS6_8equal_toIvEEEENSI_INSH_8argumentILj0EEEEENSH_5valueIaEEEEEEEEENSD_19counting_iterator_tIlEES8_S8_S8_S8_S8_S8_S8_S8_EEEEPS9_S9_NSD_9__find_if7functorIS9_EEEE10hipError_tPvRmT1_T2_T3_mT4_P12ihipStream_tbEUlT_E1_NS1_11comp_targetILNS1_3genE2ELNS1_11target_archE906ELNS1_3gpuE6ELNS1_3repE0EEENS1_30default_config_static_selectorELNS0_4arch9wavefront6targetE1EEEvS17_,"axG",@progbits,_ZN7rocprim17ROCPRIM_400000_NS6detail17trampoline_kernelINS0_14default_configENS1_22reduce_config_selectorIN6thrust23THRUST_200600_302600_NS5tupleIblNS6_9null_typeES8_S8_S8_S8_S8_S8_S8_EEEEZNS1_11reduce_implILb1ES3_NS6_12zip_iteratorINS7_INS6_11hip_rocprim26transform_input_iterator_tIbPaNS6_6detail10functional5actorINSH_9compositeIJNSH_27transparent_binary_operatorINS6_8equal_toIvEEEENSI_INSH_8argumentILj0EEEEENSH_5valueIaEEEEEEEEENSD_19counting_iterator_tIlEES8_S8_S8_S8_S8_S8_S8_S8_EEEEPS9_S9_NSD_9__find_if7functorIS9_EEEE10hipError_tPvRmT1_T2_T3_mT4_P12ihipStream_tbEUlT_E1_NS1_11comp_targetILNS1_3genE2ELNS1_11target_archE906ELNS1_3gpuE6ELNS1_3repE0EEENS1_30default_config_static_selectorELNS0_4arch9wavefront6targetE1EEEvS17_,comdat
.Lfunc_end721:
	.size	_ZN7rocprim17ROCPRIM_400000_NS6detail17trampoline_kernelINS0_14default_configENS1_22reduce_config_selectorIN6thrust23THRUST_200600_302600_NS5tupleIblNS6_9null_typeES8_S8_S8_S8_S8_S8_S8_EEEEZNS1_11reduce_implILb1ES3_NS6_12zip_iteratorINS7_INS6_11hip_rocprim26transform_input_iterator_tIbPaNS6_6detail10functional5actorINSH_9compositeIJNSH_27transparent_binary_operatorINS6_8equal_toIvEEEENSI_INSH_8argumentILj0EEEEENSH_5valueIaEEEEEEEEENSD_19counting_iterator_tIlEES8_S8_S8_S8_S8_S8_S8_S8_EEEEPS9_S9_NSD_9__find_if7functorIS9_EEEE10hipError_tPvRmT1_T2_T3_mT4_P12ihipStream_tbEUlT_E1_NS1_11comp_targetILNS1_3genE2ELNS1_11target_archE906ELNS1_3gpuE6ELNS1_3repE0EEENS1_30default_config_static_selectorELNS0_4arch9wavefront6targetE1EEEvS17_, .Lfunc_end721-_ZN7rocprim17ROCPRIM_400000_NS6detail17trampoline_kernelINS0_14default_configENS1_22reduce_config_selectorIN6thrust23THRUST_200600_302600_NS5tupleIblNS6_9null_typeES8_S8_S8_S8_S8_S8_S8_EEEEZNS1_11reduce_implILb1ES3_NS6_12zip_iteratorINS7_INS6_11hip_rocprim26transform_input_iterator_tIbPaNS6_6detail10functional5actorINSH_9compositeIJNSH_27transparent_binary_operatorINS6_8equal_toIvEEEENSI_INSH_8argumentILj0EEEEENSH_5valueIaEEEEEEEEENSD_19counting_iterator_tIlEES8_S8_S8_S8_S8_S8_S8_S8_EEEEPS9_S9_NSD_9__find_if7functorIS9_EEEE10hipError_tPvRmT1_T2_T3_mT4_P12ihipStream_tbEUlT_E1_NS1_11comp_targetILNS1_3genE2ELNS1_11target_archE906ELNS1_3gpuE6ELNS1_3repE0EEENS1_30default_config_static_selectorELNS0_4arch9wavefront6targetE1EEEvS17_
                                        ; -- End function
	.set _ZN7rocprim17ROCPRIM_400000_NS6detail17trampoline_kernelINS0_14default_configENS1_22reduce_config_selectorIN6thrust23THRUST_200600_302600_NS5tupleIblNS6_9null_typeES8_S8_S8_S8_S8_S8_S8_EEEEZNS1_11reduce_implILb1ES3_NS6_12zip_iteratorINS7_INS6_11hip_rocprim26transform_input_iterator_tIbPaNS6_6detail10functional5actorINSH_9compositeIJNSH_27transparent_binary_operatorINS6_8equal_toIvEEEENSI_INSH_8argumentILj0EEEEENSH_5valueIaEEEEEEEEENSD_19counting_iterator_tIlEES8_S8_S8_S8_S8_S8_S8_S8_EEEEPS9_S9_NSD_9__find_if7functorIS9_EEEE10hipError_tPvRmT1_T2_T3_mT4_P12ihipStream_tbEUlT_E1_NS1_11comp_targetILNS1_3genE2ELNS1_11target_archE906ELNS1_3gpuE6ELNS1_3repE0EEENS1_30default_config_static_selectorELNS0_4arch9wavefront6targetE1EEEvS17_.num_vgpr, 26
	.set _ZN7rocprim17ROCPRIM_400000_NS6detail17trampoline_kernelINS0_14default_configENS1_22reduce_config_selectorIN6thrust23THRUST_200600_302600_NS5tupleIblNS6_9null_typeES8_S8_S8_S8_S8_S8_S8_EEEEZNS1_11reduce_implILb1ES3_NS6_12zip_iteratorINS7_INS6_11hip_rocprim26transform_input_iterator_tIbPaNS6_6detail10functional5actorINSH_9compositeIJNSH_27transparent_binary_operatorINS6_8equal_toIvEEEENSI_INSH_8argumentILj0EEEEENSH_5valueIaEEEEEEEEENSD_19counting_iterator_tIlEES8_S8_S8_S8_S8_S8_S8_S8_EEEEPS9_S9_NSD_9__find_if7functorIS9_EEEE10hipError_tPvRmT1_T2_T3_mT4_P12ihipStream_tbEUlT_E1_NS1_11comp_targetILNS1_3genE2ELNS1_11target_archE906ELNS1_3gpuE6ELNS1_3repE0EEENS1_30default_config_static_selectorELNS0_4arch9wavefront6targetE1EEEvS17_.num_agpr, 0
	.set _ZN7rocprim17ROCPRIM_400000_NS6detail17trampoline_kernelINS0_14default_configENS1_22reduce_config_selectorIN6thrust23THRUST_200600_302600_NS5tupleIblNS6_9null_typeES8_S8_S8_S8_S8_S8_S8_EEEEZNS1_11reduce_implILb1ES3_NS6_12zip_iteratorINS7_INS6_11hip_rocprim26transform_input_iterator_tIbPaNS6_6detail10functional5actorINSH_9compositeIJNSH_27transparent_binary_operatorINS6_8equal_toIvEEEENSI_INSH_8argumentILj0EEEEENSH_5valueIaEEEEEEEEENSD_19counting_iterator_tIlEES8_S8_S8_S8_S8_S8_S8_S8_EEEEPS9_S9_NSD_9__find_if7functorIS9_EEEE10hipError_tPvRmT1_T2_T3_mT4_P12ihipStream_tbEUlT_E1_NS1_11comp_targetILNS1_3genE2ELNS1_11target_archE906ELNS1_3gpuE6ELNS1_3repE0EEENS1_30default_config_static_selectorELNS0_4arch9wavefront6targetE1EEEvS17_.numbered_sgpr, 40
	.set _ZN7rocprim17ROCPRIM_400000_NS6detail17trampoline_kernelINS0_14default_configENS1_22reduce_config_selectorIN6thrust23THRUST_200600_302600_NS5tupleIblNS6_9null_typeES8_S8_S8_S8_S8_S8_S8_EEEEZNS1_11reduce_implILb1ES3_NS6_12zip_iteratorINS7_INS6_11hip_rocprim26transform_input_iterator_tIbPaNS6_6detail10functional5actorINSH_9compositeIJNSH_27transparent_binary_operatorINS6_8equal_toIvEEEENSI_INSH_8argumentILj0EEEEENSH_5valueIaEEEEEEEEENSD_19counting_iterator_tIlEES8_S8_S8_S8_S8_S8_S8_S8_EEEEPS9_S9_NSD_9__find_if7functorIS9_EEEE10hipError_tPvRmT1_T2_T3_mT4_P12ihipStream_tbEUlT_E1_NS1_11comp_targetILNS1_3genE2ELNS1_11target_archE906ELNS1_3gpuE6ELNS1_3repE0EEENS1_30default_config_static_selectorELNS0_4arch9wavefront6targetE1EEEvS17_.num_named_barrier, 0
	.set _ZN7rocprim17ROCPRIM_400000_NS6detail17trampoline_kernelINS0_14default_configENS1_22reduce_config_selectorIN6thrust23THRUST_200600_302600_NS5tupleIblNS6_9null_typeES8_S8_S8_S8_S8_S8_S8_EEEEZNS1_11reduce_implILb1ES3_NS6_12zip_iteratorINS7_INS6_11hip_rocprim26transform_input_iterator_tIbPaNS6_6detail10functional5actorINSH_9compositeIJNSH_27transparent_binary_operatorINS6_8equal_toIvEEEENSI_INSH_8argumentILj0EEEEENSH_5valueIaEEEEEEEEENSD_19counting_iterator_tIlEES8_S8_S8_S8_S8_S8_S8_S8_EEEEPS9_S9_NSD_9__find_if7functorIS9_EEEE10hipError_tPvRmT1_T2_T3_mT4_P12ihipStream_tbEUlT_E1_NS1_11comp_targetILNS1_3genE2ELNS1_11target_archE906ELNS1_3gpuE6ELNS1_3repE0EEENS1_30default_config_static_selectorELNS0_4arch9wavefront6targetE1EEEvS17_.private_seg_size, 0
	.set _ZN7rocprim17ROCPRIM_400000_NS6detail17trampoline_kernelINS0_14default_configENS1_22reduce_config_selectorIN6thrust23THRUST_200600_302600_NS5tupleIblNS6_9null_typeES8_S8_S8_S8_S8_S8_S8_EEEEZNS1_11reduce_implILb1ES3_NS6_12zip_iteratorINS7_INS6_11hip_rocprim26transform_input_iterator_tIbPaNS6_6detail10functional5actorINSH_9compositeIJNSH_27transparent_binary_operatorINS6_8equal_toIvEEEENSI_INSH_8argumentILj0EEEEENSH_5valueIaEEEEEEEEENSD_19counting_iterator_tIlEES8_S8_S8_S8_S8_S8_S8_S8_EEEEPS9_S9_NSD_9__find_if7functorIS9_EEEE10hipError_tPvRmT1_T2_T3_mT4_P12ihipStream_tbEUlT_E1_NS1_11comp_targetILNS1_3genE2ELNS1_11target_archE906ELNS1_3gpuE6ELNS1_3repE0EEENS1_30default_config_static_selectorELNS0_4arch9wavefront6targetE1EEEvS17_.uses_vcc, 1
	.set _ZN7rocprim17ROCPRIM_400000_NS6detail17trampoline_kernelINS0_14default_configENS1_22reduce_config_selectorIN6thrust23THRUST_200600_302600_NS5tupleIblNS6_9null_typeES8_S8_S8_S8_S8_S8_S8_EEEEZNS1_11reduce_implILb1ES3_NS6_12zip_iteratorINS7_INS6_11hip_rocprim26transform_input_iterator_tIbPaNS6_6detail10functional5actorINSH_9compositeIJNSH_27transparent_binary_operatorINS6_8equal_toIvEEEENSI_INSH_8argumentILj0EEEEENSH_5valueIaEEEEEEEEENSD_19counting_iterator_tIlEES8_S8_S8_S8_S8_S8_S8_S8_EEEEPS9_S9_NSD_9__find_if7functorIS9_EEEE10hipError_tPvRmT1_T2_T3_mT4_P12ihipStream_tbEUlT_E1_NS1_11comp_targetILNS1_3genE2ELNS1_11target_archE906ELNS1_3gpuE6ELNS1_3repE0EEENS1_30default_config_static_selectorELNS0_4arch9wavefront6targetE1EEEvS17_.uses_flat_scratch, 0
	.set _ZN7rocprim17ROCPRIM_400000_NS6detail17trampoline_kernelINS0_14default_configENS1_22reduce_config_selectorIN6thrust23THRUST_200600_302600_NS5tupleIblNS6_9null_typeES8_S8_S8_S8_S8_S8_S8_EEEEZNS1_11reduce_implILb1ES3_NS6_12zip_iteratorINS7_INS6_11hip_rocprim26transform_input_iterator_tIbPaNS6_6detail10functional5actorINSH_9compositeIJNSH_27transparent_binary_operatorINS6_8equal_toIvEEEENSI_INSH_8argumentILj0EEEEENSH_5valueIaEEEEEEEEENSD_19counting_iterator_tIlEES8_S8_S8_S8_S8_S8_S8_S8_EEEEPS9_S9_NSD_9__find_if7functorIS9_EEEE10hipError_tPvRmT1_T2_T3_mT4_P12ihipStream_tbEUlT_E1_NS1_11comp_targetILNS1_3genE2ELNS1_11target_archE906ELNS1_3gpuE6ELNS1_3repE0EEENS1_30default_config_static_selectorELNS0_4arch9wavefront6targetE1EEEvS17_.has_dyn_sized_stack, 0
	.set _ZN7rocprim17ROCPRIM_400000_NS6detail17trampoline_kernelINS0_14default_configENS1_22reduce_config_selectorIN6thrust23THRUST_200600_302600_NS5tupleIblNS6_9null_typeES8_S8_S8_S8_S8_S8_S8_EEEEZNS1_11reduce_implILb1ES3_NS6_12zip_iteratorINS7_INS6_11hip_rocprim26transform_input_iterator_tIbPaNS6_6detail10functional5actorINSH_9compositeIJNSH_27transparent_binary_operatorINS6_8equal_toIvEEEENSI_INSH_8argumentILj0EEEEENSH_5valueIaEEEEEEEEENSD_19counting_iterator_tIlEES8_S8_S8_S8_S8_S8_S8_S8_EEEEPS9_S9_NSD_9__find_if7functorIS9_EEEE10hipError_tPvRmT1_T2_T3_mT4_P12ihipStream_tbEUlT_E1_NS1_11comp_targetILNS1_3genE2ELNS1_11target_archE906ELNS1_3gpuE6ELNS1_3repE0EEENS1_30default_config_static_selectorELNS0_4arch9wavefront6targetE1EEEvS17_.has_recursion, 0
	.set _ZN7rocprim17ROCPRIM_400000_NS6detail17trampoline_kernelINS0_14default_configENS1_22reduce_config_selectorIN6thrust23THRUST_200600_302600_NS5tupleIblNS6_9null_typeES8_S8_S8_S8_S8_S8_S8_EEEEZNS1_11reduce_implILb1ES3_NS6_12zip_iteratorINS7_INS6_11hip_rocprim26transform_input_iterator_tIbPaNS6_6detail10functional5actorINSH_9compositeIJNSH_27transparent_binary_operatorINS6_8equal_toIvEEEENSI_INSH_8argumentILj0EEEEENSH_5valueIaEEEEEEEEENSD_19counting_iterator_tIlEES8_S8_S8_S8_S8_S8_S8_S8_EEEEPS9_S9_NSD_9__find_if7functorIS9_EEEE10hipError_tPvRmT1_T2_T3_mT4_P12ihipStream_tbEUlT_E1_NS1_11comp_targetILNS1_3genE2ELNS1_11target_archE906ELNS1_3gpuE6ELNS1_3repE0EEENS1_30default_config_static_selectorELNS0_4arch9wavefront6targetE1EEEvS17_.has_indirect_call, 0
	.section	.AMDGPU.csdata,"",@progbits
; Kernel info:
; codeLenInByte = 12864
; TotalNumSgprs: 44
; NumVgprs: 26
; ScratchSize: 0
; MemoryBound: 0
; FloatMode: 240
; IeeeMode: 1
; LDSByteSize: 160 bytes/workgroup (compile time only)
; SGPRBlocks: 5
; VGPRBlocks: 6
; NumSGPRsForWavesPerEU: 44
; NumVGPRsForWavesPerEU: 26
; Occupancy: 9
; WaveLimiterHint : 1
; COMPUTE_PGM_RSRC2:SCRATCH_EN: 0
; COMPUTE_PGM_RSRC2:USER_SGPR: 6
; COMPUTE_PGM_RSRC2:TRAP_HANDLER: 0
; COMPUTE_PGM_RSRC2:TGID_X_EN: 1
; COMPUTE_PGM_RSRC2:TGID_Y_EN: 0
; COMPUTE_PGM_RSRC2:TGID_Z_EN: 0
; COMPUTE_PGM_RSRC2:TIDIG_COMP_CNT: 0
	.section	.text._ZN7rocprim17ROCPRIM_400000_NS6detail17trampoline_kernelINS0_14default_configENS1_22reduce_config_selectorIN6thrust23THRUST_200600_302600_NS5tupleIblNS6_9null_typeES8_S8_S8_S8_S8_S8_S8_EEEEZNS1_11reduce_implILb1ES3_NS6_12zip_iteratorINS7_INS6_11hip_rocprim26transform_input_iterator_tIbPaNS6_6detail10functional5actorINSH_9compositeIJNSH_27transparent_binary_operatorINS6_8equal_toIvEEEENSI_INSH_8argumentILj0EEEEENSH_5valueIaEEEEEEEEENSD_19counting_iterator_tIlEES8_S8_S8_S8_S8_S8_S8_S8_EEEEPS9_S9_NSD_9__find_if7functorIS9_EEEE10hipError_tPvRmT1_T2_T3_mT4_P12ihipStream_tbEUlT_E1_NS1_11comp_targetILNS1_3genE10ELNS1_11target_archE1201ELNS1_3gpuE5ELNS1_3repE0EEENS1_30default_config_static_selectorELNS0_4arch9wavefront6targetE1EEEvS17_,"axG",@progbits,_ZN7rocprim17ROCPRIM_400000_NS6detail17trampoline_kernelINS0_14default_configENS1_22reduce_config_selectorIN6thrust23THRUST_200600_302600_NS5tupleIblNS6_9null_typeES8_S8_S8_S8_S8_S8_S8_EEEEZNS1_11reduce_implILb1ES3_NS6_12zip_iteratorINS7_INS6_11hip_rocprim26transform_input_iterator_tIbPaNS6_6detail10functional5actorINSH_9compositeIJNSH_27transparent_binary_operatorINS6_8equal_toIvEEEENSI_INSH_8argumentILj0EEEEENSH_5valueIaEEEEEEEEENSD_19counting_iterator_tIlEES8_S8_S8_S8_S8_S8_S8_S8_EEEEPS9_S9_NSD_9__find_if7functorIS9_EEEE10hipError_tPvRmT1_T2_T3_mT4_P12ihipStream_tbEUlT_E1_NS1_11comp_targetILNS1_3genE10ELNS1_11target_archE1201ELNS1_3gpuE5ELNS1_3repE0EEENS1_30default_config_static_selectorELNS0_4arch9wavefront6targetE1EEEvS17_,comdat
	.protected	_ZN7rocprim17ROCPRIM_400000_NS6detail17trampoline_kernelINS0_14default_configENS1_22reduce_config_selectorIN6thrust23THRUST_200600_302600_NS5tupleIblNS6_9null_typeES8_S8_S8_S8_S8_S8_S8_EEEEZNS1_11reduce_implILb1ES3_NS6_12zip_iteratorINS7_INS6_11hip_rocprim26transform_input_iterator_tIbPaNS6_6detail10functional5actorINSH_9compositeIJNSH_27transparent_binary_operatorINS6_8equal_toIvEEEENSI_INSH_8argumentILj0EEEEENSH_5valueIaEEEEEEEEENSD_19counting_iterator_tIlEES8_S8_S8_S8_S8_S8_S8_S8_EEEEPS9_S9_NSD_9__find_if7functorIS9_EEEE10hipError_tPvRmT1_T2_T3_mT4_P12ihipStream_tbEUlT_E1_NS1_11comp_targetILNS1_3genE10ELNS1_11target_archE1201ELNS1_3gpuE5ELNS1_3repE0EEENS1_30default_config_static_selectorELNS0_4arch9wavefront6targetE1EEEvS17_ ; -- Begin function _ZN7rocprim17ROCPRIM_400000_NS6detail17trampoline_kernelINS0_14default_configENS1_22reduce_config_selectorIN6thrust23THRUST_200600_302600_NS5tupleIblNS6_9null_typeES8_S8_S8_S8_S8_S8_S8_EEEEZNS1_11reduce_implILb1ES3_NS6_12zip_iteratorINS7_INS6_11hip_rocprim26transform_input_iterator_tIbPaNS6_6detail10functional5actorINSH_9compositeIJNSH_27transparent_binary_operatorINS6_8equal_toIvEEEENSI_INSH_8argumentILj0EEEEENSH_5valueIaEEEEEEEEENSD_19counting_iterator_tIlEES8_S8_S8_S8_S8_S8_S8_S8_EEEEPS9_S9_NSD_9__find_if7functorIS9_EEEE10hipError_tPvRmT1_T2_T3_mT4_P12ihipStream_tbEUlT_E1_NS1_11comp_targetILNS1_3genE10ELNS1_11target_archE1201ELNS1_3gpuE5ELNS1_3repE0EEENS1_30default_config_static_selectorELNS0_4arch9wavefront6targetE1EEEvS17_
	.globl	_ZN7rocprim17ROCPRIM_400000_NS6detail17trampoline_kernelINS0_14default_configENS1_22reduce_config_selectorIN6thrust23THRUST_200600_302600_NS5tupleIblNS6_9null_typeES8_S8_S8_S8_S8_S8_S8_EEEEZNS1_11reduce_implILb1ES3_NS6_12zip_iteratorINS7_INS6_11hip_rocprim26transform_input_iterator_tIbPaNS6_6detail10functional5actorINSH_9compositeIJNSH_27transparent_binary_operatorINS6_8equal_toIvEEEENSI_INSH_8argumentILj0EEEEENSH_5valueIaEEEEEEEEENSD_19counting_iterator_tIlEES8_S8_S8_S8_S8_S8_S8_S8_EEEEPS9_S9_NSD_9__find_if7functorIS9_EEEE10hipError_tPvRmT1_T2_T3_mT4_P12ihipStream_tbEUlT_E1_NS1_11comp_targetILNS1_3genE10ELNS1_11target_archE1201ELNS1_3gpuE5ELNS1_3repE0EEENS1_30default_config_static_selectorELNS0_4arch9wavefront6targetE1EEEvS17_
	.p2align	8
	.type	_ZN7rocprim17ROCPRIM_400000_NS6detail17trampoline_kernelINS0_14default_configENS1_22reduce_config_selectorIN6thrust23THRUST_200600_302600_NS5tupleIblNS6_9null_typeES8_S8_S8_S8_S8_S8_S8_EEEEZNS1_11reduce_implILb1ES3_NS6_12zip_iteratorINS7_INS6_11hip_rocprim26transform_input_iterator_tIbPaNS6_6detail10functional5actorINSH_9compositeIJNSH_27transparent_binary_operatorINS6_8equal_toIvEEEENSI_INSH_8argumentILj0EEEEENSH_5valueIaEEEEEEEEENSD_19counting_iterator_tIlEES8_S8_S8_S8_S8_S8_S8_S8_EEEEPS9_S9_NSD_9__find_if7functorIS9_EEEE10hipError_tPvRmT1_T2_T3_mT4_P12ihipStream_tbEUlT_E1_NS1_11comp_targetILNS1_3genE10ELNS1_11target_archE1201ELNS1_3gpuE5ELNS1_3repE0EEENS1_30default_config_static_selectorELNS0_4arch9wavefront6targetE1EEEvS17_,@function
_ZN7rocprim17ROCPRIM_400000_NS6detail17trampoline_kernelINS0_14default_configENS1_22reduce_config_selectorIN6thrust23THRUST_200600_302600_NS5tupleIblNS6_9null_typeES8_S8_S8_S8_S8_S8_S8_EEEEZNS1_11reduce_implILb1ES3_NS6_12zip_iteratorINS7_INS6_11hip_rocprim26transform_input_iterator_tIbPaNS6_6detail10functional5actorINSH_9compositeIJNSH_27transparent_binary_operatorINS6_8equal_toIvEEEENSI_INSH_8argumentILj0EEEEENSH_5valueIaEEEEEEEEENSD_19counting_iterator_tIlEES8_S8_S8_S8_S8_S8_S8_S8_EEEEPS9_S9_NSD_9__find_if7functorIS9_EEEE10hipError_tPvRmT1_T2_T3_mT4_P12ihipStream_tbEUlT_E1_NS1_11comp_targetILNS1_3genE10ELNS1_11target_archE1201ELNS1_3gpuE5ELNS1_3repE0EEENS1_30default_config_static_selectorELNS0_4arch9wavefront6targetE1EEEvS17_: ; @_ZN7rocprim17ROCPRIM_400000_NS6detail17trampoline_kernelINS0_14default_configENS1_22reduce_config_selectorIN6thrust23THRUST_200600_302600_NS5tupleIblNS6_9null_typeES8_S8_S8_S8_S8_S8_S8_EEEEZNS1_11reduce_implILb1ES3_NS6_12zip_iteratorINS7_INS6_11hip_rocprim26transform_input_iterator_tIbPaNS6_6detail10functional5actorINSH_9compositeIJNSH_27transparent_binary_operatorINS6_8equal_toIvEEEENSI_INSH_8argumentILj0EEEEENSH_5valueIaEEEEEEEEENSD_19counting_iterator_tIlEES8_S8_S8_S8_S8_S8_S8_S8_EEEEPS9_S9_NSD_9__find_if7functorIS9_EEEE10hipError_tPvRmT1_T2_T3_mT4_P12ihipStream_tbEUlT_E1_NS1_11comp_targetILNS1_3genE10ELNS1_11target_archE1201ELNS1_3gpuE5ELNS1_3repE0EEENS1_30default_config_static_selectorELNS0_4arch9wavefront6targetE1EEEvS17_
; %bb.0:
	.section	.rodata,"a",@progbits
	.p2align	6, 0x0
	.amdhsa_kernel _ZN7rocprim17ROCPRIM_400000_NS6detail17trampoline_kernelINS0_14default_configENS1_22reduce_config_selectorIN6thrust23THRUST_200600_302600_NS5tupleIblNS6_9null_typeES8_S8_S8_S8_S8_S8_S8_EEEEZNS1_11reduce_implILb1ES3_NS6_12zip_iteratorINS7_INS6_11hip_rocprim26transform_input_iterator_tIbPaNS6_6detail10functional5actorINSH_9compositeIJNSH_27transparent_binary_operatorINS6_8equal_toIvEEEENSI_INSH_8argumentILj0EEEEENSH_5valueIaEEEEEEEEENSD_19counting_iterator_tIlEES8_S8_S8_S8_S8_S8_S8_S8_EEEEPS9_S9_NSD_9__find_if7functorIS9_EEEE10hipError_tPvRmT1_T2_T3_mT4_P12ihipStream_tbEUlT_E1_NS1_11comp_targetILNS1_3genE10ELNS1_11target_archE1201ELNS1_3gpuE5ELNS1_3repE0EEENS1_30default_config_static_selectorELNS0_4arch9wavefront6targetE1EEEvS17_
		.amdhsa_group_segment_fixed_size 0
		.amdhsa_private_segment_fixed_size 0
		.amdhsa_kernarg_size 72
		.amdhsa_user_sgpr_count 6
		.amdhsa_user_sgpr_private_segment_buffer 1
		.amdhsa_user_sgpr_dispatch_ptr 0
		.amdhsa_user_sgpr_queue_ptr 0
		.amdhsa_user_sgpr_kernarg_segment_ptr 1
		.amdhsa_user_sgpr_dispatch_id 0
		.amdhsa_user_sgpr_flat_scratch_init 0
		.amdhsa_user_sgpr_private_segment_size 0
		.amdhsa_uses_dynamic_stack 0
		.amdhsa_system_sgpr_private_segment_wavefront_offset 0
		.amdhsa_system_sgpr_workgroup_id_x 1
		.amdhsa_system_sgpr_workgroup_id_y 0
		.amdhsa_system_sgpr_workgroup_id_z 0
		.amdhsa_system_sgpr_workgroup_info 0
		.amdhsa_system_vgpr_workitem_id 0
		.amdhsa_next_free_vgpr 1
		.amdhsa_next_free_sgpr 0
		.amdhsa_reserve_vcc 0
		.amdhsa_reserve_flat_scratch 0
		.amdhsa_float_round_mode_32 0
		.amdhsa_float_round_mode_16_64 0
		.amdhsa_float_denorm_mode_32 3
		.amdhsa_float_denorm_mode_16_64 3
		.amdhsa_dx10_clamp 1
		.amdhsa_ieee_mode 1
		.amdhsa_fp16_overflow 0
		.amdhsa_exception_fp_ieee_invalid_op 0
		.amdhsa_exception_fp_denorm_src 0
		.amdhsa_exception_fp_ieee_div_zero 0
		.amdhsa_exception_fp_ieee_overflow 0
		.amdhsa_exception_fp_ieee_underflow 0
		.amdhsa_exception_fp_ieee_inexact 0
		.amdhsa_exception_int_div_zero 0
	.end_amdhsa_kernel
	.section	.text._ZN7rocprim17ROCPRIM_400000_NS6detail17trampoline_kernelINS0_14default_configENS1_22reduce_config_selectorIN6thrust23THRUST_200600_302600_NS5tupleIblNS6_9null_typeES8_S8_S8_S8_S8_S8_S8_EEEEZNS1_11reduce_implILb1ES3_NS6_12zip_iteratorINS7_INS6_11hip_rocprim26transform_input_iterator_tIbPaNS6_6detail10functional5actorINSH_9compositeIJNSH_27transparent_binary_operatorINS6_8equal_toIvEEEENSI_INSH_8argumentILj0EEEEENSH_5valueIaEEEEEEEEENSD_19counting_iterator_tIlEES8_S8_S8_S8_S8_S8_S8_S8_EEEEPS9_S9_NSD_9__find_if7functorIS9_EEEE10hipError_tPvRmT1_T2_T3_mT4_P12ihipStream_tbEUlT_E1_NS1_11comp_targetILNS1_3genE10ELNS1_11target_archE1201ELNS1_3gpuE5ELNS1_3repE0EEENS1_30default_config_static_selectorELNS0_4arch9wavefront6targetE1EEEvS17_,"axG",@progbits,_ZN7rocprim17ROCPRIM_400000_NS6detail17trampoline_kernelINS0_14default_configENS1_22reduce_config_selectorIN6thrust23THRUST_200600_302600_NS5tupleIblNS6_9null_typeES8_S8_S8_S8_S8_S8_S8_EEEEZNS1_11reduce_implILb1ES3_NS6_12zip_iteratorINS7_INS6_11hip_rocprim26transform_input_iterator_tIbPaNS6_6detail10functional5actorINSH_9compositeIJNSH_27transparent_binary_operatorINS6_8equal_toIvEEEENSI_INSH_8argumentILj0EEEEENSH_5valueIaEEEEEEEEENSD_19counting_iterator_tIlEES8_S8_S8_S8_S8_S8_S8_S8_EEEEPS9_S9_NSD_9__find_if7functorIS9_EEEE10hipError_tPvRmT1_T2_T3_mT4_P12ihipStream_tbEUlT_E1_NS1_11comp_targetILNS1_3genE10ELNS1_11target_archE1201ELNS1_3gpuE5ELNS1_3repE0EEENS1_30default_config_static_selectorELNS0_4arch9wavefront6targetE1EEEvS17_,comdat
.Lfunc_end722:
	.size	_ZN7rocprim17ROCPRIM_400000_NS6detail17trampoline_kernelINS0_14default_configENS1_22reduce_config_selectorIN6thrust23THRUST_200600_302600_NS5tupleIblNS6_9null_typeES8_S8_S8_S8_S8_S8_S8_EEEEZNS1_11reduce_implILb1ES3_NS6_12zip_iteratorINS7_INS6_11hip_rocprim26transform_input_iterator_tIbPaNS6_6detail10functional5actorINSH_9compositeIJNSH_27transparent_binary_operatorINS6_8equal_toIvEEEENSI_INSH_8argumentILj0EEEEENSH_5valueIaEEEEEEEEENSD_19counting_iterator_tIlEES8_S8_S8_S8_S8_S8_S8_S8_EEEEPS9_S9_NSD_9__find_if7functorIS9_EEEE10hipError_tPvRmT1_T2_T3_mT4_P12ihipStream_tbEUlT_E1_NS1_11comp_targetILNS1_3genE10ELNS1_11target_archE1201ELNS1_3gpuE5ELNS1_3repE0EEENS1_30default_config_static_selectorELNS0_4arch9wavefront6targetE1EEEvS17_, .Lfunc_end722-_ZN7rocprim17ROCPRIM_400000_NS6detail17trampoline_kernelINS0_14default_configENS1_22reduce_config_selectorIN6thrust23THRUST_200600_302600_NS5tupleIblNS6_9null_typeES8_S8_S8_S8_S8_S8_S8_EEEEZNS1_11reduce_implILb1ES3_NS6_12zip_iteratorINS7_INS6_11hip_rocprim26transform_input_iterator_tIbPaNS6_6detail10functional5actorINSH_9compositeIJNSH_27transparent_binary_operatorINS6_8equal_toIvEEEENSI_INSH_8argumentILj0EEEEENSH_5valueIaEEEEEEEEENSD_19counting_iterator_tIlEES8_S8_S8_S8_S8_S8_S8_S8_EEEEPS9_S9_NSD_9__find_if7functorIS9_EEEE10hipError_tPvRmT1_T2_T3_mT4_P12ihipStream_tbEUlT_E1_NS1_11comp_targetILNS1_3genE10ELNS1_11target_archE1201ELNS1_3gpuE5ELNS1_3repE0EEENS1_30default_config_static_selectorELNS0_4arch9wavefront6targetE1EEEvS17_
                                        ; -- End function
	.set _ZN7rocprim17ROCPRIM_400000_NS6detail17trampoline_kernelINS0_14default_configENS1_22reduce_config_selectorIN6thrust23THRUST_200600_302600_NS5tupleIblNS6_9null_typeES8_S8_S8_S8_S8_S8_S8_EEEEZNS1_11reduce_implILb1ES3_NS6_12zip_iteratorINS7_INS6_11hip_rocprim26transform_input_iterator_tIbPaNS6_6detail10functional5actorINSH_9compositeIJNSH_27transparent_binary_operatorINS6_8equal_toIvEEEENSI_INSH_8argumentILj0EEEEENSH_5valueIaEEEEEEEEENSD_19counting_iterator_tIlEES8_S8_S8_S8_S8_S8_S8_S8_EEEEPS9_S9_NSD_9__find_if7functorIS9_EEEE10hipError_tPvRmT1_T2_T3_mT4_P12ihipStream_tbEUlT_E1_NS1_11comp_targetILNS1_3genE10ELNS1_11target_archE1201ELNS1_3gpuE5ELNS1_3repE0EEENS1_30default_config_static_selectorELNS0_4arch9wavefront6targetE1EEEvS17_.num_vgpr, 0
	.set _ZN7rocprim17ROCPRIM_400000_NS6detail17trampoline_kernelINS0_14default_configENS1_22reduce_config_selectorIN6thrust23THRUST_200600_302600_NS5tupleIblNS6_9null_typeES8_S8_S8_S8_S8_S8_S8_EEEEZNS1_11reduce_implILb1ES3_NS6_12zip_iteratorINS7_INS6_11hip_rocprim26transform_input_iterator_tIbPaNS6_6detail10functional5actorINSH_9compositeIJNSH_27transparent_binary_operatorINS6_8equal_toIvEEEENSI_INSH_8argumentILj0EEEEENSH_5valueIaEEEEEEEEENSD_19counting_iterator_tIlEES8_S8_S8_S8_S8_S8_S8_S8_EEEEPS9_S9_NSD_9__find_if7functorIS9_EEEE10hipError_tPvRmT1_T2_T3_mT4_P12ihipStream_tbEUlT_E1_NS1_11comp_targetILNS1_3genE10ELNS1_11target_archE1201ELNS1_3gpuE5ELNS1_3repE0EEENS1_30default_config_static_selectorELNS0_4arch9wavefront6targetE1EEEvS17_.num_agpr, 0
	.set _ZN7rocprim17ROCPRIM_400000_NS6detail17trampoline_kernelINS0_14default_configENS1_22reduce_config_selectorIN6thrust23THRUST_200600_302600_NS5tupleIblNS6_9null_typeES8_S8_S8_S8_S8_S8_S8_EEEEZNS1_11reduce_implILb1ES3_NS6_12zip_iteratorINS7_INS6_11hip_rocprim26transform_input_iterator_tIbPaNS6_6detail10functional5actorINSH_9compositeIJNSH_27transparent_binary_operatorINS6_8equal_toIvEEEENSI_INSH_8argumentILj0EEEEENSH_5valueIaEEEEEEEEENSD_19counting_iterator_tIlEES8_S8_S8_S8_S8_S8_S8_S8_EEEEPS9_S9_NSD_9__find_if7functorIS9_EEEE10hipError_tPvRmT1_T2_T3_mT4_P12ihipStream_tbEUlT_E1_NS1_11comp_targetILNS1_3genE10ELNS1_11target_archE1201ELNS1_3gpuE5ELNS1_3repE0EEENS1_30default_config_static_selectorELNS0_4arch9wavefront6targetE1EEEvS17_.numbered_sgpr, 0
	.set _ZN7rocprim17ROCPRIM_400000_NS6detail17trampoline_kernelINS0_14default_configENS1_22reduce_config_selectorIN6thrust23THRUST_200600_302600_NS5tupleIblNS6_9null_typeES8_S8_S8_S8_S8_S8_S8_EEEEZNS1_11reduce_implILb1ES3_NS6_12zip_iteratorINS7_INS6_11hip_rocprim26transform_input_iterator_tIbPaNS6_6detail10functional5actorINSH_9compositeIJNSH_27transparent_binary_operatorINS6_8equal_toIvEEEENSI_INSH_8argumentILj0EEEEENSH_5valueIaEEEEEEEEENSD_19counting_iterator_tIlEES8_S8_S8_S8_S8_S8_S8_S8_EEEEPS9_S9_NSD_9__find_if7functorIS9_EEEE10hipError_tPvRmT1_T2_T3_mT4_P12ihipStream_tbEUlT_E1_NS1_11comp_targetILNS1_3genE10ELNS1_11target_archE1201ELNS1_3gpuE5ELNS1_3repE0EEENS1_30default_config_static_selectorELNS0_4arch9wavefront6targetE1EEEvS17_.num_named_barrier, 0
	.set _ZN7rocprim17ROCPRIM_400000_NS6detail17trampoline_kernelINS0_14default_configENS1_22reduce_config_selectorIN6thrust23THRUST_200600_302600_NS5tupleIblNS6_9null_typeES8_S8_S8_S8_S8_S8_S8_EEEEZNS1_11reduce_implILb1ES3_NS6_12zip_iteratorINS7_INS6_11hip_rocprim26transform_input_iterator_tIbPaNS6_6detail10functional5actorINSH_9compositeIJNSH_27transparent_binary_operatorINS6_8equal_toIvEEEENSI_INSH_8argumentILj0EEEEENSH_5valueIaEEEEEEEEENSD_19counting_iterator_tIlEES8_S8_S8_S8_S8_S8_S8_S8_EEEEPS9_S9_NSD_9__find_if7functorIS9_EEEE10hipError_tPvRmT1_T2_T3_mT4_P12ihipStream_tbEUlT_E1_NS1_11comp_targetILNS1_3genE10ELNS1_11target_archE1201ELNS1_3gpuE5ELNS1_3repE0EEENS1_30default_config_static_selectorELNS0_4arch9wavefront6targetE1EEEvS17_.private_seg_size, 0
	.set _ZN7rocprim17ROCPRIM_400000_NS6detail17trampoline_kernelINS0_14default_configENS1_22reduce_config_selectorIN6thrust23THRUST_200600_302600_NS5tupleIblNS6_9null_typeES8_S8_S8_S8_S8_S8_S8_EEEEZNS1_11reduce_implILb1ES3_NS6_12zip_iteratorINS7_INS6_11hip_rocprim26transform_input_iterator_tIbPaNS6_6detail10functional5actorINSH_9compositeIJNSH_27transparent_binary_operatorINS6_8equal_toIvEEEENSI_INSH_8argumentILj0EEEEENSH_5valueIaEEEEEEEEENSD_19counting_iterator_tIlEES8_S8_S8_S8_S8_S8_S8_S8_EEEEPS9_S9_NSD_9__find_if7functorIS9_EEEE10hipError_tPvRmT1_T2_T3_mT4_P12ihipStream_tbEUlT_E1_NS1_11comp_targetILNS1_3genE10ELNS1_11target_archE1201ELNS1_3gpuE5ELNS1_3repE0EEENS1_30default_config_static_selectorELNS0_4arch9wavefront6targetE1EEEvS17_.uses_vcc, 0
	.set _ZN7rocprim17ROCPRIM_400000_NS6detail17trampoline_kernelINS0_14default_configENS1_22reduce_config_selectorIN6thrust23THRUST_200600_302600_NS5tupleIblNS6_9null_typeES8_S8_S8_S8_S8_S8_S8_EEEEZNS1_11reduce_implILb1ES3_NS6_12zip_iteratorINS7_INS6_11hip_rocprim26transform_input_iterator_tIbPaNS6_6detail10functional5actorINSH_9compositeIJNSH_27transparent_binary_operatorINS6_8equal_toIvEEEENSI_INSH_8argumentILj0EEEEENSH_5valueIaEEEEEEEEENSD_19counting_iterator_tIlEES8_S8_S8_S8_S8_S8_S8_S8_EEEEPS9_S9_NSD_9__find_if7functorIS9_EEEE10hipError_tPvRmT1_T2_T3_mT4_P12ihipStream_tbEUlT_E1_NS1_11comp_targetILNS1_3genE10ELNS1_11target_archE1201ELNS1_3gpuE5ELNS1_3repE0EEENS1_30default_config_static_selectorELNS0_4arch9wavefront6targetE1EEEvS17_.uses_flat_scratch, 0
	.set _ZN7rocprim17ROCPRIM_400000_NS6detail17trampoline_kernelINS0_14default_configENS1_22reduce_config_selectorIN6thrust23THRUST_200600_302600_NS5tupleIblNS6_9null_typeES8_S8_S8_S8_S8_S8_S8_EEEEZNS1_11reduce_implILb1ES3_NS6_12zip_iteratorINS7_INS6_11hip_rocprim26transform_input_iterator_tIbPaNS6_6detail10functional5actorINSH_9compositeIJNSH_27transparent_binary_operatorINS6_8equal_toIvEEEENSI_INSH_8argumentILj0EEEEENSH_5valueIaEEEEEEEEENSD_19counting_iterator_tIlEES8_S8_S8_S8_S8_S8_S8_S8_EEEEPS9_S9_NSD_9__find_if7functorIS9_EEEE10hipError_tPvRmT1_T2_T3_mT4_P12ihipStream_tbEUlT_E1_NS1_11comp_targetILNS1_3genE10ELNS1_11target_archE1201ELNS1_3gpuE5ELNS1_3repE0EEENS1_30default_config_static_selectorELNS0_4arch9wavefront6targetE1EEEvS17_.has_dyn_sized_stack, 0
	.set _ZN7rocprim17ROCPRIM_400000_NS6detail17trampoline_kernelINS0_14default_configENS1_22reduce_config_selectorIN6thrust23THRUST_200600_302600_NS5tupleIblNS6_9null_typeES8_S8_S8_S8_S8_S8_S8_EEEEZNS1_11reduce_implILb1ES3_NS6_12zip_iteratorINS7_INS6_11hip_rocprim26transform_input_iterator_tIbPaNS6_6detail10functional5actorINSH_9compositeIJNSH_27transparent_binary_operatorINS6_8equal_toIvEEEENSI_INSH_8argumentILj0EEEEENSH_5valueIaEEEEEEEEENSD_19counting_iterator_tIlEES8_S8_S8_S8_S8_S8_S8_S8_EEEEPS9_S9_NSD_9__find_if7functorIS9_EEEE10hipError_tPvRmT1_T2_T3_mT4_P12ihipStream_tbEUlT_E1_NS1_11comp_targetILNS1_3genE10ELNS1_11target_archE1201ELNS1_3gpuE5ELNS1_3repE0EEENS1_30default_config_static_selectorELNS0_4arch9wavefront6targetE1EEEvS17_.has_recursion, 0
	.set _ZN7rocprim17ROCPRIM_400000_NS6detail17trampoline_kernelINS0_14default_configENS1_22reduce_config_selectorIN6thrust23THRUST_200600_302600_NS5tupleIblNS6_9null_typeES8_S8_S8_S8_S8_S8_S8_EEEEZNS1_11reduce_implILb1ES3_NS6_12zip_iteratorINS7_INS6_11hip_rocprim26transform_input_iterator_tIbPaNS6_6detail10functional5actorINSH_9compositeIJNSH_27transparent_binary_operatorINS6_8equal_toIvEEEENSI_INSH_8argumentILj0EEEEENSH_5valueIaEEEEEEEEENSD_19counting_iterator_tIlEES8_S8_S8_S8_S8_S8_S8_S8_EEEEPS9_S9_NSD_9__find_if7functorIS9_EEEE10hipError_tPvRmT1_T2_T3_mT4_P12ihipStream_tbEUlT_E1_NS1_11comp_targetILNS1_3genE10ELNS1_11target_archE1201ELNS1_3gpuE5ELNS1_3repE0EEENS1_30default_config_static_selectorELNS0_4arch9wavefront6targetE1EEEvS17_.has_indirect_call, 0
	.section	.AMDGPU.csdata,"",@progbits
; Kernel info:
; codeLenInByte = 0
; TotalNumSgprs: 4
; NumVgprs: 0
; ScratchSize: 0
; MemoryBound: 0
; FloatMode: 240
; IeeeMode: 1
; LDSByteSize: 0 bytes/workgroup (compile time only)
; SGPRBlocks: 0
; VGPRBlocks: 0
; NumSGPRsForWavesPerEU: 4
; NumVGPRsForWavesPerEU: 1
; Occupancy: 10
; WaveLimiterHint : 0
; COMPUTE_PGM_RSRC2:SCRATCH_EN: 0
; COMPUTE_PGM_RSRC2:USER_SGPR: 6
; COMPUTE_PGM_RSRC2:TRAP_HANDLER: 0
; COMPUTE_PGM_RSRC2:TGID_X_EN: 1
; COMPUTE_PGM_RSRC2:TGID_Y_EN: 0
; COMPUTE_PGM_RSRC2:TGID_Z_EN: 0
; COMPUTE_PGM_RSRC2:TIDIG_COMP_CNT: 0
	.section	.text._ZN7rocprim17ROCPRIM_400000_NS6detail17trampoline_kernelINS0_14default_configENS1_22reduce_config_selectorIN6thrust23THRUST_200600_302600_NS5tupleIblNS6_9null_typeES8_S8_S8_S8_S8_S8_S8_EEEEZNS1_11reduce_implILb1ES3_NS6_12zip_iteratorINS7_INS6_11hip_rocprim26transform_input_iterator_tIbPaNS6_6detail10functional5actorINSH_9compositeIJNSH_27transparent_binary_operatorINS6_8equal_toIvEEEENSI_INSH_8argumentILj0EEEEENSH_5valueIaEEEEEEEEENSD_19counting_iterator_tIlEES8_S8_S8_S8_S8_S8_S8_S8_EEEEPS9_S9_NSD_9__find_if7functorIS9_EEEE10hipError_tPvRmT1_T2_T3_mT4_P12ihipStream_tbEUlT_E1_NS1_11comp_targetILNS1_3genE10ELNS1_11target_archE1200ELNS1_3gpuE4ELNS1_3repE0EEENS1_30default_config_static_selectorELNS0_4arch9wavefront6targetE1EEEvS17_,"axG",@progbits,_ZN7rocprim17ROCPRIM_400000_NS6detail17trampoline_kernelINS0_14default_configENS1_22reduce_config_selectorIN6thrust23THRUST_200600_302600_NS5tupleIblNS6_9null_typeES8_S8_S8_S8_S8_S8_S8_EEEEZNS1_11reduce_implILb1ES3_NS6_12zip_iteratorINS7_INS6_11hip_rocprim26transform_input_iterator_tIbPaNS6_6detail10functional5actorINSH_9compositeIJNSH_27transparent_binary_operatorINS6_8equal_toIvEEEENSI_INSH_8argumentILj0EEEEENSH_5valueIaEEEEEEEEENSD_19counting_iterator_tIlEES8_S8_S8_S8_S8_S8_S8_S8_EEEEPS9_S9_NSD_9__find_if7functorIS9_EEEE10hipError_tPvRmT1_T2_T3_mT4_P12ihipStream_tbEUlT_E1_NS1_11comp_targetILNS1_3genE10ELNS1_11target_archE1200ELNS1_3gpuE4ELNS1_3repE0EEENS1_30default_config_static_selectorELNS0_4arch9wavefront6targetE1EEEvS17_,comdat
	.protected	_ZN7rocprim17ROCPRIM_400000_NS6detail17trampoline_kernelINS0_14default_configENS1_22reduce_config_selectorIN6thrust23THRUST_200600_302600_NS5tupleIblNS6_9null_typeES8_S8_S8_S8_S8_S8_S8_EEEEZNS1_11reduce_implILb1ES3_NS6_12zip_iteratorINS7_INS6_11hip_rocprim26transform_input_iterator_tIbPaNS6_6detail10functional5actorINSH_9compositeIJNSH_27transparent_binary_operatorINS6_8equal_toIvEEEENSI_INSH_8argumentILj0EEEEENSH_5valueIaEEEEEEEEENSD_19counting_iterator_tIlEES8_S8_S8_S8_S8_S8_S8_S8_EEEEPS9_S9_NSD_9__find_if7functorIS9_EEEE10hipError_tPvRmT1_T2_T3_mT4_P12ihipStream_tbEUlT_E1_NS1_11comp_targetILNS1_3genE10ELNS1_11target_archE1200ELNS1_3gpuE4ELNS1_3repE0EEENS1_30default_config_static_selectorELNS0_4arch9wavefront6targetE1EEEvS17_ ; -- Begin function _ZN7rocprim17ROCPRIM_400000_NS6detail17trampoline_kernelINS0_14default_configENS1_22reduce_config_selectorIN6thrust23THRUST_200600_302600_NS5tupleIblNS6_9null_typeES8_S8_S8_S8_S8_S8_S8_EEEEZNS1_11reduce_implILb1ES3_NS6_12zip_iteratorINS7_INS6_11hip_rocprim26transform_input_iterator_tIbPaNS6_6detail10functional5actorINSH_9compositeIJNSH_27transparent_binary_operatorINS6_8equal_toIvEEEENSI_INSH_8argumentILj0EEEEENSH_5valueIaEEEEEEEEENSD_19counting_iterator_tIlEES8_S8_S8_S8_S8_S8_S8_S8_EEEEPS9_S9_NSD_9__find_if7functorIS9_EEEE10hipError_tPvRmT1_T2_T3_mT4_P12ihipStream_tbEUlT_E1_NS1_11comp_targetILNS1_3genE10ELNS1_11target_archE1200ELNS1_3gpuE4ELNS1_3repE0EEENS1_30default_config_static_selectorELNS0_4arch9wavefront6targetE1EEEvS17_
	.globl	_ZN7rocprim17ROCPRIM_400000_NS6detail17trampoline_kernelINS0_14default_configENS1_22reduce_config_selectorIN6thrust23THRUST_200600_302600_NS5tupleIblNS6_9null_typeES8_S8_S8_S8_S8_S8_S8_EEEEZNS1_11reduce_implILb1ES3_NS6_12zip_iteratorINS7_INS6_11hip_rocprim26transform_input_iterator_tIbPaNS6_6detail10functional5actorINSH_9compositeIJNSH_27transparent_binary_operatorINS6_8equal_toIvEEEENSI_INSH_8argumentILj0EEEEENSH_5valueIaEEEEEEEEENSD_19counting_iterator_tIlEES8_S8_S8_S8_S8_S8_S8_S8_EEEEPS9_S9_NSD_9__find_if7functorIS9_EEEE10hipError_tPvRmT1_T2_T3_mT4_P12ihipStream_tbEUlT_E1_NS1_11comp_targetILNS1_3genE10ELNS1_11target_archE1200ELNS1_3gpuE4ELNS1_3repE0EEENS1_30default_config_static_selectorELNS0_4arch9wavefront6targetE1EEEvS17_
	.p2align	8
	.type	_ZN7rocprim17ROCPRIM_400000_NS6detail17trampoline_kernelINS0_14default_configENS1_22reduce_config_selectorIN6thrust23THRUST_200600_302600_NS5tupleIblNS6_9null_typeES8_S8_S8_S8_S8_S8_S8_EEEEZNS1_11reduce_implILb1ES3_NS6_12zip_iteratorINS7_INS6_11hip_rocprim26transform_input_iterator_tIbPaNS6_6detail10functional5actorINSH_9compositeIJNSH_27transparent_binary_operatorINS6_8equal_toIvEEEENSI_INSH_8argumentILj0EEEEENSH_5valueIaEEEEEEEEENSD_19counting_iterator_tIlEES8_S8_S8_S8_S8_S8_S8_S8_EEEEPS9_S9_NSD_9__find_if7functorIS9_EEEE10hipError_tPvRmT1_T2_T3_mT4_P12ihipStream_tbEUlT_E1_NS1_11comp_targetILNS1_3genE10ELNS1_11target_archE1200ELNS1_3gpuE4ELNS1_3repE0EEENS1_30default_config_static_selectorELNS0_4arch9wavefront6targetE1EEEvS17_,@function
_ZN7rocprim17ROCPRIM_400000_NS6detail17trampoline_kernelINS0_14default_configENS1_22reduce_config_selectorIN6thrust23THRUST_200600_302600_NS5tupleIblNS6_9null_typeES8_S8_S8_S8_S8_S8_S8_EEEEZNS1_11reduce_implILb1ES3_NS6_12zip_iteratorINS7_INS6_11hip_rocprim26transform_input_iterator_tIbPaNS6_6detail10functional5actorINSH_9compositeIJNSH_27transparent_binary_operatorINS6_8equal_toIvEEEENSI_INSH_8argumentILj0EEEEENSH_5valueIaEEEEEEEEENSD_19counting_iterator_tIlEES8_S8_S8_S8_S8_S8_S8_S8_EEEEPS9_S9_NSD_9__find_if7functorIS9_EEEE10hipError_tPvRmT1_T2_T3_mT4_P12ihipStream_tbEUlT_E1_NS1_11comp_targetILNS1_3genE10ELNS1_11target_archE1200ELNS1_3gpuE4ELNS1_3repE0EEENS1_30default_config_static_selectorELNS0_4arch9wavefront6targetE1EEEvS17_: ; @_ZN7rocprim17ROCPRIM_400000_NS6detail17trampoline_kernelINS0_14default_configENS1_22reduce_config_selectorIN6thrust23THRUST_200600_302600_NS5tupleIblNS6_9null_typeES8_S8_S8_S8_S8_S8_S8_EEEEZNS1_11reduce_implILb1ES3_NS6_12zip_iteratorINS7_INS6_11hip_rocprim26transform_input_iterator_tIbPaNS6_6detail10functional5actorINSH_9compositeIJNSH_27transparent_binary_operatorINS6_8equal_toIvEEEENSI_INSH_8argumentILj0EEEEENSH_5valueIaEEEEEEEEENSD_19counting_iterator_tIlEES8_S8_S8_S8_S8_S8_S8_S8_EEEEPS9_S9_NSD_9__find_if7functorIS9_EEEE10hipError_tPvRmT1_T2_T3_mT4_P12ihipStream_tbEUlT_E1_NS1_11comp_targetILNS1_3genE10ELNS1_11target_archE1200ELNS1_3gpuE4ELNS1_3repE0EEENS1_30default_config_static_selectorELNS0_4arch9wavefront6targetE1EEEvS17_
; %bb.0:
	.section	.rodata,"a",@progbits
	.p2align	6, 0x0
	.amdhsa_kernel _ZN7rocprim17ROCPRIM_400000_NS6detail17trampoline_kernelINS0_14default_configENS1_22reduce_config_selectorIN6thrust23THRUST_200600_302600_NS5tupleIblNS6_9null_typeES8_S8_S8_S8_S8_S8_S8_EEEEZNS1_11reduce_implILb1ES3_NS6_12zip_iteratorINS7_INS6_11hip_rocprim26transform_input_iterator_tIbPaNS6_6detail10functional5actorINSH_9compositeIJNSH_27transparent_binary_operatorINS6_8equal_toIvEEEENSI_INSH_8argumentILj0EEEEENSH_5valueIaEEEEEEEEENSD_19counting_iterator_tIlEES8_S8_S8_S8_S8_S8_S8_S8_EEEEPS9_S9_NSD_9__find_if7functorIS9_EEEE10hipError_tPvRmT1_T2_T3_mT4_P12ihipStream_tbEUlT_E1_NS1_11comp_targetILNS1_3genE10ELNS1_11target_archE1200ELNS1_3gpuE4ELNS1_3repE0EEENS1_30default_config_static_selectorELNS0_4arch9wavefront6targetE1EEEvS17_
		.amdhsa_group_segment_fixed_size 0
		.amdhsa_private_segment_fixed_size 0
		.amdhsa_kernarg_size 72
		.amdhsa_user_sgpr_count 6
		.amdhsa_user_sgpr_private_segment_buffer 1
		.amdhsa_user_sgpr_dispatch_ptr 0
		.amdhsa_user_sgpr_queue_ptr 0
		.amdhsa_user_sgpr_kernarg_segment_ptr 1
		.amdhsa_user_sgpr_dispatch_id 0
		.amdhsa_user_sgpr_flat_scratch_init 0
		.amdhsa_user_sgpr_private_segment_size 0
		.amdhsa_uses_dynamic_stack 0
		.amdhsa_system_sgpr_private_segment_wavefront_offset 0
		.amdhsa_system_sgpr_workgroup_id_x 1
		.amdhsa_system_sgpr_workgroup_id_y 0
		.amdhsa_system_sgpr_workgroup_id_z 0
		.amdhsa_system_sgpr_workgroup_info 0
		.amdhsa_system_vgpr_workitem_id 0
		.amdhsa_next_free_vgpr 1
		.amdhsa_next_free_sgpr 0
		.amdhsa_reserve_vcc 0
		.amdhsa_reserve_flat_scratch 0
		.amdhsa_float_round_mode_32 0
		.amdhsa_float_round_mode_16_64 0
		.amdhsa_float_denorm_mode_32 3
		.amdhsa_float_denorm_mode_16_64 3
		.amdhsa_dx10_clamp 1
		.amdhsa_ieee_mode 1
		.amdhsa_fp16_overflow 0
		.amdhsa_exception_fp_ieee_invalid_op 0
		.amdhsa_exception_fp_denorm_src 0
		.amdhsa_exception_fp_ieee_div_zero 0
		.amdhsa_exception_fp_ieee_overflow 0
		.amdhsa_exception_fp_ieee_underflow 0
		.amdhsa_exception_fp_ieee_inexact 0
		.amdhsa_exception_int_div_zero 0
	.end_amdhsa_kernel
	.section	.text._ZN7rocprim17ROCPRIM_400000_NS6detail17trampoline_kernelINS0_14default_configENS1_22reduce_config_selectorIN6thrust23THRUST_200600_302600_NS5tupleIblNS6_9null_typeES8_S8_S8_S8_S8_S8_S8_EEEEZNS1_11reduce_implILb1ES3_NS6_12zip_iteratorINS7_INS6_11hip_rocprim26transform_input_iterator_tIbPaNS6_6detail10functional5actorINSH_9compositeIJNSH_27transparent_binary_operatorINS6_8equal_toIvEEEENSI_INSH_8argumentILj0EEEEENSH_5valueIaEEEEEEEEENSD_19counting_iterator_tIlEES8_S8_S8_S8_S8_S8_S8_S8_EEEEPS9_S9_NSD_9__find_if7functorIS9_EEEE10hipError_tPvRmT1_T2_T3_mT4_P12ihipStream_tbEUlT_E1_NS1_11comp_targetILNS1_3genE10ELNS1_11target_archE1200ELNS1_3gpuE4ELNS1_3repE0EEENS1_30default_config_static_selectorELNS0_4arch9wavefront6targetE1EEEvS17_,"axG",@progbits,_ZN7rocprim17ROCPRIM_400000_NS6detail17trampoline_kernelINS0_14default_configENS1_22reduce_config_selectorIN6thrust23THRUST_200600_302600_NS5tupleIblNS6_9null_typeES8_S8_S8_S8_S8_S8_S8_EEEEZNS1_11reduce_implILb1ES3_NS6_12zip_iteratorINS7_INS6_11hip_rocprim26transform_input_iterator_tIbPaNS6_6detail10functional5actorINSH_9compositeIJNSH_27transparent_binary_operatorINS6_8equal_toIvEEEENSI_INSH_8argumentILj0EEEEENSH_5valueIaEEEEEEEEENSD_19counting_iterator_tIlEES8_S8_S8_S8_S8_S8_S8_S8_EEEEPS9_S9_NSD_9__find_if7functorIS9_EEEE10hipError_tPvRmT1_T2_T3_mT4_P12ihipStream_tbEUlT_E1_NS1_11comp_targetILNS1_3genE10ELNS1_11target_archE1200ELNS1_3gpuE4ELNS1_3repE0EEENS1_30default_config_static_selectorELNS0_4arch9wavefront6targetE1EEEvS17_,comdat
.Lfunc_end723:
	.size	_ZN7rocprim17ROCPRIM_400000_NS6detail17trampoline_kernelINS0_14default_configENS1_22reduce_config_selectorIN6thrust23THRUST_200600_302600_NS5tupleIblNS6_9null_typeES8_S8_S8_S8_S8_S8_S8_EEEEZNS1_11reduce_implILb1ES3_NS6_12zip_iteratorINS7_INS6_11hip_rocprim26transform_input_iterator_tIbPaNS6_6detail10functional5actorINSH_9compositeIJNSH_27transparent_binary_operatorINS6_8equal_toIvEEEENSI_INSH_8argumentILj0EEEEENSH_5valueIaEEEEEEEEENSD_19counting_iterator_tIlEES8_S8_S8_S8_S8_S8_S8_S8_EEEEPS9_S9_NSD_9__find_if7functorIS9_EEEE10hipError_tPvRmT1_T2_T3_mT4_P12ihipStream_tbEUlT_E1_NS1_11comp_targetILNS1_3genE10ELNS1_11target_archE1200ELNS1_3gpuE4ELNS1_3repE0EEENS1_30default_config_static_selectorELNS0_4arch9wavefront6targetE1EEEvS17_, .Lfunc_end723-_ZN7rocprim17ROCPRIM_400000_NS6detail17trampoline_kernelINS0_14default_configENS1_22reduce_config_selectorIN6thrust23THRUST_200600_302600_NS5tupleIblNS6_9null_typeES8_S8_S8_S8_S8_S8_S8_EEEEZNS1_11reduce_implILb1ES3_NS6_12zip_iteratorINS7_INS6_11hip_rocprim26transform_input_iterator_tIbPaNS6_6detail10functional5actorINSH_9compositeIJNSH_27transparent_binary_operatorINS6_8equal_toIvEEEENSI_INSH_8argumentILj0EEEEENSH_5valueIaEEEEEEEEENSD_19counting_iterator_tIlEES8_S8_S8_S8_S8_S8_S8_S8_EEEEPS9_S9_NSD_9__find_if7functorIS9_EEEE10hipError_tPvRmT1_T2_T3_mT4_P12ihipStream_tbEUlT_E1_NS1_11comp_targetILNS1_3genE10ELNS1_11target_archE1200ELNS1_3gpuE4ELNS1_3repE0EEENS1_30default_config_static_selectorELNS0_4arch9wavefront6targetE1EEEvS17_
                                        ; -- End function
	.set _ZN7rocprim17ROCPRIM_400000_NS6detail17trampoline_kernelINS0_14default_configENS1_22reduce_config_selectorIN6thrust23THRUST_200600_302600_NS5tupleIblNS6_9null_typeES8_S8_S8_S8_S8_S8_S8_EEEEZNS1_11reduce_implILb1ES3_NS6_12zip_iteratorINS7_INS6_11hip_rocprim26transform_input_iterator_tIbPaNS6_6detail10functional5actorINSH_9compositeIJNSH_27transparent_binary_operatorINS6_8equal_toIvEEEENSI_INSH_8argumentILj0EEEEENSH_5valueIaEEEEEEEEENSD_19counting_iterator_tIlEES8_S8_S8_S8_S8_S8_S8_S8_EEEEPS9_S9_NSD_9__find_if7functorIS9_EEEE10hipError_tPvRmT1_T2_T3_mT4_P12ihipStream_tbEUlT_E1_NS1_11comp_targetILNS1_3genE10ELNS1_11target_archE1200ELNS1_3gpuE4ELNS1_3repE0EEENS1_30default_config_static_selectorELNS0_4arch9wavefront6targetE1EEEvS17_.num_vgpr, 0
	.set _ZN7rocprim17ROCPRIM_400000_NS6detail17trampoline_kernelINS0_14default_configENS1_22reduce_config_selectorIN6thrust23THRUST_200600_302600_NS5tupleIblNS6_9null_typeES8_S8_S8_S8_S8_S8_S8_EEEEZNS1_11reduce_implILb1ES3_NS6_12zip_iteratorINS7_INS6_11hip_rocprim26transform_input_iterator_tIbPaNS6_6detail10functional5actorINSH_9compositeIJNSH_27transparent_binary_operatorINS6_8equal_toIvEEEENSI_INSH_8argumentILj0EEEEENSH_5valueIaEEEEEEEEENSD_19counting_iterator_tIlEES8_S8_S8_S8_S8_S8_S8_S8_EEEEPS9_S9_NSD_9__find_if7functorIS9_EEEE10hipError_tPvRmT1_T2_T3_mT4_P12ihipStream_tbEUlT_E1_NS1_11comp_targetILNS1_3genE10ELNS1_11target_archE1200ELNS1_3gpuE4ELNS1_3repE0EEENS1_30default_config_static_selectorELNS0_4arch9wavefront6targetE1EEEvS17_.num_agpr, 0
	.set _ZN7rocprim17ROCPRIM_400000_NS6detail17trampoline_kernelINS0_14default_configENS1_22reduce_config_selectorIN6thrust23THRUST_200600_302600_NS5tupleIblNS6_9null_typeES8_S8_S8_S8_S8_S8_S8_EEEEZNS1_11reduce_implILb1ES3_NS6_12zip_iteratorINS7_INS6_11hip_rocprim26transform_input_iterator_tIbPaNS6_6detail10functional5actorINSH_9compositeIJNSH_27transparent_binary_operatorINS6_8equal_toIvEEEENSI_INSH_8argumentILj0EEEEENSH_5valueIaEEEEEEEEENSD_19counting_iterator_tIlEES8_S8_S8_S8_S8_S8_S8_S8_EEEEPS9_S9_NSD_9__find_if7functorIS9_EEEE10hipError_tPvRmT1_T2_T3_mT4_P12ihipStream_tbEUlT_E1_NS1_11comp_targetILNS1_3genE10ELNS1_11target_archE1200ELNS1_3gpuE4ELNS1_3repE0EEENS1_30default_config_static_selectorELNS0_4arch9wavefront6targetE1EEEvS17_.numbered_sgpr, 0
	.set _ZN7rocprim17ROCPRIM_400000_NS6detail17trampoline_kernelINS0_14default_configENS1_22reduce_config_selectorIN6thrust23THRUST_200600_302600_NS5tupleIblNS6_9null_typeES8_S8_S8_S8_S8_S8_S8_EEEEZNS1_11reduce_implILb1ES3_NS6_12zip_iteratorINS7_INS6_11hip_rocprim26transform_input_iterator_tIbPaNS6_6detail10functional5actorINSH_9compositeIJNSH_27transparent_binary_operatorINS6_8equal_toIvEEEENSI_INSH_8argumentILj0EEEEENSH_5valueIaEEEEEEEEENSD_19counting_iterator_tIlEES8_S8_S8_S8_S8_S8_S8_S8_EEEEPS9_S9_NSD_9__find_if7functorIS9_EEEE10hipError_tPvRmT1_T2_T3_mT4_P12ihipStream_tbEUlT_E1_NS1_11comp_targetILNS1_3genE10ELNS1_11target_archE1200ELNS1_3gpuE4ELNS1_3repE0EEENS1_30default_config_static_selectorELNS0_4arch9wavefront6targetE1EEEvS17_.num_named_barrier, 0
	.set _ZN7rocprim17ROCPRIM_400000_NS6detail17trampoline_kernelINS0_14default_configENS1_22reduce_config_selectorIN6thrust23THRUST_200600_302600_NS5tupleIblNS6_9null_typeES8_S8_S8_S8_S8_S8_S8_EEEEZNS1_11reduce_implILb1ES3_NS6_12zip_iteratorINS7_INS6_11hip_rocprim26transform_input_iterator_tIbPaNS6_6detail10functional5actorINSH_9compositeIJNSH_27transparent_binary_operatorINS6_8equal_toIvEEEENSI_INSH_8argumentILj0EEEEENSH_5valueIaEEEEEEEEENSD_19counting_iterator_tIlEES8_S8_S8_S8_S8_S8_S8_S8_EEEEPS9_S9_NSD_9__find_if7functorIS9_EEEE10hipError_tPvRmT1_T2_T3_mT4_P12ihipStream_tbEUlT_E1_NS1_11comp_targetILNS1_3genE10ELNS1_11target_archE1200ELNS1_3gpuE4ELNS1_3repE0EEENS1_30default_config_static_selectorELNS0_4arch9wavefront6targetE1EEEvS17_.private_seg_size, 0
	.set _ZN7rocprim17ROCPRIM_400000_NS6detail17trampoline_kernelINS0_14default_configENS1_22reduce_config_selectorIN6thrust23THRUST_200600_302600_NS5tupleIblNS6_9null_typeES8_S8_S8_S8_S8_S8_S8_EEEEZNS1_11reduce_implILb1ES3_NS6_12zip_iteratorINS7_INS6_11hip_rocprim26transform_input_iterator_tIbPaNS6_6detail10functional5actorINSH_9compositeIJNSH_27transparent_binary_operatorINS6_8equal_toIvEEEENSI_INSH_8argumentILj0EEEEENSH_5valueIaEEEEEEEEENSD_19counting_iterator_tIlEES8_S8_S8_S8_S8_S8_S8_S8_EEEEPS9_S9_NSD_9__find_if7functorIS9_EEEE10hipError_tPvRmT1_T2_T3_mT4_P12ihipStream_tbEUlT_E1_NS1_11comp_targetILNS1_3genE10ELNS1_11target_archE1200ELNS1_3gpuE4ELNS1_3repE0EEENS1_30default_config_static_selectorELNS0_4arch9wavefront6targetE1EEEvS17_.uses_vcc, 0
	.set _ZN7rocprim17ROCPRIM_400000_NS6detail17trampoline_kernelINS0_14default_configENS1_22reduce_config_selectorIN6thrust23THRUST_200600_302600_NS5tupleIblNS6_9null_typeES8_S8_S8_S8_S8_S8_S8_EEEEZNS1_11reduce_implILb1ES3_NS6_12zip_iteratorINS7_INS6_11hip_rocprim26transform_input_iterator_tIbPaNS6_6detail10functional5actorINSH_9compositeIJNSH_27transparent_binary_operatorINS6_8equal_toIvEEEENSI_INSH_8argumentILj0EEEEENSH_5valueIaEEEEEEEEENSD_19counting_iterator_tIlEES8_S8_S8_S8_S8_S8_S8_S8_EEEEPS9_S9_NSD_9__find_if7functorIS9_EEEE10hipError_tPvRmT1_T2_T3_mT4_P12ihipStream_tbEUlT_E1_NS1_11comp_targetILNS1_3genE10ELNS1_11target_archE1200ELNS1_3gpuE4ELNS1_3repE0EEENS1_30default_config_static_selectorELNS0_4arch9wavefront6targetE1EEEvS17_.uses_flat_scratch, 0
	.set _ZN7rocprim17ROCPRIM_400000_NS6detail17trampoline_kernelINS0_14default_configENS1_22reduce_config_selectorIN6thrust23THRUST_200600_302600_NS5tupleIblNS6_9null_typeES8_S8_S8_S8_S8_S8_S8_EEEEZNS1_11reduce_implILb1ES3_NS6_12zip_iteratorINS7_INS6_11hip_rocprim26transform_input_iterator_tIbPaNS6_6detail10functional5actorINSH_9compositeIJNSH_27transparent_binary_operatorINS6_8equal_toIvEEEENSI_INSH_8argumentILj0EEEEENSH_5valueIaEEEEEEEEENSD_19counting_iterator_tIlEES8_S8_S8_S8_S8_S8_S8_S8_EEEEPS9_S9_NSD_9__find_if7functorIS9_EEEE10hipError_tPvRmT1_T2_T3_mT4_P12ihipStream_tbEUlT_E1_NS1_11comp_targetILNS1_3genE10ELNS1_11target_archE1200ELNS1_3gpuE4ELNS1_3repE0EEENS1_30default_config_static_selectorELNS0_4arch9wavefront6targetE1EEEvS17_.has_dyn_sized_stack, 0
	.set _ZN7rocprim17ROCPRIM_400000_NS6detail17trampoline_kernelINS0_14default_configENS1_22reduce_config_selectorIN6thrust23THRUST_200600_302600_NS5tupleIblNS6_9null_typeES8_S8_S8_S8_S8_S8_S8_EEEEZNS1_11reduce_implILb1ES3_NS6_12zip_iteratorINS7_INS6_11hip_rocprim26transform_input_iterator_tIbPaNS6_6detail10functional5actorINSH_9compositeIJNSH_27transparent_binary_operatorINS6_8equal_toIvEEEENSI_INSH_8argumentILj0EEEEENSH_5valueIaEEEEEEEEENSD_19counting_iterator_tIlEES8_S8_S8_S8_S8_S8_S8_S8_EEEEPS9_S9_NSD_9__find_if7functorIS9_EEEE10hipError_tPvRmT1_T2_T3_mT4_P12ihipStream_tbEUlT_E1_NS1_11comp_targetILNS1_3genE10ELNS1_11target_archE1200ELNS1_3gpuE4ELNS1_3repE0EEENS1_30default_config_static_selectorELNS0_4arch9wavefront6targetE1EEEvS17_.has_recursion, 0
	.set _ZN7rocprim17ROCPRIM_400000_NS6detail17trampoline_kernelINS0_14default_configENS1_22reduce_config_selectorIN6thrust23THRUST_200600_302600_NS5tupleIblNS6_9null_typeES8_S8_S8_S8_S8_S8_S8_EEEEZNS1_11reduce_implILb1ES3_NS6_12zip_iteratorINS7_INS6_11hip_rocprim26transform_input_iterator_tIbPaNS6_6detail10functional5actorINSH_9compositeIJNSH_27transparent_binary_operatorINS6_8equal_toIvEEEENSI_INSH_8argumentILj0EEEEENSH_5valueIaEEEEEEEEENSD_19counting_iterator_tIlEES8_S8_S8_S8_S8_S8_S8_S8_EEEEPS9_S9_NSD_9__find_if7functorIS9_EEEE10hipError_tPvRmT1_T2_T3_mT4_P12ihipStream_tbEUlT_E1_NS1_11comp_targetILNS1_3genE10ELNS1_11target_archE1200ELNS1_3gpuE4ELNS1_3repE0EEENS1_30default_config_static_selectorELNS0_4arch9wavefront6targetE1EEEvS17_.has_indirect_call, 0
	.section	.AMDGPU.csdata,"",@progbits
; Kernel info:
; codeLenInByte = 0
; TotalNumSgprs: 4
; NumVgprs: 0
; ScratchSize: 0
; MemoryBound: 0
; FloatMode: 240
; IeeeMode: 1
; LDSByteSize: 0 bytes/workgroup (compile time only)
; SGPRBlocks: 0
; VGPRBlocks: 0
; NumSGPRsForWavesPerEU: 4
; NumVGPRsForWavesPerEU: 1
; Occupancy: 10
; WaveLimiterHint : 0
; COMPUTE_PGM_RSRC2:SCRATCH_EN: 0
; COMPUTE_PGM_RSRC2:USER_SGPR: 6
; COMPUTE_PGM_RSRC2:TRAP_HANDLER: 0
; COMPUTE_PGM_RSRC2:TGID_X_EN: 1
; COMPUTE_PGM_RSRC2:TGID_Y_EN: 0
; COMPUTE_PGM_RSRC2:TGID_Z_EN: 0
; COMPUTE_PGM_RSRC2:TIDIG_COMP_CNT: 0
	.section	.text._ZN7rocprim17ROCPRIM_400000_NS6detail17trampoline_kernelINS0_14default_configENS1_22reduce_config_selectorIN6thrust23THRUST_200600_302600_NS5tupleIblNS6_9null_typeES8_S8_S8_S8_S8_S8_S8_EEEEZNS1_11reduce_implILb1ES3_NS6_12zip_iteratorINS7_INS6_11hip_rocprim26transform_input_iterator_tIbPaNS6_6detail10functional5actorINSH_9compositeIJNSH_27transparent_binary_operatorINS6_8equal_toIvEEEENSI_INSH_8argumentILj0EEEEENSH_5valueIaEEEEEEEEENSD_19counting_iterator_tIlEES8_S8_S8_S8_S8_S8_S8_S8_EEEEPS9_S9_NSD_9__find_if7functorIS9_EEEE10hipError_tPvRmT1_T2_T3_mT4_P12ihipStream_tbEUlT_E1_NS1_11comp_targetILNS1_3genE9ELNS1_11target_archE1100ELNS1_3gpuE3ELNS1_3repE0EEENS1_30default_config_static_selectorELNS0_4arch9wavefront6targetE1EEEvS17_,"axG",@progbits,_ZN7rocprim17ROCPRIM_400000_NS6detail17trampoline_kernelINS0_14default_configENS1_22reduce_config_selectorIN6thrust23THRUST_200600_302600_NS5tupleIblNS6_9null_typeES8_S8_S8_S8_S8_S8_S8_EEEEZNS1_11reduce_implILb1ES3_NS6_12zip_iteratorINS7_INS6_11hip_rocprim26transform_input_iterator_tIbPaNS6_6detail10functional5actorINSH_9compositeIJNSH_27transparent_binary_operatorINS6_8equal_toIvEEEENSI_INSH_8argumentILj0EEEEENSH_5valueIaEEEEEEEEENSD_19counting_iterator_tIlEES8_S8_S8_S8_S8_S8_S8_S8_EEEEPS9_S9_NSD_9__find_if7functorIS9_EEEE10hipError_tPvRmT1_T2_T3_mT4_P12ihipStream_tbEUlT_E1_NS1_11comp_targetILNS1_3genE9ELNS1_11target_archE1100ELNS1_3gpuE3ELNS1_3repE0EEENS1_30default_config_static_selectorELNS0_4arch9wavefront6targetE1EEEvS17_,comdat
	.protected	_ZN7rocprim17ROCPRIM_400000_NS6detail17trampoline_kernelINS0_14default_configENS1_22reduce_config_selectorIN6thrust23THRUST_200600_302600_NS5tupleIblNS6_9null_typeES8_S8_S8_S8_S8_S8_S8_EEEEZNS1_11reduce_implILb1ES3_NS6_12zip_iteratorINS7_INS6_11hip_rocprim26transform_input_iterator_tIbPaNS6_6detail10functional5actorINSH_9compositeIJNSH_27transparent_binary_operatorINS6_8equal_toIvEEEENSI_INSH_8argumentILj0EEEEENSH_5valueIaEEEEEEEEENSD_19counting_iterator_tIlEES8_S8_S8_S8_S8_S8_S8_S8_EEEEPS9_S9_NSD_9__find_if7functorIS9_EEEE10hipError_tPvRmT1_T2_T3_mT4_P12ihipStream_tbEUlT_E1_NS1_11comp_targetILNS1_3genE9ELNS1_11target_archE1100ELNS1_3gpuE3ELNS1_3repE0EEENS1_30default_config_static_selectorELNS0_4arch9wavefront6targetE1EEEvS17_ ; -- Begin function _ZN7rocprim17ROCPRIM_400000_NS6detail17trampoline_kernelINS0_14default_configENS1_22reduce_config_selectorIN6thrust23THRUST_200600_302600_NS5tupleIblNS6_9null_typeES8_S8_S8_S8_S8_S8_S8_EEEEZNS1_11reduce_implILb1ES3_NS6_12zip_iteratorINS7_INS6_11hip_rocprim26transform_input_iterator_tIbPaNS6_6detail10functional5actorINSH_9compositeIJNSH_27transparent_binary_operatorINS6_8equal_toIvEEEENSI_INSH_8argumentILj0EEEEENSH_5valueIaEEEEEEEEENSD_19counting_iterator_tIlEES8_S8_S8_S8_S8_S8_S8_S8_EEEEPS9_S9_NSD_9__find_if7functorIS9_EEEE10hipError_tPvRmT1_T2_T3_mT4_P12ihipStream_tbEUlT_E1_NS1_11comp_targetILNS1_3genE9ELNS1_11target_archE1100ELNS1_3gpuE3ELNS1_3repE0EEENS1_30default_config_static_selectorELNS0_4arch9wavefront6targetE1EEEvS17_
	.globl	_ZN7rocprim17ROCPRIM_400000_NS6detail17trampoline_kernelINS0_14default_configENS1_22reduce_config_selectorIN6thrust23THRUST_200600_302600_NS5tupleIblNS6_9null_typeES8_S8_S8_S8_S8_S8_S8_EEEEZNS1_11reduce_implILb1ES3_NS6_12zip_iteratorINS7_INS6_11hip_rocprim26transform_input_iterator_tIbPaNS6_6detail10functional5actorINSH_9compositeIJNSH_27transparent_binary_operatorINS6_8equal_toIvEEEENSI_INSH_8argumentILj0EEEEENSH_5valueIaEEEEEEEEENSD_19counting_iterator_tIlEES8_S8_S8_S8_S8_S8_S8_S8_EEEEPS9_S9_NSD_9__find_if7functorIS9_EEEE10hipError_tPvRmT1_T2_T3_mT4_P12ihipStream_tbEUlT_E1_NS1_11comp_targetILNS1_3genE9ELNS1_11target_archE1100ELNS1_3gpuE3ELNS1_3repE0EEENS1_30default_config_static_selectorELNS0_4arch9wavefront6targetE1EEEvS17_
	.p2align	8
	.type	_ZN7rocprim17ROCPRIM_400000_NS6detail17trampoline_kernelINS0_14default_configENS1_22reduce_config_selectorIN6thrust23THRUST_200600_302600_NS5tupleIblNS6_9null_typeES8_S8_S8_S8_S8_S8_S8_EEEEZNS1_11reduce_implILb1ES3_NS6_12zip_iteratorINS7_INS6_11hip_rocprim26transform_input_iterator_tIbPaNS6_6detail10functional5actorINSH_9compositeIJNSH_27transparent_binary_operatorINS6_8equal_toIvEEEENSI_INSH_8argumentILj0EEEEENSH_5valueIaEEEEEEEEENSD_19counting_iterator_tIlEES8_S8_S8_S8_S8_S8_S8_S8_EEEEPS9_S9_NSD_9__find_if7functorIS9_EEEE10hipError_tPvRmT1_T2_T3_mT4_P12ihipStream_tbEUlT_E1_NS1_11comp_targetILNS1_3genE9ELNS1_11target_archE1100ELNS1_3gpuE3ELNS1_3repE0EEENS1_30default_config_static_selectorELNS0_4arch9wavefront6targetE1EEEvS17_,@function
_ZN7rocprim17ROCPRIM_400000_NS6detail17trampoline_kernelINS0_14default_configENS1_22reduce_config_selectorIN6thrust23THRUST_200600_302600_NS5tupleIblNS6_9null_typeES8_S8_S8_S8_S8_S8_S8_EEEEZNS1_11reduce_implILb1ES3_NS6_12zip_iteratorINS7_INS6_11hip_rocprim26transform_input_iterator_tIbPaNS6_6detail10functional5actorINSH_9compositeIJNSH_27transparent_binary_operatorINS6_8equal_toIvEEEENSI_INSH_8argumentILj0EEEEENSH_5valueIaEEEEEEEEENSD_19counting_iterator_tIlEES8_S8_S8_S8_S8_S8_S8_S8_EEEEPS9_S9_NSD_9__find_if7functorIS9_EEEE10hipError_tPvRmT1_T2_T3_mT4_P12ihipStream_tbEUlT_E1_NS1_11comp_targetILNS1_3genE9ELNS1_11target_archE1100ELNS1_3gpuE3ELNS1_3repE0EEENS1_30default_config_static_selectorELNS0_4arch9wavefront6targetE1EEEvS17_: ; @_ZN7rocprim17ROCPRIM_400000_NS6detail17trampoline_kernelINS0_14default_configENS1_22reduce_config_selectorIN6thrust23THRUST_200600_302600_NS5tupleIblNS6_9null_typeES8_S8_S8_S8_S8_S8_S8_EEEEZNS1_11reduce_implILb1ES3_NS6_12zip_iteratorINS7_INS6_11hip_rocprim26transform_input_iterator_tIbPaNS6_6detail10functional5actorINSH_9compositeIJNSH_27transparent_binary_operatorINS6_8equal_toIvEEEENSI_INSH_8argumentILj0EEEEENSH_5valueIaEEEEEEEEENSD_19counting_iterator_tIlEES8_S8_S8_S8_S8_S8_S8_S8_EEEEPS9_S9_NSD_9__find_if7functorIS9_EEEE10hipError_tPvRmT1_T2_T3_mT4_P12ihipStream_tbEUlT_E1_NS1_11comp_targetILNS1_3genE9ELNS1_11target_archE1100ELNS1_3gpuE3ELNS1_3repE0EEENS1_30default_config_static_selectorELNS0_4arch9wavefront6targetE1EEEvS17_
; %bb.0:
	.section	.rodata,"a",@progbits
	.p2align	6, 0x0
	.amdhsa_kernel _ZN7rocprim17ROCPRIM_400000_NS6detail17trampoline_kernelINS0_14default_configENS1_22reduce_config_selectorIN6thrust23THRUST_200600_302600_NS5tupleIblNS6_9null_typeES8_S8_S8_S8_S8_S8_S8_EEEEZNS1_11reduce_implILb1ES3_NS6_12zip_iteratorINS7_INS6_11hip_rocprim26transform_input_iterator_tIbPaNS6_6detail10functional5actorINSH_9compositeIJNSH_27transparent_binary_operatorINS6_8equal_toIvEEEENSI_INSH_8argumentILj0EEEEENSH_5valueIaEEEEEEEEENSD_19counting_iterator_tIlEES8_S8_S8_S8_S8_S8_S8_S8_EEEEPS9_S9_NSD_9__find_if7functorIS9_EEEE10hipError_tPvRmT1_T2_T3_mT4_P12ihipStream_tbEUlT_E1_NS1_11comp_targetILNS1_3genE9ELNS1_11target_archE1100ELNS1_3gpuE3ELNS1_3repE0EEENS1_30default_config_static_selectorELNS0_4arch9wavefront6targetE1EEEvS17_
		.amdhsa_group_segment_fixed_size 0
		.amdhsa_private_segment_fixed_size 0
		.amdhsa_kernarg_size 72
		.amdhsa_user_sgpr_count 6
		.amdhsa_user_sgpr_private_segment_buffer 1
		.amdhsa_user_sgpr_dispatch_ptr 0
		.amdhsa_user_sgpr_queue_ptr 0
		.amdhsa_user_sgpr_kernarg_segment_ptr 1
		.amdhsa_user_sgpr_dispatch_id 0
		.amdhsa_user_sgpr_flat_scratch_init 0
		.amdhsa_user_sgpr_private_segment_size 0
		.amdhsa_uses_dynamic_stack 0
		.amdhsa_system_sgpr_private_segment_wavefront_offset 0
		.amdhsa_system_sgpr_workgroup_id_x 1
		.amdhsa_system_sgpr_workgroup_id_y 0
		.amdhsa_system_sgpr_workgroup_id_z 0
		.amdhsa_system_sgpr_workgroup_info 0
		.amdhsa_system_vgpr_workitem_id 0
		.amdhsa_next_free_vgpr 1
		.amdhsa_next_free_sgpr 0
		.amdhsa_reserve_vcc 0
		.amdhsa_reserve_flat_scratch 0
		.amdhsa_float_round_mode_32 0
		.amdhsa_float_round_mode_16_64 0
		.amdhsa_float_denorm_mode_32 3
		.amdhsa_float_denorm_mode_16_64 3
		.amdhsa_dx10_clamp 1
		.amdhsa_ieee_mode 1
		.amdhsa_fp16_overflow 0
		.amdhsa_exception_fp_ieee_invalid_op 0
		.amdhsa_exception_fp_denorm_src 0
		.amdhsa_exception_fp_ieee_div_zero 0
		.amdhsa_exception_fp_ieee_overflow 0
		.amdhsa_exception_fp_ieee_underflow 0
		.amdhsa_exception_fp_ieee_inexact 0
		.amdhsa_exception_int_div_zero 0
	.end_amdhsa_kernel
	.section	.text._ZN7rocprim17ROCPRIM_400000_NS6detail17trampoline_kernelINS0_14default_configENS1_22reduce_config_selectorIN6thrust23THRUST_200600_302600_NS5tupleIblNS6_9null_typeES8_S8_S8_S8_S8_S8_S8_EEEEZNS1_11reduce_implILb1ES3_NS6_12zip_iteratorINS7_INS6_11hip_rocprim26transform_input_iterator_tIbPaNS6_6detail10functional5actorINSH_9compositeIJNSH_27transparent_binary_operatorINS6_8equal_toIvEEEENSI_INSH_8argumentILj0EEEEENSH_5valueIaEEEEEEEEENSD_19counting_iterator_tIlEES8_S8_S8_S8_S8_S8_S8_S8_EEEEPS9_S9_NSD_9__find_if7functorIS9_EEEE10hipError_tPvRmT1_T2_T3_mT4_P12ihipStream_tbEUlT_E1_NS1_11comp_targetILNS1_3genE9ELNS1_11target_archE1100ELNS1_3gpuE3ELNS1_3repE0EEENS1_30default_config_static_selectorELNS0_4arch9wavefront6targetE1EEEvS17_,"axG",@progbits,_ZN7rocprim17ROCPRIM_400000_NS6detail17trampoline_kernelINS0_14default_configENS1_22reduce_config_selectorIN6thrust23THRUST_200600_302600_NS5tupleIblNS6_9null_typeES8_S8_S8_S8_S8_S8_S8_EEEEZNS1_11reduce_implILb1ES3_NS6_12zip_iteratorINS7_INS6_11hip_rocprim26transform_input_iterator_tIbPaNS6_6detail10functional5actorINSH_9compositeIJNSH_27transparent_binary_operatorINS6_8equal_toIvEEEENSI_INSH_8argumentILj0EEEEENSH_5valueIaEEEEEEEEENSD_19counting_iterator_tIlEES8_S8_S8_S8_S8_S8_S8_S8_EEEEPS9_S9_NSD_9__find_if7functorIS9_EEEE10hipError_tPvRmT1_T2_T3_mT4_P12ihipStream_tbEUlT_E1_NS1_11comp_targetILNS1_3genE9ELNS1_11target_archE1100ELNS1_3gpuE3ELNS1_3repE0EEENS1_30default_config_static_selectorELNS0_4arch9wavefront6targetE1EEEvS17_,comdat
.Lfunc_end724:
	.size	_ZN7rocprim17ROCPRIM_400000_NS6detail17trampoline_kernelINS0_14default_configENS1_22reduce_config_selectorIN6thrust23THRUST_200600_302600_NS5tupleIblNS6_9null_typeES8_S8_S8_S8_S8_S8_S8_EEEEZNS1_11reduce_implILb1ES3_NS6_12zip_iteratorINS7_INS6_11hip_rocprim26transform_input_iterator_tIbPaNS6_6detail10functional5actorINSH_9compositeIJNSH_27transparent_binary_operatorINS6_8equal_toIvEEEENSI_INSH_8argumentILj0EEEEENSH_5valueIaEEEEEEEEENSD_19counting_iterator_tIlEES8_S8_S8_S8_S8_S8_S8_S8_EEEEPS9_S9_NSD_9__find_if7functorIS9_EEEE10hipError_tPvRmT1_T2_T3_mT4_P12ihipStream_tbEUlT_E1_NS1_11comp_targetILNS1_3genE9ELNS1_11target_archE1100ELNS1_3gpuE3ELNS1_3repE0EEENS1_30default_config_static_selectorELNS0_4arch9wavefront6targetE1EEEvS17_, .Lfunc_end724-_ZN7rocprim17ROCPRIM_400000_NS6detail17trampoline_kernelINS0_14default_configENS1_22reduce_config_selectorIN6thrust23THRUST_200600_302600_NS5tupleIblNS6_9null_typeES8_S8_S8_S8_S8_S8_S8_EEEEZNS1_11reduce_implILb1ES3_NS6_12zip_iteratorINS7_INS6_11hip_rocprim26transform_input_iterator_tIbPaNS6_6detail10functional5actorINSH_9compositeIJNSH_27transparent_binary_operatorINS6_8equal_toIvEEEENSI_INSH_8argumentILj0EEEEENSH_5valueIaEEEEEEEEENSD_19counting_iterator_tIlEES8_S8_S8_S8_S8_S8_S8_S8_EEEEPS9_S9_NSD_9__find_if7functorIS9_EEEE10hipError_tPvRmT1_T2_T3_mT4_P12ihipStream_tbEUlT_E1_NS1_11comp_targetILNS1_3genE9ELNS1_11target_archE1100ELNS1_3gpuE3ELNS1_3repE0EEENS1_30default_config_static_selectorELNS0_4arch9wavefront6targetE1EEEvS17_
                                        ; -- End function
	.set _ZN7rocprim17ROCPRIM_400000_NS6detail17trampoline_kernelINS0_14default_configENS1_22reduce_config_selectorIN6thrust23THRUST_200600_302600_NS5tupleIblNS6_9null_typeES8_S8_S8_S8_S8_S8_S8_EEEEZNS1_11reduce_implILb1ES3_NS6_12zip_iteratorINS7_INS6_11hip_rocprim26transform_input_iterator_tIbPaNS6_6detail10functional5actorINSH_9compositeIJNSH_27transparent_binary_operatorINS6_8equal_toIvEEEENSI_INSH_8argumentILj0EEEEENSH_5valueIaEEEEEEEEENSD_19counting_iterator_tIlEES8_S8_S8_S8_S8_S8_S8_S8_EEEEPS9_S9_NSD_9__find_if7functorIS9_EEEE10hipError_tPvRmT1_T2_T3_mT4_P12ihipStream_tbEUlT_E1_NS1_11comp_targetILNS1_3genE9ELNS1_11target_archE1100ELNS1_3gpuE3ELNS1_3repE0EEENS1_30default_config_static_selectorELNS0_4arch9wavefront6targetE1EEEvS17_.num_vgpr, 0
	.set _ZN7rocprim17ROCPRIM_400000_NS6detail17trampoline_kernelINS0_14default_configENS1_22reduce_config_selectorIN6thrust23THRUST_200600_302600_NS5tupleIblNS6_9null_typeES8_S8_S8_S8_S8_S8_S8_EEEEZNS1_11reduce_implILb1ES3_NS6_12zip_iteratorINS7_INS6_11hip_rocprim26transform_input_iterator_tIbPaNS6_6detail10functional5actorINSH_9compositeIJNSH_27transparent_binary_operatorINS6_8equal_toIvEEEENSI_INSH_8argumentILj0EEEEENSH_5valueIaEEEEEEEEENSD_19counting_iterator_tIlEES8_S8_S8_S8_S8_S8_S8_S8_EEEEPS9_S9_NSD_9__find_if7functorIS9_EEEE10hipError_tPvRmT1_T2_T3_mT4_P12ihipStream_tbEUlT_E1_NS1_11comp_targetILNS1_3genE9ELNS1_11target_archE1100ELNS1_3gpuE3ELNS1_3repE0EEENS1_30default_config_static_selectorELNS0_4arch9wavefront6targetE1EEEvS17_.num_agpr, 0
	.set _ZN7rocprim17ROCPRIM_400000_NS6detail17trampoline_kernelINS0_14default_configENS1_22reduce_config_selectorIN6thrust23THRUST_200600_302600_NS5tupleIblNS6_9null_typeES8_S8_S8_S8_S8_S8_S8_EEEEZNS1_11reduce_implILb1ES3_NS6_12zip_iteratorINS7_INS6_11hip_rocprim26transform_input_iterator_tIbPaNS6_6detail10functional5actorINSH_9compositeIJNSH_27transparent_binary_operatorINS6_8equal_toIvEEEENSI_INSH_8argumentILj0EEEEENSH_5valueIaEEEEEEEEENSD_19counting_iterator_tIlEES8_S8_S8_S8_S8_S8_S8_S8_EEEEPS9_S9_NSD_9__find_if7functorIS9_EEEE10hipError_tPvRmT1_T2_T3_mT4_P12ihipStream_tbEUlT_E1_NS1_11comp_targetILNS1_3genE9ELNS1_11target_archE1100ELNS1_3gpuE3ELNS1_3repE0EEENS1_30default_config_static_selectorELNS0_4arch9wavefront6targetE1EEEvS17_.numbered_sgpr, 0
	.set _ZN7rocprim17ROCPRIM_400000_NS6detail17trampoline_kernelINS0_14default_configENS1_22reduce_config_selectorIN6thrust23THRUST_200600_302600_NS5tupleIblNS6_9null_typeES8_S8_S8_S8_S8_S8_S8_EEEEZNS1_11reduce_implILb1ES3_NS6_12zip_iteratorINS7_INS6_11hip_rocprim26transform_input_iterator_tIbPaNS6_6detail10functional5actorINSH_9compositeIJNSH_27transparent_binary_operatorINS6_8equal_toIvEEEENSI_INSH_8argumentILj0EEEEENSH_5valueIaEEEEEEEEENSD_19counting_iterator_tIlEES8_S8_S8_S8_S8_S8_S8_S8_EEEEPS9_S9_NSD_9__find_if7functorIS9_EEEE10hipError_tPvRmT1_T2_T3_mT4_P12ihipStream_tbEUlT_E1_NS1_11comp_targetILNS1_3genE9ELNS1_11target_archE1100ELNS1_3gpuE3ELNS1_3repE0EEENS1_30default_config_static_selectorELNS0_4arch9wavefront6targetE1EEEvS17_.num_named_barrier, 0
	.set _ZN7rocprim17ROCPRIM_400000_NS6detail17trampoline_kernelINS0_14default_configENS1_22reduce_config_selectorIN6thrust23THRUST_200600_302600_NS5tupleIblNS6_9null_typeES8_S8_S8_S8_S8_S8_S8_EEEEZNS1_11reduce_implILb1ES3_NS6_12zip_iteratorINS7_INS6_11hip_rocprim26transform_input_iterator_tIbPaNS6_6detail10functional5actorINSH_9compositeIJNSH_27transparent_binary_operatorINS6_8equal_toIvEEEENSI_INSH_8argumentILj0EEEEENSH_5valueIaEEEEEEEEENSD_19counting_iterator_tIlEES8_S8_S8_S8_S8_S8_S8_S8_EEEEPS9_S9_NSD_9__find_if7functorIS9_EEEE10hipError_tPvRmT1_T2_T3_mT4_P12ihipStream_tbEUlT_E1_NS1_11comp_targetILNS1_3genE9ELNS1_11target_archE1100ELNS1_3gpuE3ELNS1_3repE0EEENS1_30default_config_static_selectorELNS0_4arch9wavefront6targetE1EEEvS17_.private_seg_size, 0
	.set _ZN7rocprim17ROCPRIM_400000_NS6detail17trampoline_kernelINS0_14default_configENS1_22reduce_config_selectorIN6thrust23THRUST_200600_302600_NS5tupleIblNS6_9null_typeES8_S8_S8_S8_S8_S8_S8_EEEEZNS1_11reduce_implILb1ES3_NS6_12zip_iteratorINS7_INS6_11hip_rocprim26transform_input_iterator_tIbPaNS6_6detail10functional5actorINSH_9compositeIJNSH_27transparent_binary_operatorINS6_8equal_toIvEEEENSI_INSH_8argumentILj0EEEEENSH_5valueIaEEEEEEEEENSD_19counting_iterator_tIlEES8_S8_S8_S8_S8_S8_S8_S8_EEEEPS9_S9_NSD_9__find_if7functorIS9_EEEE10hipError_tPvRmT1_T2_T3_mT4_P12ihipStream_tbEUlT_E1_NS1_11comp_targetILNS1_3genE9ELNS1_11target_archE1100ELNS1_3gpuE3ELNS1_3repE0EEENS1_30default_config_static_selectorELNS0_4arch9wavefront6targetE1EEEvS17_.uses_vcc, 0
	.set _ZN7rocprim17ROCPRIM_400000_NS6detail17trampoline_kernelINS0_14default_configENS1_22reduce_config_selectorIN6thrust23THRUST_200600_302600_NS5tupleIblNS6_9null_typeES8_S8_S8_S8_S8_S8_S8_EEEEZNS1_11reduce_implILb1ES3_NS6_12zip_iteratorINS7_INS6_11hip_rocprim26transform_input_iterator_tIbPaNS6_6detail10functional5actorINSH_9compositeIJNSH_27transparent_binary_operatorINS6_8equal_toIvEEEENSI_INSH_8argumentILj0EEEEENSH_5valueIaEEEEEEEEENSD_19counting_iterator_tIlEES8_S8_S8_S8_S8_S8_S8_S8_EEEEPS9_S9_NSD_9__find_if7functorIS9_EEEE10hipError_tPvRmT1_T2_T3_mT4_P12ihipStream_tbEUlT_E1_NS1_11comp_targetILNS1_3genE9ELNS1_11target_archE1100ELNS1_3gpuE3ELNS1_3repE0EEENS1_30default_config_static_selectorELNS0_4arch9wavefront6targetE1EEEvS17_.uses_flat_scratch, 0
	.set _ZN7rocprim17ROCPRIM_400000_NS6detail17trampoline_kernelINS0_14default_configENS1_22reduce_config_selectorIN6thrust23THRUST_200600_302600_NS5tupleIblNS6_9null_typeES8_S8_S8_S8_S8_S8_S8_EEEEZNS1_11reduce_implILb1ES3_NS6_12zip_iteratorINS7_INS6_11hip_rocprim26transform_input_iterator_tIbPaNS6_6detail10functional5actorINSH_9compositeIJNSH_27transparent_binary_operatorINS6_8equal_toIvEEEENSI_INSH_8argumentILj0EEEEENSH_5valueIaEEEEEEEEENSD_19counting_iterator_tIlEES8_S8_S8_S8_S8_S8_S8_S8_EEEEPS9_S9_NSD_9__find_if7functorIS9_EEEE10hipError_tPvRmT1_T2_T3_mT4_P12ihipStream_tbEUlT_E1_NS1_11comp_targetILNS1_3genE9ELNS1_11target_archE1100ELNS1_3gpuE3ELNS1_3repE0EEENS1_30default_config_static_selectorELNS0_4arch9wavefront6targetE1EEEvS17_.has_dyn_sized_stack, 0
	.set _ZN7rocprim17ROCPRIM_400000_NS6detail17trampoline_kernelINS0_14default_configENS1_22reduce_config_selectorIN6thrust23THRUST_200600_302600_NS5tupleIblNS6_9null_typeES8_S8_S8_S8_S8_S8_S8_EEEEZNS1_11reduce_implILb1ES3_NS6_12zip_iteratorINS7_INS6_11hip_rocprim26transform_input_iterator_tIbPaNS6_6detail10functional5actorINSH_9compositeIJNSH_27transparent_binary_operatorINS6_8equal_toIvEEEENSI_INSH_8argumentILj0EEEEENSH_5valueIaEEEEEEEEENSD_19counting_iterator_tIlEES8_S8_S8_S8_S8_S8_S8_S8_EEEEPS9_S9_NSD_9__find_if7functorIS9_EEEE10hipError_tPvRmT1_T2_T3_mT4_P12ihipStream_tbEUlT_E1_NS1_11comp_targetILNS1_3genE9ELNS1_11target_archE1100ELNS1_3gpuE3ELNS1_3repE0EEENS1_30default_config_static_selectorELNS0_4arch9wavefront6targetE1EEEvS17_.has_recursion, 0
	.set _ZN7rocprim17ROCPRIM_400000_NS6detail17trampoline_kernelINS0_14default_configENS1_22reduce_config_selectorIN6thrust23THRUST_200600_302600_NS5tupleIblNS6_9null_typeES8_S8_S8_S8_S8_S8_S8_EEEEZNS1_11reduce_implILb1ES3_NS6_12zip_iteratorINS7_INS6_11hip_rocprim26transform_input_iterator_tIbPaNS6_6detail10functional5actorINSH_9compositeIJNSH_27transparent_binary_operatorINS6_8equal_toIvEEEENSI_INSH_8argumentILj0EEEEENSH_5valueIaEEEEEEEEENSD_19counting_iterator_tIlEES8_S8_S8_S8_S8_S8_S8_S8_EEEEPS9_S9_NSD_9__find_if7functorIS9_EEEE10hipError_tPvRmT1_T2_T3_mT4_P12ihipStream_tbEUlT_E1_NS1_11comp_targetILNS1_3genE9ELNS1_11target_archE1100ELNS1_3gpuE3ELNS1_3repE0EEENS1_30default_config_static_selectorELNS0_4arch9wavefront6targetE1EEEvS17_.has_indirect_call, 0
	.section	.AMDGPU.csdata,"",@progbits
; Kernel info:
; codeLenInByte = 0
; TotalNumSgprs: 4
; NumVgprs: 0
; ScratchSize: 0
; MemoryBound: 0
; FloatMode: 240
; IeeeMode: 1
; LDSByteSize: 0 bytes/workgroup (compile time only)
; SGPRBlocks: 0
; VGPRBlocks: 0
; NumSGPRsForWavesPerEU: 4
; NumVGPRsForWavesPerEU: 1
; Occupancy: 10
; WaveLimiterHint : 0
; COMPUTE_PGM_RSRC2:SCRATCH_EN: 0
; COMPUTE_PGM_RSRC2:USER_SGPR: 6
; COMPUTE_PGM_RSRC2:TRAP_HANDLER: 0
; COMPUTE_PGM_RSRC2:TGID_X_EN: 1
; COMPUTE_PGM_RSRC2:TGID_Y_EN: 0
; COMPUTE_PGM_RSRC2:TGID_Z_EN: 0
; COMPUTE_PGM_RSRC2:TIDIG_COMP_CNT: 0
	.section	.text._ZN7rocprim17ROCPRIM_400000_NS6detail17trampoline_kernelINS0_14default_configENS1_22reduce_config_selectorIN6thrust23THRUST_200600_302600_NS5tupleIblNS6_9null_typeES8_S8_S8_S8_S8_S8_S8_EEEEZNS1_11reduce_implILb1ES3_NS6_12zip_iteratorINS7_INS6_11hip_rocprim26transform_input_iterator_tIbPaNS6_6detail10functional5actorINSH_9compositeIJNSH_27transparent_binary_operatorINS6_8equal_toIvEEEENSI_INSH_8argumentILj0EEEEENSH_5valueIaEEEEEEEEENSD_19counting_iterator_tIlEES8_S8_S8_S8_S8_S8_S8_S8_EEEEPS9_S9_NSD_9__find_if7functorIS9_EEEE10hipError_tPvRmT1_T2_T3_mT4_P12ihipStream_tbEUlT_E1_NS1_11comp_targetILNS1_3genE8ELNS1_11target_archE1030ELNS1_3gpuE2ELNS1_3repE0EEENS1_30default_config_static_selectorELNS0_4arch9wavefront6targetE1EEEvS17_,"axG",@progbits,_ZN7rocprim17ROCPRIM_400000_NS6detail17trampoline_kernelINS0_14default_configENS1_22reduce_config_selectorIN6thrust23THRUST_200600_302600_NS5tupleIblNS6_9null_typeES8_S8_S8_S8_S8_S8_S8_EEEEZNS1_11reduce_implILb1ES3_NS6_12zip_iteratorINS7_INS6_11hip_rocprim26transform_input_iterator_tIbPaNS6_6detail10functional5actorINSH_9compositeIJNSH_27transparent_binary_operatorINS6_8equal_toIvEEEENSI_INSH_8argumentILj0EEEEENSH_5valueIaEEEEEEEEENSD_19counting_iterator_tIlEES8_S8_S8_S8_S8_S8_S8_S8_EEEEPS9_S9_NSD_9__find_if7functorIS9_EEEE10hipError_tPvRmT1_T2_T3_mT4_P12ihipStream_tbEUlT_E1_NS1_11comp_targetILNS1_3genE8ELNS1_11target_archE1030ELNS1_3gpuE2ELNS1_3repE0EEENS1_30default_config_static_selectorELNS0_4arch9wavefront6targetE1EEEvS17_,comdat
	.protected	_ZN7rocprim17ROCPRIM_400000_NS6detail17trampoline_kernelINS0_14default_configENS1_22reduce_config_selectorIN6thrust23THRUST_200600_302600_NS5tupleIblNS6_9null_typeES8_S8_S8_S8_S8_S8_S8_EEEEZNS1_11reduce_implILb1ES3_NS6_12zip_iteratorINS7_INS6_11hip_rocprim26transform_input_iterator_tIbPaNS6_6detail10functional5actorINSH_9compositeIJNSH_27transparent_binary_operatorINS6_8equal_toIvEEEENSI_INSH_8argumentILj0EEEEENSH_5valueIaEEEEEEEEENSD_19counting_iterator_tIlEES8_S8_S8_S8_S8_S8_S8_S8_EEEEPS9_S9_NSD_9__find_if7functorIS9_EEEE10hipError_tPvRmT1_T2_T3_mT4_P12ihipStream_tbEUlT_E1_NS1_11comp_targetILNS1_3genE8ELNS1_11target_archE1030ELNS1_3gpuE2ELNS1_3repE0EEENS1_30default_config_static_selectorELNS0_4arch9wavefront6targetE1EEEvS17_ ; -- Begin function _ZN7rocprim17ROCPRIM_400000_NS6detail17trampoline_kernelINS0_14default_configENS1_22reduce_config_selectorIN6thrust23THRUST_200600_302600_NS5tupleIblNS6_9null_typeES8_S8_S8_S8_S8_S8_S8_EEEEZNS1_11reduce_implILb1ES3_NS6_12zip_iteratorINS7_INS6_11hip_rocprim26transform_input_iterator_tIbPaNS6_6detail10functional5actorINSH_9compositeIJNSH_27transparent_binary_operatorINS6_8equal_toIvEEEENSI_INSH_8argumentILj0EEEEENSH_5valueIaEEEEEEEEENSD_19counting_iterator_tIlEES8_S8_S8_S8_S8_S8_S8_S8_EEEEPS9_S9_NSD_9__find_if7functorIS9_EEEE10hipError_tPvRmT1_T2_T3_mT4_P12ihipStream_tbEUlT_E1_NS1_11comp_targetILNS1_3genE8ELNS1_11target_archE1030ELNS1_3gpuE2ELNS1_3repE0EEENS1_30default_config_static_selectorELNS0_4arch9wavefront6targetE1EEEvS17_
	.globl	_ZN7rocprim17ROCPRIM_400000_NS6detail17trampoline_kernelINS0_14default_configENS1_22reduce_config_selectorIN6thrust23THRUST_200600_302600_NS5tupleIblNS6_9null_typeES8_S8_S8_S8_S8_S8_S8_EEEEZNS1_11reduce_implILb1ES3_NS6_12zip_iteratorINS7_INS6_11hip_rocprim26transform_input_iterator_tIbPaNS6_6detail10functional5actorINSH_9compositeIJNSH_27transparent_binary_operatorINS6_8equal_toIvEEEENSI_INSH_8argumentILj0EEEEENSH_5valueIaEEEEEEEEENSD_19counting_iterator_tIlEES8_S8_S8_S8_S8_S8_S8_S8_EEEEPS9_S9_NSD_9__find_if7functorIS9_EEEE10hipError_tPvRmT1_T2_T3_mT4_P12ihipStream_tbEUlT_E1_NS1_11comp_targetILNS1_3genE8ELNS1_11target_archE1030ELNS1_3gpuE2ELNS1_3repE0EEENS1_30default_config_static_selectorELNS0_4arch9wavefront6targetE1EEEvS17_
	.p2align	8
	.type	_ZN7rocprim17ROCPRIM_400000_NS6detail17trampoline_kernelINS0_14default_configENS1_22reduce_config_selectorIN6thrust23THRUST_200600_302600_NS5tupleIblNS6_9null_typeES8_S8_S8_S8_S8_S8_S8_EEEEZNS1_11reduce_implILb1ES3_NS6_12zip_iteratorINS7_INS6_11hip_rocprim26transform_input_iterator_tIbPaNS6_6detail10functional5actorINSH_9compositeIJNSH_27transparent_binary_operatorINS6_8equal_toIvEEEENSI_INSH_8argumentILj0EEEEENSH_5valueIaEEEEEEEEENSD_19counting_iterator_tIlEES8_S8_S8_S8_S8_S8_S8_S8_EEEEPS9_S9_NSD_9__find_if7functorIS9_EEEE10hipError_tPvRmT1_T2_T3_mT4_P12ihipStream_tbEUlT_E1_NS1_11comp_targetILNS1_3genE8ELNS1_11target_archE1030ELNS1_3gpuE2ELNS1_3repE0EEENS1_30default_config_static_selectorELNS0_4arch9wavefront6targetE1EEEvS17_,@function
_ZN7rocprim17ROCPRIM_400000_NS6detail17trampoline_kernelINS0_14default_configENS1_22reduce_config_selectorIN6thrust23THRUST_200600_302600_NS5tupleIblNS6_9null_typeES8_S8_S8_S8_S8_S8_S8_EEEEZNS1_11reduce_implILb1ES3_NS6_12zip_iteratorINS7_INS6_11hip_rocprim26transform_input_iterator_tIbPaNS6_6detail10functional5actorINSH_9compositeIJNSH_27transparent_binary_operatorINS6_8equal_toIvEEEENSI_INSH_8argumentILj0EEEEENSH_5valueIaEEEEEEEEENSD_19counting_iterator_tIlEES8_S8_S8_S8_S8_S8_S8_S8_EEEEPS9_S9_NSD_9__find_if7functorIS9_EEEE10hipError_tPvRmT1_T2_T3_mT4_P12ihipStream_tbEUlT_E1_NS1_11comp_targetILNS1_3genE8ELNS1_11target_archE1030ELNS1_3gpuE2ELNS1_3repE0EEENS1_30default_config_static_selectorELNS0_4arch9wavefront6targetE1EEEvS17_: ; @_ZN7rocprim17ROCPRIM_400000_NS6detail17trampoline_kernelINS0_14default_configENS1_22reduce_config_selectorIN6thrust23THRUST_200600_302600_NS5tupleIblNS6_9null_typeES8_S8_S8_S8_S8_S8_S8_EEEEZNS1_11reduce_implILb1ES3_NS6_12zip_iteratorINS7_INS6_11hip_rocprim26transform_input_iterator_tIbPaNS6_6detail10functional5actorINSH_9compositeIJNSH_27transparent_binary_operatorINS6_8equal_toIvEEEENSI_INSH_8argumentILj0EEEEENSH_5valueIaEEEEEEEEENSD_19counting_iterator_tIlEES8_S8_S8_S8_S8_S8_S8_S8_EEEEPS9_S9_NSD_9__find_if7functorIS9_EEEE10hipError_tPvRmT1_T2_T3_mT4_P12ihipStream_tbEUlT_E1_NS1_11comp_targetILNS1_3genE8ELNS1_11target_archE1030ELNS1_3gpuE2ELNS1_3repE0EEENS1_30default_config_static_selectorELNS0_4arch9wavefront6targetE1EEEvS17_
; %bb.0:
	.section	.rodata,"a",@progbits
	.p2align	6, 0x0
	.amdhsa_kernel _ZN7rocprim17ROCPRIM_400000_NS6detail17trampoline_kernelINS0_14default_configENS1_22reduce_config_selectorIN6thrust23THRUST_200600_302600_NS5tupleIblNS6_9null_typeES8_S8_S8_S8_S8_S8_S8_EEEEZNS1_11reduce_implILb1ES3_NS6_12zip_iteratorINS7_INS6_11hip_rocprim26transform_input_iterator_tIbPaNS6_6detail10functional5actorINSH_9compositeIJNSH_27transparent_binary_operatorINS6_8equal_toIvEEEENSI_INSH_8argumentILj0EEEEENSH_5valueIaEEEEEEEEENSD_19counting_iterator_tIlEES8_S8_S8_S8_S8_S8_S8_S8_EEEEPS9_S9_NSD_9__find_if7functorIS9_EEEE10hipError_tPvRmT1_T2_T3_mT4_P12ihipStream_tbEUlT_E1_NS1_11comp_targetILNS1_3genE8ELNS1_11target_archE1030ELNS1_3gpuE2ELNS1_3repE0EEENS1_30default_config_static_selectorELNS0_4arch9wavefront6targetE1EEEvS17_
		.amdhsa_group_segment_fixed_size 0
		.amdhsa_private_segment_fixed_size 0
		.amdhsa_kernarg_size 72
		.amdhsa_user_sgpr_count 6
		.amdhsa_user_sgpr_private_segment_buffer 1
		.amdhsa_user_sgpr_dispatch_ptr 0
		.amdhsa_user_sgpr_queue_ptr 0
		.amdhsa_user_sgpr_kernarg_segment_ptr 1
		.amdhsa_user_sgpr_dispatch_id 0
		.amdhsa_user_sgpr_flat_scratch_init 0
		.amdhsa_user_sgpr_private_segment_size 0
		.amdhsa_uses_dynamic_stack 0
		.amdhsa_system_sgpr_private_segment_wavefront_offset 0
		.amdhsa_system_sgpr_workgroup_id_x 1
		.amdhsa_system_sgpr_workgroup_id_y 0
		.amdhsa_system_sgpr_workgroup_id_z 0
		.amdhsa_system_sgpr_workgroup_info 0
		.amdhsa_system_vgpr_workitem_id 0
		.amdhsa_next_free_vgpr 1
		.amdhsa_next_free_sgpr 0
		.amdhsa_reserve_vcc 0
		.amdhsa_reserve_flat_scratch 0
		.amdhsa_float_round_mode_32 0
		.amdhsa_float_round_mode_16_64 0
		.amdhsa_float_denorm_mode_32 3
		.amdhsa_float_denorm_mode_16_64 3
		.amdhsa_dx10_clamp 1
		.amdhsa_ieee_mode 1
		.amdhsa_fp16_overflow 0
		.amdhsa_exception_fp_ieee_invalid_op 0
		.amdhsa_exception_fp_denorm_src 0
		.amdhsa_exception_fp_ieee_div_zero 0
		.amdhsa_exception_fp_ieee_overflow 0
		.amdhsa_exception_fp_ieee_underflow 0
		.amdhsa_exception_fp_ieee_inexact 0
		.amdhsa_exception_int_div_zero 0
	.end_amdhsa_kernel
	.section	.text._ZN7rocprim17ROCPRIM_400000_NS6detail17trampoline_kernelINS0_14default_configENS1_22reduce_config_selectorIN6thrust23THRUST_200600_302600_NS5tupleIblNS6_9null_typeES8_S8_S8_S8_S8_S8_S8_EEEEZNS1_11reduce_implILb1ES3_NS6_12zip_iteratorINS7_INS6_11hip_rocprim26transform_input_iterator_tIbPaNS6_6detail10functional5actorINSH_9compositeIJNSH_27transparent_binary_operatorINS6_8equal_toIvEEEENSI_INSH_8argumentILj0EEEEENSH_5valueIaEEEEEEEEENSD_19counting_iterator_tIlEES8_S8_S8_S8_S8_S8_S8_S8_EEEEPS9_S9_NSD_9__find_if7functorIS9_EEEE10hipError_tPvRmT1_T2_T3_mT4_P12ihipStream_tbEUlT_E1_NS1_11comp_targetILNS1_3genE8ELNS1_11target_archE1030ELNS1_3gpuE2ELNS1_3repE0EEENS1_30default_config_static_selectorELNS0_4arch9wavefront6targetE1EEEvS17_,"axG",@progbits,_ZN7rocprim17ROCPRIM_400000_NS6detail17trampoline_kernelINS0_14default_configENS1_22reduce_config_selectorIN6thrust23THRUST_200600_302600_NS5tupleIblNS6_9null_typeES8_S8_S8_S8_S8_S8_S8_EEEEZNS1_11reduce_implILb1ES3_NS6_12zip_iteratorINS7_INS6_11hip_rocprim26transform_input_iterator_tIbPaNS6_6detail10functional5actorINSH_9compositeIJNSH_27transparent_binary_operatorINS6_8equal_toIvEEEENSI_INSH_8argumentILj0EEEEENSH_5valueIaEEEEEEEEENSD_19counting_iterator_tIlEES8_S8_S8_S8_S8_S8_S8_S8_EEEEPS9_S9_NSD_9__find_if7functorIS9_EEEE10hipError_tPvRmT1_T2_T3_mT4_P12ihipStream_tbEUlT_E1_NS1_11comp_targetILNS1_3genE8ELNS1_11target_archE1030ELNS1_3gpuE2ELNS1_3repE0EEENS1_30default_config_static_selectorELNS0_4arch9wavefront6targetE1EEEvS17_,comdat
.Lfunc_end725:
	.size	_ZN7rocprim17ROCPRIM_400000_NS6detail17trampoline_kernelINS0_14default_configENS1_22reduce_config_selectorIN6thrust23THRUST_200600_302600_NS5tupleIblNS6_9null_typeES8_S8_S8_S8_S8_S8_S8_EEEEZNS1_11reduce_implILb1ES3_NS6_12zip_iteratorINS7_INS6_11hip_rocprim26transform_input_iterator_tIbPaNS6_6detail10functional5actorINSH_9compositeIJNSH_27transparent_binary_operatorINS6_8equal_toIvEEEENSI_INSH_8argumentILj0EEEEENSH_5valueIaEEEEEEEEENSD_19counting_iterator_tIlEES8_S8_S8_S8_S8_S8_S8_S8_EEEEPS9_S9_NSD_9__find_if7functorIS9_EEEE10hipError_tPvRmT1_T2_T3_mT4_P12ihipStream_tbEUlT_E1_NS1_11comp_targetILNS1_3genE8ELNS1_11target_archE1030ELNS1_3gpuE2ELNS1_3repE0EEENS1_30default_config_static_selectorELNS0_4arch9wavefront6targetE1EEEvS17_, .Lfunc_end725-_ZN7rocprim17ROCPRIM_400000_NS6detail17trampoline_kernelINS0_14default_configENS1_22reduce_config_selectorIN6thrust23THRUST_200600_302600_NS5tupleIblNS6_9null_typeES8_S8_S8_S8_S8_S8_S8_EEEEZNS1_11reduce_implILb1ES3_NS6_12zip_iteratorINS7_INS6_11hip_rocprim26transform_input_iterator_tIbPaNS6_6detail10functional5actorINSH_9compositeIJNSH_27transparent_binary_operatorINS6_8equal_toIvEEEENSI_INSH_8argumentILj0EEEEENSH_5valueIaEEEEEEEEENSD_19counting_iterator_tIlEES8_S8_S8_S8_S8_S8_S8_S8_EEEEPS9_S9_NSD_9__find_if7functorIS9_EEEE10hipError_tPvRmT1_T2_T3_mT4_P12ihipStream_tbEUlT_E1_NS1_11comp_targetILNS1_3genE8ELNS1_11target_archE1030ELNS1_3gpuE2ELNS1_3repE0EEENS1_30default_config_static_selectorELNS0_4arch9wavefront6targetE1EEEvS17_
                                        ; -- End function
	.set _ZN7rocprim17ROCPRIM_400000_NS6detail17trampoline_kernelINS0_14default_configENS1_22reduce_config_selectorIN6thrust23THRUST_200600_302600_NS5tupleIblNS6_9null_typeES8_S8_S8_S8_S8_S8_S8_EEEEZNS1_11reduce_implILb1ES3_NS6_12zip_iteratorINS7_INS6_11hip_rocprim26transform_input_iterator_tIbPaNS6_6detail10functional5actorINSH_9compositeIJNSH_27transparent_binary_operatorINS6_8equal_toIvEEEENSI_INSH_8argumentILj0EEEEENSH_5valueIaEEEEEEEEENSD_19counting_iterator_tIlEES8_S8_S8_S8_S8_S8_S8_S8_EEEEPS9_S9_NSD_9__find_if7functorIS9_EEEE10hipError_tPvRmT1_T2_T3_mT4_P12ihipStream_tbEUlT_E1_NS1_11comp_targetILNS1_3genE8ELNS1_11target_archE1030ELNS1_3gpuE2ELNS1_3repE0EEENS1_30default_config_static_selectorELNS0_4arch9wavefront6targetE1EEEvS17_.num_vgpr, 0
	.set _ZN7rocprim17ROCPRIM_400000_NS6detail17trampoline_kernelINS0_14default_configENS1_22reduce_config_selectorIN6thrust23THRUST_200600_302600_NS5tupleIblNS6_9null_typeES8_S8_S8_S8_S8_S8_S8_EEEEZNS1_11reduce_implILb1ES3_NS6_12zip_iteratorINS7_INS6_11hip_rocprim26transform_input_iterator_tIbPaNS6_6detail10functional5actorINSH_9compositeIJNSH_27transparent_binary_operatorINS6_8equal_toIvEEEENSI_INSH_8argumentILj0EEEEENSH_5valueIaEEEEEEEEENSD_19counting_iterator_tIlEES8_S8_S8_S8_S8_S8_S8_S8_EEEEPS9_S9_NSD_9__find_if7functorIS9_EEEE10hipError_tPvRmT1_T2_T3_mT4_P12ihipStream_tbEUlT_E1_NS1_11comp_targetILNS1_3genE8ELNS1_11target_archE1030ELNS1_3gpuE2ELNS1_3repE0EEENS1_30default_config_static_selectorELNS0_4arch9wavefront6targetE1EEEvS17_.num_agpr, 0
	.set _ZN7rocprim17ROCPRIM_400000_NS6detail17trampoline_kernelINS0_14default_configENS1_22reduce_config_selectorIN6thrust23THRUST_200600_302600_NS5tupleIblNS6_9null_typeES8_S8_S8_S8_S8_S8_S8_EEEEZNS1_11reduce_implILb1ES3_NS6_12zip_iteratorINS7_INS6_11hip_rocprim26transform_input_iterator_tIbPaNS6_6detail10functional5actorINSH_9compositeIJNSH_27transparent_binary_operatorINS6_8equal_toIvEEEENSI_INSH_8argumentILj0EEEEENSH_5valueIaEEEEEEEEENSD_19counting_iterator_tIlEES8_S8_S8_S8_S8_S8_S8_S8_EEEEPS9_S9_NSD_9__find_if7functorIS9_EEEE10hipError_tPvRmT1_T2_T3_mT4_P12ihipStream_tbEUlT_E1_NS1_11comp_targetILNS1_3genE8ELNS1_11target_archE1030ELNS1_3gpuE2ELNS1_3repE0EEENS1_30default_config_static_selectorELNS0_4arch9wavefront6targetE1EEEvS17_.numbered_sgpr, 0
	.set _ZN7rocprim17ROCPRIM_400000_NS6detail17trampoline_kernelINS0_14default_configENS1_22reduce_config_selectorIN6thrust23THRUST_200600_302600_NS5tupleIblNS6_9null_typeES8_S8_S8_S8_S8_S8_S8_EEEEZNS1_11reduce_implILb1ES3_NS6_12zip_iteratorINS7_INS6_11hip_rocprim26transform_input_iterator_tIbPaNS6_6detail10functional5actorINSH_9compositeIJNSH_27transparent_binary_operatorINS6_8equal_toIvEEEENSI_INSH_8argumentILj0EEEEENSH_5valueIaEEEEEEEEENSD_19counting_iterator_tIlEES8_S8_S8_S8_S8_S8_S8_S8_EEEEPS9_S9_NSD_9__find_if7functorIS9_EEEE10hipError_tPvRmT1_T2_T3_mT4_P12ihipStream_tbEUlT_E1_NS1_11comp_targetILNS1_3genE8ELNS1_11target_archE1030ELNS1_3gpuE2ELNS1_3repE0EEENS1_30default_config_static_selectorELNS0_4arch9wavefront6targetE1EEEvS17_.num_named_barrier, 0
	.set _ZN7rocprim17ROCPRIM_400000_NS6detail17trampoline_kernelINS0_14default_configENS1_22reduce_config_selectorIN6thrust23THRUST_200600_302600_NS5tupleIblNS6_9null_typeES8_S8_S8_S8_S8_S8_S8_EEEEZNS1_11reduce_implILb1ES3_NS6_12zip_iteratorINS7_INS6_11hip_rocprim26transform_input_iterator_tIbPaNS6_6detail10functional5actorINSH_9compositeIJNSH_27transparent_binary_operatorINS6_8equal_toIvEEEENSI_INSH_8argumentILj0EEEEENSH_5valueIaEEEEEEEEENSD_19counting_iterator_tIlEES8_S8_S8_S8_S8_S8_S8_S8_EEEEPS9_S9_NSD_9__find_if7functorIS9_EEEE10hipError_tPvRmT1_T2_T3_mT4_P12ihipStream_tbEUlT_E1_NS1_11comp_targetILNS1_3genE8ELNS1_11target_archE1030ELNS1_3gpuE2ELNS1_3repE0EEENS1_30default_config_static_selectorELNS0_4arch9wavefront6targetE1EEEvS17_.private_seg_size, 0
	.set _ZN7rocprim17ROCPRIM_400000_NS6detail17trampoline_kernelINS0_14default_configENS1_22reduce_config_selectorIN6thrust23THRUST_200600_302600_NS5tupleIblNS6_9null_typeES8_S8_S8_S8_S8_S8_S8_EEEEZNS1_11reduce_implILb1ES3_NS6_12zip_iteratorINS7_INS6_11hip_rocprim26transform_input_iterator_tIbPaNS6_6detail10functional5actorINSH_9compositeIJNSH_27transparent_binary_operatorINS6_8equal_toIvEEEENSI_INSH_8argumentILj0EEEEENSH_5valueIaEEEEEEEEENSD_19counting_iterator_tIlEES8_S8_S8_S8_S8_S8_S8_S8_EEEEPS9_S9_NSD_9__find_if7functorIS9_EEEE10hipError_tPvRmT1_T2_T3_mT4_P12ihipStream_tbEUlT_E1_NS1_11comp_targetILNS1_3genE8ELNS1_11target_archE1030ELNS1_3gpuE2ELNS1_3repE0EEENS1_30default_config_static_selectorELNS0_4arch9wavefront6targetE1EEEvS17_.uses_vcc, 0
	.set _ZN7rocprim17ROCPRIM_400000_NS6detail17trampoline_kernelINS0_14default_configENS1_22reduce_config_selectorIN6thrust23THRUST_200600_302600_NS5tupleIblNS6_9null_typeES8_S8_S8_S8_S8_S8_S8_EEEEZNS1_11reduce_implILb1ES3_NS6_12zip_iteratorINS7_INS6_11hip_rocprim26transform_input_iterator_tIbPaNS6_6detail10functional5actorINSH_9compositeIJNSH_27transparent_binary_operatorINS6_8equal_toIvEEEENSI_INSH_8argumentILj0EEEEENSH_5valueIaEEEEEEEEENSD_19counting_iterator_tIlEES8_S8_S8_S8_S8_S8_S8_S8_EEEEPS9_S9_NSD_9__find_if7functorIS9_EEEE10hipError_tPvRmT1_T2_T3_mT4_P12ihipStream_tbEUlT_E1_NS1_11comp_targetILNS1_3genE8ELNS1_11target_archE1030ELNS1_3gpuE2ELNS1_3repE0EEENS1_30default_config_static_selectorELNS0_4arch9wavefront6targetE1EEEvS17_.uses_flat_scratch, 0
	.set _ZN7rocprim17ROCPRIM_400000_NS6detail17trampoline_kernelINS0_14default_configENS1_22reduce_config_selectorIN6thrust23THRUST_200600_302600_NS5tupleIblNS6_9null_typeES8_S8_S8_S8_S8_S8_S8_EEEEZNS1_11reduce_implILb1ES3_NS6_12zip_iteratorINS7_INS6_11hip_rocprim26transform_input_iterator_tIbPaNS6_6detail10functional5actorINSH_9compositeIJNSH_27transparent_binary_operatorINS6_8equal_toIvEEEENSI_INSH_8argumentILj0EEEEENSH_5valueIaEEEEEEEEENSD_19counting_iterator_tIlEES8_S8_S8_S8_S8_S8_S8_S8_EEEEPS9_S9_NSD_9__find_if7functorIS9_EEEE10hipError_tPvRmT1_T2_T3_mT4_P12ihipStream_tbEUlT_E1_NS1_11comp_targetILNS1_3genE8ELNS1_11target_archE1030ELNS1_3gpuE2ELNS1_3repE0EEENS1_30default_config_static_selectorELNS0_4arch9wavefront6targetE1EEEvS17_.has_dyn_sized_stack, 0
	.set _ZN7rocprim17ROCPRIM_400000_NS6detail17trampoline_kernelINS0_14default_configENS1_22reduce_config_selectorIN6thrust23THRUST_200600_302600_NS5tupleIblNS6_9null_typeES8_S8_S8_S8_S8_S8_S8_EEEEZNS1_11reduce_implILb1ES3_NS6_12zip_iteratorINS7_INS6_11hip_rocprim26transform_input_iterator_tIbPaNS6_6detail10functional5actorINSH_9compositeIJNSH_27transparent_binary_operatorINS6_8equal_toIvEEEENSI_INSH_8argumentILj0EEEEENSH_5valueIaEEEEEEEEENSD_19counting_iterator_tIlEES8_S8_S8_S8_S8_S8_S8_S8_EEEEPS9_S9_NSD_9__find_if7functorIS9_EEEE10hipError_tPvRmT1_T2_T3_mT4_P12ihipStream_tbEUlT_E1_NS1_11comp_targetILNS1_3genE8ELNS1_11target_archE1030ELNS1_3gpuE2ELNS1_3repE0EEENS1_30default_config_static_selectorELNS0_4arch9wavefront6targetE1EEEvS17_.has_recursion, 0
	.set _ZN7rocprim17ROCPRIM_400000_NS6detail17trampoline_kernelINS0_14default_configENS1_22reduce_config_selectorIN6thrust23THRUST_200600_302600_NS5tupleIblNS6_9null_typeES8_S8_S8_S8_S8_S8_S8_EEEEZNS1_11reduce_implILb1ES3_NS6_12zip_iteratorINS7_INS6_11hip_rocprim26transform_input_iterator_tIbPaNS6_6detail10functional5actorINSH_9compositeIJNSH_27transparent_binary_operatorINS6_8equal_toIvEEEENSI_INSH_8argumentILj0EEEEENSH_5valueIaEEEEEEEEENSD_19counting_iterator_tIlEES8_S8_S8_S8_S8_S8_S8_S8_EEEEPS9_S9_NSD_9__find_if7functorIS9_EEEE10hipError_tPvRmT1_T2_T3_mT4_P12ihipStream_tbEUlT_E1_NS1_11comp_targetILNS1_3genE8ELNS1_11target_archE1030ELNS1_3gpuE2ELNS1_3repE0EEENS1_30default_config_static_selectorELNS0_4arch9wavefront6targetE1EEEvS17_.has_indirect_call, 0
	.section	.AMDGPU.csdata,"",@progbits
; Kernel info:
; codeLenInByte = 0
; TotalNumSgprs: 4
; NumVgprs: 0
; ScratchSize: 0
; MemoryBound: 0
; FloatMode: 240
; IeeeMode: 1
; LDSByteSize: 0 bytes/workgroup (compile time only)
; SGPRBlocks: 0
; VGPRBlocks: 0
; NumSGPRsForWavesPerEU: 4
; NumVGPRsForWavesPerEU: 1
; Occupancy: 10
; WaveLimiterHint : 0
; COMPUTE_PGM_RSRC2:SCRATCH_EN: 0
; COMPUTE_PGM_RSRC2:USER_SGPR: 6
; COMPUTE_PGM_RSRC2:TRAP_HANDLER: 0
; COMPUTE_PGM_RSRC2:TGID_X_EN: 1
; COMPUTE_PGM_RSRC2:TGID_Y_EN: 0
; COMPUTE_PGM_RSRC2:TGID_Z_EN: 0
; COMPUTE_PGM_RSRC2:TIDIG_COMP_CNT: 0
	.section	.text._ZN7rocprim17ROCPRIM_400000_NS6detail17trampoline_kernelINS0_13kernel_configILj256ELj4ELj4294967295EEENS1_37radix_sort_block_sort_config_selectorIilEEZNS1_21radix_sort_block_sortIS4_Lb0EPiS8_N6thrust23THRUST_200600_302600_NS10device_ptrIlEESC_NS0_19identity_decomposerEEE10hipError_tT1_T2_T3_T4_jRjT5_jjP12ihipStream_tbEUlT_E_NS1_11comp_targetILNS1_3genE0ELNS1_11target_archE4294967295ELNS1_3gpuE0ELNS1_3repE0EEENS1_44radix_sort_block_sort_config_static_selectorELNS0_4arch9wavefront6targetE1EEEvSF_,"axG",@progbits,_ZN7rocprim17ROCPRIM_400000_NS6detail17trampoline_kernelINS0_13kernel_configILj256ELj4ELj4294967295EEENS1_37radix_sort_block_sort_config_selectorIilEEZNS1_21radix_sort_block_sortIS4_Lb0EPiS8_N6thrust23THRUST_200600_302600_NS10device_ptrIlEESC_NS0_19identity_decomposerEEE10hipError_tT1_T2_T3_T4_jRjT5_jjP12ihipStream_tbEUlT_E_NS1_11comp_targetILNS1_3genE0ELNS1_11target_archE4294967295ELNS1_3gpuE0ELNS1_3repE0EEENS1_44radix_sort_block_sort_config_static_selectorELNS0_4arch9wavefront6targetE1EEEvSF_,comdat
	.protected	_ZN7rocprim17ROCPRIM_400000_NS6detail17trampoline_kernelINS0_13kernel_configILj256ELj4ELj4294967295EEENS1_37radix_sort_block_sort_config_selectorIilEEZNS1_21radix_sort_block_sortIS4_Lb0EPiS8_N6thrust23THRUST_200600_302600_NS10device_ptrIlEESC_NS0_19identity_decomposerEEE10hipError_tT1_T2_T3_T4_jRjT5_jjP12ihipStream_tbEUlT_E_NS1_11comp_targetILNS1_3genE0ELNS1_11target_archE4294967295ELNS1_3gpuE0ELNS1_3repE0EEENS1_44radix_sort_block_sort_config_static_selectorELNS0_4arch9wavefront6targetE1EEEvSF_ ; -- Begin function _ZN7rocprim17ROCPRIM_400000_NS6detail17trampoline_kernelINS0_13kernel_configILj256ELj4ELj4294967295EEENS1_37radix_sort_block_sort_config_selectorIilEEZNS1_21radix_sort_block_sortIS4_Lb0EPiS8_N6thrust23THRUST_200600_302600_NS10device_ptrIlEESC_NS0_19identity_decomposerEEE10hipError_tT1_T2_T3_T4_jRjT5_jjP12ihipStream_tbEUlT_E_NS1_11comp_targetILNS1_3genE0ELNS1_11target_archE4294967295ELNS1_3gpuE0ELNS1_3repE0EEENS1_44radix_sort_block_sort_config_static_selectorELNS0_4arch9wavefront6targetE1EEEvSF_
	.globl	_ZN7rocprim17ROCPRIM_400000_NS6detail17trampoline_kernelINS0_13kernel_configILj256ELj4ELj4294967295EEENS1_37radix_sort_block_sort_config_selectorIilEEZNS1_21radix_sort_block_sortIS4_Lb0EPiS8_N6thrust23THRUST_200600_302600_NS10device_ptrIlEESC_NS0_19identity_decomposerEEE10hipError_tT1_T2_T3_T4_jRjT5_jjP12ihipStream_tbEUlT_E_NS1_11comp_targetILNS1_3genE0ELNS1_11target_archE4294967295ELNS1_3gpuE0ELNS1_3repE0EEENS1_44radix_sort_block_sort_config_static_selectorELNS0_4arch9wavefront6targetE1EEEvSF_
	.p2align	8
	.type	_ZN7rocprim17ROCPRIM_400000_NS6detail17trampoline_kernelINS0_13kernel_configILj256ELj4ELj4294967295EEENS1_37radix_sort_block_sort_config_selectorIilEEZNS1_21radix_sort_block_sortIS4_Lb0EPiS8_N6thrust23THRUST_200600_302600_NS10device_ptrIlEESC_NS0_19identity_decomposerEEE10hipError_tT1_T2_T3_T4_jRjT5_jjP12ihipStream_tbEUlT_E_NS1_11comp_targetILNS1_3genE0ELNS1_11target_archE4294967295ELNS1_3gpuE0ELNS1_3repE0EEENS1_44radix_sort_block_sort_config_static_selectorELNS0_4arch9wavefront6targetE1EEEvSF_,@function
_ZN7rocprim17ROCPRIM_400000_NS6detail17trampoline_kernelINS0_13kernel_configILj256ELj4ELj4294967295EEENS1_37radix_sort_block_sort_config_selectorIilEEZNS1_21radix_sort_block_sortIS4_Lb0EPiS8_N6thrust23THRUST_200600_302600_NS10device_ptrIlEESC_NS0_19identity_decomposerEEE10hipError_tT1_T2_T3_T4_jRjT5_jjP12ihipStream_tbEUlT_E_NS1_11comp_targetILNS1_3genE0ELNS1_11target_archE4294967295ELNS1_3gpuE0ELNS1_3repE0EEENS1_44radix_sort_block_sort_config_static_selectorELNS0_4arch9wavefront6targetE1EEEvSF_: ; @_ZN7rocprim17ROCPRIM_400000_NS6detail17trampoline_kernelINS0_13kernel_configILj256ELj4ELj4294967295EEENS1_37radix_sort_block_sort_config_selectorIilEEZNS1_21radix_sort_block_sortIS4_Lb0EPiS8_N6thrust23THRUST_200600_302600_NS10device_ptrIlEESC_NS0_19identity_decomposerEEE10hipError_tT1_T2_T3_T4_jRjT5_jjP12ihipStream_tbEUlT_E_NS1_11comp_targetILNS1_3genE0ELNS1_11target_archE4294967295ELNS1_3gpuE0ELNS1_3repE0EEENS1_44radix_sort_block_sort_config_static_selectorELNS0_4arch9wavefront6targetE1EEEvSF_
; %bb.0:
	.section	.rodata,"a",@progbits
	.p2align	6, 0x0
	.amdhsa_kernel _ZN7rocprim17ROCPRIM_400000_NS6detail17trampoline_kernelINS0_13kernel_configILj256ELj4ELj4294967295EEENS1_37radix_sort_block_sort_config_selectorIilEEZNS1_21radix_sort_block_sortIS4_Lb0EPiS8_N6thrust23THRUST_200600_302600_NS10device_ptrIlEESC_NS0_19identity_decomposerEEE10hipError_tT1_T2_T3_T4_jRjT5_jjP12ihipStream_tbEUlT_E_NS1_11comp_targetILNS1_3genE0ELNS1_11target_archE4294967295ELNS1_3gpuE0ELNS1_3repE0EEENS1_44radix_sort_block_sort_config_static_selectorELNS0_4arch9wavefront6targetE1EEEvSF_
		.amdhsa_group_segment_fixed_size 0
		.amdhsa_private_segment_fixed_size 0
		.amdhsa_kernarg_size 48
		.amdhsa_user_sgpr_count 6
		.amdhsa_user_sgpr_private_segment_buffer 1
		.amdhsa_user_sgpr_dispatch_ptr 0
		.amdhsa_user_sgpr_queue_ptr 0
		.amdhsa_user_sgpr_kernarg_segment_ptr 1
		.amdhsa_user_sgpr_dispatch_id 0
		.amdhsa_user_sgpr_flat_scratch_init 0
		.amdhsa_user_sgpr_private_segment_size 0
		.amdhsa_uses_dynamic_stack 0
		.amdhsa_system_sgpr_private_segment_wavefront_offset 0
		.amdhsa_system_sgpr_workgroup_id_x 1
		.amdhsa_system_sgpr_workgroup_id_y 0
		.amdhsa_system_sgpr_workgroup_id_z 0
		.amdhsa_system_sgpr_workgroup_info 0
		.amdhsa_system_vgpr_workitem_id 0
		.amdhsa_next_free_vgpr 1
		.amdhsa_next_free_sgpr 0
		.amdhsa_reserve_vcc 0
		.amdhsa_reserve_flat_scratch 0
		.amdhsa_float_round_mode_32 0
		.amdhsa_float_round_mode_16_64 0
		.amdhsa_float_denorm_mode_32 3
		.amdhsa_float_denorm_mode_16_64 3
		.amdhsa_dx10_clamp 1
		.amdhsa_ieee_mode 1
		.amdhsa_fp16_overflow 0
		.amdhsa_exception_fp_ieee_invalid_op 0
		.amdhsa_exception_fp_denorm_src 0
		.amdhsa_exception_fp_ieee_div_zero 0
		.amdhsa_exception_fp_ieee_overflow 0
		.amdhsa_exception_fp_ieee_underflow 0
		.amdhsa_exception_fp_ieee_inexact 0
		.amdhsa_exception_int_div_zero 0
	.end_amdhsa_kernel
	.section	.text._ZN7rocprim17ROCPRIM_400000_NS6detail17trampoline_kernelINS0_13kernel_configILj256ELj4ELj4294967295EEENS1_37radix_sort_block_sort_config_selectorIilEEZNS1_21radix_sort_block_sortIS4_Lb0EPiS8_N6thrust23THRUST_200600_302600_NS10device_ptrIlEESC_NS0_19identity_decomposerEEE10hipError_tT1_T2_T3_T4_jRjT5_jjP12ihipStream_tbEUlT_E_NS1_11comp_targetILNS1_3genE0ELNS1_11target_archE4294967295ELNS1_3gpuE0ELNS1_3repE0EEENS1_44radix_sort_block_sort_config_static_selectorELNS0_4arch9wavefront6targetE1EEEvSF_,"axG",@progbits,_ZN7rocprim17ROCPRIM_400000_NS6detail17trampoline_kernelINS0_13kernel_configILj256ELj4ELj4294967295EEENS1_37radix_sort_block_sort_config_selectorIilEEZNS1_21radix_sort_block_sortIS4_Lb0EPiS8_N6thrust23THRUST_200600_302600_NS10device_ptrIlEESC_NS0_19identity_decomposerEEE10hipError_tT1_T2_T3_T4_jRjT5_jjP12ihipStream_tbEUlT_E_NS1_11comp_targetILNS1_3genE0ELNS1_11target_archE4294967295ELNS1_3gpuE0ELNS1_3repE0EEENS1_44radix_sort_block_sort_config_static_selectorELNS0_4arch9wavefront6targetE1EEEvSF_,comdat
.Lfunc_end726:
	.size	_ZN7rocprim17ROCPRIM_400000_NS6detail17trampoline_kernelINS0_13kernel_configILj256ELj4ELj4294967295EEENS1_37radix_sort_block_sort_config_selectorIilEEZNS1_21radix_sort_block_sortIS4_Lb0EPiS8_N6thrust23THRUST_200600_302600_NS10device_ptrIlEESC_NS0_19identity_decomposerEEE10hipError_tT1_T2_T3_T4_jRjT5_jjP12ihipStream_tbEUlT_E_NS1_11comp_targetILNS1_3genE0ELNS1_11target_archE4294967295ELNS1_3gpuE0ELNS1_3repE0EEENS1_44radix_sort_block_sort_config_static_selectorELNS0_4arch9wavefront6targetE1EEEvSF_, .Lfunc_end726-_ZN7rocprim17ROCPRIM_400000_NS6detail17trampoline_kernelINS0_13kernel_configILj256ELj4ELj4294967295EEENS1_37radix_sort_block_sort_config_selectorIilEEZNS1_21radix_sort_block_sortIS4_Lb0EPiS8_N6thrust23THRUST_200600_302600_NS10device_ptrIlEESC_NS0_19identity_decomposerEEE10hipError_tT1_T2_T3_T4_jRjT5_jjP12ihipStream_tbEUlT_E_NS1_11comp_targetILNS1_3genE0ELNS1_11target_archE4294967295ELNS1_3gpuE0ELNS1_3repE0EEENS1_44radix_sort_block_sort_config_static_selectorELNS0_4arch9wavefront6targetE1EEEvSF_
                                        ; -- End function
	.set _ZN7rocprim17ROCPRIM_400000_NS6detail17trampoline_kernelINS0_13kernel_configILj256ELj4ELj4294967295EEENS1_37radix_sort_block_sort_config_selectorIilEEZNS1_21radix_sort_block_sortIS4_Lb0EPiS8_N6thrust23THRUST_200600_302600_NS10device_ptrIlEESC_NS0_19identity_decomposerEEE10hipError_tT1_T2_T3_T4_jRjT5_jjP12ihipStream_tbEUlT_E_NS1_11comp_targetILNS1_3genE0ELNS1_11target_archE4294967295ELNS1_3gpuE0ELNS1_3repE0EEENS1_44radix_sort_block_sort_config_static_selectorELNS0_4arch9wavefront6targetE1EEEvSF_.num_vgpr, 0
	.set _ZN7rocprim17ROCPRIM_400000_NS6detail17trampoline_kernelINS0_13kernel_configILj256ELj4ELj4294967295EEENS1_37radix_sort_block_sort_config_selectorIilEEZNS1_21radix_sort_block_sortIS4_Lb0EPiS8_N6thrust23THRUST_200600_302600_NS10device_ptrIlEESC_NS0_19identity_decomposerEEE10hipError_tT1_T2_T3_T4_jRjT5_jjP12ihipStream_tbEUlT_E_NS1_11comp_targetILNS1_3genE0ELNS1_11target_archE4294967295ELNS1_3gpuE0ELNS1_3repE0EEENS1_44radix_sort_block_sort_config_static_selectorELNS0_4arch9wavefront6targetE1EEEvSF_.num_agpr, 0
	.set _ZN7rocprim17ROCPRIM_400000_NS6detail17trampoline_kernelINS0_13kernel_configILj256ELj4ELj4294967295EEENS1_37radix_sort_block_sort_config_selectorIilEEZNS1_21radix_sort_block_sortIS4_Lb0EPiS8_N6thrust23THRUST_200600_302600_NS10device_ptrIlEESC_NS0_19identity_decomposerEEE10hipError_tT1_T2_T3_T4_jRjT5_jjP12ihipStream_tbEUlT_E_NS1_11comp_targetILNS1_3genE0ELNS1_11target_archE4294967295ELNS1_3gpuE0ELNS1_3repE0EEENS1_44radix_sort_block_sort_config_static_selectorELNS0_4arch9wavefront6targetE1EEEvSF_.numbered_sgpr, 0
	.set _ZN7rocprim17ROCPRIM_400000_NS6detail17trampoline_kernelINS0_13kernel_configILj256ELj4ELj4294967295EEENS1_37radix_sort_block_sort_config_selectorIilEEZNS1_21radix_sort_block_sortIS4_Lb0EPiS8_N6thrust23THRUST_200600_302600_NS10device_ptrIlEESC_NS0_19identity_decomposerEEE10hipError_tT1_T2_T3_T4_jRjT5_jjP12ihipStream_tbEUlT_E_NS1_11comp_targetILNS1_3genE0ELNS1_11target_archE4294967295ELNS1_3gpuE0ELNS1_3repE0EEENS1_44radix_sort_block_sort_config_static_selectorELNS0_4arch9wavefront6targetE1EEEvSF_.num_named_barrier, 0
	.set _ZN7rocprim17ROCPRIM_400000_NS6detail17trampoline_kernelINS0_13kernel_configILj256ELj4ELj4294967295EEENS1_37radix_sort_block_sort_config_selectorIilEEZNS1_21radix_sort_block_sortIS4_Lb0EPiS8_N6thrust23THRUST_200600_302600_NS10device_ptrIlEESC_NS0_19identity_decomposerEEE10hipError_tT1_T2_T3_T4_jRjT5_jjP12ihipStream_tbEUlT_E_NS1_11comp_targetILNS1_3genE0ELNS1_11target_archE4294967295ELNS1_3gpuE0ELNS1_3repE0EEENS1_44radix_sort_block_sort_config_static_selectorELNS0_4arch9wavefront6targetE1EEEvSF_.private_seg_size, 0
	.set _ZN7rocprim17ROCPRIM_400000_NS6detail17trampoline_kernelINS0_13kernel_configILj256ELj4ELj4294967295EEENS1_37radix_sort_block_sort_config_selectorIilEEZNS1_21radix_sort_block_sortIS4_Lb0EPiS8_N6thrust23THRUST_200600_302600_NS10device_ptrIlEESC_NS0_19identity_decomposerEEE10hipError_tT1_T2_T3_T4_jRjT5_jjP12ihipStream_tbEUlT_E_NS1_11comp_targetILNS1_3genE0ELNS1_11target_archE4294967295ELNS1_3gpuE0ELNS1_3repE0EEENS1_44radix_sort_block_sort_config_static_selectorELNS0_4arch9wavefront6targetE1EEEvSF_.uses_vcc, 0
	.set _ZN7rocprim17ROCPRIM_400000_NS6detail17trampoline_kernelINS0_13kernel_configILj256ELj4ELj4294967295EEENS1_37radix_sort_block_sort_config_selectorIilEEZNS1_21radix_sort_block_sortIS4_Lb0EPiS8_N6thrust23THRUST_200600_302600_NS10device_ptrIlEESC_NS0_19identity_decomposerEEE10hipError_tT1_T2_T3_T4_jRjT5_jjP12ihipStream_tbEUlT_E_NS1_11comp_targetILNS1_3genE0ELNS1_11target_archE4294967295ELNS1_3gpuE0ELNS1_3repE0EEENS1_44radix_sort_block_sort_config_static_selectorELNS0_4arch9wavefront6targetE1EEEvSF_.uses_flat_scratch, 0
	.set _ZN7rocprim17ROCPRIM_400000_NS6detail17trampoline_kernelINS0_13kernel_configILj256ELj4ELj4294967295EEENS1_37radix_sort_block_sort_config_selectorIilEEZNS1_21radix_sort_block_sortIS4_Lb0EPiS8_N6thrust23THRUST_200600_302600_NS10device_ptrIlEESC_NS0_19identity_decomposerEEE10hipError_tT1_T2_T3_T4_jRjT5_jjP12ihipStream_tbEUlT_E_NS1_11comp_targetILNS1_3genE0ELNS1_11target_archE4294967295ELNS1_3gpuE0ELNS1_3repE0EEENS1_44radix_sort_block_sort_config_static_selectorELNS0_4arch9wavefront6targetE1EEEvSF_.has_dyn_sized_stack, 0
	.set _ZN7rocprim17ROCPRIM_400000_NS6detail17trampoline_kernelINS0_13kernel_configILj256ELj4ELj4294967295EEENS1_37radix_sort_block_sort_config_selectorIilEEZNS1_21radix_sort_block_sortIS4_Lb0EPiS8_N6thrust23THRUST_200600_302600_NS10device_ptrIlEESC_NS0_19identity_decomposerEEE10hipError_tT1_T2_T3_T4_jRjT5_jjP12ihipStream_tbEUlT_E_NS1_11comp_targetILNS1_3genE0ELNS1_11target_archE4294967295ELNS1_3gpuE0ELNS1_3repE0EEENS1_44radix_sort_block_sort_config_static_selectorELNS0_4arch9wavefront6targetE1EEEvSF_.has_recursion, 0
	.set _ZN7rocprim17ROCPRIM_400000_NS6detail17trampoline_kernelINS0_13kernel_configILj256ELj4ELj4294967295EEENS1_37radix_sort_block_sort_config_selectorIilEEZNS1_21radix_sort_block_sortIS4_Lb0EPiS8_N6thrust23THRUST_200600_302600_NS10device_ptrIlEESC_NS0_19identity_decomposerEEE10hipError_tT1_T2_T3_T4_jRjT5_jjP12ihipStream_tbEUlT_E_NS1_11comp_targetILNS1_3genE0ELNS1_11target_archE4294967295ELNS1_3gpuE0ELNS1_3repE0EEENS1_44radix_sort_block_sort_config_static_selectorELNS0_4arch9wavefront6targetE1EEEvSF_.has_indirect_call, 0
	.section	.AMDGPU.csdata,"",@progbits
; Kernel info:
; codeLenInByte = 0
; TotalNumSgprs: 4
; NumVgprs: 0
; ScratchSize: 0
; MemoryBound: 0
; FloatMode: 240
; IeeeMode: 1
; LDSByteSize: 0 bytes/workgroup (compile time only)
; SGPRBlocks: 0
; VGPRBlocks: 0
; NumSGPRsForWavesPerEU: 4
; NumVGPRsForWavesPerEU: 1
; Occupancy: 10
; WaveLimiterHint : 0
; COMPUTE_PGM_RSRC2:SCRATCH_EN: 0
; COMPUTE_PGM_RSRC2:USER_SGPR: 6
; COMPUTE_PGM_RSRC2:TRAP_HANDLER: 0
; COMPUTE_PGM_RSRC2:TGID_X_EN: 1
; COMPUTE_PGM_RSRC2:TGID_Y_EN: 0
; COMPUTE_PGM_RSRC2:TGID_Z_EN: 0
; COMPUTE_PGM_RSRC2:TIDIG_COMP_CNT: 0
	.section	.text._ZN7rocprim17ROCPRIM_400000_NS6detail17trampoline_kernelINS0_13kernel_configILj256ELj4ELj4294967295EEENS1_37radix_sort_block_sort_config_selectorIilEEZNS1_21radix_sort_block_sortIS4_Lb0EPiS8_N6thrust23THRUST_200600_302600_NS10device_ptrIlEESC_NS0_19identity_decomposerEEE10hipError_tT1_T2_T3_T4_jRjT5_jjP12ihipStream_tbEUlT_E_NS1_11comp_targetILNS1_3genE5ELNS1_11target_archE942ELNS1_3gpuE9ELNS1_3repE0EEENS1_44radix_sort_block_sort_config_static_selectorELNS0_4arch9wavefront6targetE1EEEvSF_,"axG",@progbits,_ZN7rocprim17ROCPRIM_400000_NS6detail17trampoline_kernelINS0_13kernel_configILj256ELj4ELj4294967295EEENS1_37radix_sort_block_sort_config_selectorIilEEZNS1_21radix_sort_block_sortIS4_Lb0EPiS8_N6thrust23THRUST_200600_302600_NS10device_ptrIlEESC_NS0_19identity_decomposerEEE10hipError_tT1_T2_T3_T4_jRjT5_jjP12ihipStream_tbEUlT_E_NS1_11comp_targetILNS1_3genE5ELNS1_11target_archE942ELNS1_3gpuE9ELNS1_3repE0EEENS1_44radix_sort_block_sort_config_static_selectorELNS0_4arch9wavefront6targetE1EEEvSF_,comdat
	.protected	_ZN7rocprim17ROCPRIM_400000_NS6detail17trampoline_kernelINS0_13kernel_configILj256ELj4ELj4294967295EEENS1_37radix_sort_block_sort_config_selectorIilEEZNS1_21radix_sort_block_sortIS4_Lb0EPiS8_N6thrust23THRUST_200600_302600_NS10device_ptrIlEESC_NS0_19identity_decomposerEEE10hipError_tT1_T2_T3_T4_jRjT5_jjP12ihipStream_tbEUlT_E_NS1_11comp_targetILNS1_3genE5ELNS1_11target_archE942ELNS1_3gpuE9ELNS1_3repE0EEENS1_44radix_sort_block_sort_config_static_selectorELNS0_4arch9wavefront6targetE1EEEvSF_ ; -- Begin function _ZN7rocprim17ROCPRIM_400000_NS6detail17trampoline_kernelINS0_13kernel_configILj256ELj4ELj4294967295EEENS1_37radix_sort_block_sort_config_selectorIilEEZNS1_21radix_sort_block_sortIS4_Lb0EPiS8_N6thrust23THRUST_200600_302600_NS10device_ptrIlEESC_NS0_19identity_decomposerEEE10hipError_tT1_T2_T3_T4_jRjT5_jjP12ihipStream_tbEUlT_E_NS1_11comp_targetILNS1_3genE5ELNS1_11target_archE942ELNS1_3gpuE9ELNS1_3repE0EEENS1_44radix_sort_block_sort_config_static_selectorELNS0_4arch9wavefront6targetE1EEEvSF_
	.globl	_ZN7rocprim17ROCPRIM_400000_NS6detail17trampoline_kernelINS0_13kernel_configILj256ELj4ELj4294967295EEENS1_37radix_sort_block_sort_config_selectorIilEEZNS1_21radix_sort_block_sortIS4_Lb0EPiS8_N6thrust23THRUST_200600_302600_NS10device_ptrIlEESC_NS0_19identity_decomposerEEE10hipError_tT1_T2_T3_T4_jRjT5_jjP12ihipStream_tbEUlT_E_NS1_11comp_targetILNS1_3genE5ELNS1_11target_archE942ELNS1_3gpuE9ELNS1_3repE0EEENS1_44radix_sort_block_sort_config_static_selectorELNS0_4arch9wavefront6targetE1EEEvSF_
	.p2align	8
	.type	_ZN7rocprim17ROCPRIM_400000_NS6detail17trampoline_kernelINS0_13kernel_configILj256ELj4ELj4294967295EEENS1_37radix_sort_block_sort_config_selectorIilEEZNS1_21radix_sort_block_sortIS4_Lb0EPiS8_N6thrust23THRUST_200600_302600_NS10device_ptrIlEESC_NS0_19identity_decomposerEEE10hipError_tT1_T2_T3_T4_jRjT5_jjP12ihipStream_tbEUlT_E_NS1_11comp_targetILNS1_3genE5ELNS1_11target_archE942ELNS1_3gpuE9ELNS1_3repE0EEENS1_44radix_sort_block_sort_config_static_selectorELNS0_4arch9wavefront6targetE1EEEvSF_,@function
_ZN7rocprim17ROCPRIM_400000_NS6detail17trampoline_kernelINS0_13kernel_configILj256ELj4ELj4294967295EEENS1_37radix_sort_block_sort_config_selectorIilEEZNS1_21radix_sort_block_sortIS4_Lb0EPiS8_N6thrust23THRUST_200600_302600_NS10device_ptrIlEESC_NS0_19identity_decomposerEEE10hipError_tT1_T2_T3_T4_jRjT5_jjP12ihipStream_tbEUlT_E_NS1_11comp_targetILNS1_3genE5ELNS1_11target_archE942ELNS1_3gpuE9ELNS1_3repE0EEENS1_44radix_sort_block_sort_config_static_selectorELNS0_4arch9wavefront6targetE1EEEvSF_: ; @_ZN7rocprim17ROCPRIM_400000_NS6detail17trampoline_kernelINS0_13kernel_configILj256ELj4ELj4294967295EEENS1_37radix_sort_block_sort_config_selectorIilEEZNS1_21radix_sort_block_sortIS4_Lb0EPiS8_N6thrust23THRUST_200600_302600_NS10device_ptrIlEESC_NS0_19identity_decomposerEEE10hipError_tT1_T2_T3_T4_jRjT5_jjP12ihipStream_tbEUlT_E_NS1_11comp_targetILNS1_3genE5ELNS1_11target_archE942ELNS1_3gpuE9ELNS1_3repE0EEENS1_44radix_sort_block_sort_config_static_selectorELNS0_4arch9wavefront6targetE1EEEvSF_
; %bb.0:
	.section	.rodata,"a",@progbits
	.p2align	6, 0x0
	.amdhsa_kernel _ZN7rocprim17ROCPRIM_400000_NS6detail17trampoline_kernelINS0_13kernel_configILj256ELj4ELj4294967295EEENS1_37radix_sort_block_sort_config_selectorIilEEZNS1_21radix_sort_block_sortIS4_Lb0EPiS8_N6thrust23THRUST_200600_302600_NS10device_ptrIlEESC_NS0_19identity_decomposerEEE10hipError_tT1_T2_T3_T4_jRjT5_jjP12ihipStream_tbEUlT_E_NS1_11comp_targetILNS1_3genE5ELNS1_11target_archE942ELNS1_3gpuE9ELNS1_3repE0EEENS1_44radix_sort_block_sort_config_static_selectorELNS0_4arch9wavefront6targetE1EEEvSF_
		.amdhsa_group_segment_fixed_size 0
		.amdhsa_private_segment_fixed_size 0
		.amdhsa_kernarg_size 48
		.amdhsa_user_sgpr_count 6
		.amdhsa_user_sgpr_private_segment_buffer 1
		.amdhsa_user_sgpr_dispatch_ptr 0
		.amdhsa_user_sgpr_queue_ptr 0
		.amdhsa_user_sgpr_kernarg_segment_ptr 1
		.amdhsa_user_sgpr_dispatch_id 0
		.amdhsa_user_sgpr_flat_scratch_init 0
		.amdhsa_user_sgpr_private_segment_size 0
		.amdhsa_uses_dynamic_stack 0
		.amdhsa_system_sgpr_private_segment_wavefront_offset 0
		.amdhsa_system_sgpr_workgroup_id_x 1
		.amdhsa_system_sgpr_workgroup_id_y 0
		.amdhsa_system_sgpr_workgroup_id_z 0
		.amdhsa_system_sgpr_workgroup_info 0
		.amdhsa_system_vgpr_workitem_id 0
		.amdhsa_next_free_vgpr 1
		.amdhsa_next_free_sgpr 0
		.amdhsa_reserve_vcc 0
		.amdhsa_reserve_flat_scratch 0
		.amdhsa_float_round_mode_32 0
		.amdhsa_float_round_mode_16_64 0
		.amdhsa_float_denorm_mode_32 3
		.amdhsa_float_denorm_mode_16_64 3
		.amdhsa_dx10_clamp 1
		.amdhsa_ieee_mode 1
		.amdhsa_fp16_overflow 0
		.amdhsa_exception_fp_ieee_invalid_op 0
		.amdhsa_exception_fp_denorm_src 0
		.amdhsa_exception_fp_ieee_div_zero 0
		.amdhsa_exception_fp_ieee_overflow 0
		.amdhsa_exception_fp_ieee_underflow 0
		.amdhsa_exception_fp_ieee_inexact 0
		.amdhsa_exception_int_div_zero 0
	.end_amdhsa_kernel
	.section	.text._ZN7rocprim17ROCPRIM_400000_NS6detail17trampoline_kernelINS0_13kernel_configILj256ELj4ELj4294967295EEENS1_37radix_sort_block_sort_config_selectorIilEEZNS1_21radix_sort_block_sortIS4_Lb0EPiS8_N6thrust23THRUST_200600_302600_NS10device_ptrIlEESC_NS0_19identity_decomposerEEE10hipError_tT1_T2_T3_T4_jRjT5_jjP12ihipStream_tbEUlT_E_NS1_11comp_targetILNS1_3genE5ELNS1_11target_archE942ELNS1_3gpuE9ELNS1_3repE0EEENS1_44radix_sort_block_sort_config_static_selectorELNS0_4arch9wavefront6targetE1EEEvSF_,"axG",@progbits,_ZN7rocprim17ROCPRIM_400000_NS6detail17trampoline_kernelINS0_13kernel_configILj256ELj4ELj4294967295EEENS1_37radix_sort_block_sort_config_selectorIilEEZNS1_21radix_sort_block_sortIS4_Lb0EPiS8_N6thrust23THRUST_200600_302600_NS10device_ptrIlEESC_NS0_19identity_decomposerEEE10hipError_tT1_T2_T3_T4_jRjT5_jjP12ihipStream_tbEUlT_E_NS1_11comp_targetILNS1_3genE5ELNS1_11target_archE942ELNS1_3gpuE9ELNS1_3repE0EEENS1_44radix_sort_block_sort_config_static_selectorELNS0_4arch9wavefront6targetE1EEEvSF_,comdat
.Lfunc_end727:
	.size	_ZN7rocprim17ROCPRIM_400000_NS6detail17trampoline_kernelINS0_13kernel_configILj256ELj4ELj4294967295EEENS1_37radix_sort_block_sort_config_selectorIilEEZNS1_21radix_sort_block_sortIS4_Lb0EPiS8_N6thrust23THRUST_200600_302600_NS10device_ptrIlEESC_NS0_19identity_decomposerEEE10hipError_tT1_T2_T3_T4_jRjT5_jjP12ihipStream_tbEUlT_E_NS1_11comp_targetILNS1_3genE5ELNS1_11target_archE942ELNS1_3gpuE9ELNS1_3repE0EEENS1_44radix_sort_block_sort_config_static_selectorELNS0_4arch9wavefront6targetE1EEEvSF_, .Lfunc_end727-_ZN7rocprim17ROCPRIM_400000_NS6detail17trampoline_kernelINS0_13kernel_configILj256ELj4ELj4294967295EEENS1_37radix_sort_block_sort_config_selectorIilEEZNS1_21radix_sort_block_sortIS4_Lb0EPiS8_N6thrust23THRUST_200600_302600_NS10device_ptrIlEESC_NS0_19identity_decomposerEEE10hipError_tT1_T2_T3_T4_jRjT5_jjP12ihipStream_tbEUlT_E_NS1_11comp_targetILNS1_3genE5ELNS1_11target_archE942ELNS1_3gpuE9ELNS1_3repE0EEENS1_44radix_sort_block_sort_config_static_selectorELNS0_4arch9wavefront6targetE1EEEvSF_
                                        ; -- End function
	.set _ZN7rocprim17ROCPRIM_400000_NS6detail17trampoline_kernelINS0_13kernel_configILj256ELj4ELj4294967295EEENS1_37radix_sort_block_sort_config_selectorIilEEZNS1_21radix_sort_block_sortIS4_Lb0EPiS8_N6thrust23THRUST_200600_302600_NS10device_ptrIlEESC_NS0_19identity_decomposerEEE10hipError_tT1_T2_T3_T4_jRjT5_jjP12ihipStream_tbEUlT_E_NS1_11comp_targetILNS1_3genE5ELNS1_11target_archE942ELNS1_3gpuE9ELNS1_3repE0EEENS1_44radix_sort_block_sort_config_static_selectorELNS0_4arch9wavefront6targetE1EEEvSF_.num_vgpr, 0
	.set _ZN7rocprim17ROCPRIM_400000_NS6detail17trampoline_kernelINS0_13kernel_configILj256ELj4ELj4294967295EEENS1_37radix_sort_block_sort_config_selectorIilEEZNS1_21radix_sort_block_sortIS4_Lb0EPiS8_N6thrust23THRUST_200600_302600_NS10device_ptrIlEESC_NS0_19identity_decomposerEEE10hipError_tT1_T2_T3_T4_jRjT5_jjP12ihipStream_tbEUlT_E_NS1_11comp_targetILNS1_3genE5ELNS1_11target_archE942ELNS1_3gpuE9ELNS1_3repE0EEENS1_44radix_sort_block_sort_config_static_selectorELNS0_4arch9wavefront6targetE1EEEvSF_.num_agpr, 0
	.set _ZN7rocprim17ROCPRIM_400000_NS6detail17trampoline_kernelINS0_13kernel_configILj256ELj4ELj4294967295EEENS1_37radix_sort_block_sort_config_selectorIilEEZNS1_21radix_sort_block_sortIS4_Lb0EPiS8_N6thrust23THRUST_200600_302600_NS10device_ptrIlEESC_NS0_19identity_decomposerEEE10hipError_tT1_T2_T3_T4_jRjT5_jjP12ihipStream_tbEUlT_E_NS1_11comp_targetILNS1_3genE5ELNS1_11target_archE942ELNS1_3gpuE9ELNS1_3repE0EEENS1_44radix_sort_block_sort_config_static_selectorELNS0_4arch9wavefront6targetE1EEEvSF_.numbered_sgpr, 0
	.set _ZN7rocprim17ROCPRIM_400000_NS6detail17trampoline_kernelINS0_13kernel_configILj256ELj4ELj4294967295EEENS1_37radix_sort_block_sort_config_selectorIilEEZNS1_21radix_sort_block_sortIS4_Lb0EPiS8_N6thrust23THRUST_200600_302600_NS10device_ptrIlEESC_NS0_19identity_decomposerEEE10hipError_tT1_T2_T3_T4_jRjT5_jjP12ihipStream_tbEUlT_E_NS1_11comp_targetILNS1_3genE5ELNS1_11target_archE942ELNS1_3gpuE9ELNS1_3repE0EEENS1_44radix_sort_block_sort_config_static_selectorELNS0_4arch9wavefront6targetE1EEEvSF_.num_named_barrier, 0
	.set _ZN7rocprim17ROCPRIM_400000_NS6detail17trampoline_kernelINS0_13kernel_configILj256ELj4ELj4294967295EEENS1_37radix_sort_block_sort_config_selectorIilEEZNS1_21radix_sort_block_sortIS4_Lb0EPiS8_N6thrust23THRUST_200600_302600_NS10device_ptrIlEESC_NS0_19identity_decomposerEEE10hipError_tT1_T2_T3_T4_jRjT5_jjP12ihipStream_tbEUlT_E_NS1_11comp_targetILNS1_3genE5ELNS1_11target_archE942ELNS1_3gpuE9ELNS1_3repE0EEENS1_44radix_sort_block_sort_config_static_selectorELNS0_4arch9wavefront6targetE1EEEvSF_.private_seg_size, 0
	.set _ZN7rocprim17ROCPRIM_400000_NS6detail17trampoline_kernelINS0_13kernel_configILj256ELj4ELj4294967295EEENS1_37radix_sort_block_sort_config_selectorIilEEZNS1_21radix_sort_block_sortIS4_Lb0EPiS8_N6thrust23THRUST_200600_302600_NS10device_ptrIlEESC_NS0_19identity_decomposerEEE10hipError_tT1_T2_T3_T4_jRjT5_jjP12ihipStream_tbEUlT_E_NS1_11comp_targetILNS1_3genE5ELNS1_11target_archE942ELNS1_3gpuE9ELNS1_3repE0EEENS1_44radix_sort_block_sort_config_static_selectorELNS0_4arch9wavefront6targetE1EEEvSF_.uses_vcc, 0
	.set _ZN7rocprim17ROCPRIM_400000_NS6detail17trampoline_kernelINS0_13kernel_configILj256ELj4ELj4294967295EEENS1_37radix_sort_block_sort_config_selectorIilEEZNS1_21radix_sort_block_sortIS4_Lb0EPiS8_N6thrust23THRUST_200600_302600_NS10device_ptrIlEESC_NS0_19identity_decomposerEEE10hipError_tT1_T2_T3_T4_jRjT5_jjP12ihipStream_tbEUlT_E_NS1_11comp_targetILNS1_3genE5ELNS1_11target_archE942ELNS1_3gpuE9ELNS1_3repE0EEENS1_44radix_sort_block_sort_config_static_selectorELNS0_4arch9wavefront6targetE1EEEvSF_.uses_flat_scratch, 0
	.set _ZN7rocprim17ROCPRIM_400000_NS6detail17trampoline_kernelINS0_13kernel_configILj256ELj4ELj4294967295EEENS1_37radix_sort_block_sort_config_selectorIilEEZNS1_21radix_sort_block_sortIS4_Lb0EPiS8_N6thrust23THRUST_200600_302600_NS10device_ptrIlEESC_NS0_19identity_decomposerEEE10hipError_tT1_T2_T3_T4_jRjT5_jjP12ihipStream_tbEUlT_E_NS1_11comp_targetILNS1_3genE5ELNS1_11target_archE942ELNS1_3gpuE9ELNS1_3repE0EEENS1_44radix_sort_block_sort_config_static_selectorELNS0_4arch9wavefront6targetE1EEEvSF_.has_dyn_sized_stack, 0
	.set _ZN7rocprim17ROCPRIM_400000_NS6detail17trampoline_kernelINS0_13kernel_configILj256ELj4ELj4294967295EEENS1_37radix_sort_block_sort_config_selectorIilEEZNS1_21radix_sort_block_sortIS4_Lb0EPiS8_N6thrust23THRUST_200600_302600_NS10device_ptrIlEESC_NS0_19identity_decomposerEEE10hipError_tT1_T2_T3_T4_jRjT5_jjP12ihipStream_tbEUlT_E_NS1_11comp_targetILNS1_3genE5ELNS1_11target_archE942ELNS1_3gpuE9ELNS1_3repE0EEENS1_44radix_sort_block_sort_config_static_selectorELNS0_4arch9wavefront6targetE1EEEvSF_.has_recursion, 0
	.set _ZN7rocprim17ROCPRIM_400000_NS6detail17trampoline_kernelINS0_13kernel_configILj256ELj4ELj4294967295EEENS1_37radix_sort_block_sort_config_selectorIilEEZNS1_21radix_sort_block_sortIS4_Lb0EPiS8_N6thrust23THRUST_200600_302600_NS10device_ptrIlEESC_NS0_19identity_decomposerEEE10hipError_tT1_T2_T3_T4_jRjT5_jjP12ihipStream_tbEUlT_E_NS1_11comp_targetILNS1_3genE5ELNS1_11target_archE942ELNS1_3gpuE9ELNS1_3repE0EEENS1_44radix_sort_block_sort_config_static_selectorELNS0_4arch9wavefront6targetE1EEEvSF_.has_indirect_call, 0
	.section	.AMDGPU.csdata,"",@progbits
; Kernel info:
; codeLenInByte = 0
; TotalNumSgprs: 4
; NumVgprs: 0
; ScratchSize: 0
; MemoryBound: 0
; FloatMode: 240
; IeeeMode: 1
; LDSByteSize: 0 bytes/workgroup (compile time only)
; SGPRBlocks: 0
; VGPRBlocks: 0
; NumSGPRsForWavesPerEU: 4
; NumVGPRsForWavesPerEU: 1
; Occupancy: 10
; WaveLimiterHint : 0
; COMPUTE_PGM_RSRC2:SCRATCH_EN: 0
; COMPUTE_PGM_RSRC2:USER_SGPR: 6
; COMPUTE_PGM_RSRC2:TRAP_HANDLER: 0
; COMPUTE_PGM_RSRC2:TGID_X_EN: 1
; COMPUTE_PGM_RSRC2:TGID_Y_EN: 0
; COMPUTE_PGM_RSRC2:TGID_Z_EN: 0
; COMPUTE_PGM_RSRC2:TIDIG_COMP_CNT: 0
	.section	.text._ZN7rocprim17ROCPRIM_400000_NS6detail17trampoline_kernelINS0_13kernel_configILj256ELj4ELj4294967295EEENS1_37radix_sort_block_sort_config_selectorIilEEZNS1_21radix_sort_block_sortIS4_Lb0EPiS8_N6thrust23THRUST_200600_302600_NS10device_ptrIlEESC_NS0_19identity_decomposerEEE10hipError_tT1_T2_T3_T4_jRjT5_jjP12ihipStream_tbEUlT_E_NS1_11comp_targetILNS1_3genE4ELNS1_11target_archE910ELNS1_3gpuE8ELNS1_3repE0EEENS1_44radix_sort_block_sort_config_static_selectorELNS0_4arch9wavefront6targetE1EEEvSF_,"axG",@progbits,_ZN7rocprim17ROCPRIM_400000_NS6detail17trampoline_kernelINS0_13kernel_configILj256ELj4ELj4294967295EEENS1_37radix_sort_block_sort_config_selectorIilEEZNS1_21radix_sort_block_sortIS4_Lb0EPiS8_N6thrust23THRUST_200600_302600_NS10device_ptrIlEESC_NS0_19identity_decomposerEEE10hipError_tT1_T2_T3_T4_jRjT5_jjP12ihipStream_tbEUlT_E_NS1_11comp_targetILNS1_3genE4ELNS1_11target_archE910ELNS1_3gpuE8ELNS1_3repE0EEENS1_44radix_sort_block_sort_config_static_selectorELNS0_4arch9wavefront6targetE1EEEvSF_,comdat
	.protected	_ZN7rocprim17ROCPRIM_400000_NS6detail17trampoline_kernelINS0_13kernel_configILj256ELj4ELj4294967295EEENS1_37radix_sort_block_sort_config_selectorIilEEZNS1_21radix_sort_block_sortIS4_Lb0EPiS8_N6thrust23THRUST_200600_302600_NS10device_ptrIlEESC_NS0_19identity_decomposerEEE10hipError_tT1_T2_T3_T4_jRjT5_jjP12ihipStream_tbEUlT_E_NS1_11comp_targetILNS1_3genE4ELNS1_11target_archE910ELNS1_3gpuE8ELNS1_3repE0EEENS1_44radix_sort_block_sort_config_static_selectorELNS0_4arch9wavefront6targetE1EEEvSF_ ; -- Begin function _ZN7rocprim17ROCPRIM_400000_NS6detail17trampoline_kernelINS0_13kernel_configILj256ELj4ELj4294967295EEENS1_37radix_sort_block_sort_config_selectorIilEEZNS1_21radix_sort_block_sortIS4_Lb0EPiS8_N6thrust23THRUST_200600_302600_NS10device_ptrIlEESC_NS0_19identity_decomposerEEE10hipError_tT1_T2_T3_T4_jRjT5_jjP12ihipStream_tbEUlT_E_NS1_11comp_targetILNS1_3genE4ELNS1_11target_archE910ELNS1_3gpuE8ELNS1_3repE0EEENS1_44radix_sort_block_sort_config_static_selectorELNS0_4arch9wavefront6targetE1EEEvSF_
	.globl	_ZN7rocprim17ROCPRIM_400000_NS6detail17trampoline_kernelINS0_13kernel_configILj256ELj4ELj4294967295EEENS1_37radix_sort_block_sort_config_selectorIilEEZNS1_21radix_sort_block_sortIS4_Lb0EPiS8_N6thrust23THRUST_200600_302600_NS10device_ptrIlEESC_NS0_19identity_decomposerEEE10hipError_tT1_T2_T3_T4_jRjT5_jjP12ihipStream_tbEUlT_E_NS1_11comp_targetILNS1_3genE4ELNS1_11target_archE910ELNS1_3gpuE8ELNS1_3repE0EEENS1_44radix_sort_block_sort_config_static_selectorELNS0_4arch9wavefront6targetE1EEEvSF_
	.p2align	8
	.type	_ZN7rocprim17ROCPRIM_400000_NS6detail17trampoline_kernelINS0_13kernel_configILj256ELj4ELj4294967295EEENS1_37radix_sort_block_sort_config_selectorIilEEZNS1_21radix_sort_block_sortIS4_Lb0EPiS8_N6thrust23THRUST_200600_302600_NS10device_ptrIlEESC_NS0_19identity_decomposerEEE10hipError_tT1_T2_T3_T4_jRjT5_jjP12ihipStream_tbEUlT_E_NS1_11comp_targetILNS1_3genE4ELNS1_11target_archE910ELNS1_3gpuE8ELNS1_3repE0EEENS1_44radix_sort_block_sort_config_static_selectorELNS0_4arch9wavefront6targetE1EEEvSF_,@function
_ZN7rocprim17ROCPRIM_400000_NS6detail17trampoline_kernelINS0_13kernel_configILj256ELj4ELj4294967295EEENS1_37radix_sort_block_sort_config_selectorIilEEZNS1_21radix_sort_block_sortIS4_Lb0EPiS8_N6thrust23THRUST_200600_302600_NS10device_ptrIlEESC_NS0_19identity_decomposerEEE10hipError_tT1_T2_T3_T4_jRjT5_jjP12ihipStream_tbEUlT_E_NS1_11comp_targetILNS1_3genE4ELNS1_11target_archE910ELNS1_3gpuE8ELNS1_3repE0EEENS1_44radix_sort_block_sort_config_static_selectorELNS0_4arch9wavefront6targetE1EEEvSF_: ; @_ZN7rocprim17ROCPRIM_400000_NS6detail17trampoline_kernelINS0_13kernel_configILj256ELj4ELj4294967295EEENS1_37radix_sort_block_sort_config_selectorIilEEZNS1_21radix_sort_block_sortIS4_Lb0EPiS8_N6thrust23THRUST_200600_302600_NS10device_ptrIlEESC_NS0_19identity_decomposerEEE10hipError_tT1_T2_T3_T4_jRjT5_jjP12ihipStream_tbEUlT_E_NS1_11comp_targetILNS1_3genE4ELNS1_11target_archE910ELNS1_3gpuE8ELNS1_3repE0EEENS1_44radix_sort_block_sort_config_static_selectorELNS0_4arch9wavefront6targetE1EEEvSF_
; %bb.0:
	.section	.rodata,"a",@progbits
	.p2align	6, 0x0
	.amdhsa_kernel _ZN7rocprim17ROCPRIM_400000_NS6detail17trampoline_kernelINS0_13kernel_configILj256ELj4ELj4294967295EEENS1_37radix_sort_block_sort_config_selectorIilEEZNS1_21radix_sort_block_sortIS4_Lb0EPiS8_N6thrust23THRUST_200600_302600_NS10device_ptrIlEESC_NS0_19identity_decomposerEEE10hipError_tT1_T2_T3_T4_jRjT5_jjP12ihipStream_tbEUlT_E_NS1_11comp_targetILNS1_3genE4ELNS1_11target_archE910ELNS1_3gpuE8ELNS1_3repE0EEENS1_44radix_sort_block_sort_config_static_selectorELNS0_4arch9wavefront6targetE1EEEvSF_
		.amdhsa_group_segment_fixed_size 0
		.amdhsa_private_segment_fixed_size 0
		.amdhsa_kernarg_size 48
		.amdhsa_user_sgpr_count 6
		.amdhsa_user_sgpr_private_segment_buffer 1
		.amdhsa_user_sgpr_dispatch_ptr 0
		.amdhsa_user_sgpr_queue_ptr 0
		.amdhsa_user_sgpr_kernarg_segment_ptr 1
		.amdhsa_user_sgpr_dispatch_id 0
		.amdhsa_user_sgpr_flat_scratch_init 0
		.amdhsa_user_sgpr_private_segment_size 0
		.amdhsa_uses_dynamic_stack 0
		.amdhsa_system_sgpr_private_segment_wavefront_offset 0
		.amdhsa_system_sgpr_workgroup_id_x 1
		.amdhsa_system_sgpr_workgroup_id_y 0
		.amdhsa_system_sgpr_workgroup_id_z 0
		.amdhsa_system_sgpr_workgroup_info 0
		.amdhsa_system_vgpr_workitem_id 0
		.amdhsa_next_free_vgpr 1
		.amdhsa_next_free_sgpr 0
		.amdhsa_reserve_vcc 0
		.amdhsa_reserve_flat_scratch 0
		.amdhsa_float_round_mode_32 0
		.amdhsa_float_round_mode_16_64 0
		.amdhsa_float_denorm_mode_32 3
		.amdhsa_float_denorm_mode_16_64 3
		.amdhsa_dx10_clamp 1
		.amdhsa_ieee_mode 1
		.amdhsa_fp16_overflow 0
		.amdhsa_exception_fp_ieee_invalid_op 0
		.amdhsa_exception_fp_denorm_src 0
		.amdhsa_exception_fp_ieee_div_zero 0
		.amdhsa_exception_fp_ieee_overflow 0
		.amdhsa_exception_fp_ieee_underflow 0
		.amdhsa_exception_fp_ieee_inexact 0
		.amdhsa_exception_int_div_zero 0
	.end_amdhsa_kernel
	.section	.text._ZN7rocprim17ROCPRIM_400000_NS6detail17trampoline_kernelINS0_13kernel_configILj256ELj4ELj4294967295EEENS1_37radix_sort_block_sort_config_selectorIilEEZNS1_21radix_sort_block_sortIS4_Lb0EPiS8_N6thrust23THRUST_200600_302600_NS10device_ptrIlEESC_NS0_19identity_decomposerEEE10hipError_tT1_T2_T3_T4_jRjT5_jjP12ihipStream_tbEUlT_E_NS1_11comp_targetILNS1_3genE4ELNS1_11target_archE910ELNS1_3gpuE8ELNS1_3repE0EEENS1_44radix_sort_block_sort_config_static_selectorELNS0_4arch9wavefront6targetE1EEEvSF_,"axG",@progbits,_ZN7rocprim17ROCPRIM_400000_NS6detail17trampoline_kernelINS0_13kernel_configILj256ELj4ELj4294967295EEENS1_37radix_sort_block_sort_config_selectorIilEEZNS1_21radix_sort_block_sortIS4_Lb0EPiS8_N6thrust23THRUST_200600_302600_NS10device_ptrIlEESC_NS0_19identity_decomposerEEE10hipError_tT1_T2_T3_T4_jRjT5_jjP12ihipStream_tbEUlT_E_NS1_11comp_targetILNS1_3genE4ELNS1_11target_archE910ELNS1_3gpuE8ELNS1_3repE0EEENS1_44radix_sort_block_sort_config_static_selectorELNS0_4arch9wavefront6targetE1EEEvSF_,comdat
.Lfunc_end728:
	.size	_ZN7rocprim17ROCPRIM_400000_NS6detail17trampoline_kernelINS0_13kernel_configILj256ELj4ELj4294967295EEENS1_37radix_sort_block_sort_config_selectorIilEEZNS1_21radix_sort_block_sortIS4_Lb0EPiS8_N6thrust23THRUST_200600_302600_NS10device_ptrIlEESC_NS0_19identity_decomposerEEE10hipError_tT1_T2_T3_T4_jRjT5_jjP12ihipStream_tbEUlT_E_NS1_11comp_targetILNS1_3genE4ELNS1_11target_archE910ELNS1_3gpuE8ELNS1_3repE0EEENS1_44radix_sort_block_sort_config_static_selectorELNS0_4arch9wavefront6targetE1EEEvSF_, .Lfunc_end728-_ZN7rocprim17ROCPRIM_400000_NS6detail17trampoline_kernelINS0_13kernel_configILj256ELj4ELj4294967295EEENS1_37radix_sort_block_sort_config_selectorIilEEZNS1_21radix_sort_block_sortIS4_Lb0EPiS8_N6thrust23THRUST_200600_302600_NS10device_ptrIlEESC_NS0_19identity_decomposerEEE10hipError_tT1_T2_T3_T4_jRjT5_jjP12ihipStream_tbEUlT_E_NS1_11comp_targetILNS1_3genE4ELNS1_11target_archE910ELNS1_3gpuE8ELNS1_3repE0EEENS1_44radix_sort_block_sort_config_static_selectorELNS0_4arch9wavefront6targetE1EEEvSF_
                                        ; -- End function
	.set _ZN7rocprim17ROCPRIM_400000_NS6detail17trampoline_kernelINS0_13kernel_configILj256ELj4ELj4294967295EEENS1_37radix_sort_block_sort_config_selectorIilEEZNS1_21radix_sort_block_sortIS4_Lb0EPiS8_N6thrust23THRUST_200600_302600_NS10device_ptrIlEESC_NS0_19identity_decomposerEEE10hipError_tT1_T2_T3_T4_jRjT5_jjP12ihipStream_tbEUlT_E_NS1_11comp_targetILNS1_3genE4ELNS1_11target_archE910ELNS1_3gpuE8ELNS1_3repE0EEENS1_44radix_sort_block_sort_config_static_selectorELNS0_4arch9wavefront6targetE1EEEvSF_.num_vgpr, 0
	.set _ZN7rocprim17ROCPRIM_400000_NS6detail17trampoline_kernelINS0_13kernel_configILj256ELj4ELj4294967295EEENS1_37radix_sort_block_sort_config_selectorIilEEZNS1_21radix_sort_block_sortIS4_Lb0EPiS8_N6thrust23THRUST_200600_302600_NS10device_ptrIlEESC_NS0_19identity_decomposerEEE10hipError_tT1_T2_T3_T4_jRjT5_jjP12ihipStream_tbEUlT_E_NS1_11comp_targetILNS1_3genE4ELNS1_11target_archE910ELNS1_3gpuE8ELNS1_3repE0EEENS1_44radix_sort_block_sort_config_static_selectorELNS0_4arch9wavefront6targetE1EEEvSF_.num_agpr, 0
	.set _ZN7rocprim17ROCPRIM_400000_NS6detail17trampoline_kernelINS0_13kernel_configILj256ELj4ELj4294967295EEENS1_37radix_sort_block_sort_config_selectorIilEEZNS1_21radix_sort_block_sortIS4_Lb0EPiS8_N6thrust23THRUST_200600_302600_NS10device_ptrIlEESC_NS0_19identity_decomposerEEE10hipError_tT1_T2_T3_T4_jRjT5_jjP12ihipStream_tbEUlT_E_NS1_11comp_targetILNS1_3genE4ELNS1_11target_archE910ELNS1_3gpuE8ELNS1_3repE0EEENS1_44radix_sort_block_sort_config_static_selectorELNS0_4arch9wavefront6targetE1EEEvSF_.numbered_sgpr, 0
	.set _ZN7rocprim17ROCPRIM_400000_NS6detail17trampoline_kernelINS0_13kernel_configILj256ELj4ELj4294967295EEENS1_37radix_sort_block_sort_config_selectorIilEEZNS1_21radix_sort_block_sortIS4_Lb0EPiS8_N6thrust23THRUST_200600_302600_NS10device_ptrIlEESC_NS0_19identity_decomposerEEE10hipError_tT1_T2_T3_T4_jRjT5_jjP12ihipStream_tbEUlT_E_NS1_11comp_targetILNS1_3genE4ELNS1_11target_archE910ELNS1_3gpuE8ELNS1_3repE0EEENS1_44radix_sort_block_sort_config_static_selectorELNS0_4arch9wavefront6targetE1EEEvSF_.num_named_barrier, 0
	.set _ZN7rocprim17ROCPRIM_400000_NS6detail17trampoline_kernelINS0_13kernel_configILj256ELj4ELj4294967295EEENS1_37radix_sort_block_sort_config_selectorIilEEZNS1_21radix_sort_block_sortIS4_Lb0EPiS8_N6thrust23THRUST_200600_302600_NS10device_ptrIlEESC_NS0_19identity_decomposerEEE10hipError_tT1_T2_T3_T4_jRjT5_jjP12ihipStream_tbEUlT_E_NS1_11comp_targetILNS1_3genE4ELNS1_11target_archE910ELNS1_3gpuE8ELNS1_3repE0EEENS1_44radix_sort_block_sort_config_static_selectorELNS0_4arch9wavefront6targetE1EEEvSF_.private_seg_size, 0
	.set _ZN7rocprim17ROCPRIM_400000_NS6detail17trampoline_kernelINS0_13kernel_configILj256ELj4ELj4294967295EEENS1_37radix_sort_block_sort_config_selectorIilEEZNS1_21radix_sort_block_sortIS4_Lb0EPiS8_N6thrust23THRUST_200600_302600_NS10device_ptrIlEESC_NS0_19identity_decomposerEEE10hipError_tT1_T2_T3_T4_jRjT5_jjP12ihipStream_tbEUlT_E_NS1_11comp_targetILNS1_3genE4ELNS1_11target_archE910ELNS1_3gpuE8ELNS1_3repE0EEENS1_44radix_sort_block_sort_config_static_selectorELNS0_4arch9wavefront6targetE1EEEvSF_.uses_vcc, 0
	.set _ZN7rocprim17ROCPRIM_400000_NS6detail17trampoline_kernelINS0_13kernel_configILj256ELj4ELj4294967295EEENS1_37radix_sort_block_sort_config_selectorIilEEZNS1_21radix_sort_block_sortIS4_Lb0EPiS8_N6thrust23THRUST_200600_302600_NS10device_ptrIlEESC_NS0_19identity_decomposerEEE10hipError_tT1_T2_T3_T4_jRjT5_jjP12ihipStream_tbEUlT_E_NS1_11comp_targetILNS1_3genE4ELNS1_11target_archE910ELNS1_3gpuE8ELNS1_3repE0EEENS1_44radix_sort_block_sort_config_static_selectorELNS0_4arch9wavefront6targetE1EEEvSF_.uses_flat_scratch, 0
	.set _ZN7rocprim17ROCPRIM_400000_NS6detail17trampoline_kernelINS0_13kernel_configILj256ELj4ELj4294967295EEENS1_37radix_sort_block_sort_config_selectorIilEEZNS1_21radix_sort_block_sortIS4_Lb0EPiS8_N6thrust23THRUST_200600_302600_NS10device_ptrIlEESC_NS0_19identity_decomposerEEE10hipError_tT1_T2_T3_T4_jRjT5_jjP12ihipStream_tbEUlT_E_NS1_11comp_targetILNS1_3genE4ELNS1_11target_archE910ELNS1_3gpuE8ELNS1_3repE0EEENS1_44radix_sort_block_sort_config_static_selectorELNS0_4arch9wavefront6targetE1EEEvSF_.has_dyn_sized_stack, 0
	.set _ZN7rocprim17ROCPRIM_400000_NS6detail17trampoline_kernelINS0_13kernel_configILj256ELj4ELj4294967295EEENS1_37radix_sort_block_sort_config_selectorIilEEZNS1_21radix_sort_block_sortIS4_Lb0EPiS8_N6thrust23THRUST_200600_302600_NS10device_ptrIlEESC_NS0_19identity_decomposerEEE10hipError_tT1_T2_T3_T4_jRjT5_jjP12ihipStream_tbEUlT_E_NS1_11comp_targetILNS1_3genE4ELNS1_11target_archE910ELNS1_3gpuE8ELNS1_3repE0EEENS1_44radix_sort_block_sort_config_static_selectorELNS0_4arch9wavefront6targetE1EEEvSF_.has_recursion, 0
	.set _ZN7rocprim17ROCPRIM_400000_NS6detail17trampoline_kernelINS0_13kernel_configILj256ELj4ELj4294967295EEENS1_37radix_sort_block_sort_config_selectorIilEEZNS1_21radix_sort_block_sortIS4_Lb0EPiS8_N6thrust23THRUST_200600_302600_NS10device_ptrIlEESC_NS0_19identity_decomposerEEE10hipError_tT1_T2_T3_T4_jRjT5_jjP12ihipStream_tbEUlT_E_NS1_11comp_targetILNS1_3genE4ELNS1_11target_archE910ELNS1_3gpuE8ELNS1_3repE0EEENS1_44radix_sort_block_sort_config_static_selectorELNS0_4arch9wavefront6targetE1EEEvSF_.has_indirect_call, 0
	.section	.AMDGPU.csdata,"",@progbits
; Kernel info:
; codeLenInByte = 0
; TotalNumSgprs: 4
; NumVgprs: 0
; ScratchSize: 0
; MemoryBound: 0
; FloatMode: 240
; IeeeMode: 1
; LDSByteSize: 0 bytes/workgroup (compile time only)
; SGPRBlocks: 0
; VGPRBlocks: 0
; NumSGPRsForWavesPerEU: 4
; NumVGPRsForWavesPerEU: 1
; Occupancy: 10
; WaveLimiterHint : 0
; COMPUTE_PGM_RSRC2:SCRATCH_EN: 0
; COMPUTE_PGM_RSRC2:USER_SGPR: 6
; COMPUTE_PGM_RSRC2:TRAP_HANDLER: 0
; COMPUTE_PGM_RSRC2:TGID_X_EN: 1
; COMPUTE_PGM_RSRC2:TGID_Y_EN: 0
; COMPUTE_PGM_RSRC2:TGID_Z_EN: 0
; COMPUTE_PGM_RSRC2:TIDIG_COMP_CNT: 0
	.section	.text._ZN7rocprim17ROCPRIM_400000_NS6detail17trampoline_kernelINS0_13kernel_configILj256ELj4ELj4294967295EEENS1_37radix_sort_block_sort_config_selectorIilEEZNS1_21radix_sort_block_sortIS4_Lb0EPiS8_N6thrust23THRUST_200600_302600_NS10device_ptrIlEESC_NS0_19identity_decomposerEEE10hipError_tT1_T2_T3_T4_jRjT5_jjP12ihipStream_tbEUlT_E_NS1_11comp_targetILNS1_3genE3ELNS1_11target_archE908ELNS1_3gpuE7ELNS1_3repE0EEENS1_44radix_sort_block_sort_config_static_selectorELNS0_4arch9wavefront6targetE1EEEvSF_,"axG",@progbits,_ZN7rocprim17ROCPRIM_400000_NS6detail17trampoline_kernelINS0_13kernel_configILj256ELj4ELj4294967295EEENS1_37radix_sort_block_sort_config_selectorIilEEZNS1_21radix_sort_block_sortIS4_Lb0EPiS8_N6thrust23THRUST_200600_302600_NS10device_ptrIlEESC_NS0_19identity_decomposerEEE10hipError_tT1_T2_T3_T4_jRjT5_jjP12ihipStream_tbEUlT_E_NS1_11comp_targetILNS1_3genE3ELNS1_11target_archE908ELNS1_3gpuE7ELNS1_3repE0EEENS1_44radix_sort_block_sort_config_static_selectorELNS0_4arch9wavefront6targetE1EEEvSF_,comdat
	.protected	_ZN7rocprim17ROCPRIM_400000_NS6detail17trampoline_kernelINS0_13kernel_configILj256ELj4ELj4294967295EEENS1_37radix_sort_block_sort_config_selectorIilEEZNS1_21radix_sort_block_sortIS4_Lb0EPiS8_N6thrust23THRUST_200600_302600_NS10device_ptrIlEESC_NS0_19identity_decomposerEEE10hipError_tT1_T2_T3_T4_jRjT5_jjP12ihipStream_tbEUlT_E_NS1_11comp_targetILNS1_3genE3ELNS1_11target_archE908ELNS1_3gpuE7ELNS1_3repE0EEENS1_44radix_sort_block_sort_config_static_selectorELNS0_4arch9wavefront6targetE1EEEvSF_ ; -- Begin function _ZN7rocprim17ROCPRIM_400000_NS6detail17trampoline_kernelINS0_13kernel_configILj256ELj4ELj4294967295EEENS1_37radix_sort_block_sort_config_selectorIilEEZNS1_21radix_sort_block_sortIS4_Lb0EPiS8_N6thrust23THRUST_200600_302600_NS10device_ptrIlEESC_NS0_19identity_decomposerEEE10hipError_tT1_T2_T3_T4_jRjT5_jjP12ihipStream_tbEUlT_E_NS1_11comp_targetILNS1_3genE3ELNS1_11target_archE908ELNS1_3gpuE7ELNS1_3repE0EEENS1_44radix_sort_block_sort_config_static_selectorELNS0_4arch9wavefront6targetE1EEEvSF_
	.globl	_ZN7rocprim17ROCPRIM_400000_NS6detail17trampoline_kernelINS0_13kernel_configILj256ELj4ELj4294967295EEENS1_37radix_sort_block_sort_config_selectorIilEEZNS1_21radix_sort_block_sortIS4_Lb0EPiS8_N6thrust23THRUST_200600_302600_NS10device_ptrIlEESC_NS0_19identity_decomposerEEE10hipError_tT1_T2_T3_T4_jRjT5_jjP12ihipStream_tbEUlT_E_NS1_11comp_targetILNS1_3genE3ELNS1_11target_archE908ELNS1_3gpuE7ELNS1_3repE0EEENS1_44radix_sort_block_sort_config_static_selectorELNS0_4arch9wavefront6targetE1EEEvSF_
	.p2align	8
	.type	_ZN7rocprim17ROCPRIM_400000_NS6detail17trampoline_kernelINS0_13kernel_configILj256ELj4ELj4294967295EEENS1_37radix_sort_block_sort_config_selectorIilEEZNS1_21radix_sort_block_sortIS4_Lb0EPiS8_N6thrust23THRUST_200600_302600_NS10device_ptrIlEESC_NS0_19identity_decomposerEEE10hipError_tT1_T2_T3_T4_jRjT5_jjP12ihipStream_tbEUlT_E_NS1_11comp_targetILNS1_3genE3ELNS1_11target_archE908ELNS1_3gpuE7ELNS1_3repE0EEENS1_44radix_sort_block_sort_config_static_selectorELNS0_4arch9wavefront6targetE1EEEvSF_,@function
_ZN7rocprim17ROCPRIM_400000_NS6detail17trampoline_kernelINS0_13kernel_configILj256ELj4ELj4294967295EEENS1_37radix_sort_block_sort_config_selectorIilEEZNS1_21radix_sort_block_sortIS4_Lb0EPiS8_N6thrust23THRUST_200600_302600_NS10device_ptrIlEESC_NS0_19identity_decomposerEEE10hipError_tT1_T2_T3_T4_jRjT5_jjP12ihipStream_tbEUlT_E_NS1_11comp_targetILNS1_3genE3ELNS1_11target_archE908ELNS1_3gpuE7ELNS1_3repE0EEENS1_44radix_sort_block_sort_config_static_selectorELNS0_4arch9wavefront6targetE1EEEvSF_: ; @_ZN7rocprim17ROCPRIM_400000_NS6detail17trampoline_kernelINS0_13kernel_configILj256ELj4ELj4294967295EEENS1_37radix_sort_block_sort_config_selectorIilEEZNS1_21radix_sort_block_sortIS4_Lb0EPiS8_N6thrust23THRUST_200600_302600_NS10device_ptrIlEESC_NS0_19identity_decomposerEEE10hipError_tT1_T2_T3_T4_jRjT5_jjP12ihipStream_tbEUlT_E_NS1_11comp_targetILNS1_3genE3ELNS1_11target_archE908ELNS1_3gpuE7ELNS1_3repE0EEENS1_44radix_sort_block_sort_config_static_selectorELNS0_4arch9wavefront6targetE1EEEvSF_
; %bb.0:
	.section	.rodata,"a",@progbits
	.p2align	6, 0x0
	.amdhsa_kernel _ZN7rocprim17ROCPRIM_400000_NS6detail17trampoline_kernelINS0_13kernel_configILj256ELj4ELj4294967295EEENS1_37radix_sort_block_sort_config_selectorIilEEZNS1_21radix_sort_block_sortIS4_Lb0EPiS8_N6thrust23THRUST_200600_302600_NS10device_ptrIlEESC_NS0_19identity_decomposerEEE10hipError_tT1_T2_T3_T4_jRjT5_jjP12ihipStream_tbEUlT_E_NS1_11comp_targetILNS1_3genE3ELNS1_11target_archE908ELNS1_3gpuE7ELNS1_3repE0EEENS1_44radix_sort_block_sort_config_static_selectorELNS0_4arch9wavefront6targetE1EEEvSF_
		.amdhsa_group_segment_fixed_size 0
		.amdhsa_private_segment_fixed_size 0
		.amdhsa_kernarg_size 48
		.amdhsa_user_sgpr_count 6
		.amdhsa_user_sgpr_private_segment_buffer 1
		.amdhsa_user_sgpr_dispatch_ptr 0
		.amdhsa_user_sgpr_queue_ptr 0
		.amdhsa_user_sgpr_kernarg_segment_ptr 1
		.amdhsa_user_sgpr_dispatch_id 0
		.amdhsa_user_sgpr_flat_scratch_init 0
		.amdhsa_user_sgpr_private_segment_size 0
		.amdhsa_uses_dynamic_stack 0
		.amdhsa_system_sgpr_private_segment_wavefront_offset 0
		.amdhsa_system_sgpr_workgroup_id_x 1
		.amdhsa_system_sgpr_workgroup_id_y 0
		.amdhsa_system_sgpr_workgroup_id_z 0
		.amdhsa_system_sgpr_workgroup_info 0
		.amdhsa_system_vgpr_workitem_id 0
		.amdhsa_next_free_vgpr 1
		.amdhsa_next_free_sgpr 0
		.amdhsa_reserve_vcc 0
		.amdhsa_reserve_flat_scratch 0
		.amdhsa_float_round_mode_32 0
		.amdhsa_float_round_mode_16_64 0
		.amdhsa_float_denorm_mode_32 3
		.amdhsa_float_denorm_mode_16_64 3
		.amdhsa_dx10_clamp 1
		.amdhsa_ieee_mode 1
		.amdhsa_fp16_overflow 0
		.amdhsa_exception_fp_ieee_invalid_op 0
		.amdhsa_exception_fp_denorm_src 0
		.amdhsa_exception_fp_ieee_div_zero 0
		.amdhsa_exception_fp_ieee_overflow 0
		.amdhsa_exception_fp_ieee_underflow 0
		.amdhsa_exception_fp_ieee_inexact 0
		.amdhsa_exception_int_div_zero 0
	.end_amdhsa_kernel
	.section	.text._ZN7rocprim17ROCPRIM_400000_NS6detail17trampoline_kernelINS0_13kernel_configILj256ELj4ELj4294967295EEENS1_37radix_sort_block_sort_config_selectorIilEEZNS1_21radix_sort_block_sortIS4_Lb0EPiS8_N6thrust23THRUST_200600_302600_NS10device_ptrIlEESC_NS0_19identity_decomposerEEE10hipError_tT1_T2_T3_T4_jRjT5_jjP12ihipStream_tbEUlT_E_NS1_11comp_targetILNS1_3genE3ELNS1_11target_archE908ELNS1_3gpuE7ELNS1_3repE0EEENS1_44radix_sort_block_sort_config_static_selectorELNS0_4arch9wavefront6targetE1EEEvSF_,"axG",@progbits,_ZN7rocprim17ROCPRIM_400000_NS6detail17trampoline_kernelINS0_13kernel_configILj256ELj4ELj4294967295EEENS1_37radix_sort_block_sort_config_selectorIilEEZNS1_21radix_sort_block_sortIS4_Lb0EPiS8_N6thrust23THRUST_200600_302600_NS10device_ptrIlEESC_NS0_19identity_decomposerEEE10hipError_tT1_T2_T3_T4_jRjT5_jjP12ihipStream_tbEUlT_E_NS1_11comp_targetILNS1_3genE3ELNS1_11target_archE908ELNS1_3gpuE7ELNS1_3repE0EEENS1_44radix_sort_block_sort_config_static_selectorELNS0_4arch9wavefront6targetE1EEEvSF_,comdat
.Lfunc_end729:
	.size	_ZN7rocprim17ROCPRIM_400000_NS6detail17trampoline_kernelINS0_13kernel_configILj256ELj4ELj4294967295EEENS1_37radix_sort_block_sort_config_selectorIilEEZNS1_21radix_sort_block_sortIS4_Lb0EPiS8_N6thrust23THRUST_200600_302600_NS10device_ptrIlEESC_NS0_19identity_decomposerEEE10hipError_tT1_T2_T3_T4_jRjT5_jjP12ihipStream_tbEUlT_E_NS1_11comp_targetILNS1_3genE3ELNS1_11target_archE908ELNS1_3gpuE7ELNS1_3repE0EEENS1_44radix_sort_block_sort_config_static_selectorELNS0_4arch9wavefront6targetE1EEEvSF_, .Lfunc_end729-_ZN7rocprim17ROCPRIM_400000_NS6detail17trampoline_kernelINS0_13kernel_configILj256ELj4ELj4294967295EEENS1_37radix_sort_block_sort_config_selectorIilEEZNS1_21radix_sort_block_sortIS4_Lb0EPiS8_N6thrust23THRUST_200600_302600_NS10device_ptrIlEESC_NS0_19identity_decomposerEEE10hipError_tT1_T2_T3_T4_jRjT5_jjP12ihipStream_tbEUlT_E_NS1_11comp_targetILNS1_3genE3ELNS1_11target_archE908ELNS1_3gpuE7ELNS1_3repE0EEENS1_44radix_sort_block_sort_config_static_selectorELNS0_4arch9wavefront6targetE1EEEvSF_
                                        ; -- End function
	.set _ZN7rocprim17ROCPRIM_400000_NS6detail17trampoline_kernelINS0_13kernel_configILj256ELj4ELj4294967295EEENS1_37radix_sort_block_sort_config_selectorIilEEZNS1_21radix_sort_block_sortIS4_Lb0EPiS8_N6thrust23THRUST_200600_302600_NS10device_ptrIlEESC_NS0_19identity_decomposerEEE10hipError_tT1_T2_T3_T4_jRjT5_jjP12ihipStream_tbEUlT_E_NS1_11comp_targetILNS1_3genE3ELNS1_11target_archE908ELNS1_3gpuE7ELNS1_3repE0EEENS1_44radix_sort_block_sort_config_static_selectorELNS0_4arch9wavefront6targetE1EEEvSF_.num_vgpr, 0
	.set _ZN7rocprim17ROCPRIM_400000_NS6detail17trampoline_kernelINS0_13kernel_configILj256ELj4ELj4294967295EEENS1_37radix_sort_block_sort_config_selectorIilEEZNS1_21radix_sort_block_sortIS4_Lb0EPiS8_N6thrust23THRUST_200600_302600_NS10device_ptrIlEESC_NS0_19identity_decomposerEEE10hipError_tT1_T2_T3_T4_jRjT5_jjP12ihipStream_tbEUlT_E_NS1_11comp_targetILNS1_3genE3ELNS1_11target_archE908ELNS1_3gpuE7ELNS1_3repE0EEENS1_44radix_sort_block_sort_config_static_selectorELNS0_4arch9wavefront6targetE1EEEvSF_.num_agpr, 0
	.set _ZN7rocprim17ROCPRIM_400000_NS6detail17trampoline_kernelINS0_13kernel_configILj256ELj4ELj4294967295EEENS1_37radix_sort_block_sort_config_selectorIilEEZNS1_21radix_sort_block_sortIS4_Lb0EPiS8_N6thrust23THRUST_200600_302600_NS10device_ptrIlEESC_NS0_19identity_decomposerEEE10hipError_tT1_T2_T3_T4_jRjT5_jjP12ihipStream_tbEUlT_E_NS1_11comp_targetILNS1_3genE3ELNS1_11target_archE908ELNS1_3gpuE7ELNS1_3repE0EEENS1_44radix_sort_block_sort_config_static_selectorELNS0_4arch9wavefront6targetE1EEEvSF_.numbered_sgpr, 0
	.set _ZN7rocprim17ROCPRIM_400000_NS6detail17trampoline_kernelINS0_13kernel_configILj256ELj4ELj4294967295EEENS1_37radix_sort_block_sort_config_selectorIilEEZNS1_21radix_sort_block_sortIS4_Lb0EPiS8_N6thrust23THRUST_200600_302600_NS10device_ptrIlEESC_NS0_19identity_decomposerEEE10hipError_tT1_T2_T3_T4_jRjT5_jjP12ihipStream_tbEUlT_E_NS1_11comp_targetILNS1_3genE3ELNS1_11target_archE908ELNS1_3gpuE7ELNS1_3repE0EEENS1_44radix_sort_block_sort_config_static_selectorELNS0_4arch9wavefront6targetE1EEEvSF_.num_named_barrier, 0
	.set _ZN7rocprim17ROCPRIM_400000_NS6detail17trampoline_kernelINS0_13kernel_configILj256ELj4ELj4294967295EEENS1_37radix_sort_block_sort_config_selectorIilEEZNS1_21radix_sort_block_sortIS4_Lb0EPiS8_N6thrust23THRUST_200600_302600_NS10device_ptrIlEESC_NS0_19identity_decomposerEEE10hipError_tT1_T2_T3_T4_jRjT5_jjP12ihipStream_tbEUlT_E_NS1_11comp_targetILNS1_3genE3ELNS1_11target_archE908ELNS1_3gpuE7ELNS1_3repE0EEENS1_44radix_sort_block_sort_config_static_selectorELNS0_4arch9wavefront6targetE1EEEvSF_.private_seg_size, 0
	.set _ZN7rocprim17ROCPRIM_400000_NS6detail17trampoline_kernelINS0_13kernel_configILj256ELj4ELj4294967295EEENS1_37radix_sort_block_sort_config_selectorIilEEZNS1_21radix_sort_block_sortIS4_Lb0EPiS8_N6thrust23THRUST_200600_302600_NS10device_ptrIlEESC_NS0_19identity_decomposerEEE10hipError_tT1_T2_T3_T4_jRjT5_jjP12ihipStream_tbEUlT_E_NS1_11comp_targetILNS1_3genE3ELNS1_11target_archE908ELNS1_3gpuE7ELNS1_3repE0EEENS1_44radix_sort_block_sort_config_static_selectorELNS0_4arch9wavefront6targetE1EEEvSF_.uses_vcc, 0
	.set _ZN7rocprim17ROCPRIM_400000_NS6detail17trampoline_kernelINS0_13kernel_configILj256ELj4ELj4294967295EEENS1_37radix_sort_block_sort_config_selectorIilEEZNS1_21radix_sort_block_sortIS4_Lb0EPiS8_N6thrust23THRUST_200600_302600_NS10device_ptrIlEESC_NS0_19identity_decomposerEEE10hipError_tT1_T2_T3_T4_jRjT5_jjP12ihipStream_tbEUlT_E_NS1_11comp_targetILNS1_3genE3ELNS1_11target_archE908ELNS1_3gpuE7ELNS1_3repE0EEENS1_44radix_sort_block_sort_config_static_selectorELNS0_4arch9wavefront6targetE1EEEvSF_.uses_flat_scratch, 0
	.set _ZN7rocprim17ROCPRIM_400000_NS6detail17trampoline_kernelINS0_13kernel_configILj256ELj4ELj4294967295EEENS1_37radix_sort_block_sort_config_selectorIilEEZNS1_21radix_sort_block_sortIS4_Lb0EPiS8_N6thrust23THRUST_200600_302600_NS10device_ptrIlEESC_NS0_19identity_decomposerEEE10hipError_tT1_T2_T3_T4_jRjT5_jjP12ihipStream_tbEUlT_E_NS1_11comp_targetILNS1_3genE3ELNS1_11target_archE908ELNS1_3gpuE7ELNS1_3repE0EEENS1_44radix_sort_block_sort_config_static_selectorELNS0_4arch9wavefront6targetE1EEEvSF_.has_dyn_sized_stack, 0
	.set _ZN7rocprim17ROCPRIM_400000_NS6detail17trampoline_kernelINS0_13kernel_configILj256ELj4ELj4294967295EEENS1_37radix_sort_block_sort_config_selectorIilEEZNS1_21radix_sort_block_sortIS4_Lb0EPiS8_N6thrust23THRUST_200600_302600_NS10device_ptrIlEESC_NS0_19identity_decomposerEEE10hipError_tT1_T2_T3_T4_jRjT5_jjP12ihipStream_tbEUlT_E_NS1_11comp_targetILNS1_3genE3ELNS1_11target_archE908ELNS1_3gpuE7ELNS1_3repE0EEENS1_44radix_sort_block_sort_config_static_selectorELNS0_4arch9wavefront6targetE1EEEvSF_.has_recursion, 0
	.set _ZN7rocprim17ROCPRIM_400000_NS6detail17trampoline_kernelINS0_13kernel_configILj256ELj4ELj4294967295EEENS1_37radix_sort_block_sort_config_selectorIilEEZNS1_21radix_sort_block_sortIS4_Lb0EPiS8_N6thrust23THRUST_200600_302600_NS10device_ptrIlEESC_NS0_19identity_decomposerEEE10hipError_tT1_T2_T3_T4_jRjT5_jjP12ihipStream_tbEUlT_E_NS1_11comp_targetILNS1_3genE3ELNS1_11target_archE908ELNS1_3gpuE7ELNS1_3repE0EEENS1_44radix_sort_block_sort_config_static_selectorELNS0_4arch9wavefront6targetE1EEEvSF_.has_indirect_call, 0
	.section	.AMDGPU.csdata,"",@progbits
; Kernel info:
; codeLenInByte = 0
; TotalNumSgprs: 4
; NumVgprs: 0
; ScratchSize: 0
; MemoryBound: 0
; FloatMode: 240
; IeeeMode: 1
; LDSByteSize: 0 bytes/workgroup (compile time only)
; SGPRBlocks: 0
; VGPRBlocks: 0
; NumSGPRsForWavesPerEU: 4
; NumVGPRsForWavesPerEU: 1
; Occupancy: 10
; WaveLimiterHint : 0
; COMPUTE_PGM_RSRC2:SCRATCH_EN: 0
; COMPUTE_PGM_RSRC2:USER_SGPR: 6
; COMPUTE_PGM_RSRC2:TRAP_HANDLER: 0
; COMPUTE_PGM_RSRC2:TGID_X_EN: 1
; COMPUTE_PGM_RSRC2:TGID_Y_EN: 0
; COMPUTE_PGM_RSRC2:TGID_Z_EN: 0
; COMPUTE_PGM_RSRC2:TIDIG_COMP_CNT: 0
	.section	.text._ZN7rocprim17ROCPRIM_400000_NS6detail17trampoline_kernelINS0_13kernel_configILj256ELj4ELj4294967295EEENS1_37radix_sort_block_sort_config_selectorIilEEZNS1_21radix_sort_block_sortIS4_Lb0EPiS8_N6thrust23THRUST_200600_302600_NS10device_ptrIlEESC_NS0_19identity_decomposerEEE10hipError_tT1_T2_T3_T4_jRjT5_jjP12ihipStream_tbEUlT_E_NS1_11comp_targetILNS1_3genE2ELNS1_11target_archE906ELNS1_3gpuE6ELNS1_3repE0EEENS1_44radix_sort_block_sort_config_static_selectorELNS0_4arch9wavefront6targetE1EEEvSF_,"axG",@progbits,_ZN7rocprim17ROCPRIM_400000_NS6detail17trampoline_kernelINS0_13kernel_configILj256ELj4ELj4294967295EEENS1_37radix_sort_block_sort_config_selectorIilEEZNS1_21radix_sort_block_sortIS4_Lb0EPiS8_N6thrust23THRUST_200600_302600_NS10device_ptrIlEESC_NS0_19identity_decomposerEEE10hipError_tT1_T2_T3_T4_jRjT5_jjP12ihipStream_tbEUlT_E_NS1_11comp_targetILNS1_3genE2ELNS1_11target_archE906ELNS1_3gpuE6ELNS1_3repE0EEENS1_44radix_sort_block_sort_config_static_selectorELNS0_4arch9wavefront6targetE1EEEvSF_,comdat
	.protected	_ZN7rocprim17ROCPRIM_400000_NS6detail17trampoline_kernelINS0_13kernel_configILj256ELj4ELj4294967295EEENS1_37radix_sort_block_sort_config_selectorIilEEZNS1_21radix_sort_block_sortIS4_Lb0EPiS8_N6thrust23THRUST_200600_302600_NS10device_ptrIlEESC_NS0_19identity_decomposerEEE10hipError_tT1_T2_T3_T4_jRjT5_jjP12ihipStream_tbEUlT_E_NS1_11comp_targetILNS1_3genE2ELNS1_11target_archE906ELNS1_3gpuE6ELNS1_3repE0EEENS1_44radix_sort_block_sort_config_static_selectorELNS0_4arch9wavefront6targetE1EEEvSF_ ; -- Begin function _ZN7rocprim17ROCPRIM_400000_NS6detail17trampoline_kernelINS0_13kernel_configILj256ELj4ELj4294967295EEENS1_37radix_sort_block_sort_config_selectorIilEEZNS1_21radix_sort_block_sortIS4_Lb0EPiS8_N6thrust23THRUST_200600_302600_NS10device_ptrIlEESC_NS0_19identity_decomposerEEE10hipError_tT1_T2_T3_T4_jRjT5_jjP12ihipStream_tbEUlT_E_NS1_11comp_targetILNS1_3genE2ELNS1_11target_archE906ELNS1_3gpuE6ELNS1_3repE0EEENS1_44radix_sort_block_sort_config_static_selectorELNS0_4arch9wavefront6targetE1EEEvSF_
	.globl	_ZN7rocprim17ROCPRIM_400000_NS6detail17trampoline_kernelINS0_13kernel_configILj256ELj4ELj4294967295EEENS1_37radix_sort_block_sort_config_selectorIilEEZNS1_21radix_sort_block_sortIS4_Lb0EPiS8_N6thrust23THRUST_200600_302600_NS10device_ptrIlEESC_NS0_19identity_decomposerEEE10hipError_tT1_T2_T3_T4_jRjT5_jjP12ihipStream_tbEUlT_E_NS1_11comp_targetILNS1_3genE2ELNS1_11target_archE906ELNS1_3gpuE6ELNS1_3repE0EEENS1_44radix_sort_block_sort_config_static_selectorELNS0_4arch9wavefront6targetE1EEEvSF_
	.p2align	8
	.type	_ZN7rocprim17ROCPRIM_400000_NS6detail17trampoline_kernelINS0_13kernel_configILj256ELj4ELj4294967295EEENS1_37radix_sort_block_sort_config_selectorIilEEZNS1_21radix_sort_block_sortIS4_Lb0EPiS8_N6thrust23THRUST_200600_302600_NS10device_ptrIlEESC_NS0_19identity_decomposerEEE10hipError_tT1_T2_T3_T4_jRjT5_jjP12ihipStream_tbEUlT_E_NS1_11comp_targetILNS1_3genE2ELNS1_11target_archE906ELNS1_3gpuE6ELNS1_3repE0EEENS1_44radix_sort_block_sort_config_static_selectorELNS0_4arch9wavefront6targetE1EEEvSF_,@function
_ZN7rocprim17ROCPRIM_400000_NS6detail17trampoline_kernelINS0_13kernel_configILj256ELj4ELj4294967295EEENS1_37radix_sort_block_sort_config_selectorIilEEZNS1_21radix_sort_block_sortIS4_Lb0EPiS8_N6thrust23THRUST_200600_302600_NS10device_ptrIlEESC_NS0_19identity_decomposerEEE10hipError_tT1_T2_T3_T4_jRjT5_jjP12ihipStream_tbEUlT_E_NS1_11comp_targetILNS1_3genE2ELNS1_11target_archE906ELNS1_3gpuE6ELNS1_3repE0EEENS1_44radix_sort_block_sort_config_static_selectorELNS0_4arch9wavefront6targetE1EEEvSF_: ; @_ZN7rocprim17ROCPRIM_400000_NS6detail17trampoline_kernelINS0_13kernel_configILj256ELj4ELj4294967295EEENS1_37radix_sort_block_sort_config_selectorIilEEZNS1_21radix_sort_block_sortIS4_Lb0EPiS8_N6thrust23THRUST_200600_302600_NS10device_ptrIlEESC_NS0_19identity_decomposerEEE10hipError_tT1_T2_T3_T4_jRjT5_jjP12ihipStream_tbEUlT_E_NS1_11comp_targetILNS1_3genE2ELNS1_11target_archE906ELNS1_3gpuE6ELNS1_3repE0EEENS1_44radix_sort_block_sort_config_static_selectorELNS0_4arch9wavefront6targetE1EEEvSF_
; %bb.0:
	s_load_dword s2, s[4:5], 0x20
	s_load_dwordx8 s[36:43], s[4:5], 0x0
	s_lshl_b32 s28, s6, 10
	s_mov_b32 s29, 0
	v_mbcnt_lo_u32_b32 v3, -1, 0
	s_waitcnt lgkmcnt(0)
	s_lshr_b32 s0, s2, 10
	s_cmp_lg_u32 s6, s0
	s_cselect_b64 s[30:31], -1, 0
	s_lshl_b64 s[34:35], s[28:29], 2
	v_mbcnt_hi_u32_b32 v17, -1, v3
	s_add_u32 s1, s36, s34
	v_and_b32_e32 v15, 63, v17
	s_addc_u32 s3, s37, s35
	v_lshlrev_b32_e32 v28, 2, v0
	v_lshlrev_b32_e32 v3, 2, v15
	v_and_b32_e32 v16, 0x300, v28
	v_mov_b32_e32 v4, s3
	v_add_co_u32_e32 v3, vcc, s1, v3
	v_addc_co_u32_e32 v4, vcc, 0, v4, vcc
	v_lshlrev_b32_e32 v18, 2, v16
	v_add_co_u32_e32 v13, vcc, v3, v18
	s_cmp_eq_u32 s6, s0
	v_addc_co_u32_e32 v14, vcc, 0, v4, vcc
	v_lshlrev_b32_e32 v19, 3, v15
	v_lshlrev_b32_e32 v20, 3, v16
	s_cbranch_scc1 .LBB730_2
; %bb.1:
	s_lshl_b64 s[0:1], s[28:29], 3
	s_add_u32 s0, s40, s0
	s_addc_u32 s1, s41, s1
	v_mov_b32_e32 v3, s1
	v_add_co_u32_e32 v4, vcc, s0, v19
	v_addc_co_u32_e32 v3, vcc, 0, v3, vcc
	v_add_co_u32_e32 v21, vcc, v4, v20
	global_load_dword v7, v[13:14], off
	global_load_dword v8, v[13:14], off offset:256
	global_load_dword v9, v[13:14], off offset:512
	global_load_dword v10, v[13:14], off offset:768
	v_addc_co_u32_e32 v22, vcc, 0, v3, vcc
	global_load_dwordx2 v[3:4], v[21:22], off
	global_load_dwordx2 v[5:6], v[21:22], off offset:512
	global_load_dwordx2 v[11:12], v[21:22], off offset:1024
	s_mov_b64 s[8:9], -1
	s_load_dwordx2 s[36:37], s[4:5], 0x28
	s_sub_i32 s33, s2, s28
	s_cbranch_execz .LBB730_3
	s_branch .LBB730_16
.LBB730_2:
	s_mov_b64 s[8:9], 0
                                        ; implicit-def: $vgpr7_vgpr8_vgpr9_vgpr10
                                        ; implicit-def: $vgpr3_vgpr4
                                        ; implicit-def: $vgpr11_vgpr12
	s_load_dwordx2 s[36:37], s[4:5], 0x28
	s_sub_i32 s33, s2, s28
.LBB730_3:
	s_waitcnt vmcnt(2)
	v_or_b32_e32 v3, v15, v16
	v_bfrev_b32_e32 v7, -2
	v_cmp_gt_u32_e32 vcc, s33, v3
	v_mov_b32_e32 v8, v7
	v_mov_b32_e32 v9, v7
	;; [unrolled: 1-line block ×3, first 2 shown]
	s_and_saveexec_b64 s[0:1], vcc
	s_cbranch_execz .LBB730_5
; %bb.4:
	global_load_dword v4, v[13:14], off
	s_waitcnt vmcnt(2)
	v_mov_b32_e32 v5, v7
	v_mov_b32_e32 v6, v7
	s_waitcnt vmcnt(0)
	v_mov_b32_e32 v10, v7
	v_mov_b32_e32 v9, v6
	;; [unrolled: 1-line block ×4, first 2 shown]
.LBB730_5:
	s_or_b64 exec, exec, s[0:1]
	v_or_b32_e32 v4, 64, v3
	v_cmp_gt_u32_e64 s[0:1], s33, v4
	s_and_saveexec_b64 s[2:3], s[0:1]
	s_cbranch_execz .LBB730_7
; %bb.6:
	global_load_dword v8, v[13:14], off offset:256
.LBB730_7:
	s_or_b64 exec, exec, s[2:3]
	v_or_b32_e32 v4, 0x80, v3
	v_cmp_gt_u32_e64 s[2:3], s33, v4
	s_and_saveexec_b64 s[6:7], s[2:3]
	s_cbranch_execz .LBB730_9
; %bb.8:
	global_load_dword v9, v[13:14], off offset:512
.LBB730_9:
	;; [unrolled: 8-line block ×3, first 2 shown]
	s_or_b64 exec, exec, s[6:7]
	s_lshl_b64 s[6:7], s[28:29], 3
	s_add_u32 s6, s40, s6
	s_addc_u32 s7, s41, s7
	v_mov_b32_e32 v3, s7
	v_add_co_u32_e64 v4, s[6:7], s6, v19
	v_addc_co_u32_e64 v3, s[6:7], 0, v3, s[6:7]
	v_add_co_u32_e64 v13, s[6:7], v4, v20
	v_addc_co_u32_e64 v14, s[6:7], 0, v3, s[6:7]
                                        ; implicit-def: $vgpr3_vgpr4
	s_and_saveexec_b64 s[6:7], vcc
	s_cbranch_execnz .LBB730_55
; %bb.12:
	s_or_b64 exec, exec, s[6:7]
	s_and_saveexec_b64 s[6:7], s[0:1]
	s_cbranch_execnz .LBB730_56
.LBB730_13:
	s_or_b64 exec, exec, s[6:7]
                                        ; implicit-def: $vgpr11_vgpr12
	s_and_saveexec_b64 s[0:1], s[2:3]
	s_cbranch_execz .LBB730_15
.LBB730_14:
	global_load_dwordx2 v[11:12], v[13:14], off offset:1024
.LBB730_15:
	s_or_b64 exec, exec, s[0:1]
.LBB730_16:
	s_and_saveexec_b64 s[0:1], s[8:9]
	s_cbranch_execz .LBB730_18
; %bb.17:
	s_lshl_b64 s[2:3], s[28:29], 3
	s_add_u32 s2, s40, s2
	s_addc_u32 s3, s41, s3
	v_mov_b32_e32 v13, s3
	v_add_co_u32_e32 v14, vcc, s2, v19
	v_addc_co_u32_e32 v21, vcc, 0, v13, vcc
	v_add_co_u32_e32 v13, vcc, v14, v20
	v_addc_co_u32_e32 v14, vcc, 0, v21, vcc
	global_load_dwordx2 v[13:14], v[13:14], off offset:1536
.LBB730_18:
	s_or_b64 exec, exec, s[0:1]
	s_load_dword s0, s[4:5], 0x3c
	s_waitcnt lgkmcnt(0)
	s_add_i32 s40, s37, s36
	s_mov_b32 s26, 0
	s_mov_b32 s44, s26
	v_lshl_add_u32 v35, v15, 2, v18
	s_lshr_b32 s1, s0, 16
	s_and_b32 s0, s0, 0xffff
	v_mad_u32_u24 v1, v2, s1, v1
	v_mad_u64_u32 v[1:2], s[0:1], v1, s0, v[0:1]
	s_getpc_b64 s[0:1]
	s_add_u32 s0, s0, _ZN7rocprim17ROCPRIM_400000_NS16block_radix_sortIiLj256ELj4ElLj1ELj1ELj0ELNS0_26block_radix_rank_algorithmE1ELNS0_18block_padding_hintE2ELNS0_4arch9wavefront6targetE1EE19radix_bits_per_passE@rel32@lo+4
	s_addc_u32 s1, s1, _ZN7rocprim17ROCPRIM_400000_NS16block_radix_sortIiLj256ELj4ElLj1ELj1ELj0ELNS0_26block_radix_rank_algorithmE1ELNS0_18block_padding_hintE2ELNS0_4arch9wavefront6targetE1EE19radix_bits_per_passE@rel32@hi+12
	s_load_dword s41, s[0:1], 0x0
	v_lshrrev_b32_e32 v1, 4, v1
	v_and_b32_e32 v30, 0xffffffc, v1
	v_and_b32_e32 v1, 15, v17
	v_cmp_eq_u32_e64 s[0:1], 0, v1
	v_cmp_lt_u32_e64 s[2:3], 1, v1
	v_cmp_lt_u32_e64 s[4:5], 3, v1
	;; [unrolled: 1-line block ×3, first 2 shown]
	v_and_b32_e32 v1, 16, v17
	v_cmp_eq_u32_e64 s[8:9], 0, v1
	v_or_b32_e32 v1, 63, v0
	v_cmp_eq_u32_e64 s[12:13], v0, v1
	v_subrev_co_u32_e64 v1, s[18:19], 1, v17
	v_and_b32_e32 v2, 64, v17
	v_cmp_lt_i32_e32 vcc, v1, v2
	v_cndmask_b32_e32 v1, v1, v17, vcc
	v_lshlrev_b32_e32 v32, 2, v1
	v_lshrrev_b32_e32 v1, 4, v0
	v_and_b32_e32 v33, 12, v1
	v_and_b32_e32 v1, 3, v17
	v_lshl_add_u32 v36, v16, 3, v19
	s_mov_b32 s27, s26
	s_mov_b32 s45, s26
	v_mov_b32_e32 v15, s26
	v_mov_b32_e32 v19, s44
	s_waitcnt vmcnt(6)
	v_xor_b32_e32 v24, 0x80000000, v7
	s_waitcnt vmcnt(0)
	v_xor_b32_e32 v25, 0x80000000, v8
	v_xor_b32_e32 v26, 0x80000000, v9
	;; [unrolled: 1-line block ×3, first 2 shown]
	v_lshlrev_b32_e32 v29, 4, v0
	v_cmp_lt_u32_e64 s[10:11], 31, v17
	v_cmp_gt_u32_e64 s[14:15], 4, v0
	v_cmp_lt_u32_e64 s[16:17], 63, v0
	v_cmp_eq_u32_e64 s[20:21], 0, v0
	v_mul_i32_i24_e32 v31, -12, v0
	v_cmp_eq_u32_e64 s[22:23], 0, v1
	v_cmp_lt_u32_e64 s[24:25], 1, v1
	v_add_u32_e32 v34, -4, v33
	v_mov_b32_e32 v16, s27
	v_mov_b32_e32 v20, s45
	;; [unrolled: 1-line block ×3, first 2 shown]
	s_branch .LBB730_20
.LBB730_19:                             ;   in Loop: Header=BB730_20 Depth=1
	s_andn2_b64 vcc, exec, s[26:27]
	s_mov_b32 s37, s44
	s_cbranch_vccz .LBB730_36
.LBB730_20:                             ; =>This Inner Loop Header: Depth=1
	s_waitcnt lgkmcnt(0)
	s_min_u32 s26, s41, s37
	v_mov_b32_e32 v40, v24
	s_lshl_b32 s26, -1, s26
	s_not_b32 s44, s26
	v_lshrrev_b32_e32 v1, s36, v40
	v_and_b32_e32 v1, s44, v1
	v_mov_b32_e32 v22, v4
	v_and_b32_e32 v2, 1, v1
	v_mov_b32_e32 v21, v3
	v_mov_b32_e32 v18, v6
	v_add_co_u32_e32 v4, vcc, -1, v2
	v_mov_b32_e32 v17, v5
	v_addc_co_u32_e64 v5, s[26:27], 0, -1, vcc
	v_cmp_ne_u32_e32 vcc, 0, v2
	v_lshlrev_b32_e32 v24, 30, v1
	v_xor_b32_e32 v2, vcc_hi, v5
	v_xor_b32_e32 v4, vcc_lo, v4
	v_cmp_gt_i64_e32 vcc, 0, v[23:24]
	v_not_b32_e32 v5, v24
	v_ashrrev_i32_e32 v5, 31, v5
	v_and_b32_e32 v4, exec_lo, v4
	v_xor_b32_e32 v6, vcc_hi, v5
	v_xor_b32_e32 v5, vcc_lo, v5
	v_lshlrev_b32_e32 v24, 29, v1
	v_and_b32_e32 v4, v4, v5
	v_cmp_gt_i64_e32 vcc, 0, v[23:24]
	v_not_b32_e32 v5, v24
	v_and_b32_e32 v2, exec_hi, v2
	v_ashrrev_i32_e32 v5, 31, v5
	v_and_b32_e32 v2, v2, v6
	v_xor_b32_e32 v6, vcc_hi, v5
	v_xor_b32_e32 v5, vcc_lo, v5
	v_lshlrev_b32_e32 v24, 28, v1
	v_and_b32_e32 v4, v4, v5
	v_cmp_gt_i64_e32 vcc, 0, v[23:24]
	v_not_b32_e32 v5, v24
	v_ashrrev_i32_e32 v5, 31, v5
	v_and_b32_e32 v2, v2, v6
	v_xor_b32_e32 v6, vcc_hi, v5
	v_xor_b32_e32 v5, vcc_lo, v5
	v_lshlrev_b32_e32 v24, 27, v1
	v_and_b32_e32 v4, v4, v5
	v_cmp_gt_i64_e32 vcc, 0, v[23:24]
	v_not_b32_e32 v5, v24
	;; [unrolled: 8-line block ×4, first 2 shown]
	v_ashrrev_i32_e32 v5, 31, v5
	v_lshlrev_b32_e32 v24, 24, v1
	v_lshlrev_b32_e32 v3, 4, v1
	v_and_b32_e32 v2, v2, v6
	v_xor_b32_e32 v6, vcc_hi, v5
	v_xor_b32_e32 v5, vcc_lo, v5
	v_cmp_gt_i64_e32 vcc, 0, v[23:24]
	v_not_b32_e32 v1, v24
	v_ashrrev_i32_e32 v1, 31, v1
	v_and_b32_e32 v4, v4, v5
	v_xor_b32_e32 v5, vcc_hi, v1
	v_xor_b32_e32 v1, vcc_lo, v1
	v_and_b32_e32 v2, v2, v6
	v_and_b32_e32 v1, v4, v1
	;; [unrolled: 1-line block ×3, first 2 shown]
	v_mbcnt_lo_u32_b32 v4, v1, 0
	v_mbcnt_hi_u32_b32 v5, v2, v4
	v_cmp_ne_u64_e32 vcc, 0, v[1:2]
	v_mov_b32_e32 v9, v11
	v_mov_b32_e32 v7, v13
	v_cmp_eq_u32_e64 s[26:27], 0, v5
	v_mov_b32_e32 v37, v27
	v_mov_b32_e32 v38, v26
	;; [unrolled: 1-line block ×5, first 2 shown]
	s_and_b64 s[46:47], vcc, s[26:27]
	v_add_u32_e32 v6, v30, v3
	ds_write2_b64 v29, v[15:16], v[19:20] offset0:2 offset1:3
	s_waitcnt lgkmcnt(0)
	s_barrier
	; wave barrier
	s_and_saveexec_b64 s[26:27], s[46:47]
; %bb.21:                               ;   in Loop: Header=BB730_20 Depth=1
	v_bcnt_u32_b32 v1, v1, 0
	v_bcnt_u32_b32 v1, v2, v1
	ds_write_b32 v6, v1 offset:16
; %bb.22:                               ;   in Loop: Header=BB730_20 Depth=1
	s_or_b64 exec, exec, s[26:27]
	v_lshrrev_b32_e32 v1, s36, v39
	v_and_b32_e32 v1, s44, v1
	v_lshlrev_b32_e32 v2, 4, v1
	v_add_u32_e32 v12, v30, v2
	v_and_b32_e32 v2, 1, v1
	v_add_co_u32_e32 v3, vcc, -1, v2
	v_addc_co_u32_e64 v4, s[26:27], 0, -1, vcc
	v_cmp_ne_u32_e32 vcc, 0, v2
	v_lshlrev_b32_e32 v24, 30, v1
	v_xor_b32_e32 v2, vcc_hi, v4
	v_xor_b32_e32 v3, vcc_lo, v3
	v_cmp_gt_i64_e32 vcc, 0, v[23:24]
	v_not_b32_e32 v4, v24
	v_ashrrev_i32_e32 v4, 31, v4
	v_and_b32_e32 v3, exec_lo, v3
	v_xor_b32_e32 v13, vcc_hi, v4
	v_xor_b32_e32 v4, vcc_lo, v4
	v_lshlrev_b32_e32 v24, 29, v1
	v_and_b32_e32 v3, v3, v4
	v_cmp_gt_i64_e32 vcc, 0, v[23:24]
	v_not_b32_e32 v4, v24
	v_and_b32_e32 v2, exec_hi, v2
	v_ashrrev_i32_e32 v4, 31, v4
	v_and_b32_e32 v2, v2, v13
	v_xor_b32_e32 v13, vcc_hi, v4
	v_xor_b32_e32 v4, vcc_lo, v4
	v_lshlrev_b32_e32 v24, 28, v1
	v_and_b32_e32 v3, v3, v4
	v_cmp_gt_i64_e32 vcc, 0, v[23:24]
	v_not_b32_e32 v4, v24
	v_ashrrev_i32_e32 v4, 31, v4
	v_and_b32_e32 v2, v2, v13
	v_xor_b32_e32 v13, vcc_hi, v4
	v_xor_b32_e32 v4, vcc_lo, v4
	v_lshlrev_b32_e32 v24, 27, v1
	v_and_b32_e32 v3, v3, v4
	v_cmp_gt_i64_e32 vcc, 0, v[23:24]
	v_not_b32_e32 v4, v24
	v_ashrrev_i32_e32 v4, 31, v4
	v_and_b32_e32 v2, v2, v13
	v_xor_b32_e32 v13, vcc_hi, v4
	v_xor_b32_e32 v4, vcc_lo, v4
	v_lshlrev_b32_e32 v24, 26, v1
	v_and_b32_e32 v3, v3, v4
	v_cmp_gt_i64_e32 vcc, 0, v[23:24]
	v_not_b32_e32 v4, v24
	v_ashrrev_i32_e32 v4, 31, v4
	v_and_b32_e32 v2, v2, v13
	v_xor_b32_e32 v13, vcc_hi, v4
	v_xor_b32_e32 v4, vcc_lo, v4
	v_lshlrev_b32_e32 v24, 25, v1
	v_and_b32_e32 v3, v3, v4
	v_cmp_gt_i64_e32 vcc, 0, v[23:24]
	v_not_b32_e32 v4, v24
	v_ashrrev_i32_e32 v4, 31, v4
	v_lshlrev_b32_e32 v24, 24, v1
	v_and_b32_e32 v2, v2, v13
	v_xor_b32_e32 v13, vcc_hi, v4
	v_xor_b32_e32 v4, vcc_lo, v4
	v_cmp_gt_i64_e32 vcc, 0, v[23:24]
	v_not_b32_e32 v1, v24
	v_ashrrev_i32_e32 v1, 31, v1
	v_and_b32_e32 v3, v3, v4
	v_xor_b32_e32 v4, vcc_hi, v1
	v_xor_b32_e32 v1, vcc_lo, v1
	; wave barrier
	ds_read_b32 v11, v12 offset:16
	v_and_b32_e32 v2, v2, v13
	v_and_b32_e32 v1, v3, v1
	;; [unrolled: 1-line block ×3, first 2 shown]
	v_mbcnt_lo_u32_b32 v3, v1, 0
	v_mbcnt_hi_u32_b32 v13, v2, v3
	v_cmp_ne_u64_e32 vcc, 0, v[1:2]
	v_cmp_eq_u32_e64 s[26:27], 0, v13
	s_and_b64 s[46:47], vcc, s[26:27]
	; wave barrier
	s_and_saveexec_b64 s[26:27], s[46:47]
	s_cbranch_execz .LBB730_24
; %bb.23:                               ;   in Loop: Header=BB730_20 Depth=1
	v_bcnt_u32_b32 v1, v1, 0
	v_bcnt_u32_b32 v1, v2, v1
	s_waitcnt lgkmcnt(0)
	v_add_u32_e32 v1, v11, v1
	ds_write_b32 v12, v1 offset:16
.LBB730_24:                             ;   in Loop: Header=BB730_20 Depth=1
	s_or_b64 exec, exec, s[26:27]
	v_lshrrev_b32_e32 v1, s36, v38
	v_and_b32_e32 v1, s44, v1
	v_lshlrev_b32_e32 v2, 4, v1
	v_add_u32_e32 v25, v30, v2
	v_and_b32_e32 v2, 1, v1
	v_add_co_u32_e32 v3, vcc, -1, v2
	v_addc_co_u32_e64 v4, s[26:27], 0, -1, vcc
	v_cmp_ne_u32_e32 vcc, 0, v2
	v_lshlrev_b32_e32 v24, 30, v1
	v_xor_b32_e32 v2, vcc_hi, v4
	v_xor_b32_e32 v3, vcc_lo, v3
	v_cmp_gt_i64_e32 vcc, 0, v[23:24]
	v_not_b32_e32 v4, v24
	v_ashrrev_i32_e32 v4, 31, v4
	v_and_b32_e32 v2, exec_hi, v2
	v_xor_b32_e32 v24, vcc_hi, v4
	v_and_b32_e32 v3, exec_lo, v3
	v_xor_b32_e32 v4, vcc_lo, v4
	v_and_b32_e32 v2, v2, v24
	v_lshlrev_b32_e32 v24, 29, v1
	v_and_b32_e32 v3, v3, v4
	v_cmp_gt_i64_e32 vcc, 0, v[23:24]
	v_not_b32_e32 v4, v24
	v_ashrrev_i32_e32 v4, 31, v4
	v_xor_b32_e32 v24, vcc_hi, v4
	v_xor_b32_e32 v4, vcc_lo, v4
	v_and_b32_e32 v2, v2, v24
	v_lshlrev_b32_e32 v24, 28, v1
	v_and_b32_e32 v3, v3, v4
	v_cmp_gt_i64_e32 vcc, 0, v[23:24]
	v_not_b32_e32 v4, v24
	v_ashrrev_i32_e32 v4, 31, v4
	v_xor_b32_e32 v24, vcc_hi, v4
	;; [unrolled: 8-line block ×5, first 2 shown]
	v_and_b32_e32 v2, v2, v24
	v_lshlrev_b32_e32 v24, 24, v1
	v_xor_b32_e32 v4, vcc_lo, v4
	v_cmp_gt_i64_e32 vcc, 0, v[23:24]
	v_not_b32_e32 v1, v24
	v_ashrrev_i32_e32 v1, 31, v1
	v_and_b32_e32 v3, v3, v4
	v_xor_b32_e32 v4, vcc_hi, v1
	v_xor_b32_e32 v1, vcc_lo, v1
	; wave barrier
	ds_read_b32 v14, v25 offset:16
	v_and_b32_e32 v1, v3, v1
	v_and_b32_e32 v2, v2, v4
	v_mbcnt_lo_u32_b32 v3, v1, 0
	v_mbcnt_hi_u32_b32 v26, v2, v3
	v_cmp_ne_u64_e32 vcc, 0, v[1:2]
	v_cmp_eq_u32_e64 s[26:27], 0, v26
	s_and_b64 s[46:47], vcc, s[26:27]
	; wave barrier
	s_and_saveexec_b64 s[26:27], s[46:47]
	s_cbranch_execz .LBB730_26
; %bb.25:                               ;   in Loop: Header=BB730_20 Depth=1
	v_bcnt_u32_b32 v1, v1, 0
	v_bcnt_u32_b32 v1, v2, v1
	s_waitcnt lgkmcnt(0)
	v_add_u32_e32 v1, v14, v1
	ds_write_b32 v25, v1 offset:16
.LBB730_26:                             ;   in Loop: Header=BB730_20 Depth=1
	s_or_b64 exec, exec, s[26:27]
	v_lshrrev_b32_e32 v1, s36, v37
	v_and_b32_e32 v1, s44, v1
	v_lshlrev_b32_e32 v2, 4, v1
	v_add_u32_e32 v41, v30, v2
	v_and_b32_e32 v2, 1, v1
	v_add_co_u32_e32 v3, vcc, -1, v2
	v_addc_co_u32_e64 v4, s[26:27], 0, -1, vcc
	v_cmp_ne_u32_e32 vcc, 0, v2
	v_lshlrev_b32_e32 v24, 30, v1
	v_xor_b32_e32 v2, vcc_hi, v4
	v_xor_b32_e32 v3, vcc_lo, v3
	v_cmp_gt_i64_e32 vcc, 0, v[23:24]
	v_not_b32_e32 v4, v24
	v_ashrrev_i32_e32 v4, 31, v4
	v_and_b32_e32 v2, exec_hi, v2
	v_xor_b32_e32 v24, vcc_hi, v4
	v_and_b32_e32 v3, exec_lo, v3
	v_xor_b32_e32 v4, vcc_lo, v4
	v_and_b32_e32 v2, v2, v24
	v_lshlrev_b32_e32 v24, 29, v1
	v_and_b32_e32 v3, v3, v4
	v_cmp_gt_i64_e32 vcc, 0, v[23:24]
	v_not_b32_e32 v4, v24
	v_ashrrev_i32_e32 v4, 31, v4
	v_xor_b32_e32 v24, vcc_hi, v4
	v_xor_b32_e32 v4, vcc_lo, v4
	v_and_b32_e32 v2, v2, v24
	v_lshlrev_b32_e32 v24, 28, v1
	v_and_b32_e32 v3, v3, v4
	v_cmp_gt_i64_e32 vcc, 0, v[23:24]
	v_not_b32_e32 v4, v24
	v_ashrrev_i32_e32 v4, 31, v4
	v_xor_b32_e32 v24, vcc_hi, v4
	;; [unrolled: 8-line block ×5, first 2 shown]
	v_and_b32_e32 v2, v2, v24
	v_lshlrev_b32_e32 v24, 24, v1
	v_xor_b32_e32 v4, vcc_lo, v4
	v_cmp_gt_i64_e32 vcc, 0, v[23:24]
	v_not_b32_e32 v1, v24
	v_ashrrev_i32_e32 v1, 31, v1
	v_and_b32_e32 v3, v3, v4
	v_xor_b32_e32 v4, vcc_hi, v1
	v_xor_b32_e32 v1, vcc_lo, v1
	; wave barrier
	ds_read_b32 v27, v41 offset:16
	v_and_b32_e32 v1, v3, v1
	v_and_b32_e32 v2, v2, v4
	v_mbcnt_lo_u32_b32 v3, v1, 0
	v_mbcnt_hi_u32_b32 v24, v2, v3
	v_cmp_ne_u64_e32 vcc, 0, v[1:2]
	v_cmp_eq_u32_e64 s[26:27], 0, v24
	s_and_b64 s[44:45], vcc, s[26:27]
	; wave barrier
	s_and_saveexec_b64 s[26:27], s[44:45]
	s_cbranch_execz .LBB730_28
; %bb.27:                               ;   in Loop: Header=BB730_20 Depth=1
	v_bcnt_u32_b32 v1, v1, 0
	v_bcnt_u32_b32 v1, v2, v1
	s_waitcnt lgkmcnt(0)
	v_add_u32_e32 v1, v27, v1
	ds_write_b32 v41, v1 offset:16
.LBB730_28:                             ;   in Loop: Header=BB730_20 Depth=1
	s_or_b64 exec, exec, s[26:27]
	; wave barrier
	s_waitcnt lgkmcnt(0)
	s_barrier
	ds_read2_b64 v[1:4], v29 offset0:2 offset1:3
	s_waitcnt lgkmcnt(0)
	v_add_u32_e32 v42, v2, v1
	v_add3_u32 v4, v42, v3, v4
	s_nop 1
	v_mov_b32_dpp v42, v4 row_shr:1 row_mask:0xf bank_mask:0xf
	v_cndmask_b32_e64 v42, v42, 0, s[0:1]
	v_add_u32_e32 v4, v42, v4
	s_nop 1
	v_mov_b32_dpp v42, v4 row_shr:2 row_mask:0xf bank_mask:0xf
	v_cndmask_b32_e64 v42, 0, v42, s[2:3]
	v_add_u32_e32 v4, v4, v42
	;; [unrolled: 4-line block ×4, first 2 shown]
	s_nop 1
	v_mov_b32_dpp v42, v4 row_bcast:15 row_mask:0xf bank_mask:0xf
	v_cndmask_b32_e64 v42, v42, 0, s[8:9]
	v_add_u32_e32 v4, v4, v42
	s_nop 1
	v_mov_b32_dpp v42, v4 row_bcast:31 row_mask:0xf bank_mask:0xf
	v_cndmask_b32_e64 v42, 0, v42, s[10:11]
	v_add_u32_e32 v4, v4, v42
	s_and_saveexec_b64 s[26:27], s[12:13]
; %bb.29:                               ;   in Loop: Header=BB730_20 Depth=1
	ds_write_b32 v33, v4
; %bb.30:                               ;   in Loop: Header=BB730_20 Depth=1
	s_or_b64 exec, exec, s[26:27]
	s_waitcnt lgkmcnt(0)
	s_barrier
	s_and_saveexec_b64 s[26:27], s[14:15]
	s_cbranch_execz .LBB730_32
; %bb.31:                               ;   in Loop: Header=BB730_20 Depth=1
	v_add_u32_e32 v42, v29, v31
	ds_read_b32 v43, v42
	s_waitcnt lgkmcnt(0)
	s_nop 0
	v_mov_b32_dpp v44, v43 row_shr:1 row_mask:0xf bank_mask:0xf
	v_cndmask_b32_e64 v44, v44, 0, s[22:23]
	v_add_u32_e32 v43, v44, v43
	s_nop 1
	v_mov_b32_dpp v44, v43 row_shr:2 row_mask:0xf bank_mask:0xf
	v_cndmask_b32_e64 v44, 0, v44, s[24:25]
	v_add_u32_e32 v43, v43, v44
	ds_write_b32 v42, v43
.LBB730_32:                             ;   in Loop: Header=BB730_20 Depth=1
	s_or_b64 exec, exec, s[26:27]
	v_mov_b32_e32 v42, 0
	s_waitcnt lgkmcnt(0)
	s_barrier
	s_and_saveexec_b64 s[26:27], s[16:17]
; %bb.33:                               ;   in Loop: Header=BB730_20 Depth=1
	ds_read_b32 v42, v34
; %bb.34:                               ;   in Loop: Header=BB730_20 Depth=1
	s_or_b64 exec, exec, s[26:27]
	s_waitcnt lgkmcnt(0)
	v_add_u32_e32 v4, v42, v4
	ds_bpermute_b32 v4, v32, v4
	s_add_i32 s36, s36, 8
	s_cmp_ge_u32 s36, s40
	s_mov_b64 s[26:27], -1
	v_readfirstlane_b32 s44, v0
	s_waitcnt lgkmcnt(0)
	v_cndmask_b32_e64 v4, v4, v42, s[18:19]
	v_cndmask_b32_e64 v42, v4, 0, s[20:21]
	v_add_u32_e32 v43, v42, v1
	v_add_u32_e32 v1, v43, v2
	;; [unrolled: 1-line block ×3, first 2 shown]
	ds_write2_b64 v29, v[42:43], v[1:2] offset0:2 offset1:3
	s_waitcnt lgkmcnt(0)
	s_barrier
	ds_read_b32 v1, v6 offset:16
	ds_read_b32 v2, v12 offset:16
	;; [unrolled: 1-line block ×4, first 2 shown]
	s_waitcnt lgkmcnt(0)
	v_add_u32_e32 v42, v1, v5
	v_add3_u32 v41, v13, v11, v2
	v_add3_u32 v2, v26, v14, v3
	;; [unrolled: 1-line block ×3, first 2 shown]
	v_lshlrev_b32_e32 v46, 2, v42
	v_lshlrev_b32_e32 v45, 2, v41
	;; [unrolled: 1-line block ×4, first 2 shown]
                                        ; implicit-def: $vgpr27
                                        ; implicit-def: $vgpr25
                                        ; implicit-def: $vgpr3_vgpr4
                                        ; implicit-def: $vgpr11_vgpr12
	s_cbranch_scc1 .LBB730_19
; %bb.35:                               ;   in Loop: Header=BB730_20 Depth=1
	v_lshl_add_u32 v3, v42, 2, v46
	s_barrier
	ds_write_b32 v46, v40
	ds_write_b32 v45, v39
	;; [unrolled: 1-line block ×4, first 2 shown]
	s_waitcnt lgkmcnt(0)
	s_barrier
	ds_read2st64_b32 v[24:25], v35 offset1:1
	ds_read2st64_b32 v[26:27], v35 offset0:2 offset1:3
	s_waitcnt lgkmcnt(0)
	s_barrier
	ds_write_b64 v3, v[21:22]
	v_lshl_add_u32 v3, v41, 2, v45
	ds_write_b64 v3, v[17:18]
	v_lshl_add_u32 v3, v2, 2, v44
	;; [unrolled: 2-line block ×3, first 2 shown]
	ds_write_b64 v3, v[7:8]
	s_waitcnt lgkmcnt(0)
	s_barrier
	ds_read2st64_b64 v[3:6], v36 offset1:1
	ds_read2st64_b64 v[11:14], v36 offset0:2 offset1:3
	s_add_i32 s44, s37, -8
	s_mov_b64 s[26:27], 0
	s_waitcnt lgkmcnt(0)
	s_barrier
	s_branch .LBB730_19
.LBB730_36:
	v_add_u32_e32 v3, v29, v31
	s_barrier
	ds_write_b32 v46, v40
	ds_write_b32 v45, v39
	;; [unrolled: 1-line block ×4, first 2 shown]
	s_waitcnt lgkmcnt(0)
	s_barrier
	ds_read2st64_b32 v[12:13], v3 offset1:4
	ds_read2st64_b32 v[19:20], v3 offset0:8 offset1:12
	v_lshl_add_u32 v3, v42, 2, v46
	s_waitcnt lgkmcnt(0)
	s_barrier
	ds_write_b64 v3, v[21:22]
	v_lshl_add_u32 v3, v41, 2, v45
	v_lshl_add_u32 v2, v2, 2, v44
	;; [unrolled: 1-line block ×3, first 2 shown]
	v_lshlrev_b32_e32 v11, 3, v0
	ds_write_b64 v3, v[17:18]
	ds_write_b64 v2, v[9:10]
	;; [unrolled: 1-line block ×3, first 2 shown]
	s_waitcnt lgkmcnt(0)
	s_barrier
	ds_read2st64_b64 v[5:8], v11 offset1:4
	ds_read2st64_b64 v[1:4], v11 offset0:8 offset1:12
	s_add_u32 s0, s38, s34
	s_addc_u32 s1, s39, s35
	v_mov_b32_e32 v10, s1
	v_add_co_u32_e64 v9, s[0:1], s0, v28
	v_xor_b32_e32 v15, 0x80000000, v12
	v_xor_b32_e32 v14, 0x80000000, v13
	;; [unrolled: 1-line block ×4, first 2 shown]
	s_andn2_b64 vcc, exec, s[30:31]
	v_addc_co_u32_e64 v10, s[0:1], 0, v10, s[0:1]
	s_cbranch_vccnz .LBB730_38
; %bb.37:
	s_lshl_b64 s[0:1], s[28:29], 3
	s_add_u32 s0, s42, s0
	s_addc_u32 s1, s43, s1
	v_mov_b32_e32 v16, s1
	v_add_co_u32_e32 v17, vcc, s0, v11
	v_addc_co_u32_e32 v18, vcc, 0, v16, vcc
	v_add_co_u32_e32 v16, vcc, 0x1000, v17
	global_store_dword v[9:10], v15, off
	global_store_dword v[9:10], v14, off offset:1024
	global_store_dword v[9:10], v13, off offset:2048
	;; [unrolled: 1-line block ×3, first 2 shown]
	s_waitcnt lgkmcnt(1)
	global_store_dwordx2 v11, v[5:6], s[0:1]
	global_store_dwordx2 v11, v[7:8], s[0:1] offset:2048
	v_addc_co_u32_e32 v17, vcc, 0, v18, vcc
	s_mov_b64 s[6:7], -1
	s_waitcnt lgkmcnt(0)
	global_store_dwordx2 v[16:17], v[1:2], off
	s_cbranch_execz .LBB730_39
	s_branch .LBB730_52
.LBB730_38:
	s_mov_b64 s[6:7], 0
.LBB730_39:
	v_cmp_gt_u32_e32 vcc, s33, v0
	s_and_saveexec_b64 s[0:1], vcc
	s_cbranch_execz .LBB730_41
; %bb.40:
	global_store_dword v[9:10], v15, off
.LBB730_41:
	s_or_b64 exec, exec, s[0:1]
	v_or_b32_e32 v15, 0x100, v0
	v_cmp_gt_u32_e64 s[0:1], s33, v15
	s_and_saveexec_b64 s[2:3], s[0:1]
	s_cbranch_execz .LBB730_43
; %bb.42:
	global_store_dword v[9:10], v14, off offset:1024
.LBB730_43:
	s_or_b64 exec, exec, s[2:3]
	v_or_b32_e32 v14, 0x200, v0
	v_cmp_gt_u32_e64 s[2:3], s33, v14
	s_and_saveexec_b64 s[4:5], s[2:3]
	s_cbranch_execz .LBB730_45
; %bb.44:
	global_store_dword v[9:10], v13, off offset:2048
.LBB730_45:
	;; [unrolled: 8-line block ×3, first 2 shown]
	s_or_b64 exec, exec, s[4:5]
	s_lshl_b64 s[4:5], s[28:29], 3
	s_add_u32 s4, s42, s4
	s_addc_u32 s5, s43, s5
	v_mov_b32_e32 v0, s5
	v_add_co_u32_e64 v9, s[4:5], s4, v11
	v_addc_co_u32_e64 v10, s[4:5], 0, v0, s[4:5]
	s_and_saveexec_b64 s[4:5], vcc
	s_cbranch_execnz .LBB730_57
; %bb.48:
	s_or_b64 exec, exec, s[4:5]
	s_and_saveexec_b64 s[4:5], s[0:1]
	s_cbranch_execnz .LBB730_58
.LBB730_49:
	s_or_b64 exec, exec, s[4:5]
	s_and_saveexec_b64 s[0:1], s[2:3]
	s_cbranch_execz .LBB730_51
.LBB730_50:
	s_waitcnt lgkmcnt(1)
	v_add_co_u32_e32 v5, vcc, 0x1000, v9
	v_addc_co_u32_e32 v6, vcc, 0, v10, vcc
	s_waitcnt lgkmcnt(0)
	global_store_dwordx2 v[5:6], v[1:2], off
.LBB730_51:
	s_or_b64 exec, exec, s[0:1]
.LBB730_52:
	s_and_saveexec_b64 s[0:1], s[6:7]
	s_cbranch_execnz .LBB730_54
; %bb.53:
	s_endpgm
.LBB730_54:
	s_lshl_b64 s[0:1], s[28:29], 3
	s_add_u32 s0, s42, s0
	s_addc_u32 s1, s43, s1
	v_mov_b32_e32 v0, s1
	s_waitcnt lgkmcnt(0)
	v_add_co_u32_e32 v1, vcc, s0, v11
	v_addc_co_u32_e32 v2, vcc, 0, v0, vcc
	v_add_co_u32_e32 v0, vcc, 0x1000, v1
	v_addc_co_u32_e32 v1, vcc, 0, v2, vcc
	global_store_dwordx2 v[0:1], v[3:4], off offset:2048
	s_endpgm
.LBB730_55:
	global_load_dwordx2 v[3:4], v[13:14], off
	s_or_b64 exec, exec, s[6:7]
	s_and_saveexec_b64 s[6:7], s[0:1]
	s_cbranch_execz .LBB730_13
.LBB730_56:
	global_load_dwordx2 v[5:6], v[13:14], off offset:512
	s_or_b64 exec, exec, s[6:7]
                                        ; implicit-def: $vgpr11_vgpr12
	s_and_saveexec_b64 s[0:1], s[2:3]
	s_cbranch_execnz .LBB730_14
	s_branch .LBB730_15
.LBB730_57:
	s_waitcnt lgkmcnt(1)
	global_store_dwordx2 v[9:10], v[5:6], off
	s_or_b64 exec, exec, s[4:5]
	s_and_saveexec_b64 s[4:5], s[0:1]
	s_cbranch_execz .LBB730_49
.LBB730_58:
	s_waitcnt lgkmcnt(1)
	global_store_dwordx2 v[9:10], v[7:8], off offset:2048
	s_or_b64 exec, exec, s[4:5]
	s_and_saveexec_b64 s[0:1], s[2:3]
	s_cbranch_execnz .LBB730_50
	s_branch .LBB730_51
	.section	.rodata,"a",@progbits
	.p2align	6, 0x0
	.amdhsa_kernel _ZN7rocprim17ROCPRIM_400000_NS6detail17trampoline_kernelINS0_13kernel_configILj256ELj4ELj4294967295EEENS1_37radix_sort_block_sort_config_selectorIilEEZNS1_21radix_sort_block_sortIS4_Lb0EPiS8_N6thrust23THRUST_200600_302600_NS10device_ptrIlEESC_NS0_19identity_decomposerEEE10hipError_tT1_T2_T3_T4_jRjT5_jjP12ihipStream_tbEUlT_E_NS1_11comp_targetILNS1_3genE2ELNS1_11target_archE906ELNS1_3gpuE6ELNS1_3repE0EEENS1_44radix_sort_block_sort_config_static_selectorELNS0_4arch9wavefront6targetE1EEEvSF_
		.amdhsa_group_segment_fixed_size 8192
		.amdhsa_private_segment_fixed_size 0
		.amdhsa_kernarg_size 304
		.amdhsa_user_sgpr_count 6
		.amdhsa_user_sgpr_private_segment_buffer 1
		.amdhsa_user_sgpr_dispatch_ptr 0
		.amdhsa_user_sgpr_queue_ptr 0
		.amdhsa_user_sgpr_kernarg_segment_ptr 1
		.amdhsa_user_sgpr_dispatch_id 0
		.amdhsa_user_sgpr_flat_scratch_init 0
		.amdhsa_user_sgpr_private_segment_size 0
		.amdhsa_uses_dynamic_stack 0
		.amdhsa_system_sgpr_private_segment_wavefront_offset 0
		.amdhsa_system_sgpr_workgroup_id_x 1
		.amdhsa_system_sgpr_workgroup_id_y 0
		.amdhsa_system_sgpr_workgroup_id_z 0
		.amdhsa_system_sgpr_workgroup_info 0
		.amdhsa_system_vgpr_workitem_id 2
		.amdhsa_next_free_vgpr 47
		.amdhsa_next_free_sgpr 61
		.amdhsa_reserve_vcc 1
		.amdhsa_reserve_flat_scratch 0
		.amdhsa_float_round_mode_32 0
		.amdhsa_float_round_mode_16_64 0
		.amdhsa_float_denorm_mode_32 3
		.amdhsa_float_denorm_mode_16_64 3
		.amdhsa_dx10_clamp 1
		.amdhsa_ieee_mode 1
		.amdhsa_fp16_overflow 0
		.amdhsa_exception_fp_ieee_invalid_op 0
		.amdhsa_exception_fp_denorm_src 0
		.amdhsa_exception_fp_ieee_div_zero 0
		.amdhsa_exception_fp_ieee_overflow 0
		.amdhsa_exception_fp_ieee_underflow 0
		.amdhsa_exception_fp_ieee_inexact 0
		.amdhsa_exception_int_div_zero 0
	.end_amdhsa_kernel
	.section	.text._ZN7rocprim17ROCPRIM_400000_NS6detail17trampoline_kernelINS0_13kernel_configILj256ELj4ELj4294967295EEENS1_37radix_sort_block_sort_config_selectorIilEEZNS1_21radix_sort_block_sortIS4_Lb0EPiS8_N6thrust23THRUST_200600_302600_NS10device_ptrIlEESC_NS0_19identity_decomposerEEE10hipError_tT1_T2_T3_T4_jRjT5_jjP12ihipStream_tbEUlT_E_NS1_11comp_targetILNS1_3genE2ELNS1_11target_archE906ELNS1_3gpuE6ELNS1_3repE0EEENS1_44radix_sort_block_sort_config_static_selectorELNS0_4arch9wavefront6targetE1EEEvSF_,"axG",@progbits,_ZN7rocprim17ROCPRIM_400000_NS6detail17trampoline_kernelINS0_13kernel_configILj256ELj4ELj4294967295EEENS1_37radix_sort_block_sort_config_selectorIilEEZNS1_21radix_sort_block_sortIS4_Lb0EPiS8_N6thrust23THRUST_200600_302600_NS10device_ptrIlEESC_NS0_19identity_decomposerEEE10hipError_tT1_T2_T3_T4_jRjT5_jjP12ihipStream_tbEUlT_E_NS1_11comp_targetILNS1_3genE2ELNS1_11target_archE906ELNS1_3gpuE6ELNS1_3repE0EEENS1_44radix_sort_block_sort_config_static_selectorELNS0_4arch9wavefront6targetE1EEEvSF_,comdat
.Lfunc_end730:
	.size	_ZN7rocprim17ROCPRIM_400000_NS6detail17trampoline_kernelINS0_13kernel_configILj256ELj4ELj4294967295EEENS1_37radix_sort_block_sort_config_selectorIilEEZNS1_21radix_sort_block_sortIS4_Lb0EPiS8_N6thrust23THRUST_200600_302600_NS10device_ptrIlEESC_NS0_19identity_decomposerEEE10hipError_tT1_T2_T3_T4_jRjT5_jjP12ihipStream_tbEUlT_E_NS1_11comp_targetILNS1_3genE2ELNS1_11target_archE906ELNS1_3gpuE6ELNS1_3repE0EEENS1_44radix_sort_block_sort_config_static_selectorELNS0_4arch9wavefront6targetE1EEEvSF_, .Lfunc_end730-_ZN7rocprim17ROCPRIM_400000_NS6detail17trampoline_kernelINS0_13kernel_configILj256ELj4ELj4294967295EEENS1_37radix_sort_block_sort_config_selectorIilEEZNS1_21radix_sort_block_sortIS4_Lb0EPiS8_N6thrust23THRUST_200600_302600_NS10device_ptrIlEESC_NS0_19identity_decomposerEEE10hipError_tT1_T2_T3_T4_jRjT5_jjP12ihipStream_tbEUlT_E_NS1_11comp_targetILNS1_3genE2ELNS1_11target_archE906ELNS1_3gpuE6ELNS1_3repE0EEENS1_44radix_sort_block_sort_config_static_selectorELNS0_4arch9wavefront6targetE1EEEvSF_
                                        ; -- End function
	.set _ZN7rocprim17ROCPRIM_400000_NS6detail17trampoline_kernelINS0_13kernel_configILj256ELj4ELj4294967295EEENS1_37radix_sort_block_sort_config_selectorIilEEZNS1_21radix_sort_block_sortIS4_Lb0EPiS8_N6thrust23THRUST_200600_302600_NS10device_ptrIlEESC_NS0_19identity_decomposerEEE10hipError_tT1_T2_T3_T4_jRjT5_jjP12ihipStream_tbEUlT_E_NS1_11comp_targetILNS1_3genE2ELNS1_11target_archE906ELNS1_3gpuE6ELNS1_3repE0EEENS1_44radix_sort_block_sort_config_static_selectorELNS0_4arch9wavefront6targetE1EEEvSF_.num_vgpr, 47
	.set _ZN7rocprim17ROCPRIM_400000_NS6detail17trampoline_kernelINS0_13kernel_configILj256ELj4ELj4294967295EEENS1_37radix_sort_block_sort_config_selectorIilEEZNS1_21radix_sort_block_sortIS4_Lb0EPiS8_N6thrust23THRUST_200600_302600_NS10device_ptrIlEESC_NS0_19identity_decomposerEEE10hipError_tT1_T2_T3_T4_jRjT5_jjP12ihipStream_tbEUlT_E_NS1_11comp_targetILNS1_3genE2ELNS1_11target_archE906ELNS1_3gpuE6ELNS1_3repE0EEENS1_44radix_sort_block_sort_config_static_selectorELNS0_4arch9wavefront6targetE1EEEvSF_.num_agpr, 0
	.set _ZN7rocprim17ROCPRIM_400000_NS6detail17trampoline_kernelINS0_13kernel_configILj256ELj4ELj4294967295EEENS1_37radix_sort_block_sort_config_selectorIilEEZNS1_21radix_sort_block_sortIS4_Lb0EPiS8_N6thrust23THRUST_200600_302600_NS10device_ptrIlEESC_NS0_19identity_decomposerEEE10hipError_tT1_T2_T3_T4_jRjT5_jjP12ihipStream_tbEUlT_E_NS1_11comp_targetILNS1_3genE2ELNS1_11target_archE906ELNS1_3gpuE6ELNS1_3repE0EEENS1_44radix_sort_block_sort_config_static_selectorELNS0_4arch9wavefront6targetE1EEEvSF_.numbered_sgpr, 48
	.set _ZN7rocprim17ROCPRIM_400000_NS6detail17trampoline_kernelINS0_13kernel_configILj256ELj4ELj4294967295EEENS1_37radix_sort_block_sort_config_selectorIilEEZNS1_21radix_sort_block_sortIS4_Lb0EPiS8_N6thrust23THRUST_200600_302600_NS10device_ptrIlEESC_NS0_19identity_decomposerEEE10hipError_tT1_T2_T3_T4_jRjT5_jjP12ihipStream_tbEUlT_E_NS1_11comp_targetILNS1_3genE2ELNS1_11target_archE906ELNS1_3gpuE6ELNS1_3repE0EEENS1_44radix_sort_block_sort_config_static_selectorELNS0_4arch9wavefront6targetE1EEEvSF_.num_named_barrier, 0
	.set _ZN7rocprim17ROCPRIM_400000_NS6detail17trampoline_kernelINS0_13kernel_configILj256ELj4ELj4294967295EEENS1_37radix_sort_block_sort_config_selectorIilEEZNS1_21radix_sort_block_sortIS4_Lb0EPiS8_N6thrust23THRUST_200600_302600_NS10device_ptrIlEESC_NS0_19identity_decomposerEEE10hipError_tT1_T2_T3_T4_jRjT5_jjP12ihipStream_tbEUlT_E_NS1_11comp_targetILNS1_3genE2ELNS1_11target_archE906ELNS1_3gpuE6ELNS1_3repE0EEENS1_44radix_sort_block_sort_config_static_selectorELNS0_4arch9wavefront6targetE1EEEvSF_.private_seg_size, 0
	.set _ZN7rocprim17ROCPRIM_400000_NS6detail17trampoline_kernelINS0_13kernel_configILj256ELj4ELj4294967295EEENS1_37radix_sort_block_sort_config_selectorIilEEZNS1_21radix_sort_block_sortIS4_Lb0EPiS8_N6thrust23THRUST_200600_302600_NS10device_ptrIlEESC_NS0_19identity_decomposerEEE10hipError_tT1_T2_T3_T4_jRjT5_jjP12ihipStream_tbEUlT_E_NS1_11comp_targetILNS1_3genE2ELNS1_11target_archE906ELNS1_3gpuE6ELNS1_3repE0EEENS1_44radix_sort_block_sort_config_static_selectorELNS0_4arch9wavefront6targetE1EEEvSF_.uses_vcc, 1
	.set _ZN7rocprim17ROCPRIM_400000_NS6detail17trampoline_kernelINS0_13kernel_configILj256ELj4ELj4294967295EEENS1_37radix_sort_block_sort_config_selectorIilEEZNS1_21radix_sort_block_sortIS4_Lb0EPiS8_N6thrust23THRUST_200600_302600_NS10device_ptrIlEESC_NS0_19identity_decomposerEEE10hipError_tT1_T2_T3_T4_jRjT5_jjP12ihipStream_tbEUlT_E_NS1_11comp_targetILNS1_3genE2ELNS1_11target_archE906ELNS1_3gpuE6ELNS1_3repE0EEENS1_44radix_sort_block_sort_config_static_selectorELNS0_4arch9wavefront6targetE1EEEvSF_.uses_flat_scratch, 0
	.set _ZN7rocprim17ROCPRIM_400000_NS6detail17trampoline_kernelINS0_13kernel_configILj256ELj4ELj4294967295EEENS1_37radix_sort_block_sort_config_selectorIilEEZNS1_21radix_sort_block_sortIS4_Lb0EPiS8_N6thrust23THRUST_200600_302600_NS10device_ptrIlEESC_NS0_19identity_decomposerEEE10hipError_tT1_T2_T3_T4_jRjT5_jjP12ihipStream_tbEUlT_E_NS1_11comp_targetILNS1_3genE2ELNS1_11target_archE906ELNS1_3gpuE6ELNS1_3repE0EEENS1_44radix_sort_block_sort_config_static_selectorELNS0_4arch9wavefront6targetE1EEEvSF_.has_dyn_sized_stack, 0
	.set _ZN7rocprim17ROCPRIM_400000_NS6detail17trampoline_kernelINS0_13kernel_configILj256ELj4ELj4294967295EEENS1_37radix_sort_block_sort_config_selectorIilEEZNS1_21radix_sort_block_sortIS4_Lb0EPiS8_N6thrust23THRUST_200600_302600_NS10device_ptrIlEESC_NS0_19identity_decomposerEEE10hipError_tT1_T2_T3_T4_jRjT5_jjP12ihipStream_tbEUlT_E_NS1_11comp_targetILNS1_3genE2ELNS1_11target_archE906ELNS1_3gpuE6ELNS1_3repE0EEENS1_44radix_sort_block_sort_config_static_selectorELNS0_4arch9wavefront6targetE1EEEvSF_.has_recursion, 0
	.set _ZN7rocprim17ROCPRIM_400000_NS6detail17trampoline_kernelINS0_13kernel_configILj256ELj4ELj4294967295EEENS1_37radix_sort_block_sort_config_selectorIilEEZNS1_21radix_sort_block_sortIS4_Lb0EPiS8_N6thrust23THRUST_200600_302600_NS10device_ptrIlEESC_NS0_19identity_decomposerEEE10hipError_tT1_T2_T3_T4_jRjT5_jjP12ihipStream_tbEUlT_E_NS1_11comp_targetILNS1_3genE2ELNS1_11target_archE906ELNS1_3gpuE6ELNS1_3repE0EEENS1_44radix_sort_block_sort_config_static_selectorELNS0_4arch9wavefront6targetE1EEEvSF_.has_indirect_call, 0
	.section	.AMDGPU.csdata,"",@progbits
; Kernel info:
; codeLenInByte = 3820
; TotalNumSgprs: 52
; NumVgprs: 47
; ScratchSize: 0
; MemoryBound: 0
; FloatMode: 240
; IeeeMode: 1
; LDSByteSize: 8192 bytes/workgroup (compile time only)
; SGPRBlocks: 8
; VGPRBlocks: 11
; NumSGPRsForWavesPerEU: 65
; NumVGPRsForWavesPerEU: 47
; Occupancy: 5
; WaveLimiterHint : 1
; COMPUTE_PGM_RSRC2:SCRATCH_EN: 0
; COMPUTE_PGM_RSRC2:USER_SGPR: 6
; COMPUTE_PGM_RSRC2:TRAP_HANDLER: 0
; COMPUTE_PGM_RSRC2:TGID_X_EN: 1
; COMPUTE_PGM_RSRC2:TGID_Y_EN: 0
; COMPUTE_PGM_RSRC2:TGID_Z_EN: 0
; COMPUTE_PGM_RSRC2:TIDIG_COMP_CNT: 2
	.section	.text._ZN7rocprim17ROCPRIM_400000_NS6detail17trampoline_kernelINS0_13kernel_configILj256ELj4ELj4294967295EEENS1_37radix_sort_block_sort_config_selectorIilEEZNS1_21radix_sort_block_sortIS4_Lb0EPiS8_N6thrust23THRUST_200600_302600_NS10device_ptrIlEESC_NS0_19identity_decomposerEEE10hipError_tT1_T2_T3_T4_jRjT5_jjP12ihipStream_tbEUlT_E_NS1_11comp_targetILNS1_3genE10ELNS1_11target_archE1201ELNS1_3gpuE5ELNS1_3repE0EEENS1_44radix_sort_block_sort_config_static_selectorELNS0_4arch9wavefront6targetE1EEEvSF_,"axG",@progbits,_ZN7rocprim17ROCPRIM_400000_NS6detail17trampoline_kernelINS0_13kernel_configILj256ELj4ELj4294967295EEENS1_37radix_sort_block_sort_config_selectorIilEEZNS1_21radix_sort_block_sortIS4_Lb0EPiS8_N6thrust23THRUST_200600_302600_NS10device_ptrIlEESC_NS0_19identity_decomposerEEE10hipError_tT1_T2_T3_T4_jRjT5_jjP12ihipStream_tbEUlT_E_NS1_11comp_targetILNS1_3genE10ELNS1_11target_archE1201ELNS1_3gpuE5ELNS1_3repE0EEENS1_44radix_sort_block_sort_config_static_selectorELNS0_4arch9wavefront6targetE1EEEvSF_,comdat
	.protected	_ZN7rocprim17ROCPRIM_400000_NS6detail17trampoline_kernelINS0_13kernel_configILj256ELj4ELj4294967295EEENS1_37radix_sort_block_sort_config_selectorIilEEZNS1_21radix_sort_block_sortIS4_Lb0EPiS8_N6thrust23THRUST_200600_302600_NS10device_ptrIlEESC_NS0_19identity_decomposerEEE10hipError_tT1_T2_T3_T4_jRjT5_jjP12ihipStream_tbEUlT_E_NS1_11comp_targetILNS1_3genE10ELNS1_11target_archE1201ELNS1_3gpuE5ELNS1_3repE0EEENS1_44radix_sort_block_sort_config_static_selectorELNS0_4arch9wavefront6targetE1EEEvSF_ ; -- Begin function _ZN7rocprim17ROCPRIM_400000_NS6detail17trampoline_kernelINS0_13kernel_configILj256ELj4ELj4294967295EEENS1_37radix_sort_block_sort_config_selectorIilEEZNS1_21radix_sort_block_sortIS4_Lb0EPiS8_N6thrust23THRUST_200600_302600_NS10device_ptrIlEESC_NS0_19identity_decomposerEEE10hipError_tT1_T2_T3_T4_jRjT5_jjP12ihipStream_tbEUlT_E_NS1_11comp_targetILNS1_3genE10ELNS1_11target_archE1201ELNS1_3gpuE5ELNS1_3repE0EEENS1_44radix_sort_block_sort_config_static_selectorELNS0_4arch9wavefront6targetE1EEEvSF_
	.globl	_ZN7rocprim17ROCPRIM_400000_NS6detail17trampoline_kernelINS0_13kernel_configILj256ELj4ELj4294967295EEENS1_37radix_sort_block_sort_config_selectorIilEEZNS1_21radix_sort_block_sortIS4_Lb0EPiS8_N6thrust23THRUST_200600_302600_NS10device_ptrIlEESC_NS0_19identity_decomposerEEE10hipError_tT1_T2_T3_T4_jRjT5_jjP12ihipStream_tbEUlT_E_NS1_11comp_targetILNS1_3genE10ELNS1_11target_archE1201ELNS1_3gpuE5ELNS1_3repE0EEENS1_44radix_sort_block_sort_config_static_selectorELNS0_4arch9wavefront6targetE1EEEvSF_
	.p2align	8
	.type	_ZN7rocprim17ROCPRIM_400000_NS6detail17trampoline_kernelINS0_13kernel_configILj256ELj4ELj4294967295EEENS1_37radix_sort_block_sort_config_selectorIilEEZNS1_21radix_sort_block_sortIS4_Lb0EPiS8_N6thrust23THRUST_200600_302600_NS10device_ptrIlEESC_NS0_19identity_decomposerEEE10hipError_tT1_T2_T3_T4_jRjT5_jjP12ihipStream_tbEUlT_E_NS1_11comp_targetILNS1_3genE10ELNS1_11target_archE1201ELNS1_3gpuE5ELNS1_3repE0EEENS1_44radix_sort_block_sort_config_static_selectorELNS0_4arch9wavefront6targetE1EEEvSF_,@function
_ZN7rocprim17ROCPRIM_400000_NS6detail17trampoline_kernelINS0_13kernel_configILj256ELj4ELj4294967295EEENS1_37radix_sort_block_sort_config_selectorIilEEZNS1_21radix_sort_block_sortIS4_Lb0EPiS8_N6thrust23THRUST_200600_302600_NS10device_ptrIlEESC_NS0_19identity_decomposerEEE10hipError_tT1_T2_T3_T4_jRjT5_jjP12ihipStream_tbEUlT_E_NS1_11comp_targetILNS1_3genE10ELNS1_11target_archE1201ELNS1_3gpuE5ELNS1_3repE0EEENS1_44radix_sort_block_sort_config_static_selectorELNS0_4arch9wavefront6targetE1EEEvSF_: ; @_ZN7rocprim17ROCPRIM_400000_NS6detail17trampoline_kernelINS0_13kernel_configILj256ELj4ELj4294967295EEENS1_37radix_sort_block_sort_config_selectorIilEEZNS1_21radix_sort_block_sortIS4_Lb0EPiS8_N6thrust23THRUST_200600_302600_NS10device_ptrIlEESC_NS0_19identity_decomposerEEE10hipError_tT1_T2_T3_T4_jRjT5_jjP12ihipStream_tbEUlT_E_NS1_11comp_targetILNS1_3genE10ELNS1_11target_archE1201ELNS1_3gpuE5ELNS1_3repE0EEENS1_44radix_sort_block_sort_config_static_selectorELNS0_4arch9wavefront6targetE1EEEvSF_
; %bb.0:
	.section	.rodata,"a",@progbits
	.p2align	6, 0x0
	.amdhsa_kernel _ZN7rocprim17ROCPRIM_400000_NS6detail17trampoline_kernelINS0_13kernel_configILj256ELj4ELj4294967295EEENS1_37radix_sort_block_sort_config_selectorIilEEZNS1_21radix_sort_block_sortIS4_Lb0EPiS8_N6thrust23THRUST_200600_302600_NS10device_ptrIlEESC_NS0_19identity_decomposerEEE10hipError_tT1_T2_T3_T4_jRjT5_jjP12ihipStream_tbEUlT_E_NS1_11comp_targetILNS1_3genE10ELNS1_11target_archE1201ELNS1_3gpuE5ELNS1_3repE0EEENS1_44radix_sort_block_sort_config_static_selectorELNS0_4arch9wavefront6targetE1EEEvSF_
		.amdhsa_group_segment_fixed_size 0
		.amdhsa_private_segment_fixed_size 0
		.amdhsa_kernarg_size 48
		.amdhsa_user_sgpr_count 6
		.amdhsa_user_sgpr_private_segment_buffer 1
		.amdhsa_user_sgpr_dispatch_ptr 0
		.amdhsa_user_sgpr_queue_ptr 0
		.amdhsa_user_sgpr_kernarg_segment_ptr 1
		.amdhsa_user_sgpr_dispatch_id 0
		.amdhsa_user_sgpr_flat_scratch_init 0
		.amdhsa_user_sgpr_private_segment_size 0
		.amdhsa_uses_dynamic_stack 0
		.amdhsa_system_sgpr_private_segment_wavefront_offset 0
		.amdhsa_system_sgpr_workgroup_id_x 1
		.amdhsa_system_sgpr_workgroup_id_y 0
		.amdhsa_system_sgpr_workgroup_id_z 0
		.amdhsa_system_sgpr_workgroup_info 0
		.amdhsa_system_vgpr_workitem_id 0
		.amdhsa_next_free_vgpr 1
		.amdhsa_next_free_sgpr 0
		.amdhsa_reserve_vcc 0
		.amdhsa_reserve_flat_scratch 0
		.amdhsa_float_round_mode_32 0
		.amdhsa_float_round_mode_16_64 0
		.amdhsa_float_denorm_mode_32 3
		.amdhsa_float_denorm_mode_16_64 3
		.amdhsa_dx10_clamp 1
		.amdhsa_ieee_mode 1
		.amdhsa_fp16_overflow 0
		.amdhsa_exception_fp_ieee_invalid_op 0
		.amdhsa_exception_fp_denorm_src 0
		.amdhsa_exception_fp_ieee_div_zero 0
		.amdhsa_exception_fp_ieee_overflow 0
		.amdhsa_exception_fp_ieee_underflow 0
		.amdhsa_exception_fp_ieee_inexact 0
		.amdhsa_exception_int_div_zero 0
	.end_amdhsa_kernel
	.section	.text._ZN7rocprim17ROCPRIM_400000_NS6detail17trampoline_kernelINS0_13kernel_configILj256ELj4ELj4294967295EEENS1_37radix_sort_block_sort_config_selectorIilEEZNS1_21radix_sort_block_sortIS4_Lb0EPiS8_N6thrust23THRUST_200600_302600_NS10device_ptrIlEESC_NS0_19identity_decomposerEEE10hipError_tT1_T2_T3_T4_jRjT5_jjP12ihipStream_tbEUlT_E_NS1_11comp_targetILNS1_3genE10ELNS1_11target_archE1201ELNS1_3gpuE5ELNS1_3repE0EEENS1_44radix_sort_block_sort_config_static_selectorELNS0_4arch9wavefront6targetE1EEEvSF_,"axG",@progbits,_ZN7rocprim17ROCPRIM_400000_NS6detail17trampoline_kernelINS0_13kernel_configILj256ELj4ELj4294967295EEENS1_37radix_sort_block_sort_config_selectorIilEEZNS1_21radix_sort_block_sortIS4_Lb0EPiS8_N6thrust23THRUST_200600_302600_NS10device_ptrIlEESC_NS0_19identity_decomposerEEE10hipError_tT1_T2_T3_T4_jRjT5_jjP12ihipStream_tbEUlT_E_NS1_11comp_targetILNS1_3genE10ELNS1_11target_archE1201ELNS1_3gpuE5ELNS1_3repE0EEENS1_44radix_sort_block_sort_config_static_selectorELNS0_4arch9wavefront6targetE1EEEvSF_,comdat
.Lfunc_end731:
	.size	_ZN7rocprim17ROCPRIM_400000_NS6detail17trampoline_kernelINS0_13kernel_configILj256ELj4ELj4294967295EEENS1_37radix_sort_block_sort_config_selectorIilEEZNS1_21radix_sort_block_sortIS4_Lb0EPiS8_N6thrust23THRUST_200600_302600_NS10device_ptrIlEESC_NS0_19identity_decomposerEEE10hipError_tT1_T2_T3_T4_jRjT5_jjP12ihipStream_tbEUlT_E_NS1_11comp_targetILNS1_3genE10ELNS1_11target_archE1201ELNS1_3gpuE5ELNS1_3repE0EEENS1_44radix_sort_block_sort_config_static_selectorELNS0_4arch9wavefront6targetE1EEEvSF_, .Lfunc_end731-_ZN7rocprim17ROCPRIM_400000_NS6detail17trampoline_kernelINS0_13kernel_configILj256ELj4ELj4294967295EEENS1_37radix_sort_block_sort_config_selectorIilEEZNS1_21radix_sort_block_sortIS4_Lb0EPiS8_N6thrust23THRUST_200600_302600_NS10device_ptrIlEESC_NS0_19identity_decomposerEEE10hipError_tT1_T2_T3_T4_jRjT5_jjP12ihipStream_tbEUlT_E_NS1_11comp_targetILNS1_3genE10ELNS1_11target_archE1201ELNS1_3gpuE5ELNS1_3repE0EEENS1_44radix_sort_block_sort_config_static_selectorELNS0_4arch9wavefront6targetE1EEEvSF_
                                        ; -- End function
	.set _ZN7rocprim17ROCPRIM_400000_NS6detail17trampoline_kernelINS0_13kernel_configILj256ELj4ELj4294967295EEENS1_37radix_sort_block_sort_config_selectorIilEEZNS1_21radix_sort_block_sortIS4_Lb0EPiS8_N6thrust23THRUST_200600_302600_NS10device_ptrIlEESC_NS0_19identity_decomposerEEE10hipError_tT1_T2_T3_T4_jRjT5_jjP12ihipStream_tbEUlT_E_NS1_11comp_targetILNS1_3genE10ELNS1_11target_archE1201ELNS1_3gpuE5ELNS1_3repE0EEENS1_44radix_sort_block_sort_config_static_selectorELNS0_4arch9wavefront6targetE1EEEvSF_.num_vgpr, 0
	.set _ZN7rocprim17ROCPRIM_400000_NS6detail17trampoline_kernelINS0_13kernel_configILj256ELj4ELj4294967295EEENS1_37radix_sort_block_sort_config_selectorIilEEZNS1_21radix_sort_block_sortIS4_Lb0EPiS8_N6thrust23THRUST_200600_302600_NS10device_ptrIlEESC_NS0_19identity_decomposerEEE10hipError_tT1_T2_T3_T4_jRjT5_jjP12ihipStream_tbEUlT_E_NS1_11comp_targetILNS1_3genE10ELNS1_11target_archE1201ELNS1_3gpuE5ELNS1_3repE0EEENS1_44radix_sort_block_sort_config_static_selectorELNS0_4arch9wavefront6targetE1EEEvSF_.num_agpr, 0
	.set _ZN7rocprim17ROCPRIM_400000_NS6detail17trampoline_kernelINS0_13kernel_configILj256ELj4ELj4294967295EEENS1_37radix_sort_block_sort_config_selectorIilEEZNS1_21radix_sort_block_sortIS4_Lb0EPiS8_N6thrust23THRUST_200600_302600_NS10device_ptrIlEESC_NS0_19identity_decomposerEEE10hipError_tT1_T2_T3_T4_jRjT5_jjP12ihipStream_tbEUlT_E_NS1_11comp_targetILNS1_3genE10ELNS1_11target_archE1201ELNS1_3gpuE5ELNS1_3repE0EEENS1_44radix_sort_block_sort_config_static_selectorELNS0_4arch9wavefront6targetE1EEEvSF_.numbered_sgpr, 0
	.set _ZN7rocprim17ROCPRIM_400000_NS6detail17trampoline_kernelINS0_13kernel_configILj256ELj4ELj4294967295EEENS1_37radix_sort_block_sort_config_selectorIilEEZNS1_21radix_sort_block_sortIS4_Lb0EPiS8_N6thrust23THRUST_200600_302600_NS10device_ptrIlEESC_NS0_19identity_decomposerEEE10hipError_tT1_T2_T3_T4_jRjT5_jjP12ihipStream_tbEUlT_E_NS1_11comp_targetILNS1_3genE10ELNS1_11target_archE1201ELNS1_3gpuE5ELNS1_3repE0EEENS1_44radix_sort_block_sort_config_static_selectorELNS0_4arch9wavefront6targetE1EEEvSF_.num_named_barrier, 0
	.set _ZN7rocprim17ROCPRIM_400000_NS6detail17trampoline_kernelINS0_13kernel_configILj256ELj4ELj4294967295EEENS1_37radix_sort_block_sort_config_selectorIilEEZNS1_21radix_sort_block_sortIS4_Lb0EPiS8_N6thrust23THRUST_200600_302600_NS10device_ptrIlEESC_NS0_19identity_decomposerEEE10hipError_tT1_T2_T3_T4_jRjT5_jjP12ihipStream_tbEUlT_E_NS1_11comp_targetILNS1_3genE10ELNS1_11target_archE1201ELNS1_3gpuE5ELNS1_3repE0EEENS1_44radix_sort_block_sort_config_static_selectorELNS0_4arch9wavefront6targetE1EEEvSF_.private_seg_size, 0
	.set _ZN7rocprim17ROCPRIM_400000_NS6detail17trampoline_kernelINS0_13kernel_configILj256ELj4ELj4294967295EEENS1_37radix_sort_block_sort_config_selectorIilEEZNS1_21radix_sort_block_sortIS4_Lb0EPiS8_N6thrust23THRUST_200600_302600_NS10device_ptrIlEESC_NS0_19identity_decomposerEEE10hipError_tT1_T2_T3_T4_jRjT5_jjP12ihipStream_tbEUlT_E_NS1_11comp_targetILNS1_3genE10ELNS1_11target_archE1201ELNS1_3gpuE5ELNS1_3repE0EEENS1_44radix_sort_block_sort_config_static_selectorELNS0_4arch9wavefront6targetE1EEEvSF_.uses_vcc, 0
	.set _ZN7rocprim17ROCPRIM_400000_NS6detail17trampoline_kernelINS0_13kernel_configILj256ELj4ELj4294967295EEENS1_37radix_sort_block_sort_config_selectorIilEEZNS1_21radix_sort_block_sortIS4_Lb0EPiS8_N6thrust23THRUST_200600_302600_NS10device_ptrIlEESC_NS0_19identity_decomposerEEE10hipError_tT1_T2_T3_T4_jRjT5_jjP12ihipStream_tbEUlT_E_NS1_11comp_targetILNS1_3genE10ELNS1_11target_archE1201ELNS1_3gpuE5ELNS1_3repE0EEENS1_44radix_sort_block_sort_config_static_selectorELNS0_4arch9wavefront6targetE1EEEvSF_.uses_flat_scratch, 0
	.set _ZN7rocprim17ROCPRIM_400000_NS6detail17trampoline_kernelINS0_13kernel_configILj256ELj4ELj4294967295EEENS1_37radix_sort_block_sort_config_selectorIilEEZNS1_21radix_sort_block_sortIS4_Lb0EPiS8_N6thrust23THRUST_200600_302600_NS10device_ptrIlEESC_NS0_19identity_decomposerEEE10hipError_tT1_T2_T3_T4_jRjT5_jjP12ihipStream_tbEUlT_E_NS1_11comp_targetILNS1_3genE10ELNS1_11target_archE1201ELNS1_3gpuE5ELNS1_3repE0EEENS1_44radix_sort_block_sort_config_static_selectorELNS0_4arch9wavefront6targetE1EEEvSF_.has_dyn_sized_stack, 0
	.set _ZN7rocprim17ROCPRIM_400000_NS6detail17trampoline_kernelINS0_13kernel_configILj256ELj4ELj4294967295EEENS1_37radix_sort_block_sort_config_selectorIilEEZNS1_21radix_sort_block_sortIS4_Lb0EPiS8_N6thrust23THRUST_200600_302600_NS10device_ptrIlEESC_NS0_19identity_decomposerEEE10hipError_tT1_T2_T3_T4_jRjT5_jjP12ihipStream_tbEUlT_E_NS1_11comp_targetILNS1_3genE10ELNS1_11target_archE1201ELNS1_3gpuE5ELNS1_3repE0EEENS1_44radix_sort_block_sort_config_static_selectorELNS0_4arch9wavefront6targetE1EEEvSF_.has_recursion, 0
	.set _ZN7rocprim17ROCPRIM_400000_NS6detail17trampoline_kernelINS0_13kernel_configILj256ELj4ELj4294967295EEENS1_37radix_sort_block_sort_config_selectorIilEEZNS1_21radix_sort_block_sortIS4_Lb0EPiS8_N6thrust23THRUST_200600_302600_NS10device_ptrIlEESC_NS0_19identity_decomposerEEE10hipError_tT1_T2_T3_T4_jRjT5_jjP12ihipStream_tbEUlT_E_NS1_11comp_targetILNS1_3genE10ELNS1_11target_archE1201ELNS1_3gpuE5ELNS1_3repE0EEENS1_44radix_sort_block_sort_config_static_selectorELNS0_4arch9wavefront6targetE1EEEvSF_.has_indirect_call, 0
	.section	.AMDGPU.csdata,"",@progbits
; Kernel info:
; codeLenInByte = 0
; TotalNumSgprs: 4
; NumVgprs: 0
; ScratchSize: 0
; MemoryBound: 0
; FloatMode: 240
; IeeeMode: 1
; LDSByteSize: 0 bytes/workgroup (compile time only)
; SGPRBlocks: 0
; VGPRBlocks: 0
; NumSGPRsForWavesPerEU: 4
; NumVGPRsForWavesPerEU: 1
; Occupancy: 10
; WaveLimiterHint : 0
; COMPUTE_PGM_RSRC2:SCRATCH_EN: 0
; COMPUTE_PGM_RSRC2:USER_SGPR: 6
; COMPUTE_PGM_RSRC2:TRAP_HANDLER: 0
; COMPUTE_PGM_RSRC2:TGID_X_EN: 1
; COMPUTE_PGM_RSRC2:TGID_Y_EN: 0
; COMPUTE_PGM_RSRC2:TGID_Z_EN: 0
; COMPUTE_PGM_RSRC2:TIDIG_COMP_CNT: 0
	.section	.text._ZN7rocprim17ROCPRIM_400000_NS6detail17trampoline_kernelINS0_13kernel_configILj256ELj4ELj4294967295EEENS1_37radix_sort_block_sort_config_selectorIilEEZNS1_21radix_sort_block_sortIS4_Lb0EPiS8_N6thrust23THRUST_200600_302600_NS10device_ptrIlEESC_NS0_19identity_decomposerEEE10hipError_tT1_T2_T3_T4_jRjT5_jjP12ihipStream_tbEUlT_E_NS1_11comp_targetILNS1_3genE10ELNS1_11target_archE1200ELNS1_3gpuE4ELNS1_3repE0EEENS1_44radix_sort_block_sort_config_static_selectorELNS0_4arch9wavefront6targetE1EEEvSF_,"axG",@progbits,_ZN7rocprim17ROCPRIM_400000_NS6detail17trampoline_kernelINS0_13kernel_configILj256ELj4ELj4294967295EEENS1_37radix_sort_block_sort_config_selectorIilEEZNS1_21radix_sort_block_sortIS4_Lb0EPiS8_N6thrust23THRUST_200600_302600_NS10device_ptrIlEESC_NS0_19identity_decomposerEEE10hipError_tT1_T2_T3_T4_jRjT5_jjP12ihipStream_tbEUlT_E_NS1_11comp_targetILNS1_3genE10ELNS1_11target_archE1200ELNS1_3gpuE4ELNS1_3repE0EEENS1_44radix_sort_block_sort_config_static_selectorELNS0_4arch9wavefront6targetE1EEEvSF_,comdat
	.protected	_ZN7rocprim17ROCPRIM_400000_NS6detail17trampoline_kernelINS0_13kernel_configILj256ELj4ELj4294967295EEENS1_37radix_sort_block_sort_config_selectorIilEEZNS1_21radix_sort_block_sortIS4_Lb0EPiS8_N6thrust23THRUST_200600_302600_NS10device_ptrIlEESC_NS0_19identity_decomposerEEE10hipError_tT1_T2_T3_T4_jRjT5_jjP12ihipStream_tbEUlT_E_NS1_11comp_targetILNS1_3genE10ELNS1_11target_archE1200ELNS1_3gpuE4ELNS1_3repE0EEENS1_44radix_sort_block_sort_config_static_selectorELNS0_4arch9wavefront6targetE1EEEvSF_ ; -- Begin function _ZN7rocprim17ROCPRIM_400000_NS6detail17trampoline_kernelINS0_13kernel_configILj256ELj4ELj4294967295EEENS1_37radix_sort_block_sort_config_selectorIilEEZNS1_21radix_sort_block_sortIS4_Lb0EPiS8_N6thrust23THRUST_200600_302600_NS10device_ptrIlEESC_NS0_19identity_decomposerEEE10hipError_tT1_T2_T3_T4_jRjT5_jjP12ihipStream_tbEUlT_E_NS1_11comp_targetILNS1_3genE10ELNS1_11target_archE1200ELNS1_3gpuE4ELNS1_3repE0EEENS1_44radix_sort_block_sort_config_static_selectorELNS0_4arch9wavefront6targetE1EEEvSF_
	.globl	_ZN7rocprim17ROCPRIM_400000_NS6detail17trampoline_kernelINS0_13kernel_configILj256ELj4ELj4294967295EEENS1_37radix_sort_block_sort_config_selectorIilEEZNS1_21radix_sort_block_sortIS4_Lb0EPiS8_N6thrust23THRUST_200600_302600_NS10device_ptrIlEESC_NS0_19identity_decomposerEEE10hipError_tT1_T2_T3_T4_jRjT5_jjP12ihipStream_tbEUlT_E_NS1_11comp_targetILNS1_3genE10ELNS1_11target_archE1200ELNS1_3gpuE4ELNS1_3repE0EEENS1_44radix_sort_block_sort_config_static_selectorELNS0_4arch9wavefront6targetE1EEEvSF_
	.p2align	8
	.type	_ZN7rocprim17ROCPRIM_400000_NS6detail17trampoline_kernelINS0_13kernel_configILj256ELj4ELj4294967295EEENS1_37radix_sort_block_sort_config_selectorIilEEZNS1_21radix_sort_block_sortIS4_Lb0EPiS8_N6thrust23THRUST_200600_302600_NS10device_ptrIlEESC_NS0_19identity_decomposerEEE10hipError_tT1_T2_T3_T4_jRjT5_jjP12ihipStream_tbEUlT_E_NS1_11comp_targetILNS1_3genE10ELNS1_11target_archE1200ELNS1_3gpuE4ELNS1_3repE0EEENS1_44radix_sort_block_sort_config_static_selectorELNS0_4arch9wavefront6targetE1EEEvSF_,@function
_ZN7rocprim17ROCPRIM_400000_NS6detail17trampoline_kernelINS0_13kernel_configILj256ELj4ELj4294967295EEENS1_37radix_sort_block_sort_config_selectorIilEEZNS1_21radix_sort_block_sortIS4_Lb0EPiS8_N6thrust23THRUST_200600_302600_NS10device_ptrIlEESC_NS0_19identity_decomposerEEE10hipError_tT1_T2_T3_T4_jRjT5_jjP12ihipStream_tbEUlT_E_NS1_11comp_targetILNS1_3genE10ELNS1_11target_archE1200ELNS1_3gpuE4ELNS1_3repE0EEENS1_44radix_sort_block_sort_config_static_selectorELNS0_4arch9wavefront6targetE1EEEvSF_: ; @_ZN7rocprim17ROCPRIM_400000_NS6detail17trampoline_kernelINS0_13kernel_configILj256ELj4ELj4294967295EEENS1_37radix_sort_block_sort_config_selectorIilEEZNS1_21radix_sort_block_sortIS4_Lb0EPiS8_N6thrust23THRUST_200600_302600_NS10device_ptrIlEESC_NS0_19identity_decomposerEEE10hipError_tT1_T2_T3_T4_jRjT5_jjP12ihipStream_tbEUlT_E_NS1_11comp_targetILNS1_3genE10ELNS1_11target_archE1200ELNS1_3gpuE4ELNS1_3repE0EEENS1_44radix_sort_block_sort_config_static_selectorELNS0_4arch9wavefront6targetE1EEEvSF_
; %bb.0:
	.section	.rodata,"a",@progbits
	.p2align	6, 0x0
	.amdhsa_kernel _ZN7rocprim17ROCPRIM_400000_NS6detail17trampoline_kernelINS0_13kernel_configILj256ELj4ELj4294967295EEENS1_37radix_sort_block_sort_config_selectorIilEEZNS1_21radix_sort_block_sortIS4_Lb0EPiS8_N6thrust23THRUST_200600_302600_NS10device_ptrIlEESC_NS0_19identity_decomposerEEE10hipError_tT1_T2_T3_T4_jRjT5_jjP12ihipStream_tbEUlT_E_NS1_11comp_targetILNS1_3genE10ELNS1_11target_archE1200ELNS1_3gpuE4ELNS1_3repE0EEENS1_44radix_sort_block_sort_config_static_selectorELNS0_4arch9wavefront6targetE1EEEvSF_
		.amdhsa_group_segment_fixed_size 0
		.amdhsa_private_segment_fixed_size 0
		.amdhsa_kernarg_size 48
		.amdhsa_user_sgpr_count 6
		.amdhsa_user_sgpr_private_segment_buffer 1
		.amdhsa_user_sgpr_dispatch_ptr 0
		.amdhsa_user_sgpr_queue_ptr 0
		.amdhsa_user_sgpr_kernarg_segment_ptr 1
		.amdhsa_user_sgpr_dispatch_id 0
		.amdhsa_user_sgpr_flat_scratch_init 0
		.amdhsa_user_sgpr_private_segment_size 0
		.amdhsa_uses_dynamic_stack 0
		.amdhsa_system_sgpr_private_segment_wavefront_offset 0
		.amdhsa_system_sgpr_workgroup_id_x 1
		.amdhsa_system_sgpr_workgroup_id_y 0
		.amdhsa_system_sgpr_workgroup_id_z 0
		.amdhsa_system_sgpr_workgroup_info 0
		.amdhsa_system_vgpr_workitem_id 0
		.amdhsa_next_free_vgpr 1
		.amdhsa_next_free_sgpr 0
		.amdhsa_reserve_vcc 0
		.amdhsa_reserve_flat_scratch 0
		.amdhsa_float_round_mode_32 0
		.amdhsa_float_round_mode_16_64 0
		.amdhsa_float_denorm_mode_32 3
		.amdhsa_float_denorm_mode_16_64 3
		.amdhsa_dx10_clamp 1
		.amdhsa_ieee_mode 1
		.amdhsa_fp16_overflow 0
		.amdhsa_exception_fp_ieee_invalid_op 0
		.amdhsa_exception_fp_denorm_src 0
		.amdhsa_exception_fp_ieee_div_zero 0
		.amdhsa_exception_fp_ieee_overflow 0
		.amdhsa_exception_fp_ieee_underflow 0
		.amdhsa_exception_fp_ieee_inexact 0
		.amdhsa_exception_int_div_zero 0
	.end_amdhsa_kernel
	.section	.text._ZN7rocprim17ROCPRIM_400000_NS6detail17trampoline_kernelINS0_13kernel_configILj256ELj4ELj4294967295EEENS1_37radix_sort_block_sort_config_selectorIilEEZNS1_21radix_sort_block_sortIS4_Lb0EPiS8_N6thrust23THRUST_200600_302600_NS10device_ptrIlEESC_NS0_19identity_decomposerEEE10hipError_tT1_T2_T3_T4_jRjT5_jjP12ihipStream_tbEUlT_E_NS1_11comp_targetILNS1_3genE10ELNS1_11target_archE1200ELNS1_3gpuE4ELNS1_3repE0EEENS1_44radix_sort_block_sort_config_static_selectorELNS0_4arch9wavefront6targetE1EEEvSF_,"axG",@progbits,_ZN7rocprim17ROCPRIM_400000_NS6detail17trampoline_kernelINS0_13kernel_configILj256ELj4ELj4294967295EEENS1_37radix_sort_block_sort_config_selectorIilEEZNS1_21radix_sort_block_sortIS4_Lb0EPiS8_N6thrust23THRUST_200600_302600_NS10device_ptrIlEESC_NS0_19identity_decomposerEEE10hipError_tT1_T2_T3_T4_jRjT5_jjP12ihipStream_tbEUlT_E_NS1_11comp_targetILNS1_3genE10ELNS1_11target_archE1200ELNS1_3gpuE4ELNS1_3repE0EEENS1_44radix_sort_block_sort_config_static_selectorELNS0_4arch9wavefront6targetE1EEEvSF_,comdat
.Lfunc_end732:
	.size	_ZN7rocprim17ROCPRIM_400000_NS6detail17trampoline_kernelINS0_13kernel_configILj256ELj4ELj4294967295EEENS1_37radix_sort_block_sort_config_selectorIilEEZNS1_21radix_sort_block_sortIS4_Lb0EPiS8_N6thrust23THRUST_200600_302600_NS10device_ptrIlEESC_NS0_19identity_decomposerEEE10hipError_tT1_T2_T3_T4_jRjT5_jjP12ihipStream_tbEUlT_E_NS1_11comp_targetILNS1_3genE10ELNS1_11target_archE1200ELNS1_3gpuE4ELNS1_3repE0EEENS1_44radix_sort_block_sort_config_static_selectorELNS0_4arch9wavefront6targetE1EEEvSF_, .Lfunc_end732-_ZN7rocprim17ROCPRIM_400000_NS6detail17trampoline_kernelINS0_13kernel_configILj256ELj4ELj4294967295EEENS1_37radix_sort_block_sort_config_selectorIilEEZNS1_21radix_sort_block_sortIS4_Lb0EPiS8_N6thrust23THRUST_200600_302600_NS10device_ptrIlEESC_NS0_19identity_decomposerEEE10hipError_tT1_T2_T3_T4_jRjT5_jjP12ihipStream_tbEUlT_E_NS1_11comp_targetILNS1_3genE10ELNS1_11target_archE1200ELNS1_3gpuE4ELNS1_3repE0EEENS1_44radix_sort_block_sort_config_static_selectorELNS0_4arch9wavefront6targetE1EEEvSF_
                                        ; -- End function
	.set _ZN7rocprim17ROCPRIM_400000_NS6detail17trampoline_kernelINS0_13kernel_configILj256ELj4ELj4294967295EEENS1_37radix_sort_block_sort_config_selectorIilEEZNS1_21radix_sort_block_sortIS4_Lb0EPiS8_N6thrust23THRUST_200600_302600_NS10device_ptrIlEESC_NS0_19identity_decomposerEEE10hipError_tT1_T2_T3_T4_jRjT5_jjP12ihipStream_tbEUlT_E_NS1_11comp_targetILNS1_3genE10ELNS1_11target_archE1200ELNS1_3gpuE4ELNS1_3repE0EEENS1_44radix_sort_block_sort_config_static_selectorELNS0_4arch9wavefront6targetE1EEEvSF_.num_vgpr, 0
	.set _ZN7rocprim17ROCPRIM_400000_NS6detail17trampoline_kernelINS0_13kernel_configILj256ELj4ELj4294967295EEENS1_37radix_sort_block_sort_config_selectorIilEEZNS1_21radix_sort_block_sortIS4_Lb0EPiS8_N6thrust23THRUST_200600_302600_NS10device_ptrIlEESC_NS0_19identity_decomposerEEE10hipError_tT1_T2_T3_T4_jRjT5_jjP12ihipStream_tbEUlT_E_NS1_11comp_targetILNS1_3genE10ELNS1_11target_archE1200ELNS1_3gpuE4ELNS1_3repE0EEENS1_44radix_sort_block_sort_config_static_selectorELNS0_4arch9wavefront6targetE1EEEvSF_.num_agpr, 0
	.set _ZN7rocprim17ROCPRIM_400000_NS6detail17trampoline_kernelINS0_13kernel_configILj256ELj4ELj4294967295EEENS1_37radix_sort_block_sort_config_selectorIilEEZNS1_21radix_sort_block_sortIS4_Lb0EPiS8_N6thrust23THRUST_200600_302600_NS10device_ptrIlEESC_NS0_19identity_decomposerEEE10hipError_tT1_T2_T3_T4_jRjT5_jjP12ihipStream_tbEUlT_E_NS1_11comp_targetILNS1_3genE10ELNS1_11target_archE1200ELNS1_3gpuE4ELNS1_3repE0EEENS1_44radix_sort_block_sort_config_static_selectorELNS0_4arch9wavefront6targetE1EEEvSF_.numbered_sgpr, 0
	.set _ZN7rocprim17ROCPRIM_400000_NS6detail17trampoline_kernelINS0_13kernel_configILj256ELj4ELj4294967295EEENS1_37radix_sort_block_sort_config_selectorIilEEZNS1_21radix_sort_block_sortIS4_Lb0EPiS8_N6thrust23THRUST_200600_302600_NS10device_ptrIlEESC_NS0_19identity_decomposerEEE10hipError_tT1_T2_T3_T4_jRjT5_jjP12ihipStream_tbEUlT_E_NS1_11comp_targetILNS1_3genE10ELNS1_11target_archE1200ELNS1_3gpuE4ELNS1_3repE0EEENS1_44radix_sort_block_sort_config_static_selectorELNS0_4arch9wavefront6targetE1EEEvSF_.num_named_barrier, 0
	.set _ZN7rocprim17ROCPRIM_400000_NS6detail17trampoline_kernelINS0_13kernel_configILj256ELj4ELj4294967295EEENS1_37radix_sort_block_sort_config_selectorIilEEZNS1_21radix_sort_block_sortIS4_Lb0EPiS8_N6thrust23THRUST_200600_302600_NS10device_ptrIlEESC_NS0_19identity_decomposerEEE10hipError_tT1_T2_T3_T4_jRjT5_jjP12ihipStream_tbEUlT_E_NS1_11comp_targetILNS1_3genE10ELNS1_11target_archE1200ELNS1_3gpuE4ELNS1_3repE0EEENS1_44radix_sort_block_sort_config_static_selectorELNS0_4arch9wavefront6targetE1EEEvSF_.private_seg_size, 0
	.set _ZN7rocprim17ROCPRIM_400000_NS6detail17trampoline_kernelINS0_13kernel_configILj256ELj4ELj4294967295EEENS1_37radix_sort_block_sort_config_selectorIilEEZNS1_21radix_sort_block_sortIS4_Lb0EPiS8_N6thrust23THRUST_200600_302600_NS10device_ptrIlEESC_NS0_19identity_decomposerEEE10hipError_tT1_T2_T3_T4_jRjT5_jjP12ihipStream_tbEUlT_E_NS1_11comp_targetILNS1_3genE10ELNS1_11target_archE1200ELNS1_3gpuE4ELNS1_3repE0EEENS1_44radix_sort_block_sort_config_static_selectorELNS0_4arch9wavefront6targetE1EEEvSF_.uses_vcc, 0
	.set _ZN7rocprim17ROCPRIM_400000_NS6detail17trampoline_kernelINS0_13kernel_configILj256ELj4ELj4294967295EEENS1_37radix_sort_block_sort_config_selectorIilEEZNS1_21radix_sort_block_sortIS4_Lb0EPiS8_N6thrust23THRUST_200600_302600_NS10device_ptrIlEESC_NS0_19identity_decomposerEEE10hipError_tT1_T2_T3_T4_jRjT5_jjP12ihipStream_tbEUlT_E_NS1_11comp_targetILNS1_3genE10ELNS1_11target_archE1200ELNS1_3gpuE4ELNS1_3repE0EEENS1_44radix_sort_block_sort_config_static_selectorELNS0_4arch9wavefront6targetE1EEEvSF_.uses_flat_scratch, 0
	.set _ZN7rocprim17ROCPRIM_400000_NS6detail17trampoline_kernelINS0_13kernel_configILj256ELj4ELj4294967295EEENS1_37radix_sort_block_sort_config_selectorIilEEZNS1_21radix_sort_block_sortIS4_Lb0EPiS8_N6thrust23THRUST_200600_302600_NS10device_ptrIlEESC_NS0_19identity_decomposerEEE10hipError_tT1_T2_T3_T4_jRjT5_jjP12ihipStream_tbEUlT_E_NS1_11comp_targetILNS1_3genE10ELNS1_11target_archE1200ELNS1_3gpuE4ELNS1_3repE0EEENS1_44radix_sort_block_sort_config_static_selectorELNS0_4arch9wavefront6targetE1EEEvSF_.has_dyn_sized_stack, 0
	.set _ZN7rocprim17ROCPRIM_400000_NS6detail17trampoline_kernelINS0_13kernel_configILj256ELj4ELj4294967295EEENS1_37radix_sort_block_sort_config_selectorIilEEZNS1_21radix_sort_block_sortIS4_Lb0EPiS8_N6thrust23THRUST_200600_302600_NS10device_ptrIlEESC_NS0_19identity_decomposerEEE10hipError_tT1_T2_T3_T4_jRjT5_jjP12ihipStream_tbEUlT_E_NS1_11comp_targetILNS1_3genE10ELNS1_11target_archE1200ELNS1_3gpuE4ELNS1_3repE0EEENS1_44radix_sort_block_sort_config_static_selectorELNS0_4arch9wavefront6targetE1EEEvSF_.has_recursion, 0
	.set _ZN7rocprim17ROCPRIM_400000_NS6detail17trampoline_kernelINS0_13kernel_configILj256ELj4ELj4294967295EEENS1_37radix_sort_block_sort_config_selectorIilEEZNS1_21radix_sort_block_sortIS4_Lb0EPiS8_N6thrust23THRUST_200600_302600_NS10device_ptrIlEESC_NS0_19identity_decomposerEEE10hipError_tT1_T2_T3_T4_jRjT5_jjP12ihipStream_tbEUlT_E_NS1_11comp_targetILNS1_3genE10ELNS1_11target_archE1200ELNS1_3gpuE4ELNS1_3repE0EEENS1_44radix_sort_block_sort_config_static_selectorELNS0_4arch9wavefront6targetE1EEEvSF_.has_indirect_call, 0
	.section	.AMDGPU.csdata,"",@progbits
; Kernel info:
; codeLenInByte = 0
; TotalNumSgprs: 4
; NumVgprs: 0
; ScratchSize: 0
; MemoryBound: 0
; FloatMode: 240
; IeeeMode: 1
; LDSByteSize: 0 bytes/workgroup (compile time only)
; SGPRBlocks: 0
; VGPRBlocks: 0
; NumSGPRsForWavesPerEU: 4
; NumVGPRsForWavesPerEU: 1
; Occupancy: 10
; WaveLimiterHint : 0
; COMPUTE_PGM_RSRC2:SCRATCH_EN: 0
; COMPUTE_PGM_RSRC2:USER_SGPR: 6
; COMPUTE_PGM_RSRC2:TRAP_HANDLER: 0
; COMPUTE_PGM_RSRC2:TGID_X_EN: 1
; COMPUTE_PGM_RSRC2:TGID_Y_EN: 0
; COMPUTE_PGM_RSRC2:TGID_Z_EN: 0
; COMPUTE_PGM_RSRC2:TIDIG_COMP_CNT: 0
	.section	.text._ZN7rocprim17ROCPRIM_400000_NS6detail17trampoline_kernelINS0_13kernel_configILj256ELj4ELj4294967295EEENS1_37radix_sort_block_sort_config_selectorIilEEZNS1_21radix_sort_block_sortIS4_Lb0EPiS8_N6thrust23THRUST_200600_302600_NS10device_ptrIlEESC_NS0_19identity_decomposerEEE10hipError_tT1_T2_T3_T4_jRjT5_jjP12ihipStream_tbEUlT_E_NS1_11comp_targetILNS1_3genE9ELNS1_11target_archE1100ELNS1_3gpuE3ELNS1_3repE0EEENS1_44radix_sort_block_sort_config_static_selectorELNS0_4arch9wavefront6targetE1EEEvSF_,"axG",@progbits,_ZN7rocprim17ROCPRIM_400000_NS6detail17trampoline_kernelINS0_13kernel_configILj256ELj4ELj4294967295EEENS1_37radix_sort_block_sort_config_selectorIilEEZNS1_21radix_sort_block_sortIS4_Lb0EPiS8_N6thrust23THRUST_200600_302600_NS10device_ptrIlEESC_NS0_19identity_decomposerEEE10hipError_tT1_T2_T3_T4_jRjT5_jjP12ihipStream_tbEUlT_E_NS1_11comp_targetILNS1_3genE9ELNS1_11target_archE1100ELNS1_3gpuE3ELNS1_3repE0EEENS1_44radix_sort_block_sort_config_static_selectorELNS0_4arch9wavefront6targetE1EEEvSF_,comdat
	.protected	_ZN7rocprim17ROCPRIM_400000_NS6detail17trampoline_kernelINS0_13kernel_configILj256ELj4ELj4294967295EEENS1_37radix_sort_block_sort_config_selectorIilEEZNS1_21radix_sort_block_sortIS4_Lb0EPiS8_N6thrust23THRUST_200600_302600_NS10device_ptrIlEESC_NS0_19identity_decomposerEEE10hipError_tT1_T2_T3_T4_jRjT5_jjP12ihipStream_tbEUlT_E_NS1_11comp_targetILNS1_3genE9ELNS1_11target_archE1100ELNS1_3gpuE3ELNS1_3repE0EEENS1_44radix_sort_block_sort_config_static_selectorELNS0_4arch9wavefront6targetE1EEEvSF_ ; -- Begin function _ZN7rocprim17ROCPRIM_400000_NS6detail17trampoline_kernelINS0_13kernel_configILj256ELj4ELj4294967295EEENS1_37radix_sort_block_sort_config_selectorIilEEZNS1_21radix_sort_block_sortIS4_Lb0EPiS8_N6thrust23THRUST_200600_302600_NS10device_ptrIlEESC_NS0_19identity_decomposerEEE10hipError_tT1_T2_T3_T4_jRjT5_jjP12ihipStream_tbEUlT_E_NS1_11comp_targetILNS1_3genE9ELNS1_11target_archE1100ELNS1_3gpuE3ELNS1_3repE0EEENS1_44radix_sort_block_sort_config_static_selectorELNS0_4arch9wavefront6targetE1EEEvSF_
	.globl	_ZN7rocprim17ROCPRIM_400000_NS6detail17trampoline_kernelINS0_13kernel_configILj256ELj4ELj4294967295EEENS1_37radix_sort_block_sort_config_selectorIilEEZNS1_21radix_sort_block_sortIS4_Lb0EPiS8_N6thrust23THRUST_200600_302600_NS10device_ptrIlEESC_NS0_19identity_decomposerEEE10hipError_tT1_T2_T3_T4_jRjT5_jjP12ihipStream_tbEUlT_E_NS1_11comp_targetILNS1_3genE9ELNS1_11target_archE1100ELNS1_3gpuE3ELNS1_3repE0EEENS1_44radix_sort_block_sort_config_static_selectorELNS0_4arch9wavefront6targetE1EEEvSF_
	.p2align	8
	.type	_ZN7rocprim17ROCPRIM_400000_NS6detail17trampoline_kernelINS0_13kernel_configILj256ELj4ELj4294967295EEENS1_37radix_sort_block_sort_config_selectorIilEEZNS1_21radix_sort_block_sortIS4_Lb0EPiS8_N6thrust23THRUST_200600_302600_NS10device_ptrIlEESC_NS0_19identity_decomposerEEE10hipError_tT1_T2_T3_T4_jRjT5_jjP12ihipStream_tbEUlT_E_NS1_11comp_targetILNS1_3genE9ELNS1_11target_archE1100ELNS1_3gpuE3ELNS1_3repE0EEENS1_44radix_sort_block_sort_config_static_selectorELNS0_4arch9wavefront6targetE1EEEvSF_,@function
_ZN7rocprim17ROCPRIM_400000_NS6detail17trampoline_kernelINS0_13kernel_configILj256ELj4ELj4294967295EEENS1_37radix_sort_block_sort_config_selectorIilEEZNS1_21radix_sort_block_sortIS4_Lb0EPiS8_N6thrust23THRUST_200600_302600_NS10device_ptrIlEESC_NS0_19identity_decomposerEEE10hipError_tT1_T2_T3_T4_jRjT5_jjP12ihipStream_tbEUlT_E_NS1_11comp_targetILNS1_3genE9ELNS1_11target_archE1100ELNS1_3gpuE3ELNS1_3repE0EEENS1_44radix_sort_block_sort_config_static_selectorELNS0_4arch9wavefront6targetE1EEEvSF_: ; @_ZN7rocprim17ROCPRIM_400000_NS6detail17trampoline_kernelINS0_13kernel_configILj256ELj4ELj4294967295EEENS1_37radix_sort_block_sort_config_selectorIilEEZNS1_21radix_sort_block_sortIS4_Lb0EPiS8_N6thrust23THRUST_200600_302600_NS10device_ptrIlEESC_NS0_19identity_decomposerEEE10hipError_tT1_T2_T3_T4_jRjT5_jjP12ihipStream_tbEUlT_E_NS1_11comp_targetILNS1_3genE9ELNS1_11target_archE1100ELNS1_3gpuE3ELNS1_3repE0EEENS1_44radix_sort_block_sort_config_static_selectorELNS0_4arch9wavefront6targetE1EEEvSF_
; %bb.0:
	.section	.rodata,"a",@progbits
	.p2align	6, 0x0
	.amdhsa_kernel _ZN7rocprim17ROCPRIM_400000_NS6detail17trampoline_kernelINS0_13kernel_configILj256ELj4ELj4294967295EEENS1_37radix_sort_block_sort_config_selectorIilEEZNS1_21radix_sort_block_sortIS4_Lb0EPiS8_N6thrust23THRUST_200600_302600_NS10device_ptrIlEESC_NS0_19identity_decomposerEEE10hipError_tT1_T2_T3_T4_jRjT5_jjP12ihipStream_tbEUlT_E_NS1_11comp_targetILNS1_3genE9ELNS1_11target_archE1100ELNS1_3gpuE3ELNS1_3repE0EEENS1_44radix_sort_block_sort_config_static_selectorELNS0_4arch9wavefront6targetE1EEEvSF_
		.amdhsa_group_segment_fixed_size 0
		.amdhsa_private_segment_fixed_size 0
		.amdhsa_kernarg_size 48
		.amdhsa_user_sgpr_count 6
		.amdhsa_user_sgpr_private_segment_buffer 1
		.amdhsa_user_sgpr_dispatch_ptr 0
		.amdhsa_user_sgpr_queue_ptr 0
		.amdhsa_user_sgpr_kernarg_segment_ptr 1
		.amdhsa_user_sgpr_dispatch_id 0
		.amdhsa_user_sgpr_flat_scratch_init 0
		.amdhsa_user_sgpr_private_segment_size 0
		.amdhsa_uses_dynamic_stack 0
		.amdhsa_system_sgpr_private_segment_wavefront_offset 0
		.amdhsa_system_sgpr_workgroup_id_x 1
		.amdhsa_system_sgpr_workgroup_id_y 0
		.amdhsa_system_sgpr_workgroup_id_z 0
		.amdhsa_system_sgpr_workgroup_info 0
		.amdhsa_system_vgpr_workitem_id 0
		.amdhsa_next_free_vgpr 1
		.amdhsa_next_free_sgpr 0
		.amdhsa_reserve_vcc 0
		.amdhsa_reserve_flat_scratch 0
		.amdhsa_float_round_mode_32 0
		.amdhsa_float_round_mode_16_64 0
		.amdhsa_float_denorm_mode_32 3
		.amdhsa_float_denorm_mode_16_64 3
		.amdhsa_dx10_clamp 1
		.amdhsa_ieee_mode 1
		.amdhsa_fp16_overflow 0
		.amdhsa_exception_fp_ieee_invalid_op 0
		.amdhsa_exception_fp_denorm_src 0
		.amdhsa_exception_fp_ieee_div_zero 0
		.amdhsa_exception_fp_ieee_overflow 0
		.amdhsa_exception_fp_ieee_underflow 0
		.amdhsa_exception_fp_ieee_inexact 0
		.amdhsa_exception_int_div_zero 0
	.end_amdhsa_kernel
	.section	.text._ZN7rocprim17ROCPRIM_400000_NS6detail17trampoline_kernelINS0_13kernel_configILj256ELj4ELj4294967295EEENS1_37radix_sort_block_sort_config_selectorIilEEZNS1_21radix_sort_block_sortIS4_Lb0EPiS8_N6thrust23THRUST_200600_302600_NS10device_ptrIlEESC_NS0_19identity_decomposerEEE10hipError_tT1_T2_T3_T4_jRjT5_jjP12ihipStream_tbEUlT_E_NS1_11comp_targetILNS1_3genE9ELNS1_11target_archE1100ELNS1_3gpuE3ELNS1_3repE0EEENS1_44radix_sort_block_sort_config_static_selectorELNS0_4arch9wavefront6targetE1EEEvSF_,"axG",@progbits,_ZN7rocprim17ROCPRIM_400000_NS6detail17trampoline_kernelINS0_13kernel_configILj256ELj4ELj4294967295EEENS1_37radix_sort_block_sort_config_selectorIilEEZNS1_21radix_sort_block_sortIS4_Lb0EPiS8_N6thrust23THRUST_200600_302600_NS10device_ptrIlEESC_NS0_19identity_decomposerEEE10hipError_tT1_T2_T3_T4_jRjT5_jjP12ihipStream_tbEUlT_E_NS1_11comp_targetILNS1_3genE9ELNS1_11target_archE1100ELNS1_3gpuE3ELNS1_3repE0EEENS1_44radix_sort_block_sort_config_static_selectorELNS0_4arch9wavefront6targetE1EEEvSF_,comdat
.Lfunc_end733:
	.size	_ZN7rocprim17ROCPRIM_400000_NS6detail17trampoline_kernelINS0_13kernel_configILj256ELj4ELj4294967295EEENS1_37radix_sort_block_sort_config_selectorIilEEZNS1_21radix_sort_block_sortIS4_Lb0EPiS8_N6thrust23THRUST_200600_302600_NS10device_ptrIlEESC_NS0_19identity_decomposerEEE10hipError_tT1_T2_T3_T4_jRjT5_jjP12ihipStream_tbEUlT_E_NS1_11comp_targetILNS1_3genE9ELNS1_11target_archE1100ELNS1_3gpuE3ELNS1_3repE0EEENS1_44radix_sort_block_sort_config_static_selectorELNS0_4arch9wavefront6targetE1EEEvSF_, .Lfunc_end733-_ZN7rocprim17ROCPRIM_400000_NS6detail17trampoline_kernelINS0_13kernel_configILj256ELj4ELj4294967295EEENS1_37radix_sort_block_sort_config_selectorIilEEZNS1_21radix_sort_block_sortIS4_Lb0EPiS8_N6thrust23THRUST_200600_302600_NS10device_ptrIlEESC_NS0_19identity_decomposerEEE10hipError_tT1_T2_T3_T4_jRjT5_jjP12ihipStream_tbEUlT_E_NS1_11comp_targetILNS1_3genE9ELNS1_11target_archE1100ELNS1_3gpuE3ELNS1_3repE0EEENS1_44radix_sort_block_sort_config_static_selectorELNS0_4arch9wavefront6targetE1EEEvSF_
                                        ; -- End function
	.set _ZN7rocprim17ROCPRIM_400000_NS6detail17trampoline_kernelINS0_13kernel_configILj256ELj4ELj4294967295EEENS1_37radix_sort_block_sort_config_selectorIilEEZNS1_21radix_sort_block_sortIS4_Lb0EPiS8_N6thrust23THRUST_200600_302600_NS10device_ptrIlEESC_NS0_19identity_decomposerEEE10hipError_tT1_T2_T3_T4_jRjT5_jjP12ihipStream_tbEUlT_E_NS1_11comp_targetILNS1_3genE9ELNS1_11target_archE1100ELNS1_3gpuE3ELNS1_3repE0EEENS1_44radix_sort_block_sort_config_static_selectorELNS0_4arch9wavefront6targetE1EEEvSF_.num_vgpr, 0
	.set _ZN7rocprim17ROCPRIM_400000_NS6detail17trampoline_kernelINS0_13kernel_configILj256ELj4ELj4294967295EEENS1_37radix_sort_block_sort_config_selectorIilEEZNS1_21radix_sort_block_sortIS4_Lb0EPiS8_N6thrust23THRUST_200600_302600_NS10device_ptrIlEESC_NS0_19identity_decomposerEEE10hipError_tT1_T2_T3_T4_jRjT5_jjP12ihipStream_tbEUlT_E_NS1_11comp_targetILNS1_3genE9ELNS1_11target_archE1100ELNS1_3gpuE3ELNS1_3repE0EEENS1_44radix_sort_block_sort_config_static_selectorELNS0_4arch9wavefront6targetE1EEEvSF_.num_agpr, 0
	.set _ZN7rocprim17ROCPRIM_400000_NS6detail17trampoline_kernelINS0_13kernel_configILj256ELj4ELj4294967295EEENS1_37radix_sort_block_sort_config_selectorIilEEZNS1_21radix_sort_block_sortIS4_Lb0EPiS8_N6thrust23THRUST_200600_302600_NS10device_ptrIlEESC_NS0_19identity_decomposerEEE10hipError_tT1_T2_T3_T4_jRjT5_jjP12ihipStream_tbEUlT_E_NS1_11comp_targetILNS1_3genE9ELNS1_11target_archE1100ELNS1_3gpuE3ELNS1_3repE0EEENS1_44radix_sort_block_sort_config_static_selectorELNS0_4arch9wavefront6targetE1EEEvSF_.numbered_sgpr, 0
	.set _ZN7rocprim17ROCPRIM_400000_NS6detail17trampoline_kernelINS0_13kernel_configILj256ELj4ELj4294967295EEENS1_37radix_sort_block_sort_config_selectorIilEEZNS1_21radix_sort_block_sortIS4_Lb0EPiS8_N6thrust23THRUST_200600_302600_NS10device_ptrIlEESC_NS0_19identity_decomposerEEE10hipError_tT1_T2_T3_T4_jRjT5_jjP12ihipStream_tbEUlT_E_NS1_11comp_targetILNS1_3genE9ELNS1_11target_archE1100ELNS1_3gpuE3ELNS1_3repE0EEENS1_44radix_sort_block_sort_config_static_selectorELNS0_4arch9wavefront6targetE1EEEvSF_.num_named_barrier, 0
	.set _ZN7rocprim17ROCPRIM_400000_NS6detail17trampoline_kernelINS0_13kernel_configILj256ELj4ELj4294967295EEENS1_37radix_sort_block_sort_config_selectorIilEEZNS1_21radix_sort_block_sortIS4_Lb0EPiS8_N6thrust23THRUST_200600_302600_NS10device_ptrIlEESC_NS0_19identity_decomposerEEE10hipError_tT1_T2_T3_T4_jRjT5_jjP12ihipStream_tbEUlT_E_NS1_11comp_targetILNS1_3genE9ELNS1_11target_archE1100ELNS1_3gpuE3ELNS1_3repE0EEENS1_44radix_sort_block_sort_config_static_selectorELNS0_4arch9wavefront6targetE1EEEvSF_.private_seg_size, 0
	.set _ZN7rocprim17ROCPRIM_400000_NS6detail17trampoline_kernelINS0_13kernel_configILj256ELj4ELj4294967295EEENS1_37radix_sort_block_sort_config_selectorIilEEZNS1_21radix_sort_block_sortIS4_Lb0EPiS8_N6thrust23THRUST_200600_302600_NS10device_ptrIlEESC_NS0_19identity_decomposerEEE10hipError_tT1_T2_T3_T4_jRjT5_jjP12ihipStream_tbEUlT_E_NS1_11comp_targetILNS1_3genE9ELNS1_11target_archE1100ELNS1_3gpuE3ELNS1_3repE0EEENS1_44radix_sort_block_sort_config_static_selectorELNS0_4arch9wavefront6targetE1EEEvSF_.uses_vcc, 0
	.set _ZN7rocprim17ROCPRIM_400000_NS6detail17trampoline_kernelINS0_13kernel_configILj256ELj4ELj4294967295EEENS1_37radix_sort_block_sort_config_selectorIilEEZNS1_21radix_sort_block_sortIS4_Lb0EPiS8_N6thrust23THRUST_200600_302600_NS10device_ptrIlEESC_NS0_19identity_decomposerEEE10hipError_tT1_T2_T3_T4_jRjT5_jjP12ihipStream_tbEUlT_E_NS1_11comp_targetILNS1_3genE9ELNS1_11target_archE1100ELNS1_3gpuE3ELNS1_3repE0EEENS1_44radix_sort_block_sort_config_static_selectorELNS0_4arch9wavefront6targetE1EEEvSF_.uses_flat_scratch, 0
	.set _ZN7rocprim17ROCPRIM_400000_NS6detail17trampoline_kernelINS0_13kernel_configILj256ELj4ELj4294967295EEENS1_37radix_sort_block_sort_config_selectorIilEEZNS1_21radix_sort_block_sortIS4_Lb0EPiS8_N6thrust23THRUST_200600_302600_NS10device_ptrIlEESC_NS0_19identity_decomposerEEE10hipError_tT1_T2_T3_T4_jRjT5_jjP12ihipStream_tbEUlT_E_NS1_11comp_targetILNS1_3genE9ELNS1_11target_archE1100ELNS1_3gpuE3ELNS1_3repE0EEENS1_44radix_sort_block_sort_config_static_selectorELNS0_4arch9wavefront6targetE1EEEvSF_.has_dyn_sized_stack, 0
	.set _ZN7rocprim17ROCPRIM_400000_NS6detail17trampoline_kernelINS0_13kernel_configILj256ELj4ELj4294967295EEENS1_37radix_sort_block_sort_config_selectorIilEEZNS1_21radix_sort_block_sortIS4_Lb0EPiS8_N6thrust23THRUST_200600_302600_NS10device_ptrIlEESC_NS0_19identity_decomposerEEE10hipError_tT1_T2_T3_T4_jRjT5_jjP12ihipStream_tbEUlT_E_NS1_11comp_targetILNS1_3genE9ELNS1_11target_archE1100ELNS1_3gpuE3ELNS1_3repE0EEENS1_44radix_sort_block_sort_config_static_selectorELNS0_4arch9wavefront6targetE1EEEvSF_.has_recursion, 0
	.set _ZN7rocprim17ROCPRIM_400000_NS6detail17trampoline_kernelINS0_13kernel_configILj256ELj4ELj4294967295EEENS1_37radix_sort_block_sort_config_selectorIilEEZNS1_21radix_sort_block_sortIS4_Lb0EPiS8_N6thrust23THRUST_200600_302600_NS10device_ptrIlEESC_NS0_19identity_decomposerEEE10hipError_tT1_T2_T3_T4_jRjT5_jjP12ihipStream_tbEUlT_E_NS1_11comp_targetILNS1_3genE9ELNS1_11target_archE1100ELNS1_3gpuE3ELNS1_3repE0EEENS1_44radix_sort_block_sort_config_static_selectorELNS0_4arch9wavefront6targetE1EEEvSF_.has_indirect_call, 0
	.section	.AMDGPU.csdata,"",@progbits
; Kernel info:
; codeLenInByte = 0
; TotalNumSgprs: 4
; NumVgprs: 0
; ScratchSize: 0
; MemoryBound: 0
; FloatMode: 240
; IeeeMode: 1
; LDSByteSize: 0 bytes/workgroup (compile time only)
; SGPRBlocks: 0
; VGPRBlocks: 0
; NumSGPRsForWavesPerEU: 4
; NumVGPRsForWavesPerEU: 1
; Occupancy: 10
; WaveLimiterHint : 0
; COMPUTE_PGM_RSRC2:SCRATCH_EN: 0
; COMPUTE_PGM_RSRC2:USER_SGPR: 6
; COMPUTE_PGM_RSRC2:TRAP_HANDLER: 0
; COMPUTE_PGM_RSRC2:TGID_X_EN: 1
; COMPUTE_PGM_RSRC2:TGID_Y_EN: 0
; COMPUTE_PGM_RSRC2:TGID_Z_EN: 0
; COMPUTE_PGM_RSRC2:TIDIG_COMP_CNT: 0
	.section	.text._ZN7rocprim17ROCPRIM_400000_NS6detail17trampoline_kernelINS0_13kernel_configILj256ELj4ELj4294967295EEENS1_37radix_sort_block_sort_config_selectorIilEEZNS1_21radix_sort_block_sortIS4_Lb0EPiS8_N6thrust23THRUST_200600_302600_NS10device_ptrIlEESC_NS0_19identity_decomposerEEE10hipError_tT1_T2_T3_T4_jRjT5_jjP12ihipStream_tbEUlT_E_NS1_11comp_targetILNS1_3genE8ELNS1_11target_archE1030ELNS1_3gpuE2ELNS1_3repE0EEENS1_44radix_sort_block_sort_config_static_selectorELNS0_4arch9wavefront6targetE1EEEvSF_,"axG",@progbits,_ZN7rocprim17ROCPRIM_400000_NS6detail17trampoline_kernelINS0_13kernel_configILj256ELj4ELj4294967295EEENS1_37radix_sort_block_sort_config_selectorIilEEZNS1_21radix_sort_block_sortIS4_Lb0EPiS8_N6thrust23THRUST_200600_302600_NS10device_ptrIlEESC_NS0_19identity_decomposerEEE10hipError_tT1_T2_T3_T4_jRjT5_jjP12ihipStream_tbEUlT_E_NS1_11comp_targetILNS1_3genE8ELNS1_11target_archE1030ELNS1_3gpuE2ELNS1_3repE0EEENS1_44radix_sort_block_sort_config_static_selectorELNS0_4arch9wavefront6targetE1EEEvSF_,comdat
	.protected	_ZN7rocprim17ROCPRIM_400000_NS6detail17trampoline_kernelINS0_13kernel_configILj256ELj4ELj4294967295EEENS1_37radix_sort_block_sort_config_selectorIilEEZNS1_21radix_sort_block_sortIS4_Lb0EPiS8_N6thrust23THRUST_200600_302600_NS10device_ptrIlEESC_NS0_19identity_decomposerEEE10hipError_tT1_T2_T3_T4_jRjT5_jjP12ihipStream_tbEUlT_E_NS1_11comp_targetILNS1_3genE8ELNS1_11target_archE1030ELNS1_3gpuE2ELNS1_3repE0EEENS1_44radix_sort_block_sort_config_static_selectorELNS0_4arch9wavefront6targetE1EEEvSF_ ; -- Begin function _ZN7rocprim17ROCPRIM_400000_NS6detail17trampoline_kernelINS0_13kernel_configILj256ELj4ELj4294967295EEENS1_37radix_sort_block_sort_config_selectorIilEEZNS1_21radix_sort_block_sortIS4_Lb0EPiS8_N6thrust23THRUST_200600_302600_NS10device_ptrIlEESC_NS0_19identity_decomposerEEE10hipError_tT1_T2_T3_T4_jRjT5_jjP12ihipStream_tbEUlT_E_NS1_11comp_targetILNS1_3genE8ELNS1_11target_archE1030ELNS1_3gpuE2ELNS1_3repE0EEENS1_44radix_sort_block_sort_config_static_selectorELNS0_4arch9wavefront6targetE1EEEvSF_
	.globl	_ZN7rocprim17ROCPRIM_400000_NS6detail17trampoline_kernelINS0_13kernel_configILj256ELj4ELj4294967295EEENS1_37radix_sort_block_sort_config_selectorIilEEZNS1_21radix_sort_block_sortIS4_Lb0EPiS8_N6thrust23THRUST_200600_302600_NS10device_ptrIlEESC_NS0_19identity_decomposerEEE10hipError_tT1_T2_T3_T4_jRjT5_jjP12ihipStream_tbEUlT_E_NS1_11comp_targetILNS1_3genE8ELNS1_11target_archE1030ELNS1_3gpuE2ELNS1_3repE0EEENS1_44radix_sort_block_sort_config_static_selectorELNS0_4arch9wavefront6targetE1EEEvSF_
	.p2align	8
	.type	_ZN7rocprim17ROCPRIM_400000_NS6detail17trampoline_kernelINS0_13kernel_configILj256ELj4ELj4294967295EEENS1_37radix_sort_block_sort_config_selectorIilEEZNS1_21radix_sort_block_sortIS4_Lb0EPiS8_N6thrust23THRUST_200600_302600_NS10device_ptrIlEESC_NS0_19identity_decomposerEEE10hipError_tT1_T2_T3_T4_jRjT5_jjP12ihipStream_tbEUlT_E_NS1_11comp_targetILNS1_3genE8ELNS1_11target_archE1030ELNS1_3gpuE2ELNS1_3repE0EEENS1_44radix_sort_block_sort_config_static_selectorELNS0_4arch9wavefront6targetE1EEEvSF_,@function
_ZN7rocprim17ROCPRIM_400000_NS6detail17trampoline_kernelINS0_13kernel_configILj256ELj4ELj4294967295EEENS1_37radix_sort_block_sort_config_selectorIilEEZNS1_21radix_sort_block_sortIS4_Lb0EPiS8_N6thrust23THRUST_200600_302600_NS10device_ptrIlEESC_NS0_19identity_decomposerEEE10hipError_tT1_T2_T3_T4_jRjT5_jjP12ihipStream_tbEUlT_E_NS1_11comp_targetILNS1_3genE8ELNS1_11target_archE1030ELNS1_3gpuE2ELNS1_3repE0EEENS1_44radix_sort_block_sort_config_static_selectorELNS0_4arch9wavefront6targetE1EEEvSF_: ; @_ZN7rocprim17ROCPRIM_400000_NS6detail17trampoline_kernelINS0_13kernel_configILj256ELj4ELj4294967295EEENS1_37radix_sort_block_sort_config_selectorIilEEZNS1_21radix_sort_block_sortIS4_Lb0EPiS8_N6thrust23THRUST_200600_302600_NS10device_ptrIlEESC_NS0_19identity_decomposerEEE10hipError_tT1_T2_T3_T4_jRjT5_jjP12ihipStream_tbEUlT_E_NS1_11comp_targetILNS1_3genE8ELNS1_11target_archE1030ELNS1_3gpuE2ELNS1_3repE0EEENS1_44radix_sort_block_sort_config_static_selectorELNS0_4arch9wavefront6targetE1EEEvSF_
; %bb.0:
	.section	.rodata,"a",@progbits
	.p2align	6, 0x0
	.amdhsa_kernel _ZN7rocprim17ROCPRIM_400000_NS6detail17trampoline_kernelINS0_13kernel_configILj256ELj4ELj4294967295EEENS1_37radix_sort_block_sort_config_selectorIilEEZNS1_21radix_sort_block_sortIS4_Lb0EPiS8_N6thrust23THRUST_200600_302600_NS10device_ptrIlEESC_NS0_19identity_decomposerEEE10hipError_tT1_T2_T3_T4_jRjT5_jjP12ihipStream_tbEUlT_E_NS1_11comp_targetILNS1_3genE8ELNS1_11target_archE1030ELNS1_3gpuE2ELNS1_3repE0EEENS1_44radix_sort_block_sort_config_static_selectorELNS0_4arch9wavefront6targetE1EEEvSF_
		.amdhsa_group_segment_fixed_size 0
		.amdhsa_private_segment_fixed_size 0
		.amdhsa_kernarg_size 48
		.amdhsa_user_sgpr_count 6
		.amdhsa_user_sgpr_private_segment_buffer 1
		.amdhsa_user_sgpr_dispatch_ptr 0
		.amdhsa_user_sgpr_queue_ptr 0
		.amdhsa_user_sgpr_kernarg_segment_ptr 1
		.amdhsa_user_sgpr_dispatch_id 0
		.amdhsa_user_sgpr_flat_scratch_init 0
		.amdhsa_user_sgpr_private_segment_size 0
		.amdhsa_uses_dynamic_stack 0
		.amdhsa_system_sgpr_private_segment_wavefront_offset 0
		.amdhsa_system_sgpr_workgroup_id_x 1
		.amdhsa_system_sgpr_workgroup_id_y 0
		.amdhsa_system_sgpr_workgroup_id_z 0
		.amdhsa_system_sgpr_workgroup_info 0
		.amdhsa_system_vgpr_workitem_id 0
		.amdhsa_next_free_vgpr 1
		.amdhsa_next_free_sgpr 0
		.amdhsa_reserve_vcc 0
		.amdhsa_reserve_flat_scratch 0
		.amdhsa_float_round_mode_32 0
		.amdhsa_float_round_mode_16_64 0
		.amdhsa_float_denorm_mode_32 3
		.amdhsa_float_denorm_mode_16_64 3
		.amdhsa_dx10_clamp 1
		.amdhsa_ieee_mode 1
		.amdhsa_fp16_overflow 0
		.amdhsa_exception_fp_ieee_invalid_op 0
		.amdhsa_exception_fp_denorm_src 0
		.amdhsa_exception_fp_ieee_div_zero 0
		.amdhsa_exception_fp_ieee_overflow 0
		.amdhsa_exception_fp_ieee_underflow 0
		.amdhsa_exception_fp_ieee_inexact 0
		.amdhsa_exception_int_div_zero 0
	.end_amdhsa_kernel
	.section	.text._ZN7rocprim17ROCPRIM_400000_NS6detail17trampoline_kernelINS0_13kernel_configILj256ELj4ELj4294967295EEENS1_37radix_sort_block_sort_config_selectorIilEEZNS1_21radix_sort_block_sortIS4_Lb0EPiS8_N6thrust23THRUST_200600_302600_NS10device_ptrIlEESC_NS0_19identity_decomposerEEE10hipError_tT1_T2_T3_T4_jRjT5_jjP12ihipStream_tbEUlT_E_NS1_11comp_targetILNS1_3genE8ELNS1_11target_archE1030ELNS1_3gpuE2ELNS1_3repE0EEENS1_44radix_sort_block_sort_config_static_selectorELNS0_4arch9wavefront6targetE1EEEvSF_,"axG",@progbits,_ZN7rocprim17ROCPRIM_400000_NS6detail17trampoline_kernelINS0_13kernel_configILj256ELj4ELj4294967295EEENS1_37radix_sort_block_sort_config_selectorIilEEZNS1_21radix_sort_block_sortIS4_Lb0EPiS8_N6thrust23THRUST_200600_302600_NS10device_ptrIlEESC_NS0_19identity_decomposerEEE10hipError_tT1_T2_T3_T4_jRjT5_jjP12ihipStream_tbEUlT_E_NS1_11comp_targetILNS1_3genE8ELNS1_11target_archE1030ELNS1_3gpuE2ELNS1_3repE0EEENS1_44radix_sort_block_sort_config_static_selectorELNS0_4arch9wavefront6targetE1EEEvSF_,comdat
.Lfunc_end734:
	.size	_ZN7rocprim17ROCPRIM_400000_NS6detail17trampoline_kernelINS0_13kernel_configILj256ELj4ELj4294967295EEENS1_37radix_sort_block_sort_config_selectorIilEEZNS1_21radix_sort_block_sortIS4_Lb0EPiS8_N6thrust23THRUST_200600_302600_NS10device_ptrIlEESC_NS0_19identity_decomposerEEE10hipError_tT1_T2_T3_T4_jRjT5_jjP12ihipStream_tbEUlT_E_NS1_11comp_targetILNS1_3genE8ELNS1_11target_archE1030ELNS1_3gpuE2ELNS1_3repE0EEENS1_44radix_sort_block_sort_config_static_selectorELNS0_4arch9wavefront6targetE1EEEvSF_, .Lfunc_end734-_ZN7rocprim17ROCPRIM_400000_NS6detail17trampoline_kernelINS0_13kernel_configILj256ELj4ELj4294967295EEENS1_37radix_sort_block_sort_config_selectorIilEEZNS1_21radix_sort_block_sortIS4_Lb0EPiS8_N6thrust23THRUST_200600_302600_NS10device_ptrIlEESC_NS0_19identity_decomposerEEE10hipError_tT1_T2_T3_T4_jRjT5_jjP12ihipStream_tbEUlT_E_NS1_11comp_targetILNS1_3genE8ELNS1_11target_archE1030ELNS1_3gpuE2ELNS1_3repE0EEENS1_44radix_sort_block_sort_config_static_selectorELNS0_4arch9wavefront6targetE1EEEvSF_
                                        ; -- End function
	.set _ZN7rocprim17ROCPRIM_400000_NS6detail17trampoline_kernelINS0_13kernel_configILj256ELj4ELj4294967295EEENS1_37radix_sort_block_sort_config_selectorIilEEZNS1_21radix_sort_block_sortIS4_Lb0EPiS8_N6thrust23THRUST_200600_302600_NS10device_ptrIlEESC_NS0_19identity_decomposerEEE10hipError_tT1_T2_T3_T4_jRjT5_jjP12ihipStream_tbEUlT_E_NS1_11comp_targetILNS1_3genE8ELNS1_11target_archE1030ELNS1_3gpuE2ELNS1_3repE0EEENS1_44radix_sort_block_sort_config_static_selectorELNS0_4arch9wavefront6targetE1EEEvSF_.num_vgpr, 0
	.set _ZN7rocprim17ROCPRIM_400000_NS6detail17trampoline_kernelINS0_13kernel_configILj256ELj4ELj4294967295EEENS1_37radix_sort_block_sort_config_selectorIilEEZNS1_21radix_sort_block_sortIS4_Lb0EPiS8_N6thrust23THRUST_200600_302600_NS10device_ptrIlEESC_NS0_19identity_decomposerEEE10hipError_tT1_T2_T3_T4_jRjT5_jjP12ihipStream_tbEUlT_E_NS1_11comp_targetILNS1_3genE8ELNS1_11target_archE1030ELNS1_3gpuE2ELNS1_3repE0EEENS1_44radix_sort_block_sort_config_static_selectorELNS0_4arch9wavefront6targetE1EEEvSF_.num_agpr, 0
	.set _ZN7rocprim17ROCPRIM_400000_NS6detail17trampoline_kernelINS0_13kernel_configILj256ELj4ELj4294967295EEENS1_37radix_sort_block_sort_config_selectorIilEEZNS1_21radix_sort_block_sortIS4_Lb0EPiS8_N6thrust23THRUST_200600_302600_NS10device_ptrIlEESC_NS0_19identity_decomposerEEE10hipError_tT1_T2_T3_T4_jRjT5_jjP12ihipStream_tbEUlT_E_NS1_11comp_targetILNS1_3genE8ELNS1_11target_archE1030ELNS1_3gpuE2ELNS1_3repE0EEENS1_44radix_sort_block_sort_config_static_selectorELNS0_4arch9wavefront6targetE1EEEvSF_.numbered_sgpr, 0
	.set _ZN7rocprim17ROCPRIM_400000_NS6detail17trampoline_kernelINS0_13kernel_configILj256ELj4ELj4294967295EEENS1_37radix_sort_block_sort_config_selectorIilEEZNS1_21radix_sort_block_sortIS4_Lb0EPiS8_N6thrust23THRUST_200600_302600_NS10device_ptrIlEESC_NS0_19identity_decomposerEEE10hipError_tT1_T2_T3_T4_jRjT5_jjP12ihipStream_tbEUlT_E_NS1_11comp_targetILNS1_3genE8ELNS1_11target_archE1030ELNS1_3gpuE2ELNS1_3repE0EEENS1_44radix_sort_block_sort_config_static_selectorELNS0_4arch9wavefront6targetE1EEEvSF_.num_named_barrier, 0
	.set _ZN7rocprim17ROCPRIM_400000_NS6detail17trampoline_kernelINS0_13kernel_configILj256ELj4ELj4294967295EEENS1_37radix_sort_block_sort_config_selectorIilEEZNS1_21radix_sort_block_sortIS4_Lb0EPiS8_N6thrust23THRUST_200600_302600_NS10device_ptrIlEESC_NS0_19identity_decomposerEEE10hipError_tT1_T2_T3_T4_jRjT5_jjP12ihipStream_tbEUlT_E_NS1_11comp_targetILNS1_3genE8ELNS1_11target_archE1030ELNS1_3gpuE2ELNS1_3repE0EEENS1_44radix_sort_block_sort_config_static_selectorELNS0_4arch9wavefront6targetE1EEEvSF_.private_seg_size, 0
	.set _ZN7rocprim17ROCPRIM_400000_NS6detail17trampoline_kernelINS0_13kernel_configILj256ELj4ELj4294967295EEENS1_37radix_sort_block_sort_config_selectorIilEEZNS1_21radix_sort_block_sortIS4_Lb0EPiS8_N6thrust23THRUST_200600_302600_NS10device_ptrIlEESC_NS0_19identity_decomposerEEE10hipError_tT1_T2_T3_T4_jRjT5_jjP12ihipStream_tbEUlT_E_NS1_11comp_targetILNS1_3genE8ELNS1_11target_archE1030ELNS1_3gpuE2ELNS1_3repE0EEENS1_44radix_sort_block_sort_config_static_selectorELNS0_4arch9wavefront6targetE1EEEvSF_.uses_vcc, 0
	.set _ZN7rocprim17ROCPRIM_400000_NS6detail17trampoline_kernelINS0_13kernel_configILj256ELj4ELj4294967295EEENS1_37radix_sort_block_sort_config_selectorIilEEZNS1_21radix_sort_block_sortIS4_Lb0EPiS8_N6thrust23THRUST_200600_302600_NS10device_ptrIlEESC_NS0_19identity_decomposerEEE10hipError_tT1_T2_T3_T4_jRjT5_jjP12ihipStream_tbEUlT_E_NS1_11comp_targetILNS1_3genE8ELNS1_11target_archE1030ELNS1_3gpuE2ELNS1_3repE0EEENS1_44radix_sort_block_sort_config_static_selectorELNS0_4arch9wavefront6targetE1EEEvSF_.uses_flat_scratch, 0
	.set _ZN7rocprim17ROCPRIM_400000_NS6detail17trampoline_kernelINS0_13kernel_configILj256ELj4ELj4294967295EEENS1_37radix_sort_block_sort_config_selectorIilEEZNS1_21radix_sort_block_sortIS4_Lb0EPiS8_N6thrust23THRUST_200600_302600_NS10device_ptrIlEESC_NS0_19identity_decomposerEEE10hipError_tT1_T2_T3_T4_jRjT5_jjP12ihipStream_tbEUlT_E_NS1_11comp_targetILNS1_3genE8ELNS1_11target_archE1030ELNS1_3gpuE2ELNS1_3repE0EEENS1_44radix_sort_block_sort_config_static_selectorELNS0_4arch9wavefront6targetE1EEEvSF_.has_dyn_sized_stack, 0
	.set _ZN7rocprim17ROCPRIM_400000_NS6detail17trampoline_kernelINS0_13kernel_configILj256ELj4ELj4294967295EEENS1_37radix_sort_block_sort_config_selectorIilEEZNS1_21radix_sort_block_sortIS4_Lb0EPiS8_N6thrust23THRUST_200600_302600_NS10device_ptrIlEESC_NS0_19identity_decomposerEEE10hipError_tT1_T2_T3_T4_jRjT5_jjP12ihipStream_tbEUlT_E_NS1_11comp_targetILNS1_3genE8ELNS1_11target_archE1030ELNS1_3gpuE2ELNS1_3repE0EEENS1_44radix_sort_block_sort_config_static_selectorELNS0_4arch9wavefront6targetE1EEEvSF_.has_recursion, 0
	.set _ZN7rocprim17ROCPRIM_400000_NS6detail17trampoline_kernelINS0_13kernel_configILj256ELj4ELj4294967295EEENS1_37radix_sort_block_sort_config_selectorIilEEZNS1_21radix_sort_block_sortIS4_Lb0EPiS8_N6thrust23THRUST_200600_302600_NS10device_ptrIlEESC_NS0_19identity_decomposerEEE10hipError_tT1_T2_T3_T4_jRjT5_jjP12ihipStream_tbEUlT_E_NS1_11comp_targetILNS1_3genE8ELNS1_11target_archE1030ELNS1_3gpuE2ELNS1_3repE0EEENS1_44radix_sort_block_sort_config_static_selectorELNS0_4arch9wavefront6targetE1EEEvSF_.has_indirect_call, 0
	.section	.AMDGPU.csdata,"",@progbits
; Kernel info:
; codeLenInByte = 0
; TotalNumSgprs: 4
; NumVgprs: 0
; ScratchSize: 0
; MemoryBound: 0
; FloatMode: 240
; IeeeMode: 1
; LDSByteSize: 0 bytes/workgroup (compile time only)
; SGPRBlocks: 0
; VGPRBlocks: 0
; NumSGPRsForWavesPerEU: 4
; NumVGPRsForWavesPerEU: 1
; Occupancy: 10
; WaveLimiterHint : 0
; COMPUTE_PGM_RSRC2:SCRATCH_EN: 0
; COMPUTE_PGM_RSRC2:USER_SGPR: 6
; COMPUTE_PGM_RSRC2:TRAP_HANDLER: 0
; COMPUTE_PGM_RSRC2:TGID_X_EN: 1
; COMPUTE_PGM_RSRC2:TGID_Y_EN: 0
; COMPUTE_PGM_RSRC2:TGID_Z_EN: 0
; COMPUTE_PGM_RSRC2:TIDIG_COMP_CNT: 0
	.section	.text._ZN7rocprim17ROCPRIM_400000_NS6detail44device_merge_sort_compile_time_verifier_archINS1_11comp_targetILNS1_3genE0ELNS1_11target_archE4294967295ELNS1_3gpuE0ELNS1_3repE0EEES8_NS1_28merge_sort_block_sort_configILj256ELj4ELNS0_20block_sort_algorithmE0EEENS0_14default_configENS1_37merge_sort_block_sort_config_selectorIilEENS1_38merge_sort_block_merge_config_selectorIilEEEEvv,"axG",@progbits,_ZN7rocprim17ROCPRIM_400000_NS6detail44device_merge_sort_compile_time_verifier_archINS1_11comp_targetILNS1_3genE0ELNS1_11target_archE4294967295ELNS1_3gpuE0ELNS1_3repE0EEES8_NS1_28merge_sort_block_sort_configILj256ELj4ELNS0_20block_sort_algorithmE0EEENS0_14default_configENS1_37merge_sort_block_sort_config_selectorIilEENS1_38merge_sort_block_merge_config_selectorIilEEEEvv,comdat
	.protected	_ZN7rocprim17ROCPRIM_400000_NS6detail44device_merge_sort_compile_time_verifier_archINS1_11comp_targetILNS1_3genE0ELNS1_11target_archE4294967295ELNS1_3gpuE0ELNS1_3repE0EEES8_NS1_28merge_sort_block_sort_configILj256ELj4ELNS0_20block_sort_algorithmE0EEENS0_14default_configENS1_37merge_sort_block_sort_config_selectorIilEENS1_38merge_sort_block_merge_config_selectorIilEEEEvv ; -- Begin function _ZN7rocprim17ROCPRIM_400000_NS6detail44device_merge_sort_compile_time_verifier_archINS1_11comp_targetILNS1_3genE0ELNS1_11target_archE4294967295ELNS1_3gpuE0ELNS1_3repE0EEES8_NS1_28merge_sort_block_sort_configILj256ELj4ELNS0_20block_sort_algorithmE0EEENS0_14default_configENS1_37merge_sort_block_sort_config_selectorIilEENS1_38merge_sort_block_merge_config_selectorIilEEEEvv
	.globl	_ZN7rocprim17ROCPRIM_400000_NS6detail44device_merge_sort_compile_time_verifier_archINS1_11comp_targetILNS1_3genE0ELNS1_11target_archE4294967295ELNS1_3gpuE0ELNS1_3repE0EEES8_NS1_28merge_sort_block_sort_configILj256ELj4ELNS0_20block_sort_algorithmE0EEENS0_14default_configENS1_37merge_sort_block_sort_config_selectorIilEENS1_38merge_sort_block_merge_config_selectorIilEEEEvv
	.p2align	8
	.type	_ZN7rocprim17ROCPRIM_400000_NS6detail44device_merge_sort_compile_time_verifier_archINS1_11comp_targetILNS1_3genE0ELNS1_11target_archE4294967295ELNS1_3gpuE0ELNS1_3repE0EEES8_NS1_28merge_sort_block_sort_configILj256ELj4ELNS0_20block_sort_algorithmE0EEENS0_14default_configENS1_37merge_sort_block_sort_config_selectorIilEENS1_38merge_sort_block_merge_config_selectorIilEEEEvv,@function
_ZN7rocprim17ROCPRIM_400000_NS6detail44device_merge_sort_compile_time_verifier_archINS1_11comp_targetILNS1_3genE0ELNS1_11target_archE4294967295ELNS1_3gpuE0ELNS1_3repE0EEES8_NS1_28merge_sort_block_sort_configILj256ELj4ELNS0_20block_sort_algorithmE0EEENS0_14default_configENS1_37merge_sort_block_sort_config_selectorIilEENS1_38merge_sort_block_merge_config_selectorIilEEEEvv: ; @_ZN7rocprim17ROCPRIM_400000_NS6detail44device_merge_sort_compile_time_verifier_archINS1_11comp_targetILNS1_3genE0ELNS1_11target_archE4294967295ELNS1_3gpuE0ELNS1_3repE0EEES8_NS1_28merge_sort_block_sort_configILj256ELj4ELNS0_20block_sort_algorithmE0EEENS0_14default_configENS1_37merge_sort_block_sort_config_selectorIilEENS1_38merge_sort_block_merge_config_selectorIilEEEEvv
; %bb.0:
	s_endpgm
	.section	.rodata,"a",@progbits
	.p2align	6, 0x0
	.amdhsa_kernel _ZN7rocprim17ROCPRIM_400000_NS6detail44device_merge_sort_compile_time_verifier_archINS1_11comp_targetILNS1_3genE0ELNS1_11target_archE4294967295ELNS1_3gpuE0ELNS1_3repE0EEES8_NS1_28merge_sort_block_sort_configILj256ELj4ELNS0_20block_sort_algorithmE0EEENS0_14default_configENS1_37merge_sort_block_sort_config_selectorIilEENS1_38merge_sort_block_merge_config_selectorIilEEEEvv
		.amdhsa_group_segment_fixed_size 0
		.amdhsa_private_segment_fixed_size 0
		.amdhsa_kernarg_size 0
		.amdhsa_user_sgpr_count 4
		.amdhsa_user_sgpr_private_segment_buffer 1
		.amdhsa_user_sgpr_dispatch_ptr 0
		.amdhsa_user_sgpr_queue_ptr 0
		.amdhsa_user_sgpr_kernarg_segment_ptr 0
		.amdhsa_user_sgpr_dispatch_id 0
		.amdhsa_user_sgpr_flat_scratch_init 0
		.amdhsa_user_sgpr_private_segment_size 0
		.amdhsa_uses_dynamic_stack 0
		.amdhsa_system_sgpr_private_segment_wavefront_offset 0
		.amdhsa_system_sgpr_workgroup_id_x 1
		.amdhsa_system_sgpr_workgroup_id_y 0
		.amdhsa_system_sgpr_workgroup_id_z 0
		.amdhsa_system_sgpr_workgroup_info 0
		.amdhsa_system_vgpr_workitem_id 0
		.amdhsa_next_free_vgpr 1
		.amdhsa_next_free_sgpr 0
		.amdhsa_reserve_vcc 0
		.amdhsa_reserve_flat_scratch 0
		.amdhsa_float_round_mode_32 0
		.amdhsa_float_round_mode_16_64 0
		.amdhsa_float_denorm_mode_32 3
		.amdhsa_float_denorm_mode_16_64 3
		.amdhsa_dx10_clamp 1
		.amdhsa_ieee_mode 1
		.amdhsa_fp16_overflow 0
		.amdhsa_exception_fp_ieee_invalid_op 0
		.amdhsa_exception_fp_denorm_src 0
		.amdhsa_exception_fp_ieee_div_zero 0
		.amdhsa_exception_fp_ieee_overflow 0
		.amdhsa_exception_fp_ieee_underflow 0
		.amdhsa_exception_fp_ieee_inexact 0
		.amdhsa_exception_int_div_zero 0
	.end_amdhsa_kernel
	.section	.text._ZN7rocprim17ROCPRIM_400000_NS6detail44device_merge_sort_compile_time_verifier_archINS1_11comp_targetILNS1_3genE0ELNS1_11target_archE4294967295ELNS1_3gpuE0ELNS1_3repE0EEES8_NS1_28merge_sort_block_sort_configILj256ELj4ELNS0_20block_sort_algorithmE0EEENS0_14default_configENS1_37merge_sort_block_sort_config_selectorIilEENS1_38merge_sort_block_merge_config_selectorIilEEEEvv,"axG",@progbits,_ZN7rocprim17ROCPRIM_400000_NS6detail44device_merge_sort_compile_time_verifier_archINS1_11comp_targetILNS1_3genE0ELNS1_11target_archE4294967295ELNS1_3gpuE0ELNS1_3repE0EEES8_NS1_28merge_sort_block_sort_configILj256ELj4ELNS0_20block_sort_algorithmE0EEENS0_14default_configENS1_37merge_sort_block_sort_config_selectorIilEENS1_38merge_sort_block_merge_config_selectorIilEEEEvv,comdat
.Lfunc_end735:
	.size	_ZN7rocprim17ROCPRIM_400000_NS6detail44device_merge_sort_compile_time_verifier_archINS1_11comp_targetILNS1_3genE0ELNS1_11target_archE4294967295ELNS1_3gpuE0ELNS1_3repE0EEES8_NS1_28merge_sort_block_sort_configILj256ELj4ELNS0_20block_sort_algorithmE0EEENS0_14default_configENS1_37merge_sort_block_sort_config_selectorIilEENS1_38merge_sort_block_merge_config_selectorIilEEEEvv, .Lfunc_end735-_ZN7rocprim17ROCPRIM_400000_NS6detail44device_merge_sort_compile_time_verifier_archINS1_11comp_targetILNS1_3genE0ELNS1_11target_archE4294967295ELNS1_3gpuE0ELNS1_3repE0EEES8_NS1_28merge_sort_block_sort_configILj256ELj4ELNS0_20block_sort_algorithmE0EEENS0_14default_configENS1_37merge_sort_block_sort_config_selectorIilEENS1_38merge_sort_block_merge_config_selectorIilEEEEvv
                                        ; -- End function
	.set _ZN7rocprim17ROCPRIM_400000_NS6detail44device_merge_sort_compile_time_verifier_archINS1_11comp_targetILNS1_3genE0ELNS1_11target_archE4294967295ELNS1_3gpuE0ELNS1_3repE0EEES8_NS1_28merge_sort_block_sort_configILj256ELj4ELNS0_20block_sort_algorithmE0EEENS0_14default_configENS1_37merge_sort_block_sort_config_selectorIilEENS1_38merge_sort_block_merge_config_selectorIilEEEEvv.num_vgpr, 0
	.set _ZN7rocprim17ROCPRIM_400000_NS6detail44device_merge_sort_compile_time_verifier_archINS1_11comp_targetILNS1_3genE0ELNS1_11target_archE4294967295ELNS1_3gpuE0ELNS1_3repE0EEES8_NS1_28merge_sort_block_sort_configILj256ELj4ELNS0_20block_sort_algorithmE0EEENS0_14default_configENS1_37merge_sort_block_sort_config_selectorIilEENS1_38merge_sort_block_merge_config_selectorIilEEEEvv.num_agpr, 0
	.set _ZN7rocprim17ROCPRIM_400000_NS6detail44device_merge_sort_compile_time_verifier_archINS1_11comp_targetILNS1_3genE0ELNS1_11target_archE4294967295ELNS1_3gpuE0ELNS1_3repE0EEES8_NS1_28merge_sort_block_sort_configILj256ELj4ELNS0_20block_sort_algorithmE0EEENS0_14default_configENS1_37merge_sort_block_sort_config_selectorIilEENS1_38merge_sort_block_merge_config_selectorIilEEEEvv.numbered_sgpr, 0
	.set _ZN7rocprim17ROCPRIM_400000_NS6detail44device_merge_sort_compile_time_verifier_archINS1_11comp_targetILNS1_3genE0ELNS1_11target_archE4294967295ELNS1_3gpuE0ELNS1_3repE0EEES8_NS1_28merge_sort_block_sort_configILj256ELj4ELNS0_20block_sort_algorithmE0EEENS0_14default_configENS1_37merge_sort_block_sort_config_selectorIilEENS1_38merge_sort_block_merge_config_selectorIilEEEEvv.num_named_barrier, 0
	.set _ZN7rocprim17ROCPRIM_400000_NS6detail44device_merge_sort_compile_time_verifier_archINS1_11comp_targetILNS1_3genE0ELNS1_11target_archE4294967295ELNS1_3gpuE0ELNS1_3repE0EEES8_NS1_28merge_sort_block_sort_configILj256ELj4ELNS0_20block_sort_algorithmE0EEENS0_14default_configENS1_37merge_sort_block_sort_config_selectorIilEENS1_38merge_sort_block_merge_config_selectorIilEEEEvv.private_seg_size, 0
	.set _ZN7rocprim17ROCPRIM_400000_NS6detail44device_merge_sort_compile_time_verifier_archINS1_11comp_targetILNS1_3genE0ELNS1_11target_archE4294967295ELNS1_3gpuE0ELNS1_3repE0EEES8_NS1_28merge_sort_block_sort_configILj256ELj4ELNS0_20block_sort_algorithmE0EEENS0_14default_configENS1_37merge_sort_block_sort_config_selectorIilEENS1_38merge_sort_block_merge_config_selectorIilEEEEvv.uses_vcc, 0
	.set _ZN7rocprim17ROCPRIM_400000_NS6detail44device_merge_sort_compile_time_verifier_archINS1_11comp_targetILNS1_3genE0ELNS1_11target_archE4294967295ELNS1_3gpuE0ELNS1_3repE0EEES8_NS1_28merge_sort_block_sort_configILj256ELj4ELNS0_20block_sort_algorithmE0EEENS0_14default_configENS1_37merge_sort_block_sort_config_selectorIilEENS1_38merge_sort_block_merge_config_selectorIilEEEEvv.uses_flat_scratch, 0
	.set _ZN7rocprim17ROCPRIM_400000_NS6detail44device_merge_sort_compile_time_verifier_archINS1_11comp_targetILNS1_3genE0ELNS1_11target_archE4294967295ELNS1_3gpuE0ELNS1_3repE0EEES8_NS1_28merge_sort_block_sort_configILj256ELj4ELNS0_20block_sort_algorithmE0EEENS0_14default_configENS1_37merge_sort_block_sort_config_selectorIilEENS1_38merge_sort_block_merge_config_selectorIilEEEEvv.has_dyn_sized_stack, 0
	.set _ZN7rocprim17ROCPRIM_400000_NS6detail44device_merge_sort_compile_time_verifier_archINS1_11comp_targetILNS1_3genE0ELNS1_11target_archE4294967295ELNS1_3gpuE0ELNS1_3repE0EEES8_NS1_28merge_sort_block_sort_configILj256ELj4ELNS0_20block_sort_algorithmE0EEENS0_14default_configENS1_37merge_sort_block_sort_config_selectorIilEENS1_38merge_sort_block_merge_config_selectorIilEEEEvv.has_recursion, 0
	.set _ZN7rocprim17ROCPRIM_400000_NS6detail44device_merge_sort_compile_time_verifier_archINS1_11comp_targetILNS1_3genE0ELNS1_11target_archE4294967295ELNS1_3gpuE0ELNS1_3repE0EEES8_NS1_28merge_sort_block_sort_configILj256ELj4ELNS0_20block_sort_algorithmE0EEENS0_14default_configENS1_37merge_sort_block_sort_config_selectorIilEENS1_38merge_sort_block_merge_config_selectorIilEEEEvv.has_indirect_call, 0
	.section	.AMDGPU.csdata,"",@progbits
; Kernel info:
; codeLenInByte = 4
; TotalNumSgprs: 4
; NumVgprs: 0
; ScratchSize: 0
; MemoryBound: 0
; FloatMode: 240
; IeeeMode: 1
; LDSByteSize: 0 bytes/workgroup (compile time only)
; SGPRBlocks: 0
; VGPRBlocks: 0
; NumSGPRsForWavesPerEU: 4
; NumVGPRsForWavesPerEU: 1
; Occupancy: 10
; WaveLimiterHint : 0
; COMPUTE_PGM_RSRC2:SCRATCH_EN: 0
; COMPUTE_PGM_RSRC2:USER_SGPR: 4
; COMPUTE_PGM_RSRC2:TRAP_HANDLER: 0
; COMPUTE_PGM_RSRC2:TGID_X_EN: 1
; COMPUTE_PGM_RSRC2:TGID_Y_EN: 0
; COMPUTE_PGM_RSRC2:TGID_Z_EN: 0
; COMPUTE_PGM_RSRC2:TIDIG_COMP_CNT: 0
	.section	.text._ZN7rocprim17ROCPRIM_400000_NS6detail44device_merge_sort_compile_time_verifier_archINS1_11comp_targetILNS1_3genE5ELNS1_11target_archE942ELNS1_3gpuE9ELNS1_3repE0EEES8_NS1_28merge_sort_block_sort_configILj256ELj4ELNS0_20block_sort_algorithmE0EEENS0_14default_configENS1_37merge_sort_block_sort_config_selectorIilEENS1_38merge_sort_block_merge_config_selectorIilEEEEvv,"axG",@progbits,_ZN7rocprim17ROCPRIM_400000_NS6detail44device_merge_sort_compile_time_verifier_archINS1_11comp_targetILNS1_3genE5ELNS1_11target_archE942ELNS1_3gpuE9ELNS1_3repE0EEES8_NS1_28merge_sort_block_sort_configILj256ELj4ELNS0_20block_sort_algorithmE0EEENS0_14default_configENS1_37merge_sort_block_sort_config_selectorIilEENS1_38merge_sort_block_merge_config_selectorIilEEEEvv,comdat
	.protected	_ZN7rocprim17ROCPRIM_400000_NS6detail44device_merge_sort_compile_time_verifier_archINS1_11comp_targetILNS1_3genE5ELNS1_11target_archE942ELNS1_3gpuE9ELNS1_3repE0EEES8_NS1_28merge_sort_block_sort_configILj256ELj4ELNS0_20block_sort_algorithmE0EEENS0_14default_configENS1_37merge_sort_block_sort_config_selectorIilEENS1_38merge_sort_block_merge_config_selectorIilEEEEvv ; -- Begin function _ZN7rocprim17ROCPRIM_400000_NS6detail44device_merge_sort_compile_time_verifier_archINS1_11comp_targetILNS1_3genE5ELNS1_11target_archE942ELNS1_3gpuE9ELNS1_3repE0EEES8_NS1_28merge_sort_block_sort_configILj256ELj4ELNS0_20block_sort_algorithmE0EEENS0_14default_configENS1_37merge_sort_block_sort_config_selectorIilEENS1_38merge_sort_block_merge_config_selectorIilEEEEvv
	.globl	_ZN7rocprim17ROCPRIM_400000_NS6detail44device_merge_sort_compile_time_verifier_archINS1_11comp_targetILNS1_3genE5ELNS1_11target_archE942ELNS1_3gpuE9ELNS1_3repE0EEES8_NS1_28merge_sort_block_sort_configILj256ELj4ELNS0_20block_sort_algorithmE0EEENS0_14default_configENS1_37merge_sort_block_sort_config_selectorIilEENS1_38merge_sort_block_merge_config_selectorIilEEEEvv
	.p2align	8
	.type	_ZN7rocprim17ROCPRIM_400000_NS6detail44device_merge_sort_compile_time_verifier_archINS1_11comp_targetILNS1_3genE5ELNS1_11target_archE942ELNS1_3gpuE9ELNS1_3repE0EEES8_NS1_28merge_sort_block_sort_configILj256ELj4ELNS0_20block_sort_algorithmE0EEENS0_14default_configENS1_37merge_sort_block_sort_config_selectorIilEENS1_38merge_sort_block_merge_config_selectorIilEEEEvv,@function
_ZN7rocprim17ROCPRIM_400000_NS6detail44device_merge_sort_compile_time_verifier_archINS1_11comp_targetILNS1_3genE5ELNS1_11target_archE942ELNS1_3gpuE9ELNS1_3repE0EEES8_NS1_28merge_sort_block_sort_configILj256ELj4ELNS0_20block_sort_algorithmE0EEENS0_14default_configENS1_37merge_sort_block_sort_config_selectorIilEENS1_38merge_sort_block_merge_config_selectorIilEEEEvv: ; @_ZN7rocprim17ROCPRIM_400000_NS6detail44device_merge_sort_compile_time_verifier_archINS1_11comp_targetILNS1_3genE5ELNS1_11target_archE942ELNS1_3gpuE9ELNS1_3repE0EEES8_NS1_28merge_sort_block_sort_configILj256ELj4ELNS0_20block_sort_algorithmE0EEENS0_14default_configENS1_37merge_sort_block_sort_config_selectorIilEENS1_38merge_sort_block_merge_config_selectorIilEEEEvv
; %bb.0:
	s_endpgm
	.section	.rodata,"a",@progbits
	.p2align	6, 0x0
	.amdhsa_kernel _ZN7rocprim17ROCPRIM_400000_NS6detail44device_merge_sort_compile_time_verifier_archINS1_11comp_targetILNS1_3genE5ELNS1_11target_archE942ELNS1_3gpuE9ELNS1_3repE0EEES8_NS1_28merge_sort_block_sort_configILj256ELj4ELNS0_20block_sort_algorithmE0EEENS0_14default_configENS1_37merge_sort_block_sort_config_selectorIilEENS1_38merge_sort_block_merge_config_selectorIilEEEEvv
		.amdhsa_group_segment_fixed_size 0
		.amdhsa_private_segment_fixed_size 0
		.amdhsa_kernarg_size 0
		.amdhsa_user_sgpr_count 4
		.amdhsa_user_sgpr_private_segment_buffer 1
		.amdhsa_user_sgpr_dispatch_ptr 0
		.amdhsa_user_sgpr_queue_ptr 0
		.amdhsa_user_sgpr_kernarg_segment_ptr 0
		.amdhsa_user_sgpr_dispatch_id 0
		.amdhsa_user_sgpr_flat_scratch_init 0
		.amdhsa_user_sgpr_private_segment_size 0
		.amdhsa_uses_dynamic_stack 0
		.amdhsa_system_sgpr_private_segment_wavefront_offset 0
		.amdhsa_system_sgpr_workgroup_id_x 1
		.amdhsa_system_sgpr_workgroup_id_y 0
		.amdhsa_system_sgpr_workgroup_id_z 0
		.amdhsa_system_sgpr_workgroup_info 0
		.amdhsa_system_vgpr_workitem_id 0
		.amdhsa_next_free_vgpr 1
		.amdhsa_next_free_sgpr 0
		.amdhsa_reserve_vcc 0
		.amdhsa_reserve_flat_scratch 0
		.amdhsa_float_round_mode_32 0
		.amdhsa_float_round_mode_16_64 0
		.amdhsa_float_denorm_mode_32 3
		.amdhsa_float_denorm_mode_16_64 3
		.amdhsa_dx10_clamp 1
		.amdhsa_ieee_mode 1
		.amdhsa_fp16_overflow 0
		.amdhsa_exception_fp_ieee_invalid_op 0
		.amdhsa_exception_fp_denorm_src 0
		.amdhsa_exception_fp_ieee_div_zero 0
		.amdhsa_exception_fp_ieee_overflow 0
		.amdhsa_exception_fp_ieee_underflow 0
		.amdhsa_exception_fp_ieee_inexact 0
		.amdhsa_exception_int_div_zero 0
	.end_amdhsa_kernel
	.section	.text._ZN7rocprim17ROCPRIM_400000_NS6detail44device_merge_sort_compile_time_verifier_archINS1_11comp_targetILNS1_3genE5ELNS1_11target_archE942ELNS1_3gpuE9ELNS1_3repE0EEES8_NS1_28merge_sort_block_sort_configILj256ELj4ELNS0_20block_sort_algorithmE0EEENS0_14default_configENS1_37merge_sort_block_sort_config_selectorIilEENS1_38merge_sort_block_merge_config_selectorIilEEEEvv,"axG",@progbits,_ZN7rocprim17ROCPRIM_400000_NS6detail44device_merge_sort_compile_time_verifier_archINS1_11comp_targetILNS1_3genE5ELNS1_11target_archE942ELNS1_3gpuE9ELNS1_3repE0EEES8_NS1_28merge_sort_block_sort_configILj256ELj4ELNS0_20block_sort_algorithmE0EEENS0_14default_configENS1_37merge_sort_block_sort_config_selectorIilEENS1_38merge_sort_block_merge_config_selectorIilEEEEvv,comdat
.Lfunc_end736:
	.size	_ZN7rocprim17ROCPRIM_400000_NS6detail44device_merge_sort_compile_time_verifier_archINS1_11comp_targetILNS1_3genE5ELNS1_11target_archE942ELNS1_3gpuE9ELNS1_3repE0EEES8_NS1_28merge_sort_block_sort_configILj256ELj4ELNS0_20block_sort_algorithmE0EEENS0_14default_configENS1_37merge_sort_block_sort_config_selectorIilEENS1_38merge_sort_block_merge_config_selectorIilEEEEvv, .Lfunc_end736-_ZN7rocprim17ROCPRIM_400000_NS6detail44device_merge_sort_compile_time_verifier_archINS1_11comp_targetILNS1_3genE5ELNS1_11target_archE942ELNS1_3gpuE9ELNS1_3repE0EEES8_NS1_28merge_sort_block_sort_configILj256ELj4ELNS0_20block_sort_algorithmE0EEENS0_14default_configENS1_37merge_sort_block_sort_config_selectorIilEENS1_38merge_sort_block_merge_config_selectorIilEEEEvv
                                        ; -- End function
	.set _ZN7rocprim17ROCPRIM_400000_NS6detail44device_merge_sort_compile_time_verifier_archINS1_11comp_targetILNS1_3genE5ELNS1_11target_archE942ELNS1_3gpuE9ELNS1_3repE0EEES8_NS1_28merge_sort_block_sort_configILj256ELj4ELNS0_20block_sort_algorithmE0EEENS0_14default_configENS1_37merge_sort_block_sort_config_selectorIilEENS1_38merge_sort_block_merge_config_selectorIilEEEEvv.num_vgpr, 0
	.set _ZN7rocprim17ROCPRIM_400000_NS6detail44device_merge_sort_compile_time_verifier_archINS1_11comp_targetILNS1_3genE5ELNS1_11target_archE942ELNS1_3gpuE9ELNS1_3repE0EEES8_NS1_28merge_sort_block_sort_configILj256ELj4ELNS0_20block_sort_algorithmE0EEENS0_14default_configENS1_37merge_sort_block_sort_config_selectorIilEENS1_38merge_sort_block_merge_config_selectorIilEEEEvv.num_agpr, 0
	.set _ZN7rocprim17ROCPRIM_400000_NS6detail44device_merge_sort_compile_time_verifier_archINS1_11comp_targetILNS1_3genE5ELNS1_11target_archE942ELNS1_3gpuE9ELNS1_3repE0EEES8_NS1_28merge_sort_block_sort_configILj256ELj4ELNS0_20block_sort_algorithmE0EEENS0_14default_configENS1_37merge_sort_block_sort_config_selectorIilEENS1_38merge_sort_block_merge_config_selectorIilEEEEvv.numbered_sgpr, 0
	.set _ZN7rocprim17ROCPRIM_400000_NS6detail44device_merge_sort_compile_time_verifier_archINS1_11comp_targetILNS1_3genE5ELNS1_11target_archE942ELNS1_3gpuE9ELNS1_3repE0EEES8_NS1_28merge_sort_block_sort_configILj256ELj4ELNS0_20block_sort_algorithmE0EEENS0_14default_configENS1_37merge_sort_block_sort_config_selectorIilEENS1_38merge_sort_block_merge_config_selectorIilEEEEvv.num_named_barrier, 0
	.set _ZN7rocprim17ROCPRIM_400000_NS6detail44device_merge_sort_compile_time_verifier_archINS1_11comp_targetILNS1_3genE5ELNS1_11target_archE942ELNS1_3gpuE9ELNS1_3repE0EEES8_NS1_28merge_sort_block_sort_configILj256ELj4ELNS0_20block_sort_algorithmE0EEENS0_14default_configENS1_37merge_sort_block_sort_config_selectorIilEENS1_38merge_sort_block_merge_config_selectorIilEEEEvv.private_seg_size, 0
	.set _ZN7rocprim17ROCPRIM_400000_NS6detail44device_merge_sort_compile_time_verifier_archINS1_11comp_targetILNS1_3genE5ELNS1_11target_archE942ELNS1_3gpuE9ELNS1_3repE0EEES8_NS1_28merge_sort_block_sort_configILj256ELj4ELNS0_20block_sort_algorithmE0EEENS0_14default_configENS1_37merge_sort_block_sort_config_selectorIilEENS1_38merge_sort_block_merge_config_selectorIilEEEEvv.uses_vcc, 0
	.set _ZN7rocprim17ROCPRIM_400000_NS6detail44device_merge_sort_compile_time_verifier_archINS1_11comp_targetILNS1_3genE5ELNS1_11target_archE942ELNS1_3gpuE9ELNS1_3repE0EEES8_NS1_28merge_sort_block_sort_configILj256ELj4ELNS0_20block_sort_algorithmE0EEENS0_14default_configENS1_37merge_sort_block_sort_config_selectorIilEENS1_38merge_sort_block_merge_config_selectorIilEEEEvv.uses_flat_scratch, 0
	.set _ZN7rocprim17ROCPRIM_400000_NS6detail44device_merge_sort_compile_time_verifier_archINS1_11comp_targetILNS1_3genE5ELNS1_11target_archE942ELNS1_3gpuE9ELNS1_3repE0EEES8_NS1_28merge_sort_block_sort_configILj256ELj4ELNS0_20block_sort_algorithmE0EEENS0_14default_configENS1_37merge_sort_block_sort_config_selectorIilEENS1_38merge_sort_block_merge_config_selectorIilEEEEvv.has_dyn_sized_stack, 0
	.set _ZN7rocprim17ROCPRIM_400000_NS6detail44device_merge_sort_compile_time_verifier_archINS1_11comp_targetILNS1_3genE5ELNS1_11target_archE942ELNS1_3gpuE9ELNS1_3repE0EEES8_NS1_28merge_sort_block_sort_configILj256ELj4ELNS0_20block_sort_algorithmE0EEENS0_14default_configENS1_37merge_sort_block_sort_config_selectorIilEENS1_38merge_sort_block_merge_config_selectorIilEEEEvv.has_recursion, 0
	.set _ZN7rocprim17ROCPRIM_400000_NS6detail44device_merge_sort_compile_time_verifier_archINS1_11comp_targetILNS1_3genE5ELNS1_11target_archE942ELNS1_3gpuE9ELNS1_3repE0EEES8_NS1_28merge_sort_block_sort_configILj256ELj4ELNS0_20block_sort_algorithmE0EEENS0_14default_configENS1_37merge_sort_block_sort_config_selectorIilEENS1_38merge_sort_block_merge_config_selectorIilEEEEvv.has_indirect_call, 0
	.section	.AMDGPU.csdata,"",@progbits
; Kernel info:
; codeLenInByte = 4
; TotalNumSgprs: 4
; NumVgprs: 0
; ScratchSize: 0
; MemoryBound: 0
; FloatMode: 240
; IeeeMode: 1
; LDSByteSize: 0 bytes/workgroup (compile time only)
; SGPRBlocks: 0
; VGPRBlocks: 0
; NumSGPRsForWavesPerEU: 4
; NumVGPRsForWavesPerEU: 1
; Occupancy: 10
; WaveLimiterHint : 0
; COMPUTE_PGM_RSRC2:SCRATCH_EN: 0
; COMPUTE_PGM_RSRC2:USER_SGPR: 4
; COMPUTE_PGM_RSRC2:TRAP_HANDLER: 0
; COMPUTE_PGM_RSRC2:TGID_X_EN: 1
; COMPUTE_PGM_RSRC2:TGID_Y_EN: 0
; COMPUTE_PGM_RSRC2:TGID_Z_EN: 0
; COMPUTE_PGM_RSRC2:TIDIG_COMP_CNT: 0
	.section	.text._ZN7rocprim17ROCPRIM_400000_NS6detail44device_merge_sort_compile_time_verifier_archINS1_11comp_targetILNS1_3genE4ELNS1_11target_archE910ELNS1_3gpuE8ELNS1_3repE0EEES8_NS1_28merge_sort_block_sort_configILj256ELj4ELNS0_20block_sort_algorithmE0EEENS0_14default_configENS1_37merge_sort_block_sort_config_selectorIilEENS1_38merge_sort_block_merge_config_selectorIilEEEEvv,"axG",@progbits,_ZN7rocprim17ROCPRIM_400000_NS6detail44device_merge_sort_compile_time_verifier_archINS1_11comp_targetILNS1_3genE4ELNS1_11target_archE910ELNS1_3gpuE8ELNS1_3repE0EEES8_NS1_28merge_sort_block_sort_configILj256ELj4ELNS0_20block_sort_algorithmE0EEENS0_14default_configENS1_37merge_sort_block_sort_config_selectorIilEENS1_38merge_sort_block_merge_config_selectorIilEEEEvv,comdat
	.protected	_ZN7rocprim17ROCPRIM_400000_NS6detail44device_merge_sort_compile_time_verifier_archINS1_11comp_targetILNS1_3genE4ELNS1_11target_archE910ELNS1_3gpuE8ELNS1_3repE0EEES8_NS1_28merge_sort_block_sort_configILj256ELj4ELNS0_20block_sort_algorithmE0EEENS0_14default_configENS1_37merge_sort_block_sort_config_selectorIilEENS1_38merge_sort_block_merge_config_selectorIilEEEEvv ; -- Begin function _ZN7rocprim17ROCPRIM_400000_NS6detail44device_merge_sort_compile_time_verifier_archINS1_11comp_targetILNS1_3genE4ELNS1_11target_archE910ELNS1_3gpuE8ELNS1_3repE0EEES8_NS1_28merge_sort_block_sort_configILj256ELj4ELNS0_20block_sort_algorithmE0EEENS0_14default_configENS1_37merge_sort_block_sort_config_selectorIilEENS1_38merge_sort_block_merge_config_selectorIilEEEEvv
	.globl	_ZN7rocprim17ROCPRIM_400000_NS6detail44device_merge_sort_compile_time_verifier_archINS1_11comp_targetILNS1_3genE4ELNS1_11target_archE910ELNS1_3gpuE8ELNS1_3repE0EEES8_NS1_28merge_sort_block_sort_configILj256ELj4ELNS0_20block_sort_algorithmE0EEENS0_14default_configENS1_37merge_sort_block_sort_config_selectorIilEENS1_38merge_sort_block_merge_config_selectorIilEEEEvv
	.p2align	8
	.type	_ZN7rocprim17ROCPRIM_400000_NS6detail44device_merge_sort_compile_time_verifier_archINS1_11comp_targetILNS1_3genE4ELNS1_11target_archE910ELNS1_3gpuE8ELNS1_3repE0EEES8_NS1_28merge_sort_block_sort_configILj256ELj4ELNS0_20block_sort_algorithmE0EEENS0_14default_configENS1_37merge_sort_block_sort_config_selectorIilEENS1_38merge_sort_block_merge_config_selectorIilEEEEvv,@function
_ZN7rocprim17ROCPRIM_400000_NS6detail44device_merge_sort_compile_time_verifier_archINS1_11comp_targetILNS1_3genE4ELNS1_11target_archE910ELNS1_3gpuE8ELNS1_3repE0EEES8_NS1_28merge_sort_block_sort_configILj256ELj4ELNS0_20block_sort_algorithmE0EEENS0_14default_configENS1_37merge_sort_block_sort_config_selectorIilEENS1_38merge_sort_block_merge_config_selectorIilEEEEvv: ; @_ZN7rocprim17ROCPRIM_400000_NS6detail44device_merge_sort_compile_time_verifier_archINS1_11comp_targetILNS1_3genE4ELNS1_11target_archE910ELNS1_3gpuE8ELNS1_3repE0EEES8_NS1_28merge_sort_block_sort_configILj256ELj4ELNS0_20block_sort_algorithmE0EEENS0_14default_configENS1_37merge_sort_block_sort_config_selectorIilEENS1_38merge_sort_block_merge_config_selectorIilEEEEvv
; %bb.0:
	s_endpgm
	.section	.rodata,"a",@progbits
	.p2align	6, 0x0
	.amdhsa_kernel _ZN7rocprim17ROCPRIM_400000_NS6detail44device_merge_sort_compile_time_verifier_archINS1_11comp_targetILNS1_3genE4ELNS1_11target_archE910ELNS1_3gpuE8ELNS1_3repE0EEES8_NS1_28merge_sort_block_sort_configILj256ELj4ELNS0_20block_sort_algorithmE0EEENS0_14default_configENS1_37merge_sort_block_sort_config_selectorIilEENS1_38merge_sort_block_merge_config_selectorIilEEEEvv
		.amdhsa_group_segment_fixed_size 0
		.amdhsa_private_segment_fixed_size 0
		.amdhsa_kernarg_size 0
		.amdhsa_user_sgpr_count 4
		.amdhsa_user_sgpr_private_segment_buffer 1
		.amdhsa_user_sgpr_dispatch_ptr 0
		.amdhsa_user_sgpr_queue_ptr 0
		.amdhsa_user_sgpr_kernarg_segment_ptr 0
		.amdhsa_user_sgpr_dispatch_id 0
		.amdhsa_user_sgpr_flat_scratch_init 0
		.amdhsa_user_sgpr_private_segment_size 0
		.amdhsa_uses_dynamic_stack 0
		.amdhsa_system_sgpr_private_segment_wavefront_offset 0
		.amdhsa_system_sgpr_workgroup_id_x 1
		.amdhsa_system_sgpr_workgroup_id_y 0
		.amdhsa_system_sgpr_workgroup_id_z 0
		.amdhsa_system_sgpr_workgroup_info 0
		.amdhsa_system_vgpr_workitem_id 0
		.amdhsa_next_free_vgpr 1
		.amdhsa_next_free_sgpr 0
		.amdhsa_reserve_vcc 0
		.amdhsa_reserve_flat_scratch 0
		.amdhsa_float_round_mode_32 0
		.amdhsa_float_round_mode_16_64 0
		.amdhsa_float_denorm_mode_32 3
		.amdhsa_float_denorm_mode_16_64 3
		.amdhsa_dx10_clamp 1
		.amdhsa_ieee_mode 1
		.amdhsa_fp16_overflow 0
		.amdhsa_exception_fp_ieee_invalid_op 0
		.amdhsa_exception_fp_denorm_src 0
		.amdhsa_exception_fp_ieee_div_zero 0
		.amdhsa_exception_fp_ieee_overflow 0
		.amdhsa_exception_fp_ieee_underflow 0
		.amdhsa_exception_fp_ieee_inexact 0
		.amdhsa_exception_int_div_zero 0
	.end_amdhsa_kernel
	.section	.text._ZN7rocprim17ROCPRIM_400000_NS6detail44device_merge_sort_compile_time_verifier_archINS1_11comp_targetILNS1_3genE4ELNS1_11target_archE910ELNS1_3gpuE8ELNS1_3repE0EEES8_NS1_28merge_sort_block_sort_configILj256ELj4ELNS0_20block_sort_algorithmE0EEENS0_14default_configENS1_37merge_sort_block_sort_config_selectorIilEENS1_38merge_sort_block_merge_config_selectorIilEEEEvv,"axG",@progbits,_ZN7rocprim17ROCPRIM_400000_NS6detail44device_merge_sort_compile_time_verifier_archINS1_11comp_targetILNS1_3genE4ELNS1_11target_archE910ELNS1_3gpuE8ELNS1_3repE0EEES8_NS1_28merge_sort_block_sort_configILj256ELj4ELNS0_20block_sort_algorithmE0EEENS0_14default_configENS1_37merge_sort_block_sort_config_selectorIilEENS1_38merge_sort_block_merge_config_selectorIilEEEEvv,comdat
.Lfunc_end737:
	.size	_ZN7rocprim17ROCPRIM_400000_NS6detail44device_merge_sort_compile_time_verifier_archINS1_11comp_targetILNS1_3genE4ELNS1_11target_archE910ELNS1_3gpuE8ELNS1_3repE0EEES8_NS1_28merge_sort_block_sort_configILj256ELj4ELNS0_20block_sort_algorithmE0EEENS0_14default_configENS1_37merge_sort_block_sort_config_selectorIilEENS1_38merge_sort_block_merge_config_selectorIilEEEEvv, .Lfunc_end737-_ZN7rocprim17ROCPRIM_400000_NS6detail44device_merge_sort_compile_time_verifier_archINS1_11comp_targetILNS1_3genE4ELNS1_11target_archE910ELNS1_3gpuE8ELNS1_3repE0EEES8_NS1_28merge_sort_block_sort_configILj256ELj4ELNS0_20block_sort_algorithmE0EEENS0_14default_configENS1_37merge_sort_block_sort_config_selectorIilEENS1_38merge_sort_block_merge_config_selectorIilEEEEvv
                                        ; -- End function
	.set _ZN7rocprim17ROCPRIM_400000_NS6detail44device_merge_sort_compile_time_verifier_archINS1_11comp_targetILNS1_3genE4ELNS1_11target_archE910ELNS1_3gpuE8ELNS1_3repE0EEES8_NS1_28merge_sort_block_sort_configILj256ELj4ELNS0_20block_sort_algorithmE0EEENS0_14default_configENS1_37merge_sort_block_sort_config_selectorIilEENS1_38merge_sort_block_merge_config_selectorIilEEEEvv.num_vgpr, 0
	.set _ZN7rocprim17ROCPRIM_400000_NS6detail44device_merge_sort_compile_time_verifier_archINS1_11comp_targetILNS1_3genE4ELNS1_11target_archE910ELNS1_3gpuE8ELNS1_3repE0EEES8_NS1_28merge_sort_block_sort_configILj256ELj4ELNS0_20block_sort_algorithmE0EEENS0_14default_configENS1_37merge_sort_block_sort_config_selectorIilEENS1_38merge_sort_block_merge_config_selectorIilEEEEvv.num_agpr, 0
	.set _ZN7rocprim17ROCPRIM_400000_NS6detail44device_merge_sort_compile_time_verifier_archINS1_11comp_targetILNS1_3genE4ELNS1_11target_archE910ELNS1_3gpuE8ELNS1_3repE0EEES8_NS1_28merge_sort_block_sort_configILj256ELj4ELNS0_20block_sort_algorithmE0EEENS0_14default_configENS1_37merge_sort_block_sort_config_selectorIilEENS1_38merge_sort_block_merge_config_selectorIilEEEEvv.numbered_sgpr, 0
	.set _ZN7rocprim17ROCPRIM_400000_NS6detail44device_merge_sort_compile_time_verifier_archINS1_11comp_targetILNS1_3genE4ELNS1_11target_archE910ELNS1_3gpuE8ELNS1_3repE0EEES8_NS1_28merge_sort_block_sort_configILj256ELj4ELNS0_20block_sort_algorithmE0EEENS0_14default_configENS1_37merge_sort_block_sort_config_selectorIilEENS1_38merge_sort_block_merge_config_selectorIilEEEEvv.num_named_barrier, 0
	.set _ZN7rocprim17ROCPRIM_400000_NS6detail44device_merge_sort_compile_time_verifier_archINS1_11comp_targetILNS1_3genE4ELNS1_11target_archE910ELNS1_3gpuE8ELNS1_3repE0EEES8_NS1_28merge_sort_block_sort_configILj256ELj4ELNS0_20block_sort_algorithmE0EEENS0_14default_configENS1_37merge_sort_block_sort_config_selectorIilEENS1_38merge_sort_block_merge_config_selectorIilEEEEvv.private_seg_size, 0
	.set _ZN7rocprim17ROCPRIM_400000_NS6detail44device_merge_sort_compile_time_verifier_archINS1_11comp_targetILNS1_3genE4ELNS1_11target_archE910ELNS1_3gpuE8ELNS1_3repE0EEES8_NS1_28merge_sort_block_sort_configILj256ELj4ELNS0_20block_sort_algorithmE0EEENS0_14default_configENS1_37merge_sort_block_sort_config_selectorIilEENS1_38merge_sort_block_merge_config_selectorIilEEEEvv.uses_vcc, 0
	.set _ZN7rocprim17ROCPRIM_400000_NS6detail44device_merge_sort_compile_time_verifier_archINS1_11comp_targetILNS1_3genE4ELNS1_11target_archE910ELNS1_3gpuE8ELNS1_3repE0EEES8_NS1_28merge_sort_block_sort_configILj256ELj4ELNS0_20block_sort_algorithmE0EEENS0_14default_configENS1_37merge_sort_block_sort_config_selectorIilEENS1_38merge_sort_block_merge_config_selectorIilEEEEvv.uses_flat_scratch, 0
	.set _ZN7rocprim17ROCPRIM_400000_NS6detail44device_merge_sort_compile_time_verifier_archINS1_11comp_targetILNS1_3genE4ELNS1_11target_archE910ELNS1_3gpuE8ELNS1_3repE0EEES8_NS1_28merge_sort_block_sort_configILj256ELj4ELNS0_20block_sort_algorithmE0EEENS0_14default_configENS1_37merge_sort_block_sort_config_selectorIilEENS1_38merge_sort_block_merge_config_selectorIilEEEEvv.has_dyn_sized_stack, 0
	.set _ZN7rocprim17ROCPRIM_400000_NS6detail44device_merge_sort_compile_time_verifier_archINS1_11comp_targetILNS1_3genE4ELNS1_11target_archE910ELNS1_3gpuE8ELNS1_3repE0EEES8_NS1_28merge_sort_block_sort_configILj256ELj4ELNS0_20block_sort_algorithmE0EEENS0_14default_configENS1_37merge_sort_block_sort_config_selectorIilEENS1_38merge_sort_block_merge_config_selectorIilEEEEvv.has_recursion, 0
	.set _ZN7rocprim17ROCPRIM_400000_NS6detail44device_merge_sort_compile_time_verifier_archINS1_11comp_targetILNS1_3genE4ELNS1_11target_archE910ELNS1_3gpuE8ELNS1_3repE0EEES8_NS1_28merge_sort_block_sort_configILj256ELj4ELNS0_20block_sort_algorithmE0EEENS0_14default_configENS1_37merge_sort_block_sort_config_selectorIilEENS1_38merge_sort_block_merge_config_selectorIilEEEEvv.has_indirect_call, 0
	.section	.AMDGPU.csdata,"",@progbits
; Kernel info:
; codeLenInByte = 4
; TotalNumSgprs: 4
; NumVgprs: 0
; ScratchSize: 0
; MemoryBound: 0
; FloatMode: 240
; IeeeMode: 1
; LDSByteSize: 0 bytes/workgroup (compile time only)
; SGPRBlocks: 0
; VGPRBlocks: 0
; NumSGPRsForWavesPerEU: 4
; NumVGPRsForWavesPerEU: 1
; Occupancy: 10
; WaveLimiterHint : 0
; COMPUTE_PGM_RSRC2:SCRATCH_EN: 0
; COMPUTE_PGM_RSRC2:USER_SGPR: 4
; COMPUTE_PGM_RSRC2:TRAP_HANDLER: 0
; COMPUTE_PGM_RSRC2:TGID_X_EN: 1
; COMPUTE_PGM_RSRC2:TGID_Y_EN: 0
; COMPUTE_PGM_RSRC2:TGID_Z_EN: 0
; COMPUTE_PGM_RSRC2:TIDIG_COMP_CNT: 0
	.section	.text._ZN7rocprim17ROCPRIM_400000_NS6detail44device_merge_sort_compile_time_verifier_archINS1_11comp_targetILNS1_3genE3ELNS1_11target_archE908ELNS1_3gpuE7ELNS1_3repE0EEES8_NS1_28merge_sort_block_sort_configILj256ELj4ELNS0_20block_sort_algorithmE0EEENS0_14default_configENS1_37merge_sort_block_sort_config_selectorIilEENS1_38merge_sort_block_merge_config_selectorIilEEEEvv,"axG",@progbits,_ZN7rocprim17ROCPRIM_400000_NS6detail44device_merge_sort_compile_time_verifier_archINS1_11comp_targetILNS1_3genE3ELNS1_11target_archE908ELNS1_3gpuE7ELNS1_3repE0EEES8_NS1_28merge_sort_block_sort_configILj256ELj4ELNS0_20block_sort_algorithmE0EEENS0_14default_configENS1_37merge_sort_block_sort_config_selectorIilEENS1_38merge_sort_block_merge_config_selectorIilEEEEvv,comdat
	.protected	_ZN7rocprim17ROCPRIM_400000_NS6detail44device_merge_sort_compile_time_verifier_archINS1_11comp_targetILNS1_3genE3ELNS1_11target_archE908ELNS1_3gpuE7ELNS1_3repE0EEES8_NS1_28merge_sort_block_sort_configILj256ELj4ELNS0_20block_sort_algorithmE0EEENS0_14default_configENS1_37merge_sort_block_sort_config_selectorIilEENS1_38merge_sort_block_merge_config_selectorIilEEEEvv ; -- Begin function _ZN7rocprim17ROCPRIM_400000_NS6detail44device_merge_sort_compile_time_verifier_archINS1_11comp_targetILNS1_3genE3ELNS1_11target_archE908ELNS1_3gpuE7ELNS1_3repE0EEES8_NS1_28merge_sort_block_sort_configILj256ELj4ELNS0_20block_sort_algorithmE0EEENS0_14default_configENS1_37merge_sort_block_sort_config_selectorIilEENS1_38merge_sort_block_merge_config_selectorIilEEEEvv
	.globl	_ZN7rocprim17ROCPRIM_400000_NS6detail44device_merge_sort_compile_time_verifier_archINS1_11comp_targetILNS1_3genE3ELNS1_11target_archE908ELNS1_3gpuE7ELNS1_3repE0EEES8_NS1_28merge_sort_block_sort_configILj256ELj4ELNS0_20block_sort_algorithmE0EEENS0_14default_configENS1_37merge_sort_block_sort_config_selectorIilEENS1_38merge_sort_block_merge_config_selectorIilEEEEvv
	.p2align	8
	.type	_ZN7rocprim17ROCPRIM_400000_NS6detail44device_merge_sort_compile_time_verifier_archINS1_11comp_targetILNS1_3genE3ELNS1_11target_archE908ELNS1_3gpuE7ELNS1_3repE0EEES8_NS1_28merge_sort_block_sort_configILj256ELj4ELNS0_20block_sort_algorithmE0EEENS0_14default_configENS1_37merge_sort_block_sort_config_selectorIilEENS1_38merge_sort_block_merge_config_selectorIilEEEEvv,@function
_ZN7rocprim17ROCPRIM_400000_NS6detail44device_merge_sort_compile_time_verifier_archINS1_11comp_targetILNS1_3genE3ELNS1_11target_archE908ELNS1_3gpuE7ELNS1_3repE0EEES8_NS1_28merge_sort_block_sort_configILj256ELj4ELNS0_20block_sort_algorithmE0EEENS0_14default_configENS1_37merge_sort_block_sort_config_selectorIilEENS1_38merge_sort_block_merge_config_selectorIilEEEEvv: ; @_ZN7rocprim17ROCPRIM_400000_NS6detail44device_merge_sort_compile_time_verifier_archINS1_11comp_targetILNS1_3genE3ELNS1_11target_archE908ELNS1_3gpuE7ELNS1_3repE0EEES8_NS1_28merge_sort_block_sort_configILj256ELj4ELNS0_20block_sort_algorithmE0EEENS0_14default_configENS1_37merge_sort_block_sort_config_selectorIilEENS1_38merge_sort_block_merge_config_selectorIilEEEEvv
; %bb.0:
	s_endpgm
	.section	.rodata,"a",@progbits
	.p2align	6, 0x0
	.amdhsa_kernel _ZN7rocprim17ROCPRIM_400000_NS6detail44device_merge_sort_compile_time_verifier_archINS1_11comp_targetILNS1_3genE3ELNS1_11target_archE908ELNS1_3gpuE7ELNS1_3repE0EEES8_NS1_28merge_sort_block_sort_configILj256ELj4ELNS0_20block_sort_algorithmE0EEENS0_14default_configENS1_37merge_sort_block_sort_config_selectorIilEENS1_38merge_sort_block_merge_config_selectorIilEEEEvv
		.amdhsa_group_segment_fixed_size 0
		.amdhsa_private_segment_fixed_size 0
		.amdhsa_kernarg_size 0
		.amdhsa_user_sgpr_count 4
		.amdhsa_user_sgpr_private_segment_buffer 1
		.amdhsa_user_sgpr_dispatch_ptr 0
		.amdhsa_user_sgpr_queue_ptr 0
		.amdhsa_user_sgpr_kernarg_segment_ptr 0
		.amdhsa_user_sgpr_dispatch_id 0
		.amdhsa_user_sgpr_flat_scratch_init 0
		.amdhsa_user_sgpr_private_segment_size 0
		.amdhsa_uses_dynamic_stack 0
		.amdhsa_system_sgpr_private_segment_wavefront_offset 0
		.amdhsa_system_sgpr_workgroup_id_x 1
		.amdhsa_system_sgpr_workgroup_id_y 0
		.amdhsa_system_sgpr_workgroup_id_z 0
		.amdhsa_system_sgpr_workgroup_info 0
		.amdhsa_system_vgpr_workitem_id 0
		.amdhsa_next_free_vgpr 1
		.amdhsa_next_free_sgpr 0
		.amdhsa_reserve_vcc 0
		.amdhsa_reserve_flat_scratch 0
		.amdhsa_float_round_mode_32 0
		.amdhsa_float_round_mode_16_64 0
		.amdhsa_float_denorm_mode_32 3
		.amdhsa_float_denorm_mode_16_64 3
		.amdhsa_dx10_clamp 1
		.amdhsa_ieee_mode 1
		.amdhsa_fp16_overflow 0
		.amdhsa_exception_fp_ieee_invalid_op 0
		.amdhsa_exception_fp_denorm_src 0
		.amdhsa_exception_fp_ieee_div_zero 0
		.amdhsa_exception_fp_ieee_overflow 0
		.amdhsa_exception_fp_ieee_underflow 0
		.amdhsa_exception_fp_ieee_inexact 0
		.amdhsa_exception_int_div_zero 0
	.end_amdhsa_kernel
	.section	.text._ZN7rocprim17ROCPRIM_400000_NS6detail44device_merge_sort_compile_time_verifier_archINS1_11comp_targetILNS1_3genE3ELNS1_11target_archE908ELNS1_3gpuE7ELNS1_3repE0EEES8_NS1_28merge_sort_block_sort_configILj256ELj4ELNS0_20block_sort_algorithmE0EEENS0_14default_configENS1_37merge_sort_block_sort_config_selectorIilEENS1_38merge_sort_block_merge_config_selectorIilEEEEvv,"axG",@progbits,_ZN7rocprim17ROCPRIM_400000_NS6detail44device_merge_sort_compile_time_verifier_archINS1_11comp_targetILNS1_3genE3ELNS1_11target_archE908ELNS1_3gpuE7ELNS1_3repE0EEES8_NS1_28merge_sort_block_sort_configILj256ELj4ELNS0_20block_sort_algorithmE0EEENS0_14default_configENS1_37merge_sort_block_sort_config_selectorIilEENS1_38merge_sort_block_merge_config_selectorIilEEEEvv,comdat
.Lfunc_end738:
	.size	_ZN7rocprim17ROCPRIM_400000_NS6detail44device_merge_sort_compile_time_verifier_archINS1_11comp_targetILNS1_3genE3ELNS1_11target_archE908ELNS1_3gpuE7ELNS1_3repE0EEES8_NS1_28merge_sort_block_sort_configILj256ELj4ELNS0_20block_sort_algorithmE0EEENS0_14default_configENS1_37merge_sort_block_sort_config_selectorIilEENS1_38merge_sort_block_merge_config_selectorIilEEEEvv, .Lfunc_end738-_ZN7rocprim17ROCPRIM_400000_NS6detail44device_merge_sort_compile_time_verifier_archINS1_11comp_targetILNS1_3genE3ELNS1_11target_archE908ELNS1_3gpuE7ELNS1_3repE0EEES8_NS1_28merge_sort_block_sort_configILj256ELj4ELNS0_20block_sort_algorithmE0EEENS0_14default_configENS1_37merge_sort_block_sort_config_selectorIilEENS1_38merge_sort_block_merge_config_selectorIilEEEEvv
                                        ; -- End function
	.set _ZN7rocprim17ROCPRIM_400000_NS6detail44device_merge_sort_compile_time_verifier_archINS1_11comp_targetILNS1_3genE3ELNS1_11target_archE908ELNS1_3gpuE7ELNS1_3repE0EEES8_NS1_28merge_sort_block_sort_configILj256ELj4ELNS0_20block_sort_algorithmE0EEENS0_14default_configENS1_37merge_sort_block_sort_config_selectorIilEENS1_38merge_sort_block_merge_config_selectorIilEEEEvv.num_vgpr, 0
	.set _ZN7rocprim17ROCPRIM_400000_NS6detail44device_merge_sort_compile_time_verifier_archINS1_11comp_targetILNS1_3genE3ELNS1_11target_archE908ELNS1_3gpuE7ELNS1_3repE0EEES8_NS1_28merge_sort_block_sort_configILj256ELj4ELNS0_20block_sort_algorithmE0EEENS0_14default_configENS1_37merge_sort_block_sort_config_selectorIilEENS1_38merge_sort_block_merge_config_selectorIilEEEEvv.num_agpr, 0
	.set _ZN7rocprim17ROCPRIM_400000_NS6detail44device_merge_sort_compile_time_verifier_archINS1_11comp_targetILNS1_3genE3ELNS1_11target_archE908ELNS1_3gpuE7ELNS1_3repE0EEES8_NS1_28merge_sort_block_sort_configILj256ELj4ELNS0_20block_sort_algorithmE0EEENS0_14default_configENS1_37merge_sort_block_sort_config_selectorIilEENS1_38merge_sort_block_merge_config_selectorIilEEEEvv.numbered_sgpr, 0
	.set _ZN7rocprim17ROCPRIM_400000_NS6detail44device_merge_sort_compile_time_verifier_archINS1_11comp_targetILNS1_3genE3ELNS1_11target_archE908ELNS1_3gpuE7ELNS1_3repE0EEES8_NS1_28merge_sort_block_sort_configILj256ELj4ELNS0_20block_sort_algorithmE0EEENS0_14default_configENS1_37merge_sort_block_sort_config_selectorIilEENS1_38merge_sort_block_merge_config_selectorIilEEEEvv.num_named_barrier, 0
	.set _ZN7rocprim17ROCPRIM_400000_NS6detail44device_merge_sort_compile_time_verifier_archINS1_11comp_targetILNS1_3genE3ELNS1_11target_archE908ELNS1_3gpuE7ELNS1_3repE0EEES8_NS1_28merge_sort_block_sort_configILj256ELj4ELNS0_20block_sort_algorithmE0EEENS0_14default_configENS1_37merge_sort_block_sort_config_selectorIilEENS1_38merge_sort_block_merge_config_selectorIilEEEEvv.private_seg_size, 0
	.set _ZN7rocprim17ROCPRIM_400000_NS6detail44device_merge_sort_compile_time_verifier_archINS1_11comp_targetILNS1_3genE3ELNS1_11target_archE908ELNS1_3gpuE7ELNS1_3repE0EEES8_NS1_28merge_sort_block_sort_configILj256ELj4ELNS0_20block_sort_algorithmE0EEENS0_14default_configENS1_37merge_sort_block_sort_config_selectorIilEENS1_38merge_sort_block_merge_config_selectorIilEEEEvv.uses_vcc, 0
	.set _ZN7rocprim17ROCPRIM_400000_NS6detail44device_merge_sort_compile_time_verifier_archINS1_11comp_targetILNS1_3genE3ELNS1_11target_archE908ELNS1_3gpuE7ELNS1_3repE0EEES8_NS1_28merge_sort_block_sort_configILj256ELj4ELNS0_20block_sort_algorithmE0EEENS0_14default_configENS1_37merge_sort_block_sort_config_selectorIilEENS1_38merge_sort_block_merge_config_selectorIilEEEEvv.uses_flat_scratch, 0
	.set _ZN7rocprim17ROCPRIM_400000_NS6detail44device_merge_sort_compile_time_verifier_archINS1_11comp_targetILNS1_3genE3ELNS1_11target_archE908ELNS1_3gpuE7ELNS1_3repE0EEES8_NS1_28merge_sort_block_sort_configILj256ELj4ELNS0_20block_sort_algorithmE0EEENS0_14default_configENS1_37merge_sort_block_sort_config_selectorIilEENS1_38merge_sort_block_merge_config_selectorIilEEEEvv.has_dyn_sized_stack, 0
	.set _ZN7rocprim17ROCPRIM_400000_NS6detail44device_merge_sort_compile_time_verifier_archINS1_11comp_targetILNS1_3genE3ELNS1_11target_archE908ELNS1_3gpuE7ELNS1_3repE0EEES8_NS1_28merge_sort_block_sort_configILj256ELj4ELNS0_20block_sort_algorithmE0EEENS0_14default_configENS1_37merge_sort_block_sort_config_selectorIilEENS1_38merge_sort_block_merge_config_selectorIilEEEEvv.has_recursion, 0
	.set _ZN7rocprim17ROCPRIM_400000_NS6detail44device_merge_sort_compile_time_verifier_archINS1_11comp_targetILNS1_3genE3ELNS1_11target_archE908ELNS1_3gpuE7ELNS1_3repE0EEES8_NS1_28merge_sort_block_sort_configILj256ELj4ELNS0_20block_sort_algorithmE0EEENS0_14default_configENS1_37merge_sort_block_sort_config_selectorIilEENS1_38merge_sort_block_merge_config_selectorIilEEEEvv.has_indirect_call, 0
	.section	.AMDGPU.csdata,"",@progbits
; Kernel info:
; codeLenInByte = 4
; TotalNumSgprs: 4
; NumVgprs: 0
; ScratchSize: 0
; MemoryBound: 0
; FloatMode: 240
; IeeeMode: 1
; LDSByteSize: 0 bytes/workgroup (compile time only)
; SGPRBlocks: 0
; VGPRBlocks: 0
; NumSGPRsForWavesPerEU: 4
; NumVGPRsForWavesPerEU: 1
; Occupancy: 10
; WaveLimiterHint : 0
; COMPUTE_PGM_RSRC2:SCRATCH_EN: 0
; COMPUTE_PGM_RSRC2:USER_SGPR: 4
; COMPUTE_PGM_RSRC2:TRAP_HANDLER: 0
; COMPUTE_PGM_RSRC2:TGID_X_EN: 1
; COMPUTE_PGM_RSRC2:TGID_Y_EN: 0
; COMPUTE_PGM_RSRC2:TGID_Z_EN: 0
; COMPUTE_PGM_RSRC2:TIDIG_COMP_CNT: 0
	.section	.text._ZN7rocprim17ROCPRIM_400000_NS6detail44device_merge_sort_compile_time_verifier_archINS1_11comp_targetILNS1_3genE2ELNS1_11target_archE906ELNS1_3gpuE6ELNS1_3repE0EEES8_NS1_28merge_sort_block_sort_configILj256ELj4ELNS0_20block_sort_algorithmE0EEENS0_14default_configENS1_37merge_sort_block_sort_config_selectorIilEENS1_38merge_sort_block_merge_config_selectorIilEEEEvv,"axG",@progbits,_ZN7rocprim17ROCPRIM_400000_NS6detail44device_merge_sort_compile_time_verifier_archINS1_11comp_targetILNS1_3genE2ELNS1_11target_archE906ELNS1_3gpuE6ELNS1_3repE0EEES8_NS1_28merge_sort_block_sort_configILj256ELj4ELNS0_20block_sort_algorithmE0EEENS0_14default_configENS1_37merge_sort_block_sort_config_selectorIilEENS1_38merge_sort_block_merge_config_selectorIilEEEEvv,comdat
	.protected	_ZN7rocprim17ROCPRIM_400000_NS6detail44device_merge_sort_compile_time_verifier_archINS1_11comp_targetILNS1_3genE2ELNS1_11target_archE906ELNS1_3gpuE6ELNS1_3repE0EEES8_NS1_28merge_sort_block_sort_configILj256ELj4ELNS0_20block_sort_algorithmE0EEENS0_14default_configENS1_37merge_sort_block_sort_config_selectorIilEENS1_38merge_sort_block_merge_config_selectorIilEEEEvv ; -- Begin function _ZN7rocprim17ROCPRIM_400000_NS6detail44device_merge_sort_compile_time_verifier_archINS1_11comp_targetILNS1_3genE2ELNS1_11target_archE906ELNS1_3gpuE6ELNS1_3repE0EEES8_NS1_28merge_sort_block_sort_configILj256ELj4ELNS0_20block_sort_algorithmE0EEENS0_14default_configENS1_37merge_sort_block_sort_config_selectorIilEENS1_38merge_sort_block_merge_config_selectorIilEEEEvv
	.globl	_ZN7rocprim17ROCPRIM_400000_NS6detail44device_merge_sort_compile_time_verifier_archINS1_11comp_targetILNS1_3genE2ELNS1_11target_archE906ELNS1_3gpuE6ELNS1_3repE0EEES8_NS1_28merge_sort_block_sort_configILj256ELj4ELNS0_20block_sort_algorithmE0EEENS0_14default_configENS1_37merge_sort_block_sort_config_selectorIilEENS1_38merge_sort_block_merge_config_selectorIilEEEEvv
	.p2align	8
	.type	_ZN7rocprim17ROCPRIM_400000_NS6detail44device_merge_sort_compile_time_verifier_archINS1_11comp_targetILNS1_3genE2ELNS1_11target_archE906ELNS1_3gpuE6ELNS1_3repE0EEES8_NS1_28merge_sort_block_sort_configILj256ELj4ELNS0_20block_sort_algorithmE0EEENS0_14default_configENS1_37merge_sort_block_sort_config_selectorIilEENS1_38merge_sort_block_merge_config_selectorIilEEEEvv,@function
_ZN7rocprim17ROCPRIM_400000_NS6detail44device_merge_sort_compile_time_verifier_archINS1_11comp_targetILNS1_3genE2ELNS1_11target_archE906ELNS1_3gpuE6ELNS1_3repE0EEES8_NS1_28merge_sort_block_sort_configILj256ELj4ELNS0_20block_sort_algorithmE0EEENS0_14default_configENS1_37merge_sort_block_sort_config_selectorIilEENS1_38merge_sort_block_merge_config_selectorIilEEEEvv: ; @_ZN7rocprim17ROCPRIM_400000_NS6detail44device_merge_sort_compile_time_verifier_archINS1_11comp_targetILNS1_3genE2ELNS1_11target_archE906ELNS1_3gpuE6ELNS1_3repE0EEES8_NS1_28merge_sort_block_sort_configILj256ELj4ELNS0_20block_sort_algorithmE0EEENS0_14default_configENS1_37merge_sort_block_sort_config_selectorIilEENS1_38merge_sort_block_merge_config_selectorIilEEEEvv
; %bb.0:
	s_endpgm
	.section	.rodata,"a",@progbits
	.p2align	6, 0x0
	.amdhsa_kernel _ZN7rocprim17ROCPRIM_400000_NS6detail44device_merge_sort_compile_time_verifier_archINS1_11comp_targetILNS1_3genE2ELNS1_11target_archE906ELNS1_3gpuE6ELNS1_3repE0EEES8_NS1_28merge_sort_block_sort_configILj256ELj4ELNS0_20block_sort_algorithmE0EEENS0_14default_configENS1_37merge_sort_block_sort_config_selectorIilEENS1_38merge_sort_block_merge_config_selectorIilEEEEvv
		.amdhsa_group_segment_fixed_size 0
		.amdhsa_private_segment_fixed_size 0
		.amdhsa_kernarg_size 0
		.amdhsa_user_sgpr_count 4
		.amdhsa_user_sgpr_private_segment_buffer 1
		.amdhsa_user_sgpr_dispatch_ptr 0
		.amdhsa_user_sgpr_queue_ptr 0
		.amdhsa_user_sgpr_kernarg_segment_ptr 0
		.amdhsa_user_sgpr_dispatch_id 0
		.amdhsa_user_sgpr_flat_scratch_init 0
		.amdhsa_user_sgpr_private_segment_size 0
		.amdhsa_uses_dynamic_stack 0
		.amdhsa_system_sgpr_private_segment_wavefront_offset 0
		.amdhsa_system_sgpr_workgroup_id_x 1
		.amdhsa_system_sgpr_workgroup_id_y 0
		.amdhsa_system_sgpr_workgroup_id_z 0
		.amdhsa_system_sgpr_workgroup_info 0
		.amdhsa_system_vgpr_workitem_id 0
		.amdhsa_next_free_vgpr 1
		.amdhsa_next_free_sgpr 0
		.amdhsa_reserve_vcc 0
		.amdhsa_reserve_flat_scratch 0
		.amdhsa_float_round_mode_32 0
		.amdhsa_float_round_mode_16_64 0
		.amdhsa_float_denorm_mode_32 3
		.amdhsa_float_denorm_mode_16_64 3
		.amdhsa_dx10_clamp 1
		.amdhsa_ieee_mode 1
		.amdhsa_fp16_overflow 0
		.amdhsa_exception_fp_ieee_invalid_op 0
		.amdhsa_exception_fp_denorm_src 0
		.amdhsa_exception_fp_ieee_div_zero 0
		.amdhsa_exception_fp_ieee_overflow 0
		.amdhsa_exception_fp_ieee_underflow 0
		.amdhsa_exception_fp_ieee_inexact 0
		.amdhsa_exception_int_div_zero 0
	.end_amdhsa_kernel
	.section	.text._ZN7rocprim17ROCPRIM_400000_NS6detail44device_merge_sort_compile_time_verifier_archINS1_11comp_targetILNS1_3genE2ELNS1_11target_archE906ELNS1_3gpuE6ELNS1_3repE0EEES8_NS1_28merge_sort_block_sort_configILj256ELj4ELNS0_20block_sort_algorithmE0EEENS0_14default_configENS1_37merge_sort_block_sort_config_selectorIilEENS1_38merge_sort_block_merge_config_selectorIilEEEEvv,"axG",@progbits,_ZN7rocprim17ROCPRIM_400000_NS6detail44device_merge_sort_compile_time_verifier_archINS1_11comp_targetILNS1_3genE2ELNS1_11target_archE906ELNS1_3gpuE6ELNS1_3repE0EEES8_NS1_28merge_sort_block_sort_configILj256ELj4ELNS0_20block_sort_algorithmE0EEENS0_14default_configENS1_37merge_sort_block_sort_config_selectorIilEENS1_38merge_sort_block_merge_config_selectorIilEEEEvv,comdat
.Lfunc_end739:
	.size	_ZN7rocprim17ROCPRIM_400000_NS6detail44device_merge_sort_compile_time_verifier_archINS1_11comp_targetILNS1_3genE2ELNS1_11target_archE906ELNS1_3gpuE6ELNS1_3repE0EEES8_NS1_28merge_sort_block_sort_configILj256ELj4ELNS0_20block_sort_algorithmE0EEENS0_14default_configENS1_37merge_sort_block_sort_config_selectorIilEENS1_38merge_sort_block_merge_config_selectorIilEEEEvv, .Lfunc_end739-_ZN7rocprim17ROCPRIM_400000_NS6detail44device_merge_sort_compile_time_verifier_archINS1_11comp_targetILNS1_3genE2ELNS1_11target_archE906ELNS1_3gpuE6ELNS1_3repE0EEES8_NS1_28merge_sort_block_sort_configILj256ELj4ELNS0_20block_sort_algorithmE0EEENS0_14default_configENS1_37merge_sort_block_sort_config_selectorIilEENS1_38merge_sort_block_merge_config_selectorIilEEEEvv
                                        ; -- End function
	.set _ZN7rocprim17ROCPRIM_400000_NS6detail44device_merge_sort_compile_time_verifier_archINS1_11comp_targetILNS1_3genE2ELNS1_11target_archE906ELNS1_3gpuE6ELNS1_3repE0EEES8_NS1_28merge_sort_block_sort_configILj256ELj4ELNS0_20block_sort_algorithmE0EEENS0_14default_configENS1_37merge_sort_block_sort_config_selectorIilEENS1_38merge_sort_block_merge_config_selectorIilEEEEvv.num_vgpr, 0
	.set _ZN7rocprim17ROCPRIM_400000_NS6detail44device_merge_sort_compile_time_verifier_archINS1_11comp_targetILNS1_3genE2ELNS1_11target_archE906ELNS1_3gpuE6ELNS1_3repE0EEES8_NS1_28merge_sort_block_sort_configILj256ELj4ELNS0_20block_sort_algorithmE0EEENS0_14default_configENS1_37merge_sort_block_sort_config_selectorIilEENS1_38merge_sort_block_merge_config_selectorIilEEEEvv.num_agpr, 0
	.set _ZN7rocprim17ROCPRIM_400000_NS6detail44device_merge_sort_compile_time_verifier_archINS1_11comp_targetILNS1_3genE2ELNS1_11target_archE906ELNS1_3gpuE6ELNS1_3repE0EEES8_NS1_28merge_sort_block_sort_configILj256ELj4ELNS0_20block_sort_algorithmE0EEENS0_14default_configENS1_37merge_sort_block_sort_config_selectorIilEENS1_38merge_sort_block_merge_config_selectorIilEEEEvv.numbered_sgpr, 0
	.set _ZN7rocprim17ROCPRIM_400000_NS6detail44device_merge_sort_compile_time_verifier_archINS1_11comp_targetILNS1_3genE2ELNS1_11target_archE906ELNS1_3gpuE6ELNS1_3repE0EEES8_NS1_28merge_sort_block_sort_configILj256ELj4ELNS0_20block_sort_algorithmE0EEENS0_14default_configENS1_37merge_sort_block_sort_config_selectorIilEENS1_38merge_sort_block_merge_config_selectorIilEEEEvv.num_named_barrier, 0
	.set _ZN7rocprim17ROCPRIM_400000_NS6detail44device_merge_sort_compile_time_verifier_archINS1_11comp_targetILNS1_3genE2ELNS1_11target_archE906ELNS1_3gpuE6ELNS1_3repE0EEES8_NS1_28merge_sort_block_sort_configILj256ELj4ELNS0_20block_sort_algorithmE0EEENS0_14default_configENS1_37merge_sort_block_sort_config_selectorIilEENS1_38merge_sort_block_merge_config_selectorIilEEEEvv.private_seg_size, 0
	.set _ZN7rocprim17ROCPRIM_400000_NS6detail44device_merge_sort_compile_time_verifier_archINS1_11comp_targetILNS1_3genE2ELNS1_11target_archE906ELNS1_3gpuE6ELNS1_3repE0EEES8_NS1_28merge_sort_block_sort_configILj256ELj4ELNS0_20block_sort_algorithmE0EEENS0_14default_configENS1_37merge_sort_block_sort_config_selectorIilEENS1_38merge_sort_block_merge_config_selectorIilEEEEvv.uses_vcc, 0
	.set _ZN7rocprim17ROCPRIM_400000_NS6detail44device_merge_sort_compile_time_verifier_archINS1_11comp_targetILNS1_3genE2ELNS1_11target_archE906ELNS1_3gpuE6ELNS1_3repE0EEES8_NS1_28merge_sort_block_sort_configILj256ELj4ELNS0_20block_sort_algorithmE0EEENS0_14default_configENS1_37merge_sort_block_sort_config_selectorIilEENS1_38merge_sort_block_merge_config_selectorIilEEEEvv.uses_flat_scratch, 0
	.set _ZN7rocprim17ROCPRIM_400000_NS6detail44device_merge_sort_compile_time_verifier_archINS1_11comp_targetILNS1_3genE2ELNS1_11target_archE906ELNS1_3gpuE6ELNS1_3repE0EEES8_NS1_28merge_sort_block_sort_configILj256ELj4ELNS0_20block_sort_algorithmE0EEENS0_14default_configENS1_37merge_sort_block_sort_config_selectorIilEENS1_38merge_sort_block_merge_config_selectorIilEEEEvv.has_dyn_sized_stack, 0
	.set _ZN7rocprim17ROCPRIM_400000_NS6detail44device_merge_sort_compile_time_verifier_archINS1_11comp_targetILNS1_3genE2ELNS1_11target_archE906ELNS1_3gpuE6ELNS1_3repE0EEES8_NS1_28merge_sort_block_sort_configILj256ELj4ELNS0_20block_sort_algorithmE0EEENS0_14default_configENS1_37merge_sort_block_sort_config_selectorIilEENS1_38merge_sort_block_merge_config_selectorIilEEEEvv.has_recursion, 0
	.set _ZN7rocprim17ROCPRIM_400000_NS6detail44device_merge_sort_compile_time_verifier_archINS1_11comp_targetILNS1_3genE2ELNS1_11target_archE906ELNS1_3gpuE6ELNS1_3repE0EEES8_NS1_28merge_sort_block_sort_configILj256ELj4ELNS0_20block_sort_algorithmE0EEENS0_14default_configENS1_37merge_sort_block_sort_config_selectorIilEENS1_38merge_sort_block_merge_config_selectorIilEEEEvv.has_indirect_call, 0
	.section	.AMDGPU.csdata,"",@progbits
; Kernel info:
; codeLenInByte = 4
; TotalNumSgprs: 4
; NumVgprs: 0
; ScratchSize: 0
; MemoryBound: 0
; FloatMode: 240
; IeeeMode: 1
; LDSByteSize: 0 bytes/workgroup (compile time only)
; SGPRBlocks: 0
; VGPRBlocks: 0
; NumSGPRsForWavesPerEU: 4
; NumVGPRsForWavesPerEU: 1
; Occupancy: 10
; WaveLimiterHint : 0
; COMPUTE_PGM_RSRC2:SCRATCH_EN: 0
; COMPUTE_PGM_RSRC2:USER_SGPR: 4
; COMPUTE_PGM_RSRC2:TRAP_HANDLER: 0
; COMPUTE_PGM_RSRC2:TGID_X_EN: 1
; COMPUTE_PGM_RSRC2:TGID_Y_EN: 0
; COMPUTE_PGM_RSRC2:TGID_Z_EN: 0
; COMPUTE_PGM_RSRC2:TIDIG_COMP_CNT: 0
	.section	.text._ZN7rocprim17ROCPRIM_400000_NS6detail44device_merge_sort_compile_time_verifier_archINS1_11comp_targetILNS1_3genE10ELNS1_11target_archE1201ELNS1_3gpuE5ELNS1_3repE0EEES8_NS1_28merge_sort_block_sort_configILj256ELj4ELNS0_20block_sort_algorithmE0EEENS0_14default_configENS1_37merge_sort_block_sort_config_selectorIilEENS1_38merge_sort_block_merge_config_selectorIilEEEEvv,"axG",@progbits,_ZN7rocprim17ROCPRIM_400000_NS6detail44device_merge_sort_compile_time_verifier_archINS1_11comp_targetILNS1_3genE10ELNS1_11target_archE1201ELNS1_3gpuE5ELNS1_3repE0EEES8_NS1_28merge_sort_block_sort_configILj256ELj4ELNS0_20block_sort_algorithmE0EEENS0_14default_configENS1_37merge_sort_block_sort_config_selectorIilEENS1_38merge_sort_block_merge_config_selectorIilEEEEvv,comdat
	.protected	_ZN7rocprim17ROCPRIM_400000_NS6detail44device_merge_sort_compile_time_verifier_archINS1_11comp_targetILNS1_3genE10ELNS1_11target_archE1201ELNS1_3gpuE5ELNS1_3repE0EEES8_NS1_28merge_sort_block_sort_configILj256ELj4ELNS0_20block_sort_algorithmE0EEENS0_14default_configENS1_37merge_sort_block_sort_config_selectorIilEENS1_38merge_sort_block_merge_config_selectorIilEEEEvv ; -- Begin function _ZN7rocprim17ROCPRIM_400000_NS6detail44device_merge_sort_compile_time_verifier_archINS1_11comp_targetILNS1_3genE10ELNS1_11target_archE1201ELNS1_3gpuE5ELNS1_3repE0EEES8_NS1_28merge_sort_block_sort_configILj256ELj4ELNS0_20block_sort_algorithmE0EEENS0_14default_configENS1_37merge_sort_block_sort_config_selectorIilEENS1_38merge_sort_block_merge_config_selectorIilEEEEvv
	.globl	_ZN7rocprim17ROCPRIM_400000_NS6detail44device_merge_sort_compile_time_verifier_archINS1_11comp_targetILNS1_3genE10ELNS1_11target_archE1201ELNS1_3gpuE5ELNS1_3repE0EEES8_NS1_28merge_sort_block_sort_configILj256ELj4ELNS0_20block_sort_algorithmE0EEENS0_14default_configENS1_37merge_sort_block_sort_config_selectorIilEENS1_38merge_sort_block_merge_config_selectorIilEEEEvv
	.p2align	8
	.type	_ZN7rocprim17ROCPRIM_400000_NS6detail44device_merge_sort_compile_time_verifier_archINS1_11comp_targetILNS1_3genE10ELNS1_11target_archE1201ELNS1_3gpuE5ELNS1_3repE0EEES8_NS1_28merge_sort_block_sort_configILj256ELj4ELNS0_20block_sort_algorithmE0EEENS0_14default_configENS1_37merge_sort_block_sort_config_selectorIilEENS1_38merge_sort_block_merge_config_selectorIilEEEEvv,@function
_ZN7rocprim17ROCPRIM_400000_NS6detail44device_merge_sort_compile_time_verifier_archINS1_11comp_targetILNS1_3genE10ELNS1_11target_archE1201ELNS1_3gpuE5ELNS1_3repE0EEES8_NS1_28merge_sort_block_sort_configILj256ELj4ELNS0_20block_sort_algorithmE0EEENS0_14default_configENS1_37merge_sort_block_sort_config_selectorIilEENS1_38merge_sort_block_merge_config_selectorIilEEEEvv: ; @_ZN7rocprim17ROCPRIM_400000_NS6detail44device_merge_sort_compile_time_verifier_archINS1_11comp_targetILNS1_3genE10ELNS1_11target_archE1201ELNS1_3gpuE5ELNS1_3repE0EEES8_NS1_28merge_sort_block_sort_configILj256ELj4ELNS0_20block_sort_algorithmE0EEENS0_14default_configENS1_37merge_sort_block_sort_config_selectorIilEENS1_38merge_sort_block_merge_config_selectorIilEEEEvv
; %bb.0:
	s_endpgm
	.section	.rodata,"a",@progbits
	.p2align	6, 0x0
	.amdhsa_kernel _ZN7rocprim17ROCPRIM_400000_NS6detail44device_merge_sort_compile_time_verifier_archINS1_11comp_targetILNS1_3genE10ELNS1_11target_archE1201ELNS1_3gpuE5ELNS1_3repE0EEES8_NS1_28merge_sort_block_sort_configILj256ELj4ELNS0_20block_sort_algorithmE0EEENS0_14default_configENS1_37merge_sort_block_sort_config_selectorIilEENS1_38merge_sort_block_merge_config_selectorIilEEEEvv
		.amdhsa_group_segment_fixed_size 0
		.amdhsa_private_segment_fixed_size 0
		.amdhsa_kernarg_size 0
		.amdhsa_user_sgpr_count 4
		.amdhsa_user_sgpr_private_segment_buffer 1
		.amdhsa_user_sgpr_dispatch_ptr 0
		.amdhsa_user_sgpr_queue_ptr 0
		.amdhsa_user_sgpr_kernarg_segment_ptr 0
		.amdhsa_user_sgpr_dispatch_id 0
		.amdhsa_user_sgpr_flat_scratch_init 0
		.amdhsa_user_sgpr_private_segment_size 0
		.amdhsa_uses_dynamic_stack 0
		.amdhsa_system_sgpr_private_segment_wavefront_offset 0
		.amdhsa_system_sgpr_workgroup_id_x 1
		.amdhsa_system_sgpr_workgroup_id_y 0
		.amdhsa_system_sgpr_workgroup_id_z 0
		.amdhsa_system_sgpr_workgroup_info 0
		.amdhsa_system_vgpr_workitem_id 0
		.amdhsa_next_free_vgpr 1
		.amdhsa_next_free_sgpr 0
		.amdhsa_reserve_vcc 0
		.amdhsa_reserve_flat_scratch 0
		.amdhsa_float_round_mode_32 0
		.amdhsa_float_round_mode_16_64 0
		.amdhsa_float_denorm_mode_32 3
		.amdhsa_float_denorm_mode_16_64 3
		.amdhsa_dx10_clamp 1
		.amdhsa_ieee_mode 1
		.amdhsa_fp16_overflow 0
		.amdhsa_exception_fp_ieee_invalid_op 0
		.amdhsa_exception_fp_denorm_src 0
		.amdhsa_exception_fp_ieee_div_zero 0
		.amdhsa_exception_fp_ieee_overflow 0
		.amdhsa_exception_fp_ieee_underflow 0
		.amdhsa_exception_fp_ieee_inexact 0
		.amdhsa_exception_int_div_zero 0
	.end_amdhsa_kernel
	.section	.text._ZN7rocprim17ROCPRIM_400000_NS6detail44device_merge_sort_compile_time_verifier_archINS1_11comp_targetILNS1_3genE10ELNS1_11target_archE1201ELNS1_3gpuE5ELNS1_3repE0EEES8_NS1_28merge_sort_block_sort_configILj256ELj4ELNS0_20block_sort_algorithmE0EEENS0_14default_configENS1_37merge_sort_block_sort_config_selectorIilEENS1_38merge_sort_block_merge_config_selectorIilEEEEvv,"axG",@progbits,_ZN7rocprim17ROCPRIM_400000_NS6detail44device_merge_sort_compile_time_verifier_archINS1_11comp_targetILNS1_3genE10ELNS1_11target_archE1201ELNS1_3gpuE5ELNS1_3repE0EEES8_NS1_28merge_sort_block_sort_configILj256ELj4ELNS0_20block_sort_algorithmE0EEENS0_14default_configENS1_37merge_sort_block_sort_config_selectorIilEENS1_38merge_sort_block_merge_config_selectorIilEEEEvv,comdat
.Lfunc_end740:
	.size	_ZN7rocprim17ROCPRIM_400000_NS6detail44device_merge_sort_compile_time_verifier_archINS1_11comp_targetILNS1_3genE10ELNS1_11target_archE1201ELNS1_3gpuE5ELNS1_3repE0EEES8_NS1_28merge_sort_block_sort_configILj256ELj4ELNS0_20block_sort_algorithmE0EEENS0_14default_configENS1_37merge_sort_block_sort_config_selectorIilEENS1_38merge_sort_block_merge_config_selectorIilEEEEvv, .Lfunc_end740-_ZN7rocprim17ROCPRIM_400000_NS6detail44device_merge_sort_compile_time_verifier_archINS1_11comp_targetILNS1_3genE10ELNS1_11target_archE1201ELNS1_3gpuE5ELNS1_3repE0EEES8_NS1_28merge_sort_block_sort_configILj256ELj4ELNS0_20block_sort_algorithmE0EEENS0_14default_configENS1_37merge_sort_block_sort_config_selectorIilEENS1_38merge_sort_block_merge_config_selectorIilEEEEvv
                                        ; -- End function
	.set _ZN7rocprim17ROCPRIM_400000_NS6detail44device_merge_sort_compile_time_verifier_archINS1_11comp_targetILNS1_3genE10ELNS1_11target_archE1201ELNS1_3gpuE5ELNS1_3repE0EEES8_NS1_28merge_sort_block_sort_configILj256ELj4ELNS0_20block_sort_algorithmE0EEENS0_14default_configENS1_37merge_sort_block_sort_config_selectorIilEENS1_38merge_sort_block_merge_config_selectorIilEEEEvv.num_vgpr, 0
	.set _ZN7rocprim17ROCPRIM_400000_NS6detail44device_merge_sort_compile_time_verifier_archINS1_11comp_targetILNS1_3genE10ELNS1_11target_archE1201ELNS1_3gpuE5ELNS1_3repE0EEES8_NS1_28merge_sort_block_sort_configILj256ELj4ELNS0_20block_sort_algorithmE0EEENS0_14default_configENS1_37merge_sort_block_sort_config_selectorIilEENS1_38merge_sort_block_merge_config_selectorIilEEEEvv.num_agpr, 0
	.set _ZN7rocprim17ROCPRIM_400000_NS6detail44device_merge_sort_compile_time_verifier_archINS1_11comp_targetILNS1_3genE10ELNS1_11target_archE1201ELNS1_3gpuE5ELNS1_3repE0EEES8_NS1_28merge_sort_block_sort_configILj256ELj4ELNS0_20block_sort_algorithmE0EEENS0_14default_configENS1_37merge_sort_block_sort_config_selectorIilEENS1_38merge_sort_block_merge_config_selectorIilEEEEvv.numbered_sgpr, 0
	.set _ZN7rocprim17ROCPRIM_400000_NS6detail44device_merge_sort_compile_time_verifier_archINS1_11comp_targetILNS1_3genE10ELNS1_11target_archE1201ELNS1_3gpuE5ELNS1_3repE0EEES8_NS1_28merge_sort_block_sort_configILj256ELj4ELNS0_20block_sort_algorithmE0EEENS0_14default_configENS1_37merge_sort_block_sort_config_selectorIilEENS1_38merge_sort_block_merge_config_selectorIilEEEEvv.num_named_barrier, 0
	.set _ZN7rocprim17ROCPRIM_400000_NS6detail44device_merge_sort_compile_time_verifier_archINS1_11comp_targetILNS1_3genE10ELNS1_11target_archE1201ELNS1_3gpuE5ELNS1_3repE0EEES8_NS1_28merge_sort_block_sort_configILj256ELj4ELNS0_20block_sort_algorithmE0EEENS0_14default_configENS1_37merge_sort_block_sort_config_selectorIilEENS1_38merge_sort_block_merge_config_selectorIilEEEEvv.private_seg_size, 0
	.set _ZN7rocprim17ROCPRIM_400000_NS6detail44device_merge_sort_compile_time_verifier_archINS1_11comp_targetILNS1_3genE10ELNS1_11target_archE1201ELNS1_3gpuE5ELNS1_3repE0EEES8_NS1_28merge_sort_block_sort_configILj256ELj4ELNS0_20block_sort_algorithmE0EEENS0_14default_configENS1_37merge_sort_block_sort_config_selectorIilEENS1_38merge_sort_block_merge_config_selectorIilEEEEvv.uses_vcc, 0
	.set _ZN7rocprim17ROCPRIM_400000_NS6detail44device_merge_sort_compile_time_verifier_archINS1_11comp_targetILNS1_3genE10ELNS1_11target_archE1201ELNS1_3gpuE5ELNS1_3repE0EEES8_NS1_28merge_sort_block_sort_configILj256ELj4ELNS0_20block_sort_algorithmE0EEENS0_14default_configENS1_37merge_sort_block_sort_config_selectorIilEENS1_38merge_sort_block_merge_config_selectorIilEEEEvv.uses_flat_scratch, 0
	.set _ZN7rocprim17ROCPRIM_400000_NS6detail44device_merge_sort_compile_time_verifier_archINS1_11comp_targetILNS1_3genE10ELNS1_11target_archE1201ELNS1_3gpuE5ELNS1_3repE0EEES8_NS1_28merge_sort_block_sort_configILj256ELj4ELNS0_20block_sort_algorithmE0EEENS0_14default_configENS1_37merge_sort_block_sort_config_selectorIilEENS1_38merge_sort_block_merge_config_selectorIilEEEEvv.has_dyn_sized_stack, 0
	.set _ZN7rocprim17ROCPRIM_400000_NS6detail44device_merge_sort_compile_time_verifier_archINS1_11comp_targetILNS1_3genE10ELNS1_11target_archE1201ELNS1_3gpuE5ELNS1_3repE0EEES8_NS1_28merge_sort_block_sort_configILj256ELj4ELNS0_20block_sort_algorithmE0EEENS0_14default_configENS1_37merge_sort_block_sort_config_selectorIilEENS1_38merge_sort_block_merge_config_selectorIilEEEEvv.has_recursion, 0
	.set _ZN7rocprim17ROCPRIM_400000_NS6detail44device_merge_sort_compile_time_verifier_archINS1_11comp_targetILNS1_3genE10ELNS1_11target_archE1201ELNS1_3gpuE5ELNS1_3repE0EEES8_NS1_28merge_sort_block_sort_configILj256ELj4ELNS0_20block_sort_algorithmE0EEENS0_14default_configENS1_37merge_sort_block_sort_config_selectorIilEENS1_38merge_sort_block_merge_config_selectorIilEEEEvv.has_indirect_call, 0
	.section	.AMDGPU.csdata,"",@progbits
; Kernel info:
; codeLenInByte = 4
; TotalNumSgprs: 4
; NumVgprs: 0
; ScratchSize: 0
; MemoryBound: 0
; FloatMode: 240
; IeeeMode: 1
; LDSByteSize: 0 bytes/workgroup (compile time only)
; SGPRBlocks: 0
; VGPRBlocks: 0
; NumSGPRsForWavesPerEU: 4
; NumVGPRsForWavesPerEU: 1
; Occupancy: 10
; WaveLimiterHint : 0
; COMPUTE_PGM_RSRC2:SCRATCH_EN: 0
; COMPUTE_PGM_RSRC2:USER_SGPR: 4
; COMPUTE_PGM_RSRC2:TRAP_HANDLER: 0
; COMPUTE_PGM_RSRC2:TGID_X_EN: 1
; COMPUTE_PGM_RSRC2:TGID_Y_EN: 0
; COMPUTE_PGM_RSRC2:TGID_Z_EN: 0
; COMPUTE_PGM_RSRC2:TIDIG_COMP_CNT: 0
	.section	.text._ZN7rocprim17ROCPRIM_400000_NS6detail44device_merge_sort_compile_time_verifier_archINS1_11comp_targetILNS1_3genE10ELNS1_11target_archE1200ELNS1_3gpuE4ELNS1_3repE0EEENS3_ILS4_10ELS5_1201ELS6_5ELS7_0EEENS1_28merge_sort_block_sort_configILj256ELj4ELNS0_20block_sort_algorithmE0EEENS0_14default_configENS1_37merge_sort_block_sort_config_selectorIilEENS1_38merge_sort_block_merge_config_selectorIilEEEEvv,"axG",@progbits,_ZN7rocprim17ROCPRIM_400000_NS6detail44device_merge_sort_compile_time_verifier_archINS1_11comp_targetILNS1_3genE10ELNS1_11target_archE1200ELNS1_3gpuE4ELNS1_3repE0EEENS3_ILS4_10ELS5_1201ELS6_5ELS7_0EEENS1_28merge_sort_block_sort_configILj256ELj4ELNS0_20block_sort_algorithmE0EEENS0_14default_configENS1_37merge_sort_block_sort_config_selectorIilEENS1_38merge_sort_block_merge_config_selectorIilEEEEvv,comdat
	.protected	_ZN7rocprim17ROCPRIM_400000_NS6detail44device_merge_sort_compile_time_verifier_archINS1_11comp_targetILNS1_3genE10ELNS1_11target_archE1200ELNS1_3gpuE4ELNS1_3repE0EEENS3_ILS4_10ELS5_1201ELS6_5ELS7_0EEENS1_28merge_sort_block_sort_configILj256ELj4ELNS0_20block_sort_algorithmE0EEENS0_14default_configENS1_37merge_sort_block_sort_config_selectorIilEENS1_38merge_sort_block_merge_config_selectorIilEEEEvv ; -- Begin function _ZN7rocprim17ROCPRIM_400000_NS6detail44device_merge_sort_compile_time_verifier_archINS1_11comp_targetILNS1_3genE10ELNS1_11target_archE1200ELNS1_3gpuE4ELNS1_3repE0EEENS3_ILS4_10ELS5_1201ELS6_5ELS7_0EEENS1_28merge_sort_block_sort_configILj256ELj4ELNS0_20block_sort_algorithmE0EEENS0_14default_configENS1_37merge_sort_block_sort_config_selectorIilEENS1_38merge_sort_block_merge_config_selectorIilEEEEvv
	.globl	_ZN7rocprim17ROCPRIM_400000_NS6detail44device_merge_sort_compile_time_verifier_archINS1_11comp_targetILNS1_3genE10ELNS1_11target_archE1200ELNS1_3gpuE4ELNS1_3repE0EEENS3_ILS4_10ELS5_1201ELS6_5ELS7_0EEENS1_28merge_sort_block_sort_configILj256ELj4ELNS0_20block_sort_algorithmE0EEENS0_14default_configENS1_37merge_sort_block_sort_config_selectorIilEENS1_38merge_sort_block_merge_config_selectorIilEEEEvv
	.p2align	8
	.type	_ZN7rocprim17ROCPRIM_400000_NS6detail44device_merge_sort_compile_time_verifier_archINS1_11comp_targetILNS1_3genE10ELNS1_11target_archE1200ELNS1_3gpuE4ELNS1_3repE0EEENS3_ILS4_10ELS5_1201ELS6_5ELS7_0EEENS1_28merge_sort_block_sort_configILj256ELj4ELNS0_20block_sort_algorithmE0EEENS0_14default_configENS1_37merge_sort_block_sort_config_selectorIilEENS1_38merge_sort_block_merge_config_selectorIilEEEEvv,@function
_ZN7rocprim17ROCPRIM_400000_NS6detail44device_merge_sort_compile_time_verifier_archINS1_11comp_targetILNS1_3genE10ELNS1_11target_archE1200ELNS1_3gpuE4ELNS1_3repE0EEENS3_ILS4_10ELS5_1201ELS6_5ELS7_0EEENS1_28merge_sort_block_sort_configILj256ELj4ELNS0_20block_sort_algorithmE0EEENS0_14default_configENS1_37merge_sort_block_sort_config_selectorIilEENS1_38merge_sort_block_merge_config_selectorIilEEEEvv: ; @_ZN7rocprim17ROCPRIM_400000_NS6detail44device_merge_sort_compile_time_verifier_archINS1_11comp_targetILNS1_3genE10ELNS1_11target_archE1200ELNS1_3gpuE4ELNS1_3repE0EEENS3_ILS4_10ELS5_1201ELS6_5ELS7_0EEENS1_28merge_sort_block_sort_configILj256ELj4ELNS0_20block_sort_algorithmE0EEENS0_14default_configENS1_37merge_sort_block_sort_config_selectorIilEENS1_38merge_sort_block_merge_config_selectorIilEEEEvv
; %bb.0:
	s_endpgm
	.section	.rodata,"a",@progbits
	.p2align	6, 0x0
	.amdhsa_kernel _ZN7rocprim17ROCPRIM_400000_NS6detail44device_merge_sort_compile_time_verifier_archINS1_11comp_targetILNS1_3genE10ELNS1_11target_archE1200ELNS1_3gpuE4ELNS1_3repE0EEENS3_ILS4_10ELS5_1201ELS6_5ELS7_0EEENS1_28merge_sort_block_sort_configILj256ELj4ELNS0_20block_sort_algorithmE0EEENS0_14default_configENS1_37merge_sort_block_sort_config_selectorIilEENS1_38merge_sort_block_merge_config_selectorIilEEEEvv
		.amdhsa_group_segment_fixed_size 0
		.amdhsa_private_segment_fixed_size 0
		.amdhsa_kernarg_size 0
		.amdhsa_user_sgpr_count 4
		.amdhsa_user_sgpr_private_segment_buffer 1
		.amdhsa_user_sgpr_dispatch_ptr 0
		.amdhsa_user_sgpr_queue_ptr 0
		.amdhsa_user_sgpr_kernarg_segment_ptr 0
		.amdhsa_user_sgpr_dispatch_id 0
		.amdhsa_user_sgpr_flat_scratch_init 0
		.amdhsa_user_sgpr_private_segment_size 0
		.amdhsa_uses_dynamic_stack 0
		.amdhsa_system_sgpr_private_segment_wavefront_offset 0
		.amdhsa_system_sgpr_workgroup_id_x 1
		.amdhsa_system_sgpr_workgroup_id_y 0
		.amdhsa_system_sgpr_workgroup_id_z 0
		.amdhsa_system_sgpr_workgroup_info 0
		.amdhsa_system_vgpr_workitem_id 0
		.amdhsa_next_free_vgpr 1
		.amdhsa_next_free_sgpr 0
		.amdhsa_reserve_vcc 0
		.amdhsa_reserve_flat_scratch 0
		.amdhsa_float_round_mode_32 0
		.amdhsa_float_round_mode_16_64 0
		.amdhsa_float_denorm_mode_32 3
		.amdhsa_float_denorm_mode_16_64 3
		.amdhsa_dx10_clamp 1
		.amdhsa_ieee_mode 1
		.amdhsa_fp16_overflow 0
		.amdhsa_exception_fp_ieee_invalid_op 0
		.amdhsa_exception_fp_denorm_src 0
		.amdhsa_exception_fp_ieee_div_zero 0
		.amdhsa_exception_fp_ieee_overflow 0
		.amdhsa_exception_fp_ieee_underflow 0
		.amdhsa_exception_fp_ieee_inexact 0
		.amdhsa_exception_int_div_zero 0
	.end_amdhsa_kernel
	.section	.text._ZN7rocprim17ROCPRIM_400000_NS6detail44device_merge_sort_compile_time_verifier_archINS1_11comp_targetILNS1_3genE10ELNS1_11target_archE1200ELNS1_3gpuE4ELNS1_3repE0EEENS3_ILS4_10ELS5_1201ELS6_5ELS7_0EEENS1_28merge_sort_block_sort_configILj256ELj4ELNS0_20block_sort_algorithmE0EEENS0_14default_configENS1_37merge_sort_block_sort_config_selectorIilEENS1_38merge_sort_block_merge_config_selectorIilEEEEvv,"axG",@progbits,_ZN7rocprim17ROCPRIM_400000_NS6detail44device_merge_sort_compile_time_verifier_archINS1_11comp_targetILNS1_3genE10ELNS1_11target_archE1200ELNS1_3gpuE4ELNS1_3repE0EEENS3_ILS4_10ELS5_1201ELS6_5ELS7_0EEENS1_28merge_sort_block_sort_configILj256ELj4ELNS0_20block_sort_algorithmE0EEENS0_14default_configENS1_37merge_sort_block_sort_config_selectorIilEENS1_38merge_sort_block_merge_config_selectorIilEEEEvv,comdat
.Lfunc_end741:
	.size	_ZN7rocprim17ROCPRIM_400000_NS6detail44device_merge_sort_compile_time_verifier_archINS1_11comp_targetILNS1_3genE10ELNS1_11target_archE1200ELNS1_3gpuE4ELNS1_3repE0EEENS3_ILS4_10ELS5_1201ELS6_5ELS7_0EEENS1_28merge_sort_block_sort_configILj256ELj4ELNS0_20block_sort_algorithmE0EEENS0_14default_configENS1_37merge_sort_block_sort_config_selectorIilEENS1_38merge_sort_block_merge_config_selectorIilEEEEvv, .Lfunc_end741-_ZN7rocprim17ROCPRIM_400000_NS6detail44device_merge_sort_compile_time_verifier_archINS1_11comp_targetILNS1_3genE10ELNS1_11target_archE1200ELNS1_3gpuE4ELNS1_3repE0EEENS3_ILS4_10ELS5_1201ELS6_5ELS7_0EEENS1_28merge_sort_block_sort_configILj256ELj4ELNS0_20block_sort_algorithmE0EEENS0_14default_configENS1_37merge_sort_block_sort_config_selectorIilEENS1_38merge_sort_block_merge_config_selectorIilEEEEvv
                                        ; -- End function
	.set _ZN7rocprim17ROCPRIM_400000_NS6detail44device_merge_sort_compile_time_verifier_archINS1_11comp_targetILNS1_3genE10ELNS1_11target_archE1200ELNS1_3gpuE4ELNS1_3repE0EEENS3_ILS4_10ELS5_1201ELS6_5ELS7_0EEENS1_28merge_sort_block_sort_configILj256ELj4ELNS0_20block_sort_algorithmE0EEENS0_14default_configENS1_37merge_sort_block_sort_config_selectorIilEENS1_38merge_sort_block_merge_config_selectorIilEEEEvv.num_vgpr, 0
	.set _ZN7rocprim17ROCPRIM_400000_NS6detail44device_merge_sort_compile_time_verifier_archINS1_11comp_targetILNS1_3genE10ELNS1_11target_archE1200ELNS1_3gpuE4ELNS1_3repE0EEENS3_ILS4_10ELS5_1201ELS6_5ELS7_0EEENS1_28merge_sort_block_sort_configILj256ELj4ELNS0_20block_sort_algorithmE0EEENS0_14default_configENS1_37merge_sort_block_sort_config_selectorIilEENS1_38merge_sort_block_merge_config_selectorIilEEEEvv.num_agpr, 0
	.set _ZN7rocprim17ROCPRIM_400000_NS6detail44device_merge_sort_compile_time_verifier_archINS1_11comp_targetILNS1_3genE10ELNS1_11target_archE1200ELNS1_3gpuE4ELNS1_3repE0EEENS3_ILS4_10ELS5_1201ELS6_5ELS7_0EEENS1_28merge_sort_block_sort_configILj256ELj4ELNS0_20block_sort_algorithmE0EEENS0_14default_configENS1_37merge_sort_block_sort_config_selectorIilEENS1_38merge_sort_block_merge_config_selectorIilEEEEvv.numbered_sgpr, 0
	.set _ZN7rocprim17ROCPRIM_400000_NS6detail44device_merge_sort_compile_time_verifier_archINS1_11comp_targetILNS1_3genE10ELNS1_11target_archE1200ELNS1_3gpuE4ELNS1_3repE0EEENS3_ILS4_10ELS5_1201ELS6_5ELS7_0EEENS1_28merge_sort_block_sort_configILj256ELj4ELNS0_20block_sort_algorithmE0EEENS0_14default_configENS1_37merge_sort_block_sort_config_selectorIilEENS1_38merge_sort_block_merge_config_selectorIilEEEEvv.num_named_barrier, 0
	.set _ZN7rocprim17ROCPRIM_400000_NS6detail44device_merge_sort_compile_time_verifier_archINS1_11comp_targetILNS1_3genE10ELNS1_11target_archE1200ELNS1_3gpuE4ELNS1_3repE0EEENS3_ILS4_10ELS5_1201ELS6_5ELS7_0EEENS1_28merge_sort_block_sort_configILj256ELj4ELNS0_20block_sort_algorithmE0EEENS0_14default_configENS1_37merge_sort_block_sort_config_selectorIilEENS1_38merge_sort_block_merge_config_selectorIilEEEEvv.private_seg_size, 0
	.set _ZN7rocprim17ROCPRIM_400000_NS6detail44device_merge_sort_compile_time_verifier_archINS1_11comp_targetILNS1_3genE10ELNS1_11target_archE1200ELNS1_3gpuE4ELNS1_3repE0EEENS3_ILS4_10ELS5_1201ELS6_5ELS7_0EEENS1_28merge_sort_block_sort_configILj256ELj4ELNS0_20block_sort_algorithmE0EEENS0_14default_configENS1_37merge_sort_block_sort_config_selectorIilEENS1_38merge_sort_block_merge_config_selectorIilEEEEvv.uses_vcc, 0
	.set _ZN7rocprim17ROCPRIM_400000_NS6detail44device_merge_sort_compile_time_verifier_archINS1_11comp_targetILNS1_3genE10ELNS1_11target_archE1200ELNS1_3gpuE4ELNS1_3repE0EEENS3_ILS4_10ELS5_1201ELS6_5ELS7_0EEENS1_28merge_sort_block_sort_configILj256ELj4ELNS0_20block_sort_algorithmE0EEENS0_14default_configENS1_37merge_sort_block_sort_config_selectorIilEENS1_38merge_sort_block_merge_config_selectorIilEEEEvv.uses_flat_scratch, 0
	.set _ZN7rocprim17ROCPRIM_400000_NS6detail44device_merge_sort_compile_time_verifier_archINS1_11comp_targetILNS1_3genE10ELNS1_11target_archE1200ELNS1_3gpuE4ELNS1_3repE0EEENS3_ILS4_10ELS5_1201ELS6_5ELS7_0EEENS1_28merge_sort_block_sort_configILj256ELj4ELNS0_20block_sort_algorithmE0EEENS0_14default_configENS1_37merge_sort_block_sort_config_selectorIilEENS1_38merge_sort_block_merge_config_selectorIilEEEEvv.has_dyn_sized_stack, 0
	.set _ZN7rocprim17ROCPRIM_400000_NS6detail44device_merge_sort_compile_time_verifier_archINS1_11comp_targetILNS1_3genE10ELNS1_11target_archE1200ELNS1_3gpuE4ELNS1_3repE0EEENS3_ILS4_10ELS5_1201ELS6_5ELS7_0EEENS1_28merge_sort_block_sort_configILj256ELj4ELNS0_20block_sort_algorithmE0EEENS0_14default_configENS1_37merge_sort_block_sort_config_selectorIilEENS1_38merge_sort_block_merge_config_selectorIilEEEEvv.has_recursion, 0
	.set _ZN7rocprim17ROCPRIM_400000_NS6detail44device_merge_sort_compile_time_verifier_archINS1_11comp_targetILNS1_3genE10ELNS1_11target_archE1200ELNS1_3gpuE4ELNS1_3repE0EEENS3_ILS4_10ELS5_1201ELS6_5ELS7_0EEENS1_28merge_sort_block_sort_configILj256ELj4ELNS0_20block_sort_algorithmE0EEENS0_14default_configENS1_37merge_sort_block_sort_config_selectorIilEENS1_38merge_sort_block_merge_config_selectorIilEEEEvv.has_indirect_call, 0
	.section	.AMDGPU.csdata,"",@progbits
; Kernel info:
; codeLenInByte = 4
; TotalNumSgprs: 4
; NumVgprs: 0
; ScratchSize: 0
; MemoryBound: 0
; FloatMode: 240
; IeeeMode: 1
; LDSByteSize: 0 bytes/workgroup (compile time only)
; SGPRBlocks: 0
; VGPRBlocks: 0
; NumSGPRsForWavesPerEU: 4
; NumVGPRsForWavesPerEU: 1
; Occupancy: 10
; WaveLimiterHint : 0
; COMPUTE_PGM_RSRC2:SCRATCH_EN: 0
; COMPUTE_PGM_RSRC2:USER_SGPR: 4
; COMPUTE_PGM_RSRC2:TRAP_HANDLER: 0
; COMPUTE_PGM_RSRC2:TGID_X_EN: 1
; COMPUTE_PGM_RSRC2:TGID_Y_EN: 0
; COMPUTE_PGM_RSRC2:TGID_Z_EN: 0
; COMPUTE_PGM_RSRC2:TIDIG_COMP_CNT: 0
	.section	.text._ZN7rocprim17ROCPRIM_400000_NS6detail44device_merge_sort_compile_time_verifier_archINS1_11comp_targetILNS1_3genE9ELNS1_11target_archE1100ELNS1_3gpuE3ELNS1_3repE0EEES8_NS1_28merge_sort_block_sort_configILj256ELj4ELNS0_20block_sort_algorithmE0EEENS0_14default_configENS1_37merge_sort_block_sort_config_selectorIilEENS1_38merge_sort_block_merge_config_selectorIilEEEEvv,"axG",@progbits,_ZN7rocprim17ROCPRIM_400000_NS6detail44device_merge_sort_compile_time_verifier_archINS1_11comp_targetILNS1_3genE9ELNS1_11target_archE1100ELNS1_3gpuE3ELNS1_3repE0EEES8_NS1_28merge_sort_block_sort_configILj256ELj4ELNS0_20block_sort_algorithmE0EEENS0_14default_configENS1_37merge_sort_block_sort_config_selectorIilEENS1_38merge_sort_block_merge_config_selectorIilEEEEvv,comdat
	.protected	_ZN7rocprim17ROCPRIM_400000_NS6detail44device_merge_sort_compile_time_verifier_archINS1_11comp_targetILNS1_3genE9ELNS1_11target_archE1100ELNS1_3gpuE3ELNS1_3repE0EEES8_NS1_28merge_sort_block_sort_configILj256ELj4ELNS0_20block_sort_algorithmE0EEENS0_14default_configENS1_37merge_sort_block_sort_config_selectorIilEENS1_38merge_sort_block_merge_config_selectorIilEEEEvv ; -- Begin function _ZN7rocprim17ROCPRIM_400000_NS6detail44device_merge_sort_compile_time_verifier_archINS1_11comp_targetILNS1_3genE9ELNS1_11target_archE1100ELNS1_3gpuE3ELNS1_3repE0EEES8_NS1_28merge_sort_block_sort_configILj256ELj4ELNS0_20block_sort_algorithmE0EEENS0_14default_configENS1_37merge_sort_block_sort_config_selectorIilEENS1_38merge_sort_block_merge_config_selectorIilEEEEvv
	.globl	_ZN7rocprim17ROCPRIM_400000_NS6detail44device_merge_sort_compile_time_verifier_archINS1_11comp_targetILNS1_3genE9ELNS1_11target_archE1100ELNS1_3gpuE3ELNS1_3repE0EEES8_NS1_28merge_sort_block_sort_configILj256ELj4ELNS0_20block_sort_algorithmE0EEENS0_14default_configENS1_37merge_sort_block_sort_config_selectorIilEENS1_38merge_sort_block_merge_config_selectorIilEEEEvv
	.p2align	8
	.type	_ZN7rocprim17ROCPRIM_400000_NS6detail44device_merge_sort_compile_time_verifier_archINS1_11comp_targetILNS1_3genE9ELNS1_11target_archE1100ELNS1_3gpuE3ELNS1_3repE0EEES8_NS1_28merge_sort_block_sort_configILj256ELj4ELNS0_20block_sort_algorithmE0EEENS0_14default_configENS1_37merge_sort_block_sort_config_selectorIilEENS1_38merge_sort_block_merge_config_selectorIilEEEEvv,@function
_ZN7rocprim17ROCPRIM_400000_NS6detail44device_merge_sort_compile_time_verifier_archINS1_11comp_targetILNS1_3genE9ELNS1_11target_archE1100ELNS1_3gpuE3ELNS1_3repE0EEES8_NS1_28merge_sort_block_sort_configILj256ELj4ELNS0_20block_sort_algorithmE0EEENS0_14default_configENS1_37merge_sort_block_sort_config_selectorIilEENS1_38merge_sort_block_merge_config_selectorIilEEEEvv: ; @_ZN7rocprim17ROCPRIM_400000_NS6detail44device_merge_sort_compile_time_verifier_archINS1_11comp_targetILNS1_3genE9ELNS1_11target_archE1100ELNS1_3gpuE3ELNS1_3repE0EEES8_NS1_28merge_sort_block_sort_configILj256ELj4ELNS0_20block_sort_algorithmE0EEENS0_14default_configENS1_37merge_sort_block_sort_config_selectorIilEENS1_38merge_sort_block_merge_config_selectorIilEEEEvv
; %bb.0:
	s_endpgm
	.section	.rodata,"a",@progbits
	.p2align	6, 0x0
	.amdhsa_kernel _ZN7rocprim17ROCPRIM_400000_NS6detail44device_merge_sort_compile_time_verifier_archINS1_11comp_targetILNS1_3genE9ELNS1_11target_archE1100ELNS1_3gpuE3ELNS1_3repE0EEES8_NS1_28merge_sort_block_sort_configILj256ELj4ELNS0_20block_sort_algorithmE0EEENS0_14default_configENS1_37merge_sort_block_sort_config_selectorIilEENS1_38merge_sort_block_merge_config_selectorIilEEEEvv
		.amdhsa_group_segment_fixed_size 0
		.amdhsa_private_segment_fixed_size 0
		.amdhsa_kernarg_size 0
		.amdhsa_user_sgpr_count 4
		.amdhsa_user_sgpr_private_segment_buffer 1
		.amdhsa_user_sgpr_dispatch_ptr 0
		.amdhsa_user_sgpr_queue_ptr 0
		.amdhsa_user_sgpr_kernarg_segment_ptr 0
		.amdhsa_user_sgpr_dispatch_id 0
		.amdhsa_user_sgpr_flat_scratch_init 0
		.amdhsa_user_sgpr_private_segment_size 0
		.amdhsa_uses_dynamic_stack 0
		.amdhsa_system_sgpr_private_segment_wavefront_offset 0
		.amdhsa_system_sgpr_workgroup_id_x 1
		.amdhsa_system_sgpr_workgroup_id_y 0
		.amdhsa_system_sgpr_workgroup_id_z 0
		.amdhsa_system_sgpr_workgroup_info 0
		.amdhsa_system_vgpr_workitem_id 0
		.amdhsa_next_free_vgpr 1
		.amdhsa_next_free_sgpr 0
		.amdhsa_reserve_vcc 0
		.amdhsa_reserve_flat_scratch 0
		.amdhsa_float_round_mode_32 0
		.amdhsa_float_round_mode_16_64 0
		.amdhsa_float_denorm_mode_32 3
		.amdhsa_float_denorm_mode_16_64 3
		.amdhsa_dx10_clamp 1
		.amdhsa_ieee_mode 1
		.amdhsa_fp16_overflow 0
		.amdhsa_exception_fp_ieee_invalid_op 0
		.amdhsa_exception_fp_denorm_src 0
		.amdhsa_exception_fp_ieee_div_zero 0
		.amdhsa_exception_fp_ieee_overflow 0
		.amdhsa_exception_fp_ieee_underflow 0
		.amdhsa_exception_fp_ieee_inexact 0
		.amdhsa_exception_int_div_zero 0
	.end_amdhsa_kernel
	.section	.text._ZN7rocprim17ROCPRIM_400000_NS6detail44device_merge_sort_compile_time_verifier_archINS1_11comp_targetILNS1_3genE9ELNS1_11target_archE1100ELNS1_3gpuE3ELNS1_3repE0EEES8_NS1_28merge_sort_block_sort_configILj256ELj4ELNS0_20block_sort_algorithmE0EEENS0_14default_configENS1_37merge_sort_block_sort_config_selectorIilEENS1_38merge_sort_block_merge_config_selectorIilEEEEvv,"axG",@progbits,_ZN7rocprim17ROCPRIM_400000_NS6detail44device_merge_sort_compile_time_verifier_archINS1_11comp_targetILNS1_3genE9ELNS1_11target_archE1100ELNS1_3gpuE3ELNS1_3repE0EEES8_NS1_28merge_sort_block_sort_configILj256ELj4ELNS0_20block_sort_algorithmE0EEENS0_14default_configENS1_37merge_sort_block_sort_config_selectorIilEENS1_38merge_sort_block_merge_config_selectorIilEEEEvv,comdat
.Lfunc_end742:
	.size	_ZN7rocprim17ROCPRIM_400000_NS6detail44device_merge_sort_compile_time_verifier_archINS1_11comp_targetILNS1_3genE9ELNS1_11target_archE1100ELNS1_3gpuE3ELNS1_3repE0EEES8_NS1_28merge_sort_block_sort_configILj256ELj4ELNS0_20block_sort_algorithmE0EEENS0_14default_configENS1_37merge_sort_block_sort_config_selectorIilEENS1_38merge_sort_block_merge_config_selectorIilEEEEvv, .Lfunc_end742-_ZN7rocprim17ROCPRIM_400000_NS6detail44device_merge_sort_compile_time_verifier_archINS1_11comp_targetILNS1_3genE9ELNS1_11target_archE1100ELNS1_3gpuE3ELNS1_3repE0EEES8_NS1_28merge_sort_block_sort_configILj256ELj4ELNS0_20block_sort_algorithmE0EEENS0_14default_configENS1_37merge_sort_block_sort_config_selectorIilEENS1_38merge_sort_block_merge_config_selectorIilEEEEvv
                                        ; -- End function
	.set _ZN7rocprim17ROCPRIM_400000_NS6detail44device_merge_sort_compile_time_verifier_archINS1_11comp_targetILNS1_3genE9ELNS1_11target_archE1100ELNS1_3gpuE3ELNS1_3repE0EEES8_NS1_28merge_sort_block_sort_configILj256ELj4ELNS0_20block_sort_algorithmE0EEENS0_14default_configENS1_37merge_sort_block_sort_config_selectorIilEENS1_38merge_sort_block_merge_config_selectorIilEEEEvv.num_vgpr, 0
	.set _ZN7rocprim17ROCPRIM_400000_NS6detail44device_merge_sort_compile_time_verifier_archINS1_11comp_targetILNS1_3genE9ELNS1_11target_archE1100ELNS1_3gpuE3ELNS1_3repE0EEES8_NS1_28merge_sort_block_sort_configILj256ELj4ELNS0_20block_sort_algorithmE0EEENS0_14default_configENS1_37merge_sort_block_sort_config_selectorIilEENS1_38merge_sort_block_merge_config_selectorIilEEEEvv.num_agpr, 0
	.set _ZN7rocprim17ROCPRIM_400000_NS6detail44device_merge_sort_compile_time_verifier_archINS1_11comp_targetILNS1_3genE9ELNS1_11target_archE1100ELNS1_3gpuE3ELNS1_3repE0EEES8_NS1_28merge_sort_block_sort_configILj256ELj4ELNS0_20block_sort_algorithmE0EEENS0_14default_configENS1_37merge_sort_block_sort_config_selectorIilEENS1_38merge_sort_block_merge_config_selectorIilEEEEvv.numbered_sgpr, 0
	.set _ZN7rocprim17ROCPRIM_400000_NS6detail44device_merge_sort_compile_time_verifier_archINS1_11comp_targetILNS1_3genE9ELNS1_11target_archE1100ELNS1_3gpuE3ELNS1_3repE0EEES8_NS1_28merge_sort_block_sort_configILj256ELj4ELNS0_20block_sort_algorithmE0EEENS0_14default_configENS1_37merge_sort_block_sort_config_selectorIilEENS1_38merge_sort_block_merge_config_selectorIilEEEEvv.num_named_barrier, 0
	.set _ZN7rocprim17ROCPRIM_400000_NS6detail44device_merge_sort_compile_time_verifier_archINS1_11comp_targetILNS1_3genE9ELNS1_11target_archE1100ELNS1_3gpuE3ELNS1_3repE0EEES8_NS1_28merge_sort_block_sort_configILj256ELj4ELNS0_20block_sort_algorithmE0EEENS0_14default_configENS1_37merge_sort_block_sort_config_selectorIilEENS1_38merge_sort_block_merge_config_selectorIilEEEEvv.private_seg_size, 0
	.set _ZN7rocprim17ROCPRIM_400000_NS6detail44device_merge_sort_compile_time_verifier_archINS1_11comp_targetILNS1_3genE9ELNS1_11target_archE1100ELNS1_3gpuE3ELNS1_3repE0EEES8_NS1_28merge_sort_block_sort_configILj256ELj4ELNS0_20block_sort_algorithmE0EEENS0_14default_configENS1_37merge_sort_block_sort_config_selectorIilEENS1_38merge_sort_block_merge_config_selectorIilEEEEvv.uses_vcc, 0
	.set _ZN7rocprim17ROCPRIM_400000_NS6detail44device_merge_sort_compile_time_verifier_archINS1_11comp_targetILNS1_3genE9ELNS1_11target_archE1100ELNS1_3gpuE3ELNS1_3repE0EEES8_NS1_28merge_sort_block_sort_configILj256ELj4ELNS0_20block_sort_algorithmE0EEENS0_14default_configENS1_37merge_sort_block_sort_config_selectorIilEENS1_38merge_sort_block_merge_config_selectorIilEEEEvv.uses_flat_scratch, 0
	.set _ZN7rocprim17ROCPRIM_400000_NS6detail44device_merge_sort_compile_time_verifier_archINS1_11comp_targetILNS1_3genE9ELNS1_11target_archE1100ELNS1_3gpuE3ELNS1_3repE0EEES8_NS1_28merge_sort_block_sort_configILj256ELj4ELNS0_20block_sort_algorithmE0EEENS0_14default_configENS1_37merge_sort_block_sort_config_selectorIilEENS1_38merge_sort_block_merge_config_selectorIilEEEEvv.has_dyn_sized_stack, 0
	.set _ZN7rocprim17ROCPRIM_400000_NS6detail44device_merge_sort_compile_time_verifier_archINS1_11comp_targetILNS1_3genE9ELNS1_11target_archE1100ELNS1_3gpuE3ELNS1_3repE0EEES8_NS1_28merge_sort_block_sort_configILj256ELj4ELNS0_20block_sort_algorithmE0EEENS0_14default_configENS1_37merge_sort_block_sort_config_selectorIilEENS1_38merge_sort_block_merge_config_selectorIilEEEEvv.has_recursion, 0
	.set _ZN7rocprim17ROCPRIM_400000_NS6detail44device_merge_sort_compile_time_verifier_archINS1_11comp_targetILNS1_3genE9ELNS1_11target_archE1100ELNS1_3gpuE3ELNS1_3repE0EEES8_NS1_28merge_sort_block_sort_configILj256ELj4ELNS0_20block_sort_algorithmE0EEENS0_14default_configENS1_37merge_sort_block_sort_config_selectorIilEENS1_38merge_sort_block_merge_config_selectorIilEEEEvv.has_indirect_call, 0
	.section	.AMDGPU.csdata,"",@progbits
; Kernel info:
; codeLenInByte = 4
; TotalNumSgprs: 4
; NumVgprs: 0
; ScratchSize: 0
; MemoryBound: 0
; FloatMode: 240
; IeeeMode: 1
; LDSByteSize: 0 bytes/workgroup (compile time only)
; SGPRBlocks: 0
; VGPRBlocks: 0
; NumSGPRsForWavesPerEU: 4
; NumVGPRsForWavesPerEU: 1
; Occupancy: 10
; WaveLimiterHint : 0
; COMPUTE_PGM_RSRC2:SCRATCH_EN: 0
; COMPUTE_PGM_RSRC2:USER_SGPR: 4
; COMPUTE_PGM_RSRC2:TRAP_HANDLER: 0
; COMPUTE_PGM_RSRC2:TGID_X_EN: 1
; COMPUTE_PGM_RSRC2:TGID_Y_EN: 0
; COMPUTE_PGM_RSRC2:TGID_Z_EN: 0
; COMPUTE_PGM_RSRC2:TIDIG_COMP_CNT: 0
	.section	.text._ZN7rocprim17ROCPRIM_400000_NS6detail44device_merge_sort_compile_time_verifier_archINS1_11comp_targetILNS1_3genE8ELNS1_11target_archE1030ELNS1_3gpuE2ELNS1_3repE0EEES8_NS1_28merge_sort_block_sort_configILj256ELj4ELNS0_20block_sort_algorithmE0EEENS0_14default_configENS1_37merge_sort_block_sort_config_selectorIilEENS1_38merge_sort_block_merge_config_selectorIilEEEEvv,"axG",@progbits,_ZN7rocprim17ROCPRIM_400000_NS6detail44device_merge_sort_compile_time_verifier_archINS1_11comp_targetILNS1_3genE8ELNS1_11target_archE1030ELNS1_3gpuE2ELNS1_3repE0EEES8_NS1_28merge_sort_block_sort_configILj256ELj4ELNS0_20block_sort_algorithmE0EEENS0_14default_configENS1_37merge_sort_block_sort_config_selectorIilEENS1_38merge_sort_block_merge_config_selectorIilEEEEvv,comdat
	.protected	_ZN7rocprim17ROCPRIM_400000_NS6detail44device_merge_sort_compile_time_verifier_archINS1_11comp_targetILNS1_3genE8ELNS1_11target_archE1030ELNS1_3gpuE2ELNS1_3repE0EEES8_NS1_28merge_sort_block_sort_configILj256ELj4ELNS0_20block_sort_algorithmE0EEENS0_14default_configENS1_37merge_sort_block_sort_config_selectorIilEENS1_38merge_sort_block_merge_config_selectorIilEEEEvv ; -- Begin function _ZN7rocprim17ROCPRIM_400000_NS6detail44device_merge_sort_compile_time_verifier_archINS1_11comp_targetILNS1_3genE8ELNS1_11target_archE1030ELNS1_3gpuE2ELNS1_3repE0EEES8_NS1_28merge_sort_block_sort_configILj256ELj4ELNS0_20block_sort_algorithmE0EEENS0_14default_configENS1_37merge_sort_block_sort_config_selectorIilEENS1_38merge_sort_block_merge_config_selectorIilEEEEvv
	.globl	_ZN7rocprim17ROCPRIM_400000_NS6detail44device_merge_sort_compile_time_verifier_archINS1_11comp_targetILNS1_3genE8ELNS1_11target_archE1030ELNS1_3gpuE2ELNS1_3repE0EEES8_NS1_28merge_sort_block_sort_configILj256ELj4ELNS0_20block_sort_algorithmE0EEENS0_14default_configENS1_37merge_sort_block_sort_config_selectorIilEENS1_38merge_sort_block_merge_config_selectorIilEEEEvv
	.p2align	8
	.type	_ZN7rocprim17ROCPRIM_400000_NS6detail44device_merge_sort_compile_time_verifier_archINS1_11comp_targetILNS1_3genE8ELNS1_11target_archE1030ELNS1_3gpuE2ELNS1_3repE0EEES8_NS1_28merge_sort_block_sort_configILj256ELj4ELNS0_20block_sort_algorithmE0EEENS0_14default_configENS1_37merge_sort_block_sort_config_selectorIilEENS1_38merge_sort_block_merge_config_selectorIilEEEEvv,@function
_ZN7rocprim17ROCPRIM_400000_NS6detail44device_merge_sort_compile_time_verifier_archINS1_11comp_targetILNS1_3genE8ELNS1_11target_archE1030ELNS1_3gpuE2ELNS1_3repE0EEES8_NS1_28merge_sort_block_sort_configILj256ELj4ELNS0_20block_sort_algorithmE0EEENS0_14default_configENS1_37merge_sort_block_sort_config_selectorIilEENS1_38merge_sort_block_merge_config_selectorIilEEEEvv: ; @_ZN7rocprim17ROCPRIM_400000_NS6detail44device_merge_sort_compile_time_verifier_archINS1_11comp_targetILNS1_3genE8ELNS1_11target_archE1030ELNS1_3gpuE2ELNS1_3repE0EEES8_NS1_28merge_sort_block_sort_configILj256ELj4ELNS0_20block_sort_algorithmE0EEENS0_14default_configENS1_37merge_sort_block_sort_config_selectorIilEENS1_38merge_sort_block_merge_config_selectorIilEEEEvv
; %bb.0:
	s_endpgm
	.section	.rodata,"a",@progbits
	.p2align	6, 0x0
	.amdhsa_kernel _ZN7rocprim17ROCPRIM_400000_NS6detail44device_merge_sort_compile_time_verifier_archINS1_11comp_targetILNS1_3genE8ELNS1_11target_archE1030ELNS1_3gpuE2ELNS1_3repE0EEES8_NS1_28merge_sort_block_sort_configILj256ELj4ELNS0_20block_sort_algorithmE0EEENS0_14default_configENS1_37merge_sort_block_sort_config_selectorIilEENS1_38merge_sort_block_merge_config_selectorIilEEEEvv
		.amdhsa_group_segment_fixed_size 0
		.amdhsa_private_segment_fixed_size 0
		.amdhsa_kernarg_size 0
		.amdhsa_user_sgpr_count 4
		.amdhsa_user_sgpr_private_segment_buffer 1
		.amdhsa_user_sgpr_dispatch_ptr 0
		.amdhsa_user_sgpr_queue_ptr 0
		.amdhsa_user_sgpr_kernarg_segment_ptr 0
		.amdhsa_user_sgpr_dispatch_id 0
		.amdhsa_user_sgpr_flat_scratch_init 0
		.amdhsa_user_sgpr_private_segment_size 0
		.amdhsa_uses_dynamic_stack 0
		.amdhsa_system_sgpr_private_segment_wavefront_offset 0
		.amdhsa_system_sgpr_workgroup_id_x 1
		.amdhsa_system_sgpr_workgroup_id_y 0
		.amdhsa_system_sgpr_workgroup_id_z 0
		.amdhsa_system_sgpr_workgroup_info 0
		.amdhsa_system_vgpr_workitem_id 0
		.amdhsa_next_free_vgpr 1
		.amdhsa_next_free_sgpr 0
		.amdhsa_reserve_vcc 0
		.amdhsa_reserve_flat_scratch 0
		.amdhsa_float_round_mode_32 0
		.amdhsa_float_round_mode_16_64 0
		.amdhsa_float_denorm_mode_32 3
		.amdhsa_float_denorm_mode_16_64 3
		.amdhsa_dx10_clamp 1
		.amdhsa_ieee_mode 1
		.amdhsa_fp16_overflow 0
		.amdhsa_exception_fp_ieee_invalid_op 0
		.amdhsa_exception_fp_denorm_src 0
		.amdhsa_exception_fp_ieee_div_zero 0
		.amdhsa_exception_fp_ieee_overflow 0
		.amdhsa_exception_fp_ieee_underflow 0
		.amdhsa_exception_fp_ieee_inexact 0
		.amdhsa_exception_int_div_zero 0
	.end_amdhsa_kernel
	.section	.text._ZN7rocprim17ROCPRIM_400000_NS6detail44device_merge_sort_compile_time_verifier_archINS1_11comp_targetILNS1_3genE8ELNS1_11target_archE1030ELNS1_3gpuE2ELNS1_3repE0EEES8_NS1_28merge_sort_block_sort_configILj256ELj4ELNS0_20block_sort_algorithmE0EEENS0_14default_configENS1_37merge_sort_block_sort_config_selectorIilEENS1_38merge_sort_block_merge_config_selectorIilEEEEvv,"axG",@progbits,_ZN7rocprim17ROCPRIM_400000_NS6detail44device_merge_sort_compile_time_verifier_archINS1_11comp_targetILNS1_3genE8ELNS1_11target_archE1030ELNS1_3gpuE2ELNS1_3repE0EEES8_NS1_28merge_sort_block_sort_configILj256ELj4ELNS0_20block_sort_algorithmE0EEENS0_14default_configENS1_37merge_sort_block_sort_config_selectorIilEENS1_38merge_sort_block_merge_config_selectorIilEEEEvv,comdat
.Lfunc_end743:
	.size	_ZN7rocprim17ROCPRIM_400000_NS6detail44device_merge_sort_compile_time_verifier_archINS1_11comp_targetILNS1_3genE8ELNS1_11target_archE1030ELNS1_3gpuE2ELNS1_3repE0EEES8_NS1_28merge_sort_block_sort_configILj256ELj4ELNS0_20block_sort_algorithmE0EEENS0_14default_configENS1_37merge_sort_block_sort_config_selectorIilEENS1_38merge_sort_block_merge_config_selectorIilEEEEvv, .Lfunc_end743-_ZN7rocprim17ROCPRIM_400000_NS6detail44device_merge_sort_compile_time_verifier_archINS1_11comp_targetILNS1_3genE8ELNS1_11target_archE1030ELNS1_3gpuE2ELNS1_3repE0EEES8_NS1_28merge_sort_block_sort_configILj256ELj4ELNS0_20block_sort_algorithmE0EEENS0_14default_configENS1_37merge_sort_block_sort_config_selectorIilEENS1_38merge_sort_block_merge_config_selectorIilEEEEvv
                                        ; -- End function
	.set _ZN7rocprim17ROCPRIM_400000_NS6detail44device_merge_sort_compile_time_verifier_archINS1_11comp_targetILNS1_3genE8ELNS1_11target_archE1030ELNS1_3gpuE2ELNS1_3repE0EEES8_NS1_28merge_sort_block_sort_configILj256ELj4ELNS0_20block_sort_algorithmE0EEENS0_14default_configENS1_37merge_sort_block_sort_config_selectorIilEENS1_38merge_sort_block_merge_config_selectorIilEEEEvv.num_vgpr, 0
	.set _ZN7rocprim17ROCPRIM_400000_NS6detail44device_merge_sort_compile_time_verifier_archINS1_11comp_targetILNS1_3genE8ELNS1_11target_archE1030ELNS1_3gpuE2ELNS1_3repE0EEES8_NS1_28merge_sort_block_sort_configILj256ELj4ELNS0_20block_sort_algorithmE0EEENS0_14default_configENS1_37merge_sort_block_sort_config_selectorIilEENS1_38merge_sort_block_merge_config_selectorIilEEEEvv.num_agpr, 0
	.set _ZN7rocprim17ROCPRIM_400000_NS6detail44device_merge_sort_compile_time_verifier_archINS1_11comp_targetILNS1_3genE8ELNS1_11target_archE1030ELNS1_3gpuE2ELNS1_3repE0EEES8_NS1_28merge_sort_block_sort_configILj256ELj4ELNS0_20block_sort_algorithmE0EEENS0_14default_configENS1_37merge_sort_block_sort_config_selectorIilEENS1_38merge_sort_block_merge_config_selectorIilEEEEvv.numbered_sgpr, 0
	.set _ZN7rocprim17ROCPRIM_400000_NS6detail44device_merge_sort_compile_time_verifier_archINS1_11comp_targetILNS1_3genE8ELNS1_11target_archE1030ELNS1_3gpuE2ELNS1_3repE0EEES8_NS1_28merge_sort_block_sort_configILj256ELj4ELNS0_20block_sort_algorithmE0EEENS0_14default_configENS1_37merge_sort_block_sort_config_selectorIilEENS1_38merge_sort_block_merge_config_selectorIilEEEEvv.num_named_barrier, 0
	.set _ZN7rocprim17ROCPRIM_400000_NS6detail44device_merge_sort_compile_time_verifier_archINS1_11comp_targetILNS1_3genE8ELNS1_11target_archE1030ELNS1_3gpuE2ELNS1_3repE0EEES8_NS1_28merge_sort_block_sort_configILj256ELj4ELNS0_20block_sort_algorithmE0EEENS0_14default_configENS1_37merge_sort_block_sort_config_selectorIilEENS1_38merge_sort_block_merge_config_selectorIilEEEEvv.private_seg_size, 0
	.set _ZN7rocprim17ROCPRIM_400000_NS6detail44device_merge_sort_compile_time_verifier_archINS1_11comp_targetILNS1_3genE8ELNS1_11target_archE1030ELNS1_3gpuE2ELNS1_3repE0EEES8_NS1_28merge_sort_block_sort_configILj256ELj4ELNS0_20block_sort_algorithmE0EEENS0_14default_configENS1_37merge_sort_block_sort_config_selectorIilEENS1_38merge_sort_block_merge_config_selectorIilEEEEvv.uses_vcc, 0
	.set _ZN7rocprim17ROCPRIM_400000_NS6detail44device_merge_sort_compile_time_verifier_archINS1_11comp_targetILNS1_3genE8ELNS1_11target_archE1030ELNS1_3gpuE2ELNS1_3repE0EEES8_NS1_28merge_sort_block_sort_configILj256ELj4ELNS0_20block_sort_algorithmE0EEENS0_14default_configENS1_37merge_sort_block_sort_config_selectorIilEENS1_38merge_sort_block_merge_config_selectorIilEEEEvv.uses_flat_scratch, 0
	.set _ZN7rocprim17ROCPRIM_400000_NS6detail44device_merge_sort_compile_time_verifier_archINS1_11comp_targetILNS1_3genE8ELNS1_11target_archE1030ELNS1_3gpuE2ELNS1_3repE0EEES8_NS1_28merge_sort_block_sort_configILj256ELj4ELNS0_20block_sort_algorithmE0EEENS0_14default_configENS1_37merge_sort_block_sort_config_selectorIilEENS1_38merge_sort_block_merge_config_selectorIilEEEEvv.has_dyn_sized_stack, 0
	.set _ZN7rocprim17ROCPRIM_400000_NS6detail44device_merge_sort_compile_time_verifier_archINS1_11comp_targetILNS1_3genE8ELNS1_11target_archE1030ELNS1_3gpuE2ELNS1_3repE0EEES8_NS1_28merge_sort_block_sort_configILj256ELj4ELNS0_20block_sort_algorithmE0EEENS0_14default_configENS1_37merge_sort_block_sort_config_selectorIilEENS1_38merge_sort_block_merge_config_selectorIilEEEEvv.has_recursion, 0
	.set _ZN7rocprim17ROCPRIM_400000_NS6detail44device_merge_sort_compile_time_verifier_archINS1_11comp_targetILNS1_3genE8ELNS1_11target_archE1030ELNS1_3gpuE2ELNS1_3repE0EEES8_NS1_28merge_sort_block_sort_configILj256ELj4ELNS0_20block_sort_algorithmE0EEENS0_14default_configENS1_37merge_sort_block_sort_config_selectorIilEENS1_38merge_sort_block_merge_config_selectorIilEEEEvv.has_indirect_call, 0
	.section	.AMDGPU.csdata,"",@progbits
; Kernel info:
; codeLenInByte = 4
; TotalNumSgprs: 4
; NumVgprs: 0
; ScratchSize: 0
; MemoryBound: 0
; FloatMode: 240
; IeeeMode: 1
; LDSByteSize: 0 bytes/workgroup (compile time only)
; SGPRBlocks: 0
; VGPRBlocks: 0
; NumSGPRsForWavesPerEU: 4
; NumVGPRsForWavesPerEU: 1
; Occupancy: 10
; WaveLimiterHint : 0
; COMPUTE_PGM_RSRC2:SCRATCH_EN: 0
; COMPUTE_PGM_RSRC2:USER_SGPR: 4
; COMPUTE_PGM_RSRC2:TRAP_HANDLER: 0
; COMPUTE_PGM_RSRC2:TGID_X_EN: 1
; COMPUTE_PGM_RSRC2:TGID_Y_EN: 0
; COMPUTE_PGM_RSRC2:TGID_Z_EN: 0
; COMPUTE_PGM_RSRC2:TIDIG_COMP_CNT: 0
	.section	.text._ZN7rocprim17ROCPRIM_400000_NS6detail17trampoline_kernelINS0_14default_configENS1_38merge_sort_block_merge_config_selectorIilEEZZNS1_27merge_sort_block_merge_implIS3_PiN6thrust23THRUST_200600_302600_NS10device_ptrIlEEjNS1_19radix_merge_compareILb0ELb0EiNS0_19identity_decomposerEEEEE10hipError_tT0_T1_T2_jT3_P12ihipStream_tbPNSt15iterator_traitsISG_E10value_typeEPNSM_ISH_E10value_typeEPSI_NS1_7vsmem_tEENKUlT_SG_SH_SI_E_clIS7_S7_PlSB_EESF_SV_SG_SH_SI_EUlSV_E_NS1_11comp_targetILNS1_3genE0ELNS1_11target_archE4294967295ELNS1_3gpuE0ELNS1_3repE0EEENS1_48merge_mergepath_partition_config_static_selectorELNS0_4arch9wavefront6targetE1EEEvSH_,"axG",@progbits,_ZN7rocprim17ROCPRIM_400000_NS6detail17trampoline_kernelINS0_14default_configENS1_38merge_sort_block_merge_config_selectorIilEEZZNS1_27merge_sort_block_merge_implIS3_PiN6thrust23THRUST_200600_302600_NS10device_ptrIlEEjNS1_19radix_merge_compareILb0ELb0EiNS0_19identity_decomposerEEEEE10hipError_tT0_T1_T2_jT3_P12ihipStream_tbPNSt15iterator_traitsISG_E10value_typeEPNSM_ISH_E10value_typeEPSI_NS1_7vsmem_tEENKUlT_SG_SH_SI_E_clIS7_S7_PlSB_EESF_SV_SG_SH_SI_EUlSV_E_NS1_11comp_targetILNS1_3genE0ELNS1_11target_archE4294967295ELNS1_3gpuE0ELNS1_3repE0EEENS1_48merge_mergepath_partition_config_static_selectorELNS0_4arch9wavefront6targetE1EEEvSH_,comdat
	.protected	_ZN7rocprim17ROCPRIM_400000_NS6detail17trampoline_kernelINS0_14default_configENS1_38merge_sort_block_merge_config_selectorIilEEZZNS1_27merge_sort_block_merge_implIS3_PiN6thrust23THRUST_200600_302600_NS10device_ptrIlEEjNS1_19radix_merge_compareILb0ELb0EiNS0_19identity_decomposerEEEEE10hipError_tT0_T1_T2_jT3_P12ihipStream_tbPNSt15iterator_traitsISG_E10value_typeEPNSM_ISH_E10value_typeEPSI_NS1_7vsmem_tEENKUlT_SG_SH_SI_E_clIS7_S7_PlSB_EESF_SV_SG_SH_SI_EUlSV_E_NS1_11comp_targetILNS1_3genE0ELNS1_11target_archE4294967295ELNS1_3gpuE0ELNS1_3repE0EEENS1_48merge_mergepath_partition_config_static_selectorELNS0_4arch9wavefront6targetE1EEEvSH_ ; -- Begin function _ZN7rocprim17ROCPRIM_400000_NS6detail17trampoline_kernelINS0_14default_configENS1_38merge_sort_block_merge_config_selectorIilEEZZNS1_27merge_sort_block_merge_implIS3_PiN6thrust23THRUST_200600_302600_NS10device_ptrIlEEjNS1_19radix_merge_compareILb0ELb0EiNS0_19identity_decomposerEEEEE10hipError_tT0_T1_T2_jT3_P12ihipStream_tbPNSt15iterator_traitsISG_E10value_typeEPNSM_ISH_E10value_typeEPSI_NS1_7vsmem_tEENKUlT_SG_SH_SI_E_clIS7_S7_PlSB_EESF_SV_SG_SH_SI_EUlSV_E_NS1_11comp_targetILNS1_3genE0ELNS1_11target_archE4294967295ELNS1_3gpuE0ELNS1_3repE0EEENS1_48merge_mergepath_partition_config_static_selectorELNS0_4arch9wavefront6targetE1EEEvSH_
	.globl	_ZN7rocprim17ROCPRIM_400000_NS6detail17trampoline_kernelINS0_14default_configENS1_38merge_sort_block_merge_config_selectorIilEEZZNS1_27merge_sort_block_merge_implIS3_PiN6thrust23THRUST_200600_302600_NS10device_ptrIlEEjNS1_19radix_merge_compareILb0ELb0EiNS0_19identity_decomposerEEEEE10hipError_tT0_T1_T2_jT3_P12ihipStream_tbPNSt15iterator_traitsISG_E10value_typeEPNSM_ISH_E10value_typeEPSI_NS1_7vsmem_tEENKUlT_SG_SH_SI_E_clIS7_S7_PlSB_EESF_SV_SG_SH_SI_EUlSV_E_NS1_11comp_targetILNS1_3genE0ELNS1_11target_archE4294967295ELNS1_3gpuE0ELNS1_3repE0EEENS1_48merge_mergepath_partition_config_static_selectorELNS0_4arch9wavefront6targetE1EEEvSH_
	.p2align	8
	.type	_ZN7rocprim17ROCPRIM_400000_NS6detail17trampoline_kernelINS0_14default_configENS1_38merge_sort_block_merge_config_selectorIilEEZZNS1_27merge_sort_block_merge_implIS3_PiN6thrust23THRUST_200600_302600_NS10device_ptrIlEEjNS1_19radix_merge_compareILb0ELb0EiNS0_19identity_decomposerEEEEE10hipError_tT0_T1_T2_jT3_P12ihipStream_tbPNSt15iterator_traitsISG_E10value_typeEPNSM_ISH_E10value_typeEPSI_NS1_7vsmem_tEENKUlT_SG_SH_SI_E_clIS7_S7_PlSB_EESF_SV_SG_SH_SI_EUlSV_E_NS1_11comp_targetILNS1_3genE0ELNS1_11target_archE4294967295ELNS1_3gpuE0ELNS1_3repE0EEENS1_48merge_mergepath_partition_config_static_selectorELNS0_4arch9wavefront6targetE1EEEvSH_,@function
_ZN7rocprim17ROCPRIM_400000_NS6detail17trampoline_kernelINS0_14default_configENS1_38merge_sort_block_merge_config_selectorIilEEZZNS1_27merge_sort_block_merge_implIS3_PiN6thrust23THRUST_200600_302600_NS10device_ptrIlEEjNS1_19radix_merge_compareILb0ELb0EiNS0_19identity_decomposerEEEEE10hipError_tT0_T1_T2_jT3_P12ihipStream_tbPNSt15iterator_traitsISG_E10value_typeEPNSM_ISH_E10value_typeEPSI_NS1_7vsmem_tEENKUlT_SG_SH_SI_E_clIS7_S7_PlSB_EESF_SV_SG_SH_SI_EUlSV_E_NS1_11comp_targetILNS1_3genE0ELNS1_11target_archE4294967295ELNS1_3gpuE0ELNS1_3repE0EEENS1_48merge_mergepath_partition_config_static_selectorELNS0_4arch9wavefront6targetE1EEEvSH_: ; @_ZN7rocprim17ROCPRIM_400000_NS6detail17trampoline_kernelINS0_14default_configENS1_38merge_sort_block_merge_config_selectorIilEEZZNS1_27merge_sort_block_merge_implIS3_PiN6thrust23THRUST_200600_302600_NS10device_ptrIlEEjNS1_19radix_merge_compareILb0ELb0EiNS0_19identity_decomposerEEEEE10hipError_tT0_T1_T2_jT3_P12ihipStream_tbPNSt15iterator_traitsISG_E10value_typeEPNSM_ISH_E10value_typeEPSI_NS1_7vsmem_tEENKUlT_SG_SH_SI_E_clIS7_S7_PlSB_EESF_SV_SG_SH_SI_EUlSV_E_NS1_11comp_targetILNS1_3genE0ELNS1_11target_archE4294967295ELNS1_3gpuE0ELNS1_3repE0EEENS1_48merge_mergepath_partition_config_static_selectorELNS0_4arch9wavefront6targetE1EEEvSH_
; %bb.0:
	.section	.rodata,"a",@progbits
	.p2align	6, 0x0
	.amdhsa_kernel _ZN7rocprim17ROCPRIM_400000_NS6detail17trampoline_kernelINS0_14default_configENS1_38merge_sort_block_merge_config_selectorIilEEZZNS1_27merge_sort_block_merge_implIS3_PiN6thrust23THRUST_200600_302600_NS10device_ptrIlEEjNS1_19radix_merge_compareILb0ELb0EiNS0_19identity_decomposerEEEEE10hipError_tT0_T1_T2_jT3_P12ihipStream_tbPNSt15iterator_traitsISG_E10value_typeEPNSM_ISH_E10value_typeEPSI_NS1_7vsmem_tEENKUlT_SG_SH_SI_E_clIS7_S7_PlSB_EESF_SV_SG_SH_SI_EUlSV_E_NS1_11comp_targetILNS1_3genE0ELNS1_11target_archE4294967295ELNS1_3gpuE0ELNS1_3repE0EEENS1_48merge_mergepath_partition_config_static_selectorELNS0_4arch9wavefront6targetE1EEEvSH_
		.amdhsa_group_segment_fixed_size 0
		.amdhsa_private_segment_fixed_size 0
		.amdhsa_kernarg_size 40
		.amdhsa_user_sgpr_count 6
		.amdhsa_user_sgpr_private_segment_buffer 1
		.amdhsa_user_sgpr_dispatch_ptr 0
		.amdhsa_user_sgpr_queue_ptr 0
		.amdhsa_user_sgpr_kernarg_segment_ptr 1
		.amdhsa_user_sgpr_dispatch_id 0
		.amdhsa_user_sgpr_flat_scratch_init 0
		.amdhsa_user_sgpr_private_segment_size 0
		.amdhsa_uses_dynamic_stack 0
		.amdhsa_system_sgpr_private_segment_wavefront_offset 0
		.amdhsa_system_sgpr_workgroup_id_x 1
		.amdhsa_system_sgpr_workgroup_id_y 0
		.amdhsa_system_sgpr_workgroup_id_z 0
		.amdhsa_system_sgpr_workgroup_info 0
		.amdhsa_system_vgpr_workitem_id 0
		.amdhsa_next_free_vgpr 1
		.amdhsa_next_free_sgpr 0
		.amdhsa_reserve_vcc 0
		.amdhsa_reserve_flat_scratch 0
		.amdhsa_float_round_mode_32 0
		.amdhsa_float_round_mode_16_64 0
		.amdhsa_float_denorm_mode_32 3
		.amdhsa_float_denorm_mode_16_64 3
		.amdhsa_dx10_clamp 1
		.amdhsa_ieee_mode 1
		.amdhsa_fp16_overflow 0
		.amdhsa_exception_fp_ieee_invalid_op 0
		.amdhsa_exception_fp_denorm_src 0
		.amdhsa_exception_fp_ieee_div_zero 0
		.amdhsa_exception_fp_ieee_overflow 0
		.amdhsa_exception_fp_ieee_underflow 0
		.amdhsa_exception_fp_ieee_inexact 0
		.amdhsa_exception_int_div_zero 0
	.end_amdhsa_kernel
	.section	.text._ZN7rocprim17ROCPRIM_400000_NS6detail17trampoline_kernelINS0_14default_configENS1_38merge_sort_block_merge_config_selectorIilEEZZNS1_27merge_sort_block_merge_implIS3_PiN6thrust23THRUST_200600_302600_NS10device_ptrIlEEjNS1_19radix_merge_compareILb0ELb0EiNS0_19identity_decomposerEEEEE10hipError_tT0_T1_T2_jT3_P12ihipStream_tbPNSt15iterator_traitsISG_E10value_typeEPNSM_ISH_E10value_typeEPSI_NS1_7vsmem_tEENKUlT_SG_SH_SI_E_clIS7_S7_PlSB_EESF_SV_SG_SH_SI_EUlSV_E_NS1_11comp_targetILNS1_3genE0ELNS1_11target_archE4294967295ELNS1_3gpuE0ELNS1_3repE0EEENS1_48merge_mergepath_partition_config_static_selectorELNS0_4arch9wavefront6targetE1EEEvSH_,"axG",@progbits,_ZN7rocprim17ROCPRIM_400000_NS6detail17trampoline_kernelINS0_14default_configENS1_38merge_sort_block_merge_config_selectorIilEEZZNS1_27merge_sort_block_merge_implIS3_PiN6thrust23THRUST_200600_302600_NS10device_ptrIlEEjNS1_19radix_merge_compareILb0ELb0EiNS0_19identity_decomposerEEEEE10hipError_tT0_T1_T2_jT3_P12ihipStream_tbPNSt15iterator_traitsISG_E10value_typeEPNSM_ISH_E10value_typeEPSI_NS1_7vsmem_tEENKUlT_SG_SH_SI_E_clIS7_S7_PlSB_EESF_SV_SG_SH_SI_EUlSV_E_NS1_11comp_targetILNS1_3genE0ELNS1_11target_archE4294967295ELNS1_3gpuE0ELNS1_3repE0EEENS1_48merge_mergepath_partition_config_static_selectorELNS0_4arch9wavefront6targetE1EEEvSH_,comdat
.Lfunc_end744:
	.size	_ZN7rocprim17ROCPRIM_400000_NS6detail17trampoline_kernelINS0_14default_configENS1_38merge_sort_block_merge_config_selectorIilEEZZNS1_27merge_sort_block_merge_implIS3_PiN6thrust23THRUST_200600_302600_NS10device_ptrIlEEjNS1_19radix_merge_compareILb0ELb0EiNS0_19identity_decomposerEEEEE10hipError_tT0_T1_T2_jT3_P12ihipStream_tbPNSt15iterator_traitsISG_E10value_typeEPNSM_ISH_E10value_typeEPSI_NS1_7vsmem_tEENKUlT_SG_SH_SI_E_clIS7_S7_PlSB_EESF_SV_SG_SH_SI_EUlSV_E_NS1_11comp_targetILNS1_3genE0ELNS1_11target_archE4294967295ELNS1_3gpuE0ELNS1_3repE0EEENS1_48merge_mergepath_partition_config_static_selectorELNS0_4arch9wavefront6targetE1EEEvSH_, .Lfunc_end744-_ZN7rocprim17ROCPRIM_400000_NS6detail17trampoline_kernelINS0_14default_configENS1_38merge_sort_block_merge_config_selectorIilEEZZNS1_27merge_sort_block_merge_implIS3_PiN6thrust23THRUST_200600_302600_NS10device_ptrIlEEjNS1_19radix_merge_compareILb0ELb0EiNS0_19identity_decomposerEEEEE10hipError_tT0_T1_T2_jT3_P12ihipStream_tbPNSt15iterator_traitsISG_E10value_typeEPNSM_ISH_E10value_typeEPSI_NS1_7vsmem_tEENKUlT_SG_SH_SI_E_clIS7_S7_PlSB_EESF_SV_SG_SH_SI_EUlSV_E_NS1_11comp_targetILNS1_3genE0ELNS1_11target_archE4294967295ELNS1_3gpuE0ELNS1_3repE0EEENS1_48merge_mergepath_partition_config_static_selectorELNS0_4arch9wavefront6targetE1EEEvSH_
                                        ; -- End function
	.set _ZN7rocprim17ROCPRIM_400000_NS6detail17trampoline_kernelINS0_14default_configENS1_38merge_sort_block_merge_config_selectorIilEEZZNS1_27merge_sort_block_merge_implIS3_PiN6thrust23THRUST_200600_302600_NS10device_ptrIlEEjNS1_19radix_merge_compareILb0ELb0EiNS0_19identity_decomposerEEEEE10hipError_tT0_T1_T2_jT3_P12ihipStream_tbPNSt15iterator_traitsISG_E10value_typeEPNSM_ISH_E10value_typeEPSI_NS1_7vsmem_tEENKUlT_SG_SH_SI_E_clIS7_S7_PlSB_EESF_SV_SG_SH_SI_EUlSV_E_NS1_11comp_targetILNS1_3genE0ELNS1_11target_archE4294967295ELNS1_3gpuE0ELNS1_3repE0EEENS1_48merge_mergepath_partition_config_static_selectorELNS0_4arch9wavefront6targetE1EEEvSH_.num_vgpr, 0
	.set _ZN7rocprim17ROCPRIM_400000_NS6detail17trampoline_kernelINS0_14default_configENS1_38merge_sort_block_merge_config_selectorIilEEZZNS1_27merge_sort_block_merge_implIS3_PiN6thrust23THRUST_200600_302600_NS10device_ptrIlEEjNS1_19radix_merge_compareILb0ELb0EiNS0_19identity_decomposerEEEEE10hipError_tT0_T1_T2_jT3_P12ihipStream_tbPNSt15iterator_traitsISG_E10value_typeEPNSM_ISH_E10value_typeEPSI_NS1_7vsmem_tEENKUlT_SG_SH_SI_E_clIS7_S7_PlSB_EESF_SV_SG_SH_SI_EUlSV_E_NS1_11comp_targetILNS1_3genE0ELNS1_11target_archE4294967295ELNS1_3gpuE0ELNS1_3repE0EEENS1_48merge_mergepath_partition_config_static_selectorELNS0_4arch9wavefront6targetE1EEEvSH_.num_agpr, 0
	.set _ZN7rocprim17ROCPRIM_400000_NS6detail17trampoline_kernelINS0_14default_configENS1_38merge_sort_block_merge_config_selectorIilEEZZNS1_27merge_sort_block_merge_implIS3_PiN6thrust23THRUST_200600_302600_NS10device_ptrIlEEjNS1_19radix_merge_compareILb0ELb0EiNS0_19identity_decomposerEEEEE10hipError_tT0_T1_T2_jT3_P12ihipStream_tbPNSt15iterator_traitsISG_E10value_typeEPNSM_ISH_E10value_typeEPSI_NS1_7vsmem_tEENKUlT_SG_SH_SI_E_clIS7_S7_PlSB_EESF_SV_SG_SH_SI_EUlSV_E_NS1_11comp_targetILNS1_3genE0ELNS1_11target_archE4294967295ELNS1_3gpuE0ELNS1_3repE0EEENS1_48merge_mergepath_partition_config_static_selectorELNS0_4arch9wavefront6targetE1EEEvSH_.numbered_sgpr, 0
	.set _ZN7rocprim17ROCPRIM_400000_NS6detail17trampoline_kernelINS0_14default_configENS1_38merge_sort_block_merge_config_selectorIilEEZZNS1_27merge_sort_block_merge_implIS3_PiN6thrust23THRUST_200600_302600_NS10device_ptrIlEEjNS1_19radix_merge_compareILb0ELb0EiNS0_19identity_decomposerEEEEE10hipError_tT0_T1_T2_jT3_P12ihipStream_tbPNSt15iterator_traitsISG_E10value_typeEPNSM_ISH_E10value_typeEPSI_NS1_7vsmem_tEENKUlT_SG_SH_SI_E_clIS7_S7_PlSB_EESF_SV_SG_SH_SI_EUlSV_E_NS1_11comp_targetILNS1_3genE0ELNS1_11target_archE4294967295ELNS1_3gpuE0ELNS1_3repE0EEENS1_48merge_mergepath_partition_config_static_selectorELNS0_4arch9wavefront6targetE1EEEvSH_.num_named_barrier, 0
	.set _ZN7rocprim17ROCPRIM_400000_NS6detail17trampoline_kernelINS0_14default_configENS1_38merge_sort_block_merge_config_selectorIilEEZZNS1_27merge_sort_block_merge_implIS3_PiN6thrust23THRUST_200600_302600_NS10device_ptrIlEEjNS1_19radix_merge_compareILb0ELb0EiNS0_19identity_decomposerEEEEE10hipError_tT0_T1_T2_jT3_P12ihipStream_tbPNSt15iterator_traitsISG_E10value_typeEPNSM_ISH_E10value_typeEPSI_NS1_7vsmem_tEENKUlT_SG_SH_SI_E_clIS7_S7_PlSB_EESF_SV_SG_SH_SI_EUlSV_E_NS1_11comp_targetILNS1_3genE0ELNS1_11target_archE4294967295ELNS1_3gpuE0ELNS1_3repE0EEENS1_48merge_mergepath_partition_config_static_selectorELNS0_4arch9wavefront6targetE1EEEvSH_.private_seg_size, 0
	.set _ZN7rocprim17ROCPRIM_400000_NS6detail17trampoline_kernelINS0_14default_configENS1_38merge_sort_block_merge_config_selectorIilEEZZNS1_27merge_sort_block_merge_implIS3_PiN6thrust23THRUST_200600_302600_NS10device_ptrIlEEjNS1_19radix_merge_compareILb0ELb0EiNS0_19identity_decomposerEEEEE10hipError_tT0_T1_T2_jT3_P12ihipStream_tbPNSt15iterator_traitsISG_E10value_typeEPNSM_ISH_E10value_typeEPSI_NS1_7vsmem_tEENKUlT_SG_SH_SI_E_clIS7_S7_PlSB_EESF_SV_SG_SH_SI_EUlSV_E_NS1_11comp_targetILNS1_3genE0ELNS1_11target_archE4294967295ELNS1_3gpuE0ELNS1_3repE0EEENS1_48merge_mergepath_partition_config_static_selectorELNS0_4arch9wavefront6targetE1EEEvSH_.uses_vcc, 0
	.set _ZN7rocprim17ROCPRIM_400000_NS6detail17trampoline_kernelINS0_14default_configENS1_38merge_sort_block_merge_config_selectorIilEEZZNS1_27merge_sort_block_merge_implIS3_PiN6thrust23THRUST_200600_302600_NS10device_ptrIlEEjNS1_19radix_merge_compareILb0ELb0EiNS0_19identity_decomposerEEEEE10hipError_tT0_T1_T2_jT3_P12ihipStream_tbPNSt15iterator_traitsISG_E10value_typeEPNSM_ISH_E10value_typeEPSI_NS1_7vsmem_tEENKUlT_SG_SH_SI_E_clIS7_S7_PlSB_EESF_SV_SG_SH_SI_EUlSV_E_NS1_11comp_targetILNS1_3genE0ELNS1_11target_archE4294967295ELNS1_3gpuE0ELNS1_3repE0EEENS1_48merge_mergepath_partition_config_static_selectorELNS0_4arch9wavefront6targetE1EEEvSH_.uses_flat_scratch, 0
	.set _ZN7rocprim17ROCPRIM_400000_NS6detail17trampoline_kernelINS0_14default_configENS1_38merge_sort_block_merge_config_selectorIilEEZZNS1_27merge_sort_block_merge_implIS3_PiN6thrust23THRUST_200600_302600_NS10device_ptrIlEEjNS1_19radix_merge_compareILb0ELb0EiNS0_19identity_decomposerEEEEE10hipError_tT0_T1_T2_jT3_P12ihipStream_tbPNSt15iterator_traitsISG_E10value_typeEPNSM_ISH_E10value_typeEPSI_NS1_7vsmem_tEENKUlT_SG_SH_SI_E_clIS7_S7_PlSB_EESF_SV_SG_SH_SI_EUlSV_E_NS1_11comp_targetILNS1_3genE0ELNS1_11target_archE4294967295ELNS1_3gpuE0ELNS1_3repE0EEENS1_48merge_mergepath_partition_config_static_selectorELNS0_4arch9wavefront6targetE1EEEvSH_.has_dyn_sized_stack, 0
	.set _ZN7rocprim17ROCPRIM_400000_NS6detail17trampoline_kernelINS0_14default_configENS1_38merge_sort_block_merge_config_selectorIilEEZZNS1_27merge_sort_block_merge_implIS3_PiN6thrust23THRUST_200600_302600_NS10device_ptrIlEEjNS1_19radix_merge_compareILb0ELb0EiNS0_19identity_decomposerEEEEE10hipError_tT0_T1_T2_jT3_P12ihipStream_tbPNSt15iterator_traitsISG_E10value_typeEPNSM_ISH_E10value_typeEPSI_NS1_7vsmem_tEENKUlT_SG_SH_SI_E_clIS7_S7_PlSB_EESF_SV_SG_SH_SI_EUlSV_E_NS1_11comp_targetILNS1_3genE0ELNS1_11target_archE4294967295ELNS1_3gpuE0ELNS1_3repE0EEENS1_48merge_mergepath_partition_config_static_selectorELNS0_4arch9wavefront6targetE1EEEvSH_.has_recursion, 0
	.set _ZN7rocprim17ROCPRIM_400000_NS6detail17trampoline_kernelINS0_14default_configENS1_38merge_sort_block_merge_config_selectorIilEEZZNS1_27merge_sort_block_merge_implIS3_PiN6thrust23THRUST_200600_302600_NS10device_ptrIlEEjNS1_19radix_merge_compareILb0ELb0EiNS0_19identity_decomposerEEEEE10hipError_tT0_T1_T2_jT3_P12ihipStream_tbPNSt15iterator_traitsISG_E10value_typeEPNSM_ISH_E10value_typeEPSI_NS1_7vsmem_tEENKUlT_SG_SH_SI_E_clIS7_S7_PlSB_EESF_SV_SG_SH_SI_EUlSV_E_NS1_11comp_targetILNS1_3genE0ELNS1_11target_archE4294967295ELNS1_3gpuE0ELNS1_3repE0EEENS1_48merge_mergepath_partition_config_static_selectorELNS0_4arch9wavefront6targetE1EEEvSH_.has_indirect_call, 0
	.section	.AMDGPU.csdata,"",@progbits
; Kernel info:
; codeLenInByte = 0
; TotalNumSgprs: 4
; NumVgprs: 0
; ScratchSize: 0
; MemoryBound: 0
; FloatMode: 240
; IeeeMode: 1
; LDSByteSize: 0 bytes/workgroup (compile time only)
; SGPRBlocks: 0
; VGPRBlocks: 0
; NumSGPRsForWavesPerEU: 4
; NumVGPRsForWavesPerEU: 1
; Occupancy: 10
; WaveLimiterHint : 0
; COMPUTE_PGM_RSRC2:SCRATCH_EN: 0
; COMPUTE_PGM_RSRC2:USER_SGPR: 6
; COMPUTE_PGM_RSRC2:TRAP_HANDLER: 0
; COMPUTE_PGM_RSRC2:TGID_X_EN: 1
; COMPUTE_PGM_RSRC2:TGID_Y_EN: 0
; COMPUTE_PGM_RSRC2:TGID_Z_EN: 0
; COMPUTE_PGM_RSRC2:TIDIG_COMP_CNT: 0
	.section	.text._ZN7rocprim17ROCPRIM_400000_NS6detail17trampoline_kernelINS0_14default_configENS1_38merge_sort_block_merge_config_selectorIilEEZZNS1_27merge_sort_block_merge_implIS3_PiN6thrust23THRUST_200600_302600_NS10device_ptrIlEEjNS1_19radix_merge_compareILb0ELb0EiNS0_19identity_decomposerEEEEE10hipError_tT0_T1_T2_jT3_P12ihipStream_tbPNSt15iterator_traitsISG_E10value_typeEPNSM_ISH_E10value_typeEPSI_NS1_7vsmem_tEENKUlT_SG_SH_SI_E_clIS7_S7_PlSB_EESF_SV_SG_SH_SI_EUlSV_E_NS1_11comp_targetILNS1_3genE10ELNS1_11target_archE1201ELNS1_3gpuE5ELNS1_3repE0EEENS1_48merge_mergepath_partition_config_static_selectorELNS0_4arch9wavefront6targetE1EEEvSH_,"axG",@progbits,_ZN7rocprim17ROCPRIM_400000_NS6detail17trampoline_kernelINS0_14default_configENS1_38merge_sort_block_merge_config_selectorIilEEZZNS1_27merge_sort_block_merge_implIS3_PiN6thrust23THRUST_200600_302600_NS10device_ptrIlEEjNS1_19radix_merge_compareILb0ELb0EiNS0_19identity_decomposerEEEEE10hipError_tT0_T1_T2_jT3_P12ihipStream_tbPNSt15iterator_traitsISG_E10value_typeEPNSM_ISH_E10value_typeEPSI_NS1_7vsmem_tEENKUlT_SG_SH_SI_E_clIS7_S7_PlSB_EESF_SV_SG_SH_SI_EUlSV_E_NS1_11comp_targetILNS1_3genE10ELNS1_11target_archE1201ELNS1_3gpuE5ELNS1_3repE0EEENS1_48merge_mergepath_partition_config_static_selectorELNS0_4arch9wavefront6targetE1EEEvSH_,comdat
	.protected	_ZN7rocprim17ROCPRIM_400000_NS6detail17trampoline_kernelINS0_14default_configENS1_38merge_sort_block_merge_config_selectorIilEEZZNS1_27merge_sort_block_merge_implIS3_PiN6thrust23THRUST_200600_302600_NS10device_ptrIlEEjNS1_19radix_merge_compareILb0ELb0EiNS0_19identity_decomposerEEEEE10hipError_tT0_T1_T2_jT3_P12ihipStream_tbPNSt15iterator_traitsISG_E10value_typeEPNSM_ISH_E10value_typeEPSI_NS1_7vsmem_tEENKUlT_SG_SH_SI_E_clIS7_S7_PlSB_EESF_SV_SG_SH_SI_EUlSV_E_NS1_11comp_targetILNS1_3genE10ELNS1_11target_archE1201ELNS1_3gpuE5ELNS1_3repE0EEENS1_48merge_mergepath_partition_config_static_selectorELNS0_4arch9wavefront6targetE1EEEvSH_ ; -- Begin function _ZN7rocprim17ROCPRIM_400000_NS6detail17trampoline_kernelINS0_14default_configENS1_38merge_sort_block_merge_config_selectorIilEEZZNS1_27merge_sort_block_merge_implIS3_PiN6thrust23THRUST_200600_302600_NS10device_ptrIlEEjNS1_19radix_merge_compareILb0ELb0EiNS0_19identity_decomposerEEEEE10hipError_tT0_T1_T2_jT3_P12ihipStream_tbPNSt15iterator_traitsISG_E10value_typeEPNSM_ISH_E10value_typeEPSI_NS1_7vsmem_tEENKUlT_SG_SH_SI_E_clIS7_S7_PlSB_EESF_SV_SG_SH_SI_EUlSV_E_NS1_11comp_targetILNS1_3genE10ELNS1_11target_archE1201ELNS1_3gpuE5ELNS1_3repE0EEENS1_48merge_mergepath_partition_config_static_selectorELNS0_4arch9wavefront6targetE1EEEvSH_
	.globl	_ZN7rocprim17ROCPRIM_400000_NS6detail17trampoline_kernelINS0_14default_configENS1_38merge_sort_block_merge_config_selectorIilEEZZNS1_27merge_sort_block_merge_implIS3_PiN6thrust23THRUST_200600_302600_NS10device_ptrIlEEjNS1_19radix_merge_compareILb0ELb0EiNS0_19identity_decomposerEEEEE10hipError_tT0_T1_T2_jT3_P12ihipStream_tbPNSt15iterator_traitsISG_E10value_typeEPNSM_ISH_E10value_typeEPSI_NS1_7vsmem_tEENKUlT_SG_SH_SI_E_clIS7_S7_PlSB_EESF_SV_SG_SH_SI_EUlSV_E_NS1_11comp_targetILNS1_3genE10ELNS1_11target_archE1201ELNS1_3gpuE5ELNS1_3repE0EEENS1_48merge_mergepath_partition_config_static_selectorELNS0_4arch9wavefront6targetE1EEEvSH_
	.p2align	8
	.type	_ZN7rocprim17ROCPRIM_400000_NS6detail17trampoline_kernelINS0_14default_configENS1_38merge_sort_block_merge_config_selectorIilEEZZNS1_27merge_sort_block_merge_implIS3_PiN6thrust23THRUST_200600_302600_NS10device_ptrIlEEjNS1_19radix_merge_compareILb0ELb0EiNS0_19identity_decomposerEEEEE10hipError_tT0_T1_T2_jT3_P12ihipStream_tbPNSt15iterator_traitsISG_E10value_typeEPNSM_ISH_E10value_typeEPSI_NS1_7vsmem_tEENKUlT_SG_SH_SI_E_clIS7_S7_PlSB_EESF_SV_SG_SH_SI_EUlSV_E_NS1_11comp_targetILNS1_3genE10ELNS1_11target_archE1201ELNS1_3gpuE5ELNS1_3repE0EEENS1_48merge_mergepath_partition_config_static_selectorELNS0_4arch9wavefront6targetE1EEEvSH_,@function
_ZN7rocprim17ROCPRIM_400000_NS6detail17trampoline_kernelINS0_14default_configENS1_38merge_sort_block_merge_config_selectorIilEEZZNS1_27merge_sort_block_merge_implIS3_PiN6thrust23THRUST_200600_302600_NS10device_ptrIlEEjNS1_19radix_merge_compareILb0ELb0EiNS0_19identity_decomposerEEEEE10hipError_tT0_T1_T2_jT3_P12ihipStream_tbPNSt15iterator_traitsISG_E10value_typeEPNSM_ISH_E10value_typeEPSI_NS1_7vsmem_tEENKUlT_SG_SH_SI_E_clIS7_S7_PlSB_EESF_SV_SG_SH_SI_EUlSV_E_NS1_11comp_targetILNS1_3genE10ELNS1_11target_archE1201ELNS1_3gpuE5ELNS1_3repE0EEENS1_48merge_mergepath_partition_config_static_selectorELNS0_4arch9wavefront6targetE1EEEvSH_: ; @_ZN7rocprim17ROCPRIM_400000_NS6detail17trampoline_kernelINS0_14default_configENS1_38merge_sort_block_merge_config_selectorIilEEZZNS1_27merge_sort_block_merge_implIS3_PiN6thrust23THRUST_200600_302600_NS10device_ptrIlEEjNS1_19radix_merge_compareILb0ELb0EiNS0_19identity_decomposerEEEEE10hipError_tT0_T1_T2_jT3_P12ihipStream_tbPNSt15iterator_traitsISG_E10value_typeEPNSM_ISH_E10value_typeEPSI_NS1_7vsmem_tEENKUlT_SG_SH_SI_E_clIS7_S7_PlSB_EESF_SV_SG_SH_SI_EUlSV_E_NS1_11comp_targetILNS1_3genE10ELNS1_11target_archE1201ELNS1_3gpuE5ELNS1_3repE0EEENS1_48merge_mergepath_partition_config_static_selectorELNS0_4arch9wavefront6targetE1EEEvSH_
; %bb.0:
	.section	.rodata,"a",@progbits
	.p2align	6, 0x0
	.amdhsa_kernel _ZN7rocprim17ROCPRIM_400000_NS6detail17trampoline_kernelINS0_14default_configENS1_38merge_sort_block_merge_config_selectorIilEEZZNS1_27merge_sort_block_merge_implIS3_PiN6thrust23THRUST_200600_302600_NS10device_ptrIlEEjNS1_19radix_merge_compareILb0ELb0EiNS0_19identity_decomposerEEEEE10hipError_tT0_T1_T2_jT3_P12ihipStream_tbPNSt15iterator_traitsISG_E10value_typeEPNSM_ISH_E10value_typeEPSI_NS1_7vsmem_tEENKUlT_SG_SH_SI_E_clIS7_S7_PlSB_EESF_SV_SG_SH_SI_EUlSV_E_NS1_11comp_targetILNS1_3genE10ELNS1_11target_archE1201ELNS1_3gpuE5ELNS1_3repE0EEENS1_48merge_mergepath_partition_config_static_selectorELNS0_4arch9wavefront6targetE1EEEvSH_
		.amdhsa_group_segment_fixed_size 0
		.amdhsa_private_segment_fixed_size 0
		.amdhsa_kernarg_size 40
		.amdhsa_user_sgpr_count 6
		.amdhsa_user_sgpr_private_segment_buffer 1
		.amdhsa_user_sgpr_dispatch_ptr 0
		.amdhsa_user_sgpr_queue_ptr 0
		.amdhsa_user_sgpr_kernarg_segment_ptr 1
		.amdhsa_user_sgpr_dispatch_id 0
		.amdhsa_user_sgpr_flat_scratch_init 0
		.amdhsa_user_sgpr_private_segment_size 0
		.amdhsa_uses_dynamic_stack 0
		.amdhsa_system_sgpr_private_segment_wavefront_offset 0
		.amdhsa_system_sgpr_workgroup_id_x 1
		.amdhsa_system_sgpr_workgroup_id_y 0
		.amdhsa_system_sgpr_workgroup_id_z 0
		.amdhsa_system_sgpr_workgroup_info 0
		.amdhsa_system_vgpr_workitem_id 0
		.amdhsa_next_free_vgpr 1
		.amdhsa_next_free_sgpr 0
		.amdhsa_reserve_vcc 0
		.amdhsa_reserve_flat_scratch 0
		.amdhsa_float_round_mode_32 0
		.amdhsa_float_round_mode_16_64 0
		.amdhsa_float_denorm_mode_32 3
		.amdhsa_float_denorm_mode_16_64 3
		.amdhsa_dx10_clamp 1
		.amdhsa_ieee_mode 1
		.amdhsa_fp16_overflow 0
		.amdhsa_exception_fp_ieee_invalid_op 0
		.amdhsa_exception_fp_denorm_src 0
		.amdhsa_exception_fp_ieee_div_zero 0
		.amdhsa_exception_fp_ieee_overflow 0
		.amdhsa_exception_fp_ieee_underflow 0
		.amdhsa_exception_fp_ieee_inexact 0
		.amdhsa_exception_int_div_zero 0
	.end_amdhsa_kernel
	.section	.text._ZN7rocprim17ROCPRIM_400000_NS6detail17trampoline_kernelINS0_14default_configENS1_38merge_sort_block_merge_config_selectorIilEEZZNS1_27merge_sort_block_merge_implIS3_PiN6thrust23THRUST_200600_302600_NS10device_ptrIlEEjNS1_19radix_merge_compareILb0ELb0EiNS0_19identity_decomposerEEEEE10hipError_tT0_T1_T2_jT3_P12ihipStream_tbPNSt15iterator_traitsISG_E10value_typeEPNSM_ISH_E10value_typeEPSI_NS1_7vsmem_tEENKUlT_SG_SH_SI_E_clIS7_S7_PlSB_EESF_SV_SG_SH_SI_EUlSV_E_NS1_11comp_targetILNS1_3genE10ELNS1_11target_archE1201ELNS1_3gpuE5ELNS1_3repE0EEENS1_48merge_mergepath_partition_config_static_selectorELNS0_4arch9wavefront6targetE1EEEvSH_,"axG",@progbits,_ZN7rocprim17ROCPRIM_400000_NS6detail17trampoline_kernelINS0_14default_configENS1_38merge_sort_block_merge_config_selectorIilEEZZNS1_27merge_sort_block_merge_implIS3_PiN6thrust23THRUST_200600_302600_NS10device_ptrIlEEjNS1_19radix_merge_compareILb0ELb0EiNS0_19identity_decomposerEEEEE10hipError_tT0_T1_T2_jT3_P12ihipStream_tbPNSt15iterator_traitsISG_E10value_typeEPNSM_ISH_E10value_typeEPSI_NS1_7vsmem_tEENKUlT_SG_SH_SI_E_clIS7_S7_PlSB_EESF_SV_SG_SH_SI_EUlSV_E_NS1_11comp_targetILNS1_3genE10ELNS1_11target_archE1201ELNS1_3gpuE5ELNS1_3repE0EEENS1_48merge_mergepath_partition_config_static_selectorELNS0_4arch9wavefront6targetE1EEEvSH_,comdat
.Lfunc_end745:
	.size	_ZN7rocprim17ROCPRIM_400000_NS6detail17trampoline_kernelINS0_14default_configENS1_38merge_sort_block_merge_config_selectorIilEEZZNS1_27merge_sort_block_merge_implIS3_PiN6thrust23THRUST_200600_302600_NS10device_ptrIlEEjNS1_19radix_merge_compareILb0ELb0EiNS0_19identity_decomposerEEEEE10hipError_tT0_T1_T2_jT3_P12ihipStream_tbPNSt15iterator_traitsISG_E10value_typeEPNSM_ISH_E10value_typeEPSI_NS1_7vsmem_tEENKUlT_SG_SH_SI_E_clIS7_S7_PlSB_EESF_SV_SG_SH_SI_EUlSV_E_NS1_11comp_targetILNS1_3genE10ELNS1_11target_archE1201ELNS1_3gpuE5ELNS1_3repE0EEENS1_48merge_mergepath_partition_config_static_selectorELNS0_4arch9wavefront6targetE1EEEvSH_, .Lfunc_end745-_ZN7rocprim17ROCPRIM_400000_NS6detail17trampoline_kernelINS0_14default_configENS1_38merge_sort_block_merge_config_selectorIilEEZZNS1_27merge_sort_block_merge_implIS3_PiN6thrust23THRUST_200600_302600_NS10device_ptrIlEEjNS1_19radix_merge_compareILb0ELb0EiNS0_19identity_decomposerEEEEE10hipError_tT0_T1_T2_jT3_P12ihipStream_tbPNSt15iterator_traitsISG_E10value_typeEPNSM_ISH_E10value_typeEPSI_NS1_7vsmem_tEENKUlT_SG_SH_SI_E_clIS7_S7_PlSB_EESF_SV_SG_SH_SI_EUlSV_E_NS1_11comp_targetILNS1_3genE10ELNS1_11target_archE1201ELNS1_3gpuE5ELNS1_3repE0EEENS1_48merge_mergepath_partition_config_static_selectorELNS0_4arch9wavefront6targetE1EEEvSH_
                                        ; -- End function
	.set _ZN7rocprim17ROCPRIM_400000_NS6detail17trampoline_kernelINS0_14default_configENS1_38merge_sort_block_merge_config_selectorIilEEZZNS1_27merge_sort_block_merge_implIS3_PiN6thrust23THRUST_200600_302600_NS10device_ptrIlEEjNS1_19radix_merge_compareILb0ELb0EiNS0_19identity_decomposerEEEEE10hipError_tT0_T1_T2_jT3_P12ihipStream_tbPNSt15iterator_traitsISG_E10value_typeEPNSM_ISH_E10value_typeEPSI_NS1_7vsmem_tEENKUlT_SG_SH_SI_E_clIS7_S7_PlSB_EESF_SV_SG_SH_SI_EUlSV_E_NS1_11comp_targetILNS1_3genE10ELNS1_11target_archE1201ELNS1_3gpuE5ELNS1_3repE0EEENS1_48merge_mergepath_partition_config_static_selectorELNS0_4arch9wavefront6targetE1EEEvSH_.num_vgpr, 0
	.set _ZN7rocprim17ROCPRIM_400000_NS6detail17trampoline_kernelINS0_14default_configENS1_38merge_sort_block_merge_config_selectorIilEEZZNS1_27merge_sort_block_merge_implIS3_PiN6thrust23THRUST_200600_302600_NS10device_ptrIlEEjNS1_19radix_merge_compareILb0ELb0EiNS0_19identity_decomposerEEEEE10hipError_tT0_T1_T2_jT3_P12ihipStream_tbPNSt15iterator_traitsISG_E10value_typeEPNSM_ISH_E10value_typeEPSI_NS1_7vsmem_tEENKUlT_SG_SH_SI_E_clIS7_S7_PlSB_EESF_SV_SG_SH_SI_EUlSV_E_NS1_11comp_targetILNS1_3genE10ELNS1_11target_archE1201ELNS1_3gpuE5ELNS1_3repE0EEENS1_48merge_mergepath_partition_config_static_selectorELNS0_4arch9wavefront6targetE1EEEvSH_.num_agpr, 0
	.set _ZN7rocprim17ROCPRIM_400000_NS6detail17trampoline_kernelINS0_14default_configENS1_38merge_sort_block_merge_config_selectorIilEEZZNS1_27merge_sort_block_merge_implIS3_PiN6thrust23THRUST_200600_302600_NS10device_ptrIlEEjNS1_19radix_merge_compareILb0ELb0EiNS0_19identity_decomposerEEEEE10hipError_tT0_T1_T2_jT3_P12ihipStream_tbPNSt15iterator_traitsISG_E10value_typeEPNSM_ISH_E10value_typeEPSI_NS1_7vsmem_tEENKUlT_SG_SH_SI_E_clIS7_S7_PlSB_EESF_SV_SG_SH_SI_EUlSV_E_NS1_11comp_targetILNS1_3genE10ELNS1_11target_archE1201ELNS1_3gpuE5ELNS1_3repE0EEENS1_48merge_mergepath_partition_config_static_selectorELNS0_4arch9wavefront6targetE1EEEvSH_.numbered_sgpr, 0
	.set _ZN7rocprim17ROCPRIM_400000_NS6detail17trampoline_kernelINS0_14default_configENS1_38merge_sort_block_merge_config_selectorIilEEZZNS1_27merge_sort_block_merge_implIS3_PiN6thrust23THRUST_200600_302600_NS10device_ptrIlEEjNS1_19radix_merge_compareILb0ELb0EiNS0_19identity_decomposerEEEEE10hipError_tT0_T1_T2_jT3_P12ihipStream_tbPNSt15iterator_traitsISG_E10value_typeEPNSM_ISH_E10value_typeEPSI_NS1_7vsmem_tEENKUlT_SG_SH_SI_E_clIS7_S7_PlSB_EESF_SV_SG_SH_SI_EUlSV_E_NS1_11comp_targetILNS1_3genE10ELNS1_11target_archE1201ELNS1_3gpuE5ELNS1_3repE0EEENS1_48merge_mergepath_partition_config_static_selectorELNS0_4arch9wavefront6targetE1EEEvSH_.num_named_barrier, 0
	.set _ZN7rocprim17ROCPRIM_400000_NS6detail17trampoline_kernelINS0_14default_configENS1_38merge_sort_block_merge_config_selectorIilEEZZNS1_27merge_sort_block_merge_implIS3_PiN6thrust23THRUST_200600_302600_NS10device_ptrIlEEjNS1_19radix_merge_compareILb0ELb0EiNS0_19identity_decomposerEEEEE10hipError_tT0_T1_T2_jT3_P12ihipStream_tbPNSt15iterator_traitsISG_E10value_typeEPNSM_ISH_E10value_typeEPSI_NS1_7vsmem_tEENKUlT_SG_SH_SI_E_clIS7_S7_PlSB_EESF_SV_SG_SH_SI_EUlSV_E_NS1_11comp_targetILNS1_3genE10ELNS1_11target_archE1201ELNS1_3gpuE5ELNS1_3repE0EEENS1_48merge_mergepath_partition_config_static_selectorELNS0_4arch9wavefront6targetE1EEEvSH_.private_seg_size, 0
	.set _ZN7rocprim17ROCPRIM_400000_NS6detail17trampoline_kernelINS0_14default_configENS1_38merge_sort_block_merge_config_selectorIilEEZZNS1_27merge_sort_block_merge_implIS3_PiN6thrust23THRUST_200600_302600_NS10device_ptrIlEEjNS1_19radix_merge_compareILb0ELb0EiNS0_19identity_decomposerEEEEE10hipError_tT0_T1_T2_jT3_P12ihipStream_tbPNSt15iterator_traitsISG_E10value_typeEPNSM_ISH_E10value_typeEPSI_NS1_7vsmem_tEENKUlT_SG_SH_SI_E_clIS7_S7_PlSB_EESF_SV_SG_SH_SI_EUlSV_E_NS1_11comp_targetILNS1_3genE10ELNS1_11target_archE1201ELNS1_3gpuE5ELNS1_3repE0EEENS1_48merge_mergepath_partition_config_static_selectorELNS0_4arch9wavefront6targetE1EEEvSH_.uses_vcc, 0
	.set _ZN7rocprim17ROCPRIM_400000_NS6detail17trampoline_kernelINS0_14default_configENS1_38merge_sort_block_merge_config_selectorIilEEZZNS1_27merge_sort_block_merge_implIS3_PiN6thrust23THRUST_200600_302600_NS10device_ptrIlEEjNS1_19radix_merge_compareILb0ELb0EiNS0_19identity_decomposerEEEEE10hipError_tT0_T1_T2_jT3_P12ihipStream_tbPNSt15iterator_traitsISG_E10value_typeEPNSM_ISH_E10value_typeEPSI_NS1_7vsmem_tEENKUlT_SG_SH_SI_E_clIS7_S7_PlSB_EESF_SV_SG_SH_SI_EUlSV_E_NS1_11comp_targetILNS1_3genE10ELNS1_11target_archE1201ELNS1_3gpuE5ELNS1_3repE0EEENS1_48merge_mergepath_partition_config_static_selectorELNS0_4arch9wavefront6targetE1EEEvSH_.uses_flat_scratch, 0
	.set _ZN7rocprim17ROCPRIM_400000_NS6detail17trampoline_kernelINS0_14default_configENS1_38merge_sort_block_merge_config_selectorIilEEZZNS1_27merge_sort_block_merge_implIS3_PiN6thrust23THRUST_200600_302600_NS10device_ptrIlEEjNS1_19radix_merge_compareILb0ELb0EiNS0_19identity_decomposerEEEEE10hipError_tT0_T1_T2_jT3_P12ihipStream_tbPNSt15iterator_traitsISG_E10value_typeEPNSM_ISH_E10value_typeEPSI_NS1_7vsmem_tEENKUlT_SG_SH_SI_E_clIS7_S7_PlSB_EESF_SV_SG_SH_SI_EUlSV_E_NS1_11comp_targetILNS1_3genE10ELNS1_11target_archE1201ELNS1_3gpuE5ELNS1_3repE0EEENS1_48merge_mergepath_partition_config_static_selectorELNS0_4arch9wavefront6targetE1EEEvSH_.has_dyn_sized_stack, 0
	.set _ZN7rocprim17ROCPRIM_400000_NS6detail17trampoline_kernelINS0_14default_configENS1_38merge_sort_block_merge_config_selectorIilEEZZNS1_27merge_sort_block_merge_implIS3_PiN6thrust23THRUST_200600_302600_NS10device_ptrIlEEjNS1_19radix_merge_compareILb0ELb0EiNS0_19identity_decomposerEEEEE10hipError_tT0_T1_T2_jT3_P12ihipStream_tbPNSt15iterator_traitsISG_E10value_typeEPNSM_ISH_E10value_typeEPSI_NS1_7vsmem_tEENKUlT_SG_SH_SI_E_clIS7_S7_PlSB_EESF_SV_SG_SH_SI_EUlSV_E_NS1_11comp_targetILNS1_3genE10ELNS1_11target_archE1201ELNS1_3gpuE5ELNS1_3repE0EEENS1_48merge_mergepath_partition_config_static_selectorELNS0_4arch9wavefront6targetE1EEEvSH_.has_recursion, 0
	.set _ZN7rocprim17ROCPRIM_400000_NS6detail17trampoline_kernelINS0_14default_configENS1_38merge_sort_block_merge_config_selectorIilEEZZNS1_27merge_sort_block_merge_implIS3_PiN6thrust23THRUST_200600_302600_NS10device_ptrIlEEjNS1_19radix_merge_compareILb0ELb0EiNS0_19identity_decomposerEEEEE10hipError_tT0_T1_T2_jT3_P12ihipStream_tbPNSt15iterator_traitsISG_E10value_typeEPNSM_ISH_E10value_typeEPSI_NS1_7vsmem_tEENKUlT_SG_SH_SI_E_clIS7_S7_PlSB_EESF_SV_SG_SH_SI_EUlSV_E_NS1_11comp_targetILNS1_3genE10ELNS1_11target_archE1201ELNS1_3gpuE5ELNS1_3repE0EEENS1_48merge_mergepath_partition_config_static_selectorELNS0_4arch9wavefront6targetE1EEEvSH_.has_indirect_call, 0
	.section	.AMDGPU.csdata,"",@progbits
; Kernel info:
; codeLenInByte = 0
; TotalNumSgprs: 4
; NumVgprs: 0
; ScratchSize: 0
; MemoryBound: 0
; FloatMode: 240
; IeeeMode: 1
; LDSByteSize: 0 bytes/workgroup (compile time only)
; SGPRBlocks: 0
; VGPRBlocks: 0
; NumSGPRsForWavesPerEU: 4
; NumVGPRsForWavesPerEU: 1
; Occupancy: 10
; WaveLimiterHint : 0
; COMPUTE_PGM_RSRC2:SCRATCH_EN: 0
; COMPUTE_PGM_RSRC2:USER_SGPR: 6
; COMPUTE_PGM_RSRC2:TRAP_HANDLER: 0
; COMPUTE_PGM_RSRC2:TGID_X_EN: 1
; COMPUTE_PGM_RSRC2:TGID_Y_EN: 0
; COMPUTE_PGM_RSRC2:TGID_Z_EN: 0
; COMPUTE_PGM_RSRC2:TIDIG_COMP_CNT: 0
	.section	.text._ZN7rocprim17ROCPRIM_400000_NS6detail17trampoline_kernelINS0_14default_configENS1_38merge_sort_block_merge_config_selectorIilEEZZNS1_27merge_sort_block_merge_implIS3_PiN6thrust23THRUST_200600_302600_NS10device_ptrIlEEjNS1_19radix_merge_compareILb0ELb0EiNS0_19identity_decomposerEEEEE10hipError_tT0_T1_T2_jT3_P12ihipStream_tbPNSt15iterator_traitsISG_E10value_typeEPNSM_ISH_E10value_typeEPSI_NS1_7vsmem_tEENKUlT_SG_SH_SI_E_clIS7_S7_PlSB_EESF_SV_SG_SH_SI_EUlSV_E_NS1_11comp_targetILNS1_3genE5ELNS1_11target_archE942ELNS1_3gpuE9ELNS1_3repE0EEENS1_48merge_mergepath_partition_config_static_selectorELNS0_4arch9wavefront6targetE1EEEvSH_,"axG",@progbits,_ZN7rocprim17ROCPRIM_400000_NS6detail17trampoline_kernelINS0_14default_configENS1_38merge_sort_block_merge_config_selectorIilEEZZNS1_27merge_sort_block_merge_implIS3_PiN6thrust23THRUST_200600_302600_NS10device_ptrIlEEjNS1_19radix_merge_compareILb0ELb0EiNS0_19identity_decomposerEEEEE10hipError_tT0_T1_T2_jT3_P12ihipStream_tbPNSt15iterator_traitsISG_E10value_typeEPNSM_ISH_E10value_typeEPSI_NS1_7vsmem_tEENKUlT_SG_SH_SI_E_clIS7_S7_PlSB_EESF_SV_SG_SH_SI_EUlSV_E_NS1_11comp_targetILNS1_3genE5ELNS1_11target_archE942ELNS1_3gpuE9ELNS1_3repE0EEENS1_48merge_mergepath_partition_config_static_selectorELNS0_4arch9wavefront6targetE1EEEvSH_,comdat
	.protected	_ZN7rocprim17ROCPRIM_400000_NS6detail17trampoline_kernelINS0_14default_configENS1_38merge_sort_block_merge_config_selectorIilEEZZNS1_27merge_sort_block_merge_implIS3_PiN6thrust23THRUST_200600_302600_NS10device_ptrIlEEjNS1_19radix_merge_compareILb0ELb0EiNS0_19identity_decomposerEEEEE10hipError_tT0_T1_T2_jT3_P12ihipStream_tbPNSt15iterator_traitsISG_E10value_typeEPNSM_ISH_E10value_typeEPSI_NS1_7vsmem_tEENKUlT_SG_SH_SI_E_clIS7_S7_PlSB_EESF_SV_SG_SH_SI_EUlSV_E_NS1_11comp_targetILNS1_3genE5ELNS1_11target_archE942ELNS1_3gpuE9ELNS1_3repE0EEENS1_48merge_mergepath_partition_config_static_selectorELNS0_4arch9wavefront6targetE1EEEvSH_ ; -- Begin function _ZN7rocprim17ROCPRIM_400000_NS6detail17trampoline_kernelINS0_14default_configENS1_38merge_sort_block_merge_config_selectorIilEEZZNS1_27merge_sort_block_merge_implIS3_PiN6thrust23THRUST_200600_302600_NS10device_ptrIlEEjNS1_19radix_merge_compareILb0ELb0EiNS0_19identity_decomposerEEEEE10hipError_tT0_T1_T2_jT3_P12ihipStream_tbPNSt15iterator_traitsISG_E10value_typeEPNSM_ISH_E10value_typeEPSI_NS1_7vsmem_tEENKUlT_SG_SH_SI_E_clIS7_S7_PlSB_EESF_SV_SG_SH_SI_EUlSV_E_NS1_11comp_targetILNS1_3genE5ELNS1_11target_archE942ELNS1_3gpuE9ELNS1_3repE0EEENS1_48merge_mergepath_partition_config_static_selectorELNS0_4arch9wavefront6targetE1EEEvSH_
	.globl	_ZN7rocprim17ROCPRIM_400000_NS6detail17trampoline_kernelINS0_14default_configENS1_38merge_sort_block_merge_config_selectorIilEEZZNS1_27merge_sort_block_merge_implIS3_PiN6thrust23THRUST_200600_302600_NS10device_ptrIlEEjNS1_19radix_merge_compareILb0ELb0EiNS0_19identity_decomposerEEEEE10hipError_tT0_T1_T2_jT3_P12ihipStream_tbPNSt15iterator_traitsISG_E10value_typeEPNSM_ISH_E10value_typeEPSI_NS1_7vsmem_tEENKUlT_SG_SH_SI_E_clIS7_S7_PlSB_EESF_SV_SG_SH_SI_EUlSV_E_NS1_11comp_targetILNS1_3genE5ELNS1_11target_archE942ELNS1_3gpuE9ELNS1_3repE0EEENS1_48merge_mergepath_partition_config_static_selectorELNS0_4arch9wavefront6targetE1EEEvSH_
	.p2align	8
	.type	_ZN7rocprim17ROCPRIM_400000_NS6detail17trampoline_kernelINS0_14default_configENS1_38merge_sort_block_merge_config_selectorIilEEZZNS1_27merge_sort_block_merge_implIS3_PiN6thrust23THRUST_200600_302600_NS10device_ptrIlEEjNS1_19radix_merge_compareILb0ELb0EiNS0_19identity_decomposerEEEEE10hipError_tT0_T1_T2_jT3_P12ihipStream_tbPNSt15iterator_traitsISG_E10value_typeEPNSM_ISH_E10value_typeEPSI_NS1_7vsmem_tEENKUlT_SG_SH_SI_E_clIS7_S7_PlSB_EESF_SV_SG_SH_SI_EUlSV_E_NS1_11comp_targetILNS1_3genE5ELNS1_11target_archE942ELNS1_3gpuE9ELNS1_3repE0EEENS1_48merge_mergepath_partition_config_static_selectorELNS0_4arch9wavefront6targetE1EEEvSH_,@function
_ZN7rocprim17ROCPRIM_400000_NS6detail17trampoline_kernelINS0_14default_configENS1_38merge_sort_block_merge_config_selectorIilEEZZNS1_27merge_sort_block_merge_implIS3_PiN6thrust23THRUST_200600_302600_NS10device_ptrIlEEjNS1_19radix_merge_compareILb0ELb0EiNS0_19identity_decomposerEEEEE10hipError_tT0_T1_T2_jT3_P12ihipStream_tbPNSt15iterator_traitsISG_E10value_typeEPNSM_ISH_E10value_typeEPSI_NS1_7vsmem_tEENKUlT_SG_SH_SI_E_clIS7_S7_PlSB_EESF_SV_SG_SH_SI_EUlSV_E_NS1_11comp_targetILNS1_3genE5ELNS1_11target_archE942ELNS1_3gpuE9ELNS1_3repE0EEENS1_48merge_mergepath_partition_config_static_selectorELNS0_4arch9wavefront6targetE1EEEvSH_: ; @_ZN7rocprim17ROCPRIM_400000_NS6detail17trampoline_kernelINS0_14default_configENS1_38merge_sort_block_merge_config_selectorIilEEZZNS1_27merge_sort_block_merge_implIS3_PiN6thrust23THRUST_200600_302600_NS10device_ptrIlEEjNS1_19radix_merge_compareILb0ELb0EiNS0_19identity_decomposerEEEEE10hipError_tT0_T1_T2_jT3_P12ihipStream_tbPNSt15iterator_traitsISG_E10value_typeEPNSM_ISH_E10value_typeEPSI_NS1_7vsmem_tEENKUlT_SG_SH_SI_E_clIS7_S7_PlSB_EESF_SV_SG_SH_SI_EUlSV_E_NS1_11comp_targetILNS1_3genE5ELNS1_11target_archE942ELNS1_3gpuE9ELNS1_3repE0EEENS1_48merge_mergepath_partition_config_static_selectorELNS0_4arch9wavefront6targetE1EEEvSH_
; %bb.0:
	.section	.rodata,"a",@progbits
	.p2align	6, 0x0
	.amdhsa_kernel _ZN7rocprim17ROCPRIM_400000_NS6detail17trampoline_kernelINS0_14default_configENS1_38merge_sort_block_merge_config_selectorIilEEZZNS1_27merge_sort_block_merge_implIS3_PiN6thrust23THRUST_200600_302600_NS10device_ptrIlEEjNS1_19radix_merge_compareILb0ELb0EiNS0_19identity_decomposerEEEEE10hipError_tT0_T1_T2_jT3_P12ihipStream_tbPNSt15iterator_traitsISG_E10value_typeEPNSM_ISH_E10value_typeEPSI_NS1_7vsmem_tEENKUlT_SG_SH_SI_E_clIS7_S7_PlSB_EESF_SV_SG_SH_SI_EUlSV_E_NS1_11comp_targetILNS1_3genE5ELNS1_11target_archE942ELNS1_3gpuE9ELNS1_3repE0EEENS1_48merge_mergepath_partition_config_static_selectorELNS0_4arch9wavefront6targetE1EEEvSH_
		.amdhsa_group_segment_fixed_size 0
		.amdhsa_private_segment_fixed_size 0
		.amdhsa_kernarg_size 40
		.amdhsa_user_sgpr_count 6
		.amdhsa_user_sgpr_private_segment_buffer 1
		.amdhsa_user_sgpr_dispatch_ptr 0
		.amdhsa_user_sgpr_queue_ptr 0
		.amdhsa_user_sgpr_kernarg_segment_ptr 1
		.amdhsa_user_sgpr_dispatch_id 0
		.amdhsa_user_sgpr_flat_scratch_init 0
		.amdhsa_user_sgpr_private_segment_size 0
		.amdhsa_uses_dynamic_stack 0
		.amdhsa_system_sgpr_private_segment_wavefront_offset 0
		.amdhsa_system_sgpr_workgroup_id_x 1
		.amdhsa_system_sgpr_workgroup_id_y 0
		.amdhsa_system_sgpr_workgroup_id_z 0
		.amdhsa_system_sgpr_workgroup_info 0
		.amdhsa_system_vgpr_workitem_id 0
		.amdhsa_next_free_vgpr 1
		.amdhsa_next_free_sgpr 0
		.amdhsa_reserve_vcc 0
		.amdhsa_reserve_flat_scratch 0
		.amdhsa_float_round_mode_32 0
		.amdhsa_float_round_mode_16_64 0
		.amdhsa_float_denorm_mode_32 3
		.amdhsa_float_denorm_mode_16_64 3
		.amdhsa_dx10_clamp 1
		.amdhsa_ieee_mode 1
		.amdhsa_fp16_overflow 0
		.amdhsa_exception_fp_ieee_invalid_op 0
		.amdhsa_exception_fp_denorm_src 0
		.amdhsa_exception_fp_ieee_div_zero 0
		.amdhsa_exception_fp_ieee_overflow 0
		.amdhsa_exception_fp_ieee_underflow 0
		.amdhsa_exception_fp_ieee_inexact 0
		.amdhsa_exception_int_div_zero 0
	.end_amdhsa_kernel
	.section	.text._ZN7rocprim17ROCPRIM_400000_NS6detail17trampoline_kernelINS0_14default_configENS1_38merge_sort_block_merge_config_selectorIilEEZZNS1_27merge_sort_block_merge_implIS3_PiN6thrust23THRUST_200600_302600_NS10device_ptrIlEEjNS1_19radix_merge_compareILb0ELb0EiNS0_19identity_decomposerEEEEE10hipError_tT0_T1_T2_jT3_P12ihipStream_tbPNSt15iterator_traitsISG_E10value_typeEPNSM_ISH_E10value_typeEPSI_NS1_7vsmem_tEENKUlT_SG_SH_SI_E_clIS7_S7_PlSB_EESF_SV_SG_SH_SI_EUlSV_E_NS1_11comp_targetILNS1_3genE5ELNS1_11target_archE942ELNS1_3gpuE9ELNS1_3repE0EEENS1_48merge_mergepath_partition_config_static_selectorELNS0_4arch9wavefront6targetE1EEEvSH_,"axG",@progbits,_ZN7rocprim17ROCPRIM_400000_NS6detail17trampoline_kernelINS0_14default_configENS1_38merge_sort_block_merge_config_selectorIilEEZZNS1_27merge_sort_block_merge_implIS3_PiN6thrust23THRUST_200600_302600_NS10device_ptrIlEEjNS1_19radix_merge_compareILb0ELb0EiNS0_19identity_decomposerEEEEE10hipError_tT0_T1_T2_jT3_P12ihipStream_tbPNSt15iterator_traitsISG_E10value_typeEPNSM_ISH_E10value_typeEPSI_NS1_7vsmem_tEENKUlT_SG_SH_SI_E_clIS7_S7_PlSB_EESF_SV_SG_SH_SI_EUlSV_E_NS1_11comp_targetILNS1_3genE5ELNS1_11target_archE942ELNS1_3gpuE9ELNS1_3repE0EEENS1_48merge_mergepath_partition_config_static_selectorELNS0_4arch9wavefront6targetE1EEEvSH_,comdat
.Lfunc_end746:
	.size	_ZN7rocprim17ROCPRIM_400000_NS6detail17trampoline_kernelINS0_14default_configENS1_38merge_sort_block_merge_config_selectorIilEEZZNS1_27merge_sort_block_merge_implIS3_PiN6thrust23THRUST_200600_302600_NS10device_ptrIlEEjNS1_19radix_merge_compareILb0ELb0EiNS0_19identity_decomposerEEEEE10hipError_tT0_T1_T2_jT3_P12ihipStream_tbPNSt15iterator_traitsISG_E10value_typeEPNSM_ISH_E10value_typeEPSI_NS1_7vsmem_tEENKUlT_SG_SH_SI_E_clIS7_S7_PlSB_EESF_SV_SG_SH_SI_EUlSV_E_NS1_11comp_targetILNS1_3genE5ELNS1_11target_archE942ELNS1_3gpuE9ELNS1_3repE0EEENS1_48merge_mergepath_partition_config_static_selectorELNS0_4arch9wavefront6targetE1EEEvSH_, .Lfunc_end746-_ZN7rocprim17ROCPRIM_400000_NS6detail17trampoline_kernelINS0_14default_configENS1_38merge_sort_block_merge_config_selectorIilEEZZNS1_27merge_sort_block_merge_implIS3_PiN6thrust23THRUST_200600_302600_NS10device_ptrIlEEjNS1_19radix_merge_compareILb0ELb0EiNS0_19identity_decomposerEEEEE10hipError_tT0_T1_T2_jT3_P12ihipStream_tbPNSt15iterator_traitsISG_E10value_typeEPNSM_ISH_E10value_typeEPSI_NS1_7vsmem_tEENKUlT_SG_SH_SI_E_clIS7_S7_PlSB_EESF_SV_SG_SH_SI_EUlSV_E_NS1_11comp_targetILNS1_3genE5ELNS1_11target_archE942ELNS1_3gpuE9ELNS1_3repE0EEENS1_48merge_mergepath_partition_config_static_selectorELNS0_4arch9wavefront6targetE1EEEvSH_
                                        ; -- End function
	.set _ZN7rocprim17ROCPRIM_400000_NS6detail17trampoline_kernelINS0_14default_configENS1_38merge_sort_block_merge_config_selectorIilEEZZNS1_27merge_sort_block_merge_implIS3_PiN6thrust23THRUST_200600_302600_NS10device_ptrIlEEjNS1_19radix_merge_compareILb0ELb0EiNS0_19identity_decomposerEEEEE10hipError_tT0_T1_T2_jT3_P12ihipStream_tbPNSt15iterator_traitsISG_E10value_typeEPNSM_ISH_E10value_typeEPSI_NS1_7vsmem_tEENKUlT_SG_SH_SI_E_clIS7_S7_PlSB_EESF_SV_SG_SH_SI_EUlSV_E_NS1_11comp_targetILNS1_3genE5ELNS1_11target_archE942ELNS1_3gpuE9ELNS1_3repE0EEENS1_48merge_mergepath_partition_config_static_selectorELNS0_4arch9wavefront6targetE1EEEvSH_.num_vgpr, 0
	.set _ZN7rocprim17ROCPRIM_400000_NS6detail17trampoline_kernelINS0_14default_configENS1_38merge_sort_block_merge_config_selectorIilEEZZNS1_27merge_sort_block_merge_implIS3_PiN6thrust23THRUST_200600_302600_NS10device_ptrIlEEjNS1_19radix_merge_compareILb0ELb0EiNS0_19identity_decomposerEEEEE10hipError_tT0_T1_T2_jT3_P12ihipStream_tbPNSt15iterator_traitsISG_E10value_typeEPNSM_ISH_E10value_typeEPSI_NS1_7vsmem_tEENKUlT_SG_SH_SI_E_clIS7_S7_PlSB_EESF_SV_SG_SH_SI_EUlSV_E_NS1_11comp_targetILNS1_3genE5ELNS1_11target_archE942ELNS1_3gpuE9ELNS1_3repE0EEENS1_48merge_mergepath_partition_config_static_selectorELNS0_4arch9wavefront6targetE1EEEvSH_.num_agpr, 0
	.set _ZN7rocprim17ROCPRIM_400000_NS6detail17trampoline_kernelINS0_14default_configENS1_38merge_sort_block_merge_config_selectorIilEEZZNS1_27merge_sort_block_merge_implIS3_PiN6thrust23THRUST_200600_302600_NS10device_ptrIlEEjNS1_19radix_merge_compareILb0ELb0EiNS0_19identity_decomposerEEEEE10hipError_tT0_T1_T2_jT3_P12ihipStream_tbPNSt15iterator_traitsISG_E10value_typeEPNSM_ISH_E10value_typeEPSI_NS1_7vsmem_tEENKUlT_SG_SH_SI_E_clIS7_S7_PlSB_EESF_SV_SG_SH_SI_EUlSV_E_NS1_11comp_targetILNS1_3genE5ELNS1_11target_archE942ELNS1_3gpuE9ELNS1_3repE0EEENS1_48merge_mergepath_partition_config_static_selectorELNS0_4arch9wavefront6targetE1EEEvSH_.numbered_sgpr, 0
	.set _ZN7rocprim17ROCPRIM_400000_NS6detail17trampoline_kernelINS0_14default_configENS1_38merge_sort_block_merge_config_selectorIilEEZZNS1_27merge_sort_block_merge_implIS3_PiN6thrust23THRUST_200600_302600_NS10device_ptrIlEEjNS1_19radix_merge_compareILb0ELb0EiNS0_19identity_decomposerEEEEE10hipError_tT0_T1_T2_jT3_P12ihipStream_tbPNSt15iterator_traitsISG_E10value_typeEPNSM_ISH_E10value_typeEPSI_NS1_7vsmem_tEENKUlT_SG_SH_SI_E_clIS7_S7_PlSB_EESF_SV_SG_SH_SI_EUlSV_E_NS1_11comp_targetILNS1_3genE5ELNS1_11target_archE942ELNS1_3gpuE9ELNS1_3repE0EEENS1_48merge_mergepath_partition_config_static_selectorELNS0_4arch9wavefront6targetE1EEEvSH_.num_named_barrier, 0
	.set _ZN7rocprim17ROCPRIM_400000_NS6detail17trampoline_kernelINS0_14default_configENS1_38merge_sort_block_merge_config_selectorIilEEZZNS1_27merge_sort_block_merge_implIS3_PiN6thrust23THRUST_200600_302600_NS10device_ptrIlEEjNS1_19radix_merge_compareILb0ELb0EiNS0_19identity_decomposerEEEEE10hipError_tT0_T1_T2_jT3_P12ihipStream_tbPNSt15iterator_traitsISG_E10value_typeEPNSM_ISH_E10value_typeEPSI_NS1_7vsmem_tEENKUlT_SG_SH_SI_E_clIS7_S7_PlSB_EESF_SV_SG_SH_SI_EUlSV_E_NS1_11comp_targetILNS1_3genE5ELNS1_11target_archE942ELNS1_3gpuE9ELNS1_3repE0EEENS1_48merge_mergepath_partition_config_static_selectorELNS0_4arch9wavefront6targetE1EEEvSH_.private_seg_size, 0
	.set _ZN7rocprim17ROCPRIM_400000_NS6detail17trampoline_kernelINS0_14default_configENS1_38merge_sort_block_merge_config_selectorIilEEZZNS1_27merge_sort_block_merge_implIS3_PiN6thrust23THRUST_200600_302600_NS10device_ptrIlEEjNS1_19radix_merge_compareILb0ELb0EiNS0_19identity_decomposerEEEEE10hipError_tT0_T1_T2_jT3_P12ihipStream_tbPNSt15iterator_traitsISG_E10value_typeEPNSM_ISH_E10value_typeEPSI_NS1_7vsmem_tEENKUlT_SG_SH_SI_E_clIS7_S7_PlSB_EESF_SV_SG_SH_SI_EUlSV_E_NS1_11comp_targetILNS1_3genE5ELNS1_11target_archE942ELNS1_3gpuE9ELNS1_3repE0EEENS1_48merge_mergepath_partition_config_static_selectorELNS0_4arch9wavefront6targetE1EEEvSH_.uses_vcc, 0
	.set _ZN7rocprim17ROCPRIM_400000_NS6detail17trampoline_kernelINS0_14default_configENS1_38merge_sort_block_merge_config_selectorIilEEZZNS1_27merge_sort_block_merge_implIS3_PiN6thrust23THRUST_200600_302600_NS10device_ptrIlEEjNS1_19radix_merge_compareILb0ELb0EiNS0_19identity_decomposerEEEEE10hipError_tT0_T1_T2_jT3_P12ihipStream_tbPNSt15iterator_traitsISG_E10value_typeEPNSM_ISH_E10value_typeEPSI_NS1_7vsmem_tEENKUlT_SG_SH_SI_E_clIS7_S7_PlSB_EESF_SV_SG_SH_SI_EUlSV_E_NS1_11comp_targetILNS1_3genE5ELNS1_11target_archE942ELNS1_3gpuE9ELNS1_3repE0EEENS1_48merge_mergepath_partition_config_static_selectorELNS0_4arch9wavefront6targetE1EEEvSH_.uses_flat_scratch, 0
	.set _ZN7rocprim17ROCPRIM_400000_NS6detail17trampoline_kernelINS0_14default_configENS1_38merge_sort_block_merge_config_selectorIilEEZZNS1_27merge_sort_block_merge_implIS3_PiN6thrust23THRUST_200600_302600_NS10device_ptrIlEEjNS1_19radix_merge_compareILb0ELb0EiNS0_19identity_decomposerEEEEE10hipError_tT0_T1_T2_jT3_P12ihipStream_tbPNSt15iterator_traitsISG_E10value_typeEPNSM_ISH_E10value_typeEPSI_NS1_7vsmem_tEENKUlT_SG_SH_SI_E_clIS7_S7_PlSB_EESF_SV_SG_SH_SI_EUlSV_E_NS1_11comp_targetILNS1_3genE5ELNS1_11target_archE942ELNS1_3gpuE9ELNS1_3repE0EEENS1_48merge_mergepath_partition_config_static_selectorELNS0_4arch9wavefront6targetE1EEEvSH_.has_dyn_sized_stack, 0
	.set _ZN7rocprim17ROCPRIM_400000_NS6detail17trampoline_kernelINS0_14default_configENS1_38merge_sort_block_merge_config_selectorIilEEZZNS1_27merge_sort_block_merge_implIS3_PiN6thrust23THRUST_200600_302600_NS10device_ptrIlEEjNS1_19radix_merge_compareILb0ELb0EiNS0_19identity_decomposerEEEEE10hipError_tT0_T1_T2_jT3_P12ihipStream_tbPNSt15iterator_traitsISG_E10value_typeEPNSM_ISH_E10value_typeEPSI_NS1_7vsmem_tEENKUlT_SG_SH_SI_E_clIS7_S7_PlSB_EESF_SV_SG_SH_SI_EUlSV_E_NS1_11comp_targetILNS1_3genE5ELNS1_11target_archE942ELNS1_3gpuE9ELNS1_3repE0EEENS1_48merge_mergepath_partition_config_static_selectorELNS0_4arch9wavefront6targetE1EEEvSH_.has_recursion, 0
	.set _ZN7rocprim17ROCPRIM_400000_NS6detail17trampoline_kernelINS0_14default_configENS1_38merge_sort_block_merge_config_selectorIilEEZZNS1_27merge_sort_block_merge_implIS3_PiN6thrust23THRUST_200600_302600_NS10device_ptrIlEEjNS1_19radix_merge_compareILb0ELb0EiNS0_19identity_decomposerEEEEE10hipError_tT0_T1_T2_jT3_P12ihipStream_tbPNSt15iterator_traitsISG_E10value_typeEPNSM_ISH_E10value_typeEPSI_NS1_7vsmem_tEENKUlT_SG_SH_SI_E_clIS7_S7_PlSB_EESF_SV_SG_SH_SI_EUlSV_E_NS1_11comp_targetILNS1_3genE5ELNS1_11target_archE942ELNS1_3gpuE9ELNS1_3repE0EEENS1_48merge_mergepath_partition_config_static_selectorELNS0_4arch9wavefront6targetE1EEEvSH_.has_indirect_call, 0
	.section	.AMDGPU.csdata,"",@progbits
; Kernel info:
; codeLenInByte = 0
; TotalNumSgprs: 4
; NumVgprs: 0
; ScratchSize: 0
; MemoryBound: 0
; FloatMode: 240
; IeeeMode: 1
; LDSByteSize: 0 bytes/workgroup (compile time only)
; SGPRBlocks: 0
; VGPRBlocks: 0
; NumSGPRsForWavesPerEU: 4
; NumVGPRsForWavesPerEU: 1
; Occupancy: 10
; WaveLimiterHint : 0
; COMPUTE_PGM_RSRC2:SCRATCH_EN: 0
; COMPUTE_PGM_RSRC2:USER_SGPR: 6
; COMPUTE_PGM_RSRC2:TRAP_HANDLER: 0
; COMPUTE_PGM_RSRC2:TGID_X_EN: 1
; COMPUTE_PGM_RSRC2:TGID_Y_EN: 0
; COMPUTE_PGM_RSRC2:TGID_Z_EN: 0
; COMPUTE_PGM_RSRC2:TIDIG_COMP_CNT: 0
	.section	.text._ZN7rocprim17ROCPRIM_400000_NS6detail17trampoline_kernelINS0_14default_configENS1_38merge_sort_block_merge_config_selectorIilEEZZNS1_27merge_sort_block_merge_implIS3_PiN6thrust23THRUST_200600_302600_NS10device_ptrIlEEjNS1_19radix_merge_compareILb0ELb0EiNS0_19identity_decomposerEEEEE10hipError_tT0_T1_T2_jT3_P12ihipStream_tbPNSt15iterator_traitsISG_E10value_typeEPNSM_ISH_E10value_typeEPSI_NS1_7vsmem_tEENKUlT_SG_SH_SI_E_clIS7_S7_PlSB_EESF_SV_SG_SH_SI_EUlSV_E_NS1_11comp_targetILNS1_3genE4ELNS1_11target_archE910ELNS1_3gpuE8ELNS1_3repE0EEENS1_48merge_mergepath_partition_config_static_selectorELNS0_4arch9wavefront6targetE1EEEvSH_,"axG",@progbits,_ZN7rocprim17ROCPRIM_400000_NS6detail17trampoline_kernelINS0_14default_configENS1_38merge_sort_block_merge_config_selectorIilEEZZNS1_27merge_sort_block_merge_implIS3_PiN6thrust23THRUST_200600_302600_NS10device_ptrIlEEjNS1_19radix_merge_compareILb0ELb0EiNS0_19identity_decomposerEEEEE10hipError_tT0_T1_T2_jT3_P12ihipStream_tbPNSt15iterator_traitsISG_E10value_typeEPNSM_ISH_E10value_typeEPSI_NS1_7vsmem_tEENKUlT_SG_SH_SI_E_clIS7_S7_PlSB_EESF_SV_SG_SH_SI_EUlSV_E_NS1_11comp_targetILNS1_3genE4ELNS1_11target_archE910ELNS1_3gpuE8ELNS1_3repE0EEENS1_48merge_mergepath_partition_config_static_selectorELNS0_4arch9wavefront6targetE1EEEvSH_,comdat
	.protected	_ZN7rocprim17ROCPRIM_400000_NS6detail17trampoline_kernelINS0_14default_configENS1_38merge_sort_block_merge_config_selectorIilEEZZNS1_27merge_sort_block_merge_implIS3_PiN6thrust23THRUST_200600_302600_NS10device_ptrIlEEjNS1_19radix_merge_compareILb0ELb0EiNS0_19identity_decomposerEEEEE10hipError_tT0_T1_T2_jT3_P12ihipStream_tbPNSt15iterator_traitsISG_E10value_typeEPNSM_ISH_E10value_typeEPSI_NS1_7vsmem_tEENKUlT_SG_SH_SI_E_clIS7_S7_PlSB_EESF_SV_SG_SH_SI_EUlSV_E_NS1_11comp_targetILNS1_3genE4ELNS1_11target_archE910ELNS1_3gpuE8ELNS1_3repE0EEENS1_48merge_mergepath_partition_config_static_selectorELNS0_4arch9wavefront6targetE1EEEvSH_ ; -- Begin function _ZN7rocprim17ROCPRIM_400000_NS6detail17trampoline_kernelINS0_14default_configENS1_38merge_sort_block_merge_config_selectorIilEEZZNS1_27merge_sort_block_merge_implIS3_PiN6thrust23THRUST_200600_302600_NS10device_ptrIlEEjNS1_19radix_merge_compareILb0ELb0EiNS0_19identity_decomposerEEEEE10hipError_tT0_T1_T2_jT3_P12ihipStream_tbPNSt15iterator_traitsISG_E10value_typeEPNSM_ISH_E10value_typeEPSI_NS1_7vsmem_tEENKUlT_SG_SH_SI_E_clIS7_S7_PlSB_EESF_SV_SG_SH_SI_EUlSV_E_NS1_11comp_targetILNS1_3genE4ELNS1_11target_archE910ELNS1_3gpuE8ELNS1_3repE0EEENS1_48merge_mergepath_partition_config_static_selectorELNS0_4arch9wavefront6targetE1EEEvSH_
	.globl	_ZN7rocprim17ROCPRIM_400000_NS6detail17trampoline_kernelINS0_14default_configENS1_38merge_sort_block_merge_config_selectorIilEEZZNS1_27merge_sort_block_merge_implIS3_PiN6thrust23THRUST_200600_302600_NS10device_ptrIlEEjNS1_19radix_merge_compareILb0ELb0EiNS0_19identity_decomposerEEEEE10hipError_tT0_T1_T2_jT3_P12ihipStream_tbPNSt15iterator_traitsISG_E10value_typeEPNSM_ISH_E10value_typeEPSI_NS1_7vsmem_tEENKUlT_SG_SH_SI_E_clIS7_S7_PlSB_EESF_SV_SG_SH_SI_EUlSV_E_NS1_11comp_targetILNS1_3genE4ELNS1_11target_archE910ELNS1_3gpuE8ELNS1_3repE0EEENS1_48merge_mergepath_partition_config_static_selectorELNS0_4arch9wavefront6targetE1EEEvSH_
	.p2align	8
	.type	_ZN7rocprim17ROCPRIM_400000_NS6detail17trampoline_kernelINS0_14default_configENS1_38merge_sort_block_merge_config_selectorIilEEZZNS1_27merge_sort_block_merge_implIS3_PiN6thrust23THRUST_200600_302600_NS10device_ptrIlEEjNS1_19radix_merge_compareILb0ELb0EiNS0_19identity_decomposerEEEEE10hipError_tT0_T1_T2_jT3_P12ihipStream_tbPNSt15iterator_traitsISG_E10value_typeEPNSM_ISH_E10value_typeEPSI_NS1_7vsmem_tEENKUlT_SG_SH_SI_E_clIS7_S7_PlSB_EESF_SV_SG_SH_SI_EUlSV_E_NS1_11comp_targetILNS1_3genE4ELNS1_11target_archE910ELNS1_3gpuE8ELNS1_3repE0EEENS1_48merge_mergepath_partition_config_static_selectorELNS0_4arch9wavefront6targetE1EEEvSH_,@function
_ZN7rocprim17ROCPRIM_400000_NS6detail17trampoline_kernelINS0_14default_configENS1_38merge_sort_block_merge_config_selectorIilEEZZNS1_27merge_sort_block_merge_implIS3_PiN6thrust23THRUST_200600_302600_NS10device_ptrIlEEjNS1_19radix_merge_compareILb0ELb0EiNS0_19identity_decomposerEEEEE10hipError_tT0_T1_T2_jT3_P12ihipStream_tbPNSt15iterator_traitsISG_E10value_typeEPNSM_ISH_E10value_typeEPSI_NS1_7vsmem_tEENKUlT_SG_SH_SI_E_clIS7_S7_PlSB_EESF_SV_SG_SH_SI_EUlSV_E_NS1_11comp_targetILNS1_3genE4ELNS1_11target_archE910ELNS1_3gpuE8ELNS1_3repE0EEENS1_48merge_mergepath_partition_config_static_selectorELNS0_4arch9wavefront6targetE1EEEvSH_: ; @_ZN7rocprim17ROCPRIM_400000_NS6detail17trampoline_kernelINS0_14default_configENS1_38merge_sort_block_merge_config_selectorIilEEZZNS1_27merge_sort_block_merge_implIS3_PiN6thrust23THRUST_200600_302600_NS10device_ptrIlEEjNS1_19radix_merge_compareILb0ELb0EiNS0_19identity_decomposerEEEEE10hipError_tT0_T1_T2_jT3_P12ihipStream_tbPNSt15iterator_traitsISG_E10value_typeEPNSM_ISH_E10value_typeEPSI_NS1_7vsmem_tEENKUlT_SG_SH_SI_E_clIS7_S7_PlSB_EESF_SV_SG_SH_SI_EUlSV_E_NS1_11comp_targetILNS1_3genE4ELNS1_11target_archE910ELNS1_3gpuE8ELNS1_3repE0EEENS1_48merge_mergepath_partition_config_static_selectorELNS0_4arch9wavefront6targetE1EEEvSH_
; %bb.0:
	.section	.rodata,"a",@progbits
	.p2align	6, 0x0
	.amdhsa_kernel _ZN7rocprim17ROCPRIM_400000_NS6detail17trampoline_kernelINS0_14default_configENS1_38merge_sort_block_merge_config_selectorIilEEZZNS1_27merge_sort_block_merge_implIS3_PiN6thrust23THRUST_200600_302600_NS10device_ptrIlEEjNS1_19radix_merge_compareILb0ELb0EiNS0_19identity_decomposerEEEEE10hipError_tT0_T1_T2_jT3_P12ihipStream_tbPNSt15iterator_traitsISG_E10value_typeEPNSM_ISH_E10value_typeEPSI_NS1_7vsmem_tEENKUlT_SG_SH_SI_E_clIS7_S7_PlSB_EESF_SV_SG_SH_SI_EUlSV_E_NS1_11comp_targetILNS1_3genE4ELNS1_11target_archE910ELNS1_3gpuE8ELNS1_3repE0EEENS1_48merge_mergepath_partition_config_static_selectorELNS0_4arch9wavefront6targetE1EEEvSH_
		.amdhsa_group_segment_fixed_size 0
		.amdhsa_private_segment_fixed_size 0
		.amdhsa_kernarg_size 40
		.amdhsa_user_sgpr_count 6
		.amdhsa_user_sgpr_private_segment_buffer 1
		.amdhsa_user_sgpr_dispatch_ptr 0
		.amdhsa_user_sgpr_queue_ptr 0
		.amdhsa_user_sgpr_kernarg_segment_ptr 1
		.amdhsa_user_sgpr_dispatch_id 0
		.amdhsa_user_sgpr_flat_scratch_init 0
		.amdhsa_user_sgpr_private_segment_size 0
		.amdhsa_uses_dynamic_stack 0
		.amdhsa_system_sgpr_private_segment_wavefront_offset 0
		.amdhsa_system_sgpr_workgroup_id_x 1
		.amdhsa_system_sgpr_workgroup_id_y 0
		.amdhsa_system_sgpr_workgroup_id_z 0
		.amdhsa_system_sgpr_workgroup_info 0
		.amdhsa_system_vgpr_workitem_id 0
		.amdhsa_next_free_vgpr 1
		.amdhsa_next_free_sgpr 0
		.amdhsa_reserve_vcc 0
		.amdhsa_reserve_flat_scratch 0
		.amdhsa_float_round_mode_32 0
		.amdhsa_float_round_mode_16_64 0
		.amdhsa_float_denorm_mode_32 3
		.amdhsa_float_denorm_mode_16_64 3
		.amdhsa_dx10_clamp 1
		.amdhsa_ieee_mode 1
		.amdhsa_fp16_overflow 0
		.amdhsa_exception_fp_ieee_invalid_op 0
		.amdhsa_exception_fp_denorm_src 0
		.amdhsa_exception_fp_ieee_div_zero 0
		.amdhsa_exception_fp_ieee_overflow 0
		.amdhsa_exception_fp_ieee_underflow 0
		.amdhsa_exception_fp_ieee_inexact 0
		.amdhsa_exception_int_div_zero 0
	.end_amdhsa_kernel
	.section	.text._ZN7rocprim17ROCPRIM_400000_NS6detail17trampoline_kernelINS0_14default_configENS1_38merge_sort_block_merge_config_selectorIilEEZZNS1_27merge_sort_block_merge_implIS3_PiN6thrust23THRUST_200600_302600_NS10device_ptrIlEEjNS1_19radix_merge_compareILb0ELb0EiNS0_19identity_decomposerEEEEE10hipError_tT0_T1_T2_jT3_P12ihipStream_tbPNSt15iterator_traitsISG_E10value_typeEPNSM_ISH_E10value_typeEPSI_NS1_7vsmem_tEENKUlT_SG_SH_SI_E_clIS7_S7_PlSB_EESF_SV_SG_SH_SI_EUlSV_E_NS1_11comp_targetILNS1_3genE4ELNS1_11target_archE910ELNS1_3gpuE8ELNS1_3repE0EEENS1_48merge_mergepath_partition_config_static_selectorELNS0_4arch9wavefront6targetE1EEEvSH_,"axG",@progbits,_ZN7rocprim17ROCPRIM_400000_NS6detail17trampoline_kernelINS0_14default_configENS1_38merge_sort_block_merge_config_selectorIilEEZZNS1_27merge_sort_block_merge_implIS3_PiN6thrust23THRUST_200600_302600_NS10device_ptrIlEEjNS1_19radix_merge_compareILb0ELb0EiNS0_19identity_decomposerEEEEE10hipError_tT0_T1_T2_jT3_P12ihipStream_tbPNSt15iterator_traitsISG_E10value_typeEPNSM_ISH_E10value_typeEPSI_NS1_7vsmem_tEENKUlT_SG_SH_SI_E_clIS7_S7_PlSB_EESF_SV_SG_SH_SI_EUlSV_E_NS1_11comp_targetILNS1_3genE4ELNS1_11target_archE910ELNS1_3gpuE8ELNS1_3repE0EEENS1_48merge_mergepath_partition_config_static_selectorELNS0_4arch9wavefront6targetE1EEEvSH_,comdat
.Lfunc_end747:
	.size	_ZN7rocprim17ROCPRIM_400000_NS6detail17trampoline_kernelINS0_14default_configENS1_38merge_sort_block_merge_config_selectorIilEEZZNS1_27merge_sort_block_merge_implIS3_PiN6thrust23THRUST_200600_302600_NS10device_ptrIlEEjNS1_19radix_merge_compareILb0ELb0EiNS0_19identity_decomposerEEEEE10hipError_tT0_T1_T2_jT3_P12ihipStream_tbPNSt15iterator_traitsISG_E10value_typeEPNSM_ISH_E10value_typeEPSI_NS1_7vsmem_tEENKUlT_SG_SH_SI_E_clIS7_S7_PlSB_EESF_SV_SG_SH_SI_EUlSV_E_NS1_11comp_targetILNS1_3genE4ELNS1_11target_archE910ELNS1_3gpuE8ELNS1_3repE0EEENS1_48merge_mergepath_partition_config_static_selectorELNS0_4arch9wavefront6targetE1EEEvSH_, .Lfunc_end747-_ZN7rocprim17ROCPRIM_400000_NS6detail17trampoline_kernelINS0_14default_configENS1_38merge_sort_block_merge_config_selectorIilEEZZNS1_27merge_sort_block_merge_implIS3_PiN6thrust23THRUST_200600_302600_NS10device_ptrIlEEjNS1_19radix_merge_compareILb0ELb0EiNS0_19identity_decomposerEEEEE10hipError_tT0_T1_T2_jT3_P12ihipStream_tbPNSt15iterator_traitsISG_E10value_typeEPNSM_ISH_E10value_typeEPSI_NS1_7vsmem_tEENKUlT_SG_SH_SI_E_clIS7_S7_PlSB_EESF_SV_SG_SH_SI_EUlSV_E_NS1_11comp_targetILNS1_3genE4ELNS1_11target_archE910ELNS1_3gpuE8ELNS1_3repE0EEENS1_48merge_mergepath_partition_config_static_selectorELNS0_4arch9wavefront6targetE1EEEvSH_
                                        ; -- End function
	.set _ZN7rocprim17ROCPRIM_400000_NS6detail17trampoline_kernelINS0_14default_configENS1_38merge_sort_block_merge_config_selectorIilEEZZNS1_27merge_sort_block_merge_implIS3_PiN6thrust23THRUST_200600_302600_NS10device_ptrIlEEjNS1_19radix_merge_compareILb0ELb0EiNS0_19identity_decomposerEEEEE10hipError_tT0_T1_T2_jT3_P12ihipStream_tbPNSt15iterator_traitsISG_E10value_typeEPNSM_ISH_E10value_typeEPSI_NS1_7vsmem_tEENKUlT_SG_SH_SI_E_clIS7_S7_PlSB_EESF_SV_SG_SH_SI_EUlSV_E_NS1_11comp_targetILNS1_3genE4ELNS1_11target_archE910ELNS1_3gpuE8ELNS1_3repE0EEENS1_48merge_mergepath_partition_config_static_selectorELNS0_4arch9wavefront6targetE1EEEvSH_.num_vgpr, 0
	.set _ZN7rocprim17ROCPRIM_400000_NS6detail17trampoline_kernelINS0_14default_configENS1_38merge_sort_block_merge_config_selectorIilEEZZNS1_27merge_sort_block_merge_implIS3_PiN6thrust23THRUST_200600_302600_NS10device_ptrIlEEjNS1_19radix_merge_compareILb0ELb0EiNS0_19identity_decomposerEEEEE10hipError_tT0_T1_T2_jT3_P12ihipStream_tbPNSt15iterator_traitsISG_E10value_typeEPNSM_ISH_E10value_typeEPSI_NS1_7vsmem_tEENKUlT_SG_SH_SI_E_clIS7_S7_PlSB_EESF_SV_SG_SH_SI_EUlSV_E_NS1_11comp_targetILNS1_3genE4ELNS1_11target_archE910ELNS1_3gpuE8ELNS1_3repE0EEENS1_48merge_mergepath_partition_config_static_selectorELNS0_4arch9wavefront6targetE1EEEvSH_.num_agpr, 0
	.set _ZN7rocprim17ROCPRIM_400000_NS6detail17trampoline_kernelINS0_14default_configENS1_38merge_sort_block_merge_config_selectorIilEEZZNS1_27merge_sort_block_merge_implIS3_PiN6thrust23THRUST_200600_302600_NS10device_ptrIlEEjNS1_19radix_merge_compareILb0ELb0EiNS0_19identity_decomposerEEEEE10hipError_tT0_T1_T2_jT3_P12ihipStream_tbPNSt15iterator_traitsISG_E10value_typeEPNSM_ISH_E10value_typeEPSI_NS1_7vsmem_tEENKUlT_SG_SH_SI_E_clIS7_S7_PlSB_EESF_SV_SG_SH_SI_EUlSV_E_NS1_11comp_targetILNS1_3genE4ELNS1_11target_archE910ELNS1_3gpuE8ELNS1_3repE0EEENS1_48merge_mergepath_partition_config_static_selectorELNS0_4arch9wavefront6targetE1EEEvSH_.numbered_sgpr, 0
	.set _ZN7rocprim17ROCPRIM_400000_NS6detail17trampoline_kernelINS0_14default_configENS1_38merge_sort_block_merge_config_selectorIilEEZZNS1_27merge_sort_block_merge_implIS3_PiN6thrust23THRUST_200600_302600_NS10device_ptrIlEEjNS1_19radix_merge_compareILb0ELb0EiNS0_19identity_decomposerEEEEE10hipError_tT0_T1_T2_jT3_P12ihipStream_tbPNSt15iterator_traitsISG_E10value_typeEPNSM_ISH_E10value_typeEPSI_NS1_7vsmem_tEENKUlT_SG_SH_SI_E_clIS7_S7_PlSB_EESF_SV_SG_SH_SI_EUlSV_E_NS1_11comp_targetILNS1_3genE4ELNS1_11target_archE910ELNS1_3gpuE8ELNS1_3repE0EEENS1_48merge_mergepath_partition_config_static_selectorELNS0_4arch9wavefront6targetE1EEEvSH_.num_named_barrier, 0
	.set _ZN7rocprim17ROCPRIM_400000_NS6detail17trampoline_kernelINS0_14default_configENS1_38merge_sort_block_merge_config_selectorIilEEZZNS1_27merge_sort_block_merge_implIS3_PiN6thrust23THRUST_200600_302600_NS10device_ptrIlEEjNS1_19radix_merge_compareILb0ELb0EiNS0_19identity_decomposerEEEEE10hipError_tT0_T1_T2_jT3_P12ihipStream_tbPNSt15iterator_traitsISG_E10value_typeEPNSM_ISH_E10value_typeEPSI_NS1_7vsmem_tEENKUlT_SG_SH_SI_E_clIS7_S7_PlSB_EESF_SV_SG_SH_SI_EUlSV_E_NS1_11comp_targetILNS1_3genE4ELNS1_11target_archE910ELNS1_3gpuE8ELNS1_3repE0EEENS1_48merge_mergepath_partition_config_static_selectorELNS0_4arch9wavefront6targetE1EEEvSH_.private_seg_size, 0
	.set _ZN7rocprim17ROCPRIM_400000_NS6detail17trampoline_kernelINS0_14default_configENS1_38merge_sort_block_merge_config_selectorIilEEZZNS1_27merge_sort_block_merge_implIS3_PiN6thrust23THRUST_200600_302600_NS10device_ptrIlEEjNS1_19radix_merge_compareILb0ELb0EiNS0_19identity_decomposerEEEEE10hipError_tT0_T1_T2_jT3_P12ihipStream_tbPNSt15iterator_traitsISG_E10value_typeEPNSM_ISH_E10value_typeEPSI_NS1_7vsmem_tEENKUlT_SG_SH_SI_E_clIS7_S7_PlSB_EESF_SV_SG_SH_SI_EUlSV_E_NS1_11comp_targetILNS1_3genE4ELNS1_11target_archE910ELNS1_3gpuE8ELNS1_3repE0EEENS1_48merge_mergepath_partition_config_static_selectorELNS0_4arch9wavefront6targetE1EEEvSH_.uses_vcc, 0
	.set _ZN7rocprim17ROCPRIM_400000_NS6detail17trampoline_kernelINS0_14default_configENS1_38merge_sort_block_merge_config_selectorIilEEZZNS1_27merge_sort_block_merge_implIS3_PiN6thrust23THRUST_200600_302600_NS10device_ptrIlEEjNS1_19radix_merge_compareILb0ELb0EiNS0_19identity_decomposerEEEEE10hipError_tT0_T1_T2_jT3_P12ihipStream_tbPNSt15iterator_traitsISG_E10value_typeEPNSM_ISH_E10value_typeEPSI_NS1_7vsmem_tEENKUlT_SG_SH_SI_E_clIS7_S7_PlSB_EESF_SV_SG_SH_SI_EUlSV_E_NS1_11comp_targetILNS1_3genE4ELNS1_11target_archE910ELNS1_3gpuE8ELNS1_3repE0EEENS1_48merge_mergepath_partition_config_static_selectorELNS0_4arch9wavefront6targetE1EEEvSH_.uses_flat_scratch, 0
	.set _ZN7rocprim17ROCPRIM_400000_NS6detail17trampoline_kernelINS0_14default_configENS1_38merge_sort_block_merge_config_selectorIilEEZZNS1_27merge_sort_block_merge_implIS3_PiN6thrust23THRUST_200600_302600_NS10device_ptrIlEEjNS1_19radix_merge_compareILb0ELb0EiNS0_19identity_decomposerEEEEE10hipError_tT0_T1_T2_jT3_P12ihipStream_tbPNSt15iterator_traitsISG_E10value_typeEPNSM_ISH_E10value_typeEPSI_NS1_7vsmem_tEENKUlT_SG_SH_SI_E_clIS7_S7_PlSB_EESF_SV_SG_SH_SI_EUlSV_E_NS1_11comp_targetILNS1_3genE4ELNS1_11target_archE910ELNS1_3gpuE8ELNS1_3repE0EEENS1_48merge_mergepath_partition_config_static_selectorELNS0_4arch9wavefront6targetE1EEEvSH_.has_dyn_sized_stack, 0
	.set _ZN7rocprim17ROCPRIM_400000_NS6detail17trampoline_kernelINS0_14default_configENS1_38merge_sort_block_merge_config_selectorIilEEZZNS1_27merge_sort_block_merge_implIS3_PiN6thrust23THRUST_200600_302600_NS10device_ptrIlEEjNS1_19radix_merge_compareILb0ELb0EiNS0_19identity_decomposerEEEEE10hipError_tT0_T1_T2_jT3_P12ihipStream_tbPNSt15iterator_traitsISG_E10value_typeEPNSM_ISH_E10value_typeEPSI_NS1_7vsmem_tEENKUlT_SG_SH_SI_E_clIS7_S7_PlSB_EESF_SV_SG_SH_SI_EUlSV_E_NS1_11comp_targetILNS1_3genE4ELNS1_11target_archE910ELNS1_3gpuE8ELNS1_3repE0EEENS1_48merge_mergepath_partition_config_static_selectorELNS0_4arch9wavefront6targetE1EEEvSH_.has_recursion, 0
	.set _ZN7rocprim17ROCPRIM_400000_NS6detail17trampoline_kernelINS0_14default_configENS1_38merge_sort_block_merge_config_selectorIilEEZZNS1_27merge_sort_block_merge_implIS3_PiN6thrust23THRUST_200600_302600_NS10device_ptrIlEEjNS1_19radix_merge_compareILb0ELb0EiNS0_19identity_decomposerEEEEE10hipError_tT0_T1_T2_jT3_P12ihipStream_tbPNSt15iterator_traitsISG_E10value_typeEPNSM_ISH_E10value_typeEPSI_NS1_7vsmem_tEENKUlT_SG_SH_SI_E_clIS7_S7_PlSB_EESF_SV_SG_SH_SI_EUlSV_E_NS1_11comp_targetILNS1_3genE4ELNS1_11target_archE910ELNS1_3gpuE8ELNS1_3repE0EEENS1_48merge_mergepath_partition_config_static_selectorELNS0_4arch9wavefront6targetE1EEEvSH_.has_indirect_call, 0
	.section	.AMDGPU.csdata,"",@progbits
; Kernel info:
; codeLenInByte = 0
; TotalNumSgprs: 4
; NumVgprs: 0
; ScratchSize: 0
; MemoryBound: 0
; FloatMode: 240
; IeeeMode: 1
; LDSByteSize: 0 bytes/workgroup (compile time only)
; SGPRBlocks: 0
; VGPRBlocks: 0
; NumSGPRsForWavesPerEU: 4
; NumVGPRsForWavesPerEU: 1
; Occupancy: 10
; WaveLimiterHint : 0
; COMPUTE_PGM_RSRC2:SCRATCH_EN: 0
; COMPUTE_PGM_RSRC2:USER_SGPR: 6
; COMPUTE_PGM_RSRC2:TRAP_HANDLER: 0
; COMPUTE_PGM_RSRC2:TGID_X_EN: 1
; COMPUTE_PGM_RSRC2:TGID_Y_EN: 0
; COMPUTE_PGM_RSRC2:TGID_Z_EN: 0
; COMPUTE_PGM_RSRC2:TIDIG_COMP_CNT: 0
	.section	.text._ZN7rocprim17ROCPRIM_400000_NS6detail17trampoline_kernelINS0_14default_configENS1_38merge_sort_block_merge_config_selectorIilEEZZNS1_27merge_sort_block_merge_implIS3_PiN6thrust23THRUST_200600_302600_NS10device_ptrIlEEjNS1_19radix_merge_compareILb0ELb0EiNS0_19identity_decomposerEEEEE10hipError_tT0_T1_T2_jT3_P12ihipStream_tbPNSt15iterator_traitsISG_E10value_typeEPNSM_ISH_E10value_typeEPSI_NS1_7vsmem_tEENKUlT_SG_SH_SI_E_clIS7_S7_PlSB_EESF_SV_SG_SH_SI_EUlSV_E_NS1_11comp_targetILNS1_3genE3ELNS1_11target_archE908ELNS1_3gpuE7ELNS1_3repE0EEENS1_48merge_mergepath_partition_config_static_selectorELNS0_4arch9wavefront6targetE1EEEvSH_,"axG",@progbits,_ZN7rocprim17ROCPRIM_400000_NS6detail17trampoline_kernelINS0_14default_configENS1_38merge_sort_block_merge_config_selectorIilEEZZNS1_27merge_sort_block_merge_implIS3_PiN6thrust23THRUST_200600_302600_NS10device_ptrIlEEjNS1_19radix_merge_compareILb0ELb0EiNS0_19identity_decomposerEEEEE10hipError_tT0_T1_T2_jT3_P12ihipStream_tbPNSt15iterator_traitsISG_E10value_typeEPNSM_ISH_E10value_typeEPSI_NS1_7vsmem_tEENKUlT_SG_SH_SI_E_clIS7_S7_PlSB_EESF_SV_SG_SH_SI_EUlSV_E_NS1_11comp_targetILNS1_3genE3ELNS1_11target_archE908ELNS1_3gpuE7ELNS1_3repE0EEENS1_48merge_mergepath_partition_config_static_selectorELNS0_4arch9wavefront6targetE1EEEvSH_,comdat
	.protected	_ZN7rocprim17ROCPRIM_400000_NS6detail17trampoline_kernelINS0_14default_configENS1_38merge_sort_block_merge_config_selectorIilEEZZNS1_27merge_sort_block_merge_implIS3_PiN6thrust23THRUST_200600_302600_NS10device_ptrIlEEjNS1_19radix_merge_compareILb0ELb0EiNS0_19identity_decomposerEEEEE10hipError_tT0_T1_T2_jT3_P12ihipStream_tbPNSt15iterator_traitsISG_E10value_typeEPNSM_ISH_E10value_typeEPSI_NS1_7vsmem_tEENKUlT_SG_SH_SI_E_clIS7_S7_PlSB_EESF_SV_SG_SH_SI_EUlSV_E_NS1_11comp_targetILNS1_3genE3ELNS1_11target_archE908ELNS1_3gpuE7ELNS1_3repE0EEENS1_48merge_mergepath_partition_config_static_selectorELNS0_4arch9wavefront6targetE1EEEvSH_ ; -- Begin function _ZN7rocprim17ROCPRIM_400000_NS6detail17trampoline_kernelINS0_14default_configENS1_38merge_sort_block_merge_config_selectorIilEEZZNS1_27merge_sort_block_merge_implIS3_PiN6thrust23THRUST_200600_302600_NS10device_ptrIlEEjNS1_19radix_merge_compareILb0ELb0EiNS0_19identity_decomposerEEEEE10hipError_tT0_T1_T2_jT3_P12ihipStream_tbPNSt15iterator_traitsISG_E10value_typeEPNSM_ISH_E10value_typeEPSI_NS1_7vsmem_tEENKUlT_SG_SH_SI_E_clIS7_S7_PlSB_EESF_SV_SG_SH_SI_EUlSV_E_NS1_11comp_targetILNS1_3genE3ELNS1_11target_archE908ELNS1_3gpuE7ELNS1_3repE0EEENS1_48merge_mergepath_partition_config_static_selectorELNS0_4arch9wavefront6targetE1EEEvSH_
	.globl	_ZN7rocprim17ROCPRIM_400000_NS6detail17trampoline_kernelINS0_14default_configENS1_38merge_sort_block_merge_config_selectorIilEEZZNS1_27merge_sort_block_merge_implIS3_PiN6thrust23THRUST_200600_302600_NS10device_ptrIlEEjNS1_19radix_merge_compareILb0ELb0EiNS0_19identity_decomposerEEEEE10hipError_tT0_T1_T2_jT3_P12ihipStream_tbPNSt15iterator_traitsISG_E10value_typeEPNSM_ISH_E10value_typeEPSI_NS1_7vsmem_tEENKUlT_SG_SH_SI_E_clIS7_S7_PlSB_EESF_SV_SG_SH_SI_EUlSV_E_NS1_11comp_targetILNS1_3genE3ELNS1_11target_archE908ELNS1_3gpuE7ELNS1_3repE0EEENS1_48merge_mergepath_partition_config_static_selectorELNS0_4arch9wavefront6targetE1EEEvSH_
	.p2align	8
	.type	_ZN7rocprim17ROCPRIM_400000_NS6detail17trampoline_kernelINS0_14default_configENS1_38merge_sort_block_merge_config_selectorIilEEZZNS1_27merge_sort_block_merge_implIS3_PiN6thrust23THRUST_200600_302600_NS10device_ptrIlEEjNS1_19radix_merge_compareILb0ELb0EiNS0_19identity_decomposerEEEEE10hipError_tT0_T1_T2_jT3_P12ihipStream_tbPNSt15iterator_traitsISG_E10value_typeEPNSM_ISH_E10value_typeEPSI_NS1_7vsmem_tEENKUlT_SG_SH_SI_E_clIS7_S7_PlSB_EESF_SV_SG_SH_SI_EUlSV_E_NS1_11comp_targetILNS1_3genE3ELNS1_11target_archE908ELNS1_3gpuE7ELNS1_3repE0EEENS1_48merge_mergepath_partition_config_static_selectorELNS0_4arch9wavefront6targetE1EEEvSH_,@function
_ZN7rocprim17ROCPRIM_400000_NS6detail17trampoline_kernelINS0_14default_configENS1_38merge_sort_block_merge_config_selectorIilEEZZNS1_27merge_sort_block_merge_implIS3_PiN6thrust23THRUST_200600_302600_NS10device_ptrIlEEjNS1_19radix_merge_compareILb0ELb0EiNS0_19identity_decomposerEEEEE10hipError_tT0_T1_T2_jT3_P12ihipStream_tbPNSt15iterator_traitsISG_E10value_typeEPNSM_ISH_E10value_typeEPSI_NS1_7vsmem_tEENKUlT_SG_SH_SI_E_clIS7_S7_PlSB_EESF_SV_SG_SH_SI_EUlSV_E_NS1_11comp_targetILNS1_3genE3ELNS1_11target_archE908ELNS1_3gpuE7ELNS1_3repE0EEENS1_48merge_mergepath_partition_config_static_selectorELNS0_4arch9wavefront6targetE1EEEvSH_: ; @_ZN7rocprim17ROCPRIM_400000_NS6detail17trampoline_kernelINS0_14default_configENS1_38merge_sort_block_merge_config_selectorIilEEZZNS1_27merge_sort_block_merge_implIS3_PiN6thrust23THRUST_200600_302600_NS10device_ptrIlEEjNS1_19radix_merge_compareILb0ELb0EiNS0_19identity_decomposerEEEEE10hipError_tT0_T1_T2_jT3_P12ihipStream_tbPNSt15iterator_traitsISG_E10value_typeEPNSM_ISH_E10value_typeEPSI_NS1_7vsmem_tEENKUlT_SG_SH_SI_E_clIS7_S7_PlSB_EESF_SV_SG_SH_SI_EUlSV_E_NS1_11comp_targetILNS1_3genE3ELNS1_11target_archE908ELNS1_3gpuE7ELNS1_3repE0EEENS1_48merge_mergepath_partition_config_static_selectorELNS0_4arch9wavefront6targetE1EEEvSH_
; %bb.0:
	.section	.rodata,"a",@progbits
	.p2align	6, 0x0
	.amdhsa_kernel _ZN7rocprim17ROCPRIM_400000_NS6detail17trampoline_kernelINS0_14default_configENS1_38merge_sort_block_merge_config_selectorIilEEZZNS1_27merge_sort_block_merge_implIS3_PiN6thrust23THRUST_200600_302600_NS10device_ptrIlEEjNS1_19radix_merge_compareILb0ELb0EiNS0_19identity_decomposerEEEEE10hipError_tT0_T1_T2_jT3_P12ihipStream_tbPNSt15iterator_traitsISG_E10value_typeEPNSM_ISH_E10value_typeEPSI_NS1_7vsmem_tEENKUlT_SG_SH_SI_E_clIS7_S7_PlSB_EESF_SV_SG_SH_SI_EUlSV_E_NS1_11comp_targetILNS1_3genE3ELNS1_11target_archE908ELNS1_3gpuE7ELNS1_3repE0EEENS1_48merge_mergepath_partition_config_static_selectorELNS0_4arch9wavefront6targetE1EEEvSH_
		.amdhsa_group_segment_fixed_size 0
		.amdhsa_private_segment_fixed_size 0
		.amdhsa_kernarg_size 40
		.amdhsa_user_sgpr_count 6
		.amdhsa_user_sgpr_private_segment_buffer 1
		.amdhsa_user_sgpr_dispatch_ptr 0
		.amdhsa_user_sgpr_queue_ptr 0
		.amdhsa_user_sgpr_kernarg_segment_ptr 1
		.amdhsa_user_sgpr_dispatch_id 0
		.amdhsa_user_sgpr_flat_scratch_init 0
		.amdhsa_user_sgpr_private_segment_size 0
		.amdhsa_uses_dynamic_stack 0
		.amdhsa_system_sgpr_private_segment_wavefront_offset 0
		.amdhsa_system_sgpr_workgroup_id_x 1
		.amdhsa_system_sgpr_workgroup_id_y 0
		.amdhsa_system_sgpr_workgroup_id_z 0
		.amdhsa_system_sgpr_workgroup_info 0
		.amdhsa_system_vgpr_workitem_id 0
		.amdhsa_next_free_vgpr 1
		.amdhsa_next_free_sgpr 0
		.amdhsa_reserve_vcc 0
		.amdhsa_reserve_flat_scratch 0
		.amdhsa_float_round_mode_32 0
		.amdhsa_float_round_mode_16_64 0
		.amdhsa_float_denorm_mode_32 3
		.amdhsa_float_denorm_mode_16_64 3
		.amdhsa_dx10_clamp 1
		.amdhsa_ieee_mode 1
		.amdhsa_fp16_overflow 0
		.amdhsa_exception_fp_ieee_invalid_op 0
		.amdhsa_exception_fp_denorm_src 0
		.amdhsa_exception_fp_ieee_div_zero 0
		.amdhsa_exception_fp_ieee_overflow 0
		.amdhsa_exception_fp_ieee_underflow 0
		.amdhsa_exception_fp_ieee_inexact 0
		.amdhsa_exception_int_div_zero 0
	.end_amdhsa_kernel
	.section	.text._ZN7rocprim17ROCPRIM_400000_NS6detail17trampoline_kernelINS0_14default_configENS1_38merge_sort_block_merge_config_selectorIilEEZZNS1_27merge_sort_block_merge_implIS3_PiN6thrust23THRUST_200600_302600_NS10device_ptrIlEEjNS1_19radix_merge_compareILb0ELb0EiNS0_19identity_decomposerEEEEE10hipError_tT0_T1_T2_jT3_P12ihipStream_tbPNSt15iterator_traitsISG_E10value_typeEPNSM_ISH_E10value_typeEPSI_NS1_7vsmem_tEENKUlT_SG_SH_SI_E_clIS7_S7_PlSB_EESF_SV_SG_SH_SI_EUlSV_E_NS1_11comp_targetILNS1_3genE3ELNS1_11target_archE908ELNS1_3gpuE7ELNS1_3repE0EEENS1_48merge_mergepath_partition_config_static_selectorELNS0_4arch9wavefront6targetE1EEEvSH_,"axG",@progbits,_ZN7rocprim17ROCPRIM_400000_NS6detail17trampoline_kernelINS0_14default_configENS1_38merge_sort_block_merge_config_selectorIilEEZZNS1_27merge_sort_block_merge_implIS3_PiN6thrust23THRUST_200600_302600_NS10device_ptrIlEEjNS1_19radix_merge_compareILb0ELb0EiNS0_19identity_decomposerEEEEE10hipError_tT0_T1_T2_jT3_P12ihipStream_tbPNSt15iterator_traitsISG_E10value_typeEPNSM_ISH_E10value_typeEPSI_NS1_7vsmem_tEENKUlT_SG_SH_SI_E_clIS7_S7_PlSB_EESF_SV_SG_SH_SI_EUlSV_E_NS1_11comp_targetILNS1_3genE3ELNS1_11target_archE908ELNS1_3gpuE7ELNS1_3repE0EEENS1_48merge_mergepath_partition_config_static_selectorELNS0_4arch9wavefront6targetE1EEEvSH_,comdat
.Lfunc_end748:
	.size	_ZN7rocprim17ROCPRIM_400000_NS6detail17trampoline_kernelINS0_14default_configENS1_38merge_sort_block_merge_config_selectorIilEEZZNS1_27merge_sort_block_merge_implIS3_PiN6thrust23THRUST_200600_302600_NS10device_ptrIlEEjNS1_19radix_merge_compareILb0ELb0EiNS0_19identity_decomposerEEEEE10hipError_tT0_T1_T2_jT3_P12ihipStream_tbPNSt15iterator_traitsISG_E10value_typeEPNSM_ISH_E10value_typeEPSI_NS1_7vsmem_tEENKUlT_SG_SH_SI_E_clIS7_S7_PlSB_EESF_SV_SG_SH_SI_EUlSV_E_NS1_11comp_targetILNS1_3genE3ELNS1_11target_archE908ELNS1_3gpuE7ELNS1_3repE0EEENS1_48merge_mergepath_partition_config_static_selectorELNS0_4arch9wavefront6targetE1EEEvSH_, .Lfunc_end748-_ZN7rocprim17ROCPRIM_400000_NS6detail17trampoline_kernelINS0_14default_configENS1_38merge_sort_block_merge_config_selectorIilEEZZNS1_27merge_sort_block_merge_implIS3_PiN6thrust23THRUST_200600_302600_NS10device_ptrIlEEjNS1_19radix_merge_compareILb0ELb0EiNS0_19identity_decomposerEEEEE10hipError_tT0_T1_T2_jT3_P12ihipStream_tbPNSt15iterator_traitsISG_E10value_typeEPNSM_ISH_E10value_typeEPSI_NS1_7vsmem_tEENKUlT_SG_SH_SI_E_clIS7_S7_PlSB_EESF_SV_SG_SH_SI_EUlSV_E_NS1_11comp_targetILNS1_3genE3ELNS1_11target_archE908ELNS1_3gpuE7ELNS1_3repE0EEENS1_48merge_mergepath_partition_config_static_selectorELNS0_4arch9wavefront6targetE1EEEvSH_
                                        ; -- End function
	.set _ZN7rocprim17ROCPRIM_400000_NS6detail17trampoline_kernelINS0_14default_configENS1_38merge_sort_block_merge_config_selectorIilEEZZNS1_27merge_sort_block_merge_implIS3_PiN6thrust23THRUST_200600_302600_NS10device_ptrIlEEjNS1_19radix_merge_compareILb0ELb0EiNS0_19identity_decomposerEEEEE10hipError_tT0_T1_T2_jT3_P12ihipStream_tbPNSt15iterator_traitsISG_E10value_typeEPNSM_ISH_E10value_typeEPSI_NS1_7vsmem_tEENKUlT_SG_SH_SI_E_clIS7_S7_PlSB_EESF_SV_SG_SH_SI_EUlSV_E_NS1_11comp_targetILNS1_3genE3ELNS1_11target_archE908ELNS1_3gpuE7ELNS1_3repE0EEENS1_48merge_mergepath_partition_config_static_selectorELNS0_4arch9wavefront6targetE1EEEvSH_.num_vgpr, 0
	.set _ZN7rocprim17ROCPRIM_400000_NS6detail17trampoline_kernelINS0_14default_configENS1_38merge_sort_block_merge_config_selectorIilEEZZNS1_27merge_sort_block_merge_implIS3_PiN6thrust23THRUST_200600_302600_NS10device_ptrIlEEjNS1_19radix_merge_compareILb0ELb0EiNS0_19identity_decomposerEEEEE10hipError_tT0_T1_T2_jT3_P12ihipStream_tbPNSt15iterator_traitsISG_E10value_typeEPNSM_ISH_E10value_typeEPSI_NS1_7vsmem_tEENKUlT_SG_SH_SI_E_clIS7_S7_PlSB_EESF_SV_SG_SH_SI_EUlSV_E_NS1_11comp_targetILNS1_3genE3ELNS1_11target_archE908ELNS1_3gpuE7ELNS1_3repE0EEENS1_48merge_mergepath_partition_config_static_selectorELNS0_4arch9wavefront6targetE1EEEvSH_.num_agpr, 0
	.set _ZN7rocprim17ROCPRIM_400000_NS6detail17trampoline_kernelINS0_14default_configENS1_38merge_sort_block_merge_config_selectorIilEEZZNS1_27merge_sort_block_merge_implIS3_PiN6thrust23THRUST_200600_302600_NS10device_ptrIlEEjNS1_19radix_merge_compareILb0ELb0EiNS0_19identity_decomposerEEEEE10hipError_tT0_T1_T2_jT3_P12ihipStream_tbPNSt15iterator_traitsISG_E10value_typeEPNSM_ISH_E10value_typeEPSI_NS1_7vsmem_tEENKUlT_SG_SH_SI_E_clIS7_S7_PlSB_EESF_SV_SG_SH_SI_EUlSV_E_NS1_11comp_targetILNS1_3genE3ELNS1_11target_archE908ELNS1_3gpuE7ELNS1_3repE0EEENS1_48merge_mergepath_partition_config_static_selectorELNS0_4arch9wavefront6targetE1EEEvSH_.numbered_sgpr, 0
	.set _ZN7rocprim17ROCPRIM_400000_NS6detail17trampoline_kernelINS0_14default_configENS1_38merge_sort_block_merge_config_selectorIilEEZZNS1_27merge_sort_block_merge_implIS3_PiN6thrust23THRUST_200600_302600_NS10device_ptrIlEEjNS1_19radix_merge_compareILb0ELb0EiNS0_19identity_decomposerEEEEE10hipError_tT0_T1_T2_jT3_P12ihipStream_tbPNSt15iterator_traitsISG_E10value_typeEPNSM_ISH_E10value_typeEPSI_NS1_7vsmem_tEENKUlT_SG_SH_SI_E_clIS7_S7_PlSB_EESF_SV_SG_SH_SI_EUlSV_E_NS1_11comp_targetILNS1_3genE3ELNS1_11target_archE908ELNS1_3gpuE7ELNS1_3repE0EEENS1_48merge_mergepath_partition_config_static_selectorELNS0_4arch9wavefront6targetE1EEEvSH_.num_named_barrier, 0
	.set _ZN7rocprim17ROCPRIM_400000_NS6detail17trampoline_kernelINS0_14default_configENS1_38merge_sort_block_merge_config_selectorIilEEZZNS1_27merge_sort_block_merge_implIS3_PiN6thrust23THRUST_200600_302600_NS10device_ptrIlEEjNS1_19radix_merge_compareILb0ELb0EiNS0_19identity_decomposerEEEEE10hipError_tT0_T1_T2_jT3_P12ihipStream_tbPNSt15iterator_traitsISG_E10value_typeEPNSM_ISH_E10value_typeEPSI_NS1_7vsmem_tEENKUlT_SG_SH_SI_E_clIS7_S7_PlSB_EESF_SV_SG_SH_SI_EUlSV_E_NS1_11comp_targetILNS1_3genE3ELNS1_11target_archE908ELNS1_3gpuE7ELNS1_3repE0EEENS1_48merge_mergepath_partition_config_static_selectorELNS0_4arch9wavefront6targetE1EEEvSH_.private_seg_size, 0
	.set _ZN7rocprim17ROCPRIM_400000_NS6detail17trampoline_kernelINS0_14default_configENS1_38merge_sort_block_merge_config_selectorIilEEZZNS1_27merge_sort_block_merge_implIS3_PiN6thrust23THRUST_200600_302600_NS10device_ptrIlEEjNS1_19radix_merge_compareILb0ELb0EiNS0_19identity_decomposerEEEEE10hipError_tT0_T1_T2_jT3_P12ihipStream_tbPNSt15iterator_traitsISG_E10value_typeEPNSM_ISH_E10value_typeEPSI_NS1_7vsmem_tEENKUlT_SG_SH_SI_E_clIS7_S7_PlSB_EESF_SV_SG_SH_SI_EUlSV_E_NS1_11comp_targetILNS1_3genE3ELNS1_11target_archE908ELNS1_3gpuE7ELNS1_3repE0EEENS1_48merge_mergepath_partition_config_static_selectorELNS0_4arch9wavefront6targetE1EEEvSH_.uses_vcc, 0
	.set _ZN7rocprim17ROCPRIM_400000_NS6detail17trampoline_kernelINS0_14default_configENS1_38merge_sort_block_merge_config_selectorIilEEZZNS1_27merge_sort_block_merge_implIS3_PiN6thrust23THRUST_200600_302600_NS10device_ptrIlEEjNS1_19radix_merge_compareILb0ELb0EiNS0_19identity_decomposerEEEEE10hipError_tT0_T1_T2_jT3_P12ihipStream_tbPNSt15iterator_traitsISG_E10value_typeEPNSM_ISH_E10value_typeEPSI_NS1_7vsmem_tEENKUlT_SG_SH_SI_E_clIS7_S7_PlSB_EESF_SV_SG_SH_SI_EUlSV_E_NS1_11comp_targetILNS1_3genE3ELNS1_11target_archE908ELNS1_3gpuE7ELNS1_3repE0EEENS1_48merge_mergepath_partition_config_static_selectorELNS0_4arch9wavefront6targetE1EEEvSH_.uses_flat_scratch, 0
	.set _ZN7rocprim17ROCPRIM_400000_NS6detail17trampoline_kernelINS0_14default_configENS1_38merge_sort_block_merge_config_selectorIilEEZZNS1_27merge_sort_block_merge_implIS3_PiN6thrust23THRUST_200600_302600_NS10device_ptrIlEEjNS1_19radix_merge_compareILb0ELb0EiNS0_19identity_decomposerEEEEE10hipError_tT0_T1_T2_jT3_P12ihipStream_tbPNSt15iterator_traitsISG_E10value_typeEPNSM_ISH_E10value_typeEPSI_NS1_7vsmem_tEENKUlT_SG_SH_SI_E_clIS7_S7_PlSB_EESF_SV_SG_SH_SI_EUlSV_E_NS1_11comp_targetILNS1_3genE3ELNS1_11target_archE908ELNS1_3gpuE7ELNS1_3repE0EEENS1_48merge_mergepath_partition_config_static_selectorELNS0_4arch9wavefront6targetE1EEEvSH_.has_dyn_sized_stack, 0
	.set _ZN7rocprim17ROCPRIM_400000_NS6detail17trampoline_kernelINS0_14default_configENS1_38merge_sort_block_merge_config_selectorIilEEZZNS1_27merge_sort_block_merge_implIS3_PiN6thrust23THRUST_200600_302600_NS10device_ptrIlEEjNS1_19radix_merge_compareILb0ELb0EiNS0_19identity_decomposerEEEEE10hipError_tT0_T1_T2_jT3_P12ihipStream_tbPNSt15iterator_traitsISG_E10value_typeEPNSM_ISH_E10value_typeEPSI_NS1_7vsmem_tEENKUlT_SG_SH_SI_E_clIS7_S7_PlSB_EESF_SV_SG_SH_SI_EUlSV_E_NS1_11comp_targetILNS1_3genE3ELNS1_11target_archE908ELNS1_3gpuE7ELNS1_3repE0EEENS1_48merge_mergepath_partition_config_static_selectorELNS0_4arch9wavefront6targetE1EEEvSH_.has_recursion, 0
	.set _ZN7rocprim17ROCPRIM_400000_NS6detail17trampoline_kernelINS0_14default_configENS1_38merge_sort_block_merge_config_selectorIilEEZZNS1_27merge_sort_block_merge_implIS3_PiN6thrust23THRUST_200600_302600_NS10device_ptrIlEEjNS1_19radix_merge_compareILb0ELb0EiNS0_19identity_decomposerEEEEE10hipError_tT0_T1_T2_jT3_P12ihipStream_tbPNSt15iterator_traitsISG_E10value_typeEPNSM_ISH_E10value_typeEPSI_NS1_7vsmem_tEENKUlT_SG_SH_SI_E_clIS7_S7_PlSB_EESF_SV_SG_SH_SI_EUlSV_E_NS1_11comp_targetILNS1_3genE3ELNS1_11target_archE908ELNS1_3gpuE7ELNS1_3repE0EEENS1_48merge_mergepath_partition_config_static_selectorELNS0_4arch9wavefront6targetE1EEEvSH_.has_indirect_call, 0
	.section	.AMDGPU.csdata,"",@progbits
; Kernel info:
; codeLenInByte = 0
; TotalNumSgprs: 4
; NumVgprs: 0
; ScratchSize: 0
; MemoryBound: 0
; FloatMode: 240
; IeeeMode: 1
; LDSByteSize: 0 bytes/workgroup (compile time only)
; SGPRBlocks: 0
; VGPRBlocks: 0
; NumSGPRsForWavesPerEU: 4
; NumVGPRsForWavesPerEU: 1
; Occupancy: 10
; WaveLimiterHint : 0
; COMPUTE_PGM_RSRC2:SCRATCH_EN: 0
; COMPUTE_PGM_RSRC2:USER_SGPR: 6
; COMPUTE_PGM_RSRC2:TRAP_HANDLER: 0
; COMPUTE_PGM_RSRC2:TGID_X_EN: 1
; COMPUTE_PGM_RSRC2:TGID_Y_EN: 0
; COMPUTE_PGM_RSRC2:TGID_Z_EN: 0
; COMPUTE_PGM_RSRC2:TIDIG_COMP_CNT: 0
	.section	.text._ZN7rocprim17ROCPRIM_400000_NS6detail17trampoline_kernelINS0_14default_configENS1_38merge_sort_block_merge_config_selectorIilEEZZNS1_27merge_sort_block_merge_implIS3_PiN6thrust23THRUST_200600_302600_NS10device_ptrIlEEjNS1_19radix_merge_compareILb0ELb0EiNS0_19identity_decomposerEEEEE10hipError_tT0_T1_T2_jT3_P12ihipStream_tbPNSt15iterator_traitsISG_E10value_typeEPNSM_ISH_E10value_typeEPSI_NS1_7vsmem_tEENKUlT_SG_SH_SI_E_clIS7_S7_PlSB_EESF_SV_SG_SH_SI_EUlSV_E_NS1_11comp_targetILNS1_3genE2ELNS1_11target_archE906ELNS1_3gpuE6ELNS1_3repE0EEENS1_48merge_mergepath_partition_config_static_selectorELNS0_4arch9wavefront6targetE1EEEvSH_,"axG",@progbits,_ZN7rocprim17ROCPRIM_400000_NS6detail17trampoline_kernelINS0_14default_configENS1_38merge_sort_block_merge_config_selectorIilEEZZNS1_27merge_sort_block_merge_implIS3_PiN6thrust23THRUST_200600_302600_NS10device_ptrIlEEjNS1_19radix_merge_compareILb0ELb0EiNS0_19identity_decomposerEEEEE10hipError_tT0_T1_T2_jT3_P12ihipStream_tbPNSt15iterator_traitsISG_E10value_typeEPNSM_ISH_E10value_typeEPSI_NS1_7vsmem_tEENKUlT_SG_SH_SI_E_clIS7_S7_PlSB_EESF_SV_SG_SH_SI_EUlSV_E_NS1_11comp_targetILNS1_3genE2ELNS1_11target_archE906ELNS1_3gpuE6ELNS1_3repE0EEENS1_48merge_mergepath_partition_config_static_selectorELNS0_4arch9wavefront6targetE1EEEvSH_,comdat
	.protected	_ZN7rocprim17ROCPRIM_400000_NS6detail17trampoline_kernelINS0_14default_configENS1_38merge_sort_block_merge_config_selectorIilEEZZNS1_27merge_sort_block_merge_implIS3_PiN6thrust23THRUST_200600_302600_NS10device_ptrIlEEjNS1_19radix_merge_compareILb0ELb0EiNS0_19identity_decomposerEEEEE10hipError_tT0_T1_T2_jT3_P12ihipStream_tbPNSt15iterator_traitsISG_E10value_typeEPNSM_ISH_E10value_typeEPSI_NS1_7vsmem_tEENKUlT_SG_SH_SI_E_clIS7_S7_PlSB_EESF_SV_SG_SH_SI_EUlSV_E_NS1_11comp_targetILNS1_3genE2ELNS1_11target_archE906ELNS1_3gpuE6ELNS1_3repE0EEENS1_48merge_mergepath_partition_config_static_selectorELNS0_4arch9wavefront6targetE1EEEvSH_ ; -- Begin function _ZN7rocprim17ROCPRIM_400000_NS6detail17trampoline_kernelINS0_14default_configENS1_38merge_sort_block_merge_config_selectorIilEEZZNS1_27merge_sort_block_merge_implIS3_PiN6thrust23THRUST_200600_302600_NS10device_ptrIlEEjNS1_19radix_merge_compareILb0ELb0EiNS0_19identity_decomposerEEEEE10hipError_tT0_T1_T2_jT3_P12ihipStream_tbPNSt15iterator_traitsISG_E10value_typeEPNSM_ISH_E10value_typeEPSI_NS1_7vsmem_tEENKUlT_SG_SH_SI_E_clIS7_S7_PlSB_EESF_SV_SG_SH_SI_EUlSV_E_NS1_11comp_targetILNS1_3genE2ELNS1_11target_archE906ELNS1_3gpuE6ELNS1_3repE0EEENS1_48merge_mergepath_partition_config_static_selectorELNS0_4arch9wavefront6targetE1EEEvSH_
	.globl	_ZN7rocprim17ROCPRIM_400000_NS6detail17trampoline_kernelINS0_14default_configENS1_38merge_sort_block_merge_config_selectorIilEEZZNS1_27merge_sort_block_merge_implIS3_PiN6thrust23THRUST_200600_302600_NS10device_ptrIlEEjNS1_19radix_merge_compareILb0ELb0EiNS0_19identity_decomposerEEEEE10hipError_tT0_T1_T2_jT3_P12ihipStream_tbPNSt15iterator_traitsISG_E10value_typeEPNSM_ISH_E10value_typeEPSI_NS1_7vsmem_tEENKUlT_SG_SH_SI_E_clIS7_S7_PlSB_EESF_SV_SG_SH_SI_EUlSV_E_NS1_11comp_targetILNS1_3genE2ELNS1_11target_archE906ELNS1_3gpuE6ELNS1_3repE0EEENS1_48merge_mergepath_partition_config_static_selectorELNS0_4arch9wavefront6targetE1EEEvSH_
	.p2align	8
	.type	_ZN7rocprim17ROCPRIM_400000_NS6detail17trampoline_kernelINS0_14default_configENS1_38merge_sort_block_merge_config_selectorIilEEZZNS1_27merge_sort_block_merge_implIS3_PiN6thrust23THRUST_200600_302600_NS10device_ptrIlEEjNS1_19radix_merge_compareILb0ELb0EiNS0_19identity_decomposerEEEEE10hipError_tT0_T1_T2_jT3_P12ihipStream_tbPNSt15iterator_traitsISG_E10value_typeEPNSM_ISH_E10value_typeEPSI_NS1_7vsmem_tEENKUlT_SG_SH_SI_E_clIS7_S7_PlSB_EESF_SV_SG_SH_SI_EUlSV_E_NS1_11comp_targetILNS1_3genE2ELNS1_11target_archE906ELNS1_3gpuE6ELNS1_3repE0EEENS1_48merge_mergepath_partition_config_static_selectorELNS0_4arch9wavefront6targetE1EEEvSH_,@function
_ZN7rocprim17ROCPRIM_400000_NS6detail17trampoline_kernelINS0_14default_configENS1_38merge_sort_block_merge_config_selectorIilEEZZNS1_27merge_sort_block_merge_implIS3_PiN6thrust23THRUST_200600_302600_NS10device_ptrIlEEjNS1_19radix_merge_compareILb0ELb0EiNS0_19identity_decomposerEEEEE10hipError_tT0_T1_T2_jT3_P12ihipStream_tbPNSt15iterator_traitsISG_E10value_typeEPNSM_ISH_E10value_typeEPSI_NS1_7vsmem_tEENKUlT_SG_SH_SI_E_clIS7_S7_PlSB_EESF_SV_SG_SH_SI_EUlSV_E_NS1_11comp_targetILNS1_3genE2ELNS1_11target_archE906ELNS1_3gpuE6ELNS1_3repE0EEENS1_48merge_mergepath_partition_config_static_selectorELNS0_4arch9wavefront6targetE1EEEvSH_: ; @_ZN7rocprim17ROCPRIM_400000_NS6detail17trampoline_kernelINS0_14default_configENS1_38merge_sort_block_merge_config_selectorIilEEZZNS1_27merge_sort_block_merge_implIS3_PiN6thrust23THRUST_200600_302600_NS10device_ptrIlEEjNS1_19radix_merge_compareILb0ELb0EiNS0_19identity_decomposerEEEEE10hipError_tT0_T1_T2_jT3_P12ihipStream_tbPNSt15iterator_traitsISG_E10value_typeEPNSM_ISH_E10value_typeEPSI_NS1_7vsmem_tEENKUlT_SG_SH_SI_E_clIS7_S7_PlSB_EESF_SV_SG_SH_SI_EUlSV_E_NS1_11comp_targetILNS1_3genE2ELNS1_11target_archE906ELNS1_3gpuE6ELNS1_3repE0EEENS1_48merge_mergepath_partition_config_static_selectorELNS0_4arch9wavefront6targetE1EEEvSH_
; %bb.0:
	s_load_dword s0, s[4:5], 0x0
	v_lshl_or_b32 v0, s6, 7, v0
	s_waitcnt lgkmcnt(0)
	v_cmp_gt_u32_e32 vcc, s0, v0
	s_and_saveexec_b64 s[0:1], vcc
	s_cbranch_execz .LBB749_6
; %bb.1:
	s_load_dwordx2 s[2:3], s[4:5], 0x4
	s_load_dwordx2 s[0:1], s[4:5], 0x20
	s_waitcnt lgkmcnt(0)
	s_lshr_b32 s6, s2, 9
	s_and_b32 s6, s6, 0x7ffffe
	s_add_i32 s7, s6, -1
	s_sub_i32 s6, 0, s6
	v_and_b32_e32 v1, s6, v0
	v_lshlrev_b32_e32 v3, 10, v1
	v_min_u32_e32 v1, s3, v3
	v_add_u32_e32 v3, s2, v3
	v_min_u32_e32 v3, s3, v3
	v_add_u32_e32 v4, s2, v3
	v_and_b32_e32 v2, s7, v0
	v_min_u32_e32 v4, s3, v4
	v_sub_u32_e32 v5, v4, v1
	v_lshlrev_b32_e32 v2, 10, v2
	v_min_u32_e32 v6, v5, v2
	v_sub_u32_e32 v2, v3, v1
	v_sub_u32_e32 v4, v4, v3
	v_sub_u32_e64 v5, v6, v4 clamp
	v_min_u32_e32 v7, v6, v2
	v_cmp_lt_u32_e32 vcc, v5, v7
	s_and_saveexec_b64 s[2:3], vcc
	s_cbranch_execz .LBB749_5
; %bb.2:
	s_load_dwordx2 s[4:5], s[4:5], 0x10
	v_mov_b32_e32 v4, 0
	v_mov_b32_e32 v2, v4
	v_lshlrev_b64 v[8:9], 2, v[1:2]
	s_waitcnt lgkmcnt(0)
	v_mov_b32_e32 v11, s5
	v_add_co_u32_e32 v2, vcc, s4, v8
	v_addc_co_u32_e32 v8, vcc, v11, v9, vcc
	v_lshlrev_b64 v[9:10], 2, v[3:4]
	v_add_co_u32_e32 v9, vcc, s4, v9
	v_addc_co_u32_e32 v10, vcc, v11, v10, vcc
	s_mov_b64 s[4:5], 0
.LBB749_3:                              ; =>This Inner Loop Header: Depth=1
	v_add_u32_e32 v3, v7, v5
	v_lshrrev_b32_e32 v3, 1, v3
	v_lshlrev_b64 v[13:14], 2, v[3:4]
	v_mov_b32_e32 v12, v4
	v_xad_u32 v11, v3, -1, v6
	v_lshlrev_b64 v[11:12], 2, v[11:12]
	v_add_co_u32_e32 v13, vcc, v2, v13
	v_addc_co_u32_e32 v14, vcc, v8, v14, vcc
	v_add_co_u32_e32 v11, vcc, v9, v11
	v_addc_co_u32_e32 v12, vcc, v10, v12, vcc
	global_load_dword v15, v[13:14], off
	global_load_dword v16, v[11:12], off
	v_add_u32_e32 v11, 1, v3
	s_waitcnt vmcnt(0)
	v_cmp_gt_i32_e32 vcc, v15, v16
	v_cndmask_b32_e32 v7, v7, v3, vcc
	v_cndmask_b32_e32 v5, v11, v5, vcc
	v_cmp_ge_u32_e32 vcc, v5, v7
	s_or_b64 s[4:5], vcc, s[4:5]
	s_andn2_b64 exec, exec, s[4:5]
	s_cbranch_execnz .LBB749_3
; %bb.4:
	s_or_b64 exec, exec, s[4:5]
.LBB749_5:
	s_or_b64 exec, exec, s[2:3]
	v_add_u32_e32 v2, v5, v1
	v_mov_b32_e32 v1, 0
	v_lshlrev_b64 v[0:1], 2, v[0:1]
	v_mov_b32_e32 v3, s1
	v_add_co_u32_e32 v0, vcc, s0, v0
	v_addc_co_u32_e32 v1, vcc, v3, v1, vcc
	global_store_dword v[0:1], v2, off
.LBB749_6:
	s_endpgm
	.section	.rodata,"a",@progbits
	.p2align	6, 0x0
	.amdhsa_kernel _ZN7rocprim17ROCPRIM_400000_NS6detail17trampoline_kernelINS0_14default_configENS1_38merge_sort_block_merge_config_selectorIilEEZZNS1_27merge_sort_block_merge_implIS3_PiN6thrust23THRUST_200600_302600_NS10device_ptrIlEEjNS1_19radix_merge_compareILb0ELb0EiNS0_19identity_decomposerEEEEE10hipError_tT0_T1_T2_jT3_P12ihipStream_tbPNSt15iterator_traitsISG_E10value_typeEPNSM_ISH_E10value_typeEPSI_NS1_7vsmem_tEENKUlT_SG_SH_SI_E_clIS7_S7_PlSB_EESF_SV_SG_SH_SI_EUlSV_E_NS1_11comp_targetILNS1_3genE2ELNS1_11target_archE906ELNS1_3gpuE6ELNS1_3repE0EEENS1_48merge_mergepath_partition_config_static_selectorELNS0_4arch9wavefront6targetE1EEEvSH_
		.amdhsa_group_segment_fixed_size 0
		.amdhsa_private_segment_fixed_size 0
		.amdhsa_kernarg_size 40
		.amdhsa_user_sgpr_count 6
		.amdhsa_user_sgpr_private_segment_buffer 1
		.amdhsa_user_sgpr_dispatch_ptr 0
		.amdhsa_user_sgpr_queue_ptr 0
		.amdhsa_user_sgpr_kernarg_segment_ptr 1
		.amdhsa_user_sgpr_dispatch_id 0
		.amdhsa_user_sgpr_flat_scratch_init 0
		.amdhsa_user_sgpr_private_segment_size 0
		.amdhsa_uses_dynamic_stack 0
		.amdhsa_system_sgpr_private_segment_wavefront_offset 0
		.amdhsa_system_sgpr_workgroup_id_x 1
		.amdhsa_system_sgpr_workgroup_id_y 0
		.amdhsa_system_sgpr_workgroup_id_z 0
		.amdhsa_system_sgpr_workgroup_info 0
		.amdhsa_system_vgpr_workitem_id 0
		.amdhsa_next_free_vgpr 17
		.amdhsa_next_free_sgpr 8
		.amdhsa_reserve_vcc 1
		.amdhsa_reserve_flat_scratch 0
		.amdhsa_float_round_mode_32 0
		.amdhsa_float_round_mode_16_64 0
		.amdhsa_float_denorm_mode_32 3
		.amdhsa_float_denorm_mode_16_64 3
		.amdhsa_dx10_clamp 1
		.amdhsa_ieee_mode 1
		.amdhsa_fp16_overflow 0
		.amdhsa_exception_fp_ieee_invalid_op 0
		.amdhsa_exception_fp_denorm_src 0
		.amdhsa_exception_fp_ieee_div_zero 0
		.amdhsa_exception_fp_ieee_overflow 0
		.amdhsa_exception_fp_ieee_underflow 0
		.amdhsa_exception_fp_ieee_inexact 0
		.amdhsa_exception_int_div_zero 0
	.end_amdhsa_kernel
	.section	.text._ZN7rocprim17ROCPRIM_400000_NS6detail17trampoline_kernelINS0_14default_configENS1_38merge_sort_block_merge_config_selectorIilEEZZNS1_27merge_sort_block_merge_implIS3_PiN6thrust23THRUST_200600_302600_NS10device_ptrIlEEjNS1_19radix_merge_compareILb0ELb0EiNS0_19identity_decomposerEEEEE10hipError_tT0_T1_T2_jT3_P12ihipStream_tbPNSt15iterator_traitsISG_E10value_typeEPNSM_ISH_E10value_typeEPSI_NS1_7vsmem_tEENKUlT_SG_SH_SI_E_clIS7_S7_PlSB_EESF_SV_SG_SH_SI_EUlSV_E_NS1_11comp_targetILNS1_3genE2ELNS1_11target_archE906ELNS1_3gpuE6ELNS1_3repE0EEENS1_48merge_mergepath_partition_config_static_selectorELNS0_4arch9wavefront6targetE1EEEvSH_,"axG",@progbits,_ZN7rocprim17ROCPRIM_400000_NS6detail17trampoline_kernelINS0_14default_configENS1_38merge_sort_block_merge_config_selectorIilEEZZNS1_27merge_sort_block_merge_implIS3_PiN6thrust23THRUST_200600_302600_NS10device_ptrIlEEjNS1_19radix_merge_compareILb0ELb0EiNS0_19identity_decomposerEEEEE10hipError_tT0_T1_T2_jT3_P12ihipStream_tbPNSt15iterator_traitsISG_E10value_typeEPNSM_ISH_E10value_typeEPSI_NS1_7vsmem_tEENKUlT_SG_SH_SI_E_clIS7_S7_PlSB_EESF_SV_SG_SH_SI_EUlSV_E_NS1_11comp_targetILNS1_3genE2ELNS1_11target_archE906ELNS1_3gpuE6ELNS1_3repE0EEENS1_48merge_mergepath_partition_config_static_selectorELNS0_4arch9wavefront6targetE1EEEvSH_,comdat
.Lfunc_end749:
	.size	_ZN7rocprim17ROCPRIM_400000_NS6detail17trampoline_kernelINS0_14default_configENS1_38merge_sort_block_merge_config_selectorIilEEZZNS1_27merge_sort_block_merge_implIS3_PiN6thrust23THRUST_200600_302600_NS10device_ptrIlEEjNS1_19radix_merge_compareILb0ELb0EiNS0_19identity_decomposerEEEEE10hipError_tT0_T1_T2_jT3_P12ihipStream_tbPNSt15iterator_traitsISG_E10value_typeEPNSM_ISH_E10value_typeEPSI_NS1_7vsmem_tEENKUlT_SG_SH_SI_E_clIS7_S7_PlSB_EESF_SV_SG_SH_SI_EUlSV_E_NS1_11comp_targetILNS1_3genE2ELNS1_11target_archE906ELNS1_3gpuE6ELNS1_3repE0EEENS1_48merge_mergepath_partition_config_static_selectorELNS0_4arch9wavefront6targetE1EEEvSH_, .Lfunc_end749-_ZN7rocprim17ROCPRIM_400000_NS6detail17trampoline_kernelINS0_14default_configENS1_38merge_sort_block_merge_config_selectorIilEEZZNS1_27merge_sort_block_merge_implIS3_PiN6thrust23THRUST_200600_302600_NS10device_ptrIlEEjNS1_19radix_merge_compareILb0ELb0EiNS0_19identity_decomposerEEEEE10hipError_tT0_T1_T2_jT3_P12ihipStream_tbPNSt15iterator_traitsISG_E10value_typeEPNSM_ISH_E10value_typeEPSI_NS1_7vsmem_tEENKUlT_SG_SH_SI_E_clIS7_S7_PlSB_EESF_SV_SG_SH_SI_EUlSV_E_NS1_11comp_targetILNS1_3genE2ELNS1_11target_archE906ELNS1_3gpuE6ELNS1_3repE0EEENS1_48merge_mergepath_partition_config_static_selectorELNS0_4arch9wavefront6targetE1EEEvSH_
                                        ; -- End function
	.set _ZN7rocprim17ROCPRIM_400000_NS6detail17trampoline_kernelINS0_14default_configENS1_38merge_sort_block_merge_config_selectorIilEEZZNS1_27merge_sort_block_merge_implIS3_PiN6thrust23THRUST_200600_302600_NS10device_ptrIlEEjNS1_19radix_merge_compareILb0ELb0EiNS0_19identity_decomposerEEEEE10hipError_tT0_T1_T2_jT3_P12ihipStream_tbPNSt15iterator_traitsISG_E10value_typeEPNSM_ISH_E10value_typeEPSI_NS1_7vsmem_tEENKUlT_SG_SH_SI_E_clIS7_S7_PlSB_EESF_SV_SG_SH_SI_EUlSV_E_NS1_11comp_targetILNS1_3genE2ELNS1_11target_archE906ELNS1_3gpuE6ELNS1_3repE0EEENS1_48merge_mergepath_partition_config_static_selectorELNS0_4arch9wavefront6targetE1EEEvSH_.num_vgpr, 17
	.set _ZN7rocprim17ROCPRIM_400000_NS6detail17trampoline_kernelINS0_14default_configENS1_38merge_sort_block_merge_config_selectorIilEEZZNS1_27merge_sort_block_merge_implIS3_PiN6thrust23THRUST_200600_302600_NS10device_ptrIlEEjNS1_19radix_merge_compareILb0ELb0EiNS0_19identity_decomposerEEEEE10hipError_tT0_T1_T2_jT3_P12ihipStream_tbPNSt15iterator_traitsISG_E10value_typeEPNSM_ISH_E10value_typeEPSI_NS1_7vsmem_tEENKUlT_SG_SH_SI_E_clIS7_S7_PlSB_EESF_SV_SG_SH_SI_EUlSV_E_NS1_11comp_targetILNS1_3genE2ELNS1_11target_archE906ELNS1_3gpuE6ELNS1_3repE0EEENS1_48merge_mergepath_partition_config_static_selectorELNS0_4arch9wavefront6targetE1EEEvSH_.num_agpr, 0
	.set _ZN7rocprim17ROCPRIM_400000_NS6detail17trampoline_kernelINS0_14default_configENS1_38merge_sort_block_merge_config_selectorIilEEZZNS1_27merge_sort_block_merge_implIS3_PiN6thrust23THRUST_200600_302600_NS10device_ptrIlEEjNS1_19radix_merge_compareILb0ELb0EiNS0_19identity_decomposerEEEEE10hipError_tT0_T1_T2_jT3_P12ihipStream_tbPNSt15iterator_traitsISG_E10value_typeEPNSM_ISH_E10value_typeEPSI_NS1_7vsmem_tEENKUlT_SG_SH_SI_E_clIS7_S7_PlSB_EESF_SV_SG_SH_SI_EUlSV_E_NS1_11comp_targetILNS1_3genE2ELNS1_11target_archE906ELNS1_3gpuE6ELNS1_3repE0EEENS1_48merge_mergepath_partition_config_static_selectorELNS0_4arch9wavefront6targetE1EEEvSH_.numbered_sgpr, 8
	.set _ZN7rocprim17ROCPRIM_400000_NS6detail17trampoline_kernelINS0_14default_configENS1_38merge_sort_block_merge_config_selectorIilEEZZNS1_27merge_sort_block_merge_implIS3_PiN6thrust23THRUST_200600_302600_NS10device_ptrIlEEjNS1_19radix_merge_compareILb0ELb0EiNS0_19identity_decomposerEEEEE10hipError_tT0_T1_T2_jT3_P12ihipStream_tbPNSt15iterator_traitsISG_E10value_typeEPNSM_ISH_E10value_typeEPSI_NS1_7vsmem_tEENKUlT_SG_SH_SI_E_clIS7_S7_PlSB_EESF_SV_SG_SH_SI_EUlSV_E_NS1_11comp_targetILNS1_3genE2ELNS1_11target_archE906ELNS1_3gpuE6ELNS1_3repE0EEENS1_48merge_mergepath_partition_config_static_selectorELNS0_4arch9wavefront6targetE1EEEvSH_.num_named_barrier, 0
	.set _ZN7rocprim17ROCPRIM_400000_NS6detail17trampoline_kernelINS0_14default_configENS1_38merge_sort_block_merge_config_selectorIilEEZZNS1_27merge_sort_block_merge_implIS3_PiN6thrust23THRUST_200600_302600_NS10device_ptrIlEEjNS1_19radix_merge_compareILb0ELb0EiNS0_19identity_decomposerEEEEE10hipError_tT0_T1_T2_jT3_P12ihipStream_tbPNSt15iterator_traitsISG_E10value_typeEPNSM_ISH_E10value_typeEPSI_NS1_7vsmem_tEENKUlT_SG_SH_SI_E_clIS7_S7_PlSB_EESF_SV_SG_SH_SI_EUlSV_E_NS1_11comp_targetILNS1_3genE2ELNS1_11target_archE906ELNS1_3gpuE6ELNS1_3repE0EEENS1_48merge_mergepath_partition_config_static_selectorELNS0_4arch9wavefront6targetE1EEEvSH_.private_seg_size, 0
	.set _ZN7rocprim17ROCPRIM_400000_NS6detail17trampoline_kernelINS0_14default_configENS1_38merge_sort_block_merge_config_selectorIilEEZZNS1_27merge_sort_block_merge_implIS3_PiN6thrust23THRUST_200600_302600_NS10device_ptrIlEEjNS1_19radix_merge_compareILb0ELb0EiNS0_19identity_decomposerEEEEE10hipError_tT0_T1_T2_jT3_P12ihipStream_tbPNSt15iterator_traitsISG_E10value_typeEPNSM_ISH_E10value_typeEPSI_NS1_7vsmem_tEENKUlT_SG_SH_SI_E_clIS7_S7_PlSB_EESF_SV_SG_SH_SI_EUlSV_E_NS1_11comp_targetILNS1_3genE2ELNS1_11target_archE906ELNS1_3gpuE6ELNS1_3repE0EEENS1_48merge_mergepath_partition_config_static_selectorELNS0_4arch9wavefront6targetE1EEEvSH_.uses_vcc, 1
	.set _ZN7rocprim17ROCPRIM_400000_NS6detail17trampoline_kernelINS0_14default_configENS1_38merge_sort_block_merge_config_selectorIilEEZZNS1_27merge_sort_block_merge_implIS3_PiN6thrust23THRUST_200600_302600_NS10device_ptrIlEEjNS1_19radix_merge_compareILb0ELb0EiNS0_19identity_decomposerEEEEE10hipError_tT0_T1_T2_jT3_P12ihipStream_tbPNSt15iterator_traitsISG_E10value_typeEPNSM_ISH_E10value_typeEPSI_NS1_7vsmem_tEENKUlT_SG_SH_SI_E_clIS7_S7_PlSB_EESF_SV_SG_SH_SI_EUlSV_E_NS1_11comp_targetILNS1_3genE2ELNS1_11target_archE906ELNS1_3gpuE6ELNS1_3repE0EEENS1_48merge_mergepath_partition_config_static_selectorELNS0_4arch9wavefront6targetE1EEEvSH_.uses_flat_scratch, 0
	.set _ZN7rocprim17ROCPRIM_400000_NS6detail17trampoline_kernelINS0_14default_configENS1_38merge_sort_block_merge_config_selectorIilEEZZNS1_27merge_sort_block_merge_implIS3_PiN6thrust23THRUST_200600_302600_NS10device_ptrIlEEjNS1_19radix_merge_compareILb0ELb0EiNS0_19identity_decomposerEEEEE10hipError_tT0_T1_T2_jT3_P12ihipStream_tbPNSt15iterator_traitsISG_E10value_typeEPNSM_ISH_E10value_typeEPSI_NS1_7vsmem_tEENKUlT_SG_SH_SI_E_clIS7_S7_PlSB_EESF_SV_SG_SH_SI_EUlSV_E_NS1_11comp_targetILNS1_3genE2ELNS1_11target_archE906ELNS1_3gpuE6ELNS1_3repE0EEENS1_48merge_mergepath_partition_config_static_selectorELNS0_4arch9wavefront6targetE1EEEvSH_.has_dyn_sized_stack, 0
	.set _ZN7rocprim17ROCPRIM_400000_NS6detail17trampoline_kernelINS0_14default_configENS1_38merge_sort_block_merge_config_selectorIilEEZZNS1_27merge_sort_block_merge_implIS3_PiN6thrust23THRUST_200600_302600_NS10device_ptrIlEEjNS1_19radix_merge_compareILb0ELb0EiNS0_19identity_decomposerEEEEE10hipError_tT0_T1_T2_jT3_P12ihipStream_tbPNSt15iterator_traitsISG_E10value_typeEPNSM_ISH_E10value_typeEPSI_NS1_7vsmem_tEENKUlT_SG_SH_SI_E_clIS7_S7_PlSB_EESF_SV_SG_SH_SI_EUlSV_E_NS1_11comp_targetILNS1_3genE2ELNS1_11target_archE906ELNS1_3gpuE6ELNS1_3repE0EEENS1_48merge_mergepath_partition_config_static_selectorELNS0_4arch9wavefront6targetE1EEEvSH_.has_recursion, 0
	.set _ZN7rocprim17ROCPRIM_400000_NS6detail17trampoline_kernelINS0_14default_configENS1_38merge_sort_block_merge_config_selectorIilEEZZNS1_27merge_sort_block_merge_implIS3_PiN6thrust23THRUST_200600_302600_NS10device_ptrIlEEjNS1_19radix_merge_compareILb0ELb0EiNS0_19identity_decomposerEEEEE10hipError_tT0_T1_T2_jT3_P12ihipStream_tbPNSt15iterator_traitsISG_E10value_typeEPNSM_ISH_E10value_typeEPSI_NS1_7vsmem_tEENKUlT_SG_SH_SI_E_clIS7_S7_PlSB_EESF_SV_SG_SH_SI_EUlSV_E_NS1_11comp_targetILNS1_3genE2ELNS1_11target_archE906ELNS1_3gpuE6ELNS1_3repE0EEENS1_48merge_mergepath_partition_config_static_selectorELNS0_4arch9wavefront6targetE1EEEvSH_.has_indirect_call, 0
	.section	.AMDGPU.csdata,"",@progbits
; Kernel info:
; codeLenInByte = 360
; TotalNumSgprs: 12
; NumVgprs: 17
; ScratchSize: 0
; MemoryBound: 0
; FloatMode: 240
; IeeeMode: 1
; LDSByteSize: 0 bytes/workgroup (compile time only)
; SGPRBlocks: 1
; VGPRBlocks: 4
; NumSGPRsForWavesPerEU: 12
; NumVGPRsForWavesPerEU: 17
; Occupancy: 10
; WaveLimiterHint : 0
; COMPUTE_PGM_RSRC2:SCRATCH_EN: 0
; COMPUTE_PGM_RSRC2:USER_SGPR: 6
; COMPUTE_PGM_RSRC2:TRAP_HANDLER: 0
; COMPUTE_PGM_RSRC2:TGID_X_EN: 1
; COMPUTE_PGM_RSRC2:TGID_Y_EN: 0
; COMPUTE_PGM_RSRC2:TGID_Z_EN: 0
; COMPUTE_PGM_RSRC2:TIDIG_COMP_CNT: 0
	.section	.text._ZN7rocprim17ROCPRIM_400000_NS6detail17trampoline_kernelINS0_14default_configENS1_38merge_sort_block_merge_config_selectorIilEEZZNS1_27merge_sort_block_merge_implIS3_PiN6thrust23THRUST_200600_302600_NS10device_ptrIlEEjNS1_19radix_merge_compareILb0ELb0EiNS0_19identity_decomposerEEEEE10hipError_tT0_T1_T2_jT3_P12ihipStream_tbPNSt15iterator_traitsISG_E10value_typeEPNSM_ISH_E10value_typeEPSI_NS1_7vsmem_tEENKUlT_SG_SH_SI_E_clIS7_S7_PlSB_EESF_SV_SG_SH_SI_EUlSV_E_NS1_11comp_targetILNS1_3genE9ELNS1_11target_archE1100ELNS1_3gpuE3ELNS1_3repE0EEENS1_48merge_mergepath_partition_config_static_selectorELNS0_4arch9wavefront6targetE1EEEvSH_,"axG",@progbits,_ZN7rocprim17ROCPRIM_400000_NS6detail17trampoline_kernelINS0_14default_configENS1_38merge_sort_block_merge_config_selectorIilEEZZNS1_27merge_sort_block_merge_implIS3_PiN6thrust23THRUST_200600_302600_NS10device_ptrIlEEjNS1_19radix_merge_compareILb0ELb0EiNS0_19identity_decomposerEEEEE10hipError_tT0_T1_T2_jT3_P12ihipStream_tbPNSt15iterator_traitsISG_E10value_typeEPNSM_ISH_E10value_typeEPSI_NS1_7vsmem_tEENKUlT_SG_SH_SI_E_clIS7_S7_PlSB_EESF_SV_SG_SH_SI_EUlSV_E_NS1_11comp_targetILNS1_3genE9ELNS1_11target_archE1100ELNS1_3gpuE3ELNS1_3repE0EEENS1_48merge_mergepath_partition_config_static_selectorELNS0_4arch9wavefront6targetE1EEEvSH_,comdat
	.protected	_ZN7rocprim17ROCPRIM_400000_NS6detail17trampoline_kernelINS0_14default_configENS1_38merge_sort_block_merge_config_selectorIilEEZZNS1_27merge_sort_block_merge_implIS3_PiN6thrust23THRUST_200600_302600_NS10device_ptrIlEEjNS1_19radix_merge_compareILb0ELb0EiNS0_19identity_decomposerEEEEE10hipError_tT0_T1_T2_jT3_P12ihipStream_tbPNSt15iterator_traitsISG_E10value_typeEPNSM_ISH_E10value_typeEPSI_NS1_7vsmem_tEENKUlT_SG_SH_SI_E_clIS7_S7_PlSB_EESF_SV_SG_SH_SI_EUlSV_E_NS1_11comp_targetILNS1_3genE9ELNS1_11target_archE1100ELNS1_3gpuE3ELNS1_3repE0EEENS1_48merge_mergepath_partition_config_static_selectorELNS0_4arch9wavefront6targetE1EEEvSH_ ; -- Begin function _ZN7rocprim17ROCPRIM_400000_NS6detail17trampoline_kernelINS0_14default_configENS1_38merge_sort_block_merge_config_selectorIilEEZZNS1_27merge_sort_block_merge_implIS3_PiN6thrust23THRUST_200600_302600_NS10device_ptrIlEEjNS1_19radix_merge_compareILb0ELb0EiNS0_19identity_decomposerEEEEE10hipError_tT0_T1_T2_jT3_P12ihipStream_tbPNSt15iterator_traitsISG_E10value_typeEPNSM_ISH_E10value_typeEPSI_NS1_7vsmem_tEENKUlT_SG_SH_SI_E_clIS7_S7_PlSB_EESF_SV_SG_SH_SI_EUlSV_E_NS1_11comp_targetILNS1_3genE9ELNS1_11target_archE1100ELNS1_3gpuE3ELNS1_3repE0EEENS1_48merge_mergepath_partition_config_static_selectorELNS0_4arch9wavefront6targetE1EEEvSH_
	.globl	_ZN7rocprim17ROCPRIM_400000_NS6detail17trampoline_kernelINS0_14default_configENS1_38merge_sort_block_merge_config_selectorIilEEZZNS1_27merge_sort_block_merge_implIS3_PiN6thrust23THRUST_200600_302600_NS10device_ptrIlEEjNS1_19radix_merge_compareILb0ELb0EiNS0_19identity_decomposerEEEEE10hipError_tT0_T1_T2_jT3_P12ihipStream_tbPNSt15iterator_traitsISG_E10value_typeEPNSM_ISH_E10value_typeEPSI_NS1_7vsmem_tEENKUlT_SG_SH_SI_E_clIS7_S7_PlSB_EESF_SV_SG_SH_SI_EUlSV_E_NS1_11comp_targetILNS1_3genE9ELNS1_11target_archE1100ELNS1_3gpuE3ELNS1_3repE0EEENS1_48merge_mergepath_partition_config_static_selectorELNS0_4arch9wavefront6targetE1EEEvSH_
	.p2align	8
	.type	_ZN7rocprim17ROCPRIM_400000_NS6detail17trampoline_kernelINS0_14default_configENS1_38merge_sort_block_merge_config_selectorIilEEZZNS1_27merge_sort_block_merge_implIS3_PiN6thrust23THRUST_200600_302600_NS10device_ptrIlEEjNS1_19radix_merge_compareILb0ELb0EiNS0_19identity_decomposerEEEEE10hipError_tT0_T1_T2_jT3_P12ihipStream_tbPNSt15iterator_traitsISG_E10value_typeEPNSM_ISH_E10value_typeEPSI_NS1_7vsmem_tEENKUlT_SG_SH_SI_E_clIS7_S7_PlSB_EESF_SV_SG_SH_SI_EUlSV_E_NS1_11comp_targetILNS1_3genE9ELNS1_11target_archE1100ELNS1_3gpuE3ELNS1_3repE0EEENS1_48merge_mergepath_partition_config_static_selectorELNS0_4arch9wavefront6targetE1EEEvSH_,@function
_ZN7rocprim17ROCPRIM_400000_NS6detail17trampoline_kernelINS0_14default_configENS1_38merge_sort_block_merge_config_selectorIilEEZZNS1_27merge_sort_block_merge_implIS3_PiN6thrust23THRUST_200600_302600_NS10device_ptrIlEEjNS1_19radix_merge_compareILb0ELb0EiNS0_19identity_decomposerEEEEE10hipError_tT0_T1_T2_jT3_P12ihipStream_tbPNSt15iterator_traitsISG_E10value_typeEPNSM_ISH_E10value_typeEPSI_NS1_7vsmem_tEENKUlT_SG_SH_SI_E_clIS7_S7_PlSB_EESF_SV_SG_SH_SI_EUlSV_E_NS1_11comp_targetILNS1_3genE9ELNS1_11target_archE1100ELNS1_3gpuE3ELNS1_3repE0EEENS1_48merge_mergepath_partition_config_static_selectorELNS0_4arch9wavefront6targetE1EEEvSH_: ; @_ZN7rocprim17ROCPRIM_400000_NS6detail17trampoline_kernelINS0_14default_configENS1_38merge_sort_block_merge_config_selectorIilEEZZNS1_27merge_sort_block_merge_implIS3_PiN6thrust23THRUST_200600_302600_NS10device_ptrIlEEjNS1_19radix_merge_compareILb0ELb0EiNS0_19identity_decomposerEEEEE10hipError_tT0_T1_T2_jT3_P12ihipStream_tbPNSt15iterator_traitsISG_E10value_typeEPNSM_ISH_E10value_typeEPSI_NS1_7vsmem_tEENKUlT_SG_SH_SI_E_clIS7_S7_PlSB_EESF_SV_SG_SH_SI_EUlSV_E_NS1_11comp_targetILNS1_3genE9ELNS1_11target_archE1100ELNS1_3gpuE3ELNS1_3repE0EEENS1_48merge_mergepath_partition_config_static_selectorELNS0_4arch9wavefront6targetE1EEEvSH_
; %bb.0:
	.section	.rodata,"a",@progbits
	.p2align	6, 0x0
	.amdhsa_kernel _ZN7rocprim17ROCPRIM_400000_NS6detail17trampoline_kernelINS0_14default_configENS1_38merge_sort_block_merge_config_selectorIilEEZZNS1_27merge_sort_block_merge_implIS3_PiN6thrust23THRUST_200600_302600_NS10device_ptrIlEEjNS1_19radix_merge_compareILb0ELb0EiNS0_19identity_decomposerEEEEE10hipError_tT0_T1_T2_jT3_P12ihipStream_tbPNSt15iterator_traitsISG_E10value_typeEPNSM_ISH_E10value_typeEPSI_NS1_7vsmem_tEENKUlT_SG_SH_SI_E_clIS7_S7_PlSB_EESF_SV_SG_SH_SI_EUlSV_E_NS1_11comp_targetILNS1_3genE9ELNS1_11target_archE1100ELNS1_3gpuE3ELNS1_3repE0EEENS1_48merge_mergepath_partition_config_static_selectorELNS0_4arch9wavefront6targetE1EEEvSH_
		.amdhsa_group_segment_fixed_size 0
		.amdhsa_private_segment_fixed_size 0
		.amdhsa_kernarg_size 40
		.amdhsa_user_sgpr_count 6
		.amdhsa_user_sgpr_private_segment_buffer 1
		.amdhsa_user_sgpr_dispatch_ptr 0
		.amdhsa_user_sgpr_queue_ptr 0
		.amdhsa_user_sgpr_kernarg_segment_ptr 1
		.amdhsa_user_sgpr_dispatch_id 0
		.amdhsa_user_sgpr_flat_scratch_init 0
		.amdhsa_user_sgpr_private_segment_size 0
		.amdhsa_uses_dynamic_stack 0
		.amdhsa_system_sgpr_private_segment_wavefront_offset 0
		.amdhsa_system_sgpr_workgroup_id_x 1
		.amdhsa_system_sgpr_workgroup_id_y 0
		.amdhsa_system_sgpr_workgroup_id_z 0
		.amdhsa_system_sgpr_workgroup_info 0
		.amdhsa_system_vgpr_workitem_id 0
		.amdhsa_next_free_vgpr 1
		.amdhsa_next_free_sgpr 0
		.amdhsa_reserve_vcc 0
		.amdhsa_reserve_flat_scratch 0
		.amdhsa_float_round_mode_32 0
		.amdhsa_float_round_mode_16_64 0
		.amdhsa_float_denorm_mode_32 3
		.amdhsa_float_denorm_mode_16_64 3
		.amdhsa_dx10_clamp 1
		.amdhsa_ieee_mode 1
		.amdhsa_fp16_overflow 0
		.amdhsa_exception_fp_ieee_invalid_op 0
		.amdhsa_exception_fp_denorm_src 0
		.amdhsa_exception_fp_ieee_div_zero 0
		.amdhsa_exception_fp_ieee_overflow 0
		.amdhsa_exception_fp_ieee_underflow 0
		.amdhsa_exception_fp_ieee_inexact 0
		.amdhsa_exception_int_div_zero 0
	.end_amdhsa_kernel
	.section	.text._ZN7rocprim17ROCPRIM_400000_NS6detail17trampoline_kernelINS0_14default_configENS1_38merge_sort_block_merge_config_selectorIilEEZZNS1_27merge_sort_block_merge_implIS3_PiN6thrust23THRUST_200600_302600_NS10device_ptrIlEEjNS1_19radix_merge_compareILb0ELb0EiNS0_19identity_decomposerEEEEE10hipError_tT0_T1_T2_jT3_P12ihipStream_tbPNSt15iterator_traitsISG_E10value_typeEPNSM_ISH_E10value_typeEPSI_NS1_7vsmem_tEENKUlT_SG_SH_SI_E_clIS7_S7_PlSB_EESF_SV_SG_SH_SI_EUlSV_E_NS1_11comp_targetILNS1_3genE9ELNS1_11target_archE1100ELNS1_3gpuE3ELNS1_3repE0EEENS1_48merge_mergepath_partition_config_static_selectorELNS0_4arch9wavefront6targetE1EEEvSH_,"axG",@progbits,_ZN7rocprim17ROCPRIM_400000_NS6detail17trampoline_kernelINS0_14default_configENS1_38merge_sort_block_merge_config_selectorIilEEZZNS1_27merge_sort_block_merge_implIS3_PiN6thrust23THRUST_200600_302600_NS10device_ptrIlEEjNS1_19radix_merge_compareILb0ELb0EiNS0_19identity_decomposerEEEEE10hipError_tT0_T1_T2_jT3_P12ihipStream_tbPNSt15iterator_traitsISG_E10value_typeEPNSM_ISH_E10value_typeEPSI_NS1_7vsmem_tEENKUlT_SG_SH_SI_E_clIS7_S7_PlSB_EESF_SV_SG_SH_SI_EUlSV_E_NS1_11comp_targetILNS1_3genE9ELNS1_11target_archE1100ELNS1_3gpuE3ELNS1_3repE0EEENS1_48merge_mergepath_partition_config_static_selectorELNS0_4arch9wavefront6targetE1EEEvSH_,comdat
.Lfunc_end750:
	.size	_ZN7rocprim17ROCPRIM_400000_NS6detail17trampoline_kernelINS0_14default_configENS1_38merge_sort_block_merge_config_selectorIilEEZZNS1_27merge_sort_block_merge_implIS3_PiN6thrust23THRUST_200600_302600_NS10device_ptrIlEEjNS1_19radix_merge_compareILb0ELb0EiNS0_19identity_decomposerEEEEE10hipError_tT0_T1_T2_jT3_P12ihipStream_tbPNSt15iterator_traitsISG_E10value_typeEPNSM_ISH_E10value_typeEPSI_NS1_7vsmem_tEENKUlT_SG_SH_SI_E_clIS7_S7_PlSB_EESF_SV_SG_SH_SI_EUlSV_E_NS1_11comp_targetILNS1_3genE9ELNS1_11target_archE1100ELNS1_3gpuE3ELNS1_3repE0EEENS1_48merge_mergepath_partition_config_static_selectorELNS0_4arch9wavefront6targetE1EEEvSH_, .Lfunc_end750-_ZN7rocprim17ROCPRIM_400000_NS6detail17trampoline_kernelINS0_14default_configENS1_38merge_sort_block_merge_config_selectorIilEEZZNS1_27merge_sort_block_merge_implIS3_PiN6thrust23THRUST_200600_302600_NS10device_ptrIlEEjNS1_19radix_merge_compareILb0ELb0EiNS0_19identity_decomposerEEEEE10hipError_tT0_T1_T2_jT3_P12ihipStream_tbPNSt15iterator_traitsISG_E10value_typeEPNSM_ISH_E10value_typeEPSI_NS1_7vsmem_tEENKUlT_SG_SH_SI_E_clIS7_S7_PlSB_EESF_SV_SG_SH_SI_EUlSV_E_NS1_11comp_targetILNS1_3genE9ELNS1_11target_archE1100ELNS1_3gpuE3ELNS1_3repE0EEENS1_48merge_mergepath_partition_config_static_selectorELNS0_4arch9wavefront6targetE1EEEvSH_
                                        ; -- End function
	.set _ZN7rocprim17ROCPRIM_400000_NS6detail17trampoline_kernelINS0_14default_configENS1_38merge_sort_block_merge_config_selectorIilEEZZNS1_27merge_sort_block_merge_implIS3_PiN6thrust23THRUST_200600_302600_NS10device_ptrIlEEjNS1_19radix_merge_compareILb0ELb0EiNS0_19identity_decomposerEEEEE10hipError_tT0_T1_T2_jT3_P12ihipStream_tbPNSt15iterator_traitsISG_E10value_typeEPNSM_ISH_E10value_typeEPSI_NS1_7vsmem_tEENKUlT_SG_SH_SI_E_clIS7_S7_PlSB_EESF_SV_SG_SH_SI_EUlSV_E_NS1_11comp_targetILNS1_3genE9ELNS1_11target_archE1100ELNS1_3gpuE3ELNS1_3repE0EEENS1_48merge_mergepath_partition_config_static_selectorELNS0_4arch9wavefront6targetE1EEEvSH_.num_vgpr, 0
	.set _ZN7rocprim17ROCPRIM_400000_NS6detail17trampoline_kernelINS0_14default_configENS1_38merge_sort_block_merge_config_selectorIilEEZZNS1_27merge_sort_block_merge_implIS3_PiN6thrust23THRUST_200600_302600_NS10device_ptrIlEEjNS1_19radix_merge_compareILb0ELb0EiNS0_19identity_decomposerEEEEE10hipError_tT0_T1_T2_jT3_P12ihipStream_tbPNSt15iterator_traitsISG_E10value_typeEPNSM_ISH_E10value_typeEPSI_NS1_7vsmem_tEENKUlT_SG_SH_SI_E_clIS7_S7_PlSB_EESF_SV_SG_SH_SI_EUlSV_E_NS1_11comp_targetILNS1_3genE9ELNS1_11target_archE1100ELNS1_3gpuE3ELNS1_3repE0EEENS1_48merge_mergepath_partition_config_static_selectorELNS0_4arch9wavefront6targetE1EEEvSH_.num_agpr, 0
	.set _ZN7rocprim17ROCPRIM_400000_NS6detail17trampoline_kernelINS0_14default_configENS1_38merge_sort_block_merge_config_selectorIilEEZZNS1_27merge_sort_block_merge_implIS3_PiN6thrust23THRUST_200600_302600_NS10device_ptrIlEEjNS1_19radix_merge_compareILb0ELb0EiNS0_19identity_decomposerEEEEE10hipError_tT0_T1_T2_jT3_P12ihipStream_tbPNSt15iterator_traitsISG_E10value_typeEPNSM_ISH_E10value_typeEPSI_NS1_7vsmem_tEENKUlT_SG_SH_SI_E_clIS7_S7_PlSB_EESF_SV_SG_SH_SI_EUlSV_E_NS1_11comp_targetILNS1_3genE9ELNS1_11target_archE1100ELNS1_3gpuE3ELNS1_3repE0EEENS1_48merge_mergepath_partition_config_static_selectorELNS0_4arch9wavefront6targetE1EEEvSH_.numbered_sgpr, 0
	.set _ZN7rocprim17ROCPRIM_400000_NS6detail17trampoline_kernelINS0_14default_configENS1_38merge_sort_block_merge_config_selectorIilEEZZNS1_27merge_sort_block_merge_implIS3_PiN6thrust23THRUST_200600_302600_NS10device_ptrIlEEjNS1_19radix_merge_compareILb0ELb0EiNS0_19identity_decomposerEEEEE10hipError_tT0_T1_T2_jT3_P12ihipStream_tbPNSt15iterator_traitsISG_E10value_typeEPNSM_ISH_E10value_typeEPSI_NS1_7vsmem_tEENKUlT_SG_SH_SI_E_clIS7_S7_PlSB_EESF_SV_SG_SH_SI_EUlSV_E_NS1_11comp_targetILNS1_3genE9ELNS1_11target_archE1100ELNS1_3gpuE3ELNS1_3repE0EEENS1_48merge_mergepath_partition_config_static_selectorELNS0_4arch9wavefront6targetE1EEEvSH_.num_named_barrier, 0
	.set _ZN7rocprim17ROCPRIM_400000_NS6detail17trampoline_kernelINS0_14default_configENS1_38merge_sort_block_merge_config_selectorIilEEZZNS1_27merge_sort_block_merge_implIS3_PiN6thrust23THRUST_200600_302600_NS10device_ptrIlEEjNS1_19radix_merge_compareILb0ELb0EiNS0_19identity_decomposerEEEEE10hipError_tT0_T1_T2_jT3_P12ihipStream_tbPNSt15iterator_traitsISG_E10value_typeEPNSM_ISH_E10value_typeEPSI_NS1_7vsmem_tEENKUlT_SG_SH_SI_E_clIS7_S7_PlSB_EESF_SV_SG_SH_SI_EUlSV_E_NS1_11comp_targetILNS1_3genE9ELNS1_11target_archE1100ELNS1_3gpuE3ELNS1_3repE0EEENS1_48merge_mergepath_partition_config_static_selectorELNS0_4arch9wavefront6targetE1EEEvSH_.private_seg_size, 0
	.set _ZN7rocprim17ROCPRIM_400000_NS6detail17trampoline_kernelINS0_14default_configENS1_38merge_sort_block_merge_config_selectorIilEEZZNS1_27merge_sort_block_merge_implIS3_PiN6thrust23THRUST_200600_302600_NS10device_ptrIlEEjNS1_19radix_merge_compareILb0ELb0EiNS0_19identity_decomposerEEEEE10hipError_tT0_T1_T2_jT3_P12ihipStream_tbPNSt15iterator_traitsISG_E10value_typeEPNSM_ISH_E10value_typeEPSI_NS1_7vsmem_tEENKUlT_SG_SH_SI_E_clIS7_S7_PlSB_EESF_SV_SG_SH_SI_EUlSV_E_NS1_11comp_targetILNS1_3genE9ELNS1_11target_archE1100ELNS1_3gpuE3ELNS1_3repE0EEENS1_48merge_mergepath_partition_config_static_selectorELNS0_4arch9wavefront6targetE1EEEvSH_.uses_vcc, 0
	.set _ZN7rocprim17ROCPRIM_400000_NS6detail17trampoline_kernelINS0_14default_configENS1_38merge_sort_block_merge_config_selectorIilEEZZNS1_27merge_sort_block_merge_implIS3_PiN6thrust23THRUST_200600_302600_NS10device_ptrIlEEjNS1_19radix_merge_compareILb0ELb0EiNS0_19identity_decomposerEEEEE10hipError_tT0_T1_T2_jT3_P12ihipStream_tbPNSt15iterator_traitsISG_E10value_typeEPNSM_ISH_E10value_typeEPSI_NS1_7vsmem_tEENKUlT_SG_SH_SI_E_clIS7_S7_PlSB_EESF_SV_SG_SH_SI_EUlSV_E_NS1_11comp_targetILNS1_3genE9ELNS1_11target_archE1100ELNS1_3gpuE3ELNS1_3repE0EEENS1_48merge_mergepath_partition_config_static_selectorELNS0_4arch9wavefront6targetE1EEEvSH_.uses_flat_scratch, 0
	.set _ZN7rocprim17ROCPRIM_400000_NS6detail17trampoline_kernelINS0_14default_configENS1_38merge_sort_block_merge_config_selectorIilEEZZNS1_27merge_sort_block_merge_implIS3_PiN6thrust23THRUST_200600_302600_NS10device_ptrIlEEjNS1_19radix_merge_compareILb0ELb0EiNS0_19identity_decomposerEEEEE10hipError_tT0_T1_T2_jT3_P12ihipStream_tbPNSt15iterator_traitsISG_E10value_typeEPNSM_ISH_E10value_typeEPSI_NS1_7vsmem_tEENKUlT_SG_SH_SI_E_clIS7_S7_PlSB_EESF_SV_SG_SH_SI_EUlSV_E_NS1_11comp_targetILNS1_3genE9ELNS1_11target_archE1100ELNS1_3gpuE3ELNS1_3repE0EEENS1_48merge_mergepath_partition_config_static_selectorELNS0_4arch9wavefront6targetE1EEEvSH_.has_dyn_sized_stack, 0
	.set _ZN7rocprim17ROCPRIM_400000_NS6detail17trampoline_kernelINS0_14default_configENS1_38merge_sort_block_merge_config_selectorIilEEZZNS1_27merge_sort_block_merge_implIS3_PiN6thrust23THRUST_200600_302600_NS10device_ptrIlEEjNS1_19radix_merge_compareILb0ELb0EiNS0_19identity_decomposerEEEEE10hipError_tT0_T1_T2_jT3_P12ihipStream_tbPNSt15iterator_traitsISG_E10value_typeEPNSM_ISH_E10value_typeEPSI_NS1_7vsmem_tEENKUlT_SG_SH_SI_E_clIS7_S7_PlSB_EESF_SV_SG_SH_SI_EUlSV_E_NS1_11comp_targetILNS1_3genE9ELNS1_11target_archE1100ELNS1_3gpuE3ELNS1_3repE0EEENS1_48merge_mergepath_partition_config_static_selectorELNS0_4arch9wavefront6targetE1EEEvSH_.has_recursion, 0
	.set _ZN7rocprim17ROCPRIM_400000_NS6detail17trampoline_kernelINS0_14default_configENS1_38merge_sort_block_merge_config_selectorIilEEZZNS1_27merge_sort_block_merge_implIS3_PiN6thrust23THRUST_200600_302600_NS10device_ptrIlEEjNS1_19radix_merge_compareILb0ELb0EiNS0_19identity_decomposerEEEEE10hipError_tT0_T1_T2_jT3_P12ihipStream_tbPNSt15iterator_traitsISG_E10value_typeEPNSM_ISH_E10value_typeEPSI_NS1_7vsmem_tEENKUlT_SG_SH_SI_E_clIS7_S7_PlSB_EESF_SV_SG_SH_SI_EUlSV_E_NS1_11comp_targetILNS1_3genE9ELNS1_11target_archE1100ELNS1_3gpuE3ELNS1_3repE0EEENS1_48merge_mergepath_partition_config_static_selectorELNS0_4arch9wavefront6targetE1EEEvSH_.has_indirect_call, 0
	.section	.AMDGPU.csdata,"",@progbits
; Kernel info:
; codeLenInByte = 0
; TotalNumSgprs: 4
; NumVgprs: 0
; ScratchSize: 0
; MemoryBound: 0
; FloatMode: 240
; IeeeMode: 1
; LDSByteSize: 0 bytes/workgroup (compile time only)
; SGPRBlocks: 0
; VGPRBlocks: 0
; NumSGPRsForWavesPerEU: 4
; NumVGPRsForWavesPerEU: 1
; Occupancy: 10
; WaveLimiterHint : 0
; COMPUTE_PGM_RSRC2:SCRATCH_EN: 0
; COMPUTE_PGM_RSRC2:USER_SGPR: 6
; COMPUTE_PGM_RSRC2:TRAP_HANDLER: 0
; COMPUTE_PGM_RSRC2:TGID_X_EN: 1
; COMPUTE_PGM_RSRC2:TGID_Y_EN: 0
; COMPUTE_PGM_RSRC2:TGID_Z_EN: 0
; COMPUTE_PGM_RSRC2:TIDIG_COMP_CNT: 0
	.section	.text._ZN7rocprim17ROCPRIM_400000_NS6detail17trampoline_kernelINS0_14default_configENS1_38merge_sort_block_merge_config_selectorIilEEZZNS1_27merge_sort_block_merge_implIS3_PiN6thrust23THRUST_200600_302600_NS10device_ptrIlEEjNS1_19radix_merge_compareILb0ELb0EiNS0_19identity_decomposerEEEEE10hipError_tT0_T1_T2_jT3_P12ihipStream_tbPNSt15iterator_traitsISG_E10value_typeEPNSM_ISH_E10value_typeEPSI_NS1_7vsmem_tEENKUlT_SG_SH_SI_E_clIS7_S7_PlSB_EESF_SV_SG_SH_SI_EUlSV_E_NS1_11comp_targetILNS1_3genE8ELNS1_11target_archE1030ELNS1_3gpuE2ELNS1_3repE0EEENS1_48merge_mergepath_partition_config_static_selectorELNS0_4arch9wavefront6targetE1EEEvSH_,"axG",@progbits,_ZN7rocprim17ROCPRIM_400000_NS6detail17trampoline_kernelINS0_14default_configENS1_38merge_sort_block_merge_config_selectorIilEEZZNS1_27merge_sort_block_merge_implIS3_PiN6thrust23THRUST_200600_302600_NS10device_ptrIlEEjNS1_19radix_merge_compareILb0ELb0EiNS0_19identity_decomposerEEEEE10hipError_tT0_T1_T2_jT3_P12ihipStream_tbPNSt15iterator_traitsISG_E10value_typeEPNSM_ISH_E10value_typeEPSI_NS1_7vsmem_tEENKUlT_SG_SH_SI_E_clIS7_S7_PlSB_EESF_SV_SG_SH_SI_EUlSV_E_NS1_11comp_targetILNS1_3genE8ELNS1_11target_archE1030ELNS1_3gpuE2ELNS1_3repE0EEENS1_48merge_mergepath_partition_config_static_selectorELNS0_4arch9wavefront6targetE1EEEvSH_,comdat
	.protected	_ZN7rocprim17ROCPRIM_400000_NS6detail17trampoline_kernelINS0_14default_configENS1_38merge_sort_block_merge_config_selectorIilEEZZNS1_27merge_sort_block_merge_implIS3_PiN6thrust23THRUST_200600_302600_NS10device_ptrIlEEjNS1_19radix_merge_compareILb0ELb0EiNS0_19identity_decomposerEEEEE10hipError_tT0_T1_T2_jT3_P12ihipStream_tbPNSt15iterator_traitsISG_E10value_typeEPNSM_ISH_E10value_typeEPSI_NS1_7vsmem_tEENKUlT_SG_SH_SI_E_clIS7_S7_PlSB_EESF_SV_SG_SH_SI_EUlSV_E_NS1_11comp_targetILNS1_3genE8ELNS1_11target_archE1030ELNS1_3gpuE2ELNS1_3repE0EEENS1_48merge_mergepath_partition_config_static_selectorELNS0_4arch9wavefront6targetE1EEEvSH_ ; -- Begin function _ZN7rocprim17ROCPRIM_400000_NS6detail17trampoline_kernelINS0_14default_configENS1_38merge_sort_block_merge_config_selectorIilEEZZNS1_27merge_sort_block_merge_implIS3_PiN6thrust23THRUST_200600_302600_NS10device_ptrIlEEjNS1_19radix_merge_compareILb0ELb0EiNS0_19identity_decomposerEEEEE10hipError_tT0_T1_T2_jT3_P12ihipStream_tbPNSt15iterator_traitsISG_E10value_typeEPNSM_ISH_E10value_typeEPSI_NS1_7vsmem_tEENKUlT_SG_SH_SI_E_clIS7_S7_PlSB_EESF_SV_SG_SH_SI_EUlSV_E_NS1_11comp_targetILNS1_3genE8ELNS1_11target_archE1030ELNS1_3gpuE2ELNS1_3repE0EEENS1_48merge_mergepath_partition_config_static_selectorELNS0_4arch9wavefront6targetE1EEEvSH_
	.globl	_ZN7rocprim17ROCPRIM_400000_NS6detail17trampoline_kernelINS0_14default_configENS1_38merge_sort_block_merge_config_selectorIilEEZZNS1_27merge_sort_block_merge_implIS3_PiN6thrust23THRUST_200600_302600_NS10device_ptrIlEEjNS1_19radix_merge_compareILb0ELb0EiNS0_19identity_decomposerEEEEE10hipError_tT0_T1_T2_jT3_P12ihipStream_tbPNSt15iterator_traitsISG_E10value_typeEPNSM_ISH_E10value_typeEPSI_NS1_7vsmem_tEENKUlT_SG_SH_SI_E_clIS7_S7_PlSB_EESF_SV_SG_SH_SI_EUlSV_E_NS1_11comp_targetILNS1_3genE8ELNS1_11target_archE1030ELNS1_3gpuE2ELNS1_3repE0EEENS1_48merge_mergepath_partition_config_static_selectorELNS0_4arch9wavefront6targetE1EEEvSH_
	.p2align	8
	.type	_ZN7rocprim17ROCPRIM_400000_NS6detail17trampoline_kernelINS0_14default_configENS1_38merge_sort_block_merge_config_selectorIilEEZZNS1_27merge_sort_block_merge_implIS3_PiN6thrust23THRUST_200600_302600_NS10device_ptrIlEEjNS1_19radix_merge_compareILb0ELb0EiNS0_19identity_decomposerEEEEE10hipError_tT0_T1_T2_jT3_P12ihipStream_tbPNSt15iterator_traitsISG_E10value_typeEPNSM_ISH_E10value_typeEPSI_NS1_7vsmem_tEENKUlT_SG_SH_SI_E_clIS7_S7_PlSB_EESF_SV_SG_SH_SI_EUlSV_E_NS1_11comp_targetILNS1_3genE8ELNS1_11target_archE1030ELNS1_3gpuE2ELNS1_3repE0EEENS1_48merge_mergepath_partition_config_static_selectorELNS0_4arch9wavefront6targetE1EEEvSH_,@function
_ZN7rocprim17ROCPRIM_400000_NS6detail17trampoline_kernelINS0_14default_configENS1_38merge_sort_block_merge_config_selectorIilEEZZNS1_27merge_sort_block_merge_implIS3_PiN6thrust23THRUST_200600_302600_NS10device_ptrIlEEjNS1_19radix_merge_compareILb0ELb0EiNS0_19identity_decomposerEEEEE10hipError_tT0_T1_T2_jT3_P12ihipStream_tbPNSt15iterator_traitsISG_E10value_typeEPNSM_ISH_E10value_typeEPSI_NS1_7vsmem_tEENKUlT_SG_SH_SI_E_clIS7_S7_PlSB_EESF_SV_SG_SH_SI_EUlSV_E_NS1_11comp_targetILNS1_3genE8ELNS1_11target_archE1030ELNS1_3gpuE2ELNS1_3repE0EEENS1_48merge_mergepath_partition_config_static_selectorELNS0_4arch9wavefront6targetE1EEEvSH_: ; @_ZN7rocprim17ROCPRIM_400000_NS6detail17trampoline_kernelINS0_14default_configENS1_38merge_sort_block_merge_config_selectorIilEEZZNS1_27merge_sort_block_merge_implIS3_PiN6thrust23THRUST_200600_302600_NS10device_ptrIlEEjNS1_19radix_merge_compareILb0ELb0EiNS0_19identity_decomposerEEEEE10hipError_tT0_T1_T2_jT3_P12ihipStream_tbPNSt15iterator_traitsISG_E10value_typeEPNSM_ISH_E10value_typeEPSI_NS1_7vsmem_tEENKUlT_SG_SH_SI_E_clIS7_S7_PlSB_EESF_SV_SG_SH_SI_EUlSV_E_NS1_11comp_targetILNS1_3genE8ELNS1_11target_archE1030ELNS1_3gpuE2ELNS1_3repE0EEENS1_48merge_mergepath_partition_config_static_selectorELNS0_4arch9wavefront6targetE1EEEvSH_
; %bb.0:
	.section	.rodata,"a",@progbits
	.p2align	6, 0x0
	.amdhsa_kernel _ZN7rocprim17ROCPRIM_400000_NS6detail17trampoline_kernelINS0_14default_configENS1_38merge_sort_block_merge_config_selectorIilEEZZNS1_27merge_sort_block_merge_implIS3_PiN6thrust23THRUST_200600_302600_NS10device_ptrIlEEjNS1_19radix_merge_compareILb0ELb0EiNS0_19identity_decomposerEEEEE10hipError_tT0_T1_T2_jT3_P12ihipStream_tbPNSt15iterator_traitsISG_E10value_typeEPNSM_ISH_E10value_typeEPSI_NS1_7vsmem_tEENKUlT_SG_SH_SI_E_clIS7_S7_PlSB_EESF_SV_SG_SH_SI_EUlSV_E_NS1_11comp_targetILNS1_3genE8ELNS1_11target_archE1030ELNS1_3gpuE2ELNS1_3repE0EEENS1_48merge_mergepath_partition_config_static_selectorELNS0_4arch9wavefront6targetE1EEEvSH_
		.amdhsa_group_segment_fixed_size 0
		.amdhsa_private_segment_fixed_size 0
		.amdhsa_kernarg_size 40
		.amdhsa_user_sgpr_count 6
		.amdhsa_user_sgpr_private_segment_buffer 1
		.amdhsa_user_sgpr_dispatch_ptr 0
		.amdhsa_user_sgpr_queue_ptr 0
		.amdhsa_user_sgpr_kernarg_segment_ptr 1
		.amdhsa_user_sgpr_dispatch_id 0
		.amdhsa_user_sgpr_flat_scratch_init 0
		.amdhsa_user_sgpr_private_segment_size 0
		.amdhsa_uses_dynamic_stack 0
		.amdhsa_system_sgpr_private_segment_wavefront_offset 0
		.amdhsa_system_sgpr_workgroup_id_x 1
		.amdhsa_system_sgpr_workgroup_id_y 0
		.amdhsa_system_sgpr_workgroup_id_z 0
		.amdhsa_system_sgpr_workgroup_info 0
		.amdhsa_system_vgpr_workitem_id 0
		.amdhsa_next_free_vgpr 1
		.amdhsa_next_free_sgpr 0
		.amdhsa_reserve_vcc 0
		.amdhsa_reserve_flat_scratch 0
		.amdhsa_float_round_mode_32 0
		.amdhsa_float_round_mode_16_64 0
		.amdhsa_float_denorm_mode_32 3
		.amdhsa_float_denorm_mode_16_64 3
		.amdhsa_dx10_clamp 1
		.amdhsa_ieee_mode 1
		.amdhsa_fp16_overflow 0
		.amdhsa_exception_fp_ieee_invalid_op 0
		.amdhsa_exception_fp_denorm_src 0
		.amdhsa_exception_fp_ieee_div_zero 0
		.amdhsa_exception_fp_ieee_overflow 0
		.amdhsa_exception_fp_ieee_underflow 0
		.amdhsa_exception_fp_ieee_inexact 0
		.amdhsa_exception_int_div_zero 0
	.end_amdhsa_kernel
	.section	.text._ZN7rocprim17ROCPRIM_400000_NS6detail17trampoline_kernelINS0_14default_configENS1_38merge_sort_block_merge_config_selectorIilEEZZNS1_27merge_sort_block_merge_implIS3_PiN6thrust23THRUST_200600_302600_NS10device_ptrIlEEjNS1_19radix_merge_compareILb0ELb0EiNS0_19identity_decomposerEEEEE10hipError_tT0_T1_T2_jT3_P12ihipStream_tbPNSt15iterator_traitsISG_E10value_typeEPNSM_ISH_E10value_typeEPSI_NS1_7vsmem_tEENKUlT_SG_SH_SI_E_clIS7_S7_PlSB_EESF_SV_SG_SH_SI_EUlSV_E_NS1_11comp_targetILNS1_3genE8ELNS1_11target_archE1030ELNS1_3gpuE2ELNS1_3repE0EEENS1_48merge_mergepath_partition_config_static_selectorELNS0_4arch9wavefront6targetE1EEEvSH_,"axG",@progbits,_ZN7rocprim17ROCPRIM_400000_NS6detail17trampoline_kernelINS0_14default_configENS1_38merge_sort_block_merge_config_selectorIilEEZZNS1_27merge_sort_block_merge_implIS3_PiN6thrust23THRUST_200600_302600_NS10device_ptrIlEEjNS1_19radix_merge_compareILb0ELb0EiNS0_19identity_decomposerEEEEE10hipError_tT0_T1_T2_jT3_P12ihipStream_tbPNSt15iterator_traitsISG_E10value_typeEPNSM_ISH_E10value_typeEPSI_NS1_7vsmem_tEENKUlT_SG_SH_SI_E_clIS7_S7_PlSB_EESF_SV_SG_SH_SI_EUlSV_E_NS1_11comp_targetILNS1_3genE8ELNS1_11target_archE1030ELNS1_3gpuE2ELNS1_3repE0EEENS1_48merge_mergepath_partition_config_static_selectorELNS0_4arch9wavefront6targetE1EEEvSH_,comdat
.Lfunc_end751:
	.size	_ZN7rocprim17ROCPRIM_400000_NS6detail17trampoline_kernelINS0_14default_configENS1_38merge_sort_block_merge_config_selectorIilEEZZNS1_27merge_sort_block_merge_implIS3_PiN6thrust23THRUST_200600_302600_NS10device_ptrIlEEjNS1_19radix_merge_compareILb0ELb0EiNS0_19identity_decomposerEEEEE10hipError_tT0_T1_T2_jT3_P12ihipStream_tbPNSt15iterator_traitsISG_E10value_typeEPNSM_ISH_E10value_typeEPSI_NS1_7vsmem_tEENKUlT_SG_SH_SI_E_clIS7_S7_PlSB_EESF_SV_SG_SH_SI_EUlSV_E_NS1_11comp_targetILNS1_3genE8ELNS1_11target_archE1030ELNS1_3gpuE2ELNS1_3repE0EEENS1_48merge_mergepath_partition_config_static_selectorELNS0_4arch9wavefront6targetE1EEEvSH_, .Lfunc_end751-_ZN7rocprim17ROCPRIM_400000_NS6detail17trampoline_kernelINS0_14default_configENS1_38merge_sort_block_merge_config_selectorIilEEZZNS1_27merge_sort_block_merge_implIS3_PiN6thrust23THRUST_200600_302600_NS10device_ptrIlEEjNS1_19radix_merge_compareILb0ELb0EiNS0_19identity_decomposerEEEEE10hipError_tT0_T1_T2_jT3_P12ihipStream_tbPNSt15iterator_traitsISG_E10value_typeEPNSM_ISH_E10value_typeEPSI_NS1_7vsmem_tEENKUlT_SG_SH_SI_E_clIS7_S7_PlSB_EESF_SV_SG_SH_SI_EUlSV_E_NS1_11comp_targetILNS1_3genE8ELNS1_11target_archE1030ELNS1_3gpuE2ELNS1_3repE0EEENS1_48merge_mergepath_partition_config_static_selectorELNS0_4arch9wavefront6targetE1EEEvSH_
                                        ; -- End function
	.set _ZN7rocprim17ROCPRIM_400000_NS6detail17trampoline_kernelINS0_14default_configENS1_38merge_sort_block_merge_config_selectorIilEEZZNS1_27merge_sort_block_merge_implIS3_PiN6thrust23THRUST_200600_302600_NS10device_ptrIlEEjNS1_19radix_merge_compareILb0ELb0EiNS0_19identity_decomposerEEEEE10hipError_tT0_T1_T2_jT3_P12ihipStream_tbPNSt15iterator_traitsISG_E10value_typeEPNSM_ISH_E10value_typeEPSI_NS1_7vsmem_tEENKUlT_SG_SH_SI_E_clIS7_S7_PlSB_EESF_SV_SG_SH_SI_EUlSV_E_NS1_11comp_targetILNS1_3genE8ELNS1_11target_archE1030ELNS1_3gpuE2ELNS1_3repE0EEENS1_48merge_mergepath_partition_config_static_selectorELNS0_4arch9wavefront6targetE1EEEvSH_.num_vgpr, 0
	.set _ZN7rocprim17ROCPRIM_400000_NS6detail17trampoline_kernelINS0_14default_configENS1_38merge_sort_block_merge_config_selectorIilEEZZNS1_27merge_sort_block_merge_implIS3_PiN6thrust23THRUST_200600_302600_NS10device_ptrIlEEjNS1_19radix_merge_compareILb0ELb0EiNS0_19identity_decomposerEEEEE10hipError_tT0_T1_T2_jT3_P12ihipStream_tbPNSt15iterator_traitsISG_E10value_typeEPNSM_ISH_E10value_typeEPSI_NS1_7vsmem_tEENKUlT_SG_SH_SI_E_clIS7_S7_PlSB_EESF_SV_SG_SH_SI_EUlSV_E_NS1_11comp_targetILNS1_3genE8ELNS1_11target_archE1030ELNS1_3gpuE2ELNS1_3repE0EEENS1_48merge_mergepath_partition_config_static_selectorELNS0_4arch9wavefront6targetE1EEEvSH_.num_agpr, 0
	.set _ZN7rocprim17ROCPRIM_400000_NS6detail17trampoline_kernelINS0_14default_configENS1_38merge_sort_block_merge_config_selectorIilEEZZNS1_27merge_sort_block_merge_implIS3_PiN6thrust23THRUST_200600_302600_NS10device_ptrIlEEjNS1_19radix_merge_compareILb0ELb0EiNS0_19identity_decomposerEEEEE10hipError_tT0_T1_T2_jT3_P12ihipStream_tbPNSt15iterator_traitsISG_E10value_typeEPNSM_ISH_E10value_typeEPSI_NS1_7vsmem_tEENKUlT_SG_SH_SI_E_clIS7_S7_PlSB_EESF_SV_SG_SH_SI_EUlSV_E_NS1_11comp_targetILNS1_3genE8ELNS1_11target_archE1030ELNS1_3gpuE2ELNS1_3repE0EEENS1_48merge_mergepath_partition_config_static_selectorELNS0_4arch9wavefront6targetE1EEEvSH_.numbered_sgpr, 0
	.set _ZN7rocprim17ROCPRIM_400000_NS6detail17trampoline_kernelINS0_14default_configENS1_38merge_sort_block_merge_config_selectorIilEEZZNS1_27merge_sort_block_merge_implIS3_PiN6thrust23THRUST_200600_302600_NS10device_ptrIlEEjNS1_19radix_merge_compareILb0ELb0EiNS0_19identity_decomposerEEEEE10hipError_tT0_T1_T2_jT3_P12ihipStream_tbPNSt15iterator_traitsISG_E10value_typeEPNSM_ISH_E10value_typeEPSI_NS1_7vsmem_tEENKUlT_SG_SH_SI_E_clIS7_S7_PlSB_EESF_SV_SG_SH_SI_EUlSV_E_NS1_11comp_targetILNS1_3genE8ELNS1_11target_archE1030ELNS1_3gpuE2ELNS1_3repE0EEENS1_48merge_mergepath_partition_config_static_selectorELNS0_4arch9wavefront6targetE1EEEvSH_.num_named_barrier, 0
	.set _ZN7rocprim17ROCPRIM_400000_NS6detail17trampoline_kernelINS0_14default_configENS1_38merge_sort_block_merge_config_selectorIilEEZZNS1_27merge_sort_block_merge_implIS3_PiN6thrust23THRUST_200600_302600_NS10device_ptrIlEEjNS1_19radix_merge_compareILb0ELb0EiNS0_19identity_decomposerEEEEE10hipError_tT0_T1_T2_jT3_P12ihipStream_tbPNSt15iterator_traitsISG_E10value_typeEPNSM_ISH_E10value_typeEPSI_NS1_7vsmem_tEENKUlT_SG_SH_SI_E_clIS7_S7_PlSB_EESF_SV_SG_SH_SI_EUlSV_E_NS1_11comp_targetILNS1_3genE8ELNS1_11target_archE1030ELNS1_3gpuE2ELNS1_3repE0EEENS1_48merge_mergepath_partition_config_static_selectorELNS0_4arch9wavefront6targetE1EEEvSH_.private_seg_size, 0
	.set _ZN7rocprim17ROCPRIM_400000_NS6detail17trampoline_kernelINS0_14default_configENS1_38merge_sort_block_merge_config_selectorIilEEZZNS1_27merge_sort_block_merge_implIS3_PiN6thrust23THRUST_200600_302600_NS10device_ptrIlEEjNS1_19radix_merge_compareILb0ELb0EiNS0_19identity_decomposerEEEEE10hipError_tT0_T1_T2_jT3_P12ihipStream_tbPNSt15iterator_traitsISG_E10value_typeEPNSM_ISH_E10value_typeEPSI_NS1_7vsmem_tEENKUlT_SG_SH_SI_E_clIS7_S7_PlSB_EESF_SV_SG_SH_SI_EUlSV_E_NS1_11comp_targetILNS1_3genE8ELNS1_11target_archE1030ELNS1_3gpuE2ELNS1_3repE0EEENS1_48merge_mergepath_partition_config_static_selectorELNS0_4arch9wavefront6targetE1EEEvSH_.uses_vcc, 0
	.set _ZN7rocprim17ROCPRIM_400000_NS6detail17trampoline_kernelINS0_14default_configENS1_38merge_sort_block_merge_config_selectorIilEEZZNS1_27merge_sort_block_merge_implIS3_PiN6thrust23THRUST_200600_302600_NS10device_ptrIlEEjNS1_19radix_merge_compareILb0ELb0EiNS0_19identity_decomposerEEEEE10hipError_tT0_T1_T2_jT3_P12ihipStream_tbPNSt15iterator_traitsISG_E10value_typeEPNSM_ISH_E10value_typeEPSI_NS1_7vsmem_tEENKUlT_SG_SH_SI_E_clIS7_S7_PlSB_EESF_SV_SG_SH_SI_EUlSV_E_NS1_11comp_targetILNS1_3genE8ELNS1_11target_archE1030ELNS1_3gpuE2ELNS1_3repE0EEENS1_48merge_mergepath_partition_config_static_selectorELNS0_4arch9wavefront6targetE1EEEvSH_.uses_flat_scratch, 0
	.set _ZN7rocprim17ROCPRIM_400000_NS6detail17trampoline_kernelINS0_14default_configENS1_38merge_sort_block_merge_config_selectorIilEEZZNS1_27merge_sort_block_merge_implIS3_PiN6thrust23THRUST_200600_302600_NS10device_ptrIlEEjNS1_19radix_merge_compareILb0ELb0EiNS0_19identity_decomposerEEEEE10hipError_tT0_T1_T2_jT3_P12ihipStream_tbPNSt15iterator_traitsISG_E10value_typeEPNSM_ISH_E10value_typeEPSI_NS1_7vsmem_tEENKUlT_SG_SH_SI_E_clIS7_S7_PlSB_EESF_SV_SG_SH_SI_EUlSV_E_NS1_11comp_targetILNS1_3genE8ELNS1_11target_archE1030ELNS1_3gpuE2ELNS1_3repE0EEENS1_48merge_mergepath_partition_config_static_selectorELNS0_4arch9wavefront6targetE1EEEvSH_.has_dyn_sized_stack, 0
	.set _ZN7rocprim17ROCPRIM_400000_NS6detail17trampoline_kernelINS0_14default_configENS1_38merge_sort_block_merge_config_selectorIilEEZZNS1_27merge_sort_block_merge_implIS3_PiN6thrust23THRUST_200600_302600_NS10device_ptrIlEEjNS1_19radix_merge_compareILb0ELb0EiNS0_19identity_decomposerEEEEE10hipError_tT0_T1_T2_jT3_P12ihipStream_tbPNSt15iterator_traitsISG_E10value_typeEPNSM_ISH_E10value_typeEPSI_NS1_7vsmem_tEENKUlT_SG_SH_SI_E_clIS7_S7_PlSB_EESF_SV_SG_SH_SI_EUlSV_E_NS1_11comp_targetILNS1_3genE8ELNS1_11target_archE1030ELNS1_3gpuE2ELNS1_3repE0EEENS1_48merge_mergepath_partition_config_static_selectorELNS0_4arch9wavefront6targetE1EEEvSH_.has_recursion, 0
	.set _ZN7rocprim17ROCPRIM_400000_NS6detail17trampoline_kernelINS0_14default_configENS1_38merge_sort_block_merge_config_selectorIilEEZZNS1_27merge_sort_block_merge_implIS3_PiN6thrust23THRUST_200600_302600_NS10device_ptrIlEEjNS1_19radix_merge_compareILb0ELb0EiNS0_19identity_decomposerEEEEE10hipError_tT0_T1_T2_jT3_P12ihipStream_tbPNSt15iterator_traitsISG_E10value_typeEPNSM_ISH_E10value_typeEPSI_NS1_7vsmem_tEENKUlT_SG_SH_SI_E_clIS7_S7_PlSB_EESF_SV_SG_SH_SI_EUlSV_E_NS1_11comp_targetILNS1_3genE8ELNS1_11target_archE1030ELNS1_3gpuE2ELNS1_3repE0EEENS1_48merge_mergepath_partition_config_static_selectorELNS0_4arch9wavefront6targetE1EEEvSH_.has_indirect_call, 0
	.section	.AMDGPU.csdata,"",@progbits
; Kernel info:
; codeLenInByte = 0
; TotalNumSgprs: 4
; NumVgprs: 0
; ScratchSize: 0
; MemoryBound: 0
; FloatMode: 240
; IeeeMode: 1
; LDSByteSize: 0 bytes/workgroup (compile time only)
; SGPRBlocks: 0
; VGPRBlocks: 0
; NumSGPRsForWavesPerEU: 4
; NumVGPRsForWavesPerEU: 1
; Occupancy: 10
; WaveLimiterHint : 0
; COMPUTE_PGM_RSRC2:SCRATCH_EN: 0
; COMPUTE_PGM_RSRC2:USER_SGPR: 6
; COMPUTE_PGM_RSRC2:TRAP_HANDLER: 0
; COMPUTE_PGM_RSRC2:TGID_X_EN: 1
; COMPUTE_PGM_RSRC2:TGID_Y_EN: 0
; COMPUTE_PGM_RSRC2:TGID_Z_EN: 0
; COMPUTE_PGM_RSRC2:TIDIG_COMP_CNT: 0
	.section	.text._ZN7rocprim17ROCPRIM_400000_NS6detail17trampoline_kernelINS0_14default_configENS1_38merge_sort_block_merge_config_selectorIilEEZZNS1_27merge_sort_block_merge_implIS3_PiN6thrust23THRUST_200600_302600_NS10device_ptrIlEEjNS1_19radix_merge_compareILb0ELb0EiNS0_19identity_decomposerEEEEE10hipError_tT0_T1_T2_jT3_P12ihipStream_tbPNSt15iterator_traitsISG_E10value_typeEPNSM_ISH_E10value_typeEPSI_NS1_7vsmem_tEENKUlT_SG_SH_SI_E_clIS7_S7_PlSB_EESF_SV_SG_SH_SI_EUlSV_E0_NS1_11comp_targetILNS1_3genE0ELNS1_11target_archE4294967295ELNS1_3gpuE0ELNS1_3repE0EEENS1_38merge_mergepath_config_static_selectorELNS0_4arch9wavefront6targetE1EEEvSH_,"axG",@progbits,_ZN7rocprim17ROCPRIM_400000_NS6detail17trampoline_kernelINS0_14default_configENS1_38merge_sort_block_merge_config_selectorIilEEZZNS1_27merge_sort_block_merge_implIS3_PiN6thrust23THRUST_200600_302600_NS10device_ptrIlEEjNS1_19radix_merge_compareILb0ELb0EiNS0_19identity_decomposerEEEEE10hipError_tT0_T1_T2_jT3_P12ihipStream_tbPNSt15iterator_traitsISG_E10value_typeEPNSM_ISH_E10value_typeEPSI_NS1_7vsmem_tEENKUlT_SG_SH_SI_E_clIS7_S7_PlSB_EESF_SV_SG_SH_SI_EUlSV_E0_NS1_11comp_targetILNS1_3genE0ELNS1_11target_archE4294967295ELNS1_3gpuE0ELNS1_3repE0EEENS1_38merge_mergepath_config_static_selectorELNS0_4arch9wavefront6targetE1EEEvSH_,comdat
	.protected	_ZN7rocprim17ROCPRIM_400000_NS6detail17trampoline_kernelINS0_14default_configENS1_38merge_sort_block_merge_config_selectorIilEEZZNS1_27merge_sort_block_merge_implIS3_PiN6thrust23THRUST_200600_302600_NS10device_ptrIlEEjNS1_19radix_merge_compareILb0ELb0EiNS0_19identity_decomposerEEEEE10hipError_tT0_T1_T2_jT3_P12ihipStream_tbPNSt15iterator_traitsISG_E10value_typeEPNSM_ISH_E10value_typeEPSI_NS1_7vsmem_tEENKUlT_SG_SH_SI_E_clIS7_S7_PlSB_EESF_SV_SG_SH_SI_EUlSV_E0_NS1_11comp_targetILNS1_3genE0ELNS1_11target_archE4294967295ELNS1_3gpuE0ELNS1_3repE0EEENS1_38merge_mergepath_config_static_selectorELNS0_4arch9wavefront6targetE1EEEvSH_ ; -- Begin function _ZN7rocprim17ROCPRIM_400000_NS6detail17trampoline_kernelINS0_14default_configENS1_38merge_sort_block_merge_config_selectorIilEEZZNS1_27merge_sort_block_merge_implIS3_PiN6thrust23THRUST_200600_302600_NS10device_ptrIlEEjNS1_19radix_merge_compareILb0ELb0EiNS0_19identity_decomposerEEEEE10hipError_tT0_T1_T2_jT3_P12ihipStream_tbPNSt15iterator_traitsISG_E10value_typeEPNSM_ISH_E10value_typeEPSI_NS1_7vsmem_tEENKUlT_SG_SH_SI_E_clIS7_S7_PlSB_EESF_SV_SG_SH_SI_EUlSV_E0_NS1_11comp_targetILNS1_3genE0ELNS1_11target_archE4294967295ELNS1_3gpuE0ELNS1_3repE0EEENS1_38merge_mergepath_config_static_selectorELNS0_4arch9wavefront6targetE1EEEvSH_
	.globl	_ZN7rocprim17ROCPRIM_400000_NS6detail17trampoline_kernelINS0_14default_configENS1_38merge_sort_block_merge_config_selectorIilEEZZNS1_27merge_sort_block_merge_implIS3_PiN6thrust23THRUST_200600_302600_NS10device_ptrIlEEjNS1_19radix_merge_compareILb0ELb0EiNS0_19identity_decomposerEEEEE10hipError_tT0_T1_T2_jT3_P12ihipStream_tbPNSt15iterator_traitsISG_E10value_typeEPNSM_ISH_E10value_typeEPSI_NS1_7vsmem_tEENKUlT_SG_SH_SI_E_clIS7_S7_PlSB_EESF_SV_SG_SH_SI_EUlSV_E0_NS1_11comp_targetILNS1_3genE0ELNS1_11target_archE4294967295ELNS1_3gpuE0ELNS1_3repE0EEENS1_38merge_mergepath_config_static_selectorELNS0_4arch9wavefront6targetE1EEEvSH_
	.p2align	8
	.type	_ZN7rocprim17ROCPRIM_400000_NS6detail17trampoline_kernelINS0_14default_configENS1_38merge_sort_block_merge_config_selectorIilEEZZNS1_27merge_sort_block_merge_implIS3_PiN6thrust23THRUST_200600_302600_NS10device_ptrIlEEjNS1_19radix_merge_compareILb0ELb0EiNS0_19identity_decomposerEEEEE10hipError_tT0_T1_T2_jT3_P12ihipStream_tbPNSt15iterator_traitsISG_E10value_typeEPNSM_ISH_E10value_typeEPSI_NS1_7vsmem_tEENKUlT_SG_SH_SI_E_clIS7_S7_PlSB_EESF_SV_SG_SH_SI_EUlSV_E0_NS1_11comp_targetILNS1_3genE0ELNS1_11target_archE4294967295ELNS1_3gpuE0ELNS1_3repE0EEENS1_38merge_mergepath_config_static_selectorELNS0_4arch9wavefront6targetE1EEEvSH_,@function
_ZN7rocprim17ROCPRIM_400000_NS6detail17trampoline_kernelINS0_14default_configENS1_38merge_sort_block_merge_config_selectorIilEEZZNS1_27merge_sort_block_merge_implIS3_PiN6thrust23THRUST_200600_302600_NS10device_ptrIlEEjNS1_19radix_merge_compareILb0ELb0EiNS0_19identity_decomposerEEEEE10hipError_tT0_T1_T2_jT3_P12ihipStream_tbPNSt15iterator_traitsISG_E10value_typeEPNSM_ISH_E10value_typeEPSI_NS1_7vsmem_tEENKUlT_SG_SH_SI_E_clIS7_S7_PlSB_EESF_SV_SG_SH_SI_EUlSV_E0_NS1_11comp_targetILNS1_3genE0ELNS1_11target_archE4294967295ELNS1_3gpuE0ELNS1_3repE0EEENS1_38merge_mergepath_config_static_selectorELNS0_4arch9wavefront6targetE1EEEvSH_: ; @_ZN7rocprim17ROCPRIM_400000_NS6detail17trampoline_kernelINS0_14default_configENS1_38merge_sort_block_merge_config_selectorIilEEZZNS1_27merge_sort_block_merge_implIS3_PiN6thrust23THRUST_200600_302600_NS10device_ptrIlEEjNS1_19radix_merge_compareILb0ELb0EiNS0_19identity_decomposerEEEEE10hipError_tT0_T1_T2_jT3_P12ihipStream_tbPNSt15iterator_traitsISG_E10value_typeEPNSM_ISH_E10value_typeEPSI_NS1_7vsmem_tEENKUlT_SG_SH_SI_E_clIS7_S7_PlSB_EESF_SV_SG_SH_SI_EUlSV_E0_NS1_11comp_targetILNS1_3genE0ELNS1_11target_archE4294967295ELNS1_3gpuE0ELNS1_3repE0EEENS1_38merge_mergepath_config_static_selectorELNS0_4arch9wavefront6targetE1EEEvSH_
; %bb.0:
	.section	.rodata,"a",@progbits
	.p2align	6, 0x0
	.amdhsa_kernel _ZN7rocprim17ROCPRIM_400000_NS6detail17trampoline_kernelINS0_14default_configENS1_38merge_sort_block_merge_config_selectorIilEEZZNS1_27merge_sort_block_merge_implIS3_PiN6thrust23THRUST_200600_302600_NS10device_ptrIlEEjNS1_19radix_merge_compareILb0ELb0EiNS0_19identity_decomposerEEEEE10hipError_tT0_T1_T2_jT3_P12ihipStream_tbPNSt15iterator_traitsISG_E10value_typeEPNSM_ISH_E10value_typeEPSI_NS1_7vsmem_tEENKUlT_SG_SH_SI_E_clIS7_S7_PlSB_EESF_SV_SG_SH_SI_EUlSV_E0_NS1_11comp_targetILNS1_3genE0ELNS1_11target_archE4294967295ELNS1_3gpuE0ELNS1_3repE0EEENS1_38merge_mergepath_config_static_selectorELNS0_4arch9wavefront6targetE1EEEvSH_
		.amdhsa_group_segment_fixed_size 0
		.amdhsa_private_segment_fixed_size 0
		.amdhsa_kernarg_size 64
		.amdhsa_user_sgpr_count 6
		.amdhsa_user_sgpr_private_segment_buffer 1
		.amdhsa_user_sgpr_dispatch_ptr 0
		.amdhsa_user_sgpr_queue_ptr 0
		.amdhsa_user_sgpr_kernarg_segment_ptr 1
		.amdhsa_user_sgpr_dispatch_id 0
		.amdhsa_user_sgpr_flat_scratch_init 0
		.amdhsa_user_sgpr_private_segment_size 0
		.amdhsa_uses_dynamic_stack 0
		.amdhsa_system_sgpr_private_segment_wavefront_offset 0
		.amdhsa_system_sgpr_workgroup_id_x 1
		.amdhsa_system_sgpr_workgroup_id_y 0
		.amdhsa_system_sgpr_workgroup_id_z 0
		.amdhsa_system_sgpr_workgroup_info 0
		.amdhsa_system_vgpr_workitem_id 0
		.amdhsa_next_free_vgpr 1
		.amdhsa_next_free_sgpr 0
		.amdhsa_reserve_vcc 0
		.amdhsa_reserve_flat_scratch 0
		.amdhsa_float_round_mode_32 0
		.amdhsa_float_round_mode_16_64 0
		.amdhsa_float_denorm_mode_32 3
		.amdhsa_float_denorm_mode_16_64 3
		.amdhsa_dx10_clamp 1
		.amdhsa_ieee_mode 1
		.amdhsa_fp16_overflow 0
		.amdhsa_exception_fp_ieee_invalid_op 0
		.amdhsa_exception_fp_denorm_src 0
		.amdhsa_exception_fp_ieee_div_zero 0
		.amdhsa_exception_fp_ieee_overflow 0
		.amdhsa_exception_fp_ieee_underflow 0
		.amdhsa_exception_fp_ieee_inexact 0
		.amdhsa_exception_int_div_zero 0
	.end_amdhsa_kernel
	.section	.text._ZN7rocprim17ROCPRIM_400000_NS6detail17trampoline_kernelINS0_14default_configENS1_38merge_sort_block_merge_config_selectorIilEEZZNS1_27merge_sort_block_merge_implIS3_PiN6thrust23THRUST_200600_302600_NS10device_ptrIlEEjNS1_19radix_merge_compareILb0ELb0EiNS0_19identity_decomposerEEEEE10hipError_tT0_T1_T2_jT3_P12ihipStream_tbPNSt15iterator_traitsISG_E10value_typeEPNSM_ISH_E10value_typeEPSI_NS1_7vsmem_tEENKUlT_SG_SH_SI_E_clIS7_S7_PlSB_EESF_SV_SG_SH_SI_EUlSV_E0_NS1_11comp_targetILNS1_3genE0ELNS1_11target_archE4294967295ELNS1_3gpuE0ELNS1_3repE0EEENS1_38merge_mergepath_config_static_selectorELNS0_4arch9wavefront6targetE1EEEvSH_,"axG",@progbits,_ZN7rocprim17ROCPRIM_400000_NS6detail17trampoline_kernelINS0_14default_configENS1_38merge_sort_block_merge_config_selectorIilEEZZNS1_27merge_sort_block_merge_implIS3_PiN6thrust23THRUST_200600_302600_NS10device_ptrIlEEjNS1_19radix_merge_compareILb0ELb0EiNS0_19identity_decomposerEEEEE10hipError_tT0_T1_T2_jT3_P12ihipStream_tbPNSt15iterator_traitsISG_E10value_typeEPNSM_ISH_E10value_typeEPSI_NS1_7vsmem_tEENKUlT_SG_SH_SI_E_clIS7_S7_PlSB_EESF_SV_SG_SH_SI_EUlSV_E0_NS1_11comp_targetILNS1_3genE0ELNS1_11target_archE4294967295ELNS1_3gpuE0ELNS1_3repE0EEENS1_38merge_mergepath_config_static_selectorELNS0_4arch9wavefront6targetE1EEEvSH_,comdat
.Lfunc_end752:
	.size	_ZN7rocprim17ROCPRIM_400000_NS6detail17trampoline_kernelINS0_14default_configENS1_38merge_sort_block_merge_config_selectorIilEEZZNS1_27merge_sort_block_merge_implIS3_PiN6thrust23THRUST_200600_302600_NS10device_ptrIlEEjNS1_19radix_merge_compareILb0ELb0EiNS0_19identity_decomposerEEEEE10hipError_tT0_T1_T2_jT3_P12ihipStream_tbPNSt15iterator_traitsISG_E10value_typeEPNSM_ISH_E10value_typeEPSI_NS1_7vsmem_tEENKUlT_SG_SH_SI_E_clIS7_S7_PlSB_EESF_SV_SG_SH_SI_EUlSV_E0_NS1_11comp_targetILNS1_3genE0ELNS1_11target_archE4294967295ELNS1_3gpuE0ELNS1_3repE0EEENS1_38merge_mergepath_config_static_selectorELNS0_4arch9wavefront6targetE1EEEvSH_, .Lfunc_end752-_ZN7rocprim17ROCPRIM_400000_NS6detail17trampoline_kernelINS0_14default_configENS1_38merge_sort_block_merge_config_selectorIilEEZZNS1_27merge_sort_block_merge_implIS3_PiN6thrust23THRUST_200600_302600_NS10device_ptrIlEEjNS1_19radix_merge_compareILb0ELb0EiNS0_19identity_decomposerEEEEE10hipError_tT0_T1_T2_jT3_P12ihipStream_tbPNSt15iterator_traitsISG_E10value_typeEPNSM_ISH_E10value_typeEPSI_NS1_7vsmem_tEENKUlT_SG_SH_SI_E_clIS7_S7_PlSB_EESF_SV_SG_SH_SI_EUlSV_E0_NS1_11comp_targetILNS1_3genE0ELNS1_11target_archE4294967295ELNS1_3gpuE0ELNS1_3repE0EEENS1_38merge_mergepath_config_static_selectorELNS0_4arch9wavefront6targetE1EEEvSH_
                                        ; -- End function
	.set _ZN7rocprim17ROCPRIM_400000_NS6detail17trampoline_kernelINS0_14default_configENS1_38merge_sort_block_merge_config_selectorIilEEZZNS1_27merge_sort_block_merge_implIS3_PiN6thrust23THRUST_200600_302600_NS10device_ptrIlEEjNS1_19radix_merge_compareILb0ELb0EiNS0_19identity_decomposerEEEEE10hipError_tT0_T1_T2_jT3_P12ihipStream_tbPNSt15iterator_traitsISG_E10value_typeEPNSM_ISH_E10value_typeEPSI_NS1_7vsmem_tEENKUlT_SG_SH_SI_E_clIS7_S7_PlSB_EESF_SV_SG_SH_SI_EUlSV_E0_NS1_11comp_targetILNS1_3genE0ELNS1_11target_archE4294967295ELNS1_3gpuE0ELNS1_3repE0EEENS1_38merge_mergepath_config_static_selectorELNS0_4arch9wavefront6targetE1EEEvSH_.num_vgpr, 0
	.set _ZN7rocprim17ROCPRIM_400000_NS6detail17trampoline_kernelINS0_14default_configENS1_38merge_sort_block_merge_config_selectorIilEEZZNS1_27merge_sort_block_merge_implIS3_PiN6thrust23THRUST_200600_302600_NS10device_ptrIlEEjNS1_19radix_merge_compareILb0ELb0EiNS0_19identity_decomposerEEEEE10hipError_tT0_T1_T2_jT3_P12ihipStream_tbPNSt15iterator_traitsISG_E10value_typeEPNSM_ISH_E10value_typeEPSI_NS1_7vsmem_tEENKUlT_SG_SH_SI_E_clIS7_S7_PlSB_EESF_SV_SG_SH_SI_EUlSV_E0_NS1_11comp_targetILNS1_3genE0ELNS1_11target_archE4294967295ELNS1_3gpuE0ELNS1_3repE0EEENS1_38merge_mergepath_config_static_selectorELNS0_4arch9wavefront6targetE1EEEvSH_.num_agpr, 0
	.set _ZN7rocprim17ROCPRIM_400000_NS6detail17trampoline_kernelINS0_14default_configENS1_38merge_sort_block_merge_config_selectorIilEEZZNS1_27merge_sort_block_merge_implIS3_PiN6thrust23THRUST_200600_302600_NS10device_ptrIlEEjNS1_19radix_merge_compareILb0ELb0EiNS0_19identity_decomposerEEEEE10hipError_tT0_T1_T2_jT3_P12ihipStream_tbPNSt15iterator_traitsISG_E10value_typeEPNSM_ISH_E10value_typeEPSI_NS1_7vsmem_tEENKUlT_SG_SH_SI_E_clIS7_S7_PlSB_EESF_SV_SG_SH_SI_EUlSV_E0_NS1_11comp_targetILNS1_3genE0ELNS1_11target_archE4294967295ELNS1_3gpuE0ELNS1_3repE0EEENS1_38merge_mergepath_config_static_selectorELNS0_4arch9wavefront6targetE1EEEvSH_.numbered_sgpr, 0
	.set _ZN7rocprim17ROCPRIM_400000_NS6detail17trampoline_kernelINS0_14default_configENS1_38merge_sort_block_merge_config_selectorIilEEZZNS1_27merge_sort_block_merge_implIS3_PiN6thrust23THRUST_200600_302600_NS10device_ptrIlEEjNS1_19radix_merge_compareILb0ELb0EiNS0_19identity_decomposerEEEEE10hipError_tT0_T1_T2_jT3_P12ihipStream_tbPNSt15iterator_traitsISG_E10value_typeEPNSM_ISH_E10value_typeEPSI_NS1_7vsmem_tEENKUlT_SG_SH_SI_E_clIS7_S7_PlSB_EESF_SV_SG_SH_SI_EUlSV_E0_NS1_11comp_targetILNS1_3genE0ELNS1_11target_archE4294967295ELNS1_3gpuE0ELNS1_3repE0EEENS1_38merge_mergepath_config_static_selectorELNS0_4arch9wavefront6targetE1EEEvSH_.num_named_barrier, 0
	.set _ZN7rocprim17ROCPRIM_400000_NS6detail17trampoline_kernelINS0_14default_configENS1_38merge_sort_block_merge_config_selectorIilEEZZNS1_27merge_sort_block_merge_implIS3_PiN6thrust23THRUST_200600_302600_NS10device_ptrIlEEjNS1_19radix_merge_compareILb0ELb0EiNS0_19identity_decomposerEEEEE10hipError_tT0_T1_T2_jT3_P12ihipStream_tbPNSt15iterator_traitsISG_E10value_typeEPNSM_ISH_E10value_typeEPSI_NS1_7vsmem_tEENKUlT_SG_SH_SI_E_clIS7_S7_PlSB_EESF_SV_SG_SH_SI_EUlSV_E0_NS1_11comp_targetILNS1_3genE0ELNS1_11target_archE4294967295ELNS1_3gpuE0ELNS1_3repE0EEENS1_38merge_mergepath_config_static_selectorELNS0_4arch9wavefront6targetE1EEEvSH_.private_seg_size, 0
	.set _ZN7rocprim17ROCPRIM_400000_NS6detail17trampoline_kernelINS0_14default_configENS1_38merge_sort_block_merge_config_selectorIilEEZZNS1_27merge_sort_block_merge_implIS3_PiN6thrust23THRUST_200600_302600_NS10device_ptrIlEEjNS1_19radix_merge_compareILb0ELb0EiNS0_19identity_decomposerEEEEE10hipError_tT0_T1_T2_jT3_P12ihipStream_tbPNSt15iterator_traitsISG_E10value_typeEPNSM_ISH_E10value_typeEPSI_NS1_7vsmem_tEENKUlT_SG_SH_SI_E_clIS7_S7_PlSB_EESF_SV_SG_SH_SI_EUlSV_E0_NS1_11comp_targetILNS1_3genE0ELNS1_11target_archE4294967295ELNS1_3gpuE0ELNS1_3repE0EEENS1_38merge_mergepath_config_static_selectorELNS0_4arch9wavefront6targetE1EEEvSH_.uses_vcc, 0
	.set _ZN7rocprim17ROCPRIM_400000_NS6detail17trampoline_kernelINS0_14default_configENS1_38merge_sort_block_merge_config_selectorIilEEZZNS1_27merge_sort_block_merge_implIS3_PiN6thrust23THRUST_200600_302600_NS10device_ptrIlEEjNS1_19radix_merge_compareILb0ELb0EiNS0_19identity_decomposerEEEEE10hipError_tT0_T1_T2_jT3_P12ihipStream_tbPNSt15iterator_traitsISG_E10value_typeEPNSM_ISH_E10value_typeEPSI_NS1_7vsmem_tEENKUlT_SG_SH_SI_E_clIS7_S7_PlSB_EESF_SV_SG_SH_SI_EUlSV_E0_NS1_11comp_targetILNS1_3genE0ELNS1_11target_archE4294967295ELNS1_3gpuE0ELNS1_3repE0EEENS1_38merge_mergepath_config_static_selectorELNS0_4arch9wavefront6targetE1EEEvSH_.uses_flat_scratch, 0
	.set _ZN7rocprim17ROCPRIM_400000_NS6detail17trampoline_kernelINS0_14default_configENS1_38merge_sort_block_merge_config_selectorIilEEZZNS1_27merge_sort_block_merge_implIS3_PiN6thrust23THRUST_200600_302600_NS10device_ptrIlEEjNS1_19radix_merge_compareILb0ELb0EiNS0_19identity_decomposerEEEEE10hipError_tT0_T1_T2_jT3_P12ihipStream_tbPNSt15iterator_traitsISG_E10value_typeEPNSM_ISH_E10value_typeEPSI_NS1_7vsmem_tEENKUlT_SG_SH_SI_E_clIS7_S7_PlSB_EESF_SV_SG_SH_SI_EUlSV_E0_NS1_11comp_targetILNS1_3genE0ELNS1_11target_archE4294967295ELNS1_3gpuE0ELNS1_3repE0EEENS1_38merge_mergepath_config_static_selectorELNS0_4arch9wavefront6targetE1EEEvSH_.has_dyn_sized_stack, 0
	.set _ZN7rocprim17ROCPRIM_400000_NS6detail17trampoline_kernelINS0_14default_configENS1_38merge_sort_block_merge_config_selectorIilEEZZNS1_27merge_sort_block_merge_implIS3_PiN6thrust23THRUST_200600_302600_NS10device_ptrIlEEjNS1_19radix_merge_compareILb0ELb0EiNS0_19identity_decomposerEEEEE10hipError_tT0_T1_T2_jT3_P12ihipStream_tbPNSt15iterator_traitsISG_E10value_typeEPNSM_ISH_E10value_typeEPSI_NS1_7vsmem_tEENKUlT_SG_SH_SI_E_clIS7_S7_PlSB_EESF_SV_SG_SH_SI_EUlSV_E0_NS1_11comp_targetILNS1_3genE0ELNS1_11target_archE4294967295ELNS1_3gpuE0ELNS1_3repE0EEENS1_38merge_mergepath_config_static_selectorELNS0_4arch9wavefront6targetE1EEEvSH_.has_recursion, 0
	.set _ZN7rocprim17ROCPRIM_400000_NS6detail17trampoline_kernelINS0_14default_configENS1_38merge_sort_block_merge_config_selectorIilEEZZNS1_27merge_sort_block_merge_implIS3_PiN6thrust23THRUST_200600_302600_NS10device_ptrIlEEjNS1_19radix_merge_compareILb0ELb0EiNS0_19identity_decomposerEEEEE10hipError_tT0_T1_T2_jT3_P12ihipStream_tbPNSt15iterator_traitsISG_E10value_typeEPNSM_ISH_E10value_typeEPSI_NS1_7vsmem_tEENKUlT_SG_SH_SI_E_clIS7_S7_PlSB_EESF_SV_SG_SH_SI_EUlSV_E0_NS1_11comp_targetILNS1_3genE0ELNS1_11target_archE4294967295ELNS1_3gpuE0ELNS1_3repE0EEENS1_38merge_mergepath_config_static_selectorELNS0_4arch9wavefront6targetE1EEEvSH_.has_indirect_call, 0
	.section	.AMDGPU.csdata,"",@progbits
; Kernel info:
; codeLenInByte = 0
; TotalNumSgprs: 4
; NumVgprs: 0
; ScratchSize: 0
; MemoryBound: 0
; FloatMode: 240
; IeeeMode: 1
; LDSByteSize: 0 bytes/workgroup (compile time only)
; SGPRBlocks: 0
; VGPRBlocks: 0
; NumSGPRsForWavesPerEU: 4
; NumVGPRsForWavesPerEU: 1
; Occupancy: 10
; WaveLimiterHint : 0
; COMPUTE_PGM_RSRC2:SCRATCH_EN: 0
; COMPUTE_PGM_RSRC2:USER_SGPR: 6
; COMPUTE_PGM_RSRC2:TRAP_HANDLER: 0
; COMPUTE_PGM_RSRC2:TGID_X_EN: 1
; COMPUTE_PGM_RSRC2:TGID_Y_EN: 0
; COMPUTE_PGM_RSRC2:TGID_Z_EN: 0
; COMPUTE_PGM_RSRC2:TIDIG_COMP_CNT: 0
	.section	.text._ZN7rocprim17ROCPRIM_400000_NS6detail17trampoline_kernelINS0_14default_configENS1_38merge_sort_block_merge_config_selectorIilEEZZNS1_27merge_sort_block_merge_implIS3_PiN6thrust23THRUST_200600_302600_NS10device_ptrIlEEjNS1_19radix_merge_compareILb0ELb0EiNS0_19identity_decomposerEEEEE10hipError_tT0_T1_T2_jT3_P12ihipStream_tbPNSt15iterator_traitsISG_E10value_typeEPNSM_ISH_E10value_typeEPSI_NS1_7vsmem_tEENKUlT_SG_SH_SI_E_clIS7_S7_PlSB_EESF_SV_SG_SH_SI_EUlSV_E0_NS1_11comp_targetILNS1_3genE10ELNS1_11target_archE1201ELNS1_3gpuE5ELNS1_3repE0EEENS1_38merge_mergepath_config_static_selectorELNS0_4arch9wavefront6targetE1EEEvSH_,"axG",@progbits,_ZN7rocprim17ROCPRIM_400000_NS6detail17trampoline_kernelINS0_14default_configENS1_38merge_sort_block_merge_config_selectorIilEEZZNS1_27merge_sort_block_merge_implIS3_PiN6thrust23THRUST_200600_302600_NS10device_ptrIlEEjNS1_19radix_merge_compareILb0ELb0EiNS0_19identity_decomposerEEEEE10hipError_tT0_T1_T2_jT3_P12ihipStream_tbPNSt15iterator_traitsISG_E10value_typeEPNSM_ISH_E10value_typeEPSI_NS1_7vsmem_tEENKUlT_SG_SH_SI_E_clIS7_S7_PlSB_EESF_SV_SG_SH_SI_EUlSV_E0_NS1_11comp_targetILNS1_3genE10ELNS1_11target_archE1201ELNS1_3gpuE5ELNS1_3repE0EEENS1_38merge_mergepath_config_static_selectorELNS0_4arch9wavefront6targetE1EEEvSH_,comdat
	.protected	_ZN7rocprim17ROCPRIM_400000_NS6detail17trampoline_kernelINS0_14default_configENS1_38merge_sort_block_merge_config_selectorIilEEZZNS1_27merge_sort_block_merge_implIS3_PiN6thrust23THRUST_200600_302600_NS10device_ptrIlEEjNS1_19radix_merge_compareILb0ELb0EiNS0_19identity_decomposerEEEEE10hipError_tT0_T1_T2_jT3_P12ihipStream_tbPNSt15iterator_traitsISG_E10value_typeEPNSM_ISH_E10value_typeEPSI_NS1_7vsmem_tEENKUlT_SG_SH_SI_E_clIS7_S7_PlSB_EESF_SV_SG_SH_SI_EUlSV_E0_NS1_11comp_targetILNS1_3genE10ELNS1_11target_archE1201ELNS1_3gpuE5ELNS1_3repE0EEENS1_38merge_mergepath_config_static_selectorELNS0_4arch9wavefront6targetE1EEEvSH_ ; -- Begin function _ZN7rocprim17ROCPRIM_400000_NS6detail17trampoline_kernelINS0_14default_configENS1_38merge_sort_block_merge_config_selectorIilEEZZNS1_27merge_sort_block_merge_implIS3_PiN6thrust23THRUST_200600_302600_NS10device_ptrIlEEjNS1_19radix_merge_compareILb0ELb0EiNS0_19identity_decomposerEEEEE10hipError_tT0_T1_T2_jT3_P12ihipStream_tbPNSt15iterator_traitsISG_E10value_typeEPNSM_ISH_E10value_typeEPSI_NS1_7vsmem_tEENKUlT_SG_SH_SI_E_clIS7_S7_PlSB_EESF_SV_SG_SH_SI_EUlSV_E0_NS1_11comp_targetILNS1_3genE10ELNS1_11target_archE1201ELNS1_3gpuE5ELNS1_3repE0EEENS1_38merge_mergepath_config_static_selectorELNS0_4arch9wavefront6targetE1EEEvSH_
	.globl	_ZN7rocprim17ROCPRIM_400000_NS6detail17trampoline_kernelINS0_14default_configENS1_38merge_sort_block_merge_config_selectorIilEEZZNS1_27merge_sort_block_merge_implIS3_PiN6thrust23THRUST_200600_302600_NS10device_ptrIlEEjNS1_19radix_merge_compareILb0ELb0EiNS0_19identity_decomposerEEEEE10hipError_tT0_T1_T2_jT3_P12ihipStream_tbPNSt15iterator_traitsISG_E10value_typeEPNSM_ISH_E10value_typeEPSI_NS1_7vsmem_tEENKUlT_SG_SH_SI_E_clIS7_S7_PlSB_EESF_SV_SG_SH_SI_EUlSV_E0_NS1_11comp_targetILNS1_3genE10ELNS1_11target_archE1201ELNS1_3gpuE5ELNS1_3repE0EEENS1_38merge_mergepath_config_static_selectorELNS0_4arch9wavefront6targetE1EEEvSH_
	.p2align	8
	.type	_ZN7rocprim17ROCPRIM_400000_NS6detail17trampoline_kernelINS0_14default_configENS1_38merge_sort_block_merge_config_selectorIilEEZZNS1_27merge_sort_block_merge_implIS3_PiN6thrust23THRUST_200600_302600_NS10device_ptrIlEEjNS1_19radix_merge_compareILb0ELb0EiNS0_19identity_decomposerEEEEE10hipError_tT0_T1_T2_jT3_P12ihipStream_tbPNSt15iterator_traitsISG_E10value_typeEPNSM_ISH_E10value_typeEPSI_NS1_7vsmem_tEENKUlT_SG_SH_SI_E_clIS7_S7_PlSB_EESF_SV_SG_SH_SI_EUlSV_E0_NS1_11comp_targetILNS1_3genE10ELNS1_11target_archE1201ELNS1_3gpuE5ELNS1_3repE0EEENS1_38merge_mergepath_config_static_selectorELNS0_4arch9wavefront6targetE1EEEvSH_,@function
_ZN7rocprim17ROCPRIM_400000_NS6detail17trampoline_kernelINS0_14default_configENS1_38merge_sort_block_merge_config_selectorIilEEZZNS1_27merge_sort_block_merge_implIS3_PiN6thrust23THRUST_200600_302600_NS10device_ptrIlEEjNS1_19radix_merge_compareILb0ELb0EiNS0_19identity_decomposerEEEEE10hipError_tT0_T1_T2_jT3_P12ihipStream_tbPNSt15iterator_traitsISG_E10value_typeEPNSM_ISH_E10value_typeEPSI_NS1_7vsmem_tEENKUlT_SG_SH_SI_E_clIS7_S7_PlSB_EESF_SV_SG_SH_SI_EUlSV_E0_NS1_11comp_targetILNS1_3genE10ELNS1_11target_archE1201ELNS1_3gpuE5ELNS1_3repE0EEENS1_38merge_mergepath_config_static_selectorELNS0_4arch9wavefront6targetE1EEEvSH_: ; @_ZN7rocprim17ROCPRIM_400000_NS6detail17trampoline_kernelINS0_14default_configENS1_38merge_sort_block_merge_config_selectorIilEEZZNS1_27merge_sort_block_merge_implIS3_PiN6thrust23THRUST_200600_302600_NS10device_ptrIlEEjNS1_19radix_merge_compareILb0ELb0EiNS0_19identity_decomposerEEEEE10hipError_tT0_T1_T2_jT3_P12ihipStream_tbPNSt15iterator_traitsISG_E10value_typeEPNSM_ISH_E10value_typeEPSI_NS1_7vsmem_tEENKUlT_SG_SH_SI_E_clIS7_S7_PlSB_EESF_SV_SG_SH_SI_EUlSV_E0_NS1_11comp_targetILNS1_3genE10ELNS1_11target_archE1201ELNS1_3gpuE5ELNS1_3repE0EEENS1_38merge_mergepath_config_static_selectorELNS0_4arch9wavefront6targetE1EEEvSH_
; %bb.0:
	.section	.rodata,"a",@progbits
	.p2align	6, 0x0
	.amdhsa_kernel _ZN7rocprim17ROCPRIM_400000_NS6detail17trampoline_kernelINS0_14default_configENS1_38merge_sort_block_merge_config_selectorIilEEZZNS1_27merge_sort_block_merge_implIS3_PiN6thrust23THRUST_200600_302600_NS10device_ptrIlEEjNS1_19radix_merge_compareILb0ELb0EiNS0_19identity_decomposerEEEEE10hipError_tT0_T1_T2_jT3_P12ihipStream_tbPNSt15iterator_traitsISG_E10value_typeEPNSM_ISH_E10value_typeEPSI_NS1_7vsmem_tEENKUlT_SG_SH_SI_E_clIS7_S7_PlSB_EESF_SV_SG_SH_SI_EUlSV_E0_NS1_11comp_targetILNS1_3genE10ELNS1_11target_archE1201ELNS1_3gpuE5ELNS1_3repE0EEENS1_38merge_mergepath_config_static_selectorELNS0_4arch9wavefront6targetE1EEEvSH_
		.amdhsa_group_segment_fixed_size 0
		.amdhsa_private_segment_fixed_size 0
		.amdhsa_kernarg_size 64
		.amdhsa_user_sgpr_count 6
		.amdhsa_user_sgpr_private_segment_buffer 1
		.amdhsa_user_sgpr_dispatch_ptr 0
		.amdhsa_user_sgpr_queue_ptr 0
		.amdhsa_user_sgpr_kernarg_segment_ptr 1
		.amdhsa_user_sgpr_dispatch_id 0
		.amdhsa_user_sgpr_flat_scratch_init 0
		.amdhsa_user_sgpr_private_segment_size 0
		.amdhsa_uses_dynamic_stack 0
		.amdhsa_system_sgpr_private_segment_wavefront_offset 0
		.amdhsa_system_sgpr_workgroup_id_x 1
		.amdhsa_system_sgpr_workgroup_id_y 0
		.amdhsa_system_sgpr_workgroup_id_z 0
		.amdhsa_system_sgpr_workgroup_info 0
		.amdhsa_system_vgpr_workitem_id 0
		.amdhsa_next_free_vgpr 1
		.amdhsa_next_free_sgpr 0
		.amdhsa_reserve_vcc 0
		.amdhsa_reserve_flat_scratch 0
		.amdhsa_float_round_mode_32 0
		.amdhsa_float_round_mode_16_64 0
		.amdhsa_float_denorm_mode_32 3
		.amdhsa_float_denorm_mode_16_64 3
		.amdhsa_dx10_clamp 1
		.amdhsa_ieee_mode 1
		.amdhsa_fp16_overflow 0
		.amdhsa_exception_fp_ieee_invalid_op 0
		.amdhsa_exception_fp_denorm_src 0
		.amdhsa_exception_fp_ieee_div_zero 0
		.amdhsa_exception_fp_ieee_overflow 0
		.amdhsa_exception_fp_ieee_underflow 0
		.amdhsa_exception_fp_ieee_inexact 0
		.amdhsa_exception_int_div_zero 0
	.end_amdhsa_kernel
	.section	.text._ZN7rocprim17ROCPRIM_400000_NS6detail17trampoline_kernelINS0_14default_configENS1_38merge_sort_block_merge_config_selectorIilEEZZNS1_27merge_sort_block_merge_implIS3_PiN6thrust23THRUST_200600_302600_NS10device_ptrIlEEjNS1_19radix_merge_compareILb0ELb0EiNS0_19identity_decomposerEEEEE10hipError_tT0_T1_T2_jT3_P12ihipStream_tbPNSt15iterator_traitsISG_E10value_typeEPNSM_ISH_E10value_typeEPSI_NS1_7vsmem_tEENKUlT_SG_SH_SI_E_clIS7_S7_PlSB_EESF_SV_SG_SH_SI_EUlSV_E0_NS1_11comp_targetILNS1_3genE10ELNS1_11target_archE1201ELNS1_3gpuE5ELNS1_3repE0EEENS1_38merge_mergepath_config_static_selectorELNS0_4arch9wavefront6targetE1EEEvSH_,"axG",@progbits,_ZN7rocprim17ROCPRIM_400000_NS6detail17trampoline_kernelINS0_14default_configENS1_38merge_sort_block_merge_config_selectorIilEEZZNS1_27merge_sort_block_merge_implIS3_PiN6thrust23THRUST_200600_302600_NS10device_ptrIlEEjNS1_19radix_merge_compareILb0ELb0EiNS0_19identity_decomposerEEEEE10hipError_tT0_T1_T2_jT3_P12ihipStream_tbPNSt15iterator_traitsISG_E10value_typeEPNSM_ISH_E10value_typeEPSI_NS1_7vsmem_tEENKUlT_SG_SH_SI_E_clIS7_S7_PlSB_EESF_SV_SG_SH_SI_EUlSV_E0_NS1_11comp_targetILNS1_3genE10ELNS1_11target_archE1201ELNS1_3gpuE5ELNS1_3repE0EEENS1_38merge_mergepath_config_static_selectorELNS0_4arch9wavefront6targetE1EEEvSH_,comdat
.Lfunc_end753:
	.size	_ZN7rocprim17ROCPRIM_400000_NS6detail17trampoline_kernelINS0_14default_configENS1_38merge_sort_block_merge_config_selectorIilEEZZNS1_27merge_sort_block_merge_implIS3_PiN6thrust23THRUST_200600_302600_NS10device_ptrIlEEjNS1_19radix_merge_compareILb0ELb0EiNS0_19identity_decomposerEEEEE10hipError_tT0_T1_T2_jT3_P12ihipStream_tbPNSt15iterator_traitsISG_E10value_typeEPNSM_ISH_E10value_typeEPSI_NS1_7vsmem_tEENKUlT_SG_SH_SI_E_clIS7_S7_PlSB_EESF_SV_SG_SH_SI_EUlSV_E0_NS1_11comp_targetILNS1_3genE10ELNS1_11target_archE1201ELNS1_3gpuE5ELNS1_3repE0EEENS1_38merge_mergepath_config_static_selectorELNS0_4arch9wavefront6targetE1EEEvSH_, .Lfunc_end753-_ZN7rocprim17ROCPRIM_400000_NS6detail17trampoline_kernelINS0_14default_configENS1_38merge_sort_block_merge_config_selectorIilEEZZNS1_27merge_sort_block_merge_implIS3_PiN6thrust23THRUST_200600_302600_NS10device_ptrIlEEjNS1_19radix_merge_compareILb0ELb0EiNS0_19identity_decomposerEEEEE10hipError_tT0_T1_T2_jT3_P12ihipStream_tbPNSt15iterator_traitsISG_E10value_typeEPNSM_ISH_E10value_typeEPSI_NS1_7vsmem_tEENKUlT_SG_SH_SI_E_clIS7_S7_PlSB_EESF_SV_SG_SH_SI_EUlSV_E0_NS1_11comp_targetILNS1_3genE10ELNS1_11target_archE1201ELNS1_3gpuE5ELNS1_3repE0EEENS1_38merge_mergepath_config_static_selectorELNS0_4arch9wavefront6targetE1EEEvSH_
                                        ; -- End function
	.set _ZN7rocprim17ROCPRIM_400000_NS6detail17trampoline_kernelINS0_14default_configENS1_38merge_sort_block_merge_config_selectorIilEEZZNS1_27merge_sort_block_merge_implIS3_PiN6thrust23THRUST_200600_302600_NS10device_ptrIlEEjNS1_19radix_merge_compareILb0ELb0EiNS0_19identity_decomposerEEEEE10hipError_tT0_T1_T2_jT3_P12ihipStream_tbPNSt15iterator_traitsISG_E10value_typeEPNSM_ISH_E10value_typeEPSI_NS1_7vsmem_tEENKUlT_SG_SH_SI_E_clIS7_S7_PlSB_EESF_SV_SG_SH_SI_EUlSV_E0_NS1_11comp_targetILNS1_3genE10ELNS1_11target_archE1201ELNS1_3gpuE5ELNS1_3repE0EEENS1_38merge_mergepath_config_static_selectorELNS0_4arch9wavefront6targetE1EEEvSH_.num_vgpr, 0
	.set _ZN7rocprim17ROCPRIM_400000_NS6detail17trampoline_kernelINS0_14default_configENS1_38merge_sort_block_merge_config_selectorIilEEZZNS1_27merge_sort_block_merge_implIS3_PiN6thrust23THRUST_200600_302600_NS10device_ptrIlEEjNS1_19radix_merge_compareILb0ELb0EiNS0_19identity_decomposerEEEEE10hipError_tT0_T1_T2_jT3_P12ihipStream_tbPNSt15iterator_traitsISG_E10value_typeEPNSM_ISH_E10value_typeEPSI_NS1_7vsmem_tEENKUlT_SG_SH_SI_E_clIS7_S7_PlSB_EESF_SV_SG_SH_SI_EUlSV_E0_NS1_11comp_targetILNS1_3genE10ELNS1_11target_archE1201ELNS1_3gpuE5ELNS1_3repE0EEENS1_38merge_mergepath_config_static_selectorELNS0_4arch9wavefront6targetE1EEEvSH_.num_agpr, 0
	.set _ZN7rocprim17ROCPRIM_400000_NS6detail17trampoline_kernelINS0_14default_configENS1_38merge_sort_block_merge_config_selectorIilEEZZNS1_27merge_sort_block_merge_implIS3_PiN6thrust23THRUST_200600_302600_NS10device_ptrIlEEjNS1_19radix_merge_compareILb0ELb0EiNS0_19identity_decomposerEEEEE10hipError_tT0_T1_T2_jT3_P12ihipStream_tbPNSt15iterator_traitsISG_E10value_typeEPNSM_ISH_E10value_typeEPSI_NS1_7vsmem_tEENKUlT_SG_SH_SI_E_clIS7_S7_PlSB_EESF_SV_SG_SH_SI_EUlSV_E0_NS1_11comp_targetILNS1_3genE10ELNS1_11target_archE1201ELNS1_3gpuE5ELNS1_3repE0EEENS1_38merge_mergepath_config_static_selectorELNS0_4arch9wavefront6targetE1EEEvSH_.numbered_sgpr, 0
	.set _ZN7rocprim17ROCPRIM_400000_NS6detail17trampoline_kernelINS0_14default_configENS1_38merge_sort_block_merge_config_selectorIilEEZZNS1_27merge_sort_block_merge_implIS3_PiN6thrust23THRUST_200600_302600_NS10device_ptrIlEEjNS1_19radix_merge_compareILb0ELb0EiNS0_19identity_decomposerEEEEE10hipError_tT0_T1_T2_jT3_P12ihipStream_tbPNSt15iterator_traitsISG_E10value_typeEPNSM_ISH_E10value_typeEPSI_NS1_7vsmem_tEENKUlT_SG_SH_SI_E_clIS7_S7_PlSB_EESF_SV_SG_SH_SI_EUlSV_E0_NS1_11comp_targetILNS1_3genE10ELNS1_11target_archE1201ELNS1_3gpuE5ELNS1_3repE0EEENS1_38merge_mergepath_config_static_selectorELNS0_4arch9wavefront6targetE1EEEvSH_.num_named_barrier, 0
	.set _ZN7rocprim17ROCPRIM_400000_NS6detail17trampoline_kernelINS0_14default_configENS1_38merge_sort_block_merge_config_selectorIilEEZZNS1_27merge_sort_block_merge_implIS3_PiN6thrust23THRUST_200600_302600_NS10device_ptrIlEEjNS1_19radix_merge_compareILb0ELb0EiNS0_19identity_decomposerEEEEE10hipError_tT0_T1_T2_jT3_P12ihipStream_tbPNSt15iterator_traitsISG_E10value_typeEPNSM_ISH_E10value_typeEPSI_NS1_7vsmem_tEENKUlT_SG_SH_SI_E_clIS7_S7_PlSB_EESF_SV_SG_SH_SI_EUlSV_E0_NS1_11comp_targetILNS1_3genE10ELNS1_11target_archE1201ELNS1_3gpuE5ELNS1_3repE0EEENS1_38merge_mergepath_config_static_selectorELNS0_4arch9wavefront6targetE1EEEvSH_.private_seg_size, 0
	.set _ZN7rocprim17ROCPRIM_400000_NS6detail17trampoline_kernelINS0_14default_configENS1_38merge_sort_block_merge_config_selectorIilEEZZNS1_27merge_sort_block_merge_implIS3_PiN6thrust23THRUST_200600_302600_NS10device_ptrIlEEjNS1_19radix_merge_compareILb0ELb0EiNS0_19identity_decomposerEEEEE10hipError_tT0_T1_T2_jT3_P12ihipStream_tbPNSt15iterator_traitsISG_E10value_typeEPNSM_ISH_E10value_typeEPSI_NS1_7vsmem_tEENKUlT_SG_SH_SI_E_clIS7_S7_PlSB_EESF_SV_SG_SH_SI_EUlSV_E0_NS1_11comp_targetILNS1_3genE10ELNS1_11target_archE1201ELNS1_3gpuE5ELNS1_3repE0EEENS1_38merge_mergepath_config_static_selectorELNS0_4arch9wavefront6targetE1EEEvSH_.uses_vcc, 0
	.set _ZN7rocprim17ROCPRIM_400000_NS6detail17trampoline_kernelINS0_14default_configENS1_38merge_sort_block_merge_config_selectorIilEEZZNS1_27merge_sort_block_merge_implIS3_PiN6thrust23THRUST_200600_302600_NS10device_ptrIlEEjNS1_19radix_merge_compareILb0ELb0EiNS0_19identity_decomposerEEEEE10hipError_tT0_T1_T2_jT3_P12ihipStream_tbPNSt15iterator_traitsISG_E10value_typeEPNSM_ISH_E10value_typeEPSI_NS1_7vsmem_tEENKUlT_SG_SH_SI_E_clIS7_S7_PlSB_EESF_SV_SG_SH_SI_EUlSV_E0_NS1_11comp_targetILNS1_3genE10ELNS1_11target_archE1201ELNS1_3gpuE5ELNS1_3repE0EEENS1_38merge_mergepath_config_static_selectorELNS0_4arch9wavefront6targetE1EEEvSH_.uses_flat_scratch, 0
	.set _ZN7rocprim17ROCPRIM_400000_NS6detail17trampoline_kernelINS0_14default_configENS1_38merge_sort_block_merge_config_selectorIilEEZZNS1_27merge_sort_block_merge_implIS3_PiN6thrust23THRUST_200600_302600_NS10device_ptrIlEEjNS1_19radix_merge_compareILb0ELb0EiNS0_19identity_decomposerEEEEE10hipError_tT0_T1_T2_jT3_P12ihipStream_tbPNSt15iterator_traitsISG_E10value_typeEPNSM_ISH_E10value_typeEPSI_NS1_7vsmem_tEENKUlT_SG_SH_SI_E_clIS7_S7_PlSB_EESF_SV_SG_SH_SI_EUlSV_E0_NS1_11comp_targetILNS1_3genE10ELNS1_11target_archE1201ELNS1_3gpuE5ELNS1_3repE0EEENS1_38merge_mergepath_config_static_selectorELNS0_4arch9wavefront6targetE1EEEvSH_.has_dyn_sized_stack, 0
	.set _ZN7rocprim17ROCPRIM_400000_NS6detail17trampoline_kernelINS0_14default_configENS1_38merge_sort_block_merge_config_selectorIilEEZZNS1_27merge_sort_block_merge_implIS3_PiN6thrust23THRUST_200600_302600_NS10device_ptrIlEEjNS1_19radix_merge_compareILb0ELb0EiNS0_19identity_decomposerEEEEE10hipError_tT0_T1_T2_jT3_P12ihipStream_tbPNSt15iterator_traitsISG_E10value_typeEPNSM_ISH_E10value_typeEPSI_NS1_7vsmem_tEENKUlT_SG_SH_SI_E_clIS7_S7_PlSB_EESF_SV_SG_SH_SI_EUlSV_E0_NS1_11comp_targetILNS1_3genE10ELNS1_11target_archE1201ELNS1_3gpuE5ELNS1_3repE0EEENS1_38merge_mergepath_config_static_selectorELNS0_4arch9wavefront6targetE1EEEvSH_.has_recursion, 0
	.set _ZN7rocprim17ROCPRIM_400000_NS6detail17trampoline_kernelINS0_14default_configENS1_38merge_sort_block_merge_config_selectorIilEEZZNS1_27merge_sort_block_merge_implIS3_PiN6thrust23THRUST_200600_302600_NS10device_ptrIlEEjNS1_19radix_merge_compareILb0ELb0EiNS0_19identity_decomposerEEEEE10hipError_tT0_T1_T2_jT3_P12ihipStream_tbPNSt15iterator_traitsISG_E10value_typeEPNSM_ISH_E10value_typeEPSI_NS1_7vsmem_tEENKUlT_SG_SH_SI_E_clIS7_S7_PlSB_EESF_SV_SG_SH_SI_EUlSV_E0_NS1_11comp_targetILNS1_3genE10ELNS1_11target_archE1201ELNS1_3gpuE5ELNS1_3repE0EEENS1_38merge_mergepath_config_static_selectorELNS0_4arch9wavefront6targetE1EEEvSH_.has_indirect_call, 0
	.section	.AMDGPU.csdata,"",@progbits
; Kernel info:
; codeLenInByte = 0
; TotalNumSgprs: 4
; NumVgprs: 0
; ScratchSize: 0
; MemoryBound: 0
; FloatMode: 240
; IeeeMode: 1
; LDSByteSize: 0 bytes/workgroup (compile time only)
; SGPRBlocks: 0
; VGPRBlocks: 0
; NumSGPRsForWavesPerEU: 4
; NumVGPRsForWavesPerEU: 1
; Occupancy: 10
; WaveLimiterHint : 0
; COMPUTE_PGM_RSRC2:SCRATCH_EN: 0
; COMPUTE_PGM_RSRC2:USER_SGPR: 6
; COMPUTE_PGM_RSRC2:TRAP_HANDLER: 0
; COMPUTE_PGM_RSRC2:TGID_X_EN: 1
; COMPUTE_PGM_RSRC2:TGID_Y_EN: 0
; COMPUTE_PGM_RSRC2:TGID_Z_EN: 0
; COMPUTE_PGM_RSRC2:TIDIG_COMP_CNT: 0
	.section	.text._ZN7rocprim17ROCPRIM_400000_NS6detail17trampoline_kernelINS0_14default_configENS1_38merge_sort_block_merge_config_selectorIilEEZZNS1_27merge_sort_block_merge_implIS3_PiN6thrust23THRUST_200600_302600_NS10device_ptrIlEEjNS1_19radix_merge_compareILb0ELb0EiNS0_19identity_decomposerEEEEE10hipError_tT0_T1_T2_jT3_P12ihipStream_tbPNSt15iterator_traitsISG_E10value_typeEPNSM_ISH_E10value_typeEPSI_NS1_7vsmem_tEENKUlT_SG_SH_SI_E_clIS7_S7_PlSB_EESF_SV_SG_SH_SI_EUlSV_E0_NS1_11comp_targetILNS1_3genE5ELNS1_11target_archE942ELNS1_3gpuE9ELNS1_3repE0EEENS1_38merge_mergepath_config_static_selectorELNS0_4arch9wavefront6targetE1EEEvSH_,"axG",@progbits,_ZN7rocprim17ROCPRIM_400000_NS6detail17trampoline_kernelINS0_14default_configENS1_38merge_sort_block_merge_config_selectorIilEEZZNS1_27merge_sort_block_merge_implIS3_PiN6thrust23THRUST_200600_302600_NS10device_ptrIlEEjNS1_19radix_merge_compareILb0ELb0EiNS0_19identity_decomposerEEEEE10hipError_tT0_T1_T2_jT3_P12ihipStream_tbPNSt15iterator_traitsISG_E10value_typeEPNSM_ISH_E10value_typeEPSI_NS1_7vsmem_tEENKUlT_SG_SH_SI_E_clIS7_S7_PlSB_EESF_SV_SG_SH_SI_EUlSV_E0_NS1_11comp_targetILNS1_3genE5ELNS1_11target_archE942ELNS1_3gpuE9ELNS1_3repE0EEENS1_38merge_mergepath_config_static_selectorELNS0_4arch9wavefront6targetE1EEEvSH_,comdat
	.protected	_ZN7rocprim17ROCPRIM_400000_NS6detail17trampoline_kernelINS0_14default_configENS1_38merge_sort_block_merge_config_selectorIilEEZZNS1_27merge_sort_block_merge_implIS3_PiN6thrust23THRUST_200600_302600_NS10device_ptrIlEEjNS1_19radix_merge_compareILb0ELb0EiNS0_19identity_decomposerEEEEE10hipError_tT0_T1_T2_jT3_P12ihipStream_tbPNSt15iterator_traitsISG_E10value_typeEPNSM_ISH_E10value_typeEPSI_NS1_7vsmem_tEENKUlT_SG_SH_SI_E_clIS7_S7_PlSB_EESF_SV_SG_SH_SI_EUlSV_E0_NS1_11comp_targetILNS1_3genE5ELNS1_11target_archE942ELNS1_3gpuE9ELNS1_3repE0EEENS1_38merge_mergepath_config_static_selectorELNS0_4arch9wavefront6targetE1EEEvSH_ ; -- Begin function _ZN7rocprim17ROCPRIM_400000_NS6detail17trampoline_kernelINS0_14default_configENS1_38merge_sort_block_merge_config_selectorIilEEZZNS1_27merge_sort_block_merge_implIS3_PiN6thrust23THRUST_200600_302600_NS10device_ptrIlEEjNS1_19radix_merge_compareILb0ELb0EiNS0_19identity_decomposerEEEEE10hipError_tT0_T1_T2_jT3_P12ihipStream_tbPNSt15iterator_traitsISG_E10value_typeEPNSM_ISH_E10value_typeEPSI_NS1_7vsmem_tEENKUlT_SG_SH_SI_E_clIS7_S7_PlSB_EESF_SV_SG_SH_SI_EUlSV_E0_NS1_11comp_targetILNS1_3genE5ELNS1_11target_archE942ELNS1_3gpuE9ELNS1_3repE0EEENS1_38merge_mergepath_config_static_selectorELNS0_4arch9wavefront6targetE1EEEvSH_
	.globl	_ZN7rocprim17ROCPRIM_400000_NS6detail17trampoline_kernelINS0_14default_configENS1_38merge_sort_block_merge_config_selectorIilEEZZNS1_27merge_sort_block_merge_implIS3_PiN6thrust23THRUST_200600_302600_NS10device_ptrIlEEjNS1_19radix_merge_compareILb0ELb0EiNS0_19identity_decomposerEEEEE10hipError_tT0_T1_T2_jT3_P12ihipStream_tbPNSt15iterator_traitsISG_E10value_typeEPNSM_ISH_E10value_typeEPSI_NS1_7vsmem_tEENKUlT_SG_SH_SI_E_clIS7_S7_PlSB_EESF_SV_SG_SH_SI_EUlSV_E0_NS1_11comp_targetILNS1_3genE5ELNS1_11target_archE942ELNS1_3gpuE9ELNS1_3repE0EEENS1_38merge_mergepath_config_static_selectorELNS0_4arch9wavefront6targetE1EEEvSH_
	.p2align	8
	.type	_ZN7rocprim17ROCPRIM_400000_NS6detail17trampoline_kernelINS0_14default_configENS1_38merge_sort_block_merge_config_selectorIilEEZZNS1_27merge_sort_block_merge_implIS3_PiN6thrust23THRUST_200600_302600_NS10device_ptrIlEEjNS1_19radix_merge_compareILb0ELb0EiNS0_19identity_decomposerEEEEE10hipError_tT0_T1_T2_jT3_P12ihipStream_tbPNSt15iterator_traitsISG_E10value_typeEPNSM_ISH_E10value_typeEPSI_NS1_7vsmem_tEENKUlT_SG_SH_SI_E_clIS7_S7_PlSB_EESF_SV_SG_SH_SI_EUlSV_E0_NS1_11comp_targetILNS1_3genE5ELNS1_11target_archE942ELNS1_3gpuE9ELNS1_3repE0EEENS1_38merge_mergepath_config_static_selectorELNS0_4arch9wavefront6targetE1EEEvSH_,@function
_ZN7rocprim17ROCPRIM_400000_NS6detail17trampoline_kernelINS0_14default_configENS1_38merge_sort_block_merge_config_selectorIilEEZZNS1_27merge_sort_block_merge_implIS3_PiN6thrust23THRUST_200600_302600_NS10device_ptrIlEEjNS1_19radix_merge_compareILb0ELb0EiNS0_19identity_decomposerEEEEE10hipError_tT0_T1_T2_jT3_P12ihipStream_tbPNSt15iterator_traitsISG_E10value_typeEPNSM_ISH_E10value_typeEPSI_NS1_7vsmem_tEENKUlT_SG_SH_SI_E_clIS7_S7_PlSB_EESF_SV_SG_SH_SI_EUlSV_E0_NS1_11comp_targetILNS1_3genE5ELNS1_11target_archE942ELNS1_3gpuE9ELNS1_3repE0EEENS1_38merge_mergepath_config_static_selectorELNS0_4arch9wavefront6targetE1EEEvSH_: ; @_ZN7rocprim17ROCPRIM_400000_NS6detail17trampoline_kernelINS0_14default_configENS1_38merge_sort_block_merge_config_selectorIilEEZZNS1_27merge_sort_block_merge_implIS3_PiN6thrust23THRUST_200600_302600_NS10device_ptrIlEEjNS1_19radix_merge_compareILb0ELb0EiNS0_19identity_decomposerEEEEE10hipError_tT0_T1_T2_jT3_P12ihipStream_tbPNSt15iterator_traitsISG_E10value_typeEPNSM_ISH_E10value_typeEPSI_NS1_7vsmem_tEENKUlT_SG_SH_SI_E_clIS7_S7_PlSB_EESF_SV_SG_SH_SI_EUlSV_E0_NS1_11comp_targetILNS1_3genE5ELNS1_11target_archE942ELNS1_3gpuE9ELNS1_3repE0EEENS1_38merge_mergepath_config_static_selectorELNS0_4arch9wavefront6targetE1EEEvSH_
; %bb.0:
	.section	.rodata,"a",@progbits
	.p2align	6, 0x0
	.amdhsa_kernel _ZN7rocprim17ROCPRIM_400000_NS6detail17trampoline_kernelINS0_14default_configENS1_38merge_sort_block_merge_config_selectorIilEEZZNS1_27merge_sort_block_merge_implIS3_PiN6thrust23THRUST_200600_302600_NS10device_ptrIlEEjNS1_19radix_merge_compareILb0ELb0EiNS0_19identity_decomposerEEEEE10hipError_tT0_T1_T2_jT3_P12ihipStream_tbPNSt15iterator_traitsISG_E10value_typeEPNSM_ISH_E10value_typeEPSI_NS1_7vsmem_tEENKUlT_SG_SH_SI_E_clIS7_S7_PlSB_EESF_SV_SG_SH_SI_EUlSV_E0_NS1_11comp_targetILNS1_3genE5ELNS1_11target_archE942ELNS1_3gpuE9ELNS1_3repE0EEENS1_38merge_mergepath_config_static_selectorELNS0_4arch9wavefront6targetE1EEEvSH_
		.amdhsa_group_segment_fixed_size 0
		.amdhsa_private_segment_fixed_size 0
		.amdhsa_kernarg_size 64
		.amdhsa_user_sgpr_count 6
		.amdhsa_user_sgpr_private_segment_buffer 1
		.amdhsa_user_sgpr_dispatch_ptr 0
		.amdhsa_user_sgpr_queue_ptr 0
		.amdhsa_user_sgpr_kernarg_segment_ptr 1
		.amdhsa_user_sgpr_dispatch_id 0
		.amdhsa_user_sgpr_flat_scratch_init 0
		.amdhsa_user_sgpr_private_segment_size 0
		.amdhsa_uses_dynamic_stack 0
		.amdhsa_system_sgpr_private_segment_wavefront_offset 0
		.amdhsa_system_sgpr_workgroup_id_x 1
		.amdhsa_system_sgpr_workgroup_id_y 0
		.amdhsa_system_sgpr_workgroup_id_z 0
		.amdhsa_system_sgpr_workgroup_info 0
		.amdhsa_system_vgpr_workitem_id 0
		.amdhsa_next_free_vgpr 1
		.amdhsa_next_free_sgpr 0
		.amdhsa_reserve_vcc 0
		.amdhsa_reserve_flat_scratch 0
		.amdhsa_float_round_mode_32 0
		.amdhsa_float_round_mode_16_64 0
		.amdhsa_float_denorm_mode_32 3
		.amdhsa_float_denorm_mode_16_64 3
		.amdhsa_dx10_clamp 1
		.amdhsa_ieee_mode 1
		.amdhsa_fp16_overflow 0
		.amdhsa_exception_fp_ieee_invalid_op 0
		.amdhsa_exception_fp_denorm_src 0
		.amdhsa_exception_fp_ieee_div_zero 0
		.amdhsa_exception_fp_ieee_overflow 0
		.amdhsa_exception_fp_ieee_underflow 0
		.amdhsa_exception_fp_ieee_inexact 0
		.amdhsa_exception_int_div_zero 0
	.end_amdhsa_kernel
	.section	.text._ZN7rocprim17ROCPRIM_400000_NS6detail17trampoline_kernelINS0_14default_configENS1_38merge_sort_block_merge_config_selectorIilEEZZNS1_27merge_sort_block_merge_implIS3_PiN6thrust23THRUST_200600_302600_NS10device_ptrIlEEjNS1_19radix_merge_compareILb0ELb0EiNS0_19identity_decomposerEEEEE10hipError_tT0_T1_T2_jT3_P12ihipStream_tbPNSt15iterator_traitsISG_E10value_typeEPNSM_ISH_E10value_typeEPSI_NS1_7vsmem_tEENKUlT_SG_SH_SI_E_clIS7_S7_PlSB_EESF_SV_SG_SH_SI_EUlSV_E0_NS1_11comp_targetILNS1_3genE5ELNS1_11target_archE942ELNS1_3gpuE9ELNS1_3repE0EEENS1_38merge_mergepath_config_static_selectorELNS0_4arch9wavefront6targetE1EEEvSH_,"axG",@progbits,_ZN7rocprim17ROCPRIM_400000_NS6detail17trampoline_kernelINS0_14default_configENS1_38merge_sort_block_merge_config_selectorIilEEZZNS1_27merge_sort_block_merge_implIS3_PiN6thrust23THRUST_200600_302600_NS10device_ptrIlEEjNS1_19radix_merge_compareILb0ELb0EiNS0_19identity_decomposerEEEEE10hipError_tT0_T1_T2_jT3_P12ihipStream_tbPNSt15iterator_traitsISG_E10value_typeEPNSM_ISH_E10value_typeEPSI_NS1_7vsmem_tEENKUlT_SG_SH_SI_E_clIS7_S7_PlSB_EESF_SV_SG_SH_SI_EUlSV_E0_NS1_11comp_targetILNS1_3genE5ELNS1_11target_archE942ELNS1_3gpuE9ELNS1_3repE0EEENS1_38merge_mergepath_config_static_selectorELNS0_4arch9wavefront6targetE1EEEvSH_,comdat
.Lfunc_end754:
	.size	_ZN7rocprim17ROCPRIM_400000_NS6detail17trampoline_kernelINS0_14default_configENS1_38merge_sort_block_merge_config_selectorIilEEZZNS1_27merge_sort_block_merge_implIS3_PiN6thrust23THRUST_200600_302600_NS10device_ptrIlEEjNS1_19radix_merge_compareILb0ELb0EiNS0_19identity_decomposerEEEEE10hipError_tT0_T1_T2_jT3_P12ihipStream_tbPNSt15iterator_traitsISG_E10value_typeEPNSM_ISH_E10value_typeEPSI_NS1_7vsmem_tEENKUlT_SG_SH_SI_E_clIS7_S7_PlSB_EESF_SV_SG_SH_SI_EUlSV_E0_NS1_11comp_targetILNS1_3genE5ELNS1_11target_archE942ELNS1_3gpuE9ELNS1_3repE0EEENS1_38merge_mergepath_config_static_selectorELNS0_4arch9wavefront6targetE1EEEvSH_, .Lfunc_end754-_ZN7rocprim17ROCPRIM_400000_NS6detail17trampoline_kernelINS0_14default_configENS1_38merge_sort_block_merge_config_selectorIilEEZZNS1_27merge_sort_block_merge_implIS3_PiN6thrust23THRUST_200600_302600_NS10device_ptrIlEEjNS1_19radix_merge_compareILb0ELb0EiNS0_19identity_decomposerEEEEE10hipError_tT0_T1_T2_jT3_P12ihipStream_tbPNSt15iterator_traitsISG_E10value_typeEPNSM_ISH_E10value_typeEPSI_NS1_7vsmem_tEENKUlT_SG_SH_SI_E_clIS7_S7_PlSB_EESF_SV_SG_SH_SI_EUlSV_E0_NS1_11comp_targetILNS1_3genE5ELNS1_11target_archE942ELNS1_3gpuE9ELNS1_3repE0EEENS1_38merge_mergepath_config_static_selectorELNS0_4arch9wavefront6targetE1EEEvSH_
                                        ; -- End function
	.set _ZN7rocprim17ROCPRIM_400000_NS6detail17trampoline_kernelINS0_14default_configENS1_38merge_sort_block_merge_config_selectorIilEEZZNS1_27merge_sort_block_merge_implIS3_PiN6thrust23THRUST_200600_302600_NS10device_ptrIlEEjNS1_19radix_merge_compareILb0ELb0EiNS0_19identity_decomposerEEEEE10hipError_tT0_T1_T2_jT3_P12ihipStream_tbPNSt15iterator_traitsISG_E10value_typeEPNSM_ISH_E10value_typeEPSI_NS1_7vsmem_tEENKUlT_SG_SH_SI_E_clIS7_S7_PlSB_EESF_SV_SG_SH_SI_EUlSV_E0_NS1_11comp_targetILNS1_3genE5ELNS1_11target_archE942ELNS1_3gpuE9ELNS1_3repE0EEENS1_38merge_mergepath_config_static_selectorELNS0_4arch9wavefront6targetE1EEEvSH_.num_vgpr, 0
	.set _ZN7rocprim17ROCPRIM_400000_NS6detail17trampoline_kernelINS0_14default_configENS1_38merge_sort_block_merge_config_selectorIilEEZZNS1_27merge_sort_block_merge_implIS3_PiN6thrust23THRUST_200600_302600_NS10device_ptrIlEEjNS1_19radix_merge_compareILb0ELb0EiNS0_19identity_decomposerEEEEE10hipError_tT0_T1_T2_jT3_P12ihipStream_tbPNSt15iterator_traitsISG_E10value_typeEPNSM_ISH_E10value_typeEPSI_NS1_7vsmem_tEENKUlT_SG_SH_SI_E_clIS7_S7_PlSB_EESF_SV_SG_SH_SI_EUlSV_E0_NS1_11comp_targetILNS1_3genE5ELNS1_11target_archE942ELNS1_3gpuE9ELNS1_3repE0EEENS1_38merge_mergepath_config_static_selectorELNS0_4arch9wavefront6targetE1EEEvSH_.num_agpr, 0
	.set _ZN7rocprim17ROCPRIM_400000_NS6detail17trampoline_kernelINS0_14default_configENS1_38merge_sort_block_merge_config_selectorIilEEZZNS1_27merge_sort_block_merge_implIS3_PiN6thrust23THRUST_200600_302600_NS10device_ptrIlEEjNS1_19radix_merge_compareILb0ELb0EiNS0_19identity_decomposerEEEEE10hipError_tT0_T1_T2_jT3_P12ihipStream_tbPNSt15iterator_traitsISG_E10value_typeEPNSM_ISH_E10value_typeEPSI_NS1_7vsmem_tEENKUlT_SG_SH_SI_E_clIS7_S7_PlSB_EESF_SV_SG_SH_SI_EUlSV_E0_NS1_11comp_targetILNS1_3genE5ELNS1_11target_archE942ELNS1_3gpuE9ELNS1_3repE0EEENS1_38merge_mergepath_config_static_selectorELNS0_4arch9wavefront6targetE1EEEvSH_.numbered_sgpr, 0
	.set _ZN7rocprim17ROCPRIM_400000_NS6detail17trampoline_kernelINS0_14default_configENS1_38merge_sort_block_merge_config_selectorIilEEZZNS1_27merge_sort_block_merge_implIS3_PiN6thrust23THRUST_200600_302600_NS10device_ptrIlEEjNS1_19radix_merge_compareILb0ELb0EiNS0_19identity_decomposerEEEEE10hipError_tT0_T1_T2_jT3_P12ihipStream_tbPNSt15iterator_traitsISG_E10value_typeEPNSM_ISH_E10value_typeEPSI_NS1_7vsmem_tEENKUlT_SG_SH_SI_E_clIS7_S7_PlSB_EESF_SV_SG_SH_SI_EUlSV_E0_NS1_11comp_targetILNS1_3genE5ELNS1_11target_archE942ELNS1_3gpuE9ELNS1_3repE0EEENS1_38merge_mergepath_config_static_selectorELNS0_4arch9wavefront6targetE1EEEvSH_.num_named_barrier, 0
	.set _ZN7rocprim17ROCPRIM_400000_NS6detail17trampoline_kernelINS0_14default_configENS1_38merge_sort_block_merge_config_selectorIilEEZZNS1_27merge_sort_block_merge_implIS3_PiN6thrust23THRUST_200600_302600_NS10device_ptrIlEEjNS1_19radix_merge_compareILb0ELb0EiNS0_19identity_decomposerEEEEE10hipError_tT0_T1_T2_jT3_P12ihipStream_tbPNSt15iterator_traitsISG_E10value_typeEPNSM_ISH_E10value_typeEPSI_NS1_7vsmem_tEENKUlT_SG_SH_SI_E_clIS7_S7_PlSB_EESF_SV_SG_SH_SI_EUlSV_E0_NS1_11comp_targetILNS1_3genE5ELNS1_11target_archE942ELNS1_3gpuE9ELNS1_3repE0EEENS1_38merge_mergepath_config_static_selectorELNS0_4arch9wavefront6targetE1EEEvSH_.private_seg_size, 0
	.set _ZN7rocprim17ROCPRIM_400000_NS6detail17trampoline_kernelINS0_14default_configENS1_38merge_sort_block_merge_config_selectorIilEEZZNS1_27merge_sort_block_merge_implIS3_PiN6thrust23THRUST_200600_302600_NS10device_ptrIlEEjNS1_19radix_merge_compareILb0ELb0EiNS0_19identity_decomposerEEEEE10hipError_tT0_T1_T2_jT3_P12ihipStream_tbPNSt15iterator_traitsISG_E10value_typeEPNSM_ISH_E10value_typeEPSI_NS1_7vsmem_tEENKUlT_SG_SH_SI_E_clIS7_S7_PlSB_EESF_SV_SG_SH_SI_EUlSV_E0_NS1_11comp_targetILNS1_3genE5ELNS1_11target_archE942ELNS1_3gpuE9ELNS1_3repE0EEENS1_38merge_mergepath_config_static_selectorELNS0_4arch9wavefront6targetE1EEEvSH_.uses_vcc, 0
	.set _ZN7rocprim17ROCPRIM_400000_NS6detail17trampoline_kernelINS0_14default_configENS1_38merge_sort_block_merge_config_selectorIilEEZZNS1_27merge_sort_block_merge_implIS3_PiN6thrust23THRUST_200600_302600_NS10device_ptrIlEEjNS1_19radix_merge_compareILb0ELb0EiNS0_19identity_decomposerEEEEE10hipError_tT0_T1_T2_jT3_P12ihipStream_tbPNSt15iterator_traitsISG_E10value_typeEPNSM_ISH_E10value_typeEPSI_NS1_7vsmem_tEENKUlT_SG_SH_SI_E_clIS7_S7_PlSB_EESF_SV_SG_SH_SI_EUlSV_E0_NS1_11comp_targetILNS1_3genE5ELNS1_11target_archE942ELNS1_3gpuE9ELNS1_3repE0EEENS1_38merge_mergepath_config_static_selectorELNS0_4arch9wavefront6targetE1EEEvSH_.uses_flat_scratch, 0
	.set _ZN7rocprim17ROCPRIM_400000_NS6detail17trampoline_kernelINS0_14default_configENS1_38merge_sort_block_merge_config_selectorIilEEZZNS1_27merge_sort_block_merge_implIS3_PiN6thrust23THRUST_200600_302600_NS10device_ptrIlEEjNS1_19radix_merge_compareILb0ELb0EiNS0_19identity_decomposerEEEEE10hipError_tT0_T1_T2_jT3_P12ihipStream_tbPNSt15iterator_traitsISG_E10value_typeEPNSM_ISH_E10value_typeEPSI_NS1_7vsmem_tEENKUlT_SG_SH_SI_E_clIS7_S7_PlSB_EESF_SV_SG_SH_SI_EUlSV_E0_NS1_11comp_targetILNS1_3genE5ELNS1_11target_archE942ELNS1_3gpuE9ELNS1_3repE0EEENS1_38merge_mergepath_config_static_selectorELNS0_4arch9wavefront6targetE1EEEvSH_.has_dyn_sized_stack, 0
	.set _ZN7rocprim17ROCPRIM_400000_NS6detail17trampoline_kernelINS0_14default_configENS1_38merge_sort_block_merge_config_selectorIilEEZZNS1_27merge_sort_block_merge_implIS3_PiN6thrust23THRUST_200600_302600_NS10device_ptrIlEEjNS1_19radix_merge_compareILb0ELb0EiNS0_19identity_decomposerEEEEE10hipError_tT0_T1_T2_jT3_P12ihipStream_tbPNSt15iterator_traitsISG_E10value_typeEPNSM_ISH_E10value_typeEPSI_NS1_7vsmem_tEENKUlT_SG_SH_SI_E_clIS7_S7_PlSB_EESF_SV_SG_SH_SI_EUlSV_E0_NS1_11comp_targetILNS1_3genE5ELNS1_11target_archE942ELNS1_3gpuE9ELNS1_3repE0EEENS1_38merge_mergepath_config_static_selectorELNS0_4arch9wavefront6targetE1EEEvSH_.has_recursion, 0
	.set _ZN7rocprim17ROCPRIM_400000_NS6detail17trampoline_kernelINS0_14default_configENS1_38merge_sort_block_merge_config_selectorIilEEZZNS1_27merge_sort_block_merge_implIS3_PiN6thrust23THRUST_200600_302600_NS10device_ptrIlEEjNS1_19radix_merge_compareILb0ELb0EiNS0_19identity_decomposerEEEEE10hipError_tT0_T1_T2_jT3_P12ihipStream_tbPNSt15iterator_traitsISG_E10value_typeEPNSM_ISH_E10value_typeEPSI_NS1_7vsmem_tEENKUlT_SG_SH_SI_E_clIS7_S7_PlSB_EESF_SV_SG_SH_SI_EUlSV_E0_NS1_11comp_targetILNS1_3genE5ELNS1_11target_archE942ELNS1_3gpuE9ELNS1_3repE0EEENS1_38merge_mergepath_config_static_selectorELNS0_4arch9wavefront6targetE1EEEvSH_.has_indirect_call, 0
	.section	.AMDGPU.csdata,"",@progbits
; Kernel info:
; codeLenInByte = 0
; TotalNumSgprs: 4
; NumVgprs: 0
; ScratchSize: 0
; MemoryBound: 0
; FloatMode: 240
; IeeeMode: 1
; LDSByteSize: 0 bytes/workgroup (compile time only)
; SGPRBlocks: 0
; VGPRBlocks: 0
; NumSGPRsForWavesPerEU: 4
; NumVGPRsForWavesPerEU: 1
; Occupancy: 10
; WaveLimiterHint : 0
; COMPUTE_PGM_RSRC2:SCRATCH_EN: 0
; COMPUTE_PGM_RSRC2:USER_SGPR: 6
; COMPUTE_PGM_RSRC2:TRAP_HANDLER: 0
; COMPUTE_PGM_RSRC2:TGID_X_EN: 1
; COMPUTE_PGM_RSRC2:TGID_Y_EN: 0
; COMPUTE_PGM_RSRC2:TGID_Z_EN: 0
; COMPUTE_PGM_RSRC2:TIDIG_COMP_CNT: 0
	.section	.text._ZN7rocprim17ROCPRIM_400000_NS6detail17trampoline_kernelINS0_14default_configENS1_38merge_sort_block_merge_config_selectorIilEEZZNS1_27merge_sort_block_merge_implIS3_PiN6thrust23THRUST_200600_302600_NS10device_ptrIlEEjNS1_19radix_merge_compareILb0ELb0EiNS0_19identity_decomposerEEEEE10hipError_tT0_T1_T2_jT3_P12ihipStream_tbPNSt15iterator_traitsISG_E10value_typeEPNSM_ISH_E10value_typeEPSI_NS1_7vsmem_tEENKUlT_SG_SH_SI_E_clIS7_S7_PlSB_EESF_SV_SG_SH_SI_EUlSV_E0_NS1_11comp_targetILNS1_3genE4ELNS1_11target_archE910ELNS1_3gpuE8ELNS1_3repE0EEENS1_38merge_mergepath_config_static_selectorELNS0_4arch9wavefront6targetE1EEEvSH_,"axG",@progbits,_ZN7rocprim17ROCPRIM_400000_NS6detail17trampoline_kernelINS0_14default_configENS1_38merge_sort_block_merge_config_selectorIilEEZZNS1_27merge_sort_block_merge_implIS3_PiN6thrust23THRUST_200600_302600_NS10device_ptrIlEEjNS1_19radix_merge_compareILb0ELb0EiNS0_19identity_decomposerEEEEE10hipError_tT0_T1_T2_jT3_P12ihipStream_tbPNSt15iterator_traitsISG_E10value_typeEPNSM_ISH_E10value_typeEPSI_NS1_7vsmem_tEENKUlT_SG_SH_SI_E_clIS7_S7_PlSB_EESF_SV_SG_SH_SI_EUlSV_E0_NS1_11comp_targetILNS1_3genE4ELNS1_11target_archE910ELNS1_3gpuE8ELNS1_3repE0EEENS1_38merge_mergepath_config_static_selectorELNS0_4arch9wavefront6targetE1EEEvSH_,comdat
	.protected	_ZN7rocprim17ROCPRIM_400000_NS6detail17trampoline_kernelINS0_14default_configENS1_38merge_sort_block_merge_config_selectorIilEEZZNS1_27merge_sort_block_merge_implIS3_PiN6thrust23THRUST_200600_302600_NS10device_ptrIlEEjNS1_19radix_merge_compareILb0ELb0EiNS0_19identity_decomposerEEEEE10hipError_tT0_T1_T2_jT3_P12ihipStream_tbPNSt15iterator_traitsISG_E10value_typeEPNSM_ISH_E10value_typeEPSI_NS1_7vsmem_tEENKUlT_SG_SH_SI_E_clIS7_S7_PlSB_EESF_SV_SG_SH_SI_EUlSV_E0_NS1_11comp_targetILNS1_3genE4ELNS1_11target_archE910ELNS1_3gpuE8ELNS1_3repE0EEENS1_38merge_mergepath_config_static_selectorELNS0_4arch9wavefront6targetE1EEEvSH_ ; -- Begin function _ZN7rocprim17ROCPRIM_400000_NS6detail17trampoline_kernelINS0_14default_configENS1_38merge_sort_block_merge_config_selectorIilEEZZNS1_27merge_sort_block_merge_implIS3_PiN6thrust23THRUST_200600_302600_NS10device_ptrIlEEjNS1_19radix_merge_compareILb0ELb0EiNS0_19identity_decomposerEEEEE10hipError_tT0_T1_T2_jT3_P12ihipStream_tbPNSt15iterator_traitsISG_E10value_typeEPNSM_ISH_E10value_typeEPSI_NS1_7vsmem_tEENKUlT_SG_SH_SI_E_clIS7_S7_PlSB_EESF_SV_SG_SH_SI_EUlSV_E0_NS1_11comp_targetILNS1_3genE4ELNS1_11target_archE910ELNS1_3gpuE8ELNS1_3repE0EEENS1_38merge_mergepath_config_static_selectorELNS0_4arch9wavefront6targetE1EEEvSH_
	.globl	_ZN7rocprim17ROCPRIM_400000_NS6detail17trampoline_kernelINS0_14default_configENS1_38merge_sort_block_merge_config_selectorIilEEZZNS1_27merge_sort_block_merge_implIS3_PiN6thrust23THRUST_200600_302600_NS10device_ptrIlEEjNS1_19radix_merge_compareILb0ELb0EiNS0_19identity_decomposerEEEEE10hipError_tT0_T1_T2_jT3_P12ihipStream_tbPNSt15iterator_traitsISG_E10value_typeEPNSM_ISH_E10value_typeEPSI_NS1_7vsmem_tEENKUlT_SG_SH_SI_E_clIS7_S7_PlSB_EESF_SV_SG_SH_SI_EUlSV_E0_NS1_11comp_targetILNS1_3genE4ELNS1_11target_archE910ELNS1_3gpuE8ELNS1_3repE0EEENS1_38merge_mergepath_config_static_selectorELNS0_4arch9wavefront6targetE1EEEvSH_
	.p2align	8
	.type	_ZN7rocprim17ROCPRIM_400000_NS6detail17trampoline_kernelINS0_14default_configENS1_38merge_sort_block_merge_config_selectorIilEEZZNS1_27merge_sort_block_merge_implIS3_PiN6thrust23THRUST_200600_302600_NS10device_ptrIlEEjNS1_19radix_merge_compareILb0ELb0EiNS0_19identity_decomposerEEEEE10hipError_tT0_T1_T2_jT3_P12ihipStream_tbPNSt15iterator_traitsISG_E10value_typeEPNSM_ISH_E10value_typeEPSI_NS1_7vsmem_tEENKUlT_SG_SH_SI_E_clIS7_S7_PlSB_EESF_SV_SG_SH_SI_EUlSV_E0_NS1_11comp_targetILNS1_3genE4ELNS1_11target_archE910ELNS1_3gpuE8ELNS1_3repE0EEENS1_38merge_mergepath_config_static_selectorELNS0_4arch9wavefront6targetE1EEEvSH_,@function
_ZN7rocprim17ROCPRIM_400000_NS6detail17trampoline_kernelINS0_14default_configENS1_38merge_sort_block_merge_config_selectorIilEEZZNS1_27merge_sort_block_merge_implIS3_PiN6thrust23THRUST_200600_302600_NS10device_ptrIlEEjNS1_19radix_merge_compareILb0ELb0EiNS0_19identity_decomposerEEEEE10hipError_tT0_T1_T2_jT3_P12ihipStream_tbPNSt15iterator_traitsISG_E10value_typeEPNSM_ISH_E10value_typeEPSI_NS1_7vsmem_tEENKUlT_SG_SH_SI_E_clIS7_S7_PlSB_EESF_SV_SG_SH_SI_EUlSV_E0_NS1_11comp_targetILNS1_3genE4ELNS1_11target_archE910ELNS1_3gpuE8ELNS1_3repE0EEENS1_38merge_mergepath_config_static_selectorELNS0_4arch9wavefront6targetE1EEEvSH_: ; @_ZN7rocprim17ROCPRIM_400000_NS6detail17trampoline_kernelINS0_14default_configENS1_38merge_sort_block_merge_config_selectorIilEEZZNS1_27merge_sort_block_merge_implIS3_PiN6thrust23THRUST_200600_302600_NS10device_ptrIlEEjNS1_19radix_merge_compareILb0ELb0EiNS0_19identity_decomposerEEEEE10hipError_tT0_T1_T2_jT3_P12ihipStream_tbPNSt15iterator_traitsISG_E10value_typeEPNSM_ISH_E10value_typeEPSI_NS1_7vsmem_tEENKUlT_SG_SH_SI_E_clIS7_S7_PlSB_EESF_SV_SG_SH_SI_EUlSV_E0_NS1_11comp_targetILNS1_3genE4ELNS1_11target_archE910ELNS1_3gpuE8ELNS1_3repE0EEENS1_38merge_mergepath_config_static_selectorELNS0_4arch9wavefront6targetE1EEEvSH_
; %bb.0:
	.section	.rodata,"a",@progbits
	.p2align	6, 0x0
	.amdhsa_kernel _ZN7rocprim17ROCPRIM_400000_NS6detail17trampoline_kernelINS0_14default_configENS1_38merge_sort_block_merge_config_selectorIilEEZZNS1_27merge_sort_block_merge_implIS3_PiN6thrust23THRUST_200600_302600_NS10device_ptrIlEEjNS1_19radix_merge_compareILb0ELb0EiNS0_19identity_decomposerEEEEE10hipError_tT0_T1_T2_jT3_P12ihipStream_tbPNSt15iterator_traitsISG_E10value_typeEPNSM_ISH_E10value_typeEPSI_NS1_7vsmem_tEENKUlT_SG_SH_SI_E_clIS7_S7_PlSB_EESF_SV_SG_SH_SI_EUlSV_E0_NS1_11comp_targetILNS1_3genE4ELNS1_11target_archE910ELNS1_3gpuE8ELNS1_3repE0EEENS1_38merge_mergepath_config_static_selectorELNS0_4arch9wavefront6targetE1EEEvSH_
		.amdhsa_group_segment_fixed_size 0
		.amdhsa_private_segment_fixed_size 0
		.amdhsa_kernarg_size 64
		.amdhsa_user_sgpr_count 6
		.amdhsa_user_sgpr_private_segment_buffer 1
		.amdhsa_user_sgpr_dispatch_ptr 0
		.amdhsa_user_sgpr_queue_ptr 0
		.amdhsa_user_sgpr_kernarg_segment_ptr 1
		.amdhsa_user_sgpr_dispatch_id 0
		.amdhsa_user_sgpr_flat_scratch_init 0
		.amdhsa_user_sgpr_private_segment_size 0
		.amdhsa_uses_dynamic_stack 0
		.amdhsa_system_sgpr_private_segment_wavefront_offset 0
		.amdhsa_system_sgpr_workgroup_id_x 1
		.amdhsa_system_sgpr_workgroup_id_y 0
		.amdhsa_system_sgpr_workgroup_id_z 0
		.amdhsa_system_sgpr_workgroup_info 0
		.amdhsa_system_vgpr_workitem_id 0
		.amdhsa_next_free_vgpr 1
		.amdhsa_next_free_sgpr 0
		.amdhsa_reserve_vcc 0
		.amdhsa_reserve_flat_scratch 0
		.amdhsa_float_round_mode_32 0
		.amdhsa_float_round_mode_16_64 0
		.amdhsa_float_denorm_mode_32 3
		.amdhsa_float_denorm_mode_16_64 3
		.amdhsa_dx10_clamp 1
		.amdhsa_ieee_mode 1
		.amdhsa_fp16_overflow 0
		.amdhsa_exception_fp_ieee_invalid_op 0
		.amdhsa_exception_fp_denorm_src 0
		.amdhsa_exception_fp_ieee_div_zero 0
		.amdhsa_exception_fp_ieee_overflow 0
		.amdhsa_exception_fp_ieee_underflow 0
		.amdhsa_exception_fp_ieee_inexact 0
		.amdhsa_exception_int_div_zero 0
	.end_amdhsa_kernel
	.section	.text._ZN7rocprim17ROCPRIM_400000_NS6detail17trampoline_kernelINS0_14default_configENS1_38merge_sort_block_merge_config_selectorIilEEZZNS1_27merge_sort_block_merge_implIS3_PiN6thrust23THRUST_200600_302600_NS10device_ptrIlEEjNS1_19radix_merge_compareILb0ELb0EiNS0_19identity_decomposerEEEEE10hipError_tT0_T1_T2_jT3_P12ihipStream_tbPNSt15iterator_traitsISG_E10value_typeEPNSM_ISH_E10value_typeEPSI_NS1_7vsmem_tEENKUlT_SG_SH_SI_E_clIS7_S7_PlSB_EESF_SV_SG_SH_SI_EUlSV_E0_NS1_11comp_targetILNS1_3genE4ELNS1_11target_archE910ELNS1_3gpuE8ELNS1_3repE0EEENS1_38merge_mergepath_config_static_selectorELNS0_4arch9wavefront6targetE1EEEvSH_,"axG",@progbits,_ZN7rocprim17ROCPRIM_400000_NS6detail17trampoline_kernelINS0_14default_configENS1_38merge_sort_block_merge_config_selectorIilEEZZNS1_27merge_sort_block_merge_implIS3_PiN6thrust23THRUST_200600_302600_NS10device_ptrIlEEjNS1_19radix_merge_compareILb0ELb0EiNS0_19identity_decomposerEEEEE10hipError_tT0_T1_T2_jT3_P12ihipStream_tbPNSt15iterator_traitsISG_E10value_typeEPNSM_ISH_E10value_typeEPSI_NS1_7vsmem_tEENKUlT_SG_SH_SI_E_clIS7_S7_PlSB_EESF_SV_SG_SH_SI_EUlSV_E0_NS1_11comp_targetILNS1_3genE4ELNS1_11target_archE910ELNS1_3gpuE8ELNS1_3repE0EEENS1_38merge_mergepath_config_static_selectorELNS0_4arch9wavefront6targetE1EEEvSH_,comdat
.Lfunc_end755:
	.size	_ZN7rocprim17ROCPRIM_400000_NS6detail17trampoline_kernelINS0_14default_configENS1_38merge_sort_block_merge_config_selectorIilEEZZNS1_27merge_sort_block_merge_implIS3_PiN6thrust23THRUST_200600_302600_NS10device_ptrIlEEjNS1_19radix_merge_compareILb0ELb0EiNS0_19identity_decomposerEEEEE10hipError_tT0_T1_T2_jT3_P12ihipStream_tbPNSt15iterator_traitsISG_E10value_typeEPNSM_ISH_E10value_typeEPSI_NS1_7vsmem_tEENKUlT_SG_SH_SI_E_clIS7_S7_PlSB_EESF_SV_SG_SH_SI_EUlSV_E0_NS1_11comp_targetILNS1_3genE4ELNS1_11target_archE910ELNS1_3gpuE8ELNS1_3repE0EEENS1_38merge_mergepath_config_static_selectorELNS0_4arch9wavefront6targetE1EEEvSH_, .Lfunc_end755-_ZN7rocprim17ROCPRIM_400000_NS6detail17trampoline_kernelINS0_14default_configENS1_38merge_sort_block_merge_config_selectorIilEEZZNS1_27merge_sort_block_merge_implIS3_PiN6thrust23THRUST_200600_302600_NS10device_ptrIlEEjNS1_19radix_merge_compareILb0ELb0EiNS0_19identity_decomposerEEEEE10hipError_tT0_T1_T2_jT3_P12ihipStream_tbPNSt15iterator_traitsISG_E10value_typeEPNSM_ISH_E10value_typeEPSI_NS1_7vsmem_tEENKUlT_SG_SH_SI_E_clIS7_S7_PlSB_EESF_SV_SG_SH_SI_EUlSV_E0_NS1_11comp_targetILNS1_3genE4ELNS1_11target_archE910ELNS1_3gpuE8ELNS1_3repE0EEENS1_38merge_mergepath_config_static_selectorELNS0_4arch9wavefront6targetE1EEEvSH_
                                        ; -- End function
	.set _ZN7rocprim17ROCPRIM_400000_NS6detail17trampoline_kernelINS0_14default_configENS1_38merge_sort_block_merge_config_selectorIilEEZZNS1_27merge_sort_block_merge_implIS3_PiN6thrust23THRUST_200600_302600_NS10device_ptrIlEEjNS1_19radix_merge_compareILb0ELb0EiNS0_19identity_decomposerEEEEE10hipError_tT0_T1_T2_jT3_P12ihipStream_tbPNSt15iterator_traitsISG_E10value_typeEPNSM_ISH_E10value_typeEPSI_NS1_7vsmem_tEENKUlT_SG_SH_SI_E_clIS7_S7_PlSB_EESF_SV_SG_SH_SI_EUlSV_E0_NS1_11comp_targetILNS1_3genE4ELNS1_11target_archE910ELNS1_3gpuE8ELNS1_3repE0EEENS1_38merge_mergepath_config_static_selectorELNS0_4arch9wavefront6targetE1EEEvSH_.num_vgpr, 0
	.set _ZN7rocprim17ROCPRIM_400000_NS6detail17trampoline_kernelINS0_14default_configENS1_38merge_sort_block_merge_config_selectorIilEEZZNS1_27merge_sort_block_merge_implIS3_PiN6thrust23THRUST_200600_302600_NS10device_ptrIlEEjNS1_19radix_merge_compareILb0ELb0EiNS0_19identity_decomposerEEEEE10hipError_tT0_T1_T2_jT3_P12ihipStream_tbPNSt15iterator_traitsISG_E10value_typeEPNSM_ISH_E10value_typeEPSI_NS1_7vsmem_tEENKUlT_SG_SH_SI_E_clIS7_S7_PlSB_EESF_SV_SG_SH_SI_EUlSV_E0_NS1_11comp_targetILNS1_3genE4ELNS1_11target_archE910ELNS1_3gpuE8ELNS1_3repE0EEENS1_38merge_mergepath_config_static_selectorELNS0_4arch9wavefront6targetE1EEEvSH_.num_agpr, 0
	.set _ZN7rocprim17ROCPRIM_400000_NS6detail17trampoline_kernelINS0_14default_configENS1_38merge_sort_block_merge_config_selectorIilEEZZNS1_27merge_sort_block_merge_implIS3_PiN6thrust23THRUST_200600_302600_NS10device_ptrIlEEjNS1_19radix_merge_compareILb0ELb0EiNS0_19identity_decomposerEEEEE10hipError_tT0_T1_T2_jT3_P12ihipStream_tbPNSt15iterator_traitsISG_E10value_typeEPNSM_ISH_E10value_typeEPSI_NS1_7vsmem_tEENKUlT_SG_SH_SI_E_clIS7_S7_PlSB_EESF_SV_SG_SH_SI_EUlSV_E0_NS1_11comp_targetILNS1_3genE4ELNS1_11target_archE910ELNS1_3gpuE8ELNS1_3repE0EEENS1_38merge_mergepath_config_static_selectorELNS0_4arch9wavefront6targetE1EEEvSH_.numbered_sgpr, 0
	.set _ZN7rocprim17ROCPRIM_400000_NS6detail17trampoline_kernelINS0_14default_configENS1_38merge_sort_block_merge_config_selectorIilEEZZNS1_27merge_sort_block_merge_implIS3_PiN6thrust23THRUST_200600_302600_NS10device_ptrIlEEjNS1_19radix_merge_compareILb0ELb0EiNS0_19identity_decomposerEEEEE10hipError_tT0_T1_T2_jT3_P12ihipStream_tbPNSt15iterator_traitsISG_E10value_typeEPNSM_ISH_E10value_typeEPSI_NS1_7vsmem_tEENKUlT_SG_SH_SI_E_clIS7_S7_PlSB_EESF_SV_SG_SH_SI_EUlSV_E0_NS1_11comp_targetILNS1_3genE4ELNS1_11target_archE910ELNS1_3gpuE8ELNS1_3repE0EEENS1_38merge_mergepath_config_static_selectorELNS0_4arch9wavefront6targetE1EEEvSH_.num_named_barrier, 0
	.set _ZN7rocprim17ROCPRIM_400000_NS6detail17trampoline_kernelINS0_14default_configENS1_38merge_sort_block_merge_config_selectorIilEEZZNS1_27merge_sort_block_merge_implIS3_PiN6thrust23THRUST_200600_302600_NS10device_ptrIlEEjNS1_19radix_merge_compareILb0ELb0EiNS0_19identity_decomposerEEEEE10hipError_tT0_T1_T2_jT3_P12ihipStream_tbPNSt15iterator_traitsISG_E10value_typeEPNSM_ISH_E10value_typeEPSI_NS1_7vsmem_tEENKUlT_SG_SH_SI_E_clIS7_S7_PlSB_EESF_SV_SG_SH_SI_EUlSV_E0_NS1_11comp_targetILNS1_3genE4ELNS1_11target_archE910ELNS1_3gpuE8ELNS1_3repE0EEENS1_38merge_mergepath_config_static_selectorELNS0_4arch9wavefront6targetE1EEEvSH_.private_seg_size, 0
	.set _ZN7rocprim17ROCPRIM_400000_NS6detail17trampoline_kernelINS0_14default_configENS1_38merge_sort_block_merge_config_selectorIilEEZZNS1_27merge_sort_block_merge_implIS3_PiN6thrust23THRUST_200600_302600_NS10device_ptrIlEEjNS1_19radix_merge_compareILb0ELb0EiNS0_19identity_decomposerEEEEE10hipError_tT0_T1_T2_jT3_P12ihipStream_tbPNSt15iterator_traitsISG_E10value_typeEPNSM_ISH_E10value_typeEPSI_NS1_7vsmem_tEENKUlT_SG_SH_SI_E_clIS7_S7_PlSB_EESF_SV_SG_SH_SI_EUlSV_E0_NS1_11comp_targetILNS1_3genE4ELNS1_11target_archE910ELNS1_3gpuE8ELNS1_3repE0EEENS1_38merge_mergepath_config_static_selectorELNS0_4arch9wavefront6targetE1EEEvSH_.uses_vcc, 0
	.set _ZN7rocprim17ROCPRIM_400000_NS6detail17trampoline_kernelINS0_14default_configENS1_38merge_sort_block_merge_config_selectorIilEEZZNS1_27merge_sort_block_merge_implIS3_PiN6thrust23THRUST_200600_302600_NS10device_ptrIlEEjNS1_19radix_merge_compareILb0ELb0EiNS0_19identity_decomposerEEEEE10hipError_tT0_T1_T2_jT3_P12ihipStream_tbPNSt15iterator_traitsISG_E10value_typeEPNSM_ISH_E10value_typeEPSI_NS1_7vsmem_tEENKUlT_SG_SH_SI_E_clIS7_S7_PlSB_EESF_SV_SG_SH_SI_EUlSV_E0_NS1_11comp_targetILNS1_3genE4ELNS1_11target_archE910ELNS1_3gpuE8ELNS1_3repE0EEENS1_38merge_mergepath_config_static_selectorELNS0_4arch9wavefront6targetE1EEEvSH_.uses_flat_scratch, 0
	.set _ZN7rocprim17ROCPRIM_400000_NS6detail17trampoline_kernelINS0_14default_configENS1_38merge_sort_block_merge_config_selectorIilEEZZNS1_27merge_sort_block_merge_implIS3_PiN6thrust23THRUST_200600_302600_NS10device_ptrIlEEjNS1_19radix_merge_compareILb0ELb0EiNS0_19identity_decomposerEEEEE10hipError_tT0_T1_T2_jT3_P12ihipStream_tbPNSt15iterator_traitsISG_E10value_typeEPNSM_ISH_E10value_typeEPSI_NS1_7vsmem_tEENKUlT_SG_SH_SI_E_clIS7_S7_PlSB_EESF_SV_SG_SH_SI_EUlSV_E0_NS1_11comp_targetILNS1_3genE4ELNS1_11target_archE910ELNS1_3gpuE8ELNS1_3repE0EEENS1_38merge_mergepath_config_static_selectorELNS0_4arch9wavefront6targetE1EEEvSH_.has_dyn_sized_stack, 0
	.set _ZN7rocprim17ROCPRIM_400000_NS6detail17trampoline_kernelINS0_14default_configENS1_38merge_sort_block_merge_config_selectorIilEEZZNS1_27merge_sort_block_merge_implIS3_PiN6thrust23THRUST_200600_302600_NS10device_ptrIlEEjNS1_19radix_merge_compareILb0ELb0EiNS0_19identity_decomposerEEEEE10hipError_tT0_T1_T2_jT3_P12ihipStream_tbPNSt15iterator_traitsISG_E10value_typeEPNSM_ISH_E10value_typeEPSI_NS1_7vsmem_tEENKUlT_SG_SH_SI_E_clIS7_S7_PlSB_EESF_SV_SG_SH_SI_EUlSV_E0_NS1_11comp_targetILNS1_3genE4ELNS1_11target_archE910ELNS1_3gpuE8ELNS1_3repE0EEENS1_38merge_mergepath_config_static_selectorELNS0_4arch9wavefront6targetE1EEEvSH_.has_recursion, 0
	.set _ZN7rocprim17ROCPRIM_400000_NS6detail17trampoline_kernelINS0_14default_configENS1_38merge_sort_block_merge_config_selectorIilEEZZNS1_27merge_sort_block_merge_implIS3_PiN6thrust23THRUST_200600_302600_NS10device_ptrIlEEjNS1_19radix_merge_compareILb0ELb0EiNS0_19identity_decomposerEEEEE10hipError_tT0_T1_T2_jT3_P12ihipStream_tbPNSt15iterator_traitsISG_E10value_typeEPNSM_ISH_E10value_typeEPSI_NS1_7vsmem_tEENKUlT_SG_SH_SI_E_clIS7_S7_PlSB_EESF_SV_SG_SH_SI_EUlSV_E0_NS1_11comp_targetILNS1_3genE4ELNS1_11target_archE910ELNS1_3gpuE8ELNS1_3repE0EEENS1_38merge_mergepath_config_static_selectorELNS0_4arch9wavefront6targetE1EEEvSH_.has_indirect_call, 0
	.section	.AMDGPU.csdata,"",@progbits
; Kernel info:
; codeLenInByte = 0
; TotalNumSgprs: 4
; NumVgprs: 0
; ScratchSize: 0
; MemoryBound: 0
; FloatMode: 240
; IeeeMode: 1
; LDSByteSize: 0 bytes/workgroup (compile time only)
; SGPRBlocks: 0
; VGPRBlocks: 0
; NumSGPRsForWavesPerEU: 4
; NumVGPRsForWavesPerEU: 1
; Occupancy: 10
; WaveLimiterHint : 0
; COMPUTE_PGM_RSRC2:SCRATCH_EN: 0
; COMPUTE_PGM_RSRC2:USER_SGPR: 6
; COMPUTE_PGM_RSRC2:TRAP_HANDLER: 0
; COMPUTE_PGM_RSRC2:TGID_X_EN: 1
; COMPUTE_PGM_RSRC2:TGID_Y_EN: 0
; COMPUTE_PGM_RSRC2:TGID_Z_EN: 0
; COMPUTE_PGM_RSRC2:TIDIG_COMP_CNT: 0
	.section	.text._ZN7rocprim17ROCPRIM_400000_NS6detail17trampoline_kernelINS0_14default_configENS1_38merge_sort_block_merge_config_selectorIilEEZZNS1_27merge_sort_block_merge_implIS3_PiN6thrust23THRUST_200600_302600_NS10device_ptrIlEEjNS1_19radix_merge_compareILb0ELb0EiNS0_19identity_decomposerEEEEE10hipError_tT0_T1_T2_jT3_P12ihipStream_tbPNSt15iterator_traitsISG_E10value_typeEPNSM_ISH_E10value_typeEPSI_NS1_7vsmem_tEENKUlT_SG_SH_SI_E_clIS7_S7_PlSB_EESF_SV_SG_SH_SI_EUlSV_E0_NS1_11comp_targetILNS1_3genE3ELNS1_11target_archE908ELNS1_3gpuE7ELNS1_3repE0EEENS1_38merge_mergepath_config_static_selectorELNS0_4arch9wavefront6targetE1EEEvSH_,"axG",@progbits,_ZN7rocprim17ROCPRIM_400000_NS6detail17trampoline_kernelINS0_14default_configENS1_38merge_sort_block_merge_config_selectorIilEEZZNS1_27merge_sort_block_merge_implIS3_PiN6thrust23THRUST_200600_302600_NS10device_ptrIlEEjNS1_19radix_merge_compareILb0ELb0EiNS0_19identity_decomposerEEEEE10hipError_tT0_T1_T2_jT3_P12ihipStream_tbPNSt15iterator_traitsISG_E10value_typeEPNSM_ISH_E10value_typeEPSI_NS1_7vsmem_tEENKUlT_SG_SH_SI_E_clIS7_S7_PlSB_EESF_SV_SG_SH_SI_EUlSV_E0_NS1_11comp_targetILNS1_3genE3ELNS1_11target_archE908ELNS1_3gpuE7ELNS1_3repE0EEENS1_38merge_mergepath_config_static_selectorELNS0_4arch9wavefront6targetE1EEEvSH_,comdat
	.protected	_ZN7rocprim17ROCPRIM_400000_NS6detail17trampoline_kernelINS0_14default_configENS1_38merge_sort_block_merge_config_selectorIilEEZZNS1_27merge_sort_block_merge_implIS3_PiN6thrust23THRUST_200600_302600_NS10device_ptrIlEEjNS1_19radix_merge_compareILb0ELb0EiNS0_19identity_decomposerEEEEE10hipError_tT0_T1_T2_jT3_P12ihipStream_tbPNSt15iterator_traitsISG_E10value_typeEPNSM_ISH_E10value_typeEPSI_NS1_7vsmem_tEENKUlT_SG_SH_SI_E_clIS7_S7_PlSB_EESF_SV_SG_SH_SI_EUlSV_E0_NS1_11comp_targetILNS1_3genE3ELNS1_11target_archE908ELNS1_3gpuE7ELNS1_3repE0EEENS1_38merge_mergepath_config_static_selectorELNS0_4arch9wavefront6targetE1EEEvSH_ ; -- Begin function _ZN7rocprim17ROCPRIM_400000_NS6detail17trampoline_kernelINS0_14default_configENS1_38merge_sort_block_merge_config_selectorIilEEZZNS1_27merge_sort_block_merge_implIS3_PiN6thrust23THRUST_200600_302600_NS10device_ptrIlEEjNS1_19radix_merge_compareILb0ELb0EiNS0_19identity_decomposerEEEEE10hipError_tT0_T1_T2_jT3_P12ihipStream_tbPNSt15iterator_traitsISG_E10value_typeEPNSM_ISH_E10value_typeEPSI_NS1_7vsmem_tEENKUlT_SG_SH_SI_E_clIS7_S7_PlSB_EESF_SV_SG_SH_SI_EUlSV_E0_NS1_11comp_targetILNS1_3genE3ELNS1_11target_archE908ELNS1_3gpuE7ELNS1_3repE0EEENS1_38merge_mergepath_config_static_selectorELNS0_4arch9wavefront6targetE1EEEvSH_
	.globl	_ZN7rocprim17ROCPRIM_400000_NS6detail17trampoline_kernelINS0_14default_configENS1_38merge_sort_block_merge_config_selectorIilEEZZNS1_27merge_sort_block_merge_implIS3_PiN6thrust23THRUST_200600_302600_NS10device_ptrIlEEjNS1_19radix_merge_compareILb0ELb0EiNS0_19identity_decomposerEEEEE10hipError_tT0_T1_T2_jT3_P12ihipStream_tbPNSt15iterator_traitsISG_E10value_typeEPNSM_ISH_E10value_typeEPSI_NS1_7vsmem_tEENKUlT_SG_SH_SI_E_clIS7_S7_PlSB_EESF_SV_SG_SH_SI_EUlSV_E0_NS1_11comp_targetILNS1_3genE3ELNS1_11target_archE908ELNS1_3gpuE7ELNS1_3repE0EEENS1_38merge_mergepath_config_static_selectorELNS0_4arch9wavefront6targetE1EEEvSH_
	.p2align	8
	.type	_ZN7rocprim17ROCPRIM_400000_NS6detail17trampoline_kernelINS0_14default_configENS1_38merge_sort_block_merge_config_selectorIilEEZZNS1_27merge_sort_block_merge_implIS3_PiN6thrust23THRUST_200600_302600_NS10device_ptrIlEEjNS1_19radix_merge_compareILb0ELb0EiNS0_19identity_decomposerEEEEE10hipError_tT0_T1_T2_jT3_P12ihipStream_tbPNSt15iterator_traitsISG_E10value_typeEPNSM_ISH_E10value_typeEPSI_NS1_7vsmem_tEENKUlT_SG_SH_SI_E_clIS7_S7_PlSB_EESF_SV_SG_SH_SI_EUlSV_E0_NS1_11comp_targetILNS1_3genE3ELNS1_11target_archE908ELNS1_3gpuE7ELNS1_3repE0EEENS1_38merge_mergepath_config_static_selectorELNS0_4arch9wavefront6targetE1EEEvSH_,@function
_ZN7rocprim17ROCPRIM_400000_NS6detail17trampoline_kernelINS0_14default_configENS1_38merge_sort_block_merge_config_selectorIilEEZZNS1_27merge_sort_block_merge_implIS3_PiN6thrust23THRUST_200600_302600_NS10device_ptrIlEEjNS1_19radix_merge_compareILb0ELb0EiNS0_19identity_decomposerEEEEE10hipError_tT0_T1_T2_jT3_P12ihipStream_tbPNSt15iterator_traitsISG_E10value_typeEPNSM_ISH_E10value_typeEPSI_NS1_7vsmem_tEENKUlT_SG_SH_SI_E_clIS7_S7_PlSB_EESF_SV_SG_SH_SI_EUlSV_E0_NS1_11comp_targetILNS1_3genE3ELNS1_11target_archE908ELNS1_3gpuE7ELNS1_3repE0EEENS1_38merge_mergepath_config_static_selectorELNS0_4arch9wavefront6targetE1EEEvSH_: ; @_ZN7rocprim17ROCPRIM_400000_NS6detail17trampoline_kernelINS0_14default_configENS1_38merge_sort_block_merge_config_selectorIilEEZZNS1_27merge_sort_block_merge_implIS3_PiN6thrust23THRUST_200600_302600_NS10device_ptrIlEEjNS1_19radix_merge_compareILb0ELb0EiNS0_19identity_decomposerEEEEE10hipError_tT0_T1_T2_jT3_P12ihipStream_tbPNSt15iterator_traitsISG_E10value_typeEPNSM_ISH_E10value_typeEPSI_NS1_7vsmem_tEENKUlT_SG_SH_SI_E_clIS7_S7_PlSB_EESF_SV_SG_SH_SI_EUlSV_E0_NS1_11comp_targetILNS1_3genE3ELNS1_11target_archE908ELNS1_3gpuE7ELNS1_3repE0EEENS1_38merge_mergepath_config_static_selectorELNS0_4arch9wavefront6targetE1EEEvSH_
; %bb.0:
	.section	.rodata,"a",@progbits
	.p2align	6, 0x0
	.amdhsa_kernel _ZN7rocprim17ROCPRIM_400000_NS6detail17trampoline_kernelINS0_14default_configENS1_38merge_sort_block_merge_config_selectorIilEEZZNS1_27merge_sort_block_merge_implIS3_PiN6thrust23THRUST_200600_302600_NS10device_ptrIlEEjNS1_19radix_merge_compareILb0ELb0EiNS0_19identity_decomposerEEEEE10hipError_tT0_T1_T2_jT3_P12ihipStream_tbPNSt15iterator_traitsISG_E10value_typeEPNSM_ISH_E10value_typeEPSI_NS1_7vsmem_tEENKUlT_SG_SH_SI_E_clIS7_S7_PlSB_EESF_SV_SG_SH_SI_EUlSV_E0_NS1_11comp_targetILNS1_3genE3ELNS1_11target_archE908ELNS1_3gpuE7ELNS1_3repE0EEENS1_38merge_mergepath_config_static_selectorELNS0_4arch9wavefront6targetE1EEEvSH_
		.amdhsa_group_segment_fixed_size 0
		.amdhsa_private_segment_fixed_size 0
		.amdhsa_kernarg_size 64
		.amdhsa_user_sgpr_count 6
		.amdhsa_user_sgpr_private_segment_buffer 1
		.amdhsa_user_sgpr_dispatch_ptr 0
		.amdhsa_user_sgpr_queue_ptr 0
		.amdhsa_user_sgpr_kernarg_segment_ptr 1
		.amdhsa_user_sgpr_dispatch_id 0
		.amdhsa_user_sgpr_flat_scratch_init 0
		.amdhsa_user_sgpr_private_segment_size 0
		.amdhsa_uses_dynamic_stack 0
		.amdhsa_system_sgpr_private_segment_wavefront_offset 0
		.amdhsa_system_sgpr_workgroup_id_x 1
		.amdhsa_system_sgpr_workgroup_id_y 0
		.amdhsa_system_sgpr_workgroup_id_z 0
		.amdhsa_system_sgpr_workgroup_info 0
		.amdhsa_system_vgpr_workitem_id 0
		.amdhsa_next_free_vgpr 1
		.amdhsa_next_free_sgpr 0
		.amdhsa_reserve_vcc 0
		.amdhsa_reserve_flat_scratch 0
		.amdhsa_float_round_mode_32 0
		.amdhsa_float_round_mode_16_64 0
		.amdhsa_float_denorm_mode_32 3
		.amdhsa_float_denorm_mode_16_64 3
		.amdhsa_dx10_clamp 1
		.amdhsa_ieee_mode 1
		.amdhsa_fp16_overflow 0
		.amdhsa_exception_fp_ieee_invalid_op 0
		.amdhsa_exception_fp_denorm_src 0
		.amdhsa_exception_fp_ieee_div_zero 0
		.amdhsa_exception_fp_ieee_overflow 0
		.amdhsa_exception_fp_ieee_underflow 0
		.amdhsa_exception_fp_ieee_inexact 0
		.amdhsa_exception_int_div_zero 0
	.end_amdhsa_kernel
	.section	.text._ZN7rocprim17ROCPRIM_400000_NS6detail17trampoline_kernelINS0_14default_configENS1_38merge_sort_block_merge_config_selectorIilEEZZNS1_27merge_sort_block_merge_implIS3_PiN6thrust23THRUST_200600_302600_NS10device_ptrIlEEjNS1_19radix_merge_compareILb0ELb0EiNS0_19identity_decomposerEEEEE10hipError_tT0_T1_T2_jT3_P12ihipStream_tbPNSt15iterator_traitsISG_E10value_typeEPNSM_ISH_E10value_typeEPSI_NS1_7vsmem_tEENKUlT_SG_SH_SI_E_clIS7_S7_PlSB_EESF_SV_SG_SH_SI_EUlSV_E0_NS1_11comp_targetILNS1_3genE3ELNS1_11target_archE908ELNS1_3gpuE7ELNS1_3repE0EEENS1_38merge_mergepath_config_static_selectorELNS0_4arch9wavefront6targetE1EEEvSH_,"axG",@progbits,_ZN7rocprim17ROCPRIM_400000_NS6detail17trampoline_kernelINS0_14default_configENS1_38merge_sort_block_merge_config_selectorIilEEZZNS1_27merge_sort_block_merge_implIS3_PiN6thrust23THRUST_200600_302600_NS10device_ptrIlEEjNS1_19radix_merge_compareILb0ELb0EiNS0_19identity_decomposerEEEEE10hipError_tT0_T1_T2_jT3_P12ihipStream_tbPNSt15iterator_traitsISG_E10value_typeEPNSM_ISH_E10value_typeEPSI_NS1_7vsmem_tEENKUlT_SG_SH_SI_E_clIS7_S7_PlSB_EESF_SV_SG_SH_SI_EUlSV_E0_NS1_11comp_targetILNS1_3genE3ELNS1_11target_archE908ELNS1_3gpuE7ELNS1_3repE0EEENS1_38merge_mergepath_config_static_selectorELNS0_4arch9wavefront6targetE1EEEvSH_,comdat
.Lfunc_end756:
	.size	_ZN7rocprim17ROCPRIM_400000_NS6detail17trampoline_kernelINS0_14default_configENS1_38merge_sort_block_merge_config_selectorIilEEZZNS1_27merge_sort_block_merge_implIS3_PiN6thrust23THRUST_200600_302600_NS10device_ptrIlEEjNS1_19radix_merge_compareILb0ELb0EiNS0_19identity_decomposerEEEEE10hipError_tT0_T1_T2_jT3_P12ihipStream_tbPNSt15iterator_traitsISG_E10value_typeEPNSM_ISH_E10value_typeEPSI_NS1_7vsmem_tEENKUlT_SG_SH_SI_E_clIS7_S7_PlSB_EESF_SV_SG_SH_SI_EUlSV_E0_NS1_11comp_targetILNS1_3genE3ELNS1_11target_archE908ELNS1_3gpuE7ELNS1_3repE0EEENS1_38merge_mergepath_config_static_selectorELNS0_4arch9wavefront6targetE1EEEvSH_, .Lfunc_end756-_ZN7rocprim17ROCPRIM_400000_NS6detail17trampoline_kernelINS0_14default_configENS1_38merge_sort_block_merge_config_selectorIilEEZZNS1_27merge_sort_block_merge_implIS3_PiN6thrust23THRUST_200600_302600_NS10device_ptrIlEEjNS1_19radix_merge_compareILb0ELb0EiNS0_19identity_decomposerEEEEE10hipError_tT0_T1_T2_jT3_P12ihipStream_tbPNSt15iterator_traitsISG_E10value_typeEPNSM_ISH_E10value_typeEPSI_NS1_7vsmem_tEENKUlT_SG_SH_SI_E_clIS7_S7_PlSB_EESF_SV_SG_SH_SI_EUlSV_E0_NS1_11comp_targetILNS1_3genE3ELNS1_11target_archE908ELNS1_3gpuE7ELNS1_3repE0EEENS1_38merge_mergepath_config_static_selectorELNS0_4arch9wavefront6targetE1EEEvSH_
                                        ; -- End function
	.set _ZN7rocprim17ROCPRIM_400000_NS6detail17trampoline_kernelINS0_14default_configENS1_38merge_sort_block_merge_config_selectorIilEEZZNS1_27merge_sort_block_merge_implIS3_PiN6thrust23THRUST_200600_302600_NS10device_ptrIlEEjNS1_19radix_merge_compareILb0ELb0EiNS0_19identity_decomposerEEEEE10hipError_tT0_T1_T2_jT3_P12ihipStream_tbPNSt15iterator_traitsISG_E10value_typeEPNSM_ISH_E10value_typeEPSI_NS1_7vsmem_tEENKUlT_SG_SH_SI_E_clIS7_S7_PlSB_EESF_SV_SG_SH_SI_EUlSV_E0_NS1_11comp_targetILNS1_3genE3ELNS1_11target_archE908ELNS1_3gpuE7ELNS1_3repE0EEENS1_38merge_mergepath_config_static_selectorELNS0_4arch9wavefront6targetE1EEEvSH_.num_vgpr, 0
	.set _ZN7rocprim17ROCPRIM_400000_NS6detail17trampoline_kernelINS0_14default_configENS1_38merge_sort_block_merge_config_selectorIilEEZZNS1_27merge_sort_block_merge_implIS3_PiN6thrust23THRUST_200600_302600_NS10device_ptrIlEEjNS1_19radix_merge_compareILb0ELb0EiNS0_19identity_decomposerEEEEE10hipError_tT0_T1_T2_jT3_P12ihipStream_tbPNSt15iterator_traitsISG_E10value_typeEPNSM_ISH_E10value_typeEPSI_NS1_7vsmem_tEENKUlT_SG_SH_SI_E_clIS7_S7_PlSB_EESF_SV_SG_SH_SI_EUlSV_E0_NS1_11comp_targetILNS1_3genE3ELNS1_11target_archE908ELNS1_3gpuE7ELNS1_3repE0EEENS1_38merge_mergepath_config_static_selectorELNS0_4arch9wavefront6targetE1EEEvSH_.num_agpr, 0
	.set _ZN7rocprim17ROCPRIM_400000_NS6detail17trampoline_kernelINS0_14default_configENS1_38merge_sort_block_merge_config_selectorIilEEZZNS1_27merge_sort_block_merge_implIS3_PiN6thrust23THRUST_200600_302600_NS10device_ptrIlEEjNS1_19radix_merge_compareILb0ELb0EiNS0_19identity_decomposerEEEEE10hipError_tT0_T1_T2_jT3_P12ihipStream_tbPNSt15iterator_traitsISG_E10value_typeEPNSM_ISH_E10value_typeEPSI_NS1_7vsmem_tEENKUlT_SG_SH_SI_E_clIS7_S7_PlSB_EESF_SV_SG_SH_SI_EUlSV_E0_NS1_11comp_targetILNS1_3genE3ELNS1_11target_archE908ELNS1_3gpuE7ELNS1_3repE0EEENS1_38merge_mergepath_config_static_selectorELNS0_4arch9wavefront6targetE1EEEvSH_.numbered_sgpr, 0
	.set _ZN7rocprim17ROCPRIM_400000_NS6detail17trampoline_kernelINS0_14default_configENS1_38merge_sort_block_merge_config_selectorIilEEZZNS1_27merge_sort_block_merge_implIS3_PiN6thrust23THRUST_200600_302600_NS10device_ptrIlEEjNS1_19radix_merge_compareILb0ELb0EiNS0_19identity_decomposerEEEEE10hipError_tT0_T1_T2_jT3_P12ihipStream_tbPNSt15iterator_traitsISG_E10value_typeEPNSM_ISH_E10value_typeEPSI_NS1_7vsmem_tEENKUlT_SG_SH_SI_E_clIS7_S7_PlSB_EESF_SV_SG_SH_SI_EUlSV_E0_NS1_11comp_targetILNS1_3genE3ELNS1_11target_archE908ELNS1_3gpuE7ELNS1_3repE0EEENS1_38merge_mergepath_config_static_selectorELNS0_4arch9wavefront6targetE1EEEvSH_.num_named_barrier, 0
	.set _ZN7rocprim17ROCPRIM_400000_NS6detail17trampoline_kernelINS0_14default_configENS1_38merge_sort_block_merge_config_selectorIilEEZZNS1_27merge_sort_block_merge_implIS3_PiN6thrust23THRUST_200600_302600_NS10device_ptrIlEEjNS1_19radix_merge_compareILb0ELb0EiNS0_19identity_decomposerEEEEE10hipError_tT0_T1_T2_jT3_P12ihipStream_tbPNSt15iterator_traitsISG_E10value_typeEPNSM_ISH_E10value_typeEPSI_NS1_7vsmem_tEENKUlT_SG_SH_SI_E_clIS7_S7_PlSB_EESF_SV_SG_SH_SI_EUlSV_E0_NS1_11comp_targetILNS1_3genE3ELNS1_11target_archE908ELNS1_3gpuE7ELNS1_3repE0EEENS1_38merge_mergepath_config_static_selectorELNS0_4arch9wavefront6targetE1EEEvSH_.private_seg_size, 0
	.set _ZN7rocprim17ROCPRIM_400000_NS6detail17trampoline_kernelINS0_14default_configENS1_38merge_sort_block_merge_config_selectorIilEEZZNS1_27merge_sort_block_merge_implIS3_PiN6thrust23THRUST_200600_302600_NS10device_ptrIlEEjNS1_19radix_merge_compareILb0ELb0EiNS0_19identity_decomposerEEEEE10hipError_tT0_T1_T2_jT3_P12ihipStream_tbPNSt15iterator_traitsISG_E10value_typeEPNSM_ISH_E10value_typeEPSI_NS1_7vsmem_tEENKUlT_SG_SH_SI_E_clIS7_S7_PlSB_EESF_SV_SG_SH_SI_EUlSV_E0_NS1_11comp_targetILNS1_3genE3ELNS1_11target_archE908ELNS1_3gpuE7ELNS1_3repE0EEENS1_38merge_mergepath_config_static_selectorELNS0_4arch9wavefront6targetE1EEEvSH_.uses_vcc, 0
	.set _ZN7rocprim17ROCPRIM_400000_NS6detail17trampoline_kernelINS0_14default_configENS1_38merge_sort_block_merge_config_selectorIilEEZZNS1_27merge_sort_block_merge_implIS3_PiN6thrust23THRUST_200600_302600_NS10device_ptrIlEEjNS1_19radix_merge_compareILb0ELb0EiNS0_19identity_decomposerEEEEE10hipError_tT0_T1_T2_jT3_P12ihipStream_tbPNSt15iterator_traitsISG_E10value_typeEPNSM_ISH_E10value_typeEPSI_NS1_7vsmem_tEENKUlT_SG_SH_SI_E_clIS7_S7_PlSB_EESF_SV_SG_SH_SI_EUlSV_E0_NS1_11comp_targetILNS1_3genE3ELNS1_11target_archE908ELNS1_3gpuE7ELNS1_3repE0EEENS1_38merge_mergepath_config_static_selectorELNS0_4arch9wavefront6targetE1EEEvSH_.uses_flat_scratch, 0
	.set _ZN7rocprim17ROCPRIM_400000_NS6detail17trampoline_kernelINS0_14default_configENS1_38merge_sort_block_merge_config_selectorIilEEZZNS1_27merge_sort_block_merge_implIS3_PiN6thrust23THRUST_200600_302600_NS10device_ptrIlEEjNS1_19radix_merge_compareILb0ELb0EiNS0_19identity_decomposerEEEEE10hipError_tT0_T1_T2_jT3_P12ihipStream_tbPNSt15iterator_traitsISG_E10value_typeEPNSM_ISH_E10value_typeEPSI_NS1_7vsmem_tEENKUlT_SG_SH_SI_E_clIS7_S7_PlSB_EESF_SV_SG_SH_SI_EUlSV_E0_NS1_11comp_targetILNS1_3genE3ELNS1_11target_archE908ELNS1_3gpuE7ELNS1_3repE0EEENS1_38merge_mergepath_config_static_selectorELNS0_4arch9wavefront6targetE1EEEvSH_.has_dyn_sized_stack, 0
	.set _ZN7rocprim17ROCPRIM_400000_NS6detail17trampoline_kernelINS0_14default_configENS1_38merge_sort_block_merge_config_selectorIilEEZZNS1_27merge_sort_block_merge_implIS3_PiN6thrust23THRUST_200600_302600_NS10device_ptrIlEEjNS1_19radix_merge_compareILb0ELb0EiNS0_19identity_decomposerEEEEE10hipError_tT0_T1_T2_jT3_P12ihipStream_tbPNSt15iterator_traitsISG_E10value_typeEPNSM_ISH_E10value_typeEPSI_NS1_7vsmem_tEENKUlT_SG_SH_SI_E_clIS7_S7_PlSB_EESF_SV_SG_SH_SI_EUlSV_E0_NS1_11comp_targetILNS1_3genE3ELNS1_11target_archE908ELNS1_3gpuE7ELNS1_3repE0EEENS1_38merge_mergepath_config_static_selectorELNS0_4arch9wavefront6targetE1EEEvSH_.has_recursion, 0
	.set _ZN7rocprim17ROCPRIM_400000_NS6detail17trampoline_kernelINS0_14default_configENS1_38merge_sort_block_merge_config_selectorIilEEZZNS1_27merge_sort_block_merge_implIS3_PiN6thrust23THRUST_200600_302600_NS10device_ptrIlEEjNS1_19radix_merge_compareILb0ELb0EiNS0_19identity_decomposerEEEEE10hipError_tT0_T1_T2_jT3_P12ihipStream_tbPNSt15iterator_traitsISG_E10value_typeEPNSM_ISH_E10value_typeEPSI_NS1_7vsmem_tEENKUlT_SG_SH_SI_E_clIS7_S7_PlSB_EESF_SV_SG_SH_SI_EUlSV_E0_NS1_11comp_targetILNS1_3genE3ELNS1_11target_archE908ELNS1_3gpuE7ELNS1_3repE0EEENS1_38merge_mergepath_config_static_selectorELNS0_4arch9wavefront6targetE1EEEvSH_.has_indirect_call, 0
	.section	.AMDGPU.csdata,"",@progbits
; Kernel info:
; codeLenInByte = 0
; TotalNumSgprs: 4
; NumVgprs: 0
; ScratchSize: 0
; MemoryBound: 0
; FloatMode: 240
; IeeeMode: 1
; LDSByteSize: 0 bytes/workgroup (compile time only)
; SGPRBlocks: 0
; VGPRBlocks: 0
; NumSGPRsForWavesPerEU: 4
; NumVGPRsForWavesPerEU: 1
; Occupancy: 10
; WaveLimiterHint : 0
; COMPUTE_PGM_RSRC2:SCRATCH_EN: 0
; COMPUTE_PGM_RSRC2:USER_SGPR: 6
; COMPUTE_PGM_RSRC2:TRAP_HANDLER: 0
; COMPUTE_PGM_RSRC2:TGID_X_EN: 1
; COMPUTE_PGM_RSRC2:TGID_Y_EN: 0
; COMPUTE_PGM_RSRC2:TGID_Z_EN: 0
; COMPUTE_PGM_RSRC2:TIDIG_COMP_CNT: 0
	.section	.text._ZN7rocprim17ROCPRIM_400000_NS6detail17trampoline_kernelINS0_14default_configENS1_38merge_sort_block_merge_config_selectorIilEEZZNS1_27merge_sort_block_merge_implIS3_PiN6thrust23THRUST_200600_302600_NS10device_ptrIlEEjNS1_19radix_merge_compareILb0ELb0EiNS0_19identity_decomposerEEEEE10hipError_tT0_T1_T2_jT3_P12ihipStream_tbPNSt15iterator_traitsISG_E10value_typeEPNSM_ISH_E10value_typeEPSI_NS1_7vsmem_tEENKUlT_SG_SH_SI_E_clIS7_S7_PlSB_EESF_SV_SG_SH_SI_EUlSV_E0_NS1_11comp_targetILNS1_3genE2ELNS1_11target_archE906ELNS1_3gpuE6ELNS1_3repE0EEENS1_38merge_mergepath_config_static_selectorELNS0_4arch9wavefront6targetE1EEEvSH_,"axG",@progbits,_ZN7rocprim17ROCPRIM_400000_NS6detail17trampoline_kernelINS0_14default_configENS1_38merge_sort_block_merge_config_selectorIilEEZZNS1_27merge_sort_block_merge_implIS3_PiN6thrust23THRUST_200600_302600_NS10device_ptrIlEEjNS1_19radix_merge_compareILb0ELb0EiNS0_19identity_decomposerEEEEE10hipError_tT0_T1_T2_jT3_P12ihipStream_tbPNSt15iterator_traitsISG_E10value_typeEPNSM_ISH_E10value_typeEPSI_NS1_7vsmem_tEENKUlT_SG_SH_SI_E_clIS7_S7_PlSB_EESF_SV_SG_SH_SI_EUlSV_E0_NS1_11comp_targetILNS1_3genE2ELNS1_11target_archE906ELNS1_3gpuE6ELNS1_3repE0EEENS1_38merge_mergepath_config_static_selectorELNS0_4arch9wavefront6targetE1EEEvSH_,comdat
	.protected	_ZN7rocprim17ROCPRIM_400000_NS6detail17trampoline_kernelINS0_14default_configENS1_38merge_sort_block_merge_config_selectorIilEEZZNS1_27merge_sort_block_merge_implIS3_PiN6thrust23THRUST_200600_302600_NS10device_ptrIlEEjNS1_19radix_merge_compareILb0ELb0EiNS0_19identity_decomposerEEEEE10hipError_tT0_T1_T2_jT3_P12ihipStream_tbPNSt15iterator_traitsISG_E10value_typeEPNSM_ISH_E10value_typeEPSI_NS1_7vsmem_tEENKUlT_SG_SH_SI_E_clIS7_S7_PlSB_EESF_SV_SG_SH_SI_EUlSV_E0_NS1_11comp_targetILNS1_3genE2ELNS1_11target_archE906ELNS1_3gpuE6ELNS1_3repE0EEENS1_38merge_mergepath_config_static_selectorELNS0_4arch9wavefront6targetE1EEEvSH_ ; -- Begin function _ZN7rocprim17ROCPRIM_400000_NS6detail17trampoline_kernelINS0_14default_configENS1_38merge_sort_block_merge_config_selectorIilEEZZNS1_27merge_sort_block_merge_implIS3_PiN6thrust23THRUST_200600_302600_NS10device_ptrIlEEjNS1_19radix_merge_compareILb0ELb0EiNS0_19identity_decomposerEEEEE10hipError_tT0_T1_T2_jT3_P12ihipStream_tbPNSt15iterator_traitsISG_E10value_typeEPNSM_ISH_E10value_typeEPSI_NS1_7vsmem_tEENKUlT_SG_SH_SI_E_clIS7_S7_PlSB_EESF_SV_SG_SH_SI_EUlSV_E0_NS1_11comp_targetILNS1_3genE2ELNS1_11target_archE906ELNS1_3gpuE6ELNS1_3repE0EEENS1_38merge_mergepath_config_static_selectorELNS0_4arch9wavefront6targetE1EEEvSH_
	.globl	_ZN7rocprim17ROCPRIM_400000_NS6detail17trampoline_kernelINS0_14default_configENS1_38merge_sort_block_merge_config_selectorIilEEZZNS1_27merge_sort_block_merge_implIS3_PiN6thrust23THRUST_200600_302600_NS10device_ptrIlEEjNS1_19radix_merge_compareILb0ELb0EiNS0_19identity_decomposerEEEEE10hipError_tT0_T1_T2_jT3_P12ihipStream_tbPNSt15iterator_traitsISG_E10value_typeEPNSM_ISH_E10value_typeEPSI_NS1_7vsmem_tEENKUlT_SG_SH_SI_E_clIS7_S7_PlSB_EESF_SV_SG_SH_SI_EUlSV_E0_NS1_11comp_targetILNS1_3genE2ELNS1_11target_archE906ELNS1_3gpuE6ELNS1_3repE0EEENS1_38merge_mergepath_config_static_selectorELNS0_4arch9wavefront6targetE1EEEvSH_
	.p2align	8
	.type	_ZN7rocprim17ROCPRIM_400000_NS6detail17trampoline_kernelINS0_14default_configENS1_38merge_sort_block_merge_config_selectorIilEEZZNS1_27merge_sort_block_merge_implIS3_PiN6thrust23THRUST_200600_302600_NS10device_ptrIlEEjNS1_19radix_merge_compareILb0ELb0EiNS0_19identity_decomposerEEEEE10hipError_tT0_T1_T2_jT3_P12ihipStream_tbPNSt15iterator_traitsISG_E10value_typeEPNSM_ISH_E10value_typeEPSI_NS1_7vsmem_tEENKUlT_SG_SH_SI_E_clIS7_S7_PlSB_EESF_SV_SG_SH_SI_EUlSV_E0_NS1_11comp_targetILNS1_3genE2ELNS1_11target_archE906ELNS1_3gpuE6ELNS1_3repE0EEENS1_38merge_mergepath_config_static_selectorELNS0_4arch9wavefront6targetE1EEEvSH_,@function
_ZN7rocprim17ROCPRIM_400000_NS6detail17trampoline_kernelINS0_14default_configENS1_38merge_sort_block_merge_config_selectorIilEEZZNS1_27merge_sort_block_merge_implIS3_PiN6thrust23THRUST_200600_302600_NS10device_ptrIlEEjNS1_19radix_merge_compareILb0ELb0EiNS0_19identity_decomposerEEEEE10hipError_tT0_T1_T2_jT3_P12ihipStream_tbPNSt15iterator_traitsISG_E10value_typeEPNSM_ISH_E10value_typeEPSI_NS1_7vsmem_tEENKUlT_SG_SH_SI_E_clIS7_S7_PlSB_EESF_SV_SG_SH_SI_EUlSV_E0_NS1_11comp_targetILNS1_3genE2ELNS1_11target_archE906ELNS1_3gpuE6ELNS1_3repE0EEENS1_38merge_mergepath_config_static_selectorELNS0_4arch9wavefront6targetE1EEEvSH_: ; @_ZN7rocprim17ROCPRIM_400000_NS6detail17trampoline_kernelINS0_14default_configENS1_38merge_sort_block_merge_config_selectorIilEEZZNS1_27merge_sort_block_merge_implIS3_PiN6thrust23THRUST_200600_302600_NS10device_ptrIlEEjNS1_19radix_merge_compareILb0ELb0EiNS0_19identity_decomposerEEEEE10hipError_tT0_T1_T2_jT3_P12ihipStream_tbPNSt15iterator_traitsISG_E10value_typeEPNSM_ISH_E10value_typeEPSI_NS1_7vsmem_tEENKUlT_SG_SH_SI_E_clIS7_S7_PlSB_EESF_SV_SG_SH_SI_EUlSV_E0_NS1_11comp_targetILNS1_3genE2ELNS1_11target_archE906ELNS1_3gpuE6ELNS1_3repE0EEENS1_38merge_mergepath_config_static_selectorELNS0_4arch9wavefront6targetE1EEEvSH_
; %bb.0:
	s_load_dwordx2 s[22:23], s[4:5], 0x40
	s_load_dword s1, s[4:5], 0x30
	s_add_u32 s20, s4, 64
	s_addc_u32 s21, s5, 0
	s_waitcnt lgkmcnt(0)
	s_mul_i32 s0, s23, s8
	s_add_i32 s0, s0, s7
	s_mul_i32 s0, s0, s22
	s_add_i32 s0, s0, s6
	s_cmp_ge_u32 s0, s1
	s_cbranch_scc1 .LBB757_46
; %bb.1:
	s_load_dwordx8 s[8:15], s[4:5], 0x10
	s_load_dwordx2 s[26:27], s[4:5], 0x8
	s_load_dwordx2 s[2:3], s[4:5], 0x38
	s_mov_b32 s1, 0
	v_mov_b32_e32 v2, 0
	s_waitcnt lgkmcnt(0)
	s_lshr_b32 s30, s14, 10
	s_cmp_lg_u32 s0, s30
	s_cselect_b64 s[18:19], -1, 0
	s_lshl_b64 s[4:5], s[0:1], 2
	s_add_u32 s4, s2, s4
	s_addc_u32 s5, s3, s5
	s_load_dwordx2 s[2:3], s[4:5], 0x0
	s_lshr_b32 s4, s15, 9
	s_and_b32 s4, s4, 0x7ffffe
	s_sub_i32 s5, 0, s4
	s_and_b32 s4, s0, s5
	s_lshl_b32 s7, s4, 10
	s_lshl_b32 s16, s0, 10
	;; [unrolled: 1-line block ×3, first 2 shown]
	s_sub_i32 s17, s16, s7
	s_add_i32 s23, s4, s15
	s_add_i32 s17, s23, s17
	s_waitcnt lgkmcnt(0)
	s_sub_i32 s4, s17, s2
	s_sub_i32 s17, s17, s3
	;; [unrolled: 1-line block ×3, first 2 shown]
	s_min_u32 s4, s14, s4
	s_addk_i32 s17, 0x400
	s_or_b32 s5, s0, s5
	s_min_u32 s23, s14, s7
	s_add_i32 s7, s7, s15
	s_cmp_eq_u32 s5, -1
	s_cselect_b32 s3, s23, s3
	s_cselect_b32 s5, s7, s17
	s_sub_i32 s15, s3, s2
	s_mov_b32 s3, s1
	s_min_u32 s17, s5, s14
	s_lshl_b64 s[24:25], s[2:3], 2
	s_add_u32 s24, s26, s24
	s_mov_b32 s5, s1
	s_addc_u32 s25, s27, s25
	s_lshl_b64 s[28:29], s[4:5], 2
	s_add_u32 s23, s26, s28
	global_load_dword v1, v2, s[20:21] offset:14
	s_addc_u32 s26, s27, s29
	s_cmp_lt_u32 s6, s22
	s_cselect_b32 s1, 12, 18
	s_add_u32 s6, s20, s1
	s_addc_u32 s7, s21, 0
	global_load_ushort v3, v2, s[6:7]
	s_cmp_eq_u32 s0, s30
	v_lshlrev_b32_e32 v17, 2, v0
	s_waitcnt vmcnt(1)
	v_lshrrev_b32_e32 v4, 16, v1
	v_and_b32_e32 v1, 0xffff, v1
	v_mul_lo_u32 v1, v1, v4
	s_waitcnt vmcnt(0)
	v_mul_lo_u32 v19, v1, v3
	v_add_u32_e32 v15, v19, v0
	v_add_u32_e32 v13, v15, v19
	s_cbranch_scc1 .LBB757_3
; %bb.2:
	v_mov_b32_e32 v1, s25
	v_add_co_u32_e32 v5, vcc, s24, v17
	v_addc_co_u32_e32 v6, vcc, 0, v1, vcc
	v_subrev_co_u32_e32 v1, vcc, s15, v0
	v_lshlrev_b64 v[3:4], 2, v[1:2]
	v_mov_b32_e32 v1, s26
	v_add_co_u32_e64 v3, s[0:1], s23, v3
	v_addc_co_u32_e64 v1, s[0:1], v1, v4, s[0:1]
	v_cndmask_b32_e32 v4, v1, v6, vcc
	v_cndmask_b32_e32 v3, v3, v5, vcc
	v_mov_b32_e32 v16, v2
	global_load_dword v9, v[3:4], off
	v_lshlrev_b64 v[3:4], 2, v[15:16]
	v_mov_b32_e32 v1, s25
	v_add_co_u32_e32 v5, vcc, s24, v3
	v_addc_co_u32_e32 v6, vcc, v1, v4, vcc
	v_subrev_co_u32_e32 v1, vcc, s15, v15
	v_lshlrev_b64 v[3:4], 2, v[1:2]
	v_mov_b32_e32 v1, s26
	v_add_co_u32_e64 v3, s[0:1], s23, v3
	v_addc_co_u32_e64 v1, s[0:1], v1, v4, s[0:1]
	v_cndmask_b32_e32 v4, v1, v6, vcc
	v_cndmask_b32_e32 v3, v3, v5, vcc
	v_mov_b32_e32 v14, v2
	global_load_dword v10, v[3:4], off
	v_lshlrev_b64 v[3:4], 2, v[13:14]
	v_mov_b32_e32 v1, s25
	v_add_co_u32_e32 v3, vcc, s24, v3
	v_addc_co_u32_e32 v4, vcc, v1, v4, vcc
	v_subrev_co_u32_e32 v1, vcc, s15, v13
	v_lshlrev_b64 v[1:2], 2, v[1:2]
	v_mov_b32_e32 v5, s26
	v_add_co_u32_e64 v1, s[0:1], s23, v1
	v_addc_co_u32_e64 v2, s[0:1], v5, v2, s[0:1]
	v_cndmask_b32_e32 v2, v2, v4, vcc
	v_cndmask_b32_e32 v1, v1, v3, vcc
	global_load_dword v11, v[1:2], off
	v_add_u32_e32 v1, v13, v19
	s_mov_b64 s[0:1], -1
	s_sub_i32 s17, s17, s4
	s_cbranch_execz .LBB757_4
	s_branch .LBB757_9
.LBB757_3:
	s_mov_b64 s[0:1], 0
                                        ; implicit-def: $vgpr1
                                        ; implicit-def: $vgpr9_vgpr10_vgpr11_vgpr12
	s_sub_i32 s17, s17, s4
.LBB757_4:
	s_add_i32 s20, s17, s15
	s_waitcnt vmcnt(2)
	v_mov_b32_e32 v9, 0
	v_cmp_gt_u32_e32 vcc, s20, v0
	s_waitcnt vmcnt(1)
	v_mov_b32_e32 v10, v9
	s_waitcnt vmcnt(0)
	v_mov_b32_e32 v11, v9
	v_mov_b32_e32 v12, v9
	s_and_saveexec_b64 s[6:7], vcc
	s_cbranch_execnz .LBB757_47
; %bb.5:
	s_or_b64 exec, exec, s[6:7]
	v_cmp_gt_u32_e32 vcc, s20, v15
	s_and_saveexec_b64 s[6:7], vcc
	s_cbranch_execnz .LBB757_48
.LBB757_6:
	s_or_b64 exec, exec, s[6:7]
	v_cmp_gt_u32_e32 vcc, s20, v13
	s_and_saveexec_b64 s[6:7], vcc
	s_cbranch_execz .LBB757_8
.LBB757_7:
	v_mov_b32_e32 v14, 0
	v_lshlrev_b64 v[1:2], 2, v[13:14]
	v_mov_b32_e32 v3, s25
	v_add_co_u32_e32 v4, vcc, s24, v1
	v_addc_co_u32_e32 v3, vcc, v3, v2, vcc
	v_subrev_co_u32_e32 v1, vcc, s15, v13
	v_mov_b32_e32 v2, v14
	v_lshlrev_b64 v[1:2], 2, v[1:2]
	v_mov_b32_e32 v5, s26
	v_add_co_u32_e64 v1, s[0:1], s23, v1
	v_addc_co_u32_e64 v2, s[0:1], v5, v2, s[0:1]
	v_cndmask_b32_e32 v2, v2, v3, vcc
	v_cndmask_b32_e32 v1, v1, v4, vcc
	global_load_dword v11, v[1:2], off
.LBB757_8:
	s_or_b64 exec, exec, s[6:7]
	v_add_u32_e32 v1, v13, v19
	v_cmp_gt_u32_e64 s[0:1], s20, v1
.LBB757_9:
	s_and_saveexec_b64 s[6:7], s[0:1]
	s_cbranch_execz .LBB757_11
; %bb.10:
	v_mov_b32_e32 v2, 0
	v_lshlrev_b64 v[3:4], 2, v[1:2]
	v_mov_b32_e32 v5, s25
	v_add_co_u32_e32 v3, vcc, s24, v3
	v_addc_co_u32_e32 v4, vcc, v5, v4, vcc
	v_subrev_co_u32_e32 v1, vcc, s15, v1
	v_lshlrev_b64 v[1:2], 2, v[1:2]
	v_mov_b32_e32 v5, s26
	v_add_co_u32_e64 v1, s[0:1], s23, v1
	v_addc_co_u32_e64 v2, s[0:1], v5, v2, s[0:1]
	v_cndmask_b32_e32 v2, v2, v4, vcc
	v_cndmask_b32_e32 v1, v1, v3, vcc
	global_load_dword v12, v[1:2], off
.LBB757_11:
	s_or_b64 exec, exec, s[6:7]
	s_lshl_b64 s[0:1], s[2:3], 3
	s_add_u32 s6, s10, s0
	s_addc_u32 s7, s11, s1
	s_lshl_b64 s[0:1], s[4:5], 3
	s_add_u32 s4, s10, s0
	v_mov_b32_e32 v8, 0
	s_addc_u32 s5, s11, s1
	s_andn2_b64 vcc, exec, s[18:19]
	v_lshlrev_b32_e32 v18, 3, v0
	s_waitcnt vmcnt(0)
	ds_write2st64_b32 v17, v9, v10 offset1:4
	ds_write2st64_b32 v17, v11, v12 offset0:8 offset1:12
	s_cbranch_vccnz .LBB757_13
; %bb.12:
	v_mov_b32_e32 v1, s7
	v_add_co_u32_e32 v3, vcc, s6, v18
	v_addc_co_u32_e32 v4, vcc, 0, v1, vcc
	v_subrev_co_u32_e32 v7, vcc, s15, v0
	v_lshlrev_b64 v[1:2], 3, v[7:8]
	v_mov_b32_e32 v5, s5
	v_add_co_u32_e64 v1, s[0:1], s4, v1
	v_addc_co_u32_e64 v2, s[0:1], v5, v2, s[0:1]
	v_mov_b32_e32 v16, v8
	v_cndmask_b32_e32 v2, v2, v4, vcc
	v_cndmask_b32_e32 v1, v1, v3, vcc
	v_lshlrev_b64 v[3:4], 3, v[15:16]
	v_mov_b32_e32 v5, s7
	v_add_co_u32_e32 v6, vcc, s6, v3
	v_addc_co_u32_e32 v5, vcc, v5, v4, vcc
	v_subrev_co_u32_e32 v7, vcc, s15, v15
	v_lshlrev_b64 v[3:4], 3, v[7:8]
	v_mov_b32_e32 v7, s5
	v_add_co_u32_e64 v3, s[0:1], s4, v3
	v_addc_co_u32_e64 v4, s[0:1], v7, v4, s[0:1]
	v_mov_b32_e32 v14, v8
	v_cndmask_b32_e32 v4, v4, v5, vcc
	v_cndmask_b32_e32 v3, v3, v6, vcc
	v_lshlrev_b64 v[5:6], 3, v[13:14]
	v_mov_b32_e32 v7, s7
	v_add_co_u32_e32 v14, vcc, s6, v5
	v_addc_co_u32_e32 v16, vcc, v7, v6, vcc
	v_subrev_co_u32_e32 v7, vcc, s15, v13
	v_lshlrev_b64 v[5:6], 3, v[7:8]
	v_mov_b32_e32 v7, s5
	v_add_co_u32_e64 v5, s[0:1], s4, v5
	v_addc_co_u32_e64 v6, s[0:1], v7, v6, s[0:1]
	v_add_u32_e32 v7, v13, v19
	v_lshlrev_b64 v[20:21], 3, v[7:8]
	v_cndmask_b32_e32 v6, v6, v16, vcc
	v_cndmask_b32_e32 v5, v5, v14, vcc
	v_mov_b32_e32 v14, s7
	v_add_co_u32_e32 v16, vcc, s6, v20
	v_addc_co_u32_e32 v14, vcc, v14, v21, vcc
	v_subrev_co_u32_e32 v7, vcc, s15, v7
	v_lshlrev_b64 v[7:8], 3, v[7:8]
	v_mov_b32_e32 v20, s5
	v_add_co_u32_e64 v7, s[0:1], s4, v7
	v_addc_co_u32_e64 v8, s[0:1], v20, v8, s[0:1]
	v_cndmask_b32_e32 v8, v8, v14, vcc
	v_cndmask_b32_e32 v7, v7, v16, vcc
	global_load_dwordx2 v[1:2], v[1:2], off
	s_add_i32 s20, s17, s15
	global_load_dwordx2 v[3:4], v[3:4], off
	s_nop 0
	global_load_dwordx2 v[5:6], v[5:6], off
	s_nop 0
	global_load_dwordx2 v[7:8], v[7:8], off
	s_cbranch_execz .LBB757_14
	s_branch .LBB757_21
.LBB757_13:
                                        ; implicit-def: $vgpr1_vgpr2_vgpr3_vgpr4_vgpr5_vgpr6_vgpr7_vgpr8
                                        ; implicit-def: $sgpr20
.LBB757_14:
	s_add_i32 s20, s17, s15
	s_waitcnt vmcnt(3)
	v_mov_b32_e32 v1, 0
	v_cmp_gt_u32_e32 vcc, s20, v0
	v_mov_b32_e32 v2, v1
	s_waitcnt vmcnt(2)
	v_mov_b32_e32 v3, v1
	v_mov_b32_e32 v4, v1
	s_waitcnt vmcnt(1)
	v_mov_b32_e32 v5, v1
	;; [unrolled: 3-line block ×3, first 2 shown]
	v_mov_b32_e32 v8, v1
	s_and_saveexec_b64 s[2:3], vcc
	s_cbranch_execnz .LBB757_49
; %bb.15:
	s_or_b64 exec, exec, s[2:3]
	v_cmp_gt_u32_e32 vcc, s20, v15
	s_and_saveexec_b64 s[2:3], vcc
	s_cbranch_execnz .LBB757_50
.LBB757_16:
	s_or_b64 exec, exec, s[2:3]
	v_cmp_gt_u32_e32 vcc, s20, v13
	s_and_saveexec_b64 s[2:3], vcc
	s_cbranch_execz .LBB757_18
.LBB757_17:
	v_mov_b32_e32 v14, 0
	v_lshlrev_b64 v[5:6], 3, v[13:14]
	v_mov_b32_e32 v15, s7
	v_add_co_u32_e32 v16, vcc, s6, v5
	v_addc_co_u32_e32 v15, vcc, v15, v6, vcc
	v_subrev_co_u32_e32 v5, vcc, s15, v13
	v_mov_b32_e32 v6, v14
	v_lshlrev_b64 v[5:6], 3, v[5:6]
	v_mov_b32_e32 v14, s5
	v_add_co_u32_e64 v5, s[0:1], s4, v5
	v_addc_co_u32_e64 v6, s[0:1], v14, v6, s[0:1]
	v_cndmask_b32_e32 v6, v6, v15, vcc
	v_cndmask_b32_e32 v5, v5, v16, vcc
	global_load_dwordx2 v[5:6], v[5:6], off
.LBB757_18:
	s_or_b64 exec, exec, s[2:3]
	v_add_u32_e32 v13, v13, v19
	v_cmp_gt_u32_e32 vcc, s20, v13
	s_and_saveexec_b64 s[2:3], vcc
	s_cbranch_execz .LBB757_20
; %bb.19:
	v_mov_b32_e32 v14, 0
	v_lshlrev_b64 v[7:8], 3, v[13:14]
	v_mov_b32_e32 v15, s7
	v_add_co_u32_e32 v16, vcc, s6, v7
	v_addc_co_u32_e32 v15, vcc, v15, v8, vcc
	v_subrev_co_u32_e32 v13, vcc, s15, v13
	v_lshlrev_b64 v[7:8], 3, v[13:14]
	v_mov_b32_e32 v13, s5
	v_add_co_u32_e64 v7, s[0:1], s4, v7
	v_addc_co_u32_e64 v8, s[0:1], v13, v8, s[0:1]
	v_cndmask_b32_e32 v8, v8, v15, vcc
	v_cndmask_b32_e32 v7, v7, v16, vcc
	global_load_dwordx2 v[7:8], v[7:8], off
.LBB757_20:
	s_or_b64 exec, exec, s[2:3]
.LBB757_21:
	v_min_u32_e32 v14, s20, v17
	v_sub_u32_e64 v13, v14, s17 clamp
	v_min_u32_e32 v15, s15, v14
	v_cmp_lt_u32_e32 vcc, v13, v15
	s_waitcnt vmcnt(0) lgkmcnt(0)
	s_barrier
	s_and_saveexec_b64 s[0:1], vcc
	s_cbranch_execz .LBB757_25
; %bb.22:
	v_lshlrev_b32_e32 v16, 2, v14
	v_lshl_add_u32 v16, s15, 2, v16
	s_mov_b64 s[2:3], 0
.LBB757_23:                             ; =>This Inner Loop Header: Depth=1
	v_add_u32_e32 v19, v15, v13
	v_lshrrev_b32_e32 v19, 1, v19
	v_not_b32_e32 v20, v19
	v_lshlrev_b32_e32 v21, 2, v19
	v_lshl_add_u32 v20, v20, 2, v16
	ds_read_b32 v21, v21
	ds_read_b32 v20, v20
	v_add_u32_e32 v22, 1, v19
	s_waitcnt lgkmcnt(0)
	v_cmp_gt_i32_e32 vcc, v21, v20
	v_cndmask_b32_e32 v15, v15, v19, vcc
	v_cndmask_b32_e32 v13, v22, v13, vcc
	v_cmp_ge_u32_e32 vcc, v13, v15
	s_or_b64 s[2:3], vcc, s[2:3]
	s_andn2_b64 exec, exec, s[2:3]
	s_cbranch_execnz .LBB757_23
; %bb.24:
	s_or_b64 exec, exec, s[2:3]
.LBB757_25:
	s_or_b64 exec, exec, s[0:1]
	v_sub_u32_e32 v14, v14, v13
	v_add_u32_e32 v19, s15, v14
	v_cmp_ge_u32_e32 vcc, s15, v13
	v_cmp_ge_u32_e64 s[0:1], s20, v19
	s_or_b64 s[0:1], vcc, s[0:1]
	v_mov_b32_e32 v20, 0
	v_mov_b32_e32 v16, 0
	;; [unrolled: 1-line block ×4, first 2 shown]
	s_and_saveexec_b64 s[10:11], s[0:1]
	s_cbranch_execz .LBB757_31
; %bb.26:
	v_cmp_gt_u32_e32 vcc, s15, v13
                                        ; implicit-def: $vgpr9
	s_and_saveexec_b64 s[0:1], vcc
; %bb.27:
	v_lshlrev_b32_e32 v9, 2, v13
	ds_read_b32 v9, v9
; %bb.28:
	s_or_b64 exec, exec, s[0:1]
	v_cmp_le_u32_e64 s[0:1], s20, v19
	v_cmp_gt_u32_e64 s[2:3], s20, v19
                                        ; implicit-def: $vgpr10
	s_and_saveexec_b64 s[4:5], s[2:3]
; %bb.29:
	v_lshlrev_b32_e32 v10, 2, v19
	ds_read_b32 v10, v10
; %bb.30:
	s_or_b64 exec, exec, s[4:5]
	s_waitcnt lgkmcnt(0)
	v_cmp_le_i32_e64 s[2:3], v9, v10
	s_and_b64 s[2:3], vcc, s[2:3]
	s_or_b64 vcc, s[0:1], s[2:3]
	v_mov_b32_e32 v11, s20
	v_mov_b32_e32 v12, s15
	v_cndmask_b32_e32 v14, v19, v13, vcc
	v_cndmask_b32_e32 v15, v11, v12, vcc
	v_add_u32_e32 v16, 1, v14
	v_add_u32_e32 v15, -1, v15
	v_min_u32_e32 v15, v16, v15
	v_lshlrev_b32_e32 v15, 2, v15
	ds_read_b32 v15, v15
	v_cndmask_b32_e32 v13, v13, v16, vcc
	v_cndmask_b32_e32 v19, v16, v19, vcc
	v_cmp_gt_u32_e64 s[2:3], s15, v13
	v_cmp_le_u32_e64 s[0:1], s20, v19
	s_waitcnt lgkmcnt(0)
	v_cndmask_b32_e32 v20, v15, v10, vcc
	v_cndmask_b32_e32 v21, v9, v15, vcc
	v_cmp_le_i32_e64 s[4:5], v21, v20
	s_and_b64 s[2:3], s[2:3], s[4:5]
	s_or_b64 s[0:1], s[0:1], s[2:3]
	v_cndmask_b32_e64 v15, v19, v13, s[0:1]
	v_cndmask_b32_e64 v16, v11, v12, s[0:1]
	v_add_u32_e32 v22, 1, v15
	v_add_u32_e32 v16, -1, v16
	v_min_u32_e32 v16, v22, v16
	v_lshlrev_b32_e32 v16, 2, v16
	ds_read_b32 v16, v16
	v_cndmask_b32_e64 v13, v13, v22, s[0:1]
	v_cndmask_b32_e64 v19, v22, v19, s[0:1]
	v_cmp_gt_u32_e64 s[4:5], s15, v13
	v_cmp_le_u32_e64 s[2:3], s20, v19
	s_waitcnt lgkmcnt(0)
	v_cndmask_b32_e64 v23, v16, v20, s[0:1]
	v_cndmask_b32_e64 v24, v21, v16, s[0:1]
	v_cmp_le_i32_e64 s[6:7], v24, v23
	s_and_b64 s[4:5], s[4:5], s[6:7]
	s_or_b64 s[2:3], s[2:3], s[4:5]
	v_cndmask_b32_e64 v16, v19, v13, s[2:3]
	v_cndmask_b32_e64 v11, v11, v12, s[2:3]
	v_add_u32_e32 v12, 1, v16
	v_add_u32_e32 v11, -1, v11
	v_min_u32_e32 v11, v12, v11
	v_lshlrev_b32_e32 v11, 2, v11
	ds_read_b32 v22, v11
	v_cndmask_b32_e32 v9, v10, v9, vcc
	v_cndmask_b32_e64 v10, v20, v21, s[0:1]
	v_cndmask_b32_e64 v19, v12, v19, s[2:3]
	;; [unrolled: 1-line block ×3, first 2 shown]
	s_waitcnt lgkmcnt(0)
	v_cndmask_b32_e64 v21, v22, v23, s[2:3]
	v_cndmask_b32_e64 v22, v24, v22, s[2:3]
	;; [unrolled: 1-line block ×3, first 2 shown]
	v_cmp_gt_u32_e64 s[0:1], s15, v12
	v_cmp_le_i32_e64 s[2:3], v22, v21
	v_cmp_le_u32_e32 vcc, s20, v19
	s_and_b64 s[0:1], s[0:1], s[2:3]
	s_or_b64 vcc, vcc, s[0:1]
	v_cndmask_b32_e32 v20, v19, v12, vcc
	v_cndmask_b32_e32 v12, v21, v22, vcc
.LBB757_31:
	s_or_b64 exec, exec, s[10:11]
	v_add_u32_e32 v24, v17, v17
	s_barrier
	ds_write2st64_b64 v24, v[1:2], v[3:4] offset1:4
	ds_write2st64_b64 v24, v[5:6], v[7:8] offset0:8 offset1:12
	v_lshlrev_b32_e32 v1, 3, v14
	v_lshlrev_b32_e32 v2, 3, v15
	v_lshlrev_b32_e32 v3, 3, v16
	v_lshlrev_b32_e32 v4, 3, v20
	s_waitcnt lgkmcnt(0)
	s_barrier
	ds_read_b64 v[5:6], v1
	ds_read_b64 v[7:8], v2
	;; [unrolled: 1-line block ×4, first 2 shown]
	s_mov_b32 s17, 0
	s_lshl_b64 s[0:1], s[16:17], 2
	v_lshrrev_b32_e32 v13, 3, v0
	s_add_u32 s0, s8, s0
	v_add_u32_e32 v15, v13, v17
	s_addc_u32 s1, s9, s1
	v_lshlrev_b32_e32 v16, 2, v15
	s_waitcnt lgkmcnt(0)
	s_barrier
	s_barrier
	ds_write2_b32 v16, v9, v10 offset1:1
	ds_write2_b32 v16, v11, v12 offset0:2 offset1:3
	v_or_b32_e32 v23, 0x100, v0
	v_or_b32_e32 v22, 0x200, v0
	;; [unrolled: 1-line block ×3, first 2 shown]
	v_mov_b32_e32 v10, s1
	v_add_co_u32_e32 v9, vcc, s0, v17
	v_lshrrev_b32_e32 v13, 5, v0
	v_lshrrev_b32_e32 v11, 5, v23
	;; [unrolled: 1-line block ×4, first 2 shown]
	v_addc_co_u32_e32 v10, vcc, 0, v10, vcc
	v_lshl_add_u32 v14, v13, 2, v17
	v_lshl_add_u32 v25, v11, 2, v17
	;; [unrolled: 1-line block ×4, first 2 shown]
	s_and_b64 vcc, exec, s[18:19]
	v_lshl_add_u32 v17, v11, 3, v24
	v_lshl_add_u32 v19, v12, 3, v24
	v_lshl_add_u32 v20, v20, 3, v24
	s_waitcnt lgkmcnt(0)
	s_cbranch_vccz .LBB757_33
; %bb.32:
	s_barrier
	ds_read_b32 v11, v14
	ds_read_b32 v12, v25 offset:1024
	ds_read_b32 v28, v26 offset:2048
	;; [unrolled: 1-line block ×3, first 2 shown]
	s_lshl_b64 s[0:1], s[16:17], 3
	s_add_u32 s0, s12, s0
	s_waitcnt lgkmcnt(3)
	global_store_dword v[9:10], v11, off
	s_waitcnt lgkmcnt(2)
	global_store_dword v[9:10], v12, off offset:1024
	s_waitcnt lgkmcnt(1)
	global_store_dword v[9:10], v28, off offset:2048
	;; [unrolled: 2-line block ×3, first 2 shown]
	v_lshlrev_b32_e32 v11, 3, v15
	s_waitcnt vmcnt(0)
	s_barrier
	ds_write2_b64 v11, v[5:6], v[7:8] offset1:1
	ds_write2_b64 v11, v[1:2], v[3:4] offset0:2 offset1:3
	v_lshl_add_u32 v11, v13, 3, v24
	s_addc_u32 s1, s13, s1
	s_waitcnt lgkmcnt(0)
	s_barrier
	ds_read_b64 v[28:29], v11
	ds_read_b64 v[30:31], v17 offset:2048
	ds_read_b64 v[32:33], v19 offset:4096
	;; [unrolled: 1-line block ×3, first 2 shown]
	v_mov_b32_e32 v24, s1
	v_add_co_u32_e32 v34, vcc, s0, v18
	v_addc_co_u32_e32 v24, vcc, 0, v24, vcc
	s_waitcnt lgkmcnt(3)
	global_store_dwordx2 v18, v[28:29], s[0:1]
	s_waitcnt lgkmcnt(2)
	global_store_dwordx2 v18, v[30:31], s[0:1] offset:2048
	v_add_co_u32_e32 v28, vcc, 0x1000, v34
	v_addc_co_u32_e32 v29, vcc, 0, v24, vcc
	s_waitcnt lgkmcnt(1)
	global_store_dwordx2 v[28:29], v[32:33], off
	s_mov_b64 s[6:7], -1
	s_cbranch_execz .LBB757_34
	s_branch .LBB757_44
.LBB757_33:
	s_mov_b64 s[6:7], 0
                                        ; implicit-def: $vgpr11_vgpr12
.LBB757_34:
	s_waitcnt vmcnt(0) lgkmcnt(0)
	s_barrier
	ds_read_b32 v24, v25 offset:1024
	ds_read_b32 v12, v26 offset:2048
	;; [unrolled: 1-line block ×3, first 2 shown]
	s_sub_i32 s6, s14, s16
	v_cmp_gt_u32_e32 vcc, s6, v0
	s_and_saveexec_b64 s[0:1], vcc
	s_cbranch_execnz .LBB757_51
; %bb.35:
	s_or_b64 exec, exec, s[0:1]
	v_cmp_gt_u32_e64 s[0:1], s6, v23
	s_and_saveexec_b64 s[2:3], s[0:1]
	s_cbranch_execnz .LBB757_52
.LBB757_36:
	s_or_b64 exec, exec, s[2:3]
	v_cmp_gt_u32_e64 s[2:3], s6, v22
	s_and_saveexec_b64 s[4:5], s[2:3]
	s_cbranch_execnz .LBB757_53
.LBB757_37:
	s_or_b64 exec, exec, s[4:5]
	v_cmp_gt_u32_e64 s[6:7], s6, v21
	s_and_saveexec_b64 s[4:5], s[6:7]
	s_cbranch_execz .LBB757_39
.LBB757_38:
	s_waitcnt lgkmcnt(0)
	global_store_dword v[9:10], v11, off offset:3072
.LBB757_39:
	s_or_b64 exec, exec, s[4:5]
	v_lshl_add_u32 v9, v15, 2, v16
	s_waitcnt vmcnt(0) lgkmcnt(0)
	s_barrier
	ds_write2_b64 v9, v[5:6], v[7:8] offset1:1
	ds_write2_b64 v9, v[1:2], v[3:4] offset0:2 offset1:3
	s_waitcnt lgkmcnt(0)
	s_barrier
	ds_read_b64 v[5:6], v17 offset:2048
	ds_read_b64 v[1:2], v19 offset:4096
	;; [unrolled: 1-line block ×3, first 2 shown]
	s_lshl_b64 s[4:5], s[16:17], 3
	s_add_u32 s4, s12, s4
	s_addc_u32 s5, s13, s5
	v_mov_b32_e32 v4, s5
	v_add_co_u32_e64 v3, s[4:5], s4, v18
	v_addc_co_u32_e64 v4, s[4:5], 0, v4, s[4:5]
	s_and_saveexec_b64 s[4:5], vcc
	s_cbranch_execnz .LBB757_54
; %bb.40:
	s_or_b64 exec, exec, s[4:5]
	s_and_saveexec_b64 s[4:5], s[0:1]
	s_cbranch_execnz .LBB757_55
.LBB757_41:
	s_or_b64 exec, exec, s[4:5]
	s_and_saveexec_b64 s[0:1], s[2:3]
	s_cbranch_execz .LBB757_43
.LBB757_42:
	v_add_co_u32_e32 v3, vcc, 0x1000, v3
	v_addc_co_u32_e32 v4, vcc, 0, v4, vcc
	s_waitcnt lgkmcnt(1)
	global_store_dwordx2 v[3:4], v[1:2], off
.LBB757_43:
	s_or_b64 exec, exec, s[0:1]
.LBB757_44:
	s_and_saveexec_b64 s[0:1], s[6:7]
	s_cbranch_execz .LBB757_46
; %bb.45:
	s_lshl_b64 s[0:1], s[16:17], 3
	s_add_u32 s0, s12, s0
	s_addc_u32 s1, s13, s1
	v_mov_b32_e32 v0, s1
	s_waitcnt lgkmcnt(1)
	v_add_co_u32_e32 v1, vcc, s0, v18
	v_addc_co_u32_e32 v2, vcc, 0, v0, vcc
	v_add_co_u32_e32 v0, vcc, 0x1000, v1
	v_addc_co_u32_e32 v1, vcc, 0, v2, vcc
	s_waitcnt lgkmcnt(0)
	global_store_dwordx2 v[0:1], v[11:12], off offset:2048
.LBB757_46:
	s_endpgm
.LBB757_47:
	v_mov_b32_e32 v1, s25
	v_add_co_u32_e32 v3, vcc, s24, v17
	v_addc_co_u32_e32 v4, vcc, 0, v1, vcc
	v_subrev_co_u32_e32 v1, vcc, s15, v0
	v_mov_b32_e32 v2, v9
	v_lshlrev_b64 v[1:2], 2, v[1:2]
	v_mov_b32_e32 v5, s26
	v_add_co_u32_e64 v1, s[0:1], s23, v1
	v_addc_co_u32_e64 v2, s[0:1], v5, v2, s[0:1]
	v_cndmask_b32_e32 v2, v2, v4, vcc
	v_cndmask_b32_e32 v1, v1, v3, vcc
	global_load_dword v1, v[1:2], off
	v_mov_b32_e32 v4, v9
	v_mov_b32_e32 v2, v9
	;; [unrolled: 1-line block ×3, first 2 shown]
	s_waitcnt vmcnt(0)
	v_mov_b32_e32 v12, v4
	v_mov_b32_e32 v11, v3
	;; [unrolled: 1-line block ×4, first 2 shown]
	s_or_b64 exec, exec, s[6:7]
	v_cmp_gt_u32_e32 vcc, s20, v15
	s_and_saveexec_b64 s[6:7], vcc
	s_cbranch_execz .LBB757_6
.LBB757_48:
	v_mov_b32_e32 v16, 0
	v_lshlrev_b64 v[1:2], 2, v[15:16]
	v_mov_b32_e32 v3, s25
	v_add_co_u32_e32 v4, vcc, s24, v1
	v_addc_co_u32_e32 v3, vcc, v3, v2, vcc
	v_subrev_co_u32_e32 v1, vcc, s15, v15
	v_mov_b32_e32 v2, v16
	v_lshlrev_b64 v[1:2], 2, v[1:2]
	v_mov_b32_e32 v5, s26
	v_add_co_u32_e64 v1, s[0:1], s23, v1
	v_addc_co_u32_e64 v2, s[0:1], v5, v2, s[0:1]
	v_cndmask_b32_e32 v2, v2, v3, vcc
	v_cndmask_b32_e32 v1, v1, v4, vcc
	global_load_dword v10, v[1:2], off
	s_or_b64 exec, exec, s[6:7]
	v_cmp_gt_u32_e32 vcc, s20, v13
	s_and_saveexec_b64 s[6:7], vcc
	s_cbranch_execnz .LBB757_7
	s_branch .LBB757_8
.LBB757_49:
	v_mov_b32_e32 v2, s7
	v_add_co_u32_e32 v4, vcc, s6, v18
	v_addc_co_u32_e32 v5, vcc, 0, v2, vcc
	v_subrev_co_u32_e32 v2, vcc, s15, v0
	v_mov_b32_e32 v3, v1
	v_lshlrev_b64 v[2:3], 3, v[2:3]
	v_mov_b32_e32 v6, s5
	v_add_co_u32_e64 v2, s[0:1], s4, v2
	v_addc_co_u32_e64 v3, s[0:1], v6, v3, s[0:1]
	v_cndmask_b32_e32 v3, v3, v5, vcc
	v_cndmask_b32_e32 v2, v2, v4, vcc
	global_load_dwordx2 v[20:21], v[2:3], off
	v_mov_b32_e32 v22, v1
	v_mov_b32_e32 v23, v1
	;; [unrolled: 1-line block ×6, first 2 shown]
	s_waitcnt vmcnt(0)
	v_mov_b32_e32 v1, v20
	v_mov_b32_e32 v2, v21
	v_mov_b32_e32 v3, v22
	v_mov_b32_e32 v4, v23
	v_mov_b32_e32 v5, v24
	v_mov_b32_e32 v6, v25
	v_mov_b32_e32 v7, v26
	v_mov_b32_e32 v8, v27
	s_or_b64 exec, exec, s[2:3]
	v_cmp_gt_u32_e32 vcc, s20, v15
	s_and_saveexec_b64 s[2:3], vcc
	s_cbranch_execz .LBB757_16
.LBB757_50:
	v_mov_b32_e32 v16, 0
	v_lshlrev_b64 v[3:4], 3, v[15:16]
	v_mov_b32_e32 v14, s7
	v_add_co_u32_e32 v20, vcc, s6, v3
	v_addc_co_u32_e32 v14, vcc, v14, v4, vcc
	v_subrev_co_u32_e32 v15, vcc, s15, v15
	v_lshlrev_b64 v[3:4], 3, v[15:16]
	v_mov_b32_e32 v15, s5
	v_add_co_u32_e64 v3, s[0:1], s4, v3
	v_addc_co_u32_e64 v4, s[0:1], v15, v4, s[0:1]
	v_cndmask_b32_e32 v4, v4, v14, vcc
	v_cndmask_b32_e32 v3, v3, v20, vcc
	global_load_dwordx2 v[3:4], v[3:4], off
	s_or_b64 exec, exec, s[2:3]
	v_cmp_gt_u32_e32 vcc, s20, v13
	s_and_saveexec_b64 s[2:3], vcc
	s_cbranch_execnz .LBB757_17
	s_branch .LBB757_18
.LBB757_51:
	ds_read_b32 v25, v14
	s_waitcnt lgkmcnt(0)
	global_store_dword v[9:10], v25, off
	s_or_b64 exec, exec, s[0:1]
	v_cmp_gt_u32_e64 s[0:1], s6, v23
	s_and_saveexec_b64 s[2:3], s[0:1]
	s_cbranch_execz .LBB757_36
.LBB757_52:
	s_waitcnt lgkmcnt(2)
	global_store_dword v[9:10], v24, off offset:1024
	s_or_b64 exec, exec, s[2:3]
	v_cmp_gt_u32_e64 s[2:3], s6, v22
	s_and_saveexec_b64 s[4:5], s[2:3]
	s_cbranch_execz .LBB757_37
.LBB757_53:
	s_waitcnt lgkmcnt(1)
	global_store_dword v[9:10], v12, off offset:2048
	s_or_b64 exec, exec, s[4:5]
	v_cmp_gt_u32_e64 s[6:7], s6, v21
	s_and_saveexec_b64 s[4:5], s[6:7]
	s_cbranch_execnz .LBB757_38
	s_branch .LBB757_39
.LBB757_54:
	v_add_u32_e32 v0, v13, v0
	v_lshl_add_u32 v0, v0, 2, v14
	ds_read_b64 v[7:8], v0
	s_waitcnt lgkmcnt(0)
	global_store_dwordx2 v[3:4], v[7:8], off
	s_or_b64 exec, exec, s[4:5]
	s_and_saveexec_b64 s[4:5], s[0:1]
	s_cbranch_execz .LBB757_41
.LBB757_55:
	s_waitcnt lgkmcnt(2)
	global_store_dwordx2 v[3:4], v[5:6], off offset:2048
	s_or_b64 exec, exec, s[4:5]
	s_and_saveexec_b64 s[0:1], s[2:3]
	s_cbranch_execnz .LBB757_42
	s_branch .LBB757_43
	.section	.rodata,"a",@progbits
	.p2align	6, 0x0
	.amdhsa_kernel _ZN7rocprim17ROCPRIM_400000_NS6detail17trampoline_kernelINS0_14default_configENS1_38merge_sort_block_merge_config_selectorIilEEZZNS1_27merge_sort_block_merge_implIS3_PiN6thrust23THRUST_200600_302600_NS10device_ptrIlEEjNS1_19radix_merge_compareILb0ELb0EiNS0_19identity_decomposerEEEEE10hipError_tT0_T1_T2_jT3_P12ihipStream_tbPNSt15iterator_traitsISG_E10value_typeEPNSM_ISH_E10value_typeEPSI_NS1_7vsmem_tEENKUlT_SG_SH_SI_E_clIS7_S7_PlSB_EESF_SV_SG_SH_SI_EUlSV_E0_NS1_11comp_targetILNS1_3genE2ELNS1_11target_archE906ELNS1_3gpuE6ELNS1_3repE0EEENS1_38merge_mergepath_config_static_selectorELNS0_4arch9wavefront6targetE1EEEvSH_
		.amdhsa_group_segment_fixed_size 8448
		.amdhsa_private_segment_fixed_size 0
		.amdhsa_kernarg_size 320
		.amdhsa_user_sgpr_count 6
		.amdhsa_user_sgpr_private_segment_buffer 1
		.amdhsa_user_sgpr_dispatch_ptr 0
		.amdhsa_user_sgpr_queue_ptr 0
		.amdhsa_user_sgpr_kernarg_segment_ptr 1
		.amdhsa_user_sgpr_dispatch_id 0
		.amdhsa_user_sgpr_flat_scratch_init 0
		.amdhsa_user_sgpr_private_segment_size 0
		.amdhsa_uses_dynamic_stack 0
		.amdhsa_system_sgpr_private_segment_wavefront_offset 0
		.amdhsa_system_sgpr_workgroup_id_x 1
		.amdhsa_system_sgpr_workgroup_id_y 1
		.amdhsa_system_sgpr_workgroup_id_z 1
		.amdhsa_system_sgpr_workgroup_info 0
		.amdhsa_system_vgpr_workitem_id 0
		.amdhsa_next_free_vgpr 35
		.amdhsa_next_free_sgpr 77
		.amdhsa_reserve_vcc 1
		.amdhsa_reserve_flat_scratch 0
		.amdhsa_float_round_mode_32 0
		.amdhsa_float_round_mode_16_64 0
		.amdhsa_float_denorm_mode_32 3
		.amdhsa_float_denorm_mode_16_64 3
		.amdhsa_dx10_clamp 1
		.amdhsa_ieee_mode 1
		.amdhsa_fp16_overflow 0
		.amdhsa_exception_fp_ieee_invalid_op 0
		.amdhsa_exception_fp_denorm_src 0
		.amdhsa_exception_fp_ieee_div_zero 0
		.amdhsa_exception_fp_ieee_overflow 0
		.amdhsa_exception_fp_ieee_underflow 0
		.amdhsa_exception_fp_ieee_inexact 0
		.amdhsa_exception_int_div_zero 0
	.end_amdhsa_kernel
	.section	.text._ZN7rocprim17ROCPRIM_400000_NS6detail17trampoline_kernelINS0_14default_configENS1_38merge_sort_block_merge_config_selectorIilEEZZNS1_27merge_sort_block_merge_implIS3_PiN6thrust23THRUST_200600_302600_NS10device_ptrIlEEjNS1_19radix_merge_compareILb0ELb0EiNS0_19identity_decomposerEEEEE10hipError_tT0_T1_T2_jT3_P12ihipStream_tbPNSt15iterator_traitsISG_E10value_typeEPNSM_ISH_E10value_typeEPSI_NS1_7vsmem_tEENKUlT_SG_SH_SI_E_clIS7_S7_PlSB_EESF_SV_SG_SH_SI_EUlSV_E0_NS1_11comp_targetILNS1_3genE2ELNS1_11target_archE906ELNS1_3gpuE6ELNS1_3repE0EEENS1_38merge_mergepath_config_static_selectorELNS0_4arch9wavefront6targetE1EEEvSH_,"axG",@progbits,_ZN7rocprim17ROCPRIM_400000_NS6detail17trampoline_kernelINS0_14default_configENS1_38merge_sort_block_merge_config_selectorIilEEZZNS1_27merge_sort_block_merge_implIS3_PiN6thrust23THRUST_200600_302600_NS10device_ptrIlEEjNS1_19radix_merge_compareILb0ELb0EiNS0_19identity_decomposerEEEEE10hipError_tT0_T1_T2_jT3_P12ihipStream_tbPNSt15iterator_traitsISG_E10value_typeEPNSM_ISH_E10value_typeEPSI_NS1_7vsmem_tEENKUlT_SG_SH_SI_E_clIS7_S7_PlSB_EESF_SV_SG_SH_SI_EUlSV_E0_NS1_11comp_targetILNS1_3genE2ELNS1_11target_archE906ELNS1_3gpuE6ELNS1_3repE0EEENS1_38merge_mergepath_config_static_selectorELNS0_4arch9wavefront6targetE1EEEvSH_,comdat
.Lfunc_end757:
	.size	_ZN7rocprim17ROCPRIM_400000_NS6detail17trampoline_kernelINS0_14default_configENS1_38merge_sort_block_merge_config_selectorIilEEZZNS1_27merge_sort_block_merge_implIS3_PiN6thrust23THRUST_200600_302600_NS10device_ptrIlEEjNS1_19radix_merge_compareILb0ELb0EiNS0_19identity_decomposerEEEEE10hipError_tT0_T1_T2_jT3_P12ihipStream_tbPNSt15iterator_traitsISG_E10value_typeEPNSM_ISH_E10value_typeEPSI_NS1_7vsmem_tEENKUlT_SG_SH_SI_E_clIS7_S7_PlSB_EESF_SV_SG_SH_SI_EUlSV_E0_NS1_11comp_targetILNS1_3genE2ELNS1_11target_archE906ELNS1_3gpuE6ELNS1_3repE0EEENS1_38merge_mergepath_config_static_selectorELNS0_4arch9wavefront6targetE1EEEvSH_, .Lfunc_end757-_ZN7rocprim17ROCPRIM_400000_NS6detail17trampoline_kernelINS0_14default_configENS1_38merge_sort_block_merge_config_selectorIilEEZZNS1_27merge_sort_block_merge_implIS3_PiN6thrust23THRUST_200600_302600_NS10device_ptrIlEEjNS1_19radix_merge_compareILb0ELb0EiNS0_19identity_decomposerEEEEE10hipError_tT0_T1_T2_jT3_P12ihipStream_tbPNSt15iterator_traitsISG_E10value_typeEPNSM_ISH_E10value_typeEPSI_NS1_7vsmem_tEENKUlT_SG_SH_SI_E_clIS7_S7_PlSB_EESF_SV_SG_SH_SI_EUlSV_E0_NS1_11comp_targetILNS1_3genE2ELNS1_11target_archE906ELNS1_3gpuE6ELNS1_3repE0EEENS1_38merge_mergepath_config_static_selectorELNS0_4arch9wavefront6targetE1EEEvSH_
                                        ; -- End function
	.set _ZN7rocprim17ROCPRIM_400000_NS6detail17trampoline_kernelINS0_14default_configENS1_38merge_sort_block_merge_config_selectorIilEEZZNS1_27merge_sort_block_merge_implIS3_PiN6thrust23THRUST_200600_302600_NS10device_ptrIlEEjNS1_19radix_merge_compareILb0ELb0EiNS0_19identity_decomposerEEEEE10hipError_tT0_T1_T2_jT3_P12ihipStream_tbPNSt15iterator_traitsISG_E10value_typeEPNSM_ISH_E10value_typeEPSI_NS1_7vsmem_tEENKUlT_SG_SH_SI_E_clIS7_S7_PlSB_EESF_SV_SG_SH_SI_EUlSV_E0_NS1_11comp_targetILNS1_3genE2ELNS1_11target_archE906ELNS1_3gpuE6ELNS1_3repE0EEENS1_38merge_mergepath_config_static_selectorELNS0_4arch9wavefront6targetE1EEEvSH_.num_vgpr, 35
	.set _ZN7rocprim17ROCPRIM_400000_NS6detail17trampoline_kernelINS0_14default_configENS1_38merge_sort_block_merge_config_selectorIilEEZZNS1_27merge_sort_block_merge_implIS3_PiN6thrust23THRUST_200600_302600_NS10device_ptrIlEEjNS1_19radix_merge_compareILb0ELb0EiNS0_19identity_decomposerEEEEE10hipError_tT0_T1_T2_jT3_P12ihipStream_tbPNSt15iterator_traitsISG_E10value_typeEPNSM_ISH_E10value_typeEPSI_NS1_7vsmem_tEENKUlT_SG_SH_SI_E_clIS7_S7_PlSB_EESF_SV_SG_SH_SI_EUlSV_E0_NS1_11comp_targetILNS1_3genE2ELNS1_11target_archE906ELNS1_3gpuE6ELNS1_3repE0EEENS1_38merge_mergepath_config_static_selectorELNS0_4arch9wavefront6targetE1EEEvSH_.num_agpr, 0
	.set _ZN7rocprim17ROCPRIM_400000_NS6detail17trampoline_kernelINS0_14default_configENS1_38merge_sort_block_merge_config_selectorIilEEZZNS1_27merge_sort_block_merge_implIS3_PiN6thrust23THRUST_200600_302600_NS10device_ptrIlEEjNS1_19radix_merge_compareILb0ELb0EiNS0_19identity_decomposerEEEEE10hipError_tT0_T1_T2_jT3_P12ihipStream_tbPNSt15iterator_traitsISG_E10value_typeEPNSM_ISH_E10value_typeEPSI_NS1_7vsmem_tEENKUlT_SG_SH_SI_E_clIS7_S7_PlSB_EESF_SV_SG_SH_SI_EUlSV_E0_NS1_11comp_targetILNS1_3genE2ELNS1_11target_archE906ELNS1_3gpuE6ELNS1_3repE0EEENS1_38merge_mergepath_config_static_selectorELNS0_4arch9wavefront6targetE1EEEvSH_.numbered_sgpr, 31
	.set _ZN7rocprim17ROCPRIM_400000_NS6detail17trampoline_kernelINS0_14default_configENS1_38merge_sort_block_merge_config_selectorIilEEZZNS1_27merge_sort_block_merge_implIS3_PiN6thrust23THRUST_200600_302600_NS10device_ptrIlEEjNS1_19radix_merge_compareILb0ELb0EiNS0_19identity_decomposerEEEEE10hipError_tT0_T1_T2_jT3_P12ihipStream_tbPNSt15iterator_traitsISG_E10value_typeEPNSM_ISH_E10value_typeEPSI_NS1_7vsmem_tEENKUlT_SG_SH_SI_E_clIS7_S7_PlSB_EESF_SV_SG_SH_SI_EUlSV_E0_NS1_11comp_targetILNS1_3genE2ELNS1_11target_archE906ELNS1_3gpuE6ELNS1_3repE0EEENS1_38merge_mergepath_config_static_selectorELNS0_4arch9wavefront6targetE1EEEvSH_.num_named_barrier, 0
	.set _ZN7rocprim17ROCPRIM_400000_NS6detail17trampoline_kernelINS0_14default_configENS1_38merge_sort_block_merge_config_selectorIilEEZZNS1_27merge_sort_block_merge_implIS3_PiN6thrust23THRUST_200600_302600_NS10device_ptrIlEEjNS1_19radix_merge_compareILb0ELb0EiNS0_19identity_decomposerEEEEE10hipError_tT0_T1_T2_jT3_P12ihipStream_tbPNSt15iterator_traitsISG_E10value_typeEPNSM_ISH_E10value_typeEPSI_NS1_7vsmem_tEENKUlT_SG_SH_SI_E_clIS7_S7_PlSB_EESF_SV_SG_SH_SI_EUlSV_E0_NS1_11comp_targetILNS1_3genE2ELNS1_11target_archE906ELNS1_3gpuE6ELNS1_3repE0EEENS1_38merge_mergepath_config_static_selectorELNS0_4arch9wavefront6targetE1EEEvSH_.private_seg_size, 0
	.set _ZN7rocprim17ROCPRIM_400000_NS6detail17trampoline_kernelINS0_14default_configENS1_38merge_sort_block_merge_config_selectorIilEEZZNS1_27merge_sort_block_merge_implIS3_PiN6thrust23THRUST_200600_302600_NS10device_ptrIlEEjNS1_19radix_merge_compareILb0ELb0EiNS0_19identity_decomposerEEEEE10hipError_tT0_T1_T2_jT3_P12ihipStream_tbPNSt15iterator_traitsISG_E10value_typeEPNSM_ISH_E10value_typeEPSI_NS1_7vsmem_tEENKUlT_SG_SH_SI_E_clIS7_S7_PlSB_EESF_SV_SG_SH_SI_EUlSV_E0_NS1_11comp_targetILNS1_3genE2ELNS1_11target_archE906ELNS1_3gpuE6ELNS1_3repE0EEENS1_38merge_mergepath_config_static_selectorELNS0_4arch9wavefront6targetE1EEEvSH_.uses_vcc, 1
	.set _ZN7rocprim17ROCPRIM_400000_NS6detail17trampoline_kernelINS0_14default_configENS1_38merge_sort_block_merge_config_selectorIilEEZZNS1_27merge_sort_block_merge_implIS3_PiN6thrust23THRUST_200600_302600_NS10device_ptrIlEEjNS1_19radix_merge_compareILb0ELb0EiNS0_19identity_decomposerEEEEE10hipError_tT0_T1_T2_jT3_P12ihipStream_tbPNSt15iterator_traitsISG_E10value_typeEPNSM_ISH_E10value_typeEPSI_NS1_7vsmem_tEENKUlT_SG_SH_SI_E_clIS7_S7_PlSB_EESF_SV_SG_SH_SI_EUlSV_E0_NS1_11comp_targetILNS1_3genE2ELNS1_11target_archE906ELNS1_3gpuE6ELNS1_3repE0EEENS1_38merge_mergepath_config_static_selectorELNS0_4arch9wavefront6targetE1EEEvSH_.uses_flat_scratch, 0
	.set _ZN7rocprim17ROCPRIM_400000_NS6detail17trampoline_kernelINS0_14default_configENS1_38merge_sort_block_merge_config_selectorIilEEZZNS1_27merge_sort_block_merge_implIS3_PiN6thrust23THRUST_200600_302600_NS10device_ptrIlEEjNS1_19radix_merge_compareILb0ELb0EiNS0_19identity_decomposerEEEEE10hipError_tT0_T1_T2_jT3_P12ihipStream_tbPNSt15iterator_traitsISG_E10value_typeEPNSM_ISH_E10value_typeEPSI_NS1_7vsmem_tEENKUlT_SG_SH_SI_E_clIS7_S7_PlSB_EESF_SV_SG_SH_SI_EUlSV_E0_NS1_11comp_targetILNS1_3genE2ELNS1_11target_archE906ELNS1_3gpuE6ELNS1_3repE0EEENS1_38merge_mergepath_config_static_selectorELNS0_4arch9wavefront6targetE1EEEvSH_.has_dyn_sized_stack, 0
	.set _ZN7rocprim17ROCPRIM_400000_NS6detail17trampoline_kernelINS0_14default_configENS1_38merge_sort_block_merge_config_selectorIilEEZZNS1_27merge_sort_block_merge_implIS3_PiN6thrust23THRUST_200600_302600_NS10device_ptrIlEEjNS1_19radix_merge_compareILb0ELb0EiNS0_19identity_decomposerEEEEE10hipError_tT0_T1_T2_jT3_P12ihipStream_tbPNSt15iterator_traitsISG_E10value_typeEPNSM_ISH_E10value_typeEPSI_NS1_7vsmem_tEENKUlT_SG_SH_SI_E_clIS7_S7_PlSB_EESF_SV_SG_SH_SI_EUlSV_E0_NS1_11comp_targetILNS1_3genE2ELNS1_11target_archE906ELNS1_3gpuE6ELNS1_3repE0EEENS1_38merge_mergepath_config_static_selectorELNS0_4arch9wavefront6targetE1EEEvSH_.has_recursion, 0
	.set _ZN7rocprim17ROCPRIM_400000_NS6detail17trampoline_kernelINS0_14default_configENS1_38merge_sort_block_merge_config_selectorIilEEZZNS1_27merge_sort_block_merge_implIS3_PiN6thrust23THRUST_200600_302600_NS10device_ptrIlEEjNS1_19radix_merge_compareILb0ELb0EiNS0_19identity_decomposerEEEEE10hipError_tT0_T1_T2_jT3_P12ihipStream_tbPNSt15iterator_traitsISG_E10value_typeEPNSM_ISH_E10value_typeEPSI_NS1_7vsmem_tEENKUlT_SG_SH_SI_E_clIS7_S7_PlSB_EESF_SV_SG_SH_SI_EUlSV_E0_NS1_11comp_targetILNS1_3genE2ELNS1_11target_archE906ELNS1_3gpuE6ELNS1_3repE0EEENS1_38merge_mergepath_config_static_selectorELNS0_4arch9wavefront6targetE1EEEvSH_.has_indirect_call, 0
	.section	.AMDGPU.csdata,"",@progbits
; Kernel info:
; codeLenInByte = 3516
; TotalNumSgprs: 35
; NumVgprs: 35
; ScratchSize: 0
; MemoryBound: 0
; FloatMode: 240
; IeeeMode: 1
; LDSByteSize: 8448 bytes/workgroup (compile time only)
; SGPRBlocks: 10
; VGPRBlocks: 8
; NumSGPRsForWavesPerEU: 81
; NumVGPRsForWavesPerEU: 35
; Occupancy: 7
; WaveLimiterHint : 1
; COMPUTE_PGM_RSRC2:SCRATCH_EN: 0
; COMPUTE_PGM_RSRC2:USER_SGPR: 6
; COMPUTE_PGM_RSRC2:TRAP_HANDLER: 0
; COMPUTE_PGM_RSRC2:TGID_X_EN: 1
; COMPUTE_PGM_RSRC2:TGID_Y_EN: 1
; COMPUTE_PGM_RSRC2:TGID_Z_EN: 1
; COMPUTE_PGM_RSRC2:TIDIG_COMP_CNT: 0
	.section	.text._ZN7rocprim17ROCPRIM_400000_NS6detail17trampoline_kernelINS0_14default_configENS1_38merge_sort_block_merge_config_selectorIilEEZZNS1_27merge_sort_block_merge_implIS3_PiN6thrust23THRUST_200600_302600_NS10device_ptrIlEEjNS1_19radix_merge_compareILb0ELb0EiNS0_19identity_decomposerEEEEE10hipError_tT0_T1_T2_jT3_P12ihipStream_tbPNSt15iterator_traitsISG_E10value_typeEPNSM_ISH_E10value_typeEPSI_NS1_7vsmem_tEENKUlT_SG_SH_SI_E_clIS7_S7_PlSB_EESF_SV_SG_SH_SI_EUlSV_E0_NS1_11comp_targetILNS1_3genE9ELNS1_11target_archE1100ELNS1_3gpuE3ELNS1_3repE0EEENS1_38merge_mergepath_config_static_selectorELNS0_4arch9wavefront6targetE1EEEvSH_,"axG",@progbits,_ZN7rocprim17ROCPRIM_400000_NS6detail17trampoline_kernelINS0_14default_configENS1_38merge_sort_block_merge_config_selectorIilEEZZNS1_27merge_sort_block_merge_implIS3_PiN6thrust23THRUST_200600_302600_NS10device_ptrIlEEjNS1_19radix_merge_compareILb0ELb0EiNS0_19identity_decomposerEEEEE10hipError_tT0_T1_T2_jT3_P12ihipStream_tbPNSt15iterator_traitsISG_E10value_typeEPNSM_ISH_E10value_typeEPSI_NS1_7vsmem_tEENKUlT_SG_SH_SI_E_clIS7_S7_PlSB_EESF_SV_SG_SH_SI_EUlSV_E0_NS1_11comp_targetILNS1_3genE9ELNS1_11target_archE1100ELNS1_3gpuE3ELNS1_3repE0EEENS1_38merge_mergepath_config_static_selectorELNS0_4arch9wavefront6targetE1EEEvSH_,comdat
	.protected	_ZN7rocprim17ROCPRIM_400000_NS6detail17trampoline_kernelINS0_14default_configENS1_38merge_sort_block_merge_config_selectorIilEEZZNS1_27merge_sort_block_merge_implIS3_PiN6thrust23THRUST_200600_302600_NS10device_ptrIlEEjNS1_19radix_merge_compareILb0ELb0EiNS0_19identity_decomposerEEEEE10hipError_tT0_T1_T2_jT3_P12ihipStream_tbPNSt15iterator_traitsISG_E10value_typeEPNSM_ISH_E10value_typeEPSI_NS1_7vsmem_tEENKUlT_SG_SH_SI_E_clIS7_S7_PlSB_EESF_SV_SG_SH_SI_EUlSV_E0_NS1_11comp_targetILNS1_3genE9ELNS1_11target_archE1100ELNS1_3gpuE3ELNS1_3repE0EEENS1_38merge_mergepath_config_static_selectorELNS0_4arch9wavefront6targetE1EEEvSH_ ; -- Begin function _ZN7rocprim17ROCPRIM_400000_NS6detail17trampoline_kernelINS0_14default_configENS1_38merge_sort_block_merge_config_selectorIilEEZZNS1_27merge_sort_block_merge_implIS3_PiN6thrust23THRUST_200600_302600_NS10device_ptrIlEEjNS1_19radix_merge_compareILb0ELb0EiNS0_19identity_decomposerEEEEE10hipError_tT0_T1_T2_jT3_P12ihipStream_tbPNSt15iterator_traitsISG_E10value_typeEPNSM_ISH_E10value_typeEPSI_NS1_7vsmem_tEENKUlT_SG_SH_SI_E_clIS7_S7_PlSB_EESF_SV_SG_SH_SI_EUlSV_E0_NS1_11comp_targetILNS1_3genE9ELNS1_11target_archE1100ELNS1_3gpuE3ELNS1_3repE0EEENS1_38merge_mergepath_config_static_selectorELNS0_4arch9wavefront6targetE1EEEvSH_
	.globl	_ZN7rocprim17ROCPRIM_400000_NS6detail17trampoline_kernelINS0_14default_configENS1_38merge_sort_block_merge_config_selectorIilEEZZNS1_27merge_sort_block_merge_implIS3_PiN6thrust23THRUST_200600_302600_NS10device_ptrIlEEjNS1_19radix_merge_compareILb0ELb0EiNS0_19identity_decomposerEEEEE10hipError_tT0_T1_T2_jT3_P12ihipStream_tbPNSt15iterator_traitsISG_E10value_typeEPNSM_ISH_E10value_typeEPSI_NS1_7vsmem_tEENKUlT_SG_SH_SI_E_clIS7_S7_PlSB_EESF_SV_SG_SH_SI_EUlSV_E0_NS1_11comp_targetILNS1_3genE9ELNS1_11target_archE1100ELNS1_3gpuE3ELNS1_3repE0EEENS1_38merge_mergepath_config_static_selectorELNS0_4arch9wavefront6targetE1EEEvSH_
	.p2align	8
	.type	_ZN7rocprim17ROCPRIM_400000_NS6detail17trampoline_kernelINS0_14default_configENS1_38merge_sort_block_merge_config_selectorIilEEZZNS1_27merge_sort_block_merge_implIS3_PiN6thrust23THRUST_200600_302600_NS10device_ptrIlEEjNS1_19radix_merge_compareILb0ELb0EiNS0_19identity_decomposerEEEEE10hipError_tT0_T1_T2_jT3_P12ihipStream_tbPNSt15iterator_traitsISG_E10value_typeEPNSM_ISH_E10value_typeEPSI_NS1_7vsmem_tEENKUlT_SG_SH_SI_E_clIS7_S7_PlSB_EESF_SV_SG_SH_SI_EUlSV_E0_NS1_11comp_targetILNS1_3genE9ELNS1_11target_archE1100ELNS1_3gpuE3ELNS1_3repE0EEENS1_38merge_mergepath_config_static_selectorELNS0_4arch9wavefront6targetE1EEEvSH_,@function
_ZN7rocprim17ROCPRIM_400000_NS6detail17trampoline_kernelINS0_14default_configENS1_38merge_sort_block_merge_config_selectorIilEEZZNS1_27merge_sort_block_merge_implIS3_PiN6thrust23THRUST_200600_302600_NS10device_ptrIlEEjNS1_19radix_merge_compareILb0ELb0EiNS0_19identity_decomposerEEEEE10hipError_tT0_T1_T2_jT3_P12ihipStream_tbPNSt15iterator_traitsISG_E10value_typeEPNSM_ISH_E10value_typeEPSI_NS1_7vsmem_tEENKUlT_SG_SH_SI_E_clIS7_S7_PlSB_EESF_SV_SG_SH_SI_EUlSV_E0_NS1_11comp_targetILNS1_3genE9ELNS1_11target_archE1100ELNS1_3gpuE3ELNS1_3repE0EEENS1_38merge_mergepath_config_static_selectorELNS0_4arch9wavefront6targetE1EEEvSH_: ; @_ZN7rocprim17ROCPRIM_400000_NS6detail17trampoline_kernelINS0_14default_configENS1_38merge_sort_block_merge_config_selectorIilEEZZNS1_27merge_sort_block_merge_implIS3_PiN6thrust23THRUST_200600_302600_NS10device_ptrIlEEjNS1_19radix_merge_compareILb0ELb0EiNS0_19identity_decomposerEEEEE10hipError_tT0_T1_T2_jT3_P12ihipStream_tbPNSt15iterator_traitsISG_E10value_typeEPNSM_ISH_E10value_typeEPSI_NS1_7vsmem_tEENKUlT_SG_SH_SI_E_clIS7_S7_PlSB_EESF_SV_SG_SH_SI_EUlSV_E0_NS1_11comp_targetILNS1_3genE9ELNS1_11target_archE1100ELNS1_3gpuE3ELNS1_3repE0EEENS1_38merge_mergepath_config_static_selectorELNS0_4arch9wavefront6targetE1EEEvSH_
; %bb.0:
	.section	.rodata,"a",@progbits
	.p2align	6, 0x0
	.amdhsa_kernel _ZN7rocprim17ROCPRIM_400000_NS6detail17trampoline_kernelINS0_14default_configENS1_38merge_sort_block_merge_config_selectorIilEEZZNS1_27merge_sort_block_merge_implIS3_PiN6thrust23THRUST_200600_302600_NS10device_ptrIlEEjNS1_19radix_merge_compareILb0ELb0EiNS0_19identity_decomposerEEEEE10hipError_tT0_T1_T2_jT3_P12ihipStream_tbPNSt15iterator_traitsISG_E10value_typeEPNSM_ISH_E10value_typeEPSI_NS1_7vsmem_tEENKUlT_SG_SH_SI_E_clIS7_S7_PlSB_EESF_SV_SG_SH_SI_EUlSV_E0_NS1_11comp_targetILNS1_3genE9ELNS1_11target_archE1100ELNS1_3gpuE3ELNS1_3repE0EEENS1_38merge_mergepath_config_static_selectorELNS0_4arch9wavefront6targetE1EEEvSH_
		.amdhsa_group_segment_fixed_size 0
		.amdhsa_private_segment_fixed_size 0
		.amdhsa_kernarg_size 64
		.amdhsa_user_sgpr_count 6
		.amdhsa_user_sgpr_private_segment_buffer 1
		.amdhsa_user_sgpr_dispatch_ptr 0
		.amdhsa_user_sgpr_queue_ptr 0
		.amdhsa_user_sgpr_kernarg_segment_ptr 1
		.amdhsa_user_sgpr_dispatch_id 0
		.amdhsa_user_sgpr_flat_scratch_init 0
		.amdhsa_user_sgpr_private_segment_size 0
		.amdhsa_uses_dynamic_stack 0
		.amdhsa_system_sgpr_private_segment_wavefront_offset 0
		.amdhsa_system_sgpr_workgroup_id_x 1
		.amdhsa_system_sgpr_workgroup_id_y 0
		.amdhsa_system_sgpr_workgroup_id_z 0
		.amdhsa_system_sgpr_workgroup_info 0
		.amdhsa_system_vgpr_workitem_id 0
		.amdhsa_next_free_vgpr 1
		.amdhsa_next_free_sgpr 0
		.amdhsa_reserve_vcc 0
		.amdhsa_reserve_flat_scratch 0
		.amdhsa_float_round_mode_32 0
		.amdhsa_float_round_mode_16_64 0
		.amdhsa_float_denorm_mode_32 3
		.amdhsa_float_denorm_mode_16_64 3
		.amdhsa_dx10_clamp 1
		.amdhsa_ieee_mode 1
		.amdhsa_fp16_overflow 0
		.amdhsa_exception_fp_ieee_invalid_op 0
		.amdhsa_exception_fp_denorm_src 0
		.amdhsa_exception_fp_ieee_div_zero 0
		.amdhsa_exception_fp_ieee_overflow 0
		.amdhsa_exception_fp_ieee_underflow 0
		.amdhsa_exception_fp_ieee_inexact 0
		.amdhsa_exception_int_div_zero 0
	.end_amdhsa_kernel
	.section	.text._ZN7rocprim17ROCPRIM_400000_NS6detail17trampoline_kernelINS0_14default_configENS1_38merge_sort_block_merge_config_selectorIilEEZZNS1_27merge_sort_block_merge_implIS3_PiN6thrust23THRUST_200600_302600_NS10device_ptrIlEEjNS1_19radix_merge_compareILb0ELb0EiNS0_19identity_decomposerEEEEE10hipError_tT0_T1_T2_jT3_P12ihipStream_tbPNSt15iterator_traitsISG_E10value_typeEPNSM_ISH_E10value_typeEPSI_NS1_7vsmem_tEENKUlT_SG_SH_SI_E_clIS7_S7_PlSB_EESF_SV_SG_SH_SI_EUlSV_E0_NS1_11comp_targetILNS1_3genE9ELNS1_11target_archE1100ELNS1_3gpuE3ELNS1_3repE0EEENS1_38merge_mergepath_config_static_selectorELNS0_4arch9wavefront6targetE1EEEvSH_,"axG",@progbits,_ZN7rocprim17ROCPRIM_400000_NS6detail17trampoline_kernelINS0_14default_configENS1_38merge_sort_block_merge_config_selectorIilEEZZNS1_27merge_sort_block_merge_implIS3_PiN6thrust23THRUST_200600_302600_NS10device_ptrIlEEjNS1_19radix_merge_compareILb0ELb0EiNS0_19identity_decomposerEEEEE10hipError_tT0_T1_T2_jT3_P12ihipStream_tbPNSt15iterator_traitsISG_E10value_typeEPNSM_ISH_E10value_typeEPSI_NS1_7vsmem_tEENKUlT_SG_SH_SI_E_clIS7_S7_PlSB_EESF_SV_SG_SH_SI_EUlSV_E0_NS1_11comp_targetILNS1_3genE9ELNS1_11target_archE1100ELNS1_3gpuE3ELNS1_3repE0EEENS1_38merge_mergepath_config_static_selectorELNS0_4arch9wavefront6targetE1EEEvSH_,comdat
.Lfunc_end758:
	.size	_ZN7rocprim17ROCPRIM_400000_NS6detail17trampoline_kernelINS0_14default_configENS1_38merge_sort_block_merge_config_selectorIilEEZZNS1_27merge_sort_block_merge_implIS3_PiN6thrust23THRUST_200600_302600_NS10device_ptrIlEEjNS1_19radix_merge_compareILb0ELb0EiNS0_19identity_decomposerEEEEE10hipError_tT0_T1_T2_jT3_P12ihipStream_tbPNSt15iterator_traitsISG_E10value_typeEPNSM_ISH_E10value_typeEPSI_NS1_7vsmem_tEENKUlT_SG_SH_SI_E_clIS7_S7_PlSB_EESF_SV_SG_SH_SI_EUlSV_E0_NS1_11comp_targetILNS1_3genE9ELNS1_11target_archE1100ELNS1_3gpuE3ELNS1_3repE0EEENS1_38merge_mergepath_config_static_selectorELNS0_4arch9wavefront6targetE1EEEvSH_, .Lfunc_end758-_ZN7rocprim17ROCPRIM_400000_NS6detail17trampoline_kernelINS0_14default_configENS1_38merge_sort_block_merge_config_selectorIilEEZZNS1_27merge_sort_block_merge_implIS3_PiN6thrust23THRUST_200600_302600_NS10device_ptrIlEEjNS1_19radix_merge_compareILb0ELb0EiNS0_19identity_decomposerEEEEE10hipError_tT0_T1_T2_jT3_P12ihipStream_tbPNSt15iterator_traitsISG_E10value_typeEPNSM_ISH_E10value_typeEPSI_NS1_7vsmem_tEENKUlT_SG_SH_SI_E_clIS7_S7_PlSB_EESF_SV_SG_SH_SI_EUlSV_E0_NS1_11comp_targetILNS1_3genE9ELNS1_11target_archE1100ELNS1_3gpuE3ELNS1_3repE0EEENS1_38merge_mergepath_config_static_selectorELNS0_4arch9wavefront6targetE1EEEvSH_
                                        ; -- End function
	.set _ZN7rocprim17ROCPRIM_400000_NS6detail17trampoline_kernelINS0_14default_configENS1_38merge_sort_block_merge_config_selectorIilEEZZNS1_27merge_sort_block_merge_implIS3_PiN6thrust23THRUST_200600_302600_NS10device_ptrIlEEjNS1_19radix_merge_compareILb0ELb0EiNS0_19identity_decomposerEEEEE10hipError_tT0_T1_T2_jT3_P12ihipStream_tbPNSt15iterator_traitsISG_E10value_typeEPNSM_ISH_E10value_typeEPSI_NS1_7vsmem_tEENKUlT_SG_SH_SI_E_clIS7_S7_PlSB_EESF_SV_SG_SH_SI_EUlSV_E0_NS1_11comp_targetILNS1_3genE9ELNS1_11target_archE1100ELNS1_3gpuE3ELNS1_3repE0EEENS1_38merge_mergepath_config_static_selectorELNS0_4arch9wavefront6targetE1EEEvSH_.num_vgpr, 0
	.set _ZN7rocprim17ROCPRIM_400000_NS6detail17trampoline_kernelINS0_14default_configENS1_38merge_sort_block_merge_config_selectorIilEEZZNS1_27merge_sort_block_merge_implIS3_PiN6thrust23THRUST_200600_302600_NS10device_ptrIlEEjNS1_19radix_merge_compareILb0ELb0EiNS0_19identity_decomposerEEEEE10hipError_tT0_T1_T2_jT3_P12ihipStream_tbPNSt15iterator_traitsISG_E10value_typeEPNSM_ISH_E10value_typeEPSI_NS1_7vsmem_tEENKUlT_SG_SH_SI_E_clIS7_S7_PlSB_EESF_SV_SG_SH_SI_EUlSV_E0_NS1_11comp_targetILNS1_3genE9ELNS1_11target_archE1100ELNS1_3gpuE3ELNS1_3repE0EEENS1_38merge_mergepath_config_static_selectorELNS0_4arch9wavefront6targetE1EEEvSH_.num_agpr, 0
	.set _ZN7rocprim17ROCPRIM_400000_NS6detail17trampoline_kernelINS0_14default_configENS1_38merge_sort_block_merge_config_selectorIilEEZZNS1_27merge_sort_block_merge_implIS3_PiN6thrust23THRUST_200600_302600_NS10device_ptrIlEEjNS1_19radix_merge_compareILb0ELb0EiNS0_19identity_decomposerEEEEE10hipError_tT0_T1_T2_jT3_P12ihipStream_tbPNSt15iterator_traitsISG_E10value_typeEPNSM_ISH_E10value_typeEPSI_NS1_7vsmem_tEENKUlT_SG_SH_SI_E_clIS7_S7_PlSB_EESF_SV_SG_SH_SI_EUlSV_E0_NS1_11comp_targetILNS1_3genE9ELNS1_11target_archE1100ELNS1_3gpuE3ELNS1_3repE0EEENS1_38merge_mergepath_config_static_selectorELNS0_4arch9wavefront6targetE1EEEvSH_.numbered_sgpr, 0
	.set _ZN7rocprim17ROCPRIM_400000_NS6detail17trampoline_kernelINS0_14default_configENS1_38merge_sort_block_merge_config_selectorIilEEZZNS1_27merge_sort_block_merge_implIS3_PiN6thrust23THRUST_200600_302600_NS10device_ptrIlEEjNS1_19radix_merge_compareILb0ELb0EiNS0_19identity_decomposerEEEEE10hipError_tT0_T1_T2_jT3_P12ihipStream_tbPNSt15iterator_traitsISG_E10value_typeEPNSM_ISH_E10value_typeEPSI_NS1_7vsmem_tEENKUlT_SG_SH_SI_E_clIS7_S7_PlSB_EESF_SV_SG_SH_SI_EUlSV_E0_NS1_11comp_targetILNS1_3genE9ELNS1_11target_archE1100ELNS1_3gpuE3ELNS1_3repE0EEENS1_38merge_mergepath_config_static_selectorELNS0_4arch9wavefront6targetE1EEEvSH_.num_named_barrier, 0
	.set _ZN7rocprim17ROCPRIM_400000_NS6detail17trampoline_kernelINS0_14default_configENS1_38merge_sort_block_merge_config_selectorIilEEZZNS1_27merge_sort_block_merge_implIS3_PiN6thrust23THRUST_200600_302600_NS10device_ptrIlEEjNS1_19radix_merge_compareILb0ELb0EiNS0_19identity_decomposerEEEEE10hipError_tT0_T1_T2_jT3_P12ihipStream_tbPNSt15iterator_traitsISG_E10value_typeEPNSM_ISH_E10value_typeEPSI_NS1_7vsmem_tEENKUlT_SG_SH_SI_E_clIS7_S7_PlSB_EESF_SV_SG_SH_SI_EUlSV_E0_NS1_11comp_targetILNS1_3genE9ELNS1_11target_archE1100ELNS1_3gpuE3ELNS1_3repE0EEENS1_38merge_mergepath_config_static_selectorELNS0_4arch9wavefront6targetE1EEEvSH_.private_seg_size, 0
	.set _ZN7rocprim17ROCPRIM_400000_NS6detail17trampoline_kernelINS0_14default_configENS1_38merge_sort_block_merge_config_selectorIilEEZZNS1_27merge_sort_block_merge_implIS3_PiN6thrust23THRUST_200600_302600_NS10device_ptrIlEEjNS1_19radix_merge_compareILb0ELb0EiNS0_19identity_decomposerEEEEE10hipError_tT0_T1_T2_jT3_P12ihipStream_tbPNSt15iterator_traitsISG_E10value_typeEPNSM_ISH_E10value_typeEPSI_NS1_7vsmem_tEENKUlT_SG_SH_SI_E_clIS7_S7_PlSB_EESF_SV_SG_SH_SI_EUlSV_E0_NS1_11comp_targetILNS1_3genE9ELNS1_11target_archE1100ELNS1_3gpuE3ELNS1_3repE0EEENS1_38merge_mergepath_config_static_selectorELNS0_4arch9wavefront6targetE1EEEvSH_.uses_vcc, 0
	.set _ZN7rocprim17ROCPRIM_400000_NS6detail17trampoline_kernelINS0_14default_configENS1_38merge_sort_block_merge_config_selectorIilEEZZNS1_27merge_sort_block_merge_implIS3_PiN6thrust23THRUST_200600_302600_NS10device_ptrIlEEjNS1_19radix_merge_compareILb0ELb0EiNS0_19identity_decomposerEEEEE10hipError_tT0_T1_T2_jT3_P12ihipStream_tbPNSt15iterator_traitsISG_E10value_typeEPNSM_ISH_E10value_typeEPSI_NS1_7vsmem_tEENKUlT_SG_SH_SI_E_clIS7_S7_PlSB_EESF_SV_SG_SH_SI_EUlSV_E0_NS1_11comp_targetILNS1_3genE9ELNS1_11target_archE1100ELNS1_3gpuE3ELNS1_3repE0EEENS1_38merge_mergepath_config_static_selectorELNS0_4arch9wavefront6targetE1EEEvSH_.uses_flat_scratch, 0
	.set _ZN7rocprim17ROCPRIM_400000_NS6detail17trampoline_kernelINS0_14default_configENS1_38merge_sort_block_merge_config_selectorIilEEZZNS1_27merge_sort_block_merge_implIS3_PiN6thrust23THRUST_200600_302600_NS10device_ptrIlEEjNS1_19radix_merge_compareILb0ELb0EiNS0_19identity_decomposerEEEEE10hipError_tT0_T1_T2_jT3_P12ihipStream_tbPNSt15iterator_traitsISG_E10value_typeEPNSM_ISH_E10value_typeEPSI_NS1_7vsmem_tEENKUlT_SG_SH_SI_E_clIS7_S7_PlSB_EESF_SV_SG_SH_SI_EUlSV_E0_NS1_11comp_targetILNS1_3genE9ELNS1_11target_archE1100ELNS1_3gpuE3ELNS1_3repE0EEENS1_38merge_mergepath_config_static_selectorELNS0_4arch9wavefront6targetE1EEEvSH_.has_dyn_sized_stack, 0
	.set _ZN7rocprim17ROCPRIM_400000_NS6detail17trampoline_kernelINS0_14default_configENS1_38merge_sort_block_merge_config_selectorIilEEZZNS1_27merge_sort_block_merge_implIS3_PiN6thrust23THRUST_200600_302600_NS10device_ptrIlEEjNS1_19radix_merge_compareILb0ELb0EiNS0_19identity_decomposerEEEEE10hipError_tT0_T1_T2_jT3_P12ihipStream_tbPNSt15iterator_traitsISG_E10value_typeEPNSM_ISH_E10value_typeEPSI_NS1_7vsmem_tEENKUlT_SG_SH_SI_E_clIS7_S7_PlSB_EESF_SV_SG_SH_SI_EUlSV_E0_NS1_11comp_targetILNS1_3genE9ELNS1_11target_archE1100ELNS1_3gpuE3ELNS1_3repE0EEENS1_38merge_mergepath_config_static_selectorELNS0_4arch9wavefront6targetE1EEEvSH_.has_recursion, 0
	.set _ZN7rocprim17ROCPRIM_400000_NS6detail17trampoline_kernelINS0_14default_configENS1_38merge_sort_block_merge_config_selectorIilEEZZNS1_27merge_sort_block_merge_implIS3_PiN6thrust23THRUST_200600_302600_NS10device_ptrIlEEjNS1_19radix_merge_compareILb0ELb0EiNS0_19identity_decomposerEEEEE10hipError_tT0_T1_T2_jT3_P12ihipStream_tbPNSt15iterator_traitsISG_E10value_typeEPNSM_ISH_E10value_typeEPSI_NS1_7vsmem_tEENKUlT_SG_SH_SI_E_clIS7_S7_PlSB_EESF_SV_SG_SH_SI_EUlSV_E0_NS1_11comp_targetILNS1_3genE9ELNS1_11target_archE1100ELNS1_3gpuE3ELNS1_3repE0EEENS1_38merge_mergepath_config_static_selectorELNS0_4arch9wavefront6targetE1EEEvSH_.has_indirect_call, 0
	.section	.AMDGPU.csdata,"",@progbits
; Kernel info:
; codeLenInByte = 0
; TotalNumSgprs: 4
; NumVgprs: 0
; ScratchSize: 0
; MemoryBound: 0
; FloatMode: 240
; IeeeMode: 1
; LDSByteSize: 0 bytes/workgroup (compile time only)
; SGPRBlocks: 0
; VGPRBlocks: 0
; NumSGPRsForWavesPerEU: 4
; NumVGPRsForWavesPerEU: 1
; Occupancy: 10
; WaveLimiterHint : 0
; COMPUTE_PGM_RSRC2:SCRATCH_EN: 0
; COMPUTE_PGM_RSRC2:USER_SGPR: 6
; COMPUTE_PGM_RSRC2:TRAP_HANDLER: 0
; COMPUTE_PGM_RSRC2:TGID_X_EN: 1
; COMPUTE_PGM_RSRC2:TGID_Y_EN: 0
; COMPUTE_PGM_RSRC2:TGID_Z_EN: 0
; COMPUTE_PGM_RSRC2:TIDIG_COMP_CNT: 0
	.section	.text._ZN7rocprim17ROCPRIM_400000_NS6detail17trampoline_kernelINS0_14default_configENS1_38merge_sort_block_merge_config_selectorIilEEZZNS1_27merge_sort_block_merge_implIS3_PiN6thrust23THRUST_200600_302600_NS10device_ptrIlEEjNS1_19radix_merge_compareILb0ELb0EiNS0_19identity_decomposerEEEEE10hipError_tT0_T1_T2_jT3_P12ihipStream_tbPNSt15iterator_traitsISG_E10value_typeEPNSM_ISH_E10value_typeEPSI_NS1_7vsmem_tEENKUlT_SG_SH_SI_E_clIS7_S7_PlSB_EESF_SV_SG_SH_SI_EUlSV_E0_NS1_11comp_targetILNS1_3genE8ELNS1_11target_archE1030ELNS1_3gpuE2ELNS1_3repE0EEENS1_38merge_mergepath_config_static_selectorELNS0_4arch9wavefront6targetE1EEEvSH_,"axG",@progbits,_ZN7rocprim17ROCPRIM_400000_NS6detail17trampoline_kernelINS0_14default_configENS1_38merge_sort_block_merge_config_selectorIilEEZZNS1_27merge_sort_block_merge_implIS3_PiN6thrust23THRUST_200600_302600_NS10device_ptrIlEEjNS1_19radix_merge_compareILb0ELb0EiNS0_19identity_decomposerEEEEE10hipError_tT0_T1_T2_jT3_P12ihipStream_tbPNSt15iterator_traitsISG_E10value_typeEPNSM_ISH_E10value_typeEPSI_NS1_7vsmem_tEENKUlT_SG_SH_SI_E_clIS7_S7_PlSB_EESF_SV_SG_SH_SI_EUlSV_E0_NS1_11comp_targetILNS1_3genE8ELNS1_11target_archE1030ELNS1_3gpuE2ELNS1_3repE0EEENS1_38merge_mergepath_config_static_selectorELNS0_4arch9wavefront6targetE1EEEvSH_,comdat
	.protected	_ZN7rocprim17ROCPRIM_400000_NS6detail17trampoline_kernelINS0_14default_configENS1_38merge_sort_block_merge_config_selectorIilEEZZNS1_27merge_sort_block_merge_implIS3_PiN6thrust23THRUST_200600_302600_NS10device_ptrIlEEjNS1_19radix_merge_compareILb0ELb0EiNS0_19identity_decomposerEEEEE10hipError_tT0_T1_T2_jT3_P12ihipStream_tbPNSt15iterator_traitsISG_E10value_typeEPNSM_ISH_E10value_typeEPSI_NS1_7vsmem_tEENKUlT_SG_SH_SI_E_clIS7_S7_PlSB_EESF_SV_SG_SH_SI_EUlSV_E0_NS1_11comp_targetILNS1_3genE8ELNS1_11target_archE1030ELNS1_3gpuE2ELNS1_3repE0EEENS1_38merge_mergepath_config_static_selectorELNS0_4arch9wavefront6targetE1EEEvSH_ ; -- Begin function _ZN7rocprim17ROCPRIM_400000_NS6detail17trampoline_kernelINS0_14default_configENS1_38merge_sort_block_merge_config_selectorIilEEZZNS1_27merge_sort_block_merge_implIS3_PiN6thrust23THRUST_200600_302600_NS10device_ptrIlEEjNS1_19radix_merge_compareILb0ELb0EiNS0_19identity_decomposerEEEEE10hipError_tT0_T1_T2_jT3_P12ihipStream_tbPNSt15iterator_traitsISG_E10value_typeEPNSM_ISH_E10value_typeEPSI_NS1_7vsmem_tEENKUlT_SG_SH_SI_E_clIS7_S7_PlSB_EESF_SV_SG_SH_SI_EUlSV_E0_NS1_11comp_targetILNS1_3genE8ELNS1_11target_archE1030ELNS1_3gpuE2ELNS1_3repE0EEENS1_38merge_mergepath_config_static_selectorELNS0_4arch9wavefront6targetE1EEEvSH_
	.globl	_ZN7rocprim17ROCPRIM_400000_NS6detail17trampoline_kernelINS0_14default_configENS1_38merge_sort_block_merge_config_selectorIilEEZZNS1_27merge_sort_block_merge_implIS3_PiN6thrust23THRUST_200600_302600_NS10device_ptrIlEEjNS1_19radix_merge_compareILb0ELb0EiNS0_19identity_decomposerEEEEE10hipError_tT0_T1_T2_jT3_P12ihipStream_tbPNSt15iterator_traitsISG_E10value_typeEPNSM_ISH_E10value_typeEPSI_NS1_7vsmem_tEENKUlT_SG_SH_SI_E_clIS7_S7_PlSB_EESF_SV_SG_SH_SI_EUlSV_E0_NS1_11comp_targetILNS1_3genE8ELNS1_11target_archE1030ELNS1_3gpuE2ELNS1_3repE0EEENS1_38merge_mergepath_config_static_selectorELNS0_4arch9wavefront6targetE1EEEvSH_
	.p2align	8
	.type	_ZN7rocprim17ROCPRIM_400000_NS6detail17trampoline_kernelINS0_14default_configENS1_38merge_sort_block_merge_config_selectorIilEEZZNS1_27merge_sort_block_merge_implIS3_PiN6thrust23THRUST_200600_302600_NS10device_ptrIlEEjNS1_19radix_merge_compareILb0ELb0EiNS0_19identity_decomposerEEEEE10hipError_tT0_T1_T2_jT3_P12ihipStream_tbPNSt15iterator_traitsISG_E10value_typeEPNSM_ISH_E10value_typeEPSI_NS1_7vsmem_tEENKUlT_SG_SH_SI_E_clIS7_S7_PlSB_EESF_SV_SG_SH_SI_EUlSV_E0_NS1_11comp_targetILNS1_3genE8ELNS1_11target_archE1030ELNS1_3gpuE2ELNS1_3repE0EEENS1_38merge_mergepath_config_static_selectorELNS0_4arch9wavefront6targetE1EEEvSH_,@function
_ZN7rocprim17ROCPRIM_400000_NS6detail17trampoline_kernelINS0_14default_configENS1_38merge_sort_block_merge_config_selectorIilEEZZNS1_27merge_sort_block_merge_implIS3_PiN6thrust23THRUST_200600_302600_NS10device_ptrIlEEjNS1_19radix_merge_compareILb0ELb0EiNS0_19identity_decomposerEEEEE10hipError_tT0_T1_T2_jT3_P12ihipStream_tbPNSt15iterator_traitsISG_E10value_typeEPNSM_ISH_E10value_typeEPSI_NS1_7vsmem_tEENKUlT_SG_SH_SI_E_clIS7_S7_PlSB_EESF_SV_SG_SH_SI_EUlSV_E0_NS1_11comp_targetILNS1_3genE8ELNS1_11target_archE1030ELNS1_3gpuE2ELNS1_3repE0EEENS1_38merge_mergepath_config_static_selectorELNS0_4arch9wavefront6targetE1EEEvSH_: ; @_ZN7rocprim17ROCPRIM_400000_NS6detail17trampoline_kernelINS0_14default_configENS1_38merge_sort_block_merge_config_selectorIilEEZZNS1_27merge_sort_block_merge_implIS3_PiN6thrust23THRUST_200600_302600_NS10device_ptrIlEEjNS1_19radix_merge_compareILb0ELb0EiNS0_19identity_decomposerEEEEE10hipError_tT0_T1_T2_jT3_P12ihipStream_tbPNSt15iterator_traitsISG_E10value_typeEPNSM_ISH_E10value_typeEPSI_NS1_7vsmem_tEENKUlT_SG_SH_SI_E_clIS7_S7_PlSB_EESF_SV_SG_SH_SI_EUlSV_E0_NS1_11comp_targetILNS1_3genE8ELNS1_11target_archE1030ELNS1_3gpuE2ELNS1_3repE0EEENS1_38merge_mergepath_config_static_selectorELNS0_4arch9wavefront6targetE1EEEvSH_
; %bb.0:
	.section	.rodata,"a",@progbits
	.p2align	6, 0x0
	.amdhsa_kernel _ZN7rocprim17ROCPRIM_400000_NS6detail17trampoline_kernelINS0_14default_configENS1_38merge_sort_block_merge_config_selectorIilEEZZNS1_27merge_sort_block_merge_implIS3_PiN6thrust23THRUST_200600_302600_NS10device_ptrIlEEjNS1_19radix_merge_compareILb0ELb0EiNS0_19identity_decomposerEEEEE10hipError_tT0_T1_T2_jT3_P12ihipStream_tbPNSt15iterator_traitsISG_E10value_typeEPNSM_ISH_E10value_typeEPSI_NS1_7vsmem_tEENKUlT_SG_SH_SI_E_clIS7_S7_PlSB_EESF_SV_SG_SH_SI_EUlSV_E0_NS1_11comp_targetILNS1_3genE8ELNS1_11target_archE1030ELNS1_3gpuE2ELNS1_3repE0EEENS1_38merge_mergepath_config_static_selectorELNS0_4arch9wavefront6targetE1EEEvSH_
		.amdhsa_group_segment_fixed_size 0
		.amdhsa_private_segment_fixed_size 0
		.amdhsa_kernarg_size 64
		.amdhsa_user_sgpr_count 6
		.amdhsa_user_sgpr_private_segment_buffer 1
		.amdhsa_user_sgpr_dispatch_ptr 0
		.amdhsa_user_sgpr_queue_ptr 0
		.amdhsa_user_sgpr_kernarg_segment_ptr 1
		.amdhsa_user_sgpr_dispatch_id 0
		.amdhsa_user_sgpr_flat_scratch_init 0
		.amdhsa_user_sgpr_private_segment_size 0
		.amdhsa_uses_dynamic_stack 0
		.amdhsa_system_sgpr_private_segment_wavefront_offset 0
		.amdhsa_system_sgpr_workgroup_id_x 1
		.amdhsa_system_sgpr_workgroup_id_y 0
		.amdhsa_system_sgpr_workgroup_id_z 0
		.amdhsa_system_sgpr_workgroup_info 0
		.amdhsa_system_vgpr_workitem_id 0
		.amdhsa_next_free_vgpr 1
		.amdhsa_next_free_sgpr 0
		.amdhsa_reserve_vcc 0
		.amdhsa_reserve_flat_scratch 0
		.amdhsa_float_round_mode_32 0
		.amdhsa_float_round_mode_16_64 0
		.amdhsa_float_denorm_mode_32 3
		.amdhsa_float_denorm_mode_16_64 3
		.amdhsa_dx10_clamp 1
		.amdhsa_ieee_mode 1
		.amdhsa_fp16_overflow 0
		.amdhsa_exception_fp_ieee_invalid_op 0
		.amdhsa_exception_fp_denorm_src 0
		.amdhsa_exception_fp_ieee_div_zero 0
		.amdhsa_exception_fp_ieee_overflow 0
		.amdhsa_exception_fp_ieee_underflow 0
		.amdhsa_exception_fp_ieee_inexact 0
		.amdhsa_exception_int_div_zero 0
	.end_amdhsa_kernel
	.section	.text._ZN7rocprim17ROCPRIM_400000_NS6detail17trampoline_kernelINS0_14default_configENS1_38merge_sort_block_merge_config_selectorIilEEZZNS1_27merge_sort_block_merge_implIS3_PiN6thrust23THRUST_200600_302600_NS10device_ptrIlEEjNS1_19radix_merge_compareILb0ELb0EiNS0_19identity_decomposerEEEEE10hipError_tT0_T1_T2_jT3_P12ihipStream_tbPNSt15iterator_traitsISG_E10value_typeEPNSM_ISH_E10value_typeEPSI_NS1_7vsmem_tEENKUlT_SG_SH_SI_E_clIS7_S7_PlSB_EESF_SV_SG_SH_SI_EUlSV_E0_NS1_11comp_targetILNS1_3genE8ELNS1_11target_archE1030ELNS1_3gpuE2ELNS1_3repE0EEENS1_38merge_mergepath_config_static_selectorELNS0_4arch9wavefront6targetE1EEEvSH_,"axG",@progbits,_ZN7rocprim17ROCPRIM_400000_NS6detail17trampoline_kernelINS0_14default_configENS1_38merge_sort_block_merge_config_selectorIilEEZZNS1_27merge_sort_block_merge_implIS3_PiN6thrust23THRUST_200600_302600_NS10device_ptrIlEEjNS1_19radix_merge_compareILb0ELb0EiNS0_19identity_decomposerEEEEE10hipError_tT0_T1_T2_jT3_P12ihipStream_tbPNSt15iterator_traitsISG_E10value_typeEPNSM_ISH_E10value_typeEPSI_NS1_7vsmem_tEENKUlT_SG_SH_SI_E_clIS7_S7_PlSB_EESF_SV_SG_SH_SI_EUlSV_E0_NS1_11comp_targetILNS1_3genE8ELNS1_11target_archE1030ELNS1_3gpuE2ELNS1_3repE0EEENS1_38merge_mergepath_config_static_selectorELNS0_4arch9wavefront6targetE1EEEvSH_,comdat
.Lfunc_end759:
	.size	_ZN7rocprim17ROCPRIM_400000_NS6detail17trampoline_kernelINS0_14default_configENS1_38merge_sort_block_merge_config_selectorIilEEZZNS1_27merge_sort_block_merge_implIS3_PiN6thrust23THRUST_200600_302600_NS10device_ptrIlEEjNS1_19radix_merge_compareILb0ELb0EiNS0_19identity_decomposerEEEEE10hipError_tT0_T1_T2_jT3_P12ihipStream_tbPNSt15iterator_traitsISG_E10value_typeEPNSM_ISH_E10value_typeEPSI_NS1_7vsmem_tEENKUlT_SG_SH_SI_E_clIS7_S7_PlSB_EESF_SV_SG_SH_SI_EUlSV_E0_NS1_11comp_targetILNS1_3genE8ELNS1_11target_archE1030ELNS1_3gpuE2ELNS1_3repE0EEENS1_38merge_mergepath_config_static_selectorELNS0_4arch9wavefront6targetE1EEEvSH_, .Lfunc_end759-_ZN7rocprim17ROCPRIM_400000_NS6detail17trampoline_kernelINS0_14default_configENS1_38merge_sort_block_merge_config_selectorIilEEZZNS1_27merge_sort_block_merge_implIS3_PiN6thrust23THRUST_200600_302600_NS10device_ptrIlEEjNS1_19radix_merge_compareILb0ELb0EiNS0_19identity_decomposerEEEEE10hipError_tT0_T1_T2_jT3_P12ihipStream_tbPNSt15iterator_traitsISG_E10value_typeEPNSM_ISH_E10value_typeEPSI_NS1_7vsmem_tEENKUlT_SG_SH_SI_E_clIS7_S7_PlSB_EESF_SV_SG_SH_SI_EUlSV_E0_NS1_11comp_targetILNS1_3genE8ELNS1_11target_archE1030ELNS1_3gpuE2ELNS1_3repE0EEENS1_38merge_mergepath_config_static_selectorELNS0_4arch9wavefront6targetE1EEEvSH_
                                        ; -- End function
	.set _ZN7rocprim17ROCPRIM_400000_NS6detail17trampoline_kernelINS0_14default_configENS1_38merge_sort_block_merge_config_selectorIilEEZZNS1_27merge_sort_block_merge_implIS3_PiN6thrust23THRUST_200600_302600_NS10device_ptrIlEEjNS1_19radix_merge_compareILb0ELb0EiNS0_19identity_decomposerEEEEE10hipError_tT0_T1_T2_jT3_P12ihipStream_tbPNSt15iterator_traitsISG_E10value_typeEPNSM_ISH_E10value_typeEPSI_NS1_7vsmem_tEENKUlT_SG_SH_SI_E_clIS7_S7_PlSB_EESF_SV_SG_SH_SI_EUlSV_E0_NS1_11comp_targetILNS1_3genE8ELNS1_11target_archE1030ELNS1_3gpuE2ELNS1_3repE0EEENS1_38merge_mergepath_config_static_selectorELNS0_4arch9wavefront6targetE1EEEvSH_.num_vgpr, 0
	.set _ZN7rocprim17ROCPRIM_400000_NS6detail17trampoline_kernelINS0_14default_configENS1_38merge_sort_block_merge_config_selectorIilEEZZNS1_27merge_sort_block_merge_implIS3_PiN6thrust23THRUST_200600_302600_NS10device_ptrIlEEjNS1_19radix_merge_compareILb0ELb0EiNS0_19identity_decomposerEEEEE10hipError_tT0_T1_T2_jT3_P12ihipStream_tbPNSt15iterator_traitsISG_E10value_typeEPNSM_ISH_E10value_typeEPSI_NS1_7vsmem_tEENKUlT_SG_SH_SI_E_clIS7_S7_PlSB_EESF_SV_SG_SH_SI_EUlSV_E0_NS1_11comp_targetILNS1_3genE8ELNS1_11target_archE1030ELNS1_3gpuE2ELNS1_3repE0EEENS1_38merge_mergepath_config_static_selectorELNS0_4arch9wavefront6targetE1EEEvSH_.num_agpr, 0
	.set _ZN7rocprim17ROCPRIM_400000_NS6detail17trampoline_kernelINS0_14default_configENS1_38merge_sort_block_merge_config_selectorIilEEZZNS1_27merge_sort_block_merge_implIS3_PiN6thrust23THRUST_200600_302600_NS10device_ptrIlEEjNS1_19radix_merge_compareILb0ELb0EiNS0_19identity_decomposerEEEEE10hipError_tT0_T1_T2_jT3_P12ihipStream_tbPNSt15iterator_traitsISG_E10value_typeEPNSM_ISH_E10value_typeEPSI_NS1_7vsmem_tEENKUlT_SG_SH_SI_E_clIS7_S7_PlSB_EESF_SV_SG_SH_SI_EUlSV_E0_NS1_11comp_targetILNS1_3genE8ELNS1_11target_archE1030ELNS1_3gpuE2ELNS1_3repE0EEENS1_38merge_mergepath_config_static_selectorELNS0_4arch9wavefront6targetE1EEEvSH_.numbered_sgpr, 0
	.set _ZN7rocprim17ROCPRIM_400000_NS6detail17trampoline_kernelINS0_14default_configENS1_38merge_sort_block_merge_config_selectorIilEEZZNS1_27merge_sort_block_merge_implIS3_PiN6thrust23THRUST_200600_302600_NS10device_ptrIlEEjNS1_19radix_merge_compareILb0ELb0EiNS0_19identity_decomposerEEEEE10hipError_tT0_T1_T2_jT3_P12ihipStream_tbPNSt15iterator_traitsISG_E10value_typeEPNSM_ISH_E10value_typeEPSI_NS1_7vsmem_tEENKUlT_SG_SH_SI_E_clIS7_S7_PlSB_EESF_SV_SG_SH_SI_EUlSV_E0_NS1_11comp_targetILNS1_3genE8ELNS1_11target_archE1030ELNS1_3gpuE2ELNS1_3repE0EEENS1_38merge_mergepath_config_static_selectorELNS0_4arch9wavefront6targetE1EEEvSH_.num_named_barrier, 0
	.set _ZN7rocprim17ROCPRIM_400000_NS6detail17trampoline_kernelINS0_14default_configENS1_38merge_sort_block_merge_config_selectorIilEEZZNS1_27merge_sort_block_merge_implIS3_PiN6thrust23THRUST_200600_302600_NS10device_ptrIlEEjNS1_19radix_merge_compareILb0ELb0EiNS0_19identity_decomposerEEEEE10hipError_tT0_T1_T2_jT3_P12ihipStream_tbPNSt15iterator_traitsISG_E10value_typeEPNSM_ISH_E10value_typeEPSI_NS1_7vsmem_tEENKUlT_SG_SH_SI_E_clIS7_S7_PlSB_EESF_SV_SG_SH_SI_EUlSV_E0_NS1_11comp_targetILNS1_3genE8ELNS1_11target_archE1030ELNS1_3gpuE2ELNS1_3repE0EEENS1_38merge_mergepath_config_static_selectorELNS0_4arch9wavefront6targetE1EEEvSH_.private_seg_size, 0
	.set _ZN7rocprim17ROCPRIM_400000_NS6detail17trampoline_kernelINS0_14default_configENS1_38merge_sort_block_merge_config_selectorIilEEZZNS1_27merge_sort_block_merge_implIS3_PiN6thrust23THRUST_200600_302600_NS10device_ptrIlEEjNS1_19radix_merge_compareILb0ELb0EiNS0_19identity_decomposerEEEEE10hipError_tT0_T1_T2_jT3_P12ihipStream_tbPNSt15iterator_traitsISG_E10value_typeEPNSM_ISH_E10value_typeEPSI_NS1_7vsmem_tEENKUlT_SG_SH_SI_E_clIS7_S7_PlSB_EESF_SV_SG_SH_SI_EUlSV_E0_NS1_11comp_targetILNS1_3genE8ELNS1_11target_archE1030ELNS1_3gpuE2ELNS1_3repE0EEENS1_38merge_mergepath_config_static_selectorELNS0_4arch9wavefront6targetE1EEEvSH_.uses_vcc, 0
	.set _ZN7rocprim17ROCPRIM_400000_NS6detail17trampoline_kernelINS0_14default_configENS1_38merge_sort_block_merge_config_selectorIilEEZZNS1_27merge_sort_block_merge_implIS3_PiN6thrust23THRUST_200600_302600_NS10device_ptrIlEEjNS1_19radix_merge_compareILb0ELb0EiNS0_19identity_decomposerEEEEE10hipError_tT0_T1_T2_jT3_P12ihipStream_tbPNSt15iterator_traitsISG_E10value_typeEPNSM_ISH_E10value_typeEPSI_NS1_7vsmem_tEENKUlT_SG_SH_SI_E_clIS7_S7_PlSB_EESF_SV_SG_SH_SI_EUlSV_E0_NS1_11comp_targetILNS1_3genE8ELNS1_11target_archE1030ELNS1_3gpuE2ELNS1_3repE0EEENS1_38merge_mergepath_config_static_selectorELNS0_4arch9wavefront6targetE1EEEvSH_.uses_flat_scratch, 0
	.set _ZN7rocprim17ROCPRIM_400000_NS6detail17trampoline_kernelINS0_14default_configENS1_38merge_sort_block_merge_config_selectorIilEEZZNS1_27merge_sort_block_merge_implIS3_PiN6thrust23THRUST_200600_302600_NS10device_ptrIlEEjNS1_19radix_merge_compareILb0ELb0EiNS0_19identity_decomposerEEEEE10hipError_tT0_T1_T2_jT3_P12ihipStream_tbPNSt15iterator_traitsISG_E10value_typeEPNSM_ISH_E10value_typeEPSI_NS1_7vsmem_tEENKUlT_SG_SH_SI_E_clIS7_S7_PlSB_EESF_SV_SG_SH_SI_EUlSV_E0_NS1_11comp_targetILNS1_3genE8ELNS1_11target_archE1030ELNS1_3gpuE2ELNS1_3repE0EEENS1_38merge_mergepath_config_static_selectorELNS0_4arch9wavefront6targetE1EEEvSH_.has_dyn_sized_stack, 0
	.set _ZN7rocprim17ROCPRIM_400000_NS6detail17trampoline_kernelINS0_14default_configENS1_38merge_sort_block_merge_config_selectorIilEEZZNS1_27merge_sort_block_merge_implIS3_PiN6thrust23THRUST_200600_302600_NS10device_ptrIlEEjNS1_19radix_merge_compareILb0ELb0EiNS0_19identity_decomposerEEEEE10hipError_tT0_T1_T2_jT3_P12ihipStream_tbPNSt15iterator_traitsISG_E10value_typeEPNSM_ISH_E10value_typeEPSI_NS1_7vsmem_tEENKUlT_SG_SH_SI_E_clIS7_S7_PlSB_EESF_SV_SG_SH_SI_EUlSV_E0_NS1_11comp_targetILNS1_3genE8ELNS1_11target_archE1030ELNS1_3gpuE2ELNS1_3repE0EEENS1_38merge_mergepath_config_static_selectorELNS0_4arch9wavefront6targetE1EEEvSH_.has_recursion, 0
	.set _ZN7rocprim17ROCPRIM_400000_NS6detail17trampoline_kernelINS0_14default_configENS1_38merge_sort_block_merge_config_selectorIilEEZZNS1_27merge_sort_block_merge_implIS3_PiN6thrust23THRUST_200600_302600_NS10device_ptrIlEEjNS1_19radix_merge_compareILb0ELb0EiNS0_19identity_decomposerEEEEE10hipError_tT0_T1_T2_jT3_P12ihipStream_tbPNSt15iterator_traitsISG_E10value_typeEPNSM_ISH_E10value_typeEPSI_NS1_7vsmem_tEENKUlT_SG_SH_SI_E_clIS7_S7_PlSB_EESF_SV_SG_SH_SI_EUlSV_E0_NS1_11comp_targetILNS1_3genE8ELNS1_11target_archE1030ELNS1_3gpuE2ELNS1_3repE0EEENS1_38merge_mergepath_config_static_selectorELNS0_4arch9wavefront6targetE1EEEvSH_.has_indirect_call, 0
	.section	.AMDGPU.csdata,"",@progbits
; Kernel info:
; codeLenInByte = 0
; TotalNumSgprs: 4
; NumVgprs: 0
; ScratchSize: 0
; MemoryBound: 0
; FloatMode: 240
; IeeeMode: 1
; LDSByteSize: 0 bytes/workgroup (compile time only)
; SGPRBlocks: 0
; VGPRBlocks: 0
; NumSGPRsForWavesPerEU: 4
; NumVGPRsForWavesPerEU: 1
; Occupancy: 10
; WaveLimiterHint : 0
; COMPUTE_PGM_RSRC2:SCRATCH_EN: 0
; COMPUTE_PGM_RSRC2:USER_SGPR: 6
; COMPUTE_PGM_RSRC2:TRAP_HANDLER: 0
; COMPUTE_PGM_RSRC2:TGID_X_EN: 1
; COMPUTE_PGM_RSRC2:TGID_Y_EN: 0
; COMPUTE_PGM_RSRC2:TGID_Z_EN: 0
; COMPUTE_PGM_RSRC2:TIDIG_COMP_CNT: 0
	.section	.text._ZN7rocprim17ROCPRIM_400000_NS6detail17trampoline_kernelINS0_14default_configENS1_38merge_sort_block_merge_config_selectorIilEEZZNS1_27merge_sort_block_merge_implIS3_PiN6thrust23THRUST_200600_302600_NS10device_ptrIlEEjNS1_19radix_merge_compareILb0ELb0EiNS0_19identity_decomposerEEEEE10hipError_tT0_T1_T2_jT3_P12ihipStream_tbPNSt15iterator_traitsISG_E10value_typeEPNSM_ISH_E10value_typeEPSI_NS1_7vsmem_tEENKUlT_SG_SH_SI_E_clIS7_S7_PlSB_EESF_SV_SG_SH_SI_EUlSV_E1_NS1_11comp_targetILNS1_3genE0ELNS1_11target_archE4294967295ELNS1_3gpuE0ELNS1_3repE0EEENS1_36merge_oddeven_config_static_selectorELNS0_4arch9wavefront6targetE1EEEvSH_,"axG",@progbits,_ZN7rocprim17ROCPRIM_400000_NS6detail17trampoline_kernelINS0_14default_configENS1_38merge_sort_block_merge_config_selectorIilEEZZNS1_27merge_sort_block_merge_implIS3_PiN6thrust23THRUST_200600_302600_NS10device_ptrIlEEjNS1_19radix_merge_compareILb0ELb0EiNS0_19identity_decomposerEEEEE10hipError_tT0_T1_T2_jT3_P12ihipStream_tbPNSt15iterator_traitsISG_E10value_typeEPNSM_ISH_E10value_typeEPSI_NS1_7vsmem_tEENKUlT_SG_SH_SI_E_clIS7_S7_PlSB_EESF_SV_SG_SH_SI_EUlSV_E1_NS1_11comp_targetILNS1_3genE0ELNS1_11target_archE4294967295ELNS1_3gpuE0ELNS1_3repE0EEENS1_36merge_oddeven_config_static_selectorELNS0_4arch9wavefront6targetE1EEEvSH_,comdat
	.protected	_ZN7rocprim17ROCPRIM_400000_NS6detail17trampoline_kernelINS0_14default_configENS1_38merge_sort_block_merge_config_selectorIilEEZZNS1_27merge_sort_block_merge_implIS3_PiN6thrust23THRUST_200600_302600_NS10device_ptrIlEEjNS1_19radix_merge_compareILb0ELb0EiNS0_19identity_decomposerEEEEE10hipError_tT0_T1_T2_jT3_P12ihipStream_tbPNSt15iterator_traitsISG_E10value_typeEPNSM_ISH_E10value_typeEPSI_NS1_7vsmem_tEENKUlT_SG_SH_SI_E_clIS7_S7_PlSB_EESF_SV_SG_SH_SI_EUlSV_E1_NS1_11comp_targetILNS1_3genE0ELNS1_11target_archE4294967295ELNS1_3gpuE0ELNS1_3repE0EEENS1_36merge_oddeven_config_static_selectorELNS0_4arch9wavefront6targetE1EEEvSH_ ; -- Begin function _ZN7rocprim17ROCPRIM_400000_NS6detail17trampoline_kernelINS0_14default_configENS1_38merge_sort_block_merge_config_selectorIilEEZZNS1_27merge_sort_block_merge_implIS3_PiN6thrust23THRUST_200600_302600_NS10device_ptrIlEEjNS1_19radix_merge_compareILb0ELb0EiNS0_19identity_decomposerEEEEE10hipError_tT0_T1_T2_jT3_P12ihipStream_tbPNSt15iterator_traitsISG_E10value_typeEPNSM_ISH_E10value_typeEPSI_NS1_7vsmem_tEENKUlT_SG_SH_SI_E_clIS7_S7_PlSB_EESF_SV_SG_SH_SI_EUlSV_E1_NS1_11comp_targetILNS1_3genE0ELNS1_11target_archE4294967295ELNS1_3gpuE0ELNS1_3repE0EEENS1_36merge_oddeven_config_static_selectorELNS0_4arch9wavefront6targetE1EEEvSH_
	.globl	_ZN7rocprim17ROCPRIM_400000_NS6detail17trampoline_kernelINS0_14default_configENS1_38merge_sort_block_merge_config_selectorIilEEZZNS1_27merge_sort_block_merge_implIS3_PiN6thrust23THRUST_200600_302600_NS10device_ptrIlEEjNS1_19radix_merge_compareILb0ELb0EiNS0_19identity_decomposerEEEEE10hipError_tT0_T1_T2_jT3_P12ihipStream_tbPNSt15iterator_traitsISG_E10value_typeEPNSM_ISH_E10value_typeEPSI_NS1_7vsmem_tEENKUlT_SG_SH_SI_E_clIS7_S7_PlSB_EESF_SV_SG_SH_SI_EUlSV_E1_NS1_11comp_targetILNS1_3genE0ELNS1_11target_archE4294967295ELNS1_3gpuE0ELNS1_3repE0EEENS1_36merge_oddeven_config_static_selectorELNS0_4arch9wavefront6targetE1EEEvSH_
	.p2align	8
	.type	_ZN7rocprim17ROCPRIM_400000_NS6detail17trampoline_kernelINS0_14default_configENS1_38merge_sort_block_merge_config_selectorIilEEZZNS1_27merge_sort_block_merge_implIS3_PiN6thrust23THRUST_200600_302600_NS10device_ptrIlEEjNS1_19radix_merge_compareILb0ELb0EiNS0_19identity_decomposerEEEEE10hipError_tT0_T1_T2_jT3_P12ihipStream_tbPNSt15iterator_traitsISG_E10value_typeEPNSM_ISH_E10value_typeEPSI_NS1_7vsmem_tEENKUlT_SG_SH_SI_E_clIS7_S7_PlSB_EESF_SV_SG_SH_SI_EUlSV_E1_NS1_11comp_targetILNS1_3genE0ELNS1_11target_archE4294967295ELNS1_3gpuE0ELNS1_3repE0EEENS1_36merge_oddeven_config_static_selectorELNS0_4arch9wavefront6targetE1EEEvSH_,@function
_ZN7rocprim17ROCPRIM_400000_NS6detail17trampoline_kernelINS0_14default_configENS1_38merge_sort_block_merge_config_selectorIilEEZZNS1_27merge_sort_block_merge_implIS3_PiN6thrust23THRUST_200600_302600_NS10device_ptrIlEEjNS1_19radix_merge_compareILb0ELb0EiNS0_19identity_decomposerEEEEE10hipError_tT0_T1_T2_jT3_P12ihipStream_tbPNSt15iterator_traitsISG_E10value_typeEPNSM_ISH_E10value_typeEPSI_NS1_7vsmem_tEENKUlT_SG_SH_SI_E_clIS7_S7_PlSB_EESF_SV_SG_SH_SI_EUlSV_E1_NS1_11comp_targetILNS1_3genE0ELNS1_11target_archE4294967295ELNS1_3gpuE0ELNS1_3repE0EEENS1_36merge_oddeven_config_static_selectorELNS0_4arch9wavefront6targetE1EEEvSH_: ; @_ZN7rocprim17ROCPRIM_400000_NS6detail17trampoline_kernelINS0_14default_configENS1_38merge_sort_block_merge_config_selectorIilEEZZNS1_27merge_sort_block_merge_implIS3_PiN6thrust23THRUST_200600_302600_NS10device_ptrIlEEjNS1_19radix_merge_compareILb0ELb0EiNS0_19identity_decomposerEEEEE10hipError_tT0_T1_T2_jT3_P12ihipStream_tbPNSt15iterator_traitsISG_E10value_typeEPNSM_ISH_E10value_typeEPSI_NS1_7vsmem_tEENKUlT_SG_SH_SI_E_clIS7_S7_PlSB_EESF_SV_SG_SH_SI_EUlSV_E1_NS1_11comp_targetILNS1_3genE0ELNS1_11target_archE4294967295ELNS1_3gpuE0ELNS1_3repE0EEENS1_36merge_oddeven_config_static_selectorELNS0_4arch9wavefront6targetE1EEEvSH_
; %bb.0:
	.section	.rodata,"a",@progbits
	.p2align	6, 0x0
	.amdhsa_kernel _ZN7rocprim17ROCPRIM_400000_NS6detail17trampoline_kernelINS0_14default_configENS1_38merge_sort_block_merge_config_selectorIilEEZZNS1_27merge_sort_block_merge_implIS3_PiN6thrust23THRUST_200600_302600_NS10device_ptrIlEEjNS1_19radix_merge_compareILb0ELb0EiNS0_19identity_decomposerEEEEE10hipError_tT0_T1_T2_jT3_P12ihipStream_tbPNSt15iterator_traitsISG_E10value_typeEPNSM_ISH_E10value_typeEPSI_NS1_7vsmem_tEENKUlT_SG_SH_SI_E_clIS7_S7_PlSB_EESF_SV_SG_SH_SI_EUlSV_E1_NS1_11comp_targetILNS1_3genE0ELNS1_11target_archE4294967295ELNS1_3gpuE0ELNS1_3repE0EEENS1_36merge_oddeven_config_static_selectorELNS0_4arch9wavefront6targetE1EEEvSH_
		.amdhsa_group_segment_fixed_size 0
		.amdhsa_private_segment_fixed_size 0
		.amdhsa_kernarg_size 48
		.amdhsa_user_sgpr_count 6
		.amdhsa_user_sgpr_private_segment_buffer 1
		.amdhsa_user_sgpr_dispatch_ptr 0
		.amdhsa_user_sgpr_queue_ptr 0
		.amdhsa_user_sgpr_kernarg_segment_ptr 1
		.amdhsa_user_sgpr_dispatch_id 0
		.amdhsa_user_sgpr_flat_scratch_init 0
		.amdhsa_user_sgpr_private_segment_size 0
		.amdhsa_uses_dynamic_stack 0
		.amdhsa_system_sgpr_private_segment_wavefront_offset 0
		.amdhsa_system_sgpr_workgroup_id_x 1
		.amdhsa_system_sgpr_workgroup_id_y 0
		.amdhsa_system_sgpr_workgroup_id_z 0
		.amdhsa_system_sgpr_workgroup_info 0
		.amdhsa_system_vgpr_workitem_id 0
		.amdhsa_next_free_vgpr 1
		.amdhsa_next_free_sgpr 0
		.amdhsa_reserve_vcc 0
		.amdhsa_reserve_flat_scratch 0
		.amdhsa_float_round_mode_32 0
		.amdhsa_float_round_mode_16_64 0
		.amdhsa_float_denorm_mode_32 3
		.amdhsa_float_denorm_mode_16_64 3
		.amdhsa_dx10_clamp 1
		.amdhsa_ieee_mode 1
		.amdhsa_fp16_overflow 0
		.amdhsa_exception_fp_ieee_invalid_op 0
		.amdhsa_exception_fp_denorm_src 0
		.amdhsa_exception_fp_ieee_div_zero 0
		.amdhsa_exception_fp_ieee_overflow 0
		.amdhsa_exception_fp_ieee_underflow 0
		.amdhsa_exception_fp_ieee_inexact 0
		.amdhsa_exception_int_div_zero 0
	.end_amdhsa_kernel
	.section	.text._ZN7rocprim17ROCPRIM_400000_NS6detail17trampoline_kernelINS0_14default_configENS1_38merge_sort_block_merge_config_selectorIilEEZZNS1_27merge_sort_block_merge_implIS3_PiN6thrust23THRUST_200600_302600_NS10device_ptrIlEEjNS1_19radix_merge_compareILb0ELb0EiNS0_19identity_decomposerEEEEE10hipError_tT0_T1_T2_jT3_P12ihipStream_tbPNSt15iterator_traitsISG_E10value_typeEPNSM_ISH_E10value_typeEPSI_NS1_7vsmem_tEENKUlT_SG_SH_SI_E_clIS7_S7_PlSB_EESF_SV_SG_SH_SI_EUlSV_E1_NS1_11comp_targetILNS1_3genE0ELNS1_11target_archE4294967295ELNS1_3gpuE0ELNS1_3repE0EEENS1_36merge_oddeven_config_static_selectorELNS0_4arch9wavefront6targetE1EEEvSH_,"axG",@progbits,_ZN7rocprim17ROCPRIM_400000_NS6detail17trampoline_kernelINS0_14default_configENS1_38merge_sort_block_merge_config_selectorIilEEZZNS1_27merge_sort_block_merge_implIS3_PiN6thrust23THRUST_200600_302600_NS10device_ptrIlEEjNS1_19radix_merge_compareILb0ELb0EiNS0_19identity_decomposerEEEEE10hipError_tT0_T1_T2_jT3_P12ihipStream_tbPNSt15iterator_traitsISG_E10value_typeEPNSM_ISH_E10value_typeEPSI_NS1_7vsmem_tEENKUlT_SG_SH_SI_E_clIS7_S7_PlSB_EESF_SV_SG_SH_SI_EUlSV_E1_NS1_11comp_targetILNS1_3genE0ELNS1_11target_archE4294967295ELNS1_3gpuE0ELNS1_3repE0EEENS1_36merge_oddeven_config_static_selectorELNS0_4arch9wavefront6targetE1EEEvSH_,comdat
.Lfunc_end760:
	.size	_ZN7rocprim17ROCPRIM_400000_NS6detail17trampoline_kernelINS0_14default_configENS1_38merge_sort_block_merge_config_selectorIilEEZZNS1_27merge_sort_block_merge_implIS3_PiN6thrust23THRUST_200600_302600_NS10device_ptrIlEEjNS1_19radix_merge_compareILb0ELb0EiNS0_19identity_decomposerEEEEE10hipError_tT0_T1_T2_jT3_P12ihipStream_tbPNSt15iterator_traitsISG_E10value_typeEPNSM_ISH_E10value_typeEPSI_NS1_7vsmem_tEENKUlT_SG_SH_SI_E_clIS7_S7_PlSB_EESF_SV_SG_SH_SI_EUlSV_E1_NS1_11comp_targetILNS1_3genE0ELNS1_11target_archE4294967295ELNS1_3gpuE0ELNS1_3repE0EEENS1_36merge_oddeven_config_static_selectorELNS0_4arch9wavefront6targetE1EEEvSH_, .Lfunc_end760-_ZN7rocprim17ROCPRIM_400000_NS6detail17trampoline_kernelINS0_14default_configENS1_38merge_sort_block_merge_config_selectorIilEEZZNS1_27merge_sort_block_merge_implIS3_PiN6thrust23THRUST_200600_302600_NS10device_ptrIlEEjNS1_19radix_merge_compareILb0ELb0EiNS0_19identity_decomposerEEEEE10hipError_tT0_T1_T2_jT3_P12ihipStream_tbPNSt15iterator_traitsISG_E10value_typeEPNSM_ISH_E10value_typeEPSI_NS1_7vsmem_tEENKUlT_SG_SH_SI_E_clIS7_S7_PlSB_EESF_SV_SG_SH_SI_EUlSV_E1_NS1_11comp_targetILNS1_3genE0ELNS1_11target_archE4294967295ELNS1_3gpuE0ELNS1_3repE0EEENS1_36merge_oddeven_config_static_selectorELNS0_4arch9wavefront6targetE1EEEvSH_
                                        ; -- End function
	.set _ZN7rocprim17ROCPRIM_400000_NS6detail17trampoline_kernelINS0_14default_configENS1_38merge_sort_block_merge_config_selectorIilEEZZNS1_27merge_sort_block_merge_implIS3_PiN6thrust23THRUST_200600_302600_NS10device_ptrIlEEjNS1_19radix_merge_compareILb0ELb0EiNS0_19identity_decomposerEEEEE10hipError_tT0_T1_T2_jT3_P12ihipStream_tbPNSt15iterator_traitsISG_E10value_typeEPNSM_ISH_E10value_typeEPSI_NS1_7vsmem_tEENKUlT_SG_SH_SI_E_clIS7_S7_PlSB_EESF_SV_SG_SH_SI_EUlSV_E1_NS1_11comp_targetILNS1_3genE0ELNS1_11target_archE4294967295ELNS1_3gpuE0ELNS1_3repE0EEENS1_36merge_oddeven_config_static_selectorELNS0_4arch9wavefront6targetE1EEEvSH_.num_vgpr, 0
	.set _ZN7rocprim17ROCPRIM_400000_NS6detail17trampoline_kernelINS0_14default_configENS1_38merge_sort_block_merge_config_selectorIilEEZZNS1_27merge_sort_block_merge_implIS3_PiN6thrust23THRUST_200600_302600_NS10device_ptrIlEEjNS1_19radix_merge_compareILb0ELb0EiNS0_19identity_decomposerEEEEE10hipError_tT0_T1_T2_jT3_P12ihipStream_tbPNSt15iterator_traitsISG_E10value_typeEPNSM_ISH_E10value_typeEPSI_NS1_7vsmem_tEENKUlT_SG_SH_SI_E_clIS7_S7_PlSB_EESF_SV_SG_SH_SI_EUlSV_E1_NS1_11comp_targetILNS1_3genE0ELNS1_11target_archE4294967295ELNS1_3gpuE0ELNS1_3repE0EEENS1_36merge_oddeven_config_static_selectorELNS0_4arch9wavefront6targetE1EEEvSH_.num_agpr, 0
	.set _ZN7rocprim17ROCPRIM_400000_NS6detail17trampoline_kernelINS0_14default_configENS1_38merge_sort_block_merge_config_selectorIilEEZZNS1_27merge_sort_block_merge_implIS3_PiN6thrust23THRUST_200600_302600_NS10device_ptrIlEEjNS1_19radix_merge_compareILb0ELb0EiNS0_19identity_decomposerEEEEE10hipError_tT0_T1_T2_jT3_P12ihipStream_tbPNSt15iterator_traitsISG_E10value_typeEPNSM_ISH_E10value_typeEPSI_NS1_7vsmem_tEENKUlT_SG_SH_SI_E_clIS7_S7_PlSB_EESF_SV_SG_SH_SI_EUlSV_E1_NS1_11comp_targetILNS1_3genE0ELNS1_11target_archE4294967295ELNS1_3gpuE0ELNS1_3repE0EEENS1_36merge_oddeven_config_static_selectorELNS0_4arch9wavefront6targetE1EEEvSH_.numbered_sgpr, 0
	.set _ZN7rocprim17ROCPRIM_400000_NS6detail17trampoline_kernelINS0_14default_configENS1_38merge_sort_block_merge_config_selectorIilEEZZNS1_27merge_sort_block_merge_implIS3_PiN6thrust23THRUST_200600_302600_NS10device_ptrIlEEjNS1_19radix_merge_compareILb0ELb0EiNS0_19identity_decomposerEEEEE10hipError_tT0_T1_T2_jT3_P12ihipStream_tbPNSt15iterator_traitsISG_E10value_typeEPNSM_ISH_E10value_typeEPSI_NS1_7vsmem_tEENKUlT_SG_SH_SI_E_clIS7_S7_PlSB_EESF_SV_SG_SH_SI_EUlSV_E1_NS1_11comp_targetILNS1_3genE0ELNS1_11target_archE4294967295ELNS1_3gpuE0ELNS1_3repE0EEENS1_36merge_oddeven_config_static_selectorELNS0_4arch9wavefront6targetE1EEEvSH_.num_named_barrier, 0
	.set _ZN7rocprim17ROCPRIM_400000_NS6detail17trampoline_kernelINS0_14default_configENS1_38merge_sort_block_merge_config_selectorIilEEZZNS1_27merge_sort_block_merge_implIS3_PiN6thrust23THRUST_200600_302600_NS10device_ptrIlEEjNS1_19radix_merge_compareILb0ELb0EiNS0_19identity_decomposerEEEEE10hipError_tT0_T1_T2_jT3_P12ihipStream_tbPNSt15iterator_traitsISG_E10value_typeEPNSM_ISH_E10value_typeEPSI_NS1_7vsmem_tEENKUlT_SG_SH_SI_E_clIS7_S7_PlSB_EESF_SV_SG_SH_SI_EUlSV_E1_NS1_11comp_targetILNS1_3genE0ELNS1_11target_archE4294967295ELNS1_3gpuE0ELNS1_3repE0EEENS1_36merge_oddeven_config_static_selectorELNS0_4arch9wavefront6targetE1EEEvSH_.private_seg_size, 0
	.set _ZN7rocprim17ROCPRIM_400000_NS6detail17trampoline_kernelINS0_14default_configENS1_38merge_sort_block_merge_config_selectorIilEEZZNS1_27merge_sort_block_merge_implIS3_PiN6thrust23THRUST_200600_302600_NS10device_ptrIlEEjNS1_19radix_merge_compareILb0ELb0EiNS0_19identity_decomposerEEEEE10hipError_tT0_T1_T2_jT3_P12ihipStream_tbPNSt15iterator_traitsISG_E10value_typeEPNSM_ISH_E10value_typeEPSI_NS1_7vsmem_tEENKUlT_SG_SH_SI_E_clIS7_S7_PlSB_EESF_SV_SG_SH_SI_EUlSV_E1_NS1_11comp_targetILNS1_3genE0ELNS1_11target_archE4294967295ELNS1_3gpuE0ELNS1_3repE0EEENS1_36merge_oddeven_config_static_selectorELNS0_4arch9wavefront6targetE1EEEvSH_.uses_vcc, 0
	.set _ZN7rocprim17ROCPRIM_400000_NS6detail17trampoline_kernelINS0_14default_configENS1_38merge_sort_block_merge_config_selectorIilEEZZNS1_27merge_sort_block_merge_implIS3_PiN6thrust23THRUST_200600_302600_NS10device_ptrIlEEjNS1_19radix_merge_compareILb0ELb0EiNS0_19identity_decomposerEEEEE10hipError_tT0_T1_T2_jT3_P12ihipStream_tbPNSt15iterator_traitsISG_E10value_typeEPNSM_ISH_E10value_typeEPSI_NS1_7vsmem_tEENKUlT_SG_SH_SI_E_clIS7_S7_PlSB_EESF_SV_SG_SH_SI_EUlSV_E1_NS1_11comp_targetILNS1_3genE0ELNS1_11target_archE4294967295ELNS1_3gpuE0ELNS1_3repE0EEENS1_36merge_oddeven_config_static_selectorELNS0_4arch9wavefront6targetE1EEEvSH_.uses_flat_scratch, 0
	.set _ZN7rocprim17ROCPRIM_400000_NS6detail17trampoline_kernelINS0_14default_configENS1_38merge_sort_block_merge_config_selectorIilEEZZNS1_27merge_sort_block_merge_implIS3_PiN6thrust23THRUST_200600_302600_NS10device_ptrIlEEjNS1_19radix_merge_compareILb0ELb0EiNS0_19identity_decomposerEEEEE10hipError_tT0_T1_T2_jT3_P12ihipStream_tbPNSt15iterator_traitsISG_E10value_typeEPNSM_ISH_E10value_typeEPSI_NS1_7vsmem_tEENKUlT_SG_SH_SI_E_clIS7_S7_PlSB_EESF_SV_SG_SH_SI_EUlSV_E1_NS1_11comp_targetILNS1_3genE0ELNS1_11target_archE4294967295ELNS1_3gpuE0ELNS1_3repE0EEENS1_36merge_oddeven_config_static_selectorELNS0_4arch9wavefront6targetE1EEEvSH_.has_dyn_sized_stack, 0
	.set _ZN7rocprim17ROCPRIM_400000_NS6detail17trampoline_kernelINS0_14default_configENS1_38merge_sort_block_merge_config_selectorIilEEZZNS1_27merge_sort_block_merge_implIS3_PiN6thrust23THRUST_200600_302600_NS10device_ptrIlEEjNS1_19radix_merge_compareILb0ELb0EiNS0_19identity_decomposerEEEEE10hipError_tT0_T1_T2_jT3_P12ihipStream_tbPNSt15iterator_traitsISG_E10value_typeEPNSM_ISH_E10value_typeEPSI_NS1_7vsmem_tEENKUlT_SG_SH_SI_E_clIS7_S7_PlSB_EESF_SV_SG_SH_SI_EUlSV_E1_NS1_11comp_targetILNS1_3genE0ELNS1_11target_archE4294967295ELNS1_3gpuE0ELNS1_3repE0EEENS1_36merge_oddeven_config_static_selectorELNS0_4arch9wavefront6targetE1EEEvSH_.has_recursion, 0
	.set _ZN7rocprim17ROCPRIM_400000_NS6detail17trampoline_kernelINS0_14default_configENS1_38merge_sort_block_merge_config_selectorIilEEZZNS1_27merge_sort_block_merge_implIS3_PiN6thrust23THRUST_200600_302600_NS10device_ptrIlEEjNS1_19radix_merge_compareILb0ELb0EiNS0_19identity_decomposerEEEEE10hipError_tT0_T1_T2_jT3_P12ihipStream_tbPNSt15iterator_traitsISG_E10value_typeEPNSM_ISH_E10value_typeEPSI_NS1_7vsmem_tEENKUlT_SG_SH_SI_E_clIS7_S7_PlSB_EESF_SV_SG_SH_SI_EUlSV_E1_NS1_11comp_targetILNS1_3genE0ELNS1_11target_archE4294967295ELNS1_3gpuE0ELNS1_3repE0EEENS1_36merge_oddeven_config_static_selectorELNS0_4arch9wavefront6targetE1EEEvSH_.has_indirect_call, 0
	.section	.AMDGPU.csdata,"",@progbits
; Kernel info:
; codeLenInByte = 0
; TotalNumSgprs: 4
; NumVgprs: 0
; ScratchSize: 0
; MemoryBound: 0
; FloatMode: 240
; IeeeMode: 1
; LDSByteSize: 0 bytes/workgroup (compile time only)
; SGPRBlocks: 0
; VGPRBlocks: 0
; NumSGPRsForWavesPerEU: 4
; NumVGPRsForWavesPerEU: 1
; Occupancy: 10
; WaveLimiterHint : 0
; COMPUTE_PGM_RSRC2:SCRATCH_EN: 0
; COMPUTE_PGM_RSRC2:USER_SGPR: 6
; COMPUTE_PGM_RSRC2:TRAP_HANDLER: 0
; COMPUTE_PGM_RSRC2:TGID_X_EN: 1
; COMPUTE_PGM_RSRC2:TGID_Y_EN: 0
; COMPUTE_PGM_RSRC2:TGID_Z_EN: 0
; COMPUTE_PGM_RSRC2:TIDIG_COMP_CNT: 0
	.section	.text._ZN7rocprim17ROCPRIM_400000_NS6detail17trampoline_kernelINS0_14default_configENS1_38merge_sort_block_merge_config_selectorIilEEZZNS1_27merge_sort_block_merge_implIS3_PiN6thrust23THRUST_200600_302600_NS10device_ptrIlEEjNS1_19radix_merge_compareILb0ELb0EiNS0_19identity_decomposerEEEEE10hipError_tT0_T1_T2_jT3_P12ihipStream_tbPNSt15iterator_traitsISG_E10value_typeEPNSM_ISH_E10value_typeEPSI_NS1_7vsmem_tEENKUlT_SG_SH_SI_E_clIS7_S7_PlSB_EESF_SV_SG_SH_SI_EUlSV_E1_NS1_11comp_targetILNS1_3genE10ELNS1_11target_archE1201ELNS1_3gpuE5ELNS1_3repE0EEENS1_36merge_oddeven_config_static_selectorELNS0_4arch9wavefront6targetE1EEEvSH_,"axG",@progbits,_ZN7rocprim17ROCPRIM_400000_NS6detail17trampoline_kernelINS0_14default_configENS1_38merge_sort_block_merge_config_selectorIilEEZZNS1_27merge_sort_block_merge_implIS3_PiN6thrust23THRUST_200600_302600_NS10device_ptrIlEEjNS1_19radix_merge_compareILb0ELb0EiNS0_19identity_decomposerEEEEE10hipError_tT0_T1_T2_jT3_P12ihipStream_tbPNSt15iterator_traitsISG_E10value_typeEPNSM_ISH_E10value_typeEPSI_NS1_7vsmem_tEENKUlT_SG_SH_SI_E_clIS7_S7_PlSB_EESF_SV_SG_SH_SI_EUlSV_E1_NS1_11comp_targetILNS1_3genE10ELNS1_11target_archE1201ELNS1_3gpuE5ELNS1_3repE0EEENS1_36merge_oddeven_config_static_selectorELNS0_4arch9wavefront6targetE1EEEvSH_,comdat
	.protected	_ZN7rocprim17ROCPRIM_400000_NS6detail17trampoline_kernelINS0_14default_configENS1_38merge_sort_block_merge_config_selectorIilEEZZNS1_27merge_sort_block_merge_implIS3_PiN6thrust23THRUST_200600_302600_NS10device_ptrIlEEjNS1_19radix_merge_compareILb0ELb0EiNS0_19identity_decomposerEEEEE10hipError_tT0_T1_T2_jT3_P12ihipStream_tbPNSt15iterator_traitsISG_E10value_typeEPNSM_ISH_E10value_typeEPSI_NS1_7vsmem_tEENKUlT_SG_SH_SI_E_clIS7_S7_PlSB_EESF_SV_SG_SH_SI_EUlSV_E1_NS1_11comp_targetILNS1_3genE10ELNS1_11target_archE1201ELNS1_3gpuE5ELNS1_3repE0EEENS1_36merge_oddeven_config_static_selectorELNS0_4arch9wavefront6targetE1EEEvSH_ ; -- Begin function _ZN7rocprim17ROCPRIM_400000_NS6detail17trampoline_kernelINS0_14default_configENS1_38merge_sort_block_merge_config_selectorIilEEZZNS1_27merge_sort_block_merge_implIS3_PiN6thrust23THRUST_200600_302600_NS10device_ptrIlEEjNS1_19radix_merge_compareILb0ELb0EiNS0_19identity_decomposerEEEEE10hipError_tT0_T1_T2_jT3_P12ihipStream_tbPNSt15iterator_traitsISG_E10value_typeEPNSM_ISH_E10value_typeEPSI_NS1_7vsmem_tEENKUlT_SG_SH_SI_E_clIS7_S7_PlSB_EESF_SV_SG_SH_SI_EUlSV_E1_NS1_11comp_targetILNS1_3genE10ELNS1_11target_archE1201ELNS1_3gpuE5ELNS1_3repE0EEENS1_36merge_oddeven_config_static_selectorELNS0_4arch9wavefront6targetE1EEEvSH_
	.globl	_ZN7rocprim17ROCPRIM_400000_NS6detail17trampoline_kernelINS0_14default_configENS1_38merge_sort_block_merge_config_selectorIilEEZZNS1_27merge_sort_block_merge_implIS3_PiN6thrust23THRUST_200600_302600_NS10device_ptrIlEEjNS1_19radix_merge_compareILb0ELb0EiNS0_19identity_decomposerEEEEE10hipError_tT0_T1_T2_jT3_P12ihipStream_tbPNSt15iterator_traitsISG_E10value_typeEPNSM_ISH_E10value_typeEPSI_NS1_7vsmem_tEENKUlT_SG_SH_SI_E_clIS7_S7_PlSB_EESF_SV_SG_SH_SI_EUlSV_E1_NS1_11comp_targetILNS1_3genE10ELNS1_11target_archE1201ELNS1_3gpuE5ELNS1_3repE0EEENS1_36merge_oddeven_config_static_selectorELNS0_4arch9wavefront6targetE1EEEvSH_
	.p2align	8
	.type	_ZN7rocprim17ROCPRIM_400000_NS6detail17trampoline_kernelINS0_14default_configENS1_38merge_sort_block_merge_config_selectorIilEEZZNS1_27merge_sort_block_merge_implIS3_PiN6thrust23THRUST_200600_302600_NS10device_ptrIlEEjNS1_19radix_merge_compareILb0ELb0EiNS0_19identity_decomposerEEEEE10hipError_tT0_T1_T2_jT3_P12ihipStream_tbPNSt15iterator_traitsISG_E10value_typeEPNSM_ISH_E10value_typeEPSI_NS1_7vsmem_tEENKUlT_SG_SH_SI_E_clIS7_S7_PlSB_EESF_SV_SG_SH_SI_EUlSV_E1_NS1_11comp_targetILNS1_3genE10ELNS1_11target_archE1201ELNS1_3gpuE5ELNS1_3repE0EEENS1_36merge_oddeven_config_static_selectorELNS0_4arch9wavefront6targetE1EEEvSH_,@function
_ZN7rocprim17ROCPRIM_400000_NS6detail17trampoline_kernelINS0_14default_configENS1_38merge_sort_block_merge_config_selectorIilEEZZNS1_27merge_sort_block_merge_implIS3_PiN6thrust23THRUST_200600_302600_NS10device_ptrIlEEjNS1_19radix_merge_compareILb0ELb0EiNS0_19identity_decomposerEEEEE10hipError_tT0_T1_T2_jT3_P12ihipStream_tbPNSt15iterator_traitsISG_E10value_typeEPNSM_ISH_E10value_typeEPSI_NS1_7vsmem_tEENKUlT_SG_SH_SI_E_clIS7_S7_PlSB_EESF_SV_SG_SH_SI_EUlSV_E1_NS1_11comp_targetILNS1_3genE10ELNS1_11target_archE1201ELNS1_3gpuE5ELNS1_3repE0EEENS1_36merge_oddeven_config_static_selectorELNS0_4arch9wavefront6targetE1EEEvSH_: ; @_ZN7rocprim17ROCPRIM_400000_NS6detail17trampoline_kernelINS0_14default_configENS1_38merge_sort_block_merge_config_selectorIilEEZZNS1_27merge_sort_block_merge_implIS3_PiN6thrust23THRUST_200600_302600_NS10device_ptrIlEEjNS1_19radix_merge_compareILb0ELb0EiNS0_19identity_decomposerEEEEE10hipError_tT0_T1_T2_jT3_P12ihipStream_tbPNSt15iterator_traitsISG_E10value_typeEPNSM_ISH_E10value_typeEPSI_NS1_7vsmem_tEENKUlT_SG_SH_SI_E_clIS7_S7_PlSB_EESF_SV_SG_SH_SI_EUlSV_E1_NS1_11comp_targetILNS1_3genE10ELNS1_11target_archE1201ELNS1_3gpuE5ELNS1_3repE0EEENS1_36merge_oddeven_config_static_selectorELNS0_4arch9wavefront6targetE1EEEvSH_
; %bb.0:
	.section	.rodata,"a",@progbits
	.p2align	6, 0x0
	.amdhsa_kernel _ZN7rocprim17ROCPRIM_400000_NS6detail17trampoline_kernelINS0_14default_configENS1_38merge_sort_block_merge_config_selectorIilEEZZNS1_27merge_sort_block_merge_implIS3_PiN6thrust23THRUST_200600_302600_NS10device_ptrIlEEjNS1_19radix_merge_compareILb0ELb0EiNS0_19identity_decomposerEEEEE10hipError_tT0_T1_T2_jT3_P12ihipStream_tbPNSt15iterator_traitsISG_E10value_typeEPNSM_ISH_E10value_typeEPSI_NS1_7vsmem_tEENKUlT_SG_SH_SI_E_clIS7_S7_PlSB_EESF_SV_SG_SH_SI_EUlSV_E1_NS1_11comp_targetILNS1_3genE10ELNS1_11target_archE1201ELNS1_3gpuE5ELNS1_3repE0EEENS1_36merge_oddeven_config_static_selectorELNS0_4arch9wavefront6targetE1EEEvSH_
		.amdhsa_group_segment_fixed_size 0
		.amdhsa_private_segment_fixed_size 0
		.amdhsa_kernarg_size 48
		.amdhsa_user_sgpr_count 6
		.amdhsa_user_sgpr_private_segment_buffer 1
		.amdhsa_user_sgpr_dispatch_ptr 0
		.amdhsa_user_sgpr_queue_ptr 0
		.amdhsa_user_sgpr_kernarg_segment_ptr 1
		.amdhsa_user_sgpr_dispatch_id 0
		.amdhsa_user_sgpr_flat_scratch_init 0
		.amdhsa_user_sgpr_private_segment_size 0
		.amdhsa_uses_dynamic_stack 0
		.amdhsa_system_sgpr_private_segment_wavefront_offset 0
		.amdhsa_system_sgpr_workgroup_id_x 1
		.amdhsa_system_sgpr_workgroup_id_y 0
		.amdhsa_system_sgpr_workgroup_id_z 0
		.amdhsa_system_sgpr_workgroup_info 0
		.amdhsa_system_vgpr_workitem_id 0
		.amdhsa_next_free_vgpr 1
		.amdhsa_next_free_sgpr 0
		.amdhsa_reserve_vcc 0
		.amdhsa_reserve_flat_scratch 0
		.amdhsa_float_round_mode_32 0
		.amdhsa_float_round_mode_16_64 0
		.amdhsa_float_denorm_mode_32 3
		.amdhsa_float_denorm_mode_16_64 3
		.amdhsa_dx10_clamp 1
		.amdhsa_ieee_mode 1
		.amdhsa_fp16_overflow 0
		.amdhsa_exception_fp_ieee_invalid_op 0
		.amdhsa_exception_fp_denorm_src 0
		.amdhsa_exception_fp_ieee_div_zero 0
		.amdhsa_exception_fp_ieee_overflow 0
		.amdhsa_exception_fp_ieee_underflow 0
		.amdhsa_exception_fp_ieee_inexact 0
		.amdhsa_exception_int_div_zero 0
	.end_amdhsa_kernel
	.section	.text._ZN7rocprim17ROCPRIM_400000_NS6detail17trampoline_kernelINS0_14default_configENS1_38merge_sort_block_merge_config_selectorIilEEZZNS1_27merge_sort_block_merge_implIS3_PiN6thrust23THRUST_200600_302600_NS10device_ptrIlEEjNS1_19radix_merge_compareILb0ELb0EiNS0_19identity_decomposerEEEEE10hipError_tT0_T1_T2_jT3_P12ihipStream_tbPNSt15iterator_traitsISG_E10value_typeEPNSM_ISH_E10value_typeEPSI_NS1_7vsmem_tEENKUlT_SG_SH_SI_E_clIS7_S7_PlSB_EESF_SV_SG_SH_SI_EUlSV_E1_NS1_11comp_targetILNS1_3genE10ELNS1_11target_archE1201ELNS1_3gpuE5ELNS1_3repE0EEENS1_36merge_oddeven_config_static_selectorELNS0_4arch9wavefront6targetE1EEEvSH_,"axG",@progbits,_ZN7rocprim17ROCPRIM_400000_NS6detail17trampoline_kernelINS0_14default_configENS1_38merge_sort_block_merge_config_selectorIilEEZZNS1_27merge_sort_block_merge_implIS3_PiN6thrust23THRUST_200600_302600_NS10device_ptrIlEEjNS1_19radix_merge_compareILb0ELb0EiNS0_19identity_decomposerEEEEE10hipError_tT0_T1_T2_jT3_P12ihipStream_tbPNSt15iterator_traitsISG_E10value_typeEPNSM_ISH_E10value_typeEPSI_NS1_7vsmem_tEENKUlT_SG_SH_SI_E_clIS7_S7_PlSB_EESF_SV_SG_SH_SI_EUlSV_E1_NS1_11comp_targetILNS1_3genE10ELNS1_11target_archE1201ELNS1_3gpuE5ELNS1_3repE0EEENS1_36merge_oddeven_config_static_selectorELNS0_4arch9wavefront6targetE1EEEvSH_,comdat
.Lfunc_end761:
	.size	_ZN7rocprim17ROCPRIM_400000_NS6detail17trampoline_kernelINS0_14default_configENS1_38merge_sort_block_merge_config_selectorIilEEZZNS1_27merge_sort_block_merge_implIS3_PiN6thrust23THRUST_200600_302600_NS10device_ptrIlEEjNS1_19radix_merge_compareILb0ELb0EiNS0_19identity_decomposerEEEEE10hipError_tT0_T1_T2_jT3_P12ihipStream_tbPNSt15iterator_traitsISG_E10value_typeEPNSM_ISH_E10value_typeEPSI_NS1_7vsmem_tEENKUlT_SG_SH_SI_E_clIS7_S7_PlSB_EESF_SV_SG_SH_SI_EUlSV_E1_NS1_11comp_targetILNS1_3genE10ELNS1_11target_archE1201ELNS1_3gpuE5ELNS1_3repE0EEENS1_36merge_oddeven_config_static_selectorELNS0_4arch9wavefront6targetE1EEEvSH_, .Lfunc_end761-_ZN7rocprim17ROCPRIM_400000_NS6detail17trampoline_kernelINS0_14default_configENS1_38merge_sort_block_merge_config_selectorIilEEZZNS1_27merge_sort_block_merge_implIS3_PiN6thrust23THRUST_200600_302600_NS10device_ptrIlEEjNS1_19radix_merge_compareILb0ELb0EiNS0_19identity_decomposerEEEEE10hipError_tT0_T1_T2_jT3_P12ihipStream_tbPNSt15iterator_traitsISG_E10value_typeEPNSM_ISH_E10value_typeEPSI_NS1_7vsmem_tEENKUlT_SG_SH_SI_E_clIS7_S7_PlSB_EESF_SV_SG_SH_SI_EUlSV_E1_NS1_11comp_targetILNS1_3genE10ELNS1_11target_archE1201ELNS1_3gpuE5ELNS1_3repE0EEENS1_36merge_oddeven_config_static_selectorELNS0_4arch9wavefront6targetE1EEEvSH_
                                        ; -- End function
	.set _ZN7rocprim17ROCPRIM_400000_NS6detail17trampoline_kernelINS0_14default_configENS1_38merge_sort_block_merge_config_selectorIilEEZZNS1_27merge_sort_block_merge_implIS3_PiN6thrust23THRUST_200600_302600_NS10device_ptrIlEEjNS1_19radix_merge_compareILb0ELb0EiNS0_19identity_decomposerEEEEE10hipError_tT0_T1_T2_jT3_P12ihipStream_tbPNSt15iterator_traitsISG_E10value_typeEPNSM_ISH_E10value_typeEPSI_NS1_7vsmem_tEENKUlT_SG_SH_SI_E_clIS7_S7_PlSB_EESF_SV_SG_SH_SI_EUlSV_E1_NS1_11comp_targetILNS1_3genE10ELNS1_11target_archE1201ELNS1_3gpuE5ELNS1_3repE0EEENS1_36merge_oddeven_config_static_selectorELNS0_4arch9wavefront6targetE1EEEvSH_.num_vgpr, 0
	.set _ZN7rocprim17ROCPRIM_400000_NS6detail17trampoline_kernelINS0_14default_configENS1_38merge_sort_block_merge_config_selectorIilEEZZNS1_27merge_sort_block_merge_implIS3_PiN6thrust23THRUST_200600_302600_NS10device_ptrIlEEjNS1_19radix_merge_compareILb0ELb0EiNS0_19identity_decomposerEEEEE10hipError_tT0_T1_T2_jT3_P12ihipStream_tbPNSt15iterator_traitsISG_E10value_typeEPNSM_ISH_E10value_typeEPSI_NS1_7vsmem_tEENKUlT_SG_SH_SI_E_clIS7_S7_PlSB_EESF_SV_SG_SH_SI_EUlSV_E1_NS1_11comp_targetILNS1_3genE10ELNS1_11target_archE1201ELNS1_3gpuE5ELNS1_3repE0EEENS1_36merge_oddeven_config_static_selectorELNS0_4arch9wavefront6targetE1EEEvSH_.num_agpr, 0
	.set _ZN7rocprim17ROCPRIM_400000_NS6detail17trampoline_kernelINS0_14default_configENS1_38merge_sort_block_merge_config_selectorIilEEZZNS1_27merge_sort_block_merge_implIS3_PiN6thrust23THRUST_200600_302600_NS10device_ptrIlEEjNS1_19radix_merge_compareILb0ELb0EiNS0_19identity_decomposerEEEEE10hipError_tT0_T1_T2_jT3_P12ihipStream_tbPNSt15iterator_traitsISG_E10value_typeEPNSM_ISH_E10value_typeEPSI_NS1_7vsmem_tEENKUlT_SG_SH_SI_E_clIS7_S7_PlSB_EESF_SV_SG_SH_SI_EUlSV_E1_NS1_11comp_targetILNS1_3genE10ELNS1_11target_archE1201ELNS1_3gpuE5ELNS1_3repE0EEENS1_36merge_oddeven_config_static_selectorELNS0_4arch9wavefront6targetE1EEEvSH_.numbered_sgpr, 0
	.set _ZN7rocprim17ROCPRIM_400000_NS6detail17trampoline_kernelINS0_14default_configENS1_38merge_sort_block_merge_config_selectorIilEEZZNS1_27merge_sort_block_merge_implIS3_PiN6thrust23THRUST_200600_302600_NS10device_ptrIlEEjNS1_19radix_merge_compareILb0ELb0EiNS0_19identity_decomposerEEEEE10hipError_tT0_T1_T2_jT3_P12ihipStream_tbPNSt15iterator_traitsISG_E10value_typeEPNSM_ISH_E10value_typeEPSI_NS1_7vsmem_tEENKUlT_SG_SH_SI_E_clIS7_S7_PlSB_EESF_SV_SG_SH_SI_EUlSV_E1_NS1_11comp_targetILNS1_3genE10ELNS1_11target_archE1201ELNS1_3gpuE5ELNS1_3repE0EEENS1_36merge_oddeven_config_static_selectorELNS0_4arch9wavefront6targetE1EEEvSH_.num_named_barrier, 0
	.set _ZN7rocprim17ROCPRIM_400000_NS6detail17trampoline_kernelINS0_14default_configENS1_38merge_sort_block_merge_config_selectorIilEEZZNS1_27merge_sort_block_merge_implIS3_PiN6thrust23THRUST_200600_302600_NS10device_ptrIlEEjNS1_19radix_merge_compareILb0ELb0EiNS0_19identity_decomposerEEEEE10hipError_tT0_T1_T2_jT3_P12ihipStream_tbPNSt15iterator_traitsISG_E10value_typeEPNSM_ISH_E10value_typeEPSI_NS1_7vsmem_tEENKUlT_SG_SH_SI_E_clIS7_S7_PlSB_EESF_SV_SG_SH_SI_EUlSV_E1_NS1_11comp_targetILNS1_3genE10ELNS1_11target_archE1201ELNS1_3gpuE5ELNS1_3repE0EEENS1_36merge_oddeven_config_static_selectorELNS0_4arch9wavefront6targetE1EEEvSH_.private_seg_size, 0
	.set _ZN7rocprim17ROCPRIM_400000_NS6detail17trampoline_kernelINS0_14default_configENS1_38merge_sort_block_merge_config_selectorIilEEZZNS1_27merge_sort_block_merge_implIS3_PiN6thrust23THRUST_200600_302600_NS10device_ptrIlEEjNS1_19radix_merge_compareILb0ELb0EiNS0_19identity_decomposerEEEEE10hipError_tT0_T1_T2_jT3_P12ihipStream_tbPNSt15iterator_traitsISG_E10value_typeEPNSM_ISH_E10value_typeEPSI_NS1_7vsmem_tEENKUlT_SG_SH_SI_E_clIS7_S7_PlSB_EESF_SV_SG_SH_SI_EUlSV_E1_NS1_11comp_targetILNS1_3genE10ELNS1_11target_archE1201ELNS1_3gpuE5ELNS1_3repE0EEENS1_36merge_oddeven_config_static_selectorELNS0_4arch9wavefront6targetE1EEEvSH_.uses_vcc, 0
	.set _ZN7rocprim17ROCPRIM_400000_NS6detail17trampoline_kernelINS0_14default_configENS1_38merge_sort_block_merge_config_selectorIilEEZZNS1_27merge_sort_block_merge_implIS3_PiN6thrust23THRUST_200600_302600_NS10device_ptrIlEEjNS1_19radix_merge_compareILb0ELb0EiNS0_19identity_decomposerEEEEE10hipError_tT0_T1_T2_jT3_P12ihipStream_tbPNSt15iterator_traitsISG_E10value_typeEPNSM_ISH_E10value_typeEPSI_NS1_7vsmem_tEENKUlT_SG_SH_SI_E_clIS7_S7_PlSB_EESF_SV_SG_SH_SI_EUlSV_E1_NS1_11comp_targetILNS1_3genE10ELNS1_11target_archE1201ELNS1_3gpuE5ELNS1_3repE0EEENS1_36merge_oddeven_config_static_selectorELNS0_4arch9wavefront6targetE1EEEvSH_.uses_flat_scratch, 0
	.set _ZN7rocprim17ROCPRIM_400000_NS6detail17trampoline_kernelINS0_14default_configENS1_38merge_sort_block_merge_config_selectorIilEEZZNS1_27merge_sort_block_merge_implIS3_PiN6thrust23THRUST_200600_302600_NS10device_ptrIlEEjNS1_19radix_merge_compareILb0ELb0EiNS0_19identity_decomposerEEEEE10hipError_tT0_T1_T2_jT3_P12ihipStream_tbPNSt15iterator_traitsISG_E10value_typeEPNSM_ISH_E10value_typeEPSI_NS1_7vsmem_tEENKUlT_SG_SH_SI_E_clIS7_S7_PlSB_EESF_SV_SG_SH_SI_EUlSV_E1_NS1_11comp_targetILNS1_3genE10ELNS1_11target_archE1201ELNS1_3gpuE5ELNS1_3repE0EEENS1_36merge_oddeven_config_static_selectorELNS0_4arch9wavefront6targetE1EEEvSH_.has_dyn_sized_stack, 0
	.set _ZN7rocprim17ROCPRIM_400000_NS6detail17trampoline_kernelINS0_14default_configENS1_38merge_sort_block_merge_config_selectorIilEEZZNS1_27merge_sort_block_merge_implIS3_PiN6thrust23THRUST_200600_302600_NS10device_ptrIlEEjNS1_19radix_merge_compareILb0ELb0EiNS0_19identity_decomposerEEEEE10hipError_tT0_T1_T2_jT3_P12ihipStream_tbPNSt15iterator_traitsISG_E10value_typeEPNSM_ISH_E10value_typeEPSI_NS1_7vsmem_tEENKUlT_SG_SH_SI_E_clIS7_S7_PlSB_EESF_SV_SG_SH_SI_EUlSV_E1_NS1_11comp_targetILNS1_3genE10ELNS1_11target_archE1201ELNS1_3gpuE5ELNS1_3repE0EEENS1_36merge_oddeven_config_static_selectorELNS0_4arch9wavefront6targetE1EEEvSH_.has_recursion, 0
	.set _ZN7rocprim17ROCPRIM_400000_NS6detail17trampoline_kernelINS0_14default_configENS1_38merge_sort_block_merge_config_selectorIilEEZZNS1_27merge_sort_block_merge_implIS3_PiN6thrust23THRUST_200600_302600_NS10device_ptrIlEEjNS1_19radix_merge_compareILb0ELb0EiNS0_19identity_decomposerEEEEE10hipError_tT0_T1_T2_jT3_P12ihipStream_tbPNSt15iterator_traitsISG_E10value_typeEPNSM_ISH_E10value_typeEPSI_NS1_7vsmem_tEENKUlT_SG_SH_SI_E_clIS7_S7_PlSB_EESF_SV_SG_SH_SI_EUlSV_E1_NS1_11comp_targetILNS1_3genE10ELNS1_11target_archE1201ELNS1_3gpuE5ELNS1_3repE0EEENS1_36merge_oddeven_config_static_selectorELNS0_4arch9wavefront6targetE1EEEvSH_.has_indirect_call, 0
	.section	.AMDGPU.csdata,"",@progbits
; Kernel info:
; codeLenInByte = 0
; TotalNumSgprs: 4
; NumVgprs: 0
; ScratchSize: 0
; MemoryBound: 0
; FloatMode: 240
; IeeeMode: 1
; LDSByteSize: 0 bytes/workgroup (compile time only)
; SGPRBlocks: 0
; VGPRBlocks: 0
; NumSGPRsForWavesPerEU: 4
; NumVGPRsForWavesPerEU: 1
; Occupancy: 10
; WaveLimiterHint : 0
; COMPUTE_PGM_RSRC2:SCRATCH_EN: 0
; COMPUTE_PGM_RSRC2:USER_SGPR: 6
; COMPUTE_PGM_RSRC2:TRAP_HANDLER: 0
; COMPUTE_PGM_RSRC2:TGID_X_EN: 1
; COMPUTE_PGM_RSRC2:TGID_Y_EN: 0
; COMPUTE_PGM_RSRC2:TGID_Z_EN: 0
; COMPUTE_PGM_RSRC2:TIDIG_COMP_CNT: 0
	.section	.text._ZN7rocprim17ROCPRIM_400000_NS6detail17trampoline_kernelINS0_14default_configENS1_38merge_sort_block_merge_config_selectorIilEEZZNS1_27merge_sort_block_merge_implIS3_PiN6thrust23THRUST_200600_302600_NS10device_ptrIlEEjNS1_19radix_merge_compareILb0ELb0EiNS0_19identity_decomposerEEEEE10hipError_tT0_T1_T2_jT3_P12ihipStream_tbPNSt15iterator_traitsISG_E10value_typeEPNSM_ISH_E10value_typeEPSI_NS1_7vsmem_tEENKUlT_SG_SH_SI_E_clIS7_S7_PlSB_EESF_SV_SG_SH_SI_EUlSV_E1_NS1_11comp_targetILNS1_3genE5ELNS1_11target_archE942ELNS1_3gpuE9ELNS1_3repE0EEENS1_36merge_oddeven_config_static_selectorELNS0_4arch9wavefront6targetE1EEEvSH_,"axG",@progbits,_ZN7rocprim17ROCPRIM_400000_NS6detail17trampoline_kernelINS0_14default_configENS1_38merge_sort_block_merge_config_selectorIilEEZZNS1_27merge_sort_block_merge_implIS3_PiN6thrust23THRUST_200600_302600_NS10device_ptrIlEEjNS1_19radix_merge_compareILb0ELb0EiNS0_19identity_decomposerEEEEE10hipError_tT0_T1_T2_jT3_P12ihipStream_tbPNSt15iterator_traitsISG_E10value_typeEPNSM_ISH_E10value_typeEPSI_NS1_7vsmem_tEENKUlT_SG_SH_SI_E_clIS7_S7_PlSB_EESF_SV_SG_SH_SI_EUlSV_E1_NS1_11comp_targetILNS1_3genE5ELNS1_11target_archE942ELNS1_3gpuE9ELNS1_3repE0EEENS1_36merge_oddeven_config_static_selectorELNS0_4arch9wavefront6targetE1EEEvSH_,comdat
	.protected	_ZN7rocprim17ROCPRIM_400000_NS6detail17trampoline_kernelINS0_14default_configENS1_38merge_sort_block_merge_config_selectorIilEEZZNS1_27merge_sort_block_merge_implIS3_PiN6thrust23THRUST_200600_302600_NS10device_ptrIlEEjNS1_19radix_merge_compareILb0ELb0EiNS0_19identity_decomposerEEEEE10hipError_tT0_T1_T2_jT3_P12ihipStream_tbPNSt15iterator_traitsISG_E10value_typeEPNSM_ISH_E10value_typeEPSI_NS1_7vsmem_tEENKUlT_SG_SH_SI_E_clIS7_S7_PlSB_EESF_SV_SG_SH_SI_EUlSV_E1_NS1_11comp_targetILNS1_3genE5ELNS1_11target_archE942ELNS1_3gpuE9ELNS1_3repE0EEENS1_36merge_oddeven_config_static_selectorELNS0_4arch9wavefront6targetE1EEEvSH_ ; -- Begin function _ZN7rocprim17ROCPRIM_400000_NS6detail17trampoline_kernelINS0_14default_configENS1_38merge_sort_block_merge_config_selectorIilEEZZNS1_27merge_sort_block_merge_implIS3_PiN6thrust23THRUST_200600_302600_NS10device_ptrIlEEjNS1_19radix_merge_compareILb0ELb0EiNS0_19identity_decomposerEEEEE10hipError_tT0_T1_T2_jT3_P12ihipStream_tbPNSt15iterator_traitsISG_E10value_typeEPNSM_ISH_E10value_typeEPSI_NS1_7vsmem_tEENKUlT_SG_SH_SI_E_clIS7_S7_PlSB_EESF_SV_SG_SH_SI_EUlSV_E1_NS1_11comp_targetILNS1_3genE5ELNS1_11target_archE942ELNS1_3gpuE9ELNS1_3repE0EEENS1_36merge_oddeven_config_static_selectorELNS0_4arch9wavefront6targetE1EEEvSH_
	.globl	_ZN7rocprim17ROCPRIM_400000_NS6detail17trampoline_kernelINS0_14default_configENS1_38merge_sort_block_merge_config_selectorIilEEZZNS1_27merge_sort_block_merge_implIS3_PiN6thrust23THRUST_200600_302600_NS10device_ptrIlEEjNS1_19radix_merge_compareILb0ELb0EiNS0_19identity_decomposerEEEEE10hipError_tT0_T1_T2_jT3_P12ihipStream_tbPNSt15iterator_traitsISG_E10value_typeEPNSM_ISH_E10value_typeEPSI_NS1_7vsmem_tEENKUlT_SG_SH_SI_E_clIS7_S7_PlSB_EESF_SV_SG_SH_SI_EUlSV_E1_NS1_11comp_targetILNS1_3genE5ELNS1_11target_archE942ELNS1_3gpuE9ELNS1_3repE0EEENS1_36merge_oddeven_config_static_selectorELNS0_4arch9wavefront6targetE1EEEvSH_
	.p2align	8
	.type	_ZN7rocprim17ROCPRIM_400000_NS6detail17trampoline_kernelINS0_14default_configENS1_38merge_sort_block_merge_config_selectorIilEEZZNS1_27merge_sort_block_merge_implIS3_PiN6thrust23THRUST_200600_302600_NS10device_ptrIlEEjNS1_19radix_merge_compareILb0ELb0EiNS0_19identity_decomposerEEEEE10hipError_tT0_T1_T2_jT3_P12ihipStream_tbPNSt15iterator_traitsISG_E10value_typeEPNSM_ISH_E10value_typeEPSI_NS1_7vsmem_tEENKUlT_SG_SH_SI_E_clIS7_S7_PlSB_EESF_SV_SG_SH_SI_EUlSV_E1_NS1_11comp_targetILNS1_3genE5ELNS1_11target_archE942ELNS1_3gpuE9ELNS1_3repE0EEENS1_36merge_oddeven_config_static_selectorELNS0_4arch9wavefront6targetE1EEEvSH_,@function
_ZN7rocprim17ROCPRIM_400000_NS6detail17trampoline_kernelINS0_14default_configENS1_38merge_sort_block_merge_config_selectorIilEEZZNS1_27merge_sort_block_merge_implIS3_PiN6thrust23THRUST_200600_302600_NS10device_ptrIlEEjNS1_19radix_merge_compareILb0ELb0EiNS0_19identity_decomposerEEEEE10hipError_tT0_T1_T2_jT3_P12ihipStream_tbPNSt15iterator_traitsISG_E10value_typeEPNSM_ISH_E10value_typeEPSI_NS1_7vsmem_tEENKUlT_SG_SH_SI_E_clIS7_S7_PlSB_EESF_SV_SG_SH_SI_EUlSV_E1_NS1_11comp_targetILNS1_3genE5ELNS1_11target_archE942ELNS1_3gpuE9ELNS1_3repE0EEENS1_36merge_oddeven_config_static_selectorELNS0_4arch9wavefront6targetE1EEEvSH_: ; @_ZN7rocprim17ROCPRIM_400000_NS6detail17trampoline_kernelINS0_14default_configENS1_38merge_sort_block_merge_config_selectorIilEEZZNS1_27merge_sort_block_merge_implIS3_PiN6thrust23THRUST_200600_302600_NS10device_ptrIlEEjNS1_19radix_merge_compareILb0ELb0EiNS0_19identity_decomposerEEEEE10hipError_tT0_T1_T2_jT3_P12ihipStream_tbPNSt15iterator_traitsISG_E10value_typeEPNSM_ISH_E10value_typeEPSI_NS1_7vsmem_tEENKUlT_SG_SH_SI_E_clIS7_S7_PlSB_EESF_SV_SG_SH_SI_EUlSV_E1_NS1_11comp_targetILNS1_3genE5ELNS1_11target_archE942ELNS1_3gpuE9ELNS1_3repE0EEENS1_36merge_oddeven_config_static_selectorELNS0_4arch9wavefront6targetE1EEEvSH_
; %bb.0:
	.section	.rodata,"a",@progbits
	.p2align	6, 0x0
	.amdhsa_kernel _ZN7rocprim17ROCPRIM_400000_NS6detail17trampoline_kernelINS0_14default_configENS1_38merge_sort_block_merge_config_selectorIilEEZZNS1_27merge_sort_block_merge_implIS3_PiN6thrust23THRUST_200600_302600_NS10device_ptrIlEEjNS1_19radix_merge_compareILb0ELb0EiNS0_19identity_decomposerEEEEE10hipError_tT0_T1_T2_jT3_P12ihipStream_tbPNSt15iterator_traitsISG_E10value_typeEPNSM_ISH_E10value_typeEPSI_NS1_7vsmem_tEENKUlT_SG_SH_SI_E_clIS7_S7_PlSB_EESF_SV_SG_SH_SI_EUlSV_E1_NS1_11comp_targetILNS1_3genE5ELNS1_11target_archE942ELNS1_3gpuE9ELNS1_3repE0EEENS1_36merge_oddeven_config_static_selectorELNS0_4arch9wavefront6targetE1EEEvSH_
		.amdhsa_group_segment_fixed_size 0
		.amdhsa_private_segment_fixed_size 0
		.amdhsa_kernarg_size 48
		.amdhsa_user_sgpr_count 6
		.amdhsa_user_sgpr_private_segment_buffer 1
		.amdhsa_user_sgpr_dispatch_ptr 0
		.amdhsa_user_sgpr_queue_ptr 0
		.amdhsa_user_sgpr_kernarg_segment_ptr 1
		.amdhsa_user_sgpr_dispatch_id 0
		.amdhsa_user_sgpr_flat_scratch_init 0
		.amdhsa_user_sgpr_private_segment_size 0
		.amdhsa_uses_dynamic_stack 0
		.amdhsa_system_sgpr_private_segment_wavefront_offset 0
		.amdhsa_system_sgpr_workgroup_id_x 1
		.amdhsa_system_sgpr_workgroup_id_y 0
		.amdhsa_system_sgpr_workgroup_id_z 0
		.amdhsa_system_sgpr_workgroup_info 0
		.amdhsa_system_vgpr_workitem_id 0
		.amdhsa_next_free_vgpr 1
		.amdhsa_next_free_sgpr 0
		.amdhsa_reserve_vcc 0
		.amdhsa_reserve_flat_scratch 0
		.amdhsa_float_round_mode_32 0
		.amdhsa_float_round_mode_16_64 0
		.amdhsa_float_denorm_mode_32 3
		.amdhsa_float_denorm_mode_16_64 3
		.amdhsa_dx10_clamp 1
		.amdhsa_ieee_mode 1
		.amdhsa_fp16_overflow 0
		.amdhsa_exception_fp_ieee_invalid_op 0
		.amdhsa_exception_fp_denorm_src 0
		.amdhsa_exception_fp_ieee_div_zero 0
		.amdhsa_exception_fp_ieee_overflow 0
		.amdhsa_exception_fp_ieee_underflow 0
		.amdhsa_exception_fp_ieee_inexact 0
		.amdhsa_exception_int_div_zero 0
	.end_amdhsa_kernel
	.section	.text._ZN7rocprim17ROCPRIM_400000_NS6detail17trampoline_kernelINS0_14default_configENS1_38merge_sort_block_merge_config_selectorIilEEZZNS1_27merge_sort_block_merge_implIS3_PiN6thrust23THRUST_200600_302600_NS10device_ptrIlEEjNS1_19radix_merge_compareILb0ELb0EiNS0_19identity_decomposerEEEEE10hipError_tT0_T1_T2_jT3_P12ihipStream_tbPNSt15iterator_traitsISG_E10value_typeEPNSM_ISH_E10value_typeEPSI_NS1_7vsmem_tEENKUlT_SG_SH_SI_E_clIS7_S7_PlSB_EESF_SV_SG_SH_SI_EUlSV_E1_NS1_11comp_targetILNS1_3genE5ELNS1_11target_archE942ELNS1_3gpuE9ELNS1_3repE0EEENS1_36merge_oddeven_config_static_selectorELNS0_4arch9wavefront6targetE1EEEvSH_,"axG",@progbits,_ZN7rocprim17ROCPRIM_400000_NS6detail17trampoline_kernelINS0_14default_configENS1_38merge_sort_block_merge_config_selectorIilEEZZNS1_27merge_sort_block_merge_implIS3_PiN6thrust23THRUST_200600_302600_NS10device_ptrIlEEjNS1_19radix_merge_compareILb0ELb0EiNS0_19identity_decomposerEEEEE10hipError_tT0_T1_T2_jT3_P12ihipStream_tbPNSt15iterator_traitsISG_E10value_typeEPNSM_ISH_E10value_typeEPSI_NS1_7vsmem_tEENKUlT_SG_SH_SI_E_clIS7_S7_PlSB_EESF_SV_SG_SH_SI_EUlSV_E1_NS1_11comp_targetILNS1_3genE5ELNS1_11target_archE942ELNS1_3gpuE9ELNS1_3repE0EEENS1_36merge_oddeven_config_static_selectorELNS0_4arch9wavefront6targetE1EEEvSH_,comdat
.Lfunc_end762:
	.size	_ZN7rocprim17ROCPRIM_400000_NS6detail17trampoline_kernelINS0_14default_configENS1_38merge_sort_block_merge_config_selectorIilEEZZNS1_27merge_sort_block_merge_implIS3_PiN6thrust23THRUST_200600_302600_NS10device_ptrIlEEjNS1_19radix_merge_compareILb0ELb0EiNS0_19identity_decomposerEEEEE10hipError_tT0_T1_T2_jT3_P12ihipStream_tbPNSt15iterator_traitsISG_E10value_typeEPNSM_ISH_E10value_typeEPSI_NS1_7vsmem_tEENKUlT_SG_SH_SI_E_clIS7_S7_PlSB_EESF_SV_SG_SH_SI_EUlSV_E1_NS1_11comp_targetILNS1_3genE5ELNS1_11target_archE942ELNS1_3gpuE9ELNS1_3repE0EEENS1_36merge_oddeven_config_static_selectorELNS0_4arch9wavefront6targetE1EEEvSH_, .Lfunc_end762-_ZN7rocprim17ROCPRIM_400000_NS6detail17trampoline_kernelINS0_14default_configENS1_38merge_sort_block_merge_config_selectorIilEEZZNS1_27merge_sort_block_merge_implIS3_PiN6thrust23THRUST_200600_302600_NS10device_ptrIlEEjNS1_19radix_merge_compareILb0ELb0EiNS0_19identity_decomposerEEEEE10hipError_tT0_T1_T2_jT3_P12ihipStream_tbPNSt15iterator_traitsISG_E10value_typeEPNSM_ISH_E10value_typeEPSI_NS1_7vsmem_tEENKUlT_SG_SH_SI_E_clIS7_S7_PlSB_EESF_SV_SG_SH_SI_EUlSV_E1_NS1_11comp_targetILNS1_3genE5ELNS1_11target_archE942ELNS1_3gpuE9ELNS1_3repE0EEENS1_36merge_oddeven_config_static_selectorELNS0_4arch9wavefront6targetE1EEEvSH_
                                        ; -- End function
	.set _ZN7rocprim17ROCPRIM_400000_NS6detail17trampoline_kernelINS0_14default_configENS1_38merge_sort_block_merge_config_selectorIilEEZZNS1_27merge_sort_block_merge_implIS3_PiN6thrust23THRUST_200600_302600_NS10device_ptrIlEEjNS1_19radix_merge_compareILb0ELb0EiNS0_19identity_decomposerEEEEE10hipError_tT0_T1_T2_jT3_P12ihipStream_tbPNSt15iterator_traitsISG_E10value_typeEPNSM_ISH_E10value_typeEPSI_NS1_7vsmem_tEENKUlT_SG_SH_SI_E_clIS7_S7_PlSB_EESF_SV_SG_SH_SI_EUlSV_E1_NS1_11comp_targetILNS1_3genE5ELNS1_11target_archE942ELNS1_3gpuE9ELNS1_3repE0EEENS1_36merge_oddeven_config_static_selectorELNS0_4arch9wavefront6targetE1EEEvSH_.num_vgpr, 0
	.set _ZN7rocprim17ROCPRIM_400000_NS6detail17trampoline_kernelINS0_14default_configENS1_38merge_sort_block_merge_config_selectorIilEEZZNS1_27merge_sort_block_merge_implIS3_PiN6thrust23THRUST_200600_302600_NS10device_ptrIlEEjNS1_19radix_merge_compareILb0ELb0EiNS0_19identity_decomposerEEEEE10hipError_tT0_T1_T2_jT3_P12ihipStream_tbPNSt15iterator_traitsISG_E10value_typeEPNSM_ISH_E10value_typeEPSI_NS1_7vsmem_tEENKUlT_SG_SH_SI_E_clIS7_S7_PlSB_EESF_SV_SG_SH_SI_EUlSV_E1_NS1_11comp_targetILNS1_3genE5ELNS1_11target_archE942ELNS1_3gpuE9ELNS1_3repE0EEENS1_36merge_oddeven_config_static_selectorELNS0_4arch9wavefront6targetE1EEEvSH_.num_agpr, 0
	.set _ZN7rocprim17ROCPRIM_400000_NS6detail17trampoline_kernelINS0_14default_configENS1_38merge_sort_block_merge_config_selectorIilEEZZNS1_27merge_sort_block_merge_implIS3_PiN6thrust23THRUST_200600_302600_NS10device_ptrIlEEjNS1_19radix_merge_compareILb0ELb0EiNS0_19identity_decomposerEEEEE10hipError_tT0_T1_T2_jT3_P12ihipStream_tbPNSt15iterator_traitsISG_E10value_typeEPNSM_ISH_E10value_typeEPSI_NS1_7vsmem_tEENKUlT_SG_SH_SI_E_clIS7_S7_PlSB_EESF_SV_SG_SH_SI_EUlSV_E1_NS1_11comp_targetILNS1_3genE5ELNS1_11target_archE942ELNS1_3gpuE9ELNS1_3repE0EEENS1_36merge_oddeven_config_static_selectorELNS0_4arch9wavefront6targetE1EEEvSH_.numbered_sgpr, 0
	.set _ZN7rocprim17ROCPRIM_400000_NS6detail17trampoline_kernelINS0_14default_configENS1_38merge_sort_block_merge_config_selectorIilEEZZNS1_27merge_sort_block_merge_implIS3_PiN6thrust23THRUST_200600_302600_NS10device_ptrIlEEjNS1_19radix_merge_compareILb0ELb0EiNS0_19identity_decomposerEEEEE10hipError_tT0_T1_T2_jT3_P12ihipStream_tbPNSt15iterator_traitsISG_E10value_typeEPNSM_ISH_E10value_typeEPSI_NS1_7vsmem_tEENKUlT_SG_SH_SI_E_clIS7_S7_PlSB_EESF_SV_SG_SH_SI_EUlSV_E1_NS1_11comp_targetILNS1_3genE5ELNS1_11target_archE942ELNS1_3gpuE9ELNS1_3repE0EEENS1_36merge_oddeven_config_static_selectorELNS0_4arch9wavefront6targetE1EEEvSH_.num_named_barrier, 0
	.set _ZN7rocprim17ROCPRIM_400000_NS6detail17trampoline_kernelINS0_14default_configENS1_38merge_sort_block_merge_config_selectorIilEEZZNS1_27merge_sort_block_merge_implIS3_PiN6thrust23THRUST_200600_302600_NS10device_ptrIlEEjNS1_19radix_merge_compareILb0ELb0EiNS0_19identity_decomposerEEEEE10hipError_tT0_T1_T2_jT3_P12ihipStream_tbPNSt15iterator_traitsISG_E10value_typeEPNSM_ISH_E10value_typeEPSI_NS1_7vsmem_tEENKUlT_SG_SH_SI_E_clIS7_S7_PlSB_EESF_SV_SG_SH_SI_EUlSV_E1_NS1_11comp_targetILNS1_3genE5ELNS1_11target_archE942ELNS1_3gpuE9ELNS1_3repE0EEENS1_36merge_oddeven_config_static_selectorELNS0_4arch9wavefront6targetE1EEEvSH_.private_seg_size, 0
	.set _ZN7rocprim17ROCPRIM_400000_NS6detail17trampoline_kernelINS0_14default_configENS1_38merge_sort_block_merge_config_selectorIilEEZZNS1_27merge_sort_block_merge_implIS3_PiN6thrust23THRUST_200600_302600_NS10device_ptrIlEEjNS1_19radix_merge_compareILb0ELb0EiNS0_19identity_decomposerEEEEE10hipError_tT0_T1_T2_jT3_P12ihipStream_tbPNSt15iterator_traitsISG_E10value_typeEPNSM_ISH_E10value_typeEPSI_NS1_7vsmem_tEENKUlT_SG_SH_SI_E_clIS7_S7_PlSB_EESF_SV_SG_SH_SI_EUlSV_E1_NS1_11comp_targetILNS1_3genE5ELNS1_11target_archE942ELNS1_3gpuE9ELNS1_3repE0EEENS1_36merge_oddeven_config_static_selectorELNS0_4arch9wavefront6targetE1EEEvSH_.uses_vcc, 0
	.set _ZN7rocprim17ROCPRIM_400000_NS6detail17trampoline_kernelINS0_14default_configENS1_38merge_sort_block_merge_config_selectorIilEEZZNS1_27merge_sort_block_merge_implIS3_PiN6thrust23THRUST_200600_302600_NS10device_ptrIlEEjNS1_19radix_merge_compareILb0ELb0EiNS0_19identity_decomposerEEEEE10hipError_tT0_T1_T2_jT3_P12ihipStream_tbPNSt15iterator_traitsISG_E10value_typeEPNSM_ISH_E10value_typeEPSI_NS1_7vsmem_tEENKUlT_SG_SH_SI_E_clIS7_S7_PlSB_EESF_SV_SG_SH_SI_EUlSV_E1_NS1_11comp_targetILNS1_3genE5ELNS1_11target_archE942ELNS1_3gpuE9ELNS1_3repE0EEENS1_36merge_oddeven_config_static_selectorELNS0_4arch9wavefront6targetE1EEEvSH_.uses_flat_scratch, 0
	.set _ZN7rocprim17ROCPRIM_400000_NS6detail17trampoline_kernelINS0_14default_configENS1_38merge_sort_block_merge_config_selectorIilEEZZNS1_27merge_sort_block_merge_implIS3_PiN6thrust23THRUST_200600_302600_NS10device_ptrIlEEjNS1_19radix_merge_compareILb0ELb0EiNS0_19identity_decomposerEEEEE10hipError_tT0_T1_T2_jT3_P12ihipStream_tbPNSt15iterator_traitsISG_E10value_typeEPNSM_ISH_E10value_typeEPSI_NS1_7vsmem_tEENKUlT_SG_SH_SI_E_clIS7_S7_PlSB_EESF_SV_SG_SH_SI_EUlSV_E1_NS1_11comp_targetILNS1_3genE5ELNS1_11target_archE942ELNS1_3gpuE9ELNS1_3repE0EEENS1_36merge_oddeven_config_static_selectorELNS0_4arch9wavefront6targetE1EEEvSH_.has_dyn_sized_stack, 0
	.set _ZN7rocprim17ROCPRIM_400000_NS6detail17trampoline_kernelINS0_14default_configENS1_38merge_sort_block_merge_config_selectorIilEEZZNS1_27merge_sort_block_merge_implIS3_PiN6thrust23THRUST_200600_302600_NS10device_ptrIlEEjNS1_19radix_merge_compareILb0ELb0EiNS0_19identity_decomposerEEEEE10hipError_tT0_T1_T2_jT3_P12ihipStream_tbPNSt15iterator_traitsISG_E10value_typeEPNSM_ISH_E10value_typeEPSI_NS1_7vsmem_tEENKUlT_SG_SH_SI_E_clIS7_S7_PlSB_EESF_SV_SG_SH_SI_EUlSV_E1_NS1_11comp_targetILNS1_3genE5ELNS1_11target_archE942ELNS1_3gpuE9ELNS1_3repE0EEENS1_36merge_oddeven_config_static_selectorELNS0_4arch9wavefront6targetE1EEEvSH_.has_recursion, 0
	.set _ZN7rocprim17ROCPRIM_400000_NS6detail17trampoline_kernelINS0_14default_configENS1_38merge_sort_block_merge_config_selectorIilEEZZNS1_27merge_sort_block_merge_implIS3_PiN6thrust23THRUST_200600_302600_NS10device_ptrIlEEjNS1_19radix_merge_compareILb0ELb0EiNS0_19identity_decomposerEEEEE10hipError_tT0_T1_T2_jT3_P12ihipStream_tbPNSt15iterator_traitsISG_E10value_typeEPNSM_ISH_E10value_typeEPSI_NS1_7vsmem_tEENKUlT_SG_SH_SI_E_clIS7_S7_PlSB_EESF_SV_SG_SH_SI_EUlSV_E1_NS1_11comp_targetILNS1_3genE5ELNS1_11target_archE942ELNS1_3gpuE9ELNS1_3repE0EEENS1_36merge_oddeven_config_static_selectorELNS0_4arch9wavefront6targetE1EEEvSH_.has_indirect_call, 0
	.section	.AMDGPU.csdata,"",@progbits
; Kernel info:
; codeLenInByte = 0
; TotalNumSgprs: 4
; NumVgprs: 0
; ScratchSize: 0
; MemoryBound: 0
; FloatMode: 240
; IeeeMode: 1
; LDSByteSize: 0 bytes/workgroup (compile time only)
; SGPRBlocks: 0
; VGPRBlocks: 0
; NumSGPRsForWavesPerEU: 4
; NumVGPRsForWavesPerEU: 1
; Occupancy: 10
; WaveLimiterHint : 0
; COMPUTE_PGM_RSRC2:SCRATCH_EN: 0
; COMPUTE_PGM_RSRC2:USER_SGPR: 6
; COMPUTE_PGM_RSRC2:TRAP_HANDLER: 0
; COMPUTE_PGM_RSRC2:TGID_X_EN: 1
; COMPUTE_PGM_RSRC2:TGID_Y_EN: 0
; COMPUTE_PGM_RSRC2:TGID_Z_EN: 0
; COMPUTE_PGM_RSRC2:TIDIG_COMP_CNT: 0
	.section	.text._ZN7rocprim17ROCPRIM_400000_NS6detail17trampoline_kernelINS0_14default_configENS1_38merge_sort_block_merge_config_selectorIilEEZZNS1_27merge_sort_block_merge_implIS3_PiN6thrust23THRUST_200600_302600_NS10device_ptrIlEEjNS1_19radix_merge_compareILb0ELb0EiNS0_19identity_decomposerEEEEE10hipError_tT0_T1_T2_jT3_P12ihipStream_tbPNSt15iterator_traitsISG_E10value_typeEPNSM_ISH_E10value_typeEPSI_NS1_7vsmem_tEENKUlT_SG_SH_SI_E_clIS7_S7_PlSB_EESF_SV_SG_SH_SI_EUlSV_E1_NS1_11comp_targetILNS1_3genE4ELNS1_11target_archE910ELNS1_3gpuE8ELNS1_3repE0EEENS1_36merge_oddeven_config_static_selectorELNS0_4arch9wavefront6targetE1EEEvSH_,"axG",@progbits,_ZN7rocprim17ROCPRIM_400000_NS6detail17trampoline_kernelINS0_14default_configENS1_38merge_sort_block_merge_config_selectorIilEEZZNS1_27merge_sort_block_merge_implIS3_PiN6thrust23THRUST_200600_302600_NS10device_ptrIlEEjNS1_19radix_merge_compareILb0ELb0EiNS0_19identity_decomposerEEEEE10hipError_tT0_T1_T2_jT3_P12ihipStream_tbPNSt15iterator_traitsISG_E10value_typeEPNSM_ISH_E10value_typeEPSI_NS1_7vsmem_tEENKUlT_SG_SH_SI_E_clIS7_S7_PlSB_EESF_SV_SG_SH_SI_EUlSV_E1_NS1_11comp_targetILNS1_3genE4ELNS1_11target_archE910ELNS1_3gpuE8ELNS1_3repE0EEENS1_36merge_oddeven_config_static_selectorELNS0_4arch9wavefront6targetE1EEEvSH_,comdat
	.protected	_ZN7rocprim17ROCPRIM_400000_NS6detail17trampoline_kernelINS0_14default_configENS1_38merge_sort_block_merge_config_selectorIilEEZZNS1_27merge_sort_block_merge_implIS3_PiN6thrust23THRUST_200600_302600_NS10device_ptrIlEEjNS1_19radix_merge_compareILb0ELb0EiNS0_19identity_decomposerEEEEE10hipError_tT0_T1_T2_jT3_P12ihipStream_tbPNSt15iterator_traitsISG_E10value_typeEPNSM_ISH_E10value_typeEPSI_NS1_7vsmem_tEENKUlT_SG_SH_SI_E_clIS7_S7_PlSB_EESF_SV_SG_SH_SI_EUlSV_E1_NS1_11comp_targetILNS1_3genE4ELNS1_11target_archE910ELNS1_3gpuE8ELNS1_3repE0EEENS1_36merge_oddeven_config_static_selectorELNS0_4arch9wavefront6targetE1EEEvSH_ ; -- Begin function _ZN7rocprim17ROCPRIM_400000_NS6detail17trampoline_kernelINS0_14default_configENS1_38merge_sort_block_merge_config_selectorIilEEZZNS1_27merge_sort_block_merge_implIS3_PiN6thrust23THRUST_200600_302600_NS10device_ptrIlEEjNS1_19radix_merge_compareILb0ELb0EiNS0_19identity_decomposerEEEEE10hipError_tT0_T1_T2_jT3_P12ihipStream_tbPNSt15iterator_traitsISG_E10value_typeEPNSM_ISH_E10value_typeEPSI_NS1_7vsmem_tEENKUlT_SG_SH_SI_E_clIS7_S7_PlSB_EESF_SV_SG_SH_SI_EUlSV_E1_NS1_11comp_targetILNS1_3genE4ELNS1_11target_archE910ELNS1_3gpuE8ELNS1_3repE0EEENS1_36merge_oddeven_config_static_selectorELNS0_4arch9wavefront6targetE1EEEvSH_
	.globl	_ZN7rocprim17ROCPRIM_400000_NS6detail17trampoline_kernelINS0_14default_configENS1_38merge_sort_block_merge_config_selectorIilEEZZNS1_27merge_sort_block_merge_implIS3_PiN6thrust23THRUST_200600_302600_NS10device_ptrIlEEjNS1_19radix_merge_compareILb0ELb0EiNS0_19identity_decomposerEEEEE10hipError_tT0_T1_T2_jT3_P12ihipStream_tbPNSt15iterator_traitsISG_E10value_typeEPNSM_ISH_E10value_typeEPSI_NS1_7vsmem_tEENKUlT_SG_SH_SI_E_clIS7_S7_PlSB_EESF_SV_SG_SH_SI_EUlSV_E1_NS1_11comp_targetILNS1_3genE4ELNS1_11target_archE910ELNS1_3gpuE8ELNS1_3repE0EEENS1_36merge_oddeven_config_static_selectorELNS0_4arch9wavefront6targetE1EEEvSH_
	.p2align	8
	.type	_ZN7rocprim17ROCPRIM_400000_NS6detail17trampoline_kernelINS0_14default_configENS1_38merge_sort_block_merge_config_selectorIilEEZZNS1_27merge_sort_block_merge_implIS3_PiN6thrust23THRUST_200600_302600_NS10device_ptrIlEEjNS1_19radix_merge_compareILb0ELb0EiNS0_19identity_decomposerEEEEE10hipError_tT0_T1_T2_jT3_P12ihipStream_tbPNSt15iterator_traitsISG_E10value_typeEPNSM_ISH_E10value_typeEPSI_NS1_7vsmem_tEENKUlT_SG_SH_SI_E_clIS7_S7_PlSB_EESF_SV_SG_SH_SI_EUlSV_E1_NS1_11comp_targetILNS1_3genE4ELNS1_11target_archE910ELNS1_3gpuE8ELNS1_3repE0EEENS1_36merge_oddeven_config_static_selectorELNS0_4arch9wavefront6targetE1EEEvSH_,@function
_ZN7rocprim17ROCPRIM_400000_NS6detail17trampoline_kernelINS0_14default_configENS1_38merge_sort_block_merge_config_selectorIilEEZZNS1_27merge_sort_block_merge_implIS3_PiN6thrust23THRUST_200600_302600_NS10device_ptrIlEEjNS1_19radix_merge_compareILb0ELb0EiNS0_19identity_decomposerEEEEE10hipError_tT0_T1_T2_jT3_P12ihipStream_tbPNSt15iterator_traitsISG_E10value_typeEPNSM_ISH_E10value_typeEPSI_NS1_7vsmem_tEENKUlT_SG_SH_SI_E_clIS7_S7_PlSB_EESF_SV_SG_SH_SI_EUlSV_E1_NS1_11comp_targetILNS1_3genE4ELNS1_11target_archE910ELNS1_3gpuE8ELNS1_3repE0EEENS1_36merge_oddeven_config_static_selectorELNS0_4arch9wavefront6targetE1EEEvSH_: ; @_ZN7rocprim17ROCPRIM_400000_NS6detail17trampoline_kernelINS0_14default_configENS1_38merge_sort_block_merge_config_selectorIilEEZZNS1_27merge_sort_block_merge_implIS3_PiN6thrust23THRUST_200600_302600_NS10device_ptrIlEEjNS1_19radix_merge_compareILb0ELb0EiNS0_19identity_decomposerEEEEE10hipError_tT0_T1_T2_jT3_P12ihipStream_tbPNSt15iterator_traitsISG_E10value_typeEPNSM_ISH_E10value_typeEPSI_NS1_7vsmem_tEENKUlT_SG_SH_SI_E_clIS7_S7_PlSB_EESF_SV_SG_SH_SI_EUlSV_E1_NS1_11comp_targetILNS1_3genE4ELNS1_11target_archE910ELNS1_3gpuE8ELNS1_3repE0EEENS1_36merge_oddeven_config_static_selectorELNS0_4arch9wavefront6targetE1EEEvSH_
; %bb.0:
	.section	.rodata,"a",@progbits
	.p2align	6, 0x0
	.amdhsa_kernel _ZN7rocprim17ROCPRIM_400000_NS6detail17trampoline_kernelINS0_14default_configENS1_38merge_sort_block_merge_config_selectorIilEEZZNS1_27merge_sort_block_merge_implIS3_PiN6thrust23THRUST_200600_302600_NS10device_ptrIlEEjNS1_19radix_merge_compareILb0ELb0EiNS0_19identity_decomposerEEEEE10hipError_tT0_T1_T2_jT3_P12ihipStream_tbPNSt15iterator_traitsISG_E10value_typeEPNSM_ISH_E10value_typeEPSI_NS1_7vsmem_tEENKUlT_SG_SH_SI_E_clIS7_S7_PlSB_EESF_SV_SG_SH_SI_EUlSV_E1_NS1_11comp_targetILNS1_3genE4ELNS1_11target_archE910ELNS1_3gpuE8ELNS1_3repE0EEENS1_36merge_oddeven_config_static_selectorELNS0_4arch9wavefront6targetE1EEEvSH_
		.amdhsa_group_segment_fixed_size 0
		.amdhsa_private_segment_fixed_size 0
		.amdhsa_kernarg_size 48
		.amdhsa_user_sgpr_count 6
		.amdhsa_user_sgpr_private_segment_buffer 1
		.amdhsa_user_sgpr_dispatch_ptr 0
		.amdhsa_user_sgpr_queue_ptr 0
		.amdhsa_user_sgpr_kernarg_segment_ptr 1
		.amdhsa_user_sgpr_dispatch_id 0
		.amdhsa_user_sgpr_flat_scratch_init 0
		.amdhsa_user_sgpr_private_segment_size 0
		.amdhsa_uses_dynamic_stack 0
		.amdhsa_system_sgpr_private_segment_wavefront_offset 0
		.amdhsa_system_sgpr_workgroup_id_x 1
		.amdhsa_system_sgpr_workgroup_id_y 0
		.amdhsa_system_sgpr_workgroup_id_z 0
		.amdhsa_system_sgpr_workgroup_info 0
		.amdhsa_system_vgpr_workitem_id 0
		.amdhsa_next_free_vgpr 1
		.amdhsa_next_free_sgpr 0
		.amdhsa_reserve_vcc 0
		.amdhsa_reserve_flat_scratch 0
		.amdhsa_float_round_mode_32 0
		.amdhsa_float_round_mode_16_64 0
		.amdhsa_float_denorm_mode_32 3
		.amdhsa_float_denorm_mode_16_64 3
		.amdhsa_dx10_clamp 1
		.amdhsa_ieee_mode 1
		.amdhsa_fp16_overflow 0
		.amdhsa_exception_fp_ieee_invalid_op 0
		.amdhsa_exception_fp_denorm_src 0
		.amdhsa_exception_fp_ieee_div_zero 0
		.amdhsa_exception_fp_ieee_overflow 0
		.amdhsa_exception_fp_ieee_underflow 0
		.amdhsa_exception_fp_ieee_inexact 0
		.amdhsa_exception_int_div_zero 0
	.end_amdhsa_kernel
	.section	.text._ZN7rocprim17ROCPRIM_400000_NS6detail17trampoline_kernelINS0_14default_configENS1_38merge_sort_block_merge_config_selectorIilEEZZNS1_27merge_sort_block_merge_implIS3_PiN6thrust23THRUST_200600_302600_NS10device_ptrIlEEjNS1_19radix_merge_compareILb0ELb0EiNS0_19identity_decomposerEEEEE10hipError_tT0_T1_T2_jT3_P12ihipStream_tbPNSt15iterator_traitsISG_E10value_typeEPNSM_ISH_E10value_typeEPSI_NS1_7vsmem_tEENKUlT_SG_SH_SI_E_clIS7_S7_PlSB_EESF_SV_SG_SH_SI_EUlSV_E1_NS1_11comp_targetILNS1_3genE4ELNS1_11target_archE910ELNS1_3gpuE8ELNS1_3repE0EEENS1_36merge_oddeven_config_static_selectorELNS0_4arch9wavefront6targetE1EEEvSH_,"axG",@progbits,_ZN7rocprim17ROCPRIM_400000_NS6detail17trampoline_kernelINS0_14default_configENS1_38merge_sort_block_merge_config_selectorIilEEZZNS1_27merge_sort_block_merge_implIS3_PiN6thrust23THRUST_200600_302600_NS10device_ptrIlEEjNS1_19radix_merge_compareILb0ELb0EiNS0_19identity_decomposerEEEEE10hipError_tT0_T1_T2_jT3_P12ihipStream_tbPNSt15iterator_traitsISG_E10value_typeEPNSM_ISH_E10value_typeEPSI_NS1_7vsmem_tEENKUlT_SG_SH_SI_E_clIS7_S7_PlSB_EESF_SV_SG_SH_SI_EUlSV_E1_NS1_11comp_targetILNS1_3genE4ELNS1_11target_archE910ELNS1_3gpuE8ELNS1_3repE0EEENS1_36merge_oddeven_config_static_selectorELNS0_4arch9wavefront6targetE1EEEvSH_,comdat
.Lfunc_end763:
	.size	_ZN7rocprim17ROCPRIM_400000_NS6detail17trampoline_kernelINS0_14default_configENS1_38merge_sort_block_merge_config_selectorIilEEZZNS1_27merge_sort_block_merge_implIS3_PiN6thrust23THRUST_200600_302600_NS10device_ptrIlEEjNS1_19radix_merge_compareILb0ELb0EiNS0_19identity_decomposerEEEEE10hipError_tT0_T1_T2_jT3_P12ihipStream_tbPNSt15iterator_traitsISG_E10value_typeEPNSM_ISH_E10value_typeEPSI_NS1_7vsmem_tEENKUlT_SG_SH_SI_E_clIS7_S7_PlSB_EESF_SV_SG_SH_SI_EUlSV_E1_NS1_11comp_targetILNS1_3genE4ELNS1_11target_archE910ELNS1_3gpuE8ELNS1_3repE0EEENS1_36merge_oddeven_config_static_selectorELNS0_4arch9wavefront6targetE1EEEvSH_, .Lfunc_end763-_ZN7rocprim17ROCPRIM_400000_NS6detail17trampoline_kernelINS0_14default_configENS1_38merge_sort_block_merge_config_selectorIilEEZZNS1_27merge_sort_block_merge_implIS3_PiN6thrust23THRUST_200600_302600_NS10device_ptrIlEEjNS1_19radix_merge_compareILb0ELb0EiNS0_19identity_decomposerEEEEE10hipError_tT0_T1_T2_jT3_P12ihipStream_tbPNSt15iterator_traitsISG_E10value_typeEPNSM_ISH_E10value_typeEPSI_NS1_7vsmem_tEENKUlT_SG_SH_SI_E_clIS7_S7_PlSB_EESF_SV_SG_SH_SI_EUlSV_E1_NS1_11comp_targetILNS1_3genE4ELNS1_11target_archE910ELNS1_3gpuE8ELNS1_3repE0EEENS1_36merge_oddeven_config_static_selectorELNS0_4arch9wavefront6targetE1EEEvSH_
                                        ; -- End function
	.set _ZN7rocprim17ROCPRIM_400000_NS6detail17trampoline_kernelINS0_14default_configENS1_38merge_sort_block_merge_config_selectorIilEEZZNS1_27merge_sort_block_merge_implIS3_PiN6thrust23THRUST_200600_302600_NS10device_ptrIlEEjNS1_19radix_merge_compareILb0ELb0EiNS0_19identity_decomposerEEEEE10hipError_tT0_T1_T2_jT3_P12ihipStream_tbPNSt15iterator_traitsISG_E10value_typeEPNSM_ISH_E10value_typeEPSI_NS1_7vsmem_tEENKUlT_SG_SH_SI_E_clIS7_S7_PlSB_EESF_SV_SG_SH_SI_EUlSV_E1_NS1_11comp_targetILNS1_3genE4ELNS1_11target_archE910ELNS1_3gpuE8ELNS1_3repE0EEENS1_36merge_oddeven_config_static_selectorELNS0_4arch9wavefront6targetE1EEEvSH_.num_vgpr, 0
	.set _ZN7rocprim17ROCPRIM_400000_NS6detail17trampoline_kernelINS0_14default_configENS1_38merge_sort_block_merge_config_selectorIilEEZZNS1_27merge_sort_block_merge_implIS3_PiN6thrust23THRUST_200600_302600_NS10device_ptrIlEEjNS1_19radix_merge_compareILb0ELb0EiNS0_19identity_decomposerEEEEE10hipError_tT0_T1_T2_jT3_P12ihipStream_tbPNSt15iterator_traitsISG_E10value_typeEPNSM_ISH_E10value_typeEPSI_NS1_7vsmem_tEENKUlT_SG_SH_SI_E_clIS7_S7_PlSB_EESF_SV_SG_SH_SI_EUlSV_E1_NS1_11comp_targetILNS1_3genE4ELNS1_11target_archE910ELNS1_3gpuE8ELNS1_3repE0EEENS1_36merge_oddeven_config_static_selectorELNS0_4arch9wavefront6targetE1EEEvSH_.num_agpr, 0
	.set _ZN7rocprim17ROCPRIM_400000_NS6detail17trampoline_kernelINS0_14default_configENS1_38merge_sort_block_merge_config_selectorIilEEZZNS1_27merge_sort_block_merge_implIS3_PiN6thrust23THRUST_200600_302600_NS10device_ptrIlEEjNS1_19radix_merge_compareILb0ELb0EiNS0_19identity_decomposerEEEEE10hipError_tT0_T1_T2_jT3_P12ihipStream_tbPNSt15iterator_traitsISG_E10value_typeEPNSM_ISH_E10value_typeEPSI_NS1_7vsmem_tEENKUlT_SG_SH_SI_E_clIS7_S7_PlSB_EESF_SV_SG_SH_SI_EUlSV_E1_NS1_11comp_targetILNS1_3genE4ELNS1_11target_archE910ELNS1_3gpuE8ELNS1_3repE0EEENS1_36merge_oddeven_config_static_selectorELNS0_4arch9wavefront6targetE1EEEvSH_.numbered_sgpr, 0
	.set _ZN7rocprim17ROCPRIM_400000_NS6detail17trampoline_kernelINS0_14default_configENS1_38merge_sort_block_merge_config_selectorIilEEZZNS1_27merge_sort_block_merge_implIS3_PiN6thrust23THRUST_200600_302600_NS10device_ptrIlEEjNS1_19radix_merge_compareILb0ELb0EiNS0_19identity_decomposerEEEEE10hipError_tT0_T1_T2_jT3_P12ihipStream_tbPNSt15iterator_traitsISG_E10value_typeEPNSM_ISH_E10value_typeEPSI_NS1_7vsmem_tEENKUlT_SG_SH_SI_E_clIS7_S7_PlSB_EESF_SV_SG_SH_SI_EUlSV_E1_NS1_11comp_targetILNS1_3genE4ELNS1_11target_archE910ELNS1_3gpuE8ELNS1_3repE0EEENS1_36merge_oddeven_config_static_selectorELNS0_4arch9wavefront6targetE1EEEvSH_.num_named_barrier, 0
	.set _ZN7rocprim17ROCPRIM_400000_NS6detail17trampoline_kernelINS0_14default_configENS1_38merge_sort_block_merge_config_selectorIilEEZZNS1_27merge_sort_block_merge_implIS3_PiN6thrust23THRUST_200600_302600_NS10device_ptrIlEEjNS1_19radix_merge_compareILb0ELb0EiNS0_19identity_decomposerEEEEE10hipError_tT0_T1_T2_jT3_P12ihipStream_tbPNSt15iterator_traitsISG_E10value_typeEPNSM_ISH_E10value_typeEPSI_NS1_7vsmem_tEENKUlT_SG_SH_SI_E_clIS7_S7_PlSB_EESF_SV_SG_SH_SI_EUlSV_E1_NS1_11comp_targetILNS1_3genE4ELNS1_11target_archE910ELNS1_3gpuE8ELNS1_3repE0EEENS1_36merge_oddeven_config_static_selectorELNS0_4arch9wavefront6targetE1EEEvSH_.private_seg_size, 0
	.set _ZN7rocprim17ROCPRIM_400000_NS6detail17trampoline_kernelINS0_14default_configENS1_38merge_sort_block_merge_config_selectorIilEEZZNS1_27merge_sort_block_merge_implIS3_PiN6thrust23THRUST_200600_302600_NS10device_ptrIlEEjNS1_19radix_merge_compareILb0ELb0EiNS0_19identity_decomposerEEEEE10hipError_tT0_T1_T2_jT3_P12ihipStream_tbPNSt15iterator_traitsISG_E10value_typeEPNSM_ISH_E10value_typeEPSI_NS1_7vsmem_tEENKUlT_SG_SH_SI_E_clIS7_S7_PlSB_EESF_SV_SG_SH_SI_EUlSV_E1_NS1_11comp_targetILNS1_3genE4ELNS1_11target_archE910ELNS1_3gpuE8ELNS1_3repE0EEENS1_36merge_oddeven_config_static_selectorELNS0_4arch9wavefront6targetE1EEEvSH_.uses_vcc, 0
	.set _ZN7rocprim17ROCPRIM_400000_NS6detail17trampoline_kernelINS0_14default_configENS1_38merge_sort_block_merge_config_selectorIilEEZZNS1_27merge_sort_block_merge_implIS3_PiN6thrust23THRUST_200600_302600_NS10device_ptrIlEEjNS1_19radix_merge_compareILb0ELb0EiNS0_19identity_decomposerEEEEE10hipError_tT0_T1_T2_jT3_P12ihipStream_tbPNSt15iterator_traitsISG_E10value_typeEPNSM_ISH_E10value_typeEPSI_NS1_7vsmem_tEENKUlT_SG_SH_SI_E_clIS7_S7_PlSB_EESF_SV_SG_SH_SI_EUlSV_E1_NS1_11comp_targetILNS1_3genE4ELNS1_11target_archE910ELNS1_3gpuE8ELNS1_3repE0EEENS1_36merge_oddeven_config_static_selectorELNS0_4arch9wavefront6targetE1EEEvSH_.uses_flat_scratch, 0
	.set _ZN7rocprim17ROCPRIM_400000_NS6detail17trampoline_kernelINS0_14default_configENS1_38merge_sort_block_merge_config_selectorIilEEZZNS1_27merge_sort_block_merge_implIS3_PiN6thrust23THRUST_200600_302600_NS10device_ptrIlEEjNS1_19radix_merge_compareILb0ELb0EiNS0_19identity_decomposerEEEEE10hipError_tT0_T1_T2_jT3_P12ihipStream_tbPNSt15iterator_traitsISG_E10value_typeEPNSM_ISH_E10value_typeEPSI_NS1_7vsmem_tEENKUlT_SG_SH_SI_E_clIS7_S7_PlSB_EESF_SV_SG_SH_SI_EUlSV_E1_NS1_11comp_targetILNS1_3genE4ELNS1_11target_archE910ELNS1_3gpuE8ELNS1_3repE0EEENS1_36merge_oddeven_config_static_selectorELNS0_4arch9wavefront6targetE1EEEvSH_.has_dyn_sized_stack, 0
	.set _ZN7rocprim17ROCPRIM_400000_NS6detail17trampoline_kernelINS0_14default_configENS1_38merge_sort_block_merge_config_selectorIilEEZZNS1_27merge_sort_block_merge_implIS3_PiN6thrust23THRUST_200600_302600_NS10device_ptrIlEEjNS1_19radix_merge_compareILb0ELb0EiNS0_19identity_decomposerEEEEE10hipError_tT0_T1_T2_jT3_P12ihipStream_tbPNSt15iterator_traitsISG_E10value_typeEPNSM_ISH_E10value_typeEPSI_NS1_7vsmem_tEENKUlT_SG_SH_SI_E_clIS7_S7_PlSB_EESF_SV_SG_SH_SI_EUlSV_E1_NS1_11comp_targetILNS1_3genE4ELNS1_11target_archE910ELNS1_3gpuE8ELNS1_3repE0EEENS1_36merge_oddeven_config_static_selectorELNS0_4arch9wavefront6targetE1EEEvSH_.has_recursion, 0
	.set _ZN7rocprim17ROCPRIM_400000_NS6detail17trampoline_kernelINS0_14default_configENS1_38merge_sort_block_merge_config_selectorIilEEZZNS1_27merge_sort_block_merge_implIS3_PiN6thrust23THRUST_200600_302600_NS10device_ptrIlEEjNS1_19radix_merge_compareILb0ELb0EiNS0_19identity_decomposerEEEEE10hipError_tT0_T1_T2_jT3_P12ihipStream_tbPNSt15iterator_traitsISG_E10value_typeEPNSM_ISH_E10value_typeEPSI_NS1_7vsmem_tEENKUlT_SG_SH_SI_E_clIS7_S7_PlSB_EESF_SV_SG_SH_SI_EUlSV_E1_NS1_11comp_targetILNS1_3genE4ELNS1_11target_archE910ELNS1_3gpuE8ELNS1_3repE0EEENS1_36merge_oddeven_config_static_selectorELNS0_4arch9wavefront6targetE1EEEvSH_.has_indirect_call, 0
	.section	.AMDGPU.csdata,"",@progbits
; Kernel info:
; codeLenInByte = 0
; TotalNumSgprs: 4
; NumVgprs: 0
; ScratchSize: 0
; MemoryBound: 0
; FloatMode: 240
; IeeeMode: 1
; LDSByteSize: 0 bytes/workgroup (compile time only)
; SGPRBlocks: 0
; VGPRBlocks: 0
; NumSGPRsForWavesPerEU: 4
; NumVGPRsForWavesPerEU: 1
; Occupancy: 10
; WaveLimiterHint : 0
; COMPUTE_PGM_RSRC2:SCRATCH_EN: 0
; COMPUTE_PGM_RSRC2:USER_SGPR: 6
; COMPUTE_PGM_RSRC2:TRAP_HANDLER: 0
; COMPUTE_PGM_RSRC2:TGID_X_EN: 1
; COMPUTE_PGM_RSRC2:TGID_Y_EN: 0
; COMPUTE_PGM_RSRC2:TGID_Z_EN: 0
; COMPUTE_PGM_RSRC2:TIDIG_COMP_CNT: 0
	.section	.text._ZN7rocprim17ROCPRIM_400000_NS6detail17trampoline_kernelINS0_14default_configENS1_38merge_sort_block_merge_config_selectorIilEEZZNS1_27merge_sort_block_merge_implIS3_PiN6thrust23THRUST_200600_302600_NS10device_ptrIlEEjNS1_19radix_merge_compareILb0ELb0EiNS0_19identity_decomposerEEEEE10hipError_tT0_T1_T2_jT3_P12ihipStream_tbPNSt15iterator_traitsISG_E10value_typeEPNSM_ISH_E10value_typeEPSI_NS1_7vsmem_tEENKUlT_SG_SH_SI_E_clIS7_S7_PlSB_EESF_SV_SG_SH_SI_EUlSV_E1_NS1_11comp_targetILNS1_3genE3ELNS1_11target_archE908ELNS1_3gpuE7ELNS1_3repE0EEENS1_36merge_oddeven_config_static_selectorELNS0_4arch9wavefront6targetE1EEEvSH_,"axG",@progbits,_ZN7rocprim17ROCPRIM_400000_NS6detail17trampoline_kernelINS0_14default_configENS1_38merge_sort_block_merge_config_selectorIilEEZZNS1_27merge_sort_block_merge_implIS3_PiN6thrust23THRUST_200600_302600_NS10device_ptrIlEEjNS1_19radix_merge_compareILb0ELb0EiNS0_19identity_decomposerEEEEE10hipError_tT0_T1_T2_jT3_P12ihipStream_tbPNSt15iterator_traitsISG_E10value_typeEPNSM_ISH_E10value_typeEPSI_NS1_7vsmem_tEENKUlT_SG_SH_SI_E_clIS7_S7_PlSB_EESF_SV_SG_SH_SI_EUlSV_E1_NS1_11comp_targetILNS1_3genE3ELNS1_11target_archE908ELNS1_3gpuE7ELNS1_3repE0EEENS1_36merge_oddeven_config_static_selectorELNS0_4arch9wavefront6targetE1EEEvSH_,comdat
	.protected	_ZN7rocprim17ROCPRIM_400000_NS6detail17trampoline_kernelINS0_14default_configENS1_38merge_sort_block_merge_config_selectorIilEEZZNS1_27merge_sort_block_merge_implIS3_PiN6thrust23THRUST_200600_302600_NS10device_ptrIlEEjNS1_19radix_merge_compareILb0ELb0EiNS0_19identity_decomposerEEEEE10hipError_tT0_T1_T2_jT3_P12ihipStream_tbPNSt15iterator_traitsISG_E10value_typeEPNSM_ISH_E10value_typeEPSI_NS1_7vsmem_tEENKUlT_SG_SH_SI_E_clIS7_S7_PlSB_EESF_SV_SG_SH_SI_EUlSV_E1_NS1_11comp_targetILNS1_3genE3ELNS1_11target_archE908ELNS1_3gpuE7ELNS1_3repE0EEENS1_36merge_oddeven_config_static_selectorELNS0_4arch9wavefront6targetE1EEEvSH_ ; -- Begin function _ZN7rocprim17ROCPRIM_400000_NS6detail17trampoline_kernelINS0_14default_configENS1_38merge_sort_block_merge_config_selectorIilEEZZNS1_27merge_sort_block_merge_implIS3_PiN6thrust23THRUST_200600_302600_NS10device_ptrIlEEjNS1_19radix_merge_compareILb0ELb0EiNS0_19identity_decomposerEEEEE10hipError_tT0_T1_T2_jT3_P12ihipStream_tbPNSt15iterator_traitsISG_E10value_typeEPNSM_ISH_E10value_typeEPSI_NS1_7vsmem_tEENKUlT_SG_SH_SI_E_clIS7_S7_PlSB_EESF_SV_SG_SH_SI_EUlSV_E1_NS1_11comp_targetILNS1_3genE3ELNS1_11target_archE908ELNS1_3gpuE7ELNS1_3repE0EEENS1_36merge_oddeven_config_static_selectorELNS0_4arch9wavefront6targetE1EEEvSH_
	.globl	_ZN7rocprim17ROCPRIM_400000_NS6detail17trampoline_kernelINS0_14default_configENS1_38merge_sort_block_merge_config_selectorIilEEZZNS1_27merge_sort_block_merge_implIS3_PiN6thrust23THRUST_200600_302600_NS10device_ptrIlEEjNS1_19radix_merge_compareILb0ELb0EiNS0_19identity_decomposerEEEEE10hipError_tT0_T1_T2_jT3_P12ihipStream_tbPNSt15iterator_traitsISG_E10value_typeEPNSM_ISH_E10value_typeEPSI_NS1_7vsmem_tEENKUlT_SG_SH_SI_E_clIS7_S7_PlSB_EESF_SV_SG_SH_SI_EUlSV_E1_NS1_11comp_targetILNS1_3genE3ELNS1_11target_archE908ELNS1_3gpuE7ELNS1_3repE0EEENS1_36merge_oddeven_config_static_selectorELNS0_4arch9wavefront6targetE1EEEvSH_
	.p2align	8
	.type	_ZN7rocprim17ROCPRIM_400000_NS6detail17trampoline_kernelINS0_14default_configENS1_38merge_sort_block_merge_config_selectorIilEEZZNS1_27merge_sort_block_merge_implIS3_PiN6thrust23THRUST_200600_302600_NS10device_ptrIlEEjNS1_19radix_merge_compareILb0ELb0EiNS0_19identity_decomposerEEEEE10hipError_tT0_T1_T2_jT3_P12ihipStream_tbPNSt15iterator_traitsISG_E10value_typeEPNSM_ISH_E10value_typeEPSI_NS1_7vsmem_tEENKUlT_SG_SH_SI_E_clIS7_S7_PlSB_EESF_SV_SG_SH_SI_EUlSV_E1_NS1_11comp_targetILNS1_3genE3ELNS1_11target_archE908ELNS1_3gpuE7ELNS1_3repE0EEENS1_36merge_oddeven_config_static_selectorELNS0_4arch9wavefront6targetE1EEEvSH_,@function
_ZN7rocprim17ROCPRIM_400000_NS6detail17trampoline_kernelINS0_14default_configENS1_38merge_sort_block_merge_config_selectorIilEEZZNS1_27merge_sort_block_merge_implIS3_PiN6thrust23THRUST_200600_302600_NS10device_ptrIlEEjNS1_19radix_merge_compareILb0ELb0EiNS0_19identity_decomposerEEEEE10hipError_tT0_T1_T2_jT3_P12ihipStream_tbPNSt15iterator_traitsISG_E10value_typeEPNSM_ISH_E10value_typeEPSI_NS1_7vsmem_tEENKUlT_SG_SH_SI_E_clIS7_S7_PlSB_EESF_SV_SG_SH_SI_EUlSV_E1_NS1_11comp_targetILNS1_3genE3ELNS1_11target_archE908ELNS1_3gpuE7ELNS1_3repE0EEENS1_36merge_oddeven_config_static_selectorELNS0_4arch9wavefront6targetE1EEEvSH_: ; @_ZN7rocprim17ROCPRIM_400000_NS6detail17trampoline_kernelINS0_14default_configENS1_38merge_sort_block_merge_config_selectorIilEEZZNS1_27merge_sort_block_merge_implIS3_PiN6thrust23THRUST_200600_302600_NS10device_ptrIlEEjNS1_19radix_merge_compareILb0ELb0EiNS0_19identity_decomposerEEEEE10hipError_tT0_T1_T2_jT3_P12ihipStream_tbPNSt15iterator_traitsISG_E10value_typeEPNSM_ISH_E10value_typeEPSI_NS1_7vsmem_tEENKUlT_SG_SH_SI_E_clIS7_S7_PlSB_EESF_SV_SG_SH_SI_EUlSV_E1_NS1_11comp_targetILNS1_3genE3ELNS1_11target_archE908ELNS1_3gpuE7ELNS1_3repE0EEENS1_36merge_oddeven_config_static_selectorELNS0_4arch9wavefront6targetE1EEEvSH_
; %bb.0:
	.section	.rodata,"a",@progbits
	.p2align	6, 0x0
	.amdhsa_kernel _ZN7rocprim17ROCPRIM_400000_NS6detail17trampoline_kernelINS0_14default_configENS1_38merge_sort_block_merge_config_selectorIilEEZZNS1_27merge_sort_block_merge_implIS3_PiN6thrust23THRUST_200600_302600_NS10device_ptrIlEEjNS1_19radix_merge_compareILb0ELb0EiNS0_19identity_decomposerEEEEE10hipError_tT0_T1_T2_jT3_P12ihipStream_tbPNSt15iterator_traitsISG_E10value_typeEPNSM_ISH_E10value_typeEPSI_NS1_7vsmem_tEENKUlT_SG_SH_SI_E_clIS7_S7_PlSB_EESF_SV_SG_SH_SI_EUlSV_E1_NS1_11comp_targetILNS1_3genE3ELNS1_11target_archE908ELNS1_3gpuE7ELNS1_3repE0EEENS1_36merge_oddeven_config_static_selectorELNS0_4arch9wavefront6targetE1EEEvSH_
		.amdhsa_group_segment_fixed_size 0
		.amdhsa_private_segment_fixed_size 0
		.amdhsa_kernarg_size 48
		.amdhsa_user_sgpr_count 6
		.amdhsa_user_sgpr_private_segment_buffer 1
		.amdhsa_user_sgpr_dispatch_ptr 0
		.amdhsa_user_sgpr_queue_ptr 0
		.amdhsa_user_sgpr_kernarg_segment_ptr 1
		.amdhsa_user_sgpr_dispatch_id 0
		.amdhsa_user_sgpr_flat_scratch_init 0
		.amdhsa_user_sgpr_private_segment_size 0
		.amdhsa_uses_dynamic_stack 0
		.amdhsa_system_sgpr_private_segment_wavefront_offset 0
		.amdhsa_system_sgpr_workgroup_id_x 1
		.amdhsa_system_sgpr_workgroup_id_y 0
		.amdhsa_system_sgpr_workgroup_id_z 0
		.amdhsa_system_sgpr_workgroup_info 0
		.amdhsa_system_vgpr_workitem_id 0
		.amdhsa_next_free_vgpr 1
		.amdhsa_next_free_sgpr 0
		.amdhsa_reserve_vcc 0
		.amdhsa_reserve_flat_scratch 0
		.amdhsa_float_round_mode_32 0
		.amdhsa_float_round_mode_16_64 0
		.amdhsa_float_denorm_mode_32 3
		.amdhsa_float_denorm_mode_16_64 3
		.amdhsa_dx10_clamp 1
		.amdhsa_ieee_mode 1
		.amdhsa_fp16_overflow 0
		.amdhsa_exception_fp_ieee_invalid_op 0
		.amdhsa_exception_fp_denorm_src 0
		.amdhsa_exception_fp_ieee_div_zero 0
		.amdhsa_exception_fp_ieee_overflow 0
		.amdhsa_exception_fp_ieee_underflow 0
		.amdhsa_exception_fp_ieee_inexact 0
		.amdhsa_exception_int_div_zero 0
	.end_amdhsa_kernel
	.section	.text._ZN7rocprim17ROCPRIM_400000_NS6detail17trampoline_kernelINS0_14default_configENS1_38merge_sort_block_merge_config_selectorIilEEZZNS1_27merge_sort_block_merge_implIS3_PiN6thrust23THRUST_200600_302600_NS10device_ptrIlEEjNS1_19radix_merge_compareILb0ELb0EiNS0_19identity_decomposerEEEEE10hipError_tT0_T1_T2_jT3_P12ihipStream_tbPNSt15iterator_traitsISG_E10value_typeEPNSM_ISH_E10value_typeEPSI_NS1_7vsmem_tEENKUlT_SG_SH_SI_E_clIS7_S7_PlSB_EESF_SV_SG_SH_SI_EUlSV_E1_NS1_11comp_targetILNS1_3genE3ELNS1_11target_archE908ELNS1_3gpuE7ELNS1_3repE0EEENS1_36merge_oddeven_config_static_selectorELNS0_4arch9wavefront6targetE1EEEvSH_,"axG",@progbits,_ZN7rocprim17ROCPRIM_400000_NS6detail17trampoline_kernelINS0_14default_configENS1_38merge_sort_block_merge_config_selectorIilEEZZNS1_27merge_sort_block_merge_implIS3_PiN6thrust23THRUST_200600_302600_NS10device_ptrIlEEjNS1_19radix_merge_compareILb0ELb0EiNS0_19identity_decomposerEEEEE10hipError_tT0_T1_T2_jT3_P12ihipStream_tbPNSt15iterator_traitsISG_E10value_typeEPNSM_ISH_E10value_typeEPSI_NS1_7vsmem_tEENKUlT_SG_SH_SI_E_clIS7_S7_PlSB_EESF_SV_SG_SH_SI_EUlSV_E1_NS1_11comp_targetILNS1_3genE3ELNS1_11target_archE908ELNS1_3gpuE7ELNS1_3repE0EEENS1_36merge_oddeven_config_static_selectorELNS0_4arch9wavefront6targetE1EEEvSH_,comdat
.Lfunc_end764:
	.size	_ZN7rocprim17ROCPRIM_400000_NS6detail17trampoline_kernelINS0_14default_configENS1_38merge_sort_block_merge_config_selectorIilEEZZNS1_27merge_sort_block_merge_implIS3_PiN6thrust23THRUST_200600_302600_NS10device_ptrIlEEjNS1_19radix_merge_compareILb0ELb0EiNS0_19identity_decomposerEEEEE10hipError_tT0_T1_T2_jT3_P12ihipStream_tbPNSt15iterator_traitsISG_E10value_typeEPNSM_ISH_E10value_typeEPSI_NS1_7vsmem_tEENKUlT_SG_SH_SI_E_clIS7_S7_PlSB_EESF_SV_SG_SH_SI_EUlSV_E1_NS1_11comp_targetILNS1_3genE3ELNS1_11target_archE908ELNS1_3gpuE7ELNS1_3repE0EEENS1_36merge_oddeven_config_static_selectorELNS0_4arch9wavefront6targetE1EEEvSH_, .Lfunc_end764-_ZN7rocprim17ROCPRIM_400000_NS6detail17trampoline_kernelINS0_14default_configENS1_38merge_sort_block_merge_config_selectorIilEEZZNS1_27merge_sort_block_merge_implIS3_PiN6thrust23THRUST_200600_302600_NS10device_ptrIlEEjNS1_19radix_merge_compareILb0ELb0EiNS0_19identity_decomposerEEEEE10hipError_tT0_T1_T2_jT3_P12ihipStream_tbPNSt15iterator_traitsISG_E10value_typeEPNSM_ISH_E10value_typeEPSI_NS1_7vsmem_tEENKUlT_SG_SH_SI_E_clIS7_S7_PlSB_EESF_SV_SG_SH_SI_EUlSV_E1_NS1_11comp_targetILNS1_3genE3ELNS1_11target_archE908ELNS1_3gpuE7ELNS1_3repE0EEENS1_36merge_oddeven_config_static_selectorELNS0_4arch9wavefront6targetE1EEEvSH_
                                        ; -- End function
	.set _ZN7rocprim17ROCPRIM_400000_NS6detail17trampoline_kernelINS0_14default_configENS1_38merge_sort_block_merge_config_selectorIilEEZZNS1_27merge_sort_block_merge_implIS3_PiN6thrust23THRUST_200600_302600_NS10device_ptrIlEEjNS1_19radix_merge_compareILb0ELb0EiNS0_19identity_decomposerEEEEE10hipError_tT0_T1_T2_jT3_P12ihipStream_tbPNSt15iterator_traitsISG_E10value_typeEPNSM_ISH_E10value_typeEPSI_NS1_7vsmem_tEENKUlT_SG_SH_SI_E_clIS7_S7_PlSB_EESF_SV_SG_SH_SI_EUlSV_E1_NS1_11comp_targetILNS1_3genE3ELNS1_11target_archE908ELNS1_3gpuE7ELNS1_3repE0EEENS1_36merge_oddeven_config_static_selectorELNS0_4arch9wavefront6targetE1EEEvSH_.num_vgpr, 0
	.set _ZN7rocprim17ROCPRIM_400000_NS6detail17trampoline_kernelINS0_14default_configENS1_38merge_sort_block_merge_config_selectorIilEEZZNS1_27merge_sort_block_merge_implIS3_PiN6thrust23THRUST_200600_302600_NS10device_ptrIlEEjNS1_19radix_merge_compareILb0ELb0EiNS0_19identity_decomposerEEEEE10hipError_tT0_T1_T2_jT3_P12ihipStream_tbPNSt15iterator_traitsISG_E10value_typeEPNSM_ISH_E10value_typeEPSI_NS1_7vsmem_tEENKUlT_SG_SH_SI_E_clIS7_S7_PlSB_EESF_SV_SG_SH_SI_EUlSV_E1_NS1_11comp_targetILNS1_3genE3ELNS1_11target_archE908ELNS1_3gpuE7ELNS1_3repE0EEENS1_36merge_oddeven_config_static_selectorELNS0_4arch9wavefront6targetE1EEEvSH_.num_agpr, 0
	.set _ZN7rocprim17ROCPRIM_400000_NS6detail17trampoline_kernelINS0_14default_configENS1_38merge_sort_block_merge_config_selectorIilEEZZNS1_27merge_sort_block_merge_implIS3_PiN6thrust23THRUST_200600_302600_NS10device_ptrIlEEjNS1_19radix_merge_compareILb0ELb0EiNS0_19identity_decomposerEEEEE10hipError_tT0_T1_T2_jT3_P12ihipStream_tbPNSt15iterator_traitsISG_E10value_typeEPNSM_ISH_E10value_typeEPSI_NS1_7vsmem_tEENKUlT_SG_SH_SI_E_clIS7_S7_PlSB_EESF_SV_SG_SH_SI_EUlSV_E1_NS1_11comp_targetILNS1_3genE3ELNS1_11target_archE908ELNS1_3gpuE7ELNS1_3repE0EEENS1_36merge_oddeven_config_static_selectorELNS0_4arch9wavefront6targetE1EEEvSH_.numbered_sgpr, 0
	.set _ZN7rocprim17ROCPRIM_400000_NS6detail17trampoline_kernelINS0_14default_configENS1_38merge_sort_block_merge_config_selectorIilEEZZNS1_27merge_sort_block_merge_implIS3_PiN6thrust23THRUST_200600_302600_NS10device_ptrIlEEjNS1_19radix_merge_compareILb0ELb0EiNS0_19identity_decomposerEEEEE10hipError_tT0_T1_T2_jT3_P12ihipStream_tbPNSt15iterator_traitsISG_E10value_typeEPNSM_ISH_E10value_typeEPSI_NS1_7vsmem_tEENKUlT_SG_SH_SI_E_clIS7_S7_PlSB_EESF_SV_SG_SH_SI_EUlSV_E1_NS1_11comp_targetILNS1_3genE3ELNS1_11target_archE908ELNS1_3gpuE7ELNS1_3repE0EEENS1_36merge_oddeven_config_static_selectorELNS0_4arch9wavefront6targetE1EEEvSH_.num_named_barrier, 0
	.set _ZN7rocprim17ROCPRIM_400000_NS6detail17trampoline_kernelINS0_14default_configENS1_38merge_sort_block_merge_config_selectorIilEEZZNS1_27merge_sort_block_merge_implIS3_PiN6thrust23THRUST_200600_302600_NS10device_ptrIlEEjNS1_19radix_merge_compareILb0ELb0EiNS0_19identity_decomposerEEEEE10hipError_tT0_T1_T2_jT3_P12ihipStream_tbPNSt15iterator_traitsISG_E10value_typeEPNSM_ISH_E10value_typeEPSI_NS1_7vsmem_tEENKUlT_SG_SH_SI_E_clIS7_S7_PlSB_EESF_SV_SG_SH_SI_EUlSV_E1_NS1_11comp_targetILNS1_3genE3ELNS1_11target_archE908ELNS1_3gpuE7ELNS1_3repE0EEENS1_36merge_oddeven_config_static_selectorELNS0_4arch9wavefront6targetE1EEEvSH_.private_seg_size, 0
	.set _ZN7rocprim17ROCPRIM_400000_NS6detail17trampoline_kernelINS0_14default_configENS1_38merge_sort_block_merge_config_selectorIilEEZZNS1_27merge_sort_block_merge_implIS3_PiN6thrust23THRUST_200600_302600_NS10device_ptrIlEEjNS1_19radix_merge_compareILb0ELb0EiNS0_19identity_decomposerEEEEE10hipError_tT0_T1_T2_jT3_P12ihipStream_tbPNSt15iterator_traitsISG_E10value_typeEPNSM_ISH_E10value_typeEPSI_NS1_7vsmem_tEENKUlT_SG_SH_SI_E_clIS7_S7_PlSB_EESF_SV_SG_SH_SI_EUlSV_E1_NS1_11comp_targetILNS1_3genE3ELNS1_11target_archE908ELNS1_3gpuE7ELNS1_3repE0EEENS1_36merge_oddeven_config_static_selectorELNS0_4arch9wavefront6targetE1EEEvSH_.uses_vcc, 0
	.set _ZN7rocprim17ROCPRIM_400000_NS6detail17trampoline_kernelINS0_14default_configENS1_38merge_sort_block_merge_config_selectorIilEEZZNS1_27merge_sort_block_merge_implIS3_PiN6thrust23THRUST_200600_302600_NS10device_ptrIlEEjNS1_19radix_merge_compareILb0ELb0EiNS0_19identity_decomposerEEEEE10hipError_tT0_T1_T2_jT3_P12ihipStream_tbPNSt15iterator_traitsISG_E10value_typeEPNSM_ISH_E10value_typeEPSI_NS1_7vsmem_tEENKUlT_SG_SH_SI_E_clIS7_S7_PlSB_EESF_SV_SG_SH_SI_EUlSV_E1_NS1_11comp_targetILNS1_3genE3ELNS1_11target_archE908ELNS1_3gpuE7ELNS1_3repE0EEENS1_36merge_oddeven_config_static_selectorELNS0_4arch9wavefront6targetE1EEEvSH_.uses_flat_scratch, 0
	.set _ZN7rocprim17ROCPRIM_400000_NS6detail17trampoline_kernelINS0_14default_configENS1_38merge_sort_block_merge_config_selectorIilEEZZNS1_27merge_sort_block_merge_implIS3_PiN6thrust23THRUST_200600_302600_NS10device_ptrIlEEjNS1_19radix_merge_compareILb0ELb0EiNS0_19identity_decomposerEEEEE10hipError_tT0_T1_T2_jT3_P12ihipStream_tbPNSt15iterator_traitsISG_E10value_typeEPNSM_ISH_E10value_typeEPSI_NS1_7vsmem_tEENKUlT_SG_SH_SI_E_clIS7_S7_PlSB_EESF_SV_SG_SH_SI_EUlSV_E1_NS1_11comp_targetILNS1_3genE3ELNS1_11target_archE908ELNS1_3gpuE7ELNS1_3repE0EEENS1_36merge_oddeven_config_static_selectorELNS0_4arch9wavefront6targetE1EEEvSH_.has_dyn_sized_stack, 0
	.set _ZN7rocprim17ROCPRIM_400000_NS6detail17trampoline_kernelINS0_14default_configENS1_38merge_sort_block_merge_config_selectorIilEEZZNS1_27merge_sort_block_merge_implIS3_PiN6thrust23THRUST_200600_302600_NS10device_ptrIlEEjNS1_19radix_merge_compareILb0ELb0EiNS0_19identity_decomposerEEEEE10hipError_tT0_T1_T2_jT3_P12ihipStream_tbPNSt15iterator_traitsISG_E10value_typeEPNSM_ISH_E10value_typeEPSI_NS1_7vsmem_tEENKUlT_SG_SH_SI_E_clIS7_S7_PlSB_EESF_SV_SG_SH_SI_EUlSV_E1_NS1_11comp_targetILNS1_3genE3ELNS1_11target_archE908ELNS1_3gpuE7ELNS1_3repE0EEENS1_36merge_oddeven_config_static_selectorELNS0_4arch9wavefront6targetE1EEEvSH_.has_recursion, 0
	.set _ZN7rocprim17ROCPRIM_400000_NS6detail17trampoline_kernelINS0_14default_configENS1_38merge_sort_block_merge_config_selectorIilEEZZNS1_27merge_sort_block_merge_implIS3_PiN6thrust23THRUST_200600_302600_NS10device_ptrIlEEjNS1_19radix_merge_compareILb0ELb0EiNS0_19identity_decomposerEEEEE10hipError_tT0_T1_T2_jT3_P12ihipStream_tbPNSt15iterator_traitsISG_E10value_typeEPNSM_ISH_E10value_typeEPSI_NS1_7vsmem_tEENKUlT_SG_SH_SI_E_clIS7_S7_PlSB_EESF_SV_SG_SH_SI_EUlSV_E1_NS1_11comp_targetILNS1_3genE3ELNS1_11target_archE908ELNS1_3gpuE7ELNS1_3repE0EEENS1_36merge_oddeven_config_static_selectorELNS0_4arch9wavefront6targetE1EEEvSH_.has_indirect_call, 0
	.section	.AMDGPU.csdata,"",@progbits
; Kernel info:
; codeLenInByte = 0
; TotalNumSgprs: 4
; NumVgprs: 0
; ScratchSize: 0
; MemoryBound: 0
; FloatMode: 240
; IeeeMode: 1
; LDSByteSize: 0 bytes/workgroup (compile time only)
; SGPRBlocks: 0
; VGPRBlocks: 0
; NumSGPRsForWavesPerEU: 4
; NumVGPRsForWavesPerEU: 1
; Occupancy: 10
; WaveLimiterHint : 0
; COMPUTE_PGM_RSRC2:SCRATCH_EN: 0
; COMPUTE_PGM_RSRC2:USER_SGPR: 6
; COMPUTE_PGM_RSRC2:TRAP_HANDLER: 0
; COMPUTE_PGM_RSRC2:TGID_X_EN: 1
; COMPUTE_PGM_RSRC2:TGID_Y_EN: 0
; COMPUTE_PGM_RSRC2:TGID_Z_EN: 0
; COMPUTE_PGM_RSRC2:TIDIG_COMP_CNT: 0
	.section	.text._ZN7rocprim17ROCPRIM_400000_NS6detail17trampoline_kernelINS0_14default_configENS1_38merge_sort_block_merge_config_selectorIilEEZZNS1_27merge_sort_block_merge_implIS3_PiN6thrust23THRUST_200600_302600_NS10device_ptrIlEEjNS1_19radix_merge_compareILb0ELb0EiNS0_19identity_decomposerEEEEE10hipError_tT0_T1_T2_jT3_P12ihipStream_tbPNSt15iterator_traitsISG_E10value_typeEPNSM_ISH_E10value_typeEPSI_NS1_7vsmem_tEENKUlT_SG_SH_SI_E_clIS7_S7_PlSB_EESF_SV_SG_SH_SI_EUlSV_E1_NS1_11comp_targetILNS1_3genE2ELNS1_11target_archE906ELNS1_3gpuE6ELNS1_3repE0EEENS1_36merge_oddeven_config_static_selectorELNS0_4arch9wavefront6targetE1EEEvSH_,"axG",@progbits,_ZN7rocprim17ROCPRIM_400000_NS6detail17trampoline_kernelINS0_14default_configENS1_38merge_sort_block_merge_config_selectorIilEEZZNS1_27merge_sort_block_merge_implIS3_PiN6thrust23THRUST_200600_302600_NS10device_ptrIlEEjNS1_19radix_merge_compareILb0ELb0EiNS0_19identity_decomposerEEEEE10hipError_tT0_T1_T2_jT3_P12ihipStream_tbPNSt15iterator_traitsISG_E10value_typeEPNSM_ISH_E10value_typeEPSI_NS1_7vsmem_tEENKUlT_SG_SH_SI_E_clIS7_S7_PlSB_EESF_SV_SG_SH_SI_EUlSV_E1_NS1_11comp_targetILNS1_3genE2ELNS1_11target_archE906ELNS1_3gpuE6ELNS1_3repE0EEENS1_36merge_oddeven_config_static_selectorELNS0_4arch9wavefront6targetE1EEEvSH_,comdat
	.protected	_ZN7rocprim17ROCPRIM_400000_NS6detail17trampoline_kernelINS0_14default_configENS1_38merge_sort_block_merge_config_selectorIilEEZZNS1_27merge_sort_block_merge_implIS3_PiN6thrust23THRUST_200600_302600_NS10device_ptrIlEEjNS1_19radix_merge_compareILb0ELb0EiNS0_19identity_decomposerEEEEE10hipError_tT0_T1_T2_jT3_P12ihipStream_tbPNSt15iterator_traitsISG_E10value_typeEPNSM_ISH_E10value_typeEPSI_NS1_7vsmem_tEENKUlT_SG_SH_SI_E_clIS7_S7_PlSB_EESF_SV_SG_SH_SI_EUlSV_E1_NS1_11comp_targetILNS1_3genE2ELNS1_11target_archE906ELNS1_3gpuE6ELNS1_3repE0EEENS1_36merge_oddeven_config_static_selectorELNS0_4arch9wavefront6targetE1EEEvSH_ ; -- Begin function _ZN7rocprim17ROCPRIM_400000_NS6detail17trampoline_kernelINS0_14default_configENS1_38merge_sort_block_merge_config_selectorIilEEZZNS1_27merge_sort_block_merge_implIS3_PiN6thrust23THRUST_200600_302600_NS10device_ptrIlEEjNS1_19radix_merge_compareILb0ELb0EiNS0_19identity_decomposerEEEEE10hipError_tT0_T1_T2_jT3_P12ihipStream_tbPNSt15iterator_traitsISG_E10value_typeEPNSM_ISH_E10value_typeEPSI_NS1_7vsmem_tEENKUlT_SG_SH_SI_E_clIS7_S7_PlSB_EESF_SV_SG_SH_SI_EUlSV_E1_NS1_11comp_targetILNS1_3genE2ELNS1_11target_archE906ELNS1_3gpuE6ELNS1_3repE0EEENS1_36merge_oddeven_config_static_selectorELNS0_4arch9wavefront6targetE1EEEvSH_
	.globl	_ZN7rocprim17ROCPRIM_400000_NS6detail17trampoline_kernelINS0_14default_configENS1_38merge_sort_block_merge_config_selectorIilEEZZNS1_27merge_sort_block_merge_implIS3_PiN6thrust23THRUST_200600_302600_NS10device_ptrIlEEjNS1_19radix_merge_compareILb0ELb0EiNS0_19identity_decomposerEEEEE10hipError_tT0_T1_T2_jT3_P12ihipStream_tbPNSt15iterator_traitsISG_E10value_typeEPNSM_ISH_E10value_typeEPSI_NS1_7vsmem_tEENKUlT_SG_SH_SI_E_clIS7_S7_PlSB_EESF_SV_SG_SH_SI_EUlSV_E1_NS1_11comp_targetILNS1_3genE2ELNS1_11target_archE906ELNS1_3gpuE6ELNS1_3repE0EEENS1_36merge_oddeven_config_static_selectorELNS0_4arch9wavefront6targetE1EEEvSH_
	.p2align	8
	.type	_ZN7rocprim17ROCPRIM_400000_NS6detail17trampoline_kernelINS0_14default_configENS1_38merge_sort_block_merge_config_selectorIilEEZZNS1_27merge_sort_block_merge_implIS3_PiN6thrust23THRUST_200600_302600_NS10device_ptrIlEEjNS1_19radix_merge_compareILb0ELb0EiNS0_19identity_decomposerEEEEE10hipError_tT0_T1_T2_jT3_P12ihipStream_tbPNSt15iterator_traitsISG_E10value_typeEPNSM_ISH_E10value_typeEPSI_NS1_7vsmem_tEENKUlT_SG_SH_SI_E_clIS7_S7_PlSB_EESF_SV_SG_SH_SI_EUlSV_E1_NS1_11comp_targetILNS1_3genE2ELNS1_11target_archE906ELNS1_3gpuE6ELNS1_3repE0EEENS1_36merge_oddeven_config_static_selectorELNS0_4arch9wavefront6targetE1EEEvSH_,@function
_ZN7rocprim17ROCPRIM_400000_NS6detail17trampoline_kernelINS0_14default_configENS1_38merge_sort_block_merge_config_selectorIilEEZZNS1_27merge_sort_block_merge_implIS3_PiN6thrust23THRUST_200600_302600_NS10device_ptrIlEEjNS1_19radix_merge_compareILb0ELb0EiNS0_19identity_decomposerEEEEE10hipError_tT0_T1_T2_jT3_P12ihipStream_tbPNSt15iterator_traitsISG_E10value_typeEPNSM_ISH_E10value_typeEPSI_NS1_7vsmem_tEENKUlT_SG_SH_SI_E_clIS7_S7_PlSB_EESF_SV_SG_SH_SI_EUlSV_E1_NS1_11comp_targetILNS1_3genE2ELNS1_11target_archE906ELNS1_3gpuE6ELNS1_3repE0EEENS1_36merge_oddeven_config_static_selectorELNS0_4arch9wavefront6targetE1EEEvSH_: ; @_ZN7rocprim17ROCPRIM_400000_NS6detail17trampoline_kernelINS0_14default_configENS1_38merge_sort_block_merge_config_selectorIilEEZZNS1_27merge_sort_block_merge_implIS3_PiN6thrust23THRUST_200600_302600_NS10device_ptrIlEEjNS1_19radix_merge_compareILb0ELb0EiNS0_19identity_decomposerEEEEE10hipError_tT0_T1_T2_jT3_P12ihipStream_tbPNSt15iterator_traitsISG_E10value_typeEPNSM_ISH_E10value_typeEPSI_NS1_7vsmem_tEENKUlT_SG_SH_SI_E_clIS7_S7_PlSB_EESF_SV_SG_SH_SI_EUlSV_E1_NS1_11comp_targetILNS1_3genE2ELNS1_11target_archE906ELNS1_3gpuE6ELNS1_3repE0EEENS1_36merge_oddeven_config_static_selectorELNS0_4arch9wavefront6targetE1EEEvSH_
; %bb.0:
	s_load_dword s7, s[4:5], 0x20
	s_waitcnt lgkmcnt(0)
	s_lshr_b32 s0, s7, 8
	s_cmp_eq_u32 s6, s0
	s_cselect_b64 s[16:17], -1, 0
	s_cmp_lg_u32 s6, s0
	s_cselect_b64 s[0:1], -1, 0
	s_lshl_b32 s18, s6, 8
	s_sub_i32 s2, s7, s18
	v_cmp_gt_u32_e64 s[2:3], s2, v0
	s_or_b64 s[0:1], s[0:1], s[2:3]
	s_and_saveexec_b64 s[8:9], s[0:1]
	s_cbranch_execz .LBB765_24
; %bb.1:
	s_load_dwordx8 s[8:15], s[4:5], 0x0
	s_mov_b32 s19, 0
	s_lshl_b64 s[0:1], s[18:19], 2
	v_lshlrev_b32_e32 v4, 3, v0
	v_lshlrev_b32_e32 v3, 2, v0
	s_waitcnt lgkmcnt(0)
	s_add_u32 s0, s8, s0
	s_addc_u32 s1, s9, s1
	s_lshl_b64 s[20:21], s[18:19], 3
	s_add_u32 s12, s12, s20
	s_addc_u32 s13, s13, s21
	global_load_dwordx2 v[1:2], v4, s[12:13]
	global_load_dword v5, v3, s[0:1]
	s_load_dword s13, s[4:5], 0x24
	v_add_u32_e32 v3, s18, v0
	s_waitcnt lgkmcnt(0)
	s_lshr_b32 s0, s13, 8
	s_sub_i32 s1, 0, s0
	s_and_b32 s1, s6, s1
	s_and_b32 s0, s1, s0
	s_lshl_b32 s19, s1, 8
	s_sub_i32 s6, 0, s13
	s_cmp_eq_u32 s0, 0
	s_cselect_b64 s[0:1], -1, 0
	s_and_b64 s[4:5], s[0:1], exec
	s_cselect_b32 s6, s13, s6
	s_add_i32 s6, s6, s19
	s_mov_b64 s[4:5], -1
	s_cmp_gt_u32 s7, s6
	s_cbranch_scc1 .LBB765_9
; %bb.2:
	s_and_b64 vcc, exec, s[16:17]
	s_cbranch_vccz .LBB765_6
; %bb.3:
	v_cmp_gt_u32_e32 vcc, s7, v3
	s_and_saveexec_b64 s[4:5], vcc
	s_cbranch_execz .LBB765_5
; %bb.4:
	v_mov_b32_e32 v4, 0
	v_lshlrev_b64 v[6:7], 2, v[3:4]
	v_mov_b32_e32 v0, s11
	v_add_co_u32_e32 v6, vcc, s10, v6
	v_lshlrev_b64 v[8:9], 3, v[3:4]
	v_addc_co_u32_e32 v7, vcc, v0, v7, vcc
	v_mov_b32_e32 v0, s15
	v_add_co_u32_e32 v8, vcc, s14, v8
	v_addc_co_u32_e32 v9, vcc, v0, v9, vcc
	s_waitcnt vmcnt(0)
	global_store_dword v[6:7], v5, off
	global_store_dwordx2 v[8:9], v[1:2], off
.LBB765_5:
	s_or_b64 exec, exec, s[4:5]
	s_mov_b64 s[4:5], 0
.LBB765_6:
	s_andn2_b64 vcc, exec, s[4:5]
	s_cbranch_vccnz .LBB765_8
; %bb.7:
	v_mov_b32_e32 v4, 0
	v_lshlrev_b64 v[6:7], 2, v[3:4]
	v_mov_b32_e32 v0, s11
	v_add_co_u32_e32 v6, vcc, s10, v6
	v_lshlrev_b64 v[8:9], 3, v[3:4]
	v_addc_co_u32_e32 v7, vcc, v0, v7, vcc
	v_mov_b32_e32 v0, s15
	v_add_co_u32_e32 v8, vcc, s14, v8
	v_addc_co_u32_e32 v9, vcc, v0, v9, vcc
	s_waitcnt vmcnt(0)
	global_store_dword v[6:7], v5, off
	global_store_dwordx2 v[8:9], v[1:2], off
.LBB765_8:
	s_mov_b64 s[4:5], 0
.LBB765_9:
	s_andn2_b64 vcc, exec, s[4:5]
	s_cbranch_vccnz .LBB765_24
; %bb.10:
	s_min_u32 s12, s6, s7
	s_add_i32 s4, s12, s13
	s_min_u32 s7, s4, s7
	s_min_u32 s4, s19, s12
	s_add_i32 s19, s19, s12
	v_subrev_u32_e32 v0, s19, v3
	v_add_u32_e32 v0, s4, v0
	s_andn2_b64 vcc, exec, s[16:17]
	s_mov_b64 s[4:5], -1
	s_cbranch_vccnz .LBB765_18
; %bb.11:
	s_and_saveexec_b64 s[4:5], s[2:3]
	s_cbranch_execz .LBB765_17
; %bb.12:
	s_cmp_ge_u32 s6, s7
	v_mov_b32_e32 v6, s12
	s_cbranch_scc1 .LBB765_16
; %bb.13:
	s_mov_b64 s[2:3], 0
	v_mov_b32_e32 v7, s7
	v_mov_b32_e32 v6, s12
	;; [unrolled: 1-line block ×4, first 2 shown]
.LBB765_14:                             ; =>This Inner Loop Header: Depth=1
	v_add_u32_e32 v3, v6, v7
	v_lshrrev_b32_e32 v3, 1, v3
	v_lshlrev_b64 v[9:10], 2, v[3:4]
	v_add_co_u32_e32 v9, vcc, s8, v9
	v_addc_co_u32_e32 v10, vcc, v8, v10, vcc
	global_load_dword v9, v[9:10], off
	v_add_u32_e32 v10, 1, v3
	s_waitcnt vmcnt(0)
	v_cmp_gt_i32_e32 vcc, v5, v9
	v_cndmask_b32_e64 v11, 0, 1, vcc
	v_cmp_le_i32_e32 vcc, v9, v5
	v_cndmask_b32_e64 v9, 0, 1, vcc
	v_cndmask_b32_e64 v9, v9, v11, s[0:1]
	v_and_b32_e32 v9, 1, v9
	v_cmp_eq_u32_e32 vcc, 1, v9
	v_cndmask_b32_e32 v7, v3, v7, vcc
	v_cndmask_b32_e32 v6, v6, v10, vcc
	v_cmp_ge_u32_e32 vcc, v6, v7
	s_or_b64 s[2:3], vcc, s[2:3]
	s_andn2_b64 exec, exec, s[2:3]
	s_cbranch_execnz .LBB765_14
; %bb.15:
	s_or_b64 exec, exec, s[2:3]
.LBB765_16:
	v_add_u32_e32 v3, v6, v0
	v_mov_b32_e32 v4, 0
	v_lshlrev_b64 v[6:7], 2, v[3:4]
	v_mov_b32_e32 v8, s11
	v_add_co_u32_e32 v6, vcc, s10, v6
	v_lshlrev_b64 v[3:4], 3, v[3:4]
	v_addc_co_u32_e32 v7, vcc, v8, v7, vcc
	s_waitcnt vmcnt(0)
	global_store_dword v[6:7], v5, off
	v_mov_b32_e32 v6, s15
	v_add_co_u32_e32 v3, vcc, s14, v3
	v_addc_co_u32_e32 v4, vcc, v6, v4, vcc
	global_store_dwordx2 v[3:4], v[1:2], off
.LBB765_17:
	s_or_b64 exec, exec, s[4:5]
	s_mov_b64 s[4:5], 0
.LBB765_18:
	s_andn2_b64 vcc, exec, s[4:5]
	s_cbranch_vccnz .LBB765_24
; %bb.19:
	s_cmp_ge_u32 s6, s7
	v_mov_b32_e32 v6, s12
	s_cbranch_scc1 .LBB765_23
; %bb.20:
	s_mov_b64 s[2:3], 0
	v_mov_b32_e32 v7, s7
	v_mov_b32_e32 v6, s12
	;; [unrolled: 1-line block ×4, first 2 shown]
.LBB765_21:                             ; =>This Inner Loop Header: Depth=1
	v_add_u32_e32 v3, v6, v7
	v_lshrrev_b32_e32 v3, 1, v3
	v_lshlrev_b64 v[9:10], 2, v[3:4]
	v_add_co_u32_e32 v9, vcc, s8, v9
	v_addc_co_u32_e32 v10, vcc, v8, v10, vcc
	global_load_dword v9, v[9:10], off
	v_add_u32_e32 v10, 1, v3
	s_waitcnt vmcnt(0)
	v_cmp_gt_i32_e32 vcc, v5, v9
	v_cndmask_b32_e64 v11, 0, 1, vcc
	v_cmp_le_i32_e32 vcc, v9, v5
	v_cndmask_b32_e64 v9, 0, 1, vcc
	v_cndmask_b32_e64 v9, v9, v11, s[0:1]
	v_and_b32_e32 v9, 1, v9
	v_cmp_eq_u32_e32 vcc, 1, v9
	v_cndmask_b32_e32 v7, v3, v7, vcc
	v_cndmask_b32_e32 v6, v6, v10, vcc
	v_cmp_ge_u32_e32 vcc, v6, v7
	s_or_b64 s[2:3], vcc, s[2:3]
	s_andn2_b64 exec, exec, s[2:3]
	s_cbranch_execnz .LBB765_21
; %bb.22:
	s_or_b64 exec, exec, s[2:3]
.LBB765_23:
	v_add_u32_e32 v3, v6, v0
	v_mov_b32_e32 v4, 0
	v_lshlrev_b64 v[6:7], 2, v[3:4]
	v_mov_b32_e32 v0, s11
	v_add_co_u32_e32 v6, vcc, s10, v6
	v_lshlrev_b64 v[3:4], 3, v[3:4]
	v_addc_co_u32_e32 v7, vcc, v0, v7, vcc
	v_mov_b32_e32 v0, s15
	v_add_co_u32_e32 v3, vcc, s14, v3
	v_addc_co_u32_e32 v4, vcc, v0, v4, vcc
	s_waitcnt vmcnt(0)
	global_store_dword v[6:7], v5, off
	global_store_dwordx2 v[3:4], v[1:2], off
.LBB765_24:
	s_endpgm
	.section	.rodata,"a",@progbits
	.p2align	6, 0x0
	.amdhsa_kernel _ZN7rocprim17ROCPRIM_400000_NS6detail17trampoline_kernelINS0_14default_configENS1_38merge_sort_block_merge_config_selectorIilEEZZNS1_27merge_sort_block_merge_implIS3_PiN6thrust23THRUST_200600_302600_NS10device_ptrIlEEjNS1_19radix_merge_compareILb0ELb0EiNS0_19identity_decomposerEEEEE10hipError_tT0_T1_T2_jT3_P12ihipStream_tbPNSt15iterator_traitsISG_E10value_typeEPNSM_ISH_E10value_typeEPSI_NS1_7vsmem_tEENKUlT_SG_SH_SI_E_clIS7_S7_PlSB_EESF_SV_SG_SH_SI_EUlSV_E1_NS1_11comp_targetILNS1_3genE2ELNS1_11target_archE906ELNS1_3gpuE6ELNS1_3repE0EEENS1_36merge_oddeven_config_static_selectorELNS0_4arch9wavefront6targetE1EEEvSH_
		.amdhsa_group_segment_fixed_size 0
		.amdhsa_private_segment_fixed_size 0
		.amdhsa_kernarg_size 48
		.amdhsa_user_sgpr_count 6
		.amdhsa_user_sgpr_private_segment_buffer 1
		.amdhsa_user_sgpr_dispatch_ptr 0
		.amdhsa_user_sgpr_queue_ptr 0
		.amdhsa_user_sgpr_kernarg_segment_ptr 1
		.amdhsa_user_sgpr_dispatch_id 0
		.amdhsa_user_sgpr_flat_scratch_init 0
		.amdhsa_user_sgpr_private_segment_size 0
		.amdhsa_uses_dynamic_stack 0
		.amdhsa_system_sgpr_private_segment_wavefront_offset 0
		.amdhsa_system_sgpr_workgroup_id_x 1
		.amdhsa_system_sgpr_workgroup_id_y 0
		.amdhsa_system_sgpr_workgroup_id_z 0
		.amdhsa_system_sgpr_workgroup_info 0
		.amdhsa_system_vgpr_workitem_id 0
		.amdhsa_next_free_vgpr 12
		.amdhsa_next_free_sgpr 22
		.amdhsa_reserve_vcc 1
		.amdhsa_reserve_flat_scratch 0
		.amdhsa_float_round_mode_32 0
		.amdhsa_float_round_mode_16_64 0
		.amdhsa_float_denorm_mode_32 3
		.amdhsa_float_denorm_mode_16_64 3
		.amdhsa_dx10_clamp 1
		.amdhsa_ieee_mode 1
		.amdhsa_fp16_overflow 0
		.amdhsa_exception_fp_ieee_invalid_op 0
		.amdhsa_exception_fp_denorm_src 0
		.amdhsa_exception_fp_ieee_div_zero 0
		.amdhsa_exception_fp_ieee_overflow 0
		.amdhsa_exception_fp_ieee_underflow 0
		.amdhsa_exception_fp_ieee_inexact 0
		.amdhsa_exception_int_div_zero 0
	.end_amdhsa_kernel
	.section	.text._ZN7rocprim17ROCPRIM_400000_NS6detail17trampoline_kernelINS0_14default_configENS1_38merge_sort_block_merge_config_selectorIilEEZZNS1_27merge_sort_block_merge_implIS3_PiN6thrust23THRUST_200600_302600_NS10device_ptrIlEEjNS1_19radix_merge_compareILb0ELb0EiNS0_19identity_decomposerEEEEE10hipError_tT0_T1_T2_jT3_P12ihipStream_tbPNSt15iterator_traitsISG_E10value_typeEPNSM_ISH_E10value_typeEPSI_NS1_7vsmem_tEENKUlT_SG_SH_SI_E_clIS7_S7_PlSB_EESF_SV_SG_SH_SI_EUlSV_E1_NS1_11comp_targetILNS1_3genE2ELNS1_11target_archE906ELNS1_3gpuE6ELNS1_3repE0EEENS1_36merge_oddeven_config_static_selectorELNS0_4arch9wavefront6targetE1EEEvSH_,"axG",@progbits,_ZN7rocprim17ROCPRIM_400000_NS6detail17trampoline_kernelINS0_14default_configENS1_38merge_sort_block_merge_config_selectorIilEEZZNS1_27merge_sort_block_merge_implIS3_PiN6thrust23THRUST_200600_302600_NS10device_ptrIlEEjNS1_19radix_merge_compareILb0ELb0EiNS0_19identity_decomposerEEEEE10hipError_tT0_T1_T2_jT3_P12ihipStream_tbPNSt15iterator_traitsISG_E10value_typeEPNSM_ISH_E10value_typeEPSI_NS1_7vsmem_tEENKUlT_SG_SH_SI_E_clIS7_S7_PlSB_EESF_SV_SG_SH_SI_EUlSV_E1_NS1_11comp_targetILNS1_3genE2ELNS1_11target_archE906ELNS1_3gpuE6ELNS1_3repE0EEENS1_36merge_oddeven_config_static_selectorELNS0_4arch9wavefront6targetE1EEEvSH_,comdat
.Lfunc_end765:
	.size	_ZN7rocprim17ROCPRIM_400000_NS6detail17trampoline_kernelINS0_14default_configENS1_38merge_sort_block_merge_config_selectorIilEEZZNS1_27merge_sort_block_merge_implIS3_PiN6thrust23THRUST_200600_302600_NS10device_ptrIlEEjNS1_19radix_merge_compareILb0ELb0EiNS0_19identity_decomposerEEEEE10hipError_tT0_T1_T2_jT3_P12ihipStream_tbPNSt15iterator_traitsISG_E10value_typeEPNSM_ISH_E10value_typeEPSI_NS1_7vsmem_tEENKUlT_SG_SH_SI_E_clIS7_S7_PlSB_EESF_SV_SG_SH_SI_EUlSV_E1_NS1_11comp_targetILNS1_3genE2ELNS1_11target_archE906ELNS1_3gpuE6ELNS1_3repE0EEENS1_36merge_oddeven_config_static_selectorELNS0_4arch9wavefront6targetE1EEEvSH_, .Lfunc_end765-_ZN7rocprim17ROCPRIM_400000_NS6detail17trampoline_kernelINS0_14default_configENS1_38merge_sort_block_merge_config_selectorIilEEZZNS1_27merge_sort_block_merge_implIS3_PiN6thrust23THRUST_200600_302600_NS10device_ptrIlEEjNS1_19radix_merge_compareILb0ELb0EiNS0_19identity_decomposerEEEEE10hipError_tT0_T1_T2_jT3_P12ihipStream_tbPNSt15iterator_traitsISG_E10value_typeEPNSM_ISH_E10value_typeEPSI_NS1_7vsmem_tEENKUlT_SG_SH_SI_E_clIS7_S7_PlSB_EESF_SV_SG_SH_SI_EUlSV_E1_NS1_11comp_targetILNS1_3genE2ELNS1_11target_archE906ELNS1_3gpuE6ELNS1_3repE0EEENS1_36merge_oddeven_config_static_selectorELNS0_4arch9wavefront6targetE1EEEvSH_
                                        ; -- End function
	.set _ZN7rocprim17ROCPRIM_400000_NS6detail17trampoline_kernelINS0_14default_configENS1_38merge_sort_block_merge_config_selectorIilEEZZNS1_27merge_sort_block_merge_implIS3_PiN6thrust23THRUST_200600_302600_NS10device_ptrIlEEjNS1_19radix_merge_compareILb0ELb0EiNS0_19identity_decomposerEEEEE10hipError_tT0_T1_T2_jT3_P12ihipStream_tbPNSt15iterator_traitsISG_E10value_typeEPNSM_ISH_E10value_typeEPSI_NS1_7vsmem_tEENKUlT_SG_SH_SI_E_clIS7_S7_PlSB_EESF_SV_SG_SH_SI_EUlSV_E1_NS1_11comp_targetILNS1_3genE2ELNS1_11target_archE906ELNS1_3gpuE6ELNS1_3repE0EEENS1_36merge_oddeven_config_static_selectorELNS0_4arch9wavefront6targetE1EEEvSH_.num_vgpr, 12
	.set _ZN7rocprim17ROCPRIM_400000_NS6detail17trampoline_kernelINS0_14default_configENS1_38merge_sort_block_merge_config_selectorIilEEZZNS1_27merge_sort_block_merge_implIS3_PiN6thrust23THRUST_200600_302600_NS10device_ptrIlEEjNS1_19radix_merge_compareILb0ELb0EiNS0_19identity_decomposerEEEEE10hipError_tT0_T1_T2_jT3_P12ihipStream_tbPNSt15iterator_traitsISG_E10value_typeEPNSM_ISH_E10value_typeEPSI_NS1_7vsmem_tEENKUlT_SG_SH_SI_E_clIS7_S7_PlSB_EESF_SV_SG_SH_SI_EUlSV_E1_NS1_11comp_targetILNS1_3genE2ELNS1_11target_archE906ELNS1_3gpuE6ELNS1_3repE0EEENS1_36merge_oddeven_config_static_selectorELNS0_4arch9wavefront6targetE1EEEvSH_.num_agpr, 0
	.set _ZN7rocprim17ROCPRIM_400000_NS6detail17trampoline_kernelINS0_14default_configENS1_38merge_sort_block_merge_config_selectorIilEEZZNS1_27merge_sort_block_merge_implIS3_PiN6thrust23THRUST_200600_302600_NS10device_ptrIlEEjNS1_19radix_merge_compareILb0ELb0EiNS0_19identity_decomposerEEEEE10hipError_tT0_T1_T2_jT3_P12ihipStream_tbPNSt15iterator_traitsISG_E10value_typeEPNSM_ISH_E10value_typeEPSI_NS1_7vsmem_tEENKUlT_SG_SH_SI_E_clIS7_S7_PlSB_EESF_SV_SG_SH_SI_EUlSV_E1_NS1_11comp_targetILNS1_3genE2ELNS1_11target_archE906ELNS1_3gpuE6ELNS1_3repE0EEENS1_36merge_oddeven_config_static_selectorELNS0_4arch9wavefront6targetE1EEEvSH_.numbered_sgpr, 22
	.set _ZN7rocprim17ROCPRIM_400000_NS6detail17trampoline_kernelINS0_14default_configENS1_38merge_sort_block_merge_config_selectorIilEEZZNS1_27merge_sort_block_merge_implIS3_PiN6thrust23THRUST_200600_302600_NS10device_ptrIlEEjNS1_19radix_merge_compareILb0ELb0EiNS0_19identity_decomposerEEEEE10hipError_tT0_T1_T2_jT3_P12ihipStream_tbPNSt15iterator_traitsISG_E10value_typeEPNSM_ISH_E10value_typeEPSI_NS1_7vsmem_tEENKUlT_SG_SH_SI_E_clIS7_S7_PlSB_EESF_SV_SG_SH_SI_EUlSV_E1_NS1_11comp_targetILNS1_3genE2ELNS1_11target_archE906ELNS1_3gpuE6ELNS1_3repE0EEENS1_36merge_oddeven_config_static_selectorELNS0_4arch9wavefront6targetE1EEEvSH_.num_named_barrier, 0
	.set _ZN7rocprim17ROCPRIM_400000_NS6detail17trampoline_kernelINS0_14default_configENS1_38merge_sort_block_merge_config_selectorIilEEZZNS1_27merge_sort_block_merge_implIS3_PiN6thrust23THRUST_200600_302600_NS10device_ptrIlEEjNS1_19radix_merge_compareILb0ELb0EiNS0_19identity_decomposerEEEEE10hipError_tT0_T1_T2_jT3_P12ihipStream_tbPNSt15iterator_traitsISG_E10value_typeEPNSM_ISH_E10value_typeEPSI_NS1_7vsmem_tEENKUlT_SG_SH_SI_E_clIS7_S7_PlSB_EESF_SV_SG_SH_SI_EUlSV_E1_NS1_11comp_targetILNS1_3genE2ELNS1_11target_archE906ELNS1_3gpuE6ELNS1_3repE0EEENS1_36merge_oddeven_config_static_selectorELNS0_4arch9wavefront6targetE1EEEvSH_.private_seg_size, 0
	.set _ZN7rocprim17ROCPRIM_400000_NS6detail17trampoline_kernelINS0_14default_configENS1_38merge_sort_block_merge_config_selectorIilEEZZNS1_27merge_sort_block_merge_implIS3_PiN6thrust23THRUST_200600_302600_NS10device_ptrIlEEjNS1_19radix_merge_compareILb0ELb0EiNS0_19identity_decomposerEEEEE10hipError_tT0_T1_T2_jT3_P12ihipStream_tbPNSt15iterator_traitsISG_E10value_typeEPNSM_ISH_E10value_typeEPSI_NS1_7vsmem_tEENKUlT_SG_SH_SI_E_clIS7_S7_PlSB_EESF_SV_SG_SH_SI_EUlSV_E1_NS1_11comp_targetILNS1_3genE2ELNS1_11target_archE906ELNS1_3gpuE6ELNS1_3repE0EEENS1_36merge_oddeven_config_static_selectorELNS0_4arch9wavefront6targetE1EEEvSH_.uses_vcc, 1
	.set _ZN7rocprim17ROCPRIM_400000_NS6detail17trampoline_kernelINS0_14default_configENS1_38merge_sort_block_merge_config_selectorIilEEZZNS1_27merge_sort_block_merge_implIS3_PiN6thrust23THRUST_200600_302600_NS10device_ptrIlEEjNS1_19radix_merge_compareILb0ELb0EiNS0_19identity_decomposerEEEEE10hipError_tT0_T1_T2_jT3_P12ihipStream_tbPNSt15iterator_traitsISG_E10value_typeEPNSM_ISH_E10value_typeEPSI_NS1_7vsmem_tEENKUlT_SG_SH_SI_E_clIS7_S7_PlSB_EESF_SV_SG_SH_SI_EUlSV_E1_NS1_11comp_targetILNS1_3genE2ELNS1_11target_archE906ELNS1_3gpuE6ELNS1_3repE0EEENS1_36merge_oddeven_config_static_selectorELNS0_4arch9wavefront6targetE1EEEvSH_.uses_flat_scratch, 0
	.set _ZN7rocprim17ROCPRIM_400000_NS6detail17trampoline_kernelINS0_14default_configENS1_38merge_sort_block_merge_config_selectorIilEEZZNS1_27merge_sort_block_merge_implIS3_PiN6thrust23THRUST_200600_302600_NS10device_ptrIlEEjNS1_19radix_merge_compareILb0ELb0EiNS0_19identity_decomposerEEEEE10hipError_tT0_T1_T2_jT3_P12ihipStream_tbPNSt15iterator_traitsISG_E10value_typeEPNSM_ISH_E10value_typeEPSI_NS1_7vsmem_tEENKUlT_SG_SH_SI_E_clIS7_S7_PlSB_EESF_SV_SG_SH_SI_EUlSV_E1_NS1_11comp_targetILNS1_3genE2ELNS1_11target_archE906ELNS1_3gpuE6ELNS1_3repE0EEENS1_36merge_oddeven_config_static_selectorELNS0_4arch9wavefront6targetE1EEEvSH_.has_dyn_sized_stack, 0
	.set _ZN7rocprim17ROCPRIM_400000_NS6detail17trampoline_kernelINS0_14default_configENS1_38merge_sort_block_merge_config_selectorIilEEZZNS1_27merge_sort_block_merge_implIS3_PiN6thrust23THRUST_200600_302600_NS10device_ptrIlEEjNS1_19radix_merge_compareILb0ELb0EiNS0_19identity_decomposerEEEEE10hipError_tT0_T1_T2_jT3_P12ihipStream_tbPNSt15iterator_traitsISG_E10value_typeEPNSM_ISH_E10value_typeEPSI_NS1_7vsmem_tEENKUlT_SG_SH_SI_E_clIS7_S7_PlSB_EESF_SV_SG_SH_SI_EUlSV_E1_NS1_11comp_targetILNS1_3genE2ELNS1_11target_archE906ELNS1_3gpuE6ELNS1_3repE0EEENS1_36merge_oddeven_config_static_selectorELNS0_4arch9wavefront6targetE1EEEvSH_.has_recursion, 0
	.set _ZN7rocprim17ROCPRIM_400000_NS6detail17trampoline_kernelINS0_14default_configENS1_38merge_sort_block_merge_config_selectorIilEEZZNS1_27merge_sort_block_merge_implIS3_PiN6thrust23THRUST_200600_302600_NS10device_ptrIlEEjNS1_19radix_merge_compareILb0ELb0EiNS0_19identity_decomposerEEEEE10hipError_tT0_T1_T2_jT3_P12ihipStream_tbPNSt15iterator_traitsISG_E10value_typeEPNSM_ISH_E10value_typeEPSI_NS1_7vsmem_tEENKUlT_SG_SH_SI_E_clIS7_S7_PlSB_EESF_SV_SG_SH_SI_EUlSV_E1_NS1_11comp_targetILNS1_3genE2ELNS1_11target_archE906ELNS1_3gpuE6ELNS1_3repE0EEENS1_36merge_oddeven_config_static_selectorELNS0_4arch9wavefront6targetE1EEEvSH_.has_indirect_call, 0
	.section	.AMDGPU.csdata,"",@progbits
; Kernel info:
; codeLenInByte = 856
; TotalNumSgprs: 26
; NumVgprs: 12
; ScratchSize: 0
; MemoryBound: 0
; FloatMode: 240
; IeeeMode: 1
; LDSByteSize: 0 bytes/workgroup (compile time only)
; SGPRBlocks: 3
; VGPRBlocks: 2
; NumSGPRsForWavesPerEU: 26
; NumVGPRsForWavesPerEU: 12
; Occupancy: 10
; WaveLimiterHint : 0
; COMPUTE_PGM_RSRC2:SCRATCH_EN: 0
; COMPUTE_PGM_RSRC2:USER_SGPR: 6
; COMPUTE_PGM_RSRC2:TRAP_HANDLER: 0
; COMPUTE_PGM_RSRC2:TGID_X_EN: 1
; COMPUTE_PGM_RSRC2:TGID_Y_EN: 0
; COMPUTE_PGM_RSRC2:TGID_Z_EN: 0
; COMPUTE_PGM_RSRC2:TIDIG_COMP_CNT: 0
	.section	.text._ZN7rocprim17ROCPRIM_400000_NS6detail17trampoline_kernelINS0_14default_configENS1_38merge_sort_block_merge_config_selectorIilEEZZNS1_27merge_sort_block_merge_implIS3_PiN6thrust23THRUST_200600_302600_NS10device_ptrIlEEjNS1_19radix_merge_compareILb0ELb0EiNS0_19identity_decomposerEEEEE10hipError_tT0_T1_T2_jT3_P12ihipStream_tbPNSt15iterator_traitsISG_E10value_typeEPNSM_ISH_E10value_typeEPSI_NS1_7vsmem_tEENKUlT_SG_SH_SI_E_clIS7_S7_PlSB_EESF_SV_SG_SH_SI_EUlSV_E1_NS1_11comp_targetILNS1_3genE9ELNS1_11target_archE1100ELNS1_3gpuE3ELNS1_3repE0EEENS1_36merge_oddeven_config_static_selectorELNS0_4arch9wavefront6targetE1EEEvSH_,"axG",@progbits,_ZN7rocprim17ROCPRIM_400000_NS6detail17trampoline_kernelINS0_14default_configENS1_38merge_sort_block_merge_config_selectorIilEEZZNS1_27merge_sort_block_merge_implIS3_PiN6thrust23THRUST_200600_302600_NS10device_ptrIlEEjNS1_19radix_merge_compareILb0ELb0EiNS0_19identity_decomposerEEEEE10hipError_tT0_T1_T2_jT3_P12ihipStream_tbPNSt15iterator_traitsISG_E10value_typeEPNSM_ISH_E10value_typeEPSI_NS1_7vsmem_tEENKUlT_SG_SH_SI_E_clIS7_S7_PlSB_EESF_SV_SG_SH_SI_EUlSV_E1_NS1_11comp_targetILNS1_3genE9ELNS1_11target_archE1100ELNS1_3gpuE3ELNS1_3repE0EEENS1_36merge_oddeven_config_static_selectorELNS0_4arch9wavefront6targetE1EEEvSH_,comdat
	.protected	_ZN7rocprim17ROCPRIM_400000_NS6detail17trampoline_kernelINS0_14default_configENS1_38merge_sort_block_merge_config_selectorIilEEZZNS1_27merge_sort_block_merge_implIS3_PiN6thrust23THRUST_200600_302600_NS10device_ptrIlEEjNS1_19radix_merge_compareILb0ELb0EiNS0_19identity_decomposerEEEEE10hipError_tT0_T1_T2_jT3_P12ihipStream_tbPNSt15iterator_traitsISG_E10value_typeEPNSM_ISH_E10value_typeEPSI_NS1_7vsmem_tEENKUlT_SG_SH_SI_E_clIS7_S7_PlSB_EESF_SV_SG_SH_SI_EUlSV_E1_NS1_11comp_targetILNS1_3genE9ELNS1_11target_archE1100ELNS1_3gpuE3ELNS1_3repE0EEENS1_36merge_oddeven_config_static_selectorELNS0_4arch9wavefront6targetE1EEEvSH_ ; -- Begin function _ZN7rocprim17ROCPRIM_400000_NS6detail17trampoline_kernelINS0_14default_configENS1_38merge_sort_block_merge_config_selectorIilEEZZNS1_27merge_sort_block_merge_implIS3_PiN6thrust23THRUST_200600_302600_NS10device_ptrIlEEjNS1_19radix_merge_compareILb0ELb0EiNS0_19identity_decomposerEEEEE10hipError_tT0_T1_T2_jT3_P12ihipStream_tbPNSt15iterator_traitsISG_E10value_typeEPNSM_ISH_E10value_typeEPSI_NS1_7vsmem_tEENKUlT_SG_SH_SI_E_clIS7_S7_PlSB_EESF_SV_SG_SH_SI_EUlSV_E1_NS1_11comp_targetILNS1_3genE9ELNS1_11target_archE1100ELNS1_3gpuE3ELNS1_3repE0EEENS1_36merge_oddeven_config_static_selectorELNS0_4arch9wavefront6targetE1EEEvSH_
	.globl	_ZN7rocprim17ROCPRIM_400000_NS6detail17trampoline_kernelINS0_14default_configENS1_38merge_sort_block_merge_config_selectorIilEEZZNS1_27merge_sort_block_merge_implIS3_PiN6thrust23THRUST_200600_302600_NS10device_ptrIlEEjNS1_19radix_merge_compareILb0ELb0EiNS0_19identity_decomposerEEEEE10hipError_tT0_T1_T2_jT3_P12ihipStream_tbPNSt15iterator_traitsISG_E10value_typeEPNSM_ISH_E10value_typeEPSI_NS1_7vsmem_tEENKUlT_SG_SH_SI_E_clIS7_S7_PlSB_EESF_SV_SG_SH_SI_EUlSV_E1_NS1_11comp_targetILNS1_3genE9ELNS1_11target_archE1100ELNS1_3gpuE3ELNS1_3repE0EEENS1_36merge_oddeven_config_static_selectorELNS0_4arch9wavefront6targetE1EEEvSH_
	.p2align	8
	.type	_ZN7rocprim17ROCPRIM_400000_NS6detail17trampoline_kernelINS0_14default_configENS1_38merge_sort_block_merge_config_selectorIilEEZZNS1_27merge_sort_block_merge_implIS3_PiN6thrust23THRUST_200600_302600_NS10device_ptrIlEEjNS1_19radix_merge_compareILb0ELb0EiNS0_19identity_decomposerEEEEE10hipError_tT0_T1_T2_jT3_P12ihipStream_tbPNSt15iterator_traitsISG_E10value_typeEPNSM_ISH_E10value_typeEPSI_NS1_7vsmem_tEENKUlT_SG_SH_SI_E_clIS7_S7_PlSB_EESF_SV_SG_SH_SI_EUlSV_E1_NS1_11comp_targetILNS1_3genE9ELNS1_11target_archE1100ELNS1_3gpuE3ELNS1_3repE0EEENS1_36merge_oddeven_config_static_selectorELNS0_4arch9wavefront6targetE1EEEvSH_,@function
_ZN7rocprim17ROCPRIM_400000_NS6detail17trampoline_kernelINS0_14default_configENS1_38merge_sort_block_merge_config_selectorIilEEZZNS1_27merge_sort_block_merge_implIS3_PiN6thrust23THRUST_200600_302600_NS10device_ptrIlEEjNS1_19radix_merge_compareILb0ELb0EiNS0_19identity_decomposerEEEEE10hipError_tT0_T1_T2_jT3_P12ihipStream_tbPNSt15iterator_traitsISG_E10value_typeEPNSM_ISH_E10value_typeEPSI_NS1_7vsmem_tEENKUlT_SG_SH_SI_E_clIS7_S7_PlSB_EESF_SV_SG_SH_SI_EUlSV_E1_NS1_11comp_targetILNS1_3genE9ELNS1_11target_archE1100ELNS1_3gpuE3ELNS1_3repE0EEENS1_36merge_oddeven_config_static_selectorELNS0_4arch9wavefront6targetE1EEEvSH_: ; @_ZN7rocprim17ROCPRIM_400000_NS6detail17trampoline_kernelINS0_14default_configENS1_38merge_sort_block_merge_config_selectorIilEEZZNS1_27merge_sort_block_merge_implIS3_PiN6thrust23THRUST_200600_302600_NS10device_ptrIlEEjNS1_19radix_merge_compareILb0ELb0EiNS0_19identity_decomposerEEEEE10hipError_tT0_T1_T2_jT3_P12ihipStream_tbPNSt15iterator_traitsISG_E10value_typeEPNSM_ISH_E10value_typeEPSI_NS1_7vsmem_tEENKUlT_SG_SH_SI_E_clIS7_S7_PlSB_EESF_SV_SG_SH_SI_EUlSV_E1_NS1_11comp_targetILNS1_3genE9ELNS1_11target_archE1100ELNS1_3gpuE3ELNS1_3repE0EEENS1_36merge_oddeven_config_static_selectorELNS0_4arch9wavefront6targetE1EEEvSH_
; %bb.0:
	.section	.rodata,"a",@progbits
	.p2align	6, 0x0
	.amdhsa_kernel _ZN7rocprim17ROCPRIM_400000_NS6detail17trampoline_kernelINS0_14default_configENS1_38merge_sort_block_merge_config_selectorIilEEZZNS1_27merge_sort_block_merge_implIS3_PiN6thrust23THRUST_200600_302600_NS10device_ptrIlEEjNS1_19radix_merge_compareILb0ELb0EiNS0_19identity_decomposerEEEEE10hipError_tT0_T1_T2_jT3_P12ihipStream_tbPNSt15iterator_traitsISG_E10value_typeEPNSM_ISH_E10value_typeEPSI_NS1_7vsmem_tEENKUlT_SG_SH_SI_E_clIS7_S7_PlSB_EESF_SV_SG_SH_SI_EUlSV_E1_NS1_11comp_targetILNS1_3genE9ELNS1_11target_archE1100ELNS1_3gpuE3ELNS1_3repE0EEENS1_36merge_oddeven_config_static_selectorELNS0_4arch9wavefront6targetE1EEEvSH_
		.amdhsa_group_segment_fixed_size 0
		.amdhsa_private_segment_fixed_size 0
		.amdhsa_kernarg_size 48
		.amdhsa_user_sgpr_count 6
		.amdhsa_user_sgpr_private_segment_buffer 1
		.amdhsa_user_sgpr_dispatch_ptr 0
		.amdhsa_user_sgpr_queue_ptr 0
		.amdhsa_user_sgpr_kernarg_segment_ptr 1
		.amdhsa_user_sgpr_dispatch_id 0
		.amdhsa_user_sgpr_flat_scratch_init 0
		.amdhsa_user_sgpr_private_segment_size 0
		.amdhsa_uses_dynamic_stack 0
		.amdhsa_system_sgpr_private_segment_wavefront_offset 0
		.amdhsa_system_sgpr_workgroup_id_x 1
		.amdhsa_system_sgpr_workgroup_id_y 0
		.amdhsa_system_sgpr_workgroup_id_z 0
		.amdhsa_system_sgpr_workgroup_info 0
		.amdhsa_system_vgpr_workitem_id 0
		.amdhsa_next_free_vgpr 1
		.amdhsa_next_free_sgpr 0
		.amdhsa_reserve_vcc 0
		.amdhsa_reserve_flat_scratch 0
		.amdhsa_float_round_mode_32 0
		.amdhsa_float_round_mode_16_64 0
		.amdhsa_float_denorm_mode_32 3
		.amdhsa_float_denorm_mode_16_64 3
		.amdhsa_dx10_clamp 1
		.amdhsa_ieee_mode 1
		.amdhsa_fp16_overflow 0
		.amdhsa_exception_fp_ieee_invalid_op 0
		.amdhsa_exception_fp_denorm_src 0
		.amdhsa_exception_fp_ieee_div_zero 0
		.amdhsa_exception_fp_ieee_overflow 0
		.amdhsa_exception_fp_ieee_underflow 0
		.amdhsa_exception_fp_ieee_inexact 0
		.amdhsa_exception_int_div_zero 0
	.end_amdhsa_kernel
	.section	.text._ZN7rocprim17ROCPRIM_400000_NS6detail17trampoline_kernelINS0_14default_configENS1_38merge_sort_block_merge_config_selectorIilEEZZNS1_27merge_sort_block_merge_implIS3_PiN6thrust23THRUST_200600_302600_NS10device_ptrIlEEjNS1_19radix_merge_compareILb0ELb0EiNS0_19identity_decomposerEEEEE10hipError_tT0_T1_T2_jT3_P12ihipStream_tbPNSt15iterator_traitsISG_E10value_typeEPNSM_ISH_E10value_typeEPSI_NS1_7vsmem_tEENKUlT_SG_SH_SI_E_clIS7_S7_PlSB_EESF_SV_SG_SH_SI_EUlSV_E1_NS1_11comp_targetILNS1_3genE9ELNS1_11target_archE1100ELNS1_3gpuE3ELNS1_3repE0EEENS1_36merge_oddeven_config_static_selectorELNS0_4arch9wavefront6targetE1EEEvSH_,"axG",@progbits,_ZN7rocprim17ROCPRIM_400000_NS6detail17trampoline_kernelINS0_14default_configENS1_38merge_sort_block_merge_config_selectorIilEEZZNS1_27merge_sort_block_merge_implIS3_PiN6thrust23THRUST_200600_302600_NS10device_ptrIlEEjNS1_19radix_merge_compareILb0ELb0EiNS0_19identity_decomposerEEEEE10hipError_tT0_T1_T2_jT3_P12ihipStream_tbPNSt15iterator_traitsISG_E10value_typeEPNSM_ISH_E10value_typeEPSI_NS1_7vsmem_tEENKUlT_SG_SH_SI_E_clIS7_S7_PlSB_EESF_SV_SG_SH_SI_EUlSV_E1_NS1_11comp_targetILNS1_3genE9ELNS1_11target_archE1100ELNS1_3gpuE3ELNS1_3repE0EEENS1_36merge_oddeven_config_static_selectorELNS0_4arch9wavefront6targetE1EEEvSH_,comdat
.Lfunc_end766:
	.size	_ZN7rocprim17ROCPRIM_400000_NS6detail17trampoline_kernelINS0_14default_configENS1_38merge_sort_block_merge_config_selectorIilEEZZNS1_27merge_sort_block_merge_implIS3_PiN6thrust23THRUST_200600_302600_NS10device_ptrIlEEjNS1_19radix_merge_compareILb0ELb0EiNS0_19identity_decomposerEEEEE10hipError_tT0_T1_T2_jT3_P12ihipStream_tbPNSt15iterator_traitsISG_E10value_typeEPNSM_ISH_E10value_typeEPSI_NS1_7vsmem_tEENKUlT_SG_SH_SI_E_clIS7_S7_PlSB_EESF_SV_SG_SH_SI_EUlSV_E1_NS1_11comp_targetILNS1_3genE9ELNS1_11target_archE1100ELNS1_3gpuE3ELNS1_3repE0EEENS1_36merge_oddeven_config_static_selectorELNS0_4arch9wavefront6targetE1EEEvSH_, .Lfunc_end766-_ZN7rocprim17ROCPRIM_400000_NS6detail17trampoline_kernelINS0_14default_configENS1_38merge_sort_block_merge_config_selectorIilEEZZNS1_27merge_sort_block_merge_implIS3_PiN6thrust23THRUST_200600_302600_NS10device_ptrIlEEjNS1_19radix_merge_compareILb0ELb0EiNS0_19identity_decomposerEEEEE10hipError_tT0_T1_T2_jT3_P12ihipStream_tbPNSt15iterator_traitsISG_E10value_typeEPNSM_ISH_E10value_typeEPSI_NS1_7vsmem_tEENKUlT_SG_SH_SI_E_clIS7_S7_PlSB_EESF_SV_SG_SH_SI_EUlSV_E1_NS1_11comp_targetILNS1_3genE9ELNS1_11target_archE1100ELNS1_3gpuE3ELNS1_3repE0EEENS1_36merge_oddeven_config_static_selectorELNS0_4arch9wavefront6targetE1EEEvSH_
                                        ; -- End function
	.set _ZN7rocprim17ROCPRIM_400000_NS6detail17trampoline_kernelINS0_14default_configENS1_38merge_sort_block_merge_config_selectorIilEEZZNS1_27merge_sort_block_merge_implIS3_PiN6thrust23THRUST_200600_302600_NS10device_ptrIlEEjNS1_19radix_merge_compareILb0ELb0EiNS0_19identity_decomposerEEEEE10hipError_tT0_T1_T2_jT3_P12ihipStream_tbPNSt15iterator_traitsISG_E10value_typeEPNSM_ISH_E10value_typeEPSI_NS1_7vsmem_tEENKUlT_SG_SH_SI_E_clIS7_S7_PlSB_EESF_SV_SG_SH_SI_EUlSV_E1_NS1_11comp_targetILNS1_3genE9ELNS1_11target_archE1100ELNS1_3gpuE3ELNS1_3repE0EEENS1_36merge_oddeven_config_static_selectorELNS0_4arch9wavefront6targetE1EEEvSH_.num_vgpr, 0
	.set _ZN7rocprim17ROCPRIM_400000_NS6detail17trampoline_kernelINS0_14default_configENS1_38merge_sort_block_merge_config_selectorIilEEZZNS1_27merge_sort_block_merge_implIS3_PiN6thrust23THRUST_200600_302600_NS10device_ptrIlEEjNS1_19radix_merge_compareILb0ELb0EiNS0_19identity_decomposerEEEEE10hipError_tT0_T1_T2_jT3_P12ihipStream_tbPNSt15iterator_traitsISG_E10value_typeEPNSM_ISH_E10value_typeEPSI_NS1_7vsmem_tEENKUlT_SG_SH_SI_E_clIS7_S7_PlSB_EESF_SV_SG_SH_SI_EUlSV_E1_NS1_11comp_targetILNS1_3genE9ELNS1_11target_archE1100ELNS1_3gpuE3ELNS1_3repE0EEENS1_36merge_oddeven_config_static_selectorELNS0_4arch9wavefront6targetE1EEEvSH_.num_agpr, 0
	.set _ZN7rocprim17ROCPRIM_400000_NS6detail17trampoline_kernelINS0_14default_configENS1_38merge_sort_block_merge_config_selectorIilEEZZNS1_27merge_sort_block_merge_implIS3_PiN6thrust23THRUST_200600_302600_NS10device_ptrIlEEjNS1_19radix_merge_compareILb0ELb0EiNS0_19identity_decomposerEEEEE10hipError_tT0_T1_T2_jT3_P12ihipStream_tbPNSt15iterator_traitsISG_E10value_typeEPNSM_ISH_E10value_typeEPSI_NS1_7vsmem_tEENKUlT_SG_SH_SI_E_clIS7_S7_PlSB_EESF_SV_SG_SH_SI_EUlSV_E1_NS1_11comp_targetILNS1_3genE9ELNS1_11target_archE1100ELNS1_3gpuE3ELNS1_3repE0EEENS1_36merge_oddeven_config_static_selectorELNS0_4arch9wavefront6targetE1EEEvSH_.numbered_sgpr, 0
	.set _ZN7rocprim17ROCPRIM_400000_NS6detail17trampoline_kernelINS0_14default_configENS1_38merge_sort_block_merge_config_selectorIilEEZZNS1_27merge_sort_block_merge_implIS3_PiN6thrust23THRUST_200600_302600_NS10device_ptrIlEEjNS1_19radix_merge_compareILb0ELb0EiNS0_19identity_decomposerEEEEE10hipError_tT0_T1_T2_jT3_P12ihipStream_tbPNSt15iterator_traitsISG_E10value_typeEPNSM_ISH_E10value_typeEPSI_NS1_7vsmem_tEENKUlT_SG_SH_SI_E_clIS7_S7_PlSB_EESF_SV_SG_SH_SI_EUlSV_E1_NS1_11comp_targetILNS1_3genE9ELNS1_11target_archE1100ELNS1_3gpuE3ELNS1_3repE0EEENS1_36merge_oddeven_config_static_selectorELNS0_4arch9wavefront6targetE1EEEvSH_.num_named_barrier, 0
	.set _ZN7rocprim17ROCPRIM_400000_NS6detail17trampoline_kernelINS0_14default_configENS1_38merge_sort_block_merge_config_selectorIilEEZZNS1_27merge_sort_block_merge_implIS3_PiN6thrust23THRUST_200600_302600_NS10device_ptrIlEEjNS1_19radix_merge_compareILb0ELb0EiNS0_19identity_decomposerEEEEE10hipError_tT0_T1_T2_jT3_P12ihipStream_tbPNSt15iterator_traitsISG_E10value_typeEPNSM_ISH_E10value_typeEPSI_NS1_7vsmem_tEENKUlT_SG_SH_SI_E_clIS7_S7_PlSB_EESF_SV_SG_SH_SI_EUlSV_E1_NS1_11comp_targetILNS1_3genE9ELNS1_11target_archE1100ELNS1_3gpuE3ELNS1_3repE0EEENS1_36merge_oddeven_config_static_selectorELNS0_4arch9wavefront6targetE1EEEvSH_.private_seg_size, 0
	.set _ZN7rocprim17ROCPRIM_400000_NS6detail17trampoline_kernelINS0_14default_configENS1_38merge_sort_block_merge_config_selectorIilEEZZNS1_27merge_sort_block_merge_implIS3_PiN6thrust23THRUST_200600_302600_NS10device_ptrIlEEjNS1_19radix_merge_compareILb0ELb0EiNS0_19identity_decomposerEEEEE10hipError_tT0_T1_T2_jT3_P12ihipStream_tbPNSt15iterator_traitsISG_E10value_typeEPNSM_ISH_E10value_typeEPSI_NS1_7vsmem_tEENKUlT_SG_SH_SI_E_clIS7_S7_PlSB_EESF_SV_SG_SH_SI_EUlSV_E1_NS1_11comp_targetILNS1_3genE9ELNS1_11target_archE1100ELNS1_3gpuE3ELNS1_3repE0EEENS1_36merge_oddeven_config_static_selectorELNS0_4arch9wavefront6targetE1EEEvSH_.uses_vcc, 0
	.set _ZN7rocprim17ROCPRIM_400000_NS6detail17trampoline_kernelINS0_14default_configENS1_38merge_sort_block_merge_config_selectorIilEEZZNS1_27merge_sort_block_merge_implIS3_PiN6thrust23THRUST_200600_302600_NS10device_ptrIlEEjNS1_19radix_merge_compareILb0ELb0EiNS0_19identity_decomposerEEEEE10hipError_tT0_T1_T2_jT3_P12ihipStream_tbPNSt15iterator_traitsISG_E10value_typeEPNSM_ISH_E10value_typeEPSI_NS1_7vsmem_tEENKUlT_SG_SH_SI_E_clIS7_S7_PlSB_EESF_SV_SG_SH_SI_EUlSV_E1_NS1_11comp_targetILNS1_3genE9ELNS1_11target_archE1100ELNS1_3gpuE3ELNS1_3repE0EEENS1_36merge_oddeven_config_static_selectorELNS0_4arch9wavefront6targetE1EEEvSH_.uses_flat_scratch, 0
	.set _ZN7rocprim17ROCPRIM_400000_NS6detail17trampoline_kernelINS0_14default_configENS1_38merge_sort_block_merge_config_selectorIilEEZZNS1_27merge_sort_block_merge_implIS3_PiN6thrust23THRUST_200600_302600_NS10device_ptrIlEEjNS1_19radix_merge_compareILb0ELb0EiNS0_19identity_decomposerEEEEE10hipError_tT0_T1_T2_jT3_P12ihipStream_tbPNSt15iterator_traitsISG_E10value_typeEPNSM_ISH_E10value_typeEPSI_NS1_7vsmem_tEENKUlT_SG_SH_SI_E_clIS7_S7_PlSB_EESF_SV_SG_SH_SI_EUlSV_E1_NS1_11comp_targetILNS1_3genE9ELNS1_11target_archE1100ELNS1_3gpuE3ELNS1_3repE0EEENS1_36merge_oddeven_config_static_selectorELNS0_4arch9wavefront6targetE1EEEvSH_.has_dyn_sized_stack, 0
	.set _ZN7rocprim17ROCPRIM_400000_NS6detail17trampoline_kernelINS0_14default_configENS1_38merge_sort_block_merge_config_selectorIilEEZZNS1_27merge_sort_block_merge_implIS3_PiN6thrust23THRUST_200600_302600_NS10device_ptrIlEEjNS1_19radix_merge_compareILb0ELb0EiNS0_19identity_decomposerEEEEE10hipError_tT0_T1_T2_jT3_P12ihipStream_tbPNSt15iterator_traitsISG_E10value_typeEPNSM_ISH_E10value_typeEPSI_NS1_7vsmem_tEENKUlT_SG_SH_SI_E_clIS7_S7_PlSB_EESF_SV_SG_SH_SI_EUlSV_E1_NS1_11comp_targetILNS1_3genE9ELNS1_11target_archE1100ELNS1_3gpuE3ELNS1_3repE0EEENS1_36merge_oddeven_config_static_selectorELNS0_4arch9wavefront6targetE1EEEvSH_.has_recursion, 0
	.set _ZN7rocprim17ROCPRIM_400000_NS6detail17trampoline_kernelINS0_14default_configENS1_38merge_sort_block_merge_config_selectorIilEEZZNS1_27merge_sort_block_merge_implIS3_PiN6thrust23THRUST_200600_302600_NS10device_ptrIlEEjNS1_19radix_merge_compareILb0ELb0EiNS0_19identity_decomposerEEEEE10hipError_tT0_T1_T2_jT3_P12ihipStream_tbPNSt15iterator_traitsISG_E10value_typeEPNSM_ISH_E10value_typeEPSI_NS1_7vsmem_tEENKUlT_SG_SH_SI_E_clIS7_S7_PlSB_EESF_SV_SG_SH_SI_EUlSV_E1_NS1_11comp_targetILNS1_3genE9ELNS1_11target_archE1100ELNS1_3gpuE3ELNS1_3repE0EEENS1_36merge_oddeven_config_static_selectorELNS0_4arch9wavefront6targetE1EEEvSH_.has_indirect_call, 0
	.section	.AMDGPU.csdata,"",@progbits
; Kernel info:
; codeLenInByte = 0
; TotalNumSgprs: 4
; NumVgprs: 0
; ScratchSize: 0
; MemoryBound: 0
; FloatMode: 240
; IeeeMode: 1
; LDSByteSize: 0 bytes/workgroup (compile time only)
; SGPRBlocks: 0
; VGPRBlocks: 0
; NumSGPRsForWavesPerEU: 4
; NumVGPRsForWavesPerEU: 1
; Occupancy: 10
; WaveLimiterHint : 0
; COMPUTE_PGM_RSRC2:SCRATCH_EN: 0
; COMPUTE_PGM_RSRC2:USER_SGPR: 6
; COMPUTE_PGM_RSRC2:TRAP_HANDLER: 0
; COMPUTE_PGM_RSRC2:TGID_X_EN: 1
; COMPUTE_PGM_RSRC2:TGID_Y_EN: 0
; COMPUTE_PGM_RSRC2:TGID_Z_EN: 0
; COMPUTE_PGM_RSRC2:TIDIG_COMP_CNT: 0
	.section	.text._ZN7rocprim17ROCPRIM_400000_NS6detail17trampoline_kernelINS0_14default_configENS1_38merge_sort_block_merge_config_selectorIilEEZZNS1_27merge_sort_block_merge_implIS3_PiN6thrust23THRUST_200600_302600_NS10device_ptrIlEEjNS1_19radix_merge_compareILb0ELb0EiNS0_19identity_decomposerEEEEE10hipError_tT0_T1_T2_jT3_P12ihipStream_tbPNSt15iterator_traitsISG_E10value_typeEPNSM_ISH_E10value_typeEPSI_NS1_7vsmem_tEENKUlT_SG_SH_SI_E_clIS7_S7_PlSB_EESF_SV_SG_SH_SI_EUlSV_E1_NS1_11comp_targetILNS1_3genE8ELNS1_11target_archE1030ELNS1_3gpuE2ELNS1_3repE0EEENS1_36merge_oddeven_config_static_selectorELNS0_4arch9wavefront6targetE1EEEvSH_,"axG",@progbits,_ZN7rocprim17ROCPRIM_400000_NS6detail17trampoline_kernelINS0_14default_configENS1_38merge_sort_block_merge_config_selectorIilEEZZNS1_27merge_sort_block_merge_implIS3_PiN6thrust23THRUST_200600_302600_NS10device_ptrIlEEjNS1_19radix_merge_compareILb0ELb0EiNS0_19identity_decomposerEEEEE10hipError_tT0_T1_T2_jT3_P12ihipStream_tbPNSt15iterator_traitsISG_E10value_typeEPNSM_ISH_E10value_typeEPSI_NS1_7vsmem_tEENKUlT_SG_SH_SI_E_clIS7_S7_PlSB_EESF_SV_SG_SH_SI_EUlSV_E1_NS1_11comp_targetILNS1_3genE8ELNS1_11target_archE1030ELNS1_3gpuE2ELNS1_3repE0EEENS1_36merge_oddeven_config_static_selectorELNS0_4arch9wavefront6targetE1EEEvSH_,comdat
	.protected	_ZN7rocprim17ROCPRIM_400000_NS6detail17trampoline_kernelINS0_14default_configENS1_38merge_sort_block_merge_config_selectorIilEEZZNS1_27merge_sort_block_merge_implIS3_PiN6thrust23THRUST_200600_302600_NS10device_ptrIlEEjNS1_19radix_merge_compareILb0ELb0EiNS0_19identity_decomposerEEEEE10hipError_tT0_T1_T2_jT3_P12ihipStream_tbPNSt15iterator_traitsISG_E10value_typeEPNSM_ISH_E10value_typeEPSI_NS1_7vsmem_tEENKUlT_SG_SH_SI_E_clIS7_S7_PlSB_EESF_SV_SG_SH_SI_EUlSV_E1_NS1_11comp_targetILNS1_3genE8ELNS1_11target_archE1030ELNS1_3gpuE2ELNS1_3repE0EEENS1_36merge_oddeven_config_static_selectorELNS0_4arch9wavefront6targetE1EEEvSH_ ; -- Begin function _ZN7rocprim17ROCPRIM_400000_NS6detail17trampoline_kernelINS0_14default_configENS1_38merge_sort_block_merge_config_selectorIilEEZZNS1_27merge_sort_block_merge_implIS3_PiN6thrust23THRUST_200600_302600_NS10device_ptrIlEEjNS1_19radix_merge_compareILb0ELb0EiNS0_19identity_decomposerEEEEE10hipError_tT0_T1_T2_jT3_P12ihipStream_tbPNSt15iterator_traitsISG_E10value_typeEPNSM_ISH_E10value_typeEPSI_NS1_7vsmem_tEENKUlT_SG_SH_SI_E_clIS7_S7_PlSB_EESF_SV_SG_SH_SI_EUlSV_E1_NS1_11comp_targetILNS1_3genE8ELNS1_11target_archE1030ELNS1_3gpuE2ELNS1_3repE0EEENS1_36merge_oddeven_config_static_selectorELNS0_4arch9wavefront6targetE1EEEvSH_
	.globl	_ZN7rocprim17ROCPRIM_400000_NS6detail17trampoline_kernelINS0_14default_configENS1_38merge_sort_block_merge_config_selectorIilEEZZNS1_27merge_sort_block_merge_implIS3_PiN6thrust23THRUST_200600_302600_NS10device_ptrIlEEjNS1_19radix_merge_compareILb0ELb0EiNS0_19identity_decomposerEEEEE10hipError_tT0_T1_T2_jT3_P12ihipStream_tbPNSt15iterator_traitsISG_E10value_typeEPNSM_ISH_E10value_typeEPSI_NS1_7vsmem_tEENKUlT_SG_SH_SI_E_clIS7_S7_PlSB_EESF_SV_SG_SH_SI_EUlSV_E1_NS1_11comp_targetILNS1_3genE8ELNS1_11target_archE1030ELNS1_3gpuE2ELNS1_3repE0EEENS1_36merge_oddeven_config_static_selectorELNS0_4arch9wavefront6targetE1EEEvSH_
	.p2align	8
	.type	_ZN7rocprim17ROCPRIM_400000_NS6detail17trampoline_kernelINS0_14default_configENS1_38merge_sort_block_merge_config_selectorIilEEZZNS1_27merge_sort_block_merge_implIS3_PiN6thrust23THRUST_200600_302600_NS10device_ptrIlEEjNS1_19radix_merge_compareILb0ELb0EiNS0_19identity_decomposerEEEEE10hipError_tT0_T1_T2_jT3_P12ihipStream_tbPNSt15iterator_traitsISG_E10value_typeEPNSM_ISH_E10value_typeEPSI_NS1_7vsmem_tEENKUlT_SG_SH_SI_E_clIS7_S7_PlSB_EESF_SV_SG_SH_SI_EUlSV_E1_NS1_11comp_targetILNS1_3genE8ELNS1_11target_archE1030ELNS1_3gpuE2ELNS1_3repE0EEENS1_36merge_oddeven_config_static_selectorELNS0_4arch9wavefront6targetE1EEEvSH_,@function
_ZN7rocprim17ROCPRIM_400000_NS6detail17trampoline_kernelINS0_14default_configENS1_38merge_sort_block_merge_config_selectorIilEEZZNS1_27merge_sort_block_merge_implIS3_PiN6thrust23THRUST_200600_302600_NS10device_ptrIlEEjNS1_19radix_merge_compareILb0ELb0EiNS0_19identity_decomposerEEEEE10hipError_tT0_T1_T2_jT3_P12ihipStream_tbPNSt15iterator_traitsISG_E10value_typeEPNSM_ISH_E10value_typeEPSI_NS1_7vsmem_tEENKUlT_SG_SH_SI_E_clIS7_S7_PlSB_EESF_SV_SG_SH_SI_EUlSV_E1_NS1_11comp_targetILNS1_3genE8ELNS1_11target_archE1030ELNS1_3gpuE2ELNS1_3repE0EEENS1_36merge_oddeven_config_static_selectorELNS0_4arch9wavefront6targetE1EEEvSH_: ; @_ZN7rocprim17ROCPRIM_400000_NS6detail17trampoline_kernelINS0_14default_configENS1_38merge_sort_block_merge_config_selectorIilEEZZNS1_27merge_sort_block_merge_implIS3_PiN6thrust23THRUST_200600_302600_NS10device_ptrIlEEjNS1_19radix_merge_compareILb0ELb0EiNS0_19identity_decomposerEEEEE10hipError_tT0_T1_T2_jT3_P12ihipStream_tbPNSt15iterator_traitsISG_E10value_typeEPNSM_ISH_E10value_typeEPSI_NS1_7vsmem_tEENKUlT_SG_SH_SI_E_clIS7_S7_PlSB_EESF_SV_SG_SH_SI_EUlSV_E1_NS1_11comp_targetILNS1_3genE8ELNS1_11target_archE1030ELNS1_3gpuE2ELNS1_3repE0EEENS1_36merge_oddeven_config_static_selectorELNS0_4arch9wavefront6targetE1EEEvSH_
; %bb.0:
	.section	.rodata,"a",@progbits
	.p2align	6, 0x0
	.amdhsa_kernel _ZN7rocprim17ROCPRIM_400000_NS6detail17trampoline_kernelINS0_14default_configENS1_38merge_sort_block_merge_config_selectorIilEEZZNS1_27merge_sort_block_merge_implIS3_PiN6thrust23THRUST_200600_302600_NS10device_ptrIlEEjNS1_19radix_merge_compareILb0ELb0EiNS0_19identity_decomposerEEEEE10hipError_tT0_T1_T2_jT3_P12ihipStream_tbPNSt15iterator_traitsISG_E10value_typeEPNSM_ISH_E10value_typeEPSI_NS1_7vsmem_tEENKUlT_SG_SH_SI_E_clIS7_S7_PlSB_EESF_SV_SG_SH_SI_EUlSV_E1_NS1_11comp_targetILNS1_3genE8ELNS1_11target_archE1030ELNS1_3gpuE2ELNS1_3repE0EEENS1_36merge_oddeven_config_static_selectorELNS0_4arch9wavefront6targetE1EEEvSH_
		.amdhsa_group_segment_fixed_size 0
		.amdhsa_private_segment_fixed_size 0
		.amdhsa_kernarg_size 48
		.amdhsa_user_sgpr_count 6
		.amdhsa_user_sgpr_private_segment_buffer 1
		.amdhsa_user_sgpr_dispatch_ptr 0
		.amdhsa_user_sgpr_queue_ptr 0
		.amdhsa_user_sgpr_kernarg_segment_ptr 1
		.amdhsa_user_sgpr_dispatch_id 0
		.amdhsa_user_sgpr_flat_scratch_init 0
		.amdhsa_user_sgpr_private_segment_size 0
		.amdhsa_uses_dynamic_stack 0
		.amdhsa_system_sgpr_private_segment_wavefront_offset 0
		.amdhsa_system_sgpr_workgroup_id_x 1
		.amdhsa_system_sgpr_workgroup_id_y 0
		.amdhsa_system_sgpr_workgroup_id_z 0
		.amdhsa_system_sgpr_workgroup_info 0
		.amdhsa_system_vgpr_workitem_id 0
		.amdhsa_next_free_vgpr 1
		.amdhsa_next_free_sgpr 0
		.amdhsa_reserve_vcc 0
		.amdhsa_reserve_flat_scratch 0
		.amdhsa_float_round_mode_32 0
		.amdhsa_float_round_mode_16_64 0
		.amdhsa_float_denorm_mode_32 3
		.amdhsa_float_denorm_mode_16_64 3
		.amdhsa_dx10_clamp 1
		.amdhsa_ieee_mode 1
		.amdhsa_fp16_overflow 0
		.amdhsa_exception_fp_ieee_invalid_op 0
		.amdhsa_exception_fp_denorm_src 0
		.amdhsa_exception_fp_ieee_div_zero 0
		.amdhsa_exception_fp_ieee_overflow 0
		.amdhsa_exception_fp_ieee_underflow 0
		.amdhsa_exception_fp_ieee_inexact 0
		.amdhsa_exception_int_div_zero 0
	.end_amdhsa_kernel
	.section	.text._ZN7rocprim17ROCPRIM_400000_NS6detail17trampoline_kernelINS0_14default_configENS1_38merge_sort_block_merge_config_selectorIilEEZZNS1_27merge_sort_block_merge_implIS3_PiN6thrust23THRUST_200600_302600_NS10device_ptrIlEEjNS1_19radix_merge_compareILb0ELb0EiNS0_19identity_decomposerEEEEE10hipError_tT0_T1_T2_jT3_P12ihipStream_tbPNSt15iterator_traitsISG_E10value_typeEPNSM_ISH_E10value_typeEPSI_NS1_7vsmem_tEENKUlT_SG_SH_SI_E_clIS7_S7_PlSB_EESF_SV_SG_SH_SI_EUlSV_E1_NS1_11comp_targetILNS1_3genE8ELNS1_11target_archE1030ELNS1_3gpuE2ELNS1_3repE0EEENS1_36merge_oddeven_config_static_selectorELNS0_4arch9wavefront6targetE1EEEvSH_,"axG",@progbits,_ZN7rocprim17ROCPRIM_400000_NS6detail17trampoline_kernelINS0_14default_configENS1_38merge_sort_block_merge_config_selectorIilEEZZNS1_27merge_sort_block_merge_implIS3_PiN6thrust23THRUST_200600_302600_NS10device_ptrIlEEjNS1_19radix_merge_compareILb0ELb0EiNS0_19identity_decomposerEEEEE10hipError_tT0_T1_T2_jT3_P12ihipStream_tbPNSt15iterator_traitsISG_E10value_typeEPNSM_ISH_E10value_typeEPSI_NS1_7vsmem_tEENKUlT_SG_SH_SI_E_clIS7_S7_PlSB_EESF_SV_SG_SH_SI_EUlSV_E1_NS1_11comp_targetILNS1_3genE8ELNS1_11target_archE1030ELNS1_3gpuE2ELNS1_3repE0EEENS1_36merge_oddeven_config_static_selectorELNS0_4arch9wavefront6targetE1EEEvSH_,comdat
.Lfunc_end767:
	.size	_ZN7rocprim17ROCPRIM_400000_NS6detail17trampoline_kernelINS0_14default_configENS1_38merge_sort_block_merge_config_selectorIilEEZZNS1_27merge_sort_block_merge_implIS3_PiN6thrust23THRUST_200600_302600_NS10device_ptrIlEEjNS1_19radix_merge_compareILb0ELb0EiNS0_19identity_decomposerEEEEE10hipError_tT0_T1_T2_jT3_P12ihipStream_tbPNSt15iterator_traitsISG_E10value_typeEPNSM_ISH_E10value_typeEPSI_NS1_7vsmem_tEENKUlT_SG_SH_SI_E_clIS7_S7_PlSB_EESF_SV_SG_SH_SI_EUlSV_E1_NS1_11comp_targetILNS1_3genE8ELNS1_11target_archE1030ELNS1_3gpuE2ELNS1_3repE0EEENS1_36merge_oddeven_config_static_selectorELNS0_4arch9wavefront6targetE1EEEvSH_, .Lfunc_end767-_ZN7rocprim17ROCPRIM_400000_NS6detail17trampoline_kernelINS0_14default_configENS1_38merge_sort_block_merge_config_selectorIilEEZZNS1_27merge_sort_block_merge_implIS3_PiN6thrust23THRUST_200600_302600_NS10device_ptrIlEEjNS1_19radix_merge_compareILb0ELb0EiNS0_19identity_decomposerEEEEE10hipError_tT0_T1_T2_jT3_P12ihipStream_tbPNSt15iterator_traitsISG_E10value_typeEPNSM_ISH_E10value_typeEPSI_NS1_7vsmem_tEENKUlT_SG_SH_SI_E_clIS7_S7_PlSB_EESF_SV_SG_SH_SI_EUlSV_E1_NS1_11comp_targetILNS1_3genE8ELNS1_11target_archE1030ELNS1_3gpuE2ELNS1_3repE0EEENS1_36merge_oddeven_config_static_selectorELNS0_4arch9wavefront6targetE1EEEvSH_
                                        ; -- End function
	.set _ZN7rocprim17ROCPRIM_400000_NS6detail17trampoline_kernelINS0_14default_configENS1_38merge_sort_block_merge_config_selectorIilEEZZNS1_27merge_sort_block_merge_implIS3_PiN6thrust23THRUST_200600_302600_NS10device_ptrIlEEjNS1_19radix_merge_compareILb0ELb0EiNS0_19identity_decomposerEEEEE10hipError_tT0_T1_T2_jT3_P12ihipStream_tbPNSt15iterator_traitsISG_E10value_typeEPNSM_ISH_E10value_typeEPSI_NS1_7vsmem_tEENKUlT_SG_SH_SI_E_clIS7_S7_PlSB_EESF_SV_SG_SH_SI_EUlSV_E1_NS1_11comp_targetILNS1_3genE8ELNS1_11target_archE1030ELNS1_3gpuE2ELNS1_3repE0EEENS1_36merge_oddeven_config_static_selectorELNS0_4arch9wavefront6targetE1EEEvSH_.num_vgpr, 0
	.set _ZN7rocprim17ROCPRIM_400000_NS6detail17trampoline_kernelINS0_14default_configENS1_38merge_sort_block_merge_config_selectorIilEEZZNS1_27merge_sort_block_merge_implIS3_PiN6thrust23THRUST_200600_302600_NS10device_ptrIlEEjNS1_19radix_merge_compareILb0ELb0EiNS0_19identity_decomposerEEEEE10hipError_tT0_T1_T2_jT3_P12ihipStream_tbPNSt15iterator_traitsISG_E10value_typeEPNSM_ISH_E10value_typeEPSI_NS1_7vsmem_tEENKUlT_SG_SH_SI_E_clIS7_S7_PlSB_EESF_SV_SG_SH_SI_EUlSV_E1_NS1_11comp_targetILNS1_3genE8ELNS1_11target_archE1030ELNS1_3gpuE2ELNS1_3repE0EEENS1_36merge_oddeven_config_static_selectorELNS0_4arch9wavefront6targetE1EEEvSH_.num_agpr, 0
	.set _ZN7rocprim17ROCPRIM_400000_NS6detail17trampoline_kernelINS0_14default_configENS1_38merge_sort_block_merge_config_selectorIilEEZZNS1_27merge_sort_block_merge_implIS3_PiN6thrust23THRUST_200600_302600_NS10device_ptrIlEEjNS1_19radix_merge_compareILb0ELb0EiNS0_19identity_decomposerEEEEE10hipError_tT0_T1_T2_jT3_P12ihipStream_tbPNSt15iterator_traitsISG_E10value_typeEPNSM_ISH_E10value_typeEPSI_NS1_7vsmem_tEENKUlT_SG_SH_SI_E_clIS7_S7_PlSB_EESF_SV_SG_SH_SI_EUlSV_E1_NS1_11comp_targetILNS1_3genE8ELNS1_11target_archE1030ELNS1_3gpuE2ELNS1_3repE0EEENS1_36merge_oddeven_config_static_selectorELNS0_4arch9wavefront6targetE1EEEvSH_.numbered_sgpr, 0
	.set _ZN7rocprim17ROCPRIM_400000_NS6detail17trampoline_kernelINS0_14default_configENS1_38merge_sort_block_merge_config_selectorIilEEZZNS1_27merge_sort_block_merge_implIS3_PiN6thrust23THRUST_200600_302600_NS10device_ptrIlEEjNS1_19radix_merge_compareILb0ELb0EiNS0_19identity_decomposerEEEEE10hipError_tT0_T1_T2_jT3_P12ihipStream_tbPNSt15iterator_traitsISG_E10value_typeEPNSM_ISH_E10value_typeEPSI_NS1_7vsmem_tEENKUlT_SG_SH_SI_E_clIS7_S7_PlSB_EESF_SV_SG_SH_SI_EUlSV_E1_NS1_11comp_targetILNS1_3genE8ELNS1_11target_archE1030ELNS1_3gpuE2ELNS1_3repE0EEENS1_36merge_oddeven_config_static_selectorELNS0_4arch9wavefront6targetE1EEEvSH_.num_named_barrier, 0
	.set _ZN7rocprim17ROCPRIM_400000_NS6detail17trampoline_kernelINS0_14default_configENS1_38merge_sort_block_merge_config_selectorIilEEZZNS1_27merge_sort_block_merge_implIS3_PiN6thrust23THRUST_200600_302600_NS10device_ptrIlEEjNS1_19radix_merge_compareILb0ELb0EiNS0_19identity_decomposerEEEEE10hipError_tT0_T1_T2_jT3_P12ihipStream_tbPNSt15iterator_traitsISG_E10value_typeEPNSM_ISH_E10value_typeEPSI_NS1_7vsmem_tEENKUlT_SG_SH_SI_E_clIS7_S7_PlSB_EESF_SV_SG_SH_SI_EUlSV_E1_NS1_11comp_targetILNS1_3genE8ELNS1_11target_archE1030ELNS1_3gpuE2ELNS1_3repE0EEENS1_36merge_oddeven_config_static_selectorELNS0_4arch9wavefront6targetE1EEEvSH_.private_seg_size, 0
	.set _ZN7rocprim17ROCPRIM_400000_NS6detail17trampoline_kernelINS0_14default_configENS1_38merge_sort_block_merge_config_selectorIilEEZZNS1_27merge_sort_block_merge_implIS3_PiN6thrust23THRUST_200600_302600_NS10device_ptrIlEEjNS1_19radix_merge_compareILb0ELb0EiNS0_19identity_decomposerEEEEE10hipError_tT0_T1_T2_jT3_P12ihipStream_tbPNSt15iterator_traitsISG_E10value_typeEPNSM_ISH_E10value_typeEPSI_NS1_7vsmem_tEENKUlT_SG_SH_SI_E_clIS7_S7_PlSB_EESF_SV_SG_SH_SI_EUlSV_E1_NS1_11comp_targetILNS1_3genE8ELNS1_11target_archE1030ELNS1_3gpuE2ELNS1_3repE0EEENS1_36merge_oddeven_config_static_selectorELNS0_4arch9wavefront6targetE1EEEvSH_.uses_vcc, 0
	.set _ZN7rocprim17ROCPRIM_400000_NS6detail17trampoline_kernelINS0_14default_configENS1_38merge_sort_block_merge_config_selectorIilEEZZNS1_27merge_sort_block_merge_implIS3_PiN6thrust23THRUST_200600_302600_NS10device_ptrIlEEjNS1_19radix_merge_compareILb0ELb0EiNS0_19identity_decomposerEEEEE10hipError_tT0_T1_T2_jT3_P12ihipStream_tbPNSt15iterator_traitsISG_E10value_typeEPNSM_ISH_E10value_typeEPSI_NS1_7vsmem_tEENKUlT_SG_SH_SI_E_clIS7_S7_PlSB_EESF_SV_SG_SH_SI_EUlSV_E1_NS1_11comp_targetILNS1_3genE8ELNS1_11target_archE1030ELNS1_3gpuE2ELNS1_3repE0EEENS1_36merge_oddeven_config_static_selectorELNS0_4arch9wavefront6targetE1EEEvSH_.uses_flat_scratch, 0
	.set _ZN7rocprim17ROCPRIM_400000_NS6detail17trampoline_kernelINS0_14default_configENS1_38merge_sort_block_merge_config_selectorIilEEZZNS1_27merge_sort_block_merge_implIS3_PiN6thrust23THRUST_200600_302600_NS10device_ptrIlEEjNS1_19radix_merge_compareILb0ELb0EiNS0_19identity_decomposerEEEEE10hipError_tT0_T1_T2_jT3_P12ihipStream_tbPNSt15iterator_traitsISG_E10value_typeEPNSM_ISH_E10value_typeEPSI_NS1_7vsmem_tEENKUlT_SG_SH_SI_E_clIS7_S7_PlSB_EESF_SV_SG_SH_SI_EUlSV_E1_NS1_11comp_targetILNS1_3genE8ELNS1_11target_archE1030ELNS1_3gpuE2ELNS1_3repE0EEENS1_36merge_oddeven_config_static_selectorELNS0_4arch9wavefront6targetE1EEEvSH_.has_dyn_sized_stack, 0
	.set _ZN7rocprim17ROCPRIM_400000_NS6detail17trampoline_kernelINS0_14default_configENS1_38merge_sort_block_merge_config_selectorIilEEZZNS1_27merge_sort_block_merge_implIS3_PiN6thrust23THRUST_200600_302600_NS10device_ptrIlEEjNS1_19radix_merge_compareILb0ELb0EiNS0_19identity_decomposerEEEEE10hipError_tT0_T1_T2_jT3_P12ihipStream_tbPNSt15iterator_traitsISG_E10value_typeEPNSM_ISH_E10value_typeEPSI_NS1_7vsmem_tEENKUlT_SG_SH_SI_E_clIS7_S7_PlSB_EESF_SV_SG_SH_SI_EUlSV_E1_NS1_11comp_targetILNS1_3genE8ELNS1_11target_archE1030ELNS1_3gpuE2ELNS1_3repE0EEENS1_36merge_oddeven_config_static_selectorELNS0_4arch9wavefront6targetE1EEEvSH_.has_recursion, 0
	.set _ZN7rocprim17ROCPRIM_400000_NS6detail17trampoline_kernelINS0_14default_configENS1_38merge_sort_block_merge_config_selectorIilEEZZNS1_27merge_sort_block_merge_implIS3_PiN6thrust23THRUST_200600_302600_NS10device_ptrIlEEjNS1_19radix_merge_compareILb0ELb0EiNS0_19identity_decomposerEEEEE10hipError_tT0_T1_T2_jT3_P12ihipStream_tbPNSt15iterator_traitsISG_E10value_typeEPNSM_ISH_E10value_typeEPSI_NS1_7vsmem_tEENKUlT_SG_SH_SI_E_clIS7_S7_PlSB_EESF_SV_SG_SH_SI_EUlSV_E1_NS1_11comp_targetILNS1_3genE8ELNS1_11target_archE1030ELNS1_3gpuE2ELNS1_3repE0EEENS1_36merge_oddeven_config_static_selectorELNS0_4arch9wavefront6targetE1EEEvSH_.has_indirect_call, 0
	.section	.AMDGPU.csdata,"",@progbits
; Kernel info:
; codeLenInByte = 0
; TotalNumSgprs: 4
; NumVgprs: 0
; ScratchSize: 0
; MemoryBound: 0
; FloatMode: 240
; IeeeMode: 1
; LDSByteSize: 0 bytes/workgroup (compile time only)
; SGPRBlocks: 0
; VGPRBlocks: 0
; NumSGPRsForWavesPerEU: 4
; NumVGPRsForWavesPerEU: 1
; Occupancy: 10
; WaveLimiterHint : 0
; COMPUTE_PGM_RSRC2:SCRATCH_EN: 0
; COMPUTE_PGM_RSRC2:USER_SGPR: 6
; COMPUTE_PGM_RSRC2:TRAP_HANDLER: 0
; COMPUTE_PGM_RSRC2:TGID_X_EN: 1
; COMPUTE_PGM_RSRC2:TGID_Y_EN: 0
; COMPUTE_PGM_RSRC2:TGID_Z_EN: 0
; COMPUTE_PGM_RSRC2:TIDIG_COMP_CNT: 0
	.section	.text._ZN7rocprim17ROCPRIM_400000_NS6detail17trampoline_kernelINS0_14default_configENS1_38merge_sort_block_merge_config_selectorIilEEZZNS1_27merge_sort_block_merge_implIS3_PiN6thrust23THRUST_200600_302600_NS10device_ptrIlEEjNS1_19radix_merge_compareILb0ELb0EiNS0_19identity_decomposerEEEEE10hipError_tT0_T1_T2_jT3_P12ihipStream_tbPNSt15iterator_traitsISG_E10value_typeEPNSM_ISH_E10value_typeEPSI_NS1_7vsmem_tEENKUlT_SG_SH_SI_E_clIS7_S7_SB_PlEESF_SV_SG_SH_SI_EUlSV_E_NS1_11comp_targetILNS1_3genE0ELNS1_11target_archE4294967295ELNS1_3gpuE0ELNS1_3repE0EEENS1_48merge_mergepath_partition_config_static_selectorELNS0_4arch9wavefront6targetE1EEEvSH_,"axG",@progbits,_ZN7rocprim17ROCPRIM_400000_NS6detail17trampoline_kernelINS0_14default_configENS1_38merge_sort_block_merge_config_selectorIilEEZZNS1_27merge_sort_block_merge_implIS3_PiN6thrust23THRUST_200600_302600_NS10device_ptrIlEEjNS1_19radix_merge_compareILb0ELb0EiNS0_19identity_decomposerEEEEE10hipError_tT0_T1_T2_jT3_P12ihipStream_tbPNSt15iterator_traitsISG_E10value_typeEPNSM_ISH_E10value_typeEPSI_NS1_7vsmem_tEENKUlT_SG_SH_SI_E_clIS7_S7_SB_PlEESF_SV_SG_SH_SI_EUlSV_E_NS1_11comp_targetILNS1_3genE0ELNS1_11target_archE4294967295ELNS1_3gpuE0ELNS1_3repE0EEENS1_48merge_mergepath_partition_config_static_selectorELNS0_4arch9wavefront6targetE1EEEvSH_,comdat
	.protected	_ZN7rocprim17ROCPRIM_400000_NS6detail17trampoline_kernelINS0_14default_configENS1_38merge_sort_block_merge_config_selectorIilEEZZNS1_27merge_sort_block_merge_implIS3_PiN6thrust23THRUST_200600_302600_NS10device_ptrIlEEjNS1_19radix_merge_compareILb0ELb0EiNS0_19identity_decomposerEEEEE10hipError_tT0_T1_T2_jT3_P12ihipStream_tbPNSt15iterator_traitsISG_E10value_typeEPNSM_ISH_E10value_typeEPSI_NS1_7vsmem_tEENKUlT_SG_SH_SI_E_clIS7_S7_SB_PlEESF_SV_SG_SH_SI_EUlSV_E_NS1_11comp_targetILNS1_3genE0ELNS1_11target_archE4294967295ELNS1_3gpuE0ELNS1_3repE0EEENS1_48merge_mergepath_partition_config_static_selectorELNS0_4arch9wavefront6targetE1EEEvSH_ ; -- Begin function _ZN7rocprim17ROCPRIM_400000_NS6detail17trampoline_kernelINS0_14default_configENS1_38merge_sort_block_merge_config_selectorIilEEZZNS1_27merge_sort_block_merge_implIS3_PiN6thrust23THRUST_200600_302600_NS10device_ptrIlEEjNS1_19radix_merge_compareILb0ELb0EiNS0_19identity_decomposerEEEEE10hipError_tT0_T1_T2_jT3_P12ihipStream_tbPNSt15iterator_traitsISG_E10value_typeEPNSM_ISH_E10value_typeEPSI_NS1_7vsmem_tEENKUlT_SG_SH_SI_E_clIS7_S7_SB_PlEESF_SV_SG_SH_SI_EUlSV_E_NS1_11comp_targetILNS1_3genE0ELNS1_11target_archE4294967295ELNS1_3gpuE0ELNS1_3repE0EEENS1_48merge_mergepath_partition_config_static_selectorELNS0_4arch9wavefront6targetE1EEEvSH_
	.globl	_ZN7rocprim17ROCPRIM_400000_NS6detail17trampoline_kernelINS0_14default_configENS1_38merge_sort_block_merge_config_selectorIilEEZZNS1_27merge_sort_block_merge_implIS3_PiN6thrust23THRUST_200600_302600_NS10device_ptrIlEEjNS1_19radix_merge_compareILb0ELb0EiNS0_19identity_decomposerEEEEE10hipError_tT0_T1_T2_jT3_P12ihipStream_tbPNSt15iterator_traitsISG_E10value_typeEPNSM_ISH_E10value_typeEPSI_NS1_7vsmem_tEENKUlT_SG_SH_SI_E_clIS7_S7_SB_PlEESF_SV_SG_SH_SI_EUlSV_E_NS1_11comp_targetILNS1_3genE0ELNS1_11target_archE4294967295ELNS1_3gpuE0ELNS1_3repE0EEENS1_48merge_mergepath_partition_config_static_selectorELNS0_4arch9wavefront6targetE1EEEvSH_
	.p2align	8
	.type	_ZN7rocprim17ROCPRIM_400000_NS6detail17trampoline_kernelINS0_14default_configENS1_38merge_sort_block_merge_config_selectorIilEEZZNS1_27merge_sort_block_merge_implIS3_PiN6thrust23THRUST_200600_302600_NS10device_ptrIlEEjNS1_19radix_merge_compareILb0ELb0EiNS0_19identity_decomposerEEEEE10hipError_tT0_T1_T2_jT3_P12ihipStream_tbPNSt15iterator_traitsISG_E10value_typeEPNSM_ISH_E10value_typeEPSI_NS1_7vsmem_tEENKUlT_SG_SH_SI_E_clIS7_S7_SB_PlEESF_SV_SG_SH_SI_EUlSV_E_NS1_11comp_targetILNS1_3genE0ELNS1_11target_archE4294967295ELNS1_3gpuE0ELNS1_3repE0EEENS1_48merge_mergepath_partition_config_static_selectorELNS0_4arch9wavefront6targetE1EEEvSH_,@function
_ZN7rocprim17ROCPRIM_400000_NS6detail17trampoline_kernelINS0_14default_configENS1_38merge_sort_block_merge_config_selectorIilEEZZNS1_27merge_sort_block_merge_implIS3_PiN6thrust23THRUST_200600_302600_NS10device_ptrIlEEjNS1_19radix_merge_compareILb0ELb0EiNS0_19identity_decomposerEEEEE10hipError_tT0_T1_T2_jT3_P12ihipStream_tbPNSt15iterator_traitsISG_E10value_typeEPNSM_ISH_E10value_typeEPSI_NS1_7vsmem_tEENKUlT_SG_SH_SI_E_clIS7_S7_SB_PlEESF_SV_SG_SH_SI_EUlSV_E_NS1_11comp_targetILNS1_3genE0ELNS1_11target_archE4294967295ELNS1_3gpuE0ELNS1_3repE0EEENS1_48merge_mergepath_partition_config_static_selectorELNS0_4arch9wavefront6targetE1EEEvSH_: ; @_ZN7rocprim17ROCPRIM_400000_NS6detail17trampoline_kernelINS0_14default_configENS1_38merge_sort_block_merge_config_selectorIilEEZZNS1_27merge_sort_block_merge_implIS3_PiN6thrust23THRUST_200600_302600_NS10device_ptrIlEEjNS1_19radix_merge_compareILb0ELb0EiNS0_19identity_decomposerEEEEE10hipError_tT0_T1_T2_jT3_P12ihipStream_tbPNSt15iterator_traitsISG_E10value_typeEPNSM_ISH_E10value_typeEPSI_NS1_7vsmem_tEENKUlT_SG_SH_SI_E_clIS7_S7_SB_PlEESF_SV_SG_SH_SI_EUlSV_E_NS1_11comp_targetILNS1_3genE0ELNS1_11target_archE4294967295ELNS1_3gpuE0ELNS1_3repE0EEENS1_48merge_mergepath_partition_config_static_selectorELNS0_4arch9wavefront6targetE1EEEvSH_
; %bb.0:
	.section	.rodata,"a",@progbits
	.p2align	6, 0x0
	.amdhsa_kernel _ZN7rocprim17ROCPRIM_400000_NS6detail17trampoline_kernelINS0_14default_configENS1_38merge_sort_block_merge_config_selectorIilEEZZNS1_27merge_sort_block_merge_implIS3_PiN6thrust23THRUST_200600_302600_NS10device_ptrIlEEjNS1_19radix_merge_compareILb0ELb0EiNS0_19identity_decomposerEEEEE10hipError_tT0_T1_T2_jT3_P12ihipStream_tbPNSt15iterator_traitsISG_E10value_typeEPNSM_ISH_E10value_typeEPSI_NS1_7vsmem_tEENKUlT_SG_SH_SI_E_clIS7_S7_SB_PlEESF_SV_SG_SH_SI_EUlSV_E_NS1_11comp_targetILNS1_3genE0ELNS1_11target_archE4294967295ELNS1_3gpuE0ELNS1_3repE0EEENS1_48merge_mergepath_partition_config_static_selectorELNS0_4arch9wavefront6targetE1EEEvSH_
		.amdhsa_group_segment_fixed_size 0
		.amdhsa_private_segment_fixed_size 0
		.amdhsa_kernarg_size 40
		.amdhsa_user_sgpr_count 6
		.amdhsa_user_sgpr_private_segment_buffer 1
		.amdhsa_user_sgpr_dispatch_ptr 0
		.amdhsa_user_sgpr_queue_ptr 0
		.amdhsa_user_sgpr_kernarg_segment_ptr 1
		.amdhsa_user_sgpr_dispatch_id 0
		.amdhsa_user_sgpr_flat_scratch_init 0
		.amdhsa_user_sgpr_private_segment_size 0
		.amdhsa_uses_dynamic_stack 0
		.amdhsa_system_sgpr_private_segment_wavefront_offset 0
		.amdhsa_system_sgpr_workgroup_id_x 1
		.amdhsa_system_sgpr_workgroup_id_y 0
		.amdhsa_system_sgpr_workgroup_id_z 0
		.amdhsa_system_sgpr_workgroup_info 0
		.amdhsa_system_vgpr_workitem_id 0
		.amdhsa_next_free_vgpr 1
		.amdhsa_next_free_sgpr 0
		.amdhsa_reserve_vcc 0
		.amdhsa_reserve_flat_scratch 0
		.amdhsa_float_round_mode_32 0
		.amdhsa_float_round_mode_16_64 0
		.amdhsa_float_denorm_mode_32 3
		.amdhsa_float_denorm_mode_16_64 3
		.amdhsa_dx10_clamp 1
		.amdhsa_ieee_mode 1
		.amdhsa_fp16_overflow 0
		.amdhsa_exception_fp_ieee_invalid_op 0
		.amdhsa_exception_fp_denorm_src 0
		.amdhsa_exception_fp_ieee_div_zero 0
		.amdhsa_exception_fp_ieee_overflow 0
		.amdhsa_exception_fp_ieee_underflow 0
		.amdhsa_exception_fp_ieee_inexact 0
		.amdhsa_exception_int_div_zero 0
	.end_amdhsa_kernel
	.section	.text._ZN7rocprim17ROCPRIM_400000_NS6detail17trampoline_kernelINS0_14default_configENS1_38merge_sort_block_merge_config_selectorIilEEZZNS1_27merge_sort_block_merge_implIS3_PiN6thrust23THRUST_200600_302600_NS10device_ptrIlEEjNS1_19radix_merge_compareILb0ELb0EiNS0_19identity_decomposerEEEEE10hipError_tT0_T1_T2_jT3_P12ihipStream_tbPNSt15iterator_traitsISG_E10value_typeEPNSM_ISH_E10value_typeEPSI_NS1_7vsmem_tEENKUlT_SG_SH_SI_E_clIS7_S7_SB_PlEESF_SV_SG_SH_SI_EUlSV_E_NS1_11comp_targetILNS1_3genE0ELNS1_11target_archE4294967295ELNS1_3gpuE0ELNS1_3repE0EEENS1_48merge_mergepath_partition_config_static_selectorELNS0_4arch9wavefront6targetE1EEEvSH_,"axG",@progbits,_ZN7rocprim17ROCPRIM_400000_NS6detail17trampoline_kernelINS0_14default_configENS1_38merge_sort_block_merge_config_selectorIilEEZZNS1_27merge_sort_block_merge_implIS3_PiN6thrust23THRUST_200600_302600_NS10device_ptrIlEEjNS1_19radix_merge_compareILb0ELb0EiNS0_19identity_decomposerEEEEE10hipError_tT0_T1_T2_jT3_P12ihipStream_tbPNSt15iterator_traitsISG_E10value_typeEPNSM_ISH_E10value_typeEPSI_NS1_7vsmem_tEENKUlT_SG_SH_SI_E_clIS7_S7_SB_PlEESF_SV_SG_SH_SI_EUlSV_E_NS1_11comp_targetILNS1_3genE0ELNS1_11target_archE4294967295ELNS1_3gpuE0ELNS1_3repE0EEENS1_48merge_mergepath_partition_config_static_selectorELNS0_4arch9wavefront6targetE1EEEvSH_,comdat
.Lfunc_end768:
	.size	_ZN7rocprim17ROCPRIM_400000_NS6detail17trampoline_kernelINS0_14default_configENS1_38merge_sort_block_merge_config_selectorIilEEZZNS1_27merge_sort_block_merge_implIS3_PiN6thrust23THRUST_200600_302600_NS10device_ptrIlEEjNS1_19radix_merge_compareILb0ELb0EiNS0_19identity_decomposerEEEEE10hipError_tT0_T1_T2_jT3_P12ihipStream_tbPNSt15iterator_traitsISG_E10value_typeEPNSM_ISH_E10value_typeEPSI_NS1_7vsmem_tEENKUlT_SG_SH_SI_E_clIS7_S7_SB_PlEESF_SV_SG_SH_SI_EUlSV_E_NS1_11comp_targetILNS1_3genE0ELNS1_11target_archE4294967295ELNS1_3gpuE0ELNS1_3repE0EEENS1_48merge_mergepath_partition_config_static_selectorELNS0_4arch9wavefront6targetE1EEEvSH_, .Lfunc_end768-_ZN7rocprim17ROCPRIM_400000_NS6detail17trampoline_kernelINS0_14default_configENS1_38merge_sort_block_merge_config_selectorIilEEZZNS1_27merge_sort_block_merge_implIS3_PiN6thrust23THRUST_200600_302600_NS10device_ptrIlEEjNS1_19radix_merge_compareILb0ELb0EiNS0_19identity_decomposerEEEEE10hipError_tT0_T1_T2_jT3_P12ihipStream_tbPNSt15iterator_traitsISG_E10value_typeEPNSM_ISH_E10value_typeEPSI_NS1_7vsmem_tEENKUlT_SG_SH_SI_E_clIS7_S7_SB_PlEESF_SV_SG_SH_SI_EUlSV_E_NS1_11comp_targetILNS1_3genE0ELNS1_11target_archE4294967295ELNS1_3gpuE0ELNS1_3repE0EEENS1_48merge_mergepath_partition_config_static_selectorELNS0_4arch9wavefront6targetE1EEEvSH_
                                        ; -- End function
	.set _ZN7rocprim17ROCPRIM_400000_NS6detail17trampoline_kernelINS0_14default_configENS1_38merge_sort_block_merge_config_selectorIilEEZZNS1_27merge_sort_block_merge_implIS3_PiN6thrust23THRUST_200600_302600_NS10device_ptrIlEEjNS1_19radix_merge_compareILb0ELb0EiNS0_19identity_decomposerEEEEE10hipError_tT0_T1_T2_jT3_P12ihipStream_tbPNSt15iterator_traitsISG_E10value_typeEPNSM_ISH_E10value_typeEPSI_NS1_7vsmem_tEENKUlT_SG_SH_SI_E_clIS7_S7_SB_PlEESF_SV_SG_SH_SI_EUlSV_E_NS1_11comp_targetILNS1_3genE0ELNS1_11target_archE4294967295ELNS1_3gpuE0ELNS1_3repE0EEENS1_48merge_mergepath_partition_config_static_selectorELNS0_4arch9wavefront6targetE1EEEvSH_.num_vgpr, 0
	.set _ZN7rocprim17ROCPRIM_400000_NS6detail17trampoline_kernelINS0_14default_configENS1_38merge_sort_block_merge_config_selectorIilEEZZNS1_27merge_sort_block_merge_implIS3_PiN6thrust23THRUST_200600_302600_NS10device_ptrIlEEjNS1_19radix_merge_compareILb0ELb0EiNS0_19identity_decomposerEEEEE10hipError_tT0_T1_T2_jT3_P12ihipStream_tbPNSt15iterator_traitsISG_E10value_typeEPNSM_ISH_E10value_typeEPSI_NS1_7vsmem_tEENKUlT_SG_SH_SI_E_clIS7_S7_SB_PlEESF_SV_SG_SH_SI_EUlSV_E_NS1_11comp_targetILNS1_3genE0ELNS1_11target_archE4294967295ELNS1_3gpuE0ELNS1_3repE0EEENS1_48merge_mergepath_partition_config_static_selectorELNS0_4arch9wavefront6targetE1EEEvSH_.num_agpr, 0
	.set _ZN7rocprim17ROCPRIM_400000_NS6detail17trampoline_kernelINS0_14default_configENS1_38merge_sort_block_merge_config_selectorIilEEZZNS1_27merge_sort_block_merge_implIS3_PiN6thrust23THRUST_200600_302600_NS10device_ptrIlEEjNS1_19radix_merge_compareILb0ELb0EiNS0_19identity_decomposerEEEEE10hipError_tT0_T1_T2_jT3_P12ihipStream_tbPNSt15iterator_traitsISG_E10value_typeEPNSM_ISH_E10value_typeEPSI_NS1_7vsmem_tEENKUlT_SG_SH_SI_E_clIS7_S7_SB_PlEESF_SV_SG_SH_SI_EUlSV_E_NS1_11comp_targetILNS1_3genE0ELNS1_11target_archE4294967295ELNS1_3gpuE0ELNS1_3repE0EEENS1_48merge_mergepath_partition_config_static_selectorELNS0_4arch9wavefront6targetE1EEEvSH_.numbered_sgpr, 0
	.set _ZN7rocprim17ROCPRIM_400000_NS6detail17trampoline_kernelINS0_14default_configENS1_38merge_sort_block_merge_config_selectorIilEEZZNS1_27merge_sort_block_merge_implIS3_PiN6thrust23THRUST_200600_302600_NS10device_ptrIlEEjNS1_19radix_merge_compareILb0ELb0EiNS0_19identity_decomposerEEEEE10hipError_tT0_T1_T2_jT3_P12ihipStream_tbPNSt15iterator_traitsISG_E10value_typeEPNSM_ISH_E10value_typeEPSI_NS1_7vsmem_tEENKUlT_SG_SH_SI_E_clIS7_S7_SB_PlEESF_SV_SG_SH_SI_EUlSV_E_NS1_11comp_targetILNS1_3genE0ELNS1_11target_archE4294967295ELNS1_3gpuE0ELNS1_3repE0EEENS1_48merge_mergepath_partition_config_static_selectorELNS0_4arch9wavefront6targetE1EEEvSH_.num_named_barrier, 0
	.set _ZN7rocprim17ROCPRIM_400000_NS6detail17trampoline_kernelINS0_14default_configENS1_38merge_sort_block_merge_config_selectorIilEEZZNS1_27merge_sort_block_merge_implIS3_PiN6thrust23THRUST_200600_302600_NS10device_ptrIlEEjNS1_19radix_merge_compareILb0ELb0EiNS0_19identity_decomposerEEEEE10hipError_tT0_T1_T2_jT3_P12ihipStream_tbPNSt15iterator_traitsISG_E10value_typeEPNSM_ISH_E10value_typeEPSI_NS1_7vsmem_tEENKUlT_SG_SH_SI_E_clIS7_S7_SB_PlEESF_SV_SG_SH_SI_EUlSV_E_NS1_11comp_targetILNS1_3genE0ELNS1_11target_archE4294967295ELNS1_3gpuE0ELNS1_3repE0EEENS1_48merge_mergepath_partition_config_static_selectorELNS0_4arch9wavefront6targetE1EEEvSH_.private_seg_size, 0
	.set _ZN7rocprim17ROCPRIM_400000_NS6detail17trampoline_kernelINS0_14default_configENS1_38merge_sort_block_merge_config_selectorIilEEZZNS1_27merge_sort_block_merge_implIS3_PiN6thrust23THRUST_200600_302600_NS10device_ptrIlEEjNS1_19radix_merge_compareILb0ELb0EiNS0_19identity_decomposerEEEEE10hipError_tT0_T1_T2_jT3_P12ihipStream_tbPNSt15iterator_traitsISG_E10value_typeEPNSM_ISH_E10value_typeEPSI_NS1_7vsmem_tEENKUlT_SG_SH_SI_E_clIS7_S7_SB_PlEESF_SV_SG_SH_SI_EUlSV_E_NS1_11comp_targetILNS1_3genE0ELNS1_11target_archE4294967295ELNS1_3gpuE0ELNS1_3repE0EEENS1_48merge_mergepath_partition_config_static_selectorELNS0_4arch9wavefront6targetE1EEEvSH_.uses_vcc, 0
	.set _ZN7rocprim17ROCPRIM_400000_NS6detail17trampoline_kernelINS0_14default_configENS1_38merge_sort_block_merge_config_selectorIilEEZZNS1_27merge_sort_block_merge_implIS3_PiN6thrust23THRUST_200600_302600_NS10device_ptrIlEEjNS1_19radix_merge_compareILb0ELb0EiNS0_19identity_decomposerEEEEE10hipError_tT0_T1_T2_jT3_P12ihipStream_tbPNSt15iterator_traitsISG_E10value_typeEPNSM_ISH_E10value_typeEPSI_NS1_7vsmem_tEENKUlT_SG_SH_SI_E_clIS7_S7_SB_PlEESF_SV_SG_SH_SI_EUlSV_E_NS1_11comp_targetILNS1_3genE0ELNS1_11target_archE4294967295ELNS1_3gpuE0ELNS1_3repE0EEENS1_48merge_mergepath_partition_config_static_selectorELNS0_4arch9wavefront6targetE1EEEvSH_.uses_flat_scratch, 0
	.set _ZN7rocprim17ROCPRIM_400000_NS6detail17trampoline_kernelINS0_14default_configENS1_38merge_sort_block_merge_config_selectorIilEEZZNS1_27merge_sort_block_merge_implIS3_PiN6thrust23THRUST_200600_302600_NS10device_ptrIlEEjNS1_19radix_merge_compareILb0ELb0EiNS0_19identity_decomposerEEEEE10hipError_tT0_T1_T2_jT3_P12ihipStream_tbPNSt15iterator_traitsISG_E10value_typeEPNSM_ISH_E10value_typeEPSI_NS1_7vsmem_tEENKUlT_SG_SH_SI_E_clIS7_S7_SB_PlEESF_SV_SG_SH_SI_EUlSV_E_NS1_11comp_targetILNS1_3genE0ELNS1_11target_archE4294967295ELNS1_3gpuE0ELNS1_3repE0EEENS1_48merge_mergepath_partition_config_static_selectorELNS0_4arch9wavefront6targetE1EEEvSH_.has_dyn_sized_stack, 0
	.set _ZN7rocprim17ROCPRIM_400000_NS6detail17trampoline_kernelINS0_14default_configENS1_38merge_sort_block_merge_config_selectorIilEEZZNS1_27merge_sort_block_merge_implIS3_PiN6thrust23THRUST_200600_302600_NS10device_ptrIlEEjNS1_19radix_merge_compareILb0ELb0EiNS0_19identity_decomposerEEEEE10hipError_tT0_T1_T2_jT3_P12ihipStream_tbPNSt15iterator_traitsISG_E10value_typeEPNSM_ISH_E10value_typeEPSI_NS1_7vsmem_tEENKUlT_SG_SH_SI_E_clIS7_S7_SB_PlEESF_SV_SG_SH_SI_EUlSV_E_NS1_11comp_targetILNS1_3genE0ELNS1_11target_archE4294967295ELNS1_3gpuE0ELNS1_3repE0EEENS1_48merge_mergepath_partition_config_static_selectorELNS0_4arch9wavefront6targetE1EEEvSH_.has_recursion, 0
	.set _ZN7rocprim17ROCPRIM_400000_NS6detail17trampoline_kernelINS0_14default_configENS1_38merge_sort_block_merge_config_selectorIilEEZZNS1_27merge_sort_block_merge_implIS3_PiN6thrust23THRUST_200600_302600_NS10device_ptrIlEEjNS1_19radix_merge_compareILb0ELb0EiNS0_19identity_decomposerEEEEE10hipError_tT0_T1_T2_jT3_P12ihipStream_tbPNSt15iterator_traitsISG_E10value_typeEPNSM_ISH_E10value_typeEPSI_NS1_7vsmem_tEENKUlT_SG_SH_SI_E_clIS7_S7_SB_PlEESF_SV_SG_SH_SI_EUlSV_E_NS1_11comp_targetILNS1_3genE0ELNS1_11target_archE4294967295ELNS1_3gpuE0ELNS1_3repE0EEENS1_48merge_mergepath_partition_config_static_selectorELNS0_4arch9wavefront6targetE1EEEvSH_.has_indirect_call, 0
	.section	.AMDGPU.csdata,"",@progbits
; Kernel info:
; codeLenInByte = 0
; TotalNumSgprs: 4
; NumVgprs: 0
; ScratchSize: 0
; MemoryBound: 0
; FloatMode: 240
; IeeeMode: 1
; LDSByteSize: 0 bytes/workgroup (compile time only)
; SGPRBlocks: 0
; VGPRBlocks: 0
; NumSGPRsForWavesPerEU: 4
; NumVGPRsForWavesPerEU: 1
; Occupancy: 10
; WaveLimiterHint : 0
; COMPUTE_PGM_RSRC2:SCRATCH_EN: 0
; COMPUTE_PGM_RSRC2:USER_SGPR: 6
; COMPUTE_PGM_RSRC2:TRAP_HANDLER: 0
; COMPUTE_PGM_RSRC2:TGID_X_EN: 1
; COMPUTE_PGM_RSRC2:TGID_Y_EN: 0
; COMPUTE_PGM_RSRC2:TGID_Z_EN: 0
; COMPUTE_PGM_RSRC2:TIDIG_COMP_CNT: 0
	.section	.text._ZN7rocprim17ROCPRIM_400000_NS6detail17trampoline_kernelINS0_14default_configENS1_38merge_sort_block_merge_config_selectorIilEEZZNS1_27merge_sort_block_merge_implIS3_PiN6thrust23THRUST_200600_302600_NS10device_ptrIlEEjNS1_19radix_merge_compareILb0ELb0EiNS0_19identity_decomposerEEEEE10hipError_tT0_T1_T2_jT3_P12ihipStream_tbPNSt15iterator_traitsISG_E10value_typeEPNSM_ISH_E10value_typeEPSI_NS1_7vsmem_tEENKUlT_SG_SH_SI_E_clIS7_S7_SB_PlEESF_SV_SG_SH_SI_EUlSV_E_NS1_11comp_targetILNS1_3genE10ELNS1_11target_archE1201ELNS1_3gpuE5ELNS1_3repE0EEENS1_48merge_mergepath_partition_config_static_selectorELNS0_4arch9wavefront6targetE1EEEvSH_,"axG",@progbits,_ZN7rocprim17ROCPRIM_400000_NS6detail17trampoline_kernelINS0_14default_configENS1_38merge_sort_block_merge_config_selectorIilEEZZNS1_27merge_sort_block_merge_implIS3_PiN6thrust23THRUST_200600_302600_NS10device_ptrIlEEjNS1_19radix_merge_compareILb0ELb0EiNS0_19identity_decomposerEEEEE10hipError_tT0_T1_T2_jT3_P12ihipStream_tbPNSt15iterator_traitsISG_E10value_typeEPNSM_ISH_E10value_typeEPSI_NS1_7vsmem_tEENKUlT_SG_SH_SI_E_clIS7_S7_SB_PlEESF_SV_SG_SH_SI_EUlSV_E_NS1_11comp_targetILNS1_3genE10ELNS1_11target_archE1201ELNS1_3gpuE5ELNS1_3repE0EEENS1_48merge_mergepath_partition_config_static_selectorELNS0_4arch9wavefront6targetE1EEEvSH_,comdat
	.protected	_ZN7rocprim17ROCPRIM_400000_NS6detail17trampoline_kernelINS0_14default_configENS1_38merge_sort_block_merge_config_selectorIilEEZZNS1_27merge_sort_block_merge_implIS3_PiN6thrust23THRUST_200600_302600_NS10device_ptrIlEEjNS1_19radix_merge_compareILb0ELb0EiNS0_19identity_decomposerEEEEE10hipError_tT0_T1_T2_jT3_P12ihipStream_tbPNSt15iterator_traitsISG_E10value_typeEPNSM_ISH_E10value_typeEPSI_NS1_7vsmem_tEENKUlT_SG_SH_SI_E_clIS7_S7_SB_PlEESF_SV_SG_SH_SI_EUlSV_E_NS1_11comp_targetILNS1_3genE10ELNS1_11target_archE1201ELNS1_3gpuE5ELNS1_3repE0EEENS1_48merge_mergepath_partition_config_static_selectorELNS0_4arch9wavefront6targetE1EEEvSH_ ; -- Begin function _ZN7rocprim17ROCPRIM_400000_NS6detail17trampoline_kernelINS0_14default_configENS1_38merge_sort_block_merge_config_selectorIilEEZZNS1_27merge_sort_block_merge_implIS3_PiN6thrust23THRUST_200600_302600_NS10device_ptrIlEEjNS1_19radix_merge_compareILb0ELb0EiNS0_19identity_decomposerEEEEE10hipError_tT0_T1_T2_jT3_P12ihipStream_tbPNSt15iterator_traitsISG_E10value_typeEPNSM_ISH_E10value_typeEPSI_NS1_7vsmem_tEENKUlT_SG_SH_SI_E_clIS7_S7_SB_PlEESF_SV_SG_SH_SI_EUlSV_E_NS1_11comp_targetILNS1_3genE10ELNS1_11target_archE1201ELNS1_3gpuE5ELNS1_3repE0EEENS1_48merge_mergepath_partition_config_static_selectorELNS0_4arch9wavefront6targetE1EEEvSH_
	.globl	_ZN7rocprim17ROCPRIM_400000_NS6detail17trampoline_kernelINS0_14default_configENS1_38merge_sort_block_merge_config_selectorIilEEZZNS1_27merge_sort_block_merge_implIS3_PiN6thrust23THRUST_200600_302600_NS10device_ptrIlEEjNS1_19radix_merge_compareILb0ELb0EiNS0_19identity_decomposerEEEEE10hipError_tT0_T1_T2_jT3_P12ihipStream_tbPNSt15iterator_traitsISG_E10value_typeEPNSM_ISH_E10value_typeEPSI_NS1_7vsmem_tEENKUlT_SG_SH_SI_E_clIS7_S7_SB_PlEESF_SV_SG_SH_SI_EUlSV_E_NS1_11comp_targetILNS1_3genE10ELNS1_11target_archE1201ELNS1_3gpuE5ELNS1_3repE0EEENS1_48merge_mergepath_partition_config_static_selectorELNS0_4arch9wavefront6targetE1EEEvSH_
	.p2align	8
	.type	_ZN7rocprim17ROCPRIM_400000_NS6detail17trampoline_kernelINS0_14default_configENS1_38merge_sort_block_merge_config_selectorIilEEZZNS1_27merge_sort_block_merge_implIS3_PiN6thrust23THRUST_200600_302600_NS10device_ptrIlEEjNS1_19radix_merge_compareILb0ELb0EiNS0_19identity_decomposerEEEEE10hipError_tT0_T1_T2_jT3_P12ihipStream_tbPNSt15iterator_traitsISG_E10value_typeEPNSM_ISH_E10value_typeEPSI_NS1_7vsmem_tEENKUlT_SG_SH_SI_E_clIS7_S7_SB_PlEESF_SV_SG_SH_SI_EUlSV_E_NS1_11comp_targetILNS1_3genE10ELNS1_11target_archE1201ELNS1_3gpuE5ELNS1_3repE0EEENS1_48merge_mergepath_partition_config_static_selectorELNS0_4arch9wavefront6targetE1EEEvSH_,@function
_ZN7rocprim17ROCPRIM_400000_NS6detail17trampoline_kernelINS0_14default_configENS1_38merge_sort_block_merge_config_selectorIilEEZZNS1_27merge_sort_block_merge_implIS3_PiN6thrust23THRUST_200600_302600_NS10device_ptrIlEEjNS1_19radix_merge_compareILb0ELb0EiNS0_19identity_decomposerEEEEE10hipError_tT0_T1_T2_jT3_P12ihipStream_tbPNSt15iterator_traitsISG_E10value_typeEPNSM_ISH_E10value_typeEPSI_NS1_7vsmem_tEENKUlT_SG_SH_SI_E_clIS7_S7_SB_PlEESF_SV_SG_SH_SI_EUlSV_E_NS1_11comp_targetILNS1_3genE10ELNS1_11target_archE1201ELNS1_3gpuE5ELNS1_3repE0EEENS1_48merge_mergepath_partition_config_static_selectorELNS0_4arch9wavefront6targetE1EEEvSH_: ; @_ZN7rocprim17ROCPRIM_400000_NS6detail17trampoline_kernelINS0_14default_configENS1_38merge_sort_block_merge_config_selectorIilEEZZNS1_27merge_sort_block_merge_implIS3_PiN6thrust23THRUST_200600_302600_NS10device_ptrIlEEjNS1_19radix_merge_compareILb0ELb0EiNS0_19identity_decomposerEEEEE10hipError_tT0_T1_T2_jT3_P12ihipStream_tbPNSt15iterator_traitsISG_E10value_typeEPNSM_ISH_E10value_typeEPSI_NS1_7vsmem_tEENKUlT_SG_SH_SI_E_clIS7_S7_SB_PlEESF_SV_SG_SH_SI_EUlSV_E_NS1_11comp_targetILNS1_3genE10ELNS1_11target_archE1201ELNS1_3gpuE5ELNS1_3repE0EEENS1_48merge_mergepath_partition_config_static_selectorELNS0_4arch9wavefront6targetE1EEEvSH_
; %bb.0:
	.section	.rodata,"a",@progbits
	.p2align	6, 0x0
	.amdhsa_kernel _ZN7rocprim17ROCPRIM_400000_NS6detail17trampoline_kernelINS0_14default_configENS1_38merge_sort_block_merge_config_selectorIilEEZZNS1_27merge_sort_block_merge_implIS3_PiN6thrust23THRUST_200600_302600_NS10device_ptrIlEEjNS1_19radix_merge_compareILb0ELb0EiNS0_19identity_decomposerEEEEE10hipError_tT0_T1_T2_jT3_P12ihipStream_tbPNSt15iterator_traitsISG_E10value_typeEPNSM_ISH_E10value_typeEPSI_NS1_7vsmem_tEENKUlT_SG_SH_SI_E_clIS7_S7_SB_PlEESF_SV_SG_SH_SI_EUlSV_E_NS1_11comp_targetILNS1_3genE10ELNS1_11target_archE1201ELNS1_3gpuE5ELNS1_3repE0EEENS1_48merge_mergepath_partition_config_static_selectorELNS0_4arch9wavefront6targetE1EEEvSH_
		.amdhsa_group_segment_fixed_size 0
		.amdhsa_private_segment_fixed_size 0
		.amdhsa_kernarg_size 40
		.amdhsa_user_sgpr_count 6
		.amdhsa_user_sgpr_private_segment_buffer 1
		.amdhsa_user_sgpr_dispatch_ptr 0
		.amdhsa_user_sgpr_queue_ptr 0
		.amdhsa_user_sgpr_kernarg_segment_ptr 1
		.amdhsa_user_sgpr_dispatch_id 0
		.amdhsa_user_sgpr_flat_scratch_init 0
		.amdhsa_user_sgpr_private_segment_size 0
		.amdhsa_uses_dynamic_stack 0
		.amdhsa_system_sgpr_private_segment_wavefront_offset 0
		.amdhsa_system_sgpr_workgroup_id_x 1
		.amdhsa_system_sgpr_workgroup_id_y 0
		.amdhsa_system_sgpr_workgroup_id_z 0
		.amdhsa_system_sgpr_workgroup_info 0
		.amdhsa_system_vgpr_workitem_id 0
		.amdhsa_next_free_vgpr 1
		.amdhsa_next_free_sgpr 0
		.amdhsa_reserve_vcc 0
		.amdhsa_reserve_flat_scratch 0
		.amdhsa_float_round_mode_32 0
		.amdhsa_float_round_mode_16_64 0
		.amdhsa_float_denorm_mode_32 3
		.amdhsa_float_denorm_mode_16_64 3
		.amdhsa_dx10_clamp 1
		.amdhsa_ieee_mode 1
		.amdhsa_fp16_overflow 0
		.amdhsa_exception_fp_ieee_invalid_op 0
		.amdhsa_exception_fp_denorm_src 0
		.amdhsa_exception_fp_ieee_div_zero 0
		.amdhsa_exception_fp_ieee_overflow 0
		.amdhsa_exception_fp_ieee_underflow 0
		.amdhsa_exception_fp_ieee_inexact 0
		.amdhsa_exception_int_div_zero 0
	.end_amdhsa_kernel
	.section	.text._ZN7rocprim17ROCPRIM_400000_NS6detail17trampoline_kernelINS0_14default_configENS1_38merge_sort_block_merge_config_selectorIilEEZZNS1_27merge_sort_block_merge_implIS3_PiN6thrust23THRUST_200600_302600_NS10device_ptrIlEEjNS1_19radix_merge_compareILb0ELb0EiNS0_19identity_decomposerEEEEE10hipError_tT0_T1_T2_jT3_P12ihipStream_tbPNSt15iterator_traitsISG_E10value_typeEPNSM_ISH_E10value_typeEPSI_NS1_7vsmem_tEENKUlT_SG_SH_SI_E_clIS7_S7_SB_PlEESF_SV_SG_SH_SI_EUlSV_E_NS1_11comp_targetILNS1_3genE10ELNS1_11target_archE1201ELNS1_3gpuE5ELNS1_3repE0EEENS1_48merge_mergepath_partition_config_static_selectorELNS0_4arch9wavefront6targetE1EEEvSH_,"axG",@progbits,_ZN7rocprim17ROCPRIM_400000_NS6detail17trampoline_kernelINS0_14default_configENS1_38merge_sort_block_merge_config_selectorIilEEZZNS1_27merge_sort_block_merge_implIS3_PiN6thrust23THRUST_200600_302600_NS10device_ptrIlEEjNS1_19radix_merge_compareILb0ELb0EiNS0_19identity_decomposerEEEEE10hipError_tT0_T1_T2_jT3_P12ihipStream_tbPNSt15iterator_traitsISG_E10value_typeEPNSM_ISH_E10value_typeEPSI_NS1_7vsmem_tEENKUlT_SG_SH_SI_E_clIS7_S7_SB_PlEESF_SV_SG_SH_SI_EUlSV_E_NS1_11comp_targetILNS1_3genE10ELNS1_11target_archE1201ELNS1_3gpuE5ELNS1_3repE0EEENS1_48merge_mergepath_partition_config_static_selectorELNS0_4arch9wavefront6targetE1EEEvSH_,comdat
.Lfunc_end769:
	.size	_ZN7rocprim17ROCPRIM_400000_NS6detail17trampoline_kernelINS0_14default_configENS1_38merge_sort_block_merge_config_selectorIilEEZZNS1_27merge_sort_block_merge_implIS3_PiN6thrust23THRUST_200600_302600_NS10device_ptrIlEEjNS1_19radix_merge_compareILb0ELb0EiNS0_19identity_decomposerEEEEE10hipError_tT0_T1_T2_jT3_P12ihipStream_tbPNSt15iterator_traitsISG_E10value_typeEPNSM_ISH_E10value_typeEPSI_NS1_7vsmem_tEENKUlT_SG_SH_SI_E_clIS7_S7_SB_PlEESF_SV_SG_SH_SI_EUlSV_E_NS1_11comp_targetILNS1_3genE10ELNS1_11target_archE1201ELNS1_3gpuE5ELNS1_3repE0EEENS1_48merge_mergepath_partition_config_static_selectorELNS0_4arch9wavefront6targetE1EEEvSH_, .Lfunc_end769-_ZN7rocprim17ROCPRIM_400000_NS6detail17trampoline_kernelINS0_14default_configENS1_38merge_sort_block_merge_config_selectorIilEEZZNS1_27merge_sort_block_merge_implIS3_PiN6thrust23THRUST_200600_302600_NS10device_ptrIlEEjNS1_19radix_merge_compareILb0ELb0EiNS0_19identity_decomposerEEEEE10hipError_tT0_T1_T2_jT3_P12ihipStream_tbPNSt15iterator_traitsISG_E10value_typeEPNSM_ISH_E10value_typeEPSI_NS1_7vsmem_tEENKUlT_SG_SH_SI_E_clIS7_S7_SB_PlEESF_SV_SG_SH_SI_EUlSV_E_NS1_11comp_targetILNS1_3genE10ELNS1_11target_archE1201ELNS1_3gpuE5ELNS1_3repE0EEENS1_48merge_mergepath_partition_config_static_selectorELNS0_4arch9wavefront6targetE1EEEvSH_
                                        ; -- End function
	.set _ZN7rocprim17ROCPRIM_400000_NS6detail17trampoline_kernelINS0_14default_configENS1_38merge_sort_block_merge_config_selectorIilEEZZNS1_27merge_sort_block_merge_implIS3_PiN6thrust23THRUST_200600_302600_NS10device_ptrIlEEjNS1_19radix_merge_compareILb0ELb0EiNS0_19identity_decomposerEEEEE10hipError_tT0_T1_T2_jT3_P12ihipStream_tbPNSt15iterator_traitsISG_E10value_typeEPNSM_ISH_E10value_typeEPSI_NS1_7vsmem_tEENKUlT_SG_SH_SI_E_clIS7_S7_SB_PlEESF_SV_SG_SH_SI_EUlSV_E_NS1_11comp_targetILNS1_3genE10ELNS1_11target_archE1201ELNS1_3gpuE5ELNS1_3repE0EEENS1_48merge_mergepath_partition_config_static_selectorELNS0_4arch9wavefront6targetE1EEEvSH_.num_vgpr, 0
	.set _ZN7rocprim17ROCPRIM_400000_NS6detail17trampoline_kernelINS0_14default_configENS1_38merge_sort_block_merge_config_selectorIilEEZZNS1_27merge_sort_block_merge_implIS3_PiN6thrust23THRUST_200600_302600_NS10device_ptrIlEEjNS1_19radix_merge_compareILb0ELb0EiNS0_19identity_decomposerEEEEE10hipError_tT0_T1_T2_jT3_P12ihipStream_tbPNSt15iterator_traitsISG_E10value_typeEPNSM_ISH_E10value_typeEPSI_NS1_7vsmem_tEENKUlT_SG_SH_SI_E_clIS7_S7_SB_PlEESF_SV_SG_SH_SI_EUlSV_E_NS1_11comp_targetILNS1_3genE10ELNS1_11target_archE1201ELNS1_3gpuE5ELNS1_3repE0EEENS1_48merge_mergepath_partition_config_static_selectorELNS0_4arch9wavefront6targetE1EEEvSH_.num_agpr, 0
	.set _ZN7rocprim17ROCPRIM_400000_NS6detail17trampoline_kernelINS0_14default_configENS1_38merge_sort_block_merge_config_selectorIilEEZZNS1_27merge_sort_block_merge_implIS3_PiN6thrust23THRUST_200600_302600_NS10device_ptrIlEEjNS1_19radix_merge_compareILb0ELb0EiNS0_19identity_decomposerEEEEE10hipError_tT0_T1_T2_jT3_P12ihipStream_tbPNSt15iterator_traitsISG_E10value_typeEPNSM_ISH_E10value_typeEPSI_NS1_7vsmem_tEENKUlT_SG_SH_SI_E_clIS7_S7_SB_PlEESF_SV_SG_SH_SI_EUlSV_E_NS1_11comp_targetILNS1_3genE10ELNS1_11target_archE1201ELNS1_3gpuE5ELNS1_3repE0EEENS1_48merge_mergepath_partition_config_static_selectorELNS0_4arch9wavefront6targetE1EEEvSH_.numbered_sgpr, 0
	.set _ZN7rocprim17ROCPRIM_400000_NS6detail17trampoline_kernelINS0_14default_configENS1_38merge_sort_block_merge_config_selectorIilEEZZNS1_27merge_sort_block_merge_implIS3_PiN6thrust23THRUST_200600_302600_NS10device_ptrIlEEjNS1_19radix_merge_compareILb0ELb0EiNS0_19identity_decomposerEEEEE10hipError_tT0_T1_T2_jT3_P12ihipStream_tbPNSt15iterator_traitsISG_E10value_typeEPNSM_ISH_E10value_typeEPSI_NS1_7vsmem_tEENKUlT_SG_SH_SI_E_clIS7_S7_SB_PlEESF_SV_SG_SH_SI_EUlSV_E_NS1_11comp_targetILNS1_3genE10ELNS1_11target_archE1201ELNS1_3gpuE5ELNS1_3repE0EEENS1_48merge_mergepath_partition_config_static_selectorELNS0_4arch9wavefront6targetE1EEEvSH_.num_named_barrier, 0
	.set _ZN7rocprim17ROCPRIM_400000_NS6detail17trampoline_kernelINS0_14default_configENS1_38merge_sort_block_merge_config_selectorIilEEZZNS1_27merge_sort_block_merge_implIS3_PiN6thrust23THRUST_200600_302600_NS10device_ptrIlEEjNS1_19radix_merge_compareILb0ELb0EiNS0_19identity_decomposerEEEEE10hipError_tT0_T1_T2_jT3_P12ihipStream_tbPNSt15iterator_traitsISG_E10value_typeEPNSM_ISH_E10value_typeEPSI_NS1_7vsmem_tEENKUlT_SG_SH_SI_E_clIS7_S7_SB_PlEESF_SV_SG_SH_SI_EUlSV_E_NS1_11comp_targetILNS1_3genE10ELNS1_11target_archE1201ELNS1_3gpuE5ELNS1_3repE0EEENS1_48merge_mergepath_partition_config_static_selectorELNS0_4arch9wavefront6targetE1EEEvSH_.private_seg_size, 0
	.set _ZN7rocprim17ROCPRIM_400000_NS6detail17trampoline_kernelINS0_14default_configENS1_38merge_sort_block_merge_config_selectorIilEEZZNS1_27merge_sort_block_merge_implIS3_PiN6thrust23THRUST_200600_302600_NS10device_ptrIlEEjNS1_19radix_merge_compareILb0ELb0EiNS0_19identity_decomposerEEEEE10hipError_tT0_T1_T2_jT3_P12ihipStream_tbPNSt15iterator_traitsISG_E10value_typeEPNSM_ISH_E10value_typeEPSI_NS1_7vsmem_tEENKUlT_SG_SH_SI_E_clIS7_S7_SB_PlEESF_SV_SG_SH_SI_EUlSV_E_NS1_11comp_targetILNS1_3genE10ELNS1_11target_archE1201ELNS1_3gpuE5ELNS1_3repE0EEENS1_48merge_mergepath_partition_config_static_selectorELNS0_4arch9wavefront6targetE1EEEvSH_.uses_vcc, 0
	.set _ZN7rocprim17ROCPRIM_400000_NS6detail17trampoline_kernelINS0_14default_configENS1_38merge_sort_block_merge_config_selectorIilEEZZNS1_27merge_sort_block_merge_implIS3_PiN6thrust23THRUST_200600_302600_NS10device_ptrIlEEjNS1_19radix_merge_compareILb0ELb0EiNS0_19identity_decomposerEEEEE10hipError_tT0_T1_T2_jT3_P12ihipStream_tbPNSt15iterator_traitsISG_E10value_typeEPNSM_ISH_E10value_typeEPSI_NS1_7vsmem_tEENKUlT_SG_SH_SI_E_clIS7_S7_SB_PlEESF_SV_SG_SH_SI_EUlSV_E_NS1_11comp_targetILNS1_3genE10ELNS1_11target_archE1201ELNS1_3gpuE5ELNS1_3repE0EEENS1_48merge_mergepath_partition_config_static_selectorELNS0_4arch9wavefront6targetE1EEEvSH_.uses_flat_scratch, 0
	.set _ZN7rocprim17ROCPRIM_400000_NS6detail17trampoline_kernelINS0_14default_configENS1_38merge_sort_block_merge_config_selectorIilEEZZNS1_27merge_sort_block_merge_implIS3_PiN6thrust23THRUST_200600_302600_NS10device_ptrIlEEjNS1_19radix_merge_compareILb0ELb0EiNS0_19identity_decomposerEEEEE10hipError_tT0_T1_T2_jT3_P12ihipStream_tbPNSt15iterator_traitsISG_E10value_typeEPNSM_ISH_E10value_typeEPSI_NS1_7vsmem_tEENKUlT_SG_SH_SI_E_clIS7_S7_SB_PlEESF_SV_SG_SH_SI_EUlSV_E_NS1_11comp_targetILNS1_3genE10ELNS1_11target_archE1201ELNS1_3gpuE5ELNS1_3repE0EEENS1_48merge_mergepath_partition_config_static_selectorELNS0_4arch9wavefront6targetE1EEEvSH_.has_dyn_sized_stack, 0
	.set _ZN7rocprim17ROCPRIM_400000_NS6detail17trampoline_kernelINS0_14default_configENS1_38merge_sort_block_merge_config_selectorIilEEZZNS1_27merge_sort_block_merge_implIS3_PiN6thrust23THRUST_200600_302600_NS10device_ptrIlEEjNS1_19radix_merge_compareILb0ELb0EiNS0_19identity_decomposerEEEEE10hipError_tT0_T1_T2_jT3_P12ihipStream_tbPNSt15iterator_traitsISG_E10value_typeEPNSM_ISH_E10value_typeEPSI_NS1_7vsmem_tEENKUlT_SG_SH_SI_E_clIS7_S7_SB_PlEESF_SV_SG_SH_SI_EUlSV_E_NS1_11comp_targetILNS1_3genE10ELNS1_11target_archE1201ELNS1_3gpuE5ELNS1_3repE0EEENS1_48merge_mergepath_partition_config_static_selectorELNS0_4arch9wavefront6targetE1EEEvSH_.has_recursion, 0
	.set _ZN7rocprim17ROCPRIM_400000_NS6detail17trampoline_kernelINS0_14default_configENS1_38merge_sort_block_merge_config_selectorIilEEZZNS1_27merge_sort_block_merge_implIS3_PiN6thrust23THRUST_200600_302600_NS10device_ptrIlEEjNS1_19radix_merge_compareILb0ELb0EiNS0_19identity_decomposerEEEEE10hipError_tT0_T1_T2_jT3_P12ihipStream_tbPNSt15iterator_traitsISG_E10value_typeEPNSM_ISH_E10value_typeEPSI_NS1_7vsmem_tEENKUlT_SG_SH_SI_E_clIS7_S7_SB_PlEESF_SV_SG_SH_SI_EUlSV_E_NS1_11comp_targetILNS1_3genE10ELNS1_11target_archE1201ELNS1_3gpuE5ELNS1_3repE0EEENS1_48merge_mergepath_partition_config_static_selectorELNS0_4arch9wavefront6targetE1EEEvSH_.has_indirect_call, 0
	.section	.AMDGPU.csdata,"",@progbits
; Kernel info:
; codeLenInByte = 0
; TotalNumSgprs: 4
; NumVgprs: 0
; ScratchSize: 0
; MemoryBound: 0
; FloatMode: 240
; IeeeMode: 1
; LDSByteSize: 0 bytes/workgroup (compile time only)
; SGPRBlocks: 0
; VGPRBlocks: 0
; NumSGPRsForWavesPerEU: 4
; NumVGPRsForWavesPerEU: 1
; Occupancy: 10
; WaveLimiterHint : 0
; COMPUTE_PGM_RSRC2:SCRATCH_EN: 0
; COMPUTE_PGM_RSRC2:USER_SGPR: 6
; COMPUTE_PGM_RSRC2:TRAP_HANDLER: 0
; COMPUTE_PGM_RSRC2:TGID_X_EN: 1
; COMPUTE_PGM_RSRC2:TGID_Y_EN: 0
; COMPUTE_PGM_RSRC2:TGID_Z_EN: 0
; COMPUTE_PGM_RSRC2:TIDIG_COMP_CNT: 0
	.section	.text._ZN7rocprim17ROCPRIM_400000_NS6detail17trampoline_kernelINS0_14default_configENS1_38merge_sort_block_merge_config_selectorIilEEZZNS1_27merge_sort_block_merge_implIS3_PiN6thrust23THRUST_200600_302600_NS10device_ptrIlEEjNS1_19radix_merge_compareILb0ELb0EiNS0_19identity_decomposerEEEEE10hipError_tT0_T1_T2_jT3_P12ihipStream_tbPNSt15iterator_traitsISG_E10value_typeEPNSM_ISH_E10value_typeEPSI_NS1_7vsmem_tEENKUlT_SG_SH_SI_E_clIS7_S7_SB_PlEESF_SV_SG_SH_SI_EUlSV_E_NS1_11comp_targetILNS1_3genE5ELNS1_11target_archE942ELNS1_3gpuE9ELNS1_3repE0EEENS1_48merge_mergepath_partition_config_static_selectorELNS0_4arch9wavefront6targetE1EEEvSH_,"axG",@progbits,_ZN7rocprim17ROCPRIM_400000_NS6detail17trampoline_kernelINS0_14default_configENS1_38merge_sort_block_merge_config_selectorIilEEZZNS1_27merge_sort_block_merge_implIS3_PiN6thrust23THRUST_200600_302600_NS10device_ptrIlEEjNS1_19radix_merge_compareILb0ELb0EiNS0_19identity_decomposerEEEEE10hipError_tT0_T1_T2_jT3_P12ihipStream_tbPNSt15iterator_traitsISG_E10value_typeEPNSM_ISH_E10value_typeEPSI_NS1_7vsmem_tEENKUlT_SG_SH_SI_E_clIS7_S7_SB_PlEESF_SV_SG_SH_SI_EUlSV_E_NS1_11comp_targetILNS1_3genE5ELNS1_11target_archE942ELNS1_3gpuE9ELNS1_3repE0EEENS1_48merge_mergepath_partition_config_static_selectorELNS0_4arch9wavefront6targetE1EEEvSH_,comdat
	.protected	_ZN7rocprim17ROCPRIM_400000_NS6detail17trampoline_kernelINS0_14default_configENS1_38merge_sort_block_merge_config_selectorIilEEZZNS1_27merge_sort_block_merge_implIS3_PiN6thrust23THRUST_200600_302600_NS10device_ptrIlEEjNS1_19radix_merge_compareILb0ELb0EiNS0_19identity_decomposerEEEEE10hipError_tT0_T1_T2_jT3_P12ihipStream_tbPNSt15iterator_traitsISG_E10value_typeEPNSM_ISH_E10value_typeEPSI_NS1_7vsmem_tEENKUlT_SG_SH_SI_E_clIS7_S7_SB_PlEESF_SV_SG_SH_SI_EUlSV_E_NS1_11comp_targetILNS1_3genE5ELNS1_11target_archE942ELNS1_3gpuE9ELNS1_3repE0EEENS1_48merge_mergepath_partition_config_static_selectorELNS0_4arch9wavefront6targetE1EEEvSH_ ; -- Begin function _ZN7rocprim17ROCPRIM_400000_NS6detail17trampoline_kernelINS0_14default_configENS1_38merge_sort_block_merge_config_selectorIilEEZZNS1_27merge_sort_block_merge_implIS3_PiN6thrust23THRUST_200600_302600_NS10device_ptrIlEEjNS1_19radix_merge_compareILb0ELb0EiNS0_19identity_decomposerEEEEE10hipError_tT0_T1_T2_jT3_P12ihipStream_tbPNSt15iterator_traitsISG_E10value_typeEPNSM_ISH_E10value_typeEPSI_NS1_7vsmem_tEENKUlT_SG_SH_SI_E_clIS7_S7_SB_PlEESF_SV_SG_SH_SI_EUlSV_E_NS1_11comp_targetILNS1_3genE5ELNS1_11target_archE942ELNS1_3gpuE9ELNS1_3repE0EEENS1_48merge_mergepath_partition_config_static_selectorELNS0_4arch9wavefront6targetE1EEEvSH_
	.globl	_ZN7rocprim17ROCPRIM_400000_NS6detail17trampoline_kernelINS0_14default_configENS1_38merge_sort_block_merge_config_selectorIilEEZZNS1_27merge_sort_block_merge_implIS3_PiN6thrust23THRUST_200600_302600_NS10device_ptrIlEEjNS1_19radix_merge_compareILb0ELb0EiNS0_19identity_decomposerEEEEE10hipError_tT0_T1_T2_jT3_P12ihipStream_tbPNSt15iterator_traitsISG_E10value_typeEPNSM_ISH_E10value_typeEPSI_NS1_7vsmem_tEENKUlT_SG_SH_SI_E_clIS7_S7_SB_PlEESF_SV_SG_SH_SI_EUlSV_E_NS1_11comp_targetILNS1_3genE5ELNS1_11target_archE942ELNS1_3gpuE9ELNS1_3repE0EEENS1_48merge_mergepath_partition_config_static_selectorELNS0_4arch9wavefront6targetE1EEEvSH_
	.p2align	8
	.type	_ZN7rocprim17ROCPRIM_400000_NS6detail17trampoline_kernelINS0_14default_configENS1_38merge_sort_block_merge_config_selectorIilEEZZNS1_27merge_sort_block_merge_implIS3_PiN6thrust23THRUST_200600_302600_NS10device_ptrIlEEjNS1_19radix_merge_compareILb0ELb0EiNS0_19identity_decomposerEEEEE10hipError_tT0_T1_T2_jT3_P12ihipStream_tbPNSt15iterator_traitsISG_E10value_typeEPNSM_ISH_E10value_typeEPSI_NS1_7vsmem_tEENKUlT_SG_SH_SI_E_clIS7_S7_SB_PlEESF_SV_SG_SH_SI_EUlSV_E_NS1_11comp_targetILNS1_3genE5ELNS1_11target_archE942ELNS1_3gpuE9ELNS1_3repE0EEENS1_48merge_mergepath_partition_config_static_selectorELNS0_4arch9wavefront6targetE1EEEvSH_,@function
_ZN7rocprim17ROCPRIM_400000_NS6detail17trampoline_kernelINS0_14default_configENS1_38merge_sort_block_merge_config_selectorIilEEZZNS1_27merge_sort_block_merge_implIS3_PiN6thrust23THRUST_200600_302600_NS10device_ptrIlEEjNS1_19radix_merge_compareILb0ELb0EiNS0_19identity_decomposerEEEEE10hipError_tT0_T1_T2_jT3_P12ihipStream_tbPNSt15iterator_traitsISG_E10value_typeEPNSM_ISH_E10value_typeEPSI_NS1_7vsmem_tEENKUlT_SG_SH_SI_E_clIS7_S7_SB_PlEESF_SV_SG_SH_SI_EUlSV_E_NS1_11comp_targetILNS1_3genE5ELNS1_11target_archE942ELNS1_3gpuE9ELNS1_3repE0EEENS1_48merge_mergepath_partition_config_static_selectorELNS0_4arch9wavefront6targetE1EEEvSH_: ; @_ZN7rocprim17ROCPRIM_400000_NS6detail17trampoline_kernelINS0_14default_configENS1_38merge_sort_block_merge_config_selectorIilEEZZNS1_27merge_sort_block_merge_implIS3_PiN6thrust23THRUST_200600_302600_NS10device_ptrIlEEjNS1_19radix_merge_compareILb0ELb0EiNS0_19identity_decomposerEEEEE10hipError_tT0_T1_T2_jT3_P12ihipStream_tbPNSt15iterator_traitsISG_E10value_typeEPNSM_ISH_E10value_typeEPSI_NS1_7vsmem_tEENKUlT_SG_SH_SI_E_clIS7_S7_SB_PlEESF_SV_SG_SH_SI_EUlSV_E_NS1_11comp_targetILNS1_3genE5ELNS1_11target_archE942ELNS1_3gpuE9ELNS1_3repE0EEENS1_48merge_mergepath_partition_config_static_selectorELNS0_4arch9wavefront6targetE1EEEvSH_
; %bb.0:
	.section	.rodata,"a",@progbits
	.p2align	6, 0x0
	.amdhsa_kernel _ZN7rocprim17ROCPRIM_400000_NS6detail17trampoline_kernelINS0_14default_configENS1_38merge_sort_block_merge_config_selectorIilEEZZNS1_27merge_sort_block_merge_implIS3_PiN6thrust23THRUST_200600_302600_NS10device_ptrIlEEjNS1_19radix_merge_compareILb0ELb0EiNS0_19identity_decomposerEEEEE10hipError_tT0_T1_T2_jT3_P12ihipStream_tbPNSt15iterator_traitsISG_E10value_typeEPNSM_ISH_E10value_typeEPSI_NS1_7vsmem_tEENKUlT_SG_SH_SI_E_clIS7_S7_SB_PlEESF_SV_SG_SH_SI_EUlSV_E_NS1_11comp_targetILNS1_3genE5ELNS1_11target_archE942ELNS1_3gpuE9ELNS1_3repE0EEENS1_48merge_mergepath_partition_config_static_selectorELNS0_4arch9wavefront6targetE1EEEvSH_
		.amdhsa_group_segment_fixed_size 0
		.amdhsa_private_segment_fixed_size 0
		.amdhsa_kernarg_size 40
		.amdhsa_user_sgpr_count 6
		.amdhsa_user_sgpr_private_segment_buffer 1
		.amdhsa_user_sgpr_dispatch_ptr 0
		.amdhsa_user_sgpr_queue_ptr 0
		.amdhsa_user_sgpr_kernarg_segment_ptr 1
		.amdhsa_user_sgpr_dispatch_id 0
		.amdhsa_user_sgpr_flat_scratch_init 0
		.amdhsa_user_sgpr_private_segment_size 0
		.amdhsa_uses_dynamic_stack 0
		.amdhsa_system_sgpr_private_segment_wavefront_offset 0
		.amdhsa_system_sgpr_workgroup_id_x 1
		.amdhsa_system_sgpr_workgroup_id_y 0
		.amdhsa_system_sgpr_workgroup_id_z 0
		.amdhsa_system_sgpr_workgroup_info 0
		.amdhsa_system_vgpr_workitem_id 0
		.amdhsa_next_free_vgpr 1
		.amdhsa_next_free_sgpr 0
		.amdhsa_reserve_vcc 0
		.amdhsa_reserve_flat_scratch 0
		.amdhsa_float_round_mode_32 0
		.amdhsa_float_round_mode_16_64 0
		.amdhsa_float_denorm_mode_32 3
		.amdhsa_float_denorm_mode_16_64 3
		.amdhsa_dx10_clamp 1
		.amdhsa_ieee_mode 1
		.amdhsa_fp16_overflow 0
		.amdhsa_exception_fp_ieee_invalid_op 0
		.amdhsa_exception_fp_denorm_src 0
		.amdhsa_exception_fp_ieee_div_zero 0
		.amdhsa_exception_fp_ieee_overflow 0
		.amdhsa_exception_fp_ieee_underflow 0
		.amdhsa_exception_fp_ieee_inexact 0
		.amdhsa_exception_int_div_zero 0
	.end_amdhsa_kernel
	.section	.text._ZN7rocprim17ROCPRIM_400000_NS6detail17trampoline_kernelINS0_14default_configENS1_38merge_sort_block_merge_config_selectorIilEEZZNS1_27merge_sort_block_merge_implIS3_PiN6thrust23THRUST_200600_302600_NS10device_ptrIlEEjNS1_19radix_merge_compareILb0ELb0EiNS0_19identity_decomposerEEEEE10hipError_tT0_T1_T2_jT3_P12ihipStream_tbPNSt15iterator_traitsISG_E10value_typeEPNSM_ISH_E10value_typeEPSI_NS1_7vsmem_tEENKUlT_SG_SH_SI_E_clIS7_S7_SB_PlEESF_SV_SG_SH_SI_EUlSV_E_NS1_11comp_targetILNS1_3genE5ELNS1_11target_archE942ELNS1_3gpuE9ELNS1_3repE0EEENS1_48merge_mergepath_partition_config_static_selectorELNS0_4arch9wavefront6targetE1EEEvSH_,"axG",@progbits,_ZN7rocprim17ROCPRIM_400000_NS6detail17trampoline_kernelINS0_14default_configENS1_38merge_sort_block_merge_config_selectorIilEEZZNS1_27merge_sort_block_merge_implIS3_PiN6thrust23THRUST_200600_302600_NS10device_ptrIlEEjNS1_19radix_merge_compareILb0ELb0EiNS0_19identity_decomposerEEEEE10hipError_tT0_T1_T2_jT3_P12ihipStream_tbPNSt15iterator_traitsISG_E10value_typeEPNSM_ISH_E10value_typeEPSI_NS1_7vsmem_tEENKUlT_SG_SH_SI_E_clIS7_S7_SB_PlEESF_SV_SG_SH_SI_EUlSV_E_NS1_11comp_targetILNS1_3genE5ELNS1_11target_archE942ELNS1_3gpuE9ELNS1_3repE0EEENS1_48merge_mergepath_partition_config_static_selectorELNS0_4arch9wavefront6targetE1EEEvSH_,comdat
.Lfunc_end770:
	.size	_ZN7rocprim17ROCPRIM_400000_NS6detail17trampoline_kernelINS0_14default_configENS1_38merge_sort_block_merge_config_selectorIilEEZZNS1_27merge_sort_block_merge_implIS3_PiN6thrust23THRUST_200600_302600_NS10device_ptrIlEEjNS1_19radix_merge_compareILb0ELb0EiNS0_19identity_decomposerEEEEE10hipError_tT0_T1_T2_jT3_P12ihipStream_tbPNSt15iterator_traitsISG_E10value_typeEPNSM_ISH_E10value_typeEPSI_NS1_7vsmem_tEENKUlT_SG_SH_SI_E_clIS7_S7_SB_PlEESF_SV_SG_SH_SI_EUlSV_E_NS1_11comp_targetILNS1_3genE5ELNS1_11target_archE942ELNS1_3gpuE9ELNS1_3repE0EEENS1_48merge_mergepath_partition_config_static_selectorELNS0_4arch9wavefront6targetE1EEEvSH_, .Lfunc_end770-_ZN7rocprim17ROCPRIM_400000_NS6detail17trampoline_kernelINS0_14default_configENS1_38merge_sort_block_merge_config_selectorIilEEZZNS1_27merge_sort_block_merge_implIS3_PiN6thrust23THRUST_200600_302600_NS10device_ptrIlEEjNS1_19radix_merge_compareILb0ELb0EiNS0_19identity_decomposerEEEEE10hipError_tT0_T1_T2_jT3_P12ihipStream_tbPNSt15iterator_traitsISG_E10value_typeEPNSM_ISH_E10value_typeEPSI_NS1_7vsmem_tEENKUlT_SG_SH_SI_E_clIS7_S7_SB_PlEESF_SV_SG_SH_SI_EUlSV_E_NS1_11comp_targetILNS1_3genE5ELNS1_11target_archE942ELNS1_3gpuE9ELNS1_3repE0EEENS1_48merge_mergepath_partition_config_static_selectorELNS0_4arch9wavefront6targetE1EEEvSH_
                                        ; -- End function
	.set _ZN7rocprim17ROCPRIM_400000_NS6detail17trampoline_kernelINS0_14default_configENS1_38merge_sort_block_merge_config_selectorIilEEZZNS1_27merge_sort_block_merge_implIS3_PiN6thrust23THRUST_200600_302600_NS10device_ptrIlEEjNS1_19radix_merge_compareILb0ELb0EiNS0_19identity_decomposerEEEEE10hipError_tT0_T1_T2_jT3_P12ihipStream_tbPNSt15iterator_traitsISG_E10value_typeEPNSM_ISH_E10value_typeEPSI_NS1_7vsmem_tEENKUlT_SG_SH_SI_E_clIS7_S7_SB_PlEESF_SV_SG_SH_SI_EUlSV_E_NS1_11comp_targetILNS1_3genE5ELNS1_11target_archE942ELNS1_3gpuE9ELNS1_3repE0EEENS1_48merge_mergepath_partition_config_static_selectorELNS0_4arch9wavefront6targetE1EEEvSH_.num_vgpr, 0
	.set _ZN7rocprim17ROCPRIM_400000_NS6detail17trampoline_kernelINS0_14default_configENS1_38merge_sort_block_merge_config_selectorIilEEZZNS1_27merge_sort_block_merge_implIS3_PiN6thrust23THRUST_200600_302600_NS10device_ptrIlEEjNS1_19radix_merge_compareILb0ELb0EiNS0_19identity_decomposerEEEEE10hipError_tT0_T1_T2_jT3_P12ihipStream_tbPNSt15iterator_traitsISG_E10value_typeEPNSM_ISH_E10value_typeEPSI_NS1_7vsmem_tEENKUlT_SG_SH_SI_E_clIS7_S7_SB_PlEESF_SV_SG_SH_SI_EUlSV_E_NS1_11comp_targetILNS1_3genE5ELNS1_11target_archE942ELNS1_3gpuE9ELNS1_3repE0EEENS1_48merge_mergepath_partition_config_static_selectorELNS0_4arch9wavefront6targetE1EEEvSH_.num_agpr, 0
	.set _ZN7rocprim17ROCPRIM_400000_NS6detail17trampoline_kernelINS0_14default_configENS1_38merge_sort_block_merge_config_selectorIilEEZZNS1_27merge_sort_block_merge_implIS3_PiN6thrust23THRUST_200600_302600_NS10device_ptrIlEEjNS1_19radix_merge_compareILb0ELb0EiNS0_19identity_decomposerEEEEE10hipError_tT0_T1_T2_jT3_P12ihipStream_tbPNSt15iterator_traitsISG_E10value_typeEPNSM_ISH_E10value_typeEPSI_NS1_7vsmem_tEENKUlT_SG_SH_SI_E_clIS7_S7_SB_PlEESF_SV_SG_SH_SI_EUlSV_E_NS1_11comp_targetILNS1_3genE5ELNS1_11target_archE942ELNS1_3gpuE9ELNS1_3repE0EEENS1_48merge_mergepath_partition_config_static_selectorELNS0_4arch9wavefront6targetE1EEEvSH_.numbered_sgpr, 0
	.set _ZN7rocprim17ROCPRIM_400000_NS6detail17trampoline_kernelINS0_14default_configENS1_38merge_sort_block_merge_config_selectorIilEEZZNS1_27merge_sort_block_merge_implIS3_PiN6thrust23THRUST_200600_302600_NS10device_ptrIlEEjNS1_19radix_merge_compareILb0ELb0EiNS0_19identity_decomposerEEEEE10hipError_tT0_T1_T2_jT3_P12ihipStream_tbPNSt15iterator_traitsISG_E10value_typeEPNSM_ISH_E10value_typeEPSI_NS1_7vsmem_tEENKUlT_SG_SH_SI_E_clIS7_S7_SB_PlEESF_SV_SG_SH_SI_EUlSV_E_NS1_11comp_targetILNS1_3genE5ELNS1_11target_archE942ELNS1_3gpuE9ELNS1_3repE0EEENS1_48merge_mergepath_partition_config_static_selectorELNS0_4arch9wavefront6targetE1EEEvSH_.num_named_barrier, 0
	.set _ZN7rocprim17ROCPRIM_400000_NS6detail17trampoline_kernelINS0_14default_configENS1_38merge_sort_block_merge_config_selectorIilEEZZNS1_27merge_sort_block_merge_implIS3_PiN6thrust23THRUST_200600_302600_NS10device_ptrIlEEjNS1_19radix_merge_compareILb0ELb0EiNS0_19identity_decomposerEEEEE10hipError_tT0_T1_T2_jT3_P12ihipStream_tbPNSt15iterator_traitsISG_E10value_typeEPNSM_ISH_E10value_typeEPSI_NS1_7vsmem_tEENKUlT_SG_SH_SI_E_clIS7_S7_SB_PlEESF_SV_SG_SH_SI_EUlSV_E_NS1_11comp_targetILNS1_3genE5ELNS1_11target_archE942ELNS1_3gpuE9ELNS1_3repE0EEENS1_48merge_mergepath_partition_config_static_selectorELNS0_4arch9wavefront6targetE1EEEvSH_.private_seg_size, 0
	.set _ZN7rocprim17ROCPRIM_400000_NS6detail17trampoline_kernelINS0_14default_configENS1_38merge_sort_block_merge_config_selectorIilEEZZNS1_27merge_sort_block_merge_implIS3_PiN6thrust23THRUST_200600_302600_NS10device_ptrIlEEjNS1_19radix_merge_compareILb0ELb0EiNS0_19identity_decomposerEEEEE10hipError_tT0_T1_T2_jT3_P12ihipStream_tbPNSt15iterator_traitsISG_E10value_typeEPNSM_ISH_E10value_typeEPSI_NS1_7vsmem_tEENKUlT_SG_SH_SI_E_clIS7_S7_SB_PlEESF_SV_SG_SH_SI_EUlSV_E_NS1_11comp_targetILNS1_3genE5ELNS1_11target_archE942ELNS1_3gpuE9ELNS1_3repE0EEENS1_48merge_mergepath_partition_config_static_selectorELNS0_4arch9wavefront6targetE1EEEvSH_.uses_vcc, 0
	.set _ZN7rocprim17ROCPRIM_400000_NS6detail17trampoline_kernelINS0_14default_configENS1_38merge_sort_block_merge_config_selectorIilEEZZNS1_27merge_sort_block_merge_implIS3_PiN6thrust23THRUST_200600_302600_NS10device_ptrIlEEjNS1_19radix_merge_compareILb0ELb0EiNS0_19identity_decomposerEEEEE10hipError_tT0_T1_T2_jT3_P12ihipStream_tbPNSt15iterator_traitsISG_E10value_typeEPNSM_ISH_E10value_typeEPSI_NS1_7vsmem_tEENKUlT_SG_SH_SI_E_clIS7_S7_SB_PlEESF_SV_SG_SH_SI_EUlSV_E_NS1_11comp_targetILNS1_3genE5ELNS1_11target_archE942ELNS1_3gpuE9ELNS1_3repE0EEENS1_48merge_mergepath_partition_config_static_selectorELNS0_4arch9wavefront6targetE1EEEvSH_.uses_flat_scratch, 0
	.set _ZN7rocprim17ROCPRIM_400000_NS6detail17trampoline_kernelINS0_14default_configENS1_38merge_sort_block_merge_config_selectorIilEEZZNS1_27merge_sort_block_merge_implIS3_PiN6thrust23THRUST_200600_302600_NS10device_ptrIlEEjNS1_19radix_merge_compareILb0ELb0EiNS0_19identity_decomposerEEEEE10hipError_tT0_T1_T2_jT3_P12ihipStream_tbPNSt15iterator_traitsISG_E10value_typeEPNSM_ISH_E10value_typeEPSI_NS1_7vsmem_tEENKUlT_SG_SH_SI_E_clIS7_S7_SB_PlEESF_SV_SG_SH_SI_EUlSV_E_NS1_11comp_targetILNS1_3genE5ELNS1_11target_archE942ELNS1_3gpuE9ELNS1_3repE0EEENS1_48merge_mergepath_partition_config_static_selectorELNS0_4arch9wavefront6targetE1EEEvSH_.has_dyn_sized_stack, 0
	.set _ZN7rocprim17ROCPRIM_400000_NS6detail17trampoline_kernelINS0_14default_configENS1_38merge_sort_block_merge_config_selectorIilEEZZNS1_27merge_sort_block_merge_implIS3_PiN6thrust23THRUST_200600_302600_NS10device_ptrIlEEjNS1_19radix_merge_compareILb0ELb0EiNS0_19identity_decomposerEEEEE10hipError_tT0_T1_T2_jT3_P12ihipStream_tbPNSt15iterator_traitsISG_E10value_typeEPNSM_ISH_E10value_typeEPSI_NS1_7vsmem_tEENKUlT_SG_SH_SI_E_clIS7_S7_SB_PlEESF_SV_SG_SH_SI_EUlSV_E_NS1_11comp_targetILNS1_3genE5ELNS1_11target_archE942ELNS1_3gpuE9ELNS1_3repE0EEENS1_48merge_mergepath_partition_config_static_selectorELNS0_4arch9wavefront6targetE1EEEvSH_.has_recursion, 0
	.set _ZN7rocprim17ROCPRIM_400000_NS6detail17trampoline_kernelINS0_14default_configENS1_38merge_sort_block_merge_config_selectorIilEEZZNS1_27merge_sort_block_merge_implIS3_PiN6thrust23THRUST_200600_302600_NS10device_ptrIlEEjNS1_19radix_merge_compareILb0ELb0EiNS0_19identity_decomposerEEEEE10hipError_tT0_T1_T2_jT3_P12ihipStream_tbPNSt15iterator_traitsISG_E10value_typeEPNSM_ISH_E10value_typeEPSI_NS1_7vsmem_tEENKUlT_SG_SH_SI_E_clIS7_S7_SB_PlEESF_SV_SG_SH_SI_EUlSV_E_NS1_11comp_targetILNS1_3genE5ELNS1_11target_archE942ELNS1_3gpuE9ELNS1_3repE0EEENS1_48merge_mergepath_partition_config_static_selectorELNS0_4arch9wavefront6targetE1EEEvSH_.has_indirect_call, 0
	.section	.AMDGPU.csdata,"",@progbits
; Kernel info:
; codeLenInByte = 0
; TotalNumSgprs: 4
; NumVgprs: 0
; ScratchSize: 0
; MemoryBound: 0
; FloatMode: 240
; IeeeMode: 1
; LDSByteSize: 0 bytes/workgroup (compile time only)
; SGPRBlocks: 0
; VGPRBlocks: 0
; NumSGPRsForWavesPerEU: 4
; NumVGPRsForWavesPerEU: 1
; Occupancy: 10
; WaveLimiterHint : 0
; COMPUTE_PGM_RSRC2:SCRATCH_EN: 0
; COMPUTE_PGM_RSRC2:USER_SGPR: 6
; COMPUTE_PGM_RSRC2:TRAP_HANDLER: 0
; COMPUTE_PGM_RSRC2:TGID_X_EN: 1
; COMPUTE_PGM_RSRC2:TGID_Y_EN: 0
; COMPUTE_PGM_RSRC2:TGID_Z_EN: 0
; COMPUTE_PGM_RSRC2:TIDIG_COMP_CNT: 0
	.section	.text._ZN7rocprim17ROCPRIM_400000_NS6detail17trampoline_kernelINS0_14default_configENS1_38merge_sort_block_merge_config_selectorIilEEZZNS1_27merge_sort_block_merge_implIS3_PiN6thrust23THRUST_200600_302600_NS10device_ptrIlEEjNS1_19radix_merge_compareILb0ELb0EiNS0_19identity_decomposerEEEEE10hipError_tT0_T1_T2_jT3_P12ihipStream_tbPNSt15iterator_traitsISG_E10value_typeEPNSM_ISH_E10value_typeEPSI_NS1_7vsmem_tEENKUlT_SG_SH_SI_E_clIS7_S7_SB_PlEESF_SV_SG_SH_SI_EUlSV_E_NS1_11comp_targetILNS1_3genE4ELNS1_11target_archE910ELNS1_3gpuE8ELNS1_3repE0EEENS1_48merge_mergepath_partition_config_static_selectorELNS0_4arch9wavefront6targetE1EEEvSH_,"axG",@progbits,_ZN7rocprim17ROCPRIM_400000_NS6detail17trampoline_kernelINS0_14default_configENS1_38merge_sort_block_merge_config_selectorIilEEZZNS1_27merge_sort_block_merge_implIS3_PiN6thrust23THRUST_200600_302600_NS10device_ptrIlEEjNS1_19radix_merge_compareILb0ELb0EiNS0_19identity_decomposerEEEEE10hipError_tT0_T1_T2_jT3_P12ihipStream_tbPNSt15iterator_traitsISG_E10value_typeEPNSM_ISH_E10value_typeEPSI_NS1_7vsmem_tEENKUlT_SG_SH_SI_E_clIS7_S7_SB_PlEESF_SV_SG_SH_SI_EUlSV_E_NS1_11comp_targetILNS1_3genE4ELNS1_11target_archE910ELNS1_3gpuE8ELNS1_3repE0EEENS1_48merge_mergepath_partition_config_static_selectorELNS0_4arch9wavefront6targetE1EEEvSH_,comdat
	.protected	_ZN7rocprim17ROCPRIM_400000_NS6detail17trampoline_kernelINS0_14default_configENS1_38merge_sort_block_merge_config_selectorIilEEZZNS1_27merge_sort_block_merge_implIS3_PiN6thrust23THRUST_200600_302600_NS10device_ptrIlEEjNS1_19radix_merge_compareILb0ELb0EiNS0_19identity_decomposerEEEEE10hipError_tT0_T1_T2_jT3_P12ihipStream_tbPNSt15iterator_traitsISG_E10value_typeEPNSM_ISH_E10value_typeEPSI_NS1_7vsmem_tEENKUlT_SG_SH_SI_E_clIS7_S7_SB_PlEESF_SV_SG_SH_SI_EUlSV_E_NS1_11comp_targetILNS1_3genE4ELNS1_11target_archE910ELNS1_3gpuE8ELNS1_3repE0EEENS1_48merge_mergepath_partition_config_static_selectorELNS0_4arch9wavefront6targetE1EEEvSH_ ; -- Begin function _ZN7rocprim17ROCPRIM_400000_NS6detail17trampoline_kernelINS0_14default_configENS1_38merge_sort_block_merge_config_selectorIilEEZZNS1_27merge_sort_block_merge_implIS3_PiN6thrust23THRUST_200600_302600_NS10device_ptrIlEEjNS1_19radix_merge_compareILb0ELb0EiNS0_19identity_decomposerEEEEE10hipError_tT0_T1_T2_jT3_P12ihipStream_tbPNSt15iterator_traitsISG_E10value_typeEPNSM_ISH_E10value_typeEPSI_NS1_7vsmem_tEENKUlT_SG_SH_SI_E_clIS7_S7_SB_PlEESF_SV_SG_SH_SI_EUlSV_E_NS1_11comp_targetILNS1_3genE4ELNS1_11target_archE910ELNS1_3gpuE8ELNS1_3repE0EEENS1_48merge_mergepath_partition_config_static_selectorELNS0_4arch9wavefront6targetE1EEEvSH_
	.globl	_ZN7rocprim17ROCPRIM_400000_NS6detail17trampoline_kernelINS0_14default_configENS1_38merge_sort_block_merge_config_selectorIilEEZZNS1_27merge_sort_block_merge_implIS3_PiN6thrust23THRUST_200600_302600_NS10device_ptrIlEEjNS1_19radix_merge_compareILb0ELb0EiNS0_19identity_decomposerEEEEE10hipError_tT0_T1_T2_jT3_P12ihipStream_tbPNSt15iterator_traitsISG_E10value_typeEPNSM_ISH_E10value_typeEPSI_NS1_7vsmem_tEENKUlT_SG_SH_SI_E_clIS7_S7_SB_PlEESF_SV_SG_SH_SI_EUlSV_E_NS1_11comp_targetILNS1_3genE4ELNS1_11target_archE910ELNS1_3gpuE8ELNS1_3repE0EEENS1_48merge_mergepath_partition_config_static_selectorELNS0_4arch9wavefront6targetE1EEEvSH_
	.p2align	8
	.type	_ZN7rocprim17ROCPRIM_400000_NS6detail17trampoline_kernelINS0_14default_configENS1_38merge_sort_block_merge_config_selectorIilEEZZNS1_27merge_sort_block_merge_implIS3_PiN6thrust23THRUST_200600_302600_NS10device_ptrIlEEjNS1_19radix_merge_compareILb0ELb0EiNS0_19identity_decomposerEEEEE10hipError_tT0_T1_T2_jT3_P12ihipStream_tbPNSt15iterator_traitsISG_E10value_typeEPNSM_ISH_E10value_typeEPSI_NS1_7vsmem_tEENKUlT_SG_SH_SI_E_clIS7_S7_SB_PlEESF_SV_SG_SH_SI_EUlSV_E_NS1_11comp_targetILNS1_3genE4ELNS1_11target_archE910ELNS1_3gpuE8ELNS1_3repE0EEENS1_48merge_mergepath_partition_config_static_selectorELNS0_4arch9wavefront6targetE1EEEvSH_,@function
_ZN7rocprim17ROCPRIM_400000_NS6detail17trampoline_kernelINS0_14default_configENS1_38merge_sort_block_merge_config_selectorIilEEZZNS1_27merge_sort_block_merge_implIS3_PiN6thrust23THRUST_200600_302600_NS10device_ptrIlEEjNS1_19radix_merge_compareILb0ELb0EiNS0_19identity_decomposerEEEEE10hipError_tT0_T1_T2_jT3_P12ihipStream_tbPNSt15iterator_traitsISG_E10value_typeEPNSM_ISH_E10value_typeEPSI_NS1_7vsmem_tEENKUlT_SG_SH_SI_E_clIS7_S7_SB_PlEESF_SV_SG_SH_SI_EUlSV_E_NS1_11comp_targetILNS1_3genE4ELNS1_11target_archE910ELNS1_3gpuE8ELNS1_3repE0EEENS1_48merge_mergepath_partition_config_static_selectorELNS0_4arch9wavefront6targetE1EEEvSH_: ; @_ZN7rocprim17ROCPRIM_400000_NS6detail17trampoline_kernelINS0_14default_configENS1_38merge_sort_block_merge_config_selectorIilEEZZNS1_27merge_sort_block_merge_implIS3_PiN6thrust23THRUST_200600_302600_NS10device_ptrIlEEjNS1_19radix_merge_compareILb0ELb0EiNS0_19identity_decomposerEEEEE10hipError_tT0_T1_T2_jT3_P12ihipStream_tbPNSt15iterator_traitsISG_E10value_typeEPNSM_ISH_E10value_typeEPSI_NS1_7vsmem_tEENKUlT_SG_SH_SI_E_clIS7_S7_SB_PlEESF_SV_SG_SH_SI_EUlSV_E_NS1_11comp_targetILNS1_3genE4ELNS1_11target_archE910ELNS1_3gpuE8ELNS1_3repE0EEENS1_48merge_mergepath_partition_config_static_selectorELNS0_4arch9wavefront6targetE1EEEvSH_
; %bb.0:
	.section	.rodata,"a",@progbits
	.p2align	6, 0x0
	.amdhsa_kernel _ZN7rocprim17ROCPRIM_400000_NS6detail17trampoline_kernelINS0_14default_configENS1_38merge_sort_block_merge_config_selectorIilEEZZNS1_27merge_sort_block_merge_implIS3_PiN6thrust23THRUST_200600_302600_NS10device_ptrIlEEjNS1_19radix_merge_compareILb0ELb0EiNS0_19identity_decomposerEEEEE10hipError_tT0_T1_T2_jT3_P12ihipStream_tbPNSt15iterator_traitsISG_E10value_typeEPNSM_ISH_E10value_typeEPSI_NS1_7vsmem_tEENKUlT_SG_SH_SI_E_clIS7_S7_SB_PlEESF_SV_SG_SH_SI_EUlSV_E_NS1_11comp_targetILNS1_3genE4ELNS1_11target_archE910ELNS1_3gpuE8ELNS1_3repE0EEENS1_48merge_mergepath_partition_config_static_selectorELNS0_4arch9wavefront6targetE1EEEvSH_
		.amdhsa_group_segment_fixed_size 0
		.amdhsa_private_segment_fixed_size 0
		.amdhsa_kernarg_size 40
		.amdhsa_user_sgpr_count 6
		.amdhsa_user_sgpr_private_segment_buffer 1
		.amdhsa_user_sgpr_dispatch_ptr 0
		.amdhsa_user_sgpr_queue_ptr 0
		.amdhsa_user_sgpr_kernarg_segment_ptr 1
		.amdhsa_user_sgpr_dispatch_id 0
		.amdhsa_user_sgpr_flat_scratch_init 0
		.amdhsa_user_sgpr_private_segment_size 0
		.amdhsa_uses_dynamic_stack 0
		.amdhsa_system_sgpr_private_segment_wavefront_offset 0
		.amdhsa_system_sgpr_workgroup_id_x 1
		.amdhsa_system_sgpr_workgroup_id_y 0
		.amdhsa_system_sgpr_workgroup_id_z 0
		.amdhsa_system_sgpr_workgroup_info 0
		.amdhsa_system_vgpr_workitem_id 0
		.amdhsa_next_free_vgpr 1
		.amdhsa_next_free_sgpr 0
		.amdhsa_reserve_vcc 0
		.amdhsa_reserve_flat_scratch 0
		.amdhsa_float_round_mode_32 0
		.amdhsa_float_round_mode_16_64 0
		.amdhsa_float_denorm_mode_32 3
		.amdhsa_float_denorm_mode_16_64 3
		.amdhsa_dx10_clamp 1
		.amdhsa_ieee_mode 1
		.amdhsa_fp16_overflow 0
		.amdhsa_exception_fp_ieee_invalid_op 0
		.amdhsa_exception_fp_denorm_src 0
		.amdhsa_exception_fp_ieee_div_zero 0
		.amdhsa_exception_fp_ieee_overflow 0
		.amdhsa_exception_fp_ieee_underflow 0
		.amdhsa_exception_fp_ieee_inexact 0
		.amdhsa_exception_int_div_zero 0
	.end_amdhsa_kernel
	.section	.text._ZN7rocprim17ROCPRIM_400000_NS6detail17trampoline_kernelINS0_14default_configENS1_38merge_sort_block_merge_config_selectorIilEEZZNS1_27merge_sort_block_merge_implIS3_PiN6thrust23THRUST_200600_302600_NS10device_ptrIlEEjNS1_19radix_merge_compareILb0ELb0EiNS0_19identity_decomposerEEEEE10hipError_tT0_T1_T2_jT3_P12ihipStream_tbPNSt15iterator_traitsISG_E10value_typeEPNSM_ISH_E10value_typeEPSI_NS1_7vsmem_tEENKUlT_SG_SH_SI_E_clIS7_S7_SB_PlEESF_SV_SG_SH_SI_EUlSV_E_NS1_11comp_targetILNS1_3genE4ELNS1_11target_archE910ELNS1_3gpuE8ELNS1_3repE0EEENS1_48merge_mergepath_partition_config_static_selectorELNS0_4arch9wavefront6targetE1EEEvSH_,"axG",@progbits,_ZN7rocprim17ROCPRIM_400000_NS6detail17trampoline_kernelINS0_14default_configENS1_38merge_sort_block_merge_config_selectorIilEEZZNS1_27merge_sort_block_merge_implIS3_PiN6thrust23THRUST_200600_302600_NS10device_ptrIlEEjNS1_19radix_merge_compareILb0ELb0EiNS0_19identity_decomposerEEEEE10hipError_tT0_T1_T2_jT3_P12ihipStream_tbPNSt15iterator_traitsISG_E10value_typeEPNSM_ISH_E10value_typeEPSI_NS1_7vsmem_tEENKUlT_SG_SH_SI_E_clIS7_S7_SB_PlEESF_SV_SG_SH_SI_EUlSV_E_NS1_11comp_targetILNS1_3genE4ELNS1_11target_archE910ELNS1_3gpuE8ELNS1_3repE0EEENS1_48merge_mergepath_partition_config_static_selectorELNS0_4arch9wavefront6targetE1EEEvSH_,comdat
.Lfunc_end771:
	.size	_ZN7rocprim17ROCPRIM_400000_NS6detail17trampoline_kernelINS0_14default_configENS1_38merge_sort_block_merge_config_selectorIilEEZZNS1_27merge_sort_block_merge_implIS3_PiN6thrust23THRUST_200600_302600_NS10device_ptrIlEEjNS1_19radix_merge_compareILb0ELb0EiNS0_19identity_decomposerEEEEE10hipError_tT0_T1_T2_jT3_P12ihipStream_tbPNSt15iterator_traitsISG_E10value_typeEPNSM_ISH_E10value_typeEPSI_NS1_7vsmem_tEENKUlT_SG_SH_SI_E_clIS7_S7_SB_PlEESF_SV_SG_SH_SI_EUlSV_E_NS1_11comp_targetILNS1_3genE4ELNS1_11target_archE910ELNS1_3gpuE8ELNS1_3repE0EEENS1_48merge_mergepath_partition_config_static_selectorELNS0_4arch9wavefront6targetE1EEEvSH_, .Lfunc_end771-_ZN7rocprim17ROCPRIM_400000_NS6detail17trampoline_kernelINS0_14default_configENS1_38merge_sort_block_merge_config_selectorIilEEZZNS1_27merge_sort_block_merge_implIS3_PiN6thrust23THRUST_200600_302600_NS10device_ptrIlEEjNS1_19radix_merge_compareILb0ELb0EiNS0_19identity_decomposerEEEEE10hipError_tT0_T1_T2_jT3_P12ihipStream_tbPNSt15iterator_traitsISG_E10value_typeEPNSM_ISH_E10value_typeEPSI_NS1_7vsmem_tEENKUlT_SG_SH_SI_E_clIS7_S7_SB_PlEESF_SV_SG_SH_SI_EUlSV_E_NS1_11comp_targetILNS1_3genE4ELNS1_11target_archE910ELNS1_3gpuE8ELNS1_3repE0EEENS1_48merge_mergepath_partition_config_static_selectorELNS0_4arch9wavefront6targetE1EEEvSH_
                                        ; -- End function
	.set _ZN7rocprim17ROCPRIM_400000_NS6detail17trampoline_kernelINS0_14default_configENS1_38merge_sort_block_merge_config_selectorIilEEZZNS1_27merge_sort_block_merge_implIS3_PiN6thrust23THRUST_200600_302600_NS10device_ptrIlEEjNS1_19radix_merge_compareILb0ELb0EiNS0_19identity_decomposerEEEEE10hipError_tT0_T1_T2_jT3_P12ihipStream_tbPNSt15iterator_traitsISG_E10value_typeEPNSM_ISH_E10value_typeEPSI_NS1_7vsmem_tEENKUlT_SG_SH_SI_E_clIS7_S7_SB_PlEESF_SV_SG_SH_SI_EUlSV_E_NS1_11comp_targetILNS1_3genE4ELNS1_11target_archE910ELNS1_3gpuE8ELNS1_3repE0EEENS1_48merge_mergepath_partition_config_static_selectorELNS0_4arch9wavefront6targetE1EEEvSH_.num_vgpr, 0
	.set _ZN7rocprim17ROCPRIM_400000_NS6detail17trampoline_kernelINS0_14default_configENS1_38merge_sort_block_merge_config_selectorIilEEZZNS1_27merge_sort_block_merge_implIS3_PiN6thrust23THRUST_200600_302600_NS10device_ptrIlEEjNS1_19radix_merge_compareILb0ELb0EiNS0_19identity_decomposerEEEEE10hipError_tT0_T1_T2_jT3_P12ihipStream_tbPNSt15iterator_traitsISG_E10value_typeEPNSM_ISH_E10value_typeEPSI_NS1_7vsmem_tEENKUlT_SG_SH_SI_E_clIS7_S7_SB_PlEESF_SV_SG_SH_SI_EUlSV_E_NS1_11comp_targetILNS1_3genE4ELNS1_11target_archE910ELNS1_3gpuE8ELNS1_3repE0EEENS1_48merge_mergepath_partition_config_static_selectorELNS0_4arch9wavefront6targetE1EEEvSH_.num_agpr, 0
	.set _ZN7rocprim17ROCPRIM_400000_NS6detail17trampoline_kernelINS0_14default_configENS1_38merge_sort_block_merge_config_selectorIilEEZZNS1_27merge_sort_block_merge_implIS3_PiN6thrust23THRUST_200600_302600_NS10device_ptrIlEEjNS1_19radix_merge_compareILb0ELb0EiNS0_19identity_decomposerEEEEE10hipError_tT0_T1_T2_jT3_P12ihipStream_tbPNSt15iterator_traitsISG_E10value_typeEPNSM_ISH_E10value_typeEPSI_NS1_7vsmem_tEENKUlT_SG_SH_SI_E_clIS7_S7_SB_PlEESF_SV_SG_SH_SI_EUlSV_E_NS1_11comp_targetILNS1_3genE4ELNS1_11target_archE910ELNS1_3gpuE8ELNS1_3repE0EEENS1_48merge_mergepath_partition_config_static_selectorELNS0_4arch9wavefront6targetE1EEEvSH_.numbered_sgpr, 0
	.set _ZN7rocprim17ROCPRIM_400000_NS6detail17trampoline_kernelINS0_14default_configENS1_38merge_sort_block_merge_config_selectorIilEEZZNS1_27merge_sort_block_merge_implIS3_PiN6thrust23THRUST_200600_302600_NS10device_ptrIlEEjNS1_19radix_merge_compareILb0ELb0EiNS0_19identity_decomposerEEEEE10hipError_tT0_T1_T2_jT3_P12ihipStream_tbPNSt15iterator_traitsISG_E10value_typeEPNSM_ISH_E10value_typeEPSI_NS1_7vsmem_tEENKUlT_SG_SH_SI_E_clIS7_S7_SB_PlEESF_SV_SG_SH_SI_EUlSV_E_NS1_11comp_targetILNS1_3genE4ELNS1_11target_archE910ELNS1_3gpuE8ELNS1_3repE0EEENS1_48merge_mergepath_partition_config_static_selectorELNS0_4arch9wavefront6targetE1EEEvSH_.num_named_barrier, 0
	.set _ZN7rocprim17ROCPRIM_400000_NS6detail17trampoline_kernelINS0_14default_configENS1_38merge_sort_block_merge_config_selectorIilEEZZNS1_27merge_sort_block_merge_implIS3_PiN6thrust23THRUST_200600_302600_NS10device_ptrIlEEjNS1_19radix_merge_compareILb0ELb0EiNS0_19identity_decomposerEEEEE10hipError_tT0_T1_T2_jT3_P12ihipStream_tbPNSt15iterator_traitsISG_E10value_typeEPNSM_ISH_E10value_typeEPSI_NS1_7vsmem_tEENKUlT_SG_SH_SI_E_clIS7_S7_SB_PlEESF_SV_SG_SH_SI_EUlSV_E_NS1_11comp_targetILNS1_3genE4ELNS1_11target_archE910ELNS1_3gpuE8ELNS1_3repE0EEENS1_48merge_mergepath_partition_config_static_selectorELNS0_4arch9wavefront6targetE1EEEvSH_.private_seg_size, 0
	.set _ZN7rocprim17ROCPRIM_400000_NS6detail17trampoline_kernelINS0_14default_configENS1_38merge_sort_block_merge_config_selectorIilEEZZNS1_27merge_sort_block_merge_implIS3_PiN6thrust23THRUST_200600_302600_NS10device_ptrIlEEjNS1_19radix_merge_compareILb0ELb0EiNS0_19identity_decomposerEEEEE10hipError_tT0_T1_T2_jT3_P12ihipStream_tbPNSt15iterator_traitsISG_E10value_typeEPNSM_ISH_E10value_typeEPSI_NS1_7vsmem_tEENKUlT_SG_SH_SI_E_clIS7_S7_SB_PlEESF_SV_SG_SH_SI_EUlSV_E_NS1_11comp_targetILNS1_3genE4ELNS1_11target_archE910ELNS1_3gpuE8ELNS1_3repE0EEENS1_48merge_mergepath_partition_config_static_selectorELNS0_4arch9wavefront6targetE1EEEvSH_.uses_vcc, 0
	.set _ZN7rocprim17ROCPRIM_400000_NS6detail17trampoline_kernelINS0_14default_configENS1_38merge_sort_block_merge_config_selectorIilEEZZNS1_27merge_sort_block_merge_implIS3_PiN6thrust23THRUST_200600_302600_NS10device_ptrIlEEjNS1_19radix_merge_compareILb0ELb0EiNS0_19identity_decomposerEEEEE10hipError_tT0_T1_T2_jT3_P12ihipStream_tbPNSt15iterator_traitsISG_E10value_typeEPNSM_ISH_E10value_typeEPSI_NS1_7vsmem_tEENKUlT_SG_SH_SI_E_clIS7_S7_SB_PlEESF_SV_SG_SH_SI_EUlSV_E_NS1_11comp_targetILNS1_3genE4ELNS1_11target_archE910ELNS1_3gpuE8ELNS1_3repE0EEENS1_48merge_mergepath_partition_config_static_selectorELNS0_4arch9wavefront6targetE1EEEvSH_.uses_flat_scratch, 0
	.set _ZN7rocprim17ROCPRIM_400000_NS6detail17trampoline_kernelINS0_14default_configENS1_38merge_sort_block_merge_config_selectorIilEEZZNS1_27merge_sort_block_merge_implIS3_PiN6thrust23THRUST_200600_302600_NS10device_ptrIlEEjNS1_19radix_merge_compareILb0ELb0EiNS0_19identity_decomposerEEEEE10hipError_tT0_T1_T2_jT3_P12ihipStream_tbPNSt15iterator_traitsISG_E10value_typeEPNSM_ISH_E10value_typeEPSI_NS1_7vsmem_tEENKUlT_SG_SH_SI_E_clIS7_S7_SB_PlEESF_SV_SG_SH_SI_EUlSV_E_NS1_11comp_targetILNS1_3genE4ELNS1_11target_archE910ELNS1_3gpuE8ELNS1_3repE0EEENS1_48merge_mergepath_partition_config_static_selectorELNS0_4arch9wavefront6targetE1EEEvSH_.has_dyn_sized_stack, 0
	.set _ZN7rocprim17ROCPRIM_400000_NS6detail17trampoline_kernelINS0_14default_configENS1_38merge_sort_block_merge_config_selectorIilEEZZNS1_27merge_sort_block_merge_implIS3_PiN6thrust23THRUST_200600_302600_NS10device_ptrIlEEjNS1_19radix_merge_compareILb0ELb0EiNS0_19identity_decomposerEEEEE10hipError_tT0_T1_T2_jT3_P12ihipStream_tbPNSt15iterator_traitsISG_E10value_typeEPNSM_ISH_E10value_typeEPSI_NS1_7vsmem_tEENKUlT_SG_SH_SI_E_clIS7_S7_SB_PlEESF_SV_SG_SH_SI_EUlSV_E_NS1_11comp_targetILNS1_3genE4ELNS1_11target_archE910ELNS1_3gpuE8ELNS1_3repE0EEENS1_48merge_mergepath_partition_config_static_selectorELNS0_4arch9wavefront6targetE1EEEvSH_.has_recursion, 0
	.set _ZN7rocprim17ROCPRIM_400000_NS6detail17trampoline_kernelINS0_14default_configENS1_38merge_sort_block_merge_config_selectorIilEEZZNS1_27merge_sort_block_merge_implIS3_PiN6thrust23THRUST_200600_302600_NS10device_ptrIlEEjNS1_19radix_merge_compareILb0ELb0EiNS0_19identity_decomposerEEEEE10hipError_tT0_T1_T2_jT3_P12ihipStream_tbPNSt15iterator_traitsISG_E10value_typeEPNSM_ISH_E10value_typeEPSI_NS1_7vsmem_tEENKUlT_SG_SH_SI_E_clIS7_S7_SB_PlEESF_SV_SG_SH_SI_EUlSV_E_NS1_11comp_targetILNS1_3genE4ELNS1_11target_archE910ELNS1_3gpuE8ELNS1_3repE0EEENS1_48merge_mergepath_partition_config_static_selectorELNS0_4arch9wavefront6targetE1EEEvSH_.has_indirect_call, 0
	.section	.AMDGPU.csdata,"",@progbits
; Kernel info:
; codeLenInByte = 0
; TotalNumSgprs: 4
; NumVgprs: 0
; ScratchSize: 0
; MemoryBound: 0
; FloatMode: 240
; IeeeMode: 1
; LDSByteSize: 0 bytes/workgroup (compile time only)
; SGPRBlocks: 0
; VGPRBlocks: 0
; NumSGPRsForWavesPerEU: 4
; NumVGPRsForWavesPerEU: 1
; Occupancy: 10
; WaveLimiterHint : 0
; COMPUTE_PGM_RSRC2:SCRATCH_EN: 0
; COMPUTE_PGM_RSRC2:USER_SGPR: 6
; COMPUTE_PGM_RSRC2:TRAP_HANDLER: 0
; COMPUTE_PGM_RSRC2:TGID_X_EN: 1
; COMPUTE_PGM_RSRC2:TGID_Y_EN: 0
; COMPUTE_PGM_RSRC2:TGID_Z_EN: 0
; COMPUTE_PGM_RSRC2:TIDIG_COMP_CNT: 0
	.section	.text._ZN7rocprim17ROCPRIM_400000_NS6detail17trampoline_kernelINS0_14default_configENS1_38merge_sort_block_merge_config_selectorIilEEZZNS1_27merge_sort_block_merge_implIS3_PiN6thrust23THRUST_200600_302600_NS10device_ptrIlEEjNS1_19radix_merge_compareILb0ELb0EiNS0_19identity_decomposerEEEEE10hipError_tT0_T1_T2_jT3_P12ihipStream_tbPNSt15iterator_traitsISG_E10value_typeEPNSM_ISH_E10value_typeEPSI_NS1_7vsmem_tEENKUlT_SG_SH_SI_E_clIS7_S7_SB_PlEESF_SV_SG_SH_SI_EUlSV_E_NS1_11comp_targetILNS1_3genE3ELNS1_11target_archE908ELNS1_3gpuE7ELNS1_3repE0EEENS1_48merge_mergepath_partition_config_static_selectorELNS0_4arch9wavefront6targetE1EEEvSH_,"axG",@progbits,_ZN7rocprim17ROCPRIM_400000_NS6detail17trampoline_kernelINS0_14default_configENS1_38merge_sort_block_merge_config_selectorIilEEZZNS1_27merge_sort_block_merge_implIS3_PiN6thrust23THRUST_200600_302600_NS10device_ptrIlEEjNS1_19radix_merge_compareILb0ELb0EiNS0_19identity_decomposerEEEEE10hipError_tT0_T1_T2_jT3_P12ihipStream_tbPNSt15iterator_traitsISG_E10value_typeEPNSM_ISH_E10value_typeEPSI_NS1_7vsmem_tEENKUlT_SG_SH_SI_E_clIS7_S7_SB_PlEESF_SV_SG_SH_SI_EUlSV_E_NS1_11comp_targetILNS1_3genE3ELNS1_11target_archE908ELNS1_3gpuE7ELNS1_3repE0EEENS1_48merge_mergepath_partition_config_static_selectorELNS0_4arch9wavefront6targetE1EEEvSH_,comdat
	.protected	_ZN7rocprim17ROCPRIM_400000_NS6detail17trampoline_kernelINS0_14default_configENS1_38merge_sort_block_merge_config_selectorIilEEZZNS1_27merge_sort_block_merge_implIS3_PiN6thrust23THRUST_200600_302600_NS10device_ptrIlEEjNS1_19radix_merge_compareILb0ELb0EiNS0_19identity_decomposerEEEEE10hipError_tT0_T1_T2_jT3_P12ihipStream_tbPNSt15iterator_traitsISG_E10value_typeEPNSM_ISH_E10value_typeEPSI_NS1_7vsmem_tEENKUlT_SG_SH_SI_E_clIS7_S7_SB_PlEESF_SV_SG_SH_SI_EUlSV_E_NS1_11comp_targetILNS1_3genE3ELNS1_11target_archE908ELNS1_3gpuE7ELNS1_3repE0EEENS1_48merge_mergepath_partition_config_static_selectorELNS0_4arch9wavefront6targetE1EEEvSH_ ; -- Begin function _ZN7rocprim17ROCPRIM_400000_NS6detail17trampoline_kernelINS0_14default_configENS1_38merge_sort_block_merge_config_selectorIilEEZZNS1_27merge_sort_block_merge_implIS3_PiN6thrust23THRUST_200600_302600_NS10device_ptrIlEEjNS1_19radix_merge_compareILb0ELb0EiNS0_19identity_decomposerEEEEE10hipError_tT0_T1_T2_jT3_P12ihipStream_tbPNSt15iterator_traitsISG_E10value_typeEPNSM_ISH_E10value_typeEPSI_NS1_7vsmem_tEENKUlT_SG_SH_SI_E_clIS7_S7_SB_PlEESF_SV_SG_SH_SI_EUlSV_E_NS1_11comp_targetILNS1_3genE3ELNS1_11target_archE908ELNS1_3gpuE7ELNS1_3repE0EEENS1_48merge_mergepath_partition_config_static_selectorELNS0_4arch9wavefront6targetE1EEEvSH_
	.globl	_ZN7rocprim17ROCPRIM_400000_NS6detail17trampoline_kernelINS0_14default_configENS1_38merge_sort_block_merge_config_selectorIilEEZZNS1_27merge_sort_block_merge_implIS3_PiN6thrust23THRUST_200600_302600_NS10device_ptrIlEEjNS1_19radix_merge_compareILb0ELb0EiNS0_19identity_decomposerEEEEE10hipError_tT0_T1_T2_jT3_P12ihipStream_tbPNSt15iterator_traitsISG_E10value_typeEPNSM_ISH_E10value_typeEPSI_NS1_7vsmem_tEENKUlT_SG_SH_SI_E_clIS7_S7_SB_PlEESF_SV_SG_SH_SI_EUlSV_E_NS1_11comp_targetILNS1_3genE3ELNS1_11target_archE908ELNS1_3gpuE7ELNS1_3repE0EEENS1_48merge_mergepath_partition_config_static_selectorELNS0_4arch9wavefront6targetE1EEEvSH_
	.p2align	8
	.type	_ZN7rocprim17ROCPRIM_400000_NS6detail17trampoline_kernelINS0_14default_configENS1_38merge_sort_block_merge_config_selectorIilEEZZNS1_27merge_sort_block_merge_implIS3_PiN6thrust23THRUST_200600_302600_NS10device_ptrIlEEjNS1_19radix_merge_compareILb0ELb0EiNS0_19identity_decomposerEEEEE10hipError_tT0_T1_T2_jT3_P12ihipStream_tbPNSt15iterator_traitsISG_E10value_typeEPNSM_ISH_E10value_typeEPSI_NS1_7vsmem_tEENKUlT_SG_SH_SI_E_clIS7_S7_SB_PlEESF_SV_SG_SH_SI_EUlSV_E_NS1_11comp_targetILNS1_3genE3ELNS1_11target_archE908ELNS1_3gpuE7ELNS1_3repE0EEENS1_48merge_mergepath_partition_config_static_selectorELNS0_4arch9wavefront6targetE1EEEvSH_,@function
_ZN7rocprim17ROCPRIM_400000_NS6detail17trampoline_kernelINS0_14default_configENS1_38merge_sort_block_merge_config_selectorIilEEZZNS1_27merge_sort_block_merge_implIS3_PiN6thrust23THRUST_200600_302600_NS10device_ptrIlEEjNS1_19radix_merge_compareILb0ELb0EiNS0_19identity_decomposerEEEEE10hipError_tT0_T1_T2_jT3_P12ihipStream_tbPNSt15iterator_traitsISG_E10value_typeEPNSM_ISH_E10value_typeEPSI_NS1_7vsmem_tEENKUlT_SG_SH_SI_E_clIS7_S7_SB_PlEESF_SV_SG_SH_SI_EUlSV_E_NS1_11comp_targetILNS1_3genE3ELNS1_11target_archE908ELNS1_3gpuE7ELNS1_3repE0EEENS1_48merge_mergepath_partition_config_static_selectorELNS0_4arch9wavefront6targetE1EEEvSH_: ; @_ZN7rocprim17ROCPRIM_400000_NS6detail17trampoline_kernelINS0_14default_configENS1_38merge_sort_block_merge_config_selectorIilEEZZNS1_27merge_sort_block_merge_implIS3_PiN6thrust23THRUST_200600_302600_NS10device_ptrIlEEjNS1_19radix_merge_compareILb0ELb0EiNS0_19identity_decomposerEEEEE10hipError_tT0_T1_T2_jT3_P12ihipStream_tbPNSt15iterator_traitsISG_E10value_typeEPNSM_ISH_E10value_typeEPSI_NS1_7vsmem_tEENKUlT_SG_SH_SI_E_clIS7_S7_SB_PlEESF_SV_SG_SH_SI_EUlSV_E_NS1_11comp_targetILNS1_3genE3ELNS1_11target_archE908ELNS1_3gpuE7ELNS1_3repE0EEENS1_48merge_mergepath_partition_config_static_selectorELNS0_4arch9wavefront6targetE1EEEvSH_
; %bb.0:
	.section	.rodata,"a",@progbits
	.p2align	6, 0x0
	.amdhsa_kernel _ZN7rocprim17ROCPRIM_400000_NS6detail17trampoline_kernelINS0_14default_configENS1_38merge_sort_block_merge_config_selectorIilEEZZNS1_27merge_sort_block_merge_implIS3_PiN6thrust23THRUST_200600_302600_NS10device_ptrIlEEjNS1_19radix_merge_compareILb0ELb0EiNS0_19identity_decomposerEEEEE10hipError_tT0_T1_T2_jT3_P12ihipStream_tbPNSt15iterator_traitsISG_E10value_typeEPNSM_ISH_E10value_typeEPSI_NS1_7vsmem_tEENKUlT_SG_SH_SI_E_clIS7_S7_SB_PlEESF_SV_SG_SH_SI_EUlSV_E_NS1_11comp_targetILNS1_3genE3ELNS1_11target_archE908ELNS1_3gpuE7ELNS1_3repE0EEENS1_48merge_mergepath_partition_config_static_selectorELNS0_4arch9wavefront6targetE1EEEvSH_
		.amdhsa_group_segment_fixed_size 0
		.amdhsa_private_segment_fixed_size 0
		.amdhsa_kernarg_size 40
		.amdhsa_user_sgpr_count 6
		.amdhsa_user_sgpr_private_segment_buffer 1
		.amdhsa_user_sgpr_dispatch_ptr 0
		.amdhsa_user_sgpr_queue_ptr 0
		.amdhsa_user_sgpr_kernarg_segment_ptr 1
		.amdhsa_user_sgpr_dispatch_id 0
		.amdhsa_user_sgpr_flat_scratch_init 0
		.amdhsa_user_sgpr_private_segment_size 0
		.amdhsa_uses_dynamic_stack 0
		.amdhsa_system_sgpr_private_segment_wavefront_offset 0
		.amdhsa_system_sgpr_workgroup_id_x 1
		.amdhsa_system_sgpr_workgroup_id_y 0
		.amdhsa_system_sgpr_workgroup_id_z 0
		.amdhsa_system_sgpr_workgroup_info 0
		.amdhsa_system_vgpr_workitem_id 0
		.amdhsa_next_free_vgpr 1
		.amdhsa_next_free_sgpr 0
		.amdhsa_reserve_vcc 0
		.amdhsa_reserve_flat_scratch 0
		.amdhsa_float_round_mode_32 0
		.amdhsa_float_round_mode_16_64 0
		.amdhsa_float_denorm_mode_32 3
		.amdhsa_float_denorm_mode_16_64 3
		.amdhsa_dx10_clamp 1
		.amdhsa_ieee_mode 1
		.amdhsa_fp16_overflow 0
		.amdhsa_exception_fp_ieee_invalid_op 0
		.amdhsa_exception_fp_denorm_src 0
		.amdhsa_exception_fp_ieee_div_zero 0
		.amdhsa_exception_fp_ieee_overflow 0
		.amdhsa_exception_fp_ieee_underflow 0
		.amdhsa_exception_fp_ieee_inexact 0
		.amdhsa_exception_int_div_zero 0
	.end_amdhsa_kernel
	.section	.text._ZN7rocprim17ROCPRIM_400000_NS6detail17trampoline_kernelINS0_14default_configENS1_38merge_sort_block_merge_config_selectorIilEEZZNS1_27merge_sort_block_merge_implIS3_PiN6thrust23THRUST_200600_302600_NS10device_ptrIlEEjNS1_19radix_merge_compareILb0ELb0EiNS0_19identity_decomposerEEEEE10hipError_tT0_T1_T2_jT3_P12ihipStream_tbPNSt15iterator_traitsISG_E10value_typeEPNSM_ISH_E10value_typeEPSI_NS1_7vsmem_tEENKUlT_SG_SH_SI_E_clIS7_S7_SB_PlEESF_SV_SG_SH_SI_EUlSV_E_NS1_11comp_targetILNS1_3genE3ELNS1_11target_archE908ELNS1_3gpuE7ELNS1_3repE0EEENS1_48merge_mergepath_partition_config_static_selectorELNS0_4arch9wavefront6targetE1EEEvSH_,"axG",@progbits,_ZN7rocprim17ROCPRIM_400000_NS6detail17trampoline_kernelINS0_14default_configENS1_38merge_sort_block_merge_config_selectorIilEEZZNS1_27merge_sort_block_merge_implIS3_PiN6thrust23THRUST_200600_302600_NS10device_ptrIlEEjNS1_19radix_merge_compareILb0ELb0EiNS0_19identity_decomposerEEEEE10hipError_tT0_T1_T2_jT3_P12ihipStream_tbPNSt15iterator_traitsISG_E10value_typeEPNSM_ISH_E10value_typeEPSI_NS1_7vsmem_tEENKUlT_SG_SH_SI_E_clIS7_S7_SB_PlEESF_SV_SG_SH_SI_EUlSV_E_NS1_11comp_targetILNS1_3genE3ELNS1_11target_archE908ELNS1_3gpuE7ELNS1_3repE0EEENS1_48merge_mergepath_partition_config_static_selectorELNS0_4arch9wavefront6targetE1EEEvSH_,comdat
.Lfunc_end772:
	.size	_ZN7rocprim17ROCPRIM_400000_NS6detail17trampoline_kernelINS0_14default_configENS1_38merge_sort_block_merge_config_selectorIilEEZZNS1_27merge_sort_block_merge_implIS3_PiN6thrust23THRUST_200600_302600_NS10device_ptrIlEEjNS1_19radix_merge_compareILb0ELb0EiNS0_19identity_decomposerEEEEE10hipError_tT0_T1_T2_jT3_P12ihipStream_tbPNSt15iterator_traitsISG_E10value_typeEPNSM_ISH_E10value_typeEPSI_NS1_7vsmem_tEENKUlT_SG_SH_SI_E_clIS7_S7_SB_PlEESF_SV_SG_SH_SI_EUlSV_E_NS1_11comp_targetILNS1_3genE3ELNS1_11target_archE908ELNS1_3gpuE7ELNS1_3repE0EEENS1_48merge_mergepath_partition_config_static_selectorELNS0_4arch9wavefront6targetE1EEEvSH_, .Lfunc_end772-_ZN7rocprim17ROCPRIM_400000_NS6detail17trampoline_kernelINS0_14default_configENS1_38merge_sort_block_merge_config_selectorIilEEZZNS1_27merge_sort_block_merge_implIS3_PiN6thrust23THRUST_200600_302600_NS10device_ptrIlEEjNS1_19radix_merge_compareILb0ELb0EiNS0_19identity_decomposerEEEEE10hipError_tT0_T1_T2_jT3_P12ihipStream_tbPNSt15iterator_traitsISG_E10value_typeEPNSM_ISH_E10value_typeEPSI_NS1_7vsmem_tEENKUlT_SG_SH_SI_E_clIS7_S7_SB_PlEESF_SV_SG_SH_SI_EUlSV_E_NS1_11comp_targetILNS1_3genE3ELNS1_11target_archE908ELNS1_3gpuE7ELNS1_3repE0EEENS1_48merge_mergepath_partition_config_static_selectorELNS0_4arch9wavefront6targetE1EEEvSH_
                                        ; -- End function
	.set _ZN7rocprim17ROCPRIM_400000_NS6detail17trampoline_kernelINS0_14default_configENS1_38merge_sort_block_merge_config_selectorIilEEZZNS1_27merge_sort_block_merge_implIS3_PiN6thrust23THRUST_200600_302600_NS10device_ptrIlEEjNS1_19radix_merge_compareILb0ELb0EiNS0_19identity_decomposerEEEEE10hipError_tT0_T1_T2_jT3_P12ihipStream_tbPNSt15iterator_traitsISG_E10value_typeEPNSM_ISH_E10value_typeEPSI_NS1_7vsmem_tEENKUlT_SG_SH_SI_E_clIS7_S7_SB_PlEESF_SV_SG_SH_SI_EUlSV_E_NS1_11comp_targetILNS1_3genE3ELNS1_11target_archE908ELNS1_3gpuE7ELNS1_3repE0EEENS1_48merge_mergepath_partition_config_static_selectorELNS0_4arch9wavefront6targetE1EEEvSH_.num_vgpr, 0
	.set _ZN7rocprim17ROCPRIM_400000_NS6detail17trampoline_kernelINS0_14default_configENS1_38merge_sort_block_merge_config_selectorIilEEZZNS1_27merge_sort_block_merge_implIS3_PiN6thrust23THRUST_200600_302600_NS10device_ptrIlEEjNS1_19radix_merge_compareILb0ELb0EiNS0_19identity_decomposerEEEEE10hipError_tT0_T1_T2_jT3_P12ihipStream_tbPNSt15iterator_traitsISG_E10value_typeEPNSM_ISH_E10value_typeEPSI_NS1_7vsmem_tEENKUlT_SG_SH_SI_E_clIS7_S7_SB_PlEESF_SV_SG_SH_SI_EUlSV_E_NS1_11comp_targetILNS1_3genE3ELNS1_11target_archE908ELNS1_3gpuE7ELNS1_3repE0EEENS1_48merge_mergepath_partition_config_static_selectorELNS0_4arch9wavefront6targetE1EEEvSH_.num_agpr, 0
	.set _ZN7rocprim17ROCPRIM_400000_NS6detail17trampoline_kernelINS0_14default_configENS1_38merge_sort_block_merge_config_selectorIilEEZZNS1_27merge_sort_block_merge_implIS3_PiN6thrust23THRUST_200600_302600_NS10device_ptrIlEEjNS1_19radix_merge_compareILb0ELb0EiNS0_19identity_decomposerEEEEE10hipError_tT0_T1_T2_jT3_P12ihipStream_tbPNSt15iterator_traitsISG_E10value_typeEPNSM_ISH_E10value_typeEPSI_NS1_7vsmem_tEENKUlT_SG_SH_SI_E_clIS7_S7_SB_PlEESF_SV_SG_SH_SI_EUlSV_E_NS1_11comp_targetILNS1_3genE3ELNS1_11target_archE908ELNS1_3gpuE7ELNS1_3repE0EEENS1_48merge_mergepath_partition_config_static_selectorELNS0_4arch9wavefront6targetE1EEEvSH_.numbered_sgpr, 0
	.set _ZN7rocprim17ROCPRIM_400000_NS6detail17trampoline_kernelINS0_14default_configENS1_38merge_sort_block_merge_config_selectorIilEEZZNS1_27merge_sort_block_merge_implIS3_PiN6thrust23THRUST_200600_302600_NS10device_ptrIlEEjNS1_19radix_merge_compareILb0ELb0EiNS0_19identity_decomposerEEEEE10hipError_tT0_T1_T2_jT3_P12ihipStream_tbPNSt15iterator_traitsISG_E10value_typeEPNSM_ISH_E10value_typeEPSI_NS1_7vsmem_tEENKUlT_SG_SH_SI_E_clIS7_S7_SB_PlEESF_SV_SG_SH_SI_EUlSV_E_NS1_11comp_targetILNS1_3genE3ELNS1_11target_archE908ELNS1_3gpuE7ELNS1_3repE0EEENS1_48merge_mergepath_partition_config_static_selectorELNS0_4arch9wavefront6targetE1EEEvSH_.num_named_barrier, 0
	.set _ZN7rocprim17ROCPRIM_400000_NS6detail17trampoline_kernelINS0_14default_configENS1_38merge_sort_block_merge_config_selectorIilEEZZNS1_27merge_sort_block_merge_implIS3_PiN6thrust23THRUST_200600_302600_NS10device_ptrIlEEjNS1_19radix_merge_compareILb0ELb0EiNS0_19identity_decomposerEEEEE10hipError_tT0_T1_T2_jT3_P12ihipStream_tbPNSt15iterator_traitsISG_E10value_typeEPNSM_ISH_E10value_typeEPSI_NS1_7vsmem_tEENKUlT_SG_SH_SI_E_clIS7_S7_SB_PlEESF_SV_SG_SH_SI_EUlSV_E_NS1_11comp_targetILNS1_3genE3ELNS1_11target_archE908ELNS1_3gpuE7ELNS1_3repE0EEENS1_48merge_mergepath_partition_config_static_selectorELNS0_4arch9wavefront6targetE1EEEvSH_.private_seg_size, 0
	.set _ZN7rocprim17ROCPRIM_400000_NS6detail17trampoline_kernelINS0_14default_configENS1_38merge_sort_block_merge_config_selectorIilEEZZNS1_27merge_sort_block_merge_implIS3_PiN6thrust23THRUST_200600_302600_NS10device_ptrIlEEjNS1_19radix_merge_compareILb0ELb0EiNS0_19identity_decomposerEEEEE10hipError_tT0_T1_T2_jT3_P12ihipStream_tbPNSt15iterator_traitsISG_E10value_typeEPNSM_ISH_E10value_typeEPSI_NS1_7vsmem_tEENKUlT_SG_SH_SI_E_clIS7_S7_SB_PlEESF_SV_SG_SH_SI_EUlSV_E_NS1_11comp_targetILNS1_3genE3ELNS1_11target_archE908ELNS1_3gpuE7ELNS1_3repE0EEENS1_48merge_mergepath_partition_config_static_selectorELNS0_4arch9wavefront6targetE1EEEvSH_.uses_vcc, 0
	.set _ZN7rocprim17ROCPRIM_400000_NS6detail17trampoline_kernelINS0_14default_configENS1_38merge_sort_block_merge_config_selectorIilEEZZNS1_27merge_sort_block_merge_implIS3_PiN6thrust23THRUST_200600_302600_NS10device_ptrIlEEjNS1_19radix_merge_compareILb0ELb0EiNS0_19identity_decomposerEEEEE10hipError_tT0_T1_T2_jT3_P12ihipStream_tbPNSt15iterator_traitsISG_E10value_typeEPNSM_ISH_E10value_typeEPSI_NS1_7vsmem_tEENKUlT_SG_SH_SI_E_clIS7_S7_SB_PlEESF_SV_SG_SH_SI_EUlSV_E_NS1_11comp_targetILNS1_3genE3ELNS1_11target_archE908ELNS1_3gpuE7ELNS1_3repE0EEENS1_48merge_mergepath_partition_config_static_selectorELNS0_4arch9wavefront6targetE1EEEvSH_.uses_flat_scratch, 0
	.set _ZN7rocprim17ROCPRIM_400000_NS6detail17trampoline_kernelINS0_14default_configENS1_38merge_sort_block_merge_config_selectorIilEEZZNS1_27merge_sort_block_merge_implIS3_PiN6thrust23THRUST_200600_302600_NS10device_ptrIlEEjNS1_19radix_merge_compareILb0ELb0EiNS0_19identity_decomposerEEEEE10hipError_tT0_T1_T2_jT3_P12ihipStream_tbPNSt15iterator_traitsISG_E10value_typeEPNSM_ISH_E10value_typeEPSI_NS1_7vsmem_tEENKUlT_SG_SH_SI_E_clIS7_S7_SB_PlEESF_SV_SG_SH_SI_EUlSV_E_NS1_11comp_targetILNS1_3genE3ELNS1_11target_archE908ELNS1_3gpuE7ELNS1_3repE0EEENS1_48merge_mergepath_partition_config_static_selectorELNS0_4arch9wavefront6targetE1EEEvSH_.has_dyn_sized_stack, 0
	.set _ZN7rocprim17ROCPRIM_400000_NS6detail17trampoline_kernelINS0_14default_configENS1_38merge_sort_block_merge_config_selectorIilEEZZNS1_27merge_sort_block_merge_implIS3_PiN6thrust23THRUST_200600_302600_NS10device_ptrIlEEjNS1_19radix_merge_compareILb0ELb0EiNS0_19identity_decomposerEEEEE10hipError_tT0_T1_T2_jT3_P12ihipStream_tbPNSt15iterator_traitsISG_E10value_typeEPNSM_ISH_E10value_typeEPSI_NS1_7vsmem_tEENKUlT_SG_SH_SI_E_clIS7_S7_SB_PlEESF_SV_SG_SH_SI_EUlSV_E_NS1_11comp_targetILNS1_3genE3ELNS1_11target_archE908ELNS1_3gpuE7ELNS1_3repE0EEENS1_48merge_mergepath_partition_config_static_selectorELNS0_4arch9wavefront6targetE1EEEvSH_.has_recursion, 0
	.set _ZN7rocprim17ROCPRIM_400000_NS6detail17trampoline_kernelINS0_14default_configENS1_38merge_sort_block_merge_config_selectorIilEEZZNS1_27merge_sort_block_merge_implIS3_PiN6thrust23THRUST_200600_302600_NS10device_ptrIlEEjNS1_19radix_merge_compareILb0ELb0EiNS0_19identity_decomposerEEEEE10hipError_tT0_T1_T2_jT3_P12ihipStream_tbPNSt15iterator_traitsISG_E10value_typeEPNSM_ISH_E10value_typeEPSI_NS1_7vsmem_tEENKUlT_SG_SH_SI_E_clIS7_S7_SB_PlEESF_SV_SG_SH_SI_EUlSV_E_NS1_11comp_targetILNS1_3genE3ELNS1_11target_archE908ELNS1_3gpuE7ELNS1_3repE0EEENS1_48merge_mergepath_partition_config_static_selectorELNS0_4arch9wavefront6targetE1EEEvSH_.has_indirect_call, 0
	.section	.AMDGPU.csdata,"",@progbits
; Kernel info:
; codeLenInByte = 0
; TotalNumSgprs: 4
; NumVgprs: 0
; ScratchSize: 0
; MemoryBound: 0
; FloatMode: 240
; IeeeMode: 1
; LDSByteSize: 0 bytes/workgroup (compile time only)
; SGPRBlocks: 0
; VGPRBlocks: 0
; NumSGPRsForWavesPerEU: 4
; NumVGPRsForWavesPerEU: 1
; Occupancy: 10
; WaveLimiterHint : 0
; COMPUTE_PGM_RSRC2:SCRATCH_EN: 0
; COMPUTE_PGM_RSRC2:USER_SGPR: 6
; COMPUTE_PGM_RSRC2:TRAP_HANDLER: 0
; COMPUTE_PGM_RSRC2:TGID_X_EN: 1
; COMPUTE_PGM_RSRC2:TGID_Y_EN: 0
; COMPUTE_PGM_RSRC2:TGID_Z_EN: 0
; COMPUTE_PGM_RSRC2:TIDIG_COMP_CNT: 0
	.section	.text._ZN7rocprim17ROCPRIM_400000_NS6detail17trampoline_kernelINS0_14default_configENS1_38merge_sort_block_merge_config_selectorIilEEZZNS1_27merge_sort_block_merge_implIS3_PiN6thrust23THRUST_200600_302600_NS10device_ptrIlEEjNS1_19radix_merge_compareILb0ELb0EiNS0_19identity_decomposerEEEEE10hipError_tT0_T1_T2_jT3_P12ihipStream_tbPNSt15iterator_traitsISG_E10value_typeEPNSM_ISH_E10value_typeEPSI_NS1_7vsmem_tEENKUlT_SG_SH_SI_E_clIS7_S7_SB_PlEESF_SV_SG_SH_SI_EUlSV_E_NS1_11comp_targetILNS1_3genE2ELNS1_11target_archE906ELNS1_3gpuE6ELNS1_3repE0EEENS1_48merge_mergepath_partition_config_static_selectorELNS0_4arch9wavefront6targetE1EEEvSH_,"axG",@progbits,_ZN7rocprim17ROCPRIM_400000_NS6detail17trampoline_kernelINS0_14default_configENS1_38merge_sort_block_merge_config_selectorIilEEZZNS1_27merge_sort_block_merge_implIS3_PiN6thrust23THRUST_200600_302600_NS10device_ptrIlEEjNS1_19radix_merge_compareILb0ELb0EiNS0_19identity_decomposerEEEEE10hipError_tT0_T1_T2_jT3_P12ihipStream_tbPNSt15iterator_traitsISG_E10value_typeEPNSM_ISH_E10value_typeEPSI_NS1_7vsmem_tEENKUlT_SG_SH_SI_E_clIS7_S7_SB_PlEESF_SV_SG_SH_SI_EUlSV_E_NS1_11comp_targetILNS1_3genE2ELNS1_11target_archE906ELNS1_3gpuE6ELNS1_3repE0EEENS1_48merge_mergepath_partition_config_static_selectorELNS0_4arch9wavefront6targetE1EEEvSH_,comdat
	.protected	_ZN7rocprim17ROCPRIM_400000_NS6detail17trampoline_kernelINS0_14default_configENS1_38merge_sort_block_merge_config_selectorIilEEZZNS1_27merge_sort_block_merge_implIS3_PiN6thrust23THRUST_200600_302600_NS10device_ptrIlEEjNS1_19radix_merge_compareILb0ELb0EiNS0_19identity_decomposerEEEEE10hipError_tT0_T1_T2_jT3_P12ihipStream_tbPNSt15iterator_traitsISG_E10value_typeEPNSM_ISH_E10value_typeEPSI_NS1_7vsmem_tEENKUlT_SG_SH_SI_E_clIS7_S7_SB_PlEESF_SV_SG_SH_SI_EUlSV_E_NS1_11comp_targetILNS1_3genE2ELNS1_11target_archE906ELNS1_3gpuE6ELNS1_3repE0EEENS1_48merge_mergepath_partition_config_static_selectorELNS0_4arch9wavefront6targetE1EEEvSH_ ; -- Begin function _ZN7rocprim17ROCPRIM_400000_NS6detail17trampoline_kernelINS0_14default_configENS1_38merge_sort_block_merge_config_selectorIilEEZZNS1_27merge_sort_block_merge_implIS3_PiN6thrust23THRUST_200600_302600_NS10device_ptrIlEEjNS1_19radix_merge_compareILb0ELb0EiNS0_19identity_decomposerEEEEE10hipError_tT0_T1_T2_jT3_P12ihipStream_tbPNSt15iterator_traitsISG_E10value_typeEPNSM_ISH_E10value_typeEPSI_NS1_7vsmem_tEENKUlT_SG_SH_SI_E_clIS7_S7_SB_PlEESF_SV_SG_SH_SI_EUlSV_E_NS1_11comp_targetILNS1_3genE2ELNS1_11target_archE906ELNS1_3gpuE6ELNS1_3repE0EEENS1_48merge_mergepath_partition_config_static_selectorELNS0_4arch9wavefront6targetE1EEEvSH_
	.globl	_ZN7rocprim17ROCPRIM_400000_NS6detail17trampoline_kernelINS0_14default_configENS1_38merge_sort_block_merge_config_selectorIilEEZZNS1_27merge_sort_block_merge_implIS3_PiN6thrust23THRUST_200600_302600_NS10device_ptrIlEEjNS1_19radix_merge_compareILb0ELb0EiNS0_19identity_decomposerEEEEE10hipError_tT0_T1_T2_jT3_P12ihipStream_tbPNSt15iterator_traitsISG_E10value_typeEPNSM_ISH_E10value_typeEPSI_NS1_7vsmem_tEENKUlT_SG_SH_SI_E_clIS7_S7_SB_PlEESF_SV_SG_SH_SI_EUlSV_E_NS1_11comp_targetILNS1_3genE2ELNS1_11target_archE906ELNS1_3gpuE6ELNS1_3repE0EEENS1_48merge_mergepath_partition_config_static_selectorELNS0_4arch9wavefront6targetE1EEEvSH_
	.p2align	8
	.type	_ZN7rocprim17ROCPRIM_400000_NS6detail17trampoline_kernelINS0_14default_configENS1_38merge_sort_block_merge_config_selectorIilEEZZNS1_27merge_sort_block_merge_implIS3_PiN6thrust23THRUST_200600_302600_NS10device_ptrIlEEjNS1_19radix_merge_compareILb0ELb0EiNS0_19identity_decomposerEEEEE10hipError_tT0_T1_T2_jT3_P12ihipStream_tbPNSt15iterator_traitsISG_E10value_typeEPNSM_ISH_E10value_typeEPSI_NS1_7vsmem_tEENKUlT_SG_SH_SI_E_clIS7_S7_SB_PlEESF_SV_SG_SH_SI_EUlSV_E_NS1_11comp_targetILNS1_3genE2ELNS1_11target_archE906ELNS1_3gpuE6ELNS1_3repE0EEENS1_48merge_mergepath_partition_config_static_selectorELNS0_4arch9wavefront6targetE1EEEvSH_,@function
_ZN7rocprim17ROCPRIM_400000_NS6detail17trampoline_kernelINS0_14default_configENS1_38merge_sort_block_merge_config_selectorIilEEZZNS1_27merge_sort_block_merge_implIS3_PiN6thrust23THRUST_200600_302600_NS10device_ptrIlEEjNS1_19radix_merge_compareILb0ELb0EiNS0_19identity_decomposerEEEEE10hipError_tT0_T1_T2_jT3_P12ihipStream_tbPNSt15iterator_traitsISG_E10value_typeEPNSM_ISH_E10value_typeEPSI_NS1_7vsmem_tEENKUlT_SG_SH_SI_E_clIS7_S7_SB_PlEESF_SV_SG_SH_SI_EUlSV_E_NS1_11comp_targetILNS1_3genE2ELNS1_11target_archE906ELNS1_3gpuE6ELNS1_3repE0EEENS1_48merge_mergepath_partition_config_static_selectorELNS0_4arch9wavefront6targetE1EEEvSH_: ; @_ZN7rocprim17ROCPRIM_400000_NS6detail17trampoline_kernelINS0_14default_configENS1_38merge_sort_block_merge_config_selectorIilEEZZNS1_27merge_sort_block_merge_implIS3_PiN6thrust23THRUST_200600_302600_NS10device_ptrIlEEjNS1_19radix_merge_compareILb0ELb0EiNS0_19identity_decomposerEEEEE10hipError_tT0_T1_T2_jT3_P12ihipStream_tbPNSt15iterator_traitsISG_E10value_typeEPNSM_ISH_E10value_typeEPSI_NS1_7vsmem_tEENKUlT_SG_SH_SI_E_clIS7_S7_SB_PlEESF_SV_SG_SH_SI_EUlSV_E_NS1_11comp_targetILNS1_3genE2ELNS1_11target_archE906ELNS1_3gpuE6ELNS1_3repE0EEENS1_48merge_mergepath_partition_config_static_selectorELNS0_4arch9wavefront6targetE1EEEvSH_
; %bb.0:
	s_load_dword s0, s[4:5], 0x0
	v_lshl_or_b32 v0, s6, 7, v0
	s_waitcnt lgkmcnt(0)
	v_cmp_gt_u32_e32 vcc, s0, v0
	s_and_saveexec_b64 s[0:1], vcc
	s_cbranch_execz .LBB773_6
; %bb.1:
	s_load_dwordx2 s[2:3], s[4:5], 0x4
	s_load_dwordx2 s[0:1], s[4:5], 0x20
	s_waitcnt lgkmcnt(0)
	s_lshr_b32 s6, s2, 9
	s_and_b32 s6, s6, 0x7ffffe
	s_add_i32 s7, s6, -1
	s_sub_i32 s6, 0, s6
	v_and_b32_e32 v1, s6, v0
	v_lshlrev_b32_e32 v3, 10, v1
	v_min_u32_e32 v1, s3, v3
	v_add_u32_e32 v3, s2, v3
	v_min_u32_e32 v3, s3, v3
	v_add_u32_e32 v4, s2, v3
	v_and_b32_e32 v2, s7, v0
	v_min_u32_e32 v4, s3, v4
	v_sub_u32_e32 v5, v4, v1
	v_lshlrev_b32_e32 v2, 10, v2
	v_min_u32_e32 v6, v5, v2
	v_sub_u32_e32 v2, v3, v1
	v_sub_u32_e32 v4, v4, v3
	v_sub_u32_e64 v5, v6, v4 clamp
	v_min_u32_e32 v7, v6, v2
	v_cmp_lt_u32_e32 vcc, v5, v7
	s_and_saveexec_b64 s[2:3], vcc
	s_cbranch_execz .LBB773_5
; %bb.2:
	s_load_dwordx2 s[4:5], s[4:5], 0x10
	v_mov_b32_e32 v4, 0
	v_mov_b32_e32 v2, v4
	v_lshlrev_b64 v[8:9], 2, v[1:2]
	s_waitcnt lgkmcnt(0)
	v_mov_b32_e32 v11, s5
	v_add_co_u32_e32 v2, vcc, s4, v8
	v_addc_co_u32_e32 v8, vcc, v11, v9, vcc
	v_lshlrev_b64 v[9:10], 2, v[3:4]
	v_add_co_u32_e32 v9, vcc, s4, v9
	v_addc_co_u32_e32 v10, vcc, v11, v10, vcc
	s_mov_b64 s[4:5], 0
.LBB773_3:                              ; =>This Inner Loop Header: Depth=1
	v_add_u32_e32 v3, v7, v5
	v_lshrrev_b32_e32 v3, 1, v3
	v_lshlrev_b64 v[13:14], 2, v[3:4]
	v_mov_b32_e32 v12, v4
	v_xad_u32 v11, v3, -1, v6
	v_lshlrev_b64 v[11:12], 2, v[11:12]
	v_add_co_u32_e32 v13, vcc, v2, v13
	v_addc_co_u32_e32 v14, vcc, v8, v14, vcc
	v_add_co_u32_e32 v11, vcc, v9, v11
	v_addc_co_u32_e32 v12, vcc, v10, v12, vcc
	global_load_dword v15, v[13:14], off
	global_load_dword v16, v[11:12], off
	v_add_u32_e32 v11, 1, v3
	s_waitcnt vmcnt(0)
	v_cmp_gt_i32_e32 vcc, v15, v16
	v_cndmask_b32_e32 v7, v7, v3, vcc
	v_cndmask_b32_e32 v5, v11, v5, vcc
	v_cmp_ge_u32_e32 vcc, v5, v7
	s_or_b64 s[4:5], vcc, s[4:5]
	s_andn2_b64 exec, exec, s[4:5]
	s_cbranch_execnz .LBB773_3
; %bb.4:
	s_or_b64 exec, exec, s[4:5]
.LBB773_5:
	s_or_b64 exec, exec, s[2:3]
	v_add_u32_e32 v2, v5, v1
	v_mov_b32_e32 v1, 0
	v_lshlrev_b64 v[0:1], 2, v[0:1]
	v_mov_b32_e32 v3, s1
	v_add_co_u32_e32 v0, vcc, s0, v0
	v_addc_co_u32_e32 v1, vcc, v3, v1, vcc
	global_store_dword v[0:1], v2, off
.LBB773_6:
	s_endpgm
	.section	.rodata,"a",@progbits
	.p2align	6, 0x0
	.amdhsa_kernel _ZN7rocprim17ROCPRIM_400000_NS6detail17trampoline_kernelINS0_14default_configENS1_38merge_sort_block_merge_config_selectorIilEEZZNS1_27merge_sort_block_merge_implIS3_PiN6thrust23THRUST_200600_302600_NS10device_ptrIlEEjNS1_19radix_merge_compareILb0ELb0EiNS0_19identity_decomposerEEEEE10hipError_tT0_T1_T2_jT3_P12ihipStream_tbPNSt15iterator_traitsISG_E10value_typeEPNSM_ISH_E10value_typeEPSI_NS1_7vsmem_tEENKUlT_SG_SH_SI_E_clIS7_S7_SB_PlEESF_SV_SG_SH_SI_EUlSV_E_NS1_11comp_targetILNS1_3genE2ELNS1_11target_archE906ELNS1_3gpuE6ELNS1_3repE0EEENS1_48merge_mergepath_partition_config_static_selectorELNS0_4arch9wavefront6targetE1EEEvSH_
		.amdhsa_group_segment_fixed_size 0
		.amdhsa_private_segment_fixed_size 0
		.amdhsa_kernarg_size 40
		.amdhsa_user_sgpr_count 6
		.amdhsa_user_sgpr_private_segment_buffer 1
		.amdhsa_user_sgpr_dispatch_ptr 0
		.amdhsa_user_sgpr_queue_ptr 0
		.amdhsa_user_sgpr_kernarg_segment_ptr 1
		.amdhsa_user_sgpr_dispatch_id 0
		.amdhsa_user_sgpr_flat_scratch_init 0
		.amdhsa_user_sgpr_private_segment_size 0
		.amdhsa_uses_dynamic_stack 0
		.amdhsa_system_sgpr_private_segment_wavefront_offset 0
		.amdhsa_system_sgpr_workgroup_id_x 1
		.amdhsa_system_sgpr_workgroup_id_y 0
		.amdhsa_system_sgpr_workgroup_id_z 0
		.amdhsa_system_sgpr_workgroup_info 0
		.amdhsa_system_vgpr_workitem_id 0
		.amdhsa_next_free_vgpr 17
		.amdhsa_next_free_sgpr 8
		.amdhsa_reserve_vcc 1
		.amdhsa_reserve_flat_scratch 0
		.amdhsa_float_round_mode_32 0
		.amdhsa_float_round_mode_16_64 0
		.amdhsa_float_denorm_mode_32 3
		.amdhsa_float_denorm_mode_16_64 3
		.amdhsa_dx10_clamp 1
		.amdhsa_ieee_mode 1
		.amdhsa_fp16_overflow 0
		.amdhsa_exception_fp_ieee_invalid_op 0
		.amdhsa_exception_fp_denorm_src 0
		.amdhsa_exception_fp_ieee_div_zero 0
		.amdhsa_exception_fp_ieee_overflow 0
		.amdhsa_exception_fp_ieee_underflow 0
		.amdhsa_exception_fp_ieee_inexact 0
		.amdhsa_exception_int_div_zero 0
	.end_amdhsa_kernel
	.section	.text._ZN7rocprim17ROCPRIM_400000_NS6detail17trampoline_kernelINS0_14default_configENS1_38merge_sort_block_merge_config_selectorIilEEZZNS1_27merge_sort_block_merge_implIS3_PiN6thrust23THRUST_200600_302600_NS10device_ptrIlEEjNS1_19radix_merge_compareILb0ELb0EiNS0_19identity_decomposerEEEEE10hipError_tT0_T1_T2_jT3_P12ihipStream_tbPNSt15iterator_traitsISG_E10value_typeEPNSM_ISH_E10value_typeEPSI_NS1_7vsmem_tEENKUlT_SG_SH_SI_E_clIS7_S7_SB_PlEESF_SV_SG_SH_SI_EUlSV_E_NS1_11comp_targetILNS1_3genE2ELNS1_11target_archE906ELNS1_3gpuE6ELNS1_3repE0EEENS1_48merge_mergepath_partition_config_static_selectorELNS0_4arch9wavefront6targetE1EEEvSH_,"axG",@progbits,_ZN7rocprim17ROCPRIM_400000_NS6detail17trampoline_kernelINS0_14default_configENS1_38merge_sort_block_merge_config_selectorIilEEZZNS1_27merge_sort_block_merge_implIS3_PiN6thrust23THRUST_200600_302600_NS10device_ptrIlEEjNS1_19radix_merge_compareILb0ELb0EiNS0_19identity_decomposerEEEEE10hipError_tT0_T1_T2_jT3_P12ihipStream_tbPNSt15iterator_traitsISG_E10value_typeEPNSM_ISH_E10value_typeEPSI_NS1_7vsmem_tEENKUlT_SG_SH_SI_E_clIS7_S7_SB_PlEESF_SV_SG_SH_SI_EUlSV_E_NS1_11comp_targetILNS1_3genE2ELNS1_11target_archE906ELNS1_3gpuE6ELNS1_3repE0EEENS1_48merge_mergepath_partition_config_static_selectorELNS0_4arch9wavefront6targetE1EEEvSH_,comdat
.Lfunc_end773:
	.size	_ZN7rocprim17ROCPRIM_400000_NS6detail17trampoline_kernelINS0_14default_configENS1_38merge_sort_block_merge_config_selectorIilEEZZNS1_27merge_sort_block_merge_implIS3_PiN6thrust23THRUST_200600_302600_NS10device_ptrIlEEjNS1_19radix_merge_compareILb0ELb0EiNS0_19identity_decomposerEEEEE10hipError_tT0_T1_T2_jT3_P12ihipStream_tbPNSt15iterator_traitsISG_E10value_typeEPNSM_ISH_E10value_typeEPSI_NS1_7vsmem_tEENKUlT_SG_SH_SI_E_clIS7_S7_SB_PlEESF_SV_SG_SH_SI_EUlSV_E_NS1_11comp_targetILNS1_3genE2ELNS1_11target_archE906ELNS1_3gpuE6ELNS1_3repE0EEENS1_48merge_mergepath_partition_config_static_selectorELNS0_4arch9wavefront6targetE1EEEvSH_, .Lfunc_end773-_ZN7rocprim17ROCPRIM_400000_NS6detail17trampoline_kernelINS0_14default_configENS1_38merge_sort_block_merge_config_selectorIilEEZZNS1_27merge_sort_block_merge_implIS3_PiN6thrust23THRUST_200600_302600_NS10device_ptrIlEEjNS1_19radix_merge_compareILb0ELb0EiNS0_19identity_decomposerEEEEE10hipError_tT0_T1_T2_jT3_P12ihipStream_tbPNSt15iterator_traitsISG_E10value_typeEPNSM_ISH_E10value_typeEPSI_NS1_7vsmem_tEENKUlT_SG_SH_SI_E_clIS7_S7_SB_PlEESF_SV_SG_SH_SI_EUlSV_E_NS1_11comp_targetILNS1_3genE2ELNS1_11target_archE906ELNS1_3gpuE6ELNS1_3repE0EEENS1_48merge_mergepath_partition_config_static_selectorELNS0_4arch9wavefront6targetE1EEEvSH_
                                        ; -- End function
	.set _ZN7rocprim17ROCPRIM_400000_NS6detail17trampoline_kernelINS0_14default_configENS1_38merge_sort_block_merge_config_selectorIilEEZZNS1_27merge_sort_block_merge_implIS3_PiN6thrust23THRUST_200600_302600_NS10device_ptrIlEEjNS1_19radix_merge_compareILb0ELb0EiNS0_19identity_decomposerEEEEE10hipError_tT0_T1_T2_jT3_P12ihipStream_tbPNSt15iterator_traitsISG_E10value_typeEPNSM_ISH_E10value_typeEPSI_NS1_7vsmem_tEENKUlT_SG_SH_SI_E_clIS7_S7_SB_PlEESF_SV_SG_SH_SI_EUlSV_E_NS1_11comp_targetILNS1_3genE2ELNS1_11target_archE906ELNS1_3gpuE6ELNS1_3repE0EEENS1_48merge_mergepath_partition_config_static_selectorELNS0_4arch9wavefront6targetE1EEEvSH_.num_vgpr, 17
	.set _ZN7rocprim17ROCPRIM_400000_NS6detail17trampoline_kernelINS0_14default_configENS1_38merge_sort_block_merge_config_selectorIilEEZZNS1_27merge_sort_block_merge_implIS3_PiN6thrust23THRUST_200600_302600_NS10device_ptrIlEEjNS1_19radix_merge_compareILb0ELb0EiNS0_19identity_decomposerEEEEE10hipError_tT0_T1_T2_jT3_P12ihipStream_tbPNSt15iterator_traitsISG_E10value_typeEPNSM_ISH_E10value_typeEPSI_NS1_7vsmem_tEENKUlT_SG_SH_SI_E_clIS7_S7_SB_PlEESF_SV_SG_SH_SI_EUlSV_E_NS1_11comp_targetILNS1_3genE2ELNS1_11target_archE906ELNS1_3gpuE6ELNS1_3repE0EEENS1_48merge_mergepath_partition_config_static_selectorELNS0_4arch9wavefront6targetE1EEEvSH_.num_agpr, 0
	.set _ZN7rocprim17ROCPRIM_400000_NS6detail17trampoline_kernelINS0_14default_configENS1_38merge_sort_block_merge_config_selectorIilEEZZNS1_27merge_sort_block_merge_implIS3_PiN6thrust23THRUST_200600_302600_NS10device_ptrIlEEjNS1_19radix_merge_compareILb0ELb0EiNS0_19identity_decomposerEEEEE10hipError_tT0_T1_T2_jT3_P12ihipStream_tbPNSt15iterator_traitsISG_E10value_typeEPNSM_ISH_E10value_typeEPSI_NS1_7vsmem_tEENKUlT_SG_SH_SI_E_clIS7_S7_SB_PlEESF_SV_SG_SH_SI_EUlSV_E_NS1_11comp_targetILNS1_3genE2ELNS1_11target_archE906ELNS1_3gpuE6ELNS1_3repE0EEENS1_48merge_mergepath_partition_config_static_selectorELNS0_4arch9wavefront6targetE1EEEvSH_.numbered_sgpr, 8
	.set _ZN7rocprim17ROCPRIM_400000_NS6detail17trampoline_kernelINS0_14default_configENS1_38merge_sort_block_merge_config_selectorIilEEZZNS1_27merge_sort_block_merge_implIS3_PiN6thrust23THRUST_200600_302600_NS10device_ptrIlEEjNS1_19radix_merge_compareILb0ELb0EiNS0_19identity_decomposerEEEEE10hipError_tT0_T1_T2_jT3_P12ihipStream_tbPNSt15iterator_traitsISG_E10value_typeEPNSM_ISH_E10value_typeEPSI_NS1_7vsmem_tEENKUlT_SG_SH_SI_E_clIS7_S7_SB_PlEESF_SV_SG_SH_SI_EUlSV_E_NS1_11comp_targetILNS1_3genE2ELNS1_11target_archE906ELNS1_3gpuE6ELNS1_3repE0EEENS1_48merge_mergepath_partition_config_static_selectorELNS0_4arch9wavefront6targetE1EEEvSH_.num_named_barrier, 0
	.set _ZN7rocprim17ROCPRIM_400000_NS6detail17trampoline_kernelINS0_14default_configENS1_38merge_sort_block_merge_config_selectorIilEEZZNS1_27merge_sort_block_merge_implIS3_PiN6thrust23THRUST_200600_302600_NS10device_ptrIlEEjNS1_19radix_merge_compareILb0ELb0EiNS0_19identity_decomposerEEEEE10hipError_tT0_T1_T2_jT3_P12ihipStream_tbPNSt15iterator_traitsISG_E10value_typeEPNSM_ISH_E10value_typeEPSI_NS1_7vsmem_tEENKUlT_SG_SH_SI_E_clIS7_S7_SB_PlEESF_SV_SG_SH_SI_EUlSV_E_NS1_11comp_targetILNS1_3genE2ELNS1_11target_archE906ELNS1_3gpuE6ELNS1_3repE0EEENS1_48merge_mergepath_partition_config_static_selectorELNS0_4arch9wavefront6targetE1EEEvSH_.private_seg_size, 0
	.set _ZN7rocprim17ROCPRIM_400000_NS6detail17trampoline_kernelINS0_14default_configENS1_38merge_sort_block_merge_config_selectorIilEEZZNS1_27merge_sort_block_merge_implIS3_PiN6thrust23THRUST_200600_302600_NS10device_ptrIlEEjNS1_19radix_merge_compareILb0ELb0EiNS0_19identity_decomposerEEEEE10hipError_tT0_T1_T2_jT3_P12ihipStream_tbPNSt15iterator_traitsISG_E10value_typeEPNSM_ISH_E10value_typeEPSI_NS1_7vsmem_tEENKUlT_SG_SH_SI_E_clIS7_S7_SB_PlEESF_SV_SG_SH_SI_EUlSV_E_NS1_11comp_targetILNS1_3genE2ELNS1_11target_archE906ELNS1_3gpuE6ELNS1_3repE0EEENS1_48merge_mergepath_partition_config_static_selectorELNS0_4arch9wavefront6targetE1EEEvSH_.uses_vcc, 1
	.set _ZN7rocprim17ROCPRIM_400000_NS6detail17trampoline_kernelINS0_14default_configENS1_38merge_sort_block_merge_config_selectorIilEEZZNS1_27merge_sort_block_merge_implIS3_PiN6thrust23THRUST_200600_302600_NS10device_ptrIlEEjNS1_19radix_merge_compareILb0ELb0EiNS0_19identity_decomposerEEEEE10hipError_tT0_T1_T2_jT3_P12ihipStream_tbPNSt15iterator_traitsISG_E10value_typeEPNSM_ISH_E10value_typeEPSI_NS1_7vsmem_tEENKUlT_SG_SH_SI_E_clIS7_S7_SB_PlEESF_SV_SG_SH_SI_EUlSV_E_NS1_11comp_targetILNS1_3genE2ELNS1_11target_archE906ELNS1_3gpuE6ELNS1_3repE0EEENS1_48merge_mergepath_partition_config_static_selectorELNS0_4arch9wavefront6targetE1EEEvSH_.uses_flat_scratch, 0
	.set _ZN7rocprim17ROCPRIM_400000_NS6detail17trampoline_kernelINS0_14default_configENS1_38merge_sort_block_merge_config_selectorIilEEZZNS1_27merge_sort_block_merge_implIS3_PiN6thrust23THRUST_200600_302600_NS10device_ptrIlEEjNS1_19radix_merge_compareILb0ELb0EiNS0_19identity_decomposerEEEEE10hipError_tT0_T1_T2_jT3_P12ihipStream_tbPNSt15iterator_traitsISG_E10value_typeEPNSM_ISH_E10value_typeEPSI_NS1_7vsmem_tEENKUlT_SG_SH_SI_E_clIS7_S7_SB_PlEESF_SV_SG_SH_SI_EUlSV_E_NS1_11comp_targetILNS1_3genE2ELNS1_11target_archE906ELNS1_3gpuE6ELNS1_3repE0EEENS1_48merge_mergepath_partition_config_static_selectorELNS0_4arch9wavefront6targetE1EEEvSH_.has_dyn_sized_stack, 0
	.set _ZN7rocprim17ROCPRIM_400000_NS6detail17trampoline_kernelINS0_14default_configENS1_38merge_sort_block_merge_config_selectorIilEEZZNS1_27merge_sort_block_merge_implIS3_PiN6thrust23THRUST_200600_302600_NS10device_ptrIlEEjNS1_19radix_merge_compareILb0ELb0EiNS0_19identity_decomposerEEEEE10hipError_tT0_T1_T2_jT3_P12ihipStream_tbPNSt15iterator_traitsISG_E10value_typeEPNSM_ISH_E10value_typeEPSI_NS1_7vsmem_tEENKUlT_SG_SH_SI_E_clIS7_S7_SB_PlEESF_SV_SG_SH_SI_EUlSV_E_NS1_11comp_targetILNS1_3genE2ELNS1_11target_archE906ELNS1_3gpuE6ELNS1_3repE0EEENS1_48merge_mergepath_partition_config_static_selectorELNS0_4arch9wavefront6targetE1EEEvSH_.has_recursion, 0
	.set _ZN7rocprim17ROCPRIM_400000_NS6detail17trampoline_kernelINS0_14default_configENS1_38merge_sort_block_merge_config_selectorIilEEZZNS1_27merge_sort_block_merge_implIS3_PiN6thrust23THRUST_200600_302600_NS10device_ptrIlEEjNS1_19radix_merge_compareILb0ELb0EiNS0_19identity_decomposerEEEEE10hipError_tT0_T1_T2_jT3_P12ihipStream_tbPNSt15iterator_traitsISG_E10value_typeEPNSM_ISH_E10value_typeEPSI_NS1_7vsmem_tEENKUlT_SG_SH_SI_E_clIS7_S7_SB_PlEESF_SV_SG_SH_SI_EUlSV_E_NS1_11comp_targetILNS1_3genE2ELNS1_11target_archE906ELNS1_3gpuE6ELNS1_3repE0EEENS1_48merge_mergepath_partition_config_static_selectorELNS0_4arch9wavefront6targetE1EEEvSH_.has_indirect_call, 0
	.section	.AMDGPU.csdata,"",@progbits
; Kernel info:
; codeLenInByte = 360
; TotalNumSgprs: 12
; NumVgprs: 17
; ScratchSize: 0
; MemoryBound: 0
; FloatMode: 240
; IeeeMode: 1
; LDSByteSize: 0 bytes/workgroup (compile time only)
; SGPRBlocks: 1
; VGPRBlocks: 4
; NumSGPRsForWavesPerEU: 12
; NumVGPRsForWavesPerEU: 17
; Occupancy: 10
; WaveLimiterHint : 0
; COMPUTE_PGM_RSRC2:SCRATCH_EN: 0
; COMPUTE_PGM_RSRC2:USER_SGPR: 6
; COMPUTE_PGM_RSRC2:TRAP_HANDLER: 0
; COMPUTE_PGM_RSRC2:TGID_X_EN: 1
; COMPUTE_PGM_RSRC2:TGID_Y_EN: 0
; COMPUTE_PGM_RSRC2:TGID_Z_EN: 0
; COMPUTE_PGM_RSRC2:TIDIG_COMP_CNT: 0
	.section	.text._ZN7rocprim17ROCPRIM_400000_NS6detail17trampoline_kernelINS0_14default_configENS1_38merge_sort_block_merge_config_selectorIilEEZZNS1_27merge_sort_block_merge_implIS3_PiN6thrust23THRUST_200600_302600_NS10device_ptrIlEEjNS1_19radix_merge_compareILb0ELb0EiNS0_19identity_decomposerEEEEE10hipError_tT0_T1_T2_jT3_P12ihipStream_tbPNSt15iterator_traitsISG_E10value_typeEPNSM_ISH_E10value_typeEPSI_NS1_7vsmem_tEENKUlT_SG_SH_SI_E_clIS7_S7_SB_PlEESF_SV_SG_SH_SI_EUlSV_E_NS1_11comp_targetILNS1_3genE9ELNS1_11target_archE1100ELNS1_3gpuE3ELNS1_3repE0EEENS1_48merge_mergepath_partition_config_static_selectorELNS0_4arch9wavefront6targetE1EEEvSH_,"axG",@progbits,_ZN7rocprim17ROCPRIM_400000_NS6detail17trampoline_kernelINS0_14default_configENS1_38merge_sort_block_merge_config_selectorIilEEZZNS1_27merge_sort_block_merge_implIS3_PiN6thrust23THRUST_200600_302600_NS10device_ptrIlEEjNS1_19radix_merge_compareILb0ELb0EiNS0_19identity_decomposerEEEEE10hipError_tT0_T1_T2_jT3_P12ihipStream_tbPNSt15iterator_traitsISG_E10value_typeEPNSM_ISH_E10value_typeEPSI_NS1_7vsmem_tEENKUlT_SG_SH_SI_E_clIS7_S7_SB_PlEESF_SV_SG_SH_SI_EUlSV_E_NS1_11comp_targetILNS1_3genE9ELNS1_11target_archE1100ELNS1_3gpuE3ELNS1_3repE0EEENS1_48merge_mergepath_partition_config_static_selectorELNS0_4arch9wavefront6targetE1EEEvSH_,comdat
	.protected	_ZN7rocprim17ROCPRIM_400000_NS6detail17trampoline_kernelINS0_14default_configENS1_38merge_sort_block_merge_config_selectorIilEEZZNS1_27merge_sort_block_merge_implIS3_PiN6thrust23THRUST_200600_302600_NS10device_ptrIlEEjNS1_19radix_merge_compareILb0ELb0EiNS0_19identity_decomposerEEEEE10hipError_tT0_T1_T2_jT3_P12ihipStream_tbPNSt15iterator_traitsISG_E10value_typeEPNSM_ISH_E10value_typeEPSI_NS1_7vsmem_tEENKUlT_SG_SH_SI_E_clIS7_S7_SB_PlEESF_SV_SG_SH_SI_EUlSV_E_NS1_11comp_targetILNS1_3genE9ELNS1_11target_archE1100ELNS1_3gpuE3ELNS1_3repE0EEENS1_48merge_mergepath_partition_config_static_selectorELNS0_4arch9wavefront6targetE1EEEvSH_ ; -- Begin function _ZN7rocprim17ROCPRIM_400000_NS6detail17trampoline_kernelINS0_14default_configENS1_38merge_sort_block_merge_config_selectorIilEEZZNS1_27merge_sort_block_merge_implIS3_PiN6thrust23THRUST_200600_302600_NS10device_ptrIlEEjNS1_19radix_merge_compareILb0ELb0EiNS0_19identity_decomposerEEEEE10hipError_tT0_T1_T2_jT3_P12ihipStream_tbPNSt15iterator_traitsISG_E10value_typeEPNSM_ISH_E10value_typeEPSI_NS1_7vsmem_tEENKUlT_SG_SH_SI_E_clIS7_S7_SB_PlEESF_SV_SG_SH_SI_EUlSV_E_NS1_11comp_targetILNS1_3genE9ELNS1_11target_archE1100ELNS1_3gpuE3ELNS1_3repE0EEENS1_48merge_mergepath_partition_config_static_selectorELNS0_4arch9wavefront6targetE1EEEvSH_
	.globl	_ZN7rocprim17ROCPRIM_400000_NS6detail17trampoline_kernelINS0_14default_configENS1_38merge_sort_block_merge_config_selectorIilEEZZNS1_27merge_sort_block_merge_implIS3_PiN6thrust23THRUST_200600_302600_NS10device_ptrIlEEjNS1_19radix_merge_compareILb0ELb0EiNS0_19identity_decomposerEEEEE10hipError_tT0_T1_T2_jT3_P12ihipStream_tbPNSt15iterator_traitsISG_E10value_typeEPNSM_ISH_E10value_typeEPSI_NS1_7vsmem_tEENKUlT_SG_SH_SI_E_clIS7_S7_SB_PlEESF_SV_SG_SH_SI_EUlSV_E_NS1_11comp_targetILNS1_3genE9ELNS1_11target_archE1100ELNS1_3gpuE3ELNS1_3repE0EEENS1_48merge_mergepath_partition_config_static_selectorELNS0_4arch9wavefront6targetE1EEEvSH_
	.p2align	8
	.type	_ZN7rocprim17ROCPRIM_400000_NS6detail17trampoline_kernelINS0_14default_configENS1_38merge_sort_block_merge_config_selectorIilEEZZNS1_27merge_sort_block_merge_implIS3_PiN6thrust23THRUST_200600_302600_NS10device_ptrIlEEjNS1_19radix_merge_compareILb0ELb0EiNS0_19identity_decomposerEEEEE10hipError_tT0_T1_T2_jT3_P12ihipStream_tbPNSt15iterator_traitsISG_E10value_typeEPNSM_ISH_E10value_typeEPSI_NS1_7vsmem_tEENKUlT_SG_SH_SI_E_clIS7_S7_SB_PlEESF_SV_SG_SH_SI_EUlSV_E_NS1_11comp_targetILNS1_3genE9ELNS1_11target_archE1100ELNS1_3gpuE3ELNS1_3repE0EEENS1_48merge_mergepath_partition_config_static_selectorELNS0_4arch9wavefront6targetE1EEEvSH_,@function
_ZN7rocprim17ROCPRIM_400000_NS6detail17trampoline_kernelINS0_14default_configENS1_38merge_sort_block_merge_config_selectorIilEEZZNS1_27merge_sort_block_merge_implIS3_PiN6thrust23THRUST_200600_302600_NS10device_ptrIlEEjNS1_19radix_merge_compareILb0ELb0EiNS0_19identity_decomposerEEEEE10hipError_tT0_T1_T2_jT3_P12ihipStream_tbPNSt15iterator_traitsISG_E10value_typeEPNSM_ISH_E10value_typeEPSI_NS1_7vsmem_tEENKUlT_SG_SH_SI_E_clIS7_S7_SB_PlEESF_SV_SG_SH_SI_EUlSV_E_NS1_11comp_targetILNS1_3genE9ELNS1_11target_archE1100ELNS1_3gpuE3ELNS1_3repE0EEENS1_48merge_mergepath_partition_config_static_selectorELNS0_4arch9wavefront6targetE1EEEvSH_: ; @_ZN7rocprim17ROCPRIM_400000_NS6detail17trampoline_kernelINS0_14default_configENS1_38merge_sort_block_merge_config_selectorIilEEZZNS1_27merge_sort_block_merge_implIS3_PiN6thrust23THRUST_200600_302600_NS10device_ptrIlEEjNS1_19radix_merge_compareILb0ELb0EiNS0_19identity_decomposerEEEEE10hipError_tT0_T1_T2_jT3_P12ihipStream_tbPNSt15iterator_traitsISG_E10value_typeEPNSM_ISH_E10value_typeEPSI_NS1_7vsmem_tEENKUlT_SG_SH_SI_E_clIS7_S7_SB_PlEESF_SV_SG_SH_SI_EUlSV_E_NS1_11comp_targetILNS1_3genE9ELNS1_11target_archE1100ELNS1_3gpuE3ELNS1_3repE0EEENS1_48merge_mergepath_partition_config_static_selectorELNS0_4arch9wavefront6targetE1EEEvSH_
; %bb.0:
	.section	.rodata,"a",@progbits
	.p2align	6, 0x0
	.amdhsa_kernel _ZN7rocprim17ROCPRIM_400000_NS6detail17trampoline_kernelINS0_14default_configENS1_38merge_sort_block_merge_config_selectorIilEEZZNS1_27merge_sort_block_merge_implIS3_PiN6thrust23THRUST_200600_302600_NS10device_ptrIlEEjNS1_19radix_merge_compareILb0ELb0EiNS0_19identity_decomposerEEEEE10hipError_tT0_T1_T2_jT3_P12ihipStream_tbPNSt15iterator_traitsISG_E10value_typeEPNSM_ISH_E10value_typeEPSI_NS1_7vsmem_tEENKUlT_SG_SH_SI_E_clIS7_S7_SB_PlEESF_SV_SG_SH_SI_EUlSV_E_NS1_11comp_targetILNS1_3genE9ELNS1_11target_archE1100ELNS1_3gpuE3ELNS1_3repE0EEENS1_48merge_mergepath_partition_config_static_selectorELNS0_4arch9wavefront6targetE1EEEvSH_
		.amdhsa_group_segment_fixed_size 0
		.amdhsa_private_segment_fixed_size 0
		.amdhsa_kernarg_size 40
		.amdhsa_user_sgpr_count 6
		.amdhsa_user_sgpr_private_segment_buffer 1
		.amdhsa_user_sgpr_dispatch_ptr 0
		.amdhsa_user_sgpr_queue_ptr 0
		.amdhsa_user_sgpr_kernarg_segment_ptr 1
		.amdhsa_user_sgpr_dispatch_id 0
		.amdhsa_user_sgpr_flat_scratch_init 0
		.amdhsa_user_sgpr_private_segment_size 0
		.amdhsa_uses_dynamic_stack 0
		.amdhsa_system_sgpr_private_segment_wavefront_offset 0
		.amdhsa_system_sgpr_workgroup_id_x 1
		.amdhsa_system_sgpr_workgroup_id_y 0
		.amdhsa_system_sgpr_workgroup_id_z 0
		.amdhsa_system_sgpr_workgroup_info 0
		.amdhsa_system_vgpr_workitem_id 0
		.amdhsa_next_free_vgpr 1
		.amdhsa_next_free_sgpr 0
		.amdhsa_reserve_vcc 0
		.amdhsa_reserve_flat_scratch 0
		.amdhsa_float_round_mode_32 0
		.amdhsa_float_round_mode_16_64 0
		.amdhsa_float_denorm_mode_32 3
		.amdhsa_float_denorm_mode_16_64 3
		.amdhsa_dx10_clamp 1
		.amdhsa_ieee_mode 1
		.amdhsa_fp16_overflow 0
		.amdhsa_exception_fp_ieee_invalid_op 0
		.amdhsa_exception_fp_denorm_src 0
		.amdhsa_exception_fp_ieee_div_zero 0
		.amdhsa_exception_fp_ieee_overflow 0
		.amdhsa_exception_fp_ieee_underflow 0
		.amdhsa_exception_fp_ieee_inexact 0
		.amdhsa_exception_int_div_zero 0
	.end_amdhsa_kernel
	.section	.text._ZN7rocprim17ROCPRIM_400000_NS6detail17trampoline_kernelINS0_14default_configENS1_38merge_sort_block_merge_config_selectorIilEEZZNS1_27merge_sort_block_merge_implIS3_PiN6thrust23THRUST_200600_302600_NS10device_ptrIlEEjNS1_19radix_merge_compareILb0ELb0EiNS0_19identity_decomposerEEEEE10hipError_tT0_T1_T2_jT3_P12ihipStream_tbPNSt15iterator_traitsISG_E10value_typeEPNSM_ISH_E10value_typeEPSI_NS1_7vsmem_tEENKUlT_SG_SH_SI_E_clIS7_S7_SB_PlEESF_SV_SG_SH_SI_EUlSV_E_NS1_11comp_targetILNS1_3genE9ELNS1_11target_archE1100ELNS1_3gpuE3ELNS1_3repE0EEENS1_48merge_mergepath_partition_config_static_selectorELNS0_4arch9wavefront6targetE1EEEvSH_,"axG",@progbits,_ZN7rocprim17ROCPRIM_400000_NS6detail17trampoline_kernelINS0_14default_configENS1_38merge_sort_block_merge_config_selectorIilEEZZNS1_27merge_sort_block_merge_implIS3_PiN6thrust23THRUST_200600_302600_NS10device_ptrIlEEjNS1_19radix_merge_compareILb0ELb0EiNS0_19identity_decomposerEEEEE10hipError_tT0_T1_T2_jT3_P12ihipStream_tbPNSt15iterator_traitsISG_E10value_typeEPNSM_ISH_E10value_typeEPSI_NS1_7vsmem_tEENKUlT_SG_SH_SI_E_clIS7_S7_SB_PlEESF_SV_SG_SH_SI_EUlSV_E_NS1_11comp_targetILNS1_3genE9ELNS1_11target_archE1100ELNS1_3gpuE3ELNS1_3repE0EEENS1_48merge_mergepath_partition_config_static_selectorELNS0_4arch9wavefront6targetE1EEEvSH_,comdat
.Lfunc_end774:
	.size	_ZN7rocprim17ROCPRIM_400000_NS6detail17trampoline_kernelINS0_14default_configENS1_38merge_sort_block_merge_config_selectorIilEEZZNS1_27merge_sort_block_merge_implIS3_PiN6thrust23THRUST_200600_302600_NS10device_ptrIlEEjNS1_19radix_merge_compareILb0ELb0EiNS0_19identity_decomposerEEEEE10hipError_tT0_T1_T2_jT3_P12ihipStream_tbPNSt15iterator_traitsISG_E10value_typeEPNSM_ISH_E10value_typeEPSI_NS1_7vsmem_tEENKUlT_SG_SH_SI_E_clIS7_S7_SB_PlEESF_SV_SG_SH_SI_EUlSV_E_NS1_11comp_targetILNS1_3genE9ELNS1_11target_archE1100ELNS1_3gpuE3ELNS1_3repE0EEENS1_48merge_mergepath_partition_config_static_selectorELNS0_4arch9wavefront6targetE1EEEvSH_, .Lfunc_end774-_ZN7rocprim17ROCPRIM_400000_NS6detail17trampoline_kernelINS0_14default_configENS1_38merge_sort_block_merge_config_selectorIilEEZZNS1_27merge_sort_block_merge_implIS3_PiN6thrust23THRUST_200600_302600_NS10device_ptrIlEEjNS1_19radix_merge_compareILb0ELb0EiNS0_19identity_decomposerEEEEE10hipError_tT0_T1_T2_jT3_P12ihipStream_tbPNSt15iterator_traitsISG_E10value_typeEPNSM_ISH_E10value_typeEPSI_NS1_7vsmem_tEENKUlT_SG_SH_SI_E_clIS7_S7_SB_PlEESF_SV_SG_SH_SI_EUlSV_E_NS1_11comp_targetILNS1_3genE9ELNS1_11target_archE1100ELNS1_3gpuE3ELNS1_3repE0EEENS1_48merge_mergepath_partition_config_static_selectorELNS0_4arch9wavefront6targetE1EEEvSH_
                                        ; -- End function
	.set _ZN7rocprim17ROCPRIM_400000_NS6detail17trampoline_kernelINS0_14default_configENS1_38merge_sort_block_merge_config_selectorIilEEZZNS1_27merge_sort_block_merge_implIS3_PiN6thrust23THRUST_200600_302600_NS10device_ptrIlEEjNS1_19radix_merge_compareILb0ELb0EiNS0_19identity_decomposerEEEEE10hipError_tT0_T1_T2_jT3_P12ihipStream_tbPNSt15iterator_traitsISG_E10value_typeEPNSM_ISH_E10value_typeEPSI_NS1_7vsmem_tEENKUlT_SG_SH_SI_E_clIS7_S7_SB_PlEESF_SV_SG_SH_SI_EUlSV_E_NS1_11comp_targetILNS1_3genE9ELNS1_11target_archE1100ELNS1_3gpuE3ELNS1_3repE0EEENS1_48merge_mergepath_partition_config_static_selectorELNS0_4arch9wavefront6targetE1EEEvSH_.num_vgpr, 0
	.set _ZN7rocprim17ROCPRIM_400000_NS6detail17trampoline_kernelINS0_14default_configENS1_38merge_sort_block_merge_config_selectorIilEEZZNS1_27merge_sort_block_merge_implIS3_PiN6thrust23THRUST_200600_302600_NS10device_ptrIlEEjNS1_19radix_merge_compareILb0ELb0EiNS0_19identity_decomposerEEEEE10hipError_tT0_T1_T2_jT3_P12ihipStream_tbPNSt15iterator_traitsISG_E10value_typeEPNSM_ISH_E10value_typeEPSI_NS1_7vsmem_tEENKUlT_SG_SH_SI_E_clIS7_S7_SB_PlEESF_SV_SG_SH_SI_EUlSV_E_NS1_11comp_targetILNS1_3genE9ELNS1_11target_archE1100ELNS1_3gpuE3ELNS1_3repE0EEENS1_48merge_mergepath_partition_config_static_selectorELNS0_4arch9wavefront6targetE1EEEvSH_.num_agpr, 0
	.set _ZN7rocprim17ROCPRIM_400000_NS6detail17trampoline_kernelINS0_14default_configENS1_38merge_sort_block_merge_config_selectorIilEEZZNS1_27merge_sort_block_merge_implIS3_PiN6thrust23THRUST_200600_302600_NS10device_ptrIlEEjNS1_19radix_merge_compareILb0ELb0EiNS0_19identity_decomposerEEEEE10hipError_tT0_T1_T2_jT3_P12ihipStream_tbPNSt15iterator_traitsISG_E10value_typeEPNSM_ISH_E10value_typeEPSI_NS1_7vsmem_tEENKUlT_SG_SH_SI_E_clIS7_S7_SB_PlEESF_SV_SG_SH_SI_EUlSV_E_NS1_11comp_targetILNS1_3genE9ELNS1_11target_archE1100ELNS1_3gpuE3ELNS1_3repE0EEENS1_48merge_mergepath_partition_config_static_selectorELNS0_4arch9wavefront6targetE1EEEvSH_.numbered_sgpr, 0
	.set _ZN7rocprim17ROCPRIM_400000_NS6detail17trampoline_kernelINS0_14default_configENS1_38merge_sort_block_merge_config_selectorIilEEZZNS1_27merge_sort_block_merge_implIS3_PiN6thrust23THRUST_200600_302600_NS10device_ptrIlEEjNS1_19radix_merge_compareILb0ELb0EiNS0_19identity_decomposerEEEEE10hipError_tT0_T1_T2_jT3_P12ihipStream_tbPNSt15iterator_traitsISG_E10value_typeEPNSM_ISH_E10value_typeEPSI_NS1_7vsmem_tEENKUlT_SG_SH_SI_E_clIS7_S7_SB_PlEESF_SV_SG_SH_SI_EUlSV_E_NS1_11comp_targetILNS1_3genE9ELNS1_11target_archE1100ELNS1_3gpuE3ELNS1_3repE0EEENS1_48merge_mergepath_partition_config_static_selectorELNS0_4arch9wavefront6targetE1EEEvSH_.num_named_barrier, 0
	.set _ZN7rocprim17ROCPRIM_400000_NS6detail17trampoline_kernelINS0_14default_configENS1_38merge_sort_block_merge_config_selectorIilEEZZNS1_27merge_sort_block_merge_implIS3_PiN6thrust23THRUST_200600_302600_NS10device_ptrIlEEjNS1_19radix_merge_compareILb0ELb0EiNS0_19identity_decomposerEEEEE10hipError_tT0_T1_T2_jT3_P12ihipStream_tbPNSt15iterator_traitsISG_E10value_typeEPNSM_ISH_E10value_typeEPSI_NS1_7vsmem_tEENKUlT_SG_SH_SI_E_clIS7_S7_SB_PlEESF_SV_SG_SH_SI_EUlSV_E_NS1_11comp_targetILNS1_3genE9ELNS1_11target_archE1100ELNS1_3gpuE3ELNS1_3repE0EEENS1_48merge_mergepath_partition_config_static_selectorELNS0_4arch9wavefront6targetE1EEEvSH_.private_seg_size, 0
	.set _ZN7rocprim17ROCPRIM_400000_NS6detail17trampoline_kernelINS0_14default_configENS1_38merge_sort_block_merge_config_selectorIilEEZZNS1_27merge_sort_block_merge_implIS3_PiN6thrust23THRUST_200600_302600_NS10device_ptrIlEEjNS1_19radix_merge_compareILb0ELb0EiNS0_19identity_decomposerEEEEE10hipError_tT0_T1_T2_jT3_P12ihipStream_tbPNSt15iterator_traitsISG_E10value_typeEPNSM_ISH_E10value_typeEPSI_NS1_7vsmem_tEENKUlT_SG_SH_SI_E_clIS7_S7_SB_PlEESF_SV_SG_SH_SI_EUlSV_E_NS1_11comp_targetILNS1_3genE9ELNS1_11target_archE1100ELNS1_3gpuE3ELNS1_3repE0EEENS1_48merge_mergepath_partition_config_static_selectorELNS0_4arch9wavefront6targetE1EEEvSH_.uses_vcc, 0
	.set _ZN7rocprim17ROCPRIM_400000_NS6detail17trampoline_kernelINS0_14default_configENS1_38merge_sort_block_merge_config_selectorIilEEZZNS1_27merge_sort_block_merge_implIS3_PiN6thrust23THRUST_200600_302600_NS10device_ptrIlEEjNS1_19radix_merge_compareILb0ELb0EiNS0_19identity_decomposerEEEEE10hipError_tT0_T1_T2_jT3_P12ihipStream_tbPNSt15iterator_traitsISG_E10value_typeEPNSM_ISH_E10value_typeEPSI_NS1_7vsmem_tEENKUlT_SG_SH_SI_E_clIS7_S7_SB_PlEESF_SV_SG_SH_SI_EUlSV_E_NS1_11comp_targetILNS1_3genE9ELNS1_11target_archE1100ELNS1_3gpuE3ELNS1_3repE0EEENS1_48merge_mergepath_partition_config_static_selectorELNS0_4arch9wavefront6targetE1EEEvSH_.uses_flat_scratch, 0
	.set _ZN7rocprim17ROCPRIM_400000_NS6detail17trampoline_kernelINS0_14default_configENS1_38merge_sort_block_merge_config_selectorIilEEZZNS1_27merge_sort_block_merge_implIS3_PiN6thrust23THRUST_200600_302600_NS10device_ptrIlEEjNS1_19radix_merge_compareILb0ELb0EiNS0_19identity_decomposerEEEEE10hipError_tT0_T1_T2_jT3_P12ihipStream_tbPNSt15iterator_traitsISG_E10value_typeEPNSM_ISH_E10value_typeEPSI_NS1_7vsmem_tEENKUlT_SG_SH_SI_E_clIS7_S7_SB_PlEESF_SV_SG_SH_SI_EUlSV_E_NS1_11comp_targetILNS1_3genE9ELNS1_11target_archE1100ELNS1_3gpuE3ELNS1_3repE0EEENS1_48merge_mergepath_partition_config_static_selectorELNS0_4arch9wavefront6targetE1EEEvSH_.has_dyn_sized_stack, 0
	.set _ZN7rocprim17ROCPRIM_400000_NS6detail17trampoline_kernelINS0_14default_configENS1_38merge_sort_block_merge_config_selectorIilEEZZNS1_27merge_sort_block_merge_implIS3_PiN6thrust23THRUST_200600_302600_NS10device_ptrIlEEjNS1_19radix_merge_compareILb0ELb0EiNS0_19identity_decomposerEEEEE10hipError_tT0_T1_T2_jT3_P12ihipStream_tbPNSt15iterator_traitsISG_E10value_typeEPNSM_ISH_E10value_typeEPSI_NS1_7vsmem_tEENKUlT_SG_SH_SI_E_clIS7_S7_SB_PlEESF_SV_SG_SH_SI_EUlSV_E_NS1_11comp_targetILNS1_3genE9ELNS1_11target_archE1100ELNS1_3gpuE3ELNS1_3repE0EEENS1_48merge_mergepath_partition_config_static_selectorELNS0_4arch9wavefront6targetE1EEEvSH_.has_recursion, 0
	.set _ZN7rocprim17ROCPRIM_400000_NS6detail17trampoline_kernelINS0_14default_configENS1_38merge_sort_block_merge_config_selectorIilEEZZNS1_27merge_sort_block_merge_implIS3_PiN6thrust23THRUST_200600_302600_NS10device_ptrIlEEjNS1_19radix_merge_compareILb0ELb0EiNS0_19identity_decomposerEEEEE10hipError_tT0_T1_T2_jT3_P12ihipStream_tbPNSt15iterator_traitsISG_E10value_typeEPNSM_ISH_E10value_typeEPSI_NS1_7vsmem_tEENKUlT_SG_SH_SI_E_clIS7_S7_SB_PlEESF_SV_SG_SH_SI_EUlSV_E_NS1_11comp_targetILNS1_3genE9ELNS1_11target_archE1100ELNS1_3gpuE3ELNS1_3repE0EEENS1_48merge_mergepath_partition_config_static_selectorELNS0_4arch9wavefront6targetE1EEEvSH_.has_indirect_call, 0
	.section	.AMDGPU.csdata,"",@progbits
; Kernel info:
; codeLenInByte = 0
; TotalNumSgprs: 4
; NumVgprs: 0
; ScratchSize: 0
; MemoryBound: 0
; FloatMode: 240
; IeeeMode: 1
; LDSByteSize: 0 bytes/workgroup (compile time only)
; SGPRBlocks: 0
; VGPRBlocks: 0
; NumSGPRsForWavesPerEU: 4
; NumVGPRsForWavesPerEU: 1
; Occupancy: 10
; WaveLimiterHint : 0
; COMPUTE_PGM_RSRC2:SCRATCH_EN: 0
; COMPUTE_PGM_RSRC2:USER_SGPR: 6
; COMPUTE_PGM_RSRC2:TRAP_HANDLER: 0
; COMPUTE_PGM_RSRC2:TGID_X_EN: 1
; COMPUTE_PGM_RSRC2:TGID_Y_EN: 0
; COMPUTE_PGM_RSRC2:TGID_Z_EN: 0
; COMPUTE_PGM_RSRC2:TIDIG_COMP_CNT: 0
	.section	.text._ZN7rocprim17ROCPRIM_400000_NS6detail17trampoline_kernelINS0_14default_configENS1_38merge_sort_block_merge_config_selectorIilEEZZNS1_27merge_sort_block_merge_implIS3_PiN6thrust23THRUST_200600_302600_NS10device_ptrIlEEjNS1_19radix_merge_compareILb0ELb0EiNS0_19identity_decomposerEEEEE10hipError_tT0_T1_T2_jT3_P12ihipStream_tbPNSt15iterator_traitsISG_E10value_typeEPNSM_ISH_E10value_typeEPSI_NS1_7vsmem_tEENKUlT_SG_SH_SI_E_clIS7_S7_SB_PlEESF_SV_SG_SH_SI_EUlSV_E_NS1_11comp_targetILNS1_3genE8ELNS1_11target_archE1030ELNS1_3gpuE2ELNS1_3repE0EEENS1_48merge_mergepath_partition_config_static_selectorELNS0_4arch9wavefront6targetE1EEEvSH_,"axG",@progbits,_ZN7rocprim17ROCPRIM_400000_NS6detail17trampoline_kernelINS0_14default_configENS1_38merge_sort_block_merge_config_selectorIilEEZZNS1_27merge_sort_block_merge_implIS3_PiN6thrust23THRUST_200600_302600_NS10device_ptrIlEEjNS1_19radix_merge_compareILb0ELb0EiNS0_19identity_decomposerEEEEE10hipError_tT0_T1_T2_jT3_P12ihipStream_tbPNSt15iterator_traitsISG_E10value_typeEPNSM_ISH_E10value_typeEPSI_NS1_7vsmem_tEENKUlT_SG_SH_SI_E_clIS7_S7_SB_PlEESF_SV_SG_SH_SI_EUlSV_E_NS1_11comp_targetILNS1_3genE8ELNS1_11target_archE1030ELNS1_3gpuE2ELNS1_3repE0EEENS1_48merge_mergepath_partition_config_static_selectorELNS0_4arch9wavefront6targetE1EEEvSH_,comdat
	.protected	_ZN7rocprim17ROCPRIM_400000_NS6detail17trampoline_kernelINS0_14default_configENS1_38merge_sort_block_merge_config_selectorIilEEZZNS1_27merge_sort_block_merge_implIS3_PiN6thrust23THRUST_200600_302600_NS10device_ptrIlEEjNS1_19radix_merge_compareILb0ELb0EiNS0_19identity_decomposerEEEEE10hipError_tT0_T1_T2_jT3_P12ihipStream_tbPNSt15iterator_traitsISG_E10value_typeEPNSM_ISH_E10value_typeEPSI_NS1_7vsmem_tEENKUlT_SG_SH_SI_E_clIS7_S7_SB_PlEESF_SV_SG_SH_SI_EUlSV_E_NS1_11comp_targetILNS1_3genE8ELNS1_11target_archE1030ELNS1_3gpuE2ELNS1_3repE0EEENS1_48merge_mergepath_partition_config_static_selectorELNS0_4arch9wavefront6targetE1EEEvSH_ ; -- Begin function _ZN7rocprim17ROCPRIM_400000_NS6detail17trampoline_kernelINS0_14default_configENS1_38merge_sort_block_merge_config_selectorIilEEZZNS1_27merge_sort_block_merge_implIS3_PiN6thrust23THRUST_200600_302600_NS10device_ptrIlEEjNS1_19radix_merge_compareILb0ELb0EiNS0_19identity_decomposerEEEEE10hipError_tT0_T1_T2_jT3_P12ihipStream_tbPNSt15iterator_traitsISG_E10value_typeEPNSM_ISH_E10value_typeEPSI_NS1_7vsmem_tEENKUlT_SG_SH_SI_E_clIS7_S7_SB_PlEESF_SV_SG_SH_SI_EUlSV_E_NS1_11comp_targetILNS1_3genE8ELNS1_11target_archE1030ELNS1_3gpuE2ELNS1_3repE0EEENS1_48merge_mergepath_partition_config_static_selectorELNS0_4arch9wavefront6targetE1EEEvSH_
	.globl	_ZN7rocprim17ROCPRIM_400000_NS6detail17trampoline_kernelINS0_14default_configENS1_38merge_sort_block_merge_config_selectorIilEEZZNS1_27merge_sort_block_merge_implIS3_PiN6thrust23THRUST_200600_302600_NS10device_ptrIlEEjNS1_19radix_merge_compareILb0ELb0EiNS0_19identity_decomposerEEEEE10hipError_tT0_T1_T2_jT3_P12ihipStream_tbPNSt15iterator_traitsISG_E10value_typeEPNSM_ISH_E10value_typeEPSI_NS1_7vsmem_tEENKUlT_SG_SH_SI_E_clIS7_S7_SB_PlEESF_SV_SG_SH_SI_EUlSV_E_NS1_11comp_targetILNS1_3genE8ELNS1_11target_archE1030ELNS1_3gpuE2ELNS1_3repE0EEENS1_48merge_mergepath_partition_config_static_selectorELNS0_4arch9wavefront6targetE1EEEvSH_
	.p2align	8
	.type	_ZN7rocprim17ROCPRIM_400000_NS6detail17trampoline_kernelINS0_14default_configENS1_38merge_sort_block_merge_config_selectorIilEEZZNS1_27merge_sort_block_merge_implIS3_PiN6thrust23THRUST_200600_302600_NS10device_ptrIlEEjNS1_19radix_merge_compareILb0ELb0EiNS0_19identity_decomposerEEEEE10hipError_tT0_T1_T2_jT3_P12ihipStream_tbPNSt15iterator_traitsISG_E10value_typeEPNSM_ISH_E10value_typeEPSI_NS1_7vsmem_tEENKUlT_SG_SH_SI_E_clIS7_S7_SB_PlEESF_SV_SG_SH_SI_EUlSV_E_NS1_11comp_targetILNS1_3genE8ELNS1_11target_archE1030ELNS1_3gpuE2ELNS1_3repE0EEENS1_48merge_mergepath_partition_config_static_selectorELNS0_4arch9wavefront6targetE1EEEvSH_,@function
_ZN7rocprim17ROCPRIM_400000_NS6detail17trampoline_kernelINS0_14default_configENS1_38merge_sort_block_merge_config_selectorIilEEZZNS1_27merge_sort_block_merge_implIS3_PiN6thrust23THRUST_200600_302600_NS10device_ptrIlEEjNS1_19radix_merge_compareILb0ELb0EiNS0_19identity_decomposerEEEEE10hipError_tT0_T1_T2_jT3_P12ihipStream_tbPNSt15iterator_traitsISG_E10value_typeEPNSM_ISH_E10value_typeEPSI_NS1_7vsmem_tEENKUlT_SG_SH_SI_E_clIS7_S7_SB_PlEESF_SV_SG_SH_SI_EUlSV_E_NS1_11comp_targetILNS1_3genE8ELNS1_11target_archE1030ELNS1_3gpuE2ELNS1_3repE0EEENS1_48merge_mergepath_partition_config_static_selectorELNS0_4arch9wavefront6targetE1EEEvSH_: ; @_ZN7rocprim17ROCPRIM_400000_NS6detail17trampoline_kernelINS0_14default_configENS1_38merge_sort_block_merge_config_selectorIilEEZZNS1_27merge_sort_block_merge_implIS3_PiN6thrust23THRUST_200600_302600_NS10device_ptrIlEEjNS1_19radix_merge_compareILb0ELb0EiNS0_19identity_decomposerEEEEE10hipError_tT0_T1_T2_jT3_P12ihipStream_tbPNSt15iterator_traitsISG_E10value_typeEPNSM_ISH_E10value_typeEPSI_NS1_7vsmem_tEENKUlT_SG_SH_SI_E_clIS7_S7_SB_PlEESF_SV_SG_SH_SI_EUlSV_E_NS1_11comp_targetILNS1_3genE8ELNS1_11target_archE1030ELNS1_3gpuE2ELNS1_3repE0EEENS1_48merge_mergepath_partition_config_static_selectorELNS0_4arch9wavefront6targetE1EEEvSH_
; %bb.0:
	.section	.rodata,"a",@progbits
	.p2align	6, 0x0
	.amdhsa_kernel _ZN7rocprim17ROCPRIM_400000_NS6detail17trampoline_kernelINS0_14default_configENS1_38merge_sort_block_merge_config_selectorIilEEZZNS1_27merge_sort_block_merge_implIS3_PiN6thrust23THRUST_200600_302600_NS10device_ptrIlEEjNS1_19radix_merge_compareILb0ELb0EiNS0_19identity_decomposerEEEEE10hipError_tT0_T1_T2_jT3_P12ihipStream_tbPNSt15iterator_traitsISG_E10value_typeEPNSM_ISH_E10value_typeEPSI_NS1_7vsmem_tEENKUlT_SG_SH_SI_E_clIS7_S7_SB_PlEESF_SV_SG_SH_SI_EUlSV_E_NS1_11comp_targetILNS1_3genE8ELNS1_11target_archE1030ELNS1_3gpuE2ELNS1_3repE0EEENS1_48merge_mergepath_partition_config_static_selectorELNS0_4arch9wavefront6targetE1EEEvSH_
		.amdhsa_group_segment_fixed_size 0
		.amdhsa_private_segment_fixed_size 0
		.amdhsa_kernarg_size 40
		.amdhsa_user_sgpr_count 6
		.amdhsa_user_sgpr_private_segment_buffer 1
		.amdhsa_user_sgpr_dispatch_ptr 0
		.amdhsa_user_sgpr_queue_ptr 0
		.amdhsa_user_sgpr_kernarg_segment_ptr 1
		.amdhsa_user_sgpr_dispatch_id 0
		.amdhsa_user_sgpr_flat_scratch_init 0
		.amdhsa_user_sgpr_private_segment_size 0
		.amdhsa_uses_dynamic_stack 0
		.amdhsa_system_sgpr_private_segment_wavefront_offset 0
		.amdhsa_system_sgpr_workgroup_id_x 1
		.amdhsa_system_sgpr_workgroup_id_y 0
		.amdhsa_system_sgpr_workgroup_id_z 0
		.amdhsa_system_sgpr_workgroup_info 0
		.amdhsa_system_vgpr_workitem_id 0
		.amdhsa_next_free_vgpr 1
		.amdhsa_next_free_sgpr 0
		.amdhsa_reserve_vcc 0
		.amdhsa_reserve_flat_scratch 0
		.amdhsa_float_round_mode_32 0
		.amdhsa_float_round_mode_16_64 0
		.amdhsa_float_denorm_mode_32 3
		.amdhsa_float_denorm_mode_16_64 3
		.amdhsa_dx10_clamp 1
		.amdhsa_ieee_mode 1
		.amdhsa_fp16_overflow 0
		.amdhsa_exception_fp_ieee_invalid_op 0
		.amdhsa_exception_fp_denorm_src 0
		.amdhsa_exception_fp_ieee_div_zero 0
		.amdhsa_exception_fp_ieee_overflow 0
		.amdhsa_exception_fp_ieee_underflow 0
		.amdhsa_exception_fp_ieee_inexact 0
		.amdhsa_exception_int_div_zero 0
	.end_amdhsa_kernel
	.section	.text._ZN7rocprim17ROCPRIM_400000_NS6detail17trampoline_kernelINS0_14default_configENS1_38merge_sort_block_merge_config_selectorIilEEZZNS1_27merge_sort_block_merge_implIS3_PiN6thrust23THRUST_200600_302600_NS10device_ptrIlEEjNS1_19radix_merge_compareILb0ELb0EiNS0_19identity_decomposerEEEEE10hipError_tT0_T1_T2_jT3_P12ihipStream_tbPNSt15iterator_traitsISG_E10value_typeEPNSM_ISH_E10value_typeEPSI_NS1_7vsmem_tEENKUlT_SG_SH_SI_E_clIS7_S7_SB_PlEESF_SV_SG_SH_SI_EUlSV_E_NS1_11comp_targetILNS1_3genE8ELNS1_11target_archE1030ELNS1_3gpuE2ELNS1_3repE0EEENS1_48merge_mergepath_partition_config_static_selectorELNS0_4arch9wavefront6targetE1EEEvSH_,"axG",@progbits,_ZN7rocprim17ROCPRIM_400000_NS6detail17trampoline_kernelINS0_14default_configENS1_38merge_sort_block_merge_config_selectorIilEEZZNS1_27merge_sort_block_merge_implIS3_PiN6thrust23THRUST_200600_302600_NS10device_ptrIlEEjNS1_19radix_merge_compareILb0ELb0EiNS0_19identity_decomposerEEEEE10hipError_tT0_T1_T2_jT3_P12ihipStream_tbPNSt15iterator_traitsISG_E10value_typeEPNSM_ISH_E10value_typeEPSI_NS1_7vsmem_tEENKUlT_SG_SH_SI_E_clIS7_S7_SB_PlEESF_SV_SG_SH_SI_EUlSV_E_NS1_11comp_targetILNS1_3genE8ELNS1_11target_archE1030ELNS1_3gpuE2ELNS1_3repE0EEENS1_48merge_mergepath_partition_config_static_selectorELNS0_4arch9wavefront6targetE1EEEvSH_,comdat
.Lfunc_end775:
	.size	_ZN7rocprim17ROCPRIM_400000_NS6detail17trampoline_kernelINS0_14default_configENS1_38merge_sort_block_merge_config_selectorIilEEZZNS1_27merge_sort_block_merge_implIS3_PiN6thrust23THRUST_200600_302600_NS10device_ptrIlEEjNS1_19radix_merge_compareILb0ELb0EiNS0_19identity_decomposerEEEEE10hipError_tT0_T1_T2_jT3_P12ihipStream_tbPNSt15iterator_traitsISG_E10value_typeEPNSM_ISH_E10value_typeEPSI_NS1_7vsmem_tEENKUlT_SG_SH_SI_E_clIS7_S7_SB_PlEESF_SV_SG_SH_SI_EUlSV_E_NS1_11comp_targetILNS1_3genE8ELNS1_11target_archE1030ELNS1_3gpuE2ELNS1_3repE0EEENS1_48merge_mergepath_partition_config_static_selectorELNS0_4arch9wavefront6targetE1EEEvSH_, .Lfunc_end775-_ZN7rocprim17ROCPRIM_400000_NS6detail17trampoline_kernelINS0_14default_configENS1_38merge_sort_block_merge_config_selectorIilEEZZNS1_27merge_sort_block_merge_implIS3_PiN6thrust23THRUST_200600_302600_NS10device_ptrIlEEjNS1_19radix_merge_compareILb0ELb0EiNS0_19identity_decomposerEEEEE10hipError_tT0_T1_T2_jT3_P12ihipStream_tbPNSt15iterator_traitsISG_E10value_typeEPNSM_ISH_E10value_typeEPSI_NS1_7vsmem_tEENKUlT_SG_SH_SI_E_clIS7_S7_SB_PlEESF_SV_SG_SH_SI_EUlSV_E_NS1_11comp_targetILNS1_3genE8ELNS1_11target_archE1030ELNS1_3gpuE2ELNS1_3repE0EEENS1_48merge_mergepath_partition_config_static_selectorELNS0_4arch9wavefront6targetE1EEEvSH_
                                        ; -- End function
	.set _ZN7rocprim17ROCPRIM_400000_NS6detail17trampoline_kernelINS0_14default_configENS1_38merge_sort_block_merge_config_selectorIilEEZZNS1_27merge_sort_block_merge_implIS3_PiN6thrust23THRUST_200600_302600_NS10device_ptrIlEEjNS1_19radix_merge_compareILb0ELb0EiNS0_19identity_decomposerEEEEE10hipError_tT0_T1_T2_jT3_P12ihipStream_tbPNSt15iterator_traitsISG_E10value_typeEPNSM_ISH_E10value_typeEPSI_NS1_7vsmem_tEENKUlT_SG_SH_SI_E_clIS7_S7_SB_PlEESF_SV_SG_SH_SI_EUlSV_E_NS1_11comp_targetILNS1_3genE8ELNS1_11target_archE1030ELNS1_3gpuE2ELNS1_3repE0EEENS1_48merge_mergepath_partition_config_static_selectorELNS0_4arch9wavefront6targetE1EEEvSH_.num_vgpr, 0
	.set _ZN7rocprim17ROCPRIM_400000_NS6detail17trampoline_kernelINS0_14default_configENS1_38merge_sort_block_merge_config_selectorIilEEZZNS1_27merge_sort_block_merge_implIS3_PiN6thrust23THRUST_200600_302600_NS10device_ptrIlEEjNS1_19radix_merge_compareILb0ELb0EiNS0_19identity_decomposerEEEEE10hipError_tT0_T1_T2_jT3_P12ihipStream_tbPNSt15iterator_traitsISG_E10value_typeEPNSM_ISH_E10value_typeEPSI_NS1_7vsmem_tEENKUlT_SG_SH_SI_E_clIS7_S7_SB_PlEESF_SV_SG_SH_SI_EUlSV_E_NS1_11comp_targetILNS1_3genE8ELNS1_11target_archE1030ELNS1_3gpuE2ELNS1_3repE0EEENS1_48merge_mergepath_partition_config_static_selectorELNS0_4arch9wavefront6targetE1EEEvSH_.num_agpr, 0
	.set _ZN7rocprim17ROCPRIM_400000_NS6detail17trampoline_kernelINS0_14default_configENS1_38merge_sort_block_merge_config_selectorIilEEZZNS1_27merge_sort_block_merge_implIS3_PiN6thrust23THRUST_200600_302600_NS10device_ptrIlEEjNS1_19radix_merge_compareILb0ELb0EiNS0_19identity_decomposerEEEEE10hipError_tT0_T1_T2_jT3_P12ihipStream_tbPNSt15iterator_traitsISG_E10value_typeEPNSM_ISH_E10value_typeEPSI_NS1_7vsmem_tEENKUlT_SG_SH_SI_E_clIS7_S7_SB_PlEESF_SV_SG_SH_SI_EUlSV_E_NS1_11comp_targetILNS1_3genE8ELNS1_11target_archE1030ELNS1_3gpuE2ELNS1_3repE0EEENS1_48merge_mergepath_partition_config_static_selectorELNS0_4arch9wavefront6targetE1EEEvSH_.numbered_sgpr, 0
	.set _ZN7rocprim17ROCPRIM_400000_NS6detail17trampoline_kernelINS0_14default_configENS1_38merge_sort_block_merge_config_selectorIilEEZZNS1_27merge_sort_block_merge_implIS3_PiN6thrust23THRUST_200600_302600_NS10device_ptrIlEEjNS1_19radix_merge_compareILb0ELb0EiNS0_19identity_decomposerEEEEE10hipError_tT0_T1_T2_jT3_P12ihipStream_tbPNSt15iterator_traitsISG_E10value_typeEPNSM_ISH_E10value_typeEPSI_NS1_7vsmem_tEENKUlT_SG_SH_SI_E_clIS7_S7_SB_PlEESF_SV_SG_SH_SI_EUlSV_E_NS1_11comp_targetILNS1_3genE8ELNS1_11target_archE1030ELNS1_3gpuE2ELNS1_3repE0EEENS1_48merge_mergepath_partition_config_static_selectorELNS0_4arch9wavefront6targetE1EEEvSH_.num_named_barrier, 0
	.set _ZN7rocprim17ROCPRIM_400000_NS6detail17trampoline_kernelINS0_14default_configENS1_38merge_sort_block_merge_config_selectorIilEEZZNS1_27merge_sort_block_merge_implIS3_PiN6thrust23THRUST_200600_302600_NS10device_ptrIlEEjNS1_19radix_merge_compareILb0ELb0EiNS0_19identity_decomposerEEEEE10hipError_tT0_T1_T2_jT3_P12ihipStream_tbPNSt15iterator_traitsISG_E10value_typeEPNSM_ISH_E10value_typeEPSI_NS1_7vsmem_tEENKUlT_SG_SH_SI_E_clIS7_S7_SB_PlEESF_SV_SG_SH_SI_EUlSV_E_NS1_11comp_targetILNS1_3genE8ELNS1_11target_archE1030ELNS1_3gpuE2ELNS1_3repE0EEENS1_48merge_mergepath_partition_config_static_selectorELNS0_4arch9wavefront6targetE1EEEvSH_.private_seg_size, 0
	.set _ZN7rocprim17ROCPRIM_400000_NS6detail17trampoline_kernelINS0_14default_configENS1_38merge_sort_block_merge_config_selectorIilEEZZNS1_27merge_sort_block_merge_implIS3_PiN6thrust23THRUST_200600_302600_NS10device_ptrIlEEjNS1_19radix_merge_compareILb0ELb0EiNS0_19identity_decomposerEEEEE10hipError_tT0_T1_T2_jT3_P12ihipStream_tbPNSt15iterator_traitsISG_E10value_typeEPNSM_ISH_E10value_typeEPSI_NS1_7vsmem_tEENKUlT_SG_SH_SI_E_clIS7_S7_SB_PlEESF_SV_SG_SH_SI_EUlSV_E_NS1_11comp_targetILNS1_3genE8ELNS1_11target_archE1030ELNS1_3gpuE2ELNS1_3repE0EEENS1_48merge_mergepath_partition_config_static_selectorELNS0_4arch9wavefront6targetE1EEEvSH_.uses_vcc, 0
	.set _ZN7rocprim17ROCPRIM_400000_NS6detail17trampoline_kernelINS0_14default_configENS1_38merge_sort_block_merge_config_selectorIilEEZZNS1_27merge_sort_block_merge_implIS3_PiN6thrust23THRUST_200600_302600_NS10device_ptrIlEEjNS1_19radix_merge_compareILb0ELb0EiNS0_19identity_decomposerEEEEE10hipError_tT0_T1_T2_jT3_P12ihipStream_tbPNSt15iterator_traitsISG_E10value_typeEPNSM_ISH_E10value_typeEPSI_NS1_7vsmem_tEENKUlT_SG_SH_SI_E_clIS7_S7_SB_PlEESF_SV_SG_SH_SI_EUlSV_E_NS1_11comp_targetILNS1_3genE8ELNS1_11target_archE1030ELNS1_3gpuE2ELNS1_3repE0EEENS1_48merge_mergepath_partition_config_static_selectorELNS0_4arch9wavefront6targetE1EEEvSH_.uses_flat_scratch, 0
	.set _ZN7rocprim17ROCPRIM_400000_NS6detail17trampoline_kernelINS0_14default_configENS1_38merge_sort_block_merge_config_selectorIilEEZZNS1_27merge_sort_block_merge_implIS3_PiN6thrust23THRUST_200600_302600_NS10device_ptrIlEEjNS1_19radix_merge_compareILb0ELb0EiNS0_19identity_decomposerEEEEE10hipError_tT0_T1_T2_jT3_P12ihipStream_tbPNSt15iterator_traitsISG_E10value_typeEPNSM_ISH_E10value_typeEPSI_NS1_7vsmem_tEENKUlT_SG_SH_SI_E_clIS7_S7_SB_PlEESF_SV_SG_SH_SI_EUlSV_E_NS1_11comp_targetILNS1_3genE8ELNS1_11target_archE1030ELNS1_3gpuE2ELNS1_3repE0EEENS1_48merge_mergepath_partition_config_static_selectorELNS0_4arch9wavefront6targetE1EEEvSH_.has_dyn_sized_stack, 0
	.set _ZN7rocprim17ROCPRIM_400000_NS6detail17trampoline_kernelINS0_14default_configENS1_38merge_sort_block_merge_config_selectorIilEEZZNS1_27merge_sort_block_merge_implIS3_PiN6thrust23THRUST_200600_302600_NS10device_ptrIlEEjNS1_19radix_merge_compareILb0ELb0EiNS0_19identity_decomposerEEEEE10hipError_tT0_T1_T2_jT3_P12ihipStream_tbPNSt15iterator_traitsISG_E10value_typeEPNSM_ISH_E10value_typeEPSI_NS1_7vsmem_tEENKUlT_SG_SH_SI_E_clIS7_S7_SB_PlEESF_SV_SG_SH_SI_EUlSV_E_NS1_11comp_targetILNS1_3genE8ELNS1_11target_archE1030ELNS1_3gpuE2ELNS1_3repE0EEENS1_48merge_mergepath_partition_config_static_selectorELNS0_4arch9wavefront6targetE1EEEvSH_.has_recursion, 0
	.set _ZN7rocprim17ROCPRIM_400000_NS6detail17trampoline_kernelINS0_14default_configENS1_38merge_sort_block_merge_config_selectorIilEEZZNS1_27merge_sort_block_merge_implIS3_PiN6thrust23THRUST_200600_302600_NS10device_ptrIlEEjNS1_19radix_merge_compareILb0ELb0EiNS0_19identity_decomposerEEEEE10hipError_tT0_T1_T2_jT3_P12ihipStream_tbPNSt15iterator_traitsISG_E10value_typeEPNSM_ISH_E10value_typeEPSI_NS1_7vsmem_tEENKUlT_SG_SH_SI_E_clIS7_S7_SB_PlEESF_SV_SG_SH_SI_EUlSV_E_NS1_11comp_targetILNS1_3genE8ELNS1_11target_archE1030ELNS1_3gpuE2ELNS1_3repE0EEENS1_48merge_mergepath_partition_config_static_selectorELNS0_4arch9wavefront6targetE1EEEvSH_.has_indirect_call, 0
	.section	.AMDGPU.csdata,"",@progbits
; Kernel info:
; codeLenInByte = 0
; TotalNumSgprs: 4
; NumVgprs: 0
; ScratchSize: 0
; MemoryBound: 0
; FloatMode: 240
; IeeeMode: 1
; LDSByteSize: 0 bytes/workgroup (compile time only)
; SGPRBlocks: 0
; VGPRBlocks: 0
; NumSGPRsForWavesPerEU: 4
; NumVGPRsForWavesPerEU: 1
; Occupancy: 10
; WaveLimiterHint : 0
; COMPUTE_PGM_RSRC2:SCRATCH_EN: 0
; COMPUTE_PGM_RSRC2:USER_SGPR: 6
; COMPUTE_PGM_RSRC2:TRAP_HANDLER: 0
; COMPUTE_PGM_RSRC2:TGID_X_EN: 1
; COMPUTE_PGM_RSRC2:TGID_Y_EN: 0
; COMPUTE_PGM_RSRC2:TGID_Z_EN: 0
; COMPUTE_PGM_RSRC2:TIDIG_COMP_CNT: 0
	.section	.text._ZN7rocprim17ROCPRIM_400000_NS6detail17trampoline_kernelINS0_14default_configENS1_38merge_sort_block_merge_config_selectorIilEEZZNS1_27merge_sort_block_merge_implIS3_PiN6thrust23THRUST_200600_302600_NS10device_ptrIlEEjNS1_19radix_merge_compareILb0ELb0EiNS0_19identity_decomposerEEEEE10hipError_tT0_T1_T2_jT3_P12ihipStream_tbPNSt15iterator_traitsISG_E10value_typeEPNSM_ISH_E10value_typeEPSI_NS1_7vsmem_tEENKUlT_SG_SH_SI_E_clIS7_S7_SB_PlEESF_SV_SG_SH_SI_EUlSV_E0_NS1_11comp_targetILNS1_3genE0ELNS1_11target_archE4294967295ELNS1_3gpuE0ELNS1_3repE0EEENS1_38merge_mergepath_config_static_selectorELNS0_4arch9wavefront6targetE1EEEvSH_,"axG",@progbits,_ZN7rocprim17ROCPRIM_400000_NS6detail17trampoline_kernelINS0_14default_configENS1_38merge_sort_block_merge_config_selectorIilEEZZNS1_27merge_sort_block_merge_implIS3_PiN6thrust23THRUST_200600_302600_NS10device_ptrIlEEjNS1_19radix_merge_compareILb0ELb0EiNS0_19identity_decomposerEEEEE10hipError_tT0_T1_T2_jT3_P12ihipStream_tbPNSt15iterator_traitsISG_E10value_typeEPNSM_ISH_E10value_typeEPSI_NS1_7vsmem_tEENKUlT_SG_SH_SI_E_clIS7_S7_SB_PlEESF_SV_SG_SH_SI_EUlSV_E0_NS1_11comp_targetILNS1_3genE0ELNS1_11target_archE4294967295ELNS1_3gpuE0ELNS1_3repE0EEENS1_38merge_mergepath_config_static_selectorELNS0_4arch9wavefront6targetE1EEEvSH_,comdat
	.protected	_ZN7rocprim17ROCPRIM_400000_NS6detail17trampoline_kernelINS0_14default_configENS1_38merge_sort_block_merge_config_selectorIilEEZZNS1_27merge_sort_block_merge_implIS3_PiN6thrust23THRUST_200600_302600_NS10device_ptrIlEEjNS1_19radix_merge_compareILb0ELb0EiNS0_19identity_decomposerEEEEE10hipError_tT0_T1_T2_jT3_P12ihipStream_tbPNSt15iterator_traitsISG_E10value_typeEPNSM_ISH_E10value_typeEPSI_NS1_7vsmem_tEENKUlT_SG_SH_SI_E_clIS7_S7_SB_PlEESF_SV_SG_SH_SI_EUlSV_E0_NS1_11comp_targetILNS1_3genE0ELNS1_11target_archE4294967295ELNS1_3gpuE0ELNS1_3repE0EEENS1_38merge_mergepath_config_static_selectorELNS0_4arch9wavefront6targetE1EEEvSH_ ; -- Begin function _ZN7rocprim17ROCPRIM_400000_NS6detail17trampoline_kernelINS0_14default_configENS1_38merge_sort_block_merge_config_selectorIilEEZZNS1_27merge_sort_block_merge_implIS3_PiN6thrust23THRUST_200600_302600_NS10device_ptrIlEEjNS1_19radix_merge_compareILb0ELb0EiNS0_19identity_decomposerEEEEE10hipError_tT0_T1_T2_jT3_P12ihipStream_tbPNSt15iterator_traitsISG_E10value_typeEPNSM_ISH_E10value_typeEPSI_NS1_7vsmem_tEENKUlT_SG_SH_SI_E_clIS7_S7_SB_PlEESF_SV_SG_SH_SI_EUlSV_E0_NS1_11comp_targetILNS1_3genE0ELNS1_11target_archE4294967295ELNS1_3gpuE0ELNS1_3repE0EEENS1_38merge_mergepath_config_static_selectorELNS0_4arch9wavefront6targetE1EEEvSH_
	.globl	_ZN7rocprim17ROCPRIM_400000_NS6detail17trampoline_kernelINS0_14default_configENS1_38merge_sort_block_merge_config_selectorIilEEZZNS1_27merge_sort_block_merge_implIS3_PiN6thrust23THRUST_200600_302600_NS10device_ptrIlEEjNS1_19radix_merge_compareILb0ELb0EiNS0_19identity_decomposerEEEEE10hipError_tT0_T1_T2_jT3_P12ihipStream_tbPNSt15iterator_traitsISG_E10value_typeEPNSM_ISH_E10value_typeEPSI_NS1_7vsmem_tEENKUlT_SG_SH_SI_E_clIS7_S7_SB_PlEESF_SV_SG_SH_SI_EUlSV_E0_NS1_11comp_targetILNS1_3genE0ELNS1_11target_archE4294967295ELNS1_3gpuE0ELNS1_3repE0EEENS1_38merge_mergepath_config_static_selectorELNS0_4arch9wavefront6targetE1EEEvSH_
	.p2align	8
	.type	_ZN7rocprim17ROCPRIM_400000_NS6detail17trampoline_kernelINS0_14default_configENS1_38merge_sort_block_merge_config_selectorIilEEZZNS1_27merge_sort_block_merge_implIS3_PiN6thrust23THRUST_200600_302600_NS10device_ptrIlEEjNS1_19radix_merge_compareILb0ELb0EiNS0_19identity_decomposerEEEEE10hipError_tT0_T1_T2_jT3_P12ihipStream_tbPNSt15iterator_traitsISG_E10value_typeEPNSM_ISH_E10value_typeEPSI_NS1_7vsmem_tEENKUlT_SG_SH_SI_E_clIS7_S7_SB_PlEESF_SV_SG_SH_SI_EUlSV_E0_NS1_11comp_targetILNS1_3genE0ELNS1_11target_archE4294967295ELNS1_3gpuE0ELNS1_3repE0EEENS1_38merge_mergepath_config_static_selectorELNS0_4arch9wavefront6targetE1EEEvSH_,@function
_ZN7rocprim17ROCPRIM_400000_NS6detail17trampoline_kernelINS0_14default_configENS1_38merge_sort_block_merge_config_selectorIilEEZZNS1_27merge_sort_block_merge_implIS3_PiN6thrust23THRUST_200600_302600_NS10device_ptrIlEEjNS1_19radix_merge_compareILb0ELb0EiNS0_19identity_decomposerEEEEE10hipError_tT0_T1_T2_jT3_P12ihipStream_tbPNSt15iterator_traitsISG_E10value_typeEPNSM_ISH_E10value_typeEPSI_NS1_7vsmem_tEENKUlT_SG_SH_SI_E_clIS7_S7_SB_PlEESF_SV_SG_SH_SI_EUlSV_E0_NS1_11comp_targetILNS1_3genE0ELNS1_11target_archE4294967295ELNS1_3gpuE0ELNS1_3repE0EEENS1_38merge_mergepath_config_static_selectorELNS0_4arch9wavefront6targetE1EEEvSH_: ; @_ZN7rocprim17ROCPRIM_400000_NS6detail17trampoline_kernelINS0_14default_configENS1_38merge_sort_block_merge_config_selectorIilEEZZNS1_27merge_sort_block_merge_implIS3_PiN6thrust23THRUST_200600_302600_NS10device_ptrIlEEjNS1_19radix_merge_compareILb0ELb0EiNS0_19identity_decomposerEEEEE10hipError_tT0_T1_T2_jT3_P12ihipStream_tbPNSt15iterator_traitsISG_E10value_typeEPNSM_ISH_E10value_typeEPSI_NS1_7vsmem_tEENKUlT_SG_SH_SI_E_clIS7_S7_SB_PlEESF_SV_SG_SH_SI_EUlSV_E0_NS1_11comp_targetILNS1_3genE0ELNS1_11target_archE4294967295ELNS1_3gpuE0ELNS1_3repE0EEENS1_38merge_mergepath_config_static_selectorELNS0_4arch9wavefront6targetE1EEEvSH_
; %bb.0:
	.section	.rodata,"a",@progbits
	.p2align	6, 0x0
	.amdhsa_kernel _ZN7rocprim17ROCPRIM_400000_NS6detail17trampoline_kernelINS0_14default_configENS1_38merge_sort_block_merge_config_selectorIilEEZZNS1_27merge_sort_block_merge_implIS3_PiN6thrust23THRUST_200600_302600_NS10device_ptrIlEEjNS1_19radix_merge_compareILb0ELb0EiNS0_19identity_decomposerEEEEE10hipError_tT0_T1_T2_jT3_P12ihipStream_tbPNSt15iterator_traitsISG_E10value_typeEPNSM_ISH_E10value_typeEPSI_NS1_7vsmem_tEENKUlT_SG_SH_SI_E_clIS7_S7_SB_PlEESF_SV_SG_SH_SI_EUlSV_E0_NS1_11comp_targetILNS1_3genE0ELNS1_11target_archE4294967295ELNS1_3gpuE0ELNS1_3repE0EEENS1_38merge_mergepath_config_static_selectorELNS0_4arch9wavefront6targetE1EEEvSH_
		.amdhsa_group_segment_fixed_size 0
		.amdhsa_private_segment_fixed_size 0
		.amdhsa_kernarg_size 64
		.amdhsa_user_sgpr_count 6
		.amdhsa_user_sgpr_private_segment_buffer 1
		.amdhsa_user_sgpr_dispatch_ptr 0
		.amdhsa_user_sgpr_queue_ptr 0
		.amdhsa_user_sgpr_kernarg_segment_ptr 1
		.amdhsa_user_sgpr_dispatch_id 0
		.amdhsa_user_sgpr_flat_scratch_init 0
		.amdhsa_user_sgpr_private_segment_size 0
		.amdhsa_uses_dynamic_stack 0
		.amdhsa_system_sgpr_private_segment_wavefront_offset 0
		.amdhsa_system_sgpr_workgroup_id_x 1
		.amdhsa_system_sgpr_workgroup_id_y 0
		.amdhsa_system_sgpr_workgroup_id_z 0
		.amdhsa_system_sgpr_workgroup_info 0
		.amdhsa_system_vgpr_workitem_id 0
		.amdhsa_next_free_vgpr 1
		.amdhsa_next_free_sgpr 0
		.amdhsa_reserve_vcc 0
		.amdhsa_reserve_flat_scratch 0
		.amdhsa_float_round_mode_32 0
		.amdhsa_float_round_mode_16_64 0
		.amdhsa_float_denorm_mode_32 3
		.amdhsa_float_denorm_mode_16_64 3
		.amdhsa_dx10_clamp 1
		.amdhsa_ieee_mode 1
		.amdhsa_fp16_overflow 0
		.amdhsa_exception_fp_ieee_invalid_op 0
		.amdhsa_exception_fp_denorm_src 0
		.amdhsa_exception_fp_ieee_div_zero 0
		.amdhsa_exception_fp_ieee_overflow 0
		.amdhsa_exception_fp_ieee_underflow 0
		.amdhsa_exception_fp_ieee_inexact 0
		.amdhsa_exception_int_div_zero 0
	.end_amdhsa_kernel
	.section	.text._ZN7rocprim17ROCPRIM_400000_NS6detail17trampoline_kernelINS0_14default_configENS1_38merge_sort_block_merge_config_selectorIilEEZZNS1_27merge_sort_block_merge_implIS3_PiN6thrust23THRUST_200600_302600_NS10device_ptrIlEEjNS1_19radix_merge_compareILb0ELb0EiNS0_19identity_decomposerEEEEE10hipError_tT0_T1_T2_jT3_P12ihipStream_tbPNSt15iterator_traitsISG_E10value_typeEPNSM_ISH_E10value_typeEPSI_NS1_7vsmem_tEENKUlT_SG_SH_SI_E_clIS7_S7_SB_PlEESF_SV_SG_SH_SI_EUlSV_E0_NS1_11comp_targetILNS1_3genE0ELNS1_11target_archE4294967295ELNS1_3gpuE0ELNS1_3repE0EEENS1_38merge_mergepath_config_static_selectorELNS0_4arch9wavefront6targetE1EEEvSH_,"axG",@progbits,_ZN7rocprim17ROCPRIM_400000_NS6detail17trampoline_kernelINS0_14default_configENS1_38merge_sort_block_merge_config_selectorIilEEZZNS1_27merge_sort_block_merge_implIS3_PiN6thrust23THRUST_200600_302600_NS10device_ptrIlEEjNS1_19radix_merge_compareILb0ELb0EiNS0_19identity_decomposerEEEEE10hipError_tT0_T1_T2_jT3_P12ihipStream_tbPNSt15iterator_traitsISG_E10value_typeEPNSM_ISH_E10value_typeEPSI_NS1_7vsmem_tEENKUlT_SG_SH_SI_E_clIS7_S7_SB_PlEESF_SV_SG_SH_SI_EUlSV_E0_NS1_11comp_targetILNS1_3genE0ELNS1_11target_archE4294967295ELNS1_3gpuE0ELNS1_3repE0EEENS1_38merge_mergepath_config_static_selectorELNS0_4arch9wavefront6targetE1EEEvSH_,comdat
.Lfunc_end776:
	.size	_ZN7rocprim17ROCPRIM_400000_NS6detail17trampoline_kernelINS0_14default_configENS1_38merge_sort_block_merge_config_selectorIilEEZZNS1_27merge_sort_block_merge_implIS3_PiN6thrust23THRUST_200600_302600_NS10device_ptrIlEEjNS1_19radix_merge_compareILb0ELb0EiNS0_19identity_decomposerEEEEE10hipError_tT0_T1_T2_jT3_P12ihipStream_tbPNSt15iterator_traitsISG_E10value_typeEPNSM_ISH_E10value_typeEPSI_NS1_7vsmem_tEENKUlT_SG_SH_SI_E_clIS7_S7_SB_PlEESF_SV_SG_SH_SI_EUlSV_E0_NS1_11comp_targetILNS1_3genE0ELNS1_11target_archE4294967295ELNS1_3gpuE0ELNS1_3repE0EEENS1_38merge_mergepath_config_static_selectorELNS0_4arch9wavefront6targetE1EEEvSH_, .Lfunc_end776-_ZN7rocprim17ROCPRIM_400000_NS6detail17trampoline_kernelINS0_14default_configENS1_38merge_sort_block_merge_config_selectorIilEEZZNS1_27merge_sort_block_merge_implIS3_PiN6thrust23THRUST_200600_302600_NS10device_ptrIlEEjNS1_19radix_merge_compareILb0ELb0EiNS0_19identity_decomposerEEEEE10hipError_tT0_T1_T2_jT3_P12ihipStream_tbPNSt15iterator_traitsISG_E10value_typeEPNSM_ISH_E10value_typeEPSI_NS1_7vsmem_tEENKUlT_SG_SH_SI_E_clIS7_S7_SB_PlEESF_SV_SG_SH_SI_EUlSV_E0_NS1_11comp_targetILNS1_3genE0ELNS1_11target_archE4294967295ELNS1_3gpuE0ELNS1_3repE0EEENS1_38merge_mergepath_config_static_selectorELNS0_4arch9wavefront6targetE1EEEvSH_
                                        ; -- End function
	.set _ZN7rocprim17ROCPRIM_400000_NS6detail17trampoline_kernelINS0_14default_configENS1_38merge_sort_block_merge_config_selectorIilEEZZNS1_27merge_sort_block_merge_implIS3_PiN6thrust23THRUST_200600_302600_NS10device_ptrIlEEjNS1_19radix_merge_compareILb0ELb0EiNS0_19identity_decomposerEEEEE10hipError_tT0_T1_T2_jT3_P12ihipStream_tbPNSt15iterator_traitsISG_E10value_typeEPNSM_ISH_E10value_typeEPSI_NS1_7vsmem_tEENKUlT_SG_SH_SI_E_clIS7_S7_SB_PlEESF_SV_SG_SH_SI_EUlSV_E0_NS1_11comp_targetILNS1_3genE0ELNS1_11target_archE4294967295ELNS1_3gpuE0ELNS1_3repE0EEENS1_38merge_mergepath_config_static_selectorELNS0_4arch9wavefront6targetE1EEEvSH_.num_vgpr, 0
	.set _ZN7rocprim17ROCPRIM_400000_NS6detail17trampoline_kernelINS0_14default_configENS1_38merge_sort_block_merge_config_selectorIilEEZZNS1_27merge_sort_block_merge_implIS3_PiN6thrust23THRUST_200600_302600_NS10device_ptrIlEEjNS1_19radix_merge_compareILb0ELb0EiNS0_19identity_decomposerEEEEE10hipError_tT0_T1_T2_jT3_P12ihipStream_tbPNSt15iterator_traitsISG_E10value_typeEPNSM_ISH_E10value_typeEPSI_NS1_7vsmem_tEENKUlT_SG_SH_SI_E_clIS7_S7_SB_PlEESF_SV_SG_SH_SI_EUlSV_E0_NS1_11comp_targetILNS1_3genE0ELNS1_11target_archE4294967295ELNS1_3gpuE0ELNS1_3repE0EEENS1_38merge_mergepath_config_static_selectorELNS0_4arch9wavefront6targetE1EEEvSH_.num_agpr, 0
	.set _ZN7rocprim17ROCPRIM_400000_NS6detail17trampoline_kernelINS0_14default_configENS1_38merge_sort_block_merge_config_selectorIilEEZZNS1_27merge_sort_block_merge_implIS3_PiN6thrust23THRUST_200600_302600_NS10device_ptrIlEEjNS1_19radix_merge_compareILb0ELb0EiNS0_19identity_decomposerEEEEE10hipError_tT0_T1_T2_jT3_P12ihipStream_tbPNSt15iterator_traitsISG_E10value_typeEPNSM_ISH_E10value_typeEPSI_NS1_7vsmem_tEENKUlT_SG_SH_SI_E_clIS7_S7_SB_PlEESF_SV_SG_SH_SI_EUlSV_E0_NS1_11comp_targetILNS1_3genE0ELNS1_11target_archE4294967295ELNS1_3gpuE0ELNS1_3repE0EEENS1_38merge_mergepath_config_static_selectorELNS0_4arch9wavefront6targetE1EEEvSH_.numbered_sgpr, 0
	.set _ZN7rocprim17ROCPRIM_400000_NS6detail17trampoline_kernelINS0_14default_configENS1_38merge_sort_block_merge_config_selectorIilEEZZNS1_27merge_sort_block_merge_implIS3_PiN6thrust23THRUST_200600_302600_NS10device_ptrIlEEjNS1_19radix_merge_compareILb0ELb0EiNS0_19identity_decomposerEEEEE10hipError_tT0_T1_T2_jT3_P12ihipStream_tbPNSt15iterator_traitsISG_E10value_typeEPNSM_ISH_E10value_typeEPSI_NS1_7vsmem_tEENKUlT_SG_SH_SI_E_clIS7_S7_SB_PlEESF_SV_SG_SH_SI_EUlSV_E0_NS1_11comp_targetILNS1_3genE0ELNS1_11target_archE4294967295ELNS1_3gpuE0ELNS1_3repE0EEENS1_38merge_mergepath_config_static_selectorELNS0_4arch9wavefront6targetE1EEEvSH_.num_named_barrier, 0
	.set _ZN7rocprim17ROCPRIM_400000_NS6detail17trampoline_kernelINS0_14default_configENS1_38merge_sort_block_merge_config_selectorIilEEZZNS1_27merge_sort_block_merge_implIS3_PiN6thrust23THRUST_200600_302600_NS10device_ptrIlEEjNS1_19radix_merge_compareILb0ELb0EiNS0_19identity_decomposerEEEEE10hipError_tT0_T1_T2_jT3_P12ihipStream_tbPNSt15iterator_traitsISG_E10value_typeEPNSM_ISH_E10value_typeEPSI_NS1_7vsmem_tEENKUlT_SG_SH_SI_E_clIS7_S7_SB_PlEESF_SV_SG_SH_SI_EUlSV_E0_NS1_11comp_targetILNS1_3genE0ELNS1_11target_archE4294967295ELNS1_3gpuE0ELNS1_3repE0EEENS1_38merge_mergepath_config_static_selectorELNS0_4arch9wavefront6targetE1EEEvSH_.private_seg_size, 0
	.set _ZN7rocprim17ROCPRIM_400000_NS6detail17trampoline_kernelINS0_14default_configENS1_38merge_sort_block_merge_config_selectorIilEEZZNS1_27merge_sort_block_merge_implIS3_PiN6thrust23THRUST_200600_302600_NS10device_ptrIlEEjNS1_19radix_merge_compareILb0ELb0EiNS0_19identity_decomposerEEEEE10hipError_tT0_T1_T2_jT3_P12ihipStream_tbPNSt15iterator_traitsISG_E10value_typeEPNSM_ISH_E10value_typeEPSI_NS1_7vsmem_tEENKUlT_SG_SH_SI_E_clIS7_S7_SB_PlEESF_SV_SG_SH_SI_EUlSV_E0_NS1_11comp_targetILNS1_3genE0ELNS1_11target_archE4294967295ELNS1_3gpuE0ELNS1_3repE0EEENS1_38merge_mergepath_config_static_selectorELNS0_4arch9wavefront6targetE1EEEvSH_.uses_vcc, 0
	.set _ZN7rocprim17ROCPRIM_400000_NS6detail17trampoline_kernelINS0_14default_configENS1_38merge_sort_block_merge_config_selectorIilEEZZNS1_27merge_sort_block_merge_implIS3_PiN6thrust23THRUST_200600_302600_NS10device_ptrIlEEjNS1_19radix_merge_compareILb0ELb0EiNS0_19identity_decomposerEEEEE10hipError_tT0_T1_T2_jT3_P12ihipStream_tbPNSt15iterator_traitsISG_E10value_typeEPNSM_ISH_E10value_typeEPSI_NS1_7vsmem_tEENKUlT_SG_SH_SI_E_clIS7_S7_SB_PlEESF_SV_SG_SH_SI_EUlSV_E0_NS1_11comp_targetILNS1_3genE0ELNS1_11target_archE4294967295ELNS1_3gpuE0ELNS1_3repE0EEENS1_38merge_mergepath_config_static_selectorELNS0_4arch9wavefront6targetE1EEEvSH_.uses_flat_scratch, 0
	.set _ZN7rocprim17ROCPRIM_400000_NS6detail17trampoline_kernelINS0_14default_configENS1_38merge_sort_block_merge_config_selectorIilEEZZNS1_27merge_sort_block_merge_implIS3_PiN6thrust23THRUST_200600_302600_NS10device_ptrIlEEjNS1_19radix_merge_compareILb0ELb0EiNS0_19identity_decomposerEEEEE10hipError_tT0_T1_T2_jT3_P12ihipStream_tbPNSt15iterator_traitsISG_E10value_typeEPNSM_ISH_E10value_typeEPSI_NS1_7vsmem_tEENKUlT_SG_SH_SI_E_clIS7_S7_SB_PlEESF_SV_SG_SH_SI_EUlSV_E0_NS1_11comp_targetILNS1_3genE0ELNS1_11target_archE4294967295ELNS1_3gpuE0ELNS1_3repE0EEENS1_38merge_mergepath_config_static_selectorELNS0_4arch9wavefront6targetE1EEEvSH_.has_dyn_sized_stack, 0
	.set _ZN7rocprim17ROCPRIM_400000_NS6detail17trampoline_kernelINS0_14default_configENS1_38merge_sort_block_merge_config_selectorIilEEZZNS1_27merge_sort_block_merge_implIS3_PiN6thrust23THRUST_200600_302600_NS10device_ptrIlEEjNS1_19radix_merge_compareILb0ELb0EiNS0_19identity_decomposerEEEEE10hipError_tT0_T1_T2_jT3_P12ihipStream_tbPNSt15iterator_traitsISG_E10value_typeEPNSM_ISH_E10value_typeEPSI_NS1_7vsmem_tEENKUlT_SG_SH_SI_E_clIS7_S7_SB_PlEESF_SV_SG_SH_SI_EUlSV_E0_NS1_11comp_targetILNS1_3genE0ELNS1_11target_archE4294967295ELNS1_3gpuE0ELNS1_3repE0EEENS1_38merge_mergepath_config_static_selectorELNS0_4arch9wavefront6targetE1EEEvSH_.has_recursion, 0
	.set _ZN7rocprim17ROCPRIM_400000_NS6detail17trampoline_kernelINS0_14default_configENS1_38merge_sort_block_merge_config_selectorIilEEZZNS1_27merge_sort_block_merge_implIS3_PiN6thrust23THRUST_200600_302600_NS10device_ptrIlEEjNS1_19radix_merge_compareILb0ELb0EiNS0_19identity_decomposerEEEEE10hipError_tT0_T1_T2_jT3_P12ihipStream_tbPNSt15iterator_traitsISG_E10value_typeEPNSM_ISH_E10value_typeEPSI_NS1_7vsmem_tEENKUlT_SG_SH_SI_E_clIS7_S7_SB_PlEESF_SV_SG_SH_SI_EUlSV_E0_NS1_11comp_targetILNS1_3genE0ELNS1_11target_archE4294967295ELNS1_3gpuE0ELNS1_3repE0EEENS1_38merge_mergepath_config_static_selectorELNS0_4arch9wavefront6targetE1EEEvSH_.has_indirect_call, 0
	.section	.AMDGPU.csdata,"",@progbits
; Kernel info:
; codeLenInByte = 0
; TotalNumSgprs: 4
; NumVgprs: 0
; ScratchSize: 0
; MemoryBound: 0
; FloatMode: 240
; IeeeMode: 1
; LDSByteSize: 0 bytes/workgroup (compile time only)
; SGPRBlocks: 0
; VGPRBlocks: 0
; NumSGPRsForWavesPerEU: 4
; NumVGPRsForWavesPerEU: 1
; Occupancy: 10
; WaveLimiterHint : 0
; COMPUTE_PGM_RSRC2:SCRATCH_EN: 0
; COMPUTE_PGM_RSRC2:USER_SGPR: 6
; COMPUTE_PGM_RSRC2:TRAP_HANDLER: 0
; COMPUTE_PGM_RSRC2:TGID_X_EN: 1
; COMPUTE_PGM_RSRC2:TGID_Y_EN: 0
; COMPUTE_PGM_RSRC2:TGID_Z_EN: 0
; COMPUTE_PGM_RSRC2:TIDIG_COMP_CNT: 0
	.section	.text._ZN7rocprim17ROCPRIM_400000_NS6detail17trampoline_kernelINS0_14default_configENS1_38merge_sort_block_merge_config_selectorIilEEZZNS1_27merge_sort_block_merge_implIS3_PiN6thrust23THRUST_200600_302600_NS10device_ptrIlEEjNS1_19radix_merge_compareILb0ELb0EiNS0_19identity_decomposerEEEEE10hipError_tT0_T1_T2_jT3_P12ihipStream_tbPNSt15iterator_traitsISG_E10value_typeEPNSM_ISH_E10value_typeEPSI_NS1_7vsmem_tEENKUlT_SG_SH_SI_E_clIS7_S7_SB_PlEESF_SV_SG_SH_SI_EUlSV_E0_NS1_11comp_targetILNS1_3genE10ELNS1_11target_archE1201ELNS1_3gpuE5ELNS1_3repE0EEENS1_38merge_mergepath_config_static_selectorELNS0_4arch9wavefront6targetE1EEEvSH_,"axG",@progbits,_ZN7rocprim17ROCPRIM_400000_NS6detail17trampoline_kernelINS0_14default_configENS1_38merge_sort_block_merge_config_selectorIilEEZZNS1_27merge_sort_block_merge_implIS3_PiN6thrust23THRUST_200600_302600_NS10device_ptrIlEEjNS1_19radix_merge_compareILb0ELb0EiNS0_19identity_decomposerEEEEE10hipError_tT0_T1_T2_jT3_P12ihipStream_tbPNSt15iterator_traitsISG_E10value_typeEPNSM_ISH_E10value_typeEPSI_NS1_7vsmem_tEENKUlT_SG_SH_SI_E_clIS7_S7_SB_PlEESF_SV_SG_SH_SI_EUlSV_E0_NS1_11comp_targetILNS1_3genE10ELNS1_11target_archE1201ELNS1_3gpuE5ELNS1_3repE0EEENS1_38merge_mergepath_config_static_selectorELNS0_4arch9wavefront6targetE1EEEvSH_,comdat
	.protected	_ZN7rocprim17ROCPRIM_400000_NS6detail17trampoline_kernelINS0_14default_configENS1_38merge_sort_block_merge_config_selectorIilEEZZNS1_27merge_sort_block_merge_implIS3_PiN6thrust23THRUST_200600_302600_NS10device_ptrIlEEjNS1_19radix_merge_compareILb0ELb0EiNS0_19identity_decomposerEEEEE10hipError_tT0_T1_T2_jT3_P12ihipStream_tbPNSt15iterator_traitsISG_E10value_typeEPNSM_ISH_E10value_typeEPSI_NS1_7vsmem_tEENKUlT_SG_SH_SI_E_clIS7_S7_SB_PlEESF_SV_SG_SH_SI_EUlSV_E0_NS1_11comp_targetILNS1_3genE10ELNS1_11target_archE1201ELNS1_3gpuE5ELNS1_3repE0EEENS1_38merge_mergepath_config_static_selectorELNS0_4arch9wavefront6targetE1EEEvSH_ ; -- Begin function _ZN7rocprim17ROCPRIM_400000_NS6detail17trampoline_kernelINS0_14default_configENS1_38merge_sort_block_merge_config_selectorIilEEZZNS1_27merge_sort_block_merge_implIS3_PiN6thrust23THRUST_200600_302600_NS10device_ptrIlEEjNS1_19radix_merge_compareILb0ELb0EiNS0_19identity_decomposerEEEEE10hipError_tT0_T1_T2_jT3_P12ihipStream_tbPNSt15iterator_traitsISG_E10value_typeEPNSM_ISH_E10value_typeEPSI_NS1_7vsmem_tEENKUlT_SG_SH_SI_E_clIS7_S7_SB_PlEESF_SV_SG_SH_SI_EUlSV_E0_NS1_11comp_targetILNS1_3genE10ELNS1_11target_archE1201ELNS1_3gpuE5ELNS1_3repE0EEENS1_38merge_mergepath_config_static_selectorELNS0_4arch9wavefront6targetE1EEEvSH_
	.globl	_ZN7rocprim17ROCPRIM_400000_NS6detail17trampoline_kernelINS0_14default_configENS1_38merge_sort_block_merge_config_selectorIilEEZZNS1_27merge_sort_block_merge_implIS3_PiN6thrust23THRUST_200600_302600_NS10device_ptrIlEEjNS1_19radix_merge_compareILb0ELb0EiNS0_19identity_decomposerEEEEE10hipError_tT0_T1_T2_jT3_P12ihipStream_tbPNSt15iterator_traitsISG_E10value_typeEPNSM_ISH_E10value_typeEPSI_NS1_7vsmem_tEENKUlT_SG_SH_SI_E_clIS7_S7_SB_PlEESF_SV_SG_SH_SI_EUlSV_E0_NS1_11comp_targetILNS1_3genE10ELNS1_11target_archE1201ELNS1_3gpuE5ELNS1_3repE0EEENS1_38merge_mergepath_config_static_selectorELNS0_4arch9wavefront6targetE1EEEvSH_
	.p2align	8
	.type	_ZN7rocprim17ROCPRIM_400000_NS6detail17trampoline_kernelINS0_14default_configENS1_38merge_sort_block_merge_config_selectorIilEEZZNS1_27merge_sort_block_merge_implIS3_PiN6thrust23THRUST_200600_302600_NS10device_ptrIlEEjNS1_19radix_merge_compareILb0ELb0EiNS0_19identity_decomposerEEEEE10hipError_tT0_T1_T2_jT3_P12ihipStream_tbPNSt15iterator_traitsISG_E10value_typeEPNSM_ISH_E10value_typeEPSI_NS1_7vsmem_tEENKUlT_SG_SH_SI_E_clIS7_S7_SB_PlEESF_SV_SG_SH_SI_EUlSV_E0_NS1_11comp_targetILNS1_3genE10ELNS1_11target_archE1201ELNS1_3gpuE5ELNS1_3repE0EEENS1_38merge_mergepath_config_static_selectorELNS0_4arch9wavefront6targetE1EEEvSH_,@function
_ZN7rocprim17ROCPRIM_400000_NS6detail17trampoline_kernelINS0_14default_configENS1_38merge_sort_block_merge_config_selectorIilEEZZNS1_27merge_sort_block_merge_implIS3_PiN6thrust23THRUST_200600_302600_NS10device_ptrIlEEjNS1_19radix_merge_compareILb0ELb0EiNS0_19identity_decomposerEEEEE10hipError_tT0_T1_T2_jT3_P12ihipStream_tbPNSt15iterator_traitsISG_E10value_typeEPNSM_ISH_E10value_typeEPSI_NS1_7vsmem_tEENKUlT_SG_SH_SI_E_clIS7_S7_SB_PlEESF_SV_SG_SH_SI_EUlSV_E0_NS1_11comp_targetILNS1_3genE10ELNS1_11target_archE1201ELNS1_3gpuE5ELNS1_3repE0EEENS1_38merge_mergepath_config_static_selectorELNS0_4arch9wavefront6targetE1EEEvSH_: ; @_ZN7rocprim17ROCPRIM_400000_NS6detail17trampoline_kernelINS0_14default_configENS1_38merge_sort_block_merge_config_selectorIilEEZZNS1_27merge_sort_block_merge_implIS3_PiN6thrust23THRUST_200600_302600_NS10device_ptrIlEEjNS1_19radix_merge_compareILb0ELb0EiNS0_19identity_decomposerEEEEE10hipError_tT0_T1_T2_jT3_P12ihipStream_tbPNSt15iterator_traitsISG_E10value_typeEPNSM_ISH_E10value_typeEPSI_NS1_7vsmem_tEENKUlT_SG_SH_SI_E_clIS7_S7_SB_PlEESF_SV_SG_SH_SI_EUlSV_E0_NS1_11comp_targetILNS1_3genE10ELNS1_11target_archE1201ELNS1_3gpuE5ELNS1_3repE0EEENS1_38merge_mergepath_config_static_selectorELNS0_4arch9wavefront6targetE1EEEvSH_
; %bb.0:
	.section	.rodata,"a",@progbits
	.p2align	6, 0x0
	.amdhsa_kernel _ZN7rocprim17ROCPRIM_400000_NS6detail17trampoline_kernelINS0_14default_configENS1_38merge_sort_block_merge_config_selectorIilEEZZNS1_27merge_sort_block_merge_implIS3_PiN6thrust23THRUST_200600_302600_NS10device_ptrIlEEjNS1_19radix_merge_compareILb0ELb0EiNS0_19identity_decomposerEEEEE10hipError_tT0_T1_T2_jT3_P12ihipStream_tbPNSt15iterator_traitsISG_E10value_typeEPNSM_ISH_E10value_typeEPSI_NS1_7vsmem_tEENKUlT_SG_SH_SI_E_clIS7_S7_SB_PlEESF_SV_SG_SH_SI_EUlSV_E0_NS1_11comp_targetILNS1_3genE10ELNS1_11target_archE1201ELNS1_3gpuE5ELNS1_3repE0EEENS1_38merge_mergepath_config_static_selectorELNS0_4arch9wavefront6targetE1EEEvSH_
		.amdhsa_group_segment_fixed_size 0
		.amdhsa_private_segment_fixed_size 0
		.amdhsa_kernarg_size 64
		.amdhsa_user_sgpr_count 6
		.amdhsa_user_sgpr_private_segment_buffer 1
		.amdhsa_user_sgpr_dispatch_ptr 0
		.amdhsa_user_sgpr_queue_ptr 0
		.amdhsa_user_sgpr_kernarg_segment_ptr 1
		.amdhsa_user_sgpr_dispatch_id 0
		.amdhsa_user_sgpr_flat_scratch_init 0
		.amdhsa_user_sgpr_private_segment_size 0
		.amdhsa_uses_dynamic_stack 0
		.amdhsa_system_sgpr_private_segment_wavefront_offset 0
		.amdhsa_system_sgpr_workgroup_id_x 1
		.amdhsa_system_sgpr_workgroup_id_y 0
		.amdhsa_system_sgpr_workgroup_id_z 0
		.amdhsa_system_sgpr_workgroup_info 0
		.amdhsa_system_vgpr_workitem_id 0
		.amdhsa_next_free_vgpr 1
		.amdhsa_next_free_sgpr 0
		.amdhsa_reserve_vcc 0
		.amdhsa_reserve_flat_scratch 0
		.amdhsa_float_round_mode_32 0
		.amdhsa_float_round_mode_16_64 0
		.amdhsa_float_denorm_mode_32 3
		.amdhsa_float_denorm_mode_16_64 3
		.amdhsa_dx10_clamp 1
		.amdhsa_ieee_mode 1
		.amdhsa_fp16_overflow 0
		.amdhsa_exception_fp_ieee_invalid_op 0
		.amdhsa_exception_fp_denorm_src 0
		.amdhsa_exception_fp_ieee_div_zero 0
		.amdhsa_exception_fp_ieee_overflow 0
		.amdhsa_exception_fp_ieee_underflow 0
		.amdhsa_exception_fp_ieee_inexact 0
		.amdhsa_exception_int_div_zero 0
	.end_amdhsa_kernel
	.section	.text._ZN7rocprim17ROCPRIM_400000_NS6detail17trampoline_kernelINS0_14default_configENS1_38merge_sort_block_merge_config_selectorIilEEZZNS1_27merge_sort_block_merge_implIS3_PiN6thrust23THRUST_200600_302600_NS10device_ptrIlEEjNS1_19radix_merge_compareILb0ELb0EiNS0_19identity_decomposerEEEEE10hipError_tT0_T1_T2_jT3_P12ihipStream_tbPNSt15iterator_traitsISG_E10value_typeEPNSM_ISH_E10value_typeEPSI_NS1_7vsmem_tEENKUlT_SG_SH_SI_E_clIS7_S7_SB_PlEESF_SV_SG_SH_SI_EUlSV_E0_NS1_11comp_targetILNS1_3genE10ELNS1_11target_archE1201ELNS1_3gpuE5ELNS1_3repE0EEENS1_38merge_mergepath_config_static_selectorELNS0_4arch9wavefront6targetE1EEEvSH_,"axG",@progbits,_ZN7rocprim17ROCPRIM_400000_NS6detail17trampoline_kernelINS0_14default_configENS1_38merge_sort_block_merge_config_selectorIilEEZZNS1_27merge_sort_block_merge_implIS3_PiN6thrust23THRUST_200600_302600_NS10device_ptrIlEEjNS1_19radix_merge_compareILb0ELb0EiNS0_19identity_decomposerEEEEE10hipError_tT0_T1_T2_jT3_P12ihipStream_tbPNSt15iterator_traitsISG_E10value_typeEPNSM_ISH_E10value_typeEPSI_NS1_7vsmem_tEENKUlT_SG_SH_SI_E_clIS7_S7_SB_PlEESF_SV_SG_SH_SI_EUlSV_E0_NS1_11comp_targetILNS1_3genE10ELNS1_11target_archE1201ELNS1_3gpuE5ELNS1_3repE0EEENS1_38merge_mergepath_config_static_selectorELNS0_4arch9wavefront6targetE1EEEvSH_,comdat
.Lfunc_end777:
	.size	_ZN7rocprim17ROCPRIM_400000_NS6detail17trampoline_kernelINS0_14default_configENS1_38merge_sort_block_merge_config_selectorIilEEZZNS1_27merge_sort_block_merge_implIS3_PiN6thrust23THRUST_200600_302600_NS10device_ptrIlEEjNS1_19radix_merge_compareILb0ELb0EiNS0_19identity_decomposerEEEEE10hipError_tT0_T1_T2_jT3_P12ihipStream_tbPNSt15iterator_traitsISG_E10value_typeEPNSM_ISH_E10value_typeEPSI_NS1_7vsmem_tEENKUlT_SG_SH_SI_E_clIS7_S7_SB_PlEESF_SV_SG_SH_SI_EUlSV_E0_NS1_11comp_targetILNS1_3genE10ELNS1_11target_archE1201ELNS1_3gpuE5ELNS1_3repE0EEENS1_38merge_mergepath_config_static_selectorELNS0_4arch9wavefront6targetE1EEEvSH_, .Lfunc_end777-_ZN7rocprim17ROCPRIM_400000_NS6detail17trampoline_kernelINS0_14default_configENS1_38merge_sort_block_merge_config_selectorIilEEZZNS1_27merge_sort_block_merge_implIS3_PiN6thrust23THRUST_200600_302600_NS10device_ptrIlEEjNS1_19radix_merge_compareILb0ELb0EiNS0_19identity_decomposerEEEEE10hipError_tT0_T1_T2_jT3_P12ihipStream_tbPNSt15iterator_traitsISG_E10value_typeEPNSM_ISH_E10value_typeEPSI_NS1_7vsmem_tEENKUlT_SG_SH_SI_E_clIS7_S7_SB_PlEESF_SV_SG_SH_SI_EUlSV_E0_NS1_11comp_targetILNS1_3genE10ELNS1_11target_archE1201ELNS1_3gpuE5ELNS1_3repE0EEENS1_38merge_mergepath_config_static_selectorELNS0_4arch9wavefront6targetE1EEEvSH_
                                        ; -- End function
	.set _ZN7rocprim17ROCPRIM_400000_NS6detail17trampoline_kernelINS0_14default_configENS1_38merge_sort_block_merge_config_selectorIilEEZZNS1_27merge_sort_block_merge_implIS3_PiN6thrust23THRUST_200600_302600_NS10device_ptrIlEEjNS1_19radix_merge_compareILb0ELb0EiNS0_19identity_decomposerEEEEE10hipError_tT0_T1_T2_jT3_P12ihipStream_tbPNSt15iterator_traitsISG_E10value_typeEPNSM_ISH_E10value_typeEPSI_NS1_7vsmem_tEENKUlT_SG_SH_SI_E_clIS7_S7_SB_PlEESF_SV_SG_SH_SI_EUlSV_E0_NS1_11comp_targetILNS1_3genE10ELNS1_11target_archE1201ELNS1_3gpuE5ELNS1_3repE0EEENS1_38merge_mergepath_config_static_selectorELNS0_4arch9wavefront6targetE1EEEvSH_.num_vgpr, 0
	.set _ZN7rocprim17ROCPRIM_400000_NS6detail17trampoline_kernelINS0_14default_configENS1_38merge_sort_block_merge_config_selectorIilEEZZNS1_27merge_sort_block_merge_implIS3_PiN6thrust23THRUST_200600_302600_NS10device_ptrIlEEjNS1_19radix_merge_compareILb0ELb0EiNS0_19identity_decomposerEEEEE10hipError_tT0_T1_T2_jT3_P12ihipStream_tbPNSt15iterator_traitsISG_E10value_typeEPNSM_ISH_E10value_typeEPSI_NS1_7vsmem_tEENKUlT_SG_SH_SI_E_clIS7_S7_SB_PlEESF_SV_SG_SH_SI_EUlSV_E0_NS1_11comp_targetILNS1_3genE10ELNS1_11target_archE1201ELNS1_3gpuE5ELNS1_3repE0EEENS1_38merge_mergepath_config_static_selectorELNS0_4arch9wavefront6targetE1EEEvSH_.num_agpr, 0
	.set _ZN7rocprim17ROCPRIM_400000_NS6detail17trampoline_kernelINS0_14default_configENS1_38merge_sort_block_merge_config_selectorIilEEZZNS1_27merge_sort_block_merge_implIS3_PiN6thrust23THRUST_200600_302600_NS10device_ptrIlEEjNS1_19radix_merge_compareILb0ELb0EiNS0_19identity_decomposerEEEEE10hipError_tT0_T1_T2_jT3_P12ihipStream_tbPNSt15iterator_traitsISG_E10value_typeEPNSM_ISH_E10value_typeEPSI_NS1_7vsmem_tEENKUlT_SG_SH_SI_E_clIS7_S7_SB_PlEESF_SV_SG_SH_SI_EUlSV_E0_NS1_11comp_targetILNS1_3genE10ELNS1_11target_archE1201ELNS1_3gpuE5ELNS1_3repE0EEENS1_38merge_mergepath_config_static_selectorELNS0_4arch9wavefront6targetE1EEEvSH_.numbered_sgpr, 0
	.set _ZN7rocprim17ROCPRIM_400000_NS6detail17trampoline_kernelINS0_14default_configENS1_38merge_sort_block_merge_config_selectorIilEEZZNS1_27merge_sort_block_merge_implIS3_PiN6thrust23THRUST_200600_302600_NS10device_ptrIlEEjNS1_19radix_merge_compareILb0ELb0EiNS0_19identity_decomposerEEEEE10hipError_tT0_T1_T2_jT3_P12ihipStream_tbPNSt15iterator_traitsISG_E10value_typeEPNSM_ISH_E10value_typeEPSI_NS1_7vsmem_tEENKUlT_SG_SH_SI_E_clIS7_S7_SB_PlEESF_SV_SG_SH_SI_EUlSV_E0_NS1_11comp_targetILNS1_3genE10ELNS1_11target_archE1201ELNS1_3gpuE5ELNS1_3repE0EEENS1_38merge_mergepath_config_static_selectorELNS0_4arch9wavefront6targetE1EEEvSH_.num_named_barrier, 0
	.set _ZN7rocprim17ROCPRIM_400000_NS6detail17trampoline_kernelINS0_14default_configENS1_38merge_sort_block_merge_config_selectorIilEEZZNS1_27merge_sort_block_merge_implIS3_PiN6thrust23THRUST_200600_302600_NS10device_ptrIlEEjNS1_19radix_merge_compareILb0ELb0EiNS0_19identity_decomposerEEEEE10hipError_tT0_T1_T2_jT3_P12ihipStream_tbPNSt15iterator_traitsISG_E10value_typeEPNSM_ISH_E10value_typeEPSI_NS1_7vsmem_tEENKUlT_SG_SH_SI_E_clIS7_S7_SB_PlEESF_SV_SG_SH_SI_EUlSV_E0_NS1_11comp_targetILNS1_3genE10ELNS1_11target_archE1201ELNS1_3gpuE5ELNS1_3repE0EEENS1_38merge_mergepath_config_static_selectorELNS0_4arch9wavefront6targetE1EEEvSH_.private_seg_size, 0
	.set _ZN7rocprim17ROCPRIM_400000_NS6detail17trampoline_kernelINS0_14default_configENS1_38merge_sort_block_merge_config_selectorIilEEZZNS1_27merge_sort_block_merge_implIS3_PiN6thrust23THRUST_200600_302600_NS10device_ptrIlEEjNS1_19radix_merge_compareILb0ELb0EiNS0_19identity_decomposerEEEEE10hipError_tT0_T1_T2_jT3_P12ihipStream_tbPNSt15iterator_traitsISG_E10value_typeEPNSM_ISH_E10value_typeEPSI_NS1_7vsmem_tEENKUlT_SG_SH_SI_E_clIS7_S7_SB_PlEESF_SV_SG_SH_SI_EUlSV_E0_NS1_11comp_targetILNS1_3genE10ELNS1_11target_archE1201ELNS1_3gpuE5ELNS1_3repE0EEENS1_38merge_mergepath_config_static_selectorELNS0_4arch9wavefront6targetE1EEEvSH_.uses_vcc, 0
	.set _ZN7rocprim17ROCPRIM_400000_NS6detail17trampoline_kernelINS0_14default_configENS1_38merge_sort_block_merge_config_selectorIilEEZZNS1_27merge_sort_block_merge_implIS3_PiN6thrust23THRUST_200600_302600_NS10device_ptrIlEEjNS1_19radix_merge_compareILb0ELb0EiNS0_19identity_decomposerEEEEE10hipError_tT0_T1_T2_jT3_P12ihipStream_tbPNSt15iterator_traitsISG_E10value_typeEPNSM_ISH_E10value_typeEPSI_NS1_7vsmem_tEENKUlT_SG_SH_SI_E_clIS7_S7_SB_PlEESF_SV_SG_SH_SI_EUlSV_E0_NS1_11comp_targetILNS1_3genE10ELNS1_11target_archE1201ELNS1_3gpuE5ELNS1_3repE0EEENS1_38merge_mergepath_config_static_selectorELNS0_4arch9wavefront6targetE1EEEvSH_.uses_flat_scratch, 0
	.set _ZN7rocprim17ROCPRIM_400000_NS6detail17trampoline_kernelINS0_14default_configENS1_38merge_sort_block_merge_config_selectorIilEEZZNS1_27merge_sort_block_merge_implIS3_PiN6thrust23THRUST_200600_302600_NS10device_ptrIlEEjNS1_19radix_merge_compareILb0ELb0EiNS0_19identity_decomposerEEEEE10hipError_tT0_T1_T2_jT3_P12ihipStream_tbPNSt15iterator_traitsISG_E10value_typeEPNSM_ISH_E10value_typeEPSI_NS1_7vsmem_tEENKUlT_SG_SH_SI_E_clIS7_S7_SB_PlEESF_SV_SG_SH_SI_EUlSV_E0_NS1_11comp_targetILNS1_3genE10ELNS1_11target_archE1201ELNS1_3gpuE5ELNS1_3repE0EEENS1_38merge_mergepath_config_static_selectorELNS0_4arch9wavefront6targetE1EEEvSH_.has_dyn_sized_stack, 0
	.set _ZN7rocprim17ROCPRIM_400000_NS6detail17trampoline_kernelINS0_14default_configENS1_38merge_sort_block_merge_config_selectorIilEEZZNS1_27merge_sort_block_merge_implIS3_PiN6thrust23THRUST_200600_302600_NS10device_ptrIlEEjNS1_19radix_merge_compareILb0ELb0EiNS0_19identity_decomposerEEEEE10hipError_tT0_T1_T2_jT3_P12ihipStream_tbPNSt15iterator_traitsISG_E10value_typeEPNSM_ISH_E10value_typeEPSI_NS1_7vsmem_tEENKUlT_SG_SH_SI_E_clIS7_S7_SB_PlEESF_SV_SG_SH_SI_EUlSV_E0_NS1_11comp_targetILNS1_3genE10ELNS1_11target_archE1201ELNS1_3gpuE5ELNS1_3repE0EEENS1_38merge_mergepath_config_static_selectorELNS0_4arch9wavefront6targetE1EEEvSH_.has_recursion, 0
	.set _ZN7rocprim17ROCPRIM_400000_NS6detail17trampoline_kernelINS0_14default_configENS1_38merge_sort_block_merge_config_selectorIilEEZZNS1_27merge_sort_block_merge_implIS3_PiN6thrust23THRUST_200600_302600_NS10device_ptrIlEEjNS1_19radix_merge_compareILb0ELb0EiNS0_19identity_decomposerEEEEE10hipError_tT0_T1_T2_jT3_P12ihipStream_tbPNSt15iterator_traitsISG_E10value_typeEPNSM_ISH_E10value_typeEPSI_NS1_7vsmem_tEENKUlT_SG_SH_SI_E_clIS7_S7_SB_PlEESF_SV_SG_SH_SI_EUlSV_E0_NS1_11comp_targetILNS1_3genE10ELNS1_11target_archE1201ELNS1_3gpuE5ELNS1_3repE0EEENS1_38merge_mergepath_config_static_selectorELNS0_4arch9wavefront6targetE1EEEvSH_.has_indirect_call, 0
	.section	.AMDGPU.csdata,"",@progbits
; Kernel info:
; codeLenInByte = 0
; TotalNumSgprs: 4
; NumVgprs: 0
; ScratchSize: 0
; MemoryBound: 0
; FloatMode: 240
; IeeeMode: 1
; LDSByteSize: 0 bytes/workgroup (compile time only)
; SGPRBlocks: 0
; VGPRBlocks: 0
; NumSGPRsForWavesPerEU: 4
; NumVGPRsForWavesPerEU: 1
; Occupancy: 10
; WaveLimiterHint : 0
; COMPUTE_PGM_RSRC2:SCRATCH_EN: 0
; COMPUTE_PGM_RSRC2:USER_SGPR: 6
; COMPUTE_PGM_RSRC2:TRAP_HANDLER: 0
; COMPUTE_PGM_RSRC2:TGID_X_EN: 1
; COMPUTE_PGM_RSRC2:TGID_Y_EN: 0
; COMPUTE_PGM_RSRC2:TGID_Z_EN: 0
; COMPUTE_PGM_RSRC2:TIDIG_COMP_CNT: 0
	.section	.text._ZN7rocprim17ROCPRIM_400000_NS6detail17trampoline_kernelINS0_14default_configENS1_38merge_sort_block_merge_config_selectorIilEEZZNS1_27merge_sort_block_merge_implIS3_PiN6thrust23THRUST_200600_302600_NS10device_ptrIlEEjNS1_19radix_merge_compareILb0ELb0EiNS0_19identity_decomposerEEEEE10hipError_tT0_T1_T2_jT3_P12ihipStream_tbPNSt15iterator_traitsISG_E10value_typeEPNSM_ISH_E10value_typeEPSI_NS1_7vsmem_tEENKUlT_SG_SH_SI_E_clIS7_S7_SB_PlEESF_SV_SG_SH_SI_EUlSV_E0_NS1_11comp_targetILNS1_3genE5ELNS1_11target_archE942ELNS1_3gpuE9ELNS1_3repE0EEENS1_38merge_mergepath_config_static_selectorELNS0_4arch9wavefront6targetE1EEEvSH_,"axG",@progbits,_ZN7rocprim17ROCPRIM_400000_NS6detail17trampoline_kernelINS0_14default_configENS1_38merge_sort_block_merge_config_selectorIilEEZZNS1_27merge_sort_block_merge_implIS3_PiN6thrust23THRUST_200600_302600_NS10device_ptrIlEEjNS1_19radix_merge_compareILb0ELb0EiNS0_19identity_decomposerEEEEE10hipError_tT0_T1_T2_jT3_P12ihipStream_tbPNSt15iterator_traitsISG_E10value_typeEPNSM_ISH_E10value_typeEPSI_NS1_7vsmem_tEENKUlT_SG_SH_SI_E_clIS7_S7_SB_PlEESF_SV_SG_SH_SI_EUlSV_E0_NS1_11comp_targetILNS1_3genE5ELNS1_11target_archE942ELNS1_3gpuE9ELNS1_3repE0EEENS1_38merge_mergepath_config_static_selectorELNS0_4arch9wavefront6targetE1EEEvSH_,comdat
	.protected	_ZN7rocprim17ROCPRIM_400000_NS6detail17trampoline_kernelINS0_14default_configENS1_38merge_sort_block_merge_config_selectorIilEEZZNS1_27merge_sort_block_merge_implIS3_PiN6thrust23THRUST_200600_302600_NS10device_ptrIlEEjNS1_19radix_merge_compareILb0ELb0EiNS0_19identity_decomposerEEEEE10hipError_tT0_T1_T2_jT3_P12ihipStream_tbPNSt15iterator_traitsISG_E10value_typeEPNSM_ISH_E10value_typeEPSI_NS1_7vsmem_tEENKUlT_SG_SH_SI_E_clIS7_S7_SB_PlEESF_SV_SG_SH_SI_EUlSV_E0_NS1_11comp_targetILNS1_3genE5ELNS1_11target_archE942ELNS1_3gpuE9ELNS1_3repE0EEENS1_38merge_mergepath_config_static_selectorELNS0_4arch9wavefront6targetE1EEEvSH_ ; -- Begin function _ZN7rocprim17ROCPRIM_400000_NS6detail17trampoline_kernelINS0_14default_configENS1_38merge_sort_block_merge_config_selectorIilEEZZNS1_27merge_sort_block_merge_implIS3_PiN6thrust23THRUST_200600_302600_NS10device_ptrIlEEjNS1_19radix_merge_compareILb0ELb0EiNS0_19identity_decomposerEEEEE10hipError_tT0_T1_T2_jT3_P12ihipStream_tbPNSt15iterator_traitsISG_E10value_typeEPNSM_ISH_E10value_typeEPSI_NS1_7vsmem_tEENKUlT_SG_SH_SI_E_clIS7_S7_SB_PlEESF_SV_SG_SH_SI_EUlSV_E0_NS1_11comp_targetILNS1_3genE5ELNS1_11target_archE942ELNS1_3gpuE9ELNS1_3repE0EEENS1_38merge_mergepath_config_static_selectorELNS0_4arch9wavefront6targetE1EEEvSH_
	.globl	_ZN7rocprim17ROCPRIM_400000_NS6detail17trampoline_kernelINS0_14default_configENS1_38merge_sort_block_merge_config_selectorIilEEZZNS1_27merge_sort_block_merge_implIS3_PiN6thrust23THRUST_200600_302600_NS10device_ptrIlEEjNS1_19radix_merge_compareILb0ELb0EiNS0_19identity_decomposerEEEEE10hipError_tT0_T1_T2_jT3_P12ihipStream_tbPNSt15iterator_traitsISG_E10value_typeEPNSM_ISH_E10value_typeEPSI_NS1_7vsmem_tEENKUlT_SG_SH_SI_E_clIS7_S7_SB_PlEESF_SV_SG_SH_SI_EUlSV_E0_NS1_11comp_targetILNS1_3genE5ELNS1_11target_archE942ELNS1_3gpuE9ELNS1_3repE0EEENS1_38merge_mergepath_config_static_selectorELNS0_4arch9wavefront6targetE1EEEvSH_
	.p2align	8
	.type	_ZN7rocprim17ROCPRIM_400000_NS6detail17trampoline_kernelINS0_14default_configENS1_38merge_sort_block_merge_config_selectorIilEEZZNS1_27merge_sort_block_merge_implIS3_PiN6thrust23THRUST_200600_302600_NS10device_ptrIlEEjNS1_19radix_merge_compareILb0ELb0EiNS0_19identity_decomposerEEEEE10hipError_tT0_T1_T2_jT3_P12ihipStream_tbPNSt15iterator_traitsISG_E10value_typeEPNSM_ISH_E10value_typeEPSI_NS1_7vsmem_tEENKUlT_SG_SH_SI_E_clIS7_S7_SB_PlEESF_SV_SG_SH_SI_EUlSV_E0_NS1_11comp_targetILNS1_3genE5ELNS1_11target_archE942ELNS1_3gpuE9ELNS1_3repE0EEENS1_38merge_mergepath_config_static_selectorELNS0_4arch9wavefront6targetE1EEEvSH_,@function
_ZN7rocprim17ROCPRIM_400000_NS6detail17trampoline_kernelINS0_14default_configENS1_38merge_sort_block_merge_config_selectorIilEEZZNS1_27merge_sort_block_merge_implIS3_PiN6thrust23THRUST_200600_302600_NS10device_ptrIlEEjNS1_19radix_merge_compareILb0ELb0EiNS0_19identity_decomposerEEEEE10hipError_tT0_T1_T2_jT3_P12ihipStream_tbPNSt15iterator_traitsISG_E10value_typeEPNSM_ISH_E10value_typeEPSI_NS1_7vsmem_tEENKUlT_SG_SH_SI_E_clIS7_S7_SB_PlEESF_SV_SG_SH_SI_EUlSV_E0_NS1_11comp_targetILNS1_3genE5ELNS1_11target_archE942ELNS1_3gpuE9ELNS1_3repE0EEENS1_38merge_mergepath_config_static_selectorELNS0_4arch9wavefront6targetE1EEEvSH_: ; @_ZN7rocprim17ROCPRIM_400000_NS6detail17trampoline_kernelINS0_14default_configENS1_38merge_sort_block_merge_config_selectorIilEEZZNS1_27merge_sort_block_merge_implIS3_PiN6thrust23THRUST_200600_302600_NS10device_ptrIlEEjNS1_19radix_merge_compareILb0ELb0EiNS0_19identity_decomposerEEEEE10hipError_tT0_T1_T2_jT3_P12ihipStream_tbPNSt15iterator_traitsISG_E10value_typeEPNSM_ISH_E10value_typeEPSI_NS1_7vsmem_tEENKUlT_SG_SH_SI_E_clIS7_S7_SB_PlEESF_SV_SG_SH_SI_EUlSV_E0_NS1_11comp_targetILNS1_3genE5ELNS1_11target_archE942ELNS1_3gpuE9ELNS1_3repE0EEENS1_38merge_mergepath_config_static_selectorELNS0_4arch9wavefront6targetE1EEEvSH_
; %bb.0:
	.section	.rodata,"a",@progbits
	.p2align	6, 0x0
	.amdhsa_kernel _ZN7rocprim17ROCPRIM_400000_NS6detail17trampoline_kernelINS0_14default_configENS1_38merge_sort_block_merge_config_selectorIilEEZZNS1_27merge_sort_block_merge_implIS3_PiN6thrust23THRUST_200600_302600_NS10device_ptrIlEEjNS1_19radix_merge_compareILb0ELb0EiNS0_19identity_decomposerEEEEE10hipError_tT0_T1_T2_jT3_P12ihipStream_tbPNSt15iterator_traitsISG_E10value_typeEPNSM_ISH_E10value_typeEPSI_NS1_7vsmem_tEENKUlT_SG_SH_SI_E_clIS7_S7_SB_PlEESF_SV_SG_SH_SI_EUlSV_E0_NS1_11comp_targetILNS1_3genE5ELNS1_11target_archE942ELNS1_3gpuE9ELNS1_3repE0EEENS1_38merge_mergepath_config_static_selectorELNS0_4arch9wavefront6targetE1EEEvSH_
		.amdhsa_group_segment_fixed_size 0
		.amdhsa_private_segment_fixed_size 0
		.amdhsa_kernarg_size 64
		.amdhsa_user_sgpr_count 6
		.amdhsa_user_sgpr_private_segment_buffer 1
		.amdhsa_user_sgpr_dispatch_ptr 0
		.amdhsa_user_sgpr_queue_ptr 0
		.amdhsa_user_sgpr_kernarg_segment_ptr 1
		.amdhsa_user_sgpr_dispatch_id 0
		.amdhsa_user_sgpr_flat_scratch_init 0
		.amdhsa_user_sgpr_private_segment_size 0
		.amdhsa_uses_dynamic_stack 0
		.amdhsa_system_sgpr_private_segment_wavefront_offset 0
		.amdhsa_system_sgpr_workgroup_id_x 1
		.amdhsa_system_sgpr_workgroup_id_y 0
		.amdhsa_system_sgpr_workgroup_id_z 0
		.amdhsa_system_sgpr_workgroup_info 0
		.amdhsa_system_vgpr_workitem_id 0
		.amdhsa_next_free_vgpr 1
		.amdhsa_next_free_sgpr 0
		.amdhsa_reserve_vcc 0
		.amdhsa_reserve_flat_scratch 0
		.amdhsa_float_round_mode_32 0
		.amdhsa_float_round_mode_16_64 0
		.amdhsa_float_denorm_mode_32 3
		.amdhsa_float_denorm_mode_16_64 3
		.amdhsa_dx10_clamp 1
		.amdhsa_ieee_mode 1
		.amdhsa_fp16_overflow 0
		.amdhsa_exception_fp_ieee_invalid_op 0
		.amdhsa_exception_fp_denorm_src 0
		.amdhsa_exception_fp_ieee_div_zero 0
		.amdhsa_exception_fp_ieee_overflow 0
		.amdhsa_exception_fp_ieee_underflow 0
		.amdhsa_exception_fp_ieee_inexact 0
		.amdhsa_exception_int_div_zero 0
	.end_amdhsa_kernel
	.section	.text._ZN7rocprim17ROCPRIM_400000_NS6detail17trampoline_kernelINS0_14default_configENS1_38merge_sort_block_merge_config_selectorIilEEZZNS1_27merge_sort_block_merge_implIS3_PiN6thrust23THRUST_200600_302600_NS10device_ptrIlEEjNS1_19radix_merge_compareILb0ELb0EiNS0_19identity_decomposerEEEEE10hipError_tT0_T1_T2_jT3_P12ihipStream_tbPNSt15iterator_traitsISG_E10value_typeEPNSM_ISH_E10value_typeEPSI_NS1_7vsmem_tEENKUlT_SG_SH_SI_E_clIS7_S7_SB_PlEESF_SV_SG_SH_SI_EUlSV_E0_NS1_11comp_targetILNS1_3genE5ELNS1_11target_archE942ELNS1_3gpuE9ELNS1_3repE0EEENS1_38merge_mergepath_config_static_selectorELNS0_4arch9wavefront6targetE1EEEvSH_,"axG",@progbits,_ZN7rocprim17ROCPRIM_400000_NS6detail17trampoline_kernelINS0_14default_configENS1_38merge_sort_block_merge_config_selectorIilEEZZNS1_27merge_sort_block_merge_implIS3_PiN6thrust23THRUST_200600_302600_NS10device_ptrIlEEjNS1_19radix_merge_compareILb0ELb0EiNS0_19identity_decomposerEEEEE10hipError_tT0_T1_T2_jT3_P12ihipStream_tbPNSt15iterator_traitsISG_E10value_typeEPNSM_ISH_E10value_typeEPSI_NS1_7vsmem_tEENKUlT_SG_SH_SI_E_clIS7_S7_SB_PlEESF_SV_SG_SH_SI_EUlSV_E0_NS1_11comp_targetILNS1_3genE5ELNS1_11target_archE942ELNS1_3gpuE9ELNS1_3repE0EEENS1_38merge_mergepath_config_static_selectorELNS0_4arch9wavefront6targetE1EEEvSH_,comdat
.Lfunc_end778:
	.size	_ZN7rocprim17ROCPRIM_400000_NS6detail17trampoline_kernelINS0_14default_configENS1_38merge_sort_block_merge_config_selectorIilEEZZNS1_27merge_sort_block_merge_implIS3_PiN6thrust23THRUST_200600_302600_NS10device_ptrIlEEjNS1_19radix_merge_compareILb0ELb0EiNS0_19identity_decomposerEEEEE10hipError_tT0_T1_T2_jT3_P12ihipStream_tbPNSt15iterator_traitsISG_E10value_typeEPNSM_ISH_E10value_typeEPSI_NS1_7vsmem_tEENKUlT_SG_SH_SI_E_clIS7_S7_SB_PlEESF_SV_SG_SH_SI_EUlSV_E0_NS1_11comp_targetILNS1_3genE5ELNS1_11target_archE942ELNS1_3gpuE9ELNS1_3repE0EEENS1_38merge_mergepath_config_static_selectorELNS0_4arch9wavefront6targetE1EEEvSH_, .Lfunc_end778-_ZN7rocprim17ROCPRIM_400000_NS6detail17trampoline_kernelINS0_14default_configENS1_38merge_sort_block_merge_config_selectorIilEEZZNS1_27merge_sort_block_merge_implIS3_PiN6thrust23THRUST_200600_302600_NS10device_ptrIlEEjNS1_19radix_merge_compareILb0ELb0EiNS0_19identity_decomposerEEEEE10hipError_tT0_T1_T2_jT3_P12ihipStream_tbPNSt15iterator_traitsISG_E10value_typeEPNSM_ISH_E10value_typeEPSI_NS1_7vsmem_tEENKUlT_SG_SH_SI_E_clIS7_S7_SB_PlEESF_SV_SG_SH_SI_EUlSV_E0_NS1_11comp_targetILNS1_3genE5ELNS1_11target_archE942ELNS1_3gpuE9ELNS1_3repE0EEENS1_38merge_mergepath_config_static_selectorELNS0_4arch9wavefront6targetE1EEEvSH_
                                        ; -- End function
	.set _ZN7rocprim17ROCPRIM_400000_NS6detail17trampoline_kernelINS0_14default_configENS1_38merge_sort_block_merge_config_selectorIilEEZZNS1_27merge_sort_block_merge_implIS3_PiN6thrust23THRUST_200600_302600_NS10device_ptrIlEEjNS1_19radix_merge_compareILb0ELb0EiNS0_19identity_decomposerEEEEE10hipError_tT0_T1_T2_jT3_P12ihipStream_tbPNSt15iterator_traitsISG_E10value_typeEPNSM_ISH_E10value_typeEPSI_NS1_7vsmem_tEENKUlT_SG_SH_SI_E_clIS7_S7_SB_PlEESF_SV_SG_SH_SI_EUlSV_E0_NS1_11comp_targetILNS1_3genE5ELNS1_11target_archE942ELNS1_3gpuE9ELNS1_3repE0EEENS1_38merge_mergepath_config_static_selectorELNS0_4arch9wavefront6targetE1EEEvSH_.num_vgpr, 0
	.set _ZN7rocprim17ROCPRIM_400000_NS6detail17trampoline_kernelINS0_14default_configENS1_38merge_sort_block_merge_config_selectorIilEEZZNS1_27merge_sort_block_merge_implIS3_PiN6thrust23THRUST_200600_302600_NS10device_ptrIlEEjNS1_19radix_merge_compareILb0ELb0EiNS0_19identity_decomposerEEEEE10hipError_tT0_T1_T2_jT3_P12ihipStream_tbPNSt15iterator_traitsISG_E10value_typeEPNSM_ISH_E10value_typeEPSI_NS1_7vsmem_tEENKUlT_SG_SH_SI_E_clIS7_S7_SB_PlEESF_SV_SG_SH_SI_EUlSV_E0_NS1_11comp_targetILNS1_3genE5ELNS1_11target_archE942ELNS1_3gpuE9ELNS1_3repE0EEENS1_38merge_mergepath_config_static_selectorELNS0_4arch9wavefront6targetE1EEEvSH_.num_agpr, 0
	.set _ZN7rocprim17ROCPRIM_400000_NS6detail17trampoline_kernelINS0_14default_configENS1_38merge_sort_block_merge_config_selectorIilEEZZNS1_27merge_sort_block_merge_implIS3_PiN6thrust23THRUST_200600_302600_NS10device_ptrIlEEjNS1_19radix_merge_compareILb0ELb0EiNS0_19identity_decomposerEEEEE10hipError_tT0_T1_T2_jT3_P12ihipStream_tbPNSt15iterator_traitsISG_E10value_typeEPNSM_ISH_E10value_typeEPSI_NS1_7vsmem_tEENKUlT_SG_SH_SI_E_clIS7_S7_SB_PlEESF_SV_SG_SH_SI_EUlSV_E0_NS1_11comp_targetILNS1_3genE5ELNS1_11target_archE942ELNS1_3gpuE9ELNS1_3repE0EEENS1_38merge_mergepath_config_static_selectorELNS0_4arch9wavefront6targetE1EEEvSH_.numbered_sgpr, 0
	.set _ZN7rocprim17ROCPRIM_400000_NS6detail17trampoline_kernelINS0_14default_configENS1_38merge_sort_block_merge_config_selectorIilEEZZNS1_27merge_sort_block_merge_implIS3_PiN6thrust23THRUST_200600_302600_NS10device_ptrIlEEjNS1_19radix_merge_compareILb0ELb0EiNS0_19identity_decomposerEEEEE10hipError_tT0_T1_T2_jT3_P12ihipStream_tbPNSt15iterator_traitsISG_E10value_typeEPNSM_ISH_E10value_typeEPSI_NS1_7vsmem_tEENKUlT_SG_SH_SI_E_clIS7_S7_SB_PlEESF_SV_SG_SH_SI_EUlSV_E0_NS1_11comp_targetILNS1_3genE5ELNS1_11target_archE942ELNS1_3gpuE9ELNS1_3repE0EEENS1_38merge_mergepath_config_static_selectorELNS0_4arch9wavefront6targetE1EEEvSH_.num_named_barrier, 0
	.set _ZN7rocprim17ROCPRIM_400000_NS6detail17trampoline_kernelINS0_14default_configENS1_38merge_sort_block_merge_config_selectorIilEEZZNS1_27merge_sort_block_merge_implIS3_PiN6thrust23THRUST_200600_302600_NS10device_ptrIlEEjNS1_19radix_merge_compareILb0ELb0EiNS0_19identity_decomposerEEEEE10hipError_tT0_T1_T2_jT3_P12ihipStream_tbPNSt15iterator_traitsISG_E10value_typeEPNSM_ISH_E10value_typeEPSI_NS1_7vsmem_tEENKUlT_SG_SH_SI_E_clIS7_S7_SB_PlEESF_SV_SG_SH_SI_EUlSV_E0_NS1_11comp_targetILNS1_3genE5ELNS1_11target_archE942ELNS1_3gpuE9ELNS1_3repE0EEENS1_38merge_mergepath_config_static_selectorELNS0_4arch9wavefront6targetE1EEEvSH_.private_seg_size, 0
	.set _ZN7rocprim17ROCPRIM_400000_NS6detail17trampoline_kernelINS0_14default_configENS1_38merge_sort_block_merge_config_selectorIilEEZZNS1_27merge_sort_block_merge_implIS3_PiN6thrust23THRUST_200600_302600_NS10device_ptrIlEEjNS1_19radix_merge_compareILb0ELb0EiNS0_19identity_decomposerEEEEE10hipError_tT0_T1_T2_jT3_P12ihipStream_tbPNSt15iterator_traitsISG_E10value_typeEPNSM_ISH_E10value_typeEPSI_NS1_7vsmem_tEENKUlT_SG_SH_SI_E_clIS7_S7_SB_PlEESF_SV_SG_SH_SI_EUlSV_E0_NS1_11comp_targetILNS1_3genE5ELNS1_11target_archE942ELNS1_3gpuE9ELNS1_3repE0EEENS1_38merge_mergepath_config_static_selectorELNS0_4arch9wavefront6targetE1EEEvSH_.uses_vcc, 0
	.set _ZN7rocprim17ROCPRIM_400000_NS6detail17trampoline_kernelINS0_14default_configENS1_38merge_sort_block_merge_config_selectorIilEEZZNS1_27merge_sort_block_merge_implIS3_PiN6thrust23THRUST_200600_302600_NS10device_ptrIlEEjNS1_19radix_merge_compareILb0ELb0EiNS0_19identity_decomposerEEEEE10hipError_tT0_T1_T2_jT3_P12ihipStream_tbPNSt15iterator_traitsISG_E10value_typeEPNSM_ISH_E10value_typeEPSI_NS1_7vsmem_tEENKUlT_SG_SH_SI_E_clIS7_S7_SB_PlEESF_SV_SG_SH_SI_EUlSV_E0_NS1_11comp_targetILNS1_3genE5ELNS1_11target_archE942ELNS1_3gpuE9ELNS1_3repE0EEENS1_38merge_mergepath_config_static_selectorELNS0_4arch9wavefront6targetE1EEEvSH_.uses_flat_scratch, 0
	.set _ZN7rocprim17ROCPRIM_400000_NS6detail17trampoline_kernelINS0_14default_configENS1_38merge_sort_block_merge_config_selectorIilEEZZNS1_27merge_sort_block_merge_implIS3_PiN6thrust23THRUST_200600_302600_NS10device_ptrIlEEjNS1_19radix_merge_compareILb0ELb0EiNS0_19identity_decomposerEEEEE10hipError_tT0_T1_T2_jT3_P12ihipStream_tbPNSt15iterator_traitsISG_E10value_typeEPNSM_ISH_E10value_typeEPSI_NS1_7vsmem_tEENKUlT_SG_SH_SI_E_clIS7_S7_SB_PlEESF_SV_SG_SH_SI_EUlSV_E0_NS1_11comp_targetILNS1_3genE5ELNS1_11target_archE942ELNS1_3gpuE9ELNS1_3repE0EEENS1_38merge_mergepath_config_static_selectorELNS0_4arch9wavefront6targetE1EEEvSH_.has_dyn_sized_stack, 0
	.set _ZN7rocprim17ROCPRIM_400000_NS6detail17trampoline_kernelINS0_14default_configENS1_38merge_sort_block_merge_config_selectorIilEEZZNS1_27merge_sort_block_merge_implIS3_PiN6thrust23THRUST_200600_302600_NS10device_ptrIlEEjNS1_19radix_merge_compareILb0ELb0EiNS0_19identity_decomposerEEEEE10hipError_tT0_T1_T2_jT3_P12ihipStream_tbPNSt15iterator_traitsISG_E10value_typeEPNSM_ISH_E10value_typeEPSI_NS1_7vsmem_tEENKUlT_SG_SH_SI_E_clIS7_S7_SB_PlEESF_SV_SG_SH_SI_EUlSV_E0_NS1_11comp_targetILNS1_3genE5ELNS1_11target_archE942ELNS1_3gpuE9ELNS1_3repE0EEENS1_38merge_mergepath_config_static_selectorELNS0_4arch9wavefront6targetE1EEEvSH_.has_recursion, 0
	.set _ZN7rocprim17ROCPRIM_400000_NS6detail17trampoline_kernelINS0_14default_configENS1_38merge_sort_block_merge_config_selectorIilEEZZNS1_27merge_sort_block_merge_implIS3_PiN6thrust23THRUST_200600_302600_NS10device_ptrIlEEjNS1_19radix_merge_compareILb0ELb0EiNS0_19identity_decomposerEEEEE10hipError_tT0_T1_T2_jT3_P12ihipStream_tbPNSt15iterator_traitsISG_E10value_typeEPNSM_ISH_E10value_typeEPSI_NS1_7vsmem_tEENKUlT_SG_SH_SI_E_clIS7_S7_SB_PlEESF_SV_SG_SH_SI_EUlSV_E0_NS1_11comp_targetILNS1_3genE5ELNS1_11target_archE942ELNS1_3gpuE9ELNS1_3repE0EEENS1_38merge_mergepath_config_static_selectorELNS0_4arch9wavefront6targetE1EEEvSH_.has_indirect_call, 0
	.section	.AMDGPU.csdata,"",@progbits
; Kernel info:
; codeLenInByte = 0
; TotalNumSgprs: 4
; NumVgprs: 0
; ScratchSize: 0
; MemoryBound: 0
; FloatMode: 240
; IeeeMode: 1
; LDSByteSize: 0 bytes/workgroup (compile time only)
; SGPRBlocks: 0
; VGPRBlocks: 0
; NumSGPRsForWavesPerEU: 4
; NumVGPRsForWavesPerEU: 1
; Occupancy: 10
; WaveLimiterHint : 0
; COMPUTE_PGM_RSRC2:SCRATCH_EN: 0
; COMPUTE_PGM_RSRC2:USER_SGPR: 6
; COMPUTE_PGM_RSRC2:TRAP_HANDLER: 0
; COMPUTE_PGM_RSRC2:TGID_X_EN: 1
; COMPUTE_PGM_RSRC2:TGID_Y_EN: 0
; COMPUTE_PGM_RSRC2:TGID_Z_EN: 0
; COMPUTE_PGM_RSRC2:TIDIG_COMP_CNT: 0
	.section	.text._ZN7rocprim17ROCPRIM_400000_NS6detail17trampoline_kernelINS0_14default_configENS1_38merge_sort_block_merge_config_selectorIilEEZZNS1_27merge_sort_block_merge_implIS3_PiN6thrust23THRUST_200600_302600_NS10device_ptrIlEEjNS1_19radix_merge_compareILb0ELb0EiNS0_19identity_decomposerEEEEE10hipError_tT0_T1_T2_jT3_P12ihipStream_tbPNSt15iterator_traitsISG_E10value_typeEPNSM_ISH_E10value_typeEPSI_NS1_7vsmem_tEENKUlT_SG_SH_SI_E_clIS7_S7_SB_PlEESF_SV_SG_SH_SI_EUlSV_E0_NS1_11comp_targetILNS1_3genE4ELNS1_11target_archE910ELNS1_3gpuE8ELNS1_3repE0EEENS1_38merge_mergepath_config_static_selectorELNS0_4arch9wavefront6targetE1EEEvSH_,"axG",@progbits,_ZN7rocprim17ROCPRIM_400000_NS6detail17trampoline_kernelINS0_14default_configENS1_38merge_sort_block_merge_config_selectorIilEEZZNS1_27merge_sort_block_merge_implIS3_PiN6thrust23THRUST_200600_302600_NS10device_ptrIlEEjNS1_19radix_merge_compareILb0ELb0EiNS0_19identity_decomposerEEEEE10hipError_tT0_T1_T2_jT3_P12ihipStream_tbPNSt15iterator_traitsISG_E10value_typeEPNSM_ISH_E10value_typeEPSI_NS1_7vsmem_tEENKUlT_SG_SH_SI_E_clIS7_S7_SB_PlEESF_SV_SG_SH_SI_EUlSV_E0_NS1_11comp_targetILNS1_3genE4ELNS1_11target_archE910ELNS1_3gpuE8ELNS1_3repE0EEENS1_38merge_mergepath_config_static_selectorELNS0_4arch9wavefront6targetE1EEEvSH_,comdat
	.protected	_ZN7rocprim17ROCPRIM_400000_NS6detail17trampoline_kernelINS0_14default_configENS1_38merge_sort_block_merge_config_selectorIilEEZZNS1_27merge_sort_block_merge_implIS3_PiN6thrust23THRUST_200600_302600_NS10device_ptrIlEEjNS1_19radix_merge_compareILb0ELb0EiNS0_19identity_decomposerEEEEE10hipError_tT0_T1_T2_jT3_P12ihipStream_tbPNSt15iterator_traitsISG_E10value_typeEPNSM_ISH_E10value_typeEPSI_NS1_7vsmem_tEENKUlT_SG_SH_SI_E_clIS7_S7_SB_PlEESF_SV_SG_SH_SI_EUlSV_E0_NS1_11comp_targetILNS1_3genE4ELNS1_11target_archE910ELNS1_3gpuE8ELNS1_3repE0EEENS1_38merge_mergepath_config_static_selectorELNS0_4arch9wavefront6targetE1EEEvSH_ ; -- Begin function _ZN7rocprim17ROCPRIM_400000_NS6detail17trampoline_kernelINS0_14default_configENS1_38merge_sort_block_merge_config_selectorIilEEZZNS1_27merge_sort_block_merge_implIS3_PiN6thrust23THRUST_200600_302600_NS10device_ptrIlEEjNS1_19radix_merge_compareILb0ELb0EiNS0_19identity_decomposerEEEEE10hipError_tT0_T1_T2_jT3_P12ihipStream_tbPNSt15iterator_traitsISG_E10value_typeEPNSM_ISH_E10value_typeEPSI_NS1_7vsmem_tEENKUlT_SG_SH_SI_E_clIS7_S7_SB_PlEESF_SV_SG_SH_SI_EUlSV_E0_NS1_11comp_targetILNS1_3genE4ELNS1_11target_archE910ELNS1_3gpuE8ELNS1_3repE0EEENS1_38merge_mergepath_config_static_selectorELNS0_4arch9wavefront6targetE1EEEvSH_
	.globl	_ZN7rocprim17ROCPRIM_400000_NS6detail17trampoline_kernelINS0_14default_configENS1_38merge_sort_block_merge_config_selectorIilEEZZNS1_27merge_sort_block_merge_implIS3_PiN6thrust23THRUST_200600_302600_NS10device_ptrIlEEjNS1_19radix_merge_compareILb0ELb0EiNS0_19identity_decomposerEEEEE10hipError_tT0_T1_T2_jT3_P12ihipStream_tbPNSt15iterator_traitsISG_E10value_typeEPNSM_ISH_E10value_typeEPSI_NS1_7vsmem_tEENKUlT_SG_SH_SI_E_clIS7_S7_SB_PlEESF_SV_SG_SH_SI_EUlSV_E0_NS1_11comp_targetILNS1_3genE4ELNS1_11target_archE910ELNS1_3gpuE8ELNS1_3repE0EEENS1_38merge_mergepath_config_static_selectorELNS0_4arch9wavefront6targetE1EEEvSH_
	.p2align	8
	.type	_ZN7rocprim17ROCPRIM_400000_NS6detail17trampoline_kernelINS0_14default_configENS1_38merge_sort_block_merge_config_selectorIilEEZZNS1_27merge_sort_block_merge_implIS3_PiN6thrust23THRUST_200600_302600_NS10device_ptrIlEEjNS1_19radix_merge_compareILb0ELb0EiNS0_19identity_decomposerEEEEE10hipError_tT0_T1_T2_jT3_P12ihipStream_tbPNSt15iterator_traitsISG_E10value_typeEPNSM_ISH_E10value_typeEPSI_NS1_7vsmem_tEENKUlT_SG_SH_SI_E_clIS7_S7_SB_PlEESF_SV_SG_SH_SI_EUlSV_E0_NS1_11comp_targetILNS1_3genE4ELNS1_11target_archE910ELNS1_3gpuE8ELNS1_3repE0EEENS1_38merge_mergepath_config_static_selectorELNS0_4arch9wavefront6targetE1EEEvSH_,@function
_ZN7rocprim17ROCPRIM_400000_NS6detail17trampoline_kernelINS0_14default_configENS1_38merge_sort_block_merge_config_selectorIilEEZZNS1_27merge_sort_block_merge_implIS3_PiN6thrust23THRUST_200600_302600_NS10device_ptrIlEEjNS1_19radix_merge_compareILb0ELb0EiNS0_19identity_decomposerEEEEE10hipError_tT0_T1_T2_jT3_P12ihipStream_tbPNSt15iterator_traitsISG_E10value_typeEPNSM_ISH_E10value_typeEPSI_NS1_7vsmem_tEENKUlT_SG_SH_SI_E_clIS7_S7_SB_PlEESF_SV_SG_SH_SI_EUlSV_E0_NS1_11comp_targetILNS1_3genE4ELNS1_11target_archE910ELNS1_3gpuE8ELNS1_3repE0EEENS1_38merge_mergepath_config_static_selectorELNS0_4arch9wavefront6targetE1EEEvSH_: ; @_ZN7rocprim17ROCPRIM_400000_NS6detail17trampoline_kernelINS0_14default_configENS1_38merge_sort_block_merge_config_selectorIilEEZZNS1_27merge_sort_block_merge_implIS3_PiN6thrust23THRUST_200600_302600_NS10device_ptrIlEEjNS1_19radix_merge_compareILb0ELb0EiNS0_19identity_decomposerEEEEE10hipError_tT0_T1_T2_jT3_P12ihipStream_tbPNSt15iterator_traitsISG_E10value_typeEPNSM_ISH_E10value_typeEPSI_NS1_7vsmem_tEENKUlT_SG_SH_SI_E_clIS7_S7_SB_PlEESF_SV_SG_SH_SI_EUlSV_E0_NS1_11comp_targetILNS1_3genE4ELNS1_11target_archE910ELNS1_3gpuE8ELNS1_3repE0EEENS1_38merge_mergepath_config_static_selectorELNS0_4arch9wavefront6targetE1EEEvSH_
; %bb.0:
	.section	.rodata,"a",@progbits
	.p2align	6, 0x0
	.amdhsa_kernel _ZN7rocprim17ROCPRIM_400000_NS6detail17trampoline_kernelINS0_14default_configENS1_38merge_sort_block_merge_config_selectorIilEEZZNS1_27merge_sort_block_merge_implIS3_PiN6thrust23THRUST_200600_302600_NS10device_ptrIlEEjNS1_19radix_merge_compareILb0ELb0EiNS0_19identity_decomposerEEEEE10hipError_tT0_T1_T2_jT3_P12ihipStream_tbPNSt15iterator_traitsISG_E10value_typeEPNSM_ISH_E10value_typeEPSI_NS1_7vsmem_tEENKUlT_SG_SH_SI_E_clIS7_S7_SB_PlEESF_SV_SG_SH_SI_EUlSV_E0_NS1_11comp_targetILNS1_3genE4ELNS1_11target_archE910ELNS1_3gpuE8ELNS1_3repE0EEENS1_38merge_mergepath_config_static_selectorELNS0_4arch9wavefront6targetE1EEEvSH_
		.amdhsa_group_segment_fixed_size 0
		.amdhsa_private_segment_fixed_size 0
		.amdhsa_kernarg_size 64
		.amdhsa_user_sgpr_count 6
		.amdhsa_user_sgpr_private_segment_buffer 1
		.amdhsa_user_sgpr_dispatch_ptr 0
		.amdhsa_user_sgpr_queue_ptr 0
		.amdhsa_user_sgpr_kernarg_segment_ptr 1
		.amdhsa_user_sgpr_dispatch_id 0
		.amdhsa_user_sgpr_flat_scratch_init 0
		.amdhsa_user_sgpr_private_segment_size 0
		.amdhsa_uses_dynamic_stack 0
		.amdhsa_system_sgpr_private_segment_wavefront_offset 0
		.amdhsa_system_sgpr_workgroup_id_x 1
		.amdhsa_system_sgpr_workgroup_id_y 0
		.amdhsa_system_sgpr_workgroup_id_z 0
		.amdhsa_system_sgpr_workgroup_info 0
		.amdhsa_system_vgpr_workitem_id 0
		.amdhsa_next_free_vgpr 1
		.amdhsa_next_free_sgpr 0
		.amdhsa_reserve_vcc 0
		.amdhsa_reserve_flat_scratch 0
		.amdhsa_float_round_mode_32 0
		.amdhsa_float_round_mode_16_64 0
		.amdhsa_float_denorm_mode_32 3
		.amdhsa_float_denorm_mode_16_64 3
		.amdhsa_dx10_clamp 1
		.amdhsa_ieee_mode 1
		.amdhsa_fp16_overflow 0
		.amdhsa_exception_fp_ieee_invalid_op 0
		.amdhsa_exception_fp_denorm_src 0
		.amdhsa_exception_fp_ieee_div_zero 0
		.amdhsa_exception_fp_ieee_overflow 0
		.amdhsa_exception_fp_ieee_underflow 0
		.amdhsa_exception_fp_ieee_inexact 0
		.amdhsa_exception_int_div_zero 0
	.end_amdhsa_kernel
	.section	.text._ZN7rocprim17ROCPRIM_400000_NS6detail17trampoline_kernelINS0_14default_configENS1_38merge_sort_block_merge_config_selectorIilEEZZNS1_27merge_sort_block_merge_implIS3_PiN6thrust23THRUST_200600_302600_NS10device_ptrIlEEjNS1_19radix_merge_compareILb0ELb0EiNS0_19identity_decomposerEEEEE10hipError_tT0_T1_T2_jT3_P12ihipStream_tbPNSt15iterator_traitsISG_E10value_typeEPNSM_ISH_E10value_typeEPSI_NS1_7vsmem_tEENKUlT_SG_SH_SI_E_clIS7_S7_SB_PlEESF_SV_SG_SH_SI_EUlSV_E0_NS1_11comp_targetILNS1_3genE4ELNS1_11target_archE910ELNS1_3gpuE8ELNS1_3repE0EEENS1_38merge_mergepath_config_static_selectorELNS0_4arch9wavefront6targetE1EEEvSH_,"axG",@progbits,_ZN7rocprim17ROCPRIM_400000_NS6detail17trampoline_kernelINS0_14default_configENS1_38merge_sort_block_merge_config_selectorIilEEZZNS1_27merge_sort_block_merge_implIS3_PiN6thrust23THRUST_200600_302600_NS10device_ptrIlEEjNS1_19radix_merge_compareILb0ELb0EiNS0_19identity_decomposerEEEEE10hipError_tT0_T1_T2_jT3_P12ihipStream_tbPNSt15iterator_traitsISG_E10value_typeEPNSM_ISH_E10value_typeEPSI_NS1_7vsmem_tEENKUlT_SG_SH_SI_E_clIS7_S7_SB_PlEESF_SV_SG_SH_SI_EUlSV_E0_NS1_11comp_targetILNS1_3genE4ELNS1_11target_archE910ELNS1_3gpuE8ELNS1_3repE0EEENS1_38merge_mergepath_config_static_selectorELNS0_4arch9wavefront6targetE1EEEvSH_,comdat
.Lfunc_end779:
	.size	_ZN7rocprim17ROCPRIM_400000_NS6detail17trampoline_kernelINS0_14default_configENS1_38merge_sort_block_merge_config_selectorIilEEZZNS1_27merge_sort_block_merge_implIS3_PiN6thrust23THRUST_200600_302600_NS10device_ptrIlEEjNS1_19radix_merge_compareILb0ELb0EiNS0_19identity_decomposerEEEEE10hipError_tT0_T1_T2_jT3_P12ihipStream_tbPNSt15iterator_traitsISG_E10value_typeEPNSM_ISH_E10value_typeEPSI_NS1_7vsmem_tEENKUlT_SG_SH_SI_E_clIS7_S7_SB_PlEESF_SV_SG_SH_SI_EUlSV_E0_NS1_11comp_targetILNS1_3genE4ELNS1_11target_archE910ELNS1_3gpuE8ELNS1_3repE0EEENS1_38merge_mergepath_config_static_selectorELNS0_4arch9wavefront6targetE1EEEvSH_, .Lfunc_end779-_ZN7rocprim17ROCPRIM_400000_NS6detail17trampoline_kernelINS0_14default_configENS1_38merge_sort_block_merge_config_selectorIilEEZZNS1_27merge_sort_block_merge_implIS3_PiN6thrust23THRUST_200600_302600_NS10device_ptrIlEEjNS1_19radix_merge_compareILb0ELb0EiNS0_19identity_decomposerEEEEE10hipError_tT0_T1_T2_jT3_P12ihipStream_tbPNSt15iterator_traitsISG_E10value_typeEPNSM_ISH_E10value_typeEPSI_NS1_7vsmem_tEENKUlT_SG_SH_SI_E_clIS7_S7_SB_PlEESF_SV_SG_SH_SI_EUlSV_E0_NS1_11comp_targetILNS1_3genE4ELNS1_11target_archE910ELNS1_3gpuE8ELNS1_3repE0EEENS1_38merge_mergepath_config_static_selectorELNS0_4arch9wavefront6targetE1EEEvSH_
                                        ; -- End function
	.set _ZN7rocprim17ROCPRIM_400000_NS6detail17trampoline_kernelINS0_14default_configENS1_38merge_sort_block_merge_config_selectorIilEEZZNS1_27merge_sort_block_merge_implIS3_PiN6thrust23THRUST_200600_302600_NS10device_ptrIlEEjNS1_19radix_merge_compareILb0ELb0EiNS0_19identity_decomposerEEEEE10hipError_tT0_T1_T2_jT3_P12ihipStream_tbPNSt15iterator_traitsISG_E10value_typeEPNSM_ISH_E10value_typeEPSI_NS1_7vsmem_tEENKUlT_SG_SH_SI_E_clIS7_S7_SB_PlEESF_SV_SG_SH_SI_EUlSV_E0_NS1_11comp_targetILNS1_3genE4ELNS1_11target_archE910ELNS1_3gpuE8ELNS1_3repE0EEENS1_38merge_mergepath_config_static_selectorELNS0_4arch9wavefront6targetE1EEEvSH_.num_vgpr, 0
	.set _ZN7rocprim17ROCPRIM_400000_NS6detail17trampoline_kernelINS0_14default_configENS1_38merge_sort_block_merge_config_selectorIilEEZZNS1_27merge_sort_block_merge_implIS3_PiN6thrust23THRUST_200600_302600_NS10device_ptrIlEEjNS1_19radix_merge_compareILb0ELb0EiNS0_19identity_decomposerEEEEE10hipError_tT0_T1_T2_jT3_P12ihipStream_tbPNSt15iterator_traitsISG_E10value_typeEPNSM_ISH_E10value_typeEPSI_NS1_7vsmem_tEENKUlT_SG_SH_SI_E_clIS7_S7_SB_PlEESF_SV_SG_SH_SI_EUlSV_E0_NS1_11comp_targetILNS1_3genE4ELNS1_11target_archE910ELNS1_3gpuE8ELNS1_3repE0EEENS1_38merge_mergepath_config_static_selectorELNS0_4arch9wavefront6targetE1EEEvSH_.num_agpr, 0
	.set _ZN7rocprim17ROCPRIM_400000_NS6detail17trampoline_kernelINS0_14default_configENS1_38merge_sort_block_merge_config_selectorIilEEZZNS1_27merge_sort_block_merge_implIS3_PiN6thrust23THRUST_200600_302600_NS10device_ptrIlEEjNS1_19radix_merge_compareILb0ELb0EiNS0_19identity_decomposerEEEEE10hipError_tT0_T1_T2_jT3_P12ihipStream_tbPNSt15iterator_traitsISG_E10value_typeEPNSM_ISH_E10value_typeEPSI_NS1_7vsmem_tEENKUlT_SG_SH_SI_E_clIS7_S7_SB_PlEESF_SV_SG_SH_SI_EUlSV_E0_NS1_11comp_targetILNS1_3genE4ELNS1_11target_archE910ELNS1_3gpuE8ELNS1_3repE0EEENS1_38merge_mergepath_config_static_selectorELNS0_4arch9wavefront6targetE1EEEvSH_.numbered_sgpr, 0
	.set _ZN7rocprim17ROCPRIM_400000_NS6detail17trampoline_kernelINS0_14default_configENS1_38merge_sort_block_merge_config_selectorIilEEZZNS1_27merge_sort_block_merge_implIS3_PiN6thrust23THRUST_200600_302600_NS10device_ptrIlEEjNS1_19radix_merge_compareILb0ELb0EiNS0_19identity_decomposerEEEEE10hipError_tT0_T1_T2_jT3_P12ihipStream_tbPNSt15iterator_traitsISG_E10value_typeEPNSM_ISH_E10value_typeEPSI_NS1_7vsmem_tEENKUlT_SG_SH_SI_E_clIS7_S7_SB_PlEESF_SV_SG_SH_SI_EUlSV_E0_NS1_11comp_targetILNS1_3genE4ELNS1_11target_archE910ELNS1_3gpuE8ELNS1_3repE0EEENS1_38merge_mergepath_config_static_selectorELNS0_4arch9wavefront6targetE1EEEvSH_.num_named_barrier, 0
	.set _ZN7rocprim17ROCPRIM_400000_NS6detail17trampoline_kernelINS0_14default_configENS1_38merge_sort_block_merge_config_selectorIilEEZZNS1_27merge_sort_block_merge_implIS3_PiN6thrust23THRUST_200600_302600_NS10device_ptrIlEEjNS1_19radix_merge_compareILb0ELb0EiNS0_19identity_decomposerEEEEE10hipError_tT0_T1_T2_jT3_P12ihipStream_tbPNSt15iterator_traitsISG_E10value_typeEPNSM_ISH_E10value_typeEPSI_NS1_7vsmem_tEENKUlT_SG_SH_SI_E_clIS7_S7_SB_PlEESF_SV_SG_SH_SI_EUlSV_E0_NS1_11comp_targetILNS1_3genE4ELNS1_11target_archE910ELNS1_3gpuE8ELNS1_3repE0EEENS1_38merge_mergepath_config_static_selectorELNS0_4arch9wavefront6targetE1EEEvSH_.private_seg_size, 0
	.set _ZN7rocprim17ROCPRIM_400000_NS6detail17trampoline_kernelINS0_14default_configENS1_38merge_sort_block_merge_config_selectorIilEEZZNS1_27merge_sort_block_merge_implIS3_PiN6thrust23THRUST_200600_302600_NS10device_ptrIlEEjNS1_19radix_merge_compareILb0ELb0EiNS0_19identity_decomposerEEEEE10hipError_tT0_T1_T2_jT3_P12ihipStream_tbPNSt15iterator_traitsISG_E10value_typeEPNSM_ISH_E10value_typeEPSI_NS1_7vsmem_tEENKUlT_SG_SH_SI_E_clIS7_S7_SB_PlEESF_SV_SG_SH_SI_EUlSV_E0_NS1_11comp_targetILNS1_3genE4ELNS1_11target_archE910ELNS1_3gpuE8ELNS1_3repE0EEENS1_38merge_mergepath_config_static_selectorELNS0_4arch9wavefront6targetE1EEEvSH_.uses_vcc, 0
	.set _ZN7rocprim17ROCPRIM_400000_NS6detail17trampoline_kernelINS0_14default_configENS1_38merge_sort_block_merge_config_selectorIilEEZZNS1_27merge_sort_block_merge_implIS3_PiN6thrust23THRUST_200600_302600_NS10device_ptrIlEEjNS1_19radix_merge_compareILb0ELb0EiNS0_19identity_decomposerEEEEE10hipError_tT0_T1_T2_jT3_P12ihipStream_tbPNSt15iterator_traitsISG_E10value_typeEPNSM_ISH_E10value_typeEPSI_NS1_7vsmem_tEENKUlT_SG_SH_SI_E_clIS7_S7_SB_PlEESF_SV_SG_SH_SI_EUlSV_E0_NS1_11comp_targetILNS1_3genE4ELNS1_11target_archE910ELNS1_3gpuE8ELNS1_3repE0EEENS1_38merge_mergepath_config_static_selectorELNS0_4arch9wavefront6targetE1EEEvSH_.uses_flat_scratch, 0
	.set _ZN7rocprim17ROCPRIM_400000_NS6detail17trampoline_kernelINS0_14default_configENS1_38merge_sort_block_merge_config_selectorIilEEZZNS1_27merge_sort_block_merge_implIS3_PiN6thrust23THRUST_200600_302600_NS10device_ptrIlEEjNS1_19radix_merge_compareILb0ELb0EiNS0_19identity_decomposerEEEEE10hipError_tT0_T1_T2_jT3_P12ihipStream_tbPNSt15iterator_traitsISG_E10value_typeEPNSM_ISH_E10value_typeEPSI_NS1_7vsmem_tEENKUlT_SG_SH_SI_E_clIS7_S7_SB_PlEESF_SV_SG_SH_SI_EUlSV_E0_NS1_11comp_targetILNS1_3genE4ELNS1_11target_archE910ELNS1_3gpuE8ELNS1_3repE0EEENS1_38merge_mergepath_config_static_selectorELNS0_4arch9wavefront6targetE1EEEvSH_.has_dyn_sized_stack, 0
	.set _ZN7rocprim17ROCPRIM_400000_NS6detail17trampoline_kernelINS0_14default_configENS1_38merge_sort_block_merge_config_selectorIilEEZZNS1_27merge_sort_block_merge_implIS3_PiN6thrust23THRUST_200600_302600_NS10device_ptrIlEEjNS1_19radix_merge_compareILb0ELb0EiNS0_19identity_decomposerEEEEE10hipError_tT0_T1_T2_jT3_P12ihipStream_tbPNSt15iterator_traitsISG_E10value_typeEPNSM_ISH_E10value_typeEPSI_NS1_7vsmem_tEENKUlT_SG_SH_SI_E_clIS7_S7_SB_PlEESF_SV_SG_SH_SI_EUlSV_E0_NS1_11comp_targetILNS1_3genE4ELNS1_11target_archE910ELNS1_3gpuE8ELNS1_3repE0EEENS1_38merge_mergepath_config_static_selectorELNS0_4arch9wavefront6targetE1EEEvSH_.has_recursion, 0
	.set _ZN7rocprim17ROCPRIM_400000_NS6detail17trampoline_kernelINS0_14default_configENS1_38merge_sort_block_merge_config_selectorIilEEZZNS1_27merge_sort_block_merge_implIS3_PiN6thrust23THRUST_200600_302600_NS10device_ptrIlEEjNS1_19radix_merge_compareILb0ELb0EiNS0_19identity_decomposerEEEEE10hipError_tT0_T1_T2_jT3_P12ihipStream_tbPNSt15iterator_traitsISG_E10value_typeEPNSM_ISH_E10value_typeEPSI_NS1_7vsmem_tEENKUlT_SG_SH_SI_E_clIS7_S7_SB_PlEESF_SV_SG_SH_SI_EUlSV_E0_NS1_11comp_targetILNS1_3genE4ELNS1_11target_archE910ELNS1_3gpuE8ELNS1_3repE0EEENS1_38merge_mergepath_config_static_selectorELNS0_4arch9wavefront6targetE1EEEvSH_.has_indirect_call, 0
	.section	.AMDGPU.csdata,"",@progbits
; Kernel info:
; codeLenInByte = 0
; TotalNumSgprs: 4
; NumVgprs: 0
; ScratchSize: 0
; MemoryBound: 0
; FloatMode: 240
; IeeeMode: 1
; LDSByteSize: 0 bytes/workgroup (compile time only)
; SGPRBlocks: 0
; VGPRBlocks: 0
; NumSGPRsForWavesPerEU: 4
; NumVGPRsForWavesPerEU: 1
; Occupancy: 10
; WaveLimiterHint : 0
; COMPUTE_PGM_RSRC2:SCRATCH_EN: 0
; COMPUTE_PGM_RSRC2:USER_SGPR: 6
; COMPUTE_PGM_RSRC2:TRAP_HANDLER: 0
; COMPUTE_PGM_RSRC2:TGID_X_EN: 1
; COMPUTE_PGM_RSRC2:TGID_Y_EN: 0
; COMPUTE_PGM_RSRC2:TGID_Z_EN: 0
; COMPUTE_PGM_RSRC2:TIDIG_COMP_CNT: 0
	.section	.text._ZN7rocprim17ROCPRIM_400000_NS6detail17trampoline_kernelINS0_14default_configENS1_38merge_sort_block_merge_config_selectorIilEEZZNS1_27merge_sort_block_merge_implIS3_PiN6thrust23THRUST_200600_302600_NS10device_ptrIlEEjNS1_19radix_merge_compareILb0ELb0EiNS0_19identity_decomposerEEEEE10hipError_tT0_T1_T2_jT3_P12ihipStream_tbPNSt15iterator_traitsISG_E10value_typeEPNSM_ISH_E10value_typeEPSI_NS1_7vsmem_tEENKUlT_SG_SH_SI_E_clIS7_S7_SB_PlEESF_SV_SG_SH_SI_EUlSV_E0_NS1_11comp_targetILNS1_3genE3ELNS1_11target_archE908ELNS1_3gpuE7ELNS1_3repE0EEENS1_38merge_mergepath_config_static_selectorELNS0_4arch9wavefront6targetE1EEEvSH_,"axG",@progbits,_ZN7rocprim17ROCPRIM_400000_NS6detail17trampoline_kernelINS0_14default_configENS1_38merge_sort_block_merge_config_selectorIilEEZZNS1_27merge_sort_block_merge_implIS3_PiN6thrust23THRUST_200600_302600_NS10device_ptrIlEEjNS1_19radix_merge_compareILb0ELb0EiNS0_19identity_decomposerEEEEE10hipError_tT0_T1_T2_jT3_P12ihipStream_tbPNSt15iterator_traitsISG_E10value_typeEPNSM_ISH_E10value_typeEPSI_NS1_7vsmem_tEENKUlT_SG_SH_SI_E_clIS7_S7_SB_PlEESF_SV_SG_SH_SI_EUlSV_E0_NS1_11comp_targetILNS1_3genE3ELNS1_11target_archE908ELNS1_3gpuE7ELNS1_3repE0EEENS1_38merge_mergepath_config_static_selectorELNS0_4arch9wavefront6targetE1EEEvSH_,comdat
	.protected	_ZN7rocprim17ROCPRIM_400000_NS6detail17trampoline_kernelINS0_14default_configENS1_38merge_sort_block_merge_config_selectorIilEEZZNS1_27merge_sort_block_merge_implIS3_PiN6thrust23THRUST_200600_302600_NS10device_ptrIlEEjNS1_19radix_merge_compareILb0ELb0EiNS0_19identity_decomposerEEEEE10hipError_tT0_T1_T2_jT3_P12ihipStream_tbPNSt15iterator_traitsISG_E10value_typeEPNSM_ISH_E10value_typeEPSI_NS1_7vsmem_tEENKUlT_SG_SH_SI_E_clIS7_S7_SB_PlEESF_SV_SG_SH_SI_EUlSV_E0_NS1_11comp_targetILNS1_3genE3ELNS1_11target_archE908ELNS1_3gpuE7ELNS1_3repE0EEENS1_38merge_mergepath_config_static_selectorELNS0_4arch9wavefront6targetE1EEEvSH_ ; -- Begin function _ZN7rocprim17ROCPRIM_400000_NS6detail17trampoline_kernelINS0_14default_configENS1_38merge_sort_block_merge_config_selectorIilEEZZNS1_27merge_sort_block_merge_implIS3_PiN6thrust23THRUST_200600_302600_NS10device_ptrIlEEjNS1_19radix_merge_compareILb0ELb0EiNS0_19identity_decomposerEEEEE10hipError_tT0_T1_T2_jT3_P12ihipStream_tbPNSt15iterator_traitsISG_E10value_typeEPNSM_ISH_E10value_typeEPSI_NS1_7vsmem_tEENKUlT_SG_SH_SI_E_clIS7_S7_SB_PlEESF_SV_SG_SH_SI_EUlSV_E0_NS1_11comp_targetILNS1_3genE3ELNS1_11target_archE908ELNS1_3gpuE7ELNS1_3repE0EEENS1_38merge_mergepath_config_static_selectorELNS0_4arch9wavefront6targetE1EEEvSH_
	.globl	_ZN7rocprim17ROCPRIM_400000_NS6detail17trampoline_kernelINS0_14default_configENS1_38merge_sort_block_merge_config_selectorIilEEZZNS1_27merge_sort_block_merge_implIS3_PiN6thrust23THRUST_200600_302600_NS10device_ptrIlEEjNS1_19radix_merge_compareILb0ELb0EiNS0_19identity_decomposerEEEEE10hipError_tT0_T1_T2_jT3_P12ihipStream_tbPNSt15iterator_traitsISG_E10value_typeEPNSM_ISH_E10value_typeEPSI_NS1_7vsmem_tEENKUlT_SG_SH_SI_E_clIS7_S7_SB_PlEESF_SV_SG_SH_SI_EUlSV_E0_NS1_11comp_targetILNS1_3genE3ELNS1_11target_archE908ELNS1_3gpuE7ELNS1_3repE0EEENS1_38merge_mergepath_config_static_selectorELNS0_4arch9wavefront6targetE1EEEvSH_
	.p2align	8
	.type	_ZN7rocprim17ROCPRIM_400000_NS6detail17trampoline_kernelINS0_14default_configENS1_38merge_sort_block_merge_config_selectorIilEEZZNS1_27merge_sort_block_merge_implIS3_PiN6thrust23THRUST_200600_302600_NS10device_ptrIlEEjNS1_19radix_merge_compareILb0ELb0EiNS0_19identity_decomposerEEEEE10hipError_tT0_T1_T2_jT3_P12ihipStream_tbPNSt15iterator_traitsISG_E10value_typeEPNSM_ISH_E10value_typeEPSI_NS1_7vsmem_tEENKUlT_SG_SH_SI_E_clIS7_S7_SB_PlEESF_SV_SG_SH_SI_EUlSV_E0_NS1_11comp_targetILNS1_3genE3ELNS1_11target_archE908ELNS1_3gpuE7ELNS1_3repE0EEENS1_38merge_mergepath_config_static_selectorELNS0_4arch9wavefront6targetE1EEEvSH_,@function
_ZN7rocprim17ROCPRIM_400000_NS6detail17trampoline_kernelINS0_14default_configENS1_38merge_sort_block_merge_config_selectorIilEEZZNS1_27merge_sort_block_merge_implIS3_PiN6thrust23THRUST_200600_302600_NS10device_ptrIlEEjNS1_19radix_merge_compareILb0ELb0EiNS0_19identity_decomposerEEEEE10hipError_tT0_T1_T2_jT3_P12ihipStream_tbPNSt15iterator_traitsISG_E10value_typeEPNSM_ISH_E10value_typeEPSI_NS1_7vsmem_tEENKUlT_SG_SH_SI_E_clIS7_S7_SB_PlEESF_SV_SG_SH_SI_EUlSV_E0_NS1_11comp_targetILNS1_3genE3ELNS1_11target_archE908ELNS1_3gpuE7ELNS1_3repE0EEENS1_38merge_mergepath_config_static_selectorELNS0_4arch9wavefront6targetE1EEEvSH_: ; @_ZN7rocprim17ROCPRIM_400000_NS6detail17trampoline_kernelINS0_14default_configENS1_38merge_sort_block_merge_config_selectorIilEEZZNS1_27merge_sort_block_merge_implIS3_PiN6thrust23THRUST_200600_302600_NS10device_ptrIlEEjNS1_19radix_merge_compareILb0ELb0EiNS0_19identity_decomposerEEEEE10hipError_tT0_T1_T2_jT3_P12ihipStream_tbPNSt15iterator_traitsISG_E10value_typeEPNSM_ISH_E10value_typeEPSI_NS1_7vsmem_tEENKUlT_SG_SH_SI_E_clIS7_S7_SB_PlEESF_SV_SG_SH_SI_EUlSV_E0_NS1_11comp_targetILNS1_3genE3ELNS1_11target_archE908ELNS1_3gpuE7ELNS1_3repE0EEENS1_38merge_mergepath_config_static_selectorELNS0_4arch9wavefront6targetE1EEEvSH_
; %bb.0:
	.section	.rodata,"a",@progbits
	.p2align	6, 0x0
	.amdhsa_kernel _ZN7rocprim17ROCPRIM_400000_NS6detail17trampoline_kernelINS0_14default_configENS1_38merge_sort_block_merge_config_selectorIilEEZZNS1_27merge_sort_block_merge_implIS3_PiN6thrust23THRUST_200600_302600_NS10device_ptrIlEEjNS1_19radix_merge_compareILb0ELb0EiNS0_19identity_decomposerEEEEE10hipError_tT0_T1_T2_jT3_P12ihipStream_tbPNSt15iterator_traitsISG_E10value_typeEPNSM_ISH_E10value_typeEPSI_NS1_7vsmem_tEENKUlT_SG_SH_SI_E_clIS7_S7_SB_PlEESF_SV_SG_SH_SI_EUlSV_E0_NS1_11comp_targetILNS1_3genE3ELNS1_11target_archE908ELNS1_3gpuE7ELNS1_3repE0EEENS1_38merge_mergepath_config_static_selectorELNS0_4arch9wavefront6targetE1EEEvSH_
		.amdhsa_group_segment_fixed_size 0
		.amdhsa_private_segment_fixed_size 0
		.amdhsa_kernarg_size 64
		.amdhsa_user_sgpr_count 6
		.amdhsa_user_sgpr_private_segment_buffer 1
		.amdhsa_user_sgpr_dispatch_ptr 0
		.amdhsa_user_sgpr_queue_ptr 0
		.amdhsa_user_sgpr_kernarg_segment_ptr 1
		.amdhsa_user_sgpr_dispatch_id 0
		.amdhsa_user_sgpr_flat_scratch_init 0
		.amdhsa_user_sgpr_private_segment_size 0
		.amdhsa_uses_dynamic_stack 0
		.amdhsa_system_sgpr_private_segment_wavefront_offset 0
		.amdhsa_system_sgpr_workgroup_id_x 1
		.amdhsa_system_sgpr_workgroup_id_y 0
		.amdhsa_system_sgpr_workgroup_id_z 0
		.amdhsa_system_sgpr_workgroup_info 0
		.amdhsa_system_vgpr_workitem_id 0
		.amdhsa_next_free_vgpr 1
		.amdhsa_next_free_sgpr 0
		.amdhsa_reserve_vcc 0
		.amdhsa_reserve_flat_scratch 0
		.amdhsa_float_round_mode_32 0
		.amdhsa_float_round_mode_16_64 0
		.amdhsa_float_denorm_mode_32 3
		.amdhsa_float_denorm_mode_16_64 3
		.amdhsa_dx10_clamp 1
		.amdhsa_ieee_mode 1
		.amdhsa_fp16_overflow 0
		.amdhsa_exception_fp_ieee_invalid_op 0
		.amdhsa_exception_fp_denorm_src 0
		.amdhsa_exception_fp_ieee_div_zero 0
		.amdhsa_exception_fp_ieee_overflow 0
		.amdhsa_exception_fp_ieee_underflow 0
		.amdhsa_exception_fp_ieee_inexact 0
		.amdhsa_exception_int_div_zero 0
	.end_amdhsa_kernel
	.section	.text._ZN7rocprim17ROCPRIM_400000_NS6detail17trampoline_kernelINS0_14default_configENS1_38merge_sort_block_merge_config_selectorIilEEZZNS1_27merge_sort_block_merge_implIS3_PiN6thrust23THRUST_200600_302600_NS10device_ptrIlEEjNS1_19radix_merge_compareILb0ELb0EiNS0_19identity_decomposerEEEEE10hipError_tT0_T1_T2_jT3_P12ihipStream_tbPNSt15iterator_traitsISG_E10value_typeEPNSM_ISH_E10value_typeEPSI_NS1_7vsmem_tEENKUlT_SG_SH_SI_E_clIS7_S7_SB_PlEESF_SV_SG_SH_SI_EUlSV_E0_NS1_11comp_targetILNS1_3genE3ELNS1_11target_archE908ELNS1_3gpuE7ELNS1_3repE0EEENS1_38merge_mergepath_config_static_selectorELNS0_4arch9wavefront6targetE1EEEvSH_,"axG",@progbits,_ZN7rocprim17ROCPRIM_400000_NS6detail17trampoline_kernelINS0_14default_configENS1_38merge_sort_block_merge_config_selectorIilEEZZNS1_27merge_sort_block_merge_implIS3_PiN6thrust23THRUST_200600_302600_NS10device_ptrIlEEjNS1_19radix_merge_compareILb0ELb0EiNS0_19identity_decomposerEEEEE10hipError_tT0_T1_T2_jT3_P12ihipStream_tbPNSt15iterator_traitsISG_E10value_typeEPNSM_ISH_E10value_typeEPSI_NS1_7vsmem_tEENKUlT_SG_SH_SI_E_clIS7_S7_SB_PlEESF_SV_SG_SH_SI_EUlSV_E0_NS1_11comp_targetILNS1_3genE3ELNS1_11target_archE908ELNS1_3gpuE7ELNS1_3repE0EEENS1_38merge_mergepath_config_static_selectorELNS0_4arch9wavefront6targetE1EEEvSH_,comdat
.Lfunc_end780:
	.size	_ZN7rocprim17ROCPRIM_400000_NS6detail17trampoline_kernelINS0_14default_configENS1_38merge_sort_block_merge_config_selectorIilEEZZNS1_27merge_sort_block_merge_implIS3_PiN6thrust23THRUST_200600_302600_NS10device_ptrIlEEjNS1_19radix_merge_compareILb0ELb0EiNS0_19identity_decomposerEEEEE10hipError_tT0_T1_T2_jT3_P12ihipStream_tbPNSt15iterator_traitsISG_E10value_typeEPNSM_ISH_E10value_typeEPSI_NS1_7vsmem_tEENKUlT_SG_SH_SI_E_clIS7_S7_SB_PlEESF_SV_SG_SH_SI_EUlSV_E0_NS1_11comp_targetILNS1_3genE3ELNS1_11target_archE908ELNS1_3gpuE7ELNS1_3repE0EEENS1_38merge_mergepath_config_static_selectorELNS0_4arch9wavefront6targetE1EEEvSH_, .Lfunc_end780-_ZN7rocprim17ROCPRIM_400000_NS6detail17trampoline_kernelINS0_14default_configENS1_38merge_sort_block_merge_config_selectorIilEEZZNS1_27merge_sort_block_merge_implIS3_PiN6thrust23THRUST_200600_302600_NS10device_ptrIlEEjNS1_19radix_merge_compareILb0ELb0EiNS0_19identity_decomposerEEEEE10hipError_tT0_T1_T2_jT3_P12ihipStream_tbPNSt15iterator_traitsISG_E10value_typeEPNSM_ISH_E10value_typeEPSI_NS1_7vsmem_tEENKUlT_SG_SH_SI_E_clIS7_S7_SB_PlEESF_SV_SG_SH_SI_EUlSV_E0_NS1_11comp_targetILNS1_3genE3ELNS1_11target_archE908ELNS1_3gpuE7ELNS1_3repE0EEENS1_38merge_mergepath_config_static_selectorELNS0_4arch9wavefront6targetE1EEEvSH_
                                        ; -- End function
	.set _ZN7rocprim17ROCPRIM_400000_NS6detail17trampoline_kernelINS0_14default_configENS1_38merge_sort_block_merge_config_selectorIilEEZZNS1_27merge_sort_block_merge_implIS3_PiN6thrust23THRUST_200600_302600_NS10device_ptrIlEEjNS1_19radix_merge_compareILb0ELb0EiNS0_19identity_decomposerEEEEE10hipError_tT0_T1_T2_jT3_P12ihipStream_tbPNSt15iterator_traitsISG_E10value_typeEPNSM_ISH_E10value_typeEPSI_NS1_7vsmem_tEENKUlT_SG_SH_SI_E_clIS7_S7_SB_PlEESF_SV_SG_SH_SI_EUlSV_E0_NS1_11comp_targetILNS1_3genE3ELNS1_11target_archE908ELNS1_3gpuE7ELNS1_3repE0EEENS1_38merge_mergepath_config_static_selectorELNS0_4arch9wavefront6targetE1EEEvSH_.num_vgpr, 0
	.set _ZN7rocprim17ROCPRIM_400000_NS6detail17trampoline_kernelINS0_14default_configENS1_38merge_sort_block_merge_config_selectorIilEEZZNS1_27merge_sort_block_merge_implIS3_PiN6thrust23THRUST_200600_302600_NS10device_ptrIlEEjNS1_19radix_merge_compareILb0ELb0EiNS0_19identity_decomposerEEEEE10hipError_tT0_T1_T2_jT3_P12ihipStream_tbPNSt15iterator_traitsISG_E10value_typeEPNSM_ISH_E10value_typeEPSI_NS1_7vsmem_tEENKUlT_SG_SH_SI_E_clIS7_S7_SB_PlEESF_SV_SG_SH_SI_EUlSV_E0_NS1_11comp_targetILNS1_3genE3ELNS1_11target_archE908ELNS1_3gpuE7ELNS1_3repE0EEENS1_38merge_mergepath_config_static_selectorELNS0_4arch9wavefront6targetE1EEEvSH_.num_agpr, 0
	.set _ZN7rocprim17ROCPRIM_400000_NS6detail17trampoline_kernelINS0_14default_configENS1_38merge_sort_block_merge_config_selectorIilEEZZNS1_27merge_sort_block_merge_implIS3_PiN6thrust23THRUST_200600_302600_NS10device_ptrIlEEjNS1_19radix_merge_compareILb0ELb0EiNS0_19identity_decomposerEEEEE10hipError_tT0_T1_T2_jT3_P12ihipStream_tbPNSt15iterator_traitsISG_E10value_typeEPNSM_ISH_E10value_typeEPSI_NS1_7vsmem_tEENKUlT_SG_SH_SI_E_clIS7_S7_SB_PlEESF_SV_SG_SH_SI_EUlSV_E0_NS1_11comp_targetILNS1_3genE3ELNS1_11target_archE908ELNS1_3gpuE7ELNS1_3repE0EEENS1_38merge_mergepath_config_static_selectorELNS0_4arch9wavefront6targetE1EEEvSH_.numbered_sgpr, 0
	.set _ZN7rocprim17ROCPRIM_400000_NS6detail17trampoline_kernelINS0_14default_configENS1_38merge_sort_block_merge_config_selectorIilEEZZNS1_27merge_sort_block_merge_implIS3_PiN6thrust23THRUST_200600_302600_NS10device_ptrIlEEjNS1_19radix_merge_compareILb0ELb0EiNS0_19identity_decomposerEEEEE10hipError_tT0_T1_T2_jT3_P12ihipStream_tbPNSt15iterator_traitsISG_E10value_typeEPNSM_ISH_E10value_typeEPSI_NS1_7vsmem_tEENKUlT_SG_SH_SI_E_clIS7_S7_SB_PlEESF_SV_SG_SH_SI_EUlSV_E0_NS1_11comp_targetILNS1_3genE3ELNS1_11target_archE908ELNS1_3gpuE7ELNS1_3repE0EEENS1_38merge_mergepath_config_static_selectorELNS0_4arch9wavefront6targetE1EEEvSH_.num_named_barrier, 0
	.set _ZN7rocprim17ROCPRIM_400000_NS6detail17trampoline_kernelINS0_14default_configENS1_38merge_sort_block_merge_config_selectorIilEEZZNS1_27merge_sort_block_merge_implIS3_PiN6thrust23THRUST_200600_302600_NS10device_ptrIlEEjNS1_19radix_merge_compareILb0ELb0EiNS0_19identity_decomposerEEEEE10hipError_tT0_T1_T2_jT3_P12ihipStream_tbPNSt15iterator_traitsISG_E10value_typeEPNSM_ISH_E10value_typeEPSI_NS1_7vsmem_tEENKUlT_SG_SH_SI_E_clIS7_S7_SB_PlEESF_SV_SG_SH_SI_EUlSV_E0_NS1_11comp_targetILNS1_3genE3ELNS1_11target_archE908ELNS1_3gpuE7ELNS1_3repE0EEENS1_38merge_mergepath_config_static_selectorELNS0_4arch9wavefront6targetE1EEEvSH_.private_seg_size, 0
	.set _ZN7rocprim17ROCPRIM_400000_NS6detail17trampoline_kernelINS0_14default_configENS1_38merge_sort_block_merge_config_selectorIilEEZZNS1_27merge_sort_block_merge_implIS3_PiN6thrust23THRUST_200600_302600_NS10device_ptrIlEEjNS1_19radix_merge_compareILb0ELb0EiNS0_19identity_decomposerEEEEE10hipError_tT0_T1_T2_jT3_P12ihipStream_tbPNSt15iterator_traitsISG_E10value_typeEPNSM_ISH_E10value_typeEPSI_NS1_7vsmem_tEENKUlT_SG_SH_SI_E_clIS7_S7_SB_PlEESF_SV_SG_SH_SI_EUlSV_E0_NS1_11comp_targetILNS1_3genE3ELNS1_11target_archE908ELNS1_3gpuE7ELNS1_3repE0EEENS1_38merge_mergepath_config_static_selectorELNS0_4arch9wavefront6targetE1EEEvSH_.uses_vcc, 0
	.set _ZN7rocprim17ROCPRIM_400000_NS6detail17trampoline_kernelINS0_14default_configENS1_38merge_sort_block_merge_config_selectorIilEEZZNS1_27merge_sort_block_merge_implIS3_PiN6thrust23THRUST_200600_302600_NS10device_ptrIlEEjNS1_19radix_merge_compareILb0ELb0EiNS0_19identity_decomposerEEEEE10hipError_tT0_T1_T2_jT3_P12ihipStream_tbPNSt15iterator_traitsISG_E10value_typeEPNSM_ISH_E10value_typeEPSI_NS1_7vsmem_tEENKUlT_SG_SH_SI_E_clIS7_S7_SB_PlEESF_SV_SG_SH_SI_EUlSV_E0_NS1_11comp_targetILNS1_3genE3ELNS1_11target_archE908ELNS1_3gpuE7ELNS1_3repE0EEENS1_38merge_mergepath_config_static_selectorELNS0_4arch9wavefront6targetE1EEEvSH_.uses_flat_scratch, 0
	.set _ZN7rocprim17ROCPRIM_400000_NS6detail17trampoline_kernelINS0_14default_configENS1_38merge_sort_block_merge_config_selectorIilEEZZNS1_27merge_sort_block_merge_implIS3_PiN6thrust23THRUST_200600_302600_NS10device_ptrIlEEjNS1_19radix_merge_compareILb0ELb0EiNS0_19identity_decomposerEEEEE10hipError_tT0_T1_T2_jT3_P12ihipStream_tbPNSt15iterator_traitsISG_E10value_typeEPNSM_ISH_E10value_typeEPSI_NS1_7vsmem_tEENKUlT_SG_SH_SI_E_clIS7_S7_SB_PlEESF_SV_SG_SH_SI_EUlSV_E0_NS1_11comp_targetILNS1_3genE3ELNS1_11target_archE908ELNS1_3gpuE7ELNS1_3repE0EEENS1_38merge_mergepath_config_static_selectorELNS0_4arch9wavefront6targetE1EEEvSH_.has_dyn_sized_stack, 0
	.set _ZN7rocprim17ROCPRIM_400000_NS6detail17trampoline_kernelINS0_14default_configENS1_38merge_sort_block_merge_config_selectorIilEEZZNS1_27merge_sort_block_merge_implIS3_PiN6thrust23THRUST_200600_302600_NS10device_ptrIlEEjNS1_19radix_merge_compareILb0ELb0EiNS0_19identity_decomposerEEEEE10hipError_tT0_T1_T2_jT3_P12ihipStream_tbPNSt15iterator_traitsISG_E10value_typeEPNSM_ISH_E10value_typeEPSI_NS1_7vsmem_tEENKUlT_SG_SH_SI_E_clIS7_S7_SB_PlEESF_SV_SG_SH_SI_EUlSV_E0_NS1_11comp_targetILNS1_3genE3ELNS1_11target_archE908ELNS1_3gpuE7ELNS1_3repE0EEENS1_38merge_mergepath_config_static_selectorELNS0_4arch9wavefront6targetE1EEEvSH_.has_recursion, 0
	.set _ZN7rocprim17ROCPRIM_400000_NS6detail17trampoline_kernelINS0_14default_configENS1_38merge_sort_block_merge_config_selectorIilEEZZNS1_27merge_sort_block_merge_implIS3_PiN6thrust23THRUST_200600_302600_NS10device_ptrIlEEjNS1_19radix_merge_compareILb0ELb0EiNS0_19identity_decomposerEEEEE10hipError_tT0_T1_T2_jT3_P12ihipStream_tbPNSt15iterator_traitsISG_E10value_typeEPNSM_ISH_E10value_typeEPSI_NS1_7vsmem_tEENKUlT_SG_SH_SI_E_clIS7_S7_SB_PlEESF_SV_SG_SH_SI_EUlSV_E0_NS1_11comp_targetILNS1_3genE3ELNS1_11target_archE908ELNS1_3gpuE7ELNS1_3repE0EEENS1_38merge_mergepath_config_static_selectorELNS0_4arch9wavefront6targetE1EEEvSH_.has_indirect_call, 0
	.section	.AMDGPU.csdata,"",@progbits
; Kernel info:
; codeLenInByte = 0
; TotalNumSgprs: 4
; NumVgprs: 0
; ScratchSize: 0
; MemoryBound: 0
; FloatMode: 240
; IeeeMode: 1
; LDSByteSize: 0 bytes/workgroup (compile time only)
; SGPRBlocks: 0
; VGPRBlocks: 0
; NumSGPRsForWavesPerEU: 4
; NumVGPRsForWavesPerEU: 1
; Occupancy: 10
; WaveLimiterHint : 0
; COMPUTE_PGM_RSRC2:SCRATCH_EN: 0
; COMPUTE_PGM_RSRC2:USER_SGPR: 6
; COMPUTE_PGM_RSRC2:TRAP_HANDLER: 0
; COMPUTE_PGM_RSRC2:TGID_X_EN: 1
; COMPUTE_PGM_RSRC2:TGID_Y_EN: 0
; COMPUTE_PGM_RSRC2:TGID_Z_EN: 0
; COMPUTE_PGM_RSRC2:TIDIG_COMP_CNT: 0
	.section	.text._ZN7rocprim17ROCPRIM_400000_NS6detail17trampoline_kernelINS0_14default_configENS1_38merge_sort_block_merge_config_selectorIilEEZZNS1_27merge_sort_block_merge_implIS3_PiN6thrust23THRUST_200600_302600_NS10device_ptrIlEEjNS1_19radix_merge_compareILb0ELb0EiNS0_19identity_decomposerEEEEE10hipError_tT0_T1_T2_jT3_P12ihipStream_tbPNSt15iterator_traitsISG_E10value_typeEPNSM_ISH_E10value_typeEPSI_NS1_7vsmem_tEENKUlT_SG_SH_SI_E_clIS7_S7_SB_PlEESF_SV_SG_SH_SI_EUlSV_E0_NS1_11comp_targetILNS1_3genE2ELNS1_11target_archE906ELNS1_3gpuE6ELNS1_3repE0EEENS1_38merge_mergepath_config_static_selectorELNS0_4arch9wavefront6targetE1EEEvSH_,"axG",@progbits,_ZN7rocprim17ROCPRIM_400000_NS6detail17trampoline_kernelINS0_14default_configENS1_38merge_sort_block_merge_config_selectorIilEEZZNS1_27merge_sort_block_merge_implIS3_PiN6thrust23THRUST_200600_302600_NS10device_ptrIlEEjNS1_19radix_merge_compareILb0ELb0EiNS0_19identity_decomposerEEEEE10hipError_tT0_T1_T2_jT3_P12ihipStream_tbPNSt15iterator_traitsISG_E10value_typeEPNSM_ISH_E10value_typeEPSI_NS1_7vsmem_tEENKUlT_SG_SH_SI_E_clIS7_S7_SB_PlEESF_SV_SG_SH_SI_EUlSV_E0_NS1_11comp_targetILNS1_3genE2ELNS1_11target_archE906ELNS1_3gpuE6ELNS1_3repE0EEENS1_38merge_mergepath_config_static_selectorELNS0_4arch9wavefront6targetE1EEEvSH_,comdat
	.protected	_ZN7rocprim17ROCPRIM_400000_NS6detail17trampoline_kernelINS0_14default_configENS1_38merge_sort_block_merge_config_selectorIilEEZZNS1_27merge_sort_block_merge_implIS3_PiN6thrust23THRUST_200600_302600_NS10device_ptrIlEEjNS1_19radix_merge_compareILb0ELb0EiNS0_19identity_decomposerEEEEE10hipError_tT0_T1_T2_jT3_P12ihipStream_tbPNSt15iterator_traitsISG_E10value_typeEPNSM_ISH_E10value_typeEPSI_NS1_7vsmem_tEENKUlT_SG_SH_SI_E_clIS7_S7_SB_PlEESF_SV_SG_SH_SI_EUlSV_E0_NS1_11comp_targetILNS1_3genE2ELNS1_11target_archE906ELNS1_3gpuE6ELNS1_3repE0EEENS1_38merge_mergepath_config_static_selectorELNS0_4arch9wavefront6targetE1EEEvSH_ ; -- Begin function _ZN7rocprim17ROCPRIM_400000_NS6detail17trampoline_kernelINS0_14default_configENS1_38merge_sort_block_merge_config_selectorIilEEZZNS1_27merge_sort_block_merge_implIS3_PiN6thrust23THRUST_200600_302600_NS10device_ptrIlEEjNS1_19radix_merge_compareILb0ELb0EiNS0_19identity_decomposerEEEEE10hipError_tT0_T1_T2_jT3_P12ihipStream_tbPNSt15iterator_traitsISG_E10value_typeEPNSM_ISH_E10value_typeEPSI_NS1_7vsmem_tEENKUlT_SG_SH_SI_E_clIS7_S7_SB_PlEESF_SV_SG_SH_SI_EUlSV_E0_NS1_11comp_targetILNS1_3genE2ELNS1_11target_archE906ELNS1_3gpuE6ELNS1_3repE0EEENS1_38merge_mergepath_config_static_selectorELNS0_4arch9wavefront6targetE1EEEvSH_
	.globl	_ZN7rocprim17ROCPRIM_400000_NS6detail17trampoline_kernelINS0_14default_configENS1_38merge_sort_block_merge_config_selectorIilEEZZNS1_27merge_sort_block_merge_implIS3_PiN6thrust23THRUST_200600_302600_NS10device_ptrIlEEjNS1_19radix_merge_compareILb0ELb0EiNS0_19identity_decomposerEEEEE10hipError_tT0_T1_T2_jT3_P12ihipStream_tbPNSt15iterator_traitsISG_E10value_typeEPNSM_ISH_E10value_typeEPSI_NS1_7vsmem_tEENKUlT_SG_SH_SI_E_clIS7_S7_SB_PlEESF_SV_SG_SH_SI_EUlSV_E0_NS1_11comp_targetILNS1_3genE2ELNS1_11target_archE906ELNS1_3gpuE6ELNS1_3repE0EEENS1_38merge_mergepath_config_static_selectorELNS0_4arch9wavefront6targetE1EEEvSH_
	.p2align	8
	.type	_ZN7rocprim17ROCPRIM_400000_NS6detail17trampoline_kernelINS0_14default_configENS1_38merge_sort_block_merge_config_selectorIilEEZZNS1_27merge_sort_block_merge_implIS3_PiN6thrust23THRUST_200600_302600_NS10device_ptrIlEEjNS1_19radix_merge_compareILb0ELb0EiNS0_19identity_decomposerEEEEE10hipError_tT0_T1_T2_jT3_P12ihipStream_tbPNSt15iterator_traitsISG_E10value_typeEPNSM_ISH_E10value_typeEPSI_NS1_7vsmem_tEENKUlT_SG_SH_SI_E_clIS7_S7_SB_PlEESF_SV_SG_SH_SI_EUlSV_E0_NS1_11comp_targetILNS1_3genE2ELNS1_11target_archE906ELNS1_3gpuE6ELNS1_3repE0EEENS1_38merge_mergepath_config_static_selectorELNS0_4arch9wavefront6targetE1EEEvSH_,@function
_ZN7rocprim17ROCPRIM_400000_NS6detail17trampoline_kernelINS0_14default_configENS1_38merge_sort_block_merge_config_selectorIilEEZZNS1_27merge_sort_block_merge_implIS3_PiN6thrust23THRUST_200600_302600_NS10device_ptrIlEEjNS1_19radix_merge_compareILb0ELb0EiNS0_19identity_decomposerEEEEE10hipError_tT0_T1_T2_jT3_P12ihipStream_tbPNSt15iterator_traitsISG_E10value_typeEPNSM_ISH_E10value_typeEPSI_NS1_7vsmem_tEENKUlT_SG_SH_SI_E_clIS7_S7_SB_PlEESF_SV_SG_SH_SI_EUlSV_E0_NS1_11comp_targetILNS1_3genE2ELNS1_11target_archE906ELNS1_3gpuE6ELNS1_3repE0EEENS1_38merge_mergepath_config_static_selectorELNS0_4arch9wavefront6targetE1EEEvSH_: ; @_ZN7rocprim17ROCPRIM_400000_NS6detail17trampoline_kernelINS0_14default_configENS1_38merge_sort_block_merge_config_selectorIilEEZZNS1_27merge_sort_block_merge_implIS3_PiN6thrust23THRUST_200600_302600_NS10device_ptrIlEEjNS1_19radix_merge_compareILb0ELb0EiNS0_19identity_decomposerEEEEE10hipError_tT0_T1_T2_jT3_P12ihipStream_tbPNSt15iterator_traitsISG_E10value_typeEPNSM_ISH_E10value_typeEPSI_NS1_7vsmem_tEENKUlT_SG_SH_SI_E_clIS7_S7_SB_PlEESF_SV_SG_SH_SI_EUlSV_E0_NS1_11comp_targetILNS1_3genE2ELNS1_11target_archE906ELNS1_3gpuE6ELNS1_3repE0EEENS1_38merge_mergepath_config_static_selectorELNS0_4arch9wavefront6targetE1EEEvSH_
; %bb.0:
	s_load_dwordx2 s[22:23], s[4:5], 0x40
	s_load_dword s1, s[4:5], 0x30
	s_add_u32 s20, s4, 64
	s_addc_u32 s21, s5, 0
	s_waitcnt lgkmcnt(0)
	s_mul_i32 s0, s23, s8
	s_add_i32 s0, s0, s7
	s_mul_i32 s0, s0, s22
	s_add_i32 s0, s0, s6
	s_cmp_ge_u32 s0, s1
	s_cbranch_scc1 .LBB781_46
; %bb.1:
	s_load_dwordx8 s[8:15], s[4:5], 0x10
	s_load_dwordx2 s[26:27], s[4:5], 0x8
	s_load_dwordx2 s[2:3], s[4:5], 0x38
	s_mov_b32 s1, 0
	v_mov_b32_e32 v2, 0
	s_waitcnt lgkmcnt(0)
	s_lshr_b32 s30, s14, 10
	s_cmp_lg_u32 s0, s30
	s_cselect_b64 s[18:19], -1, 0
	s_lshl_b64 s[4:5], s[0:1], 2
	s_add_u32 s4, s2, s4
	s_addc_u32 s5, s3, s5
	s_load_dwordx2 s[2:3], s[4:5], 0x0
	s_lshr_b32 s4, s15, 9
	s_and_b32 s4, s4, 0x7ffffe
	s_sub_i32 s5, 0, s4
	s_and_b32 s4, s0, s5
	s_lshl_b32 s7, s4, 10
	s_lshl_b32 s16, s0, 10
	;; [unrolled: 1-line block ×3, first 2 shown]
	s_sub_i32 s17, s16, s7
	s_add_i32 s23, s4, s15
	s_add_i32 s17, s23, s17
	s_waitcnt lgkmcnt(0)
	s_sub_i32 s4, s17, s2
	s_sub_i32 s17, s17, s3
	;; [unrolled: 1-line block ×3, first 2 shown]
	s_min_u32 s4, s14, s4
	s_addk_i32 s17, 0x400
	s_or_b32 s5, s0, s5
	s_min_u32 s23, s14, s7
	s_add_i32 s7, s7, s15
	s_cmp_eq_u32 s5, -1
	s_cselect_b32 s3, s23, s3
	s_cselect_b32 s5, s7, s17
	s_sub_i32 s15, s3, s2
	s_mov_b32 s3, s1
	s_min_u32 s17, s5, s14
	s_lshl_b64 s[24:25], s[2:3], 2
	s_add_u32 s24, s26, s24
	s_mov_b32 s5, s1
	s_addc_u32 s25, s27, s25
	s_lshl_b64 s[28:29], s[4:5], 2
	s_add_u32 s23, s26, s28
	global_load_dword v1, v2, s[20:21] offset:14
	s_addc_u32 s26, s27, s29
	s_cmp_lt_u32 s6, s22
	s_cselect_b32 s1, 12, 18
	s_add_u32 s6, s20, s1
	s_addc_u32 s7, s21, 0
	global_load_ushort v3, v2, s[6:7]
	s_cmp_eq_u32 s0, s30
	v_lshlrev_b32_e32 v17, 2, v0
	s_waitcnt vmcnt(1)
	v_lshrrev_b32_e32 v4, 16, v1
	v_and_b32_e32 v1, 0xffff, v1
	v_mul_lo_u32 v1, v1, v4
	s_waitcnt vmcnt(0)
	v_mul_lo_u32 v19, v1, v3
	v_add_u32_e32 v15, v19, v0
	v_add_u32_e32 v13, v15, v19
	s_cbranch_scc1 .LBB781_3
; %bb.2:
	v_mov_b32_e32 v1, s25
	v_add_co_u32_e32 v5, vcc, s24, v17
	v_addc_co_u32_e32 v6, vcc, 0, v1, vcc
	v_subrev_co_u32_e32 v1, vcc, s15, v0
	v_lshlrev_b64 v[3:4], 2, v[1:2]
	v_mov_b32_e32 v1, s26
	v_add_co_u32_e64 v3, s[0:1], s23, v3
	v_addc_co_u32_e64 v1, s[0:1], v1, v4, s[0:1]
	v_cndmask_b32_e32 v4, v1, v6, vcc
	v_cndmask_b32_e32 v3, v3, v5, vcc
	v_mov_b32_e32 v16, v2
	global_load_dword v9, v[3:4], off
	v_lshlrev_b64 v[3:4], 2, v[15:16]
	v_mov_b32_e32 v1, s25
	v_add_co_u32_e32 v5, vcc, s24, v3
	v_addc_co_u32_e32 v6, vcc, v1, v4, vcc
	v_subrev_co_u32_e32 v1, vcc, s15, v15
	v_lshlrev_b64 v[3:4], 2, v[1:2]
	v_mov_b32_e32 v1, s26
	v_add_co_u32_e64 v3, s[0:1], s23, v3
	v_addc_co_u32_e64 v1, s[0:1], v1, v4, s[0:1]
	v_cndmask_b32_e32 v4, v1, v6, vcc
	v_cndmask_b32_e32 v3, v3, v5, vcc
	v_mov_b32_e32 v14, v2
	global_load_dword v10, v[3:4], off
	v_lshlrev_b64 v[3:4], 2, v[13:14]
	v_mov_b32_e32 v1, s25
	v_add_co_u32_e32 v3, vcc, s24, v3
	v_addc_co_u32_e32 v4, vcc, v1, v4, vcc
	v_subrev_co_u32_e32 v1, vcc, s15, v13
	v_lshlrev_b64 v[1:2], 2, v[1:2]
	v_mov_b32_e32 v5, s26
	v_add_co_u32_e64 v1, s[0:1], s23, v1
	v_addc_co_u32_e64 v2, s[0:1], v5, v2, s[0:1]
	v_cndmask_b32_e32 v2, v2, v4, vcc
	v_cndmask_b32_e32 v1, v1, v3, vcc
	global_load_dword v11, v[1:2], off
	v_add_u32_e32 v1, v13, v19
	s_mov_b64 s[0:1], -1
	s_sub_i32 s17, s17, s4
	s_cbranch_execz .LBB781_4
	s_branch .LBB781_9
.LBB781_3:
	s_mov_b64 s[0:1], 0
                                        ; implicit-def: $vgpr1
                                        ; implicit-def: $vgpr9_vgpr10_vgpr11_vgpr12
	s_sub_i32 s17, s17, s4
.LBB781_4:
	s_add_i32 s20, s17, s15
	s_waitcnt vmcnt(2)
	v_mov_b32_e32 v9, 0
	v_cmp_gt_u32_e32 vcc, s20, v0
	s_waitcnt vmcnt(1)
	v_mov_b32_e32 v10, v9
	s_waitcnt vmcnt(0)
	v_mov_b32_e32 v11, v9
	v_mov_b32_e32 v12, v9
	s_and_saveexec_b64 s[6:7], vcc
	s_cbranch_execnz .LBB781_47
; %bb.5:
	s_or_b64 exec, exec, s[6:7]
	v_cmp_gt_u32_e32 vcc, s20, v15
	s_and_saveexec_b64 s[6:7], vcc
	s_cbranch_execnz .LBB781_48
.LBB781_6:
	s_or_b64 exec, exec, s[6:7]
	v_cmp_gt_u32_e32 vcc, s20, v13
	s_and_saveexec_b64 s[6:7], vcc
	s_cbranch_execz .LBB781_8
.LBB781_7:
	v_mov_b32_e32 v14, 0
	v_lshlrev_b64 v[1:2], 2, v[13:14]
	v_mov_b32_e32 v3, s25
	v_add_co_u32_e32 v4, vcc, s24, v1
	v_addc_co_u32_e32 v3, vcc, v3, v2, vcc
	v_subrev_co_u32_e32 v1, vcc, s15, v13
	v_mov_b32_e32 v2, v14
	v_lshlrev_b64 v[1:2], 2, v[1:2]
	v_mov_b32_e32 v5, s26
	v_add_co_u32_e64 v1, s[0:1], s23, v1
	v_addc_co_u32_e64 v2, s[0:1], v5, v2, s[0:1]
	v_cndmask_b32_e32 v2, v2, v3, vcc
	v_cndmask_b32_e32 v1, v1, v4, vcc
	global_load_dword v11, v[1:2], off
.LBB781_8:
	s_or_b64 exec, exec, s[6:7]
	v_add_u32_e32 v1, v13, v19
	v_cmp_gt_u32_e64 s[0:1], s20, v1
.LBB781_9:
	s_and_saveexec_b64 s[6:7], s[0:1]
	s_cbranch_execz .LBB781_11
; %bb.10:
	v_mov_b32_e32 v2, 0
	v_lshlrev_b64 v[3:4], 2, v[1:2]
	v_mov_b32_e32 v5, s25
	v_add_co_u32_e32 v3, vcc, s24, v3
	v_addc_co_u32_e32 v4, vcc, v5, v4, vcc
	v_subrev_co_u32_e32 v1, vcc, s15, v1
	v_lshlrev_b64 v[1:2], 2, v[1:2]
	v_mov_b32_e32 v5, s26
	v_add_co_u32_e64 v1, s[0:1], s23, v1
	v_addc_co_u32_e64 v2, s[0:1], v5, v2, s[0:1]
	v_cndmask_b32_e32 v2, v2, v4, vcc
	v_cndmask_b32_e32 v1, v1, v3, vcc
	global_load_dword v12, v[1:2], off
.LBB781_11:
	s_or_b64 exec, exec, s[6:7]
	s_lshl_b64 s[0:1], s[2:3], 3
	s_add_u32 s6, s10, s0
	s_addc_u32 s7, s11, s1
	s_lshl_b64 s[0:1], s[4:5], 3
	s_add_u32 s4, s10, s0
	v_mov_b32_e32 v7, 0
	s_addc_u32 s5, s11, s1
	s_andn2_b64 vcc, exec, s[18:19]
	v_lshlrev_b32_e32 v18, 3, v0
	s_waitcnt vmcnt(0)
	ds_write2st64_b32 v17, v9, v10 offset1:4
	ds_write2st64_b32 v17, v11, v12 offset0:8 offset1:12
	s_cbranch_vccnz .LBB781_13
; %bb.12:
	v_mov_b32_e32 v1, s7
	v_add_co_u32_e32 v3, vcc, s6, v18
	v_addc_co_u32_e32 v4, vcc, 0, v1, vcc
	v_subrev_co_u32_e32 v6, vcc, s15, v0
	v_lshlrev_b64 v[1:2], 3, v[6:7]
	v_mov_b32_e32 v5, s5
	v_add_co_u32_e64 v1, s[0:1], s4, v1
	v_addc_co_u32_e64 v2, s[0:1], v5, v2, s[0:1]
	v_mov_b32_e32 v16, v7
	v_cndmask_b32_e32 v2, v2, v4, vcc
	v_cndmask_b32_e32 v1, v1, v3, vcc
	v_lshlrev_b64 v[3:4], 3, v[15:16]
	v_mov_b32_e32 v5, s7
	v_add_co_u32_e32 v8, vcc, s6, v3
	v_addc_co_u32_e32 v5, vcc, v5, v4, vcc
	v_subrev_co_u32_e32 v6, vcc, s15, v15
	v_lshlrev_b64 v[3:4], 3, v[6:7]
	v_mov_b32_e32 v6, s5
	v_add_co_u32_e64 v3, s[0:1], s4, v3
	v_addc_co_u32_e64 v4, s[0:1], v6, v4, s[0:1]
	v_mov_b32_e32 v14, v7
	v_cndmask_b32_e32 v4, v4, v5, vcc
	v_lshlrev_b64 v[5:6], 3, v[13:14]
	v_cndmask_b32_e32 v3, v3, v8, vcc
	v_mov_b32_e32 v8, s7
	v_add_co_u32_e32 v14, vcc, s6, v5
	v_addc_co_u32_e32 v8, vcc, v8, v6, vcc
	v_subrev_co_u32_e32 v6, vcc, s15, v13
	v_lshlrev_b64 v[5:6], 3, v[6:7]
	v_mov_b32_e32 v16, s5
	v_add_co_u32_e64 v5, s[0:1], s4, v5
	v_addc_co_u32_e64 v6, s[0:1], v16, v6, s[0:1]
	v_cndmask_b32_e32 v6, v6, v8, vcc
	v_cndmask_b32_e32 v5, v5, v14, vcc
	global_load_dwordx2 v[1:2], v[1:2], off
	s_add_i32 s10, s17, s15
	global_load_dwordx2 v[3:4], v[3:4], off
	v_mov_b32_e32 v8, v7
	global_load_dwordx2 v[5:6], v[5:6], off
	v_add_u32_e32 v14, v13, v19
	s_mov_b64 s[0:1], -1
	v_mov_b32_e32 v16, s10
	s_cbranch_execz .LBB781_14
	s_branch .LBB781_19
.LBB781_13:
	s_mov_b64 s[0:1], 0
                                        ; implicit-def: $vgpr14
                                        ; implicit-def: $vgpr1_vgpr2_vgpr3_vgpr4_vgpr5_vgpr6_vgpr7_vgpr8
                                        ; implicit-def: $vgpr16
.LBB781_14:
	s_add_i32 s10, s17, s15
	s_waitcnt vmcnt(2)
	v_mov_b32_e32 v1, 0
	v_cmp_gt_u32_e32 vcc, s10, v0
	v_mov_b32_e32 v2, v1
	s_waitcnt vmcnt(1)
	v_mov_b32_e32 v3, v1
	v_mov_b32_e32 v4, v1
	s_waitcnt vmcnt(0)
	v_mov_b32_e32 v5, v1
	v_mov_b32_e32 v6, v1
	;; [unrolled: 1-line block ×4, first 2 shown]
	s_and_saveexec_b64 s[2:3], vcc
	s_cbranch_execnz .LBB781_49
; %bb.15:
	s_or_b64 exec, exec, s[2:3]
	v_cmp_gt_u32_e32 vcc, s10, v15
	s_and_saveexec_b64 s[2:3], vcc
	s_cbranch_execnz .LBB781_50
.LBB781_16:
	s_or_b64 exec, exec, s[2:3]
	v_cmp_gt_u32_e32 vcc, s10, v13
	s_and_saveexec_b64 s[2:3], vcc
	s_cbranch_execz .LBB781_18
.LBB781_17:
	v_mov_b32_e32 v14, 0
	v_lshlrev_b64 v[5:6], 3, v[13:14]
	v_mov_b32_e32 v15, s7
	v_add_co_u32_e32 v16, vcc, s6, v5
	v_addc_co_u32_e32 v15, vcc, v15, v6, vcc
	v_subrev_co_u32_e32 v5, vcc, s15, v13
	v_mov_b32_e32 v6, v14
	v_lshlrev_b64 v[5:6], 3, v[5:6]
	v_mov_b32_e32 v14, s5
	v_add_co_u32_e64 v5, s[0:1], s4, v5
	v_addc_co_u32_e64 v6, s[0:1], v14, v6, s[0:1]
	v_cndmask_b32_e32 v6, v6, v15, vcc
	v_cndmask_b32_e32 v5, v5, v16, vcc
	global_load_dwordx2 v[5:6], v[5:6], off
.LBB781_18:
	s_or_b64 exec, exec, s[2:3]
	v_add_u32_e32 v14, v13, v19
	v_cmp_gt_u32_e64 s[0:1], s10, v14
	v_mov_b32_e32 v16, s10
.LBB781_19:
	s_and_saveexec_b64 s[2:3], s[0:1]
	s_cbranch_execz .LBB781_21
; %bb.20:
	v_mov_b32_e32 v8, 0
	v_mov_b32_e32 v15, v8
	v_lshlrev_b64 v[19:20], 3, v[14:15]
	v_mov_b32_e32 v7, s7
	v_add_co_u32_e32 v13, vcc, s6, v19
	v_addc_co_u32_e32 v15, vcc, v7, v20, vcc
	v_subrev_co_u32_e32 v7, vcc, s15, v14
	v_lshlrev_b64 v[7:8], 3, v[7:8]
	v_mov_b32_e32 v14, s5
	v_add_co_u32_e64 v7, s[0:1], s4, v7
	v_addc_co_u32_e64 v8, s[0:1], v14, v8, s[0:1]
	v_cndmask_b32_e32 v8, v8, v15, vcc
	v_cndmask_b32_e32 v7, v7, v13, vcc
	global_load_dwordx2 v[7:8], v[7:8], off
.LBB781_21:
	s_or_b64 exec, exec, s[2:3]
	v_min_u32_e32 v14, v16, v17
	v_sub_u32_e64 v13, v14, s17 clamp
	v_min_u32_e32 v15, s15, v14
	v_cmp_lt_u32_e32 vcc, v13, v15
	s_waitcnt vmcnt(0) lgkmcnt(0)
	s_barrier
	s_and_saveexec_b64 s[0:1], vcc
	s_cbranch_execz .LBB781_25
; %bb.22:
	v_lshlrev_b32_e32 v19, 2, v14
	v_lshl_add_u32 v19, s15, 2, v19
	s_mov_b64 s[2:3], 0
.LBB781_23:                             ; =>This Inner Loop Header: Depth=1
	v_add_u32_e32 v20, v15, v13
	v_lshrrev_b32_e32 v20, 1, v20
	v_not_b32_e32 v21, v20
	v_lshlrev_b32_e32 v22, 2, v20
	v_lshl_add_u32 v21, v21, 2, v19
	ds_read_b32 v22, v22
	ds_read_b32 v21, v21
	v_add_u32_e32 v23, 1, v20
	s_waitcnt lgkmcnt(0)
	v_cmp_gt_i32_e32 vcc, v22, v21
	v_cndmask_b32_e32 v15, v15, v20, vcc
	v_cndmask_b32_e32 v13, v23, v13, vcc
	v_cmp_ge_u32_e32 vcc, v13, v15
	s_or_b64 s[2:3], vcc, s[2:3]
	s_andn2_b64 exec, exec, s[2:3]
	s_cbranch_execnz .LBB781_23
; %bb.24:
	s_or_b64 exec, exec, s[2:3]
.LBB781_25:
	s_or_b64 exec, exec, s[0:1]
	v_sub_u32_e32 v14, v14, v13
	v_add_u32_e32 v20, s15, v14
	v_cmp_ge_u32_e32 vcc, s15, v13
	v_cmp_le_u32_e64 s[0:1], v20, v16
	s_or_b64 s[0:1], vcc, s[0:1]
	v_mov_b32_e32 v21, 0
	v_mov_b32_e32 v19, 0
	;; [unrolled: 1-line block ×4, first 2 shown]
	s_and_saveexec_b64 s[10:11], s[0:1]
	s_cbranch_execz .LBB781_31
; %bb.26:
	v_cmp_gt_u32_e32 vcc, s15, v13
                                        ; implicit-def: $vgpr9
	s_and_saveexec_b64 s[0:1], vcc
; %bb.27:
	v_lshlrev_b32_e32 v9, 2, v13
	ds_read_b32 v9, v9
; %bb.28:
	s_or_b64 exec, exec, s[0:1]
	v_cmp_ge_u32_e64 s[0:1], v20, v16
	v_cmp_lt_u32_e64 s[2:3], v20, v16
                                        ; implicit-def: $vgpr10
	s_and_saveexec_b64 s[4:5], s[2:3]
; %bb.29:
	v_lshlrev_b32_e32 v10, 2, v20
	ds_read_b32 v10, v10
; %bb.30:
	s_or_b64 exec, exec, s[4:5]
	s_waitcnt lgkmcnt(0)
	v_cmp_le_i32_e64 s[2:3], v9, v10
	s_and_b64 s[2:3], vcc, s[2:3]
	s_or_b64 vcc, s[0:1], s[2:3]
	v_mov_b32_e32 v11, s15
	v_cndmask_b32_e32 v14, v20, v13, vcc
	v_cndmask_b32_e32 v12, v16, v11, vcc
	v_add_u32_e32 v15, 1, v14
	v_add_u32_e32 v12, -1, v12
	v_min_u32_e32 v12, v15, v12
	v_lshlrev_b32_e32 v12, 2, v12
	ds_read_b32 v12, v12
	v_cndmask_b32_e32 v13, v13, v15, vcc
	v_cndmask_b32_e32 v19, v15, v20, vcc
	v_cmp_gt_u32_e64 s[2:3], s15, v13
	v_cmp_ge_u32_e64 s[0:1], v19, v16
	s_waitcnt lgkmcnt(0)
	v_cndmask_b32_e32 v21, v12, v10, vcc
	v_cndmask_b32_e32 v12, v9, v12, vcc
	v_cmp_le_i32_e64 s[4:5], v12, v21
	s_and_b64 s[2:3], s[2:3], s[4:5]
	s_or_b64 s[0:1], s[0:1], s[2:3]
	v_cndmask_b32_e64 v15, v19, v13, s[0:1]
	v_cndmask_b32_e64 v20, v16, v11, s[0:1]
	v_add_u32_e32 v22, 1, v15
	v_add_u32_e32 v20, -1, v20
	v_min_u32_e32 v20, v22, v20
	v_lshlrev_b32_e32 v20, 2, v20
	ds_read_b32 v20, v20
	v_cndmask_b32_e64 v13, v13, v22, s[0:1]
	v_cndmask_b32_e64 v24, v22, v19, s[0:1]
	v_cmp_gt_u32_e64 s[4:5], s15, v13
	v_cmp_ge_u32_e64 s[2:3], v24, v16
	s_waitcnt lgkmcnt(0)
	v_cndmask_b32_e64 v23, v20, v21, s[0:1]
	v_cndmask_b32_e64 v20, v12, v20, s[0:1]
	v_cmp_le_i32_e64 s[6:7], v20, v23
	s_and_b64 s[4:5], s[4:5], s[6:7]
	s_or_b64 s[2:3], s[2:3], s[4:5]
	v_cndmask_b32_e64 v19, v24, v13, s[2:3]
	v_cndmask_b32_e64 v11, v16, v11, s[2:3]
	v_add_u32_e32 v22, 1, v19
	v_add_u32_e32 v11, -1, v11
	v_min_u32_e32 v11, v22, v11
	v_lshlrev_b32_e32 v11, 2, v11
	ds_read_b32 v25, v11
	v_cndmask_b32_e32 v9, v10, v9, vcc
	v_cndmask_b32_e64 v10, v21, v12, s[0:1]
	v_cndmask_b32_e64 v11, v23, v20, s[2:3]
	;; [unrolled: 1-line block ×3, first 2 shown]
	s_waitcnt lgkmcnt(0)
	v_cndmask_b32_e64 v12, v25, v23, s[2:3]
	v_cndmask_b32_e64 v20, v20, v25, s[2:3]
	;; [unrolled: 1-line block ×3, first 2 shown]
	v_cmp_gt_u32_e64 s[0:1], s15, v13
	v_cmp_le_i32_e64 s[2:3], v20, v12
	v_cmp_ge_u32_e32 vcc, v21, v16
	s_and_b64 s[0:1], s[0:1], s[2:3]
	s_or_b64 vcc, vcc, s[0:1]
	v_cndmask_b32_e32 v21, v21, v13, vcc
	v_cndmask_b32_e32 v12, v12, v20, vcc
.LBB781_31:
	s_or_b64 exec, exec, s[10:11]
	v_add_u32_e32 v24, v17, v17
	s_barrier
	ds_write2st64_b64 v24, v[1:2], v[3:4] offset1:4
	ds_write2st64_b64 v24, v[5:6], v[7:8] offset0:8 offset1:12
	v_lshlrev_b32_e32 v1, 3, v14
	v_lshlrev_b32_e32 v2, 3, v15
	;; [unrolled: 1-line block ×4, first 2 shown]
	s_waitcnt lgkmcnt(0)
	s_barrier
	ds_read_b64 v[5:6], v1
	ds_read_b64 v[7:8], v2
	;; [unrolled: 1-line block ×4, first 2 shown]
	s_mov_b32 s17, 0
	s_lshl_b64 s[0:1], s[16:17], 2
	v_lshrrev_b32_e32 v13, 3, v0
	s_add_u32 s0, s8, s0
	v_add_u32_e32 v15, v13, v17
	s_addc_u32 s1, s9, s1
	v_lshlrev_b32_e32 v16, 2, v15
	s_waitcnt lgkmcnt(0)
	s_barrier
	s_barrier
	ds_write2_b32 v16, v9, v10 offset1:1
	ds_write2_b32 v16, v11, v12 offset0:2 offset1:3
	v_or_b32_e32 v23, 0x100, v0
	v_or_b32_e32 v22, 0x200, v0
	v_or_b32_e32 v21, 0x300, v0
	v_mov_b32_e32 v10, s1
	v_add_co_u32_e32 v9, vcc, s0, v17
	v_lshrrev_b32_e32 v13, 5, v0
	v_lshrrev_b32_e32 v11, 5, v23
	;; [unrolled: 1-line block ×4, first 2 shown]
	v_addc_co_u32_e32 v10, vcc, 0, v10, vcc
	v_lshl_add_u32 v14, v13, 2, v17
	v_lshl_add_u32 v25, v11, 2, v17
	;; [unrolled: 1-line block ×4, first 2 shown]
	s_and_b64 vcc, exec, s[18:19]
	v_lshl_add_u32 v17, v11, 3, v24
	v_lshl_add_u32 v19, v12, 3, v24
	;; [unrolled: 1-line block ×3, first 2 shown]
	s_waitcnt lgkmcnt(0)
	s_cbranch_vccz .LBB781_33
; %bb.32:
	s_barrier
	ds_read_b32 v11, v14
	ds_read_b32 v12, v25 offset:1024
	ds_read_b32 v28, v26 offset:2048
	;; [unrolled: 1-line block ×3, first 2 shown]
	s_lshl_b64 s[0:1], s[16:17], 3
	s_add_u32 s0, s12, s0
	s_waitcnt lgkmcnt(3)
	global_store_dword v[9:10], v11, off
	s_waitcnt lgkmcnt(2)
	global_store_dword v[9:10], v12, off offset:1024
	s_waitcnt lgkmcnt(1)
	global_store_dword v[9:10], v28, off offset:2048
	;; [unrolled: 2-line block ×3, first 2 shown]
	v_lshlrev_b32_e32 v11, 3, v15
	s_waitcnt vmcnt(0)
	s_barrier
	ds_write2_b64 v11, v[5:6], v[7:8] offset1:1
	ds_write2_b64 v11, v[1:2], v[3:4] offset0:2 offset1:3
	v_lshl_add_u32 v11, v13, 3, v24
	s_addc_u32 s1, s13, s1
	s_waitcnt lgkmcnt(0)
	s_barrier
	ds_read_b64 v[28:29], v11
	ds_read_b64 v[30:31], v17 offset:2048
	ds_read_b64 v[32:33], v19 offset:4096
	ds_read_b64 v[11:12], v20 offset:6144
	v_mov_b32_e32 v24, s1
	v_add_co_u32_e32 v34, vcc, s0, v18
	v_addc_co_u32_e32 v24, vcc, 0, v24, vcc
	s_waitcnt lgkmcnt(3)
	global_store_dwordx2 v18, v[28:29], s[0:1]
	s_waitcnt lgkmcnt(2)
	global_store_dwordx2 v18, v[30:31], s[0:1] offset:2048
	v_add_co_u32_e32 v28, vcc, 0x1000, v34
	v_addc_co_u32_e32 v29, vcc, 0, v24, vcc
	s_waitcnt lgkmcnt(1)
	global_store_dwordx2 v[28:29], v[32:33], off
	s_mov_b64 s[6:7], -1
	s_cbranch_execz .LBB781_34
	s_branch .LBB781_44
.LBB781_33:
	s_mov_b64 s[6:7], 0
                                        ; implicit-def: $vgpr11_vgpr12
.LBB781_34:
	s_waitcnt vmcnt(0) lgkmcnt(0)
	s_barrier
	ds_read_b32 v24, v25 offset:1024
	ds_read_b32 v12, v26 offset:2048
	;; [unrolled: 1-line block ×3, first 2 shown]
	s_sub_i32 s6, s14, s16
	v_cmp_gt_u32_e32 vcc, s6, v0
	s_and_saveexec_b64 s[0:1], vcc
	s_cbranch_execnz .LBB781_51
; %bb.35:
	s_or_b64 exec, exec, s[0:1]
	v_cmp_gt_u32_e64 s[0:1], s6, v23
	s_and_saveexec_b64 s[2:3], s[0:1]
	s_cbranch_execnz .LBB781_52
.LBB781_36:
	s_or_b64 exec, exec, s[2:3]
	v_cmp_gt_u32_e64 s[2:3], s6, v22
	s_and_saveexec_b64 s[4:5], s[2:3]
	s_cbranch_execnz .LBB781_53
.LBB781_37:
	s_or_b64 exec, exec, s[4:5]
	v_cmp_gt_u32_e64 s[6:7], s6, v21
	s_and_saveexec_b64 s[4:5], s[6:7]
	s_cbranch_execz .LBB781_39
.LBB781_38:
	s_waitcnt lgkmcnt(0)
	global_store_dword v[9:10], v11, off offset:3072
.LBB781_39:
	s_or_b64 exec, exec, s[4:5]
	v_lshl_add_u32 v9, v15, 2, v16
	s_waitcnt vmcnt(0) lgkmcnt(0)
	s_barrier
	ds_write2_b64 v9, v[5:6], v[7:8] offset1:1
	ds_write2_b64 v9, v[1:2], v[3:4] offset0:2 offset1:3
	s_waitcnt lgkmcnt(0)
	s_barrier
	ds_read_b64 v[5:6], v17 offset:2048
	ds_read_b64 v[1:2], v19 offset:4096
	;; [unrolled: 1-line block ×3, first 2 shown]
	s_lshl_b64 s[4:5], s[16:17], 3
	s_add_u32 s4, s12, s4
	s_addc_u32 s5, s13, s5
	v_mov_b32_e32 v4, s5
	v_add_co_u32_e64 v3, s[4:5], s4, v18
	v_addc_co_u32_e64 v4, s[4:5], 0, v4, s[4:5]
	s_and_saveexec_b64 s[4:5], vcc
	s_cbranch_execnz .LBB781_54
; %bb.40:
	s_or_b64 exec, exec, s[4:5]
	s_and_saveexec_b64 s[4:5], s[0:1]
	s_cbranch_execnz .LBB781_55
.LBB781_41:
	s_or_b64 exec, exec, s[4:5]
	s_and_saveexec_b64 s[0:1], s[2:3]
	s_cbranch_execz .LBB781_43
.LBB781_42:
	v_add_co_u32_e32 v3, vcc, 0x1000, v3
	v_addc_co_u32_e32 v4, vcc, 0, v4, vcc
	s_waitcnt lgkmcnt(1)
	global_store_dwordx2 v[3:4], v[1:2], off
.LBB781_43:
	s_or_b64 exec, exec, s[0:1]
.LBB781_44:
	s_and_saveexec_b64 s[0:1], s[6:7]
	s_cbranch_execz .LBB781_46
; %bb.45:
	s_lshl_b64 s[0:1], s[16:17], 3
	s_add_u32 s0, s12, s0
	s_addc_u32 s1, s13, s1
	v_mov_b32_e32 v0, s1
	s_waitcnt lgkmcnt(1)
	v_add_co_u32_e32 v1, vcc, s0, v18
	v_addc_co_u32_e32 v2, vcc, 0, v0, vcc
	v_add_co_u32_e32 v0, vcc, 0x1000, v1
	v_addc_co_u32_e32 v1, vcc, 0, v2, vcc
	s_waitcnt lgkmcnt(0)
	global_store_dwordx2 v[0:1], v[11:12], off offset:2048
.LBB781_46:
	s_endpgm
.LBB781_47:
	v_mov_b32_e32 v1, s25
	v_add_co_u32_e32 v3, vcc, s24, v17
	v_addc_co_u32_e32 v4, vcc, 0, v1, vcc
	v_subrev_co_u32_e32 v1, vcc, s15, v0
	v_mov_b32_e32 v2, v9
	v_lshlrev_b64 v[1:2], 2, v[1:2]
	v_mov_b32_e32 v5, s26
	v_add_co_u32_e64 v1, s[0:1], s23, v1
	v_addc_co_u32_e64 v2, s[0:1], v5, v2, s[0:1]
	v_cndmask_b32_e32 v2, v2, v4, vcc
	v_cndmask_b32_e32 v1, v1, v3, vcc
	global_load_dword v1, v[1:2], off
	v_mov_b32_e32 v4, v9
	v_mov_b32_e32 v2, v9
	;; [unrolled: 1-line block ×3, first 2 shown]
	s_waitcnt vmcnt(0)
	v_mov_b32_e32 v12, v4
	v_mov_b32_e32 v11, v3
	;; [unrolled: 1-line block ×4, first 2 shown]
	s_or_b64 exec, exec, s[6:7]
	v_cmp_gt_u32_e32 vcc, s20, v15
	s_and_saveexec_b64 s[6:7], vcc
	s_cbranch_execz .LBB781_6
.LBB781_48:
	v_mov_b32_e32 v16, 0
	v_lshlrev_b64 v[1:2], 2, v[15:16]
	v_mov_b32_e32 v3, s25
	v_add_co_u32_e32 v4, vcc, s24, v1
	v_addc_co_u32_e32 v3, vcc, v3, v2, vcc
	v_subrev_co_u32_e32 v1, vcc, s15, v15
	v_mov_b32_e32 v2, v16
	v_lshlrev_b64 v[1:2], 2, v[1:2]
	v_mov_b32_e32 v5, s26
	v_add_co_u32_e64 v1, s[0:1], s23, v1
	v_addc_co_u32_e64 v2, s[0:1], v5, v2, s[0:1]
	v_cndmask_b32_e32 v2, v2, v3, vcc
	v_cndmask_b32_e32 v1, v1, v4, vcc
	global_load_dword v10, v[1:2], off
	s_or_b64 exec, exec, s[6:7]
	v_cmp_gt_u32_e32 vcc, s20, v13
	s_and_saveexec_b64 s[6:7], vcc
	s_cbranch_execnz .LBB781_7
	s_branch .LBB781_8
.LBB781_49:
	v_mov_b32_e32 v2, s7
	v_add_co_u32_e32 v4, vcc, s6, v18
	v_addc_co_u32_e32 v5, vcc, 0, v2, vcc
	v_subrev_co_u32_e32 v2, vcc, s15, v0
	v_mov_b32_e32 v3, v1
	v_lshlrev_b64 v[2:3], 3, v[2:3]
	v_mov_b32_e32 v6, s5
	v_add_co_u32_e64 v2, s[0:1], s4, v2
	v_addc_co_u32_e64 v3, s[0:1], v6, v3, s[0:1]
	v_cndmask_b32_e32 v3, v3, v5, vcc
	v_cndmask_b32_e32 v2, v2, v4, vcc
	global_load_dwordx2 v[20:21], v[2:3], off
	v_mov_b32_e32 v22, v1
	v_mov_b32_e32 v23, v1
	;; [unrolled: 1-line block ×6, first 2 shown]
	s_waitcnt vmcnt(0)
	v_mov_b32_e32 v1, v20
	v_mov_b32_e32 v2, v21
	;; [unrolled: 1-line block ×8, first 2 shown]
	s_or_b64 exec, exec, s[2:3]
	v_cmp_gt_u32_e32 vcc, s10, v15
	s_and_saveexec_b64 s[2:3], vcc
	s_cbranch_execz .LBB781_16
.LBB781_50:
	v_mov_b32_e32 v16, 0
	v_lshlrev_b64 v[3:4], 3, v[15:16]
	v_mov_b32_e32 v14, s7
	v_add_co_u32_e32 v20, vcc, s6, v3
	v_addc_co_u32_e32 v14, vcc, v14, v4, vcc
	v_subrev_co_u32_e32 v15, vcc, s15, v15
	v_lshlrev_b64 v[3:4], 3, v[15:16]
	v_mov_b32_e32 v15, s5
	v_add_co_u32_e64 v3, s[0:1], s4, v3
	v_addc_co_u32_e64 v4, s[0:1], v15, v4, s[0:1]
	v_cndmask_b32_e32 v4, v4, v14, vcc
	v_cndmask_b32_e32 v3, v3, v20, vcc
	global_load_dwordx2 v[3:4], v[3:4], off
	s_or_b64 exec, exec, s[2:3]
	v_cmp_gt_u32_e32 vcc, s10, v13
	s_and_saveexec_b64 s[2:3], vcc
	s_cbranch_execnz .LBB781_17
	s_branch .LBB781_18
.LBB781_51:
	ds_read_b32 v25, v14
	s_waitcnt lgkmcnt(0)
	global_store_dword v[9:10], v25, off
	s_or_b64 exec, exec, s[0:1]
	v_cmp_gt_u32_e64 s[0:1], s6, v23
	s_and_saveexec_b64 s[2:3], s[0:1]
	s_cbranch_execz .LBB781_36
.LBB781_52:
	s_waitcnt lgkmcnt(2)
	global_store_dword v[9:10], v24, off offset:1024
	s_or_b64 exec, exec, s[2:3]
	v_cmp_gt_u32_e64 s[2:3], s6, v22
	s_and_saveexec_b64 s[4:5], s[2:3]
	s_cbranch_execz .LBB781_37
.LBB781_53:
	s_waitcnt lgkmcnt(1)
	global_store_dword v[9:10], v12, off offset:2048
	s_or_b64 exec, exec, s[4:5]
	v_cmp_gt_u32_e64 s[6:7], s6, v21
	s_and_saveexec_b64 s[4:5], s[6:7]
	s_cbranch_execnz .LBB781_38
	s_branch .LBB781_39
.LBB781_54:
	v_add_u32_e32 v0, v13, v0
	v_lshl_add_u32 v0, v0, 2, v14
	ds_read_b64 v[7:8], v0
	s_waitcnt lgkmcnt(0)
	global_store_dwordx2 v[3:4], v[7:8], off
	s_or_b64 exec, exec, s[4:5]
	s_and_saveexec_b64 s[4:5], s[0:1]
	s_cbranch_execz .LBB781_41
.LBB781_55:
	s_waitcnt lgkmcnt(2)
	global_store_dwordx2 v[3:4], v[5:6], off offset:2048
	s_or_b64 exec, exec, s[4:5]
	s_and_saveexec_b64 s[0:1], s[2:3]
	s_cbranch_execnz .LBB781_42
	s_branch .LBB781_43
	.section	.rodata,"a",@progbits
	.p2align	6, 0x0
	.amdhsa_kernel _ZN7rocprim17ROCPRIM_400000_NS6detail17trampoline_kernelINS0_14default_configENS1_38merge_sort_block_merge_config_selectorIilEEZZNS1_27merge_sort_block_merge_implIS3_PiN6thrust23THRUST_200600_302600_NS10device_ptrIlEEjNS1_19radix_merge_compareILb0ELb0EiNS0_19identity_decomposerEEEEE10hipError_tT0_T1_T2_jT3_P12ihipStream_tbPNSt15iterator_traitsISG_E10value_typeEPNSM_ISH_E10value_typeEPSI_NS1_7vsmem_tEENKUlT_SG_SH_SI_E_clIS7_S7_SB_PlEESF_SV_SG_SH_SI_EUlSV_E0_NS1_11comp_targetILNS1_3genE2ELNS1_11target_archE906ELNS1_3gpuE6ELNS1_3repE0EEENS1_38merge_mergepath_config_static_selectorELNS0_4arch9wavefront6targetE1EEEvSH_
		.amdhsa_group_segment_fixed_size 8448
		.amdhsa_private_segment_fixed_size 0
		.amdhsa_kernarg_size 320
		.amdhsa_user_sgpr_count 6
		.amdhsa_user_sgpr_private_segment_buffer 1
		.amdhsa_user_sgpr_dispatch_ptr 0
		.amdhsa_user_sgpr_queue_ptr 0
		.amdhsa_user_sgpr_kernarg_segment_ptr 1
		.amdhsa_user_sgpr_dispatch_id 0
		.amdhsa_user_sgpr_flat_scratch_init 0
		.amdhsa_user_sgpr_private_segment_size 0
		.amdhsa_uses_dynamic_stack 0
		.amdhsa_system_sgpr_private_segment_wavefront_offset 0
		.amdhsa_system_sgpr_workgroup_id_x 1
		.amdhsa_system_sgpr_workgroup_id_y 1
		.amdhsa_system_sgpr_workgroup_id_z 1
		.amdhsa_system_sgpr_workgroup_info 0
		.amdhsa_system_vgpr_workitem_id 0
		.amdhsa_next_free_vgpr 35
		.amdhsa_next_free_sgpr 77
		.amdhsa_reserve_vcc 1
		.amdhsa_reserve_flat_scratch 0
		.amdhsa_float_round_mode_32 0
		.amdhsa_float_round_mode_16_64 0
		.amdhsa_float_denorm_mode_32 3
		.amdhsa_float_denorm_mode_16_64 3
		.amdhsa_dx10_clamp 1
		.amdhsa_ieee_mode 1
		.amdhsa_fp16_overflow 0
		.amdhsa_exception_fp_ieee_invalid_op 0
		.amdhsa_exception_fp_denorm_src 0
		.amdhsa_exception_fp_ieee_div_zero 0
		.amdhsa_exception_fp_ieee_overflow 0
		.amdhsa_exception_fp_ieee_underflow 0
		.amdhsa_exception_fp_ieee_inexact 0
		.amdhsa_exception_int_div_zero 0
	.end_amdhsa_kernel
	.section	.text._ZN7rocprim17ROCPRIM_400000_NS6detail17trampoline_kernelINS0_14default_configENS1_38merge_sort_block_merge_config_selectorIilEEZZNS1_27merge_sort_block_merge_implIS3_PiN6thrust23THRUST_200600_302600_NS10device_ptrIlEEjNS1_19radix_merge_compareILb0ELb0EiNS0_19identity_decomposerEEEEE10hipError_tT0_T1_T2_jT3_P12ihipStream_tbPNSt15iterator_traitsISG_E10value_typeEPNSM_ISH_E10value_typeEPSI_NS1_7vsmem_tEENKUlT_SG_SH_SI_E_clIS7_S7_SB_PlEESF_SV_SG_SH_SI_EUlSV_E0_NS1_11comp_targetILNS1_3genE2ELNS1_11target_archE906ELNS1_3gpuE6ELNS1_3repE0EEENS1_38merge_mergepath_config_static_selectorELNS0_4arch9wavefront6targetE1EEEvSH_,"axG",@progbits,_ZN7rocprim17ROCPRIM_400000_NS6detail17trampoline_kernelINS0_14default_configENS1_38merge_sort_block_merge_config_selectorIilEEZZNS1_27merge_sort_block_merge_implIS3_PiN6thrust23THRUST_200600_302600_NS10device_ptrIlEEjNS1_19radix_merge_compareILb0ELb0EiNS0_19identity_decomposerEEEEE10hipError_tT0_T1_T2_jT3_P12ihipStream_tbPNSt15iterator_traitsISG_E10value_typeEPNSM_ISH_E10value_typeEPSI_NS1_7vsmem_tEENKUlT_SG_SH_SI_E_clIS7_S7_SB_PlEESF_SV_SG_SH_SI_EUlSV_E0_NS1_11comp_targetILNS1_3genE2ELNS1_11target_archE906ELNS1_3gpuE6ELNS1_3repE0EEENS1_38merge_mergepath_config_static_selectorELNS0_4arch9wavefront6targetE1EEEvSH_,comdat
.Lfunc_end781:
	.size	_ZN7rocprim17ROCPRIM_400000_NS6detail17trampoline_kernelINS0_14default_configENS1_38merge_sort_block_merge_config_selectorIilEEZZNS1_27merge_sort_block_merge_implIS3_PiN6thrust23THRUST_200600_302600_NS10device_ptrIlEEjNS1_19radix_merge_compareILb0ELb0EiNS0_19identity_decomposerEEEEE10hipError_tT0_T1_T2_jT3_P12ihipStream_tbPNSt15iterator_traitsISG_E10value_typeEPNSM_ISH_E10value_typeEPSI_NS1_7vsmem_tEENKUlT_SG_SH_SI_E_clIS7_S7_SB_PlEESF_SV_SG_SH_SI_EUlSV_E0_NS1_11comp_targetILNS1_3genE2ELNS1_11target_archE906ELNS1_3gpuE6ELNS1_3repE0EEENS1_38merge_mergepath_config_static_selectorELNS0_4arch9wavefront6targetE1EEEvSH_, .Lfunc_end781-_ZN7rocprim17ROCPRIM_400000_NS6detail17trampoline_kernelINS0_14default_configENS1_38merge_sort_block_merge_config_selectorIilEEZZNS1_27merge_sort_block_merge_implIS3_PiN6thrust23THRUST_200600_302600_NS10device_ptrIlEEjNS1_19radix_merge_compareILb0ELb0EiNS0_19identity_decomposerEEEEE10hipError_tT0_T1_T2_jT3_P12ihipStream_tbPNSt15iterator_traitsISG_E10value_typeEPNSM_ISH_E10value_typeEPSI_NS1_7vsmem_tEENKUlT_SG_SH_SI_E_clIS7_S7_SB_PlEESF_SV_SG_SH_SI_EUlSV_E0_NS1_11comp_targetILNS1_3genE2ELNS1_11target_archE906ELNS1_3gpuE6ELNS1_3repE0EEENS1_38merge_mergepath_config_static_selectorELNS0_4arch9wavefront6targetE1EEEvSH_
                                        ; -- End function
	.set _ZN7rocprim17ROCPRIM_400000_NS6detail17trampoline_kernelINS0_14default_configENS1_38merge_sort_block_merge_config_selectorIilEEZZNS1_27merge_sort_block_merge_implIS3_PiN6thrust23THRUST_200600_302600_NS10device_ptrIlEEjNS1_19radix_merge_compareILb0ELb0EiNS0_19identity_decomposerEEEEE10hipError_tT0_T1_T2_jT3_P12ihipStream_tbPNSt15iterator_traitsISG_E10value_typeEPNSM_ISH_E10value_typeEPSI_NS1_7vsmem_tEENKUlT_SG_SH_SI_E_clIS7_S7_SB_PlEESF_SV_SG_SH_SI_EUlSV_E0_NS1_11comp_targetILNS1_3genE2ELNS1_11target_archE906ELNS1_3gpuE6ELNS1_3repE0EEENS1_38merge_mergepath_config_static_selectorELNS0_4arch9wavefront6targetE1EEEvSH_.num_vgpr, 35
	.set _ZN7rocprim17ROCPRIM_400000_NS6detail17trampoline_kernelINS0_14default_configENS1_38merge_sort_block_merge_config_selectorIilEEZZNS1_27merge_sort_block_merge_implIS3_PiN6thrust23THRUST_200600_302600_NS10device_ptrIlEEjNS1_19radix_merge_compareILb0ELb0EiNS0_19identity_decomposerEEEEE10hipError_tT0_T1_T2_jT3_P12ihipStream_tbPNSt15iterator_traitsISG_E10value_typeEPNSM_ISH_E10value_typeEPSI_NS1_7vsmem_tEENKUlT_SG_SH_SI_E_clIS7_S7_SB_PlEESF_SV_SG_SH_SI_EUlSV_E0_NS1_11comp_targetILNS1_3genE2ELNS1_11target_archE906ELNS1_3gpuE6ELNS1_3repE0EEENS1_38merge_mergepath_config_static_selectorELNS0_4arch9wavefront6targetE1EEEvSH_.num_agpr, 0
	.set _ZN7rocprim17ROCPRIM_400000_NS6detail17trampoline_kernelINS0_14default_configENS1_38merge_sort_block_merge_config_selectorIilEEZZNS1_27merge_sort_block_merge_implIS3_PiN6thrust23THRUST_200600_302600_NS10device_ptrIlEEjNS1_19radix_merge_compareILb0ELb0EiNS0_19identity_decomposerEEEEE10hipError_tT0_T1_T2_jT3_P12ihipStream_tbPNSt15iterator_traitsISG_E10value_typeEPNSM_ISH_E10value_typeEPSI_NS1_7vsmem_tEENKUlT_SG_SH_SI_E_clIS7_S7_SB_PlEESF_SV_SG_SH_SI_EUlSV_E0_NS1_11comp_targetILNS1_3genE2ELNS1_11target_archE906ELNS1_3gpuE6ELNS1_3repE0EEENS1_38merge_mergepath_config_static_selectorELNS0_4arch9wavefront6targetE1EEEvSH_.numbered_sgpr, 31
	.set _ZN7rocprim17ROCPRIM_400000_NS6detail17trampoline_kernelINS0_14default_configENS1_38merge_sort_block_merge_config_selectorIilEEZZNS1_27merge_sort_block_merge_implIS3_PiN6thrust23THRUST_200600_302600_NS10device_ptrIlEEjNS1_19radix_merge_compareILb0ELb0EiNS0_19identity_decomposerEEEEE10hipError_tT0_T1_T2_jT3_P12ihipStream_tbPNSt15iterator_traitsISG_E10value_typeEPNSM_ISH_E10value_typeEPSI_NS1_7vsmem_tEENKUlT_SG_SH_SI_E_clIS7_S7_SB_PlEESF_SV_SG_SH_SI_EUlSV_E0_NS1_11comp_targetILNS1_3genE2ELNS1_11target_archE906ELNS1_3gpuE6ELNS1_3repE0EEENS1_38merge_mergepath_config_static_selectorELNS0_4arch9wavefront6targetE1EEEvSH_.num_named_barrier, 0
	.set _ZN7rocprim17ROCPRIM_400000_NS6detail17trampoline_kernelINS0_14default_configENS1_38merge_sort_block_merge_config_selectorIilEEZZNS1_27merge_sort_block_merge_implIS3_PiN6thrust23THRUST_200600_302600_NS10device_ptrIlEEjNS1_19radix_merge_compareILb0ELb0EiNS0_19identity_decomposerEEEEE10hipError_tT0_T1_T2_jT3_P12ihipStream_tbPNSt15iterator_traitsISG_E10value_typeEPNSM_ISH_E10value_typeEPSI_NS1_7vsmem_tEENKUlT_SG_SH_SI_E_clIS7_S7_SB_PlEESF_SV_SG_SH_SI_EUlSV_E0_NS1_11comp_targetILNS1_3genE2ELNS1_11target_archE906ELNS1_3gpuE6ELNS1_3repE0EEENS1_38merge_mergepath_config_static_selectorELNS0_4arch9wavefront6targetE1EEEvSH_.private_seg_size, 0
	.set _ZN7rocprim17ROCPRIM_400000_NS6detail17trampoline_kernelINS0_14default_configENS1_38merge_sort_block_merge_config_selectorIilEEZZNS1_27merge_sort_block_merge_implIS3_PiN6thrust23THRUST_200600_302600_NS10device_ptrIlEEjNS1_19radix_merge_compareILb0ELb0EiNS0_19identity_decomposerEEEEE10hipError_tT0_T1_T2_jT3_P12ihipStream_tbPNSt15iterator_traitsISG_E10value_typeEPNSM_ISH_E10value_typeEPSI_NS1_7vsmem_tEENKUlT_SG_SH_SI_E_clIS7_S7_SB_PlEESF_SV_SG_SH_SI_EUlSV_E0_NS1_11comp_targetILNS1_3genE2ELNS1_11target_archE906ELNS1_3gpuE6ELNS1_3repE0EEENS1_38merge_mergepath_config_static_selectorELNS0_4arch9wavefront6targetE1EEEvSH_.uses_vcc, 1
	.set _ZN7rocprim17ROCPRIM_400000_NS6detail17trampoline_kernelINS0_14default_configENS1_38merge_sort_block_merge_config_selectorIilEEZZNS1_27merge_sort_block_merge_implIS3_PiN6thrust23THRUST_200600_302600_NS10device_ptrIlEEjNS1_19radix_merge_compareILb0ELb0EiNS0_19identity_decomposerEEEEE10hipError_tT0_T1_T2_jT3_P12ihipStream_tbPNSt15iterator_traitsISG_E10value_typeEPNSM_ISH_E10value_typeEPSI_NS1_7vsmem_tEENKUlT_SG_SH_SI_E_clIS7_S7_SB_PlEESF_SV_SG_SH_SI_EUlSV_E0_NS1_11comp_targetILNS1_3genE2ELNS1_11target_archE906ELNS1_3gpuE6ELNS1_3repE0EEENS1_38merge_mergepath_config_static_selectorELNS0_4arch9wavefront6targetE1EEEvSH_.uses_flat_scratch, 0
	.set _ZN7rocprim17ROCPRIM_400000_NS6detail17trampoline_kernelINS0_14default_configENS1_38merge_sort_block_merge_config_selectorIilEEZZNS1_27merge_sort_block_merge_implIS3_PiN6thrust23THRUST_200600_302600_NS10device_ptrIlEEjNS1_19radix_merge_compareILb0ELb0EiNS0_19identity_decomposerEEEEE10hipError_tT0_T1_T2_jT3_P12ihipStream_tbPNSt15iterator_traitsISG_E10value_typeEPNSM_ISH_E10value_typeEPSI_NS1_7vsmem_tEENKUlT_SG_SH_SI_E_clIS7_S7_SB_PlEESF_SV_SG_SH_SI_EUlSV_E0_NS1_11comp_targetILNS1_3genE2ELNS1_11target_archE906ELNS1_3gpuE6ELNS1_3repE0EEENS1_38merge_mergepath_config_static_selectorELNS0_4arch9wavefront6targetE1EEEvSH_.has_dyn_sized_stack, 0
	.set _ZN7rocprim17ROCPRIM_400000_NS6detail17trampoline_kernelINS0_14default_configENS1_38merge_sort_block_merge_config_selectorIilEEZZNS1_27merge_sort_block_merge_implIS3_PiN6thrust23THRUST_200600_302600_NS10device_ptrIlEEjNS1_19radix_merge_compareILb0ELb0EiNS0_19identity_decomposerEEEEE10hipError_tT0_T1_T2_jT3_P12ihipStream_tbPNSt15iterator_traitsISG_E10value_typeEPNSM_ISH_E10value_typeEPSI_NS1_7vsmem_tEENKUlT_SG_SH_SI_E_clIS7_S7_SB_PlEESF_SV_SG_SH_SI_EUlSV_E0_NS1_11comp_targetILNS1_3genE2ELNS1_11target_archE906ELNS1_3gpuE6ELNS1_3repE0EEENS1_38merge_mergepath_config_static_selectorELNS0_4arch9wavefront6targetE1EEEvSH_.has_recursion, 0
	.set _ZN7rocprim17ROCPRIM_400000_NS6detail17trampoline_kernelINS0_14default_configENS1_38merge_sort_block_merge_config_selectorIilEEZZNS1_27merge_sort_block_merge_implIS3_PiN6thrust23THRUST_200600_302600_NS10device_ptrIlEEjNS1_19radix_merge_compareILb0ELb0EiNS0_19identity_decomposerEEEEE10hipError_tT0_T1_T2_jT3_P12ihipStream_tbPNSt15iterator_traitsISG_E10value_typeEPNSM_ISH_E10value_typeEPSI_NS1_7vsmem_tEENKUlT_SG_SH_SI_E_clIS7_S7_SB_PlEESF_SV_SG_SH_SI_EUlSV_E0_NS1_11comp_targetILNS1_3genE2ELNS1_11target_archE906ELNS1_3gpuE6ELNS1_3repE0EEENS1_38merge_mergepath_config_static_selectorELNS0_4arch9wavefront6targetE1EEEvSH_.has_indirect_call, 0
	.section	.AMDGPU.csdata,"",@progbits
; Kernel info:
; codeLenInByte = 3460
; TotalNumSgprs: 35
; NumVgprs: 35
; ScratchSize: 0
; MemoryBound: 0
; FloatMode: 240
; IeeeMode: 1
; LDSByteSize: 8448 bytes/workgroup (compile time only)
; SGPRBlocks: 10
; VGPRBlocks: 8
; NumSGPRsForWavesPerEU: 81
; NumVGPRsForWavesPerEU: 35
; Occupancy: 7
; WaveLimiterHint : 1
; COMPUTE_PGM_RSRC2:SCRATCH_EN: 0
; COMPUTE_PGM_RSRC2:USER_SGPR: 6
; COMPUTE_PGM_RSRC2:TRAP_HANDLER: 0
; COMPUTE_PGM_RSRC2:TGID_X_EN: 1
; COMPUTE_PGM_RSRC2:TGID_Y_EN: 1
; COMPUTE_PGM_RSRC2:TGID_Z_EN: 1
; COMPUTE_PGM_RSRC2:TIDIG_COMP_CNT: 0
	.section	.text._ZN7rocprim17ROCPRIM_400000_NS6detail17trampoline_kernelINS0_14default_configENS1_38merge_sort_block_merge_config_selectorIilEEZZNS1_27merge_sort_block_merge_implIS3_PiN6thrust23THRUST_200600_302600_NS10device_ptrIlEEjNS1_19radix_merge_compareILb0ELb0EiNS0_19identity_decomposerEEEEE10hipError_tT0_T1_T2_jT3_P12ihipStream_tbPNSt15iterator_traitsISG_E10value_typeEPNSM_ISH_E10value_typeEPSI_NS1_7vsmem_tEENKUlT_SG_SH_SI_E_clIS7_S7_SB_PlEESF_SV_SG_SH_SI_EUlSV_E0_NS1_11comp_targetILNS1_3genE9ELNS1_11target_archE1100ELNS1_3gpuE3ELNS1_3repE0EEENS1_38merge_mergepath_config_static_selectorELNS0_4arch9wavefront6targetE1EEEvSH_,"axG",@progbits,_ZN7rocprim17ROCPRIM_400000_NS6detail17trampoline_kernelINS0_14default_configENS1_38merge_sort_block_merge_config_selectorIilEEZZNS1_27merge_sort_block_merge_implIS3_PiN6thrust23THRUST_200600_302600_NS10device_ptrIlEEjNS1_19radix_merge_compareILb0ELb0EiNS0_19identity_decomposerEEEEE10hipError_tT0_T1_T2_jT3_P12ihipStream_tbPNSt15iterator_traitsISG_E10value_typeEPNSM_ISH_E10value_typeEPSI_NS1_7vsmem_tEENKUlT_SG_SH_SI_E_clIS7_S7_SB_PlEESF_SV_SG_SH_SI_EUlSV_E0_NS1_11comp_targetILNS1_3genE9ELNS1_11target_archE1100ELNS1_3gpuE3ELNS1_3repE0EEENS1_38merge_mergepath_config_static_selectorELNS0_4arch9wavefront6targetE1EEEvSH_,comdat
	.protected	_ZN7rocprim17ROCPRIM_400000_NS6detail17trampoline_kernelINS0_14default_configENS1_38merge_sort_block_merge_config_selectorIilEEZZNS1_27merge_sort_block_merge_implIS3_PiN6thrust23THRUST_200600_302600_NS10device_ptrIlEEjNS1_19radix_merge_compareILb0ELb0EiNS0_19identity_decomposerEEEEE10hipError_tT0_T1_T2_jT3_P12ihipStream_tbPNSt15iterator_traitsISG_E10value_typeEPNSM_ISH_E10value_typeEPSI_NS1_7vsmem_tEENKUlT_SG_SH_SI_E_clIS7_S7_SB_PlEESF_SV_SG_SH_SI_EUlSV_E0_NS1_11comp_targetILNS1_3genE9ELNS1_11target_archE1100ELNS1_3gpuE3ELNS1_3repE0EEENS1_38merge_mergepath_config_static_selectorELNS0_4arch9wavefront6targetE1EEEvSH_ ; -- Begin function _ZN7rocprim17ROCPRIM_400000_NS6detail17trampoline_kernelINS0_14default_configENS1_38merge_sort_block_merge_config_selectorIilEEZZNS1_27merge_sort_block_merge_implIS3_PiN6thrust23THRUST_200600_302600_NS10device_ptrIlEEjNS1_19radix_merge_compareILb0ELb0EiNS0_19identity_decomposerEEEEE10hipError_tT0_T1_T2_jT3_P12ihipStream_tbPNSt15iterator_traitsISG_E10value_typeEPNSM_ISH_E10value_typeEPSI_NS1_7vsmem_tEENKUlT_SG_SH_SI_E_clIS7_S7_SB_PlEESF_SV_SG_SH_SI_EUlSV_E0_NS1_11comp_targetILNS1_3genE9ELNS1_11target_archE1100ELNS1_3gpuE3ELNS1_3repE0EEENS1_38merge_mergepath_config_static_selectorELNS0_4arch9wavefront6targetE1EEEvSH_
	.globl	_ZN7rocprim17ROCPRIM_400000_NS6detail17trampoline_kernelINS0_14default_configENS1_38merge_sort_block_merge_config_selectorIilEEZZNS1_27merge_sort_block_merge_implIS3_PiN6thrust23THRUST_200600_302600_NS10device_ptrIlEEjNS1_19radix_merge_compareILb0ELb0EiNS0_19identity_decomposerEEEEE10hipError_tT0_T1_T2_jT3_P12ihipStream_tbPNSt15iterator_traitsISG_E10value_typeEPNSM_ISH_E10value_typeEPSI_NS1_7vsmem_tEENKUlT_SG_SH_SI_E_clIS7_S7_SB_PlEESF_SV_SG_SH_SI_EUlSV_E0_NS1_11comp_targetILNS1_3genE9ELNS1_11target_archE1100ELNS1_3gpuE3ELNS1_3repE0EEENS1_38merge_mergepath_config_static_selectorELNS0_4arch9wavefront6targetE1EEEvSH_
	.p2align	8
	.type	_ZN7rocprim17ROCPRIM_400000_NS6detail17trampoline_kernelINS0_14default_configENS1_38merge_sort_block_merge_config_selectorIilEEZZNS1_27merge_sort_block_merge_implIS3_PiN6thrust23THRUST_200600_302600_NS10device_ptrIlEEjNS1_19radix_merge_compareILb0ELb0EiNS0_19identity_decomposerEEEEE10hipError_tT0_T1_T2_jT3_P12ihipStream_tbPNSt15iterator_traitsISG_E10value_typeEPNSM_ISH_E10value_typeEPSI_NS1_7vsmem_tEENKUlT_SG_SH_SI_E_clIS7_S7_SB_PlEESF_SV_SG_SH_SI_EUlSV_E0_NS1_11comp_targetILNS1_3genE9ELNS1_11target_archE1100ELNS1_3gpuE3ELNS1_3repE0EEENS1_38merge_mergepath_config_static_selectorELNS0_4arch9wavefront6targetE1EEEvSH_,@function
_ZN7rocprim17ROCPRIM_400000_NS6detail17trampoline_kernelINS0_14default_configENS1_38merge_sort_block_merge_config_selectorIilEEZZNS1_27merge_sort_block_merge_implIS3_PiN6thrust23THRUST_200600_302600_NS10device_ptrIlEEjNS1_19radix_merge_compareILb0ELb0EiNS0_19identity_decomposerEEEEE10hipError_tT0_T1_T2_jT3_P12ihipStream_tbPNSt15iterator_traitsISG_E10value_typeEPNSM_ISH_E10value_typeEPSI_NS1_7vsmem_tEENKUlT_SG_SH_SI_E_clIS7_S7_SB_PlEESF_SV_SG_SH_SI_EUlSV_E0_NS1_11comp_targetILNS1_3genE9ELNS1_11target_archE1100ELNS1_3gpuE3ELNS1_3repE0EEENS1_38merge_mergepath_config_static_selectorELNS0_4arch9wavefront6targetE1EEEvSH_: ; @_ZN7rocprim17ROCPRIM_400000_NS6detail17trampoline_kernelINS0_14default_configENS1_38merge_sort_block_merge_config_selectorIilEEZZNS1_27merge_sort_block_merge_implIS3_PiN6thrust23THRUST_200600_302600_NS10device_ptrIlEEjNS1_19radix_merge_compareILb0ELb0EiNS0_19identity_decomposerEEEEE10hipError_tT0_T1_T2_jT3_P12ihipStream_tbPNSt15iterator_traitsISG_E10value_typeEPNSM_ISH_E10value_typeEPSI_NS1_7vsmem_tEENKUlT_SG_SH_SI_E_clIS7_S7_SB_PlEESF_SV_SG_SH_SI_EUlSV_E0_NS1_11comp_targetILNS1_3genE9ELNS1_11target_archE1100ELNS1_3gpuE3ELNS1_3repE0EEENS1_38merge_mergepath_config_static_selectorELNS0_4arch9wavefront6targetE1EEEvSH_
; %bb.0:
	.section	.rodata,"a",@progbits
	.p2align	6, 0x0
	.amdhsa_kernel _ZN7rocprim17ROCPRIM_400000_NS6detail17trampoline_kernelINS0_14default_configENS1_38merge_sort_block_merge_config_selectorIilEEZZNS1_27merge_sort_block_merge_implIS3_PiN6thrust23THRUST_200600_302600_NS10device_ptrIlEEjNS1_19radix_merge_compareILb0ELb0EiNS0_19identity_decomposerEEEEE10hipError_tT0_T1_T2_jT3_P12ihipStream_tbPNSt15iterator_traitsISG_E10value_typeEPNSM_ISH_E10value_typeEPSI_NS1_7vsmem_tEENKUlT_SG_SH_SI_E_clIS7_S7_SB_PlEESF_SV_SG_SH_SI_EUlSV_E0_NS1_11comp_targetILNS1_3genE9ELNS1_11target_archE1100ELNS1_3gpuE3ELNS1_3repE0EEENS1_38merge_mergepath_config_static_selectorELNS0_4arch9wavefront6targetE1EEEvSH_
		.amdhsa_group_segment_fixed_size 0
		.amdhsa_private_segment_fixed_size 0
		.amdhsa_kernarg_size 64
		.amdhsa_user_sgpr_count 6
		.amdhsa_user_sgpr_private_segment_buffer 1
		.amdhsa_user_sgpr_dispatch_ptr 0
		.amdhsa_user_sgpr_queue_ptr 0
		.amdhsa_user_sgpr_kernarg_segment_ptr 1
		.amdhsa_user_sgpr_dispatch_id 0
		.amdhsa_user_sgpr_flat_scratch_init 0
		.amdhsa_user_sgpr_private_segment_size 0
		.amdhsa_uses_dynamic_stack 0
		.amdhsa_system_sgpr_private_segment_wavefront_offset 0
		.amdhsa_system_sgpr_workgroup_id_x 1
		.amdhsa_system_sgpr_workgroup_id_y 0
		.amdhsa_system_sgpr_workgroup_id_z 0
		.amdhsa_system_sgpr_workgroup_info 0
		.amdhsa_system_vgpr_workitem_id 0
		.amdhsa_next_free_vgpr 1
		.amdhsa_next_free_sgpr 0
		.amdhsa_reserve_vcc 0
		.amdhsa_reserve_flat_scratch 0
		.amdhsa_float_round_mode_32 0
		.amdhsa_float_round_mode_16_64 0
		.amdhsa_float_denorm_mode_32 3
		.amdhsa_float_denorm_mode_16_64 3
		.amdhsa_dx10_clamp 1
		.amdhsa_ieee_mode 1
		.amdhsa_fp16_overflow 0
		.amdhsa_exception_fp_ieee_invalid_op 0
		.amdhsa_exception_fp_denorm_src 0
		.amdhsa_exception_fp_ieee_div_zero 0
		.amdhsa_exception_fp_ieee_overflow 0
		.amdhsa_exception_fp_ieee_underflow 0
		.amdhsa_exception_fp_ieee_inexact 0
		.amdhsa_exception_int_div_zero 0
	.end_amdhsa_kernel
	.section	.text._ZN7rocprim17ROCPRIM_400000_NS6detail17trampoline_kernelINS0_14default_configENS1_38merge_sort_block_merge_config_selectorIilEEZZNS1_27merge_sort_block_merge_implIS3_PiN6thrust23THRUST_200600_302600_NS10device_ptrIlEEjNS1_19radix_merge_compareILb0ELb0EiNS0_19identity_decomposerEEEEE10hipError_tT0_T1_T2_jT3_P12ihipStream_tbPNSt15iterator_traitsISG_E10value_typeEPNSM_ISH_E10value_typeEPSI_NS1_7vsmem_tEENKUlT_SG_SH_SI_E_clIS7_S7_SB_PlEESF_SV_SG_SH_SI_EUlSV_E0_NS1_11comp_targetILNS1_3genE9ELNS1_11target_archE1100ELNS1_3gpuE3ELNS1_3repE0EEENS1_38merge_mergepath_config_static_selectorELNS0_4arch9wavefront6targetE1EEEvSH_,"axG",@progbits,_ZN7rocprim17ROCPRIM_400000_NS6detail17trampoline_kernelINS0_14default_configENS1_38merge_sort_block_merge_config_selectorIilEEZZNS1_27merge_sort_block_merge_implIS3_PiN6thrust23THRUST_200600_302600_NS10device_ptrIlEEjNS1_19radix_merge_compareILb0ELb0EiNS0_19identity_decomposerEEEEE10hipError_tT0_T1_T2_jT3_P12ihipStream_tbPNSt15iterator_traitsISG_E10value_typeEPNSM_ISH_E10value_typeEPSI_NS1_7vsmem_tEENKUlT_SG_SH_SI_E_clIS7_S7_SB_PlEESF_SV_SG_SH_SI_EUlSV_E0_NS1_11comp_targetILNS1_3genE9ELNS1_11target_archE1100ELNS1_3gpuE3ELNS1_3repE0EEENS1_38merge_mergepath_config_static_selectorELNS0_4arch9wavefront6targetE1EEEvSH_,comdat
.Lfunc_end782:
	.size	_ZN7rocprim17ROCPRIM_400000_NS6detail17trampoline_kernelINS0_14default_configENS1_38merge_sort_block_merge_config_selectorIilEEZZNS1_27merge_sort_block_merge_implIS3_PiN6thrust23THRUST_200600_302600_NS10device_ptrIlEEjNS1_19radix_merge_compareILb0ELb0EiNS0_19identity_decomposerEEEEE10hipError_tT0_T1_T2_jT3_P12ihipStream_tbPNSt15iterator_traitsISG_E10value_typeEPNSM_ISH_E10value_typeEPSI_NS1_7vsmem_tEENKUlT_SG_SH_SI_E_clIS7_S7_SB_PlEESF_SV_SG_SH_SI_EUlSV_E0_NS1_11comp_targetILNS1_3genE9ELNS1_11target_archE1100ELNS1_3gpuE3ELNS1_3repE0EEENS1_38merge_mergepath_config_static_selectorELNS0_4arch9wavefront6targetE1EEEvSH_, .Lfunc_end782-_ZN7rocprim17ROCPRIM_400000_NS6detail17trampoline_kernelINS0_14default_configENS1_38merge_sort_block_merge_config_selectorIilEEZZNS1_27merge_sort_block_merge_implIS3_PiN6thrust23THRUST_200600_302600_NS10device_ptrIlEEjNS1_19radix_merge_compareILb0ELb0EiNS0_19identity_decomposerEEEEE10hipError_tT0_T1_T2_jT3_P12ihipStream_tbPNSt15iterator_traitsISG_E10value_typeEPNSM_ISH_E10value_typeEPSI_NS1_7vsmem_tEENKUlT_SG_SH_SI_E_clIS7_S7_SB_PlEESF_SV_SG_SH_SI_EUlSV_E0_NS1_11comp_targetILNS1_3genE9ELNS1_11target_archE1100ELNS1_3gpuE3ELNS1_3repE0EEENS1_38merge_mergepath_config_static_selectorELNS0_4arch9wavefront6targetE1EEEvSH_
                                        ; -- End function
	.set _ZN7rocprim17ROCPRIM_400000_NS6detail17trampoline_kernelINS0_14default_configENS1_38merge_sort_block_merge_config_selectorIilEEZZNS1_27merge_sort_block_merge_implIS3_PiN6thrust23THRUST_200600_302600_NS10device_ptrIlEEjNS1_19radix_merge_compareILb0ELb0EiNS0_19identity_decomposerEEEEE10hipError_tT0_T1_T2_jT3_P12ihipStream_tbPNSt15iterator_traitsISG_E10value_typeEPNSM_ISH_E10value_typeEPSI_NS1_7vsmem_tEENKUlT_SG_SH_SI_E_clIS7_S7_SB_PlEESF_SV_SG_SH_SI_EUlSV_E0_NS1_11comp_targetILNS1_3genE9ELNS1_11target_archE1100ELNS1_3gpuE3ELNS1_3repE0EEENS1_38merge_mergepath_config_static_selectorELNS0_4arch9wavefront6targetE1EEEvSH_.num_vgpr, 0
	.set _ZN7rocprim17ROCPRIM_400000_NS6detail17trampoline_kernelINS0_14default_configENS1_38merge_sort_block_merge_config_selectorIilEEZZNS1_27merge_sort_block_merge_implIS3_PiN6thrust23THRUST_200600_302600_NS10device_ptrIlEEjNS1_19radix_merge_compareILb0ELb0EiNS0_19identity_decomposerEEEEE10hipError_tT0_T1_T2_jT3_P12ihipStream_tbPNSt15iterator_traitsISG_E10value_typeEPNSM_ISH_E10value_typeEPSI_NS1_7vsmem_tEENKUlT_SG_SH_SI_E_clIS7_S7_SB_PlEESF_SV_SG_SH_SI_EUlSV_E0_NS1_11comp_targetILNS1_3genE9ELNS1_11target_archE1100ELNS1_3gpuE3ELNS1_3repE0EEENS1_38merge_mergepath_config_static_selectorELNS0_4arch9wavefront6targetE1EEEvSH_.num_agpr, 0
	.set _ZN7rocprim17ROCPRIM_400000_NS6detail17trampoline_kernelINS0_14default_configENS1_38merge_sort_block_merge_config_selectorIilEEZZNS1_27merge_sort_block_merge_implIS3_PiN6thrust23THRUST_200600_302600_NS10device_ptrIlEEjNS1_19radix_merge_compareILb0ELb0EiNS0_19identity_decomposerEEEEE10hipError_tT0_T1_T2_jT3_P12ihipStream_tbPNSt15iterator_traitsISG_E10value_typeEPNSM_ISH_E10value_typeEPSI_NS1_7vsmem_tEENKUlT_SG_SH_SI_E_clIS7_S7_SB_PlEESF_SV_SG_SH_SI_EUlSV_E0_NS1_11comp_targetILNS1_3genE9ELNS1_11target_archE1100ELNS1_3gpuE3ELNS1_3repE0EEENS1_38merge_mergepath_config_static_selectorELNS0_4arch9wavefront6targetE1EEEvSH_.numbered_sgpr, 0
	.set _ZN7rocprim17ROCPRIM_400000_NS6detail17trampoline_kernelINS0_14default_configENS1_38merge_sort_block_merge_config_selectorIilEEZZNS1_27merge_sort_block_merge_implIS3_PiN6thrust23THRUST_200600_302600_NS10device_ptrIlEEjNS1_19radix_merge_compareILb0ELb0EiNS0_19identity_decomposerEEEEE10hipError_tT0_T1_T2_jT3_P12ihipStream_tbPNSt15iterator_traitsISG_E10value_typeEPNSM_ISH_E10value_typeEPSI_NS1_7vsmem_tEENKUlT_SG_SH_SI_E_clIS7_S7_SB_PlEESF_SV_SG_SH_SI_EUlSV_E0_NS1_11comp_targetILNS1_3genE9ELNS1_11target_archE1100ELNS1_3gpuE3ELNS1_3repE0EEENS1_38merge_mergepath_config_static_selectorELNS0_4arch9wavefront6targetE1EEEvSH_.num_named_barrier, 0
	.set _ZN7rocprim17ROCPRIM_400000_NS6detail17trampoline_kernelINS0_14default_configENS1_38merge_sort_block_merge_config_selectorIilEEZZNS1_27merge_sort_block_merge_implIS3_PiN6thrust23THRUST_200600_302600_NS10device_ptrIlEEjNS1_19radix_merge_compareILb0ELb0EiNS0_19identity_decomposerEEEEE10hipError_tT0_T1_T2_jT3_P12ihipStream_tbPNSt15iterator_traitsISG_E10value_typeEPNSM_ISH_E10value_typeEPSI_NS1_7vsmem_tEENKUlT_SG_SH_SI_E_clIS7_S7_SB_PlEESF_SV_SG_SH_SI_EUlSV_E0_NS1_11comp_targetILNS1_3genE9ELNS1_11target_archE1100ELNS1_3gpuE3ELNS1_3repE0EEENS1_38merge_mergepath_config_static_selectorELNS0_4arch9wavefront6targetE1EEEvSH_.private_seg_size, 0
	.set _ZN7rocprim17ROCPRIM_400000_NS6detail17trampoline_kernelINS0_14default_configENS1_38merge_sort_block_merge_config_selectorIilEEZZNS1_27merge_sort_block_merge_implIS3_PiN6thrust23THRUST_200600_302600_NS10device_ptrIlEEjNS1_19radix_merge_compareILb0ELb0EiNS0_19identity_decomposerEEEEE10hipError_tT0_T1_T2_jT3_P12ihipStream_tbPNSt15iterator_traitsISG_E10value_typeEPNSM_ISH_E10value_typeEPSI_NS1_7vsmem_tEENKUlT_SG_SH_SI_E_clIS7_S7_SB_PlEESF_SV_SG_SH_SI_EUlSV_E0_NS1_11comp_targetILNS1_3genE9ELNS1_11target_archE1100ELNS1_3gpuE3ELNS1_3repE0EEENS1_38merge_mergepath_config_static_selectorELNS0_4arch9wavefront6targetE1EEEvSH_.uses_vcc, 0
	.set _ZN7rocprim17ROCPRIM_400000_NS6detail17trampoline_kernelINS0_14default_configENS1_38merge_sort_block_merge_config_selectorIilEEZZNS1_27merge_sort_block_merge_implIS3_PiN6thrust23THRUST_200600_302600_NS10device_ptrIlEEjNS1_19radix_merge_compareILb0ELb0EiNS0_19identity_decomposerEEEEE10hipError_tT0_T1_T2_jT3_P12ihipStream_tbPNSt15iterator_traitsISG_E10value_typeEPNSM_ISH_E10value_typeEPSI_NS1_7vsmem_tEENKUlT_SG_SH_SI_E_clIS7_S7_SB_PlEESF_SV_SG_SH_SI_EUlSV_E0_NS1_11comp_targetILNS1_3genE9ELNS1_11target_archE1100ELNS1_3gpuE3ELNS1_3repE0EEENS1_38merge_mergepath_config_static_selectorELNS0_4arch9wavefront6targetE1EEEvSH_.uses_flat_scratch, 0
	.set _ZN7rocprim17ROCPRIM_400000_NS6detail17trampoline_kernelINS0_14default_configENS1_38merge_sort_block_merge_config_selectorIilEEZZNS1_27merge_sort_block_merge_implIS3_PiN6thrust23THRUST_200600_302600_NS10device_ptrIlEEjNS1_19radix_merge_compareILb0ELb0EiNS0_19identity_decomposerEEEEE10hipError_tT0_T1_T2_jT3_P12ihipStream_tbPNSt15iterator_traitsISG_E10value_typeEPNSM_ISH_E10value_typeEPSI_NS1_7vsmem_tEENKUlT_SG_SH_SI_E_clIS7_S7_SB_PlEESF_SV_SG_SH_SI_EUlSV_E0_NS1_11comp_targetILNS1_3genE9ELNS1_11target_archE1100ELNS1_3gpuE3ELNS1_3repE0EEENS1_38merge_mergepath_config_static_selectorELNS0_4arch9wavefront6targetE1EEEvSH_.has_dyn_sized_stack, 0
	.set _ZN7rocprim17ROCPRIM_400000_NS6detail17trampoline_kernelINS0_14default_configENS1_38merge_sort_block_merge_config_selectorIilEEZZNS1_27merge_sort_block_merge_implIS3_PiN6thrust23THRUST_200600_302600_NS10device_ptrIlEEjNS1_19radix_merge_compareILb0ELb0EiNS0_19identity_decomposerEEEEE10hipError_tT0_T1_T2_jT3_P12ihipStream_tbPNSt15iterator_traitsISG_E10value_typeEPNSM_ISH_E10value_typeEPSI_NS1_7vsmem_tEENKUlT_SG_SH_SI_E_clIS7_S7_SB_PlEESF_SV_SG_SH_SI_EUlSV_E0_NS1_11comp_targetILNS1_3genE9ELNS1_11target_archE1100ELNS1_3gpuE3ELNS1_3repE0EEENS1_38merge_mergepath_config_static_selectorELNS0_4arch9wavefront6targetE1EEEvSH_.has_recursion, 0
	.set _ZN7rocprim17ROCPRIM_400000_NS6detail17trampoline_kernelINS0_14default_configENS1_38merge_sort_block_merge_config_selectorIilEEZZNS1_27merge_sort_block_merge_implIS3_PiN6thrust23THRUST_200600_302600_NS10device_ptrIlEEjNS1_19radix_merge_compareILb0ELb0EiNS0_19identity_decomposerEEEEE10hipError_tT0_T1_T2_jT3_P12ihipStream_tbPNSt15iterator_traitsISG_E10value_typeEPNSM_ISH_E10value_typeEPSI_NS1_7vsmem_tEENKUlT_SG_SH_SI_E_clIS7_S7_SB_PlEESF_SV_SG_SH_SI_EUlSV_E0_NS1_11comp_targetILNS1_3genE9ELNS1_11target_archE1100ELNS1_3gpuE3ELNS1_3repE0EEENS1_38merge_mergepath_config_static_selectorELNS0_4arch9wavefront6targetE1EEEvSH_.has_indirect_call, 0
	.section	.AMDGPU.csdata,"",@progbits
; Kernel info:
; codeLenInByte = 0
; TotalNumSgprs: 4
; NumVgprs: 0
; ScratchSize: 0
; MemoryBound: 0
; FloatMode: 240
; IeeeMode: 1
; LDSByteSize: 0 bytes/workgroup (compile time only)
; SGPRBlocks: 0
; VGPRBlocks: 0
; NumSGPRsForWavesPerEU: 4
; NumVGPRsForWavesPerEU: 1
; Occupancy: 10
; WaveLimiterHint : 0
; COMPUTE_PGM_RSRC2:SCRATCH_EN: 0
; COMPUTE_PGM_RSRC2:USER_SGPR: 6
; COMPUTE_PGM_RSRC2:TRAP_HANDLER: 0
; COMPUTE_PGM_RSRC2:TGID_X_EN: 1
; COMPUTE_PGM_RSRC2:TGID_Y_EN: 0
; COMPUTE_PGM_RSRC2:TGID_Z_EN: 0
; COMPUTE_PGM_RSRC2:TIDIG_COMP_CNT: 0
	.section	.text._ZN7rocprim17ROCPRIM_400000_NS6detail17trampoline_kernelINS0_14default_configENS1_38merge_sort_block_merge_config_selectorIilEEZZNS1_27merge_sort_block_merge_implIS3_PiN6thrust23THRUST_200600_302600_NS10device_ptrIlEEjNS1_19radix_merge_compareILb0ELb0EiNS0_19identity_decomposerEEEEE10hipError_tT0_T1_T2_jT3_P12ihipStream_tbPNSt15iterator_traitsISG_E10value_typeEPNSM_ISH_E10value_typeEPSI_NS1_7vsmem_tEENKUlT_SG_SH_SI_E_clIS7_S7_SB_PlEESF_SV_SG_SH_SI_EUlSV_E0_NS1_11comp_targetILNS1_3genE8ELNS1_11target_archE1030ELNS1_3gpuE2ELNS1_3repE0EEENS1_38merge_mergepath_config_static_selectorELNS0_4arch9wavefront6targetE1EEEvSH_,"axG",@progbits,_ZN7rocprim17ROCPRIM_400000_NS6detail17trampoline_kernelINS0_14default_configENS1_38merge_sort_block_merge_config_selectorIilEEZZNS1_27merge_sort_block_merge_implIS3_PiN6thrust23THRUST_200600_302600_NS10device_ptrIlEEjNS1_19radix_merge_compareILb0ELb0EiNS0_19identity_decomposerEEEEE10hipError_tT0_T1_T2_jT3_P12ihipStream_tbPNSt15iterator_traitsISG_E10value_typeEPNSM_ISH_E10value_typeEPSI_NS1_7vsmem_tEENKUlT_SG_SH_SI_E_clIS7_S7_SB_PlEESF_SV_SG_SH_SI_EUlSV_E0_NS1_11comp_targetILNS1_3genE8ELNS1_11target_archE1030ELNS1_3gpuE2ELNS1_3repE0EEENS1_38merge_mergepath_config_static_selectorELNS0_4arch9wavefront6targetE1EEEvSH_,comdat
	.protected	_ZN7rocprim17ROCPRIM_400000_NS6detail17trampoline_kernelINS0_14default_configENS1_38merge_sort_block_merge_config_selectorIilEEZZNS1_27merge_sort_block_merge_implIS3_PiN6thrust23THRUST_200600_302600_NS10device_ptrIlEEjNS1_19radix_merge_compareILb0ELb0EiNS0_19identity_decomposerEEEEE10hipError_tT0_T1_T2_jT3_P12ihipStream_tbPNSt15iterator_traitsISG_E10value_typeEPNSM_ISH_E10value_typeEPSI_NS1_7vsmem_tEENKUlT_SG_SH_SI_E_clIS7_S7_SB_PlEESF_SV_SG_SH_SI_EUlSV_E0_NS1_11comp_targetILNS1_3genE8ELNS1_11target_archE1030ELNS1_3gpuE2ELNS1_3repE0EEENS1_38merge_mergepath_config_static_selectorELNS0_4arch9wavefront6targetE1EEEvSH_ ; -- Begin function _ZN7rocprim17ROCPRIM_400000_NS6detail17trampoline_kernelINS0_14default_configENS1_38merge_sort_block_merge_config_selectorIilEEZZNS1_27merge_sort_block_merge_implIS3_PiN6thrust23THRUST_200600_302600_NS10device_ptrIlEEjNS1_19radix_merge_compareILb0ELb0EiNS0_19identity_decomposerEEEEE10hipError_tT0_T1_T2_jT3_P12ihipStream_tbPNSt15iterator_traitsISG_E10value_typeEPNSM_ISH_E10value_typeEPSI_NS1_7vsmem_tEENKUlT_SG_SH_SI_E_clIS7_S7_SB_PlEESF_SV_SG_SH_SI_EUlSV_E0_NS1_11comp_targetILNS1_3genE8ELNS1_11target_archE1030ELNS1_3gpuE2ELNS1_3repE0EEENS1_38merge_mergepath_config_static_selectorELNS0_4arch9wavefront6targetE1EEEvSH_
	.globl	_ZN7rocprim17ROCPRIM_400000_NS6detail17trampoline_kernelINS0_14default_configENS1_38merge_sort_block_merge_config_selectorIilEEZZNS1_27merge_sort_block_merge_implIS3_PiN6thrust23THRUST_200600_302600_NS10device_ptrIlEEjNS1_19radix_merge_compareILb0ELb0EiNS0_19identity_decomposerEEEEE10hipError_tT0_T1_T2_jT3_P12ihipStream_tbPNSt15iterator_traitsISG_E10value_typeEPNSM_ISH_E10value_typeEPSI_NS1_7vsmem_tEENKUlT_SG_SH_SI_E_clIS7_S7_SB_PlEESF_SV_SG_SH_SI_EUlSV_E0_NS1_11comp_targetILNS1_3genE8ELNS1_11target_archE1030ELNS1_3gpuE2ELNS1_3repE0EEENS1_38merge_mergepath_config_static_selectorELNS0_4arch9wavefront6targetE1EEEvSH_
	.p2align	8
	.type	_ZN7rocprim17ROCPRIM_400000_NS6detail17trampoline_kernelINS0_14default_configENS1_38merge_sort_block_merge_config_selectorIilEEZZNS1_27merge_sort_block_merge_implIS3_PiN6thrust23THRUST_200600_302600_NS10device_ptrIlEEjNS1_19radix_merge_compareILb0ELb0EiNS0_19identity_decomposerEEEEE10hipError_tT0_T1_T2_jT3_P12ihipStream_tbPNSt15iterator_traitsISG_E10value_typeEPNSM_ISH_E10value_typeEPSI_NS1_7vsmem_tEENKUlT_SG_SH_SI_E_clIS7_S7_SB_PlEESF_SV_SG_SH_SI_EUlSV_E0_NS1_11comp_targetILNS1_3genE8ELNS1_11target_archE1030ELNS1_3gpuE2ELNS1_3repE0EEENS1_38merge_mergepath_config_static_selectorELNS0_4arch9wavefront6targetE1EEEvSH_,@function
_ZN7rocprim17ROCPRIM_400000_NS6detail17trampoline_kernelINS0_14default_configENS1_38merge_sort_block_merge_config_selectorIilEEZZNS1_27merge_sort_block_merge_implIS3_PiN6thrust23THRUST_200600_302600_NS10device_ptrIlEEjNS1_19radix_merge_compareILb0ELb0EiNS0_19identity_decomposerEEEEE10hipError_tT0_T1_T2_jT3_P12ihipStream_tbPNSt15iterator_traitsISG_E10value_typeEPNSM_ISH_E10value_typeEPSI_NS1_7vsmem_tEENKUlT_SG_SH_SI_E_clIS7_S7_SB_PlEESF_SV_SG_SH_SI_EUlSV_E0_NS1_11comp_targetILNS1_3genE8ELNS1_11target_archE1030ELNS1_3gpuE2ELNS1_3repE0EEENS1_38merge_mergepath_config_static_selectorELNS0_4arch9wavefront6targetE1EEEvSH_: ; @_ZN7rocprim17ROCPRIM_400000_NS6detail17trampoline_kernelINS0_14default_configENS1_38merge_sort_block_merge_config_selectorIilEEZZNS1_27merge_sort_block_merge_implIS3_PiN6thrust23THRUST_200600_302600_NS10device_ptrIlEEjNS1_19radix_merge_compareILb0ELb0EiNS0_19identity_decomposerEEEEE10hipError_tT0_T1_T2_jT3_P12ihipStream_tbPNSt15iterator_traitsISG_E10value_typeEPNSM_ISH_E10value_typeEPSI_NS1_7vsmem_tEENKUlT_SG_SH_SI_E_clIS7_S7_SB_PlEESF_SV_SG_SH_SI_EUlSV_E0_NS1_11comp_targetILNS1_3genE8ELNS1_11target_archE1030ELNS1_3gpuE2ELNS1_3repE0EEENS1_38merge_mergepath_config_static_selectorELNS0_4arch9wavefront6targetE1EEEvSH_
; %bb.0:
	.section	.rodata,"a",@progbits
	.p2align	6, 0x0
	.amdhsa_kernel _ZN7rocprim17ROCPRIM_400000_NS6detail17trampoline_kernelINS0_14default_configENS1_38merge_sort_block_merge_config_selectorIilEEZZNS1_27merge_sort_block_merge_implIS3_PiN6thrust23THRUST_200600_302600_NS10device_ptrIlEEjNS1_19radix_merge_compareILb0ELb0EiNS0_19identity_decomposerEEEEE10hipError_tT0_T1_T2_jT3_P12ihipStream_tbPNSt15iterator_traitsISG_E10value_typeEPNSM_ISH_E10value_typeEPSI_NS1_7vsmem_tEENKUlT_SG_SH_SI_E_clIS7_S7_SB_PlEESF_SV_SG_SH_SI_EUlSV_E0_NS1_11comp_targetILNS1_3genE8ELNS1_11target_archE1030ELNS1_3gpuE2ELNS1_3repE0EEENS1_38merge_mergepath_config_static_selectorELNS0_4arch9wavefront6targetE1EEEvSH_
		.amdhsa_group_segment_fixed_size 0
		.amdhsa_private_segment_fixed_size 0
		.amdhsa_kernarg_size 64
		.amdhsa_user_sgpr_count 6
		.amdhsa_user_sgpr_private_segment_buffer 1
		.amdhsa_user_sgpr_dispatch_ptr 0
		.amdhsa_user_sgpr_queue_ptr 0
		.amdhsa_user_sgpr_kernarg_segment_ptr 1
		.amdhsa_user_sgpr_dispatch_id 0
		.amdhsa_user_sgpr_flat_scratch_init 0
		.amdhsa_user_sgpr_private_segment_size 0
		.amdhsa_uses_dynamic_stack 0
		.amdhsa_system_sgpr_private_segment_wavefront_offset 0
		.amdhsa_system_sgpr_workgroup_id_x 1
		.amdhsa_system_sgpr_workgroup_id_y 0
		.amdhsa_system_sgpr_workgroup_id_z 0
		.amdhsa_system_sgpr_workgroup_info 0
		.amdhsa_system_vgpr_workitem_id 0
		.amdhsa_next_free_vgpr 1
		.amdhsa_next_free_sgpr 0
		.amdhsa_reserve_vcc 0
		.amdhsa_reserve_flat_scratch 0
		.amdhsa_float_round_mode_32 0
		.amdhsa_float_round_mode_16_64 0
		.amdhsa_float_denorm_mode_32 3
		.amdhsa_float_denorm_mode_16_64 3
		.amdhsa_dx10_clamp 1
		.amdhsa_ieee_mode 1
		.amdhsa_fp16_overflow 0
		.amdhsa_exception_fp_ieee_invalid_op 0
		.amdhsa_exception_fp_denorm_src 0
		.amdhsa_exception_fp_ieee_div_zero 0
		.amdhsa_exception_fp_ieee_overflow 0
		.amdhsa_exception_fp_ieee_underflow 0
		.amdhsa_exception_fp_ieee_inexact 0
		.amdhsa_exception_int_div_zero 0
	.end_amdhsa_kernel
	.section	.text._ZN7rocprim17ROCPRIM_400000_NS6detail17trampoline_kernelINS0_14default_configENS1_38merge_sort_block_merge_config_selectorIilEEZZNS1_27merge_sort_block_merge_implIS3_PiN6thrust23THRUST_200600_302600_NS10device_ptrIlEEjNS1_19radix_merge_compareILb0ELb0EiNS0_19identity_decomposerEEEEE10hipError_tT0_T1_T2_jT3_P12ihipStream_tbPNSt15iterator_traitsISG_E10value_typeEPNSM_ISH_E10value_typeEPSI_NS1_7vsmem_tEENKUlT_SG_SH_SI_E_clIS7_S7_SB_PlEESF_SV_SG_SH_SI_EUlSV_E0_NS1_11comp_targetILNS1_3genE8ELNS1_11target_archE1030ELNS1_3gpuE2ELNS1_3repE0EEENS1_38merge_mergepath_config_static_selectorELNS0_4arch9wavefront6targetE1EEEvSH_,"axG",@progbits,_ZN7rocprim17ROCPRIM_400000_NS6detail17trampoline_kernelINS0_14default_configENS1_38merge_sort_block_merge_config_selectorIilEEZZNS1_27merge_sort_block_merge_implIS3_PiN6thrust23THRUST_200600_302600_NS10device_ptrIlEEjNS1_19radix_merge_compareILb0ELb0EiNS0_19identity_decomposerEEEEE10hipError_tT0_T1_T2_jT3_P12ihipStream_tbPNSt15iterator_traitsISG_E10value_typeEPNSM_ISH_E10value_typeEPSI_NS1_7vsmem_tEENKUlT_SG_SH_SI_E_clIS7_S7_SB_PlEESF_SV_SG_SH_SI_EUlSV_E0_NS1_11comp_targetILNS1_3genE8ELNS1_11target_archE1030ELNS1_3gpuE2ELNS1_3repE0EEENS1_38merge_mergepath_config_static_selectorELNS0_4arch9wavefront6targetE1EEEvSH_,comdat
.Lfunc_end783:
	.size	_ZN7rocprim17ROCPRIM_400000_NS6detail17trampoline_kernelINS0_14default_configENS1_38merge_sort_block_merge_config_selectorIilEEZZNS1_27merge_sort_block_merge_implIS3_PiN6thrust23THRUST_200600_302600_NS10device_ptrIlEEjNS1_19radix_merge_compareILb0ELb0EiNS0_19identity_decomposerEEEEE10hipError_tT0_T1_T2_jT3_P12ihipStream_tbPNSt15iterator_traitsISG_E10value_typeEPNSM_ISH_E10value_typeEPSI_NS1_7vsmem_tEENKUlT_SG_SH_SI_E_clIS7_S7_SB_PlEESF_SV_SG_SH_SI_EUlSV_E0_NS1_11comp_targetILNS1_3genE8ELNS1_11target_archE1030ELNS1_3gpuE2ELNS1_3repE0EEENS1_38merge_mergepath_config_static_selectorELNS0_4arch9wavefront6targetE1EEEvSH_, .Lfunc_end783-_ZN7rocprim17ROCPRIM_400000_NS6detail17trampoline_kernelINS0_14default_configENS1_38merge_sort_block_merge_config_selectorIilEEZZNS1_27merge_sort_block_merge_implIS3_PiN6thrust23THRUST_200600_302600_NS10device_ptrIlEEjNS1_19radix_merge_compareILb0ELb0EiNS0_19identity_decomposerEEEEE10hipError_tT0_T1_T2_jT3_P12ihipStream_tbPNSt15iterator_traitsISG_E10value_typeEPNSM_ISH_E10value_typeEPSI_NS1_7vsmem_tEENKUlT_SG_SH_SI_E_clIS7_S7_SB_PlEESF_SV_SG_SH_SI_EUlSV_E0_NS1_11comp_targetILNS1_3genE8ELNS1_11target_archE1030ELNS1_3gpuE2ELNS1_3repE0EEENS1_38merge_mergepath_config_static_selectorELNS0_4arch9wavefront6targetE1EEEvSH_
                                        ; -- End function
	.set _ZN7rocprim17ROCPRIM_400000_NS6detail17trampoline_kernelINS0_14default_configENS1_38merge_sort_block_merge_config_selectorIilEEZZNS1_27merge_sort_block_merge_implIS3_PiN6thrust23THRUST_200600_302600_NS10device_ptrIlEEjNS1_19radix_merge_compareILb0ELb0EiNS0_19identity_decomposerEEEEE10hipError_tT0_T1_T2_jT3_P12ihipStream_tbPNSt15iterator_traitsISG_E10value_typeEPNSM_ISH_E10value_typeEPSI_NS1_7vsmem_tEENKUlT_SG_SH_SI_E_clIS7_S7_SB_PlEESF_SV_SG_SH_SI_EUlSV_E0_NS1_11comp_targetILNS1_3genE8ELNS1_11target_archE1030ELNS1_3gpuE2ELNS1_3repE0EEENS1_38merge_mergepath_config_static_selectorELNS0_4arch9wavefront6targetE1EEEvSH_.num_vgpr, 0
	.set _ZN7rocprim17ROCPRIM_400000_NS6detail17trampoline_kernelINS0_14default_configENS1_38merge_sort_block_merge_config_selectorIilEEZZNS1_27merge_sort_block_merge_implIS3_PiN6thrust23THRUST_200600_302600_NS10device_ptrIlEEjNS1_19radix_merge_compareILb0ELb0EiNS0_19identity_decomposerEEEEE10hipError_tT0_T1_T2_jT3_P12ihipStream_tbPNSt15iterator_traitsISG_E10value_typeEPNSM_ISH_E10value_typeEPSI_NS1_7vsmem_tEENKUlT_SG_SH_SI_E_clIS7_S7_SB_PlEESF_SV_SG_SH_SI_EUlSV_E0_NS1_11comp_targetILNS1_3genE8ELNS1_11target_archE1030ELNS1_3gpuE2ELNS1_3repE0EEENS1_38merge_mergepath_config_static_selectorELNS0_4arch9wavefront6targetE1EEEvSH_.num_agpr, 0
	.set _ZN7rocprim17ROCPRIM_400000_NS6detail17trampoline_kernelINS0_14default_configENS1_38merge_sort_block_merge_config_selectorIilEEZZNS1_27merge_sort_block_merge_implIS3_PiN6thrust23THRUST_200600_302600_NS10device_ptrIlEEjNS1_19radix_merge_compareILb0ELb0EiNS0_19identity_decomposerEEEEE10hipError_tT0_T1_T2_jT3_P12ihipStream_tbPNSt15iterator_traitsISG_E10value_typeEPNSM_ISH_E10value_typeEPSI_NS1_7vsmem_tEENKUlT_SG_SH_SI_E_clIS7_S7_SB_PlEESF_SV_SG_SH_SI_EUlSV_E0_NS1_11comp_targetILNS1_3genE8ELNS1_11target_archE1030ELNS1_3gpuE2ELNS1_3repE0EEENS1_38merge_mergepath_config_static_selectorELNS0_4arch9wavefront6targetE1EEEvSH_.numbered_sgpr, 0
	.set _ZN7rocprim17ROCPRIM_400000_NS6detail17trampoline_kernelINS0_14default_configENS1_38merge_sort_block_merge_config_selectorIilEEZZNS1_27merge_sort_block_merge_implIS3_PiN6thrust23THRUST_200600_302600_NS10device_ptrIlEEjNS1_19radix_merge_compareILb0ELb0EiNS0_19identity_decomposerEEEEE10hipError_tT0_T1_T2_jT3_P12ihipStream_tbPNSt15iterator_traitsISG_E10value_typeEPNSM_ISH_E10value_typeEPSI_NS1_7vsmem_tEENKUlT_SG_SH_SI_E_clIS7_S7_SB_PlEESF_SV_SG_SH_SI_EUlSV_E0_NS1_11comp_targetILNS1_3genE8ELNS1_11target_archE1030ELNS1_3gpuE2ELNS1_3repE0EEENS1_38merge_mergepath_config_static_selectorELNS0_4arch9wavefront6targetE1EEEvSH_.num_named_barrier, 0
	.set _ZN7rocprim17ROCPRIM_400000_NS6detail17trampoline_kernelINS0_14default_configENS1_38merge_sort_block_merge_config_selectorIilEEZZNS1_27merge_sort_block_merge_implIS3_PiN6thrust23THRUST_200600_302600_NS10device_ptrIlEEjNS1_19radix_merge_compareILb0ELb0EiNS0_19identity_decomposerEEEEE10hipError_tT0_T1_T2_jT3_P12ihipStream_tbPNSt15iterator_traitsISG_E10value_typeEPNSM_ISH_E10value_typeEPSI_NS1_7vsmem_tEENKUlT_SG_SH_SI_E_clIS7_S7_SB_PlEESF_SV_SG_SH_SI_EUlSV_E0_NS1_11comp_targetILNS1_3genE8ELNS1_11target_archE1030ELNS1_3gpuE2ELNS1_3repE0EEENS1_38merge_mergepath_config_static_selectorELNS0_4arch9wavefront6targetE1EEEvSH_.private_seg_size, 0
	.set _ZN7rocprim17ROCPRIM_400000_NS6detail17trampoline_kernelINS0_14default_configENS1_38merge_sort_block_merge_config_selectorIilEEZZNS1_27merge_sort_block_merge_implIS3_PiN6thrust23THRUST_200600_302600_NS10device_ptrIlEEjNS1_19radix_merge_compareILb0ELb0EiNS0_19identity_decomposerEEEEE10hipError_tT0_T1_T2_jT3_P12ihipStream_tbPNSt15iterator_traitsISG_E10value_typeEPNSM_ISH_E10value_typeEPSI_NS1_7vsmem_tEENKUlT_SG_SH_SI_E_clIS7_S7_SB_PlEESF_SV_SG_SH_SI_EUlSV_E0_NS1_11comp_targetILNS1_3genE8ELNS1_11target_archE1030ELNS1_3gpuE2ELNS1_3repE0EEENS1_38merge_mergepath_config_static_selectorELNS0_4arch9wavefront6targetE1EEEvSH_.uses_vcc, 0
	.set _ZN7rocprim17ROCPRIM_400000_NS6detail17trampoline_kernelINS0_14default_configENS1_38merge_sort_block_merge_config_selectorIilEEZZNS1_27merge_sort_block_merge_implIS3_PiN6thrust23THRUST_200600_302600_NS10device_ptrIlEEjNS1_19radix_merge_compareILb0ELb0EiNS0_19identity_decomposerEEEEE10hipError_tT0_T1_T2_jT3_P12ihipStream_tbPNSt15iterator_traitsISG_E10value_typeEPNSM_ISH_E10value_typeEPSI_NS1_7vsmem_tEENKUlT_SG_SH_SI_E_clIS7_S7_SB_PlEESF_SV_SG_SH_SI_EUlSV_E0_NS1_11comp_targetILNS1_3genE8ELNS1_11target_archE1030ELNS1_3gpuE2ELNS1_3repE0EEENS1_38merge_mergepath_config_static_selectorELNS0_4arch9wavefront6targetE1EEEvSH_.uses_flat_scratch, 0
	.set _ZN7rocprim17ROCPRIM_400000_NS6detail17trampoline_kernelINS0_14default_configENS1_38merge_sort_block_merge_config_selectorIilEEZZNS1_27merge_sort_block_merge_implIS3_PiN6thrust23THRUST_200600_302600_NS10device_ptrIlEEjNS1_19radix_merge_compareILb0ELb0EiNS0_19identity_decomposerEEEEE10hipError_tT0_T1_T2_jT3_P12ihipStream_tbPNSt15iterator_traitsISG_E10value_typeEPNSM_ISH_E10value_typeEPSI_NS1_7vsmem_tEENKUlT_SG_SH_SI_E_clIS7_S7_SB_PlEESF_SV_SG_SH_SI_EUlSV_E0_NS1_11comp_targetILNS1_3genE8ELNS1_11target_archE1030ELNS1_3gpuE2ELNS1_3repE0EEENS1_38merge_mergepath_config_static_selectorELNS0_4arch9wavefront6targetE1EEEvSH_.has_dyn_sized_stack, 0
	.set _ZN7rocprim17ROCPRIM_400000_NS6detail17trampoline_kernelINS0_14default_configENS1_38merge_sort_block_merge_config_selectorIilEEZZNS1_27merge_sort_block_merge_implIS3_PiN6thrust23THRUST_200600_302600_NS10device_ptrIlEEjNS1_19radix_merge_compareILb0ELb0EiNS0_19identity_decomposerEEEEE10hipError_tT0_T1_T2_jT3_P12ihipStream_tbPNSt15iterator_traitsISG_E10value_typeEPNSM_ISH_E10value_typeEPSI_NS1_7vsmem_tEENKUlT_SG_SH_SI_E_clIS7_S7_SB_PlEESF_SV_SG_SH_SI_EUlSV_E0_NS1_11comp_targetILNS1_3genE8ELNS1_11target_archE1030ELNS1_3gpuE2ELNS1_3repE0EEENS1_38merge_mergepath_config_static_selectorELNS0_4arch9wavefront6targetE1EEEvSH_.has_recursion, 0
	.set _ZN7rocprim17ROCPRIM_400000_NS6detail17trampoline_kernelINS0_14default_configENS1_38merge_sort_block_merge_config_selectorIilEEZZNS1_27merge_sort_block_merge_implIS3_PiN6thrust23THRUST_200600_302600_NS10device_ptrIlEEjNS1_19radix_merge_compareILb0ELb0EiNS0_19identity_decomposerEEEEE10hipError_tT0_T1_T2_jT3_P12ihipStream_tbPNSt15iterator_traitsISG_E10value_typeEPNSM_ISH_E10value_typeEPSI_NS1_7vsmem_tEENKUlT_SG_SH_SI_E_clIS7_S7_SB_PlEESF_SV_SG_SH_SI_EUlSV_E0_NS1_11comp_targetILNS1_3genE8ELNS1_11target_archE1030ELNS1_3gpuE2ELNS1_3repE0EEENS1_38merge_mergepath_config_static_selectorELNS0_4arch9wavefront6targetE1EEEvSH_.has_indirect_call, 0
	.section	.AMDGPU.csdata,"",@progbits
; Kernel info:
; codeLenInByte = 0
; TotalNumSgprs: 4
; NumVgprs: 0
; ScratchSize: 0
; MemoryBound: 0
; FloatMode: 240
; IeeeMode: 1
; LDSByteSize: 0 bytes/workgroup (compile time only)
; SGPRBlocks: 0
; VGPRBlocks: 0
; NumSGPRsForWavesPerEU: 4
; NumVGPRsForWavesPerEU: 1
; Occupancy: 10
; WaveLimiterHint : 0
; COMPUTE_PGM_RSRC2:SCRATCH_EN: 0
; COMPUTE_PGM_RSRC2:USER_SGPR: 6
; COMPUTE_PGM_RSRC2:TRAP_HANDLER: 0
; COMPUTE_PGM_RSRC2:TGID_X_EN: 1
; COMPUTE_PGM_RSRC2:TGID_Y_EN: 0
; COMPUTE_PGM_RSRC2:TGID_Z_EN: 0
; COMPUTE_PGM_RSRC2:TIDIG_COMP_CNT: 0
	.section	.text._ZN7rocprim17ROCPRIM_400000_NS6detail17trampoline_kernelINS0_14default_configENS1_38merge_sort_block_merge_config_selectorIilEEZZNS1_27merge_sort_block_merge_implIS3_PiN6thrust23THRUST_200600_302600_NS10device_ptrIlEEjNS1_19radix_merge_compareILb0ELb0EiNS0_19identity_decomposerEEEEE10hipError_tT0_T1_T2_jT3_P12ihipStream_tbPNSt15iterator_traitsISG_E10value_typeEPNSM_ISH_E10value_typeEPSI_NS1_7vsmem_tEENKUlT_SG_SH_SI_E_clIS7_S7_SB_PlEESF_SV_SG_SH_SI_EUlSV_E1_NS1_11comp_targetILNS1_3genE0ELNS1_11target_archE4294967295ELNS1_3gpuE0ELNS1_3repE0EEENS1_36merge_oddeven_config_static_selectorELNS0_4arch9wavefront6targetE1EEEvSH_,"axG",@progbits,_ZN7rocprim17ROCPRIM_400000_NS6detail17trampoline_kernelINS0_14default_configENS1_38merge_sort_block_merge_config_selectorIilEEZZNS1_27merge_sort_block_merge_implIS3_PiN6thrust23THRUST_200600_302600_NS10device_ptrIlEEjNS1_19radix_merge_compareILb0ELb0EiNS0_19identity_decomposerEEEEE10hipError_tT0_T1_T2_jT3_P12ihipStream_tbPNSt15iterator_traitsISG_E10value_typeEPNSM_ISH_E10value_typeEPSI_NS1_7vsmem_tEENKUlT_SG_SH_SI_E_clIS7_S7_SB_PlEESF_SV_SG_SH_SI_EUlSV_E1_NS1_11comp_targetILNS1_3genE0ELNS1_11target_archE4294967295ELNS1_3gpuE0ELNS1_3repE0EEENS1_36merge_oddeven_config_static_selectorELNS0_4arch9wavefront6targetE1EEEvSH_,comdat
	.protected	_ZN7rocprim17ROCPRIM_400000_NS6detail17trampoline_kernelINS0_14default_configENS1_38merge_sort_block_merge_config_selectorIilEEZZNS1_27merge_sort_block_merge_implIS3_PiN6thrust23THRUST_200600_302600_NS10device_ptrIlEEjNS1_19radix_merge_compareILb0ELb0EiNS0_19identity_decomposerEEEEE10hipError_tT0_T1_T2_jT3_P12ihipStream_tbPNSt15iterator_traitsISG_E10value_typeEPNSM_ISH_E10value_typeEPSI_NS1_7vsmem_tEENKUlT_SG_SH_SI_E_clIS7_S7_SB_PlEESF_SV_SG_SH_SI_EUlSV_E1_NS1_11comp_targetILNS1_3genE0ELNS1_11target_archE4294967295ELNS1_3gpuE0ELNS1_3repE0EEENS1_36merge_oddeven_config_static_selectorELNS0_4arch9wavefront6targetE1EEEvSH_ ; -- Begin function _ZN7rocprim17ROCPRIM_400000_NS6detail17trampoline_kernelINS0_14default_configENS1_38merge_sort_block_merge_config_selectorIilEEZZNS1_27merge_sort_block_merge_implIS3_PiN6thrust23THRUST_200600_302600_NS10device_ptrIlEEjNS1_19radix_merge_compareILb0ELb0EiNS0_19identity_decomposerEEEEE10hipError_tT0_T1_T2_jT3_P12ihipStream_tbPNSt15iterator_traitsISG_E10value_typeEPNSM_ISH_E10value_typeEPSI_NS1_7vsmem_tEENKUlT_SG_SH_SI_E_clIS7_S7_SB_PlEESF_SV_SG_SH_SI_EUlSV_E1_NS1_11comp_targetILNS1_3genE0ELNS1_11target_archE4294967295ELNS1_3gpuE0ELNS1_3repE0EEENS1_36merge_oddeven_config_static_selectorELNS0_4arch9wavefront6targetE1EEEvSH_
	.globl	_ZN7rocprim17ROCPRIM_400000_NS6detail17trampoline_kernelINS0_14default_configENS1_38merge_sort_block_merge_config_selectorIilEEZZNS1_27merge_sort_block_merge_implIS3_PiN6thrust23THRUST_200600_302600_NS10device_ptrIlEEjNS1_19radix_merge_compareILb0ELb0EiNS0_19identity_decomposerEEEEE10hipError_tT0_T1_T2_jT3_P12ihipStream_tbPNSt15iterator_traitsISG_E10value_typeEPNSM_ISH_E10value_typeEPSI_NS1_7vsmem_tEENKUlT_SG_SH_SI_E_clIS7_S7_SB_PlEESF_SV_SG_SH_SI_EUlSV_E1_NS1_11comp_targetILNS1_3genE0ELNS1_11target_archE4294967295ELNS1_3gpuE0ELNS1_3repE0EEENS1_36merge_oddeven_config_static_selectorELNS0_4arch9wavefront6targetE1EEEvSH_
	.p2align	8
	.type	_ZN7rocprim17ROCPRIM_400000_NS6detail17trampoline_kernelINS0_14default_configENS1_38merge_sort_block_merge_config_selectorIilEEZZNS1_27merge_sort_block_merge_implIS3_PiN6thrust23THRUST_200600_302600_NS10device_ptrIlEEjNS1_19radix_merge_compareILb0ELb0EiNS0_19identity_decomposerEEEEE10hipError_tT0_T1_T2_jT3_P12ihipStream_tbPNSt15iterator_traitsISG_E10value_typeEPNSM_ISH_E10value_typeEPSI_NS1_7vsmem_tEENKUlT_SG_SH_SI_E_clIS7_S7_SB_PlEESF_SV_SG_SH_SI_EUlSV_E1_NS1_11comp_targetILNS1_3genE0ELNS1_11target_archE4294967295ELNS1_3gpuE0ELNS1_3repE0EEENS1_36merge_oddeven_config_static_selectorELNS0_4arch9wavefront6targetE1EEEvSH_,@function
_ZN7rocprim17ROCPRIM_400000_NS6detail17trampoline_kernelINS0_14default_configENS1_38merge_sort_block_merge_config_selectorIilEEZZNS1_27merge_sort_block_merge_implIS3_PiN6thrust23THRUST_200600_302600_NS10device_ptrIlEEjNS1_19radix_merge_compareILb0ELb0EiNS0_19identity_decomposerEEEEE10hipError_tT0_T1_T2_jT3_P12ihipStream_tbPNSt15iterator_traitsISG_E10value_typeEPNSM_ISH_E10value_typeEPSI_NS1_7vsmem_tEENKUlT_SG_SH_SI_E_clIS7_S7_SB_PlEESF_SV_SG_SH_SI_EUlSV_E1_NS1_11comp_targetILNS1_3genE0ELNS1_11target_archE4294967295ELNS1_3gpuE0ELNS1_3repE0EEENS1_36merge_oddeven_config_static_selectorELNS0_4arch9wavefront6targetE1EEEvSH_: ; @_ZN7rocprim17ROCPRIM_400000_NS6detail17trampoline_kernelINS0_14default_configENS1_38merge_sort_block_merge_config_selectorIilEEZZNS1_27merge_sort_block_merge_implIS3_PiN6thrust23THRUST_200600_302600_NS10device_ptrIlEEjNS1_19radix_merge_compareILb0ELb0EiNS0_19identity_decomposerEEEEE10hipError_tT0_T1_T2_jT3_P12ihipStream_tbPNSt15iterator_traitsISG_E10value_typeEPNSM_ISH_E10value_typeEPSI_NS1_7vsmem_tEENKUlT_SG_SH_SI_E_clIS7_S7_SB_PlEESF_SV_SG_SH_SI_EUlSV_E1_NS1_11comp_targetILNS1_3genE0ELNS1_11target_archE4294967295ELNS1_3gpuE0ELNS1_3repE0EEENS1_36merge_oddeven_config_static_selectorELNS0_4arch9wavefront6targetE1EEEvSH_
; %bb.0:
	.section	.rodata,"a",@progbits
	.p2align	6, 0x0
	.amdhsa_kernel _ZN7rocprim17ROCPRIM_400000_NS6detail17trampoline_kernelINS0_14default_configENS1_38merge_sort_block_merge_config_selectorIilEEZZNS1_27merge_sort_block_merge_implIS3_PiN6thrust23THRUST_200600_302600_NS10device_ptrIlEEjNS1_19radix_merge_compareILb0ELb0EiNS0_19identity_decomposerEEEEE10hipError_tT0_T1_T2_jT3_P12ihipStream_tbPNSt15iterator_traitsISG_E10value_typeEPNSM_ISH_E10value_typeEPSI_NS1_7vsmem_tEENKUlT_SG_SH_SI_E_clIS7_S7_SB_PlEESF_SV_SG_SH_SI_EUlSV_E1_NS1_11comp_targetILNS1_3genE0ELNS1_11target_archE4294967295ELNS1_3gpuE0ELNS1_3repE0EEENS1_36merge_oddeven_config_static_selectorELNS0_4arch9wavefront6targetE1EEEvSH_
		.amdhsa_group_segment_fixed_size 0
		.amdhsa_private_segment_fixed_size 0
		.amdhsa_kernarg_size 48
		.amdhsa_user_sgpr_count 6
		.amdhsa_user_sgpr_private_segment_buffer 1
		.amdhsa_user_sgpr_dispatch_ptr 0
		.amdhsa_user_sgpr_queue_ptr 0
		.amdhsa_user_sgpr_kernarg_segment_ptr 1
		.amdhsa_user_sgpr_dispatch_id 0
		.amdhsa_user_sgpr_flat_scratch_init 0
		.amdhsa_user_sgpr_private_segment_size 0
		.amdhsa_uses_dynamic_stack 0
		.amdhsa_system_sgpr_private_segment_wavefront_offset 0
		.amdhsa_system_sgpr_workgroup_id_x 1
		.amdhsa_system_sgpr_workgroup_id_y 0
		.amdhsa_system_sgpr_workgroup_id_z 0
		.amdhsa_system_sgpr_workgroup_info 0
		.amdhsa_system_vgpr_workitem_id 0
		.amdhsa_next_free_vgpr 1
		.amdhsa_next_free_sgpr 0
		.amdhsa_reserve_vcc 0
		.amdhsa_reserve_flat_scratch 0
		.amdhsa_float_round_mode_32 0
		.amdhsa_float_round_mode_16_64 0
		.amdhsa_float_denorm_mode_32 3
		.amdhsa_float_denorm_mode_16_64 3
		.amdhsa_dx10_clamp 1
		.amdhsa_ieee_mode 1
		.amdhsa_fp16_overflow 0
		.amdhsa_exception_fp_ieee_invalid_op 0
		.amdhsa_exception_fp_denorm_src 0
		.amdhsa_exception_fp_ieee_div_zero 0
		.amdhsa_exception_fp_ieee_overflow 0
		.amdhsa_exception_fp_ieee_underflow 0
		.amdhsa_exception_fp_ieee_inexact 0
		.amdhsa_exception_int_div_zero 0
	.end_amdhsa_kernel
	.section	.text._ZN7rocprim17ROCPRIM_400000_NS6detail17trampoline_kernelINS0_14default_configENS1_38merge_sort_block_merge_config_selectorIilEEZZNS1_27merge_sort_block_merge_implIS3_PiN6thrust23THRUST_200600_302600_NS10device_ptrIlEEjNS1_19radix_merge_compareILb0ELb0EiNS0_19identity_decomposerEEEEE10hipError_tT0_T1_T2_jT3_P12ihipStream_tbPNSt15iterator_traitsISG_E10value_typeEPNSM_ISH_E10value_typeEPSI_NS1_7vsmem_tEENKUlT_SG_SH_SI_E_clIS7_S7_SB_PlEESF_SV_SG_SH_SI_EUlSV_E1_NS1_11comp_targetILNS1_3genE0ELNS1_11target_archE4294967295ELNS1_3gpuE0ELNS1_3repE0EEENS1_36merge_oddeven_config_static_selectorELNS0_4arch9wavefront6targetE1EEEvSH_,"axG",@progbits,_ZN7rocprim17ROCPRIM_400000_NS6detail17trampoline_kernelINS0_14default_configENS1_38merge_sort_block_merge_config_selectorIilEEZZNS1_27merge_sort_block_merge_implIS3_PiN6thrust23THRUST_200600_302600_NS10device_ptrIlEEjNS1_19radix_merge_compareILb0ELb0EiNS0_19identity_decomposerEEEEE10hipError_tT0_T1_T2_jT3_P12ihipStream_tbPNSt15iterator_traitsISG_E10value_typeEPNSM_ISH_E10value_typeEPSI_NS1_7vsmem_tEENKUlT_SG_SH_SI_E_clIS7_S7_SB_PlEESF_SV_SG_SH_SI_EUlSV_E1_NS1_11comp_targetILNS1_3genE0ELNS1_11target_archE4294967295ELNS1_3gpuE0ELNS1_3repE0EEENS1_36merge_oddeven_config_static_selectorELNS0_4arch9wavefront6targetE1EEEvSH_,comdat
.Lfunc_end784:
	.size	_ZN7rocprim17ROCPRIM_400000_NS6detail17trampoline_kernelINS0_14default_configENS1_38merge_sort_block_merge_config_selectorIilEEZZNS1_27merge_sort_block_merge_implIS3_PiN6thrust23THRUST_200600_302600_NS10device_ptrIlEEjNS1_19radix_merge_compareILb0ELb0EiNS0_19identity_decomposerEEEEE10hipError_tT0_T1_T2_jT3_P12ihipStream_tbPNSt15iterator_traitsISG_E10value_typeEPNSM_ISH_E10value_typeEPSI_NS1_7vsmem_tEENKUlT_SG_SH_SI_E_clIS7_S7_SB_PlEESF_SV_SG_SH_SI_EUlSV_E1_NS1_11comp_targetILNS1_3genE0ELNS1_11target_archE4294967295ELNS1_3gpuE0ELNS1_3repE0EEENS1_36merge_oddeven_config_static_selectorELNS0_4arch9wavefront6targetE1EEEvSH_, .Lfunc_end784-_ZN7rocprim17ROCPRIM_400000_NS6detail17trampoline_kernelINS0_14default_configENS1_38merge_sort_block_merge_config_selectorIilEEZZNS1_27merge_sort_block_merge_implIS3_PiN6thrust23THRUST_200600_302600_NS10device_ptrIlEEjNS1_19radix_merge_compareILb0ELb0EiNS0_19identity_decomposerEEEEE10hipError_tT0_T1_T2_jT3_P12ihipStream_tbPNSt15iterator_traitsISG_E10value_typeEPNSM_ISH_E10value_typeEPSI_NS1_7vsmem_tEENKUlT_SG_SH_SI_E_clIS7_S7_SB_PlEESF_SV_SG_SH_SI_EUlSV_E1_NS1_11comp_targetILNS1_3genE0ELNS1_11target_archE4294967295ELNS1_3gpuE0ELNS1_3repE0EEENS1_36merge_oddeven_config_static_selectorELNS0_4arch9wavefront6targetE1EEEvSH_
                                        ; -- End function
	.set _ZN7rocprim17ROCPRIM_400000_NS6detail17trampoline_kernelINS0_14default_configENS1_38merge_sort_block_merge_config_selectorIilEEZZNS1_27merge_sort_block_merge_implIS3_PiN6thrust23THRUST_200600_302600_NS10device_ptrIlEEjNS1_19radix_merge_compareILb0ELb0EiNS0_19identity_decomposerEEEEE10hipError_tT0_T1_T2_jT3_P12ihipStream_tbPNSt15iterator_traitsISG_E10value_typeEPNSM_ISH_E10value_typeEPSI_NS1_7vsmem_tEENKUlT_SG_SH_SI_E_clIS7_S7_SB_PlEESF_SV_SG_SH_SI_EUlSV_E1_NS1_11comp_targetILNS1_3genE0ELNS1_11target_archE4294967295ELNS1_3gpuE0ELNS1_3repE0EEENS1_36merge_oddeven_config_static_selectorELNS0_4arch9wavefront6targetE1EEEvSH_.num_vgpr, 0
	.set _ZN7rocprim17ROCPRIM_400000_NS6detail17trampoline_kernelINS0_14default_configENS1_38merge_sort_block_merge_config_selectorIilEEZZNS1_27merge_sort_block_merge_implIS3_PiN6thrust23THRUST_200600_302600_NS10device_ptrIlEEjNS1_19radix_merge_compareILb0ELb0EiNS0_19identity_decomposerEEEEE10hipError_tT0_T1_T2_jT3_P12ihipStream_tbPNSt15iterator_traitsISG_E10value_typeEPNSM_ISH_E10value_typeEPSI_NS1_7vsmem_tEENKUlT_SG_SH_SI_E_clIS7_S7_SB_PlEESF_SV_SG_SH_SI_EUlSV_E1_NS1_11comp_targetILNS1_3genE0ELNS1_11target_archE4294967295ELNS1_3gpuE0ELNS1_3repE0EEENS1_36merge_oddeven_config_static_selectorELNS0_4arch9wavefront6targetE1EEEvSH_.num_agpr, 0
	.set _ZN7rocprim17ROCPRIM_400000_NS6detail17trampoline_kernelINS0_14default_configENS1_38merge_sort_block_merge_config_selectorIilEEZZNS1_27merge_sort_block_merge_implIS3_PiN6thrust23THRUST_200600_302600_NS10device_ptrIlEEjNS1_19radix_merge_compareILb0ELb0EiNS0_19identity_decomposerEEEEE10hipError_tT0_T1_T2_jT3_P12ihipStream_tbPNSt15iterator_traitsISG_E10value_typeEPNSM_ISH_E10value_typeEPSI_NS1_7vsmem_tEENKUlT_SG_SH_SI_E_clIS7_S7_SB_PlEESF_SV_SG_SH_SI_EUlSV_E1_NS1_11comp_targetILNS1_3genE0ELNS1_11target_archE4294967295ELNS1_3gpuE0ELNS1_3repE0EEENS1_36merge_oddeven_config_static_selectorELNS0_4arch9wavefront6targetE1EEEvSH_.numbered_sgpr, 0
	.set _ZN7rocprim17ROCPRIM_400000_NS6detail17trampoline_kernelINS0_14default_configENS1_38merge_sort_block_merge_config_selectorIilEEZZNS1_27merge_sort_block_merge_implIS3_PiN6thrust23THRUST_200600_302600_NS10device_ptrIlEEjNS1_19radix_merge_compareILb0ELb0EiNS0_19identity_decomposerEEEEE10hipError_tT0_T1_T2_jT3_P12ihipStream_tbPNSt15iterator_traitsISG_E10value_typeEPNSM_ISH_E10value_typeEPSI_NS1_7vsmem_tEENKUlT_SG_SH_SI_E_clIS7_S7_SB_PlEESF_SV_SG_SH_SI_EUlSV_E1_NS1_11comp_targetILNS1_3genE0ELNS1_11target_archE4294967295ELNS1_3gpuE0ELNS1_3repE0EEENS1_36merge_oddeven_config_static_selectorELNS0_4arch9wavefront6targetE1EEEvSH_.num_named_barrier, 0
	.set _ZN7rocprim17ROCPRIM_400000_NS6detail17trampoline_kernelINS0_14default_configENS1_38merge_sort_block_merge_config_selectorIilEEZZNS1_27merge_sort_block_merge_implIS3_PiN6thrust23THRUST_200600_302600_NS10device_ptrIlEEjNS1_19radix_merge_compareILb0ELb0EiNS0_19identity_decomposerEEEEE10hipError_tT0_T1_T2_jT3_P12ihipStream_tbPNSt15iterator_traitsISG_E10value_typeEPNSM_ISH_E10value_typeEPSI_NS1_7vsmem_tEENKUlT_SG_SH_SI_E_clIS7_S7_SB_PlEESF_SV_SG_SH_SI_EUlSV_E1_NS1_11comp_targetILNS1_3genE0ELNS1_11target_archE4294967295ELNS1_3gpuE0ELNS1_3repE0EEENS1_36merge_oddeven_config_static_selectorELNS0_4arch9wavefront6targetE1EEEvSH_.private_seg_size, 0
	.set _ZN7rocprim17ROCPRIM_400000_NS6detail17trampoline_kernelINS0_14default_configENS1_38merge_sort_block_merge_config_selectorIilEEZZNS1_27merge_sort_block_merge_implIS3_PiN6thrust23THRUST_200600_302600_NS10device_ptrIlEEjNS1_19radix_merge_compareILb0ELb0EiNS0_19identity_decomposerEEEEE10hipError_tT0_T1_T2_jT3_P12ihipStream_tbPNSt15iterator_traitsISG_E10value_typeEPNSM_ISH_E10value_typeEPSI_NS1_7vsmem_tEENKUlT_SG_SH_SI_E_clIS7_S7_SB_PlEESF_SV_SG_SH_SI_EUlSV_E1_NS1_11comp_targetILNS1_3genE0ELNS1_11target_archE4294967295ELNS1_3gpuE0ELNS1_3repE0EEENS1_36merge_oddeven_config_static_selectorELNS0_4arch9wavefront6targetE1EEEvSH_.uses_vcc, 0
	.set _ZN7rocprim17ROCPRIM_400000_NS6detail17trampoline_kernelINS0_14default_configENS1_38merge_sort_block_merge_config_selectorIilEEZZNS1_27merge_sort_block_merge_implIS3_PiN6thrust23THRUST_200600_302600_NS10device_ptrIlEEjNS1_19radix_merge_compareILb0ELb0EiNS0_19identity_decomposerEEEEE10hipError_tT0_T1_T2_jT3_P12ihipStream_tbPNSt15iterator_traitsISG_E10value_typeEPNSM_ISH_E10value_typeEPSI_NS1_7vsmem_tEENKUlT_SG_SH_SI_E_clIS7_S7_SB_PlEESF_SV_SG_SH_SI_EUlSV_E1_NS1_11comp_targetILNS1_3genE0ELNS1_11target_archE4294967295ELNS1_3gpuE0ELNS1_3repE0EEENS1_36merge_oddeven_config_static_selectorELNS0_4arch9wavefront6targetE1EEEvSH_.uses_flat_scratch, 0
	.set _ZN7rocprim17ROCPRIM_400000_NS6detail17trampoline_kernelINS0_14default_configENS1_38merge_sort_block_merge_config_selectorIilEEZZNS1_27merge_sort_block_merge_implIS3_PiN6thrust23THRUST_200600_302600_NS10device_ptrIlEEjNS1_19radix_merge_compareILb0ELb0EiNS0_19identity_decomposerEEEEE10hipError_tT0_T1_T2_jT3_P12ihipStream_tbPNSt15iterator_traitsISG_E10value_typeEPNSM_ISH_E10value_typeEPSI_NS1_7vsmem_tEENKUlT_SG_SH_SI_E_clIS7_S7_SB_PlEESF_SV_SG_SH_SI_EUlSV_E1_NS1_11comp_targetILNS1_3genE0ELNS1_11target_archE4294967295ELNS1_3gpuE0ELNS1_3repE0EEENS1_36merge_oddeven_config_static_selectorELNS0_4arch9wavefront6targetE1EEEvSH_.has_dyn_sized_stack, 0
	.set _ZN7rocprim17ROCPRIM_400000_NS6detail17trampoline_kernelINS0_14default_configENS1_38merge_sort_block_merge_config_selectorIilEEZZNS1_27merge_sort_block_merge_implIS3_PiN6thrust23THRUST_200600_302600_NS10device_ptrIlEEjNS1_19radix_merge_compareILb0ELb0EiNS0_19identity_decomposerEEEEE10hipError_tT0_T1_T2_jT3_P12ihipStream_tbPNSt15iterator_traitsISG_E10value_typeEPNSM_ISH_E10value_typeEPSI_NS1_7vsmem_tEENKUlT_SG_SH_SI_E_clIS7_S7_SB_PlEESF_SV_SG_SH_SI_EUlSV_E1_NS1_11comp_targetILNS1_3genE0ELNS1_11target_archE4294967295ELNS1_3gpuE0ELNS1_3repE0EEENS1_36merge_oddeven_config_static_selectorELNS0_4arch9wavefront6targetE1EEEvSH_.has_recursion, 0
	.set _ZN7rocprim17ROCPRIM_400000_NS6detail17trampoline_kernelINS0_14default_configENS1_38merge_sort_block_merge_config_selectorIilEEZZNS1_27merge_sort_block_merge_implIS3_PiN6thrust23THRUST_200600_302600_NS10device_ptrIlEEjNS1_19radix_merge_compareILb0ELb0EiNS0_19identity_decomposerEEEEE10hipError_tT0_T1_T2_jT3_P12ihipStream_tbPNSt15iterator_traitsISG_E10value_typeEPNSM_ISH_E10value_typeEPSI_NS1_7vsmem_tEENKUlT_SG_SH_SI_E_clIS7_S7_SB_PlEESF_SV_SG_SH_SI_EUlSV_E1_NS1_11comp_targetILNS1_3genE0ELNS1_11target_archE4294967295ELNS1_3gpuE0ELNS1_3repE0EEENS1_36merge_oddeven_config_static_selectorELNS0_4arch9wavefront6targetE1EEEvSH_.has_indirect_call, 0
	.section	.AMDGPU.csdata,"",@progbits
; Kernel info:
; codeLenInByte = 0
; TotalNumSgprs: 4
; NumVgprs: 0
; ScratchSize: 0
; MemoryBound: 0
; FloatMode: 240
; IeeeMode: 1
; LDSByteSize: 0 bytes/workgroup (compile time only)
; SGPRBlocks: 0
; VGPRBlocks: 0
; NumSGPRsForWavesPerEU: 4
; NumVGPRsForWavesPerEU: 1
; Occupancy: 10
; WaveLimiterHint : 0
; COMPUTE_PGM_RSRC2:SCRATCH_EN: 0
; COMPUTE_PGM_RSRC2:USER_SGPR: 6
; COMPUTE_PGM_RSRC2:TRAP_HANDLER: 0
; COMPUTE_PGM_RSRC2:TGID_X_EN: 1
; COMPUTE_PGM_RSRC2:TGID_Y_EN: 0
; COMPUTE_PGM_RSRC2:TGID_Z_EN: 0
; COMPUTE_PGM_RSRC2:TIDIG_COMP_CNT: 0
	.section	.text._ZN7rocprim17ROCPRIM_400000_NS6detail17trampoline_kernelINS0_14default_configENS1_38merge_sort_block_merge_config_selectorIilEEZZNS1_27merge_sort_block_merge_implIS3_PiN6thrust23THRUST_200600_302600_NS10device_ptrIlEEjNS1_19radix_merge_compareILb0ELb0EiNS0_19identity_decomposerEEEEE10hipError_tT0_T1_T2_jT3_P12ihipStream_tbPNSt15iterator_traitsISG_E10value_typeEPNSM_ISH_E10value_typeEPSI_NS1_7vsmem_tEENKUlT_SG_SH_SI_E_clIS7_S7_SB_PlEESF_SV_SG_SH_SI_EUlSV_E1_NS1_11comp_targetILNS1_3genE10ELNS1_11target_archE1201ELNS1_3gpuE5ELNS1_3repE0EEENS1_36merge_oddeven_config_static_selectorELNS0_4arch9wavefront6targetE1EEEvSH_,"axG",@progbits,_ZN7rocprim17ROCPRIM_400000_NS6detail17trampoline_kernelINS0_14default_configENS1_38merge_sort_block_merge_config_selectorIilEEZZNS1_27merge_sort_block_merge_implIS3_PiN6thrust23THRUST_200600_302600_NS10device_ptrIlEEjNS1_19radix_merge_compareILb0ELb0EiNS0_19identity_decomposerEEEEE10hipError_tT0_T1_T2_jT3_P12ihipStream_tbPNSt15iterator_traitsISG_E10value_typeEPNSM_ISH_E10value_typeEPSI_NS1_7vsmem_tEENKUlT_SG_SH_SI_E_clIS7_S7_SB_PlEESF_SV_SG_SH_SI_EUlSV_E1_NS1_11comp_targetILNS1_3genE10ELNS1_11target_archE1201ELNS1_3gpuE5ELNS1_3repE0EEENS1_36merge_oddeven_config_static_selectorELNS0_4arch9wavefront6targetE1EEEvSH_,comdat
	.protected	_ZN7rocprim17ROCPRIM_400000_NS6detail17trampoline_kernelINS0_14default_configENS1_38merge_sort_block_merge_config_selectorIilEEZZNS1_27merge_sort_block_merge_implIS3_PiN6thrust23THRUST_200600_302600_NS10device_ptrIlEEjNS1_19radix_merge_compareILb0ELb0EiNS0_19identity_decomposerEEEEE10hipError_tT0_T1_T2_jT3_P12ihipStream_tbPNSt15iterator_traitsISG_E10value_typeEPNSM_ISH_E10value_typeEPSI_NS1_7vsmem_tEENKUlT_SG_SH_SI_E_clIS7_S7_SB_PlEESF_SV_SG_SH_SI_EUlSV_E1_NS1_11comp_targetILNS1_3genE10ELNS1_11target_archE1201ELNS1_3gpuE5ELNS1_3repE0EEENS1_36merge_oddeven_config_static_selectorELNS0_4arch9wavefront6targetE1EEEvSH_ ; -- Begin function _ZN7rocprim17ROCPRIM_400000_NS6detail17trampoline_kernelINS0_14default_configENS1_38merge_sort_block_merge_config_selectorIilEEZZNS1_27merge_sort_block_merge_implIS3_PiN6thrust23THRUST_200600_302600_NS10device_ptrIlEEjNS1_19radix_merge_compareILb0ELb0EiNS0_19identity_decomposerEEEEE10hipError_tT0_T1_T2_jT3_P12ihipStream_tbPNSt15iterator_traitsISG_E10value_typeEPNSM_ISH_E10value_typeEPSI_NS1_7vsmem_tEENKUlT_SG_SH_SI_E_clIS7_S7_SB_PlEESF_SV_SG_SH_SI_EUlSV_E1_NS1_11comp_targetILNS1_3genE10ELNS1_11target_archE1201ELNS1_3gpuE5ELNS1_3repE0EEENS1_36merge_oddeven_config_static_selectorELNS0_4arch9wavefront6targetE1EEEvSH_
	.globl	_ZN7rocprim17ROCPRIM_400000_NS6detail17trampoline_kernelINS0_14default_configENS1_38merge_sort_block_merge_config_selectorIilEEZZNS1_27merge_sort_block_merge_implIS3_PiN6thrust23THRUST_200600_302600_NS10device_ptrIlEEjNS1_19radix_merge_compareILb0ELb0EiNS0_19identity_decomposerEEEEE10hipError_tT0_T1_T2_jT3_P12ihipStream_tbPNSt15iterator_traitsISG_E10value_typeEPNSM_ISH_E10value_typeEPSI_NS1_7vsmem_tEENKUlT_SG_SH_SI_E_clIS7_S7_SB_PlEESF_SV_SG_SH_SI_EUlSV_E1_NS1_11comp_targetILNS1_3genE10ELNS1_11target_archE1201ELNS1_3gpuE5ELNS1_3repE0EEENS1_36merge_oddeven_config_static_selectorELNS0_4arch9wavefront6targetE1EEEvSH_
	.p2align	8
	.type	_ZN7rocprim17ROCPRIM_400000_NS6detail17trampoline_kernelINS0_14default_configENS1_38merge_sort_block_merge_config_selectorIilEEZZNS1_27merge_sort_block_merge_implIS3_PiN6thrust23THRUST_200600_302600_NS10device_ptrIlEEjNS1_19radix_merge_compareILb0ELb0EiNS0_19identity_decomposerEEEEE10hipError_tT0_T1_T2_jT3_P12ihipStream_tbPNSt15iterator_traitsISG_E10value_typeEPNSM_ISH_E10value_typeEPSI_NS1_7vsmem_tEENKUlT_SG_SH_SI_E_clIS7_S7_SB_PlEESF_SV_SG_SH_SI_EUlSV_E1_NS1_11comp_targetILNS1_3genE10ELNS1_11target_archE1201ELNS1_3gpuE5ELNS1_3repE0EEENS1_36merge_oddeven_config_static_selectorELNS0_4arch9wavefront6targetE1EEEvSH_,@function
_ZN7rocprim17ROCPRIM_400000_NS6detail17trampoline_kernelINS0_14default_configENS1_38merge_sort_block_merge_config_selectorIilEEZZNS1_27merge_sort_block_merge_implIS3_PiN6thrust23THRUST_200600_302600_NS10device_ptrIlEEjNS1_19radix_merge_compareILb0ELb0EiNS0_19identity_decomposerEEEEE10hipError_tT0_T1_T2_jT3_P12ihipStream_tbPNSt15iterator_traitsISG_E10value_typeEPNSM_ISH_E10value_typeEPSI_NS1_7vsmem_tEENKUlT_SG_SH_SI_E_clIS7_S7_SB_PlEESF_SV_SG_SH_SI_EUlSV_E1_NS1_11comp_targetILNS1_3genE10ELNS1_11target_archE1201ELNS1_3gpuE5ELNS1_3repE0EEENS1_36merge_oddeven_config_static_selectorELNS0_4arch9wavefront6targetE1EEEvSH_: ; @_ZN7rocprim17ROCPRIM_400000_NS6detail17trampoline_kernelINS0_14default_configENS1_38merge_sort_block_merge_config_selectorIilEEZZNS1_27merge_sort_block_merge_implIS3_PiN6thrust23THRUST_200600_302600_NS10device_ptrIlEEjNS1_19radix_merge_compareILb0ELb0EiNS0_19identity_decomposerEEEEE10hipError_tT0_T1_T2_jT3_P12ihipStream_tbPNSt15iterator_traitsISG_E10value_typeEPNSM_ISH_E10value_typeEPSI_NS1_7vsmem_tEENKUlT_SG_SH_SI_E_clIS7_S7_SB_PlEESF_SV_SG_SH_SI_EUlSV_E1_NS1_11comp_targetILNS1_3genE10ELNS1_11target_archE1201ELNS1_3gpuE5ELNS1_3repE0EEENS1_36merge_oddeven_config_static_selectorELNS0_4arch9wavefront6targetE1EEEvSH_
; %bb.0:
	.section	.rodata,"a",@progbits
	.p2align	6, 0x0
	.amdhsa_kernel _ZN7rocprim17ROCPRIM_400000_NS6detail17trampoline_kernelINS0_14default_configENS1_38merge_sort_block_merge_config_selectorIilEEZZNS1_27merge_sort_block_merge_implIS3_PiN6thrust23THRUST_200600_302600_NS10device_ptrIlEEjNS1_19radix_merge_compareILb0ELb0EiNS0_19identity_decomposerEEEEE10hipError_tT0_T1_T2_jT3_P12ihipStream_tbPNSt15iterator_traitsISG_E10value_typeEPNSM_ISH_E10value_typeEPSI_NS1_7vsmem_tEENKUlT_SG_SH_SI_E_clIS7_S7_SB_PlEESF_SV_SG_SH_SI_EUlSV_E1_NS1_11comp_targetILNS1_3genE10ELNS1_11target_archE1201ELNS1_3gpuE5ELNS1_3repE0EEENS1_36merge_oddeven_config_static_selectorELNS0_4arch9wavefront6targetE1EEEvSH_
		.amdhsa_group_segment_fixed_size 0
		.amdhsa_private_segment_fixed_size 0
		.amdhsa_kernarg_size 48
		.amdhsa_user_sgpr_count 6
		.amdhsa_user_sgpr_private_segment_buffer 1
		.amdhsa_user_sgpr_dispatch_ptr 0
		.amdhsa_user_sgpr_queue_ptr 0
		.amdhsa_user_sgpr_kernarg_segment_ptr 1
		.amdhsa_user_sgpr_dispatch_id 0
		.amdhsa_user_sgpr_flat_scratch_init 0
		.amdhsa_user_sgpr_private_segment_size 0
		.amdhsa_uses_dynamic_stack 0
		.amdhsa_system_sgpr_private_segment_wavefront_offset 0
		.amdhsa_system_sgpr_workgroup_id_x 1
		.amdhsa_system_sgpr_workgroup_id_y 0
		.amdhsa_system_sgpr_workgroup_id_z 0
		.amdhsa_system_sgpr_workgroup_info 0
		.amdhsa_system_vgpr_workitem_id 0
		.amdhsa_next_free_vgpr 1
		.amdhsa_next_free_sgpr 0
		.amdhsa_reserve_vcc 0
		.amdhsa_reserve_flat_scratch 0
		.amdhsa_float_round_mode_32 0
		.amdhsa_float_round_mode_16_64 0
		.amdhsa_float_denorm_mode_32 3
		.amdhsa_float_denorm_mode_16_64 3
		.amdhsa_dx10_clamp 1
		.amdhsa_ieee_mode 1
		.amdhsa_fp16_overflow 0
		.amdhsa_exception_fp_ieee_invalid_op 0
		.amdhsa_exception_fp_denorm_src 0
		.amdhsa_exception_fp_ieee_div_zero 0
		.amdhsa_exception_fp_ieee_overflow 0
		.amdhsa_exception_fp_ieee_underflow 0
		.amdhsa_exception_fp_ieee_inexact 0
		.amdhsa_exception_int_div_zero 0
	.end_amdhsa_kernel
	.section	.text._ZN7rocprim17ROCPRIM_400000_NS6detail17trampoline_kernelINS0_14default_configENS1_38merge_sort_block_merge_config_selectorIilEEZZNS1_27merge_sort_block_merge_implIS3_PiN6thrust23THRUST_200600_302600_NS10device_ptrIlEEjNS1_19radix_merge_compareILb0ELb0EiNS0_19identity_decomposerEEEEE10hipError_tT0_T1_T2_jT3_P12ihipStream_tbPNSt15iterator_traitsISG_E10value_typeEPNSM_ISH_E10value_typeEPSI_NS1_7vsmem_tEENKUlT_SG_SH_SI_E_clIS7_S7_SB_PlEESF_SV_SG_SH_SI_EUlSV_E1_NS1_11comp_targetILNS1_3genE10ELNS1_11target_archE1201ELNS1_3gpuE5ELNS1_3repE0EEENS1_36merge_oddeven_config_static_selectorELNS0_4arch9wavefront6targetE1EEEvSH_,"axG",@progbits,_ZN7rocprim17ROCPRIM_400000_NS6detail17trampoline_kernelINS0_14default_configENS1_38merge_sort_block_merge_config_selectorIilEEZZNS1_27merge_sort_block_merge_implIS3_PiN6thrust23THRUST_200600_302600_NS10device_ptrIlEEjNS1_19radix_merge_compareILb0ELb0EiNS0_19identity_decomposerEEEEE10hipError_tT0_T1_T2_jT3_P12ihipStream_tbPNSt15iterator_traitsISG_E10value_typeEPNSM_ISH_E10value_typeEPSI_NS1_7vsmem_tEENKUlT_SG_SH_SI_E_clIS7_S7_SB_PlEESF_SV_SG_SH_SI_EUlSV_E1_NS1_11comp_targetILNS1_3genE10ELNS1_11target_archE1201ELNS1_3gpuE5ELNS1_3repE0EEENS1_36merge_oddeven_config_static_selectorELNS0_4arch9wavefront6targetE1EEEvSH_,comdat
.Lfunc_end785:
	.size	_ZN7rocprim17ROCPRIM_400000_NS6detail17trampoline_kernelINS0_14default_configENS1_38merge_sort_block_merge_config_selectorIilEEZZNS1_27merge_sort_block_merge_implIS3_PiN6thrust23THRUST_200600_302600_NS10device_ptrIlEEjNS1_19radix_merge_compareILb0ELb0EiNS0_19identity_decomposerEEEEE10hipError_tT0_T1_T2_jT3_P12ihipStream_tbPNSt15iterator_traitsISG_E10value_typeEPNSM_ISH_E10value_typeEPSI_NS1_7vsmem_tEENKUlT_SG_SH_SI_E_clIS7_S7_SB_PlEESF_SV_SG_SH_SI_EUlSV_E1_NS1_11comp_targetILNS1_3genE10ELNS1_11target_archE1201ELNS1_3gpuE5ELNS1_3repE0EEENS1_36merge_oddeven_config_static_selectorELNS0_4arch9wavefront6targetE1EEEvSH_, .Lfunc_end785-_ZN7rocprim17ROCPRIM_400000_NS6detail17trampoline_kernelINS0_14default_configENS1_38merge_sort_block_merge_config_selectorIilEEZZNS1_27merge_sort_block_merge_implIS3_PiN6thrust23THRUST_200600_302600_NS10device_ptrIlEEjNS1_19radix_merge_compareILb0ELb0EiNS0_19identity_decomposerEEEEE10hipError_tT0_T1_T2_jT3_P12ihipStream_tbPNSt15iterator_traitsISG_E10value_typeEPNSM_ISH_E10value_typeEPSI_NS1_7vsmem_tEENKUlT_SG_SH_SI_E_clIS7_S7_SB_PlEESF_SV_SG_SH_SI_EUlSV_E1_NS1_11comp_targetILNS1_3genE10ELNS1_11target_archE1201ELNS1_3gpuE5ELNS1_3repE0EEENS1_36merge_oddeven_config_static_selectorELNS0_4arch9wavefront6targetE1EEEvSH_
                                        ; -- End function
	.set _ZN7rocprim17ROCPRIM_400000_NS6detail17trampoline_kernelINS0_14default_configENS1_38merge_sort_block_merge_config_selectorIilEEZZNS1_27merge_sort_block_merge_implIS3_PiN6thrust23THRUST_200600_302600_NS10device_ptrIlEEjNS1_19radix_merge_compareILb0ELb0EiNS0_19identity_decomposerEEEEE10hipError_tT0_T1_T2_jT3_P12ihipStream_tbPNSt15iterator_traitsISG_E10value_typeEPNSM_ISH_E10value_typeEPSI_NS1_7vsmem_tEENKUlT_SG_SH_SI_E_clIS7_S7_SB_PlEESF_SV_SG_SH_SI_EUlSV_E1_NS1_11comp_targetILNS1_3genE10ELNS1_11target_archE1201ELNS1_3gpuE5ELNS1_3repE0EEENS1_36merge_oddeven_config_static_selectorELNS0_4arch9wavefront6targetE1EEEvSH_.num_vgpr, 0
	.set _ZN7rocprim17ROCPRIM_400000_NS6detail17trampoline_kernelINS0_14default_configENS1_38merge_sort_block_merge_config_selectorIilEEZZNS1_27merge_sort_block_merge_implIS3_PiN6thrust23THRUST_200600_302600_NS10device_ptrIlEEjNS1_19radix_merge_compareILb0ELb0EiNS0_19identity_decomposerEEEEE10hipError_tT0_T1_T2_jT3_P12ihipStream_tbPNSt15iterator_traitsISG_E10value_typeEPNSM_ISH_E10value_typeEPSI_NS1_7vsmem_tEENKUlT_SG_SH_SI_E_clIS7_S7_SB_PlEESF_SV_SG_SH_SI_EUlSV_E1_NS1_11comp_targetILNS1_3genE10ELNS1_11target_archE1201ELNS1_3gpuE5ELNS1_3repE0EEENS1_36merge_oddeven_config_static_selectorELNS0_4arch9wavefront6targetE1EEEvSH_.num_agpr, 0
	.set _ZN7rocprim17ROCPRIM_400000_NS6detail17trampoline_kernelINS0_14default_configENS1_38merge_sort_block_merge_config_selectorIilEEZZNS1_27merge_sort_block_merge_implIS3_PiN6thrust23THRUST_200600_302600_NS10device_ptrIlEEjNS1_19radix_merge_compareILb0ELb0EiNS0_19identity_decomposerEEEEE10hipError_tT0_T1_T2_jT3_P12ihipStream_tbPNSt15iterator_traitsISG_E10value_typeEPNSM_ISH_E10value_typeEPSI_NS1_7vsmem_tEENKUlT_SG_SH_SI_E_clIS7_S7_SB_PlEESF_SV_SG_SH_SI_EUlSV_E1_NS1_11comp_targetILNS1_3genE10ELNS1_11target_archE1201ELNS1_3gpuE5ELNS1_3repE0EEENS1_36merge_oddeven_config_static_selectorELNS0_4arch9wavefront6targetE1EEEvSH_.numbered_sgpr, 0
	.set _ZN7rocprim17ROCPRIM_400000_NS6detail17trampoline_kernelINS0_14default_configENS1_38merge_sort_block_merge_config_selectorIilEEZZNS1_27merge_sort_block_merge_implIS3_PiN6thrust23THRUST_200600_302600_NS10device_ptrIlEEjNS1_19radix_merge_compareILb0ELb0EiNS0_19identity_decomposerEEEEE10hipError_tT0_T1_T2_jT3_P12ihipStream_tbPNSt15iterator_traitsISG_E10value_typeEPNSM_ISH_E10value_typeEPSI_NS1_7vsmem_tEENKUlT_SG_SH_SI_E_clIS7_S7_SB_PlEESF_SV_SG_SH_SI_EUlSV_E1_NS1_11comp_targetILNS1_3genE10ELNS1_11target_archE1201ELNS1_3gpuE5ELNS1_3repE0EEENS1_36merge_oddeven_config_static_selectorELNS0_4arch9wavefront6targetE1EEEvSH_.num_named_barrier, 0
	.set _ZN7rocprim17ROCPRIM_400000_NS6detail17trampoline_kernelINS0_14default_configENS1_38merge_sort_block_merge_config_selectorIilEEZZNS1_27merge_sort_block_merge_implIS3_PiN6thrust23THRUST_200600_302600_NS10device_ptrIlEEjNS1_19radix_merge_compareILb0ELb0EiNS0_19identity_decomposerEEEEE10hipError_tT0_T1_T2_jT3_P12ihipStream_tbPNSt15iterator_traitsISG_E10value_typeEPNSM_ISH_E10value_typeEPSI_NS1_7vsmem_tEENKUlT_SG_SH_SI_E_clIS7_S7_SB_PlEESF_SV_SG_SH_SI_EUlSV_E1_NS1_11comp_targetILNS1_3genE10ELNS1_11target_archE1201ELNS1_3gpuE5ELNS1_3repE0EEENS1_36merge_oddeven_config_static_selectorELNS0_4arch9wavefront6targetE1EEEvSH_.private_seg_size, 0
	.set _ZN7rocprim17ROCPRIM_400000_NS6detail17trampoline_kernelINS0_14default_configENS1_38merge_sort_block_merge_config_selectorIilEEZZNS1_27merge_sort_block_merge_implIS3_PiN6thrust23THRUST_200600_302600_NS10device_ptrIlEEjNS1_19radix_merge_compareILb0ELb0EiNS0_19identity_decomposerEEEEE10hipError_tT0_T1_T2_jT3_P12ihipStream_tbPNSt15iterator_traitsISG_E10value_typeEPNSM_ISH_E10value_typeEPSI_NS1_7vsmem_tEENKUlT_SG_SH_SI_E_clIS7_S7_SB_PlEESF_SV_SG_SH_SI_EUlSV_E1_NS1_11comp_targetILNS1_3genE10ELNS1_11target_archE1201ELNS1_3gpuE5ELNS1_3repE0EEENS1_36merge_oddeven_config_static_selectorELNS0_4arch9wavefront6targetE1EEEvSH_.uses_vcc, 0
	.set _ZN7rocprim17ROCPRIM_400000_NS6detail17trampoline_kernelINS0_14default_configENS1_38merge_sort_block_merge_config_selectorIilEEZZNS1_27merge_sort_block_merge_implIS3_PiN6thrust23THRUST_200600_302600_NS10device_ptrIlEEjNS1_19radix_merge_compareILb0ELb0EiNS0_19identity_decomposerEEEEE10hipError_tT0_T1_T2_jT3_P12ihipStream_tbPNSt15iterator_traitsISG_E10value_typeEPNSM_ISH_E10value_typeEPSI_NS1_7vsmem_tEENKUlT_SG_SH_SI_E_clIS7_S7_SB_PlEESF_SV_SG_SH_SI_EUlSV_E1_NS1_11comp_targetILNS1_3genE10ELNS1_11target_archE1201ELNS1_3gpuE5ELNS1_3repE0EEENS1_36merge_oddeven_config_static_selectorELNS0_4arch9wavefront6targetE1EEEvSH_.uses_flat_scratch, 0
	.set _ZN7rocprim17ROCPRIM_400000_NS6detail17trampoline_kernelINS0_14default_configENS1_38merge_sort_block_merge_config_selectorIilEEZZNS1_27merge_sort_block_merge_implIS3_PiN6thrust23THRUST_200600_302600_NS10device_ptrIlEEjNS1_19radix_merge_compareILb0ELb0EiNS0_19identity_decomposerEEEEE10hipError_tT0_T1_T2_jT3_P12ihipStream_tbPNSt15iterator_traitsISG_E10value_typeEPNSM_ISH_E10value_typeEPSI_NS1_7vsmem_tEENKUlT_SG_SH_SI_E_clIS7_S7_SB_PlEESF_SV_SG_SH_SI_EUlSV_E1_NS1_11comp_targetILNS1_3genE10ELNS1_11target_archE1201ELNS1_3gpuE5ELNS1_3repE0EEENS1_36merge_oddeven_config_static_selectorELNS0_4arch9wavefront6targetE1EEEvSH_.has_dyn_sized_stack, 0
	.set _ZN7rocprim17ROCPRIM_400000_NS6detail17trampoline_kernelINS0_14default_configENS1_38merge_sort_block_merge_config_selectorIilEEZZNS1_27merge_sort_block_merge_implIS3_PiN6thrust23THRUST_200600_302600_NS10device_ptrIlEEjNS1_19radix_merge_compareILb0ELb0EiNS0_19identity_decomposerEEEEE10hipError_tT0_T1_T2_jT3_P12ihipStream_tbPNSt15iterator_traitsISG_E10value_typeEPNSM_ISH_E10value_typeEPSI_NS1_7vsmem_tEENKUlT_SG_SH_SI_E_clIS7_S7_SB_PlEESF_SV_SG_SH_SI_EUlSV_E1_NS1_11comp_targetILNS1_3genE10ELNS1_11target_archE1201ELNS1_3gpuE5ELNS1_3repE0EEENS1_36merge_oddeven_config_static_selectorELNS0_4arch9wavefront6targetE1EEEvSH_.has_recursion, 0
	.set _ZN7rocprim17ROCPRIM_400000_NS6detail17trampoline_kernelINS0_14default_configENS1_38merge_sort_block_merge_config_selectorIilEEZZNS1_27merge_sort_block_merge_implIS3_PiN6thrust23THRUST_200600_302600_NS10device_ptrIlEEjNS1_19radix_merge_compareILb0ELb0EiNS0_19identity_decomposerEEEEE10hipError_tT0_T1_T2_jT3_P12ihipStream_tbPNSt15iterator_traitsISG_E10value_typeEPNSM_ISH_E10value_typeEPSI_NS1_7vsmem_tEENKUlT_SG_SH_SI_E_clIS7_S7_SB_PlEESF_SV_SG_SH_SI_EUlSV_E1_NS1_11comp_targetILNS1_3genE10ELNS1_11target_archE1201ELNS1_3gpuE5ELNS1_3repE0EEENS1_36merge_oddeven_config_static_selectorELNS0_4arch9wavefront6targetE1EEEvSH_.has_indirect_call, 0
	.section	.AMDGPU.csdata,"",@progbits
; Kernel info:
; codeLenInByte = 0
; TotalNumSgprs: 4
; NumVgprs: 0
; ScratchSize: 0
; MemoryBound: 0
; FloatMode: 240
; IeeeMode: 1
; LDSByteSize: 0 bytes/workgroup (compile time only)
; SGPRBlocks: 0
; VGPRBlocks: 0
; NumSGPRsForWavesPerEU: 4
; NumVGPRsForWavesPerEU: 1
; Occupancy: 10
; WaveLimiterHint : 0
; COMPUTE_PGM_RSRC2:SCRATCH_EN: 0
; COMPUTE_PGM_RSRC2:USER_SGPR: 6
; COMPUTE_PGM_RSRC2:TRAP_HANDLER: 0
; COMPUTE_PGM_RSRC2:TGID_X_EN: 1
; COMPUTE_PGM_RSRC2:TGID_Y_EN: 0
; COMPUTE_PGM_RSRC2:TGID_Z_EN: 0
; COMPUTE_PGM_RSRC2:TIDIG_COMP_CNT: 0
	.section	.text._ZN7rocprim17ROCPRIM_400000_NS6detail17trampoline_kernelINS0_14default_configENS1_38merge_sort_block_merge_config_selectorIilEEZZNS1_27merge_sort_block_merge_implIS3_PiN6thrust23THRUST_200600_302600_NS10device_ptrIlEEjNS1_19radix_merge_compareILb0ELb0EiNS0_19identity_decomposerEEEEE10hipError_tT0_T1_T2_jT3_P12ihipStream_tbPNSt15iterator_traitsISG_E10value_typeEPNSM_ISH_E10value_typeEPSI_NS1_7vsmem_tEENKUlT_SG_SH_SI_E_clIS7_S7_SB_PlEESF_SV_SG_SH_SI_EUlSV_E1_NS1_11comp_targetILNS1_3genE5ELNS1_11target_archE942ELNS1_3gpuE9ELNS1_3repE0EEENS1_36merge_oddeven_config_static_selectorELNS0_4arch9wavefront6targetE1EEEvSH_,"axG",@progbits,_ZN7rocprim17ROCPRIM_400000_NS6detail17trampoline_kernelINS0_14default_configENS1_38merge_sort_block_merge_config_selectorIilEEZZNS1_27merge_sort_block_merge_implIS3_PiN6thrust23THRUST_200600_302600_NS10device_ptrIlEEjNS1_19radix_merge_compareILb0ELb0EiNS0_19identity_decomposerEEEEE10hipError_tT0_T1_T2_jT3_P12ihipStream_tbPNSt15iterator_traitsISG_E10value_typeEPNSM_ISH_E10value_typeEPSI_NS1_7vsmem_tEENKUlT_SG_SH_SI_E_clIS7_S7_SB_PlEESF_SV_SG_SH_SI_EUlSV_E1_NS1_11comp_targetILNS1_3genE5ELNS1_11target_archE942ELNS1_3gpuE9ELNS1_3repE0EEENS1_36merge_oddeven_config_static_selectorELNS0_4arch9wavefront6targetE1EEEvSH_,comdat
	.protected	_ZN7rocprim17ROCPRIM_400000_NS6detail17trampoline_kernelINS0_14default_configENS1_38merge_sort_block_merge_config_selectorIilEEZZNS1_27merge_sort_block_merge_implIS3_PiN6thrust23THRUST_200600_302600_NS10device_ptrIlEEjNS1_19radix_merge_compareILb0ELb0EiNS0_19identity_decomposerEEEEE10hipError_tT0_T1_T2_jT3_P12ihipStream_tbPNSt15iterator_traitsISG_E10value_typeEPNSM_ISH_E10value_typeEPSI_NS1_7vsmem_tEENKUlT_SG_SH_SI_E_clIS7_S7_SB_PlEESF_SV_SG_SH_SI_EUlSV_E1_NS1_11comp_targetILNS1_3genE5ELNS1_11target_archE942ELNS1_3gpuE9ELNS1_3repE0EEENS1_36merge_oddeven_config_static_selectorELNS0_4arch9wavefront6targetE1EEEvSH_ ; -- Begin function _ZN7rocprim17ROCPRIM_400000_NS6detail17trampoline_kernelINS0_14default_configENS1_38merge_sort_block_merge_config_selectorIilEEZZNS1_27merge_sort_block_merge_implIS3_PiN6thrust23THRUST_200600_302600_NS10device_ptrIlEEjNS1_19radix_merge_compareILb0ELb0EiNS0_19identity_decomposerEEEEE10hipError_tT0_T1_T2_jT3_P12ihipStream_tbPNSt15iterator_traitsISG_E10value_typeEPNSM_ISH_E10value_typeEPSI_NS1_7vsmem_tEENKUlT_SG_SH_SI_E_clIS7_S7_SB_PlEESF_SV_SG_SH_SI_EUlSV_E1_NS1_11comp_targetILNS1_3genE5ELNS1_11target_archE942ELNS1_3gpuE9ELNS1_3repE0EEENS1_36merge_oddeven_config_static_selectorELNS0_4arch9wavefront6targetE1EEEvSH_
	.globl	_ZN7rocprim17ROCPRIM_400000_NS6detail17trampoline_kernelINS0_14default_configENS1_38merge_sort_block_merge_config_selectorIilEEZZNS1_27merge_sort_block_merge_implIS3_PiN6thrust23THRUST_200600_302600_NS10device_ptrIlEEjNS1_19radix_merge_compareILb0ELb0EiNS0_19identity_decomposerEEEEE10hipError_tT0_T1_T2_jT3_P12ihipStream_tbPNSt15iterator_traitsISG_E10value_typeEPNSM_ISH_E10value_typeEPSI_NS1_7vsmem_tEENKUlT_SG_SH_SI_E_clIS7_S7_SB_PlEESF_SV_SG_SH_SI_EUlSV_E1_NS1_11comp_targetILNS1_3genE5ELNS1_11target_archE942ELNS1_3gpuE9ELNS1_3repE0EEENS1_36merge_oddeven_config_static_selectorELNS0_4arch9wavefront6targetE1EEEvSH_
	.p2align	8
	.type	_ZN7rocprim17ROCPRIM_400000_NS6detail17trampoline_kernelINS0_14default_configENS1_38merge_sort_block_merge_config_selectorIilEEZZNS1_27merge_sort_block_merge_implIS3_PiN6thrust23THRUST_200600_302600_NS10device_ptrIlEEjNS1_19radix_merge_compareILb0ELb0EiNS0_19identity_decomposerEEEEE10hipError_tT0_T1_T2_jT3_P12ihipStream_tbPNSt15iterator_traitsISG_E10value_typeEPNSM_ISH_E10value_typeEPSI_NS1_7vsmem_tEENKUlT_SG_SH_SI_E_clIS7_S7_SB_PlEESF_SV_SG_SH_SI_EUlSV_E1_NS1_11comp_targetILNS1_3genE5ELNS1_11target_archE942ELNS1_3gpuE9ELNS1_3repE0EEENS1_36merge_oddeven_config_static_selectorELNS0_4arch9wavefront6targetE1EEEvSH_,@function
_ZN7rocprim17ROCPRIM_400000_NS6detail17trampoline_kernelINS0_14default_configENS1_38merge_sort_block_merge_config_selectorIilEEZZNS1_27merge_sort_block_merge_implIS3_PiN6thrust23THRUST_200600_302600_NS10device_ptrIlEEjNS1_19radix_merge_compareILb0ELb0EiNS0_19identity_decomposerEEEEE10hipError_tT0_T1_T2_jT3_P12ihipStream_tbPNSt15iterator_traitsISG_E10value_typeEPNSM_ISH_E10value_typeEPSI_NS1_7vsmem_tEENKUlT_SG_SH_SI_E_clIS7_S7_SB_PlEESF_SV_SG_SH_SI_EUlSV_E1_NS1_11comp_targetILNS1_3genE5ELNS1_11target_archE942ELNS1_3gpuE9ELNS1_3repE0EEENS1_36merge_oddeven_config_static_selectorELNS0_4arch9wavefront6targetE1EEEvSH_: ; @_ZN7rocprim17ROCPRIM_400000_NS6detail17trampoline_kernelINS0_14default_configENS1_38merge_sort_block_merge_config_selectorIilEEZZNS1_27merge_sort_block_merge_implIS3_PiN6thrust23THRUST_200600_302600_NS10device_ptrIlEEjNS1_19radix_merge_compareILb0ELb0EiNS0_19identity_decomposerEEEEE10hipError_tT0_T1_T2_jT3_P12ihipStream_tbPNSt15iterator_traitsISG_E10value_typeEPNSM_ISH_E10value_typeEPSI_NS1_7vsmem_tEENKUlT_SG_SH_SI_E_clIS7_S7_SB_PlEESF_SV_SG_SH_SI_EUlSV_E1_NS1_11comp_targetILNS1_3genE5ELNS1_11target_archE942ELNS1_3gpuE9ELNS1_3repE0EEENS1_36merge_oddeven_config_static_selectorELNS0_4arch9wavefront6targetE1EEEvSH_
; %bb.0:
	.section	.rodata,"a",@progbits
	.p2align	6, 0x0
	.amdhsa_kernel _ZN7rocprim17ROCPRIM_400000_NS6detail17trampoline_kernelINS0_14default_configENS1_38merge_sort_block_merge_config_selectorIilEEZZNS1_27merge_sort_block_merge_implIS3_PiN6thrust23THRUST_200600_302600_NS10device_ptrIlEEjNS1_19radix_merge_compareILb0ELb0EiNS0_19identity_decomposerEEEEE10hipError_tT0_T1_T2_jT3_P12ihipStream_tbPNSt15iterator_traitsISG_E10value_typeEPNSM_ISH_E10value_typeEPSI_NS1_7vsmem_tEENKUlT_SG_SH_SI_E_clIS7_S7_SB_PlEESF_SV_SG_SH_SI_EUlSV_E1_NS1_11comp_targetILNS1_3genE5ELNS1_11target_archE942ELNS1_3gpuE9ELNS1_3repE0EEENS1_36merge_oddeven_config_static_selectorELNS0_4arch9wavefront6targetE1EEEvSH_
		.amdhsa_group_segment_fixed_size 0
		.amdhsa_private_segment_fixed_size 0
		.amdhsa_kernarg_size 48
		.amdhsa_user_sgpr_count 6
		.amdhsa_user_sgpr_private_segment_buffer 1
		.amdhsa_user_sgpr_dispatch_ptr 0
		.amdhsa_user_sgpr_queue_ptr 0
		.amdhsa_user_sgpr_kernarg_segment_ptr 1
		.amdhsa_user_sgpr_dispatch_id 0
		.amdhsa_user_sgpr_flat_scratch_init 0
		.amdhsa_user_sgpr_private_segment_size 0
		.amdhsa_uses_dynamic_stack 0
		.amdhsa_system_sgpr_private_segment_wavefront_offset 0
		.amdhsa_system_sgpr_workgroup_id_x 1
		.amdhsa_system_sgpr_workgroup_id_y 0
		.amdhsa_system_sgpr_workgroup_id_z 0
		.amdhsa_system_sgpr_workgroup_info 0
		.amdhsa_system_vgpr_workitem_id 0
		.amdhsa_next_free_vgpr 1
		.amdhsa_next_free_sgpr 0
		.amdhsa_reserve_vcc 0
		.amdhsa_reserve_flat_scratch 0
		.amdhsa_float_round_mode_32 0
		.amdhsa_float_round_mode_16_64 0
		.amdhsa_float_denorm_mode_32 3
		.amdhsa_float_denorm_mode_16_64 3
		.amdhsa_dx10_clamp 1
		.amdhsa_ieee_mode 1
		.amdhsa_fp16_overflow 0
		.amdhsa_exception_fp_ieee_invalid_op 0
		.amdhsa_exception_fp_denorm_src 0
		.amdhsa_exception_fp_ieee_div_zero 0
		.amdhsa_exception_fp_ieee_overflow 0
		.amdhsa_exception_fp_ieee_underflow 0
		.amdhsa_exception_fp_ieee_inexact 0
		.amdhsa_exception_int_div_zero 0
	.end_amdhsa_kernel
	.section	.text._ZN7rocprim17ROCPRIM_400000_NS6detail17trampoline_kernelINS0_14default_configENS1_38merge_sort_block_merge_config_selectorIilEEZZNS1_27merge_sort_block_merge_implIS3_PiN6thrust23THRUST_200600_302600_NS10device_ptrIlEEjNS1_19radix_merge_compareILb0ELb0EiNS0_19identity_decomposerEEEEE10hipError_tT0_T1_T2_jT3_P12ihipStream_tbPNSt15iterator_traitsISG_E10value_typeEPNSM_ISH_E10value_typeEPSI_NS1_7vsmem_tEENKUlT_SG_SH_SI_E_clIS7_S7_SB_PlEESF_SV_SG_SH_SI_EUlSV_E1_NS1_11comp_targetILNS1_3genE5ELNS1_11target_archE942ELNS1_3gpuE9ELNS1_3repE0EEENS1_36merge_oddeven_config_static_selectorELNS0_4arch9wavefront6targetE1EEEvSH_,"axG",@progbits,_ZN7rocprim17ROCPRIM_400000_NS6detail17trampoline_kernelINS0_14default_configENS1_38merge_sort_block_merge_config_selectorIilEEZZNS1_27merge_sort_block_merge_implIS3_PiN6thrust23THRUST_200600_302600_NS10device_ptrIlEEjNS1_19radix_merge_compareILb0ELb0EiNS0_19identity_decomposerEEEEE10hipError_tT0_T1_T2_jT3_P12ihipStream_tbPNSt15iterator_traitsISG_E10value_typeEPNSM_ISH_E10value_typeEPSI_NS1_7vsmem_tEENKUlT_SG_SH_SI_E_clIS7_S7_SB_PlEESF_SV_SG_SH_SI_EUlSV_E1_NS1_11comp_targetILNS1_3genE5ELNS1_11target_archE942ELNS1_3gpuE9ELNS1_3repE0EEENS1_36merge_oddeven_config_static_selectorELNS0_4arch9wavefront6targetE1EEEvSH_,comdat
.Lfunc_end786:
	.size	_ZN7rocprim17ROCPRIM_400000_NS6detail17trampoline_kernelINS0_14default_configENS1_38merge_sort_block_merge_config_selectorIilEEZZNS1_27merge_sort_block_merge_implIS3_PiN6thrust23THRUST_200600_302600_NS10device_ptrIlEEjNS1_19radix_merge_compareILb0ELb0EiNS0_19identity_decomposerEEEEE10hipError_tT0_T1_T2_jT3_P12ihipStream_tbPNSt15iterator_traitsISG_E10value_typeEPNSM_ISH_E10value_typeEPSI_NS1_7vsmem_tEENKUlT_SG_SH_SI_E_clIS7_S7_SB_PlEESF_SV_SG_SH_SI_EUlSV_E1_NS1_11comp_targetILNS1_3genE5ELNS1_11target_archE942ELNS1_3gpuE9ELNS1_3repE0EEENS1_36merge_oddeven_config_static_selectorELNS0_4arch9wavefront6targetE1EEEvSH_, .Lfunc_end786-_ZN7rocprim17ROCPRIM_400000_NS6detail17trampoline_kernelINS0_14default_configENS1_38merge_sort_block_merge_config_selectorIilEEZZNS1_27merge_sort_block_merge_implIS3_PiN6thrust23THRUST_200600_302600_NS10device_ptrIlEEjNS1_19radix_merge_compareILb0ELb0EiNS0_19identity_decomposerEEEEE10hipError_tT0_T1_T2_jT3_P12ihipStream_tbPNSt15iterator_traitsISG_E10value_typeEPNSM_ISH_E10value_typeEPSI_NS1_7vsmem_tEENKUlT_SG_SH_SI_E_clIS7_S7_SB_PlEESF_SV_SG_SH_SI_EUlSV_E1_NS1_11comp_targetILNS1_3genE5ELNS1_11target_archE942ELNS1_3gpuE9ELNS1_3repE0EEENS1_36merge_oddeven_config_static_selectorELNS0_4arch9wavefront6targetE1EEEvSH_
                                        ; -- End function
	.set _ZN7rocprim17ROCPRIM_400000_NS6detail17trampoline_kernelINS0_14default_configENS1_38merge_sort_block_merge_config_selectorIilEEZZNS1_27merge_sort_block_merge_implIS3_PiN6thrust23THRUST_200600_302600_NS10device_ptrIlEEjNS1_19radix_merge_compareILb0ELb0EiNS0_19identity_decomposerEEEEE10hipError_tT0_T1_T2_jT3_P12ihipStream_tbPNSt15iterator_traitsISG_E10value_typeEPNSM_ISH_E10value_typeEPSI_NS1_7vsmem_tEENKUlT_SG_SH_SI_E_clIS7_S7_SB_PlEESF_SV_SG_SH_SI_EUlSV_E1_NS1_11comp_targetILNS1_3genE5ELNS1_11target_archE942ELNS1_3gpuE9ELNS1_3repE0EEENS1_36merge_oddeven_config_static_selectorELNS0_4arch9wavefront6targetE1EEEvSH_.num_vgpr, 0
	.set _ZN7rocprim17ROCPRIM_400000_NS6detail17trampoline_kernelINS0_14default_configENS1_38merge_sort_block_merge_config_selectorIilEEZZNS1_27merge_sort_block_merge_implIS3_PiN6thrust23THRUST_200600_302600_NS10device_ptrIlEEjNS1_19radix_merge_compareILb0ELb0EiNS0_19identity_decomposerEEEEE10hipError_tT0_T1_T2_jT3_P12ihipStream_tbPNSt15iterator_traitsISG_E10value_typeEPNSM_ISH_E10value_typeEPSI_NS1_7vsmem_tEENKUlT_SG_SH_SI_E_clIS7_S7_SB_PlEESF_SV_SG_SH_SI_EUlSV_E1_NS1_11comp_targetILNS1_3genE5ELNS1_11target_archE942ELNS1_3gpuE9ELNS1_3repE0EEENS1_36merge_oddeven_config_static_selectorELNS0_4arch9wavefront6targetE1EEEvSH_.num_agpr, 0
	.set _ZN7rocprim17ROCPRIM_400000_NS6detail17trampoline_kernelINS0_14default_configENS1_38merge_sort_block_merge_config_selectorIilEEZZNS1_27merge_sort_block_merge_implIS3_PiN6thrust23THRUST_200600_302600_NS10device_ptrIlEEjNS1_19radix_merge_compareILb0ELb0EiNS0_19identity_decomposerEEEEE10hipError_tT0_T1_T2_jT3_P12ihipStream_tbPNSt15iterator_traitsISG_E10value_typeEPNSM_ISH_E10value_typeEPSI_NS1_7vsmem_tEENKUlT_SG_SH_SI_E_clIS7_S7_SB_PlEESF_SV_SG_SH_SI_EUlSV_E1_NS1_11comp_targetILNS1_3genE5ELNS1_11target_archE942ELNS1_3gpuE9ELNS1_3repE0EEENS1_36merge_oddeven_config_static_selectorELNS0_4arch9wavefront6targetE1EEEvSH_.numbered_sgpr, 0
	.set _ZN7rocprim17ROCPRIM_400000_NS6detail17trampoline_kernelINS0_14default_configENS1_38merge_sort_block_merge_config_selectorIilEEZZNS1_27merge_sort_block_merge_implIS3_PiN6thrust23THRUST_200600_302600_NS10device_ptrIlEEjNS1_19radix_merge_compareILb0ELb0EiNS0_19identity_decomposerEEEEE10hipError_tT0_T1_T2_jT3_P12ihipStream_tbPNSt15iterator_traitsISG_E10value_typeEPNSM_ISH_E10value_typeEPSI_NS1_7vsmem_tEENKUlT_SG_SH_SI_E_clIS7_S7_SB_PlEESF_SV_SG_SH_SI_EUlSV_E1_NS1_11comp_targetILNS1_3genE5ELNS1_11target_archE942ELNS1_3gpuE9ELNS1_3repE0EEENS1_36merge_oddeven_config_static_selectorELNS0_4arch9wavefront6targetE1EEEvSH_.num_named_barrier, 0
	.set _ZN7rocprim17ROCPRIM_400000_NS6detail17trampoline_kernelINS0_14default_configENS1_38merge_sort_block_merge_config_selectorIilEEZZNS1_27merge_sort_block_merge_implIS3_PiN6thrust23THRUST_200600_302600_NS10device_ptrIlEEjNS1_19radix_merge_compareILb0ELb0EiNS0_19identity_decomposerEEEEE10hipError_tT0_T1_T2_jT3_P12ihipStream_tbPNSt15iterator_traitsISG_E10value_typeEPNSM_ISH_E10value_typeEPSI_NS1_7vsmem_tEENKUlT_SG_SH_SI_E_clIS7_S7_SB_PlEESF_SV_SG_SH_SI_EUlSV_E1_NS1_11comp_targetILNS1_3genE5ELNS1_11target_archE942ELNS1_3gpuE9ELNS1_3repE0EEENS1_36merge_oddeven_config_static_selectorELNS0_4arch9wavefront6targetE1EEEvSH_.private_seg_size, 0
	.set _ZN7rocprim17ROCPRIM_400000_NS6detail17trampoline_kernelINS0_14default_configENS1_38merge_sort_block_merge_config_selectorIilEEZZNS1_27merge_sort_block_merge_implIS3_PiN6thrust23THRUST_200600_302600_NS10device_ptrIlEEjNS1_19radix_merge_compareILb0ELb0EiNS0_19identity_decomposerEEEEE10hipError_tT0_T1_T2_jT3_P12ihipStream_tbPNSt15iterator_traitsISG_E10value_typeEPNSM_ISH_E10value_typeEPSI_NS1_7vsmem_tEENKUlT_SG_SH_SI_E_clIS7_S7_SB_PlEESF_SV_SG_SH_SI_EUlSV_E1_NS1_11comp_targetILNS1_3genE5ELNS1_11target_archE942ELNS1_3gpuE9ELNS1_3repE0EEENS1_36merge_oddeven_config_static_selectorELNS0_4arch9wavefront6targetE1EEEvSH_.uses_vcc, 0
	.set _ZN7rocprim17ROCPRIM_400000_NS6detail17trampoline_kernelINS0_14default_configENS1_38merge_sort_block_merge_config_selectorIilEEZZNS1_27merge_sort_block_merge_implIS3_PiN6thrust23THRUST_200600_302600_NS10device_ptrIlEEjNS1_19radix_merge_compareILb0ELb0EiNS0_19identity_decomposerEEEEE10hipError_tT0_T1_T2_jT3_P12ihipStream_tbPNSt15iterator_traitsISG_E10value_typeEPNSM_ISH_E10value_typeEPSI_NS1_7vsmem_tEENKUlT_SG_SH_SI_E_clIS7_S7_SB_PlEESF_SV_SG_SH_SI_EUlSV_E1_NS1_11comp_targetILNS1_3genE5ELNS1_11target_archE942ELNS1_3gpuE9ELNS1_3repE0EEENS1_36merge_oddeven_config_static_selectorELNS0_4arch9wavefront6targetE1EEEvSH_.uses_flat_scratch, 0
	.set _ZN7rocprim17ROCPRIM_400000_NS6detail17trampoline_kernelINS0_14default_configENS1_38merge_sort_block_merge_config_selectorIilEEZZNS1_27merge_sort_block_merge_implIS3_PiN6thrust23THRUST_200600_302600_NS10device_ptrIlEEjNS1_19radix_merge_compareILb0ELb0EiNS0_19identity_decomposerEEEEE10hipError_tT0_T1_T2_jT3_P12ihipStream_tbPNSt15iterator_traitsISG_E10value_typeEPNSM_ISH_E10value_typeEPSI_NS1_7vsmem_tEENKUlT_SG_SH_SI_E_clIS7_S7_SB_PlEESF_SV_SG_SH_SI_EUlSV_E1_NS1_11comp_targetILNS1_3genE5ELNS1_11target_archE942ELNS1_3gpuE9ELNS1_3repE0EEENS1_36merge_oddeven_config_static_selectorELNS0_4arch9wavefront6targetE1EEEvSH_.has_dyn_sized_stack, 0
	.set _ZN7rocprim17ROCPRIM_400000_NS6detail17trampoline_kernelINS0_14default_configENS1_38merge_sort_block_merge_config_selectorIilEEZZNS1_27merge_sort_block_merge_implIS3_PiN6thrust23THRUST_200600_302600_NS10device_ptrIlEEjNS1_19radix_merge_compareILb0ELb0EiNS0_19identity_decomposerEEEEE10hipError_tT0_T1_T2_jT3_P12ihipStream_tbPNSt15iterator_traitsISG_E10value_typeEPNSM_ISH_E10value_typeEPSI_NS1_7vsmem_tEENKUlT_SG_SH_SI_E_clIS7_S7_SB_PlEESF_SV_SG_SH_SI_EUlSV_E1_NS1_11comp_targetILNS1_3genE5ELNS1_11target_archE942ELNS1_3gpuE9ELNS1_3repE0EEENS1_36merge_oddeven_config_static_selectorELNS0_4arch9wavefront6targetE1EEEvSH_.has_recursion, 0
	.set _ZN7rocprim17ROCPRIM_400000_NS6detail17trampoline_kernelINS0_14default_configENS1_38merge_sort_block_merge_config_selectorIilEEZZNS1_27merge_sort_block_merge_implIS3_PiN6thrust23THRUST_200600_302600_NS10device_ptrIlEEjNS1_19radix_merge_compareILb0ELb0EiNS0_19identity_decomposerEEEEE10hipError_tT0_T1_T2_jT3_P12ihipStream_tbPNSt15iterator_traitsISG_E10value_typeEPNSM_ISH_E10value_typeEPSI_NS1_7vsmem_tEENKUlT_SG_SH_SI_E_clIS7_S7_SB_PlEESF_SV_SG_SH_SI_EUlSV_E1_NS1_11comp_targetILNS1_3genE5ELNS1_11target_archE942ELNS1_3gpuE9ELNS1_3repE0EEENS1_36merge_oddeven_config_static_selectorELNS0_4arch9wavefront6targetE1EEEvSH_.has_indirect_call, 0
	.section	.AMDGPU.csdata,"",@progbits
; Kernel info:
; codeLenInByte = 0
; TotalNumSgprs: 4
; NumVgprs: 0
; ScratchSize: 0
; MemoryBound: 0
; FloatMode: 240
; IeeeMode: 1
; LDSByteSize: 0 bytes/workgroup (compile time only)
; SGPRBlocks: 0
; VGPRBlocks: 0
; NumSGPRsForWavesPerEU: 4
; NumVGPRsForWavesPerEU: 1
; Occupancy: 10
; WaveLimiterHint : 0
; COMPUTE_PGM_RSRC2:SCRATCH_EN: 0
; COMPUTE_PGM_RSRC2:USER_SGPR: 6
; COMPUTE_PGM_RSRC2:TRAP_HANDLER: 0
; COMPUTE_PGM_RSRC2:TGID_X_EN: 1
; COMPUTE_PGM_RSRC2:TGID_Y_EN: 0
; COMPUTE_PGM_RSRC2:TGID_Z_EN: 0
; COMPUTE_PGM_RSRC2:TIDIG_COMP_CNT: 0
	.section	.text._ZN7rocprim17ROCPRIM_400000_NS6detail17trampoline_kernelINS0_14default_configENS1_38merge_sort_block_merge_config_selectorIilEEZZNS1_27merge_sort_block_merge_implIS3_PiN6thrust23THRUST_200600_302600_NS10device_ptrIlEEjNS1_19radix_merge_compareILb0ELb0EiNS0_19identity_decomposerEEEEE10hipError_tT0_T1_T2_jT3_P12ihipStream_tbPNSt15iterator_traitsISG_E10value_typeEPNSM_ISH_E10value_typeEPSI_NS1_7vsmem_tEENKUlT_SG_SH_SI_E_clIS7_S7_SB_PlEESF_SV_SG_SH_SI_EUlSV_E1_NS1_11comp_targetILNS1_3genE4ELNS1_11target_archE910ELNS1_3gpuE8ELNS1_3repE0EEENS1_36merge_oddeven_config_static_selectorELNS0_4arch9wavefront6targetE1EEEvSH_,"axG",@progbits,_ZN7rocprim17ROCPRIM_400000_NS6detail17trampoline_kernelINS0_14default_configENS1_38merge_sort_block_merge_config_selectorIilEEZZNS1_27merge_sort_block_merge_implIS3_PiN6thrust23THRUST_200600_302600_NS10device_ptrIlEEjNS1_19radix_merge_compareILb0ELb0EiNS0_19identity_decomposerEEEEE10hipError_tT0_T1_T2_jT3_P12ihipStream_tbPNSt15iterator_traitsISG_E10value_typeEPNSM_ISH_E10value_typeEPSI_NS1_7vsmem_tEENKUlT_SG_SH_SI_E_clIS7_S7_SB_PlEESF_SV_SG_SH_SI_EUlSV_E1_NS1_11comp_targetILNS1_3genE4ELNS1_11target_archE910ELNS1_3gpuE8ELNS1_3repE0EEENS1_36merge_oddeven_config_static_selectorELNS0_4arch9wavefront6targetE1EEEvSH_,comdat
	.protected	_ZN7rocprim17ROCPRIM_400000_NS6detail17trampoline_kernelINS0_14default_configENS1_38merge_sort_block_merge_config_selectorIilEEZZNS1_27merge_sort_block_merge_implIS3_PiN6thrust23THRUST_200600_302600_NS10device_ptrIlEEjNS1_19radix_merge_compareILb0ELb0EiNS0_19identity_decomposerEEEEE10hipError_tT0_T1_T2_jT3_P12ihipStream_tbPNSt15iterator_traitsISG_E10value_typeEPNSM_ISH_E10value_typeEPSI_NS1_7vsmem_tEENKUlT_SG_SH_SI_E_clIS7_S7_SB_PlEESF_SV_SG_SH_SI_EUlSV_E1_NS1_11comp_targetILNS1_3genE4ELNS1_11target_archE910ELNS1_3gpuE8ELNS1_3repE0EEENS1_36merge_oddeven_config_static_selectorELNS0_4arch9wavefront6targetE1EEEvSH_ ; -- Begin function _ZN7rocprim17ROCPRIM_400000_NS6detail17trampoline_kernelINS0_14default_configENS1_38merge_sort_block_merge_config_selectorIilEEZZNS1_27merge_sort_block_merge_implIS3_PiN6thrust23THRUST_200600_302600_NS10device_ptrIlEEjNS1_19radix_merge_compareILb0ELb0EiNS0_19identity_decomposerEEEEE10hipError_tT0_T1_T2_jT3_P12ihipStream_tbPNSt15iterator_traitsISG_E10value_typeEPNSM_ISH_E10value_typeEPSI_NS1_7vsmem_tEENKUlT_SG_SH_SI_E_clIS7_S7_SB_PlEESF_SV_SG_SH_SI_EUlSV_E1_NS1_11comp_targetILNS1_3genE4ELNS1_11target_archE910ELNS1_3gpuE8ELNS1_3repE0EEENS1_36merge_oddeven_config_static_selectorELNS0_4arch9wavefront6targetE1EEEvSH_
	.globl	_ZN7rocprim17ROCPRIM_400000_NS6detail17trampoline_kernelINS0_14default_configENS1_38merge_sort_block_merge_config_selectorIilEEZZNS1_27merge_sort_block_merge_implIS3_PiN6thrust23THRUST_200600_302600_NS10device_ptrIlEEjNS1_19radix_merge_compareILb0ELb0EiNS0_19identity_decomposerEEEEE10hipError_tT0_T1_T2_jT3_P12ihipStream_tbPNSt15iterator_traitsISG_E10value_typeEPNSM_ISH_E10value_typeEPSI_NS1_7vsmem_tEENKUlT_SG_SH_SI_E_clIS7_S7_SB_PlEESF_SV_SG_SH_SI_EUlSV_E1_NS1_11comp_targetILNS1_3genE4ELNS1_11target_archE910ELNS1_3gpuE8ELNS1_3repE0EEENS1_36merge_oddeven_config_static_selectorELNS0_4arch9wavefront6targetE1EEEvSH_
	.p2align	8
	.type	_ZN7rocprim17ROCPRIM_400000_NS6detail17trampoline_kernelINS0_14default_configENS1_38merge_sort_block_merge_config_selectorIilEEZZNS1_27merge_sort_block_merge_implIS3_PiN6thrust23THRUST_200600_302600_NS10device_ptrIlEEjNS1_19radix_merge_compareILb0ELb0EiNS0_19identity_decomposerEEEEE10hipError_tT0_T1_T2_jT3_P12ihipStream_tbPNSt15iterator_traitsISG_E10value_typeEPNSM_ISH_E10value_typeEPSI_NS1_7vsmem_tEENKUlT_SG_SH_SI_E_clIS7_S7_SB_PlEESF_SV_SG_SH_SI_EUlSV_E1_NS1_11comp_targetILNS1_3genE4ELNS1_11target_archE910ELNS1_3gpuE8ELNS1_3repE0EEENS1_36merge_oddeven_config_static_selectorELNS0_4arch9wavefront6targetE1EEEvSH_,@function
_ZN7rocprim17ROCPRIM_400000_NS6detail17trampoline_kernelINS0_14default_configENS1_38merge_sort_block_merge_config_selectorIilEEZZNS1_27merge_sort_block_merge_implIS3_PiN6thrust23THRUST_200600_302600_NS10device_ptrIlEEjNS1_19radix_merge_compareILb0ELb0EiNS0_19identity_decomposerEEEEE10hipError_tT0_T1_T2_jT3_P12ihipStream_tbPNSt15iterator_traitsISG_E10value_typeEPNSM_ISH_E10value_typeEPSI_NS1_7vsmem_tEENKUlT_SG_SH_SI_E_clIS7_S7_SB_PlEESF_SV_SG_SH_SI_EUlSV_E1_NS1_11comp_targetILNS1_3genE4ELNS1_11target_archE910ELNS1_3gpuE8ELNS1_3repE0EEENS1_36merge_oddeven_config_static_selectorELNS0_4arch9wavefront6targetE1EEEvSH_: ; @_ZN7rocprim17ROCPRIM_400000_NS6detail17trampoline_kernelINS0_14default_configENS1_38merge_sort_block_merge_config_selectorIilEEZZNS1_27merge_sort_block_merge_implIS3_PiN6thrust23THRUST_200600_302600_NS10device_ptrIlEEjNS1_19radix_merge_compareILb0ELb0EiNS0_19identity_decomposerEEEEE10hipError_tT0_T1_T2_jT3_P12ihipStream_tbPNSt15iterator_traitsISG_E10value_typeEPNSM_ISH_E10value_typeEPSI_NS1_7vsmem_tEENKUlT_SG_SH_SI_E_clIS7_S7_SB_PlEESF_SV_SG_SH_SI_EUlSV_E1_NS1_11comp_targetILNS1_3genE4ELNS1_11target_archE910ELNS1_3gpuE8ELNS1_3repE0EEENS1_36merge_oddeven_config_static_selectorELNS0_4arch9wavefront6targetE1EEEvSH_
; %bb.0:
	.section	.rodata,"a",@progbits
	.p2align	6, 0x0
	.amdhsa_kernel _ZN7rocprim17ROCPRIM_400000_NS6detail17trampoline_kernelINS0_14default_configENS1_38merge_sort_block_merge_config_selectorIilEEZZNS1_27merge_sort_block_merge_implIS3_PiN6thrust23THRUST_200600_302600_NS10device_ptrIlEEjNS1_19radix_merge_compareILb0ELb0EiNS0_19identity_decomposerEEEEE10hipError_tT0_T1_T2_jT3_P12ihipStream_tbPNSt15iterator_traitsISG_E10value_typeEPNSM_ISH_E10value_typeEPSI_NS1_7vsmem_tEENKUlT_SG_SH_SI_E_clIS7_S7_SB_PlEESF_SV_SG_SH_SI_EUlSV_E1_NS1_11comp_targetILNS1_3genE4ELNS1_11target_archE910ELNS1_3gpuE8ELNS1_3repE0EEENS1_36merge_oddeven_config_static_selectorELNS0_4arch9wavefront6targetE1EEEvSH_
		.amdhsa_group_segment_fixed_size 0
		.amdhsa_private_segment_fixed_size 0
		.amdhsa_kernarg_size 48
		.amdhsa_user_sgpr_count 6
		.amdhsa_user_sgpr_private_segment_buffer 1
		.amdhsa_user_sgpr_dispatch_ptr 0
		.amdhsa_user_sgpr_queue_ptr 0
		.amdhsa_user_sgpr_kernarg_segment_ptr 1
		.amdhsa_user_sgpr_dispatch_id 0
		.amdhsa_user_sgpr_flat_scratch_init 0
		.amdhsa_user_sgpr_private_segment_size 0
		.amdhsa_uses_dynamic_stack 0
		.amdhsa_system_sgpr_private_segment_wavefront_offset 0
		.amdhsa_system_sgpr_workgroup_id_x 1
		.amdhsa_system_sgpr_workgroup_id_y 0
		.amdhsa_system_sgpr_workgroup_id_z 0
		.amdhsa_system_sgpr_workgroup_info 0
		.amdhsa_system_vgpr_workitem_id 0
		.amdhsa_next_free_vgpr 1
		.amdhsa_next_free_sgpr 0
		.amdhsa_reserve_vcc 0
		.amdhsa_reserve_flat_scratch 0
		.amdhsa_float_round_mode_32 0
		.amdhsa_float_round_mode_16_64 0
		.amdhsa_float_denorm_mode_32 3
		.amdhsa_float_denorm_mode_16_64 3
		.amdhsa_dx10_clamp 1
		.amdhsa_ieee_mode 1
		.amdhsa_fp16_overflow 0
		.amdhsa_exception_fp_ieee_invalid_op 0
		.amdhsa_exception_fp_denorm_src 0
		.amdhsa_exception_fp_ieee_div_zero 0
		.amdhsa_exception_fp_ieee_overflow 0
		.amdhsa_exception_fp_ieee_underflow 0
		.amdhsa_exception_fp_ieee_inexact 0
		.amdhsa_exception_int_div_zero 0
	.end_amdhsa_kernel
	.section	.text._ZN7rocprim17ROCPRIM_400000_NS6detail17trampoline_kernelINS0_14default_configENS1_38merge_sort_block_merge_config_selectorIilEEZZNS1_27merge_sort_block_merge_implIS3_PiN6thrust23THRUST_200600_302600_NS10device_ptrIlEEjNS1_19radix_merge_compareILb0ELb0EiNS0_19identity_decomposerEEEEE10hipError_tT0_T1_T2_jT3_P12ihipStream_tbPNSt15iterator_traitsISG_E10value_typeEPNSM_ISH_E10value_typeEPSI_NS1_7vsmem_tEENKUlT_SG_SH_SI_E_clIS7_S7_SB_PlEESF_SV_SG_SH_SI_EUlSV_E1_NS1_11comp_targetILNS1_3genE4ELNS1_11target_archE910ELNS1_3gpuE8ELNS1_3repE0EEENS1_36merge_oddeven_config_static_selectorELNS0_4arch9wavefront6targetE1EEEvSH_,"axG",@progbits,_ZN7rocprim17ROCPRIM_400000_NS6detail17trampoline_kernelINS0_14default_configENS1_38merge_sort_block_merge_config_selectorIilEEZZNS1_27merge_sort_block_merge_implIS3_PiN6thrust23THRUST_200600_302600_NS10device_ptrIlEEjNS1_19radix_merge_compareILb0ELb0EiNS0_19identity_decomposerEEEEE10hipError_tT0_T1_T2_jT3_P12ihipStream_tbPNSt15iterator_traitsISG_E10value_typeEPNSM_ISH_E10value_typeEPSI_NS1_7vsmem_tEENKUlT_SG_SH_SI_E_clIS7_S7_SB_PlEESF_SV_SG_SH_SI_EUlSV_E1_NS1_11comp_targetILNS1_3genE4ELNS1_11target_archE910ELNS1_3gpuE8ELNS1_3repE0EEENS1_36merge_oddeven_config_static_selectorELNS0_4arch9wavefront6targetE1EEEvSH_,comdat
.Lfunc_end787:
	.size	_ZN7rocprim17ROCPRIM_400000_NS6detail17trampoline_kernelINS0_14default_configENS1_38merge_sort_block_merge_config_selectorIilEEZZNS1_27merge_sort_block_merge_implIS3_PiN6thrust23THRUST_200600_302600_NS10device_ptrIlEEjNS1_19radix_merge_compareILb0ELb0EiNS0_19identity_decomposerEEEEE10hipError_tT0_T1_T2_jT3_P12ihipStream_tbPNSt15iterator_traitsISG_E10value_typeEPNSM_ISH_E10value_typeEPSI_NS1_7vsmem_tEENKUlT_SG_SH_SI_E_clIS7_S7_SB_PlEESF_SV_SG_SH_SI_EUlSV_E1_NS1_11comp_targetILNS1_3genE4ELNS1_11target_archE910ELNS1_3gpuE8ELNS1_3repE0EEENS1_36merge_oddeven_config_static_selectorELNS0_4arch9wavefront6targetE1EEEvSH_, .Lfunc_end787-_ZN7rocprim17ROCPRIM_400000_NS6detail17trampoline_kernelINS0_14default_configENS1_38merge_sort_block_merge_config_selectorIilEEZZNS1_27merge_sort_block_merge_implIS3_PiN6thrust23THRUST_200600_302600_NS10device_ptrIlEEjNS1_19radix_merge_compareILb0ELb0EiNS0_19identity_decomposerEEEEE10hipError_tT0_T1_T2_jT3_P12ihipStream_tbPNSt15iterator_traitsISG_E10value_typeEPNSM_ISH_E10value_typeEPSI_NS1_7vsmem_tEENKUlT_SG_SH_SI_E_clIS7_S7_SB_PlEESF_SV_SG_SH_SI_EUlSV_E1_NS1_11comp_targetILNS1_3genE4ELNS1_11target_archE910ELNS1_3gpuE8ELNS1_3repE0EEENS1_36merge_oddeven_config_static_selectorELNS0_4arch9wavefront6targetE1EEEvSH_
                                        ; -- End function
	.set _ZN7rocprim17ROCPRIM_400000_NS6detail17trampoline_kernelINS0_14default_configENS1_38merge_sort_block_merge_config_selectorIilEEZZNS1_27merge_sort_block_merge_implIS3_PiN6thrust23THRUST_200600_302600_NS10device_ptrIlEEjNS1_19radix_merge_compareILb0ELb0EiNS0_19identity_decomposerEEEEE10hipError_tT0_T1_T2_jT3_P12ihipStream_tbPNSt15iterator_traitsISG_E10value_typeEPNSM_ISH_E10value_typeEPSI_NS1_7vsmem_tEENKUlT_SG_SH_SI_E_clIS7_S7_SB_PlEESF_SV_SG_SH_SI_EUlSV_E1_NS1_11comp_targetILNS1_3genE4ELNS1_11target_archE910ELNS1_3gpuE8ELNS1_3repE0EEENS1_36merge_oddeven_config_static_selectorELNS0_4arch9wavefront6targetE1EEEvSH_.num_vgpr, 0
	.set _ZN7rocprim17ROCPRIM_400000_NS6detail17trampoline_kernelINS0_14default_configENS1_38merge_sort_block_merge_config_selectorIilEEZZNS1_27merge_sort_block_merge_implIS3_PiN6thrust23THRUST_200600_302600_NS10device_ptrIlEEjNS1_19radix_merge_compareILb0ELb0EiNS0_19identity_decomposerEEEEE10hipError_tT0_T1_T2_jT3_P12ihipStream_tbPNSt15iterator_traitsISG_E10value_typeEPNSM_ISH_E10value_typeEPSI_NS1_7vsmem_tEENKUlT_SG_SH_SI_E_clIS7_S7_SB_PlEESF_SV_SG_SH_SI_EUlSV_E1_NS1_11comp_targetILNS1_3genE4ELNS1_11target_archE910ELNS1_3gpuE8ELNS1_3repE0EEENS1_36merge_oddeven_config_static_selectorELNS0_4arch9wavefront6targetE1EEEvSH_.num_agpr, 0
	.set _ZN7rocprim17ROCPRIM_400000_NS6detail17trampoline_kernelINS0_14default_configENS1_38merge_sort_block_merge_config_selectorIilEEZZNS1_27merge_sort_block_merge_implIS3_PiN6thrust23THRUST_200600_302600_NS10device_ptrIlEEjNS1_19radix_merge_compareILb0ELb0EiNS0_19identity_decomposerEEEEE10hipError_tT0_T1_T2_jT3_P12ihipStream_tbPNSt15iterator_traitsISG_E10value_typeEPNSM_ISH_E10value_typeEPSI_NS1_7vsmem_tEENKUlT_SG_SH_SI_E_clIS7_S7_SB_PlEESF_SV_SG_SH_SI_EUlSV_E1_NS1_11comp_targetILNS1_3genE4ELNS1_11target_archE910ELNS1_3gpuE8ELNS1_3repE0EEENS1_36merge_oddeven_config_static_selectorELNS0_4arch9wavefront6targetE1EEEvSH_.numbered_sgpr, 0
	.set _ZN7rocprim17ROCPRIM_400000_NS6detail17trampoline_kernelINS0_14default_configENS1_38merge_sort_block_merge_config_selectorIilEEZZNS1_27merge_sort_block_merge_implIS3_PiN6thrust23THRUST_200600_302600_NS10device_ptrIlEEjNS1_19radix_merge_compareILb0ELb0EiNS0_19identity_decomposerEEEEE10hipError_tT0_T1_T2_jT3_P12ihipStream_tbPNSt15iterator_traitsISG_E10value_typeEPNSM_ISH_E10value_typeEPSI_NS1_7vsmem_tEENKUlT_SG_SH_SI_E_clIS7_S7_SB_PlEESF_SV_SG_SH_SI_EUlSV_E1_NS1_11comp_targetILNS1_3genE4ELNS1_11target_archE910ELNS1_3gpuE8ELNS1_3repE0EEENS1_36merge_oddeven_config_static_selectorELNS0_4arch9wavefront6targetE1EEEvSH_.num_named_barrier, 0
	.set _ZN7rocprim17ROCPRIM_400000_NS6detail17trampoline_kernelINS0_14default_configENS1_38merge_sort_block_merge_config_selectorIilEEZZNS1_27merge_sort_block_merge_implIS3_PiN6thrust23THRUST_200600_302600_NS10device_ptrIlEEjNS1_19radix_merge_compareILb0ELb0EiNS0_19identity_decomposerEEEEE10hipError_tT0_T1_T2_jT3_P12ihipStream_tbPNSt15iterator_traitsISG_E10value_typeEPNSM_ISH_E10value_typeEPSI_NS1_7vsmem_tEENKUlT_SG_SH_SI_E_clIS7_S7_SB_PlEESF_SV_SG_SH_SI_EUlSV_E1_NS1_11comp_targetILNS1_3genE4ELNS1_11target_archE910ELNS1_3gpuE8ELNS1_3repE0EEENS1_36merge_oddeven_config_static_selectorELNS0_4arch9wavefront6targetE1EEEvSH_.private_seg_size, 0
	.set _ZN7rocprim17ROCPRIM_400000_NS6detail17trampoline_kernelINS0_14default_configENS1_38merge_sort_block_merge_config_selectorIilEEZZNS1_27merge_sort_block_merge_implIS3_PiN6thrust23THRUST_200600_302600_NS10device_ptrIlEEjNS1_19radix_merge_compareILb0ELb0EiNS0_19identity_decomposerEEEEE10hipError_tT0_T1_T2_jT3_P12ihipStream_tbPNSt15iterator_traitsISG_E10value_typeEPNSM_ISH_E10value_typeEPSI_NS1_7vsmem_tEENKUlT_SG_SH_SI_E_clIS7_S7_SB_PlEESF_SV_SG_SH_SI_EUlSV_E1_NS1_11comp_targetILNS1_3genE4ELNS1_11target_archE910ELNS1_3gpuE8ELNS1_3repE0EEENS1_36merge_oddeven_config_static_selectorELNS0_4arch9wavefront6targetE1EEEvSH_.uses_vcc, 0
	.set _ZN7rocprim17ROCPRIM_400000_NS6detail17trampoline_kernelINS0_14default_configENS1_38merge_sort_block_merge_config_selectorIilEEZZNS1_27merge_sort_block_merge_implIS3_PiN6thrust23THRUST_200600_302600_NS10device_ptrIlEEjNS1_19radix_merge_compareILb0ELb0EiNS0_19identity_decomposerEEEEE10hipError_tT0_T1_T2_jT3_P12ihipStream_tbPNSt15iterator_traitsISG_E10value_typeEPNSM_ISH_E10value_typeEPSI_NS1_7vsmem_tEENKUlT_SG_SH_SI_E_clIS7_S7_SB_PlEESF_SV_SG_SH_SI_EUlSV_E1_NS1_11comp_targetILNS1_3genE4ELNS1_11target_archE910ELNS1_3gpuE8ELNS1_3repE0EEENS1_36merge_oddeven_config_static_selectorELNS0_4arch9wavefront6targetE1EEEvSH_.uses_flat_scratch, 0
	.set _ZN7rocprim17ROCPRIM_400000_NS6detail17trampoline_kernelINS0_14default_configENS1_38merge_sort_block_merge_config_selectorIilEEZZNS1_27merge_sort_block_merge_implIS3_PiN6thrust23THRUST_200600_302600_NS10device_ptrIlEEjNS1_19radix_merge_compareILb0ELb0EiNS0_19identity_decomposerEEEEE10hipError_tT0_T1_T2_jT3_P12ihipStream_tbPNSt15iterator_traitsISG_E10value_typeEPNSM_ISH_E10value_typeEPSI_NS1_7vsmem_tEENKUlT_SG_SH_SI_E_clIS7_S7_SB_PlEESF_SV_SG_SH_SI_EUlSV_E1_NS1_11comp_targetILNS1_3genE4ELNS1_11target_archE910ELNS1_3gpuE8ELNS1_3repE0EEENS1_36merge_oddeven_config_static_selectorELNS0_4arch9wavefront6targetE1EEEvSH_.has_dyn_sized_stack, 0
	.set _ZN7rocprim17ROCPRIM_400000_NS6detail17trampoline_kernelINS0_14default_configENS1_38merge_sort_block_merge_config_selectorIilEEZZNS1_27merge_sort_block_merge_implIS3_PiN6thrust23THRUST_200600_302600_NS10device_ptrIlEEjNS1_19radix_merge_compareILb0ELb0EiNS0_19identity_decomposerEEEEE10hipError_tT0_T1_T2_jT3_P12ihipStream_tbPNSt15iterator_traitsISG_E10value_typeEPNSM_ISH_E10value_typeEPSI_NS1_7vsmem_tEENKUlT_SG_SH_SI_E_clIS7_S7_SB_PlEESF_SV_SG_SH_SI_EUlSV_E1_NS1_11comp_targetILNS1_3genE4ELNS1_11target_archE910ELNS1_3gpuE8ELNS1_3repE0EEENS1_36merge_oddeven_config_static_selectorELNS0_4arch9wavefront6targetE1EEEvSH_.has_recursion, 0
	.set _ZN7rocprim17ROCPRIM_400000_NS6detail17trampoline_kernelINS0_14default_configENS1_38merge_sort_block_merge_config_selectorIilEEZZNS1_27merge_sort_block_merge_implIS3_PiN6thrust23THRUST_200600_302600_NS10device_ptrIlEEjNS1_19radix_merge_compareILb0ELb0EiNS0_19identity_decomposerEEEEE10hipError_tT0_T1_T2_jT3_P12ihipStream_tbPNSt15iterator_traitsISG_E10value_typeEPNSM_ISH_E10value_typeEPSI_NS1_7vsmem_tEENKUlT_SG_SH_SI_E_clIS7_S7_SB_PlEESF_SV_SG_SH_SI_EUlSV_E1_NS1_11comp_targetILNS1_3genE4ELNS1_11target_archE910ELNS1_3gpuE8ELNS1_3repE0EEENS1_36merge_oddeven_config_static_selectorELNS0_4arch9wavefront6targetE1EEEvSH_.has_indirect_call, 0
	.section	.AMDGPU.csdata,"",@progbits
; Kernel info:
; codeLenInByte = 0
; TotalNumSgprs: 4
; NumVgprs: 0
; ScratchSize: 0
; MemoryBound: 0
; FloatMode: 240
; IeeeMode: 1
; LDSByteSize: 0 bytes/workgroup (compile time only)
; SGPRBlocks: 0
; VGPRBlocks: 0
; NumSGPRsForWavesPerEU: 4
; NumVGPRsForWavesPerEU: 1
; Occupancy: 10
; WaveLimiterHint : 0
; COMPUTE_PGM_RSRC2:SCRATCH_EN: 0
; COMPUTE_PGM_RSRC2:USER_SGPR: 6
; COMPUTE_PGM_RSRC2:TRAP_HANDLER: 0
; COMPUTE_PGM_RSRC2:TGID_X_EN: 1
; COMPUTE_PGM_RSRC2:TGID_Y_EN: 0
; COMPUTE_PGM_RSRC2:TGID_Z_EN: 0
; COMPUTE_PGM_RSRC2:TIDIG_COMP_CNT: 0
	.section	.text._ZN7rocprim17ROCPRIM_400000_NS6detail17trampoline_kernelINS0_14default_configENS1_38merge_sort_block_merge_config_selectorIilEEZZNS1_27merge_sort_block_merge_implIS3_PiN6thrust23THRUST_200600_302600_NS10device_ptrIlEEjNS1_19radix_merge_compareILb0ELb0EiNS0_19identity_decomposerEEEEE10hipError_tT0_T1_T2_jT3_P12ihipStream_tbPNSt15iterator_traitsISG_E10value_typeEPNSM_ISH_E10value_typeEPSI_NS1_7vsmem_tEENKUlT_SG_SH_SI_E_clIS7_S7_SB_PlEESF_SV_SG_SH_SI_EUlSV_E1_NS1_11comp_targetILNS1_3genE3ELNS1_11target_archE908ELNS1_3gpuE7ELNS1_3repE0EEENS1_36merge_oddeven_config_static_selectorELNS0_4arch9wavefront6targetE1EEEvSH_,"axG",@progbits,_ZN7rocprim17ROCPRIM_400000_NS6detail17trampoline_kernelINS0_14default_configENS1_38merge_sort_block_merge_config_selectorIilEEZZNS1_27merge_sort_block_merge_implIS3_PiN6thrust23THRUST_200600_302600_NS10device_ptrIlEEjNS1_19radix_merge_compareILb0ELb0EiNS0_19identity_decomposerEEEEE10hipError_tT0_T1_T2_jT3_P12ihipStream_tbPNSt15iterator_traitsISG_E10value_typeEPNSM_ISH_E10value_typeEPSI_NS1_7vsmem_tEENKUlT_SG_SH_SI_E_clIS7_S7_SB_PlEESF_SV_SG_SH_SI_EUlSV_E1_NS1_11comp_targetILNS1_3genE3ELNS1_11target_archE908ELNS1_3gpuE7ELNS1_3repE0EEENS1_36merge_oddeven_config_static_selectorELNS0_4arch9wavefront6targetE1EEEvSH_,comdat
	.protected	_ZN7rocprim17ROCPRIM_400000_NS6detail17trampoline_kernelINS0_14default_configENS1_38merge_sort_block_merge_config_selectorIilEEZZNS1_27merge_sort_block_merge_implIS3_PiN6thrust23THRUST_200600_302600_NS10device_ptrIlEEjNS1_19radix_merge_compareILb0ELb0EiNS0_19identity_decomposerEEEEE10hipError_tT0_T1_T2_jT3_P12ihipStream_tbPNSt15iterator_traitsISG_E10value_typeEPNSM_ISH_E10value_typeEPSI_NS1_7vsmem_tEENKUlT_SG_SH_SI_E_clIS7_S7_SB_PlEESF_SV_SG_SH_SI_EUlSV_E1_NS1_11comp_targetILNS1_3genE3ELNS1_11target_archE908ELNS1_3gpuE7ELNS1_3repE0EEENS1_36merge_oddeven_config_static_selectorELNS0_4arch9wavefront6targetE1EEEvSH_ ; -- Begin function _ZN7rocprim17ROCPRIM_400000_NS6detail17trampoline_kernelINS0_14default_configENS1_38merge_sort_block_merge_config_selectorIilEEZZNS1_27merge_sort_block_merge_implIS3_PiN6thrust23THRUST_200600_302600_NS10device_ptrIlEEjNS1_19radix_merge_compareILb0ELb0EiNS0_19identity_decomposerEEEEE10hipError_tT0_T1_T2_jT3_P12ihipStream_tbPNSt15iterator_traitsISG_E10value_typeEPNSM_ISH_E10value_typeEPSI_NS1_7vsmem_tEENKUlT_SG_SH_SI_E_clIS7_S7_SB_PlEESF_SV_SG_SH_SI_EUlSV_E1_NS1_11comp_targetILNS1_3genE3ELNS1_11target_archE908ELNS1_3gpuE7ELNS1_3repE0EEENS1_36merge_oddeven_config_static_selectorELNS0_4arch9wavefront6targetE1EEEvSH_
	.globl	_ZN7rocprim17ROCPRIM_400000_NS6detail17trampoline_kernelINS0_14default_configENS1_38merge_sort_block_merge_config_selectorIilEEZZNS1_27merge_sort_block_merge_implIS3_PiN6thrust23THRUST_200600_302600_NS10device_ptrIlEEjNS1_19radix_merge_compareILb0ELb0EiNS0_19identity_decomposerEEEEE10hipError_tT0_T1_T2_jT3_P12ihipStream_tbPNSt15iterator_traitsISG_E10value_typeEPNSM_ISH_E10value_typeEPSI_NS1_7vsmem_tEENKUlT_SG_SH_SI_E_clIS7_S7_SB_PlEESF_SV_SG_SH_SI_EUlSV_E1_NS1_11comp_targetILNS1_3genE3ELNS1_11target_archE908ELNS1_3gpuE7ELNS1_3repE0EEENS1_36merge_oddeven_config_static_selectorELNS0_4arch9wavefront6targetE1EEEvSH_
	.p2align	8
	.type	_ZN7rocprim17ROCPRIM_400000_NS6detail17trampoline_kernelINS0_14default_configENS1_38merge_sort_block_merge_config_selectorIilEEZZNS1_27merge_sort_block_merge_implIS3_PiN6thrust23THRUST_200600_302600_NS10device_ptrIlEEjNS1_19radix_merge_compareILb0ELb0EiNS0_19identity_decomposerEEEEE10hipError_tT0_T1_T2_jT3_P12ihipStream_tbPNSt15iterator_traitsISG_E10value_typeEPNSM_ISH_E10value_typeEPSI_NS1_7vsmem_tEENKUlT_SG_SH_SI_E_clIS7_S7_SB_PlEESF_SV_SG_SH_SI_EUlSV_E1_NS1_11comp_targetILNS1_3genE3ELNS1_11target_archE908ELNS1_3gpuE7ELNS1_3repE0EEENS1_36merge_oddeven_config_static_selectorELNS0_4arch9wavefront6targetE1EEEvSH_,@function
_ZN7rocprim17ROCPRIM_400000_NS6detail17trampoline_kernelINS0_14default_configENS1_38merge_sort_block_merge_config_selectorIilEEZZNS1_27merge_sort_block_merge_implIS3_PiN6thrust23THRUST_200600_302600_NS10device_ptrIlEEjNS1_19radix_merge_compareILb0ELb0EiNS0_19identity_decomposerEEEEE10hipError_tT0_T1_T2_jT3_P12ihipStream_tbPNSt15iterator_traitsISG_E10value_typeEPNSM_ISH_E10value_typeEPSI_NS1_7vsmem_tEENKUlT_SG_SH_SI_E_clIS7_S7_SB_PlEESF_SV_SG_SH_SI_EUlSV_E1_NS1_11comp_targetILNS1_3genE3ELNS1_11target_archE908ELNS1_3gpuE7ELNS1_3repE0EEENS1_36merge_oddeven_config_static_selectorELNS0_4arch9wavefront6targetE1EEEvSH_: ; @_ZN7rocprim17ROCPRIM_400000_NS6detail17trampoline_kernelINS0_14default_configENS1_38merge_sort_block_merge_config_selectorIilEEZZNS1_27merge_sort_block_merge_implIS3_PiN6thrust23THRUST_200600_302600_NS10device_ptrIlEEjNS1_19radix_merge_compareILb0ELb0EiNS0_19identity_decomposerEEEEE10hipError_tT0_T1_T2_jT3_P12ihipStream_tbPNSt15iterator_traitsISG_E10value_typeEPNSM_ISH_E10value_typeEPSI_NS1_7vsmem_tEENKUlT_SG_SH_SI_E_clIS7_S7_SB_PlEESF_SV_SG_SH_SI_EUlSV_E1_NS1_11comp_targetILNS1_3genE3ELNS1_11target_archE908ELNS1_3gpuE7ELNS1_3repE0EEENS1_36merge_oddeven_config_static_selectorELNS0_4arch9wavefront6targetE1EEEvSH_
; %bb.0:
	.section	.rodata,"a",@progbits
	.p2align	6, 0x0
	.amdhsa_kernel _ZN7rocprim17ROCPRIM_400000_NS6detail17trampoline_kernelINS0_14default_configENS1_38merge_sort_block_merge_config_selectorIilEEZZNS1_27merge_sort_block_merge_implIS3_PiN6thrust23THRUST_200600_302600_NS10device_ptrIlEEjNS1_19radix_merge_compareILb0ELb0EiNS0_19identity_decomposerEEEEE10hipError_tT0_T1_T2_jT3_P12ihipStream_tbPNSt15iterator_traitsISG_E10value_typeEPNSM_ISH_E10value_typeEPSI_NS1_7vsmem_tEENKUlT_SG_SH_SI_E_clIS7_S7_SB_PlEESF_SV_SG_SH_SI_EUlSV_E1_NS1_11comp_targetILNS1_3genE3ELNS1_11target_archE908ELNS1_3gpuE7ELNS1_3repE0EEENS1_36merge_oddeven_config_static_selectorELNS0_4arch9wavefront6targetE1EEEvSH_
		.amdhsa_group_segment_fixed_size 0
		.amdhsa_private_segment_fixed_size 0
		.amdhsa_kernarg_size 48
		.amdhsa_user_sgpr_count 6
		.amdhsa_user_sgpr_private_segment_buffer 1
		.amdhsa_user_sgpr_dispatch_ptr 0
		.amdhsa_user_sgpr_queue_ptr 0
		.amdhsa_user_sgpr_kernarg_segment_ptr 1
		.amdhsa_user_sgpr_dispatch_id 0
		.amdhsa_user_sgpr_flat_scratch_init 0
		.amdhsa_user_sgpr_private_segment_size 0
		.amdhsa_uses_dynamic_stack 0
		.amdhsa_system_sgpr_private_segment_wavefront_offset 0
		.amdhsa_system_sgpr_workgroup_id_x 1
		.amdhsa_system_sgpr_workgroup_id_y 0
		.amdhsa_system_sgpr_workgroup_id_z 0
		.amdhsa_system_sgpr_workgroup_info 0
		.amdhsa_system_vgpr_workitem_id 0
		.amdhsa_next_free_vgpr 1
		.amdhsa_next_free_sgpr 0
		.amdhsa_reserve_vcc 0
		.amdhsa_reserve_flat_scratch 0
		.amdhsa_float_round_mode_32 0
		.amdhsa_float_round_mode_16_64 0
		.amdhsa_float_denorm_mode_32 3
		.amdhsa_float_denorm_mode_16_64 3
		.amdhsa_dx10_clamp 1
		.amdhsa_ieee_mode 1
		.amdhsa_fp16_overflow 0
		.amdhsa_exception_fp_ieee_invalid_op 0
		.amdhsa_exception_fp_denorm_src 0
		.amdhsa_exception_fp_ieee_div_zero 0
		.amdhsa_exception_fp_ieee_overflow 0
		.amdhsa_exception_fp_ieee_underflow 0
		.amdhsa_exception_fp_ieee_inexact 0
		.amdhsa_exception_int_div_zero 0
	.end_amdhsa_kernel
	.section	.text._ZN7rocprim17ROCPRIM_400000_NS6detail17trampoline_kernelINS0_14default_configENS1_38merge_sort_block_merge_config_selectorIilEEZZNS1_27merge_sort_block_merge_implIS3_PiN6thrust23THRUST_200600_302600_NS10device_ptrIlEEjNS1_19radix_merge_compareILb0ELb0EiNS0_19identity_decomposerEEEEE10hipError_tT0_T1_T2_jT3_P12ihipStream_tbPNSt15iterator_traitsISG_E10value_typeEPNSM_ISH_E10value_typeEPSI_NS1_7vsmem_tEENKUlT_SG_SH_SI_E_clIS7_S7_SB_PlEESF_SV_SG_SH_SI_EUlSV_E1_NS1_11comp_targetILNS1_3genE3ELNS1_11target_archE908ELNS1_3gpuE7ELNS1_3repE0EEENS1_36merge_oddeven_config_static_selectorELNS0_4arch9wavefront6targetE1EEEvSH_,"axG",@progbits,_ZN7rocprim17ROCPRIM_400000_NS6detail17trampoline_kernelINS0_14default_configENS1_38merge_sort_block_merge_config_selectorIilEEZZNS1_27merge_sort_block_merge_implIS3_PiN6thrust23THRUST_200600_302600_NS10device_ptrIlEEjNS1_19radix_merge_compareILb0ELb0EiNS0_19identity_decomposerEEEEE10hipError_tT0_T1_T2_jT3_P12ihipStream_tbPNSt15iterator_traitsISG_E10value_typeEPNSM_ISH_E10value_typeEPSI_NS1_7vsmem_tEENKUlT_SG_SH_SI_E_clIS7_S7_SB_PlEESF_SV_SG_SH_SI_EUlSV_E1_NS1_11comp_targetILNS1_3genE3ELNS1_11target_archE908ELNS1_3gpuE7ELNS1_3repE0EEENS1_36merge_oddeven_config_static_selectorELNS0_4arch9wavefront6targetE1EEEvSH_,comdat
.Lfunc_end788:
	.size	_ZN7rocprim17ROCPRIM_400000_NS6detail17trampoline_kernelINS0_14default_configENS1_38merge_sort_block_merge_config_selectorIilEEZZNS1_27merge_sort_block_merge_implIS3_PiN6thrust23THRUST_200600_302600_NS10device_ptrIlEEjNS1_19radix_merge_compareILb0ELb0EiNS0_19identity_decomposerEEEEE10hipError_tT0_T1_T2_jT3_P12ihipStream_tbPNSt15iterator_traitsISG_E10value_typeEPNSM_ISH_E10value_typeEPSI_NS1_7vsmem_tEENKUlT_SG_SH_SI_E_clIS7_S7_SB_PlEESF_SV_SG_SH_SI_EUlSV_E1_NS1_11comp_targetILNS1_3genE3ELNS1_11target_archE908ELNS1_3gpuE7ELNS1_3repE0EEENS1_36merge_oddeven_config_static_selectorELNS0_4arch9wavefront6targetE1EEEvSH_, .Lfunc_end788-_ZN7rocprim17ROCPRIM_400000_NS6detail17trampoline_kernelINS0_14default_configENS1_38merge_sort_block_merge_config_selectorIilEEZZNS1_27merge_sort_block_merge_implIS3_PiN6thrust23THRUST_200600_302600_NS10device_ptrIlEEjNS1_19radix_merge_compareILb0ELb0EiNS0_19identity_decomposerEEEEE10hipError_tT0_T1_T2_jT3_P12ihipStream_tbPNSt15iterator_traitsISG_E10value_typeEPNSM_ISH_E10value_typeEPSI_NS1_7vsmem_tEENKUlT_SG_SH_SI_E_clIS7_S7_SB_PlEESF_SV_SG_SH_SI_EUlSV_E1_NS1_11comp_targetILNS1_3genE3ELNS1_11target_archE908ELNS1_3gpuE7ELNS1_3repE0EEENS1_36merge_oddeven_config_static_selectorELNS0_4arch9wavefront6targetE1EEEvSH_
                                        ; -- End function
	.set _ZN7rocprim17ROCPRIM_400000_NS6detail17trampoline_kernelINS0_14default_configENS1_38merge_sort_block_merge_config_selectorIilEEZZNS1_27merge_sort_block_merge_implIS3_PiN6thrust23THRUST_200600_302600_NS10device_ptrIlEEjNS1_19radix_merge_compareILb0ELb0EiNS0_19identity_decomposerEEEEE10hipError_tT0_T1_T2_jT3_P12ihipStream_tbPNSt15iterator_traitsISG_E10value_typeEPNSM_ISH_E10value_typeEPSI_NS1_7vsmem_tEENKUlT_SG_SH_SI_E_clIS7_S7_SB_PlEESF_SV_SG_SH_SI_EUlSV_E1_NS1_11comp_targetILNS1_3genE3ELNS1_11target_archE908ELNS1_3gpuE7ELNS1_3repE0EEENS1_36merge_oddeven_config_static_selectorELNS0_4arch9wavefront6targetE1EEEvSH_.num_vgpr, 0
	.set _ZN7rocprim17ROCPRIM_400000_NS6detail17trampoline_kernelINS0_14default_configENS1_38merge_sort_block_merge_config_selectorIilEEZZNS1_27merge_sort_block_merge_implIS3_PiN6thrust23THRUST_200600_302600_NS10device_ptrIlEEjNS1_19radix_merge_compareILb0ELb0EiNS0_19identity_decomposerEEEEE10hipError_tT0_T1_T2_jT3_P12ihipStream_tbPNSt15iterator_traitsISG_E10value_typeEPNSM_ISH_E10value_typeEPSI_NS1_7vsmem_tEENKUlT_SG_SH_SI_E_clIS7_S7_SB_PlEESF_SV_SG_SH_SI_EUlSV_E1_NS1_11comp_targetILNS1_3genE3ELNS1_11target_archE908ELNS1_3gpuE7ELNS1_3repE0EEENS1_36merge_oddeven_config_static_selectorELNS0_4arch9wavefront6targetE1EEEvSH_.num_agpr, 0
	.set _ZN7rocprim17ROCPRIM_400000_NS6detail17trampoline_kernelINS0_14default_configENS1_38merge_sort_block_merge_config_selectorIilEEZZNS1_27merge_sort_block_merge_implIS3_PiN6thrust23THRUST_200600_302600_NS10device_ptrIlEEjNS1_19radix_merge_compareILb0ELb0EiNS0_19identity_decomposerEEEEE10hipError_tT0_T1_T2_jT3_P12ihipStream_tbPNSt15iterator_traitsISG_E10value_typeEPNSM_ISH_E10value_typeEPSI_NS1_7vsmem_tEENKUlT_SG_SH_SI_E_clIS7_S7_SB_PlEESF_SV_SG_SH_SI_EUlSV_E1_NS1_11comp_targetILNS1_3genE3ELNS1_11target_archE908ELNS1_3gpuE7ELNS1_3repE0EEENS1_36merge_oddeven_config_static_selectorELNS0_4arch9wavefront6targetE1EEEvSH_.numbered_sgpr, 0
	.set _ZN7rocprim17ROCPRIM_400000_NS6detail17trampoline_kernelINS0_14default_configENS1_38merge_sort_block_merge_config_selectorIilEEZZNS1_27merge_sort_block_merge_implIS3_PiN6thrust23THRUST_200600_302600_NS10device_ptrIlEEjNS1_19radix_merge_compareILb0ELb0EiNS0_19identity_decomposerEEEEE10hipError_tT0_T1_T2_jT3_P12ihipStream_tbPNSt15iterator_traitsISG_E10value_typeEPNSM_ISH_E10value_typeEPSI_NS1_7vsmem_tEENKUlT_SG_SH_SI_E_clIS7_S7_SB_PlEESF_SV_SG_SH_SI_EUlSV_E1_NS1_11comp_targetILNS1_3genE3ELNS1_11target_archE908ELNS1_3gpuE7ELNS1_3repE0EEENS1_36merge_oddeven_config_static_selectorELNS0_4arch9wavefront6targetE1EEEvSH_.num_named_barrier, 0
	.set _ZN7rocprim17ROCPRIM_400000_NS6detail17trampoline_kernelINS0_14default_configENS1_38merge_sort_block_merge_config_selectorIilEEZZNS1_27merge_sort_block_merge_implIS3_PiN6thrust23THRUST_200600_302600_NS10device_ptrIlEEjNS1_19radix_merge_compareILb0ELb0EiNS0_19identity_decomposerEEEEE10hipError_tT0_T1_T2_jT3_P12ihipStream_tbPNSt15iterator_traitsISG_E10value_typeEPNSM_ISH_E10value_typeEPSI_NS1_7vsmem_tEENKUlT_SG_SH_SI_E_clIS7_S7_SB_PlEESF_SV_SG_SH_SI_EUlSV_E1_NS1_11comp_targetILNS1_3genE3ELNS1_11target_archE908ELNS1_3gpuE7ELNS1_3repE0EEENS1_36merge_oddeven_config_static_selectorELNS0_4arch9wavefront6targetE1EEEvSH_.private_seg_size, 0
	.set _ZN7rocprim17ROCPRIM_400000_NS6detail17trampoline_kernelINS0_14default_configENS1_38merge_sort_block_merge_config_selectorIilEEZZNS1_27merge_sort_block_merge_implIS3_PiN6thrust23THRUST_200600_302600_NS10device_ptrIlEEjNS1_19radix_merge_compareILb0ELb0EiNS0_19identity_decomposerEEEEE10hipError_tT0_T1_T2_jT3_P12ihipStream_tbPNSt15iterator_traitsISG_E10value_typeEPNSM_ISH_E10value_typeEPSI_NS1_7vsmem_tEENKUlT_SG_SH_SI_E_clIS7_S7_SB_PlEESF_SV_SG_SH_SI_EUlSV_E1_NS1_11comp_targetILNS1_3genE3ELNS1_11target_archE908ELNS1_3gpuE7ELNS1_3repE0EEENS1_36merge_oddeven_config_static_selectorELNS0_4arch9wavefront6targetE1EEEvSH_.uses_vcc, 0
	.set _ZN7rocprim17ROCPRIM_400000_NS6detail17trampoline_kernelINS0_14default_configENS1_38merge_sort_block_merge_config_selectorIilEEZZNS1_27merge_sort_block_merge_implIS3_PiN6thrust23THRUST_200600_302600_NS10device_ptrIlEEjNS1_19radix_merge_compareILb0ELb0EiNS0_19identity_decomposerEEEEE10hipError_tT0_T1_T2_jT3_P12ihipStream_tbPNSt15iterator_traitsISG_E10value_typeEPNSM_ISH_E10value_typeEPSI_NS1_7vsmem_tEENKUlT_SG_SH_SI_E_clIS7_S7_SB_PlEESF_SV_SG_SH_SI_EUlSV_E1_NS1_11comp_targetILNS1_3genE3ELNS1_11target_archE908ELNS1_3gpuE7ELNS1_3repE0EEENS1_36merge_oddeven_config_static_selectorELNS0_4arch9wavefront6targetE1EEEvSH_.uses_flat_scratch, 0
	.set _ZN7rocprim17ROCPRIM_400000_NS6detail17trampoline_kernelINS0_14default_configENS1_38merge_sort_block_merge_config_selectorIilEEZZNS1_27merge_sort_block_merge_implIS3_PiN6thrust23THRUST_200600_302600_NS10device_ptrIlEEjNS1_19radix_merge_compareILb0ELb0EiNS0_19identity_decomposerEEEEE10hipError_tT0_T1_T2_jT3_P12ihipStream_tbPNSt15iterator_traitsISG_E10value_typeEPNSM_ISH_E10value_typeEPSI_NS1_7vsmem_tEENKUlT_SG_SH_SI_E_clIS7_S7_SB_PlEESF_SV_SG_SH_SI_EUlSV_E1_NS1_11comp_targetILNS1_3genE3ELNS1_11target_archE908ELNS1_3gpuE7ELNS1_3repE0EEENS1_36merge_oddeven_config_static_selectorELNS0_4arch9wavefront6targetE1EEEvSH_.has_dyn_sized_stack, 0
	.set _ZN7rocprim17ROCPRIM_400000_NS6detail17trampoline_kernelINS0_14default_configENS1_38merge_sort_block_merge_config_selectorIilEEZZNS1_27merge_sort_block_merge_implIS3_PiN6thrust23THRUST_200600_302600_NS10device_ptrIlEEjNS1_19radix_merge_compareILb0ELb0EiNS0_19identity_decomposerEEEEE10hipError_tT0_T1_T2_jT3_P12ihipStream_tbPNSt15iterator_traitsISG_E10value_typeEPNSM_ISH_E10value_typeEPSI_NS1_7vsmem_tEENKUlT_SG_SH_SI_E_clIS7_S7_SB_PlEESF_SV_SG_SH_SI_EUlSV_E1_NS1_11comp_targetILNS1_3genE3ELNS1_11target_archE908ELNS1_3gpuE7ELNS1_3repE0EEENS1_36merge_oddeven_config_static_selectorELNS0_4arch9wavefront6targetE1EEEvSH_.has_recursion, 0
	.set _ZN7rocprim17ROCPRIM_400000_NS6detail17trampoline_kernelINS0_14default_configENS1_38merge_sort_block_merge_config_selectorIilEEZZNS1_27merge_sort_block_merge_implIS3_PiN6thrust23THRUST_200600_302600_NS10device_ptrIlEEjNS1_19radix_merge_compareILb0ELb0EiNS0_19identity_decomposerEEEEE10hipError_tT0_T1_T2_jT3_P12ihipStream_tbPNSt15iterator_traitsISG_E10value_typeEPNSM_ISH_E10value_typeEPSI_NS1_7vsmem_tEENKUlT_SG_SH_SI_E_clIS7_S7_SB_PlEESF_SV_SG_SH_SI_EUlSV_E1_NS1_11comp_targetILNS1_3genE3ELNS1_11target_archE908ELNS1_3gpuE7ELNS1_3repE0EEENS1_36merge_oddeven_config_static_selectorELNS0_4arch9wavefront6targetE1EEEvSH_.has_indirect_call, 0
	.section	.AMDGPU.csdata,"",@progbits
; Kernel info:
; codeLenInByte = 0
; TotalNumSgprs: 4
; NumVgprs: 0
; ScratchSize: 0
; MemoryBound: 0
; FloatMode: 240
; IeeeMode: 1
; LDSByteSize: 0 bytes/workgroup (compile time only)
; SGPRBlocks: 0
; VGPRBlocks: 0
; NumSGPRsForWavesPerEU: 4
; NumVGPRsForWavesPerEU: 1
; Occupancy: 10
; WaveLimiterHint : 0
; COMPUTE_PGM_RSRC2:SCRATCH_EN: 0
; COMPUTE_PGM_RSRC2:USER_SGPR: 6
; COMPUTE_PGM_RSRC2:TRAP_HANDLER: 0
; COMPUTE_PGM_RSRC2:TGID_X_EN: 1
; COMPUTE_PGM_RSRC2:TGID_Y_EN: 0
; COMPUTE_PGM_RSRC2:TGID_Z_EN: 0
; COMPUTE_PGM_RSRC2:TIDIG_COMP_CNT: 0
	.section	.text._ZN7rocprim17ROCPRIM_400000_NS6detail17trampoline_kernelINS0_14default_configENS1_38merge_sort_block_merge_config_selectorIilEEZZNS1_27merge_sort_block_merge_implIS3_PiN6thrust23THRUST_200600_302600_NS10device_ptrIlEEjNS1_19radix_merge_compareILb0ELb0EiNS0_19identity_decomposerEEEEE10hipError_tT0_T1_T2_jT3_P12ihipStream_tbPNSt15iterator_traitsISG_E10value_typeEPNSM_ISH_E10value_typeEPSI_NS1_7vsmem_tEENKUlT_SG_SH_SI_E_clIS7_S7_SB_PlEESF_SV_SG_SH_SI_EUlSV_E1_NS1_11comp_targetILNS1_3genE2ELNS1_11target_archE906ELNS1_3gpuE6ELNS1_3repE0EEENS1_36merge_oddeven_config_static_selectorELNS0_4arch9wavefront6targetE1EEEvSH_,"axG",@progbits,_ZN7rocprim17ROCPRIM_400000_NS6detail17trampoline_kernelINS0_14default_configENS1_38merge_sort_block_merge_config_selectorIilEEZZNS1_27merge_sort_block_merge_implIS3_PiN6thrust23THRUST_200600_302600_NS10device_ptrIlEEjNS1_19radix_merge_compareILb0ELb0EiNS0_19identity_decomposerEEEEE10hipError_tT0_T1_T2_jT3_P12ihipStream_tbPNSt15iterator_traitsISG_E10value_typeEPNSM_ISH_E10value_typeEPSI_NS1_7vsmem_tEENKUlT_SG_SH_SI_E_clIS7_S7_SB_PlEESF_SV_SG_SH_SI_EUlSV_E1_NS1_11comp_targetILNS1_3genE2ELNS1_11target_archE906ELNS1_3gpuE6ELNS1_3repE0EEENS1_36merge_oddeven_config_static_selectorELNS0_4arch9wavefront6targetE1EEEvSH_,comdat
	.protected	_ZN7rocprim17ROCPRIM_400000_NS6detail17trampoline_kernelINS0_14default_configENS1_38merge_sort_block_merge_config_selectorIilEEZZNS1_27merge_sort_block_merge_implIS3_PiN6thrust23THRUST_200600_302600_NS10device_ptrIlEEjNS1_19radix_merge_compareILb0ELb0EiNS0_19identity_decomposerEEEEE10hipError_tT0_T1_T2_jT3_P12ihipStream_tbPNSt15iterator_traitsISG_E10value_typeEPNSM_ISH_E10value_typeEPSI_NS1_7vsmem_tEENKUlT_SG_SH_SI_E_clIS7_S7_SB_PlEESF_SV_SG_SH_SI_EUlSV_E1_NS1_11comp_targetILNS1_3genE2ELNS1_11target_archE906ELNS1_3gpuE6ELNS1_3repE0EEENS1_36merge_oddeven_config_static_selectorELNS0_4arch9wavefront6targetE1EEEvSH_ ; -- Begin function _ZN7rocprim17ROCPRIM_400000_NS6detail17trampoline_kernelINS0_14default_configENS1_38merge_sort_block_merge_config_selectorIilEEZZNS1_27merge_sort_block_merge_implIS3_PiN6thrust23THRUST_200600_302600_NS10device_ptrIlEEjNS1_19radix_merge_compareILb0ELb0EiNS0_19identity_decomposerEEEEE10hipError_tT0_T1_T2_jT3_P12ihipStream_tbPNSt15iterator_traitsISG_E10value_typeEPNSM_ISH_E10value_typeEPSI_NS1_7vsmem_tEENKUlT_SG_SH_SI_E_clIS7_S7_SB_PlEESF_SV_SG_SH_SI_EUlSV_E1_NS1_11comp_targetILNS1_3genE2ELNS1_11target_archE906ELNS1_3gpuE6ELNS1_3repE0EEENS1_36merge_oddeven_config_static_selectorELNS0_4arch9wavefront6targetE1EEEvSH_
	.globl	_ZN7rocprim17ROCPRIM_400000_NS6detail17trampoline_kernelINS0_14default_configENS1_38merge_sort_block_merge_config_selectorIilEEZZNS1_27merge_sort_block_merge_implIS3_PiN6thrust23THRUST_200600_302600_NS10device_ptrIlEEjNS1_19radix_merge_compareILb0ELb0EiNS0_19identity_decomposerEEEEE10hipError_tT0_T1_T2_jT3_P12ihipStream_tbPNSt15iterator_traitsISG_E10value_typeEPNSM_ISH_E10value_typeEPSI_NS1_7vsmem_tEENKUlT_SG_SH_SI_E_clIS7_S7_SB_PlEESF_SV_SG_SH_SI_EUlSV_E1_NS1_11comp_targetILNS1_3genE2ELNS1_11target_archE906ELNS1_3gpuE6ELNS1_3repE0EEENS1_36merge_oddeven_config_static_selectorELNS0_4arch9wavefront6targetE1EEEvSH_
	.p2align	8
	.type	_ZN7rocprim17ROCPRIM_400000_NS6detail17trampoline_kernelINS0_14default_configENS1_38merge_sort_block_merge_config_selectorIilEEZZNS1_27merge_sort_block_merge_implIS3_PiN6thrust23THRUST_200600_302600_NS10device_ptrIlEEjNS1_19radix_merge_compareILb0ELb0EiNS0_19identity_decomposerEEEEE10hipError_tT0_T1_T2_jT3_P12ihipStream_tbPNSt15iterator_traitsISG_E10value_typeEPNSM_ISH_E10value_typeEPSI_NS1_7vsmem_tEENKUlT_SG_SH_SI_E_clIS7_S7_SB_PlEESF_SV_SG_SH_SI_EUlSV_E1_NS1_11comp_targetILNS1_3genE2ELNS1_11target_archE906ELNS1_3gpuE6ELNS1_3repE0EEENS1_36merge_oddeven_config_static_selectorELNS0_4arch9wavefront6targetE1EEEvSH_,@function
_ZN7rocprim17ROCPRIM_400000_NS6detail17trampoline_kernelINS0_14default_configENS1_38merge_sort_block_merge_config_selectorIilEEZZNS1_27merge_sort_block_merge_implIS3_PiN6thrust23THRUST_200600_302600_NS10device_ptrIlEEjNS1_19radix_merge_compareILb0ELb0EiNS0_19identity_decomposerEEEEE10hipError_tT0_T1_T2_jT3_P12ihipStream_tbPNSt15iterator_traitsISG_E10value_typeEPNSM_ISH_E10value_typeEPSI_NS1_7vsmem_tEENKUlT_SG_SH_SI_E_clIS7_S7_SB_PlEESF_SV_SG_SH_SI_EUlSV_E1_NS1_11comp_targetILNS1_3genE2ELNS1_11target_archE906ELNS1_3gpuE6ELNS1_3repE0EEENS1_36merge_oddeven_config_static_selectorELNS0_4arch9wavefront6targetE1EEEvSH_: ; @_ZN7rocprim17ROCPRIM_400000_NS6detail17trampoline_kernelINS0_14default_configENS1_38merge_sort_block_merge_config_selectorIilEEZZNS1_27merge_sort_block_merge_implIS3_PiN6thrust23THRUST_200600_302600_NS10device_ptrIlEEjNS1_19radix_merge_compareILb0ELb0EiNS0_19identity_decomposerEEEEE10hipError_tT0_T1_T2_jT3_P12ihipStream_tbPNSt15iterator_traitsISG_E10value_typeEPNSM_ISH_E10value_typeEPSI_NS1_7vsmem_tEENKUlT_SG_SH_SI_E_clIS7_S7_SB_PlEESF_SV_SG_SH_SI_EUlSV_E1_NS1_11comp_targetILNS1_3genE2ELNS1_11target_archE906ELNS1_3gpuE6ELNS1_3repE0EEENS1_36merge_oddeven_config_static_selectorELNS0_4arch9wavefront6targetE1EEEvSH_
; %bb.0:
	s_load_dword s7, s[4:5], 0x20
	s_waitcnt lgkmcnt(0)
	s_lshr_b32 s0, s7, 8
	s_cmp_eq_u32 s6, s0
	s_cselect_b64 s[16:17], -1, 0
	s_cmp_lg_u32 s6, s0
	s_cselect_b64 s[0:1], -1, 0
	s_lshl_b32 s18, s6, 8
	s_sub_i32 s2, s7, s18
	v_cmp_gt_u32_e64 s[2:3], s2, v0
	s_or_b64 s[0:1], s[0:1], s[2:3]
	s_and_saveexec_b64 s[8:9], s[0:1]
	s_cbranch_execz .LBB789_24
; %bb.1:
	s_load_dwordx8 s[8:15], s[4:5], 0x0
	s_mov_b32 s19, 0
	s_lshl_b64 s[0:1], s[18:19], 2
	v_lshlrev_b32_e32 v4, 3, v0
	v_lshlrev_b32_e32 v3, 2, v0
	s_waitcnt lgkmcnt(0)
	s_add_u32 s0, s8, s0
	s_addc_u32 s1, s9, s1
	s_lshl_b64 s[20:21], s[18:19], 3
	s_add_u32 s12, s12, s20
	s_addc_u32 s13, s13, s21
	global_load_dwordx2 v[1:2], v4, s[12:13]
	global_load_dword v5, v3, s[0:1]
	s_load_dword s13, s[4:5], 0x24
	v_add_u32_e32 v3, s18, v0
	s_waitcnt lgkmcnt(0)
	s_lshr_b32 s0, s13, 8
	s_sub_i32 s1, 0, s0
	s_and_b32 s1, s6, s1
	s_and_b32 s0, s1, s0
	s_lshl_b32 s19, s1, 8
	s_sub_i32 s6, 0, s13
	s_cmp_eq_u32 s0, 0
	s_cselect_b64 s[0:1], -1, 0
	s_and_b64 s[4:5], s[0:1], exec
	s_cselect_b32 s6, s13, s6
	s_add_i32 s6, s6, s19
	s_mov_b64 s[4:5], -1
	s_cmp_gt_u32 s7, s6
	s_cbranch_scc1 .LBB789_9
; %bb.2:
	s_and_b64 vcc, exec, s[16:17]
	s_cbranch_vccz .LBB789_6
; %bb.3:
	v_cmp_gt_u32_e32 vcc, s7, v3
	s_and_saveexec_b64 s[4:5], vcc
	s_cbranch_execz .LBB789_5
; %bb.4:
	v_mov_b32_e32 v4, 0
	v_lshlrev_b64 v[6:7], 2, v[3:4]
	v_mov_b32_e32 v0, s11
	v_add_co_u32_e32 v6, vcc, s10, v6
	v_lshlrev_b64 v[8:9], 3, v[3:4]
	v_addc_co_u32_e32 v7, vcc, v0, v7, vcc
	v_mov_b32_e32 v0, s15
	v_add_co_u32_e32 v8, vcc, s14, v8
	v_addc_co_u32_e32 v9, vcc, v0, v9, vcc
	s_waitcnt vmcnt(0)
	global_store_dword v[6:7], v5, off
	global_store_dwordx2 v[8:9], v[1:2], off
.LBB789_5:
	s_or_b64 exec, exec, s[4:5]
	s_mov_b64 s[4:5], 0
.LBB789_6:
	s_andn2_b64 vcc, exec, s[4:5]
	s_cbranch_vccnz .LBB789_8
; %bb.7:
	v_mov_b32_e32 v4, 0
	v_lshlrev_b64 v[6:7], 2, v[3:4]
	v_mov_b32_e32 v0, s11
	v_add_co_u32_e32 v6, vcc, s10, v6
	v_lshlrev_b64 v[8:9], 3, v[3:4]
	v_addc_co_u32_e32 v7, vcc, v0, v7, vcc
	v_mov_b32_e32 v0, s15
	v_add_co_u32_e32 v8, vcc, s14, v8
	v_addc_co_u32_e32 v9, vcc, v0, v9, vcc
	s_waitcnt vmcnt(0)
	global_store_dword v[6:7], v5, off
	global_store_dwordx2 v[8:9], v[1:2], off
.LBB789_8:
	s_mov_b64 s[4:5], 0
.LBB789_9:
	s_andn2_b64 vcc, exec, s[4:5]
	s_cbranch_vccnz .LBB789_24
; %bb.10:
	s_min_u32 s12, s6, s7
	s_add_i32 s4, s12, s13
	s_min_u32 s7, s4, s7
	s_min_u32 s4, s19, s12
	s_add_i32 s19, s19, s12
	v_subrev_u32_e32 v0, s19, v3
	v_add_u32_e32 v0, s4, v0
	s_andn2_b64 vcc, exec, s[16:17]
	s_mov_b64 s[4:5], -1
	s_cbranch_vccnz .LBB789_18
; %bb.11:
	s_and_saveexec_b64 s[4:5], s[2:3]
	s_cbranch_execz .LBB789_17
; %bb.12:
	s_cmp_ge_u32 s6, s7
	v_mov_b32_e32 v6, s12
	s_cbranch_scc1 .LBB789_16
; %bb.13:
	s_mov_b64 s[2:3], 0
	v_mov_b32_e32 v7, s7
	v_mov_b32_e32 v6, s12
	;; [unrolled: 1-line block ×4, first 2 shown]
.LBB789_14:                             ; =>This Inner Loop Header: Depth=1
	v_add_u32_e32 v3, v6, v7
	v_lshrrev_b32_e32 v3, 1, v3
	v_lshlrev_b64 v[9:10], 2, v[3:4]
	v_add_co_u32_e32 v9, vcc, s8, v9
	v_addc_co_u32_e32 v10, vcc, v8, v10, vcc
	global_load_dword v9, v[9:10], off
	v_add_u32_e32 v10, 1, v3
	s_waitcnt vmcnt(0)
	v_cmp_gt_i32_e32 vcc, v5, v9
	v_cndmask_b32_e64 v11, 0, 1, vcc
	v_cmp_le_i32_e32 vcc, v9, v5
	v_cndmask_b32_e64 v9, 0, 1, vcc
	v_cndmask_b32_e64 v9, v9, v11, s[0:1]
	v_and_b32_e32 v9, 1, v9
	v_cmp_eq_u32_e32 vcc, 1, v9
	v_cndmask_b32_e32 v7, v3, v7, vcc
	v_cndmask_b32_e32 v6, v6, v10, vcc
	v_cmp_ge_u32_e32 vcc, v6, v7
	s_or_b64 s[2:3], vcc, s[2:3]
	s_andn2_b64 exec, exec, s[2:3]
	s_cbranch_execnz .LBB789_14
; %bb.15:
	s_or_b64 exec, exec, s[2:3]
.LBB789_16:
	v_add_u32_e32 v3, v6, v0
	v_mov_b32_e32 v4, 0
	v_lshlrev_b64 v[6:7], 2, v[3:4]
	v_mov_b32_e32 v8, s11
	v_add_co_u32_e32 v6, vcc, s10, v6
	v_lshlrev_b64 v[3:4], 3, v[3:4]
	v_addc_co_u32_e32 v7, vcc, v8, v7, vcc
	s_waitcnt vmcnt(0)
	global_store_dword v[6:7], v5, off
	v_mov_b32_e32 v6, s15
	v_add_co_u32_e32 v3, vcc, s14, v3
	v_addc_co_u32_e32 v4, vcc, v6, v4, vcc
	global_store_dwordx2 v[3:4], v[1:2], off
.LBB789_17:
	s_or_b64 exec, exec, s[4:5]
	s_mov_b64 s[4:5], 0
.LBB789_18:
	s_andn2_b64 vcc, exec, s[4:5]
	s_cbranch_vccnz .LBB789_24
; %bb.19:
	s_cmp_ge_u32 s6, s7
	v_mov_b32_e32 v6, s12
	s_cbranch_scc1 .LBB789_23
; %bb.20:
	s_mov_b64 s[2:3], 0
	v_mov_b32_e32 v7, s7
	v_mov_b32_e32 v6, s12
	;; [unrolled: 1-line block ×4, first 2 shown]
.LBB789_21:                             ; =>This Inner Loop Header: Depth=1
	v_add_u32_e32 v3, v6, v7
	v_lshrrev_b32_e32 v3, 1, v3
	v_lshlrev_b64 v[9:10], 2, v[3:4]
	v_add_co_u32_e32 v9, vcc, s8, v9
	v_addc_co_u32_e32 v10, vcc, v8, v10, vcc
	global_load_dword v9, v[9:10], off
	v_add_u32_e32 v10, 1, v3
	s_waitcnt vmcnt(0)
	v_cmp_gt_i32_e32 vcc, v5, v9
	v_cndmask_b32_e64 v11, 0, 1, vcc
	v_cmp_le_i32_e32 vcc, v9, v5
	v_cndmask_b32_e64 v9, 0, 1, vcc
	v_cndmask_b32_e64 v9, v9, v11, s[0:1]
	v_and_b32_e32 v9, 1, v9
	v_cmp_eq_u32_e32 vcc, 1, v9
	v_cndmask_b32_e32 v7, v3, v7, vcc
	v_cndmask_b32_e32 v6, v6, v10, vcc
	v_cmp_ge_u32_e32 vcc, v6, v7
	s_or_b64 s[2:3], vcc, s[2:3]
	s_andn2_b64 exec, exec, s[2:3]
	s_cbranch_execnz .LBB789_21
; %bb.22:
	s_or_b64 exec, exec, s[2:3]
.LBB789_23:
	v_add_u32_e32 v3, v6, v0
	v_mov_b32_e32 v4, 0
	v_lshlrev_b64 v[6:7], 2, v[3:4]
	v_mov_b32_e32 v0, s11
	v_add_co_u32_e32 v6, vcc, s10, v6
	v_lshlrev_b64 v[3:4], 3, v[3:4]
	v_addc_co_u32_e32 v7, vcc, v0, v7, vcc
	v_mov_b32_e32 v0, s15
	v_add_co_u32_e32 v3, vcc, s14, v3
	v_addc_co_u32_e32 v4, vcc, v0, v4, vcc
	s_waitcnt vmcnt(0)
	global_store_dword v[6:7], v5, off
	global_store_dwordx2 v[3:4], v[1:2], off
.LBB789_24:
	s_endpgm
	.section	.rodata,"a",@progbits
	.p2align	6, 0x0
	.amdhsa_kernel _ZN7rocprim17ROCPRIM_400000_NS6detail17trampoline_kernelINS0_14default_configENS1_38merge_sort_block_merge_config_selectorIilEEZZNS1_27merge_sort_block_merge_implIS3_PiN6thrust23THRUST_200600_302600_NS10device_ptrIlEEjNS1_19radix_merge_compareILb0ELb0EiNS0_19identity_decomposerEEEEE10hipError_tT0_T1_T2_jT3_P12ihipStream_tbPNSt15iterator_traitsISG_E10value_typeEPNSM_ISH_E10value_typeEPSI_NS1_7vsmem_tEENKUlT_SG_SH_SI_E_clIS7_S7_SB_PlEESF_SV_SG_SH_SI_EUlSV_E1_NS1_11comp_targetILNS1_3genE2ELNS1_11target_archE906ELNS1_3gpuE6ELNS1_3repE0EEENS1_36merge_oddeven_config_static_selectorELNS0_4arch9wavefront6targetE1EEEvSH_
		.amdhsa_group_segment_fixed_size 0
		.amdhsa_private_segment_fixed_size 0
		.amdhsa_kernarg_size 48
		.amdhsa_user_sgpr_count 6
		.amdhsa_user_sgpr_private_segment_buffer 1
		.amdhsa_user_sgpr_dispatch_ptr 0
		.amdhsa_user_sgpr_queue_ptr 0
		.amdhsa_user_sgpr_kernarg_segment_ptr 1
		.amdhsa_user_sgpr_dispatch_id 0
		.amdhsa_user_sgpr_flat_scratch_init 0
		.amdhsa_user_sgpr_private_segment_size 0
		.amdhsa_uses_dynamic_stack 0
		.amdhsa_system_sgpr_private_segment_wavefront_offset 0
		.amdhsa_system_sgpr_workgroup_id_x 1
		.amdhsa_system_sgpr_workgroup_id_y 0
		.amdhsa_system_sgpr_workgroup_id_z 0
		.amdhsa_system_sgpr_workgroup_info 0
		.amdhsa_system_vgpr_workitem_id 0
		.amdhsa_next_free_vgpr 12
		.amdhsa_next_free_sgpr 22
		.amdhsa_reserve_vcc 1
		.amdhsa_reserve_flat_scratch 0
		.amdhsa_float_round_mode_32 0
		.amdhsa_float_round_mode_16_64 0
		.amdhsa_float_denorm_mode_32 3
		.amdhsa_float_denorm_mode_16_64 3
		.amdhsa_dx10_clamp 1
		.amdhsa_ieee_mode 1
		.amdhsa_fp16_overflow 0
		.amdhsa_exception_fp_ieee_invalid_op 0
		.amdhsa_exception_fp_denorm_src 0
		.amdhsa_exception_fp_ieee_div_zero 0
		.amdhsa_exception_fp_ieee_overflow 0
		.amdhsa_exception_fp_ieee_underflow 0
		.amdhsa_exception_fp_ieee_inexact 0
		.amdhsa_exception_int_div_zero 0
	.end_amdhsa_kernel
	.section	.text._ZN7rocprim17ROCPRIM_400000_NS6detail17trampoline_kernelINS0_14default_configENS1_38merge_sort_block_merge_config_selectorIilEEZZNS1_27merge_sort_block_merge_implIS3_PiN6thrust23THRUST_200600_302600_NS10device_ptrIlEEjNS1_19radix_merge_compareILb0ELb0EiNS0_19identity_decomposerEEEEE10hipError_tT0_T1_T2_jT3_P12ihipStream_tbPNSt15iterator_traitsISG_E10value_typeEPNSM_ISH_E10value_typeEPSI_NS1_7vsmem_tEENKUlT_SG_SH_SI_E_clIS7_S7_SB_PlEESF_SV_SG_SH_SI_EUlSV_E1_NS1_11comp_targetILNS1_3genE2ELNS1_11target_archE906ELNS1_3gpuE6ELNS1_3repE0EEENS1_36merge_oddeven_config_static_selectorELNS0_4arch9wavefront6targetE1EEEvSH_,"axG",@progbits,_ZN7rocprim17ROCPRIM_400000_NS6detail17trampoline_kernelINS0_14default_configENS1_38merge_sort_block_merge_config_selectorIilEEZZNS1_27merge_sort_block_merge_implIS3_PiN6thrust23THRUST_200600_302600_NS10device_ptrIlEEjNS1_19radix_merge_compareILb0ELb0EiNS0_19identity_decomposerEEEEE10hipError_tT0_T1_T2_jT3_P12ihipStream_tbPNSt15iterator_traitsISG_E10value_typeEPNSM_ISH_E10value_typeEPSI_NS1_7vsmem_tEENKUlT_SG_SH_SI_E_clIS7_S7_SB_PlEESF_SV_SG_SH_SI_EUlSV_E1_NS1_11comp_targetILNS1_3genE2ELNS1_11target_archE906ELNS1_3gpuE6ELNS1_3repE0EEENS1_36merge_oddeven_config_static_selectorELNS0_4arch9wavefront6targetE1EEEvSH_,comdat
.Lfunc_end789:
	.size	_ZN7rocprim17ROCPRIM_400000_NS6detail17trampoline_kernelINS0_14default_configENS1_38merge_sort_block_merge_config_selectorIilEEZZNS1_27merge_sort_block_merge_implIS3_PiN6thrust23THRUST_200600_302600_NS10device_ptrIlEEjNS1_19radix_merge_compareILb0ELb0EiNS0_19identity_decomposerEEEEE10hipError_tT0_T1_T2_jT3_P12ihipStream_tbPNSt15iterator_traitsISG_E10value_typeEPNSM_ISH_E10value_typeEPSI_NS1_7vsmem_tEENKUlT_SG_SH_SI_E_clIS7_S7_SB_PlEESF_SV_SG_SH_SI_EUlSV_E1_NS1_11comp_targetILNS1_3genE2ELNS1_11target_archE906ELNS1_3gpuE6ELNS1_3repE0EEENS1_36merge_oddeven_config_static_selectorELNS0_4arch9wavefront6targetE1EEEvSH_, .Lfunc_end789-_ZN7rocprim17ROCPRIM_400000_NS6detail17trampoline_kernelINS0_14default_configENS1_38merge_sort_block_merge_config_selectorIilEEZZNS1_27merge_sort_block_merge_implIS3_PiN6thrust23THRUST_200600_302600_NS10device_ptrIlEEjNS1_19radix_merge_compareILb0ELb0EiNS0_19identity_decomposerEEEEE10hipError_tT0_T1_T2_jT3_P12ihipStream_tbPNSt15iterator_traitsISG_E10value_typeEPNSM_ISH_E10value_typeEPSI_NS1_7vsmem_tEENKUlT_SG_SH_SI_E_clIS7_S7_SB_PlEESF_SV_SG_SH_SI_EUlSV_E1_NS1_11comp_targetILNS1_3genE2ELNS1_11target_archE906ELNS1_3gpuE6ELNS1_3repE0EEENS1_36merge_oddeven_config_static_selectorELNS0_4arch9wavefront6targetE1EEEvSH_
                                        ; -- End function
	.set _ZN7rocprim17ROCPRIM_400000_NS6detail17trampoline_kernelINS0_14default_configENS1_38merge_sort_block_merge_config_selectorIilEEZZNS1_27merge_sort_block_merge_implIS3_PiN6thrust23THRUST_200600_302600_NS10device_ptrIlEEjNS1_19radix_merge_compareILb0ELb0EiNS0_19identity_decomposerEEEEE10hipError_tT0_T1_T2_jT3_P12ihipStream_tbPNSt15iterator_traitsISG_E10value_typeEPNSM_ISH_E10value_typeEPSI_NS1_7vsmem_tEENKUlT_SG_SH_SI_E_clIS7_S7_SB_PlEESF_SV_SG_SH_SI_EUlSV_E1_NS1_11comp_targetILNS1_3genE2ELNS1_11target_archE906ELNS1_3gpuE6ELNS1_3repE0EEENS1_36merge_oddeven_config_static_selectorELNS0_4arch9wavefront6targetE1EEEvSH_.num_vgpr, 12
	.set _ZN7rocprim17ROCPRIM_400000_NS6detail17trampoline_kernelINS0_14default_configENS1_38merge_sort_block_merge_config_selectorIilEEZZNS1_27merge_sort_block_merge_implIS3_PiN6thrust23THRUST_200600_302600_NS10device_ptrIlEEjNS1_19radix_merge_compareILb0ELb0EiNS0_19identity_decomposerEEEEE10hipError_tT0_T1_T2_jT3_P12ihipStream_tbPNSt15iterator_traitsISG_E10value_typeEPNSM_ISH_E10value_typeEPSI_NS1_7vsmem_tEENKUlT_SG_SH_SI_E_clIS7_S7_SB_PlEESF_SV_SG_SH_SI_EUlSV_E1_NS1_11comp_targetILNS1_3genE2ELNS1_11target_archE906ELNS1_3gpuE6ELNS1_3repE0EEENS1_36merge_oddeven_config_static_selectorELNS0_4arch9wavefront6targetE1EEEvSH_.num_agpr, 0
	.set _ZN7rocprim17ROCPRIM_400000_NS6detail17trampoline_kernelINS0_14default_configENS1_38merge_sort_block_merge_config_selectorIilEEZZNS1_27merge_sort_block_merge_implIS3_PiN6thrust23THRUST_200600_302600_NS10device_ptrIlEEjNS1_19radix_merge_compareILb0ELb0EiNS0_19identity_decomposerEEEEE10hipError_tT0_T1_T2_jT3_P12ihipStream_tbPNSt15iterator_traitsISG_E10value_typeEPNSM_ISH_E10value_typeEPSI_NS1_7vsmem_tEENKUlT_SG_SH_SI_E_clIS7_S7_SB_PlEESF_SV_SG_SH_SI_EUlSV_E1_NS1_11comp_targetILNS1_3genE2ELNS1_11target_archE906ELNS1_3gpuE6ELNS1_3repE0EEENS1_36merge_oddeven_config_static_selectorELNS0_4arch9wavefront6targetE1EEEvSH_.numbered_sgpr, 22
	.set _ZN7rocprim17ROCPRIM_400000_NS6detail17trampoline_kernelINS0_14default_configENS1_38merge_sort_block_merge_config_selectorIilEEZZNS1_27merge_sort_block_merge_implIS3_PiN6thrust23THRUST_200600_302600_NS10device_ptrIlEEjNS1_19radix_merge_compareILb0ELb0EiNS0_19identity_decomposerEEEEE10hipError_tT0_T1_T2_jT3_P12ihipStream_tbPNSt15iterator_traitsISG_E10value_typeEPNSM_ISH_E10value_typeEPSI_NS1_7vsmem_tEENKUlT_SG_SH_SI_E_clIS7_S7_SB_PlEESF_SV_SG_SH_SI_EUlSV_E1_NS1_11comp_targetILNS1_3genE2ELNS1_11target_archE906ELNS1_3gpuE6ELNS1_3repE0EEENS1_36merge_oddeven_config_static_selectorELNS0_4arch9wavefront6targetE1EEEvSH_.num_named_barrier, 0
	.set _ZN7rocprim17ROCPRIM_400000_NS6detail17trampoline_kernelINS0_14default_configENS1_38merge_sort_block_merge_config_selectorIilEEZZNS1_27merge_sort_block_merge_implIS3_PiN6thrust23THRUST_200600_302600_NS10device_ptrIlEEjNS1_19radix_merge_compareILb0ELb0EiNS0_19identity_decomposerEEEEE10hipError_tT0_T1_T2_jT3_P12ihipStream_tbPNSt15iterator_traitsISG_E10value_typeEPNSM_ISH_E10value_typeEPSI_NS1_7vsmem_tEENKUlT_SG_SH_SI_E_clIS7_S7_SB_PlEESF_SV_SG_SH_SI_EUlSV_E1_NS1_11comp_targetILNS1_3genE2ELNS1_11target_archE906ELNS1_3gpuE6ELNS1_3repE0EEENS1_36merge_oddeven_config_static_selectorELNS0_4arch9wavefront6targetE1EEEvSH_.private_seg_size, 0
	.set _ZN7rocprim17ROCPRIM_400000_NS6detail17trampoline_kernelINS0_14default_configENS1_38merge_sort_block_merge_config_selectorIilEEZZNS1_27merge_sort_block_merge_implIS3_PiN6thrust23THRUST_200600_302600_NS10device_ptrIlEEjNS1_19radix_merge_compareILb0ELb0EiNS0_19identity_decomposerEEEEE10hipError_tT0_T1_T2_jT3_P12ihipStream_tbPNSt15iterator_traitsISG_E10value_typeEPNSM_ISH_E10value_typeEPSI_NS1_7vsmem_tEENKUlT_SG_SH_SI_E_clIS7_S7_SB_PlEESF_SV_SG_SH_SI_EUlSV_E1_NS1_11comp_targetILNS1_3genE2ELNS1_11target_archE906ELNS1_3gpuE6ELNS1_3repE0EEENS1_36merge_oddeven_config_static_selectorELNS0_4arch9wavefront6targetE1EEEvSH_.uses_vcc, 1
	.set _ZN7rocprim17ROCPRIM_400000_NS6detail17trampoline_kernelINS0_14default_configENS1_38merge_sort_block_merge_config_selectorIilEEZZNS1_27merge_sort_block_merge_implIS3_PiN6thrust23THRUST_200600_302600_NS10device_ptrIlEEjNS1_19radix_merge_compareILb0ELb0EiNS0_19identity_decomposerEEEEE10hipError_tT0_T1_T2_jT3_P12ihipStream_tbPNSt15iterator_traitsISG_E10value_typeEPNSM_ISH_E10value_typeEPSI_NS1_7vsmem_tEENKUlT_SG_SH_SI_E_clIS7_S7_SB_PlEESF_SV_SG_SH_SI_EUlSV_E1_NS1_11comp_targetILNS1_3genE2ELNS1_11target_archE906ELNS1_3gpuE6ELNS1_3repE0EEENS1_36merge_oddeven_config_static_selectorELNS0_4arch9wavefront6targetE1EEEvSH_.uses_flat_scratch, 0
	.set _ZN7rocprim17ROCPRIM_400000_NS6detail17trampoline_kernelINS0_14default_configENS1_38merge_sort_block_merge_config_selectorIilEEZZNS1_27merge_sort_block_merge_implIS3_PiN6thrust23THRUST_200600_302600_NS10device_ptrIlEEjNS1_19radix_merge_compareILb0ELb0EiNS0_19identity_decomposerEEEEE10hipError_tT0_T1_T2_jT3_P12ihipStream_tbPNSt15iterator_traitsISG_E10value_typeEPNSM_ISH_E10value_typeEPSI_NS1_7vsmem_tEENKUlT_SG_SH_SI_E_clIS7_S7_SB_PlEESF_SV_SG_SH_SI_EUlSV_E1_NS1_11comp_targetILNS1_3genE2ELNS1_11target_archE906ELNS1_3gpuE6ELNS1_3repE0EEENS1_36merge_oddeven_config_static_selectorELNS0_4arch9wavefront6targetE1EEEvSH_.has_dyn_sized_stack, 0
	.set _ZN7rocprim17ROCPRIM_400000_NS6detail17trampoline_kernelINS0_14default_configENS1_38merge_sort_block_merge_config_selectorIilEEZZNS1_27merge_sort_block_merge_implIS3_PiN6thrust23THRUST_200600_302600_NS10device_ptrIlEEjNS1_19radix_merge_compareILb0ELb0EiNS0_19identity_decomposerEEEEE10hipError_tT0_T1_T2_jT3_P12ihipStream_tbPNSt15iterator_traitsISG_E10value_typeEPNSM_ISH_E10value_typeEPSI_NS1_7vsmem_tEENKUlT_SG_SH_SI_E_clIS7_S7_SB_PlEESF_SV_SG_SH_SI_EUlSV_E1_NS1_11comp_targetILNS1_3genE2ELNS1_11target_archE906ELNS1_3gpuE6ELNS1_3repE0EEENS1_36merge_oddeven_config_static_selectorELNS0_4arch9wavefront6targetE1EEEvSH_.has_recursion, 0
	.set _ZN7rocprim17ROCPRIM_400000_NS6detail17trampoline_kernelINS0_14default_configENS1_38merge_sort_block_merge_config_selectorIilEEZZNS1_27merge_sort_block_merge_implIS3_PiN6thrust23THRUST_200600_302600_NS10device_ptrIlEEjNS1_19radix_merge_compareILb0ELb0EiNS0_19identity_decomposerEEEEE10hipError_tT0_T1_T2_jT3_P12ihipStream_tbPNSt15iterator_traitsISG_E10value_typeEPNSM_ISH_E10value_typeEPSI_NS1_7vsmem_tEENKUlT_SG_SH_SI_E_clIS7_S7_SB_PlEESF_SV_SG_SH_SI_EUlSV_E1_NS1_11comp_targetILNS1_3genE2ELNS1_11target_archE906ELNS1_3gpuE6ELNS1_3repE0EEENS1_36merge_oddeven_config_static_selectorELNS0_4arch9wavefront6targetE1EEEvSH_.has_indirect_call, 0
	.section	.AMDGPU.csdata,"",@progbits
; Kernel info:
; codeLenInByte = 856
; TotalNumSgprs: 26
; NumVgprs: 12
; ScratchSize: 0
; MemoryBound: 0
; FloatMode: 240
; IeeeMode: 1
; LDSByteSize: 0 bytes/workgroup (compile time only)
; SGPRBlocks: 3
; VGPRBlocks: 2
; NumSGPRsForWavesPerEU: 26
; NumVGPRsForWavesPerEU: 12
; Occupancy: 10
; WaveLimiterHint : 0
; COMPUTE_PGM_RSRC2:SCRATCH_EN: 0
; COMPUTE_PGM_RSRC2:USER_SGPR: 6
; COMPUTE_PGM_RSRC2:TRAP_HANDLER: 0
; COMPUTE_PGM_RSRC2:TGID_X_EN: 1
; COMPUTE_PGM_RSRC2:TGID_Y_EN: 0
; COMPUTE_PGM_RSRC2:TGID_Z_EN: 0
; COMPUTE_PGM_RSRC2:TIDIG_COMP_CNT: 0
	.section	.text._ZN7rocprim17ROCPRIM_400000_NS6detail17trampoline_kernelINS0_14default_configENS1_38merge_sort_block_merge_config_selectorIilEEZZNS1_27merge_sort_block_merge_implIS3_PiN6thrust23THRUST_200600_302600_NS10device_ptrIlEEjNS1_19radix_merge_compareILb0ELb0EiNS0_19identity_decomposerEEEEE10hipError_tT0_T1_T2_jT3_P12ihipStream_tbPNSt15iterator_traitsISG_E10value_typeEPNSM_ISH_E10value_typeEPSI_NS1_7vsmem_tEENKUlT_SG_SH_SI_E_clIS7_S7_SB_PlEESF_SV_SG_SH_SI_EUlSV_E1_NS1_11comp_targetILNS1_3genE9ELNS1_11target_archE1100ELNS1_3gpuE3ELNS1_3repE0EEENS1_36merge_oddeven_config_static_selectorELNS0_4arch9wavefront6targetE1EEEvSH_,"axG",@progbits,_ZN7rocprim17ROCPRIM_400000_NS6detail17trampoline_kernelINS0_14default_configENS1_38merge_sort_block_merge_config_selectorIilEEZZNS1_27merge_sort_block_merge_implIS3_PiN6thrust23THRUST_200600_302600_NS10device_ptrIlEEjNS1_19radix_merge_compareILb0ELb0EiNS0_19identity_decomposerEEEEE10hipError_tT0_T1_T2_jT3_P12ihipStream_tbPNSt15iterator_traitsISG_E10value_typeEPNSM_ISH_E10value_typeEPSI_NS1_7vsmem_tEENKUlT_SG_SH_SI_E_clIS7_S7_SB_PlEESF_SV_SG_SH_SI_EUlSV_E1_NS1_11comp_targetILNS1_3genE9ELNS1_11target_archE1100ELNS1_3gpuE3ELNS1_3repE0EEENS1_36merge_oddeven_config_static_selectorELNS0_4arch9wavefront6targetE1EEEvSH_,comdat
	.protected	_ZN7rocprim17ROCPRIM_400000_NS6detail17trampoline_kernelINS0_14default_configENS1_38merge_sort_block_merge_config_selectorIilEEZZNS1_27merge_sort_block_merge_implIS3_PiN6thrust23THRUST_200600_302600_NS10device_ptrIlEEjNS1_19radix_merge_compareILb0ELb0EiNS0_19identity_decomposerEEEEE10hipError_tT0_T1_T2_jT3_P12ihipStream_tbPNSt15iterator_traitsISG_E10value_typeEPNSM_ISH_E10value_typeEPSI_NS1_7vsmem_tEENKUlT_SG_SH_SI_E_clIS7_S7_SB_PlEESF_SV_SG_SH_SI_EUlSV_E1_NS1_11comp_targetILNS1_3genE9ELNS1_11target_archE1100ELNS1_3gpuE3ELNS1_3repE0EEENS1_36merge_oddeven_config_static_selectorELNS0_4arch9wavefront6targetE1EEEvSH_ ; -- Begin function _ZN7rocprim17ROCPRIM_400000_NS6detail17trampoline_kernelINS0_14default_configENS1_38merge_sort_block_merge_config_selectorIilEEZZNS1_27merge_sort_block_merge_implIS3_PiN6thrust23THRUST_200600_302600_NS10device_ptrIlEEjNS1_19radix_merge_compareILb0ELb0EiNS0_19identity_decomposerEEEEE10hipError_tT0_T1_T2_jT3_P12ihipStream_tbPNSt15iterator_traitsISG_E10value_typeEPNSM_ISH_E10value_typeEPSI_NS1_7vsmem_tEENKUlT_SG_SH_SI_E_clIS7_S7_SB_PlEESF_SV_SG_SH_SI_EUlSV_E1_NS1_11comp_targetILNS1_3genE9ELNS1_11target_archE1100ELNS1_3gpuE3ELNS1_3repE0EEENS1_36merge_oddeven_config_static_selectorELNS0_4arch9wavefront6targetE1EEEvSH_
	.globl	_ZN7rocprim17ROCPRIM_400000_NS6detail17trampoline_kernelINS0_14default_configENS1_38merge_sort_block_merge_config_selectorIilEEZZNS1_27merge_sort_block_merge_implIS3_PiN6thrust23THRUST_200600_302600_NS10device_ptrIlEEjNS1_19radix_merge_compareILb0ELb0EiNS0_19identity_decomposerEEEEE10hipError_tT0_T1_T2_jT3_P12ihipStream_tbPNSt15iterator_traitsISG_E10value_typeEPNSM_ISH_E10value_typeEPSI_NS1_7vsmem_tEENKUlT_SG_SH_SI_E_clIS7_S7_SB_PlEESF_SV_SG_SH_SI_EUlSV_E1_NS1_11comp_targetILNS1_3genE9ELNS1_11target_archE1100ELNS1_3gpuE3ELNS1_3repE0EEENS1_36merge_oddeven_config_static_selectorELNS0_4arch9wavefront6targetE1EEEvSH_
	.p2align	8
	.type	_ZN7rocprim17ROCPRIM_400000_NS6detail17trampoline_kernelINS0_14default_configENS1_38merge_sort_block_merge_config_selectorIilEEZZNS1_27merge_sort_block_merge_implIS3_PiN6thrust23THRUST_200600_302600_NS10device_ptrIlEEjNS1_19radix_merge_compareILb0ELb0EiNS0_19identity_decomposerEEEEE10hipError_tT0_T1_T2_jT3_P12ihipStream_tbPNSt15iterator_traitsISG_E10value_typeEPNSM_ISH_E10value_typeEPSI_NS1_7vsmem_tEENKUlT_SG_SH_SI_E_clIS7_S7_SB_PlEESF_SV_SG_SH_SI_EUlSV_E1_NS1_11comp_targetILNS1_3genE9ELNS1_11target_archE1100ELNS1_3gpuE3ELNS1_3repE0EEENS1_36merge_oddeven_config_static_selectorELNS0_4arch9wavefront6targetE1EEEvSH_,@function
_ZN7rocprim17ROCPRIM_400000_NS6detail17trampoline_kernelINS0_14default_configENS1_38merge_sort_block_merge_config_selectorIilEEZZNS1_27merge_sort_block_merge_implIS3_PiN6thrust23THRUST_200600_302600_NS10device_ptrIlEEjNS1_19radix_merge_compareILb0ELb0EiNS0_19identity_decomposerEEEEE10hipError_tT0_T1_T2_jT3_P12ihipStream_tbPNSt15iterator_traitsISG_E10value_typeEPNSM_ISH_E10value_typeEPSI_NS1_7vsmem_tEENKUlT_SG_SH_SI_E_clIS7_S7_SB_PlEESF_SV_SG_SH_SI_EUlSV_E1_NS1_11comp_targetILNS1_3genE9ELNS1_11target_archE1100ELNS1_3gpuE3ELNS1_3repE0EEENS1_36merge_oddeven_config_static_selectorELNS0_4arch9wavefront6targetE1EEEvSH_: ; @_ZN7rocprim17ROCPRIM_400000_NS6detail17trampoline_kernelINS0_14default_configENS1_38merge_sort_block_merge_config_selectorIilEEZZNS1_27merge_sort_block_merge_implIS3_PiN6thrust23THRUST_200600_302600_NS10device_ptrIlEEjNS1_19radix_merge_compareILb0ELb0EiNS0_19identity_decomposerEEEEE10hipError_tT0_T1_T2_jT3_P12ihipStream_tbPNSt15iterator_traitsISG_E10value_typeEPNSM_ISH_E10value_typeEPSI_NS1_7vsmem_tEENKUlT_SG_SH_SI_E_clIS7_S7_SB_PlEESF_SV_SG_SH_SI_EUlSV_E1_NS1_11comp_targetILNS1_3genE9ELNS1_11target_archE1100ELNS1_3gpuE3ELNS1_3repE0EEENS1_36merge_oddeven_config_static_selectorELNS0_4arch9wavefront6targetE1EEEvSH_
; %bb.0:
	.section	.rodata,"a",@progbits
	.p2align	6, 0x0
	.amdhsa_kernel _ZN7rocprim17ROCPRIM_400000_NS6detail17trampoline_kernelINS0_14default_configENS1_38merge_sort_block_merge_config_selectorIilEEZZNS1_27merge_sort_block_merge_implIS3_PiN6thrust23THRUST_200600_302600_NS10device_ptrIlEEjNS1_19radix_merge_compareILb0ELb0EiNS0_19identity_decomposerEEEEE10hipError_tT0_T1_T2_jT3_P12ihipStream_tbPNSt15iterator_traitsISG_E10value_typeEPNSM_ISH_E10value_typeEPSI_NS1_7vsmem_tEENKUlT_SG_SH_SI_E_clIS7_S7_SB_PlEESF_SV_SG_SH_SI_EUlSV_E1_NS1_11comp_targetILNS1_3genE9ELNS1_11target_archE1100ELNS1_3gpuE3ELNS1_3repE0EEENS1_36merge_oddeven_config_static_selectorELNS0_4arch9wavefront6targetE1EEEvSH_
		.amdhsa_group_segment_fixed_size 0
		.amdhsa_private_segment_fixed_size 0
		.amdhsa_kernarg_size 48
		.amdhsa_user_sgpr_count 6
		.amdhsa_user_sgpr_private_segment_buffer 1
		.amdhsa_user_sgpr_dispatch_ptr 0
		.amdhsa_user_sgpr_queue_ptr 0
		.amdhsa_user_sgpr_kernarg_segment_ptr 1
		.amdhsa_user_sgpr_dispatch_id 0
		.amdhsa_user_sgpr_flat_scratch_init 0
		.amdhsa_user_sgpr_private_segment_size 0
		.amdhsa_uses_dynamic_stack 0
		.amdhsa_system_sgpr_private_segment_wavefront_offset 0
		.amdhsa_system_sgpr_workgroup_id_x 1
		.amdhsa_system_sgpr_workgroup_id_y 0
		.amdhsa_system_sgpr_workgroup_id_z 0
		.amdhsa_system_sgpr_workgroup_info 0
		.amdhsa_system_vgpr_workitem_id 0
		.amdhsa_next_free_vgpr 1
		.amdhsa_next_free_sgpr 0
		.amdhsa_reserve_vcc 0
		.amdhsa_reserve_flat_scratch 0
		.amdhsa_float_round_mode_32 0
		.amdhsa_float_round_mode_16_64 0
		.amdhsa_float_denorm_mode_32 3
		.amdhsa_float_denorm_mode_16_64 3
		.amdhsa_dx10_clamp 1
		.amdhsa_ieee_mode 1
		.amdhsa_fp16_overflow 0
		.amdhsa_exception_fp_ieee_invalid_op 0
		.amdhsa_exception_fp_denorm_src 0
		.amdhsa_exception_fp_ieee_div_zero 0
		.amdhsa_exception_fp_ieee_overflow 0
		.amdhsa_exception_fp_ieee_underflow 0
		.amdhsa_exception_fp_ieee_inexact 0
		.amdhsa_exception_int_div_zero 0
	.end_amdhsa_kernel
	.section	.text._ZN7rocprim17ROCPRIM_400000_NS6detail17trampoline_kernelINS0_14default_configENS1_38merge_sort_block_merge_config_selectorIilEEZZNS1_27merge_sort_block_merge_implIS3_PiN6thrust23THRUST_200600_302600_NS10device_ptrIlEEjNS1_19radix_merge_compareILb0ELb0EiNS0_19identity_decomposerEEEEE10hipError_tT0_T1_T2_jT3_P12ihipStream_tbPNSt15iterator_traitsISG_E10value_typeEPNSM_ISH_E10value_typeEPSI_NS1_7vsmem_tEENKUlT_SG_SH_SI_E_clIS7_S7_SB_PlEESF_SV_SG_SH_SI_EUlSV_E1_NS1_11comp_targetILNS1_3genE9ELNS1_11target_archE1100ELNS1_3gpuE3ELNS1_3repE0EEENS1_36merge_oddeven_config_static_selectorELNS0_4arch9wavefront6targetE1EEEvSH_,"axG",@progbits,_ZN7rocprim17ROCPRIM_400000_NS6detail17trampoline_kernelINS0_14default_configENS1_38merge_sort_block_merge_config_selectorIilEEZZNS1_27merge_sort_block_merge_implIS3_PiN6thrust23THRUST_200600_302600_NS10device_ptrIlEEjNS1_19radix_merge_compareILb0ELb0EiNS0_19identity_decomposerEEEEE10hipError_tT0_T1_T2_jT3_P12ihipStream_tbPNSt15iterator_traitsISG_E10value_typeEPNSM_ISH_E10value_typeEPSI_NS1_7vsmem_tEENKUlT_SG_SH_SI_E_clIS7_S7_SB_PlEESF_SV_SG_SH_SI_EUlSV_E1_NS1_11comp_targetILNS1_3genE9ELNS1_11target_archE1100ELNS1_3gpuE3ELNS1_3repE0EEENS1_36merge_oddeven_config_static_selectorELNS0_4arch9wavefront6targetE1EEEvSH_,comdat
.Lfunc_end790:
	.size	_ZN7rocprim17ROCPRIM_400000_NS6detail17trampoline_kernelINS0_14default_configENS1_38merge_sort_block_merge_config_selectorIilEEZZNS1_27merge_sort_block_merge_implIS3_PiN6thrust23THRUST_200600_302600_NS10device_ptrIlEEjNS1_19radix_merge_compareILb0ELb0EiNS0_19identity_decomposerEEEEE10hipError_tT0_T1_T2_jT3_P12ihipStream_tbPNSt15iterator_traitsISG_E10value_typeEPNSM_ISH_E10value_typeEPSI_NS1_7vsmem_tEENKUlT_SG_SH_SI_E_clIS7_S7_SB_PlEESF_SV_SG_SH_SI_EUlSV_E1_NS1_11comp_targetILNS1_3genE9ELNS1_11target_archE1100ELNS1_3gpuE3ELNS1_3repE0EEENS1_36merge_oddeven_config_static_selectorELNS0_4arch9wavefront6targetE1EEEvSH_, .Lfunc_end790-_ZN7rocprim17ROCPRIM_400000_NS6detail17trampoline_kernelINS0_14default_configENS1_38merge_sort_block_merge_config_selectorIilEEZZNS1_27merge_sort_block_merge_implIS3_PiN6thrust23THRUST_200600_302600_NS10device_ptrIlEEjNS1_19radix_merge_compareILb0ELb0EiNS0_19identity_decomposerEEEEE10hipError_tT0_T1_T2_jT3_P12ihipStream_tbPNSt15iterator_traitsISG_E10value_typeEPNSM_ISH_E10value_typeEPSI_NS1_7vsmem_tEENKUlT_SG_SH_SI_E_clIS7_S7_SB_PlEESF_SV_SG_SH_SI_EUlSV_E1_NS1_11comp_targetILNS1_3genE9ELNS1_11target_archE1100ELNS1_3gpuE3ELNS1_3repE0EEENS1_36merge_oddeven_config_static_selectorELNS0_4arch9wavefront6targetE1EEEvSH_
                                        ; -- End function
	.set _ZN7rocprim17ROCPRIM_400000_NS6detail17trampoline_kernelINS0_14default_configENS1_38merge_sort_block_merge_config_selectorIilEEZZNS1_27merge_sort_block_merge_implIS3_PiN6thrust23THRUST_200600_302600_NS10device_ptrIlEEjNS1_19radix_merge_compareILb0ELb0EiNS0_19identity_decomposerEEEEE10hipError_tT0_T1_T2_jT3_P12ihipStream_tbPNSt15iterator_traitsISG_E10value_typeEPNSM_ISH_E10value_typeEPSI_NS1_7vsmem_tEENKUlT_SG_SH_SI_E_clIS7_S7_SB_PlEESF_SV_SG_SH_SI_EUlSV_E1_NS1_11comp_targetILNS1_3genE9ELNS1_11target_archE1100ELNS1_3gpuE3ELNS1_3repE0EEENS1_36merge_oddeven_config_static_selectorELNS0_4arch9wavefront6targetE1EEEvSH_.num_vgpr, 0
	.set _ZN7rocprim17ROCPRIM_400000_NS6detail17trampoline_kernelINS0_14default_configENS1_38merge_sort_block_merge_config_selectorIilEEZZNS1_27merge_sort_block_merge_implIS3_PiN6thrust23THRUST_200600_302600_NS10device_ptrIlEEjNS1_19radix_merge_compareILb0ELb0EiNS0_19identity_decomposerEEEEE10hipError_tT0_T1_T2_jT3_P12ihipStream_tbPNSt15iterator_traitsISG_E10value_typeEPNSM_ISH_E10value_typeEPSI_NS1_7vsmem_tEENKUlT_SG_SH_SI_E_clIS7_S7_SB_PlEESF_SV_SG_SH_SI_EUlSV_E1_NS1_11comp_targetILNS1_3genE9ELNS1_11target_archE1100ELNS1_3gpuE3ELNS1_3repE0EEENS1_36merge_oddeven_config_static_selectorELNS0_4arch9wavefront6targetE1EEEvSH_.num_agpr, 0
	.set _ZN7rocprim17ROCPRIM_400000_NS6detail17trampoline_kernelINS0_14default_configENS1_38merge_sort_block_merge_config_selectorIilEEZZNS1_27merge_sort_block_merge_implIS3_PiN6thrust23THRUST_200600_302600_NS10device_ptrIlEEjNS1_19radix_merge_compareILb0ELb0EiNS0_19identity_decomposerEEEEE10hipError_tT0_T1_T2_jT3_P12ihipStream_tbPNSt15iterator_traitsISG_E10value_typeEPNSM_ISH_E10value_typeEPSI_NS1_7vsmem_tEENKUlT_SG_SH_SI_E_clIS7_S7_SB_PlEESF_SV_SG_SH_SI_EUlSV_E1_NS1_11comp_targetILNS1_3genE9ELNS1_11target_archE1100ELNS1_3gpuE3ELNS1_3repE0EEENS1_36merge_oddeven_config_static_selectorELNS0_4arch9wavefront6targetE1EEEvSH_.numbered_sgpr, 0
	.set _ZN7rocprim17ROCPRIM_400000_NS6detail17trampoline_kernelINS0_14default_configENS1_38merge_sort_block_merge_config_selectorIilEEZZNS1_27merge_sort_block_merge_implIS3_PiN6thrust23THRUST_200600_302600_NS10device_ptrIlEEjNS1_19radix_merge_compareILb0ELb0EiNS0_19identity_decomposerEEEEE10hipError_tT0_T1_T2_jT3_P12ihipStream_tbPNSt15iterator_traitsISG_E10value_typeEPNSM_ISH_E10value_typeEPSI_NS1_7vsmem_tEENKUlT_SG_SH_SI_E_clIS7_S7_SB_PlEESF_SV_SG_SH_SI_EUlSV_E1_NS1_11comp_targetILNS1_3genE9ELNS1_11target_archE1100ELNS1_3gpuE3ELNS1_3repE0EEENS1_36merge_oddeven_config_static_selectorELNS0_4arch9wavefront6targetE1EEEvSH_.num_named_barrier, 0
	.set _ZN7rocprim17ROCPRIM_400000_NS6detail17trampoline_kernelINS0_14default_configENS1_38merge_sort_block_merge_config_selectorIilEEZZNS1_27merge_sort_block_merge_implIS3_PiN6thrust23THRUST_200600_302600_NS10device_ptrIlEEjNS1_19radix_merge_compareILb0ELb0EiNS0_19identity_decomposerEEEEE10hipError_tT0_T1_T2_jT3_P12ihipStream_tbPNSt15iterator_traitsISG_E10value_typeEPNSM_ISH_E10value_typeEPSI_NS1_7vsmem_tEENKUlT_SG_SH_SI_E_clIS7_S7_SB_PlEESF_SV_SG_SH_SI_EUlSV_E1_NS1_11comp_targetILNS1_3genE9ELNS1_11target_archE1100ELNS1_3gpuE3ELNS1_3repE0EEENS1_36merge_oddeven_config_static_selectorELNS0_4arch9wavefront6targetE1EEEvSH_.private_seg_size, 0
	.set _ZN7rocprim17ROCPRIM_400000_NS6detail17trampoline_kernelINS0_14default_configENS1_38merge_sort_block_merge_config_selectorIilEEZZNS1_27merge_sort_block_merge_implIS3_PiN6thrust23THRUST_200600_302600_NS10device_ptrIlEEjNS1_19radix_merge_compareILb0ELb0EiNS0_19identity_decomposerEEEEE10hipError_tT0_T1_T2_jT3_P12ihipStream_tbPNSt15iterator_traitsISG_E10value_typeEPNSM_ISH_E10value_typeEPSI_NS1_7vsmem_tEENKUlT_SG_SH_SI_E_clIS7_S7_SB_PlEESF_SV_SG_SH_SI_EUlSV_E1_NS1_11comp_targetILNS1_3genE9ELNS1_11target_archE1100ELNS1_3gpuE3ELNS1_3repE0EEENS1_36merge_oddeven_config_static_selectorELNS0_4arch9wavefront6targetE1EEEvSH_.uses_vcc, 0
	.set _ZN7rocprim17ROCPRIM_400000_NS6detail17trampoline_kernelINS0_14default_configENS1_38merge_sort_block_merge_config_selectorIilEEZZNS1_27merge_sort_block_merge_implIS3_PiN6thrust23THRUST_200600_302600_NS10device_ptrIlEEjNS1_19radix_merge_compareILb0ELb0EiNS0_19identity_decomposerEEEEE10hipError_tT0_T1_T2_jT3_P12ihipStream_tbPNSt15iterator_traitsISG_E10value_typeEPNSM_ISH_E10value_typeEPSI_NS1_7vsmem_tEENKUlT_SG_SH_SI_E_clIS7_S7_SB_PlEESF_SV_SG_SH_SI_EUlSV_E1_NS1_11comp_targetILNS1_3genE9ELNS1_11target_archE1100ELNS1_3gpuE3ELNS1_3repE0EEENS1_36merge_oddeven_config_static_selectorELNS0_4arch9wavefront6targetE1EEEvSH_.uses_flat_scratch, 0
	.set _ZN7rocprim17ROCPRIM_400000_NS6detail17trampoline_kernelINS0_14default_configENS1_38merge_sort_block_merge_config_selectorIilEEZZNS1_27merge_sort_block_merge_implIS3_PiN6thrust23THRUST_200600_302600_NS10device_ptrIlEEjNS1_19radix_merge_compareILb0ELb0EiNS0_19identity_decomposerEEEEE10hipError_tT0_T1_T2_jT3_P12ihipStream_tbPNSt15iterator_traitsISG_E10value_typeEPNSM_ISH_E10value_typeEPSI_NS1_7vsmem_tEENKUlT_SG_SH_SI_E_clIS7_S7_SB_PlEESF_SV_SG_SH_SI_EUlSV_E1_NS1_11comp_targetILNS1_3genE9ELNS1_11target_archE1100ELNS1_3gpuE3ELNS1_3repE0EEENS1_36merge_oddeven_config_static_selectorELNS0_4arch9wavefront6targetE1EEEvSH_.has_dyn_sized_stack, 0
	.set _ZN7rocprim17ROCPRIM_400000_NS6detail17trampoline_kernelINS0_14default_configENS1_38merge_sort_block_merge_config_selectorIilEEZZNS1_27merge_sort_block_merge_implIS3_PiN6thrust23THRUST_200600_302600_NS10device_ptrIlEEjNS1_19radix_merge_compareILb0ELb0EiNS0_19identity_decomposerEEEEE10hipError_tT0_T1_T2_jT3_P12ihipStream_tbPNSt15iterator_traitsISG_E10value_typeEPNSM_ISH_E10value_typeEPSI_NS1_7vsmem_tEENKUlT_SG_SH_SI_E_clIS7_S7_SB_PlEESF_SV_SG_SH_SI_EUlSV_E1_NS1_11comp_targetILNS1_3genE9ELNS1_11target_archE1100ELNS1_3gpuE3ELNS1_3repE0EEENS1_36merge_oddeven_config_static_selectorELNS0_4arch9wavefront6targetE1EEEvSH_.has_recursion, 0
	.set _ZN7rocprim17ROCPRIM_400000_NS6detail17trampoline_kernelINS0_14default_configENS1_38merge_sort_block_merge_config_selectorIilEEZZNS1_27merge_sort_block_merge_implIS3_PiN6thrust23THRUST_200600_302600_NS10device_ptrIlEEjNS1_19radix_merge_compareILb0ELb0EiNS0_19identity_decomposerEEEEE10hipError_tT0_T1_T2_jT3_P12ihipStream_tbPNSt15iterator_traitsISG_E10value_typeEPNSM_ISH_E10value_typeEPSI_NS1_7vsmem_tEENKUlT_SG_SH_SI_E_clIS7_S7_SB_PlEESF_SV_SG_SH_SI_EUlSV_E1_NS1_11comp_targetILNS1_3genE9ELNS1_11target_archE1100ELNS1_3gpuE3ELNS1_3repE0EEENS1_36merge_oddeven_config_static_selectorELNS0_4arch9wavefront6targetE1EEEvSH_.has_indirect_call, 0
	.section	.AMDGPU.csdata,"",@progbits
; Kernel info:
; codeLenInByte = 0
; TotalNumSgprs: 4
; NumVgprs: 0
; ScratchSize: 0
; MemoryBound: 0
; FloatMode: 240
; IeeeMode: 1
; LDSByteSize: 0 bytes/workgroup (compile time only)
; SGPRBlocks: 0
; VGPRBlocks: 0
; NumSGPRsForWavesPerEU: 4
; NumVGPRsForWavesPerEU: 1
; Occupancy: 10
; WaveLimiterHint : 0
; COMPUTE_PGM_RSRC2:SCRATCH_EN: 0
; COMPUTE_PGM_RSRC2:USER_SGPR: 6
; COMPUTE_PGM_RSRC2:TRAP_HANDLER: 0
; COMPUTE_PGM_RSRC2:TGID_X_EN: 1
; COMPUTE_PGM_RSRC2:TGID_Y_EN: 0
; COMPUTE_PGM_RSRC2:TGID_Z_EN: 0
; COMPUTE_PGM_RSRC2:TIDIG_COMP_CNT: 0
	.section	.text._ZN7rocprim17ROCPRIM_400000_NS6detail17trampoline_kernelINS0_14default_configENS1_38merge_sort_block_merge_config_selectorIilEEZZNS1_27merge_sort_block_merge_implIS3_PiN6thrust23THRUST_200600_302600_NS10device_ptrIlEEjNS1_19radix_merge_compareILb0ELb0EiNS0_19identity_decomposerEEEEE10hipError_tT0_T1_T2_jT3_P12ihipStream_tbPNSt15iterator_traitsISG_E10value_typeEPNSM_ISH_E10value_typeEPSI_NS1_7vsmem_tEENKUlT_SG_SH_SI_E_clIS7_S7_SB_PlEESF_SV_SG_SH_SI_EUlSV_E1_NS1_11comp_targetILNS1_3genE8ELNS1_11target_archE1030ELNS1_3gpuE2ELNS1_3repE0EEENS1_36merge_oddeven_config_static_selectorELNS0_4arch9wavefront6targetE1EEEvSH_,"axG",@progbits,_ZN7rocprim17ROCPRIM_400000_NS6detail17trampoline_kernelINS0_14default_configENS1_38merge_sort_block_merge_config_selectorIilEEZZNS1_27merge_sort_block_merge_implIS3_PiN6thrust23THRUST_200600_302600_NS10device_ptrIlEEjNS1_19radix_merge_compareILb0ELb0EiNS0_19identity_decomposerEEEEE10hipError_tT0_T1_T2_jT3_P12ihipStream_tbPNSt15iterator_traitsISG_E10value_typeEPNSM_ISH_E10value_typeEPSI_NS1_7vsmem_tEENKUlT_SG_SH_SI_E_clIS7_S7_SB_PlEESF_SV_SG_SH_SI_EUlSV_E1_NS1_11comp_targetILNS1_3genE8ELNS1_11target_archE1030ELNS1_3gpuE2ELNS1_3repE0EEENS1_36merge_oddeven_config_static_selectorELNS0_4arch9wavefront6targetE1EEEvSH_,comdat
	.protected	_ZN7rocprim17ROCPRIM_400000_NS6detail17trampoline_kernelINS0_14default_configENS1_38merge_sort_block_merge_config_selectorIilEEZZNS1_27merge_sort_block_merge_implIS3_PiN6thrust23THRUST_200600_302600_NS10device_ptrIlEEjNS1_19radix_merge_compareILb0ELb0EiNS0_19identity_decomposerEEEEE10hipError_tT0_T1_T2_jT3_P12ihipStream_tbPNSt15iterator_traitsISG_E10value_typeEPNSM_ISH_E10value_typeEPSI_NS1_7vsmem_tEENKUlT_SG_SH_SI_E_clIS7_S7_SB_PlEESF_SV_SG_SH_SI_EUlSV_E1_NS1_11comp_targetILNS1_3genE8ELNS1_11target_archE1030ELNS1_3gpuE2ELNS1_3repE0EEENS1_36merge_oddeven_config_static_selectorELNS0_4arch9wavefront6targetE1EEEvSH_ ; -- Begin function _ZN7rocprim17ROCPRIM_400000_NS6detail17trampoline_kernelINS0_14default_configENS1_38merge_sort_block_merge_config_selectorIilEEZZNS1_27merge_sort_block_merge_implIS3_PiN6thrust23THRUST_200600_302600_NS10device_ptrIlEEjNS1_19radix_merge_compareILb0ELb0EiNS0_19identity_decomposerEEEEE10hipError_tT0_T1_T2_jT3_P12ihipStream_tbPNSt15iterator_traitsISG_E10value_typeEPNSM_ISH_E10value_typeEPSI_NS1_7vsmem_tEENKUlT_SG_SH_SI_E_clIS7_S7_SB_PlEESF_SV_SG_SH_SI_EUlSV_E1_NS1_11comp_targetILNS1_3genE8ELNS1_11target_archE1030ELNS1_3gpuE2ELNS1_3repE0EEENS1_36merge_oddeven_config_static_selectorELNS0_4arch9wavefront6targetE1EEEvSH_
	.globl	_ZN7rocprim17ROCPRIM_400000_NS6detail17trampoline_kernelINS0_14default_configENS1_38merge_sort_block_merge_config_selectorIilEEZZNS1_27merge_sort_block_merge_implIS3_PiN6thrust23THRUST_200600_302600_NS10device_ptrIlEEjNS1_19radix_merge_compareILb0ELb0EiNS0_19identity_decomposerEEEEE10hipError_tT0_T1_T2_jT3_P12ihipStream_tbPNSt15iterator_traitsISG_E10value_typeEPNSM_ISH_E10value_typeEPSI_NS1_7vsmem_tEENKUlT_SG_SH_SI_E_clIS7_S7_SB_PlEESF_SV_SG_SH_SI_EUlSV_E1_NS1_11comp_targetILNS1_3genE8ELNS1_11target_archE1030ELNS1_3gpuE2ELNS1_3repE0EEENS1_36merge_oddeven_config_static_selectorELNS0_4arch9wavefront6targetE1EEEvSH_
	.p2align	8
	.type	_ZN7rocprim17ROCPRIM_400000_NS6detail17trampoline_kernelINS0_14default_configENS1_38merge_sort_block_merge_config_selectorIilEEZZNS1_27merge_sort_block_merge_implIS3_PiN6thrust23THRUST_200600_302600_NS10device_ptrIlEEjNS1_19radix_merge_compareILb0ELb0EiNS0_19identity_decomposerEEEEE10hipError_tT0_T1_T2_jT3_P12ihipStream_tbPNSt15iterator_traitsISG_E10value_typeEPNSM_ISH_E10value_typeEPSI_NS1_7vsmem_tEENKUlT_SG_SH_SI_E_clIS7_S7_SB_PlEESF_SV_SG_SH_SI_EUlSV_E1_NS1_11comp_targetILNS1_3genE8ELNS1_11target_archE1030ELNS1_3gpuE2ELNS1_3repE0EEENS1_36merge_oddeven_config_static_selectorELNS0_4arch9wavefront6targetE1EEEvSH_,@function
_ZN7rocprim17ROCPRIM_400000_NS6detail17trampoline_kernelINS0_14default_configENS1_38merge_sort_block_merge_config_selectorIilEEZZNS1_27merge_sort_block_merge_implIS3_PiN6thrust23THRUST_200600_302600_NS10device_ptrIlEEjNS1_19radix_merge_compareILb0ELb0EiNS0_19identity_decomposerEEEEE10hipError_tT0_T1_T2_jT3_P12ihipStream_tbPNSt15iterator_traitsISG_E10value_typeEPNSM_ISH_E10value_typeEPSI_NS1_7vsmem_tEENKUlT_SG_SH_SI_E_clIS7_S7_SB_PlEESF_SV_SG_SH_SI_EUlSV_E1_NS1_11comp_targetILNS1_3genE8ELNS1_11target_archE1030ELNS1_3gpuE2ELNS1_3repE0EEENS1_36merge_oddeven_config_static_selectorELNS0_4arch9wavefront6targetE1EEEvSH_: ; @_ZN7rocprim17ROCPRIM_400000_NS6detail17trampoline_kernelINS0_14default_configENS1_38merge_sort_block_merge_config_selectorIilEEZZNS1_27merge_sort_block_merge_implIS3_PiN6thrust23THRUST_200600_302600_NS10device_ptrIlEEjNS1_19radix_merge_compareILb0ELb0EiNS0_19identity_decomposerEEEEE10hipError_tT0_T1_T2_jT3_P12ihipStream_tbPNSt15iterator_traitsISG_E10value_typeEPNSM_ISH_E10value_typeEPSI_NS1_7vsmem_tEENKUlT_SG_SH_SI_E_clIS7_S7_SB_PlEESF_SV_SG_SH_SI_EUlSV_E1_NS1_11comp_targetILNS1_3genE8ELNS1_11target_archE1030ELNS1_3gpuE2ELNS1_3repE0EEENS1_36merge_oddeven_config_static_selectorELNS0_4arch9wavefront6targetE1EEEvSH_
; %bb.0:
	.section	.rodata,"a",@progbits
	.p2align	6, 0x0
	.amdhsa_kernel _ZN7rocprim17ROCPRIM_400000_NS6detail17trampoline_kernelINS0_14default_configENS1_38merge_sort_block_merge_config_selectorIilEEZZNS1_27merge_sort_block_merge_implIS3_PiN6thrust23THRUST_200600_302600_NS10device_ptrIlEEjNS1_19radix_merge_compareILb0ELb0EiNS0_19identity_decomposerEEEEE10hipError_tT0_T1_T2_jT3_P12ihipStream_tbPNSt15iterator_traitsISG_E10value_typeEPNSM_ISH_E10value_typeEPSI_NS1_7vsmem_tEENKUlT_SG_SH_SI_E_clIS7_S7_SB_PlEESF_SV_SG_SH_SI_EUlSV_E1_NS1_11comp_targetILNS1_3genE8ELNS1_11target_archE1030ELNS1_3gpuE2ELNS1_3repE0EEENS1_36merge_oddeven_config_static_selectorELNS0_4arch9wavefront6targetE1EEEvSH_
		.amdhsa_group_segment_fixed_size 0
		.amdhsa_private_segment_fixed_size 0
		.amdhsa_kernarg_size 48
		.amdhsa_user_sgpr_count 6
		.amdhsa_user_sgpr_private_segment_buffer 1
		.amdhsa_user_sgpr_dispatch_ptr 0
		.amdhsa_user_sgpr_queue_ptr 0
		.amdhsa_user_sgpr_kernarg_segment_ptr 1
		.amdhsa_user_sgpr_dispatch_id 0
		.amdhsa_user_sgpr_flat_scratch_init 0
		.amdhsa_user_sgpr_private_segment_size 0
		.amdhsa_uses_dynamic_stack 0
		.amdhsa_system_sgpr_private_segment_wavefront_offset 0
		.amdhsa_system_sgpr_workgroup_id_x 1
		.amdhsa_system_sgpr_workgroup_id_y 0
		.amdhsa_system_sgpr_workgroup_id_z 0
		.amdhsa_system_sgpr_workgroup_info 0
		.amdhsa_system_vgpr_workitem_id 0
		.amdhsa_next_free_vgpr 1
		.amdhsa_next_free_sgpr 0
		.amdhsa_reserve_vcc 0
		.amdhsa_reserve_flat_scratch 0
		.amdhsa_float_round_mode_32 0
		.amdhsa_float_round_mode_16_64 0
		.amdhsa_float_denorm_mode_32 3
		.amdhsa_float_denorm_mode_16_64 3
		.amdhsa_dx10_clamp 1
		.amdhsa_ieee_mode 1
		.amdhsa_fp16_overflow 0
		.amdhsa_exception_fp_ieee_invalid_op 0
		.amdhsa_exception_fp_denorm_src 0
		.amdhsa_exception_fp_ieee_div_zero 0
		.amdhsa_exception_fp_ieee_overflow 0
		.amdhsa_exception_fp_ieee_underflow 0
		.amdhsa_exception_fp_ieee_inexact 0
		.amdhsa_exception_int_div_zero 0
	.end_amdhsa_kernel
	.section	.text._ZN7rocprim17ROCPRIM_400000_NS6detail17trampoline_kernelINS0_14default_configENS1_38merge_sort_block_merge_config_selectorIilEEZZNS1_27merge_sort_block_merge_implIS3_PiN6thrust23THRUST_200600_302600_NS10device_ptrIlEEjNS1_19radix_merge_compareILb0ELb0EiNS0_19identity_decomposerEEEEE10hipError_tT0_T1_T2_jT3_P12ihipStream_tbPNSt15iterator_traitsISG_E10value_typeEPNSM_ISH_E10value_typeEPSI_NS1_7vsmem_tEENKUlT_SG_SH_SI_E_clIS7_S7_SB_PlEESF_SV_SG_SH_SI_EUlSV_E1_NS1_11comp_targetILNS1_3genE8ELNS1_11target_archE1030ELNS1_3gpuE2ELNS1_3repE0EEENS1_36merge_oddeven_config_static_selectorELNS0_4arch9wavefront6targetE1EEEvSH_,"axG",@progbits,_ZN7rocprim17ROCPRIM_400000_NS6detail17trampoline_kernelINS0_14default_configENS1_38merge_sort_block_merge_config_selectorIilEEZZNS1_27merge_sort_block_merge_implIS3_PiN6thrust23THRUST_200600_302600_NS10device_ptrIlEEjNS1_19radix_merge_compareILb0ELb0EiNS0_19identity_decomposerEEEEE10hipError_tT0_T1_T2_jT3_P12ihipStream_tbPNSt15iterator_traitsISG_E10value_typeEPNSM_ISH_E10value_typeEPSI_NS1_7vsmem_tEENKUlT_SG_SH_SI_E_clIS7_S7_SB_PlEESF_SV_SG_SH_SI_EUlSV_E1_NS1_11comp_targetILNS1_3genE8ELNS1_11target_archE1030ELNS1_3gpuE2ELNS1_3repE0EEENS1_36merge_oddeven_config_static_selectorELNS0_4arch9wavefront6targetE1EEEvSH_,comdat
.Lfunc_end791:
	.size	_ZN7rocprim17ROCPRIM_400000_NS6detail17trampoline_kernelINS0_14default_configENS1_38merge_sort_block_merge_config_selectorIilEEZZNS1_27merge_sort_block_merge_implIS3_PiN6thrust23THRUST_200600_302600_NS10device_ptrIlEEjNS1_19radix_merge_compareILb0ELb0EiNS0_19identity_decomposerEEEEE10hipError_tT0_T1_T2_jT3_P12ihipStream_tbPNSt15iterator_traitsISG_E10value_typeEPNSM_ISH_E10value_typeEPSI_NS1_7vsmem_tEENKUlT_SG_SH_SI_E_clIS7_S7_SB_PlEESF_SV_SG_SH_SI_EUlSV_E1_NS1_11comp_targetILNS1_3genE8ELNS1_11target_archE1030ELNS1_3gpuE2ELNS1_3repE0EEENS1_36merge_oddeven_config_static_selectorELNS0_4arch9wavefront6targetE1EEEvSH_, .Lfunc_end791-_ZN7rocprim17ROCPRIM_400000_NS6detail17trampoline_kernelINS0_14default_configENS1_38merge_sort_block_merge_config_selectorIilEEZZNS1_27merge_sort_block_merge_implIS3_PiN6thrust23THRUST_200600_302600_NS10device_ptrIlEEjNS1_19radix_merge_compareILb0ELb0EiNS0_19identity_decomposerEEEEE10hipError_tT0_T1_T2_jT3_P12ihipStream_tbPNSt15iterator_traitsISG_E10value_typeEPNSM_ISH_E10value_typeEPSI_NS1_7vsmem_tEENKUlT_SG_SH_SI_E_clIS7_S7_SB_PlEESF_SV_SG_SH_SI_EUlSV_E1_NS1_11comp_targetILNS1_3genE8ELNS1_11target_archE1030ELNS1_3gpuE2ELNS1_3repE0EEENS1_36merge_oddeven_config_static_selectorELNS0_4arch9wavefront6targetE1EEEvSH_
                                        ; -- End function
	.set _ZN7rocprim17ROCPRIM_400000_NS6detail17trampoline_kernelINS0_14default_configENS1_38merge_sort_block_merge_config_selectorIilEEZZNS1_27merge_sort_block_merge_implIS3_PiN6thrust23THRUST_200600_302600_NS10device_ptrIlEEjNS1_19radix_merge_compareILb0ELb0EiNS0_19identity_decomposerEEEEE10hipError_tT0_T1_T2_jT3_P12ihipStream_tbPNSt15iterator_traitsISG_E10value_typeEPNSM_ISH_E10value_typeEPSI_NS1_7vsmem_tEENKUlT_SG_SH_SI_E_clIS7_S7_SB_PlEESF_SV_SG_SH_SI_EUlSV_E1_NS1_11comp_targetILNS1_3genE8ELNS1_11target_archE1030ELNS1_3gpuE2ELNS1_3repE0EEENS1_36merge_oddeven_config_static_selectorELNS0_4arch9wavefront6targetE1EEEvSH_.num_vgpr, 0
	.set _ZN7rocprim17ROCPRIM_400000_NS6detail17trampoline_kernelINS0_14default_configENS1_38merge_sort_block_merge_config_selectorIilEEZZNS1_27merge_sort_block_merge_implIS3_PiN6thrust23THRUST_200600_302600_NS10device_ptrIlEEjNS1_19radix_merge_compareILb0ELb0EiNS0_19identity_decomposerEEEEE10hipError_tT0_T1_T2_jT3_P12ihipStream_tbPNSt15iterator_traitsISG_E10value_typeEPNSM_ISH_E10value_typeEPSI_NS1_7vsmem_tEENKUlT_SG_SH_SI_E_clIS7_S7_SB_PlEESF_SV_SG_SH_SI_EUlSV_E1_NS1_11comp_targetILNS1_3genE8ELNS1_11target_archE1030ELNS1_3gpuE2ELNS1_3repE0EEENS1_36merge_oddeven_config_static_selectorELNS0_4arch9wavefront6targetE1EEEvSH_.num_agpr, 0
	.set _ZN7rocprim17ROCPRIM_400000_NS6detail17trampoline_kernelINS0_14default_configENS1_38merge_sort_block_merge_config_selectorIilEEZZNS1_27merge_sort_block_merge_implIS3_PiN6thrust23THRUST_200600_302600_NS10device_ptrIlEEjNS1_19radix_merge_compareILb0ELb0EiNS0_19identity_decomposerEEEEE10hipError_tT0_T1_T2_jT3_P12ihipStream_tbPNSt15iterator_traitsISG_E10value_typeEPNSM_ISH_E10value_typeEPSI_NS1_7vsmem_tEENKUlT_SG_SH_SI_E_clIS7_S7_SB_PlEESF_SV_SG_SH_SI_EUlSV_E1_NS1_11comp_targetILNS1_3genE8ELNS1_11target_archE1030ELNS1_3gpuE2ELNS1_3repE0EEENS1_36merge_oddeven_config_static_selectorELNS0_4arch9wavefront6targetE1EEEvSH_.numbered_sgpr, 0
	.set _ZN7rocprim17ROCPRIM_400000_NS6detail17trampoline_kernelINS0_14default_configENS1_38merge_sort_block_merge_config_selectorIilEEZZNS1_27merge_sort_block_merge_implIS3_PiN6thrust23THRUST_200600_302600_NS10device_ptrIlEEjNS1_19radix_merge_compareILb0ELb0EiNS0_19identity_decomposerEEEEE10hipError_tT0_T1_T2_jT3_P12ihipStream_tbPNSt15iterator_traitsISG_E10value_typeEPNSM_ISH_E10value_typeEPSI_NS1_7vsmem_tEENKUlT_SG_SH_SI_E_clIS7_S7_SB_PlEESF_SV_SG_SH_SI_EUlSV_E1_NS1_11comp_targetILNS1_3genE8ELNS1_11target_archE1030ELNS1_3gpuE2ELNS1_3repE0EEENS1_36merge_oddeven_config_static_selectorELNS0_4arch9wavefront6targetE1EEEvSH_.num_named_barrier, 0
	.set _ZN7rocprim17ROCPRIM_400000_NS6detail17trampoline_kernelINS0_14default_configENS1_38merge_sort_block_merge_config_selectorIilEEZZNS1_27merge_sort_block_merge_implIS3_PiN6thrust23THRUST_200600_302600_NS10device_ptrIlEEjNS1_19radix_merge_compareILb0ELb0EiNS0_19identity_decomposerEEEEE10hipError_tT0_T1_T2_jT3_P12ihipStream_tbPNSt15iterator_traitsISG_E10value_typeEPNSM_ISH_E10value_typeEPSI_NS1_7vsmem_tEENKUlT_SG_SH_SI_E_clIS7_S7_SB_PlEESF_SV_SG_SH_SI_EUlSV_E1_NS1_11comp_targetILNS1_3genE8ELNS1_11target_archE1030ELNS1_3gpuE2ELNS1_3repE0EEENS1_36merge_oddeven_config_static_selectorELNS0_4arch9wavefront6targetE1EEEvSH_.private_seg_size, 0
	.set _ZN7rocprim17ROCPRIM_400000_NS6detail17trampoline_kernelINS0_14default_configENS1_38merge_sort_block_merge_config_selectorIilEEZZNS1_27merge_sort_block_merge_implIS3_PiN6thrust23THRUST_200600_302600_NS10device_ptrIlEEjNS1_19radix_merge_compareILb0ELb0EiNS0_19identity_decomposerEEEEE10hipError_tT0_T1_T2_jT3_P12ihipStream_tbPNSt15iterator_traitsISG_E10value_typeEPNSM_ISH_E10value_typeEPSI_NS1_7vsmem_tEENKUlT_SG_SH_SI_E_clIS7_S7_SB_PlEESF_SV_SG_SH_SI_EUlSV_E1_NS1_11comp_targetILNS1_3genE8ELNS1_11target_archE1030ELNS1_3gpuE2ELNS1_3repE0EEENS1_36merge_oddeven_config_static_selectorELNS0_4arch9wavefront6targetE1EEEvSH_.uses_vcc, 0
	.set _ZN7rocprim17ROCPRIM_400000_NS6detail17trampoline_kernelINS0_14default_configENS1_38merge_sort_block_merge_config_selectorIilEEZZNS1_27merge_sort_block_merge_implIS3_PiN6thrust23THRUST_200600_302600_NS10device_ptrIlEEjNS1_19radix_merge_compareILb0ELb0EiNS0_19identity_decomposerEEEEE10hipError_tT0_T1_T2_jT3_P12ihipStream_tbPNSt15iterator_traitsISG_E10value_typeEPNSM_ISH_E10value_typeEPSI_NS1_7vsmem_tEENKUlT_SG_SH_SI_E_clIS7_S7_SB_PlEESF_SV_SG_SH_SI_EUlSV_E1_NS1_11comp_targetILNS1_3genE8ELNS1_11target_archE1030ELNS1_3gpuE2ELNS1_3repE0EEENS1_36merge_oddeven_config_static_selectorELNS0_4arch9wavefront6targetE1EEEvSH_.uses_flat_scratch, 0
	.set _ZN7rocprim17ROCPRIM_400000_NS6detail17trampoline_kernelINS0_14default_configENS1_38merge_sort_block_merge_config_selectorIilEEZZNS1_27merge_sort_block_merge_implIS3_PiN6thrust23THRUST_200600_302600_NS10device_ptrIlEEjNS1_19radix_merge_compareILb0ELb0EiNS0_19identity_decomposerEEEEE10hipError_tT0_T1_T2_jT3_P12ihipStream_tbPNSt15iterator_traitsISG_E10value_typeEPNSM_ISH_E10value_typeEPSI_NS1_7vsmem_tEENKUlT_SG_SH_SI_E_clIS7_S7_SB_PlEESF_SV_SG_SH_SI_EUlSV_E1_NS1_11comp_targetILNS1_3genE8ELNS1_11target_archE1030ELNS1_3gpuE2ELNS1_3repE0EEENS1_36merge_oddeven_config_static_selectorELNS0_4arch9wavefront6targetE1EEEvSH_.has_dyn_sized_stack, 0
	.set _ZN7rocprim17ROCPRIM_400000_NS6detail17trampoline_kernelINS0_14default_configENS1_38merge_sort_block_merge_config_selectorIilEEZZNS1_27merge_sort_block_merge_implIS3_PiN6thrust23THRUST_200600_302600_NS10device_ptrIlEEjNS1_19radix_merge_compareILb0ELb0EiNS0_19identity_decomposerEEEEE10hipError_tT0_T1_T2_jT3_P12ihipStream_tbPNSt15iterator_traitsISG_E10value_typeEPNSM_ISH_E10value_typeEPSI_NS1_7vsmem_tEENKUlT_SG_SH_SI_E_clIS7_S7_SB_PlEESF_SV_SG_SH_SI_EUlSV_E1_NS1_11comp_targetILNS1_3genE8ELNS1_11target_archE1030ELNS1_3gpuE2ELNS1_3repE0EEENS1_36merge_oddeven_config_static_selectorELNS0_4arch9wavefront6targetE1EEEvSH_.has_recursion, 0
	.set _ZN7rocprim17ROCPRIM_400000_NS6detail17trampoline_kernelINS0_14default_configENS1_38merge_sort_block_merge_config_selectorIilEEZZNS1_27merge_sort_block_merge_implIS3_PiN6thrust23THRUST_200600_302600_NS10device_ptrIlEEjNS1_19radix_merge_compareILb0ELb0EiNS0_19identity_decomposerEEEEE10hipError_tT0_T1_T2_jT3_P12ihipStream_tbPNSt15iterator_traitsISG_E10value_typeEPNSM_ISH_E10value_typeEPSI_NS1_7vsmem_tEENKUlT_SG_SH_SI_E_clIS7_S7_SB_PlEESF_SV_SG_SH_SI_EUlSV_E1_NS1_11comp_targetILNS1_3genE8ELNS1_11target_archE1030ELNS1_3gpuE2ELNS1_3repE0EEENS1_36merge_oddeven_config_static_selectorELNS0_4arch9wavefront6targetE1EEEvSH_.has_indirect_call, 0
	.section	.AMDGPU.csdata,"",@progbits
; Kernel info:
; codeLenInByte = 0
; TotalNumSgprs: 4
; NumVgprs: 0
; ScratchSize: 0
; MemoryBound: 0
; FloatMode: 240
; IeeeMode: 1
; LDSByteSize: 0 bytes/workgroup (compile time only)
; SGPRBlocks: 0
; VGPRBlocks: 0
; NumSGPRsForWavesPerEU: 4
; NumVGPRsForWavesPerEU: 1
; Occupancy: 10
; WaveLimiterHint : 0
; COMPUTE_PGM_RSRC2:SCRATCH_EN: 0
; COMPUTE_PGM_RSRC2:USER_SGPR: 6
; COMPUTE_PGM_RSRC2:TRAP_HANDLER: 0
; COMPUTE_PGM_RSRC2:TGID_X_EN: 1
; COMPUTE_PGM_RSRC2:TGID_Y_EN: 0
; COMPUTE_PGM_RSRC2:TGID_Z_EN: 0
; COMPUTE_PGM_RSRC2:TIDIG_COMP_CNT: 0
	.section	.text._ZN7rocprim17ROCPRIM_400000_NS6detail17trampoline_kernelINS0_14default_configENS1_25transform_config_selectorIiLb1EEEZNS1_14transform_implILb1ES3_S5_PiS7_NS0_8identityIiEEEE10hipError_tT2_T3_mT4_P12ihipStream_tbEUlT_E_NS1_11comp_targetILNS1_3genE0ELNS1_11target_archE4294967295ELNS1_3gpuE0ELNS1_3repE0EEENS1_30default_config_static_selectorELNS0_4arch9wavefront6targetE1EEEvT1_,"axG",@progbits,_ZN7rocprim17ROCPRIM_400000_NS6detail17trampoline_kernelINS0_14default_configENS1_25transform_config_selectorIiLb1EEEZNS1_14transform_implILb1ES3_S5_PiS7_NS0_8identityIiEEEE10hipError_tT2_T3_mT4_P12ihipStream_tbEUlT_E_NS1_11comp_targetILNS1_3genE0ELNS1_11target_archE4294967295ELNS1_3gpuE0ELNS1_3repE0EEENS1_30default_config_static_selectorELNS0_4arch9wavefront6targetE1EEEvT1_,comdat
	.protected	_ZN7rocprim17ROCPRIM_400000_NS6detail17trampoline_kernelINS0_14default_configENS1_25transform_config_selectorIiLb1EEEZNS1_14transform_implILb1ES3_S5_PiS7_NS0_8identityIiEEEE10hipError_tT2_T3_mT4_P12ihipStream_tbEUlT_E_NS1_11comp_targetILNS1_3genE0ELNS1_11target_archE4294967295ELNS1_3gpuE0ELNS1_3repE0EEENS1_30default_config_static_selectorELNS0_4arch9wavefront6targetE1EEEvT1_ ; -- Begin function _ZN7rocprim17ROCPRIM_400000_NS6detail17trampoline_kernelINS0_14default_configENS1_25transform_config_selectorIiLb1EEEZNS1_14transform_implILb1ES3_S5_PiS7_NS0_8identityIiEEEE10hipError_tT2_T3_mT4_P12ihipStream_tbEUlT_E_NS1_11comp_targetILNS1_3genE0ELNS1_11target_archE4294967295ELNS1_3gpuE0ELNS1_3repE0EEENS1_30default_config_static_selectorELNS0_4arch9wavefront6targetE1EEEvT1_
	.globl	_ZN7rocprim17ROCPRIM_400000_NS6detail17trampoline_kernelINS0_14default_configENS1_25transform_config_selectorIiLb1EEEZNS1_14transform_implILb1ES3_S5_PiS7_NS0_8identityIiEEEE10hipError_tT2_T3_mT4_P12ihipStream_tbEUlT_E_NS1_11comp_targetILNS1_3genE0ELNS1_11target_archE4294967295ELNS1_3gpuE0ELNS1_3repE0EEENS1_30default_config_static_selectorELNS0_4arch9wavefront6targetE1EEEvT1_
	.p2align	8
	.type	_ZN7rocprim17ROCPRIM_400000_NS6detail17trampoline_kernelINS0_14default_configENS1_25transform_config_selectorIiLb1EEEZNS1_14transform_implILb1ES3_S5_PiS7_NS0_8identityIiEEEE10hipError_tT2_T3_mT4_P12ihipStream_tbEUlT_E_NS1_11comp_targetILNS1_3genE0ELNS1_11target_archE4294967295ELNS1_3gpuE0ELNS1_3repE0EEENS1_30default_config_static_selectorELNS0_4arch9wavefront6targetE1EEEvT1_,@function
_ZN7rocprim17ROCPRIM_400000_NS6detail17trampoline_kernelINS0_14default_configENS1_25transform_config_selectorIiLb1EEEZNS1_14transform_implILb1ES3_S5_PiS7_NS0_8identityIiEEEE10hipError_tT2_T3_mT4_P12ihipStream_tbEUlT_E_NS1_11comp_targetILNS1_3genE0ELNS1_11target_archE4294967295ELNS1_3gpuE0ELNS1_3repE0EEENS1_30default_config_static_selectorELNS0_4arch9wavefront6targetE1EEEvT1_: ; @_ZN7rocprim17ROCPRIM_400000_NS6detail17trampoline_kernelINS0_14default_configENS1_25transform_config_selectorIiLb1EEEZNS1_14transform_implILb1ES3_S5_PiS7_NS0_8identityIiEEEE10hipError_tT2_T3_mT4_P12ihipStream_tbEUlT_E_NS1_11comp_targetILNS1_3genE0ELNS1_11target_archE4294967295ELNS1_3gpuE0ELNS1_3repE0EEENS1_30default_config_static_selectorELNS0_4arch9wavefront6targetE1EEEvT1_
; %bb.0:
	.section	.rodata,"a",@progbits
	.p2align	6, 0x0
	.amdhsa_kernel _ZN7rocprim17ROCPRIM_400000_NS6detail17trampoline_kernelINS0_14default_configENS1_25transform_config_selectorIiLb1EEEZNS1_14transform_implILb1ES3_S5_PiS7_NS0_8identityIiEEEE10hipError_tT2_T3_mT4_P12ihipStream_tbEUlT_E_NS1_11comp_targetILNS1_3genE0ELNS1_11target_archE4294967295ELNS1_3gpuE0ELNS1_3repE0EEENS1_30default_config_static_selectorELNS0_4arch9wavefront6targetE1EEEvT1_
		.amdhsa_group_segment_fixed_size 0
		.amdhsa_private_segment_fixed_size 0
		.amdhsa_kernarg_size 40
		.amdhsa_user_sgpr_count 6
		.amdhsa_user_sgpr_private_segment_buffer 1
		.amdhsa_user_sgpr_dispatch_ptr 0
		.amdhsa_user_sgpr_queue_ptr 0
		.amdhsa_user_sgpr_kernarg_segment_ptr 1
		.amdhsa_user_sgpr_dispatch_id 0
		.amdhsa_user_sgpr_flat_scratch_init 0
		.amdhsa_user_sgpr_private_segment_size 0
		.amdhsa_uses_dynamic_stack 0
		.amdhsa_system_sgpr_private_segment_wavefront_offset 0
		.amdhsa_system_sgpr_workgroup_id_x 1
		.amdhsa_system_sgpr_workgroup_id_y 0
		.amdhsa_system_sgpr_workgroup_id_z 0
		.amdhsa_system_sgpr_workgroup_info 0
		.amdhsa_system_vgpr_workitem_id 0
		.amdhsa_next_free_vgpr 1
		.amdhsa_next_free_sgpr 0
		.amdhsa_reserve_vcc 0
		.amdhsa_reserve_flat_scratch 0
		.amdhsa_float_round_mode_32 0
		.amdhsa_float_round_mode_16_64 0
		.amdhsa_float_denorm_mode_32 3
		.amdhsa_float_denorm_mode_16_64 3
		.amdhsa_dx10_clamp 1
		.amdhsa_ieee_mode 1
		.amdhsa_fp16_overflow 0
		.amdhsa_exception_fp_ieee_invalid_op 0
		.amdhsa_exception_fp_denorm_src 0
		.amdhsa_exception_fp_ieee_div_zero 0
		.amdhsa_exception_fp_ieee_overflow 0
		.amdhsa_exception_fp_ieee_underflow 0
		.amdhsa_exception_fp_ieee_inexact 0
		.amdhsa_exception_int_div_zero 0
	.end_amdhsa_kernel
	.section	.text._ZN7rocprim17ROCPRIM_400000_NS6detail17trampoline_kernelINS0_14default_configENS1_25transform_config_selectorIiLb1EEEZNS1_14transform_implILb1ES3_S5_PiS7_NS0_8identityIiEEEE10hipError_tT2_T3_mT4_P12ihipStream_tbEUlT_E_NS1_11comp_targetILNS1_3genE0ELNS1_11target_archE4294967295ELNS1_3gpuE0ELNS1_3repE0EEENS1_30default_config_static_selectorELNS0_4arch9wavefront6targetE1EEEvT1_,"axG",@progbits,_ZN7rocprim17ROCPRIM_400000_NS6detail17trampoline_kernelINS0_14default_configENS1_25transform_config_selectorIiLb1EEEZNS1_14transform_implILb1ES3_S5_PiS7_NS0_8identityIiEEEE10hipError_tT2_T3_mT4_P12ihipStream_tbEUlT_E_NS1_11comp_targetILNS1_3genE0ELNS1_11target_archE4294967295ELNS1_3gpuE0ELNS1_3repE0EEENS1_30default_config_static_selectorELNS0_4arch9wavefront6targetE1EEEvT1_,comdat
.Lfunc_end792:
	.size	_ZN7rocprim17ROCPRIM_400000_NS6detail17trampoline_kernelINS0_14default_configENS1_25transform_config_selectorIiLb1EEEZNS1_14transform_implILb1ES3_S5_PiS7_NS0_8identityIiEEEE10hipError_tT2_T3_mT4_P12ihipStream_tbEUlT_E_NS1_11comp_targetILNS1_3genE0ELNS1_11target_archE4294967295ELNS1_3gpuE0ELNS1_3repE0EEENS1_30default_config_static_selectorELNS0_4arch9wavefront6targetE1EEEvT1_, .Lfunc_end792-_ZN7rocprim17ROCPRIM_400000_NS6detail17trampoline_kernelINS0_14default_configENS1_25transform_config_selectorIiLb1EEEZNS1_14transform_implILb1ES3_S5_PiS7_NS0_8identityIiEEEE10hipError_tT2_T3_mT4_P12ihipStream_tbEUlT_E_NS1_11comp_targetILNS1_3genE0ELNS1_11target_archE4294967295ELNS1_3gpuE0ELNS1_3repE0EEENS1_30default_config_static_selectorELNS0_4arch9wavefront6targetE1EEEvT1_
                                        ; -- End function
	.set _ZN7rocprim17ROCPRIM_400000_NS6detail17trampoline_kernelINS0_14default_configENS1_25transform_config_selectorIiLb1EEEZNS1_14transform_implILb1ES3_S5_PiS7_NS0_8identityIiEEEE10hipError_tT2_T3_mT4_P12ihipStream_tbEUlT_E_NS1_11comp_targetILNS1_3genE0ELNS1_11target_archE4294967295ELNS1_3gpuE0ELNS1_3repE0EEENS1_30default_config_static_selectorELNS0_4arch9wavefront6targetE1EEEvT1_.num_vgpr, 0
	.set _ZN7rocprim17ROCPRIM_400000_NS6detail17trampoline_kernelINS0_14default_configENS1_25transform_config_selectorIiLb1EEEZNS1_14transform_implILb1ES3_S5_PiS7_NS0_8identityIiEEEE10hipError_tT2_T3_mT4_P12ihipStream_tbEUlT_E_NS1_11comp_targetILNS1_3genE0ELNS1_11target_archE4294967295ELNS1_3gpuE0ELNS1_3repE0EEENS1_30default_config_static_selectorELNS0_4arch9wavefront6targetE1EEEvT1_.num_agpr, 0
	.set _ZN7rocprim17ROCPRIM_400000_NS6detail17trampoline_kernelINS0_14default_configENS1_25transform_config_selectorIiLb1EEEZNS1_14transform_implILb1ES3_S5_PiS7_NS0_8identityIiEEEE10hipError_tT2_T3_mT4_P12ihipStream_tbEUlT_E_NS1_11comp_targetILNS1_3genE0ELNS1_11target_archE4294967295ELNS1_3gpuE0ELNS1_3repE0EEENS1_30default_config_static_selectorELNS0_4arch9wavefront6targetE1EEEvT1_.numbered_sgpr, 0
	.set _ZN7rocprim17ROCPRIM_400000_NS6detail17trampoline_kernelINS0_14default_configENS1_25transform_config_selectorIiLb1EEEZNS1_14transform_implILb1ES3_S5_PiS7_NS0_8identityIiEEEE10hipError_tT2_T3_mT4_P12ihipStream_tbEUlT_E_NS1_11comp_targetILNS1_3genE0ELNS1_11target_archE4294967295ELNS1_3gpuE0ELNS1_3repE0EEENS1_30default_config_static_selectorELNS0_4arch9wavefront6targetE1EEEvT1_.num_named_barrier, 0
	.set _ZN7rocprim17ROCPRIM_400000_NS6detail17trampoline_kernelINS0_14default_configENS1_25transform_config_selectorIiLb1EEEZNS1_14transform_implILb1ES3_S5_PiS7_NS0_8identityIiEEEE10hipError_tT2_T3_mT4_P12ihipStream_tbEUlT_E_NS1_11comp_targetILNS1_3genE0ELNS1_11target_archE4294967295ELNS1_3gpuE0ELNS1_3repE0EEENS1_30default_config_static_selectorELNS0_4arch9wavefront6targetE1EEEvT1_.private_seg_size, 0
	.set _ZN7rocprim17ROCPRIM_400000_NS6detail17trampoline_kernelINS0_14default_configENS1_25transform_config_selectorIiLb1EEEZNS1_14transform_implILb1ES3_S5_PiS7_NS0_8identityIiEEEE10hipError_tT2_T3_mT4_P12ihipStream_tbEUlT_E_NS1_11comp_targetILNS1_3genE0ELNS1_11target_archE4294967295ELNS1_3gpuE0ELNS1_3repE0EEENS1_30default_config_static_selectorELNS0_4arch9wavefront6targetE1EEEvT1_.uses_vcc, 0
	.set _ZN7rocprim17ROCPRIM_400000_NS6detail17trampoline_kernelINS0_14default_configENS1_25transform_config_selectorIiLb1EEEZNS1_14transform_implILb1ES3_S5_PiS7_NS0_8identityIiEEEE10hipError_tT2_T3_mT4_P12ihipStream_tbEUlT_E_NS1_11comp_targetILNS1_3genE0ELNS1_11target_archE4294967295ELNS1_3gpuE0ELNS1_3repE0EEENS1_30default_config_static_selectorELNS0_4arch9wavefront6targetE1EEEvT1_.uses_flat_scratch, 0
	.set _ZN7rocprim17ROCPRIM_400000_NS6detail17trampoline_kernelINS0_14default_configENS1_25transform_config_selectorIiLb1EEEZNS1_14transform_implILb1ES3_S5_PiS7_NS0_8identityIiEEEE10hipError_tT2_T3_mT4_P12ihipStream_tbEUlT_E_NS1_11comp_targetILNS1_3genE0ELNS1_11target_archE4294967295ELNS1_3gpuE0ELNS1_3repE0EEENS1_30default_config_static_selectorELNS0_4arch9wavefront6targetE1EEEvT1_.has_dyn_sized_stack, 0
	.set _ZN7rocprim17ROCPRIM_400000_NS6detail17trampoline_kernelINS0_14default_configENS1_25transform_config_selectorIiLb1EEEZNS1_14transform_implILb1ES3_S5_PiS7_NS0_8identityIiEEEE10hipError_tT2_T3_mT4_P12ihipStream_tbEUlT_E_NS1_11comp_targetILNS1_3genE0ELNS1_11target_archE4294967295ELNS1_3gpuE0ELNS1_3repE0EEENS1_30default_config_static_selectorELNS0_4arch9wavefront6targetE1EEEvT1_.has_recursion, 0
	.set _ZN7rocprim17ROCPRIM_400000_NS6detail17trampoline_kernelINS0_14default_configENS1_25transform_config_selectorIiLb1EEEZNS1_14transform_implILb1ES3_S5_PiS7_NS0_8identityIiEEEE10hipError_tT2_T3_mT4_P12ihipStream_tbEUlT_E_NS1_11comp_targetILNS1_3genE0ELNS1_11target_archE4294967295ELNS1_3gpuE0ELNS1_3repE0EEENS1_30default_config_static_selectorELNS0_4arch9wavefront6targetE1EEEvT1_.has_indirect_call, 0
	.section	.AMDGPU.csdata,"",@progbits
; Kernel info:
; codeLenInByte = 0
; TotalNumSgprs: 4
; NumVgprs: 0
; ScratchSize: 0
; MemoryBound: 0
; FloatMode: 240
; IeeeMode: 1
; LDSByteSize: 0 bytes/workgroup (compile time only)
; SGPRBlocks: 0
; VGPRBlocks: 0
; NumSGPRsForWavesPerEU: 4
; NumVGPRsForWavesPerEU: 1
; Occupancy: 10
; WaveLimiterHint : 0
; COMPUTE_PGM_RSRC2:SCRATCH_EN: 0
; COMPUTE_PGM_RSRC2:USER_SGPR: 6
; COMPUTE_PGM_RSRC2:TRAP_HANDLER: 0
; COMPUTE_PGM_RSRC2:TGID_X_EN: 1
; COMPUTE_PGM_RSRC2:TGID_Y_EN: 0
; COMPUTE_PGM_RSRC2:TGID_Z_EN: 0
; COMPUTE_PGM_RSRC2:TIDIG_COMP_CNT: 0
	.section	.text._ZN7rocprim17ROCPRIM_400000_NS6detail17trampoline_kernelINS0_14default_configENS1_25transform_config_selectorIiLb1EEEZNS1_14transform_implILb1ES3_S5_PiS7_NS0_8identityIiEEEE10hipError_tT2_T3_mT4_P12ihipStream_tbEUlT_E_NS1_11comp_targetILNS1_3genE10ELNS1_11target_archE1201ELNS1_3gpuE5ELNS1_3repE0EEENS1_30default_config_static_selectorELNS0_4arch9wavefront6targetE1EEEvT1_,"axG",@progbits,_ZN7rocprim17ROCPRIM_400000_NS6detail17trampoline_kernelINS0_14default_configENS1_25transform_config_selectorIiLb1EEEZNS1_14transform_implILb1ES3_S5_PiS7_NS0_8identityIiEEEE10hipError_tT2_T3_mT4_P12ihipStream_tbEUlT_E_NS1_11comp_targetILNS1_3genE10ELNS1_11target_archE1201ELNS1_3gpuE5ELNS1_3repE0EEENS1_30default_config_static_selectorELNS0_4arch9wavefront6targetE1EEEvT1_,comdat
	.protected	_ZN7rocprim17ROCPRIM_400000_NS6detail17trampoline_kernelINS0_14default_configENS1_25transform_config_selectorIiLb1EEEZNS1_14transform_implILb1ES3_S5_PiS7_NS0_8identityIiEEEE10hipError_tT2_T3_mT4_P12ihipStream_tbEUlT_E_NS1_11comp_targetILNS1_3genE10ELNS1_11target_archE1201ELNS1_3gpuE5ELNS1_3repE0EEENS1_30default_config_static_selectorELNS0_4arch9wavefront6targetE1EEEvT1_ ; -- Begin function _ZN7rocprim17ROCPRIM_400000_NS6detail17trampoline_kernelINS0_14default_configENS1_25transform_config_selectorIiLb1EEEZNS1_14transform_implILb1ES3_S5_PiS7_NS0_8identityIiEEEE10hipError_tT2_T3_mT4_P12ihipStream_tbEUlT_E_NS1_11comp_targetILNS1_3genE10ELNS1_11target_archE1201ELNS1_3gpuE5ELNS1_3repE0EEENS1_30default_config_static_selectorELNS0_4arch9wavefront6targetE1EEEvT1_
	.globl	_ZN7rocprim17ROCPRIM_400000_NS6detail17trampoline_kernelINS0_14default_configENS1_25transform_config_selectorIiLb1EEEZNS1_14transform_implILb1ES3_S5_PiS7_NS0_8identityIiEEEE10hipError_tT2_T3_mT4_P12ihipStream_tbEUlT_E_NS1_11comp_targetILNS1_3genE10ELNS1_11target_archE1201ELNS1_3gpuE5ELNS1_3repE0EEENS1_30default_config_static_selectorELNS0_4arch9wavefront6targetE1EEEvT1_
	.p2align	8
	.type	_ZN7rocprim17ROCPRIM_400000_NS6detail17trampoline_kernelINS0_14default_configENS1_25transform_config_selectorIiLb1EEEZNS1_14transform_implILb1ES3_S5_PiS7_NS0_8identityIiEEEE10hipError_tT2_T3_mT4_P12ihipStream_tbEUlT_E_NS1_11comp_targetILNS1_3genE10ELNS1_11target_archE1201ELNS1_3gpuE5ELNS1_3repE0EEENS1_30default_config_static_selectorELNS0_4arch9wavefront6targetE1EEEvT1_,@function
_ZN7rocprim17ROCPRIM_400000_NS6detail17trampoline_kernelINS0_14default_configENS1_25transform_config_selectorIiLb1EEEZNS1_14transform_implILb1ES3_S5_PiS7_NS0_8identityIiEEEE10hipError_tT2_T3_mT4_P12ihipStream_tbEUlT_E_NS1_11comp_targetILNS1_3genE10ELNS1_11target_archE1201ELNS1_3gpuE5ELNS1_3repE0EEENS1_30default_config_static_selectorELNS0_4arch9wavefront6targetE1EEEvT1_: ; @_ZN7rocprim17ROCPRIM_400000_NS6detail17trampoline_kernelINS0_14default_configENS1_25transform_config_selectorIiLb1EEEZNS1_14transform_implILb1ES3_S5_PiS7_NS0_8identityIiEEEE10hipError_tT2_T3_mT4_P12ihipStream_tbEUlT_E_NS1_11comp_targetILNS1_3genE10ELNS1_11target_archE1201ELNS1_3gpuE5ELNS1_3repE0EEENS1_30default_config_static_selectorELNS0_4arch9wavefront6targetE1EEEvT1_
; %bb.0:
	.section	.rodata,"a",@progbits
	.p2align	6, 0x0
	.amdhsa_kernel _ZN7rocprim17ROCPRIM_400000_NS6detail17trampoline_kernelINS0_14default_configENS1_25transform_config_selectorIiLb1EEEZNS1_14transform_implILb1ES3_S5_PiS7_NS0_8identityIiEEEE10hipError_tT2_T3_mT4_P12ihipStream_tbEUlT_E_NS1_11comp_targetILNS1_3genE10ELNS1_11target_archE1201ELNS1_3gpuE5ELNS1_3repE0EEENS1_30default_config_static_selectorELNS0_4arch9wavefront6targetE1EEEvT1_
		.amdhsa_group_segment_fixed_size 0
		.amdhsa_private_segment_fixed_size 0
		.amdhsa_kernarg_size 40
		.amdhsa_user_sgpr_count 6
		.amdhsa_user_sgpr_private_segment_buffer 1
		.amdhsa_user_sgpr_dispatch_ptr 0
		.amdhsa_user_sgpr_queue_ptr 0
		.amdhsa_user_sgpr_kernarg_segment_ptr 1
		.amdhsa_user_sgpr_dispatch_id 0
		.amdhsa_user_sgpr_flat_scratch_init 0
		.amdhsa_user_sgpr_private_segment_size 0
		.amdhsa_uses_dynamic_stack 0
		.amdhsa_system_sgpr_private_segment_wavefront_offset 0
		.amdhsa_system_sgpr_workgroup_id_x 1
		.amdhsa_system_sgpr_workgroup_id_y 0
		.amdhsa_system_sgpr_workgroup_id_z 0
		.amdhsa_system_sgpr_workgroup_info 0
		.amdhsa_system_vgpr_workitem_id 0
		.amdhsa_next_free_vgpr 1
		.amdhsa_next_free_sgpr 0
		.amdhsa_reserve_vcc 0
		.amdhsa_reserve_flat_scratch 0
		.amdhsa_float_round_mode_32 0
		.amdhsa_float_round_mode_16_64 0
		.amdhsa_float_denorm_mode_32 3
		.amdhsa_float_denorm_mode_16_64 3
		.amdhsa_dx10_clamp 1
		.amdhsa_ieee_mode 1
		.amdhsa_fp16_overflow 0
		.amdhsa_exception_fp_ieee_invalid_op 0
		.amdhsa_exception_fp_denorm_src 0
		.amdhsa_exception_fp_ieee_div_zero 0
		.amdhsa_exception_fp_ieee_overflow 0
		.amdhsa_exception_fp_ieee_underflow 0
		.amdhsa_exception_fp_ieee_inexact 0
		.amdhsa_exception_int_div_zero 0
	.end_amdhsa_kernel
	.section	.text._ZN7rocprim17ROCPRIM_400000_NS6detail17trampoline_kernelINS0_14default_configENS1_25transform_config_selectorIiLb1EEEZNS1_14transform_implILb1ES3_S5_PiS7_NS0_8identityIiEEEE10hipError_tT2_T3_mT4_P12ihipStream_tbEUlT_E_NS1_11comp_targetILNS1_3genE10ELNS1_11target_archE1201ELNS1_3gpuE5ELNS1_3repE0EEENS1_30default_config_static_selectorELNS0_4arch9wavefront6targetE1EEEvT1_,"axG",@progbits,_ZN7rocprim17ROCPRIM_400000_NS6detail17trampoline_kernelINS0_14default_configENS1_25transform_config_selectorIiLb1EEEZNS1_14transform_implILb1ES3_S5_PiS7_NS0_8identityIiEEEE10hipError_tT2_T3_mT4_P12ihipStream_tbEUlT_E_NS1_11comp_targetILNS1_3genE10ELNS1_11target_archE1201ELNS1_3gpuE5ELNS1_3repE0EEENS1_30default_config_static_selectorELNS0_4arch9wavefront6targetE1EEEvT1_,comdat
.Lfunc_end793:
	.size	_ZN7rocprim17ROCPRIM_400000_NS6detail17trampoline_kernelINS0_14default_configENS1_25transform_config_selectorIiLb1EEEZNS1_14transform_implILb1ES3_S5_PiS7_NS0_8identityIiEEEE10hipError_tT2_T3_mT4_P12ihipStream_tbEUlT_E_NS1_11comp_targetILNS1_3genE10ELNS1_11target_archE1201ELNS1_3gpuE5ELNS1_3repE0EEENS1_30default_config_static_selectorELNS0_4arch9wavefront6targetE1EEEvT1_, .Lfunc_end793-_ZN7rocprim17ROCPRIM_400000_NS6detail17trampoline_kernelINS0_14default_configENS1_25transform_config_selectorIiLb1EEEZNS1_14transform_implILb1ES3_S5_PiS7_NS0_8identityIiEEEE10hipError_tT2_T3_mT4_P12ihipStream_tbEUlT_E_NS1_11comp_targetILNS1_3genE10ELNS1_11target_archE1201ELNS1_3gpuE5ELNS1_3repE0EEENS1_30default_config_static_selectorELNS0_4arch9wavefront6targetE1EEEvT1_
                                        ; -- End function
	.set _ZN7rocprim17ROCPRIM_400000_NS6detail17trampoline_kernelINS0_14default_configENS1_25transform_config_selectorIiLb1EEEZNS1_14transform_implILb1ES3_S5_PiS7_NS0_8identityIiEEEE10hipError_tT2_T3_mT4_P12ihipStream_tbEUlT_E_NS1_11comp_targetILNS1_3genE10ELNS1_11target_archE1201ELNS1_3gpuE5ELNS1_3repE0EEENS1_30default_config_static_selectorELNS0_4arch9wavefront6targetE1EEEvT1_.num_vgpr, 0
	.set _ZN7rocprim17ROCPRIM_400000_NS6detail17trampoline_kernelINS0_14default_configENS1_25transform_config_selectorIiLb1EEEZNS1_14transform_implILb1ES3_S5_PiS7_NS0_8identityIiEEEE10hipError_tT2_T3_mT4_P12ihipStream_tbEUlT_E_NS1_11comp_targetILNS1_3genE10ELNS1_11target_archE1201ELNS1_3gpuE5ELNS1_3repE0EEENS1_30default_config_static_selectorELNS0_4arch9wavefront6targetE1EEEvT1_.num_agpr, 0
	.set _ZN7rocprim17ROCPRIM_400000_NS6detail17trampoline_kernelINS0_14default_configENS1_25transform_config_selectorIiLb1EEEZNS1_14transform_implILb1ES3_S5_PiS7_NS0_8identityIiEEEE10hipError_tT2_T3_mT4_P12ihipStream_tbEUlT_E_NS1_11comp_targetILNS1_3genE10ELNS1_11target_archE1201ELNS1_3gpuE5ELNS1_3repE0EEENS1_30default_config_static_selectorELNS0_4arch9wavefront6targetE1EEEvT1_.numbered_sgpr, 0
	.set _ZN7rocprim17ROCPRIM_400000_NS6detail17trampoline_kernelINS0_14default_configENS1_25transform_config_selectorIiLb1EEEZNS1_14transform_implILb1ES3_S5_PiS7_NS0_8identityIiEEEE10hipError_tT2_T3_mT4_P12ihipStream_tbEUlT_E_NS1_11comp_targetILNS1_3genE10ELNS1_11target_archE1201ELNS1_3gpuE5ELNS1_3repE0EEENS1_30default_config_static_selectorELNS0_4arch9wavefront6targetE1EEEvT1_.num_named_barrier, 0
	.set _ZN7rocprim17ROCPRIM_400000_NS6detail17trampoline_kernelINS0_14default_configENS1_25transform_config_selectorIiLb1EEEZNS1_14transform_implILb1ES3_S5_PiS7_NS0_8identityIiEEEE10hipError_tT2_T3_mT4_P12ihipStream_tbEUlT_E_NS1_11comp_targetILNS1_3genE10ELNS1_11target_archE1201ELNS1_3gpuE5ELNS1_3repE0EEENS1_30default_config_static_selectorELNS0_4arch9wavefront6targetE1EEEvT1_.private_seg_size, 0
	.set _ZN7rocprim17ROCPRIM_400000_NS6detail17trampoline_kernelINS0_14default_configENS1_25transform_config_selectorIiLb1EEEZNS1_14transform_implILb1ES3_S5_PiS7_NS0_8identityIiEEEE10hipError_tT2_T3_mT4_P12ihipStream_tbEUlT_E_NS1_11comp_targetILNS1_3genE10ELNS1_11target_archE1201ELNS1_3gpuE5ELNS1_3repE0EEENS1_30default_config_static_selectorELNS0_4arch9wavefront6targetE1EEEvT1_.uses_vcc, 0
	.set _ZN7rocprim17ROCPRIM_400000_NS6detail17trampoline_kernelINS0_14default_configENS1_25transform_config_selectorIiLb1EEEZNS1_14transform_implILb1ES3_S5_PiS7_NS0_8identityIiEEEE10hipError_tT2_T3_mT4_P12ihipStream_tbEUlT_E_NS1_11comp_targetILNS1_3genE10ELNS1_11target_archE1201ELNS1_3gpuE5ELNS1_3repE0EEENS1_30default_config_static_selectorELNS0_4arch9wavefront6targetE1EEEvT1_.uses_flat_scratch, 0
	.set _ZN7rocprim17ROCPRIM_400000_NS6detail17trampoline_kernelINS0_14default_configENS1_25transform_config_selectorIiLb1EEEZNS1_14transform_implILb1ES3_S5_PiS7_NS0_8identityIiEEEE10hipError_tT2_T3_mT4_P12ihipStream_tbEUlT_E_NS1_11comp_targetILNS1_3genE10ELNS1_11target_archE1201ELNS1_3gpuE5ELNS1_3repE0EEENS1_30default_config_static_selectorELNS0_4arch9wavefront6targetE1EEEvT1_.has_dyn_sized_stack, 0
	.set _ZN7rocprim17ROCPRIM_400000_NS6detail17trampoline_kernelINS0_14default_configENS1_25transform_config_selectorIiLb1EEEZNS1_14transform_implILb1ES3_S5_PiS7_NS0_8identityIiEEEE10hipError_tT2_T3_mT4_P12ihipStream_tbEUlT_E_NS1_11comp_targetILNS1_3genE10ELNS1_11target_archE1201ELNS1_3gpuE5ELNS1_3repE0EEENS1_30default_config_static_selectorELNS0_4arch9wavefront6targetE1EEEvT1_.has_recursion, 0
	.set _ZN7rocprim17ROCPRIM_400000_NS6detail17trampoline_kernelINS0_14default_configENS1_25transform_config_selectorIiLb1EEEZNS1_14transform_implILb1ES3_S5_PiS7_NS0_8identityIiEEEE10hipError_tT2_T3_mT4_P12ihipStream_tbEUlT_E_NS1_11comp_targetILNS1_3genE10ELNS1_11target_archE1201ELNS1_3gpuE5ELNS1_3repE0EEENS1_30default_config_static_selectorELNS0_4arch9wavefront6targetE1EEEvT1_.has_indirect_call, 0
	.section	.AMDGPU.csdata,"",@progbits
; Kernel info:
; codeLenInByte = 0
; TotalNumSgprs: 4
; NumVgprs: 0
; ScratchSize: 0
; MemoryBound: 0
; FloatMode: 240
; IeeeMode: 1
; LDSByteSize: 0 bytes/workgroup (compile time only)
; SGPRBlocks: 0
; VGPRBlocks: 0
; NumSGPRsForWavesPerEU: 4
; NumVGPRsForWavesPerEU: 1
; Occupancy: 10
; WaveLimiterHint : 0
; COMPUTE_PGM_RSRC2:SCRATCH_EN: 0
; COMPUTE_PGM_RSRC2:USER_SGPR: 6
; COMPUTE_PGM_RSRC2:TRAP_HANDLER: 0
; COMPUTE_PGM_RSRC2:TGID_X_EN: 1
; COMPUTE_PGM_RSRC2:TGID_Y_EN: 0
; COMPUTE_PGM_RSRC2:TGID_Z_EN: 0
; COMPUTE_PGM_RSRC2:TIDIG_COMP_CNT: 0
	.section	.text._ZN7rocprim17ROCPRIM_400000_NS6detail17trampoline_kernelINS0_14default_configENS1_25transform_config_selectorIiLb1EEEZNS1_14transform_implILb1ES3_S5_PiS7_NS0_8identityIiEEEE10hipError_tT2_T3_mT4_P12ihipStream_tbEUlT_E_NS1_11comp_targetILNS1_3genE5ELNS1_11target_archE942ELNS1_3gpuE9ELNS1_3repE0EEENS1_30default_config_static_selectorELNS0_4arch9wavefront6targetE1EEEvT1_,"axG",@progbits,_ZN7rocprim17ROCPRIM_400000_NS6detail17trampoline_kernelINS0_14default_configENS1_25transform_config_selectorIiLb1EEEZNS1_14transform_implILb1ES3_S5_PiS7_NS0_8identityIiEEEE10hipError_tT2_T3_mT4_P12ihipStream_tbEUlT_E_NS1_11comp_targetILNS1_3genE5ELNS1_11target_archE942ELNS1_3gpuE9ELNS1_3repE0EEENS1_30default_config_static_selectorELNS0_4arch9wavefront6targetE1EEEvT1_,comdat
	.protected	_ZN7rocprim17ROCPRIM_400000_NS6detail17trampoline_kernelINS0_14default_configENS1_25transform_config_selectorIiLb1EEEZNS1_14transform_implILb1ES3_S5_PiS7_NS0_8identityIiEEEE10hipError_tT2_T3_mT4_P12ihipStream_tbEUlT_E_NS1_11comp_targetILNS1_3genE5ELNS1_11target_archE942ELNS1_3gpuE9ELNS1_3repE0EEENS1_30default_config_static_selectorELNS0_4arch9wavefront6targetE1EEEvT1_ ; -- Begin function _ZN7rocprim17ROCPRIM_400000_NS6detail17trampoline_kernelINS0_14default_configENS1_25transform_config_selectorIiLb1EEEZNS1_14transform_implILb1ES3_S5_PiS7_NS0_8identityIiEEEE10hipError_tT2_T3_mT4_P12ihipStream_tbEUlT_E_NS1_11comp_targetILNS1_3genE5ELNS1_11target_archE942ELNS1_3gpuE9ELNS1_3repE0EEENS1_30default_config_static_selectorELNS0_4arch9wavefront6targetE1EEEvT1_
	.globl	_ZN7rocprim17ROCPRIM_400000_NS6detail17trampoline_kernelINS0_14default_configENS1_25transform_config_selectorIiLb1EEEZNS1_14transform_implILb1ES3_S5_PiS7_NS0_8identityIiEEEE10hipError_tT2_T3_mT4_P12ihipStream_tbEUlT_E_NS1_11comp_targetILNS1_3genE5ELNS1_11target_archE942ELNS1_3gpuE9ELNS1_3repE0EEENS1_30default_config_static_selectorELNS0_4arch9wavefront6targetE1EEEvT1_
	.p2align	8
	.type	_ZN7rocprim17ROCPRIM_400000_NS6detail17trampoline_kernelINS0_14default_configENS1_25transform_config_selectorIiLb1EEEZNS1_14transform_implILb1ES3_S5_PiS7_NS0_8identityIiEEEE10hipError_tT2_T3_mT4_P12ihipStream_tbEUlT_E_NS1_11comp_targetILNS1_3genE5ELNS1_11target_archE942ELNS1_3gpuE9ELNS1_3repE0EEENS1_30default_config_static_selectorELNS0_4arch9wavefront6targetE1EEEvT1_,@function
_ZN7rocprim17ROCPRIM_400000_NS6detail17trampoline_kernelINS0_14default_configENS1_25transform_config_selectorIiLb1EEEZNS1_14transform_implILb1ES3_S5_PiS7_NS0_8identityIiEEEE10hipError_tT2_T3_mT4_P12ihipStream_tbEUlT_E_NS1_11comp_targetILNS1_3genE5ELNS1_11target_archE942ELNS1_3gpuE9ELNS1_3repE0EEENS1_30default_config_static_selectorELNS0_4arch9wavefront6targetE1EEEvT1_: ; @_ZN7rocprim17ROCPRIM_400000_NS6detail17trampoline_kernelINS0_14default_configENS1_25transform_config_selectorIiLb1EEEZNS1_14transform_implILb1ES3_S5_PiS7_NS0_8identityIiEEEE10hipError_tT2_T3_mT4_P12ihipStream_tbEUlT_E_NS1_11comp_targetILNS1_3genE5ELNS1_11target_archE942ELNS1_3gpuE9ELNS1_3repE0EEENS1_30default_config_static_selectorELNS0_4arch9wavefront6targetE1EEEvT1_
; %bb.0:
	.section	.rodata,"a",@progbits
	.p2align	6, 0x0
	.amdhsa_kernel _ZN7rocprim17ROCPRIM_400000_NS6detail17trampoline_kernelINS0_14default_configENS1_25transform_config_selectorIiLb1EEEZNS1_14transform_implILb1ES3_S5_PiS7_NS0_8identityIiEEEE10hipError_tT2_T3_mT4_P12ihipStream_tbEUlT_E_NS1_11comp_targetILNS1_3genE5ELNS1_11target_archE942ELNS1_3gpuE9ELNS1_3repE0EEENS1_30default_config_static_selectorELNS0_4arch9wavefront6targetE1EEEvT1_
		.amdhsa_group_segment_fixed_size 0
		.amdhsa_private_segment_fixed_size 0
		.amdhsa_kernarg_size 40
		.amdhsa_user_sgpr_count 6
		.amdhsa_user_sgpr_private_segment_buffer 1
		.amdhsa_user_sgpr_dispatch_ptr 0
		.amdhsa_user_sgpr_queue_ptr 0
		.amdhsa_user_sgpr_kernarg_segment_ptr 1
		.amdhsa_user_sgpr_dispatch_id 0
		.amdhsa_user_sgpr_flat_scratch_init 0
		.amdhsa_user_sgpr_private_segment_size 0
		.amdhsa_uses_dynamic_stack 0
		.amdhsa_system_sgpr_private_segment_wavefront_offset 0
		.amdhsa_system_sgpr_workgroup_id_x 1
		.amdhsa_system_sgpr_workgroup_id_y 0
		.amdhsa_system_sgpr_workgroup_id_z 0
		.amdhsa_system_sgpr_workgroup_info 0
		.amdhsa_system_vgpr_workitem_id 0
		.amdhsa_next_free_vgpr 1
		.amdhsa_next_free_sgpr 0
		.amdhsa_reserve_vcc 0
		.amdhsa_reserve_flat_scratch 0
		.amdhsa_float_round_mode_32 0
		.amdhsa_float_round_mode_16_64 0
		.amdhsa_float_denorm_mode_32 3
		.amdhsa_float_denorm_mode_16_64 3
		.amdhsa_dx10_clamp 1
		.amdhsa_ieee_mode 1
		.amdhsa_fp16_overflow 0
		.amdhsa_exception_fp_ieee_invalid_op 0
		.amdhsa_exception_fp_denorm_src 0
		.amdhsa_exception_fp_ieee_div_zero 0
		.amdhsa_exception_fp_ieee_overflow 0
		.amdhsa_exception_fp_ieee_underflow 0
		.amdhsa_exception_fp_ieee_inexact 0
		.amdhsa_exception_int_div_zero 0
	.end_amdhsa_kernel
	.section	.text._ZN7rocprim17ROCPRIM_400000_NS6detail17trampoline_kernelINS0_14default_configENS1_25transform_config_selectorIiLb1EEEZNS1_14transform_implILb1ES3_S5_PiS7_NS0_8identityIiEEEE10hipError_tT2_T3_mT4_P12ihipStream_tbEUlT_E_NS1_11comp_targetILNS1_3genE5ELNS1_11target_archE942ELNS1_3gpuE9ELNS1_3repE0EEENS1_30default_config_static_selectorELNS0_4arch9wavefront6targetE1EEEvT1_,"axG",@progbits,_ZN7rocprim17ROCPRIM_400000_NS6detail17trampoline_kernelINS0_14default_configENS1_25transform_config_selectorIiLb1EEEZNS1_14transform_implILb1ES3_S5_PiS7_NS0_8identityIiEEEE10hipError_tT2_T3_mT4_P12ihipStream_tbEUlT_E_NS1_11comp_targetILNS1_3genE5ELNS1_11target_archE942ELNS1_3gpuE9ELNS1_3repE0EEENS1_30default_config_static_selectorELNS0_4arch9wavefront6targetE1EEEvT1_,comdat
.Lfunc_end794:
	.size	_ZN7rocprim17ROCPRIM_400000_NS6detail17trampoline_kernelINS0_14default_configENS1_25transform_config_selectorIiLb1EEEZNS1_14transform_implILb1ES3_S5_PiS7_NS0_8identityIiEEEE10hipError_tT2_T3_mT4_P12ihipStream_tbEUlT_E_NS1_11comp_targetILNS1_3genE5ELNS1_11target_archE942ELNS1_3gpuE9ELNS1_3repE0EEENS1_30default_config_static_selectorELNS0_4arch9wavefront6targetE1EEEvT1_, .Lfunc_end794-_ZN7rocprim17ROCPRIM_400000_NS6detail17trampoline_kernelINS0_14default_configENS1_25transform_config_selectorIiLb1EEEZNS1_14transform_implILb1ES3_S5_PiS7_NS0_8identityIiEEEE10hipError_tT2_T3_mT4_P12ihipStream_tbEUlT_E_NS1_11comp_targetILNS1_3genE5ELNS1_11target_archE942ELNS1_3gpuE9ELNS1_3repE0EEENS1_30default_config_static_selectorELNS0_4arch9wavefront6targetE1EEEvT1_
                                        ; -- End function
	.set _ZN7rocprim17ROCPRIM_400000_NS6detail17trampoline_kernelINS0_14default_configENS1_25transform_config_selectorIiLb1EEEZNS1_14transform_implILb1ES3_S5_PiS7_NS0_8identityIiEEEE10hipError_tT2_T3_mT4_P12ihipStream_tbEUlT_E_NS1_11comp_targetILNS1_3genE5ELNS1_11target_archE942ELNS1_3gpuE9ELNS1_3repE0EEENS1_30default_config_static_selectorELNS0_4arch9wavefront6targetE1EEEvT1_.num_vgpr, 0
	.set _ZN7rocprim17ROCPRIM_400000_NS6detail17trampoline_kernelINS0_14default_configENS1_25transform_config_selectorIiLb1EEEZNS1_14transform_implILb1ES3_S5_PiS7_NS0_8identityIiEEEE10hipError_tT2_T3_mT4_P12ihipStream_tbEUlT_E_NS1_11comp_targetILNS1_3genE5ELNS1_11target_archE942ELNS1_3gpuE9ELNS1_3repE0EEENS1_30default_config_static_selectorELNS0_4arch9wavefront6targetE1EEEvT1_.num_agpr, 0
	.set _ZN7rocprim17ROCPRIM_400000_NS6detail17trampoline_kernelINS0_14default_configENS1_25transform_config_selectorIiLb1EEEZNS1_14transform_implILb1ES3_S5_PiS7_NS0_8identityIiEEEE10hipError_tT2_T3_mT4_P12ihipStream_tbEUlT_E_NS1_11comp_targetILNS1_3genE5ELNS1_11target_archE942ELNS1_3gpuE9ELNS1_3repE0EEENS1_30default_config_static_selectorELNS0_4arch9wavefront6targetE1EEEvT1_.numbered_sgpr, 0
	.set _ZN7rocprim17ROCPRIM_400000_NS6detail17trampoline_kernelINS0_14default_configENS1_25transform_config_selectorIiLb1EEEZNS1_14transform_implILb1ES3_S5_PiS7_NS0_8identityIiEEEE10hipError_tT2_T3_mT4_P12ihipStream_tbEUlT_E_NS1_11comp_targetILNS1_3genE5ELNS1_11target_archE942ELNS1_3gpuE9ELNS1_3repE0EEENS1_30default_config_static_selectorELNS0_4arch9wavefront6targetE1EEEvT1_.num_named_barrier, 0
	.set _ZN7rocprim17ROCPRIM_400000_NS6detail17trampoline_kernelINS0_14default_configENS1_25transform_config_selectorIiLb1EEEZNS1_14transform_implILb1ES3_S5_PiS7_NS0_8identityIiEEEE10hipError_tT2_T3_mT4_P12ihipStream_tbEUlT_E_NS1_11comp_targetILNS1_3genE5ELNS1_11target_archE942ELNS1_3gpuE9ELNS1_3repE0EEENS1_30default_config_static_selectorELNS0_4arch9wavefront6targetE1EEEvT1_.private_seg_size, 0
	.set _ZN7rocprim17ROCPRIM_400000_NS6detail17trampoline_kernelINS0_14default_configENS1_25transform_config_selectorIiLb1EEEZNS1_14transform_implILb1ES3_S5_PiS7_NS0_8identityIiEEEE10hipError_tT2_T3_mT4_P12ihipStream_tbEUlT_E_NS1_11comp_targetILNS1_3genE5ELNS1_11target_archE942ELNS1_3gpuE9ELNS1_3repE0EEENS1_30default_config_static_selectorELNS0_4arch9wavefront6targetE1EEEvT1_.uses_vcc, 0
	.set _ZN7rocprim17ROCPRIM_400000_NS6detail17trampoline_kernelINS0_14default_configENS1_25transform_config_selectorIiLb1EEEZNS1_14transform_implILb1ES3_S5_PiS7_NS0_8identityIiEEEE10hipError_tT2_T3_mT4_P12ihipStream_tbEUlT_E_NS1_11comp_targetILNS1_3genE5ELNS1_11target_archE942ELNS1_3gpuE9ELNS1_3repE0EEENS1_30default_config_static_selectorELNS0_4arch9wavefront6targetE1EEEvT1_.uses_flat_scratch, 0
	.set _ZN7rocprim17ROCPRIM_400000_NS6detail17trampoline_kernelINS0_14default_configENS1_25transform_config_selectorIiLb1EEEZNS1_14transform_implILb1ES3_S5_PiS7_NS0_8identityIiEEEE10hipError_tT2_T3_mT4_P12ihipStream_tbEUlT_E_NS1_11comp_targetILNS1_3genE5ELNS1_11target_archE942ELNS1_3gpuE9ELNS1_3repE0EEENS1_30default_config_static_selectorELNS0_4arch9wavefront6targetE1EEEvT1_.has_dyn_sized_stack, 0
	.set _ZN7rocprim17ROCPRIM_400000_NS6detail17trampoline_kernelINS0_14default_configENS1_25transform_config_selectorIiLb1EEEZNS1_14transform_implILb1ES3_S5_PiS7_NS0_8identityIiEEEE10hipError_tT2_T3_mT4_P12ihipStream_tbEUlT_E_NS1_11comp_targetILNS1_3genE5ELNS1_11target_archE942ELNS1_3gpuE9ELNS1_3repE0EEENS1_30default_config_static_selectorELNS0_4arch9wavefront6targetE1EEEvT1_.has_recursion, 0
	.set _ZN7rocprim17ROCPRIM_400000_NS6detail17trampoline_kernelINS0_14default_configENS1_25transform_config_selectorIiLb1EEEZNS1_14transform_implILb1ES3_S5_PiS7_NS0_8identityIiEEEE10hipError_tT2_T3_mT4_P12ihipStream_tbEUlT_E_NS1_11comp_targetILNS1_3genE5ELNS1_11target_archE942ELNS1_3gpuE9ELNS1_3repE0EEENS1_30default_config_static_selectorELNS0_4arch9wavefront6targetE1EEEvT1_.has_indirect_call, 0
	.section	.AMDGPU.csdata,"",@progbits
; Kernel info:
; codeLenInByte = 0
; TotalNumSgprs: 4
; NumVgprs: 0
; ScratchSize: 0
; MemoryBound: 0
; FloatMode: 240
; IeeeMode: 1
; LDSByteSize: 0 bytes/workgroup (compile time only)
; SGPRBlocks: 0
; VGPRBlocks: 0
; NumSGPRsForWavesPerEU: 4
; NumVGPRsForWavesPerEU: 1
; Occupancy: 10
; WaveLimiterHint : 0
; COMPUTE_PGM_RSRC2:SCRATCH_EN: 0
; COMPUTE_PGM_RSRC2:USER_SGPR: 6
; COMPUTE_PGM_RSRC2:TRAP_HANDLER: 0
; COMPUTE_PGM_RSRC2:TGID_X_EN: 1
; COMPUTE_PGM_RSRC2:TGID_Y_EN: 0
; COMPUTE_PGM_RSRC2:TGID_Z_EN: 0
; COMPUTE_PGM_RSRC2:TIDIG_COMP_CNT: 0
	.section	.text._ZN7rocprim17ROCPRIM_400000_NS6detail17trampoline_kernelINS0_14default_configENS1_25transform_config_selectorIiLb1EEEZNS1_14transform_implILb1ES3_S5_PiS7_NS0_8identityIiEEEE10hipError_tT2_T3_mT4_P12ihipStream_tbEUlT_E_NS1_11comp_targetILNS1_3genE4ELNS1_11target_archE910ELNS1_3gpuE8ELNS1_3repE0EEENS1_30default_config_static_selectorELNS0_4arch9wavefront6targetE1EEEvT1_,"axG",@progbits,_ZN7rocprim17ROCPRIM_400000_NS6detail17trampoline_kernelINS0_14default_configENS1_25transform_config_selectorIiLb1EEEZNS1_14transform_implILb1ES3_S5_PiS7_NS0_8identityIiEEEE10hipError_tT2_T3_mT4_P12ihipStream_tbEUlT_E_NS1_11comp_targetILNS1_3genE4ELNS1_11target_archE910ELNS1_3gpuE8ELNS1_3repE0EEENS1_30default_config_static_selectorELNS0_4arch9wavefront6targetE1EEEvT1_,comdat
	.protected	_ZN7rocprim17ROCPRIM_400000_NS6detail17trampoline_kernelINS0_14default_configENS1_25transform_config_selectorIiLb1EEEZNS1_14transform_implILb1ES3_S5_PiS7_NS0_8identityIiEEEE10hipError_tT2_T3_mT4_P12ihipStream_tbEUlT_E_NS1_11comp_targetILNS1_3genE4ELNS1_11target_archE910ELNS1_3gpuE8ELNS1_3repE0EEENS1_30default_config_static_selectorELNS0_4arch9wavefront6targetE1EEEvT1_ ; -- Begin function _ZN7rocprim17ROCPRIM_400000_NS6detail17trampoline_kernelINS0_14default_configENS1_25transform_config_selectorIiLb1EEEZNS1_14transform_implILb1ES3_S5_PiS7_NS0_8identityIiEEEE10hipError_tT2_T3_mT4_P12ihipStream_tbEUlT_E_NS1_11comp_targetILNS1_3genE4ELNS1_11target_archE910ELNS1_3gpuE8ELNS1_3repE0EEENS1_30default_config_static_selectorELNS0_4arch9wavefront6targetE1EEEvT1_
	.globl	_ZN7rocprim17ROCPRIM_400000_NS6detail17trampoline_kernelINS0_14default_configENS1_25transform_config_selectorIiLb1EEEZNS1_14transform_implILb1ES3_S5_PiS7_NS0_8identityIiEEEE10hipError_tT2_T3_mT4_P12ihipStream_tbEUlT_E_NS1_11comp_targetILNS1_3genE4ELNS1_11target_archE910ELNS1_3gpuE8ELNS1_3repE0EEENS1_30default_config_static_selectorELNS0_4arch9wavefront6targetE1EEEvT1_
	.p2align	8
	.type	_ZN7rocprim17ROCPRIM_400000_NS6detail17trampoline_kernelINS0_14default_configENS1_25transform_config_selectorIiLb1EEEZNS1_14transform_implILb1ES3_S5_PiS7_NS0_8identityIiEEEE10hipError_tT2_T3_mT4_P12ihipStream_tbEUlT_E_NS1_11comp_targetILNS1_3genE4ELNS1_11target_archE910ELNS1_3gpuE8ELNS1_3repE0EEENS1_30default_config_static_selectorELNS0_4arch9wavefront6targetE1EEEvT1_,@function
_ZN7rocprim17ROCPRIM_400000_NS6detail17trampoline_kernelINS0_14default_configENS1_25transform_config_selectorIiLb1EEEZNS1_14transform_implILb1ES3_S5_PiS7_NS0_8identityIiEEEE10hipError_tT2_T3_mT4_P12ihipStream_tbEUlT_E_NS1_11comp_targetILNS1_3genE4ELNS1_11target_archE910ELNS1_3gpuE8ELNS1_3repE0EEENS1_30default_config_static_selectorELNS0_4arch9wavefront6targetE1EEEvT1_: ; @_ZN7rocprim17ROCPRIM_400000_NS6detail17trampoline_kernelINS0_14default_configENS1_25transform_config_selectorIiLb1EEEZNS1_14transform_implILb1ES3_S5_PiS7_NS0_8identityIiEEEE10hipError_tT2_T3_mT4_P12ihipStream_tbEUlT_E_NS1_11comp_targetILNS1_3genE4ELNS1_11target_archE910ELNS1_3gpuE8ELNS1_3repE0EEENS1_30default_config_static_selectorELNS0_4arch9wavefront6targetE1EEEvT1_
; %bb.0:
	.section	.rodata,"a",@progbits
	.p2align	6, 0x0
	.amdhsa_kernel _ZN7rocprim17ROCPRIM_400000_NS6detail17trampoline_kernelINS0_14default_configENS1_25transform_config_selectorIiLb1EEEZNS1_14transform_implILb1ES3_S5_PiS7_NS0_8identityIiEEEE10hipError_tT2_T3_mT4_P12ihipStream_tbEUlT_E_NS1_11comp_targetILNS1_3genE4ELNS1_11target_archE910ELNS1_3gpuE8ELNS1_3repE0EEENS1_30default_config_static_selectorELNS0_4arch9wavefront6targetE1EEEvT1_
		.amdhsa_group_segment_fixed_size 0
		.amdhsa_private_segment_fixed_size 0
		.amdhsa_kernarg_size 40
		.amdhsa_user_sgpr_count 6
		.amdhsa_user_sgpr_private_segment_buffer 1
		.amdhsa_user_sgpr_dispatch_ptr 0
		.amdhsa_user_sgpr_queue_ptr 0
		.amdhsa_user_sgpr_kernarg_segment_ptr 1
		.amdhsa_user_sgpr_dispatch_id 0
		.amdhsa_user_sgpr_flat_scratch_init 0
		.amdhsa_user_sgpr_private_segment_size 0
		.amdhsa_uses_dynamic_stack 0
		.amdhsa_system_sgpr_private_segment_wavefront_offset 0
		.amdhsa_system_sgpr_workgroup_id_x 1
		.amdhsa_system_sgpr_workgroup_id_y 0
		.amdhsa_system_sgpr_workgroup_id_z 0
		.amdhsa_system_sgpr_workgroup_info 0
		.amdhsa_system_vgpr_workitem_id 0
		.amdhsa_next_free_vgpr 1
		.amdhsa_next_free_sgpr 0
		.amdhsa_reserve_vcc 0
		.amdhsa_reserve_flat_scratch 0
		.amdhsa_float_round_mode_32 0
		.amdhsa_float_round_mode_16_64 0
		.amdhsa_float_denorm_mode_32 3
		.amdhsa_float_denorm_mode_16_64 3
		.amdhsa_dx10_clamp 1
		.amdhsa_ieee_mode 1
		.amdhsa_fp16_overflow 0
		.amdhsa_exception_fp_ieee_invalid_op 0
		.amdhsa_exception_fp_denorm_src 0
		.amdhsa_exception_fp_ieee_div_zero 0
		.amdhsa_exception_fp_ieee_overflow 0
		.amdhsa_exception_fp_ieee_underflow 0
		.amdhsa_exception_fp_ieee_inexact 0
		.amdhsa_exception_int_div_zero 0
	.end_amdhsa_kernel
	.section	.text._ZN7rocprim17ROCPRIM_400000_NS6detail17trampoline_kernelINS0_14default_configENS1_25transform_config_selectorIiLb1EEEZNS1_14transform_implILb1ES3_S5_PiS7_NS0_8identityIiEEEE10hipError_tT2_T3_mT4_P12ihipStream_tbEUlT_E_NS1_11comp_targetILNS1_3genE4ELNS1_11target_archE910ELNS1_3gpuE8ELNS1_3repE0EEENS1_30default_config_static_selectorELNS0_4arch9wavefront6targetE1EEEvT1_,"axG",@progbits,_ZN7rocprim17ROCPRIM_400000_NS6detail17trampoline_kernelINS0_14default_configENS1_25transform_config_selectorIiLb1EEEZNS1_14transform_implILb1ES3_S5_PiS7_NS0_8identityIiEEEE10hipError_tT2_T3_mT4_P12ihipStream_tbEUlT_E_NS1_11comp_targetILNS1_3genE4ELNS1_11target_archE910ELNS1_3gpuE8ELNS1_3repE0EEENS1_30default_config_static_selectorELNS0_4arch9wavefront6targetE1EEEvT1_,comdat
.Lfunc_end795:
	.size	_ZN7rocprim17ROCPRIM_400000_NS6detail17trampoline_kernelINS0_14default_configENS1_25transform_config_selectorIiLb1EEEZNS1_14transform_implILb1ES3_S5_PiS7_NS0_8identityIiEEEE10hipError_tT2_T3_mT4_P12ihipStream_tbEUlT_E_NS1_11comp_targetILNS1_3genE4ELNS1_11target_archE910ELNS1_3gpuE8ELNS1_3repE0EEENS1_30default_config_static_selectorELNS0_4arch9wavefront6targetE1EEEvT1_, .Lfunc_end795-_ZN7rocprim17ROCPRIM_400000_NS6detail17trampoline_kernelINS0_14default_configENS1_25transform_config_selectorIiLb1EEEZNS1_14transform_implILb1ES3_S5_PiS7_NS0_8identityIiEEEE10hipError_tT2_T3_mT4_P12ihipStream_tbEUlT_E_NS1_11comp_targetILNS1_3genE4ELNS1_11target_archE910ELNS1_3gpuE8ELNS1_3repE0EEENS1_30default_config_static_selectorELNS0_4arch9wavefront6targetE1EEEvT1_
                                        ; -- End function
	.set _ZN7rocprim17ROCPRIM_400000_NS6detail17trampoline_kernelINS0_14default_configENS1_25transform_config_selectorIiLb1EEEZNS1_14transform_implILb1ES3_S5_PiS7_NS0_8identityIiEEEE10hipError_tT2_T3_mT4_P12ihipStream_tbEUlT_E_NS1_11comp_targetILNS1_3genE4ELNS1_11target_archE910ELNS1_3gpuE8ELNS1_3repE0EEENS1_30default_config_static_selectorELNS0_4arch9wavefront6targetE1EEEvT1_.num_vgpr, 0
	.set _ZN7rocprim17ROCPRIM_400000_NS6detail17trampoline_kernelINS0_14default_configENS1_25transform_config_selectorIiLb1EEEZNS1_14transform_implILb1ES3_S5_PiS7_NS0_8identityIiEEEE10hipError_tT2_T3_mT4_P12ihipStream_tbEUlT_E_NS1_11comp_targetILNS1_3genE4ELNS1_11target_archE910ELNS1_3gpuE8ELNS1_3repE0EEENS1_30default_config_static_selectorELNS0_4arch9wavefront6targetE1EEEvT1_.num_agpr, 0
	.set _ZN7rocprim17ROCPRIM_400000_NS6detail17trampoline_kernelINS0_14default_configENS1_25transform_config_selectorIiLb1EEEZNS1_14transform_implILb1ES3_S5_PiS7_NS0_8identityIiEEEE10hipError_tT2_T3_mT4_P12ihipStream_tbEUlT_E_NS1_11comp_targetILNS1_3genE4ELNS1_11target_archE910ELNS1_3gpuE8ELNS1_3repE0EEENS1_30default_config_static_selectorELNS0_4arch9wavefront6targetE1EEEvT1_.numbered_sgpr, 0
	.set _ZN7rocprim17ROCPRIM_400000_NS6detail17trampoline_kernelINS0_14default_configENS1_25transform_config_selectorIiLb1EEEZNS1_14transform_implILb1ES3_S5_PiS7_NS0_8identityIiEEEE10hipError_tT2_T3_mT4_P12ihipStream_tbEUlT_E_NS1_11comp_targetILNS1_3genE4ELNS1_11target_archE910ELNS1_3gpuE8ELNS1_3repE0EEENS1_30default_config_static_selectorELNS0_4arch9wavefront6targetE1EEEvT1_.num_named_barrier, 0
	.set _ZN7rocprim17ROCPRIM_400000_NS6detail17trampoline_kernelINS0_14default_configENS1_25transform_config_selectorIiLb1EEEZNS1_14transform_implILb1ES3_S5_PiS7_NS0_8identityIiEEEE10hipError_tT2_T3_mT4_P12ihipStream_tbEUlT_E_NS1_11comp_targetILNS1_3genE4ELNS1_11target_archE910ELNS1_3gpuE8ELNS1_3repE0EEENS1_30default_config_static_selectorELNS0_4arch9wavefront6targetE1EEEvT1_.private_seg_size, 0
	.set _ZN7rocprim17ROCPRIM_400000_NS6detail17trampoline_kernelINS0_14default_configENS1_25transform_config_selectorIiLb1EEEZNS1_14transform_implILb1ES3_S5_PiS7_NS0_8identityIiEEEE10hipError_tT2_T3_mT4_P12ihipStream_tbEUlT_E_NS1_11comp_targetILNS1_3genE4ELNS1_11target_archE910ELNS1_3gpuE8ELNS1_3repE0EEENS1_30default_config_static_selectorELNS0_4arch9wavefront6targetE1EEEvT1_.uses_vcc, 0
	.set _ZN7rocprim17ROCPRIM_400000_NS6detail17trampoline_kernelINS0_14default_configENS1_25transform_config_selectorIiLb1EEEZNS1_14transform_implILb1ES3_S5_PiS7_NS0_8identityIiEEEE10hipError_tT2_T3_mT4_P12ihipStream_tbEUlT_E_NS1_11comp_targetILNS1_3genE4ELNS1_11target_archE910ELNS1_3gpuE8ELNS1_3repE0EEENS1_30default_config_static_selectorELNS0_4arch9wavefront6targetE1EEEvT1_.uses_flat_scratch, 0
	.set _ZN7rocprim17ROCPRIM_400000_NS6detail17trampoline_kernelINS0_14default_configENS1_25transform_config_selectorIiLb1EEEZNS1_14transform_implILb1ES3_S5_PiS7_NS0_8identityIiEEEE10hipError_tT2_T3_mT4_P12ihipStream_tbEUlT_E_NS1_11comp_targetILNS1_3genE4ELNS1_11target_archE910ELNS1_3gpuE8ELNS1_3repE0EEENS1_30default_config_static_selectorELNS0_4arch9wavefront6targetE1EEEvT1_.has_dyn_sized_stack, 0
	.set _ZN7rocprim17ROCPRIM_400000_NS6detail17trampoline_kernelINS0_14default_configENS1_25transform_config_selectorIiLb1EEEZNS1_14transform_implILb1ES3_S5_PiS7_NS0_8identityIiEEEE10hipError_tT2_T3_mT4_P12ihipStream_tbEUlT_E_NS1_11comp_targetILNS1_3genE4ELNS1_11target_archE910ELNS1_3gpuE8ELNS1_3repE0EEENS1_30default_config_static_selectorELNS0_4arch9wavefront6targetE1EEEvT1_.has_recursion, 0
	.set _ZN7rocprim17ROCPRIM_400000_NS6detail17trampoline_kernelINS0_14default_configENS1_25transform_config_selectorIiLb1EEEZNS1_14transform_implILb1ES3_S5_PiS7_NS0_8identityIiEEEE10hipError_tT2_T3_mT4_P12ihipStream_tbEUlT_E_NS1_11comp_targetILNS1_3genE4ELNS1_11target_archE910ELNS1_3gpuE8ELNS1_3repE0EEENS1_30default_config_static_selectorELNS0_4arch9wavefront6targetE1EEEvT1_.has_indirect_call, 0
	.section	.AMDGPU.csdata,"",@progbits
; Kernel info:
; codeLenInByte = 0
; TotalNumSgprs: 4
; NumVgprs: 0
; ScratchSize: 0
; MemoryBound: 0
; FloatMode: 240
; IeeeMode: 1
; LDSByteSize: 0 bytes/workgroup (compile time only)
; SGPRBlocks: 0
; VGPRBlocks: 0
; NumSGPRsForWavesPerEU: 4
; NumVGPRsForWavesPerEU: 1
; Occupancy: 10
; WaveLimiterHint : 0
; COMPUTE_PGM_RSRC2:SCRATCH_EN: 0
; COMPUTE_PGM_RSRC2:USER_SGPR: 6
; COMPUTE_PGM_RSRC2:TRAP_HANDLER: 0
; COMPUTE_PGM_RSRC2:TGID_X_EN: 1
; COMPUTE_PGM_RSRC2:TGID_Y_EN: 0
; COMPUTE_PGM_RSRC2:TGID_Z_EN: 0
; COMPUTE_PGM_RSRC2:TIDIG_COMP_CNT: 0
	.section	.text._ZN7rocprim17ROCPRIM_400000_NS6detail17trampoline_kernelINS0_14default_configENS1_25transform_config_selectorIiLb1EEEZNS1_14transform_implILb1ES3_S5_PiS7_NS0_8identityIiEEEE10hipError_tT2_T3_mT4_P12ihipStream_tbEUlT_E_NS1_11comp_targetILNS1_3genE3ELNS1_11target_archE908ELNS1_3gpuE7ELNS1_3repE0EEENS1_30default_config_static_selectorELNS0_4arch9wavefront6targetE1EEEvT1_,"axG",@progbits,_ZN7rocprim17ROCPRIM_400000_NS6detail17trampoline_kernelINS0_14default_configENS1_25transform_config_selectorIiLb1EEEZNS1_14transform_implILb1ES3_S5_PiS7_NS0_8identityIiEEEE10hipError_tT2_T3_mT4_P12ihipStream_tbEUlT_E_NS1_11comp_targetILNS1_3genE3ELNS1_11target_archE908ELNS1_3gpuE7ELNS1_3repE0EEENS1_30default_config_static_selectorELNS0_4arch9wavefront6targetE1EEEvT1_,comdat
	.protected	_ZN7rocprim17ROCPRIM_400000_NS6detail17trampoline_kernelINS0_14default_configENS1_25transform_config_selectorIiLb1EEEZNS1_14transform_implILb1ES3_S5_PiS7_NS0_8identityIiEEEE10hipError_tT2_T3_mT4_P12ihipStream_tbEUlT_E_NS1_11comp_targetILNS1_3genE3ELNS1_11target_archE908ELNS1_3gpuE7ELNS1_3repE0EEENS1_30default_config_static_selectorELNS0_4arch9wavefront6targetE1EEEvT1_ ; -- Begin function _ZN7rocprim17ROCPRIM_400000_NS6detail17trampoline_kernelINS0_14default_configENS1_25transform_config_selectorIiLb1EEEZNS1_14transform_implILb1ES3_S5_PiS7_NS0_8identityIiEEEE10hipError_tT2_T3_mT4_P12ihipStream_tbEUlT_E_NS1_11comp_targetILNS1_3genE3ELNS1_11target_archE908ELNS1_3gpuE7ELNS1_3repE0EEENS1_30default_config_static_selectorELNS0_4arch9wavefront6targetE1EEEvT1_
	.globl	_ZN7rocprim17ROCPRIM_400000_NS6detail17trampoline_kernelINS0_14default_configENS1_25transform_config_selectorIiLb1EEEZNS1_14transform_implILb1ES3_S5_PiS7_NS0_8identityIiEEEE10hipError_tT2_T3_mT4_P12ihipStream_tbEUlT_E_NS1_11comp_targetILNS1_3genE3ELNS1_11target_archE908ELNS1_3gpuE7ELNS1_3repE0EEENS1_30default_config_static_selectorELNS0_4arch9wavefront6targetE1EEEvT1_
	.p2align	8
	.type	_ZN7rocprim17ROCPRIM_400000_NS6detail17trampoline_kernelINS0_14default_configENS1_25transform_config_selectorIiLb1EEEZNS1_14transform_implILb1ES3_S5_PiS7_NS0_8identityIiEEEE10hipError_tT2_T3_mT4_P12ihipStream_tbEUlT_E_NS1_11comp_targetILNS1_3genE3ELNS1_11target_archE908ELNS1_3gpuE7ELNS1_3repE0EEENS1_30default_config_static_selectorELNS0_4arch9wavefront6targetE1EEEvT1_,@function
_ZN7rocprim17ROCPRIM_400000_NS6detail17trampoline_kernelINS0_14default_configENS1_25transform_config_selectorIiLb1EEEZNS1_14transform_implILb1ES3_S5_PiS7_NS0_8identityIiEEEE10hipError_tT2_T3_mT4_P12ihipStream_tbEUlT_E_NS1_11comp_targetILNS1_3genE3ELNS1_11target_archE908ELNS1_3gpuE7ELNS1_3repE0EEENS1_30default_config_static_selectorELNS0_4arch9wavefront6targetE1EEEvT1_: ; @_ZN7rocprim17ROCPRIM_400000_NS6detail17trampoline_kernelINS0_14default_configENS1_25transform_config_selectorIiLb1EEEZNS1_14transform_implILb1ES3_S5_PiS7_NS0_8identityIiEEEE10hipError_tT2_T3_mT4_P12ihipStream_tbEUlT_E_NS1_11comp_targetILNS1_3genE3ELNS1_11target_archE908ELNS1_3gpuE7ELNS1_3repE0EEENS1_30default_config_static_selectorELNS0_4arch9wavefront6targetE1EEEvT1_
; %bb.0:
	.section	.rodata,"a",@progbits
	.p2align	6, 0x0
	.amdhsa_kernel _ZN7rocprim17ROCPRIM_400000_NS6detail17trampoline_kernelINS0_14default_configENS1_25transform_config_selectorIiLb1EEEZNS1_14transform_implILb1ES3_S5_PiS7_NS0_8identityIiEEEE10hipError_tT2_T3_mT4_P12ihipStream_tbEUlT_E_NS1_11comp_targetILNS1_3genE3ELNS1_11target_archE908ELNS1_3gpuE7ELNS1_3repE0EEENS1_30default_config_static_selectorELNS0_4arch9wavefront6targetE1EEEvT1_
		.amdhsa_group_segment_fixed_size 0
		.amdhsa_private_segment_fixed_size 0
		.amdhsa_kernarg_size 40
		.amdhsa_user_sgpr_count 6
		.amdhsa_user_sgpr_private_segment_buffer 1
		.amdhsa_user_sgpr_dispatch_ptr 0
		.amdhsa_user_sgpr_queue_ptr 0
		.amdhsa_user_sgpr_kernarg_segment_ptr 1
		.amdhsa_user_sgpr_dispatch_id 0
		.amdhsa_user_sgpr_flat_scratch_init 0
		.amdhsa_user_sgpr_private_segment_size 0
		.amdhsa_uses_dynamic_stack 0
		.amdhsa_system_sgpr_private_segment_wavefront_offset 0
		.amdhsa_system_sgpr_workgroup_id_x 1
		.amdhsa_system_sgpr_workgroup_id_y 0
		.amdhsa_system_sgpr_workgroup_id_z 0
		.amdhsa_system_sgpr_workgroup_info 0
		.amdhsa_system_vgpr_workitem_id 0
		.amdhsa_next_free_vgpr 1
		.amdhsa_next_free_sgpr 0
		.amdhsa_reserve_vcc 0
		.amdhsa_reserve_flat_scratch 0
		.amdhsa_float_round_mode_32 0
		.amdhsa_float_round_mode_16_64 0
		.amdhsa_float_denorm_mode_32 3
		.amdhsa_float_denorm_mode_16_64 3
		.amdhsa_dx10_clamp 1
		.amdhsa_ieee_mode 1
		.amdhsa_fp16_overflow 0
		.amdhsa_exception_fp_ieee_invalid_op 0
		.amdhsa_exception_fp_denorm_src 0
		.amdhsa_exception_fp_ieee_div_zero 0
		.amdhsa_exception_fp_ieee_overflow 0
		.amdhsa_exception_fp_ieee_underflow 0
		.amdhsa_exception_fp_ieee_inexact 0
		.amdhsa_exception_int_div_zero 0
	.end_amdhsa_kernel
	.section	.text._ZN7rocprim17ROCPRIM_400000_NS6detail17trampoline_kernelINS0_14default_configENS1_25transform_config_selectorIiLb1EEEZNS1_14transform_implILb1ES3_S5_PiS7_NS0_8identityIiEEEE10hipError_tT2_T3_mT4_P12ihipStream_tbEUlT_E_NS1_11comp_targetILNS1_3genE3ELNS1_11target_archE908ELNS1_3gpuE7ELNS1_3repE0EEENS1_30default_config_static_selectorELNS0_4arch9wavefront6targetE1EEEvT1_,"axG",@progbits,_ZN7rocprim17ROCPRIM_400000_NS6detail17trampoline_kernelINS0_14default_configENS1_25transform_config_selectorIiLb1EEEZNS1_14transform_implILb1ES3_S5_PiS7_NS0_8identityIiEEEE10hipError_tT2_T3_mT4_P12ihipStream_tbEUlT_E_NS1_11comp_targetILNS1_3genE3ELNS1_11target_archE908ELNS1_3gpuE7ELNS1_3repE0EEENS1_30default_config_static_selectorELNS0_4arch9wavefront6targetE1EEEvT1_,comdat
.Lfunc_end796:
	.size	_ZN7rocprim17ROCPRIM_400000_NS6detail17trampoline_kernelINS0_14default_configENS1_25transform_config_selectorIiLb1EEEZNS1_14transform_implILb1ES3_S5_PiS7_NS0_8identityIiEEEE10hipError_tT2_T3_mT4_P12ihipStream_tbEUlT_E_NS1_11comp_targetILNS1_3genE3ELNS1_11target_archE908ELNS1_3gpuE7ELNS1_3repE0EEENS1_30default_config_static_selectorELNS0_4arch9wavefront6targetE1EEEvT1_, .Lfunc_end796-_ZN7rocprim17ROCPRIM_400000_NS6detail17trampoline_kernelINS0_14default_configENS1_25transform_config_selectorIiLb1EEEZNS1_14transform_implILb1ES3_S5_PiS7_NS0_8identityIiEEEE10hipError_tT2_T3_mT4_P12ihipStream_tbEUlT_E_NS1_11comp_targetILNS1_3genE3ELNS1_11target_archE908ELNS1_3gpuE7ELNS1_3repE0EEENS1_30default_config_static_selectorELNS0_4arch9wavefront6targetE1EEEvT1_
                                        ; -- End function
	.set _ZN7rocprim17ROCPRIM_400000_NS6detail17trampoline_kernelINS0_14default_configENS1_25transform_config_selectorIiLb1EEEZNS1_14transform_implILb1ES3_S5_PiS7_NS0_8identityIiEEEE10hipError_tT2_T3_mT4_P12ihipStream_tbEUlT_E_NS1_11comp_targetILNS1_3genE3ELNS1_11target_archE908ELNS1_3gpuE7ELNS1_3repE0EEENS1_30default_config_static_selectorELNS0_4arch9wavefront6targetE1EEEvT1_.num_vgpr, 0
	.set _ZN7rocprim17ROCPRIM_400000_NS6detail17trampoline_kernelINS0_14default_configENS1_25transform_config_selectorIiLb1EEEZNS1_14transform_implILb1ES3_S5_PiS7_NS0_8identityIiEEEE10hipError_tT2_T3_mT4_P12ihipStream_tbEUlT_E_NS1_11comp_targetILNS1_3genE3ELNS1_11target_archE908ELNS1_3gpuE7ELNS1_3repE0EEENS1_30default_config_static_selectorELNS0_4arch9wavefront6targetE1EEEvT1_.num_agpr, 0
	.set _ZN7rocprim17ROCPRIM_400000_NS6detail17trampoline_kernelINS0_14default_configENS1_25transform_config_selectorIiLb1EEEZNS1_14transform_implILb1ES3_S5_PiS7_NS0_8identityIiEEEE10hipError_tT2_T3_mT4_P12ihipStream_tbEUlT_E_NS1_11comp_targetILNS1_3genE3ELNS1_11target_archE908ELNS1_3gpuE7ELNS1_3repE0EEENS1_30default_config_static_selectorELNS0_4arch9wavefront6targetE1EEEvT1_.numbered_sgpr, 0
	.set _ZN7rocprim17ROCPRIM_400000_NS6detail17trampoline_kernelINS0_14default_configENS1_25transform_config_selectorIiLb1EEEZNS1_14transform_implILb1ES3_S5_PiS7_NS0_8identityIiEEEE10hipError_tT2_T3_mT4_P12ihipStream_tbEUlT_E_NS1_11comp_targetILNS1_3genE3ELNS1_11target_archE908ELNS1_3gpuE7ELNS1_3repE0EEENS1_30default_config_static_selectorELNS0_4arch9wavefront6targetE1EEEvT1_.num_named_barrier, 0
	.set _ZN7rocprim17ROCPRIM_400000_NS6detail17trampoline_kernelINS0_14default_configENS1_25transform_config_selectorIiLb1EEEZNS1_14transform_implILb1ES3_S5_PiS7_NS0_8identityIiEEEE10hipError_tT2_T3_mT4_P12ihipStream_tbEUlT_E_NS1_11comp_targetILNS1_3genE3ELNS1_11target_archE908ELNS1_3gpuE7ELNS1_3repE0EEENS1_30default_config_static_selectorELNS0_4arch9wavefront6targetE1EEEvT1_.private_seg_size, 0
	.set _ZN7rocprim17ROCPRIM_400000_NS6detail17trampoline_kernelINS0_14default_configENS1_25transform_config_selectorIiLb1EEEZNS1_14transform_implILb1ES3_S5_PiS7_NS0_8identityIiEEEE10hipError_tT2_T3_mT4_P12ihipStream_tbEUlT_E_NS1_11comp_targetILNS1_3genE3ELNS1_11target_archE908ELNS1_3gpuE7ELNS1_3repE0EEENS1_30default_config_static_selectorELNS0_4arch9wavefront6targetE1EEEvT1_.uses_vcc, 0
	.set _ZN7rocprim17ROCPRIM_400000_NS6detail17trampoline_kernelINS0_14default_configENS1_25transform_config_selectorIiLb1EEEZNS1_14transform_implILb1ES3_S5_PiS7_NS0_8identityIiEEEE10hipError_tT2_T3_mT4_P12ihipStream_tbEUlT_E_NS1_11comp_targetILNS1_3genE3ELNS1_11target_archE908ELNS1_3gpuE7ELNS1_3repE0EEENS1_30default_config_static_selectorELNS0_4arch9wavefront6targetE1EEEvT1_.uses_flat_scratch, 0
	.set _ZN7rocprim17ROCPRIM_400000_NS6detail17trampoline_kernelINS0_14default_configENS1_25transform_config_selectorIiLb1EEEZNS1_14transform_implILb1ES3_S5_PiS7_NS0_8identityIiEEEE10hipError_tT2_T3_mT4_P12ihipStream_tbEUlT_E_NS1_11comp_targetILNS1_3genE3ELNS1_11target_archE908ELNS1_3gpuE7ELNS1_3repE0EEENS1_30default_config_static_selectorELNS0_4arch9wavefront6targetE1EEEvT1_.has_dyn_sized_stack, 0
	.set _ZN7rocprim17ROCPRIM_400000_NS6detail17trampoline_kernelINS0_14default_configENS1_25transform_config_selectorIiLb1EEEZNS1_14transform_implILb1ES3_S5_PiS7_NS0_8identityIiEEEE10hipError_tT2_T3_mT4_P12ihipStream_tbEUlT_E_NS1_11comp_targetILNS1_3genE3ELNS1_11target_archE908ELNS1_3gpuE7ELNS1_3repE0EEENS1_30default_config_static_selectorELNS0_4arch9wavefront6targetE1EEEvT1_.has_recursion, 0
	.set _ZN7rocprim17ROCPRIM_400000_NS6detail17trampoline_kernelINS0_14default_configENS1_25transform_config_selectorIiLb1EEEZNS1_14transform_implILb1ES3_S5_PiS7_NS0_8identityIiEEEE10hipError_tT2_T3_mT4_P12ihipStream_tbEUlT_E_NS1_11comp_targetILNS1_3genE3ELNS1_11target_archE908ELNS1_3gpuE7ELNS1_3repE0EEENS1_30default_config_static_selectorELNS0_4arch9wavefront6targetE1EEEvT1_.has_indirect_call, 0
	.section	.AMDGPU.csdata,"",@progbits
; Kernel info:
; codeLenInByte = 0
; TotalNumSgprs: 4
; NumVgprs: 0
; ScratchSize: 0
; MemoryBound: 0
; FloatMode: 240
; IeeeMode: 1
; LDSByteSize: 0 bytes/workgroup (compile time only)
; SGPRBlocks: 0
; VGPRBlocks: 0
; NumSGPRsForWavesPerEU: 4
; NumVGPRsForWavesPerEU: 1
; Occupancy: 10
; WaveLimiterHint : 0
; COMPUTE_PGM_RSRC2:SCRATCH_EN: 0
; COMPUTE_PGM_RSRC2:USER_SGPR: 6
; COMPUTE_PGM_RSRC2:TRAP_HANDLER: 0
; COMPUTE_PGM_RSRC2:TGID_X_EN: 1
; COMPUTE_PGM_RSRC2:TGID_Y_EN: 0
; COMPUTE_PGM_RSRC2:TGID_Z_EN: 0
; COMPUTE_PGM_RSRC2:TIDIG_COMP_CNT: 0
	.section	.text._ZN7rocprim17ROCPRIM_400000_NS6detail17trampoline_kernelINS0_14default_configENS1_25transform_config_selectorIiLb1EEEZNS1_14transform_implILb1ES3_S5_PiS7_NS0_8identityIiEEEE10hipError_tT2_T3_mT4_P12ihipStream_tbEUlT_E_NS1_11comp_targetILNS1_3genE2ELNS1_11target_archE906ELNS1_3gpuE6ELNS1_3repE0EEENS1_30default_config_static_selectorELNS0_4arch9wavefront6targetE1EEEvT1_,"axG",@progbits,_ZN7rocprim17ROCPRIM_400000_NS6detail17trampoline_kernelINS0_14default_configENS1_25transform_config_selectorIiLb1EEEZNS1_14transform_implILb1ES3_S5_PiS7_NS0_8identityIiEEEE10hipError_tT2_T3_mT4_P12ihipStream_tbEUlT_E_NS1_11comp_targetILNS1_3genE2ELNS1_11target_archE906ELNS1_3gpuE6ELNS1_3repE0EEENS1_30default_config_static_selectorELNS0_4arch9wavefront6targetE1EEEvT1_,comdat
	.protected	_ZN7rocprim17ROCPRIM_400000_NS6detail17trampoline_kernelINS0_14default_configENS1_25transform_config_selectorIiLb1EEEZNS1_14transform_implILb1ES3_S5_PiS7_NS0_8identityIiEEEE10hipError_tT2_T3_mT4_P12ihipStream_tbEUlT_E_NS1_11comp_targetILNS1_3genE2ELNS1_11target_archE906ELNS1_3gpuE6ELNS1_3repE0EEENS1_30default_config_static_selectorELNS0_4arch9wavefront6targetE1EEEvT1_ ; -- Begin function _ZN7rocprim17ROCPRIM_400000_NS6detail17trampoline_kernelINS0_14default_configENS1_25transform_config_selectorIiLb1EEEZNS1_14transform_implILb1ES3_S5_PiS7_NS0_8identityIiEEEE10hipError_tT2_T3_mT4_P12ihipStream_tbEUlT_E_NS1_11comp_targetILNS1_3genE2ELNS1_11target_archE906ELNS1_3gpuE6ELNS1_3repE0EEENS1_30default_config_static_selectorELNS0_4arch9wavefront6targetE1EEEvT1_
	.globl	_ZN7rocprim17ROCPRIM_400000_NS6detail17trampoline_kernelINS0_14default_configENS1_25transform_config_selectorIiLb1EEEZNS1_14transform_implILb1ES3_S5_PiS7_NS0_8identityIiEEEE10hipError_tT2_T3_mT4_P12ihipStream_tbEUlT_E_NS1_11comp_targetILNS1_3genE2ELNS1_11target_archE906ELNS1_3gpuE6ELNS1_3repE0EEENS1_30default_config_static_selectorELNS0_4arch9wavefront6targetE1EEEvT1_
	.p2align	8
	.type	_ZN7rocprim17ROCPRIM_400000_NS6detail17trampoline_kernelINS0_14default_configENS1_25transform_config_selectorIiLb1EEEZNS1_14transform_implILb1ES3_S5_PiS7_NS0_8identityIiEEEE10hipError_tT2_T3_mT4_P12ihipStream_tbEUlT_E_NS1_11comp_targetILNS1_3genE2ELNS1_11target_archE906ELNS1_3gpuE6ELNS1_3repE0EEENS1_30default_config_static_selectorELNS0_4arch9wavefront6targetE1EEEvT1_,@function
_ZN7rocprim17ROCPRIM_400000_NS6detail17trampoline_kernelINS0_14default_configENS1_25transform_config_selectorIiLb1EEEZNS1_14transform_implILb1ES3_S5_PiS7_NS0_8identityIiEEEE10hipError_tT2_T3_mT4_P12ihipStream_tbEUlT_E_NS1_11comp_targetILNS1_3genE2ELNS1_11target_archE906ELNS1_3gpuE6ELNS1_3repE0EEENS1_30default_config_static_selectorELNS0_4arch9wavefront6targetE1EEEvT1_: ; @_ZN7rocprim17ROCPRIM_400000_NS6detail17trampoline_kernelINS0_14default_configENS1_25transform_config_selectorIiLb1EEEZNS1_14transform_implILb1ES3_S5_PiS7_NS0_8identityIiEEEE10hipError_tT2_T3_mT4_P12ihipStream_tbEUlT_E_NS1_11comp_targetILNS1_3genE2ELNS1_11target_archE906ELNS1_3gpuE6ELNS1_3repE0EEENS1_30default_config_static_selectorELNS0_4arch9wavefront6targetE1EEEvT1_
; %bb.0:
	s_load_dwordx8 s[8:15], s[4:5], 0x0
	s_load_dword s2, s[4:5], 0x28
	s_waitcnt lgkmcnt(0)
	s_lshl_b64 s[0:1], s[10:11], 2
	s_add_u32 s3, s8, s0
	s_addc_u32 s4, s9, s1
	s_add_u32 s13, s14, s0
	s_addc_u32 s14, s15, s1
	s_lshl_b32 s0, s6, 12
	s_mov_b32 s1, 0
	s_add_i32 s2, s2, -1
	s_lshl_b64 s[8:9], s[0:1], 2
	s_add_u32 s10, s3, s8
	s_addc_u32 s11, s4, s9
	s_cmp_lg_u32 s6, s2
	s_mov_b64 s[2:3], -1
	s_cbranch_scc0 .LBB797_2
; %bb.1:
	v_lshlrev_b32_e32 v5, 4, v0
	global_load_dwordx4 v[1:4], v5, s[10:11]
	s_add_u32 s2, s13, s8
	s_addc_u32 s3, s14, s9
	s_waitcnt vmcnt(0)
	global_store_dwordx4 v5, v[1:4], s[2:3]
	s_mov_b64 s[2:3], 0
.LBB797_2:
	s_andn2_b64 vcc, exec, s[2:3]
	s_cbranch_vccnz .LBB797_16
; %bb.3:
	s_sub_i32 s6, s12, s0
	v_mov_b32_e32 v1, 0
	v_cmp_gt_u32_e32 vcc, s6, v0
	v_mov_b32_e32 v2, v1
	v_mov_b32_e32 v3, v1
	;; [unrolled: 1-line block ×3, first 2 shown]
	v_lshlrev_b32_e32 v5, 2, v0
	s_and_saveexec_b64 s[0:1], vcc
	s_cbranch_execz .LBB797_5
; %bb.4:
	global_load_dword v6, v5, s[10:11]
	v_mov_b32_e32 v7, v1
	v_mov_b32_e32 v8, v1
	;; [unrolled: 1-line block ×3, first 2 shown]
	s_waitcnt vmcnt(0)
	v_mov_b32_e32 v1, v6
	v_mov_b32_e32 v2, v7
	v_mov_b32_e32 v3, v8
	v_mov_b32_e32 v4, v9
.LBB797_5:
	s_or_b64 exec, exec, s[0:1]
	v_or_b32_e32 v6, 0x400, v0
	v_cmp_gt_u32_e64 s[4:5], s6, v6
	s_and_saveexec_b64 s[0:1], s[4:5]
	s_cbranch_execz .LBB797_7
; %bb.6:
	v_lshlrev_b32_e32 v2, 2, v6
	global_load_dword v2, v2, s[10:11]
.LBB797_7:
	s_or_b64 exec, exec, s[0:1]
	v_or_b32_e32 v6, 0x800, v0
	v_cmp_gt_u32_e64 s[0:1], s6, v6
	s_and_saveexec_b64 s[2:3], s[0:1]
	s_cbranch_execz .LBB797_9
; %bb.8:
	v_lshlrev_b32_e32 v3, 2, v6
	global_load_dword v3, v3, s[10:11]
.LBB797_9:
	;; [unrolled: 9-line block ×3, first 2 shown]
	s_or_b64 exec, exec, s[6:7]
	s_add_u32 s6, s13, s8
	s_addc_u32 s7, s14, s9
	v_cndmask_b32_e32 v6, 0, v1, vcc
	v_mov_b32_e32 v1, s7
	v_add_co_u32_e64 v0, s[6:7], s6, v5
	v_addc_co_u32_e64 v1, s[6:7], 0, v1, s[6:7]
	s_and_saveexec_b64 s[6:7], vcc
	s_cbranch_execnz .LBB797_17
; %bb.12:
	s_or_b64 exec, exec, s[6:7]
	s_waitcnt vmcnt(0)
	v_cndmask_b32_e64 v2, 0, v2, s[4:5]
	s_and_saveexec_b64 s[6:7], s[4:5]
	s_cbranch_execnz .LBB797_18
.LBB797_13:
	s_or_b64 exec, exec, s[6:7]
	s_and_saveexec_b64 s[4:5], s[0:1]
	s_cbranch_execnz .LBB797_19
.LBB797_14:
	s_or_b64 exec, exec, s[4:5]
	s_and_saveexec_b64 s[0:1], s[2:3]
	s_cbranch_execz .LBB797_16
.LBB797_15:
	v_add_co_u32_e32 v0, vcc, 0x3000, v0
	v_cndmask_b32_e64 v2, 0, v4, s[2:3]
	v_addc_co_u32_e32 v1, vcc, 0, v1, vcc
	global_store_dword v[0:1], v2, off
.LBB797_16:
	s_endpgm
.LBB797_17:
	global_store_dword v[0:1], v6, off
	s_or_b64 exec, exec, s[6:7]
	s_waitcnt vmcnt(1)
	v_cndmask_b32_e64 v2, 0, v2, s[4:5]
	s_and_saveexec_b64 s[6:7], s[4:5]
	s_cbranch_execz .LBB797_13
.LBB797_18:
	v_add_co_u32_e32 v5, vcc, 0x1000, v0
	v_addc_co_u32_e32 v6, vcc, 0, v1, vcc
	global_store_dword v[5:6], v2, off
	s_or_b64 exec, exec, s[6:7]
	s_and_saveexec_b64 s[4:5], s[0:1]
	s_cbranch_execz .LBB797_14
.LBB797_19:
	v_add_co_u32_e32 v2, vcc, 0x2000, v0
	v_cndmask_b32_e64 v5, 0, v3, s[0:1]
	v_addc_co_u32_e32 v3, vcc, 0, v1, vcc
	global_store_dword v[2:3], v5, off
	s_or_b64 exec, exec, s[4:5]
	s_and_saveexec_b64 s[0:1], s[2:3]
	s_cbranch_execnz .LBB797_15
	s_branch .LBB797_16
	.section	.rodata,"a",@progbits
	.p2align	6, 0x0
	.amdhsa_kernel _ZN7rocprim17ROCPRIM_400000_NS6detail17trampoline_kernelINS0_14default_configENS1_25transform_config_selectorIiLb1EEEZNS1_14transform_implILb1ES3_S5_PiS7_NS0_8identityIiEEEE10hipError_tT2_T3_mT4_P12ihipStream_tbEUlT_E_NS1_11comp_targetILNS1_3genE2ELNS1_11target_archE906ELNS1_3gpuE6ELNS1_3repE0EEENS1_30default_config_static_selectorELNS0_4arch9wavefront6targetE1EEEvT1_
		.amdhsa_group_segment_fixed_size 0
		.amdhsa_private_segment_fixed_size 0
		.amdhsa_kernarg_size 296
		.amdhsa_user_sgpr_count 6
		.amdhsa_user_sgpr_private_segment_buffer 1
		.amdhsa_user_sgpr_dispatch_ptr 0
		.amdhsa_user_sgpr_queue_ptr 0
		.amdhsa_user_sgpr_kernarg_segment_ptr 1
		.amdhsa_user_sgpr_dispatch_id 0
		.amdhsa_user_sgpr_flat_scratch_init 0
		.amdhsa_user_sgpr_private_segment_size 0
		.amdhsa_uses_dynamic_stack 0
		.amdhsa_system_sgpr_private_segment_wavefront_offset 0
		.amdhsa_system_sgpr_workgroup_id_x 1
		.amdhsa_system_sgpr_workgroup_id_y 0
		.amdhsa_system_sgpr_workgroup_id_z 0
		.amdhsa_system_sgpr_workgroup_info 0
		.amdhsa_system_vgpr_workitem_id 0
		.amdhsa_next_free_vgpr 10
		.amdhsa_next_free_sgpr 16
		.amdhsa_reserve_vcc 1
		.amdhsa_reserve_flat_scratch 0
		.amdhsa_float_round_mode_32 0
		.amdhsa_float_round_mode_16_64 0
		.amdhsa_float_denorm_mode_32 3
		.amdhsa_float_denorm_mode_16_64 3
		.amdhsa_dx10_clamp 1
		.amdhsa_ieee_mode 1
		.amdhsa_fp16_overflow 0
		.amdhsa_exception_fp_ieee_invalid_op 0
		.amdhsa_exception_fp_denorm_src 0
		.amdhsa_exception_fp_ieee_div_zero 0
		.amdhsa_exception_fp_ieee_overflow 0
		.amdhsa_exception_fp_ieee_underflow 0
		.amdhsa_exception_fp_ieee_inexact 0
		.amdhsa_exception_int_div_zero 0
	.end_amdhsa_kernel
	.section	.text._ZN7rocprim17ROCPRIM_400000_NS6detail17trampoline_kernelINS0_14default_configENS1_25transform_config_selectorIiLb1EEEZNS1_14transform_implILb1ES3_S5_PiS7_NS0_8identityIiEEEE10hipError_tT2_T3_mT4_P12ihipStream_tbEUlT_E_NS1_11comp_targetILNS1_3genE2ELNS1_11target_archE906ELNS1_3gpuE6ELNS1_3repE0EEENS1_30default_config_static_selectorELNS0_4arch9wavefront6targetE1EEEvT1_,"axG",@progbits,_ZN7rocprim17ROCPRIM_400000_NS6detail17trampoline_kernelINS0_14default_configENS1_25transform_config_selectorIiLb1EEEZNS1_14transform_implILb1ES3_S5_PiS7_NS0_8identityIiEEEE10hipError_tT2_T3_mT4_P12ihipStream_tbEUlT_E_NS1_11comp_targetILNS1_3genE2ELNS1_11target_archE906ELNS1_3gpuE6ELNS1_3repE0EEENS1_30default_config_static_selectorELNS0_4arch9wavefront6targetE1EEEvT1_,comdat
.Lfunc_end797:
	.size	_ZN7rocprim17ROCPRIM_400000_NS6detail17trampoline_kernelINS0_14default_configENS1_25transform_config_selectorIiLb1EEEZNS1_14transform_implILb1ES3_S5_PiS7_NS0_8identityIiEEEE10hipError_tT2_T3_mT4_P12ihipStream_tbEUlT_E_NS1_11comp_targetILNS1_3genE2ELNS1_11target_archE906ELNS1_3gpuE6ELNS1_3repE0EEENS1_30default_config_static_selectorELNS0_4arch9wavefront6targetE1EEEvT1_, .Lfunc_end797-_ZN7rocprim17ROCPRIM_400000_NS6detail17trampoline_kernelINS0_14default_configENS1_25transform_config_selectorIiLb1EEEZNS1_14transform_implILb1ES3_S5_PiS7_NS0_8identityIiEEEE10hipError_tT2_T3_mT4_P12ihipStream_tbEUlT_E_NS1_11comp_targetILNS1_3genE2ELNS1_11target_archE906ELNS1_3gpuE6ELNS1_3repE0EEENS1_30default_config_static_selectorELNS0_4arch9wavefront6targetE1EEEvT1_
                                        ; -- End function
	.set _ZN7rocprim17ROCPRIM_400000_NS6detail17trampoline_kernelINS0_14default_configENS1_25transform_config_selectorIiLb1EEEZNS1_14transform_implILb1ES3_S5_PiS7_NS0_8identityIiEEEE10hipError_tT2_T3_mT4_P12ihipStream_tbEUlT_E_NS1_11comp_targetILNS1_3genE2ELNS1_11target_archE906ELNS1_3gpuE6ELNS1_3repE0EEENS1_30default_config_static_selectorELNS0_4arch9wavefront6targetE1EEEvT1_.num_vgpr, 10
	.set _ZN7rocprim17ROCPRIM_400000_NS6detail17trampoline_kernelINS0_14default_configENS1_25transform_config_selectorIiLb1EEEZNS1_14transform_implILb1ES3_S5_PiS7_NS0_8identityIiEEEE10hipError_tT2_T3_mT4_P12ihipStream_tbEUlT_E_NS1_11comp_targetILNS1_3genE2ELNS1_11target_archE906ELNS1_3gpuE6ELNS1_3repE0EEENS1_30default_config_static_selectorELNS0_4arch9wavefront6targetE1EEEvT1_.num_agpr, 0
	.set _ZN7rocprim17ROCPRIM_400000_NS6detail17trampoline_kernelINS0_14default_configENS1_25transform_config_selectorIiLb1EEEZNS1_14transform_implILb1ES3_S5_PiS7_NS0_8identityIiEEEE10hipError_tT2_T3_mT4_P12ihipStream_tbEUlT_E_NS1_11comp_targetILNS1_3genE2ELNS1_11target_archE906ELNS1_3gpuE6ELNS1_3repE0EEENS1_30default_config_static_selectorELNS0_4arch9wavefront6targetE1EEEvT1_.numbered_sgpr, 16
	.set _ZN7rocprim17ROCPRIM_400000_NS6detail17trampoline_kernelINS0_14default_configENS1_25transform_config_selectorIiLb1EEEZNS1_14transform_implILb1ES3_S5_PiS7_NS0_8identityIiEEEE10hipError_tT2_T3_mT4_P12ihipStream_tbEUlT_E_NS1_11comp_targetILNS1_3genE2ELNS1_11target_archE906ELNS1_3gpuE6ELNS1_3repE0EEENS1_30default_config_static_selectorELNS0_4arch9wavefront6targetE1EEEvT1_.num_named_barrier, 0
	.set _ZN7rocprim17ROCPRIM_400000_NS6detail17trampoline_kernelINS0_14default_configENS1_25transform_config_selectorIiLb1EEEZNS1_14transform_implILb1ES3_S5_PiS7_NS0_8identityIiEEEE10hipError_tT2_T3_mT4_P12ihipStream_tbEUlT_E_NS1_11comp_targetILNS1_3genE2ELNS1_11target_archE906ELNS1_3gpuE6ELNS1_3repE0EEENS1_30default_config_static_selectorELNS0_4arch9wavefront6targetE1EEEvT1_.private_seg_size, 0
	.set _ZN7rocprim17ROCPRIM_400000_NS6detail17trampoline_kernelINS0_14default_configENS1_25transform_config_selectorIiLb1EEEZNS1_14transform_implILb1ES3_S5_PiS7_NS0_8identityIiEEEE10hipError_tT2_T3_mT4_P12ihipStream_tbEUlT_E_NS1_11comp_targetILNS1_3genE2ELNS1_11target_archE906ELNS1_3gpuE6ELNS1_3repE0EEENS1_30default_config_static_selectorELNS0_4arch9wavefront6targetE1EEEvT1_.uses_vcc, 1
	.set _ZN7rocprim17ROCPRIM_400000_NS6detail17trampoline_kernelINS0_14default_configENS1_25transform_config_selectorIiLb1EEEZNS1_14transform_implILb1ES3_S5_PiS7_NS0_8identityIiEEEE10hipError_tT2_T3_mT4_P12ihipStream_tbEUlT_E_NS1_11comp_targetILNS1_3genE2ELNS1_11target_archE906ELNS1_3gpuE6ELNS1_3repE0EEENS1_30default_config_static_selectorELNS0_4arch9wavefront6targetE1EEEvT1_.uses_flat_scratch, 0
	.set _ZN7rocprim17ROCPRIM_400000_NS6detail17trampoline_kernelINS0_14default_configENS1_25transform_config_selectorIiLb1EEEZNS1_14transform_implILb1ES3_S5_PiS7_NS0_8identityIiEEEE10hipError_tT2_T3_mT4_P12ihipStream_tbEUlT_E_NS1_11comp_targetILNS1_3genE2ELNS1_11target_archE906ELNS1_3gpuE6ELNS1_3repE0EEENS1_30default_config_static_selectorELNS0_4arch9wavefront6targetE1EEEvT1_.has_dyn_sized_stack, 0
	.set _ZN7rocprim17ROCPRIM_400000_NS6detail17trampoline_kernelINS0_14default_configENS1_25transform_config_selectorIiLb1EEEZNS1_14transform_implILb1ES3_S5_PiS7_NS0_8identityIiEEEE10hipError_tT2_T3_mT4_P12ihipStream_tbEUlT_E_NS1_11comp_targetILNS1_3genE2ELNS1_11target_archE906ELNS1_3gpuE6ELNS1_3repE0EEENS1_30default_config_static_selectorELNS0_4arch9wavefront6targetE1EEEvT1_.has_recursion, 0
	.set _ZN7rocprim17ROCPRIM_400000_NS6detail17trampoline_kernelINS0_14default_configENS1_25transform_config_selectorIiLb1EEEZNS1_14transform_implILb1ES3_S5_PiS7_NS0_8identityIiEEEE10hipError_tT2_T3_mT4_P12ihipStream_tbEUlT_E_NS1_11comp_targetILNS1_3genE2ELNS1_11target_archE906ELNS1_3gpuE6ELNS1_3repE0EEENS1_30default_config_static_selectorELNS0_4arch9wavefront6targetE1EEEvT1_.has_indirect_call, 0
	.section	.AMDGPU.csdata,"",@progbits
; Kernel info:
; codeLenInByte = 548
; TotalNumSgprs: 20
; NumVgprs: 10
; ScratchSize: 0
; MemoryBound: 1
; FloatMode: 240
; IeeeMode: 1
; LDSByteSize: 0 bytes/workgroup (compile time only)
; SGPRBlocks: 2
; VGPRBlocks: 2
; NumSGPRsForWavesPerEU: 20
; NumVGPRsForWavesPerEU: 10
; Occupancy: 10
; WaveLimiterHint : 0
; COMPUTE_PGM_RSRC2:SCRATCH_EN: 0
; COMPUTE_PGM_RSRC2:USER_SGPR: 6
; COMPUTE_PGM_RSRC2:TRAP_HANDLER: 0
; COMPUTE_PGM_RSRC2:TGID_X_EN: 1
; COMPUTE_PGM_RSRC2:TGID_Y_EN: 0
; COMPUTE_PGM_RSRC2:TGID_Z_EN: 0
; COMPUTE_PGM_RSRC2:TIDIG_COMP_CNT: 0
	.section	.text._ZN7rocprim17ROCPRIM_400000_NS6detail17trampoline_kernelINS0_14default_configENS1_25transform_config_selectorIiLb1EEEZNS1_14transform_implILb1ES3_S5_PiS7_NS0_8identityIiEEEE10hipError_tT2_T3_mT4_P12ihipStream_tbEUlT_E_NS1_11comp_targetILNS1_3genE9ELNS1_11target_archE1100ELNS1_3gpuE3ELNS1_3repE0EEENS1_30default_config_static_selectorELNS0_4arch9wavefront6targetE1EEEvT1_,"axG",@progbits,_ZN7rocprim17ROCPRIM_400000_NS6detail17trampoline_kernelINS0_14default_configENS1_25transform_config_selectorIiLb1EEEZNS1_14transform_implILb1ES3_S5_PiS7_NS0_8identityIiEEEE10hipError_tT2_T3_mT4_P12ihipStream_tbEUlT_E_NS1_11comp_targetILNS1_3genE9ELNS1_11target_archE1100ELNS1_3gpuE3ELNS1_3repE0EEENS1_30default_config_static_selectorELNS0_4arch9wavefront6targetE1EEEvT1_,comdat
	.protected	_ZN7rocprim17ROCPRIM_400000_NS6detail17trampoline_kernelINS0_14default_configENS1_25transform_config_selectorIiLb1EEEZNS1_14transform_implILb1ES3_S5_PiS7_NS0_8identityIiEEEE10hipError_tT2_T3_mT4_P12ihipStream_tbEUlT_E_NS1_11comp_targetILNS1_3genE9ELNS1_11target_archE1100ELNS1_3gpuE3ELNS1_3repE0EEENS1_30default_config_static_selectorELNS0_4arch9wavefront6targetE1EEEvT1_ ; -- Begin function _ZN7rocprim17ROCPRIM_400000_NS6detail17trampoline_kernelINS0_14default_configENS1_25transform_config_selectorIiLb1EEEZNS1_14transform_implILb1ES3_S5_PiS7_NS0_8identityIiEEEE10hipError_tT2_T3_mT4_P12ihipStream_tbEUlT_E_NS1_11comp_targetILNS1_3genE9ELNS1_11target_archE1100ELNS1_3gpuE3ELNS1_3repE0EEENS1_30default_config_static_selectorELNS0_4arch9wavefront6targetE1EEEvT1_
	.globl	_ZN7rocprim17ROCPRIM_400000_NS6detail17trampoline_kernelINS0_14default_configENS1_25transform_config_selectorIiLb1EEEZNS1_14transform_implILb1ES3_S5_PiS7_NS0_8identityIiEEEE10hipError_tT2_T3_mT4_P12ihipStream_tbEUlT_E_NS1_11comp_targetILNS1_3genE9ELNS1_11target_archE1100ELNS1_3gpuE3ELNS1_3repE0EEENS1_30default_config_static_selectorELNS0_4arch9wavefront6targetE1EEEvT1_
	.p2align	8
	.type	_ZN7rocprim17ROCPRIM_400000_NS6detail17trampoline_kernelINS0_14default_configENS1_25transform_config_selectorIiLb1EEEZNS1_14transform_implILb1ES3_S5_PiS7_NS0_8identityIiEEEE10hipError_tT2_T3_mT4_P12ihipStream_tbEUlT_E_NS1_11comp_targetILNS1_3genE9ELNS1_11target_archE1100ELNS1_3gpuE3ELNS1_3repE0EEENS1_30default_config_static_selectorELNS0_4arch9wavefront6targetE1EEEvT1_,@function
_ZN7rocprim17ROCPRIM_400000_NS6detail17trampoline_kernelINS0_14default_configENS1_25transform_config_selectorIiLb1EEEZNS1_14transform_implILb1ES3_S5_PiS7_NS0_8identityIiEEEE10hipError_tT2_T3_mT4_P12ihipStream_tbEUlT_E_NS1_11comp_targetILNS1_3genE9ELNS1_11target_archE1100ELNS1_3gpuE3ELNS1_3repE0EEENS1_30default_config_static_selectorELNS0_4arch9wavefront6targetE1EEEvT1_: ; @_ZN7rocprim17ROCPRIM_400000_NS6detail17trampoline_kernelINS0_14default_configENS1_25transform_config_selectorIiLb1EEEZNS1_14transform_implILb1ES3_S5_PiS7_NS0_8identityIiEEEE10hipError_tT2_T3_mT4_P12ihipStream_tbEUlT_E_NS1_11comp_targetILNS1_3genE9ELNS1_11target_archE1100ELNS1_3gpuE3ELNS1_3repE0EEENS1_30default_config_static_selectorELNS0_4arch9wavefront6targetE1EEEvT1_
; %bb.0:
	.section	.rodata,"a",@progbits
	.p2align	6, 0x0
	.amdhsa_kernel _ZN7rocprim17ROCPRIM_400000_NS6detail17trampoline_kernelINS0_14default_configENS1_25transform_config_selectorIiLb1EEEZNS1_14transform_implILb1ES3_S5_PiS7_NS0_8identityIiEEEE10hipError_tT2_T3_mT4_P12ihipStream_tbEUlT_E_NS1_11comp_targetILNS1_3genE9ELNS1_11target_archE1100ELNS1_3gpuE3ELNS1_3repE0EEENS1_30default_config_static_selectorELNS0_4arch9wavefront6targetE1EEEvT1_
		.amdhsa_group_segment_fixed_size 0
		.amdhsa_private_segment_fixed_size 0
		.amdhsa_kernarg_size 40
		.amdhsa_user_sgpr_count 6
		.amdhsa_user_sgpr_private_segment_buffer 1
		.amdhsa_user_sgpr_dispatch_ptr 0
		.amdhsa_user_sgpr_queue_ptr 0
		.amdhsa_user_sgpr_kernarg_segment_ptr 1
		.amdhsa_user_sgpr_dispatch_id 0
		.amdhsa_user_sgpr_flat_scratch_init 0
		.amdhsa_user_sgpr_private_segment_size 0
		.amdhsa_uses_dynamic_stack 0
		.amdhsa_system_sgpr_private_segment_wavefront_offset 0
		.amdhsa_system_sgpr_workgroup_id_x 1
		.amdhsa_system_sgpr_workgroup_id_y 0
		.amdhsa_system_sgpr_workgroup_id_z 0
		.amdhsa_system_sgpr_workgroup_info 0
		.amdhsa_system_vgpr_workitem_id 0
		.amdhsa_next_free_vgpr 1
		.amdhsa_next_free_sgpr 0
		.amdhsa_reserve_vcc 0
		.amdhsa_reserve_flat_scratch 0
		.amdhsa_float_round_mode_32 0
		.amdhsa_float_round_mode_16_64 0
		.amdhsa_float_denorm_mode_32 3
		.amdhsa_float_denorm_mode_16_64 3
		.amdhsa_dx10_clamp 1
		.amdhsa_ieee_mode 1
		.amdhsa_fp16_overflow 0
		.amdhsa_exception_fp_ieee_invalid_op 0
		.amdhsa_exception_fp_denorm_src 0
		.amdhsa_exception_fp_ieee_div_zero 0
		.amdhsa_exception_fp_ieee_overflow 0
		.amdhsa_exception_fp_ieee_underflow 0
		.amdhsa_exception_fp_ieee_inexact 0
		.amdhsa_exception_int_div_zero 0
	.end_amdhsa_kernel
	.section	.text._ZN7rocprim17ROCPRIM_400000_NS6detail17trampoline_kernelINS0_14default_configENS1_25transform_config_selectorIiLb1EEEZNS1_14transform_implILb1ES3_S5_PiS7_NS0_8identityIiEEEE10hipError_tT2_T3_mT4_P12ihipStream_tbEUlT_E_NS1_11comp_targetILNS1_3genE9ELNS1_11target_archE1100ELNS1_3gpuE3ELNS1_3repE0EEENS1_30default_config_static_selectorELNS0_4arch9wavefront6targetE1EEEvT1_,"axG",@progbits,_ZN7rocprim17ROCPRIM_400000_NS6detail17trampoline_kernelINS0_14default_configENS1_25transform_config_selectorIiLb1EEEZNS1_14transform_implILb1ES3_S5_PiS7_NS0_8identityIiEEEE10hipError_tT2_T3_mT4_P12ihipStream_tbEUlT_E_NS1_11comp_targetILNS1_3genE9ELNS1_11target_archE1100ELNS1_3gpuE3ELNS1_3repE0EEENS1_30default_config_static_selectorELNS0_4arch9wavefront6targetE1EEEvT1_,comdat
.Lfunc_end798:
	.size	_ZN7rocprim17ROCPRIM_400000_NS6detail17trampoline_kernelINS0_14default_configENS1_25transform_config_selectorIiLb1EEEZNS1_14transform_implILb1ES3_S5_PiS7_NS0_8identityIiEEEE10hipError_tT2_T3_mT4_P12ihipStream_tbEUlT_E_NS1_11comp_targetILNS1_3genE9ELNS1_11target_archE1100ELNS1_3gpuE3ELNS1_3repE0EEENS1_30default_config_static_selectorELNS0_4arch9wavefront6targetE1EEEvT1_, .Lfunc_end798-_ZN7rocprim17ROCPRIM_400000_NS6detail17trampoline_kernelINS0_14default_configENS1_25transform_config_selectorIiLb1EEEZNS1_14transform_implILb1ES3_S5_PiS7_NS0_8identityIiEEEE10hipError_tT2_T3_mT4_P12ihipStream_tbEUlT_E_NS1_11comp_targetILNS1_3genE9ELNS1_11target_archE1100ELNS1_3gpuE3ELNS1_3repE0EEENS1_30default_config_static_selectorELNS0_4arch9wavefront6targetE1EEEvT1_
                                        ; -- End function
	.set _ZN7rocprim17ROCPRIM_400000_NS6detail17trampoline_kernelINS0_14default_configENS1_25transform_config_selectorIiLb1EEEZNS1_14transform_implILb1ES3_S5_PiS7_NS0_8identityIiEEEE10hipError_tT2_T3_mT4_P12ihipStream_tbEUlT_E_NS1_11comp_targetILNS1_3genE9ELNS1_11target_archE1100ELNS1_3gpuE3ELNS1_3repE0EEENS1_30default_config_static_selectorELNS0_4arch9wavefront6targetE1EEEvT1_.num_vgpr, 0
	.set _ZN7rocprim17ROCPRIM_400000_NS6detail17trampoline_kernelINS0_14default_configENS1_25transform_config_selectorIiLb1EEEZNS1_14transform_implILb1ES3_S5_PiS7_NS0_8identityIiEEEE10hipError_tT2_T3_mT4_P12ihipStream_tbEUlT_E_NS1_11comp_targetILNS1_3genE9ELNS1_11target_archE1100ELNS1_3gpuE3ELNS1_3repE0EEENS1_30default_config_static_selectorELNS0_4arch9wavefront6targetE1EEEvT1_.num_agpr, 0
	.set _ZN7rocprim17ROCPRIM_400000_NS6detail17trampoline_kernelINS0_14default_configENS1_25transform_config_selectorIiLb1EEEZNS1_14transform_implILb1ES3_S5_PiS7_NS0_8identityIiEEEE10hipError_tT2_T3_mT4_P12ihipStream_tbEUlT_E_NS1_11comp_targetILNS1_3genE9ELNS1_11target_archE1100ELNS1_3gpuE3ELNS1_3repE0EEENS1_30default_config_static_selectorELNS0_4arch9wavefront6targetE1EEEvT1_.numbered_sgpr, 0
	.set _ZN7rocprim17ROCPRIM_400000_NS6detail17trampoline_kernelINS0_14default_configENS1_25transform_config_selectorIiLb1EEEZNS1_14transform_implILb1ES3_S5_PiS7_NS0_8identityIiEEEE10hipError_tT2_T3_mT4_P12ihipStream_tbEUlT_E_NS1_11comp_targetILNS1_3genE9ELNS1_11target_archE1100ELNS1_3gpuE3ELNS1_3repE0EEENS1_30default_config_static_selectorELNS0_4arch9wavefront6targetE1EEEvT1_.num_named_barrier, 0
	.set _ZN7rocprim17ROCPRIM_400000_NS6detail17trampoline_kernelINS0_14default_configENS1_25transform_config_selectorIiLb1EEEZNS1_14transform_implILb1ES3_S5_PiS7_NS0_8identityIiEEEE10hipError_tT2_T3_mT4_P12ihipStream_tbEUlT_E_NS1_11comp_targetILNS1_3genE9ELNS1_11target_archE1100ELNS1_3gpuE3ELNS1_3repE0EEENS1_30default_config_static_selectorELNS0_4arch9wavefront6targetE1EEEvT1_.private_seg_size, 0
	.set _ZN7rocprim17ROCPRIM_400000_NS6detail17trampoline_kernelINS0_14default_configENS1_25transform_config_selectorIiLb1EEEZNS1_14transform_implILb1ES3_S5_PiS7_NS0_8identityIiEEEE10hipError_tT2_T3_mT4_P12ihipStream_tbEUlT_E_NS1_11comp_targetILNS1_3genE9ELNS1_11target_archE1100ELNS1_3gpuE3ELNS1_3repE0EEENS1_30default_config_static_selectorELNS0_4arch9wavefront6targetE1EEEvT1_.uses_vcc, 0
	.set _ZN7rocprim17ROCPRIM_400000_NS6detail17trampoline_kernelINS0_14default_configENS1_25transform_config_selectorIiLb1EEEZNS1_14transform_implILb1ES3_S5_PiS7_NS0_8identityIiEEEE10hipError_tT2_T3_mT4_P12ihipStream_tbEUlT_E_NS1_11comp_targetILNS1_3genE9ELNS1_11target_archE1100ELNS1_3gpuE3ELNS1_3repE0EEENS1_30default_config_static_selectorELNS0_4arch9wavefront6targetE1EEEvT1_.uses_flat_scratch, 0
	.set _ZN7rocprim17ROCPRIM_400000_NS6detail17trampoline_kernelINS0_14default_configENS1_25transform_config_selectorIiLb1EEEZNS1_14transform_implILb1ES3_S5_PiS7_NS0_8identityIiEEEE10hipError_tT2_T3_mT4_P12ihipStream_tbEUlT_E_NS1_11comp_targetILNS1_3genE9ELNS1_11target_archE1100ELNS1_3gpuE3ELNS1_3repE0EEENS1_30default_config_static_selectorELNS0_4arch9wavefront6targetE1EEEvT1_.has_dyn_sized_stack, 0
	.set _ZN7rocprim17ROCPRIM_400000_NS6detail17trampoline_kernelINS0_14default_configENS1_25transform_config_selectorIiLb1EEEZNS1_14transform_implILb1ES3_S5_PiS7_NS0_8identityIiEEEE10hipError_tT2_T3_mT4_P12ihipStream_tbEUlT_E_NS1_11comp_targetILNS1_3genE9ELNS1_11target_archE1100ELNS1_3gpuE3ELNS1_3repE0EEENS1_30default_config_static_selectorELNS0_4arch9wavefront6targetE1EEEvT1_.has_recursion, 0
	.set _ZN7rocprim17ROCPRIM_400000_NS6detail17trampoline_kernelINS0_14default_configENS1_25transform_config_selectorIiLb1EEEZNS1_14transform_implILb1ES3_S5_PiS7_NS0_8identityIiEEEE10hipError_tT2_T3_mT4_P12ihipStream_tbEUlT_E_NS1_11comp_targetILNS1_3genE9ELNS1_11target_archE1100ELNS1_3gpuE3ELNS1_3repE0EEENS1_30default_config_static_selectorELNS0_4arch9wavefront6targetE1EEEvT1_.has_indirect_call, 0
	.section	.AMDGPU.csdata,"",@progbits
; Kernel info:
; codeLenInByte = 0
; TotalNumSgprs: 4
; NumVgprs: 0
; ScratchSize: 0
; MemoryBound: 0
; FloatMode: 240
; IeeeMode: 1
; LDSByteSize: 0 bytes/workgroup (compile time only)
; SGPRBlocks: 0
; VGPRBlocks: 0
; NumSGPRsForWavesPerEU: 4
; NumVGPRsForWavesPerEU: 1
; Occupancy: 10
; WaveLimiterHint : 0
; COMPUTE_PGM_RSRC2:SCRATCH_EN: 0
; COMPUTE_PGM_RSRC2:USER_SGPR: 6
; COMPUTE_PGM_RSRC2:TRAP_HANDLER: 0
; COMPUTE_PGM_RSRC2:TGID_X_EN: 1
; COMPUTE_PGM_RSRC2:TGID_Y_EN: 0
; COMPUTE_PGM_RSRC2:TGID_Z_EN: 0
; COMPUTE_PGM_RSRC2:TIDIG_COMP_CNT: 0
	.section	.text._ZN7rocprim17ROCPRIM_400000_NS6detail17trampoline_kernelINS0_14default_configENS1_25transform_config_selectorIiLb1EEEZNS1_14transform_implILb1ES3_S5_PiS7_NS0_8identityIiEEEE10hipError_tT2_T3_mT4_P12ihipStream_tbEUlT_E_NS1_11comp_targetILNS1_3genE8ELNS1_11target_archE1030ELNS1_3gpuE2ELNS1_3repE0EEENS1_30default_config_static_selectorELNS0_4arch9wavefront6targetE1EEEvT1_,"axG",@progbits,_ZN7rocprim17ROCPRIM_400000_NS6detail17trampoline_kernelINS0_14default_configENS1_25transform_config_selectorIiLb1EEEZNS1_14transform_implILb1ES3_S5_PiS7_NS0_8identityIiEEEE10hipError_tT2_T3_mT4_P12ihipStream_tbEUlT_E_NS1_11comp_targetILNS1_3genE8ELNS1_11target_archE1030ELNS1_3gpuE2ELNS1_3repE0EEENS1_30default_config_static_selectorELNS0_4arch9wavefront6targetE1EEEvT1_,comdat
	.protected	_ZN7rocprim17ROCPRIM_400000_NS6detail17trampoline_kernelINS0_14default_configENS1_25transform_config_selectorIiLb1EEEZNS1_14transform_implILb1ES3_S5_PiS7_NS0_8identityIiEEEE10hipError_tT2_T3_mT4_P12ihipStream_tbEUlT_E_NS1_11comp_targetILNS1_3genE8ELNS1_11target_archE1030ELNS1_3gpuE2ELNS1_3repE0EEENS1_30default_config_static_selectorELNS0_4arch9wavefront6targetE1EEEvT1_ ; -- Begin function _ZN7rocprim17ROCPRIM_400000_NS6detail17trampoline_kernelINS0_14default_configENS1_25transform_config_selectorIiLb1EEEZNS1_14transform_implILb1ES3_S5_PiS7_NS0_8identityIiEEEE10hipError_tT2_T3_mT4_P12ihipStream_tbEUlT_E_NS1_11comp_targetILNS1_3genE8ELNS1_11target_archE1030ELNS1_3gpuE2ELNS1_3repE0EEENS1_30default_config_static_selectorELNS0_4arch9wavefront6targetE1EEEvT1_
	.globl	_ZN7rocprim17ROCPRIM_400000_NS6detail17trampoline_kernelINS0_14default_configENS1_25transform_config_selectorIiLb1EEEZNS1_14transform_implILb1ES3_S5_PiS7_NS0_8identityIiEEEE10hipError_tT2_T3_mT4_P12ihipStream_tbEUlT_E_NS1_11comp_targetILNS1_3genE8ELNS1_11target_archE1030ELNS1_3gpuE2ELNS1_3repE0EEENS1_30default_config_static_selectorELNS0_4arch9wavefront6targetE1EEEvT1_
	.p2align	8
	.type	_ZN7rocprim17ROCPRIM_400000_NS6detail17trampoline_kernelINS0_14default_configENS1_25transform_config_selectorIiLb1EEEZNS1_14transform_implILb1ES3_S5_PiS7_NS0_8identityIiEEEE10hipError_tT2_T3_mT4_P12ihipStream_tbEUlT_E_NS1_11comp_targetILNS1_3genE8ELNS1_11target_archE1030ELNS1_3gpuE2ELNS1_3repE0EEENS1_30default_config_static_selectorELNS0_4arch9wavefront6targetE1EEEvT1_,@function
_ZN7rocprim17ROCPRIM_400000_NS6detail17trampoline_kernelINS0_14default_configENS1_25transform_config_selectorIiLb1EEEZNS1_14transform_implILb1ES3_S5_PiS7_NS0_8identityIiEEEE10hipError_tT2_T3_mT4_P12ihipStream_tbEUlT_E_NS1_11comp_targetILNS1_3genE8ELNS1_11target_archE1030ELNS1_3gpuE2ELNS1_3repE0EEENS1_30default_config_static_selectorELNS0_4arch9wavefront6targetE1EEEvT1_: ; @_ZN7rocprim17ROCPRIM_400000_NS6detail17trampoline_kernelINS0_14default_configENS1_25transform_config_selectorIiLb1EEEZNS1_14transform_implILb1ES3_S5_PiS7_NS0_8identityIiEEEE10hipError_tT2_T3_mT4_P12ihipStream_tbEUlT_E_NS1_11comp_targetILNS1_3genE8ELNS1_11target_archE1030ELNS1_3gpuE2ELNS1_3repE0EEENS1_30default_config_static_selectorELNS0_4arch9wavefront6targetE1EEEvT1_
; %bb.0:
	.section	.rodata,"a",@progbits
	.p2align	6, 0x0
	.amdhsa_kernel _ZN7rocprim17ROCPRIM_400000_NS6detail17trampoline_kernelINS0_14default_configENS1_25transform_config_selectorIiLb1EEEZNS1_14transform_implILb1ES3_S5_PiS7_NS0_8identityIiEEEE10hipError_tT2_T3_mT4_P12ihipStream_tbEUlT_E_NS1_11comp_targetILNS1_3genE8ELNS1_11target_archE1030ELNS1_3gpuE2ELNS1_3repE0EEENS1_30default_config_static_selectorELNS0_4arch9wavefront6targetE1EEEvT1_
		.amdhsa_group_segment_fixed_size 0
		.amdhsa_private_segment_fixed_size 0
		.amdhsa_kernarg_size 40
		.amdhsa_user_sgpr_count 6
		.amdhsa_user_sgpr_private_segment_buffer 1
		.amdhsa_user_sgpr_dispatch_ptr 0
		.amdhsa_user_sgpr_queue_ptr 0
		.amdhsa_user_sgpr_kernarg_segment_ptr 1
		.amdhsa_user_sgpr_dispatch_id 0
		.amdhsa_user_sgpr_flat_scratch_init 0
		.amdhsa_user_sgpr_private_segment_size 0
		.amdhsa_uses_dynamic_stack 0
		.amdhsa_system_sgpr_private_segment_wavefront_offset 0
		.amdhsa_system_sgpr_workgroup_id_x 1
		.amdhsa_system_sgpr_workgroup_id_y 0
		.amdhsa_system_sgpr_workgroup_id_z 0
		.amdhsa_system_sgpr_workgroup_info 0
		.amdhsa_system_vgpr_workitem_id 0
		.amdhsa_next_free_vgpr 1
		.amdhsa_next_free_sgpr 0
		.amdhsa_reserve_vcc 0
		.amdhsa_reserve_flat_scratch 0
		.amdhsa_float_round_mode_32 0
		.amdhsa_float_round_mode_16_64 0
		.amdhsa_float_denorm_mode_32 3
		.amdhsa_float_denorm_mode_16_64 3
		.amdhsa_dx10_clamp 1
		.amdhsa_ieee_mode 1
		.amdhsa_fp16_overflow 0
		.amdhsa_exception_fp_ieee_invalid_op 0
		.amdhsa_exception_fp_denorm_src 0
		.amdhsa_exception_fp_ieee_div_zero 0
		.amdhsa_exception_fp_ieee_overflow 0
		.amdhsa_exception_fp_ieee_underflow 0
		.amdhsa_exception_fp_ieee_inexact 0
		.amdhsa_exception_int_div_zero 0
	.end_amdhsa_kernel
	.section	.text._ZN7rocprim17ROCPRIM_400000_NS6detail17trampoline_kernelINS0_14default_configENS1_25transform_config_selectorIiLb1EEEZNS1_14transform_implILb1ES3_S5_PiS7_NS0_8identityIiEEEE10hipError_tT2_T3_mT4_P12ihipStream_tbEUlT_E_NS1_11comp_targetILNS1_3genE8ELNS1_11target_archE1030ELNS1_3gpuE2ELNS1_3repE0EEENS1_30default_config_static_selectorELNS0_4arch9wavefront6targetE1EEEvT1_,"axG",@progbits,_ZN7rocprim17ROCPRIM_400000_NS6detail17trampoline_kernelINS0_14default_configENS1_25transform_config_selectorIiLb1EEEZNS1_14transform_implILb1ES3_S5_PiS7_NS0_8identityIiEEEE10hipError_tT2_T3_mT4_P12ihipStream_tbEUlT_E_NS1_11comp_targetILNS1_3genE8ELNS1_11target_archE1030ELNS1_3gpuE2ELNS1_3repE0EEENS1_30default_config_static_selectorELNS0_4arch9wavefront6targetE1EEEvT1_,comdat
.Lfunc_end799:
	.size	_ZN7rocprim17ROCPRIM_400000_NS6detail17trampoline_kernelINS0_14default_configENS1_25transform_config_selectorIiLb1EEEZNS1_14transform_implILb1ES3_S5_PiS7_NS0_8identityIiEEEE10hipError_tT2_T3_mT4_P12ihipStream_tbEUlT_E_NS1_11comp_targetILNS1_3genE8ELNS1_11target_archE1030ELNS1_3gpuE2ELNS1_3repE0EEENS1_30default_config_static_selectorELNS0_4arch9wavefront6targetE1EEEvT1_, .Lfunc_end799-_ZN7rocprim17ROCPRIM_400000_NS6detail17trampoline_kernelINS0_14default_configENS1_25transform_config_selectorIiLb1EEEZNS1_14transform_implILb1ES3_S5_PiS7_NS0_8identityIiEEEE10hipError_tT2_T3_mT4_P12ihipStream_tbEUlT_E_NS1_11comp_targetILNS1_3genE8ELNS1_11target_archE1030ELNS1_3gpuE2ELNS1_3repE0EEENS1_30default_config_static_selectorELNS0_4arch9wavefront6targetE1EEEvT1_
                                        ; -- End function
	.set _ZN7rocprim17ROCPRIM_400000_NS6detail17trampoline_kernelINS0_14default_configENS1_25transform_config_selectorIiLb1EEEZNS1_14transform_implILb1ES3_S5_PiS7_NS0_8identityIiEEEE10hipError_tT2_T3_mT4_P12ihipStream_tbEUlT_E_NS1_11comp_targetILNS1_3genE8ELNS1_11target_archE1030ELNS1_3gpuE2ELNS1_3repE0EEENS1_30default_config_static_selectorELNS0_4arch9wavefront6targetE1EEEvT1_.num_vgpr, 0
	.set _ZN7rocprim17ROCPRIM_400000_NS6detail17trampoline_kernelINS0_14default_configENS1_25transform_config_selectorIiLb1EEEZNS1_14transform_implILb1ES3_S5_PiS7_NS0_8identityIiEEEE10hipError_tT2_T3_mT4_P12ihipStream_tbEUlT_E_NS1_11comp_targetILNS1_3genE8ELNS1_11target_archE1030ELNS1_3gpuE2ELNS1_3repE0EEENS1_30default_config_static_selectorELNS0_4arch9wavefront6targetE1EEEvT1_.num_agpr, 0
	.set _ZN7rocprim17ROCPRIM_400000_NS6detail17trampoline_kernelINS0_14default_configENS1_25transform_config_selectorIiLb1EEEZNS1_14transform_implILb1ES3_S5_PiS7_NS0_8identityIiEEEE10hipError_tT2_T3_mT4_P12ihipStream_tbEUlT_E_NS1_11comp_targetILNS1_3genE8ELNS1_11target_archE1030ELNS1_3gpuE2ELNS1_3repE0EEENS1_30default_config_static_selectorELNS0_4arch9wavefront6targetE1EEEvT1_.numbered_sgpr, 0
	.set _ZN7rocprim17ROCPRIM_400000_NS6detail17trampoline_kernelINS0_14default_configENS1_25transform_config_selectorIiLb1EEEZNS1_14transform_implILb1ES3_S5_PiS7_NS0_8identityIiEEEE10hipError_tT2_T3_mT4_P12ihipStream_tbEUlT_E_NS1_11comp_targetILNS1_3genE8ELNS1_11target_archE1030ELNS1_3gpuE2ELNS1_3repE0EEENS1_30default_config_static_selectorELNS0_4arch9wavefront6targetE1EEEvT1_.num_named_barrier, 0
	.set _ZN7rocprim17ROCPRIM_400000_NS6detail17trampoline_kernelINS0_14default_configENS1_25transform_config_selectorIiLb1EEEZNS1_14transform_implILb1ES3_S5_PiS7_NS0_8identityIiEEEE10hipError_tT2_T3_mT4_P12ihipStream_tbEUlT_E_NS1_11comp_targetILNS1_3genE8ELNS1_11target_archE1030ELNS1_3gpuE2ELNS1_3repE0EEENS1_30default_config_static_selectorELNS0_4arch9wavefront6targetE1EEEvT1_.private_seg_size, 0
	.set _ZN7rocprim17ROCPRIM_400000_NS6detail17trampoline_kernelINS0_14default_configENS1_25transform_config_selectorIiLb1EEEZNS1_14transform_implILb1ES3_S5_PiS7_NS0_8identityIiEEEE10hipError_tT2_T3_mT4_P12ihipStream_tbEUlT_E_NS1_11comp_targetILNS1_3genE8ELNS1_11target_archE1030ELNS1_3gpuE2ELNS1_3repE0EEENS1_30default_config_static_selectorELNS0_4arch9wavefront6targetE1EEEvT1_.uses_vcc, 0
	.set _ZN7rocprim17ROCPRIM_400000_NS6detail17trampoline_kernelINS0_14default_configENS1_25transform_config_selectorIiLb1EEEZNS1_14transform_implILb1ES3_S5_PiS7_NS0_8identityIiEEEE10hipError_tT2_T3_mT4_P12ihipStream_tbEUlT_E_NS1_11comp_targetILNS1_3genE8ELNS1_11target_archE1030ELNS1_3gpuE2ELNS1_3repE0EEENS1_30default_config_static_selectorELNS0_4arch9wavefront6targetE1EEEvT1_.uses_flat_scratch, 0
	.set _ZN7rocprim17ROCPRIM_400000_NS6detail17trampoline_kernelINS0_14default_configENS1_25transform_config_selectorIiLb1EEEZNS1_14transform_implILb1ES3_S5_PiS7_NS0_8identityIiEEEE10hipError_tT2_T3_mT4_P12ihipStream_tbEUlT_E_NS1_11comp_targetILNS1_3genE8ELNS1_11target_archE1030ELNS1_3gpuE2ELNS1_3repE0EEENS1_30default_config_static_selectorELNS0_4arch9wavefront6targetE1EEEvT1_.has_dyn_sized_stack, 0
	.set _ZN7rocprim17ROCPRIM_400000_NS6detail17trampoline_kernelINS0_14default_configENS1_25transform_config_selectorIiLb1EEEZNS1_14transform_implILb1ES3_S5_PiS7_NS0_8identityIiEEEE10hipError_tT2_T3_mT4_P12ihipStream_tbEUlT_E_NS1_11comp_targetILNS1_3genE8ELNS1_11target_archE1030ELNS1_3gpuE2ELNS1_3repE0EEENS1_30default_config_static_selectorELNS0_4arch9wavefront6targetE1EEEvT1_.has_recursion, 0
	.set _ZN7rocprim17ROCPRIM_400000_NS6detail17trampoline_kernelINS0_14default_configENS1_25transform_config_selectorIiLb1EEEZNS1_14transform_implILb1ES3_S5_PiS7_NS0_8identityIiEEEE10hipError_tT2_T3_mT4_P12ihipStream_tbEUlT_E_NS1_11comp_targetILNS1_3genE8ELNS1_11target_archE1030ELNS1_3gpuE2ELNS1_3repE0EEENS1_30default_config_static_selectorELNS0_4arch9wavefront6targetE1EEEvT1_.has_indirect_call, 0
	.section	.AMDGPU.csdata,"",@progbits
; Kernel info:
; codeLenInByte = 0
; TotalNumSgprs: 4
; NumVgprs: 0
; ScratchSize: 0
; MemoryBound: 0
; FloatMode: 240
; IeeeMode: 1
; LDSByteSize: 0 bytes/workgroup (compile time only)
; SGPRBlocks: 0
; VGPRBlocks: 0
; NumSGPRsForWavesPerEU: 4
; NumVGPRsForWavesPerEU: 1
; Occupancy: 10
; WaveLimiterHint : 0
; COMPUTE_PGM_RSRC2:SCRATCH_EN: 0
; COMPUTE_PGM_RSRC2:USER_SGPR: 6
; COMPUTE_PGM_RSRC2:TRAP_HANDLER: 0
; COMPUTE_PGM_RSRC2:TGID_X_EN: 1
; COMPUTE_PGM_RSRC2:TGID_Y_EN: 0
; COMPUTE_PGM_RSRC2:TGID_Z_EN: 0
; COMPUTE_PGM_RSRC2:TIDIG_COMP_CNT: 0
	.section	.text._ZN7rocprim17ROCPRIM_400000_NS6detail17trampoline_kernelINS0_14default_configENS1_38merge_sort_block_merge_config_selectorIilEEZZNS1_27merge_sort_block_merge_implIS3_PiN6thrust23THRUST_200600_302600_NS10device_ptrIlEEjNS1_19radix_merge_compareILb0ELb1EiNS0_19identity_decomposerEEEEE10hipError_tT0_T1_T2_jT3_P12ihipStream_tbPNSt15iterator_traitsISG_E10value_typeEPNSM_ISH_E10value_typeEPSI_NS1_7vsmem_tEENKUlT_SG_SH_SI_E_clIS7_S7_PlSB_EESF_SV_SG_SH_SI_EUlSV_E_NS1_11comp_targetILNS1_3genE0ELNS1_11target_archE4294967295ELNS1_3gpuE0ELNS1_3repE0EEENS1_48merge_mergepath_partition_config_static_selectorELNS0_4arch9wavefront6targetE1EEEvSH_,"axG",@progbits,_ZN7rocprim17ROCPRIM_400000_NS6detail17trampoline_kernelINS0_14default_configENS1_38merge_sort_block_merge_config_selectorIilEEZZNS1_27merge_sort_block_merge_implIS3_PiN6thrust23THRUST_200600_302600_NS10device_ptrIlEEjNS1_19radix_merge_compareILb0ELb1EiNS0_19identity_decomposerEEEEE10hipError_tT0_T1_T2_jT3_P12ihipStream_tbPNSt15iterator_traitsISG_E10value_typeEPNSM_ISH_E10value_typeEPSI_NS1_7vsmem_tEENKUlT_SG_SH_SI_E_clIS7_S7_PlSB_EESF_SV_SG_SH_SI_EUlSV_E_NS1_11comp_targetILNS1_3genE0ELNS1_11target_archE4294967295ELNS1_3gpuE0ELNS1_3repE0EEENS1_48merge_mergepath_partition_config_static_selectorELNS0_4arch9wavefront6targetE1EEEvSH_,comdat
	.protected	_ZN7rocprim17ROCPRIM_400000_NS6detail17trampoline_kernelINS0_14default_configENS1_38merge_sort_block_merge_config_selectorIilEEZZNS1_27merge_sort_block_merge_implIS3_PiN6thrust23THRUST_200600_302600_NS10device_ptrIlEEjNS1_19radix_merge_compareILb0ELb1EiNS0_19identity_decomposerEEEEE10hipError_tT0_T1_T2_jT3_P12ihipStream_tbPNSt15iterator_traitsISG_E10value_typeEPNSM_ISH_E10value_typeEPSI_NS1_7vsmem_tEENKUlT_SG_SH_SI_E_clIS7_S7_PlSB_EESF_SV_SG_SH_SI_EUlSV_E_NS1_11comp_targetILNS1_3genE0ELNS1_11target_archE4294967295ELNS1_3gpuE0ELNS1_3repE0EEENS1_48merge_mergepath_partition_config_static_selectorELNS0_4arch9wavefront6targetE1EEEvSH_ ; -- Begin function _ZN7rocprim17ROCPRIM_400000_NS6detail17trampoline_kernelINS0_14default_configENS1_38merge_sort_block_merge_config_selectorIilEEZZNS1_27merge_sort_block_merge_implIS3_PiN6thrust23THRUST_200600_302600_NS10device_ptrIlEEjNS1_19radix_merge_compareILb0ELb1EiNS0_19identity_decomposerEEEEE10hipError_tT0_T1_T2_jT3_P12ihipStream_tbPNSt15iterator_traitsISG_E10value_typeEPNSM_ISH_E10value_typeEPSI_NS1_7vsmem_tEENKUlT_SG_SH_SI_E_clIS7_S7_PlSB_EESF_SV_SG_SH_SI_EUlSV_E_NS1_11comp_targetILNS1_3genE0ELNS1_11target_archE4294967295ELNS1_3gpuE0ELNS1_3repE0EEENS1_48merge_mergepath_partition_config_static_selectorELNS0_4arch9wavefront6targetE1EEEvSH_
	.globl	_ZN7rocprim17ROCPRIM_400000_NS6detail17trampoline_kernelINS0_14default_configENS1_38merge_sort_block_merge_config_selectorIilEEZZNS1_27merge_sort_block_merge_implIS3_PiN6thrust23THRUST_200600_302600_NS10device_ptrIlEEjNS1_19radix_merge_compareILb0ELb1EiNS0_19identity_decomposerEEEEE10hipError_tT0_T1_T2_jT3_P12ihipStream_tbPNSt15iterator_traitsISG_E10value_typeEPNSM_ISH_E10value_typeEPSI_NS1_7vsmem_tEENKUlT_SG_SH_SI_E_clIS7_S7_PlSB_EESF_SV_SG_SH_SI_EUlSV_E_NS1_11comp_targetILNS1_3genE0ELNS1_11target_archE4294967295ELNS1_3gpuE0ELNS1_3repE0EEENS1_48merge_mergepath_partition_config_static_selectorELNS0_4arch9wavefront6targetE1EEEvSH_
	.p2align	8
	.type	_ZN7rocprim17ROCPRIM_400000_NS6detail17trampoline_kernelINS0_14default_configENS1_38merge_sort_block_merge_config_selectorIilEEZZNS1_27merge_sort_block_merge_implIS3_PiN6thrust23THRUST_200600_302600_NS10device_ptrIlEEjNS1_19radix_merge_compareILb0ELb1EiNS0_19identity_decomposerEEEEE10hipError_tT0_T1_T2_jT3_P12ihipStream_tbPNSt15iterator_traitsISG_E10value_typeEPNSM_ISH_E10value_typeEPSI_NS1_7vsmem_tEENKUlT_SG_SH_SI_E_clIS7_S7_PlSB_EESF_SV_SG_SH_SI_EUlSV_E_NS1_11comp_targetILNS1_3genE0ELNS1_11target_archE4294967295ELNS1_3gpuE0ELNS1_3repE0EEENS1_48merge_mergepath_partition_config_static_selectorELNS0_4arch9wavefront6targetE1EEEvSH_,@function
_ZN7rocprim17ROCPRIM_400000_NS6detail17trampoline_kernelINS0_14default_configENS1_38merge_sort_block_merge_config_selectorIilEEZZNS1_27merge_sort_block_merge_implIS3_PiN6thrust23THRUST_200600_302600_NS10device_ptrIlEEjNS1_19radix_merge_compareILb0ELb1EiNS0_19identity_decomposerEEEEE10hipError_tT0_T1_T2_jT3_P12ihipStream_tbPNSt15iterator_traitsISG_E10value_typeEPNSM_ISH_E10value_typeEPSI_NS1_7vsmem_tEENKUlT_SG_SH_SI_E_clIS7_S7_PlSB_EESF_SV_SG_SH_SI_EUlSV_E_NS1_11comp_targetILNS1_3genE0ELNS1_11target_archE4294967295ELNS1_3gpuE0ELNS1_3repE0EEENS1_48merge_mergepath_partition_config_static_selectorELNS0_4arch9wavefront6targetE1EEEvSH_: ; @_ZN7rocprim17ROCPRIM_400000_NS6detail17trampoline_kernelINS0_14default_configENS1_38merge_sort_block_merge_config_selectorIilEEZZNS1_27merge_sort_block_merge_implIS3_PiN6thrust23THRUST_200600_302600_NS10device_ptrIlEEjNS1_19radix_merge_compareILb0ELb1EiNS0_19identity_decomposerEEEEE10hipError_tT0_T1_T2_jT3_P12ihipStream_tbPNSt15iterator_traitsISG_E10value_typeEPNSM_ISH_E10value_typeEPSI_NS1_7vsmem_tEENKUlT_SG_SH_SI_E_clIS7_S7_PlSB_EESF_SV_SG_SH_SI_EUlSV_E_NS1_11comp_targetILNS1_3genE0ELNS1_11target_archE4294967295ELNS1_3gpuE0ELNS1_3repE0EEENS1_48merge_mergepath_partition_config_static_selectorELNS0_4arch9wavefront6targetE1EEEvSH_
; %bb.0:
	.section	.rodata,"a",@progbits
	.p2align	6, 0x0
	.amdhsa_kernel _ZN7rocprim17ROCPRIM_400000_NS6detail17trampoline_kernelINS0_14default_configENS1_38merge_sort_block_merge_config_selectorIilEEZZNS1_27merge_sort_block_merge_implIS3_PiN6thrust23THRUST_200600_302600_NS10device_ptrIlEEjNS1_19radix_merge_compareILb0ELb1EiNS0_19identity_decomposerEEEEE10hipError_tT0_T1_T2_jT3_P12ihipStream_tbPNSt15iterator_traitsISG_E10value_typeEPNSM_ISH_E10value_typeEPSI_NS1_7vsmem_tEENKUlT_SG_SH_SI_E_clIS7_S7_PlSB_EESF_SV_SG_SH_SI_EUlSV_E_NS1_11comp_targetILNS1_3genE0ELNS1_11target_archE4294967295ELNS1_3gpuE0ELNS1_3repE0EEENS1_48merge_mergepath_partition_config_static_selectorELNS0_4arch9wavefront6targetE1EEEvSH_
		.amdhsa_group_segment_fixed_size 0
		.amdhsa_private_segment_fixed_size 0
		.amdhsa_kernarg_size 40
		.amdhsa_user_sgpr_count 6
		.amdhsa_user_sgpr_private_segment_buffer 1
		.amdhsa_user_sgpr_dispatch_ptr 0
		.amdhsa_user_sgpr_queue_ptr 0
		.amdhsa_user_sgpr_kernarg_segment_ptr 1
		.amdhsa_user_sgpr_dispatch_id 0
		.amdhsa_user_sgpr_flat_scratch_init 0
		.amdhsa_user_sgpr_private_segment_size 0
		.amdhsa_uses_dynamic_stack 0
		.amdhsa_system_sgpr_private_segment_wavefront_offset 0
		.amdhsa_system_sgpr_workgroup_id_x 1
		.amdhsa_system_sgpr_workgroup_id_y 0
		.amdhsa_system_sgpr_workgroup_id_z 0
		.amdhsa_system_sgpr_workgroup_info 0
		.amdhsa_system_vgpr_workitem_id 0
		.amdhsa_next_free_vgpr 1
		.amdhsa_next_free_sgpr 0
		.amdhsa_reserve_vcc 0
		.amdhsa_reserve_flat_scratch 0
		.amdhsa_float_round_mode_32 0
		.amdhsa_float_round_mode_16_64 0
		.amdhsa_float_denorm_mode_32 3
		.amdhsa_float_denorm_mode_16_64 3
		.amdhsa_dx10_clamp 1
		.amdhsa_ieee_mode 1
		.amdhsa_fp16_overflow 0
		.amdhsa_exception_fp_ieee_invalid_op 0
		.amdhsa_exception_fp_denorm_src 0
		.amdhsa_exception_fp_ieee_div_zero 0
		.amdhsa_exception_fp_ieee_overflow 0
		.amdhsa_exception_fp_ieee_underflow 0
		.amdhsa_exception_fp_ieee_inexact 0
		.amdhsa_exception_int_div_zero 0
	.end_amdhsa_kernel
	.section	.text._ZN7rocprim17ROCPRIM_400000_NS6detail17trampoline_kernelINS0_14default_configENS1_38merge_sort_block_merge_config_selectorIilEEZZNS1_27merge_sort_block_merge_implIS3_PiN6thrust23THRUST_200600_302600_NS10device_ptrIlEEjNS1_19radix_merge_compareILb0ELb1EiNS0_19identity_decomposerEEEEE10hipError_tT0_T1_T2_jT3_P12ihipStream_tbPNSt15iterator_traitsISG_E10value_typeEPNSM_ISH_E10value_typeEPSI_NS1_7vsmem_tEENKUlT_SG_SH_SI_E_clIS7_S7_PlSB_EESF_SV_SG_SH_SI_EUlSV_E_NS1_11comp_targetILNS1_3genE0ELNS1_11target_archE4294967295ELNS1_3gpuE0ELNS1_3repE0EEENS1_48merge_mergepath_partition_config_static_selectorELNS0_4arch9wavefront6targetE1EEEvSH_,"axG",@progbits,_ZN7rocprim17ROCPRIM_400000_NS6detail17trampoline_kernelINS0_14default_configENS1_38merge_sort_block_merge_config_selectorIilEEZZNS1_27merge_sort_block_merge_implIS3_PiN6thrust23THRUST_200600_302600_NS10device_ptrIlEEjNS1_19radix_merge_compareILb0ELb1EiNS0_19identity_decomposerEEEEE10hipError_tT0_T1_T2_jT3_P12ihipStream_tbPNSt15iterator_traitsISG_E10value_typeEPNSM_ISH_E10value_typeEPSI_NS1_7vsmem_tEENKUlT_SG_SH_SI_E_clIS7_S7_PlSB_EESF_SV_SG_SH_SI_EUlSV_E_NS1_11comp_targetILNS1_3genE0ELNS1_11target_archE4294967295ELNS1_3gpuE0ELNS1_3repE0EEENS1_48merge_mergepath_partition_config_static_selectorELNS0_4arch9wavefront6targetE1EEEvSH_,comdat
.Lfunc_end800:
	.size	_ZN7rocprim17ROCPRIM_400000_NS6detail17trampoline_kernelINS0_14default_configENS1_38merge_sort_block_merge_config_selectorIilEEZZNS1_27merge_sort_block_merge_implIS3_PiN6thrust23THRUST_200600_302600_NS10device_ptrIlEEjNS1_19radix_merge_compareILb0ELb1EiNS0_19identity_decomposerEEEEE10hipError_tT0_T1_T2_jT3_P12ihipStream_tbPNSt15iterator_traitsISG_E10value_typeEPNSM_ISH_E10value_typeEPSI_NS1_7vsmem_tEENKUlT_SG_SH_SI_E_clIS7_S7_PlSB_EESF_SV_SG_SH_SI_EUlSV_E_NS1_11comp_targetILNS1_3genE0ELNS1_11target_archE4294967295ELNS1_3gpuE0ELNS1_3repE0EEENS1_48merge_mergepath_partition_config_static_selectorELNS0_4arch9wavefront6targetE1EEEvSH_, .Lfunc_end800-_ZN7rocprim17ROCPRIM_400000_NS6detail17trampoline_kernelINS0_14default_configENS1_38merge_sort_block_merge_config_selectorIilEEZZNS1_27merge_sort_block_merge_implIS3_PiN6thrust23THRUST_200600_302600_NS10device_ptrIlEEjNS1_19radix_merge_compareILb0ELb1EiNS0_19identity_decomposerEEEEE10hipError_tT0_T1_T2_jT3_P12ihipStream_tbPNSt15iterator_traitsISG_E10value_typeEPNSM_ISH_E10value_typeEPSI_NS1_7vsmem_tEENKUlT_SG_SH_SI_E_clIS7_S7_PlSB_EESF_SV_SG_SH_SI_EUlSV_E_NS1_11comp_targetILNS1_3genE0ELNS1_11target_archE4294967295ELNS1_3gpuE0ELNS1_3repE0EEENS1_48merge_mergepath_partition_config_static_selectorELNS0_4arch9wavefront6targetE1EEEvSH_
                                        ; -- End function
	.set _ZN7rocprim17ROCPRIM_400000_NS6detail17trampoline_kernelINS0_14default_configENS1_38merge_sort_block_merge_config_selectorIilEEZZNS1_27merge_sort_block_merge_implIS3_PiN6thrust23THRUST_200600_302600_NS10device_ptrIlEEjNS1_19radix_merge_compareILb0ELb1EiNS0_19identity_decomposerEEEEE10hipError_tT0_T1_T2_jT3_P12ihipStream_tbPNSt15iterator_traitsISG_E10value_typeEPNSM_ISH_E10value_typeEPSI_NS1_7vsmem_tEENKUlT_SG_SH_SI_E_clIS7_S7_PlSB_EESF_SV_SG_SH_SI_EUlSV_E_NS1_11comp_targetILNS1_3genE0ELNS1_11target_archE4294967295ELNS1_3gpuE0ELNS1_3repE0EEENS1_48merge_mergepath_partition_config_static_selectorELNS0_4arch9wavefront6targetE1EEEvSH_.num_vgpr, 0
	.set _ZN7rocprim17ROCPRIM_400000_NS6detail17trampoline_kernelINS0_14default_configENS1_38merge_sort_block_merge_config_selectorIilEEZZNS1_27merge_sort_block_merge_implIS3_PiN6thrust23THRUST_200600_302600_NS10device_ptrIlEEjNS1_19radix_merge_compareILb0ELb1EiNS0_19identity_decomposerEEEEE10hipError_tT0_T1_T2_jT3_P12ihipStream_tbPNSt15iterator_traitsISG_E10value_typeEPNSM_ISH_E10value_typeEPSI_NS1_7vsmem_tEENKUlT_SG_SH_SI_E_clIS7_S7_PlSB_EESF_SV_SG_SH_SI_EUlSV_E_NS1_11comp_targetILNS1_3genE0ELNS1_11target_archE4294967295ELNS1_3gpuE0ELNS1_3repE0EEENS1_48merge_mergepath_partition_config_static_selectorELNS0_4arch9wavefront6targetE1EEEvSH_.num_agpr, 0
	.set _ZN7rocprim17ROCPRIM_400000_NS6detail17trampoline_kernelINS0_14default_configENS1_38merge_sort_block_merge_config_selectorIilEEZZNS1_27merge_sort_block_merge_implIS3_PiN6thrust23THRUST_200600_302600_NS10device_ptrIlEEjNS1_19radix_merge_compareILb0ELb1EiNS0_19identity_decomposerEEEEE10hipError_tT0_T1_T2_jT3_P12ihipStream_tbPNSt15iterator_traitsISG_E10value_typeEPNSM_ISH_E10value_typeEPSI_NS1_7vsmem_tEENKUlT_SG_SH_SI_E_clIS7_S7_PlSB_EESF_SV_SG_SH_SI_EUlSV_E_NS1_11comp_targetILNS1_3genE0ELNS1_11target_archE4294967295ELNS1_3gpuE0ELNS1_3repE0EEENS1_48merge_mergepath_partition_config_static_selectorELNS0_4arch9wavefront6targetE1EEEvSH_.numbered_sgpr, 0
	.set _ZN7rocprim17ROCPRIM_400000_NS6detail17trampoline_kernelINS0_14default_configENS1_38merge_sort_block_merge_config_selectorIilEEZZNS1_27merge_sort_block_merge_implIS3_PiN6thrust23THRUST_200600_302600_NS10device_ptrIlEEjNS1_19radix_merge_compareILb0ELb1EiNS0_19identity_decomposerEEEEE10hipError_tT0_T1_T2_jT3_P12ihipStream_tbPNSt15iterator_traitsISG_E10value_typeEPNSM_ISH_E10value_typeEPSI_NS1_7vsmem_tEENKUlT_SG_SH_SI_E_clIS7_S7_PlSB_EESF_SV_SG_SH_SI_EUlSV_E_NS1_11comp_targetILNS1_3genE0ELNS1_11target_archE4294967295ELNS1_3gpuE0ELNS1_3repE0EEENS1_48merge_mergepath_partition_config_static_selectorELNS0_4arch9wavefront6targetE1EEEvSH_.num_named_barrier, 0
	.set _ZN7rocprim17ROCPRIM_400000_NS6detail17trampoline_kernelINS0_14default_configENS1_38merge_sort_block_merge_config_selectorIilEEZZNS1_27merge_sort_block_merge_implIS3_PiN6thrust23THRUST_200600_302600_NS10device_ptrIlEEjNS1_19radix_merge_compareILb0ELb1EiNS0_19identity_decomposerEEEEE10hipError_tT0_T1_T2_jT3_P12ihipStream_tbPNSt15iterator_traitsISG_E10value_typeEPNSM_ISH_E10value_typeEPSI_NS1_7vsmem_tEENKUlT_SG_SH_SI_E_clIS7_S7_PlSB_EESF_SV_SG_SH_SI_EUlSV_E_NS1_11comp_targetILNS1_3genE0ELNS1_11target_archE4294967295ELNS1_3gpuE0ELNS1_3repE0EEENS1_48merge_mergepath_partition_config_static_selectorELNS0_4arch9wavefront6targetE1EEEvSH_.private_seg_size, 0
	.set _ZN7rocprim17ROCPRIM_400000_NS6detail17trampoline_kernelINS0_14default_configENS1_38merge_sort_block_merge_config_selectorIilEEZZNS1_27merge_sort_block_merge_implIS3_PiN6thrust23THRUST_200600_302600_NS10device_ptrIlEEjNS1_19radix_merge_compareILb0ELb1EiNS0_19identity_decomposerEEEEE10hipError_tT0_T1_T2_jT3_P12ihipStream_tbPNSt15iterator_traitsISG_E10value_typeEPNSM_ISH_E10value_typeEPSI_NS1_7vsmem_tEENKUlT_SG_SH_SI_E_clIS7_S7_PlSB_EESF_SV_SG_SH_SI_EUlSV_E_NS1_11comp_targetILNS1_3genE0ELNS1_11target_archE4294967295ELNS1_3gpuE0ELNS1_3repE0EEENS1_48merge_mergepath_partition_config_static_selectorELNS0_4arch9wavefront6targetE1EEEvSH_.uses_vcc, 0
	.set _ZN7rocprim17ROCPRIM_400000_NS6detail17trampoline_kernelINS0_14default_configENS1_38merge_sort_block_merge_config_selectorIilEEZZNS1_27merge_sort_block_merge_implIS3_PiN6thrust23THRUST_200600_302600_NS10device_ptrIlEEjNS1_19radix_merge_compareILb0ELb1EiNS0_19identity_decomposerEEEEE10hipError_tT0_T1_T2_jT3_P12ihipStream_tbPNSt15iterator_traitsISG_E10value_typeEPNSM_ISH_E10value_typeEPSI_NS1_7vsmem_tEENKUlT_SG_SH_SI_E_clIS7_S7_PlSB_EESF_SV_SG_SH_SI_EUlSV_E_NS1_11comp_targetILNS1_3genE0ELNS1_11target_archE4294967295ELNS1_3gpuE0ELNS1_3repE0EEENS1_48merge_mergepath_partition_config_static_selectorELNS0_4arch9wavefront6targetE1EEEvSH_.uses_flat_scratch, 0
	.set _ZN7rocprim17ROCPRIM_400000_NS6detail17trampoline_kernelINS0_14default_configENS1_38merge_sort_block_merge_config_selectorIilEEZZNS1_27merge_sort_block_merge_implIS3_PiN6thrust23THRUST_200600_302600_NS10device_ptrIlEEjNS1_19radix_merge_compareILb0ELb1EiNS0_19identity_decomposerEEEEE10hipError_tT0_T1_T2_jT3_P12ihipStream_tbPNSt15iterator_traitsISG_E10value_typeEPNSM_ISH_E10value_typeEPSI_NS1_7vsmem_tEENKUlT_SG_SH_SI_E_clIS7_S7_PlSB_EESF_SV_SG_SH_SI_EUlSV_E_NS1_11comp_targetILNS1_3genE0ELNS1_11target_archE4294967295ELNS1_3gpuE0ELNS1_3repE0EEENS1_48merge_mergepath_partition_config_static_selectorELNS0_4arch9wavefront6targetE1EEEvSH_.has_dyn_sized_stack, 0
	.set _ZN7rocprim17ROCPRIM_400000_NS6detail17trampoline_kernelINS0_14default_configENS1_38merge_sort_block_merge_config_selectorIilEEZZNS1_27merge_sort_block_merge_implIS3_PiN6thrust23THRUST_200600_302600_NS10device_ptrIlEEjNS1_19radix_merge_compareILb0ELb1EiNS0_19identity_decomposerEEEEE10hipError_tT0_T1_T2_jT3_P12ihipStream_tbPNSt15iterator_traitsISG_E10value_typeEPNSM_ISH_E10value_typeEPSI_NS1_7vsmem_tEENKUlT_SG_SH_SI_E_clIS7_S7_PlSB_EESF_SV_SG_SH_SI_EUlSV_E_NS1_11comp_targetILNS1_3genE0ELNS1_11target_archE4294967295ELNS1_3gpuE0ELNS1_3repE0EEENS1_48merge_mergepath_partition_config_static_selectorELNS0_4arch9wavefront6targetE1EEEvSH_.has_recursion, 0
	.set _ZN7rocprim17ROCPRIM_400000_NS6detail17trampoline_kernelINS0_14default_configENS1_38merge_sort_block_merge_config_selectorIilEEZZNS1_27merge_sort_block_merge_implIS3_PiN6thrust23THRUST_200600_302600_NS10device_ptrIlEEjNS1_19radix_merge_compareILb0ELb1EiNS0_19identity_decomposerEEEEE10hipError_tT0_T1_T2_jT3_P12ihipStream_tbPNSt15iterator_traitsISG_E10value_typeEPNSM_ISH_E10value_typeEPSI_NS1_7vsmem_tEENKUlT_SG_SH_SI_E_clIS7_S7_PlSB_EESF_SV_SG_SH_SI_EUlSV_E_NS1_11comp_targetILNS1_3genE0ELNS1_11target_archE4294967295ELNS1_3gpuE0ELNS1_3repE0EEENS1_48merge_mergepath_partition_config_static_selectorELNS0_4arch9wavefront6targetE1EEEvSH_.has_indirect_call, 0
	.section	.AMDGPU.csdata,"",@progbits
; Kernel info:
; codeLenInByte = 0
; TotalNumSgprs: 4
; NumVgprs: 0
; ScratchSize: 0
; MemoryBound: 0
; FloatMode: 240
; IeeeMode: 1
; LDSByteSize: 0 bytes/workgroup (compile time only)
; SGPRBlocks: 0
; VGPRBlocks: 0
; NumSGPRsForWavesPerEU: 4
; NumVGPRsForWavesPerEU: 1
; Occupancy: 10
; WaveLimiterHint : 0
; COMPUTE_PGM_RSRC2:SCRATCH_EN: 0
; COMPUTE_PGM_RSRC2:USER_SGPR: 6
; COMPUTE_PGM_RSRC2:TRAP_HANDLER: 0
; COMPUTE_PGM_RSRC2:TGID_X_EN: 1
; COMPUTE_PGM_RSRC2:TGID_Y_EN: 0
; COMPUTE_PGM_RSRC2:TGID_Z_EN: 0
; COMPUTE_PGM_RSRC2:TIDIG_COMP_CNT: 0
	.section	.text._ZN7rocprim17ROCPRIM_400000_NS6detail17trampoline_kernelINS0_14default_configENS1_38merge_sort_block_merge_config_selectorIilEEZZNS1_27merge_sort_block_merge_implIS3_PiN6thrust23THRUST_200600_302600_NS10device_ptrIlEEjNS1_19radix_merge_compareILb0ELb1EiNS0_19identity_decomposerEEEEE10hipError_tT0_T1_T2_jT3_P12ihipStream_tbPNSt15iterator_traitsISG_E10value_typeEPNSM_ISH_E10value_typeEPSI_NS1_7vsmem_tEENKUlT_SG_SH_SI_E_clIS7_S7_PlSB_EESF_SV_SG_SH_SI_EUlSV_E_NS1_11comp_targetILNS1_3genE10ELNS1_11target_archE1201ELNS1_3gpuE5ELNS1_3repE0EEENS1_48merge_mergepath_partition_config_static_selectorELNS0_4arch9wavefront6targetE1EEEvSH_,"axG",@progbits,_ZN7rocprim17ROCPRIM_400000_NS6detail17trampoline_kernelINS0_14default_configENS1_38merge_sort_block_merge_config_selectorIilEEZZNS1_27merge_sort_block_merge_implIS3_PiN6thrust23THRUST_200600_302600_NS10device_ptrIlEEjNS1_19radix_merge_compareILb0ELb1EiNS0_19identity_decomposerEEEEE10hipError_tT0_T1_T2_jT3_P12ihipStream_tbPNSt15iterator_traitsISG_E10value_typeEPNSM_ISH_E10value_typeEPSI_NS1_7vsmem_tEENKUlT_SG_SH_SI_E_clIS7_S7_PlSB_EESF_SV_SG_SH_SI_EUlSV_E_NS1_11comp_targetILNS1_3genE10ELNS1_11target_archE1201ELNS1_3gpuE5ELNS1_3repE0EEENS1_48merge_mergepath_partition_config_static_selectorELNS0_4arch9wavefront6targetE1EEEvSH_,comdat
	.protected	_ZN7rocprim17ROCPRIM_400000_NS6detail17trampoline_kernelINS0_14default_configENS1_38merge_sort_block_merge_config_selectorIilEEZZNS1_27merge_sort_block_merge_implIS3_PiN6thrust23THRUST_200600_302600_NS10device_ptrIlEEjNS1_19radix_merge_compareILb0ELb1EiNS0_19identity_decomposerEEEEE10hipError_tT0_T1_T2_jT3_P12ihipStream_tbPNSt15iterator_traitsISG_E10value_typeEPNSM_ISH_E10value_typeEPSI_NS1_7vsmem_tEENKUlT_SG_SH_SI_E_clIS7_S7_PlSB_EESF_SV_SG_SH_SI_EUlSV_E_NS1_11comp_targetILNS1_3genE10ELNS1_11target_archE1201ELNS1_3gpuE5ELNS1_3repE0EEENS1_48merge_mergepath_partition_config_static_selectorELNS0_4arch9wavefront6targetE1EEEvSH_ ; -- Begin function _ZN7rocprim17ROCPRIM_400000_NS6detail17trampoline_kernelINS0_14default_configENS1_38merge_sort_block_merge_config_selectorIilEEZZNS1_27merge_sort_block_merge_implIS3_PiN6thrust23THRUST_200600_302600_NS10device_ptrIlEEjNS1_19radix_merge_compareILb0ELb1EiNS0_19identity_decomposerEEEEE10hipError_tT0_T1_T2_jT3_P12ihipStream_tbPNSt15iterator_traitsISG_E10value_typeEPNSM_ISH_E10value_typeEPSI_NS1_7vsmem_tEENKUlT_SG_SH_SI_E_clIS7_S7_PlSB_EESF_SV_SG_SH_SI_EUlSV_E_NS1_11comp_targetILNS1_3genE10ELNS1_11target_archE1201ELNS1_3gpuE5ELNS1_3repE0EEENS1_48merge_mergepath_partition_config_static_selectorELNS0_4arch9wavefront6targetE1EEEvSH_
	.globl	_ZN7rocprim17ROCPRIM_400000_NS6detail17trampoline_kernelINS0_14default_configENS1_38merge_sort_block_merge_config_selectorIilEEZZNS1_27merge_sort_block_merge_implIS3_PiN6thrust23THRUST_200600_302600_NS10device_ptrIlEEjNS1_19radix_merge_compareILb0ELb1EiNS0_19identity_decomposerEEEEE10hipError_tT0_T1_T2_jT3_P12ihipStream_tbPNSt15iterator_traitsISG_E10value_typeEPNSM_ISH_E10value_typeEPSI_NS1_7vsmem_tEENKUlT_SG_SH_SI_E_clIS7_S7_PlSB_EESF_SV_SG_SH_SI_EUlSV_E_NS1_11comp_targetILNS1_3genE10ELNS1_11target_archE1201ELNS1_3gpuE5ELNS1_3repE0EEENS1_48merge_mergepath_partition_config_static_selectorELNS0_4arch9wavefront6targetE1EEEvSH_
	.p2align	8
	.type	_ZN7rocprim17ROCPRIM_400000_NS6detail17trampoline_kernelINS0_14default_configENS1_38merge_sort_block_merge_config_selectorIilEEZZNS1_27merge_sort_block_merge_implIS3_PiN6thrust23THRUST_200600_302600_NS10device_ptrIlEEjNS1_19radix_merge_compareILb0ELb1EiNS0_19identity_decomposerEEEEE10hipError_tT0_T1_T2_jT3_P12ihipStream_tbPNSt15iterator_traitsISG_E10value_typeEPNSM_ISH_E10value_typeEPSI_NS1_7vsmem_tEENKUlT_SG_SH_SI_E_clIS7_S7_PlSB_EESF_SV_SG_SH_SI_EUlSV_E_NS1_11comp_targetILNS1_3genE10ELNS1_11target_archE1201ELNS1_3gpuE5ELNS1_3repE0EEENS1_48merge_mergepath_partition_config_static_selectorELNS0_4arch9wavefront6targetE1EEEvSH_,@function
_ZN7rocprim17ROCPRIM_400000_NS6detail17trampoline_kernelINS0_14default_configENS1_38merge_sort_block_merge_config_selectorIilEEZZNS1_27merge_sort_block_merge_implIS3_PiN6thrust23THRUST_200600_302600_NS10device_ptrIlEEjNS1_19radix_merge_compareILb0ELb1EiNS0_19identity_decomposerEEEEE10hipError_tT0_T1_T2_jT3_P12ihipStream_tbPNSt15iterator_traitsISG_E10value_typeEPNSM_ISH_E10value_typeEPSI_NS1_7vsmem_tEENKUlT_SG_SH_SI_E_clIS7_S7_PlSB_EESF_SV_SG_SH_SI_EUlSV_E_NS1_11comp_targetILNS1_3genE10ELNS1_11target_archE1201ELNS1_3gpuE5ELNS1_3repE0EEENS1_48merge_mergepath_partition_config_static_selectorELNS0_4arch9wavefront6targetE1EEEvSH_: ; @_ZN7rocprim17ROCPRIM_400000_NS6detail17trampoline_kernelINS0_14default_configENS1_38merge_sort_block_merge_config_selectorIilEEZZNS1_27merge_sort_block_merge_implIS3_PiN6thrust23THRUST_200600_302600_NS10device_ptrIlEEjNS1_19radix_merge_compareILb0ELb1EiNS0_19identity_decomposerEEEEE10hipError_tT0_T1_T2_jT3_P12ihipStream_tbPNSt15iterator_traitsISG_E10value_typeEPNSM_ISH_E10value_typeEPSI_NS1_7vsmem_tEENKUlT_SG_SH_SI_E_clIS7_S7_PlSB_EESF_SV_SG_SH_SI_EUlSV_E_NS1_11comp_targetILNS1_3genE10ELNS1_11target_archE1201ELNS1_3gpuE5ELNS1_3repE0EEENS1_48merge_mergepath_partition_config_static_selectorELNS0_4arch9wavefront6targetE1EEEvSH_
; %bb.0:
	.section	.rodata,"a",@progbits
	.p2align	6, 0x0
	.amdhsa_kernel _ZN7rocprim17ROCPRIM_400000_NS6detail17trampoline_kernelINS0_14default_configENS1_38merge_sort_block_merge_config_selectorIilEEZZNS1_27merge_sort_block_merge_implIS3_PiN6thrust23THRUST_200600_302600_NS10device_ptrIlEEjNS1_19radix_merge_compareILb0ELb1EiNS0_19identity_decomposerEEEEE10hipError_tT0_T1_T2_jT3_P12ihipStream_tbPNSt15iterator_traitsISG_E10value_typeEPNSM_ISH_E10value_typeEPSI_NS1_7vsmem_tEENKUlT_SG_SH_SI_E_clIS7_S7_PlSB_EESF_SV_SG_SH_SI_EUlSV_E_NS1_11comp_targetILNS1_3genE10ELNS1_11target_archE1201ELNS1_3gpuE5ELNS1_3repE0EEENS1_48merge_mergepath_partition_config_static_selectorELNS0_4arch9wavefront6targetE1EEEvSH_
		.amdhsa_group_segment_fixed_size 0
		.amdhsa_private_segment_fixed_size 0
		.amdhsa_kernarg_size 40
		.amdhsa_user_sgpr_count 6
		.amdhsa_user_sgpr_private_segment_buffer 1
		.amdhsa_user_sgpr_dispatch_ptr 0
		.amdhsa_user_sgpr_queue_ptr 0
		.amdhsa_user_sgpr_kernarg_segment_ptr 1
		.amdhsa_user_sgpr_dispatch_id 0
		.amdhsa_user_sgpr_flat_scratch_init 0
		.amdhsa_user_sgpr_private_segment_size 0
		.amdhsa_uses_dynamic_stack 0
		.amdhsa_system_sgpr_private_segment_wavefront_offset 0
		.amdhsa_system_sgpr_workgroup_id_x 1
		.amdhsa_system_sgpr_workgroup_id_y 0
		.amdhsa_system_sgpr_workgroup_id_z 0
		.amdhsa_system_sgpr_workgroup_info 0
		.amdhsa_system_vgpr_workitem_id 0
		.amdhsa_next_free_vgpr 1
		.amdhsa_next_free_sgpr 0
		.amdhsa_reserve_vcc 0
		.amdhsa_reserve_flat_scratch 0
		.amdhsa_float_round_mode_32 0
		.amdhsa_float_round_mode_16_64 0
		.amdhsa_float_denorm_mode_32 3
		.amdhsa_float_denorm_mode_16_64 3
		.amdhsa_dx10_clamp 1
		.amdhsa_ieee_mode 1
		.amdhsa_fp16_overflow 0
		.amdhsa_exception_fp_ieee_invalid_op 0
		.amdhsa_exception_fp_denorm_src 0
		.amdhsa_exception_fp_ieee_div_zero 0
		.amdhsa_exception_fp_ieee_overflow 0
		.amdhsa_exception_fp_ieee_underflow 0
		.amdhsa_exception_fp_ieee_inexact 0
		.amdhsa_exception_int_div_zero 0
	.end_amdhsa_kernel
	.section	.text._ZN7rocprim17ROCPRIM_400000_NS6detail17trampoline_kernelINS0_14default_configENS1_38merge_sort_block_merge_config_selectorIilEEZZNS1_27merge_sort_block_merge_implIS3_PiN6thrust23THRUST_200600_302600_NS10device_ptrIlEEjNS1_19radix_merge_compareILb0ELb1EiNS0_19identity_decomposerEEEEE10hipError_tT0_T1_T2_jT3_P12ihipStream_tbPNSt15iterator_traitsISG_E10value_typeEPNSM_ISH_E10value_typeEPSI_NS1_7vsmem_tEENKUlT_SG_SH_SI_E_clIS7_S7_PlSB_EESF_SV_SG_SH_SI_EUlSV_E_NS1_11comp_targetILNS1_3genE10ELNS1_11target_archE1201ELNS1_3gpuE5ELNS1_3repE0EEENS1_48merge_mergepath_partition_config_static_selectorELNS0_4arch9wavefront6targetE1EEEvSH_,"axG",@progbits,_ZN7rocprim17ROCPRIM_400000_NS6detail17trampoline_kernelINS0_14default_configENS1_38merge_sort_block_merge_config_selectorIilEEZZNS1_27merge_sort_block_merge_implIS3_PiN6thrust23THRUST_200600_302600_NS10device_ptrIlEEjNS1_19radix_merge_compareILb0ELb1EiNS0_19identity_decomposerEEEEE10hipError_tT0_T1_T2_jT3_P12ihipStream_tbPNSt15iterator_traitsISG_E10value_typeEPNSM_ISH_E10value_typeEPSI_NS1_7vsmem_tEENKUlT_SG_SH_SI_E_clIS7_S7_PlSB_EESF_SV_SG_SH_SI_EUlSV_E_NS1_11comp_targetILNS1_3genE10ELNS1_11target_archE1201ELNS1_3gpuE5ELNS1_3repE0EEENS1_48merge_mergepath_partition_config_static_selectorELNS0_4arch9wavefront6targetE1EEEvSH_,comdat
.Lfunc_end801:
	.size	_ZN7rocprim17ROCPRIM_400000_NS6detail17trampoline_kernelINS0_14default_configENS1_38merge_sort_block_merge_config_selectorIilEEZZNS1_27merge_sort_block_merge_implIS3_PiN6thrust23THRUST_200600_302600_NS10device_ptrIlEEjNS1_19radix_merge_compareILb0ELb1EiNS0_19identity_decomposerEEEEE10hipError_tT0_T1_T2_jT3_P12ihipStream_tbPNSt15iterator_traitsISG_E10value_typeEPNSM_ISH_E10value_typeEPSI_NS1_7vsmem_tEENKUlT_SG_SH_SI_E_clIS7_S7_PlSB_EESF_SV_SG_SH_SI_EUlSV_E_NS1_11comp_targetILNS1_3genE10ELNS1_11target_archE1201ELNS1_3gpuE5ELNS1_3repE0EEENS1_48merge_mergepath_partition_config_static_selectorELNS0_4arch9wavefront6targetE1EEEvSH_, .Lfunc_end801-_ZN7rocprim17ROCPRIM_400000_NS6detail17trampoline_kernelINS0_14default_configENS1_38merge_sort_block_merge_config_selectorIilEEZZNS1_27merge_sort_block_merge_implIS3_PiN6thrust23THRUST_200600_302600_NS10device_ptrIlEEjNS1_19radix_merge_compareILb0ELb1EiNS0_19identity_decomposerEEEEE10hipError_tT0_T1_T2_jT3_P12ihipStream_tbPNSt15iterator_traitsISG_E10value_typeEPNSM_ISH_E10value_typeEPSI_NS1_7vsmem_tEENKUlT_SG_SH_SI_E_clIS7_S7_PlSB_EESF_SV_SG_SH_SI_EUlSV_E_NS1_11comp_targetILNS1_3genE10ELNS1_11target_archE1201ELNS1_3gpuE5ELNS1_3repE0EEENS1_48merge_mergepath_partition_config_static_selectorELNS0_4arch9wavefront6targetE1EEEvSH_
                                        ; -- End function
	.set _ZN7rocprim17ROCPRIM_400000_NS6detail17trampoline_kernelINS0_14default_configENS1_38merge_sort_block_merge_config_selectorIilEEZZNS1_27merge_sort_block_merge_implIS3_PiN6thrust23THRUST_200600_302600_NS10device_ptrIlEEjNS1_19radix_merge_compareILb0ELb1EiNS0_19identity_decomposerEEEEE10hipError_tT0_T1_T2_jT3_P12ihipStream_tbPNSt15iterator_traitsISG_E10value_typeEPNSM_ISH_E10value_typeEPSI_NS1_7vsmem_tEENKUlT_SG_SH_SI_E_clIS7_S7_PlSB_EESF_SV_SG_SH_SI_EUlSV_E_NS1_11comp_targetILNS1_3genE10ELNS1_11target_archE1201ELNS1_3gpuE5ELNS1_3repE0EEENS1_48merge_mergepath_partition_config_static_selectorELNS0_4arch9wavefront6targetE1EEEvSH_.num_vgpr, 0
	.set _ZN7rocprim17ROCPRIM_400000_NS6detail17trampoline_kernelINS0_14default_configENS1_38merge_sort_block_merge_config_selectorIilEEZZNS1_27merge_sort_block_merge_implIS3_PiN6thrust23THRUST_200600_302600_NS10device_ptrIlEEjNS1_19radix_merge_compareILb0ELb1EiNS0_19identity_decomposerEEEEE10hipError_tT0_T1_T2_jT3_P12ihipStream_tbPNSt15iterator_traitsISG_E10value_typeEPNSM_ISH_E10value_typeEPSI_NS1_7vsmem_tEENKUlT_SG_SH_SI_E_clIS7_S7_PlSB_EESF_SV_SG_SH_SI_EUlSV_E_NS1_11comp_targetILNS1_3genE10ELNS1_11target_archE1201ELNS1_3gpuE5ELNS1_3repE0EEENS1_48merge_mergepath_partition_config_static_selectorELNS0_4arch9wavefront6targetE1EEEvSH_.num_agpr, 0
	.set _ZN7rocprim17ROCPRIM_400000_NS6detail17trampoline_kernelINS0_14default_configENS1_38merge_sort_block_merge_config_selectorIilEEZZNS1_27merge_sort_block_merge_implIS3_PiN6thrust23THRUST_200600_302600_NS10device_ptrIlEEjNS1_19radix_merge_compareILb0ELb1EiNS0_19identity_decomposerEEEEE10hipError_tT0_T1_T2_jT3_P12ihipStream_tbPNSt15iterator_traitsISG_E10value_typeEPNSM_ISH_E10value_typeEPSI_NS1_7vsmem_tEENKUlT_SG_SH_SI_E_clIS7_S7_PlSB_EESF_SV_SG_SH_SI_EUlSV_E_NS1_11comp_targetILNS1_3genE10ELNS1_11target_archE1201ELNS1_3gpuE5ELNS1_3repE0EEENS1_48merge_mergepath_partition_config_static_selectorELNS0_4arch9wavefront6targetE1EEEvSH_.numbered_sgpr, 0
	.set _ZN7rocprim17ROCPRIM_400000_NS6detail17trampoline_kernelINS0_14default_configENS1_38merge_sort_block_merge_config_selectorIilEEZZNS1_27merge_sort_block_merge_implIS3_PiN6thrust23THRUST_200600_302600_NS10device_ptrIlEEjNS1_19radix_merge_compareILb0ELb1EiNS0_19identity_decomposerEEEEE10hipError_tT0_T1_T2_jT3_P12ihipStream_tbPNSt15iterator_traitsISG_E10value_typeEPNSM_ISH_E10value_typeEPSI_NS1_7vsmem_tEENKUlT_SG_SH_SI_E_clIS7_S7_PlSB_EESF_SV_SG_SH_SI_EUlSV_E_NS1_11comp_targetILNS1_3genE10ELNS1_11target_archE1201ELNS1_3gpuE5ELNS1_3repE0EEENS1_48merge_mergepath_partition_config_static_selectorELNS0_4arch9wavefront6targetE1EEEvSH_.num_named_barrier, 0
	.set _ZN7rocprim17ROCPRIM_400000_NS6detail17trampoline_kernelINS0_14default_configENS1_38merge_sort_block_merge_config_selectorIilEEZZNS1_27merge_sort_block_merge_implIS3_PiN6thrust23THRUST_200600_302600_NS10device_ptrIlEEjNS1_19radix_merge_compareILb0ELb1EiNS0_19identity_decomposerEEEEE10hipError_tT0_T1_T2_jT3_P12ihipStream_tbPNSt15iterator_traitsISG_E10value_typeEPNSM_ISH_E10value_typeEPSI_NS1_7vsmem_tEENKUlT_SG_SH_SI_E_clIS7_S7_PlSB_EESF_SV_SG_SH_SI_EUlSV_E_NS1_11comp_targetILNS1_3genE10ELNS1_11target_archE1201ELNS1_3gpuE5ELNS1_3repE0EEENS1_48merge_mergepath_partition_config_static_selectorELNS0_4arch9wavefront6targetE1EEEvSH_.private_seg_size, 0
	.set _ZN7rocprim17ROCPRIM_400000_NS6detail17trampoline_kernelINS0_14default_configENS1_38merge_sort_block_merge_config_selectorIilEEZZNS1_27merge_sort_block_merge_implIS3_PiN6thrust23THRUST_200600_302600_NS10device_ptrIlEEjNS1_19radix_merge_compareILb0ELb1EiNS0_19identity_decomposerEEEEE10hipError_tT0_T1_T2_jT3_P12ihipStream_tbPNSt15iterator_traitsISG_E10value_typeEPNSM_ISH_E10value_typeEPSI_NS1_7vsmem_tEENKUlT_SG_SH_SI_E_clIS7_S7_PlSB_EESF_SV_SG_SH_SI_EUlSV_E_NS1_11comp_targetILNS1_3genE10ELNS1_11target_archE1201ELNS1_3gpuE5ELNS1_3repE0EEENS1_48merge_mergepath_partition_config_static_selectorELNS0_4arch9wavefront6targetE1EEEvSH_.uses_vcc, 0
	.set _ZN7rocprim17ROCPRIM_400000_NS6detail17trampoline_kernelINS0_14default_configENS1_38merge_sort_block_merge_config_selectorIilEEZZNS1_27merge_sort_block_merge_implIS3_PiN6thrust23THRUST_200600_302600_NS10device_ptrIlEEjNS1_19radix_merge_compareILb0ELb1EiNS0_19identity_decomposerEEEEE10hipError_tT0_T1_T2_jT3_P12ihipStream_tbPNSt15iterator_traitsISG_E10value_typeEPNSM_ISH_E10value_typeEPSI_NS1_7vsmem_tEENKUlT_SG_SH_SI_E_clIS7_S7_PlSB_EESF_SV_SG_SH_SI_EUlSV_E_NS1_11comp_targetILNS1_3genE10ELNS1_11target_archE1201ELNS1_3gpuE5ELNS1_3repE0EEENS1_48merge_mergepath_partition_config_static_selectorELNS0_4arch9wavefront6targetE1EEEvSH_.uses_flat_scratch, 0
	.set _ZN7rocprim17ROCPRIM_400000_NS6detail17trampoline_kernelINS0_14default_configENS1_38merge_sort_block_merge_config_selectorIilEEZZNS1_27merge_sort_block_merge_implIS3_PiN6thrust23THRUST_200600_302600_NS10device_ptrIlEEjNS1_19radix_merge_compareILb0ELb1EiNS0_19identity_decomposerEEEEE10hipError_tT0_T1_T2_jT3_P12ihipStream_tbPNSt15iterator_traitsISG_E10value_typeEPNSM_ISH_E10value_typeEPSI_NS1_7vsmem_tEENKUlT_SG_SH_SI_E_clIS7_S7_PlSB_EESF_SV_SG_SH_SI_EUlSV_E_NS1_11comp_targetILNS1_3genE10ELNS1_11target_archE1201ELNS1_3gpuE5ELNS1_3repE0EEENS1_48merge_mergepath_partition_config_static_selectorELNS0_4arch9wavefront6targetE1EEEvSH_.has_dyn_sized_stack, 0
	.set _ZN7rocprim17ROCPRIM_400000_NS6detail17trampoline_kernelINS0_14default_configENS1_38merge_sort_block_merge_config_selectorIilEEZZNS1_27merge_sort_block_merge_implIS3_PiN6thrust23THRUST_200600_302600_NS10device_ptrIlEEjNS1_19radix_merge_compareILb0ELb1EiNS0_19identity_decomposerEEEEE10hipError_tT0_T1_T2_jT3_P12ihipStream_tbPNSt15iterator_traitsISG_E10value_typeEPNSM_ISH_E10value_typeEPSI_NS1_7vsmem_tEENKUlT_SG_SH_SI_E_clIS7_S7_PlSB_EESF_SV_SG_SH_SI_EUlSV_E_NS1_11comp_targetILNS1_3genE10ELNS1_11target_archE1201ELNS1_3gpuE5ELNS1_3repE0EEENS1_48merge_mergepath_partition_config_static_selectorELNS0_4arch9wavefront6targetE1EEEvSH_.has_recursion, 0
	.set _ZN7rocprim17ROCPRIM_400000_NS6detail17trampoline_kernelINS0_14default_configENS1_38merge_sort_block_merge_config_selectorIilEEZZNS1_27merge_sort_block_merge_implIS3_PiN6thrust23THRUST_200600_302600_NS10device_ptrIlEEjNS1_19radix_merge_compareILb0ELb1EiNS0_19identity_decomposerEEEEE10hipError_tT0_T1_T2_jT3_P12ihipStream_tbPNSt15iterator_traitsISG_E10value_typeEPNSM_ISH_E10value_typeEPSI_NS1_7vsmem_tEENKUlT_SG_SH_SI_E_clIS7_S7_PlSB_EESF_SV_SG_SH_SI_EUlSV_E_NS1_11comp_targetILNS1_3genE10ELNS1_11target_archE1201ELNS1_3gpuE5ELNS1_3repE0EEENS1_48merge_mergepath_partition_config_static_selectorELNS0_4arch9wavefront6targetE1EEEvSH_.has_indirect_call, 0
	.section	.AMDGPU.csdata,"",@progbits
; Kernel info:
; codeLenInByte = 0
; TotalNumSgprs: 4
; NumVgprs: 0
; ScratchSize: 0
; MemoryBound: 0
; FloatMode: 240
; IeeeMode: 1
; LDSByteSize: 0 bytes/workgroup (compile time only)
; SGPRBlocks: 0
; VGPRBlocks: 0
; NumSGPRsForWavesPerEU: 4
; NumVGPRsForWavesPerEU: 1
; Occupancy: 10
; WaveLimiterHint : 0
; COMPUTE_PGM_RSRC2:SCRATCH_EN: 0
; COMPUTE_PGM_RSRC2:USER_SGPR: 6
; COMPUTE_PGM_RSRC2:TRAP_HANDLER: 0
; COMPUTE_PGM_RSRC2:TGID_X_EN: 1
; COMPUTE_PGM_RSRC2:TGID_Y_EN: 0
; COMPUTE_PGM_RSRC2:TGID_Z_EN: 0
; COMPUTE_PGM_RSRC2:TIDIG_COMP_CNT: 0
	.section	.text._ZN7rocprim17ROCPRIM_400000_NS6detail17trampoline_kernelINS0_14default_configENS1_38merge_sort_block_merge_config_selectorIilEEZZNS1_27merge_sort_block_merge_implIS3_PiN6thrust23THRUST_200600_302600_NS10device_ptrIlEEjNS1_19radix_merge_compareILb0ELb1EiNS0_19identity_decomposerEEEEE10hipError_tT0_T1_T2_jT3_P12ihipStream_tbPNSt15iterator_traitsISG_E10value_typeEPNSM_ISH_E10value_typeEPSI_NS1_7vsmem_tEENKUlT_SG_SH_SI_E_clIS7_S7_PlSB_EESF_SV_SG_SH_SI_EUlSV_E_NS1_11comp_targetILNS1_3genE5ELNS1_11target_archE942ELNS1_3gpuE9ELNS1_3repE0EEENS1_48merge_mergepath_partition_config_static_selectorELNS0_4arch9wavefront6targetE1EEEvSH_,"axG",@progbits,_ZN7rocprim17ROCPRIM_400000_NS6detail17trampoline_kernelINS0_14default_configENS1_38merge_sort_block_merge_config_selectorIilEEZZNS1_27merge_sort_block_merge_implIS3_PiN6thrust23THRUST_200600_302600_NS10device_ptrIlEEjNS1_19radix_merge_compareILb0ELb1EiNS0_19identity_decomposerEEEEE10hipError_tT0_T1_T2_jT3_P12ihipStream_tbPNSt15iterator_traitsISG_E10value_typeEPNSM_ISH_E10value_typeEPSI_NS1_7vsmem_tEENKUlT_SG_SH_SI_E_clIS7_S7_PlSB_EESF_SV_SG_SH_SI_EUlSV_E_NS1_11comp_targetILNS1_3genE5ELNS1_11target_archE942ELNS1_3gpuE9ELNS1_3repE0EEENS1_48merge_mergepath_partition_config_static_selectorELNS0_4arch9wavefront6targetE1EEEvSH_,comdat
	.protected	_ZN7rocprim17ROCPRIM_400000_NS6detail17trampoline_kernelINS0_14default_configENS1_38merge_sort_block_merge_config_selectorIilEEZZNS1_27merge_sort_block_merge_implIS3_PiN6thrust23THRUST_200600_302600_NS10device_ptrIlEEjNS1_19radix_merge_compareILb0ELb1EiNS0_19identity_decomposerEEEEE10hipError_tT0_T1_T2_jT3_P12ihipStream_tbPNSt15iterator_traitsISG_E10value_typeEPNSM_ISH_E10value_typeEPSI_NS1_7vsmem_tEENKUlT_SG_SH_SI_E_clIS7_S7_PlSB_EESF_SV_SG_SH_SI_EUlSV_E_NS1_11comp_targetILNS1_3genE5ELNS1_11target_archE942ELNS1_3gpuE9ELNS1_3repE0EEENS1_48merge_mergepath_partition_config_static_selectorELNS0_4arch9wavefront6targetE1EEEvSH_ ; -- Begin function _ZN7rocprim17ROCPRIM_400000_NS6detail17trampoline_kernelINS0_14default_configENS1_38merge_sort_block_merge_config_selectorIilEEZZNS1_27merge_sort_block_merge_implIS3_PiN6thrust23THRUST_200600_302600_NS10device_ptrIlEEjNS1_19radix_merge_compareILb0ELb1EiNS0_19identity_decomposerEEEEE10hipError_tT0_T1_T2_jT3_P12ihipStream_tbPNSt15iterator_traitsISG_E10value_typeEPNSM_ISH_E10value_typeEPSI_NS1_7vsmem_tEENKUlT_SG_SH_SI_E_clIS7_S7_PlSB_EESF_SV_SG_SH_SI_EUlSV_E_NS1_11comp_targetILNS1_3genE5ELNS1_11target_archE942ELNS1_3gpuE9ELNS1_3repE0EEENS1_48merge_mergepath_partition_config_static_selectorELNS0_4arch9wavefront6targetE1EEEvSH_
	.globl	_ZN7rocprim17ROCPRIM_400000_NS6detail17trampoline_kernelINS0_14default_configENS1_38merge_sort_block_merge_config_selectorIilEEZZNS1_27merge_sort_block_merge_implIS3_PiN6thrust23THRUST_200600_302600_NS10device_ptrIlEEjNS1_19radix_merge_compareILb0ELb1EiNS0_19identity_decomposerEEEEE10hipError_tT0_T1_T2_jT3_P12ihipStream_tbPNSt15iterator_traitsISG_E10value_typeEPNSM_ISH_E10value_typeEPSI_NS1_7vsmem_tEENKUlT_SG_SH_SI_E_clIS7_S7_PlSB_EESF_SV_SG_SH_SI_EUlSV_E_NS1_11comp_targetILNS1_3genE5ELNS1_11target_archE942ELNS1_3gpuE9ELNS1_3repE0EEENS1_48merge_mergepath_partition_config_static_selectorELNS0_4arch9wavefront6targetE1EEEvSH_
	.p2align	8
	.type	_ZN7rocprim17ROCPRIM_400000_NS6detail17trampoline_kernelINS0_14default_configENS1_38merge_sort_block_merge_config_selectorIilEEZZNS1_27merge_sort_block_merge_implIS3_PiN6thrust23THRUST_200600_302600_NS10device_ptrIlEEjNS1_19radix_merge_compareILb0ELb1EiNS0_19identity_decomposerEEEEE10hipError_tT0_T1_T2_jT3_P12ihipStream_tbPNSt15iterator_traitsISG_E10value_typeEPNSM_ISH_E10value_typeEPSI_NS1_7vsmem_tEENKUlT_SG_SH_SI_E_clIS7_S7_PlSB_EESF_SV_SG_SH_SI_EUlSV_E_NS1_11comp_targetILNS1_3genE5ELNS1_11target_archE942ELNS1_3gpuE9ELNS1_3repE0EEENS1_48merge_mergepath_partition_config_static_selectorELNS0_4arch9wavefront6targetE1EEEvSH_,@function
_ZN7rocprim17ROCPRIM_400000_NS6detail17trampoline_kernelINS0_14default_configENS1_38merge_sort_block_merge_config_selectorIilEEZZNS1_27merge_sort_block_merge_implIS3_PiN6thrust23THRUST_200600_302600_NS10device_ptrIlEEjNS1_19radix_merge_compareILb0ELb1EiNS0_19identity_decomposerEEEEE10hipError_tT0_T1_T2_jT3_P12ihipStream_tbPNSt15iterator_traitsISG_E10value_typeEPNSM_ISH_E10value_typeEPSI_NS1_7vsmem_tEENKUlT_SG_SH_SI_E_clIS7_S7_PlSB_EESF_SV_SG_SH_SI_EUlSV_E_NS1_11comp_targetILNS1_3genE5ELNS1_11target_archE942ELNS1_3gpuE9ELNS1_3repE0EEENS1_48merge_mergepath_partition_config_static_selectorELNS0_4arch9wavefront6targetE1EEEvSH_: ; @_ZN7rocprim17ROCPRIM_400000_NS6detail17trampoline_kernelINS0_14default_configENS1_38merge_sort_block_merge_config_selectorIilEEZZNS1_27merge_sort_block_merge_implIS3_PiN6thrust23THRUST_200600_302600_NS10device_ptrIlEEjNS1_19radix_merge_compareILb0ELb1EiNS0_19identity_decomposerEEEEE10hipError_tT0_T1_T2_jT3_P12ihipStream_tbPNSt15iterator_traitsISG_E10value_typeEPNSM_ISH_E10value_typeEPSI_NS1_7vsmem_tEENKUlT_SG_SH_SI_E_clIS7_S7_PlSB_EESF_SV_SG_SH_SI_EUlSV_E_NS1_11comp_targetILNS1_3genE5ELNS1_11target_archE942ELNS1_3gpuE9ELNS1_3repE0EEENS1_48merge_mergepath_partition_config_static_selectorELNS0_4arch9wavefront6targetE1EEEvSH_
; %bb.0:
	.section	.rodata,"a",@progbits
	.p2align	6, 0x0
	.amdhsa_kernel _ZN7rocprim17ROCPRIM_400000_NS6detail17trampoline_kernelINS0_14default_configENS1_38merge_sort_block_merge_config_selectorIilEEZZNS1_27merge_sort_block_merge_implIS3_PiN6thrust23THRUST_200600_302600_NS10device_ptrIlEEjNS1_19radix_merge_compareILb0ELb1EiNS0_19identity_decomposerEEEEE10hipError_tT0_T1_T2_jT3_P12ihipStream_tbPNSt15iterator_traitsISG_E10value_typeEPNSM_ISH_E10value_typeEPSI_NS1_7vsmem_tEENKUlT_SG_SH_SI_E_clIS7_S7_PlSB_EESF_SV_SG_SH_SI_EUlSV_E_NS1_11comp_targetILNS1_3genE5ELNS1_11target_archE942ELNS1_3gpuE9ELNS1_3repE0EEENS1_48merge_mergepath_partition_config_static_selectorELNS0_4arch9wavefront6targetE1EEEvSH_
		.amdhsa_group_segment_fixed_size 0
		.amdhsa_private_segment_fixed_size 0
		.amdhsa_kernarg_size 40
		.amdhsa_user_sgpr_count 6
		.amdhsa_user_sgpr_private_segment_buffer 1
		.amdhsa_user_sgpr_dispatch_ptr 0
		.amdhsa_user_sgpr_queue_ptr 0
		.amdhsa_user_sgpr_kernarg_segment_ptr 1
		.amdhsa_user_sgpr_dispatch_id 0
		.amdhsa_user_sgpr_flat_scratch_init 0
		.amdhsa_user_sgpr_private_segment_size 0
		.amdhsa_uses_dynamic_stack 0
		.amdhsa_system_sgpr_private_segment_wavefront_offset 0
		.amdhsa_system_sgpr_workgroup_id_x 1
		.amdhsa_system_sgpr_workgroup_id_y 0
		.amdhsa_system_sgpr_workgroup_id_z 0
		.amdhsa_system_sgpr_workgroup_info 0
		.amdhsa_system_vgpr_workitem_id 0
		.amdhsa_next_free_vgpr 1
		.amdhsa_next_free_sgpr 0
		.amdhsa_reserve_vcc 0
		.amdhsa_reserve_flat_scratch 0
		.amdhsa_float_round_mode_32 0
		.amdhsa_float_round_mode_16_64 0
		.amdhsa_float_denorm_mode_32 3
		.amdhsa_float_denorm_mode_16_64 3
		.amdhsa_dx10_clamp 1
		.amdhsa_ieee_mode 1
		.amdhsa_fp16_overflow 0
		.amdhsa_exception_fp_ieee_invalid_op 0
		.amdhsa_exception_fp_denorm_src 0
		.amdhsa_exception_fp_ieee_div_zero 0
		.amdhsa_exception_fp_ieee_overflow 0
		.amdhsa_exception_fp_ieee_underflow 0
		.amdhsa_exception_fp_ieee_inexact 0
		.amdhsa_exception_int_div_zero 0
	.end_amdhsa_kernel
	.section	.text._ZN7rocprim17ROCPRIM_400000_NS6detail17trampoline_kernelINS0_14default_configENS1_38merge_sort_block_merge_config_selectorIilEEZZNS1_27merge_sort_block_merge_implIS3_PiN6thrust23THRUST_200600_302600_NS10device_ptrIlEEjNS1_19radix_merge_compareILb0ELb1EiNS0_19identity_decomposerEEEEE10hipError_tT0_T1_T2_jT3_P12ihipStream_tbPNSt15iterator_traitsISG_E10value_typeEPNSM_ISH_E10value_typeEPSI_NS1_7vsmem_tEENKUlT_SG_SH_SI_E_clIS7_S7_PlSB_EESF_SV_SG_SH_SI_EUlSV_E_NS1_11comp_targetILNS1_3genE5ELNS1_11target_archE942ELNS1_3gpuE9ELNS1_3repE0EEENS1_48merge_mergepath_partition_config_static_selectorELNS0_4arch9wavefront6targetE1EEEvSH_,"axG",@progbits,_ZN7rocprim17ROCPRIM_400000_NS6detail17trampoline_kernelINS0_14default_configENS1_38merge_sort_block_merge_config_selectorIilEEZZNS1_27merge_sort_block_merge_implIS3_PiN6thrust23THRUST_200600_302600_NS10device_ptrIlEEjNS1_19radix_merge_compareILb0ELb1EiNS0_19identity_decomposerEEEEE10hipError_tT0_T1_T2_jT3_P12ihipStream_tbPNSt15iterator_traitsISG_E10value_typeEPNSM_ISH_E10value_typeEPSI_NS1_7vsmem_tEENKUlT_SG_SH_SI_E_clIS7_S7_PlSB_EESF_SV_SG_SH_SI_EUlSV_E_NS1_11comp_targetILNS1_3genE5ELNS1_11target_archE942ELNS1_3gpuE9ELNS1_3repE0EEENS1_48merge_mergepath_partition_config_static_selectorELNS0_4arch9wavefront6targetE1EEEvSH_,comdat
.Lfunc_end802:
	.size	_ZN7rocprim17ROCPRIM_400000_NS6detail17trampoline_kernelINS0_14default_configENS1_38merge_sort_block_merge_config_selectorIilEEZZNS1_27merge_sort_block_merge_implIS3_PiN6thrust23THRUST_200600_302600_NS10device_ptrIlEEjNS1_19radix_merge_compareILb0ELb1EiNS0_19identity_decomposerEEEEE10hipError_tT0_T1_T2_jT3_P12ihipStream_tbPNSt15iterator_traitsISG_E10value_typeEPNSM_ISH_E10value_typeEPSI_NS1_7vsmem_tEENKUlT_SG_SH_SI_E_clIS7_S7_PlSB_EESF_SV_SG_SH_SI_EUlSV_E_NS1_11comp_targetILNS1_3genE5ELNS1_11target_archE942ELNS1_3gpuE9ELNS1_3repE0EEENS1_48merge_mergepath_partition_config_static_selectorELNS0_4arch9wavefront6targetE1EEEvSH_, .Lfunc_end802-_ZN7rocprim17ROCPRIM_400000_NS6detail17trampoline_kernelINS0_14default_configENS1_38merge_sort_block_merge_config_selectorIilEEZZNS1_27merge_sort_block_merge_implIS3_PiN6thrust23THRUST_200600_302600_NS10device_ptrIlEEjNS1_19radix_merge_compareILb0ELb1EiNS0_19identity_decomposerEEEEE10hipError_tT0_T1_T2_jT3_P12ihipStream_tbPNSt15iterator_traitsISG_E10value_typeEPNSM_ISH_E10value_typeEPSI_NS1_7vsmem_tEENKUlT_SG_SH_SI_E_clIS7_S7_PlSB_EESF_SV_SG_SH_SI_EUlSV_E_NS1_11comp_targetILNS1_3genE5ELNS1_11target_archE942ELNS1_3gpuE9ELNS1_3repE0EEENS1_48merge_mergepath_partition_config_static_selectorELNS0_4arch9wavefront6targetE1EEEvSH_
                                        ; -- End function
	.set _ZN7rocprim17ROCPRIM_400000_NS6detail17trampoline_kernelINS0_14default_configENS1_38merge_sort_block_merge_config_selectorIilEEZZNS1_27merge_sort_block_merge_implIS3_PiN6thrust23THRUST_200600_302600_NS10device_ptrIlEEjNS1_19radix_merge_compareILb0ELb1EiNS0_19identity_decomposerEEEEE10hipError_tT0_T1_T2_jT3_P12ihipStream_tbPNSt15iterator_traitsISG_E10value_typeEPNSM_ISH_E10value_typeEPSI_NS1_7vsmem_tEENKUlT_SG_SH_SI_E_clIS7_S7_PlSB_EESF_SV_SG_SH_SI_EUlSV_E_NS1_11comp_targetILNS1_3genE5ELNS1_11target_archE942ELNS1_3gpuE9ELNS1_3repE0EEENS1_48merge_mergepath_partition_config_static_selectorELNS0_4arch9wavefront6targetE1EEEvSH_.num_vgpr, 0
	.set _ZN7rocprim17ROCPRIM_400000_NS6detail17trampoline_kernelINS0_14default_configENS1_38merge_sort_block_merge_config_selectorIilEEZZNS1_27merge_sort_block_merge_implIS3_PiN6thrust23THRUST_200600_302600_NS10device_ptrIlEEjNS1_19radix_merge_compareILb0ELb1EiNS0_19identity_decomposerEEEEE10hipError_tT0_T1_T2_jT3_P12ihipStream_tbPNSt15iterator_traitsISG_E10value_typeEPNSM_ISH_E10value_typeEPSI_NS1_7vsmem_tEENKUlT_SG_SH_SI_E_clIS7_S7_PlSB_EESF_SV_SG_SH_SI_EUlSV_E_NS1_11comp_targetILNS1_3genE5ELNS1_11target_archE942ELNS1_3gpuE9ELNS1_3repE0EEENS1_48merge_mergepath_partition_config_static_selectorELNS0_4arch9wavefront6targetE1EEEvSH_.num_agpr, 0
	.set _ZN7rocprim17ROCPRIM_400000_NS6detail17trampoline_kernelINS0_14default_configENS1_38merge_sort_block_merge_config_selectorIilEEZZNS1_27merge_sort_block_merge_implIS3_PiN6thrust23THRUST_200600_302600_NS10device_ptrIlEEjNS1_19radix_merge_compareILb0ELb1EiNS0_19identity_decomposerEEEEE10hipError_tT0_T1_T2_jT3_P12ihipStream_tbPNSt15iterator_traitsISG_E10value_typeEPNSM_ISH_E10value_typeEPSI_NS1_7vsmem_tEENKUlT_SG_SH_SI_E_clIS7_S7_PlSB_EESF_SV_SG_SH_SI_EUlSV_E_NS1_11comp_targetILNS1_3genE5ELNS1_11target_archE942ELNS1_3gpuE9ELNS1_3repE0EEENS1_48merge_mergepath_partition_config_static_selectorELNS0_4arch9wavefront6targetE1EEEvSH_.numbered_sgpr, 0
	.set _ZN7rocprim17ROCPRIM_400000_NS6detail17trampoline_kernelINS0_14default_configENS1_38merge_sort_block_merge_config_selectorIilEEZZNS1_27merge_sort_block_merge_implIS3_PiN6thrust23THRUST_200600_302600_NS10device_ptrIlEEjNS1_19radix_merge_compareILb0ELb1EiNS0_19identity_decomposerEEEEE10hipError_tT0_T1_T2_jT3_P12ihipStream_tbPNSt15iterator_traitsISG_E10value_typeEPNSM_ISH_E10value_typeEPSI_NS1_7vsmem_tEENKUlT_SG_SH_SI_E_clIS7_S7_PlSB_EESF_SV_SG_SH_SI_EUlSV_E_NS1_11comp_targetILNS1_3genE5ELNS1_11target_archE942ELNS1_3gpuE9ELNS1_3repE0EEENS1_48merge_mergepath_partition_config_static_selectorELNS0_4arch9wavefront6targetE1EEEvSH_.num_named_barrier, 0
	.set _ZN7rocprim17ROCPRIM_400000_NS6detail17trampoline_kernelINS0_14default_configENS1_38merge_sort_block_merge_config_selectorIilEEZZNS1_27merge_sort_block_merge_implIS3_PiN6thrust23THRUST_200600_302600_NS10device_ptrIlEEjNS1_19radix_merge_compareILb0ELb1EiNS0_19identity_decomposerEEEEE10hipError_tT0_T1_T2_jT3_P12ihipStream_tbPNSt15iterator_traitsISG_E10value_typeEPNSM_ISH_E10value_typeEPSI_NS1_7vsmem_tEENKUlT_SG_SH_SI_E_clIS7_S7_PlSB_EESF_SV_SG_SH_SI_EUlSV_E_NS1_11comp_targetILNS1_3genE5ELNS1_11target_archE942ELNS1_3gpuE9ELNS1_3repE0EEENS1_48merge_mergepath_partition_config_static_selectorELNS0_4arch9wavefront6targetE1EEEvSH_.private_seg_size, 0
	.set _ZN7rocprim17ROCPRIM_400000_NS6detail17trampoline_kernelINS0_14default_configENS1_38merge_sort_block_merge_config_selectorIilEEZZNS1_27merge_sort_block_merge_implIS3_PiN6thrust23THRUST_200600_302600_NS10device_ptrIlEEjNS1_19radix_merge_compareILb0ELb1EiNS0_19identity_decomposerEEEEE10hipError_tT0_T1_T2_jT3_P12ihipStream_tbPNSt15iterator_traitsISG_E10value_typeEPNSM_ISH_E10value_typeEPSI_NS1_7vsmem_tEENKUlT_SG_SH_SI_E_clIS7_S7_PlSB_EESF_SV_SG_SH_SI_EUlSV_E_NS1_11comp_targetILNS1_3genE5ELNS1_11target_archE942ELNS1_3gpuE9ELNS1_3repE0EEENS1_48merge_mergepath_partition_config_static_selectorELNS0_4arch9wavefront6targetE1EEEvSH_.uses_vcc, 0
	.set _ZN7rocprim17ROCPRIM_400000_NS6detail17trampoline_kernelINS0_14default_configENS1_38merge_sort_block_merge_config_selectorIilEEZZNS1_27merge_sort_block_merge_implIS3_PiN6thrust23THRUST_200600_302600_NS10device_ptrIlEEjNS1_19radix_merge_compareILb0ELb1EiNS0_19identity_decomposerEEEEE10hipError_tT0_T1_T2_jT3_P12ihipStream_tbPNSt15iterator_traitsISG_E10value_typeEPNSM_ISH_E10value_typeEPSI_NS1_7vsmem_tEENKUlT_SG_SH_SI_E_clIS7_S7_PlSB_EESF_SV_SG_SH_SI_EUlSV_E_NS1_11comp_targetILNS1_3genE5ELNS1_11target_archE942ELNS1_3gpuE9ELNS1_3repE0EEENS1_48merge_mergepath_partition_config_static_selectorELNS0_4arch9wavefront6targetE1EEEvSH_.uses_flat_scratch, 0
	.set _ZN7rocprim17ROCPRIM_400000_NS6detail17trampoline_kernelINS0_14default_configENS1_38merge_sort_block_merge_config_selectorIilEEZZNS1_27merge_sort_block_merge_implIS3_PiN6thrust23THRUST_200600_302600_NS10device_ptrIlEEjNS1_19radix_merge_compareILb0ELb1EiNS0_19identity_decomposerEEEEE10hipError_tT0_T1_T2_jT3_P12ihipStream_tbPNSt15iterator_traitsISG_E10value_typeEPNSM_ISH_E10value_typeEPSI_NS1_7vsmem_tEENKUlT_SG_SH_SI_E_clIS7_S7_PlSB_EESF_SV_SG_SH_SI_EUlSV_E_NS1_11comp_targetILNS1_3genE5ELNS1_11target_archE942ELNS1_3gpuE9ELNS1_3repE0EEENS1_48merge_mergepath_partition_config_static_selectorELNS0_4arch9wavefront6targetE1EEEvSH_.has_dyn_sized_stack, 0
	.set _ZN7rocprim17ROCPRIM_400000_NS6detail17trampoline_kernelINS0_14default_configENS1_38merge_sort_block_merge_config_selectorIilEEZZNS1_27merge_sort_block_merge_implIS3_PiN6thrust23THRUST_200600_302600_NS10device_ptrIlEEjNS1_19radix_merge_compareILb0ELb1EiNS0_19identity_decomposerEEEEE10hipError_tT0_T1_T2_jT3_P12ihipStream_tbPNSt15iterator_traitsISG_E10value_typeEPNSM_ISH_E10value_typeEPSI_NS1_7vsmem_tEENKUlT_SG_SH_SI_E_clIS7_S7_PlSB_EESF_SV_SG_SH_SI_EUlSV_E_NS1_11comp_targetILNS1_3genE5ELNS1_11target_archE942ELNS1_3gpuE9ELNS1_3repE0EEENS1_48merge_mergepath_partition_config_static_selectorELNS0_4arch9wavefront6targetE1EEEvSH_.has_recursion, 0
	.set _ZN7rocprim17ROCPRIM_400000_NS6detail17trampoline_kernelINS0_14default_configENS1_38merge_sort_block_merge_config_selectorIilEEZZNS1_27merge_sort_block_merge_implIS3_PiN6thrust23THRUST_200600_302600_NS10device_ptrIlEEjNS1_19radix_merge_compareILb0ELb1EiNS0_19identity_decomposerEEEEE10hipError_tT0_T1_T2_jT3_P12ihipStream_tbPNSt15iterator_traitsISG_E10value_typeEPNSM_ISH_E10value_typeEPSI_NS1_7vsmem_tEENKUlT_SG_SH_SI_E_clIS7_S7_PlSB_EESF_SV_SG_SH_SI_EUlSV_E_NS1_11comp_targetILNS1_3genE5ELNS1_11target_archE942ELNS1_3gpuE9ELNS1_3repE0EEENS1_48merge_mergepath_partition_config_static_selectorELNS0_4arch9wavefront6targetE1EEEvSH_.has_indirect_call, 0
	.section	.AMDGPU.csdata,"",@progbits
; Kernel info:
; codeLenInByte = 0
; TotalNumSgprs: 4
; NumVgprs: 0
; ScratchSize: 0
; MemoryBound: 0
; FloatMode: 240
; IeeeMode: 1
; LDSByteSize: 0 bytes/workgroup (compile time only)
; SGPRBlocks: 0
; VGPRBlocks: 0
; NumSGPRsForWavesPerEU: 4
; NumVGPRsForWavesPerEU: 1
; Occupancy: 10
; WaveLimiterHint : 0
; COMPUTE_PGM_RSRC2:SCRATCH_EN: 0
; COMPUTE_PGM_RSRC2:USER_SGPR: 6
; COMPUTE_PGM_RSRC2:TRAP_HANDLER: 0
; COMPUTE_PGM_RSRC2:TGID_X_EN: 1
; COMPUTE_PGM_RSRC2:TGID_Y_EN: 0
; COMPUTE_PGM_RSRC2:TGID_Z_EN: 0
; COMPUTE_PGM_RSRC2:TIDIG_COMP_CNT: 0
	.section	.text._ZN7rocprim17ROCPRIM_400000_NS6detail17trampoline_kernelINS0_14default_configENS1_38merge_sort_block_merge_config_selectorIilEEZZNS1_27merge_sort_block_merge_implIS3_PiN6thrust23THRUST_200600_302600_NS10device_ptrIlEEjNS1_19radix_merge_compareILb0ELb1EiNS0_19identity_decomposerEEEEE10hipError_tT0_T1_T2_jT3_P12ihipStream_tbPNSt15iterator_traitsISG_E10value_typeEPNSM_ISH_E10value_typeEPSI_NS1_7vsmem_tEENKUlT_SG_SH_SI_E_clIS7_S7_PlSB_EESF_SV_SG_SH_SI_EUlSV_E_NS1_11comp_targetILNS1_3genE4ELNS1_11target_archE910ELNS1_3gpuE8ELNS1_3repE0EEENS1_48merge_mergepath_partition_config_static_selectorELNS0_4arch9wavefront6targetE1EEEvSH_,"axG",@progbits,_ZN7rocprim17ROCPRIM_400000_NS6detail17trampoline_kernelINS0_14default_configENS1_38merge_sort_block_merge_config_selectorIilEEZZNS1_27merge_sort_block_merge_implIS3_PiN6thrust23THRUST_200600_302600_NS10device_ptrIlEEjNS1_19radix_merge_compareILb0ELb1EiNS0_19identity_decomposerEEEEE10hipError_tT0_T1_T2_jT3_P12ihipStream_tbPNSt15iterator_traitsISG_E10value_typeEPNSM_ISH_E10value_typeEPSI_NS1_7vsmem_tEENKUlT_SG_SH_SI_E_clIS7_S7_PlSB_EESF_SV_SG_SH_SI_EUlSV_E_NS1_11comp_targetILNS1_3genE4ELNS1_11target_archE910ELNS1_3gpuE8ELNS1_3repE0EEENS1_48merge_mergepath_partition_config_static_selectorELNS0_4arch9wavefront6targetE1EEEvSH_,comdat
	.protected	_ZN7rocprim17ROCPRIM_400000_NS6detail17trampoline_kernelINS0_14default_configENS1_38merge_sort_block_merge_config_selectorIilEEZZNS1_27merge_sort_block_merge_implIS3_PiN6thrust23THRUST_200600_302600_NS10device_ptrIlEEjNS1_19radix_merge_compareILb0ELb1EiNS0_19identity_decomposerEEEEE10hipError_tT0_T1_T2_jT3_P12ihipStream_tbPNSt15iterator_traitsISG_E10value_typeEPNSM_ISH_E10value_typeEPSI_NS1_7vsmem_tEENKUlT_SG_SH_SI_E_clIS7_S7_PlSB_EESF_SV_SG_SH_SI_EUlSV_E_NS1_11comp_targetILNS1_3genE4ELNS1_11target_archE910ELNS1_3gpuE8ELNS1_3repE0EEENS1_48merge_mergepath_partition_config_static_selectorELNS0_4arch9wavefront6targetE1EEEvSH_ ; -- Begin function _ZN7rocprim17ROCPRIM_400000_NS6detail17trampoline_kernelINS0_14default_configENS1_38merge_sort_block_merge_config_selectorIilEEZZNS1_27merge_sort_block_merge_implIS3_PiN6thrust23THRUST_200600_302600_NS10device_ptrIlEEjNS1_19radix_merge_compareILb0ELb1EiNS0_19identity_decomposerEEEEE10hipError_tT0_T1_T2_jT3_P12ihipStream_tbPNSt15iterator_traitsISG_E10value_typeEPNSM_ISH_E10value_typeEPSI_NS1_7vsmem_tEENKUlT_SG_SH_SI_E_clIS7_S7_PlSB_EESF_SV_SG_SH_SI_EUlSV_E_NS1_11comp_targetILNS1_3genE4ELNS1_11target_archE910ELNS1_3gpuE8ELNS1_3repE0EEENS1_48merge_mergepath_partition_config_static_selectorELNS0_4arch9wavefront6targetE1EEEvSH_
	.globl	_ZN7rocprim17ROCPRIM_400000_NS6detail17trampoline_kernelINS0_14default_configENS1_38merge_sort_block_merge_config_selectorIilEEZZNS1_27merge_sort_block_merge_implIS3_PiN6thrust23THRUST_200600_302600_NS10device_ptrIlEEjNS1_19radix_merge_compareILb0ELb1EiNS0_19identity_decomposerEEEEE10hipError_tT0_T1_T2_jT3_P12ihipStream_tbPNSt15iterator_traitsISG_E10value_typeEPNSM_ISH_E10value_typeEPSI_NS1_7vsmem_tEENKUlT_SG_SH_SI_E_clIS7_S7_PlSB_EESF_SV_SG_SH_SI_EUlSV_E_NS1_11comp_targetILNS1_3genE4ELNS1_11target_archE910ELNS1_3gpuE8ELNS1_3repE0EEENS1_48merge_mergepath_partition_config_static_selectorELNS0_4arch9wavefront6targetE1EEEvSH_
	.p2align	8
	.type	_ZN7rocprim17ROCPRIM_400000_NS6detail17trampoline_kernelINS0_14default_configENS1_38merge_sort_block_merge_config_selectorIilEEZZNS1_27merge_sort_block_merge_implIS3_PiN6thrust23THRUST_200600_302600_NS10device_ptrIlEEjNS1_19radix_merge_compareILb0ELb1EiNS0_19identity_decomposerEEEEE10hipError_tT0_T1_T2_jT3_P12ihipStream_tbPNSt15iterator_traitsISG_E10value_typeEPNSM_ISH_E10value_typeEPSI_NS1_7vsmem_tEENKUlT_SG_SH_SI_E_clIS7_S7_PlSB_EESF_SV_SG_SH_SI_EUlSV_E_NS1_11comp_targetILNS1_3genE4ELNS1_11target_archE910ELNS1_3gpuE8ELNS1_3repE0EEENS1_48merge_mergepath_partition_config_static_selectorELNS0_4arch9wavefront6targetE1EEEvSH_,@function
_ZN7rocprim17ROCPRIM_400000_NS6detail17trampoline_kernelINS0_14default_configENS1_38merge_sort_block_merge_config_selectorIilEEZZNS1_27merge_sort_block_merge_implIS3_PiN6thrust23THRUST_200600_302600_NS10device_ptrIlEEjNS1_19radix_merge_compareILb0ELb1EiNS0_19identity_decomposerEEEEE10hipError_tT0_T1_T2_jT3_P12ihipStream_tbPNSt15iterator_traitsISG_E10value_typeEPNSM_ISH_E10value_typeEPSI_NS1_7vsmem_tEENKUlT_SG_SH_SI_E_clIS7_S7_PlSB_EESF_SV_SG_SH_SI_EUlSV_E_NS1_11comp_targetILNS1_3genE4ELNS1_11target_archE910ELNS1_3gpuE8ELNS1_3repE0EEENS1_48merge_mergepath_partition_config_static_selectorELNS0_4arch9wavefront6targetE1EEEvSH_: ; @_ZN7rocprim17ROCPRIM_400000_NS6detail17trampoline_kernelINS0_14default_configENS1_38merge_sort_block_merge_config_selectorIilEEZZNS1_27merge_sort_block_merge_implIS3_PiN6thrust23THRUST_200600_302600_NS10device_ptrIlEEjNS1_19radix_merge_compareILb0ELb1EiNS0_19identity_decomposerEEEEE10hipError_tT0_T1_T2_jT3_P12ihipStream_tbPNSt15iterator_traitsISG_E10value_typeEPNSM_ISH_E10value_typeEPSI_NS1_7vsmem_tEENKUlT_SG_SH_SI_E_clIS7_S7_PlSB_EESF_SV_SG_SH_SI_EUlSV_E_NS1_11comp_targetILNS1_3genE4ELNS1_11target_archE910ELNS1_3gpuE8ELNS1_3repE0EEENS1_48merge_mergepath_partition_config_static_selectorELNS0_4arch9wavefront6targetE1EEEvSH_
; %bb.0:
	.section	.rodata,"a",@progbits
	.p2align	6, 0x0
	.amdhsa_kernel _ZN7rocprim17ROCPRIM_400000_NS6detail17trampoline_kernelINS0_14default_configENS1_38merge_sort_block_merge_config_selectorIilEEZZNS1_27merge_sort_block_merge_implIS3_PiN6thrust23THRUST_200600_302600_NS10device_ptrIlEEjNS1_19radix_merge_compareILb0ELb1EiNS0_19identity_decomposerEEEEE10hipError_tT0_T1_T2_jT3_P12ihipStream_tbPNSt15iterator_traitsISG_E10value_typeEPNSM_ISH_E10value_typeEPSI_NS1_7vsmem_tEENKUlT_SG_SH_SI_E_clIS7_S7_PlSB_EESF_SV_SG_SH_SI_EUlSV_E_NS1_11comp_targetILNS1_3genE4ELNS1_11target_archE910ELNS1_3gpuE8ELNS1_3repE0EEENS1_48merge_mergepath_partition_config_static_selectorELNS0_4arch9wavefront6targetE1EEEvSH_
		.amdhsa_group_segment_fixed_size 0
		.amdhsa_private_segment_fixed_size 0
		.amdhsa_kernarg_size 40
		.amdhsa_user_sgpr_count 6
		.amdhsa_user_sgpr_private_segment_buffer 1
		.amdhsa_user_sgpr_dispatch_ptr 0
		.amdhsa_user_sgpr_queue_ptr 0
		.amdhsa_user_sgpr_kernarg_segment_ptr 1
		.amdhsa_user_sgpr_dispatch_id 0
		.amdhsa_user_sgpr_flat_scratch_init 0
		.amdhsa_user_sgpr_private_segment_size 0
		.amdhsa_uses_dynamic_stack 0
		.amdhsa_system_sgpr_private_segment_wavefront_offset 0
		.amdhsa_system_sgpr_workgroup_id_x 1
		.amdhsa_system_sgpr_workgroup_id_y 0
		.amdhsa_system_sgpr_workgroup_id_z 0
		.amdhsa_system_sgpr_workgroup_info 0
		.amdhsa_system_vgpr_workitem_id 0
		.amdhsa_next_free_vgpr 1
		.amdhsa_next_free_sgpr 0
		.amdhsa_reserve_vcc 0
		.amdhsa_reserve_flat_scratch 0
		.amdhsa_float_round_mode_32 0
		.amdhsa_float_round_mode_16_64 0
		.amdhsa_float_denorm_mode_32 3
		.amdhsa_float_denorm_mode_16_64 3
		.amdhsa_dx10_clamp 1
		.amdhsa_ieee_mode 1
		.amdhsa_fp16_overflow 0
		.amdhsa_exception_fp_ieee_invalid_op 0
		.amdhsa_exception_fp_denorm_src 0
		.amdhsa_exception_fp_ieee_div_zero 0
		.amdhsa_exception_fp_ieee_overflow 0
		.amdhsa_exception_fp_ieee_underflow 0
		.amdhsa_exception_fp_ieee_inexact 0
		.amdhsa_exception_int_div_zero 0
	.end_amdhsa_kernel
	.section	.text._ZN7rocprim17ROCPRIM_400000_NS6detail17trampoline_kernelINS0_14default_configENS1_38merge_sort_block_merge_config_selectorIilEEZZNS1_27merge_sort_block_merge_implIS3_PiN6thrust23THRUST_200600_302600_NS10device_ptrIlEEjNS1_19radix_merge_compareILb0ELb1EiNS0_19identity_decomposerEEEEE10hipError_tT0_T1_T2_jT3_P12ihipStream_tbPNSt15iterator_traitsISG_E10value_typeEPNSM_ISH_E10value_typeEPSI_NS1_7vsmem_tEENKUlT_SG_SH_SI_E_clIS7_S7_PlSB_EESF_SV_SG_SH_SI_EUlSV_E_NS1_11comp_targetILNS1_3genE4ELNS1_11target_archE910ELNS1_3gpuE8ELNS1_3repE0EEENS1_48merge_mergepath_partition_config_static_selectorELNS0_4arch9wavefront6targetE1EEEvSH_,"axG",@progbits,_ZN7rocprim17ROCPRIM_400000_NS6detail17trampoline_kernelINS0_14default_configENS1_38merge_sort_block_merge_config_selectorIilEEZZNS1_27merge_sort_block_merge_implIS3_PiN6thrust23THRUST_200600_302600_NS10device_ptrIlEEjNS1_19radix_merge_compareILb0ELb1EiNS0_19identity_decomposerEEEEE10hipError_tT0_T1_T2_jT3_P12ihipStream_tbPNSt15iterator_traitsISG_E10value_typeEPNSM_ISH_E10value_typeEPSI_NS1_7vsmem_tEENKUlT_SG_SH_SI_E_clIS7_S7_PlSB_EESF_SV_SG_SH_SI_EUlSV_E_NS1_11comp_targetILNS1_3genE4ELNS1_11target_archE910ELNS1_3gpuE8ELNS1_3repE0EEENS1_48merge_mergepath_partition_config_static_selectorELNS0_4arch9wavefront6targetE1EEEvSH_,comdat
.Lfunc_end803:
	.size	_ZN7rocprim17ROCPRIM_400000_NS6detail17trampoline_kernelINS0_14default_configENS1_38merge_sort_block_merge_config_selectorIilEEZZNS1_27merge_sort_block_merge_implIS3_PiN6thrust23THRUST_200600_302600_NS10device_ptrIlEEjNS1_19radix_merge_compareILb0ELb1EiNS0_19identity_decomposerEEEEE10hipError_tT0_T1_T2_jT3_P12ihipStream_tbPNSt15iterator_traitsISG_E10value_typeEPNSM_ISH_E10value_typeEPSI_NS1_7vsmem_tEENKUlT_SG_SH_SI_E_clIS7_S7_PlSB_EESF_SV_SG_SH_SI_EUlSV_E_NS1_11comp_targetILNS1_3genE4ELNS1_11target_archE910ELNS1_3gpuE8ELNS1_3repE0EEENS1_48merge_mergepath_partition_config_static_selectorELNS0_4arch9wavefront6targetE1EEEvSH_, .Lfunc_end803-_ZN7rocprim17ROCPRIM_400000_NS6detail17trampoline_kernelINS0_14default_configENS1_38merge_sort_block_merge_config_selectorIilEEZZNS1_27merge_sort_block_merge_implIS3_PiN6thrust23THRUST_200600_302600_NS10device_ptrIlEEjNS1_19radix_merge_compareILb0ELb1EiNS0_19identity_decomposerEEEEE10hipError_tT0_T1_T2_jT3_P12ihipStream_tbPNSt15iterator_traitsISG_E10value_typeEPNSM_ISH_E10value_typeEPSI_NS1_7vsmem_tEENKUlT_SG_SH_SI_E_clIS7_S7_PlSB_EESF_SV_SG_SH_SI_EUlSV_E_NS1_11comp_targetILNS1_3genE4ELNS1_11target_archE910ELNS1_3gpuE8ELNS1_3repE0EEENS1_48merge_mergepath_partition_config_static_selectorELNS0_4arch9wavefront6targetE1EEEvSH_
                                        ; -- End function
	.set _ZN7rocprim17ROCPRIM_400000_NS6detail17trampoline_kernelINS0_14default_configENS1_38merge_sort_block_merge_config_selectorIilEEZZNS1_27merge_sort_block_merge_implIS3_PiN6thrust23THRUST_200600_302600_NS10device_ptrIlEEjNS1_19radix_merge_compareILb0ELb1EiNS0_19identity_decomposerEEEEE10hipError_tT0_T1_T2_jT3_P12ihipStream_tbPNSt15iterator_traitsISG_E10value_typeEPNSM_ISH_E10value_typeEPSI_NS1_7vsmem_tEENKUlT_SG_SH_SI_E_clIS7_S7_PlSB_EESF_SV_SG_SH_SI_EUlSV_E_NS1_11comp_targetILNS1_3genE4ELNS1_11target_archE910ELNS1_3gpuE8ELNS1_3repE0EEENS1_48merge_mergepath_partition_config_static_selectorELNS0_4arch9wavefront6targetE1EEEvSH_.num_vgpr, 0
	.set _ZN7rocprim17ROCPRIM_400000_NS6detail17trampoline_kernelINS0_14default_configENS1_38merge_sort_block_merge_config_selectorIilEEZZNS1_27merge_sort_block_merge_implIS3_PiN6thrust23THRUST_200600_302600_NS10device_ptrIlEEjNS1_19radix_merge_compareILb0ELb1EiNS0_19identity_decomposerEEEEE10hipError_tT0_T1_T2_jT3_P12ihipStream_tbPNSt15iterator_traitsISG_E10value_typeEPNSM_ISH_E10value_typeEPSI_NS1_7vsmem_tEENKUlT_SG_SH_SI_E_clIS7_S7_PlSB_EESF_SV_SG_SH_SI_EUlSV_E_NS1_11comp_targetILNS1_3genE4ELNS1_11target_archE910ELNS1_3gpuE8ELNS1_3repE0EEENS1_48merge_mergepath_partition_config_static_selectorELNS0_4arch9wavefront6targetE1EEEvSH_.num_agpr, 0
	.set _ZN7rocprim17ROCPRIM_400000_NS6detail17trampoline_kernelINS0_14default_configENS1_38merge_sort_block_merge_config_selectorIilEEZZNS1_27merge_sort_block_merge_implIS3_PiN6thrust23THRUST_200600_302600_NS10device_ptrIlEEjNS1_19radix_merge_compareILb0ELb1EiNS0_19identity_decomposerEEEEE10hipError_tT0_T1_T2_jT3_P12ihipStream_tbPNSt15iterator_traitsISG_E10value_typeEPNSM_ISH_E10value_typeEPSI_NS1_7vsmem_tEENKUlT_SG_SH_SI_E_clIS7_S7_PlSB_EESF_SV_SG_SH_SI_EUlSV_E_NS1_11comp_targetILNS1_3genE4ELNS1_11target_archE910ELNS1_3gpuE8ELNS1_3repE0EEENS1_48merge_mergepath_partition_config_static_selectorELNS0_4arch9wavefront6targetE1EEEvSH_.numbered_sgpr, 0
	.set _ZN7rocprim17ROCPRIM_400000_NS6detail17trampoline_kernelINS0_14default_configENS1_38merge_sort_block_merge_config_selectorIilEEZZNS1_27merge_sort_block_merge_implIS3_PiN6thrust23THRUST_200600_302600_NS10device_ptrIlEEjNS1_19radix_merge_compareILb0ELb1EiNS0_19identity_decomposerEEEEE10hipError_tT0_T1_T2_jT3_P12ihipStream_tbPNSt15iterator_traitsISG_E10value_typeEPNSM_ISH_E10value_typeEPSI_NS1_7vsmem_tEENKUlT_SG_SH_SI_E_clIS7_S7_PlSB_EESF_SV_SG_SH_SI_EUlSV_E_NS1_11comp_targetILNS1_3genE4ELNS1_11target_archE910ELNS1_3gpuE8ELNS1_3repE0EEENS1_48merge_mergepath_partition_config_static_selectorELNS0_4arch9wavefront6targetE1EEEvSH_.num_named_barrier, 0
	.set _ZN7rocprim17ROCPRIM_400000_NS6detail17trampoline_kernelINS0_14default_configENS1_38merge_sort_block_merge_config_selectorIilEEZZNS1_27merge_sort_block_merge_implIS3_PiN6thrust23THRUST_200600_302600_NS10device_ptrIlEEjNS1_19radix_merge_compareILb0ELb1EiNS0_19identity_decomposerEEEEE10hipError_tT0_T1_T2_jT3_P12ihipStream_tbPNSt15iterator_traitsISG_E10value_typeEPNSM_ISH_E10value_typeEPSI_NS1_7vsmem_tEENKUlT_SG_SH_SI_E_clIS7_S7_PlSB_EESF_SV_SG_SH_SI_EUlSV_E_NS1_11comp_targetILNS1_3genE4ELNS1_11target_archE910ELNS1_3gpuE8ELNS1_3repE0EEENS1_48merge_mergepath_partition_config_static_selectorELNS0_4arch9wavefront6targetE1EEEvSH_.private_seg_size, 0
	.set _ZN7rocprim17ROCPRIM_400000_NS6detail17trampoline_kernelINS0_14default_configENS1_38merge_sort_block_merge_config_selectorIilEEZZNS1_27merge_sort_block_merge_implIS3_PiN6thrust23THRUST_200600_302600_NS10device_ptrIlEEjNS1_19radix_merge_compareILb0ELb1EiNS0_19identity_decomposerEEEEE10hipError_tT0_T1_T2_jT3_P12ihipStream_tbPNSt15iterator_traitsISG_E10value_typeEPNSM_ISH_E10value_typeEPSI_NS1_7vsmem_tEENKUlT_SG_SH_SI_E_clIS7_S7_PlSB_EESF_SV_SG_SH_SI_EUlSV_E_NS1_11comp_targetILNS1_3genE4ELNS1_11target_archE910ELNS1_3gpuE8ELNS1_3repE0EEENS1_48merge_mergepath_partition_config_static_selectorELNS0_4arch9wavefront6targetE1EEEvSH_.uses_vcc, 0
	.set _ZN7rocprim17ROCPRIM_400000_NS6detail17trampoline_kernelINS0_14default_configENS1_38merge_sort_block_merge_config_selectorIilEEZZNS1_27merge_sort_block_merge_implIS3_PiN6thrust23THRUST_200600_302600_NS10device_ptrIlEEjNS1_19radix_merge_compareILb0ELb1EiNS0_19identity_decomposerEEEEE10hipError_tT0_T1_T2_jT3_P12ihipStream_tbPNSt15iterator_traitsISG_E10value_typeEPNSM_ISH_E10value_typeEPSI_NS1_7vsmem_tEENKUlT_SG_SH_SI_E_clIS7_S7_PlSB_EESF_SV_SG_SH_SI_EUlSV_E_NS1_11comp_targetILNS1_3genE4ELNS1_11target_archE910ELNS1_3gpuE8ELNS1_3repE0EEENS1_48merge_mergepath_partition_config_static_selectorELNS0_4arch9wavefront6targetE1EEEvSH_.uses_flat_scratch, 0
	.set _ZN7rocprim17ROCPRIM_400000_NS6detail17trampoline_kernelINS0_14default_configENS1_38merge_sort_block_merge_config_selectorIilEEZZNS1_27merge_sort_block_merge_implIS3_PiN6thrust23THRUST_200600_302600_NS10device_ptrIlEEjNS1_19radix_merge_compareILb0ELb1EiNS0_19identity_decomposerEEEEE10hipError_tT0_T1_T2_jT3_P12ihipStream_tbPNSt15iterator_traitsISG_E10value_typeEPNSM_ISH_E10value_typeEPSI_NS1_7vsmem_tEENKUlT_SG_SH_SI_E_clIS7_S7_PlSB_EESF_SV_SG_SH_SI_EUlSV_E_NS1_11comp_targetILNS1_3genE4ELNS1_11target_archE910ELNS1_3gpuE8ELNS1_3repE0EEENS1_48merge_mergepath_partition_config_static_selectorELNS0_4arch9wavefront6targetE1EEEvSH_.has_dyn_sized_stack, 0
	.set _ZN7rocprim17ROCPRIM_400000_NS6detail17trampoline_kernelINS0_14default_configENS1_38merge_sort_block_merge_config_selectorIilEEZZNS1_27merge_sort_block_merge_implIS3_PiN6thrust23THRUST_200600_302600_NS10device_ptrIlEEjNS1_19radix_merge_compareILb0ELb1EiNS0_19identity_decomposerEEEEE10hipError_tT0_T1_T2_jT3_P12ihipStream_tbPNSt15iterator_traitsISG_E10value_typeEPNSM_ISH_E10value_typeEPSI_NS1_7vsmem_tEENKUlT_SG_SH_SI_E_clIS7_S7_PlSB_EESF_SV_SG_SH_SI_EUlSV_E_NS1_11comp_targetILNS1_3genE4ELNS1_11target_archE910ELNS1_3gpuE8ELNS1_3repE0EEENS1_48merge_mergepath_partition_config_static_selectorELNS0_4arch9wavefront6targetE1EEEvSH_.has_recursion, 0
	.set _ZN7rocprim17ROCPRIM_400000_NS6detail17trampoline_kernelINS0_14default_configENS1_38merge_sort_block_merge_config_selectorIilEEZZNS1_27merge_sort_block_merge_implIS3_PiN6thrust23THRUST_200600_302600_NS10device_ptrIlEEjNS1_19radix_merge_compareILb0ELb1EiNS0_19identity_decomposerEEEEE10hipError_tT0_T1_T2_jT3_P12ihipStream_tbPNSt15iterator_traitsISG_E10value_typeEPNSM_ISH_E10value_typeEPSI_NS1_7vsmem_tEENKUlT_SG_SH_SI_E_clIS7_S7_PlSB_EESF_SV_SG_SH_SI_EUlSV_E_NS1_11comp_targetILNS1_3genE4ELNS1_11target_archE910ELNS1_3gpuE8ELNS1_3repE0EEENS1_48merge_mergepath_partition_config_static_selectorELNS0_4arch9wavefront6targetE1EEEvSH_.has_indirect_call, 0
	.section	.AMDGPU.csdata,"",@progbits
; Kernel info:
; codeLenInByte = 0
; TotalNumSgprs: 4
; NumVgprs: 0
; ScratchSize: 0
; MemoryBound: 0
; FloatMode: 240
; IeeeMode: 1
; LDSByteSize: 0 bytes/workgroup (compile time only)
; SGPRBlocks: 0
; VGPRBlocks: 0
; NumSGPRsForWavesPerEU: 4
; NumVGPRsForWavesPerEU: 1
; Occupancy: 10
; WaveLimiterHint : 0
; COMPUTE_PGM_RSRC2:SCRATCH_EN: 0
; COMPUTE_PGM_RSRC2:USER_SGPR: 6
; COMPUTE_PGM_RSRC2:TRAP_HANDLER: 0
; COMPUTE_PGM_RSRC2:TGID_X_EN: 1
; COMPUTE_PGM_RSRC2:TGID_Y_EN: 0
; COMPUTE_PGM_RSRC2:TGID_Z_EN: 0
; COMPUTE_PGM_RSRC2:TIDIG_COMP_CNT: 0
	.section	.text._ZN7rocprim17ROCPRIM_400000_NS6detail17trampoline_kernelINS0_14default_configENS1_38merge_sort_block_merge_config_selectorIilEEZZNS1_27merge_sort_block_merge_implIS3_PiN6thrust23THRUST_200600_302600_NS10device_ptrIlEEjNS1_19radix_merge_compareILb0ELb1EiNS0_19identity_decomposerEEEEE10hipError_tT0_T1_T2_jT3_P12ihipStream_tbPNSt15iterator_traitsISG_E10value_typeEPNSM_ISH_E10value_typeEPSI_NS1_7vsmem_tEENKUlT_SG_SH_SI_E_clIS7_S7_PlSB_EESF_SV_SG_SH_SI_EUlSV_E_NS1_11comp_targetILNS1_3genE3ELNS1_11target_archE908ELNS1_3gpuE7ELNS1_3repE0EEENS1_48merge_mergepath_partition_config_static_selectorELNS0_4arch9wavefront6targetE1EEEvSH_,"axG",@progbits,_ZN7rocprim17ROCPRIM_400000_NS6detail17trampoline_kernelINS0_14default_configENS1_38merge_sort_block_merge_config_selectorIilEEZZNS1_27merge_sort_block_merge_implIS3_PiN6thrust23THRUST_200600_302600_NS10device_ptrIlEEjNS1_19radix_merge_compareILb0ELb1EiNS0_19identity_decomposerEEEEE10hipError_tT0_T1_T2_jT3_P12ihipStream_tbPNSt15iterator_traitsISG_E10value_typeEPNSM_ISH_E10value_typeEPSI_NS1_7vsmem_tEENKUlT_SG_SH_SI_E_clIS7_S7_PlSB_EESF_SV_SG_SH_SI_EUlSV_E_NS1_11comp_targetILNS1_3genE3ELNS1_11target_archE908ELNS1_3gpuE7ELNS1_3repE0EEENS1_48merge_mergepath_partition_config_static_selectorELNS0_4arch9wavefront6targetE1EEEvSH_,comdat
	.protected	_ZN7rocprim17ROCPRIM_400000_NS6detail17trampoline_kernelINS0_14default_configENS1_38merge_sort_block_merge_config_selectorIilEEZZNS1_27merge_sort_block_merge_implIS3_PiN6thrust23THRUST_200600_302600_NS10device_ptrIlEEjNS1_19radix_merge_compareILb0ELb1EiNS0_19identity_decomposerEEEEE10hipError_tT0_T1_T2_jT3_P12ihipStream_tbPNSt15iterator_traitsISG_E10value_typeEPNSM_ISH_E10value_typeEPSI_NS1_7vsmem_tEENKUlT_SG_SH_SI_E_clIS7_S7_PlSB_EESF_SV_SG_SH_SI_EUlSV_E_NS1_11comp_targetILNS1_3genE3ELNS1_11target_archE908ELNS1_3gpuE7ELNS1_3repE0EEENS1_48merge_mergepath_partition_config_static_selectorELNS0_4arch9wavefront6targetE1EEEvSH_ ; -- Begin function _ZN7rocprim17ROCPRIM_400000_NS6detail17trampoline_kernelINS0_14default_configENS1_38merge_sort_block_merge_config_selectorIilEEZZNS1_27merge_sort_block_merge_implIS3_PiN6thrust23THRUST_200600_302600_NS10device_ptrIlEEjNS1_19radix_merge_compareILb0ELb1EiNS0_19identity_decomposerEEEEE10hipError_tT0_T1_T2_jT3_P12ihipStream_tbPNSt15iterator_traitsISG_E10value_typeEPNSM_ISH_E10value_typeEPSI_NS1_7vsmem_tEENKUlT_SG_SH_SI_E_clIS7_S7_PlSB_EESF_SV_SG_SH_SI_EUlSV_E_NS1_11comp_targetILNS1_3genE3ELNS1_11target_archE908ELNS1_3gpuE7ELNS1_3repE0EEENS1_48merge_mergepath_partition_config_static_selectorELNS0_4arch9wavefront6targetE1EEEvSH_
	.globl	_ZN7rocprim17ROCPRIM_400000_NS6detail17trampoline_kernelINS0_14default_configENS1_38merge_sort_block_merge_config_selectorIilEEZZNS1_27merge_sort_block_merge_implIS3_PiN6thrust23THRUST_200600_302600_NS10device_ptrIlEEjNS1_19radix_merge_compareILb0ELb1EiNS0_19identity_decomposerEEEEE10hipError_tT0_T1_T2_jT3_P12ihipStream_tbPNSt15iterator_traitsISG_E10value_typeEPNSM_ISH_E10value_typeEPSI_NS1_7vsmem_tEENKUlT_SG_SH_SI_E_clIS7_S7_PlSB_EESF_SV_SG_SH_SI_EUlSV_E_NS1_11comp_targetILNS1_3genE3ELNS1_11target_archE908ELNS1_3gpuE7ELNS1_3repE0EEENS1_48merge_mergepath_partition_config_static_selectorELNS0_4arch9wavefront6targetE1EEEvSH_
	.p2align	8
	.type	_ZN7rocprim17ROCPRIM_400000_NS6detail17trampoline_kernelINS0_14default_configENS1_38merge_sort_block_merge_config_selectorIilEEZZNS1_27merge_sort_block_merge_implIS3_PiN6thrust23THRUST_200600_302600_NS10device_ptrIlEEjNS1_19radix_merge_compareILb0ELb1EiNS0_19identity_decomposerEEEEE10hipError_tT0_T1_T2_jT3_P12ihipStream_tbPNSt15iterator_traitsISG_E10value_typeEPNSM_ISH_E10value_typeEPSI_NS1_7vsmem_tEENKUlT_SG_SH_SI_E_clIS7_S7_PlSB_EESF_SV_SG_SH_SI_EUlSV_E_NS1_11comp_targetILNS1_3genE3ELNS1_11target_archE908ELNS1_3gpuE7ELNS1_3repE0EEENS1_48merge_mergepath_partition_config_static_selectorELNS0_4arch9wavefront6targetE1EEEvSH_,@function
_ZN7rocprim17ROCPRIM_400000_NS6detail17trampoline_kernelINS0_14default_configENS1_38merge_sort_block_merge_config_selectorIilEEZZNS1_27merge_sort_block_merge_implIS3_PiN6thrust23THRUST_200600_302600_NS10device_ptrIlEEjNS1_19radix_merge_compareILb0ELb1EiNS0_19identity_decomposerEEEEE10hipError_tT0_T1_T2_jT3_P12ihipStream_tbPNSt15iterator_traitsISG_E10value_typeEPNSM_ISH_E10value_typeEPSI_NS1_7vsmem_tEENKUlT_SG_SH_SI_E_clIS7_S7_PlSB_EESF_SV_SG_SH_SI_EUlSV_E_NS1_11comp_targetILNS1_3genE3ELNS1_11target_archE908ELNS1_3gpuE7ELNS1_3repE0EEENS1_48merge_mergepath_partition_config_static_selectorELNS0_4arch9wavefront6targetE1EEEvSH_: ; @_ZN7rocprim17ROCPRIM_400000_NS6detail17trampoline_kernelINS0_14default_configENS1_38merge_sort_block_merge_config_selectorIilEEZZNS1_27merge_sort_block_merge_implIS3_PiN6thrust23THRUST_200600_302600_NS10device_ptrIlEEjNS1_19radix_merge_compareILb0ELb1EiNS0_19identity_decomposerEEEEE10hipError_tT0_T1_T2_jT3_P12ihipStream_tbPNSt15iterator_traitsISG_E10value_typeEPNSM_ISH_E10value_typeEPSI_NS1_7vsmem_tEENKUlT_SG_SH_SI_E_clIS7_S7_PlSB_EESF_SV_SG_SH_SI_EUlSV_E_NS1_11comp_targetILNS1_3genE3ELNS1_11target_archE908ELNS1_3gpuE7ELNS1_3repE0EEENS1_48merge_mergepath_partition_config_static_selectorELNS0_4arch9wavefront6targetE1EEEvSH_
; %bb.0:
	.section	.rodata,"a",@progbits
	.p2align	6, 0x0
	.amdhsa_kernel _ZN7rocprim17ROCPRIM_400000_NS6detail17trampoline_kernelINS0_14default_configENS1_38merge_sort_block_merge_config_selectorIilEEZZNS1_27merge_sort_block_merge_implIS3_PiN6thrust23THRUST_200600_302600_NS10device_ptrIlEEjNS1_19radix_merge_compareILb0ELb1EiNS0_19identity_decomposerEEEEE10hipError_tT0_T1_T2_jT3_P12ihipStream_tbPNSt15iterator_traitsISG_E10value_typeEPNSM_ISH_E10value_typeEPSI_NS1_7vsmem_tEENKUlT_SG_SH_SI_E_clIS7_S7_PlSB_EESF_SV_SG_SH_SI_EUlSV_E_NS1_11comp_targetILNS1_3genE3ELNS1_11target_archE908ELNS1_3gpuE7ELNS1_3repE0EEENS1_48merge_mergepath_partition_config_static_selectorELNS0_4arch9wavefront6targetE1EEEvSH_
		.amdhsa_group_segment_fixed_size 0
		.amdhsa_private_segment_fixed_size 0
		.amdhsa_kernarg_size 40
		.amdhsa_user_sgpr_count 6
		.amdhsa_user_sgpr_private_segment_buffer 1
		.amdhsa_user_sgpr_dispatch_ptr 0
		.amdhsa_user_sgpr_queue_ptr 0
		.amdhsa_user_sgpr_kernarg_segment_ptr 1
		.amdhsa_user_sgpr_dispatch_id 0
		.amdhsa_user_sgpr_flat_scratch_init 0
		.amdhsa_user_sgpr_private_segment_size 0
		.amdhsa_uses_dynamic_stack 0
		.amdhsa_system_sgpr_private_segment_wavefront_offset 0
		.amdhsa_system_sgpr_workgroup_id_x 1
		.amdhsa_system_sgpr_workgroup_id_y 0
		.amdhsa_system_sgpr_workgroup_id_z 0
		.amdhsa_system_sgpr_workgroup_info 0
		.amdhsa_system_vgpr_workitem_id 0
		.amdhsa_next_free_vgpr 1
		.amdhsa_next_free_sgpr 0
		.amdhsa_reserve_vcc 0
		.amdhsa_reserve_flat_scratch 0
		.amdhsa_float_round_mode_32 0
		.amdhsa_float_round_mode_16_64 0
		.amdhsa_float_denorm_mode_32 3
		.amdhsa_float_denorm_mode_16_64 3
		.amdhsa_dx10_clamp 1
		.amdhsa_ieee_mode 1
		.amdhsa_fp16_overflow 0
		.amdhsa_exception_fp_ieee_invalid_op 0
		.amdhsa_exception_fp_denorm_src 0
		.amdhsa_exception_fp_ieee_div_zero 0
		.amdhsa_exception_fp_ieee_overflow 0
		.amdhsa_exception_fp_ieee_underflow 0
		.amdhsa_exception_fp_ieee_inexact 0
		.amdhsa_exception_int_div_zero 0
	.end_amdhsa_kernel
	.section	.text._ZN7rocprim17ROCPRIM_400000_NS6detail17trampoline_kernelINS0_14default_configENS1_38merge_sort_block_merge_config_selectorIilEEZZNS1_27merge_sort_block_merge_implIS3_PiN6thrust23THRUST_200600_302600_NS10device_ptrIlEEjNS1_19radix_merge_compareILb0ELb1EiNS0_19identity_decomposerEEEEE10hipError_tT0_T1_T2_jT3_P12ihipStream_tbPNSt15iterator_traitsISG_E10value_typeEPNSM_ISH_E10value_typeEPSI_NS1_7vsmem_tEENKUlT_SG_SH_SI_E_clIS7_S7_PlSB_EESF_SV_SG_SH_SI_EUlSV_E_NS1_11comp_targetILNS1_3genE3ELNS1_11target_archE908ELNS1_3gpuE7ELNS1_3repE0EEENS1_48merge_mergepath_partition_config_static_selectorELNS0_4arch9wavefront6targetE1EEEvSH_,"axG",@progbits,_ZN7rocprim17ROCPRIM_400000_NS6detail17trampoline_kernelINS0_14default_configENS1_38merge_sort_block_merge_config_selectorIilEEZZNS1_27merge_sort_block_merge_implIS3_PiN6thrust23THRUST_200600_302600_NS10device_ptrIlEEjNS1_19radix_merge_compareILb0ELb1EiNS0_19identity_decomposerEEEEE10hipError_tT0_T1_T2_jT3_P12ihipStream_tbPNSt15iterator_traitsISG_E10value_typeEPNSM_ISH_E10value_typeEPSI_NS1_7vsmem_tEENKUlT_SG_SH_SI_E_clIS7_S7_PlSB_EESF_SV_SG_SH_SI_EUlSV_E_NS1_11comp_targetILNS1_3genE3ELNS1_11target_archE908ELNS1_3gpuE7ELNS1_3repE0EEENS1_48merge_mergepath_partition_config_static_selectorELNS0_4arch9wavefront6targetE1EEEvSH_,comdat
.Lfunc_end804:
	.size	_ZN7rocprim17ROCPRIM_400000_NS6detail17trampoline_kernelINS0_14default_configENS1_38merge_sort_block_merge_config_selectorIilEEZZNS1_27merge_sort_block_merge_implIS3_PiN6thrust23THRUST_200600_302600_NS10device_ptrIlEEjNS1_19radix_merge_compareILb0ELb1EiNS0_19identity_decomposerEEEEE10hipError_tT0_T1_T2_jT3_P12ihipStream_tbPNSt15iterator_traitsISG_E10value_typeEPNSM_ISH_E10value_typeEPSI_NS1_7vsmem_tEENKUlT_SG_SH_SI_E_clIS7_S7_PlSB_EESF_SV_SG_SH_SI_EUlSV_E_NS1_11comp_targetILNS1_3genE3ELNS1_11target_archE908ELNS1_3gpuE7ELNS1_3repE0EEENS1_48merge_mergepath_partition_config_static_selectorELNS0_4arch9wavefront6targetE1EEEvSH_, .Lfunc_end804-_ZN7rocprim17ROCPRIM_400000_NS6detail17trampoline_kernelINS0_14default_configENS1_38merge_sort_block_merge_config_selectorIilEEZZNS1_27merge_sort_block_merge_implIS3_PiN6thrust23THRUST_200600_302600_NS10device_ptrIlEEjNS1_19radix_merge_compareILb0ELb1EiNS0_19identity_decomposerEEEEE10hipError_tT0_T1_T2_jT3_P12ihipStream_tbPNSt15iterator_traitsISG_E10value_typeEPNSM_ISH_E10value_typeEPSI_NS1_7vsmem_tEENKUlT_SG_SH_SI_E_clIS7_S7_PlSB_EESF_SV_SG_SH_SI_EUlSV_E_NS1_11comp_targetILNS1_3genE3ELNS1_11target_archE908ELNS1_3gpuE7ELNS1_3repE0EEENS1_48merge_mergepath_partition_config_static_selectorELNS0_4arch9wavefront6targetE1EEEvSH_
                                        ; -- End function
	.set _ZN7rocprim17ROCPRIM_400000_NS6detail17trampoline_kernelINS0_14default_configENS1_38merge_sort_block_merge_config_selectorIilEEZZNS1_27merge_sort_block_merge_implIS3_PiN6thrust23THRUST_200600_302600_NS10device_ptrIlEEjNS1_19radix_merge_compareILb0ELb1EiNS0_19identity_decomposerEEEEE10hipError_tT0_T1_T2_jT3_P12ihipStream_tbPNSt15iterator_traitsISG_E10value_typeEPNSM_ISH_E10value_typeEPSI_NS1_7vsmem_tEENKUlT_SG_SH_SI_E_clIS7_S7_PlSB_EESF_SV_SG_SH_SI_EUlSV_E_NS1_11comp_targetILNS1_3genE3ELNS1_11target_archE908ELNS1_3gpuE7ELNS1_3repE0EEENS1_48merge_mergepath_partition_config_static_selectorELNS0_4arch9wavefront6targetE1EEEvSH_.num_vgpr, 0
	.set _ZN7rocprim17ROCPRIM_400000_NS6detail17trampoline_kernelINS0_14default_configENS1_38merge_sort_block_merge_config_selectorIilEEZZNS1_27merge_sort_block_merge_implIS3_PiN6thrust23THRUST_200600_302600_NS10device_ptrIlEEjNS1_19radix_merge_compareILb0ELb1EiNS0_19identity_decomposerEEEEE10hipError_tT0_T1_T2_jT3_P12ihipStream_tbPNSt15iterator_traitsISG_E10value_typeEPNSM_ISH_E10value_typeEPSI_NS1_7vsmem_tEENKUlT_SG_SH_SI_E_clIS7_S7_PlSB_EESF_SV_SG_SH_SI_EUlSV_E_NS1_11comp_targetILNS1_3genE3ELNS1_11target_archE908ELNS1_3gpuE7ELNS1_3repE0EEENS1_48merge_mergepath_partition_config_static_selectorELNS0_4arch9wavefront6targetE1EEEvSH_.num_agpr, 0
	.set _ZN7rocprim17ROCPRIM_400000_NS6detail17trampoline_kernelINS0_14default_configENS1_38merge_sort_block_merge_config_selectorIilEEZZNS1_27merge_sort_block_merge_implIS3_PiN6thrust23THRUST_200600_302600_NS10device_ptrIlEEjNS1_19radix_merge_compareILb0ELb1EiNS0_19identity_decomposerEEEEE10hipError_tT0_T1_T2_jT3_P12ihipStream_tbPNSt15iterator_traitsISG_E10value_typeEPNSM_ISH_E10value_typeEPSI_NS1_7vsmem_tEENKUlT_SG_SH_SI_E_clIS7_S7_PlSB_EESF_SV_SG_SH_SI_EUlSV_E_NS1_11comp_targetILNS1_3genE3ELNS1_11target_archE908ELNS1_3gpuE7ELNS1_3repE0EEENS1_48merge_mergepath_partition_config_static_selectorELNS0_4arch9wavefront6targetE1EEEvSH_.numbered_sgpr, 0
	.set _ZN7rocprim17ROCPRIM_400000_NS6detail17trampoline_kernelINS0_14default_configENS1_38merge_sort_block_merge_config_selectorIilEEZZNS1_27merge_sort_block_merge_implIS3_PiN6thrust23THRUST_200600_302600_NS10device_ptrIlEEjNS1_19radix_merge_compareILb0ELb1EiNS0_19identity_decomposerEEEEE10hipError_tT0_T1_T2_jT3_P12ihipStream_tbPNSt15iterator_traitsISG_E10value_typeEPNSM_ISH_E10value_typeEPSI_NS1_7vsmem_tEENKUlT_SG_SH_SI_E_clIS7_S7_PlSB_EESF_SV_SG_SH_SI_EUlSV_E_NS1_11comp_targetILNS1_3genE3ELNS1_11target_archE908ELNS1_3gpuE7ELNS1_3repE0EEENS1_48merge_mergepath_partition_config_static_selectorELNS0_4arch9wavefront6targetE1EEEvSH_.num_named_barrier, 0
	.set _ZN7rocprim17ROCPRIM_400000_NS6detail17trampoline_kernelINS0_14default_configENS1_38merge_sort_block_merge_config_selectorIilEEZZNS1_27merge_sort_block_merge_implIS3_PiN6thrust23THRUST_200600_302600_NS10device_ptrIlEEjNS1_19radix_merge_compareILb0ELb1EiNS0_19identity_decomposerEEEEE10hipError_tT0_T1_T2_jT3_P12ihipStream_tbPNSt15iterator_traitsISG_E10value_typeEPNSM_ISH_E10value_typeEPSI_NS1_7vsmem_tEENKUlT_SG_SH_SI_E_clIS7_S7_PlSB_EESF_SV_SG_SH_SI_EUlSV_E_NS1_11comp_targetILNS1_3genE3ELNS1_11target_archE908ELNS1_3gpuE7ELNS1_3repE0EEENS1_48merge_mergepath_partition_config_static_selectorELNS0_4arch9wavefront6targetE1EEEvSH_.private_seg_size, 0
	.set _ZN7rocprim17ROCPRIM_400000_NS6detail17trampoline_kernelINS0_14default_configENS1_38merge_sort_block_merge_config_selectorIilEEZZNS1_27merge_sort_block_merge_implIS3_PiN6thrust23THRUST_200600_302600_NS10device_ptrIlEEjNS1_19radix_merge_compareILb0ELb1EiNS0_19identity_decomposerEEEEE10hipError_tT0_T1_T2_jT3_P12ihipStream_tbPNSt15iterator_traitsISG_E10value_typeEPNSM_ISH_E10value_typeEPSI_NS1_7vsmem_tEENKUlT_SG_SH_SI_E_clIS7_S7_PlSB_EESF_SV_SG_SH_SI_EUlSV_E_NS1_11comp_targetILNS1_3genE3ELNS1_11target_archE908ELNS1_3gpuE7ELNS1_3repE0EEENS1_48merge_mergepath_partition_config_static_selectorELNS0_4arch9wavefront6targetE1EEEvSH_.uses_vcc, 0
	.set _ZN7rocprim17ROCPRIM_400000_NS6detail17trampoline_kernelINS0_14default_configENS1_38merge_sort_block_merge_config_selectorIilEEZZNS1_27merge_sort_block_merge_implIS3_PiN6thrust23THRUST_200600_302600_NS10device_ptrIlEEjNS1_19radix_merge_compareILb0ELb1EiNS0_19identity_decomposerEEEEE10hipError_tT0_T1_T2_jT3_P12ihipStream_tbPNSt15iterator_traitsISG_E10value_typeEPNSM_ISH_E10value_typeEPSI_NS1_7vsmem_tEENKUlT_SG_SH_SI_E_clIS7_S7_PlSB_EESF_SV_SG_SH_SI_EUlSV_E_NS1_11comp_targetILNS1_3genE3ELNS1_11target_archE908ELNS1_3gpuE7ELNS1_3repE0EEENS1_48merge_mergepath_partition_config_static_selectorELNS0_4arch9wavefront6targetE1EEEvSH_.uses_flat_scratch, 0
	.set _ZN7rocprim17ROCPRIM_400000_NS6detail17trampoline_kernelINS0_14default_configENS1_38merge_sort_block_merge_config_selectorIilEEZZNS1_27merge_sort_block_merge_implIS3_PiN6thrust23THRUST_200600_302600_NS10device_ptrIlEEjNS1_19radix_merge_compareILb0ELb1EiNS0_19identity_decomposerEEEEE10hipError_tT0_T1_T2_jT3_P12ihipStream_tbPNSt15iterator_traitsISG_E10value_typeEPNSM_ISH_E10value_typeEPSI_NS1_7vsmem_tEENKUlT_SG_SH_SI_E_clIS7_S7_PlSB_EESF_SV_SG_SH_SI_EUlSV_E_NS1_11comp_targetILNS1_3genE3ELNS1_11target_archE908ELNS1_3gpuE7ELNS1_3repE0EEENS1_48merge_mergepath_partition_config_static_selectorELNS0_4arch9wavefront6targetE1EEEvSH_.has_dyn_sized_stack, 0
	.set _ZN7rocprim17ROCPRIM_400000_NS6detail17trampoline_kernelINS0_14default_configENS1_38merge_sort_block_merge_config_selectorIilEEZZNS1_27merge_sort_block_merge_implIS3_PiN6thrust23THRUST_200600_302600_NS10device_ptrIlEEjNS1_19radix_merge_compareILb0ELb1EiNS0_19identity_decomposerEEEEE10hipError_tT0_T1_T2_jT3_P12ihipStream_tbPNSt15iterator_traitsISG_E10value_typeEPNSM_ISH_E10value_typeEPSI_NS1_7vsmem_tEENKUlT_SG_SH_SI_E_clIS7_S7_PlSB_EESF_SV_SG_SH_SI_EUlSV_E_NS1_11comp_targetILNS1_3genE3ELNS1_11target_archE908ELNS1_3gpuE7ELNS1_3repE0EEENS1_48merge_mergepath_partition_config_static_selectorELNS0_4arch9wavefront6targetE1EEEvSH_.has_recursion, 0
	.set _ZN7rocprim17ROCPRIM_400000_NS6detail17trampoline_kernelINS0_14default_configENS1_38merge_sort_block_merge_config_selectorIilEEZZNS1_27merge_sort_block_merge_implIS3_PiN6thrust23THRUST_200600_302600_NS10device_ptrIlEEjNS1_19radix_merge_compareILb0ELb1EiNS0_19identity_decomposerEEEEE10hipError_tT0_T1_T2_jT3_P12ihipStream_tbPNSt15iterator_traitsISG_E10value_typeEPNSM_ISH_E10value_typeEPSI_NS1_7vsmem_tEENKUlT_SG_SH_SI_E_clIS7_S7_PlSB_EESF_SV_SG_SH_SI_EUlSV_E_NS1_11comp_targetILNS1_3genE3ELNS1_11target_archE908ELNS1_3gpuE7ELNS1_3repE0EEENS1_48merge_mergepath_partition_config_static_selectorELNS0_4arch9wavefront6targetE1EEEvSH_.has_indirect_call, 0
	.section	.AMDGPU.csdata,"",@progbits
; Kernel info:
; codeLenInByte = 0
; TotalNumSgprs: 4
; NumVgprs: 0
; ScratchSize: 0
; MemoryBound: 0
; FloatMode: 240
; IeeeMode: 1
; LDSByteSize: 0 bytes/workgroup (compile time only)
; SGPRBlocks: 0
; VGPRBlocks: 0
; NumSGPRsForWavesPerEU: 4
; NumVGPRsForWavesPerEU: 1
; Occupancy: 10
; WaveLimiterHint : 0
; COMPUTE_PGM_RSRC2:SCRATCH_EN: 0
; COMPUTE_PGM_RSRC2:USER_SGPR: 6
; COMPUTE_PGM_RSRC2:TRAP_HANDLER: 0
; COMPUTE_PGM_RSRC2:TGID_X_EN: 1
; COMPUTE_PGM_RSRC2:TGID_Y_EN: 0
; COMPUTE_PGM_RSRC2:TGID_Z_EN: 0
; COMPUTE_PGM_RSRC2:TIDIG_COMP_CNT: 0
	.section	.text._ZN7rocprim17ROCPRIM_400000_NS6detail17trampoline_kernelINS0_14default_configENS1_38merge_sort_block_merge_config_selectorIilEEZZNS1_27merge_sort_block_merge_implIS3_PiN6thrust23THRUST_200600_302600_NS10device_ptrIlEEjNS1_19radix_merge_compareILb0ELb1EiNS0_19identity_decomposerEEEEE10hipError_tT0_T1_T2_jT3_P12ihipStream_tbPNSt15iterator_traitsISG_E10value_typeEPNSM_ISH_E10value_typeEPSI_NS1_7vsmem_tEENKUlT_SG_SH_SI_E_clIS7_S7_PlSB_EESF_SV_SG_SH_SI_EUlSV_E_NS1_11comp_targetILNS1_3genE2ELNS1_11target_archE906ELNS1_3gpuE6ELNS1_3repE0EEENS1_48merge_mergepath_partition_config_static_selectorELNS0_4arch9wavefront6targetE1EEEvSH_,"axG",@progbits,_ZN7rocprim17ROCPRIM_400000_NS6detail17trampoline_kernelINS0_14default_configENS1_38merge_sort_block_merge_config_selectorIilEEZZNS1_27merge_sort_block_merge_implIS3_PiN6thrust23THRUST_200600_302600_NS10device_ptrIlEEjNS1_19radix_merge_compareILb0ELb1EiNS0_19identity_decomposerEEEEE10hipError_tT0_T1_T2_jT3_P12ihipStream_tbPNSt15iterator_traitsISG_E10value_typeEPNSM_ISH_E10value_typeEPSI_NS1_7vsmem_tEENKUlT_SG_SH_SI_E_clIS7_S7_PlSB_EESF_SV_SG_SH_SI_EUlSV_E_NS1_11comp_targetILNS1_3genE2ELNS1_11target_archE906ELNS1_3gpuE6ELNS1_3repE0EEENS1_48merge_mergepath_partition_config_static_selectorELNS0_4arch9wavefront6targetE1EEEvSH_,comdat
	.protected	_ZN7rocprim17ROCPRIM_400000_NS6detail17trampoline_kernelINS0_14default_configENS1_38merge_sort_block_merge_config_selectorIilEEZZNS1_27merge_sort_block_merge_implIS3_PiN6thrust23THRUST_200600_302600_NS10device_ptrIlEEjNS1_19radix_merge_compareILb0ELb1EiNS0_19identity_decomposerEEEEE10hipError_tT0_T1_T2_jT3_P12ihipStream_tbPNSt15iterator_traitsISG_E10value_typeEPNSM_ISH_E10value_typeEPSI_NS1_7vsmem_tEENKUlT_SG_SH_SI_E_clIS7_S7_PlSB_EESF_SV_SG_SH_SI_EUlSV_E_NS1_11comp_targetILNS1_3genE2ELNS1_11target_archE906ELNS1_3gpuE6ELNS1_3repE0EEENS1_48merge_mergepath_partition_config_static_selectorELNS0_4arch9wavefront6targetE1EEEvSH_ ; -- Begin function _ZN7rocprim17ROCPRIM_400000_NS6detail17trampoline_kernelINS0_14default_configENS1_38merge_sort_block_merge_config_selectorIilEEZZNS1_27merge_sort_block_merge_implIS3_PiN6thrust23THRUST_200600_302600_NS10device_ptrIlEEjNS1_19radix_merge_compareILb0ELb1EiNS0_19identity_decomposerEEEEE10hipError_tT0_T1_T2_jT3_P12ihipStream_tbPNSt15iterator_traitsISG_E10value_typeEPNSM_ISH_E10value_typeEPSI_NS1_7vsmem_tEENKUlT_SG_SH_SI_E_clIS7_S7_PlSB_EESF_SV_SG_SH_SI_EUlSV_E_NS1_11comp_targetILNS1_3genE2ELNS1_11target_archE906ELNS1_3gpuE6ELNS1_3repE0EEENS1_48merge_mergepath_partition_config_static_selectorELNS0_4arch9wavefront6targetE1EEEvSH_
	.globl	_ZN7rocprim17ROCPRIM_400000_NS6detail17trampoline_kernelINS0_14default_configENS1_38merge_sort_block_merge_config_selectorIilEEZZNS1_27merge_sort_block_merge_implIS3_PiN6thrust23THRUST_200600_302600_NS10device_ptrIlEEjNS1_19radix_merge_compareILb0ELb1EiNS0_19identity_decomposerEEEEE10hipError_tT0_T1_T2_jT3_P12ihipStream_tbPNSt15iterator_traitsISG_E10value_typeEPNSM_ISH_E10value_typeEPSI_NS1_7vsmem_tEENKUlT_SG_SH_SI_E_clIS7_S7_PlSB_EESF_SV_SG_SH_SI_EUlSV_E_NS1_11comp_targetILNS1_3genE2ELNS1_11target_archE906ELNS1_3gpuE6ELNS1_3repE0EEENS1_48merge_mergepath_partition_config_static_selectorELNS0_4arch9wavefront6targetE1EEEvSH_
	.p2align	8
	.type	_ZN7rocprim17ROCPRIM_400000_NS6detail17trampoline_kernelINS0_14default_configENS1_38merge_sort_block_merge_config_selectorIilEEZZNS1_27merge_sort_block_merge_implIS3_PiN6thrust23THRUST_200600_302600_NS10device_ptrIlEEjNS1_19radix_merge_compareILb0ELb1EiNS0_19identity_decomposerEEEEE10hipError_tT0_T1_T2_jT3_P12ihipStream_tbPNSt15iterator_traitsISG_E10value_typeEPNSM_ISH_E10value_typeEPSI_NS1_7vsmem_tEENKUlT_SG_SH_SI_E_clIS7_S7_PlSB_EESF_SV_SG_SH_SI_EUlSV_E_NS1_11comp_targetILNS1_3genE2ELNS1_11target_archE906ELNS1_3gpuE6ELNS1_3repE0EEENS1_48merge_mergepath_partition_config_static_selectorELNS0_4arch9wavefront6targetE1EEEvSH_,@function
_ZN7rocprim17ROCPRIM_400000_NS6detail17trampoline_kernelINS0_14default_configENS1_38merge_sort_block_merge_config_selectorIilEEZZNS1_27merge_sort_block_merge_implIS3_PiN6thrust23THRUST_200600_302600_NS10device_ptrIlEEjNS1_19radix_merge_compareILb0ELb1EiNS0_19identity_decomposerEEEEE10hipError_tT0_T1_T2_jT3_P12ihipStream_tbPNSt15iterator_traitsISG_E10value_typeEPNSM_ISH_E10value_typeEPSI_NS1_7vsmem_tEENKUlT_SG_SH_SI_E_clIS7_S7_PlSB_EESF_SV_SG_SH_SI_EUlSV_E_NS1_11comp_targetILNS1_3genE2ELNS1_11target_archE906ELNS1_3gpuE6ELNS1_3repE0EEENS1_48merge_mergepath_partition_config_static_selectorELNS0_4arch9wavefront6targetE1EEEvSH_: ; @_ZN7rocprim17ROCPRIM_400000_NS6detail17trampoline_kernelINS0_14default_configENS1_38merge_sort_block_merge_config_selectorIilEEZZNS1_27merge_sort_block_merge_implIS3_PiN6thrust23THRUST_200600_302600_NS10device_ptrIlEEjNS1_19radix_merge_compareILb0ELb1EiNS0_19identity_decomposerEEEEE10hipError_tT0_T1_T2_jT3_P12ihipStream_tbPNSt15iterator_traitsISG_E10value_typeEPNSM_ISH_E10value_typeEPSI_NS1_7vsmem_tEENKUlT_SG_SH_SI_E_clIS7_S7_PlSB_EESF_SV_SG_SH_SI_EUlSV_E_NS1_11comp_targetILNS1_3genE2ELNS1_11target_archE906ELNS1_3gpuE6ELNS1_3repE0EEENS1_48merge_mergepath_partition_config_static_selectorELNS0_4arch9wavefront6targetE1EEEvSH_
; %bb.0:
	s_load_dword s0, s[4:5], 0x0
	v_lshl_or_b32 v0, s6, 7, v0
	s_waitcnt lgkmcnt(0)
	v_cmp_gt_u32_e32 vcc, s0, v0
	s_and_saveexec_b64 s[0:1], vcc
	s_cbranch_execz .LBB805_6
; %bb.1:
	s_load_dwordx2 s[2:3], s[4:5], 0x4
	s_load_dwordx2 s[0:1], s[4:5], 0x20
	s_waitcnt lgkmcnt(0)
	s_lshr_b32 s6, s2, 9
	s_and_b32 s6, s6, 0x7ffffe
	s_add_i32 s7, s6, -1
	s_sub_i32 s6, 0, s6
	v_and_b32_e32 v1, s6, v0
	v_lshlrev_b32_e32 v3, 10, v1
	v_min_u32_e32 v1, s3, v3
	v_add_u32_e32 v3, s2, v3
	v_min_u32_e32 v3, s3, v3
	v_add_u32_e32 v4, s2, v3
	v_and_b32_e32 v2, s7, v0
	v_min_u32_e32 v4, s3, v4
	v_sub_u32_e32 v5, v4, v1
	v_lshlrev_b32_e32 v2, 10, v2
	v_min_u32_e32 v6, v5, v2
	v_sub_u32_e32 v2, v3, v1
	v_sub_u32_e32 v4, v4, v3
	v_sub_u32_e64 v5, v6, v4 clamp
	v_min_u32_e32 v7, v6, v2
	v_cmp_lt_u32_e32 vcc, v5, v7
	s_and_saveexec_b64 s[2:3], vcc
	s_cbranch_execz .LBB805_5
; %bb.2:
	s_load_dwordx2 s[8:9], s[4:5], 0x10
	s_load_dword s6, s[4:5], 0x18
	v_mov_b32_e32 v4, 0
	v_mov_b32_e32 v2, v4
	v_lshlrev_b64 v[8:9], 2, v[1:2]
	s_waitcnt lgkmcnt(0)
	v_mov_b32_e32 v11, s9
	v_add_co_u32_e32 v2, vcc, s8, v8
	v_addc_co_u32_e32 v8, vcc, v11, v9, vcc
	v_lshlrev_b64 v[9:10], 2, v[3:4]
	s_mov_b64 s[4:5], 0
	v_add_co_u32_e32 v9, vcc, s8, v9
	v_addc_co_u32_e32 v10, vcc, v11, v10, vcc
.LBB805_3:                              ; =>This Inner Loop Header: Depth=1
	v_add_u32_e32 v3, v7, v5
	v_lshrrev_b32_e32 v3, 1, v3
	v_lshlrev_b64 v[13:14], 2, v[3:4]
	v_mov_b32_e32 v12, v4
	v_xad_u32 v11, v3, -1, v6
	v_lshlrev_b64 v[11:12], 2, v[11:12]
	v_add_co_u32_e32 v13, vcc, v2, v13
	v_addc_co_u32_e32 v14, vcc, v8, v14, vcc
	v_add_co_u32_e32 v11, vcc, v9, v11
	v_addc_co_u32_e32 v12, vcc, v10, v12, vcc
	global_load_dword v15, v[13:14], off
	global_load_dword v16, v[11:12], off
	v_add_u32_e32 v11, 1, v3
	s_waitcnt vmcnt(1)
	v_and_b32_e32 v12, s6, v15
	s_waitcnt vmcnt(0)
	v_and_b32_e32 v13, s6, v16
	v_cmp_gt_i32_e32 vcc, v12, v13
	v_cndmask_b32_e32 v7, v7, v3, vcc
	v_cndmask_b32_e32 v5, v11, v5, vcc
	v_cmp_ge_u32_e32 vcc, v5, v7
	s_or_b64 s[4:5], vcc, s[4:5]
	s_andn2_b64 exec, exec, s[4:5]
	s_cbranch_execnz .LBB805_3
; %bb.4:
	s_or_b64 exec, exec, s[4:5]
.LBB805_5:
	s_or_b64 exec, exec, s[2:3]
	v_add_u32_e32 v2, v5, v1
	v_mov_b32_e32 v1, 0
	v_lshlrev_b64 v[0:1], 2, v[0:1]
	v_mov_b32_e32 v3, s1
	v_add_co_u32_e32 v0, vcc, s0, v0
	v_addc_co_u32_e32 v1, vcc, v3, v1, vcc
	global_store_dword v[0:1], v2, off
.LBB805_6:
	s_endpgm
	.section	.rodata,"a",@progbits
	.p2align	6, 0x0
	.amdhsa_kernel _ZN7rocprim17ROCPRIM_400000_NS6detail17trampoline_kernelINS0_14default_configENS1_38merge_sort_block_merge_config_selectorIilEEZZNS1_27merge_sort_block_merge_implIS3_PiN6thrust23THRUST_200600_302600_NS10device_ptrIlEEjNS1_19radix_merge_compareILb0ELb1EiNS0_19identity_decomposerEEEEE10hipError_tT0_T1_T2_jT3_P12ihipStream_tbPNSt15iterator_traitsISG_E10value_typeEPNSM_ISH_E10value_typeEPSI_NS1_7vsmem_tEENKUlT_SG_SH_SI_E_clIS7_S7_PlSB_EESF_SV_SG_SH_SI_EUlSV_E_NS1_11comp_targetILNS1_3genE2ELNS1_11target_archE906ELNS1_3gpuE6ELNS1_3repE0EEENS1_48merge_mergepath_partition_config_static_selectorELNS0_4arch9wavefront6targetE1EEEvSH_
		.amdhsa_group_segment_fixed_size 0
		.amdhsa_private_segment_fixed_size 0
		.amdhsa_kernarg_size 40
		.amdhsa_user_sgpr_count 6
		.amdhsa_user_sgpr_private_segment_buffer 1
		.amdhsa_user_sgpr_dispatch_ptr 0
		.amdhsa_user_sgpr_queue_ptr 0
		.amdhsa_user_sgpr_kernarg_segment_ptr 1
		.amdhsa_user_sgpr_dispatch_id 0
		.amdhsa_user_sgpr_flat_scratch_init 0
		.amdhsa_user_sgpr_private_segment_size 0
		.amdhsa_uses_dynamic_stack 0
		.amdhsa_system_sgpr_private_segment_wavefront_offset 0
		.amdhsa_system_sgpr_workgroup_id_x 1
		.amdhsa_system_sgpr_workgroup_id_y 0
		.amdhsa_system_sgpr_workgroup_id_z 0
		.amdhsa_system_sgpr_workgroup_info 0
		.amdhsa_system_vgpr_workitem_id 0
		.amdhsa_next_free_vgpr 17
		.amdhsa_next_free_sgpr 10
		.amdhsa_reserve_vcc 1
		.amdhsa_reserve_flat_scratch 0
		.amdhsa_float_round_mode_32 0
		.amdhsa_float_round_mode_16_64 0
		.amdhsa_float_denorm_mode_32 3
		.amdhsa_float_denorm_mode_16_64 3
		.amdhsa_dx10_clamp 1
		.amdhsa_ieee_mode 1
		.amdhsa_fp16_overflow 0
		.amdhsa_exception_fp_ieee_invalid_op 0
		.amdhsa_exception_fp_denorm_src 0
		.amdhsa_exception_fp_ieee_div_zero 0
		.amdhsa_exception_fp_ieee_overflow 0
		.amdhsa_exception_fp_ieee_underflow 0
		.amdhsa_exception_fp_ieee_inexact 0
		.amdhsa_exception_int_div_zero 0
	.end_amdhsa_kernel
	.section	.text._ZN7rocprim17ROCPRIM_400000_NS6detail17trampoline_kernelINS0_14default_configENS1_38merge_sort_block_merge_config_selectorIilEEZZNS1_27merge_sort_block_merge_implIS3_PiN6thrust23THRUST_200600_302600_NS10device_ptrIlEEjNS1_19radix_merge_compareILb0ELb1EiNS0_19identity_decomposerEEEEE10hipError_tT0_T1_T2_jT3_P12ihipStream_tbPNSt15iterator_traitsISG_E10value_typeEPNSM_ISH_E10value_typeEPSI_NS1_7vsmem_tEENKUlT_SG_SH_SI_E_clIS7_S7_PlSB_EESF_SV_SG_SH_SI_EUlSV_E_NS1_11comp_targetILNS1_3genE2ELNS1_11target_archE906ELNS1_3gpuE6ELNS1_3repE0EEENS1_48merge_mergepath_partition_config_static_selectorELNS0_4arch9wavefront6targetE1EEEvSH_,"axG",@progbits,_ZN7rocprim17ROCPRIM_400000_NS6detail17trampoline_kernelINS0_14default_configENS1_38merge_sort_block_merge_config_selectorIilEEZZNS1_27merge_sort_block_merge_implIS3_PiN6thrust23THRUST_200600_302600_NS10device_ptrIlEEjNS1_19radix_merge_compareILb0ELb1EiNS0_19identity_decomposerEEEEE10hipError_tT0_T1_T2_jT3_P12ihipStream_tbPNSt15iterator_traitsISG_E10value_typeEPNSM_ISH_E10value_typeEPSI_NS1_7vsmem_tEENKUlT_SG_SH_SI_E_clIS7_S7_PlSB_EESF_SV_SG_SH_SI_EUlSV_E_NS1_11comp_targetILNS1_3genE2ELNS1_11target_archE906ELNS1_3gpuE6ELNS1_3repE0EEENS1_48merge_mergepath_partition_config_static_selectorELNS0_4arch9wavefront6targetE1EEEvSH_,comdat
.Lfunc_end805:
	.size	_ZN7rocprim17ROCPRIM_400000_NS6detail17trampoline_kernelINS0_14default_configENS1_38merge_sort_block_merge_config_selectorIilEEZZNS1_27merge_sort_block_merge_implIS3_PiN6thrust23THRUST_200600_302600_NS10device_ptrIlEEjNS1_19radix_merge_compareILb0ELb1EiNS0_19identity_decomposerEEEEE10hipError_tT0_T1_T2_jT3_P12ihipStream_tbPNSt15iterator_traitsISG_E10value_typeEPNSM_ISH_E10value_typeEPSI_NS1_7vsmem_tEENKUlT_SG_SH_SI_E_clIS7_S7_PlSB_EESF_SV_SG_SH_SI_EUlSV_E_NS1_11comp_targetILNS1_3genE2ELNS1_11target_archE906ELNS1_3gpuE6ELNS1_3repE0EEENS1_48merge_mergepath_partition_config_static_selectorELNS0_4arch9wavefront6targetE1EEEvSH_, .Lfunc_end805-_ZN7rocprim17ROCPRIM_400000_NS6detail17trampoline_kernelINS0_14default_configENS1_38merge_sort_block_merge_config_selectorIilEEZZNS1_27merge_sort_block_merge_implIS3_PiN6thrust23THRUST_200600_302600_NS10device_ptrIlEEjNS1_19radix_merge_compareILb0ELb1EiNS0_19identity_decomposerEEEEE10hipError_tT0_T1_T2_jT3_P12ihipStream_tbPNSt15iterator_traitsISG_E10value_typeEPNSM_ISH_E10value_typeEPSI_NS1_7vsmem_tEENKUlT_SG_SH_SI_E_clIS7_S7_PlSB_EESF_SV_SG_SH_SI_EUlSV_E_NS1_11comp_targetILNS1_3genE2ELNS1_11target_archE906ELNS1_3gpuE6ELNS1_3repE0EEENS1_48merge_mergepath_partition_config_static_selectorELNS0_4arch9wavefront6targetE1EEEvSH_
                                        ; -- End function
	.set _ZN7rocprim17ROCPRIM_400000_NS6detail17trampoline_kernelINS0_14default_configENS1_38merge_sort_block_merge_config_selectorIilEEZZNS1_27merge_sort_block_merge_implIS3_PiN6thrust23THRUST_200600_302600_NS10device_ptrIlEEjNS1_19radix_merge_compareILb0ELb1EiNS0_19identity_decomposerEEEEE10hipError_tT0_T1_T2_jT3_P12ihipStream_tbPNSt15iterator_traitsISG_E10value_typeEPNSM_ISH_E10value_typeEPSI_NS1_7vsmem_tEENKUlT_SG_SH_SI_E_clIS7_S7_PlSB_EESF_SV_SG_SH_SI_EUlSV_E_NS1_11comp_targetILNS1_3genE2ELNS1_11target_archE906ELNS1_3gpuE6ELNS1_3repE0EEENS1_48merge_mergepath_partition_config_static_selectorELNS0_4arch9wavefront6targetE1EEEvSH_.num_vgpr, 17
	.set _ZN7rocprim17ROCPRIM_400000_NS6detail17trampoline_kernelINS0_14default_configENS1_38merge_sort_block_merge_config_selectorIilEEZZNS1_27merge_sort_block_merge_implIS3_PiN6thrust23THRUST_200600_302600_NS10device_ptrIlEEjNS1_19radix_merge_compareILb0ELb1EiNS0_19identity_decomposerEEEEE10hipError_tT0_T1_T2_jT3_P12ihipStream_tbPNSt15iterator_traitsISG_E10value_typeEPNSM_ISH_E10value_typeEPSI_NS1_7vsmem_tEENKUlT_SG_SH_SI_E_clIS7_S7_PlSB_EESF_SV_SG_SH_SI_EUlSV_E_NS1_11comp_targetILNS1_3genE2ELNS1_11target_archE906ELNS1_3gpuE6ELNS1_3repE0EEENS1_48merge_mergepath_partition_config_static_selectorELNS0_4arch9wavefront6targetE1EEEvSH_.num_agpr, 0
	.set _ZN7rocprim17ROCPRIM_400000_NS6detail17trampoline_kernelINS0_14default_configENS1_38merge_sort_block_merge_config_selectorIilEEZZNS1_27merge_sort_block_merge_implIS3_PiN6thrust23THRUST_200600_302600_NS10device_ptrIlEEjNS1_19radix_merge_compareILb0ELb1EiNS0_19identity_decomposerEEEEE10hipError_tT0_T1_T2_jT3_P12ihipStream_tbPNSt15iterator_traitsISG_E10value_typeEPNSM_ISH_E10value_typeEPSI_NS1_7vsmem_tEENKUlT_SG_SH_SI_E_clIS7_S7_PlSB_EESF_SV_SG_SH_SI_EUlSV_E_NS1_11comp_targetILNS1_3genE2ELNS1_11target_archE906ELNS1_3gpuE6ELNS1_3repE0EEENS1_48merge_mergepath_partition_config_static_selectorELNS0_4arch9wavefront6targetE1EEEvSH_.numbered_sgpr, 10
	.set _ZN7rocprim17ROCPRIM_400000_NS6detail17trampoline_kernelINS0_14default_configENS1_38merge_sort_block_merge_config_selectorIilEEZZNS1_27merge_sort_block_merge_implIS3_PiN6thrust23THRUST_200600_302600_NS10device_ptrIlEEjNS1_19radix_merge_compareILb0ELb1EiNS0_19identity_decomposerEEEEE10hipError_tT0_T1_T2_jT3_P12ihipStream_tbPNSt15iterator_traitsISG_E10value_typeEPNSM_ISH_E10value_typeEPSI_NS1_7vsmem_tEENKUlT_SG_SH_SI_E_clIS7_S7_PlSB_EESF_SV_SG_SH_SI_EUlSV_E_NS1_11comp_targetILNS1_3genE2ELNS1_11target_archE906ELNS1_3gpuE6ELNS1_3repE0EEENS1_48merge_mergepath_partition_config_static_selectorELNS0_4arch9wavefront6targetE1EEEvSH_.num_named_barrier, 0
	.set _ZN7rocprim17ROCPRIM_400000_NS6detail17trampoline_kernelINS0_14default_configENS1_38merge_sort_block_merge_config_selectorIilEEZZNS1_27merge_sort_block_merge_implIS3_PiN6thrust23THRUST_200600_302600_NS10device_ptrIlEEjNS1_19radix_merge_compareILb0ELb1EiNS0_19identity_decomposerEEEEE10hipError_tT0_T1_T2_jT3_P12ihipStream_tbPNSt15iterator_traitsISG_E10value_typeEPNSM_ISH_E10value_typeEPSI_NS1_7vsmem_tEENKUlT_SG_SH_SI_E_clIS7_S7_PlSB_EESF_SV_SG_SH_SI_EUlSV_E_NS1_11comp_targetILNS1_3genE2ELNS1_11target_archE906ELNS1_3gpuE6ELNS1_3repE0EEENS1_48merge_mergepath_partition_config_static_selectorELNS0_4arch9wavefront6targetE1EEEvSH_.private_seg_size, 0
	.set _ZN7rocprim17ROCPRIM_400000_NS6detail17trampoline_kernelINS0_14default_configENS1_38merge_sort_block_merge_config_selectorIilEEZZNS1_27merge_sort_block_merge_implIS3_PiN6thrust23THRUST_200600_302600_NS10device_ptrIlEEjNS1_19radix_merge_compareILb0ELb1EiNS0_19identity_decomposerEEEEE10hipError_tT0_T1_T2_jT3_P12ihipStream_tbPNSt15iterator_traitsISG_E10value_typeEPNSM_ISH_E10value_typeEPSI_NS1_7vsmem_tEENKUlT_SG_SH_SI_E_clIS7_S7_PlSB_EESF_SV_SG_SH_SI_EUlSV_E_NS1_11comp_targetILNS1_3genE2ELNS1_11target_archE906ELNS1_3gpuE6ELNS1_3repE0EEENS1_48merge_mergepath_partition_config_static_selectorELNS0_4arch9wavefront6targetE1EEEvSH_.uses_vcc, 1
	.set _ZN7rocprim17ROCPRIM_400000_NS6detail17trampoline_kernelINS0_14default_configENS1_38merge_sort_block_merge_config_selectorIilEEZZNS1_27merge_sort_block_merge_implIS3_PiN6thrust23THRUST_200600_302600_NS10device_ptrIlEEjNS1_19radix_merge_compareILb0ELb1EiNS0_19identity_decomposerEEEEE10hipError_tT0_T1_T2_jT3_P12ihipStream_tbPNSt15iterator_traitsISG_E10value_typeEPNSM_ISH_E10value_typeEPSI_NS1_7vsmem_tEENKUlT_SG_SH_SI_E_clIS7_S7_PlSB_EESF_SV_SG_SH_SI_EUlSV_E_NS1_11comp_targetILNS1_3genE2ELNS1_11target_archE906ELNS1_3gpuE6ELNS1_3repE0EEENS1_48merge_mergepath_partition_config_static_selectorELNS0_4arch9wavefront6targetE1EEEvSH_.uses_flat_scratch, 0
	.set _ZN7rocprim17ROCPRIM_400000_NS6detail17trampoline_kernelINS0_14default_configENS1_38merge_sort_block_merge_config_selectorIilEEZZNS1_27merge_sort_block_merge_implIS3_PiN6thrust23THRUST_200600_302600_NS10device_ptrIlEEjNS1_19radix_merge_compareILb0ELb1EiNS0_19identity_decomposerEEEEE10hipError_tT0_T1_T2_jT3_P12ihipStream_tbPNSt15iterator_traitsISG_E10value_typeEPNSM_ISH_E10value_typeEPSI_NS1_7vsmem_tEENKUlT_SG_SH_SI_E_clIS7_S7_PlSB_EESF_SV_SG_SH_SI_EUlSV_E_NS1_11comp_targetILNS1_3genE2ELNS1_11target_archE906ELNS1_3gpuE6ELNS1_3repE0EEENS1_48merge_mergepath_partition_config_static_selectorELNS0_4arch9wavefront6targetE1EEEvSH_.has_dyn_sized_stack, 0
	.set _ZN7rocprim17ROCPRIM_400000_NS6detail17trampoline_kernelINS0_14default_configENS1_38merge_sort_block_merge_config_selectorIilEEZZNS1_27merge_sort_block_merge_implIS3_PiN6thrust23THRUST_200600_302600_NS10device_ptrIlEEjNS1_19radix_merge_compareILb0ELb1EiNS0_19identity_decomposerEEEEE10hipError_tT0_T1_T2_jT3_P12ihipStream_tbPNSt15iterator_traitsISG_E10value_typeEPNSM_ISH_E10value_typeEPSI_NS1_7vsmem_tEENKUlT_SG_SH_SI_E_clIS7_S7_PlSB_EESF_SV_SG_SH_SI_EUlSV_E_NS1_11comp_targetILNS1_3genE2ELNS1_11target_archE906ELNS1_3gpuE6ELNS1_3repE0EEENS1_48merge_mergepath_partition_config_static_selectorELNS0_4arch9wavefront6targetE1EEEvSH_.has_recursion, 0
	.set _ZN7rocprim17ROCPRIM_400000_NS6detail17trampoline_kernelINS0_14default_configENS1_38merge_sort_block_merge_config_selectorIilEEZZNS1_27merge_sort_block_merge_implIS3_PiN6thrust23THRUST_200600_302600_NS10device_ptrIlEEjNS1_19radix_merge_compareILb0ELb1EiNS0_19identity_decomposerEEEEE10hipError_tT0_T1_T2_jT3_P12ihipStream_tbPNSt15iterator_traitsISG_E10value_typeEPNSM_ISH_E10value_typeEPSI_NS1_7vsmem_tEENKUlT_SG_SH_SI_E_clIS7_S7_PlSB_EESF_SV_SG_SH_SI_EUlSV_E_NS1_11comp_targetILNS1_3genE2ELNS1_11target_archE906ELNS1_3gpuE6ELNS1_3repE0EEENS1_48merge_mergepath_partition_config_static_selectorELNS0_4arch9wavefront6targetE1EEEvSH_.has_indirect_call, 0
	.section	.AMDGPU.csdata,"",@progbits
; Kernel info:
; codeLenInByte = 380
; TotalNumSgprs: 14
; NumVgprs: 17
; ScratchSize: 0
; MemoryBound: 0
; FloatMode: 240
; IeeeMode: 1
; LDSByteSize: 0 bytes/workgroup (compile time only)
; SGPRBlocks: 1
; VGPRBlocks: 4
; NumSGPRsForWavesPerEU: 14
; NumVGPRsForWavesPerEU: 17
; Occupancy: 10
; WaveLimiterHint : 0
; COMPUTE_PGM_RSRC2:SCRATCH_EN: 0
; COMPUTE_PGM_RSRC2:USER_SGPR: 6
; COMPUTE_PGM_RSRC2:TRAP_HANDLER: 0
; COMPUTE_PGM_RSRC2:TGID_X_EN: 1
; COMPUTE_PGM_RSRC2:TGID_Y_EN: 0
; COMPUTE_PGM_RSRC2:TGID_Z_EN: 0
; COMPUTE_PGM_RSRC2:TIDIG_COMP_CNT: 0
	.section	.text._ZN7rocprim17ROCPRIM_400000_NS6detail17trampoline_kernelINS0_14default_configENS1_38merge_sort_block_merge_config_selectorIilEEZZNS1_27merge_sort_block_merge_implIS3_PiN6thrust23THRUST_200600_302600_NS10device_ptrIlEEjNS1_19radix_merge_compareILb0ELb1EiNS0_19identity_decomposerEEEEE10hipError_tT0_T1_T2_jT3_P12ihipStream_tbPNSt15iterator_traitsISG_E10value_typeEPNSM_ISH_E10value_typeEPSI_NS1_7vsmem_tEENKUlT_SG_SH_SI_E_clIS7_S7_PlSB_EESF_SV_SG_SH_SI_EUlSV_E_NS1_11comp_targetILNS1_3genE9ELNS1_11target_archE1100ELNS1_3gpuE3ELNS1_3repE0EEENS1_48merge_mergepath_partition_config_static_selectorELNS0_4arch9wavefront6targetE1EEEvSH_,"axG",@progbits,_ZN7rocprim17ROCPRIM_400000_NS6detail17trampoline_kernelINS0_14default_configENS1_38merge_sort_block_merge_config_selectorIilEEZZNS1_27merge_sort_block_merge_implIS3_PiN6thrust23THRUST_200600_302600_NS10device_ptrIlEEjNS1_19radix_merge_compareILb0ELb1EiNS0_19identity_decomposerEEEEE10hipError_tT0_T1_T2_jT3_P12ihipStream_tbPNSt15iterator_traitsISG_E10value_typeEPNSM_ISH_E10value_typeEPSI_NS1_7vsmem_tEENKUlT_SG_SH_SI_E_clIS7_S7_PlSB_EESF_SV_SG_SH_SI_EUlSV_E_NS1_11comp_targetILNS1_3genE9ELNS1_11target_archE1100ELNS1_3gpuE3ELNS1_3repE0EEENS1_48merge_mergepath_partition_config_static_selectorELNS0_4arch9wavefront6targetE1EEEvSH_,comdat
	.protected	_ZN7rocprim17ROCPRIM_400000_NS6detail17trampoline_kernelINS0_14default_configENS1_38merge_sort_block_merge_config_selectorIilEEZZNS1_27merge_sort_block_merge_implIS3_PiN6thrust23THRUST_200600_302600_NS10device_ptrIlEEjNS1_19radix_merge_compareILb0ELb1EiNS0_19identity_decomposerEEEEE10hipError_tT0_T1_T2_jT3_P12ihipStream_tbPNSt15iterator_traitsISG_E10value_typeEPNSM_ISH_E10value_typeEPSI_NS1_7vsmem_tEENKUlT_SG_SH_SI_E_clIS7_S7_PlSB_EESF_SV_SG_SH_SI_EUlSV_E_NS1_11comp_targetILNS1_3genE9ELNS1_11target_archE1100ELNS1_3gpuE3ELNS1_3repE0EEENS1_48merge_mergepath_partition_config_static_selectorELNS0_4arch9wavefront6targetE1EEEvSH_ ; -- Begin function _ZN7rocprim17ROCPRIM_400000_NS6detail17trampoline_kernelINS0_14default_configENS1_38merge_sort_block_merge_config_selectorIilEEZZNS1_27merge_sort_block_merge_implIS3_PiN6thrust23THRUST_200600_302600_NS10device_ptrIlEEjNS1_19radix_merge_compareILb0ELb1EiNS0_19identity_decomposerEEEEE10hipError_tT0_T1_T2_jT3_P12ihipStream_tbPNSt15iterator_traitsISG_E10value_typeEPNSM_ISH_E10value_typeEPSI_NS1_7vsmem_tEENKUlT_SG_SH_SI_E_clIS7_S7_PlSB_EESF_SV_SG_SH_SI_EUlSV_E_NS1_11comp_targetILNS1_3genE9ELNS1_11target_archE1100ELNS1_3gpuE3ELNS1_3repE0EEENS1_48merge_mergepath_partition_config_static_selectorELNS0_4arch9wavefront6targetE1EEEvSH_
	.globl	_ZN7rocprim17ROCPRIM_400000_NS6detail17trampoline_kernelINS0_14default_configENS1_38merge_sort_block_merge_config_selectorIilEEZZNS1_27merge_sort_block_merge_implIS3_PiN6thrust23THRUST_200600_302600_NS10device_ptrIlEEjNS1_19radix_merge_compareILb0ELb1EiNS0_19identity_decomposerEEEEE10hipError_tT0_T1_T2_jT3_P12ihipStream_tbPNSt15iterator_traitsISG_E10value_typeEPNSM_ISH_E10value_typeEPSI_NS1_7vsmem_tEENKUlT_SG_SH_SI_E_clIS7_S7_PlSB_EESF_SV_SG_SH_SI_EUlSV_E_NS1_11comp_targetILNS1_3genE9ELNS1_11target_archE1100ELNS1_3gpuE3ELNS1_3repE0EEENS1_48merge_mergepath_partition_config_static_selectorELNS0_4arch9wavefront6targetE1EEEvSH_
	.p2align	8
	.type	_ZN7rocprim17ROCPRIM_400000_NS6detail17trampoline_kernelINS0_14default_configENS1_38merge_sort_block_merge_config_selectorIilEEZZNS1_27merge_sort_block_merge_implIS3_PiN6thrust23THRUST_200600_302600_NS10device_ptrIlEEjNS1_19radix_merge_compareILb0ELb1EiNS0_19identity_decomposerEEEEE10hipError_tT0_T1_T2_jT3_P12ihipStream_tbPNSt15iterator_traitsISG_E10value_typeEPNSM_ISH_E10value_typeEPSI_NS1_7vsmem_tEENKUlT_SG_SH_SI_E_clIS7_S7_PlSB_EESF_SV_SG_SH_SI_EUlSV_E_NS1_11comp_targetILNS1_3genE9ELNS1_11target_archE1100ELNS1_3gpuE3ELNS1_3repE0EEENS1_48merge_mergepath_partition_config_static_selectorELNS0_4arch9wavefront6targetE1EEEvSH_,@function
_ZN7rocprim17ROCPRIM_400000_NS6detail17trampoline_kernelINS0_14default_configENS1_38merge_sort_block_merge_config_selectorIilEEZZNS1_27merge_sort_block_merge_implIS3_PiN6thrust23THRUST_200600_302600_NS10device_ptrIlEEjNS1_19radix_merge_compareILb0ELb1EiNS0_19identity_decomposerEEEEE10hipError_tT0_T1_T2_jT3_P12ihipStream_tbPNSt15iterator_traitsISG_E10value_typeEPNSM_ISH_E10value_typeEPSI_NS1_7vsmem_tEENKUlT_SG_SH_SI_E_clIS7_S7_PlSB_EESF_SV_SG_SH_SI_EUlSV_E_NS1_11comp_targetILNS1_3genE9ELNS1_11target_archE1100ELNS1_3gpuE3ELNS1_3repE0EEENS1_48merge_mergepath_partition_config_static_selectorELNS0_4arch9wavefront6targetE1EEEvSH_: ; @_ZN7rocprim17ROCPRIM_400000_NS6detail17trampoline_kernelINS0_14default_configENS1_38merge_sort_block_merge_config_selectorIilEEZZNS1_27merge_sort_block_merge_implIS3_PiN6thrust23THRUST_200600_302600_NS10device_ptrIlEEjNS1_19radix_merge_compareILb0ELb1EiNS0_19identity_decomposerEEEEE10hipError_tT0_T1_T2_jT3_P12ihipStream_tbPNSt15iterator_traitsISG_E10value_typeEPNSM_ISH_E10value_typeEPSI_NS1_7vsmem_tEENKUlT_SG_SH_SI_E_clIS7_S7_PlSB_EESF_SV_SG_SH_SI_EUlSV_E_NS1_11comp_targetILNS1_3genE9ELNS1_11target_archE1100ELNS1_3gpuE3ELNS1_3repE0EEENS1_48merge_mergepath_partition_config_static_selectorELNS0_4arch9wavefront6targetE1EEEvSH_
; %bb.0:
	.section	.rodata,"a",@progbits
	.p2align	6, 0x0
	.amdhsa_kernel _ZN7rocprim17ROCPRIM_400000_NS6detail17trampoline_kernelINS0_14default_configENS1_38merge_sort_block_merge_config_selectorIilEEZZNS1_27merge_sort_block_merge_implIS3_PiN6thrust23THRUST_200600_302600_NS10device_ptrIlEEjNS1_19radix_merge_compareILb0ELb1EiNS0_19identity_decomposerEEEEE10hipError_tT0_T1_T2_jT3_P12ihipStream_tbPNSt15iterator_traitsISG_E10value_typeEPNSM_ISH_E10value_typeEPSI_NS1_7vsmem_tEENKUlT_SG_SH_SI_E_clIS7_S7_PlSB_EESF_SV_SG_SH_SI_EUlSV_E_NS1_11comp_targetILNS1_3genE9ELNS1_11target_archE1100ELNS1_3gpuE3ELNS1_3repE0EEENS1_48merge_mergepath_partition_config_static_selectorELNS0_4arch9wavefront6targetE1EEEvSH_
		.amdhsa_group_segment_fixed_size 0
		.amdhsa_private_segment_fixed_size 0
		.amdhsa_kernarg_size 40
		.amdhsa_user_sgpr_count 6
		.amdhsa_user_sgpr_private_segment_buffer 1
		.amdhsa_user_sgpr_dispatch_ptr 0
		.amdhsa_user_sgpr_queue_ptr 0
		.amdhsa_user_sgpr_kernarg_segment_ptr 1
		.amdhsa_user_sgpr_dispatch_id 0
		.amdhsa_user_sgpr_flat_scratch_init 0
		.amdhsa_user_sgpr_private_segment_size 0
		.amdhsa_uses_dynamic_stack 0
		.amdhsa_system_sgpr_private_segment_wavefront_offset 0
		.amdhsa_system_sgpr_workgroup_id_x 1
		.amdhsa_system_sgpr_workgroup_id_y 0
		.amdhsa_system_sgpr_workgroup_id_z 0
		.amdhsa_system_sgpr_workgroup_info 0
		.amdhsa_system_vgpr_workitem_id 0
		.amdhsa_next_free_vgpr 1
		.amdhsa_next_free_sgpr 0
		.amdhsa_reserve_vcc 0
		.amdhsa_reserve_flat_scratch 0
		.amdhsa_float_round_mode_32 0
		.amdhsa_float_round_mode_16_64 0
		.amdhsa_float_denorm_mode_32 3
		.amdhsa_float_denorm_mode_16_64 3
		.amdhsa_dx10_clamp 1
		.amdhsa_ieee_mode 1
		.amdhsa_fp16_overflow 0
		.amdhsa_exception_fp_ieee_invalid_op 0
		.amdhsa_exception_fp_denorm_src 0
		.amdhsa_exception_fp_ieee_div_zero 0
		.amdhsa_exception_fp_ieee_overflow 0
		.amdhsa_exception_fp_ieee_underflow 0
		.amdhsa_exception_fp_ieee_inexact 0
		.amdhsa_exception_int_div_zero 0
	.end_amdhsa_kernel
	.section	.text._ZN7rocprim17ROCPRIM_400000_NS6detail17trampoline_kernelINS0_14default_configENS1_38merge_sort_block_merge_config_selectorIilEEZZNS1_27merge_sort_block_merge_implIS3_PiN6thrust23THRUST_200600_302600_NS10device_ptrIlEEjNS1_19radix_merge_compareILb0ELb1EiNS0_19identity_decomposerEEEEE10hipError_tT0_T1_T2_jT3_P12ihipStream_tbPNSt15iterator_traitsISG_E10value_typeEPNSM_ISH_E10value_typeEPSI_NS1_7vsmem_tEENKUlT_SG_SH_SI_E_clIS7_S7_PlSB_EESF_SV_SG_SH_SI_EUlSV_E_NS1_11comp_targetILNS1_3genE9ELNS1_11target_archE1100ELNS1_3gpuE3ELNS1_3repE0EEENS1_48merge_mergepath_partition_config_static_selectorELNS0_4arch9wavefront6targetE1EEEvSH_,"axG",@progbits,_ZN7rocprim17ROCPRIM_400000_NS6detail17trampoline_kernelINS0_14default_configENS1_38merge_sort_block_merge_config_selectorIilEEZZNS1_27merge_sort_block_merge_implIS3_PiN6thrust23THRUST_200600_302600_NS10device_ptrIlEEjNS1_19radix_merge_compareILb0ELb1EiNS0_19identity_decomposerEEEEE10hipError_tT0_T1_T2_jT3_P12ihipStream_tbPNSt15iterator_traitsISG_E10value_typeEPNSM_ISH_E10value_typeEPSI_NS1_7vsmem_tEENKUlT_SG_SH_SI_E_clIS7_S7_PlSB_EESF_SV_SG_SH_SI_EUlSV_E_NS1_11comp_targetILNS1_3genE9ELNS1_11target_archE1100ELNS1_3gpuE3ELNS1_3repE0EEENS1_48merge_mergepath_partition_config_static_selectorELNS0_4arch9wavefront6targetE1EEEvSH_,comdat
.Lfunc_end806:
	.size	_ZN7rocprim17ROCPRIM_400000_NS6detail17trampoline_kernelINS0_14default_configENS1_38merge_sort_block_merge_config_selectorIilEEZZNS1_27merge_sort_block_merge_implIS3_PiN6thrust23THRUST_200600_302600_NS10device_ptrIlEEjNS1_19radix_merge_compareILb0ELb1EiNS0_19identity_decomposerEEEEE10hipError_tT0_T1_T2_jT3_P12ihipStream_tbPNSt15iterator_traitsISG_E10value_typeEPNSM_ISH_E10value_typeEPSI_NS1_7vsmem_tEENKUlT_SG_SH_SI_E_clIS7_S7_PlSB_EESF_SV_SG_SH_SI_EUlSV_E_NS1_11comp_targetILNS1_3genE9ELNS1_11target_archE1100ELNS1_3gpuE3ELNS1_3repE0EEENS1_48merge_mergepath_partition_config_static_selectorELNS0_4arch9wavefront6targetE1EEEvSH_, .Lfunc_end806-_ZN7rocprim17ROCPRIM_400000_NS6detail17trampoline_kernelINS0_14default_configENS1_38merge_sort_block_merge_config_selectorIilEEZZNS1_27merge_sort_block_merge_implIS3_PiN6thrust23THRUST_200600_302600_NS10device_ptrIlEEjNS1_19radix_merge_compareILb0ELb1EiNS0_19identity_decomposerEEEEE10hipError_tT0_T1_T2_jT3_P12ihipStream_tbPNSt15iterator_traitsISG_E10value_typeEPNSM_ISH_E10value_typeEPSI_NS1_7vsmem_tEENKUlT_SG_SH_SI_E_clIS7_S7_PlSB_EESF_SV_SG_SH_SI_EUlSV_E_NS1_11comp_targetILNS1_3genE9ELNS1_11target_archE1100ELNS1_3gpuE3ELNS1_3repE0EEENS1_48merge_mergepath_partition_config_static_selectorELNS0_4arch9wavefront6targetE1EEEvSH_
                                        ; -- End function
	.set _ZN7rocprim17ROCPRIM_400000_NS6detail17trampoline_kernelINS0_14default_configENS1_38merge_sort_block_merge_config_selectorIilEEZZNS1_27merge_sort_block_merge_implIS3_PiN6thrust23THRUST_200600_302600_NS10device_ptrIlEEjNS1_19radix_merge_compareILb0ELb1EiNS0_19identity_decomposerEEEEE10hipError_tT0_T1_T2_jT3_P12ihipStream_tbPNSt15iterator_traitsISG_E10value_typeEPNSM_ISH_E10value_typeEPSI_NS1_7vsmem_tEENKUlT_SG_SH_SI_E_clIS7_S7_PlSB_EESF_SV_SG_SH_SI_EUlSV_E_NS1_11comp_targetILNS1_3genE9ELNS1_11target_archE1100ELNS1_3gpuE3ELNS1_3repE0EEENS1_48merge_mergepath_partition_config_static_selectorELNS0_4arch9wavefront6targetE1EEEvSH_.num_vgpr, 0
	.set _ZN7rocprim17ROCPRIM_400000_NS6detail17trampoline_kernelINS0_14default_configENS1_38merge_sort_block_merge_config_selectorIilEEZZNS1_27merge_sort_block_merge_implIS3_PiN6thrust23THRUST_200600_302600_NS10device_ptrIlEEjNS1_19radix_merge_compareILb0ELb1EiNS0_19identity_decomposerEEEEE10hipError_tT0_T1_T2_jT3_P12ihipStream_tbPNSt15iterator_traitsISG_E10value_typeEPNSM_ISH_E10value_typeEPSI_NS1_7vsmem_tEENKUlT_SG_SH_SI_E_clIS7_S7_PlSB_EESF_SV_SG_SH_SI_EUlSV_E_NS1_11comp_targetILNS1_3genE9ELNS1_11target_archE1100ELNS1_3gpuE3ELNS1_3repE0EEENS1_48merge_mergepath_partition_config_static_selectorELNS0_4arch9wavefront6targetE1EEEvSH_.num_agpr, 0
	.set _ZN7rocprim17ROCPRIM_400000_NS6detail17trampoline_kernelINS0_14default_configENS1_38merge_sort_block_merge_config_selectorIilEEZZNS1_27merge_sort_block_merge_implIS3_PiN6thrust23THRUST_200600_302600_NS10device_ptrIlEEjNS1_19radix_merge_compareILb0ELb1EiNS0_19identity_decomposerEEEEE10hipError_tT0_T1_T2_jT3_P12ihipStream_tbPNSt15iterator_traitsISG_E10value_typeEPNSM_ISH_E10value_typeEPSI_NS1_7vsmem_tEENKUlT_SG_SH_SI_E_clIS7_S7_PlSB_EESF_SV_SG_SH_SI_EUlSV_E_NS1_11comp_targetILNS1_3genE9ELNS1_11target_archE1100ELNS1_3gpuE3ELNS1_3repE0EEENS1_48merge_mergepath_partition_config_static_selectorELNS0_4arch9wavefront6targetE1EEEvSH_.numbered_sgpr, 0
	.set _ZN7rocprim17ROCPRIM_400000_NS6detail17trampoline_kernelINS0_14default_configENS1_38merge_sort_block_merge_config_selectorIilEEZZNS1_27merge_sort_block_merge_implIS3_PiN6thrust23THRUST_200600_302600_NS10device_ptrIlEEjNS1_19radix_merge_compareILb0ELb1EiNS0_19identity_decomposerEEEEE10hipError_tT0_T1_T2_jT3_P12ihipStream_tbPNSt15iterator_traitsISG_E10value_typeEPNSM_ISH_E10value_typeEPSI_NS1_7vsmem_tEENKUlT_SG_SH_SI_E_clIS7_S7_PlSB_EESF_SV_SG_SH_SI_EUlSV_E_NS1_11comp_targetILNS1_3genE9ELNS1_11target_archE1100ELNS1_3gpuE3ELNS1_3repE0EEENS1_48merge_mergepath_partition_config_static_selectorELNS0_4arch9wavefront6targetE1EEEvSH_.num_named_barrier, 0
	.set _ZN7rocprim17ROCPRIM_400000_NS6detail17trampoline_kernelINS0_14default_configENS1_38merge_sort_block_merge_config_selectorIilEEZZNS1_27merge_sort_block_merge_implIS3_PiN6thrust23THRUST_200600_302600_NS10device_ptrIlEEjNS1_19radix_merge_compareILb0ELb1EiNS0_19identity_decomposerEEEEE10hipError_tT0_T1_T2_jT3_P12ihipStream_tbPNSt15iterator_traitsISG_E10value_typeEPNSM_ISH_E10value_typeEPSI_NS1_7vsmem_tEENKUlT_SG_SH_SI_E_clIS7_S7_PlSB_EESF_SV_SG_SH_SI_EUlSV_E_NS1_11comp_targetILNS1_3genE9ELNS1_11target_archE1100ELNS1_3gpuE3ELNS1_3repE0EEENS1_48merge_mergepath_partition_config_static_selectorELNS0_4arch9wavefront6targetE1EEEvSH_.private_seg_size, 0
	.set _ZN7rocprim17ROCPRIM_400000_NS6detail17trampoline_kernelINS0_14default_configENS1_38merge_sort_block_merge_config_selectorIilEEZZNS1_27merge_sort_block_merge_implIS3_PiN6thrust23THRUST_200600_302600_NS10device_ptrIlEEjNS1_19radix_merge_compareILb0ELb1EiNS0_19identity_decomposerEEEEE10hipError_tT0_T1_T2_jT3_P12ihipStream_tbPNSt15iterator_traitsISG_E10value_typeEPNSM_ISH_E10value_typeEPSI_NS1_7vsmem_tEENKUlT_SG_SH_SI_E_clIS7_S7_PlSB_EESF_SV_SG_SH_SI_EUlSV_E_NS1_11comp_targetILNS1_3genE9ELNS1_11target_archE1100ELNS1_3gpuE3ELNS1_3repE0EEENS1_48merge_mergepath_partition_config_static_selectorELNS0_4arch9wavefront6targetE1EEEvSH_.uses_vcc, 0
	.set _ZN7rocprim17ROCPRIM_400000_NS6detail17trampoline_kernelINS0_14default_configENS1_38merge_sort_block_merge_config_selectorIilEEZZNS1_27merge_sort_block_merge_implIS3_PiN6thrust23THRUST_200600_302600_NS10device_ptrIlEEjNS1_19radix_merge_compareILb0ELb1EiNS0_19identity_decomposerEEEEE10hipError_tT0_T1_T2_jT3_P12ihipStream_tbPNSt15iterator_traitsISG_E10value_typeEPNSM_ISH_E10value_typeEPSI_NS1_7vsmem_tEENKUlT_SG_SH_SI_E_clIS7_S7_PlSB_EESF_SV_SG_SH_SI_EUlSV_E_NS1_11comp_targetILNS1_3genE9ELNS1_11target_archE1100ELNS1_3gpuE3ELNS1_3repE0EEENS1_48merge_mergepath_partition_config_static_selectorELNS0_4arch9wavefront6targetE1EEEvSH_.uses_flat_scratch, 0
	.set _ZN7rocprim17ROCPRIM_400000_NS6detail17trampoline_kernelINS0_14default_configENS1_38merge_sort_block_merge_config_selectorIilEEZZNS1_27merge_sort_block_merge_implIS3_PiN6thrust23THRUST_200600_302600_NS10device_ptrIlEEjNS1_19radix_merge_compareILb0ELb1EiNS0_19identity_decomposerEEEEE10hipError_tT0_T1_T2_jT3_P12ihipStream_tbPNSt15iterator_traitsISG_E10value_typeEPNSM_ISH_E10value_typeEPSI_NS1_7vsmem_tEENKUlT_SG_SH_SI_E_clIS7_S7_PlSB_EESF_SV_SG_SH_SI_EUlSV_E_NS1_11comp_targetILNS1_3genE9ELNS1_11target_archE1100ELNS1_3gpuE3ELNS1_3repE0EEENS1_48merge_mergepath_partition_config_static_selectorELNS0_4arch9wavefront6targetE1EEEvSH_.has_dyn_sized_stack, 0
	.set _ZN7rocprim17ROCPRIM_400000_NS6detail17trampoline_kernelINS0_14default_configENS1_38merge_sort_block_merge_config_selectorIilEEZZNS1_27merge_sort_block_merge_implIS3_PiN6thrust23THRUST_200600_302600_NS10device_ptrIlEEjNS1_19radix_merge_compareILb0ELb1EiNS0_19identity_decomposerEEEEE10hipError_tT0_T1_T2_jT3_P12ihipStream_tbPNSt15iterator_traitsISG_E10value_typeEPNSM_ISH_E10value_typeEPSI_NS1_7vsmem_tEENKUlT_SG_SH_SI_E_clIS7_S7_PlSB_EESF_SV_SG_SH_SI_EUlSV_E_NS1_11comp_targetILNS1_3genE9ELNS1_11target_archE1100ELNS1_3gpuE3ELNS1_3repE0EEENS1_48merge_mergepath_partition_config_static_selectorELNS0_4arch9wavefront6targetE1EEEvSH_.has_recursion, 0
	.set _ZN7rocprim17ROCPRIM_400000_NS6detail17trampoline_kernelINS0_14default_configENS1_38merge_sort_block_merge_config_selectorIilEEZZNS1_27merge_sort_block_merge_implIS3_PiN6thrust23THRUST_200600_302600_NS10device_ptrIlEEjNS1_19radix_merge_compareILb0ELb1EiNS0_19identity_decomposerEEEEE10hipError_tT0_T1_T2_jT3_P12ihipStream_tbPNSt15iterator_traitsISG_E10value_typeEPNSM_ISH_E10value_typeEPSI_NS1_7vsmem_tEENKUlT_SG_SH_SI_E_clIS7_S7_PlSB_EESF_SV_SG_SH_SI_EUlSV_E_NS1_11comp_targetILNS1_3genE9ELNS1_11target_archE1100ELNS1_3gpuE3ELNS1_3repE0EEENS1_48merge_mergepath_partition_config_static_selectorELNS0_4arch9wavefront6targetE1EEEvSH_.has_indirect_call, 0
	.section	.AMDGPU.csdata,"",@progbits
; Kernel info:
; codeLenInByte = 0
; TotalNumSgprs: 4
; NumVgprs: 0
; ScratchSize: 0
; MemoryBound: 0
; FloatMode: 240
; IeeeMode: 1
; LDSByteSize: 0 bytes/workgroup (compile time only)
; SGPRBlocks: 0
; VGPRBlocks: 0
; NumSGPRsForWavesPerEU: 4
; NumVGPRsForWavesPerEU: 1
; Occupancy: 10
; WaveLimiterHint : 0
; COMPUTE_PGM_RSRC2:SCRATCH_EN: 0
; COMPUTE_PGM_RSRC2:USER_SGPR: 6
; COMPUTE_PGM_RSRC2:TRAP_HANDLER: 0
; COMPUTE_PGM_RSRC2:TGID_X_EN: 1
; COMPUTE_PGM_RSRC2:TGID_Y_EN: 0
; COMPUTE_PGM_RSRC2:TGID_Z_EN: 0
; COMPUTE_PGM_RSRC2:TIDIG_COMP_CNT: 0
	.section	.text._ZN7rocprim17ROCPRIM_400000_NS6detail17trampoline_kernelINS0_14default_configENS1_38merge_sort_block_merge_config_selectorIilEEZZNS1_27merge_sort_block_merge_implIS3_PiN6thrust23THRUST_200600_302600_NS10device_ptrIlEEjNS1_19radix_merge_compareILb0ELb1EiNS0_19identity_decomposerEEEEE10hipError_tT0_T1_T2_jT3_P12ihipStream_tbPNSt15iterator_traitsISG_E10value_typeEPNSM_ISH_E10value_typeEPSI_NS1_7vsmem_tEENKUlT_SG_SH_SI_E_clIS7_S7_PlSB_EESF_SV_SG_SH_SI_EUlSV_E_NS1_11comp_targetILNS1_3genE8ELNS1_11target_archE1030ELNS1_3gpuE2ELNS1_3repE0EEENS1_48merge_mergepath_partition_config_static_selectorELNS0_4arch9wavefront6targetE1EEEvSH_,"axG",@progbits,_ZN7rocprim17ROCPRIM_400000_NS6detail17trampoline_kernelINS0_14default_configENS1_38merge_sort_block_merge_config_selectorIilEEZZNS1_27merge_sort_block_merge_implIS3_PiN6thrust23THRUST_200600_302600_NS10device_ptrIlEEjNS1_19radix_merge_compareILb0ELb1EiNS0_19identity_decomposerEEEEE10hipError_tT0_T1_T2_jT3_P12ihipStream_tbPNSt15iterator_traitsISG_E10value_typeEPNSM_ISH_E10value_typeEPSI_NS1_7vsmem_tEENKUlT_SG_SH_SI_E_clIS7_S7_PlSB_EESF_SV_SG_SH_SI_EUlSV_E_NS1_11comp_targetILNS1_3genE8ELNS1_11target_archE1030ELNS1_3gpuE2ELNS1_3repE0EEENS1_48merge_mergepath_partition_config_static_selectorELNS0_4arch9wavefront6targetE1EEEvSH_,comdat
	.protected	_ZN7rocprim17ROCPRIM_400000_NS6detail17trampoline_kernelINS0_14default_configENS1_38merge_sort_block_merge_config_selectorIilEEZZNS1_27merge_sort_block_merge_implIS3_PiN6thrust23THRUST_200600_302600_NS10device_ptrIlEEjNS1_19radix_merge_compareILb0ELb1EiNS0_19identity_decomposerEEEEE10hipError_tT0_T1_T2_jT3_P12ihipStream_tbPNSt15iterator_traitsISG_E10value_typeEPNSM_ISH_E10value_typeEPSI_NS1_7vsmem_tEENKUlT_SG_SH_SI_E_clIS7_S7_PlSB_EESF_SV_SG_SH_SI_EUlSV_E_NS1_11comp_targetILNS1_3genE8ELNS1_11target_archE1030ELNS1_3gpuE2ELNS1_3repE0EEENS1_48merge_mergepath_partition_config_static_selectorELNS0_4arch9wavefront6targetE1EEEvSH_ ; -- Begin function _ZN7rocprim17ROCPRIM_400000_NS6detail17trampoline_kernelINS0_14default_configENS1_38merge_sort_block_merge_config_selectorIilEEZZNS1_27merge_sort_block_merge_implIS3_PiN6thrust23THRUST_200600_302600_NS10device_ptrIlEEjNS1_19radix_merge_compareILb0ELb1EiNS0_19identity_decomposerEEEEE10hipError_tT0_T1_T2_jT3_P12ihipStream_tbPNSt15iterator_traitsISG_E10value_typeEPNSM_ISH_E10value_typeEPSI_NS1_7vsmem_tEENKUlT_SG_SH_SI_E_clIS7_S7_PlSB_EESF_SV_SG_SH_SI_EUlSV_E_NS1_11comp_targetILNS1_3genE8ELNS1_11target_archE1030ELNS1_3gpuE2ELNS1_3repE0EEENS1_48merge_mergepath_partition_config_static_selectorELNS0_4arch9wavefront6targetE1EEEvSH_
	.globl	_ZN7rocprim17ROCPRIM_400000_NS6detail17trampoline_kernelINS0_14default_configENS1_38merge_sort_block_merge_config_selectorIilEEZZNS1_27merge_sort_block_merge_implIS3_PiN6thrust23THRUST_200600_302600_NS10device_ptrIlEEjNS1_19radix_merge_compareILb0ELb1EiNS0_19identity_decomposerEEEEE10hipError_tT0_T1_T2_jT3_P12ihipStream_tbPNSt15iterator_traitsISG_E10value_typeEPNSM_ISH_E10value_typeEPSI_NS1_7vsmem_tEENKUlT_SG_SH_SI_E_clIS7_S7_PlSB_EESF_SV_SG_SH_SI_EUlSV_E_NS1_11comp_targetILNS1_3genE8ELNS1_11target_archE1030ELNS1_3gpuE2ELNS1_3repE0EEENS1_48merge_mergepath_partition_config_static_selectorELNS0_4arch9wavefront6targetE1EEEvSH_
	.p2align	8
	.type	_ZN7rocprim17ROCPRIM_400000_NS6detail17trampoline_kernelINS0_14default_configENS1_38merge_sort_block_merge_config_selectorIilEEZZNS1_27merge_sort_block_merge_implIS3_PiN6thrust23THRUST_200600_302600_NS10device_ptrIlEEjNS1_19radix_merge_compareILb0ELb1EiNS0_19identity_decomposerEEEEE10hipError_tT0_T1_T2_jT3_P12ihipStream_tbPNSt15iterator_traitsISG_E10value_typeEPNSM_ISH_E10value_typeEPSI_NS1_7vsmem_tEENKUlT_SG_SH_SI_E_clIS7_S7_PlSB_EESF_SV_SG_SH_SI_EUlSV_E_NS1_11comp_targetILNS1_3genE8ELNS1_11target_archE1030ELNS1_3gpuE2ELNS1_3repE0EEENS1_48merge_mergepath_partition_config_static_selectorELNS0_4arch9wavefront6targetE1EEEvSH_,@function
_ZN7rocprim17ROCPRIM_400000_NS6detail17trampoline_kernelINS0_14default_configENS1_38merge_sort_block_merge_config_selectorIilEEZZNS1_27merge_sort_block_merge_implIS3_PiN6thrust23THRUST_200600_302600_NS10device_ptrIlEEjNS1_19radix_merge_compareILb0ELb1EiNS0_19identity_decomposerEEEEE10hipError_tT0_T1_T2_jT3_P12ihipStream_tbPNSt15iterator_traitsISG_E10value_typeEPNSM_ISH_E10value_typeEPSI_NS1_7vsmem_tEENKUlT_SG_SH_SI_E_clIS7_S7_PlSB_EESF_SV_SG_SH_SI_EUlSV_E_NS1_11comp_targetILNS1_3genE8ELNS1_11target_archE1030ELNS1_3gpuE2ELNS1_3repE0EEENS1_48merge_mergepath_partition_config_static_selectorELNS0_4arch9wavefront6targetE1EEEvSH_: ; @_ZN7rocprim17ROCPRIM_400000_NS6detail17trampoline_kernelINS0_14default_configENS1_38merge_sort_block_merge_config_selectorIilEEZZNS1_27merge_sort_block_merge_implIS3_PiN6thrust23THRUST_200600_302600_NS10device_ptrIlEEjNS1_19radix_merge_compareILb0ELb1EiNS0_19identity_decomposerEEEEE10hipError_tT0_T1_T2_jT3_P12ihipStream_tbPNSt15iterator_traitsISG_E10value_typeEPNSM_ISH_E10value_typeEPSI_NS1_7vsmem_tEENKUlT_SG_SH_SI_E_clIS7_S7_PlSB_EESF_SV_SG_SH_SI_EUlSV_E_NS1_11comp_targetILNS1_3genE8ELNS1_11target_archE1030ELNS1_3gpuE2ELNS1_3repE0EEENS1_48merge_mergepath_partition_config_static_selectorELNS0_4arch9wavefront6targetE1EEEvSH_
; %bb.0:
	.section	.rodata,"a",@progbits
	.p2align	6, 0x0
	.amdhsa_kernel _ZN7rocprim17ROCPRIM_400000_NS6detail17trampoline_kernelINS0_14default_configENS1_38merge_sort_block_merge_config_selectorIilEEZZNS1_27merge_sort_block_merge_implIS3_PiN6thrust23THRUST_200600_302600_NS10device_ptrIlEEjNS1_19radix_merge_compareILb0ELb1EiNS0_19identity_decomposerEEEEE10hipError_tT0_T1_T2_jT3_P12ihipStream_tbPNSt15iterator_traitsISG_E10value_typeEPNSM_ISH_E10value_typeEPSI_NS1_7vsmem_tEENKUlT_SG_SH_SI_E_clIS7_S7_PlSB_EESF_SV_SG_SH_SI_EUlSV_E_NS1_11comp_targetILNS1_3genE8ELNS1_11target_archE1030ELNS1_3gpuE2ELNS1_3repE0EEENS1_48merge_mergepath_partition_config_static_selectorELNS0_4arch9wavefront6targetE1EEEvSH_
		.amdhsa_group_segment_fixed_size 0
		.amdhsa_private_segment_fixed_size 0
		.amdhsa_kernarg_size 40
		.amdhsa_user_sgpr_count 6
		.amdhsa_user_sgpr_private_segment_buffer 1
		.amdhsa_user_sgpr_dispatch_ptr 0
		.amdhsa_user_sgpr_queue_ptr 0
		.amdhsa_user_sgpr_kernarg_segment_ptr 1
		.amdhsa_user_sgpr_dispatch_id 0
		.amdhsa_user_sgpr_flat_scratch_init 0
		.amdhsa_user_sgpr_private_segment_size 0
		.amdhsa_uses_dynamic_stack 0
		.amdhsa_system_sgpr_private_segment_wavefront_offset 0
		.amdhsa_system_sgpr_workgroup_id_x 1
		.amdhsa_system_sgpr_workgroup_id_y 0
		.amdhsa_system_sgpr_workgroup_id_z 0
		.amdhsa_system_sgpr_workgroup_info 0
		.amdhsa_system_vgpr_workitem_id 0
		.amdhsa_next_free_vgpr 1
		.amdhsa_next_free_sgpr 0
		.amdhsa_reserve_vcc 0
		.amdhsa_reserve_flat_scratch 0
		.amdhsa_float_round_mode_32 0
		.amdhsa_float_round_mode_16_64 0
		.amdhsa_float_denorm_mode_32 3
		.amdhsa_float_denorm_mode_16_64 3
		.amdhsa_dx10_clamp 1
		.amdhsa_ieee_mode 1
		.amdhsa_fp16_overflow 0
		.amdhsa_exception_fp_ieee_invalid_op 0
		.amdhsa_exception_fp_denorm_src 0
		.amdhsa_exception_fp_ieee_div_zero 0
		.amdhsa_exception_fp_ieee_overflow 0
		.amdhsa_exception_fp_ieee_underflow 0
		.amdhsa_exception_fp_ieee_inexact 0
		.amdhsa_exception_int_div_zero 0
	.end_amdhsa_kernel
	.section	.text._ZN7rocprim17ROCPRIM_400000_NS6detail17trampoline_kernelINS0_14default_configENS1_38merge_sort_block_merge_config_selectorIilEEZZNS1_27merge_sort_block_merge_implIS3_PiN6thrust23THRUST_200600_302600_NS10device_ptrIlEEjNS1_19radix_merge_compareILb0ELb1EiNS0_19identity_decomposerEEEEE10hipError_tT0_T1_T2_jT3_P12ihipStream_tbPNSt15iterator_traitsISG_E10value_typeEPNSM_ISH_E10value_typeEPSI_NS1_7vsmem_tEENKUlT_SG_SH_SI_E_clIS7_S7_PlSB_EESF_SV_SG_SH_SI_EUlSV_E_NS1_11comp_targetILNS1_3genE8ELNS1_11target_archE1030ELNS1_3gpuE2ELNS1_3repE0EEENS1_48merge_mergepath_partition_config_static_selectorELNS0_4arch9wavefront6targetE1EEEvSH_,"axG",@progbits,_ZN7rocprim17ROCPRIM_400000_NS6detail17trampoline_kernelINS0_14default_configENS1_38merge_sort_block_merge_config_selectorIilEEZZNS1_27merge_sort_block_merge_implIS3_PiN6thrust23THRUST_200600_302600_NS10device_ptrIlEEjNS1_19radix_merge_compareILb0ELb1EiNS0_19identity_decomposerEEEEE10hipError_tT0_T1_T2_jT3_P12ihipStream_tbPNSt15iterator_traitsISG_E10value_typeEPNSM_ISH_E10value_typeEPSI_NS1_7vsmem_tEENKUlT_SG_SH_SI_E_clIS7_S7_PlSB_EESF_SV_SG_SH_SI_EUlSV_E_NS1_11comp_targetILNS1_3genE8ELNS1_11target_archE1030ELNS1_3gpuE2ELNS1_3repE0EEENS1_48merge_mergepath_partition_config_static_selectorELNS0_4arch9wavefront6targetE1EEEvSH_,comdat
.Lfunc_end807:
	.size	_ZN7rocprim17ROCPRIM_400000_NS6detail17trampoline_kernelINS0_14default_configENS1_38merge_sort_block_merge_config_selectorIilEEZZNS1_27merge_sort_block_merge_implIS3_PiN6thrust23THRUST_200600_302600_NS10device_ptrIlEEjNS1_19radix_merge_compareILb0ELb1EiNS0_19identity_decomposerEEEEE10hipError_tT0_T1_T2_jT3_P12ihipStream_tbPNSt15iterator_traitsISG_E10value_typeEPNSM_ISH_E10value_typeEPSI_NS1_7vsmem_tEENKUlT_SG_SH_SI_E_clIS7_S7_PlSB_EESF_SV_SG_SH_SI_EUlSV_E_NS1_11comp_targetILNS1_3genE8ELNS1_11target_archE1030ELNS1_3gpuE2ELNS1_3repE0EEENS1_48merge_mergepath_partition_config_static_selectorELNS0_4arch9wavefront6targetE1EEEvSH_, .Lfunc_end807-_ZN7rocprim17ROCPRIM_400000_NS6detail17trampoline_kernelINS0_14default_configENS1_38merge_sort_block_merge_config_selectorIilEEZZNS1_27merge_sort_block_merge_implIS3_PiN6thrust23THRUST_200600_302600_NS10device_ptrIlEEjNS1_19radix_merge_compareILb0ELb1EiNS0_19identity_decomposerEEEEE10hipError_tT0_T1_T2_jT3_P12ihipStream_tbPNSt15iterator_traitsISG_E10value_typeEPNSM_ISH_E10value_typeEPSI_NS1_7vsmem_tEENKUlT_SG_SH_SI_E_clIS7_S7_PlSB_EESF_SV_SG_SH_SI_EUlSV_E_NS1_11comp_targetILNS1_3genE8ELNS1_11target_archE1030ELNS1_3gpuE2ELNS1_3repE0EEENS1_48merge_mergepath_partition_config_static_selectorELNS0_4arch9wavefront6targetE1EEEvSH_
                                        ; -- End function
	.set _ZN7rocprim17ROCPRIM_400000_NS6detail17trampoline_kernelINS0_14default_configENS1_38merge_sort_block_merge_config_selectorIilEEZZNS1_27merge_sort_block_merge_implIS3_PiN6thrust23THRUST_200600_302600_NS10device_ptrIlEEjNS1_19radix_merge_compareILb0ELb1EiNS0_19identity_decomposerEEEEE10hipError_tT0_T1_T2_jT3_P12ihipStream_tbPNSt15iterator_traitsISG_E10value_typeEPNSM_ISH_E10value_typeEPSI_NS1_7vsmem_tEENKUlT_SG_SH_SI_E_clIS7_S7_PlSB_EESF_SV_SG_SH_SI_EUlSV_E_NS1_11comp_targetILNS1_3genE8ELNS1_11target_archE1030ELNS1_3gpuE2ELNS1_3repE0EEENS1_48merge_mergepath_partition_config_static_selectorELNS0_4arch9wavefront6targetE1EEEvSH_.num_vgpr, 0
	.set _ZN7rocprim17ROCPRIM_400000_NS6detail17trampoline_kernelINS0_14default_configENS1_38merge_sort_block_merge_config_selectorIilEEZZNS1_27merge_sort_block_merge_implIS3_PiN6thrust23THRUST_200600_302600_NS10device_ptrIlEEjNS1_19radix_merge_compareILb0ELb1EiNS0_19identity_decomposerEEEEE10hipError_tT0_T1_T2_jT3_P12ihipStream_tbPNSt15iterator_traitsISG_E10value_typeEPNSM_ISH_E10value_typeEPSI_NS1_7vsmem_tEENKUlT_SG_SH_SI_E_clIS7_S7_PlSB_EESF_SV_SG_SH_SI_EUlSV_E_NS1_11comp_targetILNS1_3genE8ELNS1_11target_archE1030ELNS1_3gpuE2ELNS1_3repE0EEENS1_48merge_mergepath_partition_config_static_selectorELNS0_4arch9wavefront6targetE1EEEvSH_.num_agpr, 0
	.set _ZN7rocprim17ROCPRIM_400000_NS6detail17trampoline_kernelINS0_14default_configENS1_38merge_sort_block_merge_config_selectorIilEEZZNS1_27merge_sort_block_merge_implIS3_PiN6thrust23THRUST_200600_302600_NS10device_ptrIlEEjNS1_19radix_merge_compareILb0ELb1EiNS0_19identity_decomposerEEEEE10hipError_tT0_T1_T2_jT3_P12ihipStream_tbPNSt15iterator_traitsISG_E10value_typeEPNSM_ISH_E10value_typeEPSI_NS1_7vsmem_tEENKUlT_SG_SH_SI_E_clIS7_S7_PlSB_EESF_SV_SG_SH_SI_EUlSV_E_NS1_11comp_targetILNS1_3genE8ELNS1_11target_archE1030ELNS1_3gpuE2ELNS1_3repE0EEENS1_48merge_mergepath_partition_config_static_selectorELNS0_4arch9wavefront6targetE1EEEvSH_.numbered_sgpr, 0
	.set _ZN7rocprim17ROCPRIM_400000_NS6detail17trampoline_kernelINS0_14default_configENS1_38merge_sort_block_merge_config_selectorIilEEZZNS1_27merge_sort_block_merge_implIS3_PiN6thrust23THRUST_200600_302600_NS10device_ptrIlEEjNS1_19radix_merge_compareILb0ELb1EiNS0_19identity_decomposerEEEEE10hipError_tT0_T1_T2_jT3_P12ihipStream_tbPNSt15iterator_traitsISG_E10value_typeEPNSM_ISH_E10value_typeEPSI_NS1_7vsmem_tEENKUlT_SG_SH_SI_E_clIS7_S7_PlSB_EESF_SV_SG_SH_SI_EUlSV_E_NS1_11comp_targetILNS1_3genE8ELNS1_11target_archE1030ELNS1_3gpuE2ELNS1_3repE0EEENS1_48merge_mergepath_partition_config_static_selectorELNS0_4arch9wavefront6targetE1EEEvSH_.num_named_barrier, 0
	.set _ZN7rocprim17ROCPRIM_400000_NS6detail17trampoline_kernelINS0_14default_configENS1_38merge_sort_block_merge_config_selectorIilEEZZNS1_27merge_sort_block_merge_implIS3_PiN6thrust23THRUST_200600_302600_NS10device_ptrIlEEjNS1_19radix_merge_compareILb0ELb1EiNS0_19identity_decomposerEEEEE10hipError_tT0_T1_T2_jT3_P12ihipStream_tbPNSt15iterator_traitsISG_E10value_typeEPNSM_ISH_E10value_typeEPSI_NS1_7vsmem_tEENKUlT_SG_SH_SI_E_clIS7_S7_PlSB_EESF_SV_SG_SH_SI_EUlSV_E_NS1_11comp_targetILNS1_3genE8ELNS1_11target_archE1030ELNS1_3gpuE2ELNS1_3repE0EEENS1_48merge_mergepath_partition_config_static_selectorELNS0_4arch9wavefront6targetE1EEEvSH_.private_seg_size, 0
	.set _ZN7rocprim17ROCPRIM_400000_NS6detail17trampoline_kernelINS0_14default_configENS1_38merge_sort_block_merge_config_selectorIilEEZZNS1_27merge_sort_block_merge_implIS3_PiN6thrust23THRUST_200600_302600_NS10device_ptrIlEEjNS1_19radix_merge_compareILb0ELb1EiNS0_19identity_decomposerEEEEE10hipError_tT0_T1_T2_jT3_P12ihipStream_tbPNSt15iterator_traitsISG_E10value_typeEPNSM_ISH_E10value_typeEPSI_NS1_7vsmem_tEENKUlT_SG_SH_SI_E_clIS7_S7_PlSB_EESF_SV_SG_SH_SI_EUlSV_E_NS1_11comp_targetILNS1_3genE8ELNS1_11target_archE1030ELNS1_3gpuE2ELNS1_3repE0EEENS1_48merge_mergepath_partition_config_static_selectorELNS0_4arch9wavefront6targetE1EEEvSH_.uses_vcc, 0
	.set _ZN7rocprim17ROCPRIM_400000_NS6detail17trampoline_kernelINS0_14default_configENS1_38merge_sort_block_merge_config_selectorIilEEZZNS1_27merge_sort_block_merge_implIS3_PiN6thrust23THRUST_200600_302600_NS10device_ptrIlEEjNS1_19radix_merge_compareILb0ELb1EiNS0_19identity_decomposerEEEEE10hipError_tT0_T1_T2_jT3_P12ihipStream_tbPNSt15iterator_traitsISG_E10value_typeEPNSM_ISH_E10value_typeEPSI_NS1_7vsmem_tEENKUlT_SG_SH_SI_E_clIS7_S7_PlSB_EESF_SV_SG_SH_SI_EUlSV_E_NS1_11comp_targetILNS1_3genE8ELNS1_11target_archE1030ELNS1_3gpuE2ELNS1_3repE0EEENS1_48merge_mergepath_partition_config_static_selectorELNS0_4arch9wavefront6targetE1EEEvSH_.uses_flat_scratch, 0
	.set _ZN7rocprim17ROCPRIM_400000_NS6detail17trampoline_kernelINS0_14default_configENS1_38merge_sort_block_merge_config_selectorIilEEZZNS1_27merge_sort_block_merge_implIS3_PiN6thrust23THRUST_200600_302600_NS10device_ptrIlEEjNS1_19radix_merge_compareILb0ELb1EiNS0_19identity_decomposerEEEEE10hipError_tT0_T1_T2_jT3_P12ihipStream_tbPNSt15iterator_traitsISG_E10value_typeEPNSM_ISH_E10value_typeEPSI_NS1_7vsmem_tEENKUlT_SG_SH_SI_E_clIS7_S7_PlSB_EESF_SV_SG_SH_SI_EUlSV_E_NS1_11comp_targetILNS1_3genE8ELNS1_11target_archE1030ELNS1_3gpuE2ELNS1_3repE0EEENS1_48merge_mergepath_partition_config_static_selectorELNS0_4arch9wavefront6targetE1EEEvSH_.has_dyn_sized_stack, 0
	.set _ZN7rocprim17ROCPRIM_400000_NS6detail17trampoline_kernelINS0_14default_configENS1_38merge_sort_block_merge_config_selectorIilEEZZNS1_27merge_sort_block_merge_implIS3_PiN6thrust23THRUST_200600_302600_NS10device_ptrIlEEjNS1_19radix_merge_compareILb0ELb1EiNS0_19identity_decomposerEEEEE10hipError_tT0_T1_T2_jT3_P12ihipStream_tbPNSt15iterator_traitsISG_E10value_typeEPNSM_ISH_E10value_typeEPSI_NS1_7vsmem_tEENKUlT_SG_SH_SI_E_clIS7_S7_PlSB_EESF_SV_SG_SH_SI_EUlSV_E_NS1_11comp_targetILNS1_3genE8ELNS1_11target_archE1030ELNS1_3gpuE2ELNS1_3repE0EEENS1_48merge_mergepath_partition_config_static_selectorELNS0_4arch9wavefront6targetE1EEEvSH_.has_recursion, 0
	.set _ZN7rocprim17ROCPRIM_400000_NS6detail17trampoline_kernelINS0_14default_configENS1_38merge_sort_block_merge_config_selectorIilEEZZNS1_27merge_sort_block_merge_implIS3_PiN6thrust23THRUST_200600_302600_NS10device_ptrIlEEjNS1_19radix_merge_compareILb0ELb1EiNS0_19identity_decomposerEEEEE10hipError_tT0_T1_T2_jT3_P12ihipStream_tbPNSt15iterator_traitsISG_E10value_typeEPNSM_ISH_E10value_typeEPSI_NS1_7vsmem_tEENKUlT_SG_SH_SI_E_clIS7_S7_PlSB_EESF_SV_SG_SH_SI_EUlSV_E_NS1_11comp_targetILNS1_3genE8ELNS1_11target_archE1030ELNS1_3gpuE2ELNS1_3repE0EEENS1_48merge_mergepath_partition_config_static_selectorELNS0_4arch9wavefront6targetE1EEEvSH_.has_indirect_call, 0
	.section	.AMDGPU.csdata,"",@progbits
; Kernel info:
; codeLenInByte = 0
; TotalNumSgprs: 4
; NumVgprs: 0
; ScratchSize: 0
; MemoryBound: 0
; FloatMode: 240
; IeeeMode: 1
; LDSByteSize: 0 bytes/workgroup (compile time only)
; SGPRBlocks: 0
; VGPRBlocks: 0
; NumSGPRsForWavesPerEU: 4
; NumVGPRsForWavesPerEU: 1
; Occupancy: 10
; WaveLimiterHint : 0
; COMPUTE_PGM_RSRC2:SCRATCH_EN: 0
; COMPUTE_PGM_RSRC2:USER_SGPR: 6
; COMPUTE_PGM_RSRC2:TRAP_HANDLER: 0
; COMPUTE_PGM_RSRC2:TGID_X_EN: 1
; COMPUTE_PGM_RSRC2:TGID_Y_EN: 0
; COMPUTE_PGM_RSRC2:TGID_Z_EN: 0
; COMPUTE_PGM_RSRC2:TIDIG_COMP_CNT: 0
	.section	.text._ZN7rocprim17ROCPRIM_400000_NS6detail17trampoline_kernelINS0_14default_configENS1_38merge_sort_block_merge_config_selectorIilEEZZNS1_27merge_sort_block_merge_implIS3_PiN6thrust23THRUST_200600_302600_NS10device_ptrIlEEjNS1_19radix_merge_compareILb0ELb1EiNS0_19identity_decomposerEEEEE10hipError_tT0_T1_T2_jT3_P12ihipStream_tbPNSt15iterator_traitsISG_E10value_typeEPNSM_ISH_E10value_typeEPSI_NS1_7vsmem_tEENKUlT_SG_SH_SI_E_clIS7_S7_PlSB_EESF_SV_SG_SH_SI_EUlSV_E0_NS1_11comp_targetILNS1_3genE0ELNS1_11target_archE4294967295ELNS1_3gpuE0ELNS1_3repE0EEENS1_38merge_mergepath_config_static_selectorELNS0_4arch9wavefront6targetE1EEEvSH_,"axG",@progbits,_ZN7rocprim17ROCPRIM_400000_NS6detail17trampoline_kernelINS0_14default_configENS1_38merge_sort_block_merge_config_selectorIilEEZZNS1_27merge_sort_block_merge_implIS3_PiN6thrust23THRUST_200600_302600_NS10device_ptrIlEEjNS1_19radix_merge_compareILb0ELb1EiNS0_19identity_decomposerEEEEE10hipError_tT0_T1_T2_jT3_P12ihipStream_tbPNSt15iterator_traitsISG_E10value_typeEPNSM_ISH_E10value_typeEPSI_NS1_7vsmem_tEENKUlT_SG_SH_SI_E_clIS7_S7_PlSB_EESF_SV_SG_SH_SI_EUlSV_E0_NS1_11comp_targetILNS1_3genE0ELNS1_11target_archE4294967295ELNS1_3gpuE0ELNS1_3repE0EEENS1_38merge_mergepath_config_static_selectorELNS0_4arch9wavefront6targetE1EEEvSH_,comdat
	.protected	_ZN7rocprim17ROCPRIM_400000_NS6detail17trampoline_kernelINS0_14default_configENS1_38merge_sort_block_merge_config_selectorIilEEZZNS1_27merge_sort_block_merge_implIS3_PiN6thrust23THRUST_200600_302600_NS10device_ptrIlEEjNS1_19radix_merge_compareILb0ELb1EiNS0_19identity_decomposerEEEEE10hipError_tT0_T1_T2_jT3_P12ihipStream_tbPNSt15iterator_traitsISG_E10value_typeEPNSM_ISH_E10value_typeEPSI_NS1_7vsmem_tEENKUlT_SG_SH_SI_E_clIS7_S7_PlSB_EESF_SV_SG_SH_SI_EUlSV_E0_NS1_11comp_targetILNS1_3genE0ELNS1_11target_archE4294967295ELNS1_3gpuE0ELNS1_3repE0EEENS1_38merge_mergepath_config_static_selectorELNS0_4arch9wavefront6targetE1EEEvSH_ ; -- Begin function _ZN7rocprim17ROCPRIM_400000_NS6detail17trampoline_kernelINS0_14default_configENS1_38merge_sort_block_merge_config_selectorIilEEZZNS1_27merge_sort_block_merge_implIS3_PiN6thrust23THRUST_200600_302600_NS10device_ptrIlEEjNS1_19radix_merge_compareILb0ELb1EiNS0_19identity_decomposerEEEEE10hipError_tT0_T1_T2_jT3_P12ihipStream_tbPNSt15iterator_traitsISG_E10value_typeEPNSM_ISH_E10value_typeEPSI_NS1_7vsmem_tEENKUlT_SG_SH_SI_E_clIS7_S7_PlSB_EESF_SV_SG_SH_SI_EUlSV_E0_NS1_11comp_targetILNS1_3genE0ELNS1_11target_archE4294967295ELNS1_3gpuE0ELNS1_3repE0EEENS1_38merge_mergepath_config_static_selectorELNS0_4arch9wavefront6targetE1EEEvSH_
	.globl	_ZN7rocprim17ROCPRIM_400000_NS6detail17trampoline_kernelINS0_14default_configENS1_38merge_sort_block_merge_config_selectorIilEEZZNS1_27merge_sort_block_merge_implIS3_PiN6thrust23THRUST_200600_302600_NS10device_ptrIlEEjNS1_19radix_merge_compareILb0ELb1EiNS0_19identity_decomposerEEEEE10hipError_tT0_T1_T2_jT3_P12ihipStream_tbPNSt15iterator_traitsISG_E10value_typeEPNSM_ISH_E10value_typeEPSI_NS1_7vsmem_tEENKUlT_SG_SH_SI_E_clIS7_S7_PlSB_EESF_SV_SG_SH_SI_EUlSV_E0_NS1_11comp_targetILNS1_3genE0ELNS1_11target_archE4294967295ELNS1_3gpuE0ELNS1_3repE0EEENS1_38merge_mergepath_config_static_selectorELNS0_4arch9wavefront6targetE1EEEvSH_
	.p2align	8
	.type	_ZN7rocprim17ROCPRIM_400000_NS6detail17trampoline_kernelINS0_14default_configENS1_38merge_sort_block_merge_config_selectorIilEEZZNS1_27merge_sort_block_merge_implIS3_PiN6thrust23THRUST_200600_302600_NS10device_ptrIlEEjNS1_19radix_merge_compareILb0ELb1EiNS0_19identity_decomposerEEEEE10hipError_tT0_T1_T2_jT3_P12ihipStream_tbPNSt15iterator_traitsISG_E10value_typeEPNSM_ISH_E10value_typeEPSI_NS1_7vsmem_tEENKUlT_SG_SH_SI_E_clIS7_S7_PlSB_EESF_SV_SG_SH_SI_EUlSV_E0_NS1_11comp_targetILNS1_3genE0ELNS1_11target_archE4294967295ELNS1_3gpuE0ELNS1_3repE0EEENS1_38merge_mergepath_config_static_selectorELNS0_4arch9wavefront6targetE1EEEvSH_,@function
_ZN7rocprim17ROCPRIM_400000_NS6detail17trampoline_kernelINS0_14default_configENS1_38merge_sort_block_merge_config_selectorIilEEZZNS1_27merge_sort_block_merge_implIS3_PiN6thrust23THRUST_200600_302600_NS10device_ptrIlEEjNS1_19radix_merge_compareILb0ELb1EiNS0_19identity_decomposerEEEEE10hipError_tT0_T1_T2_jT3_P12ihipStream_tbPNSt15iterator_traitsISG_E10value_typeEPNSM_ISH_E10value_typeEPSI_NS1_7vsmem_tEENKUlT_SG_SH_SI_E_clIS7_S7_PlSB_EESF_SV_SG_SH_SI_EUlSV_E0_NS1_11comp_targetILNS1_3genE0ELNS1_11target_archE4294967295ELNS1_3gpuE0ELNS1_3repE0EEENS1_38merge_mergepath_config_static_selectorELNS0_4arch9wavefront6targetE1EEEvSH_: ; @_ZN7rocprim17ROCPRIM_400000_NS6detail17trampoline_kernelINS0_14default_configENS1_38merge_sort_block_merge_config_selectorIilEEZZNS1_27merge_sort_block_merge_implIS3_PiN6thrust23THRUST_200600_302600_NS10device_ptrIlEEjNS1_19radix_merge_compareILb0ELb1EiNS0_19identity_decomposerEEEEE10hipError_tT0_T1_T2_jT3_P12ihipStream_tbPNSt15iterator_traitsISG_E10value_typeEPNSM_ISH_E10value_typeEPSI_NS1_7vsmem_tEENKUlT_SG_SH_SI_E_clIS7_S7_PlSB_EESF_SV_SG_SH_SI_EUlSV_E0_NS1_11comp_targetILNS1_3genE0ELNS1_11target_archE4294967295ELNS1_3gpuE0ELNS1_3repE0EEENS1_38merge_mergepath_config_static_selectorELNS0_4arch9wavefront6targetE1EEEvSH_
; %bb.0:
	.section	.rodata,"a",@progbits
	.p2align	6, 0x0
	.amdhsa_kernel _ZN7rocprim17ROCPRIM_400000_NS6detail17trampoline_kernelINS0_14default_configENS1_38merge_sort_block_merge_config_selectorIilEEZZNS1_27merge_sort_block_merge_implIS3_PiN6thrust23THRUST_200600_302600_NS10device_ptrIlEEjNS1_19radix_merge_compareILb0ELb1EiNS0_19identity_decomposerEEEEE10hipError_tT0_T1_T2_jT3_P12ihipStream_tbPNSt15iterator_traitsISG_E10value_typeEPNSM_ISH_E10value_typeEPSI_NS1_7vsmem_tEENKUlT_SG_SH_SI_E_clIS7_S7_PlSB_EESF_SV_SG_SH_SI_EUlSV_E0_NS1_11comp_targetILNS1_3genE0ELNS1_11target_archE4294967295ELNS1_3gpuE0ELNS1_3repE0EEENS1_38merge_mergepath_config_static_selectorELNS0_4arch9wavefront6targetE1EEEvSH_
		.amdhsa_group_segment_fixed_size 0
		.amdhsa_private_segment_fixed_size 0
		.amdhsa_kernarg_size 64
		.amdhsa_user_sgpr_count 6
		.amdhsa_user_sgpr_private_segment_buffer 1
		.amdhsa_user_sgpr_dispatch_ptr 0
		.amdhsa_user_sgpr_queue_ptr 0
		.amdhsa_user_sgpr_kernarg_segment_ptr 1
		.amdhsa_user_sgpr_dispatch_id 0
		.amdhsa_user_sgpr_flat_scratch_init 0
		.amdhsa_user_sgpr_private_segment_size 0
		.amdhsa_uses_dynamic_stack 0
		.amdhsa_system_sgpr_private_segment_wavefront_offset 0
		.amdhsa_system_sgpr_workgroup_id_x 1
		.amdhsa_system_sgpr_workgroup_id_y 0
		.amdhsa_system_sgpr_workgroup_id_z 0
		.amdhsa_system_sgpr_workgroup_info 0
		.amdhsa_system_vgpr_workitem_id 0
		.amdhsa_next_free_vgpr 1
		.amdhsa_next_free_sgpr 0
		.amdhsa_reserve_vcc 0
		.amdhsa_reserve_flat_scratch 0
		.amdhsa_float_round_mode_32 0
		.amdhsa_float_round_mode_16_64 0
		.amdhsa_float_denorm_mode_32 3
		.amdhsa_float_denorm_mode_16_64 3
		.amdhsa_dx10_clamp 1
		.amdhsa_ieee_mode 1
		.amdhsa_fp16_overflow 0
		.amdhsa_exception_fp_ieee_invalid_op 0
		.amdhsa_exception_fp_denorm_src 0
		.amdhsa_exception_fp_ieee_div_zero 0
		.amdhsa_exception_fp_ieee_overflow 0
		.amdhsa_exception_fp_ieee_underflow 0
		.amdhsa_exception_fp_ieee_inexact 0
		.amdhsa_exception_int_div_zero 0
	.end_amdhsa_kernel
	.section	.text._ZN7rocprim17ROCPRIM_400000_NS6detail17trampoline_kernelINS0_14default_configENS1_38merge_sort_block_merge_config_selectorIilEEZZNS1_27merge_sort_block_merge_implIS3_PiN6thrust23THRUST_200600_302600_NS10device_ptrIlEEjNS1_19radix_merge_compareILb0ELb1EiNS0_19identity_decomposerEEEEE10hipError_tT0_T1_T2_jT3_P12ihipStream_tbPNSt15iterator_traitsISG_E10value_typeEPNSM_ISH_E10value_typeEPSI_NS1_7vsmem_tEENKUlT_SG_SH_SI_E_clIS7_S7_PlSB_EESF_SV_SG_SH_SI_EUlSV_E0_NS1_11comp_targetILNS1_3genE0ELNS1_11target_archE4294967295ELNS1_3gpuE0ELNS1_3repE0EEENS1_38merge_mergepath_config_static_selectorELNS0_4arch9wavefront6targetE1EEEvSH_,"axG",@progbits,_ZN7rocprim17ROCPRIM_400000_NS6detail17trampoline_kernelINS0_14default_configENS1_38merge_sort_block_merge_config_selectorIilEEZZNS1_27merge_sort_block_merge_implIS3_PiN6thrust23THRUST_200600_302600_NS10device_ptrIlEEjNS1_19radix_merge_compareILb0ELb1EiNS0_19identity_decomposerEEEEE10hipError_tT0_T1_T2_jT3_P12ihipStream_tbPNSt15iterator_traitsISG_E10value_typeEPNSM_ISH_E10value_typeEPSI_NS1_7vsmem_tEENKUlT_SG_SH_SI_E_clIS7_S7_PlSB_EESF_SV_SG_SH_SI_EUlSV_E0_NS1_11comp_targetILNS1_3genE0ELNS1_11target_archE4294967295ELNS1_3gpuE0ELNS1_3repE0EEENS1_38merge_mergepath_config_static_selectorELNS0_4arch9wavefront6targetE1EEEvSH_,comdat
.Lfunc_end808:
	.size	_ZN7rocprim17ROCPRIM_400000_NS6detail17trampoline_kernelINS0_14default_configENS1_38merge_sort_block_merge_config_selectorIilEEZZNS1_27merge_sort_block_merge_implIS3_PiN6thrust23THRUST_200600_302600_NS10device_ptrIlEEjNS1_19radix_merge_compareILb0ELb1EiNS0_19identity_decomposerEEEEE10hipError_tT0_T1_T2_jT3_P12ihipStream_tbPNSt15iterator_traitsISG_E10value_typeEPNSM_ISH_E10value_typeEPSI_NS1_7vsmem_tEENKUlT_SG_SH_SI_E_clIS7_S7_PlSB_EESF_SV_SG_SH_SI_EUlSV_E0_NS1_11comp_targetILNS1_3genE0ELNS1_11target_archE4294967295ELNS1_3gpuE0ELNS1_3repE0EEENS1_38merge_mergepath_config_static_selectorELNS0_4arch9wavefront6targetE1EEEvSH_, .Lfunc_end808-_ZN7rocprim17ROCPRIM_400000_NS6detail17trampoline_kernelINS0_14default_configENS1_38merge_sort_block_merge_config_selectorIilEEZZNS1_27merge_sort_block_merge_implIS3_PiN6thrust23THRUST_200600_302600_NS10device_ptrIlEEjNS1_19radix_merge_compareILb0ELb1EiNS0_19identity_decomposerEEEEE10hipError_tT0_T1_T2_jT3_P12ihipStream_tbPNSt15iterator_traitsISG_E10value_typeEPNSM_ISH_E10value_typeEPSI_NS1_7vsmem_tEENKUlT_SG_SH_SI_E_clIS7_S7_PlSB_EESF_SV_SG_SH_SI_EUlSV_E0_NS1_11comp_targetILNS1_3genE0ELNS1_11target_archE4294967295ELNS1_3gpuE0ELNS1_3repE0EEENS1_38merge_mergepath_config_static_selectorELNS0_4arch9wavefront6targetE1EEEvSH_
                                        ; -- End function
	.set _ZN7rocprim17ROCPRIM_400000_NS6detail17trampoline_kernelINS0_14default_configENS1_38merge_sort_block_merge_config_selectorIilEEZZNS1_27merge_sort_block_merge_implIS3_PiN6thrust23THRUST_200600_302600_NS10device_ptrIlEEjNS1_19radix_merge_compareILb0ELb1EiNS0_19identity_decomposerEEEEE10hipError_tT0_T1_T2_jT3_P12ihipStream_tbPNSt15iterator_traitsISG_E10value_typeEPNSM_ISH_E10value_typeEPSI_NS1_7vsmem_tEENKUlT_SG_SH_SI_E_clIS7_S7_PlSB_EESF_SV_SG_SH_SI_EUlSV_E0_NS1_11comp_targetILNS1_3genE0ELNS1_11target_archE4294967295ELNS1_3gpuE0ELNS1_3repE0EEENS1_38merge_mergepath_config_static_selectorELNS0_4arch9wavefront6targetE1EEEvSH_.num_vgpr, 0
	.set _ZN7rocprim17ROCPRIM_400000_NS6detail17trampoline_kernelINS0_14default_configENS1_38merge_sort_block_merge_config_selectorIilEEZZNS1_27merge_sort_block_merge_implIS3_PiN6thrust23THRUST_200600_302600_NS10device_ptrIlEEjNS1_19radix_merge_compareILb0ELb1EiNS0_19identity_decomposerEEEEE10hipError_tT0_T1_T2_jT3_P12ihipStream_tbPNSt15iterator_traitsISG_E10value_typeEPNSM_ISH_E10value_typeEPSI_NS1_7vsmem_tEENKUlT_SG_SH_SI_E_clIS7_S7_PlSB_EESF_SV_SG_SH_SI_EUlSV_E0_NS1_11comp_targetILNS1_3genE0ELNS1_11target_archE4294967295ELNS1_3gpuE0ELNS1_3repE0EEENS1_38merge_mergepath_config_static_selectorELNS0_4arch9wavefront6targetE1EEEvSH_.num_agpr, 0
	.set _ZN7rocprim17ROCPRIM_400000_NS6detail17trampoline_kernelINS0_14default_configENS1_38merge_sort_block_merge_config_selectorIilEEZZNS1_27merge_sort_block_merge_implIS3_PiN6thrust23THRUST_200600_302600_NS10device_ptrIlEEjNS1_19radix_merge_compareILb0ELb1EiNS0_19identity_decomposerEEEEE10hipError_tT0_T1_T2_jT3_P12ihipStream_tbPNSt15iterator_traitsISG_E10value_typeEPNSM_ISH_E10value_typeEPSI_NS1_7vsmem_tEENKUlT_SG_SH_SI_E_clIS7_S7_PlSB_EESF_SV_SG_SH_SI_EUlSV_E0_NS1_11comp_targetILNS1_3genE0ELNS1_11target_archE4294967295ELNS1_3gpuE0ELNS1_3repE0EEENS1_38merge_mergepath_config_static_selectorELNS0_4arch9wavefront6targetE1EEEvSH_.numbered_sgpr, 0
	.set _ZN7rocprim17ROCPRIM_400000_NS6detail17trampoline_kernelINS0_14default_configENS1_38merge_sort_block_merge_config_selectorIilEEZZNS1_27merge_sort_block_merge_implIS3_PiN6thrust23THRUST_200600_302600_NS10device_ptrIlEEjNS1_19radix_merge_compareILb0ELb1EiNS0_19identity_decomposerEEEEE10hipError_tT0_T1_T2_jT3_P12ihipStream_tbPNSt15iterator_traitsISG_E10value_typeEPNSM_ISH_E10value_typeEPSI_NS1_7vsmem_tEENKUlT_SG_SH_SI_E_clIS7_S7_PlSB_EESF_SV_SG_SH_SI_EUlSV_E0_NS1_11comp_targetILNS1_3genE0ELNS1_11target_archE4294967295ELNS1_3gpuE0ELNS1_3repE0EEENS1_38merge_mergepath_config_static_selectorELNS0_4arch9wavefront6targetE1EEEvSH_.num_named_barrier, 0
	.set _ZN7rocprim17ROCPRIM_400000_NS6detail17trampoline_kernelINS0_14default_configENS1_38merge_sort_block_merge_config_selectorIilEEZZNS1_27merge_sort_block_merge_implIS3_PiN6thrust23THRUST_200600_302600_NS10device_ptrIlEEjNS1_19radix_merge_compareILb0ELb1EiNS0_19identity_decomposerEEEEE10hipError_tT0_T1_T2_jT3_P12ihipStream_tbPNSt15iterator_traitsISG_E10value_typeEPNSM_ISH_E10value_typeEPSI_NS1_7vsmem_tEENKUlT_SG_SH_SI_E_clIS7_S7_PlSB_EESF_SV_SG_SH_SI_EUlSV_E0_NS1_11comp_targetILNS1_3genE0ELNS1_11target_archE4294967295ELNS1_3gpuE0ELNS1_3repE0EEENS1_38merge_mergepath_config_static_selectorELNS0_4arch9wavefront6targetE1EEEvSH_.private_seg_size, 0
	.set _ZN7rocprim17ROCPRIM_400000_NS6detail17trampoline_kernelINS0_14default_configENS1_38merge_sort_block_merge_config_selectorIilEEZZNS1_27merge_sort_block_merge_implIS3_PiN6thrust23THRUST_200600_302600_NS10device_ptrIlEEjNS1_19radix_merge_compareILb0ELb1EiNS0_19identity_decomposerEEEEE10hipError_tT0_T1_T2_jT3_P12ihipStream_tbPNSt15iterator_traitsISG_E10value_typeEPNSM_ISH_E10value_typeEPSI_NS1_7vsmem_tEENKUlT_SG_SH_SI_E_clIS7_S7_PlSB_EESF_SV_SG_SH_SI_EUlSV_E0_NS1_11comp_targetILNS1_3genE0ELNS1_11target_archE4294967295ELNS1_3gpuE0ELNS1_3repE0EEENS1_38merge_mergepath_config_static_selectorELNS0_4arch9wavefront6targetE1EEEvSH_.uses_vcc, 0
	.set _ZN7rocprim17ROCPRIM_400000_NS6detail17trampoline_kernelINS0_14default_configENS1_38merge_sort_block_merge_config_selectorIilEEZZNS1_27merge_sort_block_merge_implIS3_PiN6thrust23THRUST_200600_302600_NS10device_ptrIlEEjNS1_19radix_merge_compareILb0ELb1EiNS0_19identity_decomposerEEEEE10hipError_tT0_T1_T2_jT3_P12ihipStream_tbPNSt15iterator_traitsISG_E10value_typeEPNSM_ISH_E10value_typeEPSI_NS1_7vsmem_tEENKUlT_SG_SH_SI_E_clIS7_S7_PlSB_EESF_SV_SG_SH_SI_EUlSV_E0_NS1_11comp_targetILNS1_3genE0ELNS1_11target_archE4294967295ELNS1_3gpuE0ELNS1_3repE0EEENS1_38merge_mergepath_config_static_selectorELNS0_4arch9wavefront6targetE1EEEvSH_.uses_flat_scratch, 0
	.set _ZN7rocprim17ROCPRIM_400000_NS6detail17trampoline_kernelINS0_14default_configENS1_38merge_sort_block_merge_config_selectorIilEEZZNS1_27merge_sort_block_merge_implIS3_PiN6thrust23THRUST_200600_302600_NS10device_ptrIlEEjNS1_19radix_merge_compareILb0ELb1EiNS0_19identity_decomposerEEEEE10hipError_tT0_T1_T2_jT3_P12ihipStream_tbPNSt15iterator_traitsISG_E10value_typeEPNSM_ISH_E10value_typeEPSI_NS1_7vsmem_tEENKUlT_SG_SH_SI_E_clIS7_S7_PlSB_EESF_SV_SG_SH_SI_EUlSV_E0_NS1_11comp_targetILNS1_3genE0ELNS1_11target_archE4294967295ELNS1_3gpuE0ELNS1_3repE0EEENS1_38merge_mergepath_config_static_selectorELNS0_4arch9wavefront6targetE1EEEvSH_.has_dyn_sized_stack, 0
	.set _ZN7rocprim17ROCPRIM_400000_NS6detail17trampoline_kernelINS0_14default_configENS1_38merge_sort_block_merge_config_selectorIilEEZZNS1_27merge_sort_block_merge_implIS3_PiN6thrust23THRUST_200600_302600_NS10device_ptrIlEEjNS1_19radix_merge_compareILb0ELb1EiNS0_19identity_decomposerEEEEE10hipError_tT0_T1_T2_jT3_P12ihipStream_tbPNSt15iterator_traitsISG_E10value_typeEPNSM_ISH_E10value_typeEPSI_NS1_7vsmem_tEENKUlT_SG_SH_SI_E_clIS7_S7_PlSB_EESF_SV_SG_SH_SI_EUlSV_E0_NS1_11comp_targetILNS1_3genE0ELNS1_11target_archE4294967295ELNS1_3gpuE0ELNS1_3repE0EEENS1_38merge_mergepath_config_static_selectorELNS0_4arch9wavefront6targetE1EEEvSH_.has_recursion, 0
	.set _ZN7rocprim17ROCPRIM_400000_NS6detail17trampoline_kernelINS0_14default_configENS1_38merge_sort_block_merge_config_selectorIilEEZZNS1_27merge_sort_block_merge_implIS3_PiN6thrust23THRUST_200600_302600_NS10device_ptrIlEEjNS1_19radix_merge_compareILb0ELb1EiNS0_19identity_decomposerEEEEE10hipError_tT0_T1_T2_jT3_P12ihipStream_tbPNSt15iterator_traitsISG_E10value_typeEPNSM_ISH_E10value_typeEPSI_NS1_7vsmem_tEENKUlT_SG_SH_SI_E_clIS7_S7_PlSB_EESF_SV_SG_SH_SI_EUlSV_E0_NS1_11comp_targetILNS1_3genE0ELNS1_11target_archE4294967295ELNS1_3gpuE0ELNS1_3repE0EEENS1_38merge_mergepath_config_static_selectorELNS0_4arch9wavefront6targetE1EEEvSH_.has_indirect_call, 0
	.section	.AMDGPU.csdata,"",@progbits
; Kernel info:
; codeLenInByte = 0
; TotalNumSgprs: 4
; NumVgprs: 0
; ScratchSize: 0
; MemoryBound: 0
; FloatMode: 240
; IeeeMode: 1
; LDSByteSize: 0 bytes/workgroup (compile time only)
; SGPRBlocks: 0
; VGPRBlocks: 0
; NumSGPRsForWavesPerEU: 4
; NumVGPRsForWavesPerEU: 1
; Occupancy: 10
; WaveLimiterHint : 0
; COMPUTE_PGM_RSRC2:SCRATCH_EN: 0
; COMPUTE_PGM_RSRC2:USER_SGPR: 6
; COMPUTE_PGM_RSRC2:TRAP_HANDLER: 0
; COMPUTE_PGM_RSRC2:TGID_X_EN: 1
; COMPUTE_PGM_RSRC2:TGID_Y_EN: 0
; COMPUTE_PGM_RSRC2:TGID_Z_EN: 0
; COMPUTE_PGM_RSRC2:TIDIG_COMP_CNT: 0
	.section	.text._ZN7rocprim17ROCPRIM_400000_NS6detail17trampoline_kernelINS0_14default_configENS1_38merge_sort_block_merge_config_selectorIilEEZZNS1_27merge_sort_block_merge_implIS3_PiN6thrust23THRUST_200600_302600_NS10device_ptrIlEEjNS1_19radix_merge_compareILb0ELb1EiNS0_19identity_decomposerEEEEE10hipError_tT0_T1_T2_jT3_P12ihipStream_tbPNSt15iterator_traitsISG_E10value_typeEPNSM_ISH_E10value_typeEPSI_NS1_7vsmem_tEENKUlT_SG_SH_SI_E_clIS7_S7_PlSB_EESF_SV_SG_SH_SI_EUlSV_E0_NS1_11comp_targetILNS1_3genE10ELNS1_11target_archE1201ELNS1_3gpuE5ELNS1_3repE0EEENS1_38merge_mergepath_config_static_selectorELNS0_4arch9wavefront6targetE1EEEvSH_,"axG",@progbits,_ZN7rocprim17ROCPRIM_400000_NS6detail17trampoline_kernelINS0_14default_configENS1_38merge_sort_block_merge_config_selectorIilEEZZNS1_27merge_sort_block_merge_implIS3_PiN6thrust23THRUST_200600_302600_NS10device_ptrIlEEjNS1_19radix_merge_compareILb0ELb1EiNS0_19identity_decomposerEEEEE10hipError_tT0_T1_T2_jT3_P12ihipStream_tbPNSt15iterator_traitsISG_E10value_typeEPNSM_ISH_E10value_typeEPSI_NS1_7vsmem_tEENKUlT_SG_SH_SI_E_clIS7_S7_PlSB_EESF_SV_SG_SH_SI_EUlSV_E0_NS1_11comp_targetILNS1_3genE10ELNS1_11target_archE1201ELNS1_3gpuE5ELNS1_3repE0EEENS1_38merge_mergepath_config_static_selectorELNS0_4arch9wavefront6targetE1EEEvSH_,comdat
	.protected	_ZN7rocprim17ROCPRIM_400000_NS6detail17trampoline_kernelINS0_14default_configENS1_38merge_sort_block_merge_config_selectorIilEEZZNS1_27merge_sort_block_merge_implIS3_PiN6thrust23THRUST_200600_302600_NS10device_ptrIlEEjNS1_19radix_merge_compareILb0ELb1EiNS0_19identity_decomposerEEEEE10hipError_tT0_T1_T2_jT3_P12ihipStream_tbPNSt15iterator_traitsISG_E10value_typeEPNSM_ISH_E10value_typeEPSI_NS1_7vsmem_tEENKUlT_SG_SH_SI_E_clIS7_S7_PlSB_EESF_SV_SG_SH_SI_EUlSV_E0_NS1_11comp_targetILNS1_3genE10ELNS1_11target_archE1201ELNS1_3gpuE5ELNS1_3repE0EEENS1_38merge_mergepath_config_static_selectorELNS0_4arch9wavefront6targetE1EEEvSH_ ; -- Begin function _ZN7rocprim17ROCPRIM_400000_NS6detail17trampoline_kernelINS0_14default_configENS1_38merge_sort_block_merge_config_selectorIilEEZZNS1_27merge_sort_block_merge_implIS3_PiN6thrust23THRUST_200600_302600_NS10device_ptrIlEEjNS1_19radix_merge_compareILb0ELb1EiNS0_19identity_decomposerEEEEE10hipError_tT0_T1_T2_jT3_P12ihipStream_tbPNSt15iterator_traitsISG_E10value_typeEPNSM_ISH_E10value_typeEPSI_NS1_7vsmem_tEENKUlT_SG_SH_SI_E_clIS7_S7_PlSB_EESF_SV_SG_SH_SI_EUlSV_E0_NS1_11comp_targetILNS1_3genE10ELNS1_11target_archE1201ELNS1_3gpuE5ELNS1_3repE0EEENS1_38merge_mergepath_config_static_selectorELNS0_4arch9wavefront6targetE1EEEvSH_
	.globl	_ZN7rocprim17ROCPRIM_400000_NS6detail17trampoline_kernelINS0_14default_configENS1_38merge_sort_block_merge_config_selectorIilEEZZNS1_27merge_sort_block_merge_implIS3_PiN6thrust23THRUST_200600_302600_NS10device_ptrIlEEjNS1_19radix_merge_compareILb0ELb1EiNS0_19identity_decomposerEEEEE10hipError_tT0_T1_T2_jT3_P12ihipStream_tbPNSt15iterator_traitsISG_E10value_typeEPNSM_ISH_E10value_typeEPSI_NS1_7vsmem_tEENKUlT_SG_SH_SI_E_clIS7_S7_PlSB_EESF_SV_SG_SH_SI_EUlSV_E0_NS1_11comp_targetILNS1_3genE10ELNS1_11target_archE1201ELNS1_3gpuE5ELNS1_3repE0EEENS1_38merge_mergepath_config_static_selectorELNS0_4arch9wavefront6targetE1EEEvSH_
	.p2align	8
	.type	_ZN7rocprim17ROCPRIM_400000_NS6detail17trampoline_kernelINS0_14default_configENS1_38merge_sort_block_merge_config_selectorIilEEZZNS1_27merge_sort_block_merge_implIS3_PiN6thrust23THRUST_200600_302600_NS10device_ptrIlEEjNS1_19radix_merge_compareILb0ELb1EiNS0_19identity_decomposerEEEEE10hipError_tT0_T1_T2_jT3_P12ihipStream_tbPNSt15iterator_traitsISG_E10value_typeEPNSM_ISH_E10value_typeEPSI_NS1_7vsmem_tEENKUlT_SG_SH_SI_E_clIS7_S7_PlSB_EESF_SV_SG_SH_SI_EUlSV_E0_NS1_11comp_targetILNS1_3genE10ELNS1_11target_archE1201ELNS1_3gpuE5ELNS1_3repE0EEENS1_38merge_mergepath_config_static_selectorELNS0_4arch9wavefront6targetE1EEEvSH_,@function
_ZN7rocprim17ROCPRIM_400000_NS6detail17trampoline_kernelINS0_14default_configENS1_38merge_sort_block_merge_config_selectorIilEEZZNS1_27merge_sort_block_merge_implIS3_PiN6thrust23THRUST_200600_302600_NS10device_ptrIlEEjNS1_19radix_merge_compareILb0ELb1EiNS0_19identity_decomposerEEEEE10hipError_tT0_T1_T2_jT3_P12ihipStream_tbPNSt15iterator_traitsISG_E10value_typeEPNSM_ISH_E10value_typeEPSI_NS1_7vsmem_tEENKUlT_SG_SH_SI_E_clIS7_S7_PlSB_EESF_SV_SG_SH_SI_EUlSV_E0_NS1_11comp_targetILNS1_3genE10ELNS1_11target_archE1201ELNS1_3gpuE5ELNS1_3repE0EEENS1_38merge_mergepath_config_static_selectorELNS0_4arch9wavefront6targetE1EEEvSH_: ; @_ZN7rocprim17ROCPRIM_400000_NS6detail17trampoline_kernelINS0_14default_configENS1_38merge_sort_block_merge_config_selectorIilEEZZNS1_27merge_sort_block_merge_implIS3_PiN6thrust23THRUST_200600_302600_NS10device_ptrIlEEjNS1_19radix_merge_compareILb0ELb1EiNS0_19identity_decomposerEEEEE10hipError_tT0_T1_T2_jT3_P12ihipStream_tbPNSt15iterator_traitsISG_E10value_typeEPNSM_ISH_E10value_typeEPSI_NS1_7vsmem_tEENKUlT_SG_SH_SI_E_clIS7_S7_PlSB_EESF_SV_SG_SH_SI_EUlSV_E0_NS1_11comp_targetILNS1_3genE10ELNS1_11target_archE1201ELNS1_3gpuE5ELNS1_3repE0EEENS1_38merge_mergepath_config_static_selectorELNS0_4arch9wavefront6targetE1EEEvSH_
; %bb.0:
	.section	.rodata,"a",@progbits
	.p2align	6, 0x0
	.amdhsa_kernel _ZN7rocprim17ROCPRIM_400000_NS6detail17trampoline_kernelINS0_14default_configENS1_38merge_sort_block_merge_config_selectorIilEEZZNS1_27merge_sort_block_merge_implIS3_PiN6thrust23THRUST_200600_302600_NS10device_ptrIlEEjNS1_19radix_merge_compareILb0ELb1EiNS0_19identity_decomposerEEEEE10hipError_tT0_T1_T2_jT3_P12ihipStream_tbPNSt15iterator_traitsISG_E10value_typeEPNSM_ISH_E10value_typeEPSI_NS1_7vsmem_tEENKUlT_SG_SH_SI_E_clIS7_S7_PlSB_EESF_SV_SG_SH_SI_EUlSV_E0_NS1_11comp_targetILNS1_3genE10ELNS1_11target_archE1201ELNS1_3gpuE5ELNS1_3repE0EEENS1_38merge_mergepath_config_static_selectorELNS0_4arch9wavefront6targetE1EEEvSH_
		.amdhsa_group_segment_fixed_size 0
		.amdhsa_private_segment_fixed_size 0
		.amdhsa_kernarg_size 64
		.amdhsa_user_sgpr_count 6
		.amdhsa_user_sgpr_private_segment_buffer 1
		.amdhsa_user_sgpr_dispatch_ptr 0
		.amdhsa_user_sgpr_queue_ptr 0
		.amdhsa_user_sgpr_kernarg_segment_ptr 1
		.amdhsa_user_sgpr_dispatch_id 0
		.amdhsa_user_sgpr_flat_scratch_init 0
		.amdhsa_user_sgpr_private_segment_size 0
		.amdhsa_uses_dynamic_stack 0
		.amdhsa_system_sgpr_private_segment_wavefront_offset 0
		.amdhsa_system_sgpr_workgroup_id_x 1
		.amdhsa_system_sgpr_workgroup_id_y 0
		.amdhsa_system_sgpr_workgroup_id_z 0
		.amdhsa_system_sgpr_workgroup_info 0
		.amdhsa_system_vgpr_workitem_id 0
		.amdhsa_next_free_vgpr 1
		.amdhsa_next_free_sgpr 0
		.amdhsa_reserve_vcc 0
		.amdhsa_reserve_flat_scratch 0
		.amdhsa_float_round_mode_32 0
		.amdhsa_float_round_mode_16_64 0
		.amdhsa_float_denorm_mode_32 3
		.amdhsa_float_denorm_mode_16_64 3
		.amdhsa_dx10_clamp 1
		.amdhsa_ieee_mode 1
		.amdhsa_fp16_overflow 0
		.amdhsa_exception_fp_ieee_invalid_op 0
		.amdhsa_exception_fp_denorm_src 0
		.amdhsa_exception_fp_ieee_div_zero 0
		.amdhsa_exception_fp_ieee_overflow 0
		.amdhsa_exception_fp_ieee_underflow 0
		.amdhsa_exception_fp_ieee_inexact 0
		.amdhsa_exception_int_div_zero 0
	.end_amdhsa_kernel
	.section	.text._ZN7rocprim17ROCPRIM_400000_NS6detail17trampoline_kernelINS0_14default_configENS1_38merge_sort_block_merge_config_selectorIilEEZZNS1_27merge_sort_block_merge_implIS3_PiN6thrust23THRUST_200600_302600_NS10device_ptrIlEEjNS1_19radix_merge_compareILb0ELb1EiNS0_19identity_decomposerEEEEE10hipError_tT0_T1_T2_jT3_P12ihipStream_tbPNSt15iterator_traitsISG_E10value_typeEPNSM_ISH_E10value_typeEPSI_NS1_7vsmem_tEENKUlT_SG_SH_SI_E_clIS7_S7_PlSB_EESF_SV_SG_SH_SI_EUlSV_E0_NS1_11comp_targetILNS1_3genE10ELNS1_11target_archE1201ELNS1_3gpuE5ELNS1_3repE0EEENS1_38merge_mergepath_config_static_selectorELNS0_4arch9wavefront6targetE1EEEvSH_,"axG",@progbits,_ZN7rocprim17ROCPRIM_400000_NS6detail17trampoline_kernelINS0_14default_configENS1_38merge_sort_block_merge_config_selectorIilEEZZNS1_27merge_sort_block_merge_implIS3_PiN6thrust23THRUST_200600_302600_NS10device_ptrIlEEjNS1_19radix_merge_compareILb0ELb1EiNS0_19identity_decomposerEEEEE10hipError_tT0_T1_T2_jT3_P12ihipStream_tbPNSt15iterator_traitsISG_E10value_typeEPNSM_ISH_E10value_typeEPSI_NS1_7vsmem_tEENKUlT_SG_SH_SI_E_clIS7_S7_PlSB_EESF_SV_SG_SH_SI_EUlSV_E0_NS1_11comp_targetILNS1_3genE10ELNS1_11target_archE1201ELNS1_3gpuE5ELNS1_3repE0EEENS1_38merge_mergepath_config_static_selectorELNS0_4arch9wavefront6targetE1EEEvSH_,comdat
.Lfunc_end809:
	.size	_ZN7rocprim17ROCPRIM_400000_NS6detail17trampoline_kernelINS0_14default_configENS1_38merge_sort_block_merge_config_selectorIilEEZZNS1_27merge_sort_block_merge_implIS3_PiN6thrust23THRUST_200600_302600_NS10device_ptrIlEEjNS1_19radix_merge_compareILb0ELb1EiNS0_19identity_decomposerEEEEE10hipError_tT0_T1_T2_jT3_P12ihipStream_tbPNSt15iterator_traitsISG_E10value_typeEPNSM_ISH_E10value_typeEPSI_NS1_7vsmem_tEENKUlT_SG_SH_SI_E_clIS7_S7_PlSB_EESF_SV_SG_SH_SI_EUlSV_E0_NS1_11comp_targetILNS1_3genE10ELNS1_11target_archE1201ELNS1_3gpuE5ELNS1_3repE0EEENS1_38merge_mergepath_config_static_selectorELNS0_4arch9wavefront6targetE1EEEvSH_, .Lfunc_end809-_ZN7rocprim17ROCPRIM_400000_NS6detail17trampoline_kernelINS0_14default_configENS1_38merge_sort_block_merge_config_selectorIilEEZZNS1_27merge_sort_block_merge_implIS3_PiN6thrust23THRUST_200600_302600_NS10device_ptrIlEEjNS1_19radix_merge_compareILb0ELb1EiNS0_19identity_decomposerEEEEE10hipError_tT0_T1_T2_jT3_P12ihipStream_tbPNSt15iterator_traitsISG_E10value_typeEPNSM_ISH_E10value_typeEPSI_NS1_7vsmem_tEENKUlT_SG_SH_SI_E_clIS7_S7_PlSB_EESF_SV_SG_SH_SI_EUlSV_E0_NS1_11comp_targetILNS1_3genE10ELNS1_11target_archE1201ELNS1_3gpuE5ELNS1_3repE0EEENS1_38merge_mergepath_config_static_selectorELNS0_4arch9wavefront6targetE1EEEvSH_
                                        ; -- End function
	.set _ZN7rocprim17ROCPRIM_400000_NS6detail17trampoline_kernelINS0_14default_configENS1_38merge_sort_block_merge_config_selectorIilEEZZNS1_27merge_sort_block_merge_implIS3_PiN6thrust23THRUST_200600_302600_NS10device_ptrIlEEjNS1_19radix_merge_compareILb0ELb1EiNS0_19identity_decomposerEEEEE10hipError_tT0_T1_T2_jT3_P12ihipStream_tbPNSt15iterator_traitsISG_E10value_typeEPNSM_ISH_E10value_typeEPSI_NS1_7vsmem_tEENKUlT_SG_SH_SI_E_clIS7_S7_PlSB_EESF_SV_SG_SH_SI_EUlSV_E0_NS1_11comp_targetILNS1_3genE10ELNS1_11target_archE1201ELNS1_3gpuE5ELNS1_3repE0EEENS1_38merge_mergepath_config_static_selectorELNS0_4arch9wavefront6targetE1EEEvSH_.num_vgpr, 0
	.set _ZN7rocprim17ROCPRIM_400000_NS6detail17trampoline_kernelINS0_14default_configENS1_38merge_sort_block_merge_config_selectorIilEEZZNS1_27merge_sort_block_merge_implIS3_PiN6thrust23THRUST_200600_302600_NS10device_ptrIlEEjNS1_19radix_merge_compareILb0ELb1EiNS0_19identity_decomposerEEEEE10hipError_tT0_T1_T2_jT3_P12ihipStream_tbPNSt15iterator_traitsISG_E10value_typeEPNSM_ISH_E10value_typeEPSI_NS1_7vsmem_tEENKUlT_SG_SH_SI_E_clIS7_S7_PlSB_EESF_SV_SG_SH_SI_EUlSV_E0_NS1_11comp_targetILNS1_3genE10ELNS1_11target_archE1201ELNS1_3gpuE5ELNS1_3repE0EEENS1_38merge_mergepath_config_static_selectorELNS0_4arch9wavefront6targetE1EEEvSH_.num_agpr, 0
	.set _ZN7rocprim17ROCPRIM_400000_NS6detail17trampoline_kernelINS0_14default_configENS1_38merge_sort_block_merge_config_selectorIilEEZZNS1_27merge_sort_block_merge_implIS3_PiN6thrust23THRUST_200600_302600_NS10device_ptrIlEEjNS1_19radix_merge_compareILb0ELb1EiNS0_19identity_decomposerEEEEE10hipError_tT0_T1_T2_jT3_P12ihipStream_tbPNSt15iterator_traitsISG_E10value_typeEPNSM_ISH_E10value_typeEPSI_NS1_7vsmem_tEENKUlT_SG_SH_SI_E_clIS7_S7_PlSB_EESF_SV_SG_SH_SI_EUlSV_E0_NS1_11comp_targetILNS1_3genE10ELNS1_11target_archE1201ELNS1_3gpuE5ELNS1_3repE0EEENS1_38merge_mergepath_config_static_selectorELNS0_4arch9wavefront6targetE1EEEvSH_.numbered_sgpr, 0
	.set _ZN7rocprim17ROCPRIM_400000_NS6detail17trampoline_kernelINS0_14default_configENS1_38merge_sort_block_merge_config_selectorIilEEZZNS1_27merge_sort_block_merge_implIS3_PiN6thrust23THRUST_200600_302600_NS10device_ptrIlEEjNS1_19radix_merge_compareILb0ELb1EiNS0_19identity_decomposerEEEEE10hipError_tT0_T1_T2_jT3_P12ihipStream_tbPNSt15iterator_traitsISG_E10value_typeEPNSM_ISH_E10value_typeEPSI_NS1_7vsmem_tEENKUlT_SG_SH_SI_E_clIS7_S7_PlSB_EESF_SV_SG_SH_SI_EUlSV_E0_NS1_11comp_targetILNS1_3genE10ELNS1_11target_archE1201ELNS1_3gpuE5ELNS1_3repE0EEENS1_38merge_mergepath_config_static_selectorELNS0_4arch9wavefront6targetE1EEEvSH_.num_named_barrier, 0
	.set _ZN7rocprim17ROCPRIM_400000_NS6detail17trampoline_kernelINS0_14default_configENS1_38merge_sort_block_merge_config_selectorIilEEZZNS1_27merge_sort_block_merge_implIS3_PiN6thrust23THRUST_200600_302600_NS10device_ptrIlEEjNS1_19radix_merge_compareILb0ELb1EiNS0_19identity_decomposerEEEEE10hipError_tT0_T1_T2_jT3_P12ihipStream_tbPNSt15iterator_traitsISG_E10value_typeEPNSM_ISH_E10value_typeEPSI_NS1_7vsmem_tEENKUlT_SG_SH_SI_E_clIS7_S7_PlSB_EESF_SV_SG_SH_SI_EUlSV_E0_NS1_11comp_targetILNS1_3genE10ELNS1_11target_archE1201ELNS1_3gpuE5ELNS1_3repE0EEENS1_38merge_mergepath_config_static_selectorELNS0_4arch9wavefront6targetE1EEEvSH_.private_seg_size, 0
	.set _ZN7rocprim17ROCPRIM_400000_NS6detail17trampoline_kernelINS0_14default_configENS1_38merge_sort_block_merge_config_selectorIilEEZZNS1_27merge_sort_block_merge_implIS3_PiN6thrust23THRUST_200600_302600_NS10device_ptrIlEEjNS1_19radix_merge_compareILb0ELb1EiNS0_19identity_decomposerEEEEE10hipError_tT0_T1_T2_jT3_P12ihipStream_tbPNSt15iterator_traitsISG_E10value_typeEPNSM_ISH_E10value_typeEPSI_NS1_7vsmem_tEENKUlT_SG_SH_SI_E_clIS7_S7_PlSB_EESF_SV_SG_SH_SI_EUlSV_E0_NS1_11comp_targetILNS1_3genE10ELNS1_11target_archE1201ELNS1_3gpuE5ELNS1_3repE0EEENS1_38merge_mergepath_config_static_selectorELNS0_4arch9wavefront6targetE1EEEvSH_.uses_vcc, 0
	.set _ZN7rocprim17ROCPRIM_400000_NS6detail17trampoline_kernelINS0_14default_configENS1_38merge_sort_block_merge_config_selectorIilEEZZNS1_27merge_sort_block_merge_implIS3_PiN6thrust23THRUST_200600_302600_NS10device_ptrIlEEjNS1_19radix_merge_compareILb0ELb1EiNS0_19identity_decomposerEEEEE10hipError_tT0_T1_T2_jT3_P12ihipStream_tbPNSt15iterator_traitsISG_E10value_typeEPNSM_ISH_E10value_typeEPSI_NS1_7vsmem_tEENKUlT_SG_SH_SI_E_clIS7_S7_PlSB_EESF_SV_SG_SH_SI_EUlSV_E0_NS1_11comp_targetILNS1_3genE10ELNS1_11target_archE1201ELNS1_3gpuE5ELNS1_3repE0EEENS1_38merge_mergepath_config_static_selectorELNS0_4arch9wavefront6targetE1EEEvSH_.uses_flat_scratch, 0
	.set _ZN7rocprim17ROCPRIM_400000_NS6detail17trampoline_kernelINS0_14default_configENS1_38merge_sort_block_merge_config_selectorIilEEZZNS1_27merge_sort_block_merge_implIS3_PiN6thrust23THRUST_200600_302600_NS10device_ptrIlEEjNS1_19radix_merge_compareILb0ELb1EiNS0_19identity_decomposerEEEEE10hipError_tT0_T1_T2_jT3_P12ihipStream_tbPNSt15iterator_traitsISG_E10value_typeEPNSM_ISH_E10value_typeEPSI_NS1_7vsmem_tEENKUlT_SG_SH_SI_E_clIS7_S7_PlSB_EESF_SV_SG_SH_SI_EUlSV_E0_NS1_11comp_targetILNS1_3genE10ELNS1_11target_archE1201ELNS1_3gpuE5ELNS1_3repE0EEENS1_38merge_mergepath_config_static_selectorELNS0_4arch9wavefront6targetE1EEEvSH_.has_dyn_sized_stack, 0
	.set _ZN7rocprim17ROCPRIM_400000_NS6detail17trampoline_kernelINS0_14default_configENS1_38merge_sort_block_merge_config_selectorIilEEZZNS1_27merge_sort_block_merge_implIS3_PiN6thrust23THRUST_200600_302600_NS10device_ptrIlEEjNS1_19radix_merge_compareILb0ELb1EiNS0_19identity_decomposerEEEEE10hipError_tT0_T1_T2_jT3_P12ihipStream_tbPNSt15iterator_traitsISG_E10value_typeEPNSM_ISH_E10value_typeEPSI_NS1_7vsmem_tEENKUlT_SG_SH_SI_E_clIS7_S7_PlSB_EESF_SV_SG_SH_SI_EUlSV_E0_NS1_11comp_targetILNS1_3genE10ELNS1_11target_archE1201ELNS1_3gpuE5ELNS1_3repE0EEENS1_38merge_mergepath_config_static_selectorELNS0_4arch9wavefront6targetE1EEEvSH_.has_recursion, 0
	.set _ZN7rocprim17ROCPRIM_400000_NS6detail17trampoline_kernelINS0_14default_configENS1_38merge_sort_block_merge_config_selectorIilEEZZNS1_27merge_sort_block_merge_implIS3_PiN6thrust23THRUST_200600_302600_NS10device_ptrIlEEjNS1_19radix_merge_compareILb0ELb1EiNS0_19identity_decomposerEEEEE10hipError_tT0_T1_T2_jT3_P12ihipStream_tbPNSt15iterator_traitsISG_E10value_typeEPNSM_ISH_E10value_typeEPSI_NS1_7vsmem_tEENKUlT_SG_SH_SI_E_clIS7_S7_PlSB_EESF_SV_SG_SH_SI_EUlSV_E0_NS1_11comp_targetILNS1_3genE10ELNS1_11target_archE1201ELNS1_3gpuE5ELNS1_3repE0EEENS1_38merge_mergepath_config_static_selectorELNS0_4arch9wavefront6targetE1EEEvSH_.has_indirect_call, 0
	.section	.AMDGPU.csdata,"",@progbits
; Kernel info:
; codeLenInByte = 0
; TotalNumSgprs: 4
; NumVgprs: 0
; ScratchSize: 0
; MemoryBound: 0
; FloatMode: 240
; IeeeMode: 1
; LDSByteSize: 0 bytes/workgroup (compile time only)
; SGPRBlocks: 0
; VGPRBlocks: 0
; NumSGPRsForWavesPerEU: 4
; NumVGPRsForWavesPerEU: 1
; Occupancy: 10
; WaveLimiterHint : 0
; COMPUTE_PGM_RSRC2:SCRATCH_EN: 0
; COMPUTE_PGM_RSRC2:USER_SGPR: 6
; COMPUTE_PGM_RSRC2:TRAP_HANDLER: 0
; COMPUTE_PGM_RSRC2:TGID_X_EN: 1
; COMPUTE_PGM_RSRC2:TGID_Y_EN: 0
; COMPUTE_PGM_RSRC2:TGID_Z_EN: 0
; COMPUTE_PGM_RSRC2:TIDIG_COMP_CNT: 0
	.section	.text._ZN7rocprim17ROCPRIM_400000_NS6detail17trampoline_kernelINS0_14default_configENS1_38merge_sort_block_merge_config_selectorIilEEZZNS1_27merge_sort_block_merge_implIS3_PiN6thrust23THRUST_200600_302600_NS10device_ptrIlEEjNS1_19radix_merge_compareILb0ELb1EiNS0_19identity_decomposerEEEEE10hipError_tT0_T1_T2_jT3_P12ihipStream_tbPNSt15iterator_traitsISG_E10value_typeEPNSM_ISH_E10value_typeEPSI_NS1_7vsmem_tEENKUlT_SG_SH_SI_E_clIS7_S7_PlSB_EESF_SV_SG_SH_SI_EUlSV_E0_NS1_11comp_targetILNS1_3genE5ELNS1_11target_archE942ELNS1_3gpuE9ELNS1_3repE0EEENS1_38merge_mergepath_config_static_selectorELNS0_4arch9wavefront6targetE1EEEvSH_,"axG",@progbits,_ZN7rocprim17ROCPRIM_400000_NS6detail17trampoline_kernelINS0_14default_configENS1_38merge_sort_block_merge_config_selectorIilEEZZNS1_27merge_sort_block_merge_implIS3_PiN6thrust23THRUST_200600_302600_NS10device_ptrIlEEjNS1_19radix_merge_compareILb0ELb1EiNS0_19identity_decomposerEEEEE10hipError_tT0_T1_T2_jT3_P12ihipStream_tbPNSt15iterator_traitsISG_E10value_typeEPNSM_ISH_E10value_typeEPSI_NS1_7vsmem_tEENKUlT_SG_SH_SI_E_clIS7_S7_PlSB_EESF_SV_SG_SH_SI_EUlSV_E0_NS1_11comp_targetILNS1_3genE5ELNS1_11target_archE942ELNS1_3gpuE9ELNS1_3repE0EEENS1_38merge_mergepath_config_static_selectorELNS0_4arch9wavefront6targetE1EEEvSH_,comdat
	.protected	_ZN7rocprim17ROCPRIM_400000_NS6detail17trampoline_kernelINS0_14default_configENS1_38merge_sort_block_merge_config_selectorIilEEZZNS1_27merge_sort_block_merge_implIS3_PiN6thrust23THRUST_200600_302600_NS10device_ptrIlEEjNS1_19radix_merge_compareILb0ELb1EiNS0_19identity_decomposerEEEEE10hipError_tT0_T1_T2_jT3_P12ihipStream_tbPNSt15iterator_traitsISG_E10value_typeEPNSM_ISH_E10value_typeEPSI_NS1_7vsmem_tEENKUlT_SG_SH_SI_E_clIS7_S7_PlSB_EESF_SV_SG_SH_SI_EUlSV_E0_NS1_11comp_targetILNS1_3genE5ELNS1_11target_archE942ELNS1_3gpuE9ELNS1_3repE0EEENS1_38merge_mergepath_config_static_selectorELNS0_4arch9wavefront6targetE1EEEvSH_ ; -- Begin function _ZN7rocprim17ROCPRIM_400000_NS6detail17trampoline_kernelINS0_14default_configENS1_38merge_sort_block_merge_config_selectorIilEEZZNS1_27merge_sort_block_merge_implIS3_PiN6thrust23THRUST_200600_302600_NS10device_ptrIlEEjNS1_19radix_merge_compareILb0ELb1EiNS0_19identity_decomposerEEEEE10hipError_tT0_T1_T2_jT3_P12ihipStream_tbPNSt15iterator_traitsISG_E10value_typeEPNSM_ISH_E10value_typeEPSI_NS1_7vsmem_tEENKUlT_SG_SH_SI_E_clIS7_S7_PlSB_EESF_SV_SG_SH_SI_EUlSV_E0_NS1_11comp_targetILNS1_3genE5ELNS1_11target_archE942ELNS1_3gpuE9ELNS1_3repE0EEENS1_38merge_mergepath_config_static_selectorELNS0_4arch9wavefront6targetE1EEEvSH_
	.globl	_ZN7rocprim17ROCPRIM_400000_NS6detail17trampoline_kernelINS0_14default_configENS1_38merge_sort_block_merge_config_selectorIilEEZZNS1_27merge_sort_block_merge_implIS3_PiN6thrust23THRUST_200600_302600_NS10device_ptrIlEEjNS1_19radix_merge_compareILb0ELb1EiNS0_19identity_decomposerEEEEE10hipError_tT0_T1_T2_jT3_P12ihipStream_tbPNSt15iterator_traitsISG_E10value_typeEPNSM_ISH_E10value_typeEPSI_NS1_7vsmem_tEENKUlT_SG_SH_SI_E_clIS7_S7_PlSB_EESF_SV_SG_SH_SI_EUlSV_E0_NS1_11comp_targetILNS1_3genE5ELNS1_11target_archE942ELNS1_3gpuE9ELNS1_3repE0EEENS1_38merge_mergepath_config_static_selectorELNS0_4arch9wavefront6targetE1EEEvSH_
	.p2align	8
	.type	_ZN7rocprim17ROCPRIM_400000_NS6detail17trampoline_kernelINS0_14default_configENS1_38merge_sort_block_merge_config_selectorIilEEZZNS1_27merge_sort_block_merge_implIS3_PiN6thrust23THRUST_200600_302600_NS10device_ptrIlEEjNS1_19radix_merge_compareILb0ELb1EiNS0_19identity_decomposerEEEEE10hipError_tT0_T1_T2_jT3_P12ihipStream_tbPNSt15iterator_traitsISG_E10value_typeEPNSM_ISH_E10value_typeEPSI_NS1_7vsmem_tEENKUlT_SG_SH_SI_E_clIS7_S7_PlSB_EESF_SV_SG_SH_SI_EUlSV_E0_NS1_11comp_targetILNS1_3genE5ELNS1_11target_archE942ELNS1_3gpuE9ELNS1_3repE0EEENS1_38merge_mergepath_config_static_selectorELNS0_4arch9wavefront6targetE1EEEvSH_,@function
_ZN7rocprim17ROCPRIM_400000_NS6detail17trampoline_kernelINS0_14default_configENS1_38merge_sort_block_merge_config_selectorIilEEZZNS1_27merge_sort_block_merge_implIS3_PiN6thrust23THRUST_200600_302600_NS10device_ptrIlEEjNS1_19radix_merge_compareILb0ELb1EiNS0_19identity_decomposerEEEEE10hipError_tT0_T1_T2_jT3_P12ihipStream_tbPNSt15iterator_traitsISG_E10value_typeEPNSM_ISH_E10value_typeEPSI_NS1_7vsmem_tEENKUlT_SG_SH_SI_E_clIS7_S7_PlSB_EESF_SV_SG_SH_SI_EUlSV_E0_NS1_11comp_targetILNS1_3genE5ELNS1_11target_archE942ELNS1_3gpuE9ELNS1_3repE0EEENS1_38merge_mergepath_config_static_selectorELNS0_4arch9wavefront6targetE1EEEvSH_: ; @_ZN7rocprim17ROCPRIM_400000_NS6detail17trampoline_kernelINS0_14default_configENS1_38merge_sort_block_merge_config_selectorIilEEZZNS1_27merge_sort_block_merge_implIS3_PiN6thrust23THRUST_200600_302600_NS10device_ptrIlEEjNS1_19radix_merge_compareILb0ELb1EiNS0_19identity_decomposerEEEEE10hipError_tT0_T1_T2_jT3_P12ihipStream_tbPNSt15iterator_traitsISG_E10value_typeEPNSM_ISH_E10value_typeEPSI_NS1_7vsmem_tEENKUlT_SG_SH_SI_E_clIS7_S7_PlSB_EESF_SV_SG_SH_SI_EUlSV_E0_NS1_11comp_targetILNS1_3genE5ELNS1_11target_archE942ELNS1_3gpuE9ELNS1_3repE0EEENS1_38merge_mergepath_config_static_selectorELNS0_4arch9wavefront6targetE1EEEvSH_
; %bb.0:
	.section	.rodata,"a",@progbits
	.p2align	6, 0x0
	.amdhsa_kernel _ZN7rocprim17ROCPRIM_400000_NS6detail17trampoline_kernelINS0_14default_configENS1_38merge_sort_block_merge_config_selectorIilEEZZNS1_27merge_sort_block_merge_implIS3_PiN6thrust23THRUST_200600_302600_NS10device_ptrIlEEjNS1_19radix_merge_compareILb0ELb1EiNS0_19identity_decomposerEEEEE10hipError_tT0_T1_T2_jT3_P12ihipStream_tbPNSt15iterator_traitsISG_E10value_typeEPNSM_ISH_E10value_typeEPSI_NS1_7vsmem_tEENKUlT_SG_SH_SI_E_clIS7_S7_PlSB_EESF_SV_SG_SH_SI_EUlSV_E0_NS1_11comp_targetILNS1_3genE5ELNS1_11target_archE942ELNS1_3gpuE9ELNS1_3repE0EEENS1_38merge_mergepath_config_static_selectorELNS0_4arch9wavefront6targetE1EEEvSH_
		.amdhsa_group_segment_fixed_size 0
		.amdhsa_private_segment_fixed_size 0
		.amdhsa_kernarg_size 64
		.amdhsa_user_sgpr_count 6
		.amdhsa_user_sgpr_private_segment_buffer 1
		.amdhsa_user_sgpr_dispatch_ptr 0
		.amdhsa_user_sgpr_queue_ptr 0
		.amdhsa_user_sgpr_kernarg_segment_ptr 1
		.amdhsa_user_sgpr_dispatch_id 0
		.amdhsa_user_sgpr_flat_scratch_init 0
		.amdhsa_user_sgpr_private_segment_size 0
		.amdhsa_uses_dynamic_stack 0
		.amdhsa_system_sgpr_private_segment_wavefront_offset 0
		.amdhsa_system_sgpr_workgroup_id_x 1
		.amdhsa_system_sgpr_workgroup_id_y 0
		.amdhsa_system_sgpr_workgroup_id_z 0
		.amdhsa_system_sgpr_workgroup_info 0
		.amdhsa_system_vgpr_workitem_id 0
		.amdhsa_next_free_vgpr 1
		.amdhsa_next_free_sgpr 0
		.amdhsa_reserve_vcc 0
		.amdhsa_reserve_flat_scratch 0
		.amdhsa_float_round_mode_32 0
		.amdhsa_float_round_mode_16_64 0
		.amdhsa_float_denorm_mode_32 3
		.amdhsa_float_denorm_mode_16_64 3
		.amdhsa_dx10_clamp 1
		.amdhsa_ieee_mode 1
		.amdhsa_fp16_overflow 0
		.amdhsa_exception_fp_ieee_invalid_op 0
		.amdhsa_exception_fp_denorm_src 0
		.amdhsa_exception_fp_ieee_div_zero 0
		.amdhsa_exception_fp_ieee_overflow 0
		.amdhsa_exception_fp_ieee_underflow 0
		.amdhsa_exception_fp_ieee_inexact 0
		.amdhsa_exception_int_div_zero 0
	.end_amdhsa_kernel
	.section	.text._ZN7rocprim17ROCPRIM_400000_NS6detail17trampoline_kernelINS0_14default_configENS1_38merge_sort_block_merge_config_selectorIilEEZZNS1_27merge_sort_block_merge_implIS3_PiN6thrust23THRUST_200600_302600_NS10device_ptrIlEEjNS1_19radix_merge_compareILb0ELb1EiNS0_19identity_decomposerEEEEE10hipError_tT0_T1_T2_jT3_P12ihipStream_tbPNSt15iterator_traitsISG_E10value_typeEPNSM_ISH_E10value_typeEPSI_NS1_7vsmem_tEENKUlT_SG_SH_SI_E_clIS7_S7_PlSB_EESF_SV_SG_SH_SI_EUlSV_E0_NS1_11comp_targetILNS1_3genE5ELNS1_11target_archE942ELNS1_3gpuE9ELNS1_3repE0EEENS1_38merge_mergepath_config_static_selectorELNS0_4arch9wavefront6targetE1EEEvSH_,"axG",@progbits,_ZN7rocprim17ROCPRIM_400000_NS6detail17trampoline_kernelINS0_14default_configENS1_38merge_sort_block_merge_config_selectorIilEEZZNS1_27merge_sort_block_merge_implIS3_PiN6thrust23THRUST_200600_302600_NS10device_ptrIlEEjNS1_19radix_merge_compareILb0ELb1EiNS0_19identity_decomposerEEEEE10hipError_tT0_T1_T2_jT3_P12ihipStream_tbPNSt15iterator_traitsISG_E10value_typeEPNSM_ISH_E10value_typeEPSI_NS1_7vsmem_tEENKUlT_SG_SH_SI_E_clIS7_S7_PlSB_EESF_SV_SG_SH_SI_EUlSV_E0_NS1_11comp_targetILNS1_3genE5ELNS1_11target_archE942ELNS1_3gpuE9ELNS1_3repE0EEENS1_38merge_mergepath_config_static_selectorELNS0_4arch9wavefront6targetE1EEEvSH_,comdat
.Lfunc_end810:
	.size	_ZN7rocprim17ROCPRIM_400000_NS6detail17trampoline_kernelINS0_14default_configENS1_38merge_sort_block_merge_config_selectorIilEEZZNS1_27merge_sort_block_merge_implIS3_PiN6thrust23THRUST_200600_302600_NS10device_ptrIlEEjNS1_19radix_merge_compareILb0ELb1EiNS0_19identity_decomposerEEEEE10hipError_tT0_T1_T2_jT3_P12ihipStream_tbPNSt15iterator_traitsISG_E10value_typeEPNSM_ISH_E10value_typeEPSI_NS1_7vsmem_tEENKUlT_SG_SH_SI_E_clIS7_S7_PlSB_EESF_SV_SG_SH_SI_EUlSV_E0_NS1_11comp_targetILNS1_3genE5ELNS1_11target_archE942ELNS1_3gpuE9ELNS1_3repE0EEENS1_38merge_mergepath_config_static_selectorELNS0_4arch9wavefront6targetE1EEEvSH_, .Lfunc_end810-_ZN7rocprim17ROCPRIM_400000_NS6detail17trampoline_kernelINS0_14default_configENS1_38merge_sort_block_merge_config_selectorIilEEZZNS1_27merge_sort_block_merge_implIS3_PiN6thrust23THRUST_200600_302600_NS10device_ptrIlEEjNS1_19radix_merge_compareILb0ELb1EiNS0_19identity_decomposerEEEEE10hipError_tT0_T1_T2_jT3_P12ihipStream_tbPNSt15iterator_traitsISG_E10value_typeEPNSM_ISH_E10value_typeEPSI_NS1_7vsmem_tEENKUlT_SG_SH_SI_E_clIS7_S7_PlSB_EESF_SV_SG_SH_SI_EUlSV_E0_NS1_11comp_targetILNS1_3genE5ELNS1_11target_archE942ELNS1_3gpuE9ELNS1_3repE0EEENS1_38merge_mergepath_config_static_selectorELNS0_4arch9wavefront6targetE1EEEvSH_
                                        ; -- End function
	.set _ZN7rocprim17ROCPRIM_400000_NS6detail17trampoline_kernelINS0_14default_configENS1_38merge_sort_block_merge_config_selectorIilEEZZNS1_27merge_sort_block_merge_implIS3_PiN6thrust23THRUST_200600_302600_NS10device_ptrIlEEjNS1_19radix_merge_compareILb0ELb1EiNS0_19identity_decomposerEEEEE10hipError_tT0_T1_T2_jT3_P12ihipStream_tbPNSt15iterator_traitsISG_E10value_typeEPNSM_ISH_E10value_typeEPSI_NS1_7vsmem_tEENKUlT_SG_SH_SI_E_clIS7_S7_PlSB_EESF_SV_SG_SH_SI_EUlSV_E0_NS1_11comp_targetILNS1_3genE5ELNS1_11target_archE942ELNS1_3gpuE9ELNS1_3repE0EEENS1_38merge_mergepath_config_static_selectorELNS0_4arch9wavefront6targetE1EEEvSH_.num_vgpr, 0
	.set _ZN7rocprim17ROCPRIM_400000_NS6detail17trampoline_kernelINS0_14default_configENS1_38merge_sort_block_merge_config_selectorIilEEZZNS1_27merge_sort_block_merge_implIS3_PiN6thrust23THRUST_200600_302600_NS10device_ptrIlEEjNS1_19radix_merge_compareILb0ELb1EiNS0_19identity_decomposerEEEEE10hipError_tT0_T1_T2_jT3_P12ihipStream_tbPNSt15iterator_traitsISG_E10value_typeEPNSM_ISH_E10value_typeEPSI_NS1_7vsmem_tEENKUlT_SG_SH_SI_E_clIS7_S7_PlSB_EESF_SV_SG_SH_SI_EUlSV_E0_NS1_11comp_targetILNS1_3genE5ELNS1_11target_archE942ELNS1_3gpuE9ELNS1_3repE0EEENS1_38merge_mergepath_config_static_selectorELNS0_4arch9wavefront6targetE1EEEvSH_.num_agpr, 0
	.set _ZN7rocprim17ROCPRIM_400000_NS6detail17trampoline_kernelINS0_14default_configENS1_38merge_sort_block_merge_config_selectorIilEEZZNS1_27merge_sort_block_merge_implIS3_PiN6thrust23THRUST_200600_302600_NS10device_ptrIlEEjNS1_19radix_merge_compareILb0ELb1EiNS0_19identity_decomposerEEEEE10hipError_tT0_T1_T2_jT3_P12ihipStream_tbPNSt15iterator_traitsISG_E10value_typeEPNSM_ISH_E10value_typeEPSI_NS1_7vsmem_tEENKUlT_SG_SH_SI_E_clIS7_S7_PlSB_EESF_SV_SG_SH_SI_EUlSV_E0_NS1_11comp_targetILNS1_3genE5ELNS1_11target_archE942ELNS1_3gpuE9ELNS1_3repE0EEENS1_38merge_mergepath_config_static_selectorELNS0_4arch9wavefront6targetE1EEEvSH_.numbered_sgpr, 0
	.set _ZN7rocprim17ROCPRIM_400000_NS6detail17trampoline_kernelINS0_14default_configENS1_38merge_sort_block_merge_config_selectorIilEEZZNS1_27merge_sort_block_merge_implIS3_PiN6thrust23THRUST_200600_302600_NS10device_ptrIlEEjNS1_19radix_merge_compareILb0ELb1EiNS0_19identity_decomposerEEEEE10hipError_tT0_T1_T2_jT3_P12ihipStream_tbPNSt15iterator_traitsISG_E10value_typeEPNSM_ISH_E10value_typeEPSI_NS1_7vsmem_tEENKUlT_SG_SH_SI_E_clIS7_S7_PlSB_EESF_SV_SG_SH_SI_EUlSV_E0_NS1_11comp_targetILNS1_3genE5ELNS1_11target_archE942ELNS1_3gpuE9ELNS1_3repE0EEENS1_38merge_mergepath_config_static_selectorELNS0_4arch9wavefront6targetE1EEEvSH_.num_named_barrier, 0
	.set _ZN7rocprim17ROCPRIM_400000_NS6detail17trampoline_kernelINS0_14default_configENS1_38merge_sort_block_merge_config_selectorIilEEZZNS1_27merge_sort_block_merge_implIS3_PiN6thrust23THRUST_200600_302600_NS10device_ptrIlEEjNS1_19radix_merge_compareILb0ELb1EiNS0_19identity_decomposerEEEEE10hipError_tT0_T1_T2_jT3_P12ihipStream_tbPNSt15iterator_traitsISG_E10value_typeEPNSM_ISH_E10value_typeEPSI_NS1_7vsmem_tEENKUlT_SG_SH_SI_E_clIS7_S7_PlSB_EESF_SV_SG_SH_SI_EUlSV_E0_NS1_11comp_targetILNS1_3genE5ELNS1_11target_archE942ELNS1_3gpuE9ELNS1_3repE0EEENS1_38merge_mergepath_config_static_selectorELNS0_4arch9wavefront6targetE1EEEvSH_.private_seg_size, 0
	.set _ZN7rocprim17ROCPRIM_400000_NS6detail17trampoline_kernelINS0_14default_configENS1_38merge_sort_block_merge_config_selectorIilEEZZNS1_27merge_sort_block_merge_implIS3_PiN6thrust23THRUST_200600_302600_NS10device_ptrIlEEjNS1_19radix_merge_compareILb0ELb1EiNS0_19identity_decomposerEEEEE10hipError_tT0_T1_T2_jT3_P12ihipStream_tbPNSt15iterator_traitsISG_E10value_typeEPNSM_ISH_E10value_typeEPSI_NS1_7vsmem_tEENKUlT_SG_SH_SI_E_clIS7_S7_PlSB_EESF_SV_SG_SH_SI_EUlSV_E0_NS1_11comp_targetILNS1_3genE5ELNS1_11target_archE942ELNS1_3gpuE9ELNS1_3repE0EEENS1_38merge_mergepath_config_static_selectorELNS0_4arch9wavefront6targetE1EEEvSH_.uses_vcc, 0
	.set _ZN7rocprim17ROCPRIM_400000_NS6detail17trampoline_kernelINS0_14default_configENS1_38merge_sort_block_merge_config_selectorIilEEZZNS1_27merge_sort_block_merge_implIS3_PiN6thrust23THRUST_200600_302600_NS10device_ptrIlEEjNS1_19radix_merge_compareILb0ELb1EiNS0_19identity_decomposerEEEEE10hipError_tT0_T1_T2_jT3_P12ihipStream_tbPNSt15iterator_traitsISG_E10value_typeEPNSM_ISH_E10value_typeEPSI_NS1_7vsmem_tEENKUlT_SG_SH_SI_E_clIS7_S7_PlSB_EESF_SV_SG_SH_SI_EUlSV_E0_NS1_11comp_targetILNS1_3genE5ELNS1_11target_archE942ELNS1_3gpuE9ELNS1_3repE0EEENS1_38merge_mergepath_config_static_selectorELNS0_4arch9wavefront6targetE1EEEvSH_.uses_flat_scratch, 0
	.set _ZN7rocprim17ROCPRIM_400000_NS6detail17trampoline_kernelINS0_14default_configENS1_38merge_sort_block_merge_config_selectorIilEEZZNS1_27merge_sort_block_merge_implIS3_PiN6thrust23THRUST_200600_302600_NS10device_ptrIlEEjNS1_19radix_merge_compareILb0ELb1EiNS0_19identity_decomposerEEEEE10hipError_tT0_T1_T2_jT3_P12ihipStream_tbPNSt15iterator_traitsISG_E10value_typeEPNSM_ISH_E10value_typeEPSI_NS1_7vsmem_tEENKUlT_SG_SH_SI_E_clIS7_S7_PlSB_EESF_SV_SG_SH_SI_EUlSV_E0_NS1_11comp_targetILNS1_3genE5ELNS1_11target_archE942ELNS1_3gpuE9ELNS1_3repE0EEENS1_38merge_mergepath_config_static_selectorELNS0_4arch9wavefront6targetE1EEEvSH_.has_dyn_sized_stack, 0
	.set _ZN7rocprim17ROCPRIM_400000_NS6detail17trampoline_kernelINS0_14default_configENS1_38merge_sort_block_merge_config_selectorIilEEZZNS1_27merge_sort_block_merge_implIS3_PiN6thrust23THRUST_200600_302600_NS10device_ptrIlEEjNS1_19radix_merge_compareILb0ELb1EiNS0_19identity_decomposerEEEEE10hipError_tT0_T1_T2_jT3_P12ihipStream_tbPNSt15iterator_traitsISG_E10value_typeEPNSM_ISH_E10value_typeEPSI_NS1_7vsmem_tEENKUlT_SG_SH_SI_E_clIS7_S7_PlSB_EESF_SV_SG_SH_SI_EUlSV_E0_NS1_11comp_targetILNS1_3genE5ELNS1_11target_archE942ELNS1_3gpuE9ELNS1_3repE0EEENS1_38merge_mergepath_config_static_selectorELNS0_4arch9wavefront6targetE1EEEvSH_.has_recursion, 0
	.set _ZN7rocprim17ROCPRIM_400000_NS6detail17trampoline_kernelINS0_14default_configENS1_38merge_sort_block_merge_config_selectorIilEEZZNS1_27merge_sort_block_merge_implIS3_PiN6thrust23THRUST_200600_302600_NS10device_ptrIlEEjNS1_19radix_merge_compareILb0ELb1EiNS0_19identity_decomposerEEEEE10hipError_tT0_T1_T2_jT3_P12ihipStream_tbPNSt15iterator_traitsISG_E10value_typeEPNSM_ISH_E10value_typeEPSI_NS1_7vsmem_tEENKUlT_SG_SH_SI_E_clIS7_S7_PlSB_EESF_SV_SG_SH_SI_EUlSV_E0_NS1_11comp_targetILNS1_3genE5ELNS1_11target_archE942ELNS1_3gpuE9ELNS1_3repE0EEENS1_38merge_mergepath_config_static_selectorELNS0_4arch9wavefront6targetE1EEEvSH_.has_indirect_call, 0
	.section	.AMDGPU.csdata,"",@progbits
; Kernel info:
; codeLenInByte = 0
; TotalNumSgprs: 4
; NumVgprs: 0
; ScratchSize: 0
; MemoryBound: 0
; FloatMode: 240
; IeeeMode: 1
; LDSByteSize: 0 bytes/workgroup (compile time only)
; SGPRBlocks: 0
; VGPRBlocks: 0
; NumSGPRsForWavesPerEU: 4
; NumVGPRsForWavesPerEU: 1
; Occupancy: 10
; WaveLimiterHint : 0
; COMPUTE_PGM_RSRC2:SCRATCH_EN: 0
; COMPUTE_PGM_RSRC2:USER_SGPR: 6
; COMPUTE_PGM_RSRC2:TRAP_HANDLER: 0
; COMPUTE_PGM_RSRC2:TGID_X_EN: 1
; COMPUTE_PGM_RSRC2:TGID_Y_EN: 0
; COMPUTE_PGM_RSRC2:TGID_Z_EN: 0
; COMPUTE_PGM_RSRC2:TIDIG_COMP_CNT: 0
	.section	.text._ZN7rocprim17ROCPRIM_400000_NS6detail17trampoline_kernelINS0_14default_configENS1_38merge_sort_block_merge_config_selectorIilEEZZNS1_27merge_sort_block_merge_implIS3_PiN6thrust23THRUST_200600_302600_NS10device_ptrIlEEjNS1_19radix_merge_compareILb0ELb1EiNS0_19identity_decomposerEEEEE10hipError_tT0_T1_T2_jT3_P12ihipStream_tbPNSt15iterator_traitsISG_E10value_typeEPNSM_ISH_E10value_typeEPSI_NS1_7vsmem_tEENKUlT_SG_SH_SI_E_clIS7_S7_PlSB_EESF_SV_SG_SH_SI_EUlSV_E0_NS1_11comp_targetILNS1_3genE4ELNS1_11target_archE910ELNS1_3gpuE8ELNS1_3repE0EEENS1_38merge_mergepath_config_static_selectorELNS0_4arch9wavefront6targetE1EEEvSH_,"axG",@progbits,_ZN7rocprim17ROCPRIM_400000_NS6detail17trampoline_kernelINS0_14default_configENS1_38merge_sort_block_merge_config_selectorIilEEZZNS1_27merge_sort_block_merge_implIS3_PiN6thrust23THRUST_200600_302600_NS10device_ptrIlEEjNS1_19radix_merge_compareILb0ELb1EiNS0_19identity_decomposerEEEEE10hipError_tT0_T1_T2_jT3_P12ihipStream_tbPNSt15iterator_traitsISG_E10value_typeEPNSM_ISH_E10value_typeEPSI_NS1_7vsmem_tEENKUlT_SG_SH_SI_E_clIS7_S7_PlSB_EESF_SV_SG_SH_SI_EUlSV_E0_NS1_11comp_targetILNS1_3genE4ELNS1_11target_archE910ELNS1_3gpuE8ELNS1_3repE0EEENS1_38merge_mergepath_config_static_selectorELNS0_4arch9wavefront6targetE1EEEvSH_,comdat
	.protected	_ZN7rocprim17ROCPRIM_400000_NS6detail17trampoline_kernelINS0_14default_configENS1_38merge_sort_block_merge_config_selectorIilEEZZNS1_27merge_sort_block_merge_implIS3_PiN6thrust23THRUST_200600_302600_NS10device_ptrIlEEjNS1_19radix_merge_compareILb0ELb1EiNS0_19identity_decomposerEEEEE10hipError_tT0_T1_T2_jT3_P12ihipStream_tbPNSt15iterator_traitsISG_E10value_typeEPNSM_ISH_E10value_typeEPSI_NS1_7vsmem_tEENKUlT_SG_SH_SI_E_clIS7_S7_PlSB_EESF_SV_SG_SH_SI_EUlSV_E0_NS1_11comp_targetILNS1_3genE4ELNS1_11target_archE910ELNS1_3gpuE8ELNS1_3repE0EEENS1_38merge_mergepath_config_static_selectorELNS0_4arch9wavefront6targetE1EEEvSH_ ; -- Begin function _ZN7rocprim17ROCPRIM_400000_NS6detail17trampoline_kernelINS0_14default_configENS1_38merge_sort_block_merge_config_selectorIilEEZZNS1_27merge_sort_block_merge_implIS3_PiN6thrust23THRUST_200600_302600_NS10device_ptrIlEEjNS1_19radix_merge_compareILb0ELb1EiNS0_19identity_decomposerEEEEE10hipError_tT0_T1_T2_jT3_P12ihipStream_tbPNSt15iterator_traitsISG_E10value_typeEPNSM_ISH_E10value_typeEPSI_NS1_7vsmem_tEENKUlT_SG_SH_SI_E_clIS7_S7_PlSB_EESF_SV_SG_SH_SI_EUlSV_E0_NS1_11comp_targetILNS1_3genE4ELNS1_11target_archE910ELNS1_3gpuE8ELNS1_3repE0EEENS1_38merge_mergepath_config_static_selectorELNS0_4arch9wavefront6targetE1EEEvSH_
	.globl	_ZN7rocprim17ROCPRIM_400000_NS6detail17trampoline_kernelINS0_14default_configENS1_38merge_sort_block_merge_config_selectorIilEEZZNS1_27merge_sort_block_merge_implIS3_PiN6thrust23THRUST_200600_302600_NS10device_ptrIlEEjNS1_19radix_merge_compareILb0ELb1EiNS0_19identity_decomposerEEEEE10hipError_tT0_T1_T2_jT3_P12ihipStream_tbPNSt15iterator_traitsISG_E10value_typeEPNSM_ISH_E10value_typeEPSI_NS1_7vsmem_tEENKUlT_SG_SH_SI_E_clIS7_S7_PlSB_EESF_SV_SG_SH_SI_EUlSV_E0_NS1_11comp_targetILNS1_3genE4ELNS1_11target_archE910ELNS1_3gpuE8ELNS1_3repE0EEENS1_38merge_mergepath_config_static_selectorELNS0_4arch9wavefront6targetE1EEEvSH_
	.p2align	8
	.type	_ZN7rocprim17ROCPRIM_400000_NS6detail17trampoline_kernelINS0_14default_configENS1_38merge_sort_block_merge_config_selectorIilEEZZNS1_27merge_sort_block_merge_implIS3_PiN6thrust23THRUST_200600_302600_NS10device_ptrIlEEjNS1_19radix_merge_compareILb0ELb1EiNS0_19identity_decomposerEEEEE10hipError_tT0_T1_T2_jT3_P12ihipStream_tbPNSt15iterator_traitsISG_E10value_typeEPNSM_ISH_E10value_typeEPSI_NS1_7vsmem_tEENKUlT_SG_SH_SI_E_clIS7_S7_PlSB_EESF_SV_SG_SH_SI_EUlSV_E0_NS1_11comp_targetILNS1_3genE4ELNS1_11target_archE910ELNS1_3gpuE8ELNS1_3repE0EEENS1_38merge_mergepath_config_static_selectorELNS0_4arch9wavefront6targetE1EEEvSH_,@function
_ZN7rocprim17ROCPRIM_400000_NS6detail17trampoline_kernelINS0_14default_configENS1_38merge_sort_block_merge_config_selectorIilEEZZNS1_27merge_sort_block_merge_implIS3_PiN6thrust23THRUST_200600_302600_NS10device_ptrIlEEjNS1_19radix_merge_compareILb0ELb1EiNS0_19identity_decomposerEEEEE10hipError_tT0_T1_T2_jT3_P12ihipStream_tbPNSt15iterator_traitsISG_E10value_typeEPNSM_ISH_E10value_typeEPSI_NS1_7vsmem_tEENKUlT_SG_SH_SI_E_clIS7_S7_PlSB_EESF_SV_SG_SH_SI_EUlSV_E0_NS1_11comp_targetILNS1_3genE4ELNS1_11target_archE910ELNS1_3gpuE8ELNS1_3repE0EEENS1_38merge_mergepath_config_static_selectorELNS0_4arch9wavefront6targetE1EEEvSH_: ; @_ZN7rocprim17ROCPRIM_400000_NS6detail17trampoline_kernelINS0_14default_configENS1_38merge_sort_block_merge_config_selectorIilEEZZNS1_27merge_sort_block_merge_implIS3_PiN6thrust23THRUST_200600_302600_NS10device_ptrIlEEjNS1_19radix_merge_compareILb0ELb1EiNS0_19identity_decomposerEEEEE10hipError_tT0_T1_T2_jT3_P12ihipStream_tbPNSt15iterator_traitsISG_E10value_typeEPNSM_ISH_E10value_typeEPSI_NS1_7vsmem_tEENKUlT_SG_SH_SI_E_clIS7_S7_PlSB_EESF_SV_SG_SH_SI_EUlSV_E0_NS1_11comp_targetILNS1_3genE4ELNS1_11target_archE910ELNS1_3gpuE8ELNS1_3repE0EEENS1_38merge_mergepath_config_static_selectorELNS0_4arch9wavefront6targetE1EEEvSH_
; %bb.0:
	.section	.rodata,"a",@progbits
	.p2align	6, 0x0
	.amdhsa_kernel _ZN7rocprim17ROCPRIM_400000_NS6detail17trampoline_kernelINS0_14default_configENS1_38merge_sort_block_merge_config_selectorIilEEZZNS1_27merge_sort_block_merge_implIS3_PiN6thrust23THRUST_200600_302600_NS10device_ptrIlEEjNS1_19radix_merge_compareILb0ELb1EiNS0_19identity_decomposerEEEEE10hipError_tT0_T1_T2_jT3_P12ihipStream_tbPNSt15iterator_traitsISG_E10value_typeEPNSM_ISH_E10value_typeEPSI_NS1_7vsmem_tEENKUlT_SG_SH_SI_E_clIS7_S7_PlSB_EESF_SV_SG_SH_SI_EUlSV_E0_NS1_11comp_targetILNS1_3genE4ELNS1_11target_archE910ELNS1_3gpuE8ELNS1_3repE0EEENS1_38merge_mergepath_config_static_selectorELNS0_4arch9wavefront6targetE1EEEvSH_
		.amdhsa_group_segment_fixed_size 0
		.amdhsa_private_segment_fixed_size 0
		.amdhsa_kernarg_size 64
		.amdhsa_user_sgpr_count 6
		.amdhsa_user_sgpr_private_segment_buffer 1
		.amdhsa_user_sgpr_dispatch_ptr 0
		.amdhsa_user_sgpr_queue_ptr 0
		.amdhsa_user_sgpr_kernarg_segment_ptr 1
		.amdhsa_user_sgpr_dispatch_id 0
		.amdhsa_user_sgpr_flat_scratch_init 0
		.amdhsa_user_sgpr_private_segment_size 0
		.amdhsa_uses_dynamic_stack 0
		.amdhsa_system_sgpr_private_segment_wavefront_offset 0
		.amdhsa_system_sgpr_workgroup_id_x 1
		.amdhsa_system_sgpr_workgroup_id_y 0
		.amdhsa_system_sgpr_workgroup_id_z 0
		.amdhsa_system_sgpr_workgroup_info 0
		.amdhsa_system_vgpr_workitem_id 0
		.amdhsa_next_free_vgpr 1
		.amdhsa_next_free_sgpr 0
		.amdhsa_reserve_vcc 0
		.amdhsa_reserve_flat_scratch 0
		.amdhsa_float_round_mode_32 0
		.amdhsa_float_round_mode_16_64 0
		.amdhsa_float_denorm_mode_32 3
		.amdhsa_float_denorm_mode_16_64 3
		.amdhsa_dx10_clamp 1
		.amdhsa_ieee_mode 1
		.amdhsa_fp16_overflow 0
		.amdhsa_exception_fp_ieee_invalid_op 0
		.amdhsa_exception_fp_denorm_src 0
		.amdhsa_exception_fp_ieee_div_zero 0
		.amdhsa_exception_fp_ieee_overflow 0
		.amdhsa_exception_fp_ieee_underflow 0
		.amdhsa_exception_fp_ieee_inexact 0
		.amdhsa_exception_int_div_zero 0
	.end_amdhsa_kernel
	.section	.text._ZN7rocprim17ROCPRIM_400000_NS6detail17trampoline_kernelINS0_14default_configENS1_38merge_sort_block_merge_config_selectorIilEEZZNS1_27merge_sort_block_merge_implIS3_PiN6thrust23THRUST_200600_302600_NS10device_ptrIlEEjNS1_19radix_merge_compareILb0ELb1EiNS0_19identity_decomposerEEEEE10hipError_tT0_T1_T2_jT3_P12ihipStream_tbPNSt15iterator_traitsISG_E10value_typeEPNSM_ISH_E10value_typeEPSI_NS1_7vsmem_tEENKUlT_SG_SH_SI_E_clIS7_S7_PlSB_EESF_SV_SG_SH_SI_EUlSV_E0_NS1_11comp_targetILNS1_3genE4ELNS1_11target_archE910ELNS1_3gpuE8ELNS1_3repE0EEENS1_38merge_mergepath_config_static_selectorELNS0_4arch9wavefront6targetE1EEEvSH_,"axG",@progbits,_ZN7rocprim17ROCPRIM_400000_NS6detail17trampoline_kernelINS0_14default_configENS1_38merge_sort_block_merge_config_selectorIilEEZZNS1_27merge_sort_block_merge_implIS3_PiN6thrust23THRUST_200600_302600_NS10device_ptrIlEEjNS1_19radix_merge_compareILb0ELb1EiNS0_19identity_decomposerEEEEE10hipError_tT0_T1_T2_jT3_P12ihipStream_tbPNSt15iterator_traitsISG_E10value_typeEPNSM_ISH_E10value_typeEPSI_NS1_7vsmem_tEENKUlT_SG_SH_SI_E_clIS7_S7_PlSB_EESF_SV_SG_SH_SI_EUlSV_E0_NS1_11comp_targetILNS1_3genE4ELNS1_11target_archE910ELNS1_3gpuE8ELNS1_3repE0EEENS1_38merge_mergepath_config_static_selectorELNS0_4arch9wavefront6targetE1EEEvSH_,comdat
.Lfunc_end811:
	.size	_ZN7rocprim17ROCPRIM_400000_NS6detail17trampoline_kernelINS0_14default_configENS1_38merge_sort_block_merge_config_selectorIilEEZZNS1_27merge_sort_block_merge_implIS3_PiN6thrust23THRUST_200600_302600_NS10device_ptrIlEEjNS1_19radix_merge_compareILb0ELb1EiNS0_19identity_decomposerEEEEE10hipError_tT0_T1_T2_jT3_P12ihipStream_tbPNSt15iterator_traitsISG_E10value_typeEPNSM_ISH_E10value_typeEPSI_NS1_7vsmem_tEENKUlT_SG_SH_SI_E_clIS7_S7_PlSB_EESF_SV_SG_SH_SI_EUlSV_E0_NS1_11comp_targetILNS1_3genE4ELNS1_11target_archE910ELNS1_3gpuE8ELNS1_3repE0EEENS1_38merge_mergepath_config_static_selectorELNS0_4arch9wavefront6targetE1EEEvSH_, .Lfunc_end811-_ZN7rocprim17ROCPRIM_400000_NS6detail17trampoline_kernelINS0_14default_configENS1_38merge_sort_block_merge_config_selectorIilEEZZNS1_27merge_sort_block_merge_implIS3_PiN6thrust23THRUST_200600_302600_NS10device_ptrIlEEjNS1_19radix_merge_compareILb0ELb1EiNS0_19identity_decomposerEEEEE10hipError_tT0_T1_T2_jT3_P12ihipStream_tbPNSt15iterator_traitsISG_E10value_typeEPNSM_ISH_E10value_typeEPSI_NS1_7vsmem_tEENKUlT_SG_SH_SI_E_clIS7_S7_PlSB_EESF_SV_SG_SH_SI_EUlSV_E0_NS1_11comp_targetILNS1_3genE4ELNS1_11target_archE910ELNS1_3gpuE8ELNS1_3repE0EEENS1_38merge_mergepath_config_static_selectorELNS0_4arch9wavefront6targetE1EEEvSH_
                                        ; -- End function
	.set _ZN7rocprim17ROCPRIM_400000_NS6detail17trampoline_kernelINS0_14default_configENS1_38merge_sort_block_merge_config_selectorIilEEZZNS1_27merge_sort_block_merge_implIS3_PiN6thrust23THRUST_200600_302600_NS10device_ptrIlEEjNS1_19radix_merge_compareILb0ELb1EiNS0_19identity_decomposerEEEEE10hipError_tT0_T1_T2_jT3_P12ihipStream_tbPNSt15iterator_traitsISG_E10value_typeEPNSM_ISH_E10value_typeEPSI_NS1_7vsmem_tEENKUlT_SG_SH_SI_E_clIS7_S7_PlSB_EESF_SV_SG_SH_SI_EUlSV_E0_NS1_11comp_targetILNS1_3genE4ELNS1_11target_archE910ELNS1_3gpuE8ELNS1_3repE0EEENS1_38merge_mergepath_config_static_selectorELNS0_4arch9wavefront6targetE1EEEvSH_.num_vgpr, 0
	.set _ZN7rocprim17ROCPRIM_400000_NS6detail17trampoline_kernelINS0_14default_configENS1_38merge_sort_block_merge_config_selectorIilEEZZNS1_27merge_sort_block_merge_implIS3_PiN6thrust23THRUST_200600_302600_NS10device_ptrIlEEjNS1_19radix_merge_compareILb0ELb1EiNS0_19identity_decomposerEEEEE10hipError_tT0_T1_T2_jT3_P12ihipStream_tbPNSt15iterator_traitsISG_E10value_typeEPNSM_ISH_E10value_typeEPSI_NS1_7vsmem_tEENKUlT_SG_SH_SI_E_clIS7_S7_PlSB_EESF_SV_SG_SH_SI_EUlSV_E0_NS1_11comp_targetILNS1_3genE4ELNS1_11target_archE910ELNS1_3gpuE8ELNS1_3repE0EEENS1_38merge_mergepath_config_static_selectorELNS0_4arch9wavefront6targetE1EEEvSH_.num_agpr, 0
	.set _ZN7rocprim17ROCPRIM_400000_NS6detail17trampoline_kernelINS0_14default_configENS1_38merge_sort_block_merge_config_selectorIilEEZZNS1_27merge_sort_block_merge_implIS3_PiN6thrust23THRUST_200600_302600_NS10device_ptrIlEEjNS1_19radix_merge_compareILb0ELb1EiNS0_19identity_decomposerEEEEE10hipError_tT0_T1_T2_jT3_P12ihipStream_tbPNSt15iterator_traitsISG_E10value_typeEPNSM_ISH_E10value_typeEPSI_NS1_7vsmem_tEENKUlT_SG_SH_SI_E_clIS7_S7_PlSB_EESF_SV_SG_SH_SI_EUlSV_E0_NS1_11comp_targetILNS1_3genE4ELNS1_11target_archE910ELNS1_3gpuE8ELNS1_3repE0EEENS1_38merge_mergepath_config_static_selectorELNS0_4arch9wavefront6targetE1EEEvSH_.numbered_sgpr, 0
	.set _ZN7rocprim17ROCPRIM_400000_NS6detail17trampoline_kernelINS0_14default_configENS1_38merge_sort_block_merge_config_selectorIilEEZZNS1_27merge_sort_block_merge_implIS3_PiN6thrust23THRUST_200600_302600_NS10device_ptrIlEEjNS1_19radix_merge_compareILb0ELb1EiNS0_19identity_decomposerEEEEE10hipError_tT0_T1_T2_jT3_P12ihipStream_tbPNSt15iterator_traitsISG_E10value_typeEPNSM_ISH_E10value_typeEPSI_NS1_7vsmem_tEENKUlT_SG_SH_SI_E_clIS7_S7_PlSB_EESF_SV_SG_SH_SI_EUlSV_E0_NS1_11comp_targetILNS1_3genE4ELNS1_11target_archE910ELNS1_3gpuE8ELNS1_3repE0EEENS1_38merge_mergepath_config_static_selectorELNS0_4arch9wavefront6targetE1EEEvSH_.num_named_barrier, 0
	.set _ZN7rocprim17ROCPRIM_400000_NS6detail17trampoline_kernelINS0_14default_configENS1_38merge_sort_block_merge_config_selectorIilEEZZNS1_27merge_sort_block_merge_implIS3_PiN6thrust23THRUST_200600_302600_NS10device_ptrIlEEjNS1_19radix_merge_compareILb0ELb1EiNS0_19identity_decomposerEEEEE10hipError_tT0_T1_T2_jT3_P12ihipStream_tbPNSt15iterator_traitsISG_E10value_typeEPNSM_ISH_E10value_typeEPSI_NS1_7vsmem_tEENKUlT_SG_SH_SI_E_clIS7_S7_PlSB_EESF_SV_SG_SH_SI_EUlSV_E0_NS1_11comp_targetILNS1_3genE4ELNS1_11target_archE910ELNS1_3gpuE8ELNS1_3repE0EEENS1_38merge_mergepath_config_static_selectorELNS0_4arch9wavefront6targetE1EEEvSH_.private_seg_size, 0
	.set _ZN7rocprim17ROCPRIM_400000_NS6detail17trampoline_kernelINS0_14default_configENS1_38merge_sort_block_merge_config_selectorIilEEZZNS1_27merge_sort_block_merge_implIS3_PiN6thrust23THRUST_200600_302600_NS10device_ptrIlEEjNS1_19radix_merge_compareILb0ELb1EiNS0_19identity_decomposerEEEEE10hipError_tT0_T1_T2_jT3_P12ihipStream_tbPNSt15iterator_traitsISG_E10value_typeEPNSM_ISH_E10value_typeEPSI_NS1_7vsmem_tEENKUlT_SG_SH_SI_E_clIS7_S7_PlSB_EESF_SV_SG_SH_SI_EUlSV_E0_NS1_11comp_targetILNS1_3genE4ELNS1_11target_archE910ELNS1_3gpuE8ELNS1_3repE0EEENS1_38merge_mergepath_config_static_selectorELNS0_4arch9wavefront6targetE1EEEvSH_.uses_vcc, 0
	.set _ZN7rocprim17ROCPRIM_400000_NS6detail17trampoline_kernelINS0_14default_configENS1_38merge_sort_block_merge_config_selectorIilEEZZNS1_27merge_sort_block_merge_implIS3_PiN6thrust23THRUST_200600_302600_NS10device_ptrIlEEjNS1_19radix_merge_compareILb0ELb1EiNS0_19identity_decomposerEEEEE10hipError_tT0_T1_T2_jT3_P12ihipStream_tbPNSt15iterator_traitsISG_E10value_typeEPNSM_ISH_E10value_typeEPSI_NS1_7vsmem_tEENKUlT_SG_SH_SI_E_clIS7_S7_PlSB_EESF_SV_SG_SH_SI_EUlSV_E0_NS1_11comp_targetILNS1_3genE4ELNS1_11target_archE910ELNS1_3gpuE8ELNS1_3repE0EEENS1_38merge_mergepath_config_static_selectorELNS0_4arch9wavefront6targetE1EEEvSH_.uses_flat_scratch, 0
	.set _ZN7rocprim17ROCPRIM_400000_NS6detail17trampoline_kernelINS0_14default_configENS1_38merge_sort_block_merge_config_selectorIilEEZZNS1_27merge_sort_block_merge_implIS3_PiN6thrust23THRUST_200600_302600_NS10device_ptrIlEEjNS1_19radix_merge_compareILb0ELb1EiNS0_19identity_decomposerEEEEE10hipError_tT0_T1_T2_jT3_P12ihipStream_tbPNSt15iterator_traitsISG_E10value_typeEPNSM_ISH_E10value_typeEPSI_NS1_7vsmem_tEENKUlT_SG_SH_SI_E_clIS7_S7_PlSB_EESF_SV_SG_SH_SI_EUlSV_E0_NS1_11comp_targetILNS1_3genE4ELNS1_11target_archE910ELNS1_3gpuE8ELNS1_3repE0EEENS1_38merge_mergepath_config_static_selectorELNS0_4arch9wavefront6targetE1EEEvSH_.has_dyn_sized_stack, 0
	.set _ZN7rocprim17ROCPRIM_400000_NS6detail17trampoline_kernelINS0_14default_configENS1_38merge_sort_block_merge_config_selectorIilEEZZNS1_27merge_sort_block_merge_implIS3_PiN6thrust23THRUST_200600_302600_NS10device_ptrIlEEjNS1_19radix_merge_compareILb0ELb1EiNS0_19identity_decomposerEEEEE10hipError_tT0_T1_T2_jT3_P12ihipStream_tbPNSt15iterator_traitsISG_E10value_typeEPNSM_ISH_E10value_typeEPSI_NS1_7vsmem_tEENKUlT_SG_SH_SI_E_clIS7_S7_PlSB_EESF_SV_SG_SH_SI_EUlSV_E0_NS1_11comp_targetILNS1_3genE4ELNS1_11target_archE910ELNS1_3gpuE8ELNS1_3repE0EEENS1_38merge_mergepath_config_static_selectorELNS0_4arch9wavefront6targetE1EEEvSH_.has_recursion, 0
	.set _ZN7rocprim17ROCPRIM_400000_NS6detail17trampoline_kernelINS0_14default_configENS1_38merge_sort_block_merge_config_selectorIilEEZZNS1_27merge_sort_block_merge_implIS3_PiN6thrust23THRUST_200600_302600_NS10device_ptrIlEEjNS1_19radix_merge_compareILb0ELb1EiNS0_19identity_decomposerEEEEE10hipError_tT0_T1_T2_jT3_P12ihipStream_tbPNSt15iterator_traitsISG_E10value_typeEPNSM_ISH_E10value_typeEPSI_NS1_7vsmem_tEENKUlT_SG_SH_SI_E_clIS7_S7_PlSB_EESF_SV_SG_SH_SI_EUlSV_E0_NS1_11comp_targetILNS1_3genE4ELNS1_11target_archE910ELNS1_3gpuE8ELNS1_3repE0EEENS1_38merge_mergepath_config_static_selectorELNS0_4arch9wavefront6targetE1EEEvSH_.has_indirect_call, 0
	.section	.AMDGPU.csdata,"",@progbits
; Kernel info:
; codeLenInByte = 0
; TotalNumSgprs: 4
; NumVgprs: 0
; ScratchSize: 0
; MemoryBound: 0
; FloatMode: 240
; IeeeMode: 1
; LDSByteSize: 0 bytes/workgroup (compile time only)
; SGPRBlocks: 0
; VGPRBlocks: 0
; NumSGPRsForWavesPerEU: 4
; NumVGPRsForWavesPerEU: 1
; Occupancy: 10
; WaveLimiterHint : 0
; COMPUTE_PGM_RSRC2:SCRATCH_EN: 0
; COMPUTE_PGM_RSRC2:USER_SGPR: 6
; COMPUTE_PGM_RSRC2:TRAP_HANDLER: 0
; COMPUTE_PGM_RSRC2:TGID_X_EN: 1
; COMPUTE_PGM_RSRC2:TGID_Y_EN: 0
; COMPUTE_PGM_RSRC2:TGID_Z_EN: 0
; COMPUTE_PGM_RSRC2:TIDIG_COMP_CNT: 0
	.section	.text._ZN7rocprim17ROCPRIM_400000_NS6detail17trampoline_kernelINS0_14default_configENS1_38merge_sort_block_merge_config_selectorIilEEZZNS1_27merge_sort_block_merge_implIS3_PiN6thrust23THRUST_200600_302600_NS10device_ptrIlEEjNS1_19radix_merge_compareILb0ELb1EiNS0_19identity_decomposerEEEEE10hipError_tT0_T1_T2_jT3_P12ihipStream_tbPNSt15iterator_traitsISG_E10value_typeEPNSM_ISH_E10value_typeEPSI_NS1_7vsmem_tEENKUlT_SG_SH_SI_E_clIS7_S7_PlSB_EESF_SV_SG_SH_SI_EUlSV_E0_NS1_11comp_targetILNS1_3genE3ELNS1_11target_archE908ELNS1_3gpuE7ELNS1_3repE0EEENS1_38merge_mergepath_config_static_selectorELNS0_4arch9wavefront6targetE1EEEvSH_,"axG",@progbits,_ZN7rocprim17ROCPRIM_400000_NS6detail17trampoline_kernelINS0_14default_configENS1_38merge_sort_block_merge_config_selectorIilEEZZNS1_27merge_sort_block_merge_implIS3_PiN6thrust23THRUST_200600_302600_NS10device_ptrIlEEjNS1_19radix_merge_compareILb0ELb1EiNS0_19identity_decomposerEEEEE10hipError_tT0_T1_T2_jT3_P12ihipStream_tbPNSt15iterator_traitsISG_E10value_typeEPNSM_ISH_E10value_typeEPSI_NS1_7vsmem_tEENKUlT_SG_SH_SI_E_clIS7_S7_PlSB_EESF_SV_SG_SH_SI_EUlSV_E0_NS1_11comp_targetILNS1_3genE3ELNS1_11target_archE908ELNS1_3gpuE7ELNS1_3repE0EEENS1_38merge_mergepath_config_static_selectorELNS0_4arch9wavefront6targetE1EEEvSH_,comdat
	.protected	_ZN7rocprim17ROCPRIM_400000_NS6detail17trampoline_kernelINS0_14default_configENS1_38merge_sort_block_merge_config_selectorIilEEZZNS1_27merge_sort_block_merge_implIS3_PiN6thrust23THRUST_200600_302600_NS10device_ptrIlEEjNS1_19radix_merge_compareILb0ELb1EiNS0_19identity_decomposerEEEEE10hipError_tT0_T1_T2_jT3_P12ihipStream_tbPNSt15iterator_traitsISG_E10value_typeEPNSM_ISH_E10value_typeEPSI_NS1_7vsmem_tEENKUlT_SG_SH_SI_E_clIS7_S7_PlSB_EESF_SV_SG_SH_SI_EUlSV_E0_NS1_11comp_targetILNS1_3genE3ELNS1_11target_archE908ELNS1_3gpuE7ELNS1_3repE0EEENS1_38merge_mergepath_config_static_selectorELNS0_4arch9wavefront6targetE1EEEvSH_ ; -- Begin function _ZN7rocprim17ROCPRIM_400000_NS6detail17trampoline_kernelINS0_14default_configENS1_38merge_sort_block_merge_config_selectorIilEEZZNS1_27merge_sort_block_merge_implIS3_PiN6thrust23THRUST_200600_302600_NS10device_ptrIlEEjNS1_19radix_merge_compareILb0ELb1EiNS0_19identity_decomposerEEEEE10hipError_tT0_T1_T2_jT3_P12ihipStream_tbPNSt15iterator_traitsISG_E10value_typeEPNSM_ISH_E10value_typeEPSI_NS1_7vsmem_tEENKUlT_SG_SH_SI_E_clIS7_S7_PlSB_EESF_SV_SG_SH_SI_EUlSV_E0_NS1_11comp_targetILNS1_3genE3ELNS1_11target_archE908ELNS1_3gpuE7ELNS1_3repE0EEENS1_38merge_mergepath_config_static_selectorELNS0_4arch9wavefront6targetE1EEEvSH_
	.globl	_ZN7rocprim17ROCPRIM_400000_NS6detail17trampoline_kernelINS0_14default_configENS1_38merge_sort_block_merge_config_selectorIilEEZZNS1_27merge_sort_block_merge_implIS3_PiN6thrust23THRUST_200600_302600_NS10device_ptrIlEEjNS1_19radix_merge_compareILb0ELb1EiNS0_19identity_decomposerEEEEE10hipError_tT0_T1_T2_jT3_P12ihipStream_tbPNSt15iterator_traitsISG_E10value_typeEPNSM_ISH_E10value_typeEPSI_NS1_7vsmem_tEENKUlT_SG_SH_SI_E_clIS7_S7_PlSB_EESF_SV_SG_SH_SI_EUlSV_E0_NS1_11comp_targetILNS1_3genE3ELNS1_11target_archE908ELNS1_3gpuE7ELNS1_3repE0EEENS1_38merge_mergepath_config_static_selectorELNS0_4arch9wavefront6targetE1EEEvSH_
	.p2align	8
	.type	_ZN7rocprim17ROCPRIM_400000_NS6detail17trampoline_kernelINS0_14default_configENS1_38merge_sort_block_merge_config_selectorIilEEZZNS1_27merge_sort_block_merge_implIS3_PiN6thrust23THRUST_200600_302600_NS10device_ptrIlEEjNS1_19radix_merge_compareILb0ELb1EiNS0_19identity_decomposerEEEEE10hipError_tT0_T1_T2_jT3_P12ihipStream_tbPNSt15iterator_traitsISG_E10value_typeEPNSM_ISH_E10value_typeEPSI_NS1_7vsmem_tEENKUlT_SG_SH_SI_E_clIS7_S7_PlSB_EESF_SV_SG_SH_SI_EUlSV_E0_NS1_11comp_targetILNS1_3genE3ELNS1_11target_archE908ELNS1_3gpuE7ELNS1_3repE0EEENS1_38merge_mergepath_config_static_selectorELNS0_4arch9wavefront6targetE1EEEvSH_,@function
_ZN7rocprim17ROCPRIM_400000_NS6detail17trampoline_kernelINS0_14default_configENS1_38merge_sort_block_merge_config_selectorIilEEZZNS1_27merge_sort_block_merge_implIS3_PiN6thrust23THRUST_200600_302600_NS10device_ptrIlEEjNS1_19radix_merge_compareILb0ELb1EiNS0_19identity_decomposerEEEEE10hipError_tT0_T1_T2_jT3_P12ihipStream_tbPNSt15iterator_traitsISG_E10value_typeEPNSM_ISH_E10value_typeEPSI_NS1_7vsmem_tEENKUlT_SG_SH_SI_E_clIS7_S7_PlSB_EESF_SV_SG_SH_SI_EUlSV_E0_NS1_11comp_targetILNS1_3genE3ELNS1_11target_archE908ELNS1_3gpuE7ELNS1_3repE0EEENS1_38merge_mergepath_config_static_selectorELNS0_4arch9wavefront6targetE1EEEvSH_: ; @_ZN7rocprim17ROCPRIM_400000_NS6detail17trampoline_kernelINS0_14default_configENS1_38merge_sort_block_merge_config_selectorIilEEZZNS1_27merge_sort_block_merge_implIS3_PiN6thrust23THRUST_200600_302600_NS10device_ptrIlEEjNS1_19radix_merge_compareILb0ELb1EiNS0_19identity_decomposerEEEEE10hipError_tT0_T1_T2_jT3_P12ihipStream_tbPNSt15iterator_traitsISG_E10value_typeEPNSM_ISH_E10value_typeEPSI_NS1_7vsmem_tEENKUlT_SG_SH_SI_E_clIS7_S7_PlSB_EESF_SV_SG_SH_SI_EUlSV_E0_NS1_11comp_targetILNS1_3genE3ELNS1_11target_archE908ELNS1_3gpuE7ELNS1_3repE0EEENS1_38merge_mergepath_config_static_selectorELNS0_4arch9wavefront6targetE1EEEvSH_
; %bb.0:
	.section	.rodata,"a",@progbits
	.p2align	6, 0x0
	.amdhsa_kernel _ZN7rocprim17ROCPRIM_400000_NS6detail17trampoline_kernelINS0_14default_configENS1_38merge_sort_block_merge_config_selectorIilEEZZNS1_27merge_sort_block_merge_implIS3_PiN6thrust23THRUST_200600_302600_NS10device_ptrIlEEjNS1_19radix_merge_compareILb0ELb1EiNS0_19identity_decomposerEEEEE10hipError_tT0_T1_T2_jT3_P12ihipStream_tbPNSt15iterator_traitsISG_E10value_typeEPNSM_ISH_E10value_typeEPSI_NS1_7vsmem_tEENKUlT_SG_SH_SI_E_clIS7_S7_PlSB_EESF_SV_SG_SH_SI_EUlSV_E0_NS1_11comp_targetILNS1_3genE3ELNS1_11target_archE908ELNS1_3gpuE7ELNS1_3repE0EEENS1_38merge_mergepath_config_static_selectorELNS0_4arch9wavefront6targetE1EEEvSH_
		.amdhsa_group_segment_fixed_size 0
		.amdhsa_private_segment_fixed_size 0
		.amdhsa_kernarg_size 64
		.amdhsa_user_sgpr_count 6
		.amdhsa_user_sgpr_private_segment_buffer 1
		.amdhsa_user_sgpr_dispatch_ptr 0
		.amdhsa_user_sgpr_queue_ptr 0
		.amdhsa_user_sgpr_kernarg_segment_ptr 1
		.amdhsa_user_sgpr_dispatch_id 0
		.amdhsa_user_sgpr_flat_scratch_init 0
		.amdhsa_user_sgpr_private_segment_size 0
		.amdhsa_uses_dynamic_stack 0
		.amdhsa_system_sgpr_private_segment_wavefront_offset 0
		.amdhsa_system_sgpr_workgroup_id_x 1
		.amdhsa_system_sgpr_workgroup_id_y 0
		.amdhsa_system_sgpr_workgroup_id_z 0
		.amdhsa_system_sgpr_workgroup_info 0
		.amdhsa_system_vgpr_workitem_id 0
		.amdhsa_next_free_vgpr 1
		.amdhsa_next_free_sgpr 0
		.amdhsa_reserve_vcc 0
		.amdhsa_reserve_flat_scratch 0
		.amdhsa_float_round_mode_32 0
		.amdhsa_float_round_mode_16_64 0
		.amdhsa_float_denorm_mode_32 3
		.amdhsa_float_denorm_mode_16_64 3
		.amdhsa_dx10_clamp 1
		.amdhsa_ieee_mode 1
		.amdhsa_fp16_overflow 0
		.amdhsa_exception_fp_ieee_invalid_op 0
		.amdhsa_exception_fp_denorm_src 0
		.amdhsa_exception_fp_ieee_div_zero 0
		.amdhsa_exception_fp_ieee_overflow 0
		.amdhsa_exception_fp_ieee_underflow 0
		.amdhsa_exception_fp_ieee_inexact 0
		.amdhsa_exception_int_div_zero 0
	.end_amdhsa_kernel
	.section	.text._ZN7rocprim17ROCPRIM_400000_NS6detail17trampoline_kernelINS0_14default_configENS1_38merge_sort_block_merge_config_selectorIilEEZZNS1_27merge_sort_block_merge_implIS3_PiN6thrust23THRUST_200600_302600_NS10device_ptrIlEEjNS1_19radix_merge_compareILb0ELb1EiNS0_19identity_decomposerEEEEE10hipError_tT0_T1_T2_jT3_P12ihipStream_tbPNSt15iterator_traitsISG_E10value_typeEPNSM_ISH_E10value_typeEPSI_NS1_7vsmem_tEENKUlT_SG_SH_SI_E_clIS7_S7_PlSB_EESF_SV_SG_SH_SI_EUlSV_E0_NS1_11comp_targetILNS1_3genE3ELNS1_11target_archE908ELNS1_3gpuE7ELNS1_3repE0EEENS1_38merge_mergepath_config_static_selectorELNS0_4arch9wavefront6targetE1EEEvSH_,"axG",@progbits,_ZN7rocprim17ROCPRIM_400000_NS6detail17trampoline_kernelINS0_14default_configENS1_38merge_sort_block_merge_config_selectorIilEEZZNS1_27merge_sort_block_merge_implIS3_PiN6thrust23THRUST_200600_302600_NS10device_ptrIlEEjNS1_19radix_merge_compareILb0ELb1EiNS0_19identity_decomposerEEEEE10hipError_tT0_T1_T2_jT3_P12ihipStream_tbPNSt15iterator_traitsISG_E10value_typeEPNSM_ISH_E10value_typeEPSI_NS1_7vsmem_tEENKUlT_SG_SH_SI_E_clIS7_S7_PlSB_EESF_SV_SG_SH_SI_EUlSV_E0_NS1_11comp_targetILNS1_3genE3ELNS1_11target_archE908ELNS1_3gpuE7ELNS1_3repE0EEENS1_38merge_mergepath_config_static_selectorELNS0_4arch9wavefront6targetE1EEEvSH_,comdat
.Lfunc_end812:
	.size	_ZN7rocprim17ROCPRIM_400000_NS6detail17trampoline_kernelINS0_14default_configENS1_38merge_sort_block_merge_config_selectorIilEEZZNS1_27merge_sort_block_merge_implIS3_PiN6thrust23THRUST_200600_302600_NS10device_ptrIlEEjNS1_19radix_merge_compareILb0ELb1EiNS0_19identity_decomposerEEEEE10hipError_tT0_T1_T2_jT3_P12ihipStream_tbPNSt15iterator_traitsISG_E10value_typeEPNSM_ISH_E10value_typeEPSI_NS1_7vsmem_tEENKUlT_SG_SH_SI_E_clIS7_S7_PlSB_EESF_SV_SG_SH_SI_EUlSV_E0_NS1_11comp_targetILNS1_3genE3ELNS1_11target_archE908ELNS1_3gpuE7ELNS1_3repE0EEENS1_38merge_mergepath_config_static_selectorELNS0_4arch9wavefront6targetE1EEEvSH_, .Lfunc_end812-_ZN7rocprim17ROCPRIM_400000_NS6detail17trampoline_kernelINS0_14default_configENS1_38merge_sort_block_merge_config_selectorIilEEZZNS1_27merge_sort_block_merge_implIS3_PiN6thrust23THRUST_200600_302600_NS10device_ptrIlEEjNS1_19radix_merge_compareILb0ELb1EiNS0_19identity_decomposerEEEEE10hipError_tT0_T1_T2_jT3_P12ihipStream_tbPNSt15iterator_traitsISG_E10value_typeEPNSM_ISH_E10value_typeEPSI_NS1_7vsmem_tEENKUlT_SG_SH_SI_E_clIS7_S7_PlSB_EESF_SV_SG_SH_SI_EUlSV_E0_NS1_11comp_targetILNS1_3genE3ELNS1_11target_archE908ELNS1_3gpuE7ELNS1_3repE0EEENS1_38merge_mergepath_config_static_selectorELNS0_4arch9wavefront6targetE1EEEvSH_
                                        ; -- End function
	.set _ZN7rocprim17ROCPRIM_400000_NS6detail17trampoline_kernelINS0_14default_configENS1_38merge_sort_block_merge_config_selectorIilEEZZNS1_27merge_sort_block_merge_implIS3_PiN6thrust23THRUST_200600_302600_NS10device_ptrIlEEjNS1_19radix_merge_compareILb0ELb1EiNS0_19identity_decomposerEEEEE10hipError_tT0_T1_T2_jT3_P12ihipStream_tbPNSt15iterator_traitsISG_E10value_typeEPNSM_ISH_E10value_typeEPSI_NS1_7vsmem_tEENKUlT_SG_SH_SI_E_clIS7_S7_PlSB_EESF_SV_SG_SH_SI_EUlSV_E0_NS1_11comp_targetILNS1_3genE3ELNS1_11target_archE908ELNS1_3gpuE7ELNS1_3repE0EEENS1_38merge_mergepath_config_static_selectorELNS0_4arch9wavefront6targetE1EEEvSH_.num_vgpr, 0
	.set _ZN7rocprim17ROCPRIM_400000_NS6detail17trampoline_kernelINS0_14default_configENS1_38merge_sort_block_merge_config_selectorIilEEZZNS1_27merge_sort_block_merge_implIS3_PiN6thrust23THRUST_200600_302600_NS10device_ptrIlEEjNS1_19radix_merge_compareILb0ELb1EiNS0_19identity_decomposerEEEEE10hipError_tT0_T1_T2_jT3_P12ihipStream_tbPNSt15iterator_traitsISG_E10value_typeEPNSM_ISH_E10value_typeEPSI_NS1_7vsmem_tEENKUlT_SG_SH_SI_E_clIS7_S7_PlSB_EESF_SV_SG_SH_SI_EUlSV_E0_NS1_11comp_targetILNS1_3genE3ELNS1_11target_archE908ELNS1_3gpuE7ELNS1_3repE0EEENS1_38merge_mergepath_config_static_selectorELNS0_4arch9wavefront6targetE1EEEvSH_.num_agpr, 0
	.set _ZN7rocprim17ROCPRIM_400000_NS6detail17trampoline_kernelINS0_14default_configENS1_38merge_sort_block_merge_config_selectorIilEEZZNS1_27merge_sort_block_merge_implIS3_PiN6thrust23THRUST_200600_302600_NS10device_ptrIlEEjNS1_19radix_merge_compareILb0ELb1EiNS0_19identity_decomposerEEEEE10hipError_tT0_T1_T2_jT3_P12ihipStream_tbPNSt15iterator_traitsISG_E10value_typeEPNSM_ISH_E10value_typeEPSI_NS1_7vsmem_tEENKUlT_SG_SH_SI_E_clIS7_S7_PlSB_EESF_SV_SG_SH_SI_EUlSV_E0_NS1_11comp_targetILNS1_3genE3ELNS1_11target_archE908ELNS1_3gpuE7ELNS1_3repE0EEENS1_38merge_mergepath_config_static_selectorELNS0_4arch9wavefront6targetE1EEEvSH_.numbered_sgpr, 0
	.set _ZN7rocprim17ROCPRIM_400000_NS6detail17trampoline_kernelINS0_14default_configENS1_38merge_sort_block_merge_config_selectorIilEEZZNS1_27merge_sort_block_merge_implIS3_PiN6thrust23THRUST_200600_302600_NS10device_ptrIlEEjNS1_19radix_merge_compareILb0ELb1EiNS0_19identity_decomposerEEEEE10hipError_tT0_T1_T2_jT3_P12ihipStream_tbPNSt15iterator_traitsISG_E10value_typeEPNSM_ISH_E10value_typeEPSI_NS1_7vsmem_tEENKUlT_SG_SH_SI_E_clIS7_S7_PlSB_EESF_SV_SG_SH_SI_EUlSV_E0_NS1_11comp_targetILNS1_3genE3ELNS1_11target_archE908ELNS1_3gpuE7ELNS1_3repE0EEENS1_38merge_mergepath_config_static_selectorELNS0_4arch9wavefront6targetE1EEEvSH_.num_named_barrier, 0
	.set _ZN7rocprim17ROCPRIM_400000_NS6detail17trampoline_kernelINS0_14default_configENS1_38merge_sort_block_merge_config_selectorIilEEZZNS1_27merge_sort_block_merge_implIS3_PiN6thrust23THRUST_200600_302600_NS10device_ptrIlEEjNS1_19radix_merge_compareILb0ELb1EiNS0_19identity_decomposerEEEEE10hipError_tT0_T1_T2_jT3_P12ihipStream_tbPNSt15iterator_traitsISG_E10value_typeEPNSM_ISH_E10value_typeEPSI_NS1_7vsmem_tEENKUlT_SG_SH_SI_E_clIS7_S7_PlSB_EESF_SV_SG_SH_SI_EUlSV_E0_NS1_11comp_targetILNS1_3genE3ELNS1_11target_archE908ELNS1_3gpuE7ELNS1_3repE0EEENS1_38merge_mergepath_config_static_selectorELNS0_4arch9wavefront6targetE1EEEvSH_.private_seg_size, 0
	.set _ZN7rocprim17ROCPRIM_400000_NS6detail17trampoline_kernelINS0_14default_configENS1_38merge_sort_block_merge_config_selectorIilEEZZNS1_27merge_sort_block_merge_implIS3_PiN6thrust23THRUST_200600_302600_NS10device_ptrIlEEjNS1_19radix_merge_compareILb0ELb1EiNS0_19identity_decomposerEEEEE10hipError_tT0_T1_T2_jT3_P12ihipStream_tbPNSt15iterator_traitsISG_E10value_typeEPNSM_ISH_E10value_typeEPSI_NS1_7vsmem_tEENKUlT_SG_SH_SI_E_clIS7_S7_PlSB_EESF_SV_SG_SH_SI_EUlSV_E0_NS1_11comp_targetILNS1_3genE3ELNS1_11target_archE908ELNS1_3gpuE7ELNS1_3repE0EEENS1_38merge_mergepath_config_static_selectorELNS0_4arch9wavefront6targetE1EEEvSH_.uses_vcc, 0
	.set _ZN7rocprim17ROCPRIM_400000_NS6detail17trampoline_kernelINS0_14default_configENS1_38merge_sort_block_merge_config_selectorIilEEZZNS1_27merge_sort_block_merge_implIS3_PiN6thrust23THRUST_200600_302600_NS10device_ptrIlEEjNS1_19radix_merge_compareILb0ELb1EiNS0_19identity_decomposerEEEEE10hipError_tT0_T1_T2_jT3_P12ihipStream_tbPNSt15iterator_traitsISG_E10value_typeEPNSM_ISH_E10value_typeEPSI_NS1_7vsmem_tEENKUlT_SG_SH_SI_E_clIS7_S7_PlSB_EESF_SV_SG_SH_SI_EUlSV_E0_NS1_11comp_targetILNS1_3genE3ELNS1_11target_archE908ELNS1_3gpuE7ELNS1_3repE0EEENS1_38merge_mergepath_config_static_selectorELNS0_4arch9wavefront6targetE1EEEvSH_.uses_flat_scratch, 0
	.set _ZN7rocprim17ROCPRIM_400000_NS6detail17trampoline_kernelINS0_14default_configENS1_38merge_sort_block_merge_config_selectorIilEEZZNS1_27merge_sort_block_merge_implIS3_PiN6thrust23THRUST_200600_302600_NS10device_ptrIlEEjNS1_19radix_merge_compareILb0ELb1EiNS0_19identity_decomposerEEEEE10hipError_tT0_T1_T2_jT3_P12ihipStream_tbPNSt15iterator_traitsISG_E10value_typeEPNSM_ISH_E10value_typeEPSI_NS1_7vsmem_tEENKUlT_SG_SH_SI_E_clIS7_S7_PlSB_EESF_SV_SG_SH_SI_EUlSV_E0_NS1_11comp_targetILNS1_3genE3ELNS1_11target_archE908ELNS1_3gpuE7ELNS1_3repE0EEENS1_38merge_mergepath_config_static_selectorELNS0_4arch9wavefront6targetE1EEEvSH_.has_dyn_sized_stack, 0
	.set _ZN7rocprim17ROCPRIM_400000_NS6detail17trampoline_kernelINS0_14default_configENS1_38merge_sort_block_merge_config_selectorIilEEZZNS1_27merge_sort_block_merge_implIS3_PiN6thrust23THRUST_200600_302600_NS10device_ptrIlEEjNS1_19radix_merge_compareILb0ELb1EiNS0_19identity_decomposerEEEEE10hipError_tT0_T1_T2_jT3_P12ihipStream_tbPNSt15iterator_traitsISG_E10value_typeEPNSM_ISH_E10value_typeEPSI_NS1_7vsmem_tEENKUlT_SG_SH_SI_E_clIS7_S7_PlSB_EESF_SV_SG_SH_SI_EUlSV_E0_NS1_11comp_targetILNS1_3genE3ELNS1_11target_archE908ELNS1_3gpuE7ELNS1_3repE0EEENS1_38merge_mergepath_config_static_selectorELNS0_4arch9wavefront6targetE1EEEvSH_.has_recursion, 0
	.set _ZN7rocprim17ROCPRIM_400000_NS6detail17trampoline_kernelINS0_14default_configENS1_38merge_sort_block_merge_config_selectorIilEEZZNS1_27merge_sort_block_merge_implIS3_PiN6thrust23THRUST_200600_302600_NS10device_ptrIlEEjNS1_19radix_merge_compareILb0ELb1EiNS0_19identity_decomposerEEEEE10hipError_tT0_T1_T2_jT3_P12ihipStream_tbPNSt15iterator_traitsISG_E10value_typeEPNSM_ISH_E10value_typeEPSI_NS1_7vsmem_tEENKUlT_SG_SH_SI_E_clIS7_S7_PlSB_EESF_SV_SG_SH_SI_EUlSV_E0_NS1_11comp_targetILNS1_3genE3ELNS1_11target_archE908ELNS1_3gpuE7ELNS1_3repE0EEENS1_38merge_mergepath_config_static_selectorELNS0_4arch9wavefront6targetE1EEEvSH_.has_indirect_call, 0
	.section	.AMDGPU.csdata,"",@progbits
; Kernel info:
; codeLenInByte = 0
; TotalNumSgprs: 4
; NumVgprs: 0
; ScratchSize: 0
; MemoryBound: 0
; FloatMode: 240
; IeeeMode: 1
; LDSByteSize: 0 bytes/workgroup (compile time only)
; SGPRBlocks: 0
; VGPRBlocks: 0
; NumSGPRsForWavesPerEU: 4
; NumVGPRsForWavesPerEU: 1
; Occupancy: 10
; WaveLimiterHint : 0
; COMPUTE_PGM_RSRC2:SCRATCH_EN: 0
; COMPUTE_PGM_RSRC2:USER_SGPR: 6
; COMPUTE_PGM_RSRC2:TRAP_HANDLER: 0
; COMPUTE_PGM_RSRC2:TGID_X_EN: 1
; COMPUTE_PGM_RSRC2:TGID_Y_EN: 0
; COMPUTE_PGM_RSRC2:TGID_Z_EN: 0
; COMPUTE_PGM_RSRC2:TIDIG_COMP_CNT: 0
	.section	.text._ZN7rocprim17ROCPRIM_400000_NS6detail17trampoline_kernelINS0_14default_configENS1_38merge_sort_block_merge_config_selectorIilEEZZNS1_27merge_sort_block_merge_implIS3_PiN6thrust23THRUST_200600_302600_NS10device_ptrIlEEjNS1_19radix_merge_compareILb0ELb1EiNS0_19identity_decomposerEEEEE10hipError_tT0_T1_T2_jT3_P12ihipStream_tbPNSt15iterator_traitsISG_E10value_typeEPNSM_ISH_E10value_typeEPSI_NS1_7vsmem_tEENKUlT_SG_SH_SI_E_clIS7_S7_PlSB_EESF_SV_SG_SH_SI_EUlSV_E0_NS1_11comp_targetILNS1_3genE2ELNS1_11target_archE906ELNS1_3gpuE6ELNS1_3repE0EEENS1_38merge_mergepath_config_static_selectorELNS0_4arch9wavefront6targetE1EEEvSH_,"axG",@progbits,_ZN7rocprim17ROCPRIM_400000_NS6detail17trampoline_kernelINS0_14default_configENS1_38merge_sort_block_merge_config_selectorIilEEZZNS1_27merge_sort_block_merge_implIS3_PiN6thrust23THRUST_200600_302600_NS10device_ptrIlEEjNS1_19radix_merge_compareILb0ELb1EiNS0_19identity_decomposerEEEEE10hipError_tT0_T1_T2_jT3_P12ihipStream_tbPNSt15iterator_traitsISG_E10value_typeEPNSM_ISH_E10value_typeEPSI_NS1_7vsmem_tEENKUlT_SG_SH_SI_E_clIS7_S7_PlSB_EESF_SV_SG_SH_SI_EUlSV_E0_NS1_11comp_targetILNS1_3genE2ELNS1_11target_archE906ELNS1_3gpuE6ELNS1_3repE0EEENS1_38merge_mergepath_config_static_selectorELNS0_4arch9wavefront6targetE1EEEvSH_,comdat
	.protected	_ZN7rocprim17ROCPRIM_400000_NS6detail17trampoline_kernelINS0_14default_configENS1_38merge_sort_block_merge_config_selectorIilEEZZNS1_27merge_sort_block_merge_implIS3_PiN6thrust23THRUST_200600_302600_NS10device_ptrIlEEjNS1_19radix_merge_compareILb0ELb1EiNS0_19identity_decomposerEEEEE10hipError_tT0_T1_T2_jT3_P12ihipStream_tbPNSt15iterator_traitsISG_E10value_typeEPNSM_ISH_E10value_typeEPSI_NS1_7vsmem_tEENKUlT_SG_SH_SI_E_clIS7_S7_PlSB_EESF_SV_SG_SH_SI_EUlSV_E0_NS1_11comp_targetILNS1_3genE2ELNS1_11target_archE906ELNS1_3gpuE6ELNS1_3repE0EEENS1_38merge_mergepath_config_static_selectorELNS0_4arch9wavefront6targetE1EEEvSH_ ; -- Begin function _ZN7rocprim17ROCPRIM_400000_NS6detail17trampoline_kernelINS0_14default_configENS1_38merge_sort_block_merge_config_selectorIilEEZZNS1_27merge_sort_block_merge_implIS3_PiN6thrust23THRUST_200600_302600_NS10device_ptrIlEEjNS1_19radix_merge_compareILb0ELb1EiNS0_19identity_decomposerEEEEE10hipError_tT0_T1_T2_jT3_P12ihipStream_tbPNSt15iterator_traitsISG_E10value_typeEPNSM_ISH_E10value_typeEPSI_NS1_7vsmem_tEENKUlT_SG_SH_SI_E_clIS7_S7_PlSB_EESF_SV_SG_SH_SI_EUlSV_E0_NS1_11comp_targetILNS1_3genE2ELNS1_11target_archE906ELNS1_3gpuE6ELNS1_3repE0EEENS1_38merge_mergepath_config_static_selectorELNS0_4arch9wavefront6targetE1EEEvSH_
	.globl	_ZN7rocprim17ROCPRIM_400000_NS6detail17trampoline_kernelINS0_14default_configENS1_38merge_sort_block_merge_config_selectorIilEEZZNS1_27merge_sort_block_merge_implIS3_PiN6thrust23THRUST_200600_302600_NS10device_ptrIlEEjNS1_19radix_merge_compareILb0ELb1EiNS0_19identity_decomposerEEEEE10hipError_tT0_T1_T2_jT3_P12ihipStream_tbPNSt15iterator_traitsISG_E10value_typeEPNSM_ISH_E10value_typeEPSI_NS1_7vsmem_tEENKUlT_SG_SH_SI_E_clIS7_S7_PlSB_EESF_SV_SG_SH_SI_EUlSV_E0_NS1_11comp_targetILNS1_3genE2ELNS1_11target_archE906ELNS1_3gpuE6ELNS1_3repE0EEENS1_38merge_mergepath_config_static_selectorELNS0_4arch9wavefront6targetE1EEEvSH_
	.p2align	8
	.type	_ZN7rocprim17ROCPRIM_400000_NS6detail17trampoline_kernelINS0_14default_configENS1_38merge_sort_block_merge_config_selectorIilEEZZNS1_27merge_sort_block_merge_implIS3_PiN6thrust23THRUST_200600_302600_NS10device_ptrIlEEjNS1_19radix_merge_compareILb0ELb1EiNS0_19identity_decomposerEEEEE10hipError_tT0_T1_T2_jT3_P12ihipStream_tbPNSt15iterator_traitsISG_E10value_typeEPNSM_ISH_E10value_typeEPSI_NS1_7vsmem_tEENKUlT_SG_SH_SI_E_clIS7_S7_PlSB_EESF_SV_SG_SH_SI_EUlSV_E0_NS1_11comp_targetILNS1_3genE2ELNS1_11target_archE906ELNS1_3gpuE6ELNS1_3repE0EEENS1_38merge_mergepath_config_static_selectorELNS0_4arch9wavefront6targetE1EEEvSH_,@function
_ZN7rocprim17ROCPRIM_400000_NS6detail17trampoline_kernelINS0_14default_configENS1_38merge_sort_block_merge_config_selectorIilEEZZNS1_27merge_sort_block_merge_implIS3_PiN6thrust23THRUST_200600_302600_NS10device_ptrIlEEjNS1_19radix_merge_compareILb0ELb1EiNS0_19identity_decomposerEEEEE10hipError_tT0_T1_T2_jT3_P12ihipStream_tbPNSt15iterator_traitsISG_E10value_typeEPNSM_ISH_E10value_typeEPSI_NS1_7vsmem_tEENKUlT_SG_SH_SI_E_clIS7_S7_PlSB_EESF_SV_SG_SH_SI_EUlSV_E0_NS1_11comp_targetILNS1_3genE2ELNS1_11target_archE906ELNS1_3gpuE6ELNS1_3repE0EEENS1_38merge_mergepath_config_static_selectorELNS0_4arch9wavefront6targetE1EEEvSH_: ; @_ZN7rocprim17ROCPRIM_400000_NS6detail17trampoline_kernelINS0_14default_configENS1_38merge_sort_block_merge_config_selectorIilEEZZNS1_27merge_sort_block_merge_implIS3_PiN6thrust23THRUST_200600_302600_NS10device_ptrIlEEjNS1_19radix_merge_compareILb0ELb1EiNS0_19identity_decomposerEEEEE10hipError_tT0_T1_T2_jT3_P12ihipStream_tbPNSt15iterator_traitsISG_E10value_typeEPNSM_ISH_E10value_typeEPSI_NS1_7vsmem_tEENKUlT_SG_SH_SI_E_clIS7_S7_PlSB_EESF_SV_SG_SH_SI_EUlSV_E0_NS1_11comp_targetILNS1_3genE2ELNS1_11target_archE906ELNS1_3gpuE6ELNS1_3repE0EEENS1_38merge_mergepath_config_static_selectorELNS0_4arch9wavefront6targetE1EEEvSH_
; %bb.0:
	s_load_dwordx2 s[22:23], s[4:5], 0x40
	s_load_dwordx2 s[16:17], s[4:5], 0x30
	s_add_u32 s20, s4, 64
	s_addc_u32 s21, s5, 0
	s_waitcnt lgkmcnt(0)
	s_mul_i32 s0, s23, s8
	s_add_i32 s0, s0, s7
	s_mul_i32 s0, s0, s22
	s_add_i32 s0, s0, s6
	s_cmp_ge_u32 s0, s16
	s_cbranch_scc1 .LBB813_46
; %bb.1:
	s_load_dwordx8 s[8:15], s[4:5], 0x10
	s_load_dwordx2 s[28:29], s[4:5], 0x8
	s_load_dwordx2 s[2:3], s[4:5], 0x38
	s_mov_b32 s1, 0
	v_mov_b32_e32 v2, 0
	s_waitcnt lgkmcnt(0)
	s_lshr_b32 s33, s14, 10
	s_cmp_lg_u32 s0, s33
	s_cselect_b64 s[18:19], -1, 0
	s_lshl_b64 s[4:5], s[0:1], 2
	s_add_u32 s4, s2, s4
	s_addc_u32 s5, s3, s5
	s_load_dwordx2 s[2:3], s[4:5], 0x0
	s_lshr_b32 s4, s15, 9
	s_and_b32 s4, s4, 0x7ffffe
	s_sub_i32 s5, 0, s4
	s_and_b32 s4, s0, s5
	s_lshl_b32 s7, s4, 10
	s_lshl_b32 s16, s0, 10
	s_lshl_b32 s4, s4, 11
	s_sub_i32 s23, s16, s7
	s_add_i32 s24, s4, s15
	s_add_i32 s23, s24, s23
	s_waitcnt lgkmcnt(0)
	s_sub_i32 s4, s23, s2
	s_sub_i32 s23, s23, s3
	;; [unrolled: 1-line block ×3, first 2 shown]
	s_min_u32 s4, s14, s4
	s_addk_i32 s23, 0x400
	s_or_b32 s5, s0, s5
	s_min_u32 s24, s14, s7
	s_add_i32 s7, s7, s15
	s_cmp_eq_u32 s5, -1
	s_cselect_b32 s3, s24, s3
	s_cselect_b32 s5, s7, s23
	s_sub_i32 s15, s3, s2
	s_mov_b32 s3, s1
	s_min_u32 s27, s5, s14
	s_lshl_b64 s[24:25], s[2:3], 2
	s_add_u32 s24, s28, s24
	s_mov_b32 s5, s1
	s_addc_u32 s25, s29, s25
	s_lshl_b64 s[30:31], s[4:5], 2
	s_add_u32 s23, s28, s30
	global_load_dword v1, v2, s[20:21] offset:14
	s_addc_u32 s26, s29, s31
	s_cmp_lt_u32 s6, s22
	s_cselect_b32 s1, 12, 18
	s_add_u32 s6, s20, s1
	s_addc_u32 s7, s21, 0
	global_load_ushort v3, v2, s[6:7]
	s_cmp_eq_u32 s0, s33
	v_lshlrev_b32_e32 v17, 2, v0
	s_waitcnt vmcnt(1)
	v_lshrrev_b32_e32 v4, 16, v1
	v_and_b32_e32 v1, 0xffff, v1
	v_mul_lo_u32 v1, v1, v4
	s_waitcnt vmcnt(0)
	v_mul_lo_u32 v19, v1, v3
	v_add_u32_e32 v15, v19, v0
	v_add_u32_e32 v13, v15, v19
	s_cbranch_scc1 .LBB813_3
; %bb.2:
	v_mov_b32_e32 v1, s25
	v_add_co_u32_e32 v5, vcc, s24, v17
	v_addc_co_u32_e32 v6, vcc, 0, v1, vcc
	v_subrev_co_u32_e32 v1, vcc, s15, v0
	v_lshlrev_b64 v[3:4], 2, v[1:2]
	v_mov_b32_e32 v1, s26
	v_add_co_u32_e64 v3, s[0:1], s23, v3
	v_addc_co_u32_e64 v1, s[0:1], v1, v4, s[0:1]
	v_cndmask_b32_e32 v4, v1, v6, vcc
	v_cndmask_b32_e32 v3, v3, v5, vcc
	v_mov_b32_e32 v16, v2
	global_load_dword v9, v[3:4], off
	v_lshlrev_b64 v[3:4], 2, v[15:16]
	v_mov_b32_e32 v1, s25
	v_add_co_u32_e32 v5, vcc, s24, v3
	v_addc_co_u32_e32 v6, vcc, v1, v4, vcc
	v_subrev_co_u32_e32 v1, vcc, s15, v15
	v_lshlrev_b64 v[3:4], 2, v[1:2]
	v_mov_b32_e32 v1, s26
	v_add_co_u32_e64 v3, s[0:1], s23, v3
	v_addc_co_u32_e64 v1, s[0:1], v1, v4, s[0:1]
	v_cndmask_b32_e32 v4, v1, v6, vcc
	v_cndmask_b32_e32 v3, v3, v5, vcc
	v_mov_b32_e32 v14, v2
	global_load_dword v10, v[3:4], off
	v_lshlrev_b64 v[3:4], 2, v[13:14]
	v_mov_b32_e32 v1, s25
	v_add_co_u32_e32 v3, vcc, s24, v3
	v_addc_co_u32_e32 v4, vcc, v1, v4, vcc
	v_subrev_co_u32_e32 v1, vcc, s15, v13
	v_lshlrev_b64 v[1:2], 2, v[1:2]
	v_mov_b32_e32 v5, s26
	v_add_co_u32_e64 v1, s[0:1], s23, v1
	v_addc_co_u32_e64 v2, s[0:1], v5, v2, s[0:1]
	v_cndmask_b32_e32 v2, v2, v4, vcc
	v_cndmask_b32_e32 v1, v1, v3, vcc
	global_load_dword v11, v[1:2], off
	v_add_u32_e32 v1, v13, v19
	s_mov_b64 s[0:1], -1
	s_sub_i32 s20, s27, s4
	s_cbranch_execz .LBB813_4
	s_branch .LBB813_9
.LBB813_3:
	s_mov_b64 s[0:1], 0
                                        ; implicit-def: $vgpr1
                                        ; implicit-def: $vgpr9_vgpr10_vgpr11_vgpr12
	s_sub_i32 s20, s27, s4
.LBB813_4:
	s_add_i32 s21, s20, s15
	s_waitcnt vmcnt(2)
	v_mov_b32_e32 v9, 0
	v_cmp_gt_u32_e32 vcc, s21, v0
	s_waitcnt vmcnt(1)
	v_mov_b32_e32 v10, v9
	s_waitcnt vmcnt(0)
	v_mov_b32_e32 v11, v9
	v_mov_b32_e32 v12, v9
	s_and_saveexec_b64 s[6:7], vcc
	s_cbranch_execnz .LBB813_47
; %bb.5:
	s_or_b64 exec, exec, s[6:7]
	v_cmp_gt_u32_e32 vcc, s21, v15
	s_and_saveexec_b64 s[6:7], vcc
	s_cbranch_execnz .LBB813_48
.LBB813_6:
	s_or_b64 exec, exec, s[6:7]
	v_cmp_gt_u32_e32 vcc, s21, v13
	s_and_saveexec_b64 s[6:7], vcc
	s_cbranch_execz .LBB813_8
.LBB813_7:
	v_mov_b32_e32 v14, 0
	v_lshlrev_b64 v[1:2], 2, v[13:14]
	v_mov_b32_e32 v3, s25
	v_add_co_u32_e32 v4, vcc, s24, v1
	v_addc_co_u32_e32 v3, vcc, v3, v2, vcc
	v_subrev_co_u32_e32 v1, vcc, s15, v13
	v_mov_b32_e32 v2, v14
	v_lshlrev_b64 v[1:2], 2, v[1:2]
	v_mov_b32_e32 v5, s26
	v_add_co_u32_e64 v1, s[0:1], s23, v1
	v_addc_co_u32_e64 v2, s[0:1], v5, v2, s[0:1]
	v_cndmask_b32_e32 v2, v2, v3, vcc
	v_cndmask_b32_e32 v1, v1, v4, vcc
	global_load_dword v11, v[1:2], off
.LBB813_8:
	s_or_b64 exec, exec, s[6:7]
	v_add_u32_e32 v1, v13, v19
	v_cmp_gt_u32_e64 s[0:1], s21, v1
.LBB813_9:
	s_and_saveexec_b64 s[6:7], s[0:1]
	s_cbranch_execz .LBB813_11
; %bb.10:
	v_mov_b32_e32 v2, 0
	v_lshlrev_b64 v[3:4], 2, v[1:2]
	v_mov_b32_e32 v5, s25
	v_add_co_u32_e32 v3, vcc, s24, v3
	v_addc_co_u32_e32 v4, vcc, v5, v4, vcc
	v_subrev_co_u32_e32 v1, vcc, s15, v1
	v_lshlrev_b64 v[1:2], 2, v[1:2]
	v_mov_b32_e32 v5, s26
	v_add_co_u32_e64 v1, s[0:1], s23, v1
	v_addc_co_u32_e64 v2, s[0:1], v5, v2, s[0:1]
	v_cndmask_b32_e32 v2, v2, v4, vcc
	v_cndmask_b32_e32 v1, v1, v3, vcc
	global_load_dword v12, v[1:2], off
.LBB813_11:
	s_or_b64 exec, exec, s[6:7]
	s_lshl_b64 s[0:1], s[2:3], 3
	s_add_u32 s6, s10, s0
	s_addc_u32 s7, s11, s1
	s_lshl_b64 s[0:1], s[4:5], 3
	s_add_u32 s4, s10, s0
	v_mov_b32_e32 v8, 0
	s_addc_u32 s5, s11, s1
	s_andn2_b64 vcc, exec, s[18:19]
	v_lshlrev_b32_e32 v18, 3, v0
	s_waitcnt vmcnt(0)
	ds_write2st64_b32 v17, v9, v10 offset1:4
	ds_write2st64_b32 v17, v11, v12 offset0:8 offset1:12
	s_cbranch_vccnz .LBB813_13
; %bb.12:
	v_mov_b32_e32 v1, s7
	v_add_co_u32_e32 v3, vcc, s6, v18
	v_addc_co_u32_e32 v4, vcc, 0, v1, vcc
	v_subrev_co_u32_e32 v7, vcc, s15, v0
	v_lshlrev_b64 v[1:2], 3, v[7:8]
	v_mov_b32_e32 v5, s5
	v_add_co_u32_e64 v1, s[0:1], s4, v1
	v_addc_co_u32_e64 v2, s[0:1], v5, v2, s[0:1]
	v_mov_b32_e32 v16, v8
	v_cndmask_b32_e32 v2, v2, v4, vcc
	v_cndmask_b32_e32 v1, v1, v3, vcc
	v_lshlrev_b64 v[3:4], 3, v[15:16]
	v_mov_b32_e32 v5, s7
	v_add_co_u32_e32 v6, vcc, s6, v3
	v_addc_co_u32_e32 v5, vcc, v5, v4, vcc
	v_subrev_co_u32_e32 v7, vcc, s15, v15
	v_lshlrev_b64 v[3:4], 3, v[7:8]
	v_mov_b32_e32 v7, s5
	v_add_co_u32_e64 v3, s[0:1], s4, v3
	v_addc_co_u32_e64 v4, s[0:1], v7, v4, s[0:1]
	v_mov_b32_e32 v14, v8
	v_cndmask_b32_e32 v4, v4, v5, vcc
	v_cndmask_b32_e32 v3, v3, v6, vcc
	v_lshlrev_b64 v[5:6], 3, v[13:14]
	v_mov_b32_e32 v7, s7
	v_add_co_u32_e32 v14, vcc, s6, v5
	v_addc_co_u32_e32 v16, vcc, v7, v6, vcc
	v_subrev_co_u32_e32 v7, vcc, s15, v13
	v_lshlrev_b64 v[5:6], 3, v[7:8]
	v_mov_b32_e32 v7, s5
	v_add_co_u32_e64 v5, s[0:1], s4, v5
	v_addc_co_u32_e64 v6, s[0:1], v7, v6, s[0:1]
	v_add_u32_e32 v7, v13, v19
	v_lshlrev_b64 v[20:21], 3, v[7:8]
	v_cndmask_b32_e32 v6, v6, v16, vcc
	v_cndmask_b32_e32 v5, v5, v14, vcc
	v_mov_b32_e32 v14, s7
	v_add_co_u32_e32 v16, vcc, s6, v20
	v_addc_co_u32_e32 v14, vcc, v14, v21, vcc
	v_subrev_co_u32_e32 v7, vcc, s15, v7
	v_lshlrev_b64 v[7:8], 3, v[7:8]
	v_mov_b32_e32 v20, s5
	v_add_co_u32_e64 v7, s[0:1], s4, v7
	v_addc_co_u32_e64 v8, s[0:1], v20, v8, s[0:1]
	v_cndmask_b32_e32 v8, v8, v14, vcc
	v_cndmask_b32_e32 v7, v7, v16, vcc
	global_load_dwordx2 v[1:2], v[1:2], off
	s_add_i32 s21, s20, s15
	global_load_dwordx2 v[3:4], v[3:4], off
	s_nop 0
	global_load_dwordx2 v[5:6], v[5:6], off
	s_nop 0
	global_load_dwordx2 v[7:8], v[7:8], off
	s_cbranch_execz .LBB813_14
	s_branch .LBB813_21
.LBB813_13:
                                        ; implicit-def: $vgpr1_vgpr2_vgpr3_vgpr4_vgpr5_vgpr6_vgpr7_vgpr8
                                        ; implicit-def: $sgpr21
.LBB813_14:
	s_add_i32 s21, s20, s15
	s_waitcnt vmcnt(3)
	v_mov_b32_e32 v1, 0
	v_cmp_gt_u32_e32 vcc, s21, v0
	v_mov_b32_e32 v2, v1
	s_waitcnt vmcnt(2)
	v_mov_b32_e32 v3, v1
	v_mov_b32_e32 v4, v1
	s_waitcnt vmcnt(1)
	v_mov_b32_e32 v5, v1
	;; [unrolled: 3-line block ×3, first 2 shown]
	v_mov_b32_e32 v8, v1
	s_and_saveexec_b64 s[2:3], vcc
	s_cbranch_execnz .LBB813_49
; %bb.15:
	s_or_b64 exec, exec, s[2:3]
	v_cmp_gt_u32_e32 vcc, s21, v15
	s_and_saveexec_b64 s[2:3], vcc
	s_cbranch_execnz .LBB813_50
.LBB813_16:
	s_or_b64 exec, exec, s[2:3]
	v_cmp_gt_u32_e32 vcc, s21, v13
	s_and_saveexec_b64 s[2:3], vcc
	s_cbranch_execz .LBB813_18
.LBB813_17:
	v_mov_b32_e32 v14, 0
	v_lshlrev_b64 v[5:6], 3, v[13:14]
	v_mov_b32_e32 v15, s7
	v_add_co_u32_e32 v16, vcc, s6, v5
	v_addc_co_u32_e32 v15, vcc, v15, v6, vcc
	v_subrev_co_u32_e32 v5, vcc, s15, v13
	v_mov_b32_e32 v6, v14
	v_lshlrev_b64 v[5:6], 3, v[5:6]
	v_mov_b32_e32 v14, s5
	v_add_co_u32_e64 v5, s[0:1], s4, v5
	v_addc_co_u32_e64 v6, s[0:1], v14, v6, s[0:1]
	v_cndmask_b32_e32 v6, v6, v15, vcc
	v_cndmask_b32_e32 v5, v5, v16, vcc
	global_load_dwordx2 v[5:6], v[5:6], off
.LBB813_18:
	s_or_b64 exec, exec, s[2:3]
	v_add_u32_e32 v13, v13, v19
	v_cmp_gt_u32_e32 vcc, s21, v13
	s_and_saveexec_b64 s[2:3], vcc
	s_cbranch_execz .LBB813_20
; %bb.19:
	v_mov_b32_e32 v14, 0
	v_lshlrev_b64 v[7:8], 3, v[13:14]
	v_mov_b32_e32 v15, s7
	v_add_co_u32_e32 v16, vcc, s6, v7
	v_addc_co_u32_e32 v15, vcc, v15, v8, vcc
	v_subrev_co_u32_e32 v13, vcc, s15, v13
	v_lshlrev_b64 v[7:8], 3, v[13:14]
	v_mov_b32_e32 v13, s5
	v_add_co_u32_e64 v7, s[0:1], s4, v7
	v_addc_co_u32_e64 v8, s[0:1], v13, v8, s[0:1]
	v_cndmask_b32_e32 v8, v8, v15, vcc
	v_cndmask_b32_e32 v7, v7, v16, vcc
	global_load_dwordx2 v[7:8], v[7:8], off
.LBB813_20:
	s_or_b64 exec, exec, s[2:3]
.LBB813_21:
	v_min_u32_e32 v14, s21, v17
	v_sub_u32_e64 v13, v14, s20 clamp
	v_min_u32_e32 v15, s15, v14
	v_cmp_lt_u32_e32 vcc, v13, v15
	s_waitcnt vmcnt(0) lgkmcnt(0)
	s_barrier
	s_and_saveexec_b64 s[0:1], vcc
	s_cbranch_execz .LBB813_25
; %bb.22:
	v_lshlrev_b32_e32 v16, 2, v14
	v_lshl_add_u32 v16, s15, 2, v16
	s_mov_b64 s[2:3], 0
.LBB813_23:                             ; =>This Inner Loop Header: Depth=1
	v_add_u32_e32 v19, v15, v13
	v_lshrrev_b32_e32 v19, 1, v19
	v_not_b32_e32 v20, v19
	v_lshlrev_b32_e32 v21, 2, v19
	v_lshl_add_u32 v20, v20, 2, v16
	ds_read_b32 v21, v21
	ds_read_b32 v20, v20
	v_add_u32_e32 v22, 1, v19
	s_waitcnt lgkmcnt(1)
	v_and_b32_e32 v21, s17, v21
	s_waitcnt lgkmcnt(0)
	v_and_b32_e32 v20, s17, v20
	v_cmp_gt_i32_e32 vcc, v21, v20
	v_cndmask_b32_e32 v15, v15, v19, vcc
	v_cndmask_b32_e32 v13, v22, v13, vcc
	v_cmp_ge_u32_e32 vcc, v13, v15
	s_or_b64 s[2:3], vcc, s[2:3]
	s_andn2_b64 exec, exec, s[2:3]
	s_cbranch_execnz .LBB813_23
; %bb.24:
	s_or_b64 exec, exec, s[2:3]
.LBB813_25:
	s_or_b64 exec, exec, s[0:1]
	v_sub_u32_e32 v14, v14, v13
	v_add_u32_e32 v19, s15, v14
	v_cmp_ge_u32_e32 vcc, s15, v13
	v_cmp_ge_u32_e64 s[0:1], s21, v19
	s_or_b64 s[0:1], vcc, s[0:1]
	v_mov_b32_e32 v20, 0
	v_mov_b32_e32 v16, 0
	;; [unrolled: 1-line block ×4, first 2 shown]
	s_and_saveexec_b64 s[10:11], s[0:1]
	s_cbranch_execz .LBB813_31
; %bb.26:
	v_cmp_gt_u32_e32 vcc, s15, v13
                                        ; implicit-def: $vgpr9
	s_and_saveexec_b64 s[0:1], vcc
; %bb.27:
	v_lshlrev_b32_e32 v9, 2, v13
	ds_read_b32 v9, v9
; %bb.28:
	s_or_b64 exec, exec, s[0:1]
	v_cmp_le_u32_e64 s[0:1], s21, v19
	v_cmp_gt_u32_e64 s[2:3], s21, v19
                                        ; implicit-def: $vgpr10
	s_and_saveexec_b64 s[4:5], s[2:3]
; %bb.29:
	v_lshlrev_b32_e32 v10, 2, v19
	ds_read_b32 v10, v10
; %bb.30:
	s_or_b64 exec, exec, s[4:5]
	s_waitcnt lgkmcnt(0)
	v_and_b32_e32 v11, s17, v10
	v_and_b32_e32 v12, s17, v9
	v_cmp_le_i32_e64 s[2:3], v12, v11
	s_and_b64 s[2:3], vcc, s[2:3]
	s_or_b64 vcc, s[0:1], s[2:3]
	v_mov_b32_e32 v11, s21
	v_mov_b32_e32 v12, s15
	v_cndmask_b32_e32 v14, v19, v13, vcc
	v_cndmask_b32_e32 v15, v11, v12, vcc
	v_add_u32_e32 v16, 1, v14
	v_add_u32_e32 v15, -1, v15
	v_min_u32_e32 v15, v16, v15
	v_lshlrev_b32_e32 v15, 2, v15
	ds_read_b32 v15, v15
	v_cndmask_b32_e32 v19, v16, v19, vcc
	v_cndmask_b32_e32 v13, v13, v16, vcc
	v_cmp_gt_u32_e64 s[2:3], s15, v13
	v_cmp_le_u32_e64 s[0:1], s21, v19
	s_waitcnt lgkmcnt(0)
	v_cndmask_b32_e32 v20, v15, v10, vcc
	v_cndmask_b32_e32 v21, v9, v15, vcc
	v_and_b32_e32 v15, s17, v20
	v_and_b32_e32 v16, s17, v21
	v_cmp_le_i32_e64 s[4:5], v16, v15
	s_and_b64 s[2:3], s[2:3], s[4:5]
	s_or_b64 s[0:1], s[0:1], s[2:3]
	v_cndmask_b32_e64 v15, v19, v13, s[0:1]
	v_cndmask_b32_e64 v16, v11, v12, s[0:1]
	v_add_u32_e32 v22, 1, v15
	v_add_u32_e32 v16, -1, v16
	v_min_u32_e32 v16, v22, v16
	v_lshlrev_b32_e32 v16, 2, v16
	ds_read_b32 v16, v16
	v_cndmask_b32_e64 v19, v22, v19, s[0:1]
	v_cndmask_b32_e64 v13, v13, v22, s[0:1]
	v_cmp_gt_u32_e64 s[4:5], s15, v13
	v_cmp_le_u32_e64 s[2:3], s21, v19
	s_waitcnt lgkmcnt(0)
	v_cndmask_b32_e64 v23, v16, v20, s[0:1]
	v_cndmask_b32_e64 v24, v21, v16, s[0:1]
	v_and_b32_e32 v16, s17, v23
	v_and_b32_e32 v22, s17, v24
	v_cmp_le_i32_e64 s[6:7], v22, v16
	s_and_b64 s[4:5], s[4:5], s[6:7]
	s_or_b64 s[2:3], s[2:3], s[4:5]
	v_cndmask_b32_e64 v16, v19, v13, s[2:3]
	v_cndmask_b32_e64 v11, v11, v12, s[2:3]
	v_add_u32_e32 v12, 1, v16
	v_add_u32_e32 v11, -1, v11
	v_min_u32_e32 v11, v12, v11
	v_lshlrev_b32_e32 v11, 2, v11
	ds_read_b32 v22, v11
	v_cndmask_b32_e32 v9, v10, v9, vcc
	v_cndmask_b32_e64 v10, v20, v21, s[0:1]
	v_cndmask_b32_e64 v19, v12, v19, s[2:3]
	;; [unrolled: 1-line block ×3, first 2 shown]
	s_waitcnt lgkmcnt(0)
	v_cndmask_b32_e64 v21, v22, v23, s[2:3]
	v_cndmask_b32_e64 v22, v24, v22, s[2:3]
	v_and_b32_e32 v13, s17, v21
	v_and_b32_e32 v20, s17, v22
	v_cndmask_b32_e64 v11, v23, v24, s[2:3]
	v_cmp_gt_u32_e64 s[0:1], s15, v12
	v_cmp_le_i32_e64 s[2:3], v20, v13
	v_cmp_le_u32_e32 vcc, s21, v19
	s_and_b64 s[0:1], s[0:1], s[2:3]
	s_or_b64 vcc, vcc, s[0:1]
	v_cndmask_b32_e32 v20, v19, v12, vcc
	v_cndmask_b32_e32 v12, v21, v22, vcc
.LBB813_31:
	s_or_b64 exec, exec, s[10:11]
	v_add_u32_e32 v24, v17, v17
	s_barrier
	ds_write2st64_b64 v24, v[1:2], v[3:4] offset1:4
	ds_write2st64_b64 v24, v[5:6], v[7:8] offset0:8 offset1:12
	v_lshlrev_b32_e32 v1, 3, v14
	v_lshlrev_b32_e32 v2, 3, v15
	;; [unrolled: 1-line block ×4, first 2 shown]
	s_waitcnt lgkmcnt(0)
	s_barrier
	ds_read_b64 v[5:6], v1
	ds_read_b64 v[7:8], v2
	;; [unrolled: 1-line block ×4, first 2 shown]
	s_mov_b32 s17, 0
	s_lshl_b64 s[0:1], s[16:17], 2
	v_lshrrev_b32_e32 v13, 3, v0
	s_add_u32 s0, s8, s0
	v_add_u32_e32 v15, v13, v17
	s_addc_u32 s1, s9, s1
	v_lshlrev_b32_e32 v16, 2, v15
	s_waitcnt lgkmcnt(0)
	s_barrier
	s_barrier
	ds_write2_b32 v16, v9, v10 offset1:1
	ds_write2_b32 v16, v11, v12 offset0:2 offset1:3
	v_or_b32_e32 v23, 0x100, v0
	v_or_b32_e32 v22, 0x200, v0
	v_or_b32_e32 v21, 0x300, v0
	v_mov_b32_e32 v10, s1
	v_add_co_u32_e32 v9, vcc, s0, v17
	v_lshrrev_b32_e32 v13, 5, v0
	v_lshrrev_b32_e32 v11, 5, v23
	;; [unrolled: 1-line block ×4, first 2 shown]
	v_addc_co_u32_e32 v10, vcc, 0, v10, vcc
	v_lshl_add_u32 v14, v13, 2, v17
	v_lshl_add_u32 v25, v11, 2, v17
	;; [unrolled: 1-line block ×4, first 2 shown]
	s_and_b64 vcc, exec, s[18:19]
	v_lshl_add_u32 v17, v11, 3, v24
	v_lshl_add_u32 v19, v12, 3, v24
	;; [unrolled: 1-line block ×3, first 2 shown]
	s_waitcnt lgkmcnt(0)
	s_cbranch_vccz .LBB813_33
; %bb.32:
	s_barrier
	ds_read_b32 v11, v14
	ds_read_b32 v12, v25 offset:1024
	ds_read_b32 v28, v26 offset:2048
	;; [unrolled: 1-line block ×3, first 2 shown]
	s_lshl_b64 s[0:1], s[16:17], 3
	s_add_u32 s0, s12, s0
	s_waitcnt lgkmcnt(3)
	global_store_dword v[9:10], v11, off
	s_waitcnt lgkmcnt(2)
	global_store_dword v[9:10], v12, off offset:1024
	s_waitcnt lgkmcnt(1)
	global_store_dword v[9:10], v28, off offset:2048
	;; [unrolled: 2-line block ×3, first 2 shown]
	v_lshlrev_b32_e32 v11, 3, v15
	s_waitcnt vmcnt(0)
	s_barrier
	ds_write2_b64 v11, v[5:6], v[7:8] offset1:1
	ds_write2_b64 v11, v[1:2], v[3:4] offset0:2 offset1:3
	v_lshl_add_u32 v11, v13, 3, v24
	s_addc_u32 s1, s13, s1
	s_waitcnt lgkmcnt(0)
	s_barrier
	ds_read_b64 v[28:29], v11
	ds_read_b64 v[30:31], v17 offset:2048
	ds_read_b64 v[32:33], v19 offset:4096
	;; [unrolled: 1-line block ×3, first 2 shown]
	v_mov_b32_e32 v24, s1
	v_add_co_u32_e32 v34, vcc, s0, v18
	v_addc_co_u32_e32 v24, vcc, 0, v24, vcc
	s_waitcnt lgkmcnt(3)
	global_store_dwordx2 v18, v[28:29], s[0:1]
	s_waitcnt lgkmcnt(2)
	global_store_dwordx2 v18, v[30:31], s[0:1] offset:2048
	v_add_co_u32_e32 v28, vcc, 0x1000, v34
	v_addc_co_u32_e32 v29, vcc, 0, v24, vcc
	s_waitcnt lgkmcnt(1)
	global_store_dwordx2 v[28:29], v[32:33], off
	s_mov_b64 s[6:7], -1
	s_cbranch_execz .LBB813_34
	s_branch .LBB813_44
.LBB813_33:
	s_mov_b64 s[6:7], 0
                                        ; implicit-def: $vgpr11_vgpr12
.LBB813_34:
	s_waitcnt vmcnt(0) lgkmcnt(0)
	s_barrier
	ds_read_b32 v24, v25 offset:1024
	ds_read_b32 v12, v26 offset:2048
	ds_read_b32 v11, v27 offset:3072
	s_sub_i32 s6, s14, s16
	v_cmp_gt_u32_e32 vcc, s6, v0
	s_and_saveexec_b64 s[0:1], vcc
	s_cbranch_execnz .LBB813_51
; %bb.35:
	s_or_b64 exec, exec, s[0:1]
	v_cmp_gt_u32_e64 s[0:1], s6, v23
	s_and_saveexec_b64 s[2:3], s[0:1]
	s_cbranch_execnz .LBB813_52
.LBB813_36:
	s_or_b64 exec, exec, s[2:3]
	v_cmp_gt_u32_e64 s[2:3], s6, v22
	s_and_saveexec_b64 s[4:5], s[2:3]
	s_cbranch_execnz .LBB813_53
.LBB813_37:
	s_or_b64 exec, exec, s[4:5]
	v_cmp_gt_u32_e64 s[6:7], s6, v21
	s_and_saveexec_b64 s[4:5], s[6:7]
	s_cbranch_execz .LBB813_39
.LBB813_38:
	s_waitcnt lgkmcnt(0)
	global_store_dword v[9:10], v11, off offset:3072
.LBB813_39:
	s_or_b64 exec, exec, s[4:5]
	v_lshl_add_u32 v9, v15, 2, v16
	s_waitcnt vmcnt(0) lgkmcnt(0)
	s_barrier
	ds_write2_b64 v9, v[5:6], v[7:8] offset1:1
	ds_write2_b64 v9, v[1:2], v[3:4] offset0:2 offset1:3
	s_waitcnt lgkmcnt(0)
	s_barrier
	ds_read_b64 v[5:6], v17 offset:2048
	ds_read_b64 v[1:2], v19 offset:4096
	;; [unrolled: 1-line block ×3, first 2 shown]
	s_lshl_b64 s[4:5], s[16:17], 3
	s_add_u32 s4, s12, s4
	s_addc_u32 s5, s13, s5
	v_mov_b32_e32 v4, s5
	v_add_co_u32_e64 v3, s[4:5], s4, v18
	v_addc_co_u32_e64 v4, s[4:5], 0, v4, s[4:5]
	s_and_saveexec_b64 s[4:5], vcc
	s_cbranch_execnz .LBB813_54
; %bb.40:
	s_or_b64 exec, exec, s[4:5]
	s_and_saveexec_b64 s[4:5], s[0:1]
	s_cbranch_execnz .LBB813_55
.LBB813_41:
	s_or_b64 exec, exec, s[4:5]
	s_and_saveexec_b64 s[0:1], s[2:3]
	s_cbranch_execz .LBB813_43
.LBB813_42:
	v_add_co_u32_e32 v3, vcc, 0x1000, v3
	v_addc_co_u32_e32 v4, vcc, 0, v4, vcc
	s_waitcnt lgkmcnt(1)
	global_store_dwordx2 v[3:4], v[1:2], off
.LBB813_43:
	s_or_b64 exec, exec, s[0:1]
.LBB813_44:
	s_and_saveexec_b64 s[0:1], s[6:7]
	s_cbranch_execz .LBB813_46
; %bb.45:
	s_lshl_b64 s[0:1], s[16:17], 3
	s_add_u32 s0, s12, s0
	s_addc_u32 s1, s13, s1
	v_mov_b32_e32 v0, s1
	s_waitcnt lgkmcnt(1)
	v_add_co_u32_e32 v1, vcc, s0, v18
	v_addc_co_u32_e32 v2, vcc, 0, v0, vcc
	v_add_co_u32_e32 v0, vcc, 0x1000, v1
	v_addc_co_u32_e32 v1, vcc, 0, v2, vcc
	s_waitcnt lgkmcnt(0)
	global_store_dwordx2 v[0:1], v[11:12], off offset:2048
.LBB813_46:
	s_endpgm
.LBB813_47:
	v_mov_b32_e32 v1, s25
	v_add_co_u32_e32 v3, vcc, s24, v17
	v_addc_co_u32_e32 v4, vcc, 0, v1, vcc
	v_subrev_co_u32_e32 v1, vcc, s15, v0
	v_mov_b32_e32 v2, v9
	v_lshlrev_b64 v[1:2], 2, v[1:2]
	v_mov_b32_e32 v5, s26
	v_add_co_u32_e64 v1, s[0:1], s23, v1
	v_addc_co_u32_e64 v2, s[0:1], v5, v2, s[0:1]
	v_cndmask_b32_e32 v2, v2, v4, vcc
	v_cndmask_b32_e32 v1, v1, v3, vcc
	global_load_dword v1, v[1:2], off
	v_mov_b32_e32 v4, v9
	v_mov_b32_e32 v2, v9
	v_mov_b32_e32 v3, v9
	s_waitcnt vmcnt(0)
	v_mov_b32_e32 v12, v4
	v_mov_b32_e32 v11, v3
	;; [unrolled: 1-line block ×4, first 2 shown]
	s_or_b64 exec, exec, s[6:7]
	v_cmp_gt_u32_e32 vcc, s21, v15
	s_and_saveexec_b64 s[6:7], vcc
	s_cbranch_execz .LBB813_6
.LBB813_48:
	v_mov_b32_e32 v16, 0
	v_lshlrev_b64 v[1:2], 2, v[15:16]
	v_mov_b32_e32 v3, s25
	v_add_co_u32_e32 v4, vcc, s24, v1
	v_addc_co_u32_e32 v3, vcc, v3, v2, vcc
	v_subrev_co_u32_e32 v1, vcc, s15, v15
	v_mov_b32_e32 v2, v16
	v_lshlrev_b64 v[1:2], 2, v[1:2]
	v_mov_b32_e32 v5, s26
	v_add_co_u32_e64 v1, s[0:1], s23, v1
	v_addc_co_u32_e64 v2, s[0:1], v5, v2, s[0:1]
	v_cndmask_b32_e32 v2, v2, v3, vcc
	v_cndmask_b32_e32 v1, v1, v4, vcc
	global_load_dword v10, v[1:2], off
	s_or_b64 exec, exec, s[6:7]
	v_cmp_gt_u32_e32 vcc, s21, v13
	s_and_saveexec_b64 s[6:7], vcc
	s_cbranch_execnz .LBB813_7
	s_branch .LBB813_8
.LBB813_49:
	v_mov_b32_e32 v2, s7
	v_add_co_u32_e32 v4, vcc, s6, v18
	v_addc_co_u32_e32 v5, vcc, 0, v2, vcc
	v_subrev_co_u32_e32 v2, vcc, s15, v0
	v_mov_b32_e32 v3, v1
	v_lshlrev_b64 v[2:3], 3, v[2:3]
	v_mov_b32_e32 v6, s5
	v_add_co_u32_e64 v2, s[0:1], s4, v2
	v_addc_co_u32_e64 v3, s[0:1], v6, v3, s[0:1]
	v_cndmask_b32_e32 v3, v3, v5, vcc
	v_cndmask_b32_e32 v2, v2, v4, vcc
	global_load_dwordx2 v[20:21], v[2:3], off
	v_mov_b32_e32 v22, v1
	v_mov_b32_e32 v23, v1
	;; [unrolled: 1-line block ×6, first 2 shown]
	s_waitcnt vmcnt(0)
	v_mov_b32_e32 v1, v20
	v_mov_b32_e32 v2, v21
	v_mov_b32_e32 v3, v22
	v_mov_b32_e32 v4, v23
	v_mov_b32_e32 v5, v24
	v_mov_b32_e32 v6, v25
	v_mov_b32_e32 v7, v26
	v_mov_b32_e32 v8, v27
	s_or_b64 exec, exec, s[2:3]
	v_cmp_gt_u32_e32 vcc, s21, v15
	s_and_saveexec_b64 s[2:3], vcc
	s_cbranch_execz .LBB813_16
.LBB813_50:
	v_mov_b32_e32 v16, 0
	v_lshlrev_b64 v[3:4], 3, v[15:16]
	v_mov_b32_e32 v14, s7
	v_add_co_u32_e32 v20, vcc, s6, v3
	v_addc_co_u32_e32 v14, vcc, v14, v4, vcc
	v_subrev_co_u32_e32 v15, vcc, s15, v15
	v_lshlrev_b64 v[3:4], 3, v[15:16]
	v_mov_b32_e32 v15, s5
	v_add_co_u32_e64 v3, s[0:1], s4, v3
	v_addc_co_u32_e64 v4, s[0:1], v15, v4, s[0:1]
	v_cndmask_b32_e32 v4, v4, v14, vcc
	v_cndmask_b32_e32 v3, v3, v20, vcc
	global_load_dwordx2 v[3:4], v[3:4], off
	s_or_b64 exec, exec, s[2:3]
	v_cmp_gt_u32_e32 vcc, s21, v13
	s_and_saveexec_b64 s[2:3], vcc
	s_cbranch_execnz .LBB813_17
	s_branch .LBB813_18
.LBB813_51:
	ds_read_b32 v25, v14
	s_waitcnt lgkmcnt(0)
	global_store_dword v[9:10], v25, off
	s_or_b64 exec, exec, s[0:1]
	v_cmp_gt_u32_e64 s[0:1], s6, v23
	s_and_saveexec_b64 s[2:3], s[0:1]
	s_cbranch_execz .LBB813_36
.LBB813_52:
	s_waitcnt lgkmcnt(2)
	global_store_dword v[9:10], v24, off offset:1024
	s_or_b64 exec, exec, s[2:3]
	v_cmp_gt_u32_e64 s[2:3], s6, v22
	s_and_saveexec_b64 s[4:5], s[2:3]
	s_cbranch_execz .LBB813_37
.LBB813_53:
	s_waitcnt lgkmcnt(1)
	global_store_dword v[9:10], v12, off offset:2048
	s_or_b64 exec, exec, s[4:5]
	v_cmp_gt_u32_e64 s[6:7], s6, v21
	s_and_saveexec_b64 s[4:5], s[6:7]
	s_cbranch_execnz .LBB813_38
	s_branch .LBB813_39
.LBB813_54:
	v_add_u32_e32 v0, v13, v0
	v_lshl_add_u32 v0, v0, 2, v14
	ds_read_b64 v[7:8], v0
	s_waitcnt lgkmcnt(0)
	global_store_dwordx2 v[3:4], v[7:8], off
	s_or_b64 exec, exec, s[4:5]
	s_and_saveexec_b64 s[4:5], s[0:1]
	s_cbranch_execz .LBB813_41
.LBB813_55:
	s_waitcnt lgkmcnt(2)
	global_store_dwordx2 v[3:4], v[5:6], off offset:2048
	s_or_b64 exec, exec, s[4:5]
	s_and_saveexec_b64 s[0:1], s[2:3]
	s_cbranch_execnz .LBB813_42
	s_branch .LBB813_43
	.section	.rodata,"a",@progbits
	.p2align	6, 0x0
	.amdhsa_kernel _ZN7rocprim17ROCPRIM_400000_NS6detail17trampoline_kernelINS0_14default_configENS1_38merge_sort_block_merge_config_selectorIilEEZZNS1_27merge_sort_block_merge_implIS3_PiN6thrust23THRUST_200600_302600_NS10device_ptrIlEEjNS1_19radix_merge_compareILb0ELb1EiNS0_19identity_decomposerEEEEE10hipError_tT0_T1_T2_jT3_P12ihipStream_tbPNSt15iterator_traitsISG_E10value_typeEPNSM_ISH_E10value_typeEPSI_NS1_7vsmem_tEENKUlT_SG_SH_SI_E_clIS7_S7_PlSB_EESF_SV_SG_SH_SI_EUlSV_E0_NS1_11comp_targetILNS1_3genE2ELNS1_11target_archE906ELNS1_3gpuE6ELNS1_3repE0EEENS1_38merge_mergepath_config_static_selectorELNS0_4arch9wavefront6targetE1EEEvSH_
		.amdhsa_group_segment_fixed_size 8448
		.amdhsa_private_segment_fixed_size 0
		.amdhsa_kernarg_size 320
		.amdhsa_user_sgpr_count 6
		.amdhsa_user_sgpr_private_segment_buffer 1
		.amdhsa_user_sgpr_dispatch_ptr 0
		.amdhsa_user_sgpr_queue_ptr 0
		.amdhsa_user_sgpr_kernarg_segment_ptr 1
		.amdhsa_user_sgpr_dispatch_id 0
		.amdhsa_user_sgpr_flat_scratch_init 0
		.amdhsa_user_sgpr_private_segment_size 0
		.amdhsa_uses_dynamic_stack 0
		.amdhsa_system_sgpr_private_segment_wavefront_offset 0
		.amdhsa_system_sgpr_workgroup_id_x 1
		.amdhsa_system_sgpr_workgroup_id_y 1
		.amdhsa_system_sgpr_workgroup_id_z 1
		.amdhsa_system_sgpr_workgroup_info 0
		.amdhsa_system_vgpr_workitem_id 0
		.amdhsa_next_free_vgpr 35
		.amdhsa_next_free_sgpr 77
		.amdhsa_reserve_vcc 1
		.amdhsa_reserve_flat_scratch 0
		.amdhsa_float_round_mode_32 0
		.amdhsa_float_round_mode_16_64 0
		.amdhsa_float_denorm_mode_32 3
		.amdhsa_float_denorm_mode_16_64 3
		.amdhsa_dx10_clamp 1
		.amdhsa_ieee_mode 1
		.amdhsa_fp16_overflow 0
		.amdhsa_exception_fp_ieee_invalid_op 0
		.amdhsa_exception_fp_denorm_src 0
		.amdhsa_exception_fp_ieee_div_zero 0
		.amdhsa_exception_fp_ieee_overflow 0
		.amdhsa_exception_fp_ieee_underflow 0
		.amdhsa_exception_fp_ieee_inexact 0
		.amdhsa_exception_int_div_zero 0
	.end_amdhsa_kernel
	.section	.text._ZN7rocprim17ROCPRIM_400000_NS6detail17trampoline_kernelINS0_14default_configENS1_38merge_sort_block_merge_config_selectorIilEEZZNS1_27merge_sort_block_merge_implIS3_PiN6thrust23THRUST_200600_302600_NS10device_ptrIlEEjNS1_19radix_merge_compareILb0ELb1EiNS0_19identity_decomposerEEEEE10hipError_tT0_T1_T2_jT3_P12ihipStream_tbPNSt15iterator_traitsISG_E10value_typeEPNSM_ISH_E10value_typeEPSI_NS1_7vsmem_tEENKUlT_SG_SH_SI_E_clIS7_S7_PlSB_EESF_SV_SG_SH_SI_EUlSV_E0_NS1_11comp_targetILNS1_3genE2ELNS1_11target_archE906ELNS1_3gpuE6ELNS1_3repE0EEENS1_38merge_mergepath_config_static_selectorELNS0_4arch9wavefront6targetE1EEEvSH_,"axG",@progbits,_ZN7rocprim17ROCPRIM_400000_NS6detail17trampoline_kernelINS0_14default_configENS1_38merge_sort_block_merge_config_selectorIilEEZZNS1_27merge_sort_block_merge_implIS3_PiN6thrust23THRUST_200600_302600_NS10device_ptrIlEEjNS1_19radix_merge_compareILb0ELb1EiNS0_19identity_decomposerEEEEE10hipError_tT0_T1_T2_jT3_P12ihipStream_tbPNSt15iterator_traitsISG_E10value_typeEPNSM_ISH_E10value_typeEPSI_NS1_7vsmem_tEENKUlT_SG_SH_SI_E_clIS7_S7_PlSB_EESF_SV_SG_SH_SI_EUlSV_E0_NS1_11comp_targetILNS1_3genE2ELNS1_11target_archE906ELNS1_3gpuE6ELNS1_3repE0EEENS1_38merge_mergepath_config_static_selectorELNS0_4arch9wavefront6targetE1EEEvSH_,comdat
.Lfunc_end813:
	.size	_ZN7rocprim17ROCPRIM_400000_NS6detail17trampoline_kernelINS0_14default_configENS1_38merge_sort_block_merge_config_selectorIilEEZZNS1_27merge_sort_block_merge_implIS3_PiN6thrust23THRUST_200600_302600_NS10device_ptrIlEEjNS1_19radix_merge_compareILb0ELb1EiNS0_19identity_decomposerEEEEE10hipError_tT0_T1_T2_jT3_P12ihipStream_tbPNSt15iterator_traitsISG_E10value_typeEPNSM_ISH_E10value_typeEPSI_NS1_7vsmem_tEENKUlT_SG_SH_SI_E_clIS7_S7_PlSB_EESF_SV_SG_SH_SI_EUlSV_E0_NS1_11comp_targetILNS1_3genE2ELNS1_11target_archE906ELNS1_3gpuE6ELNS1_3repE0EEENS1_38merge_mergepath_config_static_selectorELNS0_4arch9wavefront6targetE1EEEvSH_, .Lfunc_end813-_ZN7rocprim17ROCPRIM_400000_NS6detail17trampoline_kernelINS0_14default_configENS1_38merge_sort_block_merge_config_selectorIilEEZZNS1_27merge_sort_block_merge_implIS3_PiN6thrust23THRUST_200600_302600_NS10device_ptrIlEEjNS1_19radix_merge_compareILb0ELb1EiNS0_19identity_decomposerEEEEE10hipError_tT0_T1_T2_jT3_P12ihipStream_tbPNSt15iterator_traitsISG_E10value_typeEPNSM_ISH_E10value_typeEPSI_NS1_7vsmem_tEENKUlT_SG_SH_SI_E_clIS7_S7_PlSB_EESF_SV_SG_SH_SI_EUlSV_E0_NS1_11comp_targetILNS1_3genE2ELNS1_11target_archE906ELNS1_3gpuE6ELNS1_3repE0EEENS1_38merge_mergepath_config_static_selectorELNS0_4arch9wavefront6targetE1EEEvSH_
                                        ; -- End function
	.set _ZN7rocprim17ROCPRIM_400000_NS6detail17trampoline_kernelINS0_14default_configENS1_38merge_sort_block_merge_config_selectorIilEEZZNS1_27merge_sort_block_merge_implIS3_PiN6thrust23THRUST_200600_302600_NS10device_ptrIlEEjNS1_19radix_merge_compareILb0ELb1EiNS0_19identity_decomposerEEEEE10hipError_tT0_T1_T2_jT3_P12ihipStream_tbPNSt15iterator_traitsISG_E10value_typeEPNSM_ISH_E10value_typeEPSI_NS1_7vsmem_tEENKUlT_SG_SH_SI_E_clIS7_S7_PlSB_EESF_SV_SG_SH_SI_EUlSV_E0_NS1_11comp_targetILNS1_3genE2ELNS1_11target_archE906ELNS1_3gpuE6ELNS1_3repE0EEENS1_38merge_mergepath_config_static_selectorELNS0_4arch9wavefront6targetE1EEEvSH_.num_vgpr, 35
	.set _ZN7rocprim17ROCPRIM_400000_NS6detail17trampoline_kernelINS0_14default_configENS1_38merge_sort_block_merge_config_selectorIilEEZZNS1_27merge_sort_block_merge_implIS3_PiN6thrust23THRUST_200600_302600_NS10device_ptrIlEEjNS1_19radix_merge_compareILb0ELb1EiNS0_19identity_decomposerEEEEE10hipError_tT0_T1_T2_jT3_P12ihipStream_tbPNSt15iterator_traitsISG_E10value_typeEPNSM_ISH_E10value_typeEPSI_NS1_7vsmem_tEENKUlT_SG_SH_SI_E_clIS7_S7_PlSB_EESF_SV_SG_SH_SI_EUlSV_E0_NS1_11comp_targetILNS1_3genE2ELNS1_11target_archE906ELNS1_3gpuE6ELNS1_3repE0EEENS1_38merge_mergepath_config_static_selectorELNS0_4arch9wavefront6targetE1EEEvSH_.num_agpr, 0
	.set _ZN7rocprim17ROCPRIM_400000_NS6detail17trampoline_kernelINS0_14default_configENS1_38merge_sort_block_merge_config_selectorIilEEZZNS1_27merge_sort_block_merge_implIS3_PiN6thrust23THRUST_200600_302600_NS10device_ptrIlEEjNS1_19radix_merge_compareILb0ELb1EiNS0_19identity_decomposerEEEEE10hipError_tT0_T1_T2_jT3_P12ihipStream_tbPNSt15iterator_traitsISG_E10value_typeEPNSM_ISH_E10value_typeEPSI_NS1_7vsmem_tEENKUlT_SG_SH_SI_E_clIS7_S7_PlSB_EESF_SV_SG_SH_SI_EUlSV_E0_NS1_11comp_targetILNS1_3genE2ELNS1_11target_archE906ELNS1_3gpuE6ELNS1_3repE0EEENS1_38merge_mergepath_config_static_selectorELNS0_4arch9wavefront6targetE1EEEvSH_.numbered_sgpr, 34
	.set _ZN7rocprim17ROCPRIM_400000_NS6detail17trampoline_kernelINS0_14default_configENS1_38merge_sort_block_merge_config_selectorIilEEZZNS1_27merge_sort_block_merge_implIS3_PiN6thrust23THRUST_200600_302600_NS10device_ptrIlEEjNS1_19radix_merge_compareILb0ELb1EiNS0_19identity_decomposerEEEEE10hipError_tT0_T1_T2_jT3_P12ihipStream_tbPNSt15iterator_traitsISG_E10value_typeEPNSM_ISH_E10value_typeEPSI_NS1_7vsmem_tEENKUlT_SG_SH_SI_E_clIS7_S7_PlSB_EESF_SV_SG_SH_SI_EUlSV_E0_NS1_11comp_targetILNS1_3genE2ELNS1_11target_archE906ELNS1_3gpuE6ELNS1_3repE0EEENS1_38merge_mergepath_config_static_selectorELNS0_4arch9wavefront6targetE1EEEvSH_.num_named_barrier, 0
	.set _ZN7rocprim17ROCPRIM_400000_NS6detail17trampoline_kernelINS0_14default_configENS1_38merge_sort_block_merge_config_selectorIilEEZZNS1_27merge_sort_block_merge_implIS3_PiN6thrust23THRUST_200600_302600_NS10device_ptrIlEEjNS1_19radix_merge_compareILb0ELb1EiNS0_19identity_decomposerEEEEE10hipError_tT0_T1_T2_jT3_P12ihipStream_tbPNSt15iterator_traitsISG_E10value_typeEPNSM_ISH_E10value_typeEPSI_NS1_7vsmem_tEENKUlT_SG_SH_SI_E_clIS7_S7_PlSB_EESF_SV_SG_SH_SI_EUlSV_E0_NS1_11comp_targetILNS1_3genE2ELNS1_11target_archE906ELNS1_3gpuE6ELNS1_3repE0EEENS1_38merge_mergepath_config_static_selectorELNS0_4arch9wavefront6targetE1EEEvSH_.private_seg_size, 0
	.set _ZN7rocprim17ROCPRIM_400000_NS6detail17trampoline_kernelINS0_14default_configENS1_38merge_sort_block_merge_config_selectorIilEEZZNS1_27merge_sort_block_merge_implIS3_PiN6thrust23THRUST_200600_302600_NS10device_ptrIlEEjNS1_19radix_merge_compareILb0ELb1EiNS0_19identity_decomposerEEEEE10hipError_tT0_T1_T2_jT3_P12ihipStream_tbPNSt15iterator_traitsISG_E10value_typeEPNSM_ISH_E10value_typeEPSI_NS1_7vsmem_tEENKUlT_SG_SH_SI_E_clIS7_S7_PlSB_EESF_SV_SG_SH_SI_EUlSV_E0_NS1_11comp_targetILNS1_3genE2ELNS1_11target_archE906ELNS1_3gpuE6ELNS1_3repE0EEENS1_38merge_mergepath_config_static_selectorELNS0_4arch9wavefront6targetE1EEEvSH_.uses_vcc, 1
	.set _ZN7rocprim17ROCPRIM_400000_NS6detail17trampoline_kernelINS0_14default_configENS1_38merge_sort_block_merge_config_selectorIilEEZZNS1_27merge_sort_block_merge_implIS3_PiN6thrust23THRUST_200600_302600_NS10device_ptrIlEEjNS1_19radix_merge_compareILb0ELb1EiNS0_19identity_decomposerEEEEE10hipError_tT0_T1_T2_jT3_P12ihipStream_tbPNSt15iterator_traitsISG_E10value_typeEPNSM_ISH_E10value_typeEPSI_NS1_7vsmem_tEENKUlT_SG_SH_SI_E_clIS7_S7_PlSB_EESF_SV_SG_SH_SI_EUlSV_E0_NS1_11comp_targetILNS1_3genE2ELNS1_11target_archE906ELNS1_3gpuE6ELNS1_3repE0EEENS1_38merge_mergepath_config_static_selectorELNS0_4arch9wavefront6targetE1EEEvSH_.uses_flat_scratch, 0
	.set _ZN7rocprim17ROCPRIM_400000_NS6detail17trampoline_kernelINS0_14default_configENS1_38merge_sort_block_merge_config_selectorIilEEZZNS1_27merge_sort_block_merge_implIS3_PiN6thrust23THRUST_200600_302600_NS10device_ptrIlEEjNS1_19radix_merge_compareILb0ELb1EiNS0_19identity_decomposerEEEEE10hipError_tT0_T1_T2_jT3_P12ihipStream_tbPNSt15iterator_traitsISG_E10value_typeEPNSM_ISH_E10value_typeEPSI_NS1_7vsmem_tEENKUlT_SG_SH_SI_E_clIS7_S7_PlSB_EESF_SV_SG_SH_SI_EUlSV_E0_NS1_11comp_targetILNS1_3genE2ELNS1_11target_archE906ELNS1_3gpuE6ELNS1_3repE0EEENS1_38merge_mergepath_config_static_selectorELNS0_4arch9wavefront6targetE1EEEvSH_.has_dyn_sized_stack, 0
	.set _ZN7rocprim17ROCPRIM_400000_NS6detail17trampoline_kernelINS0_14default_configENS1_38merge_sort_block_merge_config_selectorIilEEZZNS1_27merge_sort_block_merge_implIS3_PiN6thrust23THRUST_200600_302600_NS10device_ptrIlEEjNS1_19radix_merge_compareILb0ELb1EiNS0_19identity_decomposerEEEEE10hipError_tT0_T1_T2_jT3_P12ihipStream_tbPNSt15iterator_traitsISG_E10value_typeEPNSM_ISH_E10value_typeEPSI_NS1_7vsmem_tEENKUlT_SG_SH_SI_E_clIS7_S7_PlSB_EESF_SV_SG_SH_SI_EUlSV_E0_NS1_11comp_targetILNS1_3genE2ELNS1_11target_archE906ELNS1_3gpuE6ELNS1_3repE0EEENS1_38merge_mergepath_config_static_selectorELNS0_4arch9wavefront6targetE1EEEvSH_.has_recursion, 0
	.set _ZN7rocprim17ROCPRIM_400000_NS6detail17trampoline_kernelINS0_14default_configENS1_38merge_sort_block_merge_config_selectorIilEEZZNS1_27merge_sort_block_merge_implIS3_PiN6thrust23THRUST_200600_302600_NS10device_ptrIlEEjNS1_19radix_merge_compareILb0ELb1EiNS0_19identity_decomposerEEEEE10hipError_tT0_T1_T2_jT3_P12ihipStream_tbPNSt15iterator_traitsISG_E10value_typeEPNSM_ISH_E10value_typeEPSI_NS1_7vsmem_tEENKUlT_SG_SH_SI_E_clIS7_S7_PlSB_EESF_SV_SG_SH_SI_EUlSV_E0_NS1_11comp_targetILNS1_3genE2ELNS1_11target_archE906ELNS1_3gpuE6ELNS1_3repE0EEENS1_38merge_mergepath_config_static_selectorELNS0_4arch9wavefront6targetE1EEEvSH_.has_indirect_call, 0
	.section	.AMDGPU.csdata,"",@progbits
; Kernel info:
; codeLenInByte = 3560
; TotalNumSgprs: 38
; NumVgprs: 35
; ScratchSize: 0
; MemoryBound: 0
; FloatMode: 240
; IeeeMode: 1
; LDSByteSize: 8448 bytes/workgroup (compile time only)
; SGPRBlocks: 10
; VGPRBlocks: 8
; NumSGPRsForWavesPerEU: 81
; NumVGPRsForWavesPerEU: 35
; Occupancy: 7
; WaveLimiterHint : 1
; COMPUTE_PGM_RSRC2:SCRATCH_EN: 0
; COMPUTE_PGM_RSRC2:USER_SGPR: 6
; COMPUTE_PGM_RSRC2:TRAP_HANDLER: 0
; COMPUTE_PGM_RSRC2:TGID_X_EN: 1
; COMPUTE_PGM_RSRC2:TGID_Y_EN: 1
; COMPUTE_PGM_RSRC2:TGID_Z_EN: 1
; COMPUTE_PGM_RSRC2:TIDIG_COMP_CNT: 0
	.section	.text._ZN7rocprim17ROCPRIM_400000_NS6detail17trampoline_kernelINS0_14default_configENS1_38merge_sort_block_merge_config_selectorIilEEZZNS1_27merge_sort_block_merge_implIS3_PiN6thrust23THRUST_200600_302600_NS10device_ptrIlEEjNS1_19radix_merge_compareILb0ELb1EiNS0_19identity_decomposerEEEEE10hipError_tT0_T1_T2_jT3_P12ihipStream_tbPNSt15iterator_traitsISG_E10value_typeEPNSM_ISH_E10value_typeEPSI_NS1_7vsmem_tEENKUlT_SG_SH_SI_E_clIS7_S7_PlSB_EESF_SV_SG_SH_SI_EUlSV_E0_NS1_11comp_targetILNS1_3genE9ELNS1_11target_archE1100ELNS1_3gpuE3ELNS1_3repE0EEENS1_38merge_mergepath_config_static_selectorELNS0_4arch9wavefront6targetE1EEEvSH_,"axG",@progbits,_ZN7rocprim17ROCPRIM_400000_NS6detail17trampoline_kernelINS0_14default_configENS1_38merge_sort_block_merge_config_selectorIilEEZZNS1_27merge_sort_block_merge_implIS3_PiN6thrust23THRUST_200600_302600_NS10device_ptrIlEEjNS1_19radix_merge_compareILb0ELb1EiNS0_19identity_decomposerEEEEE10hipError_tT0_T1_T2_jT3_P12ihipStream_tbPNSt15iterator_traitsISG_E10value_typeEPNSM_ISH_E10value_typeEPSI_NS1_7vsmem_tEENKUlT_SG_SH_SI_E_clIS7_S7_PlSB_EESF_SV_SG_SH_SI_EUlSV_E0_NS1_11comp_targetILNS1_3genE9ELNS1_11target_archE1100ELNS1_3gpuE3ELNS1_3repE0EEENS1_38merge_mergepath_config_static_selectorELNS0_4arch9wavefront6targetE1EEEvSH_,comdat
	.protected	_ZN7rocprim17ROCPRIM_400000_NS6detail17trampoline_kernelINS0_14default_configENS1_38merge_sort_block_merge_config_selectorIilEEZZNS1_27merge_sort_block_merge_implIS3_PiN6thrust23THRUST_200600_302600_NS10device_ptrIlEEjNS1_19radix_merge_compareILb0ELb1EiNS0_19identity_decomposerEEEEE10hipError_tT0_T1_T2_jT3_P12ihipStream_tbPNSt15iterator_traitsISG_E10value_typeEPNSM_ISH_E10value_typeEPSI_NS1_7vsmem_tEENKUlT_SG_SH_SI_E_clIS7_S7_PlSB_EESF_SV_SG_SH_SI_EUlSV_E0_NS1_11comp_targetILNS1_3genE9ELNS1_11target_archE1100ELNS1_3gpuE3ELNS1_3repE0EEENS1_38merge_mergepath_config_static_selectorELNS0_4arch9wavefront6targetE1EEEvSH_ ; -- Begin function _ZN7rocprim17ROCPRIM_400000_NS6detail17trampoline_kernelINS0_14default_configENS1_38merge_sort_block_merge_config_selectorIilEEZZNS1_27merge_sort_block_merge_implIS3_PiN6thrust23THRUST_200600_302600_NS10device_ptrIlEEjNS1_19radix_merge_compareILb0ELb1EiNS0_19identity_decomposerEEEEE10hipError_tT0_T1_T2_jT3_P12ihipStream_tbPNSt15iterator_traitsISG_E10value_typeEPNSM_ISH_E10value_typeEPSI_NS1_7vsmem_tEENKUlT_SG_SH_SI_E_clIS7_S7_PlSB_EESF_SV_SG_SH_SI_EUlSV_E0_NS1_11comp_targetILNS1_3genE9ELNS1_11target_archE1100ELNS1_3gpuE3ELNS1_3repE0EEENS1_38merge_mergepath_config_static_selectorELNS0_4arch9wavefront6targetE1EEEvSH_
	.globl	_ZN7rocprim17ROCPRIM_400000_NS6detail17trampoline_kernelINS0_14default_configENS1_38merge_sort_block_merge_config_selectorIilEEZZNS1_27merge_sort_block_merge_implIS3_PiN6thrust23THRUST_200600_302600_NS10device_ptrIlEEjNS1_19radix_merge_compareILb0ELb1EiNS0_19identity_decomposerEEEEE10hipError_tT0_T1_T2_jT3_P12ihipStream_tbPNSt15iterator_traitsISG_E10value_typeEPNSM_ISH_E10value_typeEPSI_NS1_7vsmem_tEENKUlT_SG_SH_SI_E_clIS7_S7_PlSB_EESF_SV_SG_SH_SI_EUlSV_E0_NS1_11comp_targetILNS1_3genE9ELNS1_11target_archE1100ELNS1_3gpuE3ELNS1_3repE0EEENS1_38merge_mergepath_config_static_selectorELNS0_4arch9wavefront6targetE1EEEvSH_
	.p2align	8
	.type	_ZN7rocprim17ROCPRIM_400000_NS6detail17trampoline_kernelINS0_14default_configENS1_38merge_sort_block_merge_config_selectorIilEEZZNS1_27merge_sort_block_merge_implIS3_PiN6thrust23THRUST_200600_302600_NS10device_ptrIlEEjNS1_19radix_merge_compareILb0ELb1EiNS0_19identity_decomposerEEEEE10hipError_tT0_T1_T2_jT3_P12ihipStream_tbPNSt15iterator_traitsISG_E10value_typeEPNSM_ISH_E10value_typeEPSI_NS1_7vsmem_tEENKUlT_SG_SH_SI_E_clIS7_S7_PlSB_EESF_SV_SG_SH_SI_EUlSV_E0_NS1_11comp_targetILNS1_3genE9ELNS1_11target_archE1100ELNS1_3gpuE3ELNS1_3repE0EEENS1_38merge_mergepath_config_static_selectorELNS0_4arch9wavefront6targetE1EEEvSH_,@function
_ZN7rocprim17ROCPRIM_400000_NS6detail17trampoline_kernelINS0_14default_configENS1_38merge_sort_block_merge_config_selectorIilEEZZNS1_27merge_sort_block_merge_implIS3_PiN6thrust23THRUST_200600_302600_NS10device_ptrIlEEjNS1_19radix_merge_compareILb0ELb1EiNS0_19identity_decomposerEEEEE10hipError_tT0_T1_T2_jT3_P12ihipStream_tbPNSt15iterator_traitsISG_E10value_typeEPNSM_ISH_E10value_typeEPSI_NS1_7vsmem_tEENKUlT_SG_SH_SI_E_clIS7_S7_PlSB_EESF_SV_SG_SH_SI_EUlSV_E0_NS1_11comp_targetILNS1_3genE9ELNS1_11target_archE1100ELNS1_3gpuE3ELNS1_3repE0EEENS1_38merge_mergepath_config_static_selectorELNS0_4arch9wavefront6targetE1EEEvSH_: ; @_ZN7rocprim17ROCPRIM_400000_NS6detail17trampoline_kernelINS0_14default_configENS1_38merge_sort_block_merge_config_selectorIilEEZZNS1_27merge_sort_block_merge_implIS3_PiN6thrust23THRUST_200600_302600_NS10device_ptrIlEEjNS1_19radix_merge_compareILb0ELb1EiNS0_19identity_decomposerEEEEE10hipError_tT0_T1_T2_jT3_P12ihipStream_tbPNSt15iterator_traitsISG_E10value_typeEPNSM_ISH_E10value_typeEPSI_NS1_7vsmem_tEENKUlT_SG_SH_SI_E_clIS7_S7_PlSB_EESF_SV_SG_SH_SI_EUlSV_E0_NS1_11comp_targetILNS1_3genE9ELNS1_11target_archE1100ELNS1_3gpuE3ELNS1_3repE0EEENS1_38merge_mergepath_config_static_selectorELNS0_4arch9wavefront6targetE1EEEvSH_
; %bb.0:
	.section	.rodata,"a",@progbits
	.p2align	6, 0x0
	.amdhsa_kernel _ZN7rocprim17ROCPRIM_400000_NS6detail17trampoline_kernelINS0_14default_configENS1_38merge_sort_block_merge_config_selectorIilEEZZNS1_27merge_sort_block_merge_implIS3_PiN6thrust23THRUST_200600_302600_NS10device_ptrIlEEjNS1_19radix_merge_compareILb0ELb1EiNS0_19identity_decomposerEEEEE10hipError_tT0_T1_T2_jT3_P12ihipStream_tbPNSt15iterator_traitsISG_E10value_typeEPNSM_ISH_E10value_typeEPSI_NS1_7vsmem_tEENKUlT_SG_SH_SI_E_clIS7_S7_PlSB_EESF_SV_SG_SH_SI_EUlSV_E0_NS1_11comp_targetILNS1_3genE9ELNS1_11target_archE1100ELNS1_3gpuE3ELNS1_3repE0EEENS1_38merge_mergepath_config_static_selectorELNS0_4arch9wavefront6targetE1EEEvSH_
		.amdhsa_group_segment_fixed_size 0
		.amdhsa_private_segment_fixed_size 0
		.amdhsa_kernarg_size 64
		.amdhsa_user_sgpr_count 6
		.amdhsa_user_sgpr_private_segment_buffer 1
		.amdhsa_user_sgpr_dispatch_ptr 0
		.amdhsa_user_sgpr_queue_ptr 0
		.amdhsa_user_sgpr_kernarg_segment_ptr 1
		.amdhsa_user_sgpr_dispatch_id 0
		.amdhsa_user_sgpr_flat_scratch_init 0
		.amdhsa_user_sgpr_private_segment_size 0
		.amdhsa_uses_dynamic_stack 0
		.amdhsa_system_sgpr_private_segment_wavefront_offset 0
		.amdhsa_system_sgpr_workgroup_id_x 1
		.amdhsa_system_sgpr_workgroup_id_y 0
		.amdhsa_system_sgpr_workgroup_id_z 0
		.amdhsa_system_sgpr_workgroup_info 0
		.amdhsa_system_vgpr_workitem_id 0
		.amdhsa_next_free_vgpr 1
		.amdhsa_next_free_sgpr 0
		.amdhsa_reserve_vcc 0
		.amdhsa_reserve_flat_scratch 0
		.amdhsa_float_round_mode_32 0
		.amdhsa_float_round_mode_16_64 0
		.amdhsa_float_denorm_mode_32 3
		.amdhsa_float_denorm_mode_16_64 3
		.amdhsa_dx10_clamp 1
		.amdhsa_ieee_mode 1
		.amdhsa_fp16_overflow 0
		.amdhsa_exception_fp_ieee_invalid_op 0
		.amdhsa_exception_fp_denorm_src 0
		.amdhsa_exception_fp_ieee_div_zero 0
		.amdhsa_exception_fp_ieee_overflow 0
		.amdhsa_exception_fp_ieee_underflow 0
		.amdhsa_exception_fp_ieee_inexact 0
		.amdhsa_exception_int_div_zero 0
	.end_amdhsa_kernel
	.section	.text._ZN7rocprim17ROCPRIM_400000_NS6detail17trampoline_kernelINS0_14default_configENS1_38merge_sort_block_merge_config_selectorIilEEZZNS1_27merge_sort_block_merge_implIS3_PiN6thrust23THRUST_200600_302600_NS10device_ptrIlEEjNS1_19radix_merge_compareILb0ELb1EiNS0_19identity_decomposerEEEEE10hipError_tT0_T1_T2_jT3_P12ihipStream_tbPNSt15iterator_traitsISG_E10value_typeEPNSM_ISH_E10value_typeEPSI_NS1_7vsmem_tEENKUlT_SG_SH_SI_E_clIS7_S7_PlSB_EESF_SV_SG_SH_SI_EUlSV_E0_NS1_11comp_targetILNS1_3genE9ELNS1_11target_archE1100ELNS1_3gpuE3ELNS1_3repE0EEENS1_38merge_mergepath_config_static_selectorELNS0_4arch9wavefront6targetE1EEEvSH_,"axG",@progbits,_ZN7rocprim17ROCPRIM_400000_NS6detail17trampoline_kernelINS0_14default_configENS1_38merge_sort_block_merge_config_selectorIilEEZZNS1_27merge_sort_block_merge_implIS3_PiN6thrust23THRUST_200600_302600_NS10device_ptrIlEEjNS1_19radix_merge_compareILb0ELb1EiNS0_19identity_decomposerEEEEE10hipError_tT0_T1_T2_jT3_P12ihipStream_tbPNSt15iterator_traitsISG_E10value_typeEPNSM_ISH_E10value_typeEPSI_NS1_7vsmem_tEENKUlT_SG_SH_SI_E_clIS7_S7_PlSB_EESF_SV_SG_SH_SI_EUlSV_E0_NS1_11comp_targetILNS1_3genE9ELNS1_11target_archE1100ELNS1_3gpuE3ELNS1_3repE0EEENS1_38merge_mergepath_config_static_selectorELNS0_4arch9wavefront6targetE1EEEvSH_,comdat
.Lfunc_end814:
	.size	_ZN7rocprim17ROCPRIM_400000_NS6detail17trampoline_kernelINS0_14default_configENS1_38merge_sort_block_merge_config_selectorIilEEZZNS1_27merge_sort_block_merge_implIS3_PiN6thrust23THRUST_200600_302600_NS10device_ptrIlEEjNS1_19radix_merge_compareILb0ELb1EiNS0_19identity_decomposerEEEEE10hipError_tT0_T1_T2_jT3_P12ihipStream_tbPNSt15iterator_traitsISG_E10value_typeEPNSM_ISH_E10value_typeEPSI_NS1_7vsmem_tEENKUlT_SG_SH_SI_E_clIS7_S7_PlSB_EESF_SV_SG_SH_SI_EUlSV_E0_NS1_11comp_targetILNS1_3genE9ELNS1_11target_archE1100ELNS1_3gpuE3ELNS1_3repE0EEENS1_38merge_mergepath_config_static_selectorELNS0_4arch9wavefront6targetE1EEEvSH_, .Lfunc_end814-_ZN7rocprim17ROCPRIM_400000_NS6detail17trampoline_kernelINS0_14default_configENS1_38merge_sort_block_merge_config_selectorIilEEZZNS1_27merge_sort_block_merge_implIS3_PiN6thrust23THRUST_200600_302600_NS10device_ptrIlEEjNS1_19radix_merge_compareILb0ELb1EiNS0_19identity_decomposerEEEEE10hipError_tT0_T1_T2_jT3_P12ihipStream_tbPNSt15iterator_traitsISG_E10value_typeEPNSM_ISH_E10value_typeEPSI_NS1_7vsmem_tEENKUlT_SG_SH_SI_E_clIS7_S7_PlSB_EESF_SV_SG_SH_SI_EUlSV_E0_NS1_11comp_targetILNS1_3genE9ELNS1_11target_archE1100ELNS1_3gpuE3ELNS1_3repE0EEENS1_38merge_mergepath_config_static_selectorELNS0_4arch9wavefront6targetE1EEEvSH_
                                        ; -- End function
	.set _ZN7rocprim17ROCPRIM_400000_NS6detail17trampoline_kernelINS0_14default_configENS1_38merge_sort_block_merge_config_selectorIilEEZZNS1_27merge_sort_block_merge_implIS3_PiN6thrust23THRUST_200600_302600_NS10device_ptrIlEEjNS1_19radix_merge_compareILb0ELb1EiNS0_19identity_decomposerEEEEE10hipError_tT0_T1_T2_jT3_P12ihipStream_tbPNSt15iterator_traitsISG_E10value_typeEPNSM_ISH_E10value_typeEPSI_NS1_7vsmem_tEENKUlT_SG_SH_SI_E_clIS7_S7_PlSB_EESF_SV_SG_SH_SI_EUlSV_E0_NS1_11comp_targetILNS1_3genE9ELNS1_11target_archE1100ELNS1_3gpuE3ELNS1_3repE0EEENS1_38merge_mergepath_config_static_selectorELNS0_4arch9wavefront6targetE1EEEvSH_.num_vgpr, 0
	.set _ZN7rocprim17ROCPRIM_400000_NS6detail17trampoline_kernelINS0_14default_configENS1_38merge_sort_block_merge_config_selectorIilEEZZNS1_27merge_sort_block_merge_implIS3_PiN6thrust23THRUST_200600_302600_NS10device_ptrIlEEjNS1_19radix_merge_compareILb0ELb1EiNS0_19identity_decomposerEEEEE10hipError_tT0_T1_T2_jT3_P12ihipStream_tbPNSt15iterator_traitsISG_E10value_typeEPNSM_ISH_E10value_typeEPSI_NS1_7vsmem_tEENKUlT_SG_SH_SI_E_clIS7_S7_PlSB_EESF_SV_SG_SH_SI_EUlSV_E0_NS1_11comp_targetILNS1_3genE9ELNS1_11target_archE1100ELNS1_3gpuE3ELNS1_3repE0EEENS1_38merge_mergepath_config_static_selectorELNS0_4arch9wavefront6targetE1EEEvSH_.num_agpr, 0
	.set _ZN7rocprim17ROCPRIM_400000_NS6detail17trampoline_kernelINS0_14default_configENS1_38merge_sort_block_merge_config_selectorIilEEZZNS1_27merge_sort_block_merge_implIS3_PiN6thrust23THRUST_200600_302600_NS10device_ptrIlEEjNS1_19radix_merge_compareILb0ELb1EiNS0_19identity_decomposerEEEEE10hipError_tT0_T1_T2_jT3_P12ihipStream_tbPNSt15iterator_traitsISG_E10value_typeEPNSM_ISH_E10value_typeEPSI_NS1_7vsmem_tEENKUlT_SG_SH_SI_E_clIS7_S7_PlSB_EESF_SV_SG_SH_SI_EUlSV_E0_NS1_11comp_targetILNS1_3genE9ELNS1_11target_archE1100ELNS1_3gpuE3ELNS1_3repE0EEENS1_38merge_mergepath_config_static_selectorELNS0_4arch9wavefront6targetE1EEEvSH_.numbered_sgpr, 0
	.set _ZN7rocprim17ROCPRIM_400000_NS6detail17trampoline_kernelINS0_14default_configENS1_38merge_sort_block_merge_config_selectorIilEEZZNS1_27merge_sort_block_merge_implIS3_PiN6thrust23THRUST_200600_302600_NS10device_ptrIlEEjNS1_19radix_merge_compareILb0ELb1EiNS0_19identity_decomposerEEEEE10hipError_tT0_T1_T2_jT3_P12ihipStream_tbPNSt15iterator_traitsISG_E10value_typeEPNSM_ISH_E10value_typeEPSI_NS1_7vsmem_tEENKUlT_SG_SH_SI_E_clIS7_S7_PlSB_EESF_SV_SG_SH_SI_EUlSV_E0_NS1_11comp_targetILNS1_3genE9ELNS1_11target_archE1100ELNS1_3gpuE3ELNS1_3repE0EEENS1_38merge_mergepath_config_static_selectorELNS0_4arch9wavefront6targetE1EEEvSH_.num_named_barrier, 0
	.set _ZN7rocprim17ROCPRIM_400000_NS6detail17trampoline_kernelINS0_14default_configENS1_38merge_sort_block_merge_config_selectorIilEEZZNS1_27merge_sort_block_merge_implIS3_PiN6thrust23THRUST_200600_302600_NS10device_ptrIlEEjNS1_19radix_merge_compareILb0ELb1EiNS0_19identity_decomposerEEEEE10hipError_tT0_T1_T2_jT3_P12ihipStream_tbPNSt15iterator_traitsISG_E10value_typeEPNSM_ISH_E10value_typeEPSI_NS1_7vsmem_tEENKUlT_SG_SH_SI_E_clIS7_S7_PlSB_EESF_SV_SG_SH_SI_EUlSV_E0_NS1_11comp_targetILNS1_3genE9ELNS1_11target_archE1100ELNS1_3gpuE3ELNS1_3repE0EEENS1_38merge_mergepath_config_static_selectorELNS0_4arch9wavefront6targetE1EEEvSH_.private_seg_size, 0
	.set _ZN7rocprim17ROCPRIM_400000_NS6detail17trampoline_kernelINS0_14default_configENS1_38merge_sort_block_merge_config_selectorIilEEZZNS1_27merge_sort_block_merge_implIS3_PiN6thrust23THRUST_200600_302600_NS10device_ptrIlEEjNS1_19radix_merge_compareILb0ELb1EiNS0_19identity_decomposerEEEEE10hipError_tT0_T1_T2_jT3_P12ihipStream_tbPNSt15iterator_traitsISG_E10value_typeEPNSM_ISH_E10value_typeEPSI_NS1_7vsmem_tEENKUlT_SG_SH_SI_E_clIS7_S7_PlSB_EESF_SV_SG_SH_SI_EUlSV_E0_NS1_11comp_targetILNS1_3genE9ELNS1_11target_archE1100ELNS1_3gpuE3ELNS1_3repE0EEENS1_38merge_mergepath_config_static_selectorELNS0_4arch9wavefront6targetE1EEEvSH_.uses_vcc, 0
	.set _ZN7rocprim17ROCPRIM_400000_NS6detail17trampoline_kernelINS0_14default_configENS1_38merge_sort_block_merge_config_selectorIilEEZZNS1_27merge_sort_block_merge_implIS3_PiN6thrust23THRUST_200600_302600_NS10device_ptrIlEEjNS1_19radix_merge_compareILb0ELb1EiNS0_19identity_decomposerEEEEE10hipError_tT0_T1_T2_jT3_P12ihipStream_tbPNSt15iterator_traitsISG_E10value_typeEPNSM_ISH_E10value_typeEPSI_NS1_7vsmem_tEENKUlT_SG_SH_SI_E_clIS7_S7_PlSB_EESF_SV_SG_SH_SI_EUlSV_E0_NS1_11comp_targetILNS1_3genE9ELNS1_11target_archE1100ELNS1_3gpuE3ELNS1_3repE0EEENS1_38merge_mergepath_config_static_selectorELNS0_4arch9wavefront6targetE1EEEvSH_.uses_flat_scratch, 0
	.set _ZN7rocprim17ROCPRIM_400000_NS6detail17trampoline_kernelINS0_14default_configENS1_38merge_sort_block_merge_config_selectorIilEEZZNS1_27merge_sort_block_merge_implIS3_PiN6thrust23THRUST_200600_302600_NS10device_ptrIlEEjNS1_19radix_merge_compareILb0ELb1EiNS0_19identity_decomposerEEEEE10hipError_tT0_T1_T2_jT3_P12ihipStream_tbPNSt15iterator_traitsISG_E10value_typeEPNSM_ISH_E10value_typeEPSI_NS1_7vsmem_tEENKUlT_SG_SH_SI_E_clIS7_S7_PlSB_EESF_SV_SG_SH_SI_EUlSV_E0_NS1_11comp_targetILNS1_3genE9ELNS1_11target_archE1100ELNS1_3gpuE3ELNS1_3repE0EEENS1_38merge_mergepath_config_static_selectorELNS0_4arch9wavefront6targetE1EEEvSH_.has_dyn_sized_stack, 0
	.set _ZN7rocprim17ROCPRIM_400000_NS6detail17trampoline_kernelINS0_14default_configENS1_38merge_sort_block_merge_config_selectorIilEEZZNS1_27merge_sort_block_merge_implIS3_PiN6thrust23THRUST_200600_302600_NS10device_ptrIlEEjNS1_19radix_merge_compareILb0ELb1EiNS0_19identity_decomposerEEEEE10hipError_tT0_T1_T2_jT3_P12ihipStream_tbPNSt15iterator_traitsISG_E10value_typeEPNSM_ISH_E10value_typeEPSI_NS1_7vsmem_tEENKUlT_SG_SH_SI_E_clIS7_S7_PlSB_EESF_SV_SG_SH_SI_EUlSV_E0_NS1_11comp_targetILNS1_3genE9ELNS1_11target_archE1100ELNS1_3gpuE3ELNS1_3repE0EEENS1_38merge_mergepath_config_static_selectorELNS0_4arch9wavefront6targetE1EEEvSH_.has_recursion, 0
	.set _ZN7rocprim17ROCPRIM_400000_NS6detail17trampoline_kernelINS0_14default_configENS1_38merge_sort_block_merge_config_selectorIilEEZZNS1_27merge_sort_block_merge_implIS3_PiN6thrust23THRUST_200600_302600_NS10device_ptrIlEEjNS1_19radix_merge_compareILb0ELb1EiNS0_19identity_decomposerEEEEE10hipError_tT0_T1_T2_jT3_P12ihipStream_tbPNSt15iterator_traitsISG_E10value_typeEPNSM_ISH_E10value_typeEPSI_NS1_7vsmem_tEENKUlT_SG_SH_SI_E_clIS7_S7_PlSB_EESF_SV_SG_SH_SI_EUlSV_E0_NS1_11comp_targetILNS1_3genE9ELNS1_11target_archE1100ELNS1_3gpuE3ELNS1_3repE0EEENS1_38merge_mergepath_config_static_selectorELNS0_4arch9wavefront6targetE1EEEvSH_.has_indirect_call, 0
	.section	.AMDGPU.csdata,"",@progbits
; Kernel info:
; codeLenInByte = 0
; TotalNumSgprs: 4
; NumVgprs: 0
; ScratchSize: 0
; MemoryBound: 0
; FloatMode: 240
; IeeeMode: 1
; LDSByteSize: 0 bytes/workgroup (compile time only)
; SGPRBlocks: 0
; VGPRBlocks: 0
; NumSGPRsForWavesPerEU: 4
; NumVGPRsForWavesPerEU: 1
; Occupancy: 10
; WaveLimiterHint : 0
; COMPUTE_PGM_RSRC2:SCRATCH_EN: 0
; COMPUTE_PGM_RSRC2:USER_SGPR: 6
; COMPUTE_PGM_RSRC2:TRAP_HANDLER: 0
; COMPUTE_PGM_RSRC2:TGID_X_EN: 1
; COMPUTE_PGM_RSRC2:TGID_Y_EN: 0
; COMPUTE_PGM_RSRC2:TGID_Z_EN: 0
; COMPUTE_PGM_RSRC2:TIDIG_COMP_CNT: 0
	.section	.text._ZN7rocprim17ROCPRIM_400000_NS6detail17trampoline_kernelINS0_14default_configENS1_38merge_sort_block_merge_config_selectorIilEEZZNS1_27merge_sort_block_merge_implIS3_PiN6thrust23THRUST_200600_302600_NS10device_ptrIlEEjNS1_19radix_merge_compareILb0ELb1EiNS0_19identity_decomposerEEEEE10hipError_tT0_T1_T2_jT3_P12ihipStream_tbPNSt15iterator_traitsISG_E10value_typeEPNSM_ISH_E10value_typeEPSI_NS1_7vsmem_tEENKUlT_SG_SH_SI_E_clIS7_S7_PlSB_EESF_SV_SG_SH_SI_EUlSV_E0_NS1_11comp_targetILNS1_3genE8ELNS1_11target_archE1030ELNS1_3gpuE2ELNS1_3repE0EEENS1_38merge_mergepath_config_static_selectorELNS0_4arch9wavefront6targetE1EEEvSH_,"axG",@progbits,_ZN7rocprim17ROCPRIM_400000_NS6detail17trampoline_kernelINS0_14default_configENS1_38merge_sort_block_merge_config_selectorIilEEZZNS1_27merge_sort_block_merge_implIS3_PiN6thrust23THRUST_200600_302600_NS10device_ptrIlEEjNS1_19radix_merge_compareILb0ELb1EiNS0_19identity_decomposerEEEEE10hipError_tT0_T1_T2_jT3_P12ihipStream_tbPNSt15iterator_traitsISG_E10value_typeEPNSM_ISH_E10value_typeEPSI_NS1_7vsmem_tEENKUlT_SG_SH_SI_E_clIS7_S7_PlSB_EESF_SV_SG_SH_SI_EUlSV_E0_NS1_11comp_targetILNS1_3genE8ELNS1_11target_archE1030ELNS1_3gpuE2ELNS1_3repE0EEENS1_38merge_mergepath_config_static_selectorELNS0_4arch9wavefront6targetE1EEEvSH_,comdat
	.protected	_ZN7rocprim17ROCPRIM_400000_NS6detail17trampoline_kernelINS0_14default_configENS1_38merge_sort_block_merge_config_selectorIilEEZZNS1_27merge_sort_block_merge_implIS3_PiN6thrust23THRUST_200600_302600_NS10device_ptrIlEEjNS1_19radix_merge_compareILb0ELb1EiNS0_19identity_decomposerEEEEE10hipError_tT0_T1_T2_jT3_P12ihipStream_tbPNSt15iterator_traitsISG_E10value_typeEPNSM_ISH_E10value_typeEPSI_NS1_7vsmem_tEENKUlT_SG_SH_SI_E_clIS7_S7_PlSB_EESF_SV_SG_SH_SI_EUlSV_E0_NS1_11comp_targetILNS1_3genE8ELNS1_11target_archE1030ELNS1_3gpuE2ELNS1_3repE0EEENS1_38merge_mergepath_config_static_selectorELNS0_4arch9wavefront6targetE1EEEvSH_ ; -- Begin function _ZN7rocprim17ROCPRIM_400000_NS6detail17trampoline_kernelINS0_14default_configENS1_38merge_sort_block_merge_config_selectorIilEEZZNS1_27merge_sort_block_merge_implIS3_PiN6thrust23THRUST_200600_302600_NS10device_ptrIlEEjNS1_19radix_merge_compareILb0ELb1EiNS0_19identity_decomposerEEEEE10hipError_tT0_T1_T2_jT3_P12ihipStream_tbPNSt15iterator_traitsISG_E10value_typeEPNSM_ISH_E10value_typeEPSI_NS1_7vsmem_tEENKUlT_SG_SH_SI_E_clIS7_S7_PlSB_EESF_SV_SG_SH_SI_EUlSV_E0_NS1_11comp_targetILNS1_3genE8ELNS1_11target_archE1030ELNS1_3gpuE2ELNS1_3repE0EEENS1_38merge_mergepath_config_static_selectorELNS0_4arch9wavefront6targetE1EEEvSH_
	.globl	_ZN7rocprim17ROCPRIM_400000_NS6detail17trampoline_kernelINS0_14default_configENS1_38merge_sort_block_merge_config_selectorIilEEZZNS1_27merge_sort_block_merge_implIS3_PiN6thrust23THRUST_200600_302600_NS10device_ptrIlEEjNS1_19radix_merge_compareILb0ELb1EiNS0_19identity_decomposerEEEEE10hipError_tT0_T1_T2_jT3_P12ihipStream_tbPNSt15iterator_traitsISG_E10value_typeEPNSM_ISH_E10value_typeEPSI_NS1_7vsmem_tEENKUlT_SG_SH_SI_E_clIS7_S7_PlSB_EESF_SV_SG_SH_SI_EUlSV_E0_NS1_11comp_targetILNS1_3genE8ELNS1_11target_archE1030ELNS1_3gpuE2ELNS1_3repE0EEENS1_38merge_mergepath_config_static_selectorELNS0_4arch9wavefront6targetE1EEEvSH_
	.p2align	8
	.type	_ZN7rocprim17ROCPRIM_400000_NS6detail17trampoline_kernelINS0_14default_configENS1_38merge_sort_block_merge_config_selectorIilEEZZNS1_27merge_sort_block_merge_implIS3_PiN6thrust23THRUST_200600_302600_NS10device_ptrIlEEjNS1_19radix_merge_compareILb0ELb1EiNS0_19identity_decomposerEEEEE10hipError_tT0_T1_T2_jT3_P12ihipStream_tbPNSt15iterator_traitsISG_E10value_typeEPNSM_ISH_E10value_typeEPSI_NS1_7vsmem_tEENKUlT_SG_SH_SI_E_clIS7_S7_PlSB_EESF_SV_SG_SH_SI_EUlSV_E0_NS1_11comp_targetILNS1_3genE8ELNS1_11target_archE1030ELNS1_3gpuE2ELNS1_3repE0EEENS1_38merge_mergepath_config_static_selectorELNS0_4arch9wavefront6targetE1EEEvSH_,@function
_ZN7rocprim17ROCPRIM_400000_NS6detail17trampoline_kernelINS0_14default_configENS1_38merge_sort_block_merge_config_selectorIilEEZZNS1_27merge_sort_block_merge_implIS3_PiN6thrust23THRUST_200600_302600_NS10device_ptrIlEEjNS1_19radix_merge_compareILb0ELb1EiNS0_19identity_decomposerEEEEE10hipError_tT0_T1_T2_jT3_P12ihipStream_tbPNSt15iterator_traitsISG_E10value_typeEPNSM_ISH_E10value_typeEPSI_NS1_7vsmem_tEENKUlT_SG_SH_SI_E_clIS7_S7_PlSB_EESF_SV_SG_SH_SI_EUlSV_E0_NS1_11comp_targetILNS1_3genE8ELNS1_11target_archE1030ELNS1_3gpuE2ELNS1_3repE0EEENS1_38merge_mergepath_config_static_selectorELNS0_4arch9wavefront6targetE1EEEvSH_: ; @_ZN7rocprim17ROCPRIM_400000_NS6detail17trampoline_kernelINS0_14default_configENS1_38merge_sort_block_merge_config_selectorIilEEZZNS1_27merge_sort_block_merge_implIS3_PiN6thrust23THRUST_200600_302600_NS10device_ptrIlEEjNS1_19radix_merge_compareILb0ELb1EiNS0_19identity_decomposerEEEEE10hipError_tT0_T1_T2_jT3_P12ihipStream_tbPNSt15iterator_traitsISG_E10value_typeEPNSM_ISH_E10value_typeEPSI_NS1_7vsmem_tEENKUlT_SG_SH_SI_E_clIS7_S7_PlSB_EESF_SV_SG_SH_SI_EUlSV_E0_NS1_11comp_targetILNS1_3genE8ELNS1_11target_archE1030ELNS1_3gpuE2ELNS1_3repE0EEENS1_38merge_mergepath_config_static_selectorELNS0_4arch9wavefront6targetE1EEEvSH_
; %bb.0:
	.section	.rodata,"a",@progbits
	.p2align	6, 0x0
	.amdhsa_kernel _ZN7rocprim17ROCPRIM_400000_NS6detail17trampoline_kernelINS0_14default_configENS1_38merge_sort_block_merge_config_selectorIilEEZZNS1_27merge_sort_block_merge_implIS3_PiN6thrust23THRUST_200600_302600_NS10device_ptrIlEEjNS1_19radix_merge_compareILb0ELb1EiNS0_19identity_decomposerEEEEE10hipError_tT0_T1_T2_jT3_P12ihipStream_tbPNSt15iterator_traitsISG_E10value_typeEPNSM_ISH_E10value_typeEPSI_NS1_7vsmem_tEENKUlT_SG_SH_SI_E_clIS7_S7_PlSB_EESF_SV_SG_SH_SI_EUlSV_E0_NS1_11comp_targetILNS1_3genE8ELNS1_11target_archE1030ELNS1_3gpuE2ELNS1_3repE0EEENS1_38merge_mergepath_config_static_selectorELNS0_4arch9wavefront6targetE1EEEvSH_
		.amdhsa_group_segment_fixed_size 0
		.amdhsa_private_segment_fixed_size 0
		.amdhsa_kernarg_size 64
		.amdhsa_user_sgpr_count 6
		.amdhsa_user_sgpr_private_segment_buffer 1
		.amdhsa_user_sgpr_dispatch_ptr 0
		.amdhsa_user_sgpr_queue_ptr 0
		.amdhsa_user_sgpr_kernarg_segment_ptr 1
		.amdhsa_user_sgpr_dispatch_id 0
		.amdhsa_user_sgpr_flat_scratch_init 0
		.amdhsa_user_sgpr_private_segment_size 0
		.amdhsa_uses_dynamic_stack 0
		.amdhsa_system_sgpr_private_segment_wavefront_offset 0
		.amdhsa_system_sgpr_workgroup_id_x 1
		.amdhsa_system_sgpr_workgroup_id_y 0
		.amdhsa_system_sgpr_workgroup_id_z 0
		.amdhsa_system_sgpr_workgroup_info 0
		.amdhsa_system_vgpr_workitem_id 0
		.amdhsa_next_free_vgpr 1
		.amdhsa_next_free_sgpr 0
		.amdhsa_reserve_vcc 0
		.amdhsa_reserve_flat_scratch 0
		.amdhsa_float_round_mode_32 0
		.amdhsa_float_round_mode_16_64 0
		.amdhsa_float_denorm_mode_32 3
		.amdhsa_float_denorm_mode_16_64 3
		.amdhsa_dx10_clamp 1
		.amdhsa_ieee_mode 1
		.amdhsa_fp16_overflow 0
		.amdhsa_exception_fp_ieee_invalid_op 0
		.amdhsa_exception_fp_denorm_src 0
		.amdhsa_exception_fp_ieee_div_zero 0
		.amdhsa_exception_fp_ieee_overflow 0
		.amdhsa_exception_fp_ieee_underflow 0
		.amdhsa_exception_fp_ieee_inexact 0
		.amdhsa_exception_int_div_zero 0
	.end_amdhsa_kernel
	.section	.text._ZN7rocprim17ROCPRIM_400000_NS6detail17trampoline_kernelINS0_14default_configENS1_38merge_sort_block_merge_config_selectorIilEEZZNS1_27merge_sort_block_merge_implIS3_PiN6thrust23THRUST_200600_302600_NS10device_ptrIlEEjNS1_19radix_merge_compareILb0ELb1EiNS0_19identity_decomposerEEEEE10hipError_tT0_T1_T2_jT3_P12ihipStream_tbPNSt15iterator_traitsISG_E10value_typeEPNSM_ISH_E10value_typeEPSI_NS1_7vsmem_tEENKUlT_SG_SH_SI_E_clIS7_S7_PlSB_EESF_SV_SG_SH_SI_EUlSV_E0_NS1_11comp_targetILNS1_3genE8ELNS1_11target_archE1030ELNS1_3gpuE2ELNS1_3repE0EEENS1_38merge_mergepath_config_static_selectorELNS0_4arch9wavefront6targetE1EEEvSH_,"axG",@progbits,_ZN7rocprim17ROCPRIM_400000_NS6detail17trampoline_kernelINS0_14default_configENS1_38merge_sort_block_merge_config_selectorIilEEZZNS1_27merge_sort_block_merge_implIS3_PiN6thrust23THRUST_200600_302600_NS10device_ptrIlEEjNS1_19radix_merge_compareILb0ELb1EiNS0_19identity_decomposerEEEEE10hipError_tT0_T1_T2_jT3_P12ihipStream_tbPNSt15iterator_traitsISG_E10value_typeEPNSM_ISH_E10value_typeEPSI_NS1_7vsmem_tEENKUlT_SG_SH_SI_E_clIS7_S7_PlSB_EESF_SV_SG_SH_SI_EUlSV_E0_NS1_11comp_targetILNS1_3genE8ELNS1_11target_archE1030ELNS1_3gpuE2ELNS1_3repE0EEENS1_38merge_mergepath_config_static_selectorELNS0_4arch9wavefront6targetE1EEEvSH_,comdat
.Lfunc_end815:
	.size	_ZN7rocprim17ROCPRIM_400000_NS6detail17trampoline_kernelINS0_14default_configENS1_38merge_sort_block_merge_config_selectorIilEEZZNS1_27merge_sort_block_merge_implIS3_PiN6thrust23THRUST_200600_302600_NS10device_ptrIlEEjNS1_19radix_merge_compareILb0ELb1EiNS0_19identity_decomposerEEEEE10hipError_tT0_T1_T2_jT3_P12ihipStream_tbPNSt15iterator_traitsISG_E10value_typeEPNSM_ISH_E10value_typeEPSI_NS1_7vsmem_tEENKUlT_SG_SH_SI_E_clIS7_S7_PlSB_EESF_SV_SG_SH_SI_EUlSV_E0_NS1_11comp_targetILNS1_3genE8ELNS1_11target_archE1030ELNS1_3gpuE2ELNS1_3repE0EEENS1_38merge_mergepath_config_static_selectorELNS0_4arch9wavefront6targetE1EEEvSH_, .Lfunc_end815-_ZN7rocprim17ROCPRIM_400000_NS6detail17trampoline_kernelINS0_14default_configENS1_38merge_sort_block_merge_config_selectorIilEEZZNS1_27merge_sort_block_merge_implIS3_PiN6thrust23THRUST_200600_302600_NS10device_ptrIlEEjNS1_19radix_merge_compareILb0ELb1EiNS0_19identity_decomposerEEEEE10hipError_tT0_T1_T2_jT3_P12ihipStream_tbPNSt15iterator_traitsISG_E10value_typeEPNSM_ISH_E10value_typeEPSI_NS1_7vsmem_tEENKUlT_SG_SH_SI_E_clIS7_S7_PlSB_EESF_SV_SG_SH_SI_EUlSV_E0_NS1_11comp_targetILNS1_3genE8ELNS1_11target_archE1030ELNS1_3gpuE2ELNS1_3repE0EEENS1_38merge_mergepath_config_static_selectorELNS0_4arch9wavefront6targetE1EEEvSH_
                                        ; -- End function
	.set _ZN7rocprim17ROCPRIM_400000_NS6detail17trampoline_kernelINS0_14default_configENS1_38merge_sort_block_merge_config_selectorIilEEZZNS1_27merge_sort_block_merge_implIS3_PiN6thrust23THRUST_200600_302600_NS10device_ptrIlEEjNS1_19radix_merge_compareILb0ELb1EiNS0_19identity_decomposerEEEEE10hipError_tT0_T1_T2_jT3_P12ihipStream_tbPNSt15iterator_traitsISG_E10value_typeEPNSM_ISH_E10value_typeEPSI_NS1_7vsmem_tEENKUlT_SG_SH_SI_E_clIS7_S7_PlSB_EESF_SV_SG_SH_SI_EUlSV_E0_NS1_11comp_targetILNS1_3genE8ELNS1_11target_archE1030ELNS1_3gpuE2ELNS1_3repE0EEENS1_38merge_mergepath_config_static_selectorELNS0_4arch9wavefront6targetE1EEEvSH_.num_vgpr, 0
	.set _ZN7rocprim17ROCPRIM_400000_NS6detail17trampoline_kernelINS0_14default_configENS1_38merge_sort_block_merge_config_selectorIilEEZZNS1_27merge_sort_block_merge_implIS3_PiN6thrust23THRUST_200600_302600_NS10device_ptrIlEEjNS1_19radix_merge_compareILb0ELb1EiNS0_19identity_decomposerEEEEE10hipError_tT0_T1_T2_jT3_P12ihipStream_tbPNSt15iterator_traitsISG_E10value_typeEPNSM_ISH_E10value_typeEPSI_NS1_7vsmem_tEENKUlT_SG_SH_SI_E_clIS7_S7_PlSB_EESF_SV_SG_SH_SI_EUlSV_E0_NS1_11comp_targetILNS1_3genE8ELNS1_11target_archE1030ELNS1_3gpuE2ELNS1_3repE0EEENS1_38merge_mergepath_config_static_selectorELNS0_4arch9wavefront6targetE1EEEvSH_.num_agpr, 0
	.set _ZN7rocprim17ROCPRIM_400000_NS6detail17trampoline_kernelINS0_14default_configENS1_38merge_sort_block_merge_config_selectorIilEEZZNS1_27merge_sort_block_merge_implIS3_PiN6thrust23THRUST_200600_302600_NS10device_ptrIlEEjNS1_19radix_merge_compareILb0ELb1EiNS0_19identity_decomposerEEEEE10hipError_tT0_T1_T2_jT3_P12ihipStream_tbPNSt15iterator_traitsISG_E10value_typeEPNSM_ISH_E10value_typeEPSI_NS1_7vsmem_tEENKUlT_SG_SH_SI_E_clIS7_S7_PlSB_EESF_SV_SG_SH_SI_EUlSV_E0_NS1_11comp_targetILNS1_3genE8ELNS1_11target_archE1030ELNS1_3gpuE2ELNS1_3repE0EEENS1_38merge_mergepath_config_static_selectorELNS0_4arch9wavefront6targetE1EEEvSH_.numbered_sgpr, 0
	.set _ZN7rocprim17ROCPRIM_400000_NS6detail17trampoline_kernelINS0_14default_configENS1_38merge_sort_block_merge_config_selectorIilEEZZNS1_27merge_sort_block_merge_implIS3_PiN6thrust23THRUST_200600_302600_NS10device_ptrIlEEjNS1_19radix_merge_compareILb0ELb1EiNS0_19identity_decomposerEEEEE10hipError_tT0_T1_T2_jT3_P12ihipStream_tbPNSt15iterator_traitsISG_E10value_typeEPNSM_ISH_E10value_typeEPSI_NS1_7vsmem_tEENKUlT_SG_SH_SI_E_clIS7_S7_PlSB_EESF_SV_SG_SH_SI_EUlSV_E0_NS1_11comp_targetILNS1_3genE8ELNS1_11target_archE1030ELNS1_3gpuE2ELNS1_3repE0EEENS1_38merge_mergepath_config_static_selectorELNS0_4arch9wavefront6targetE1EEEvSH_.num_named_barrier, 0
	.set _ZN7rocprim17ROCPRIM_400000_NS6detail17trampoline_kernelINS0_14default_configENS1_38merge_sort_block_merge_config_selectorIilEEZZNS1_27merge_sort_block_merge_implIS3_PiN6thrust23THRUST_200600_302600_NS10device_ptrIlEEjNS1_19radix_merge_compareILb0ELb1EiNS0_19identity_decomposerEEEEE10hipError_tT0_T1_T2_jT3_P12ihipStream_tbPNSt15iterator_traitsISG_E10value_typeEPNSM_ISH_E10value_typeEPSI_NS1_7vsmem_tEENKUlT_SG_SH_SI_E_clIS7_S7_PlSB_EESF_SV_SG_SH_SI_EUlSV_E0_NS1_11comp_targetILNS1_3genE8ELNS1_11target_archE1030ELNS1_3gpuE2ELNS1_3repE0EEENS1_38merge_mergepath_config_static_selectorELNS0_4arch9wavefront6targetE1EEEvSH_.private_seg_size, 0
	.set _ZN7rocprim17ROCPRIM_400000_NS6detail17trampoline_kernelINS0_14default_configENS1_38merge_sort_block_merge_config_selectorIilEEZZNS1_27merge_sort_block_merge_implIS3_PiN6thrust23THRUST_200600_302600_NS10device_ptrIlEEjNS1_19radix_merge_compareILb0ELb1EiNS0_19identity_decomposerEEEEE10hipError_tT0_T1_T2_jT3_P12ihipStream_tbPNSt15iterator_traitsISG_E10value_typeEPNSM_ISH_E10value_typeEPSI_NS1_7vsmem_tEENKUlT_SG_SH_SI_E_clIS7_S7_PlSB_EESF_SV_SG_SH_SI_EUlSV_E0_NS1_11comp_targetILNS1_3genE8ELNS1_11target_archE1030ELNS1_3gpuE2ELNS1_3repE0EEENS1_38merge_mergepath_config_static_selectorELNS0_4arch9wavefront6targetE1EEEvSH_.uses_vcc, 0
	.set _ZN7rocprim17ROCPRIM_400000_NS6detail17trampoline_kernelINS0_14default_configENS1_38merge_sort_block_merge_config_selectorIilEEZZNS1_27merge_sort_block_merge_implIS3_PiN6thrust23THRUST_200600_302600_NS10device_ptrIlEEjNS1_19radix_merge_compareILb0ELb1EiNS0_19identity_decomposerEEEEE10hipError_tT0_T1_T2_jT3_P12ihipStream_tbPNSt15iterator_traitsISG_E10value_typeEPNSM_ISH_E10value_typeEPSI_NS1_7vsmem_tEENKUlT_SG_SH_SI_E_clIS7_S7_PlSB_EESF_SV_SG_SH_SI_EUlSV_E0_NS1_11comp_targetILNS1_3genE8ELNS1_11target_archE1030ELNS1_3gpuE2ELNS1_3repE0EEENS1_38merge_mergepath_config_static_selectorELNS0_4arch9wavefront6targetE1EEEvSH_.uses_flat_scratch, 0
	.set _ZN7rocprim17ROCPRIM_400000_NS6detail17trampoline_kernelINS0_14default_configENS1_38merge_sort_block_merge_config_selectorIilEEZZNS1_27merge_sort_block_merge_implIS3_PiN6thrust23THRUST_200600_302600_NS10device_ptrIlEEjNS1_19radix_merge_compareILb0ELb1EiNS0_19identity_decomposerEEEEE10hipError_tT0_T1_T2_jT3_P12ihipStream_tbPNSt15iterator_traitsISG_E10value_typeEPNSM_ISH_E10value_typeEPSI_NS1_7vsmem_tEENKUlT_SG_SH_SI_E_clIS7_S7_PlSB_EESF_SV_SG_SH_SI_EUlSV_E0_NS1_11comp_targetILNS1_3genE8ELNS1_11target_archE1030ELNS1_3gpuE2ELNS1_3repE0EEENS1_38merge_mergepath_config_static_selectorELNS0_4arch9wavefront6targetE1EEEvSH_.has_dyn_sized_stack, 0
	.set _ZN7rocprim17ROCPRIM_400000_NS6detail17trampoline_kernelINS0_14default_configENS1_38merge_sort_block_merge_config_selectorIilEEZZNS1_27merge_sort_block_merge_implIS3_PiN6thrust23THRUST_200600_302600_NS10device_ptrIlEEjNS1_19radix_merge_compareILb0ELb1EiNS0_19identity_decomposerEEEEE10hipError_tT0_T1_T2_jT3_P12ihipStream_tbPNSt15iterator_traitsISG_E10value_typeEPNSM_ISH_E10value_typeEPSI_NS1_7vsmem_tEENKUlT_SG_SH_SI_E_clIS7_S7_PlSB_EESF_SV_SG_SH_SI_EUlSV_E0_NS1_11comp_targetILNS1_3genE8ELNS1_11target_archE1030ELNS1_3gpuE2ELNS1_3repE0EEENS1_38merge_mergepath_config_static_selectorELNS0_4arch9wavefront6targetE1EEEvSH_.has_recursion, 0
	.set _ZN7rocprim17ROCPRIM_400000_NS6detail17trampoline_kernelINS0_14default_configENS1_38merge_sort_block_merge_config_selectorIilEEZZNS1_27merge_sort_block_merge_implIS3_PiN6thrust23THRUST_200600_302600_NS10device_ptrIlEEjNS1_19radix_merge_compareILb0ELb1EiNS0_19identity_decomposerEEEEE10hipError_tT0_T1_T2_jT3_P12ihipStream_tbPNSt15iterator_traitsISG_E10value_typeEPNSM_ISH_E10value_typeEPSI_NS1_7vsmem_tEENKUlT_SG_SH_SI_E_clIS7_S7_PlSB_EESF_SV_SG_SH_SI_EUlSV_E0_NS1_11comp_targetILNS1_3genE8ELNS1_11target_archE1030ELNS1_3gpuE2ELNS1_3repE0EEENS1_38merge_mergepath_config_static_selectorELNS0_4arch9wavefront6targetE1EEEvSH_.has_indirect_call, 0
	.section	.AMDGPU.csdata,"",@progbits
; Kernel info:
; codeLenInByte = 0
; TotalNumSgprs: 4
; NumVgprs: 0
; ScratchSize: 0
; MemoryBound: 0
; FloatMode: 240
; IeeeMode: 1
; LDSByteSize: 0 bytes/workgroup (compile time only)
; SGPRBlocks: 0
; VGPRBlocks: 0
; NumSGPRsForWavesPerEU: 4
; NumVGPRsForWavesPerEU: 1
; Occupancy: 10
; WaveLimiterHint : 0
; COMPUTE_PGM_RSRC2:SCRATCH_EN: 0
; COMPUTE_PGM_RSRC2:USER_SGPR: 6
; COMPUTE_PGM_RSRC2:TRAP_HANDLER: 0
; COMPUTE_PGM_RSRC2:TGID_X_EN: 1
; COMPUTE_PGM_RSRC2:TGID_Y_EN: 0
; COMPUTE_PGM_RSRC2:TGID_Z_EN: 0
; COMPUTE_PGM_RSRC2:TIDIG_COMP_CNT: 0
	.section	.text._ZN7rocprim17ROCPRIM_400000_NS6detail17trampoline_kernelINS0_14default_configENS1_38merge_sort_block_merge_config_selectorIilEEZZNS1_27merge_sort_block_merge_implIS3_PiN6thrust23THRUST_200600_302600_NS10device_ptrIlEEjNS1_19radix_merge_compareILb0ELb1EiNS0_19identity_decomposerEEEEE10hipError_tT0_T1_T2_jT3_P12ihipStream_tbPNSt15iterator_traitsISG_E10value_typeEPNSM_ISH_E10value_typeEPSI_NS1_7vsmem_tEENKUlT_SG_SH_SI_E_clIS7_S7_PlSB_EESF_SV_SG_SH_SI_EUlSV_E1_NS1_11comp_targetILNS1_3genE0ELNS1_11target_archE4294967295ELNS1_3gpuE0ELNS1_3repE0EEENS1_36merge_oddeven_config_static_selectorELNS0_4arch9wavefront6targetE1EEEvSH_,"axG",@progbits,_ZN7rocprim17ROCPRIM_400000_NS6detail17trampoline_kernelINS0_14default_configENS1_38merge_sort_block_merge_config_selectorIilEEZZNS1_27merge_sort_block_merge_implIS3_PiN6thrust23THRUST_200600_302600_NS10device_ptrIlEEjNS1_19radix_merge_compareILb0ELb1EiNS0_19identity_decomposerEEEEE10hipError_tT0_T1_T2_jT3_P12ihipStream_tbPNSt15iterator_traitsISG_E10value_typeEPNSM_ISH_E10value_typeEPSI_NS1_7vsmem_tEENKUlT_SG_SH_SI_E_clIS7_S7_PlSB_EESF_SV_SG_SH_SI_EUlSV_E1_NS1_11comp_targetILNS1_3genE0ELNS1_11target_archE4294967295ELNS1_3gpuE0ELNS1_3repE0EEENS1_36merge_oddeven_config_static_selectorELNS0_4arch9wavefront6targetE1EEEvSH_,comdat
	.protected	_ZN7rocprim17ROCPRIM_400000_NS6detail17trampoline_kernelINS0_14default_configENS1_38merge_sort_block_merge_config_selectorIilEEZZNS1_27merge_sort_block_merge_implIS3_PiN6thrust23THRUST_200600_302600_NS10device_ptrIlEEjNS1_19radix_merge_compareILb0ELb1EiNS0_19identity_decomposerEEEEE10hipError_tT0_T1_T2_jT3_P12ihipStream_tbPNSt15iterator_traitsISG_E10value_typeEPNSM_ISH_E10value_typeEPSI_NS1_7vsmem_tEENKUlT_SG_SH_SI_E_clIS7_S7_PlSB_EESF_SV_SG_SH_SI_EUlSV_E1_NS1_11comp_targetILNS1_3genE0ELNS1_11target_archE4294967295ELNS1_3gpuE0ELNS1_3repE0EEENS1_36merge_oddeven_config_static_selectorELNS0_4arch9wavefront6targetE1EEEvSH_ ; -- Begin function _ZN7rocprim17ROCPRIM_400000_NS6detail17trampoline_kernelINS0_14default_configENS1_38merge_sort_block_merge_config_selectorIilEEZZNS1_27merge_sort_block_merge_implIS3_PiN6thrust23THRUST_200600_302600_NS10device_ptrIlEEjNS1_19radix_merge_compareILb0ELb1EiNS0_19identity_decomposerEEEEE10hipError_tT0_T1_T2_jT3_P12ihipStream_tbPNSt15iterator_traitsISG_E10value_typeEPNSM_ISH_E10value_typeEPSI_NS1_7vsmem_tEENKUlT_SG_SH_SI_E_clIS7_S7_PlSB_EESF_SV_SG_SH_SI_EUlSV_E1_NS1_11comp_targetILNS1_3genE0ELNS1_11target_archE4294967295ELNS1_3gpuE0ELNS1_3repE0EEENS1_36merge_oddeven_config_static_selectorELNS0_4arch9wavefront6targetE1EEEvSH_
	.globl	_ZN7rocprim17ROCPRIM_400000_NS6detail17trampoline_kernelINS0_14default_configENS1_38merge_sort_block_merge_config_selectorIilEEZZNS1_27merge_sort_block_merge_implIS3_PiN6thrust23THRUST_200600_302600_NS10device_ptrIlEEjNS1_19radix_merge_compareILb0ELb1EiNS0_19identity_decomposerEEEEE10hipError_tT0_T1_T2_jT3_P12ihipStream_tbPNSt15iterator_traitsISG_E10value_typeEPNSM_ISH_E10value_typeEPSI_NS1_7vsmem_tEENKUlT_SG_SH_SI_E_clIS7_S7_PlSB_EESF_SV_SG_SH_SI_EUlSV_E1_NS1_11comp_targetILNS1_3genE0ELNS1_11target_archE4294967295ELNS1_3gpuE0ELNS1_3repE0EEENS1_36merge_oddeven_config_static_selectorELNS0_4arch9wavefront6targetE1EEEvSH_
	.p2align	8
	.type	_ZN7rocprim17ROCPRIM_400000_NS6detail17trampoline_kernelINS0_14default_configENS1_38merge_sort_block_merge_config_selectorIilEEZZNS1_27merge_sort_block_merge_implIS3_PiN6thrust23THRUST_200600_302600_NS10device_ptrIlEEjNS1_19radix_merge_compareILb0ELb1EiNS0_19identity_decomposerEEEEE10hipError_tT0_T1_T2_jT3_P12ihipStream_tbPNSt15iterator_traitsISG_E10value_typeEPNSM_ISH_E10value_typeEPSI_NS1_7vsmem_tEENKUlT_SG_SH_SI_E_clIS7_S7_PlSB_EESF_SV_SG_SH_SI_EUlSV_E1_NS1_11comp_targetILNS1_3genE0ELNS1_11target_archE4294967295ELNS1_3gpuE0ELNS1_3repE0EEENS1_36merge_oddeven_config_static_selectorELNS0_4arch9wavefront6targetE1EEEvSH_,@function
_ZN7rocprim17ROCPRIM_400000_NS6detail17trampoline_kernelINS0_14default_configENS1_38merge_sort_block_merge_config_selectorIilEEZZNS1_27merge_sort_block_merge_implIS3_PiN6thrust23THRUST_200600_302600_NS10device_ptrIlEEjNS1_19radix_merge_compareILb0ELb1EiNS0_19identity_decomposerEEEEE10hipError_tT0_T1_T2_jT3_P12ihipStream_tbPNSt15iterator_traitsISG_E10value_typeEPNSM_ISH_E10value_typeEPSI_NS1_7vsmem_tEENKUlT_SG_SH_SI_E_clIS7_S7_PlSB_EESF_SV_SG_SH_SI_EUlSV_E1_NS1_11comp_targetILNS1_3genE0ELNS1_11target_archE4294967295ELNS1_3gpuE0ELNS1_3repE0EEENS1_36merge_oddeven_config_static_selectorELNS0_4arch9wavefront6targetE1EEEvSH_: ; @_ZN7rocprim17ROCPRIM_400000_NS6detail17trampoline_kernelINS0_14default_configENS1_38merge_sort_block_merge_config_selectorIilEEZZNS1_27merge_sort_block_merge_implIS3_PiN6thrust23THRUST_200600_302600_NS10device_ptrIlEEjNS1_19radix_merge_compareILb0ELb1EiNS0_19identity_decomposerEEEEE10hipError_tT0_T1_T2_jT3_P12ihipStream_tbPNSt15iterator_traitsISG_E10value_typeEPNSM_ISH_E10value_typeEPSI_NS1_7vsmem_tEENKUlT_SG_SH_SI_E_clIS7_S7_PlSB_EESF_SV_SG_SH_SI_EUlSV_E1_NS1_11comp_targetILNS1_3genE0ELNS1_11target_archE4294967295ELNS1_3gpuE0ELNS1_3repE0EEENS1_36merge_oddeven_config_static_selectorELNS0_4arch9wavefront6targetE1EEEvSH_
; %bb.0:
	.section	.rodata,"a",@progbits
	.p2align	6, 0x0
	.amdhsa_kernel _ZN7rocprim17ROCPRIM_400000_NS6detail17trampoline_kernelINS0_14default_configENS1_38merge_sort_block_merge_config_selectorIilEEZZNS1_27merge_sort_block_merge_implIS3_PiN6thrust23THRUST_200600_302600_NS10device_ptrIlEEjNS1_19radix_merge_compareILb0ELb1EiNS0_19identity_decomposerEEEEE10hipError_tT0_T1_T2_jT3_P12ihipStream_tbPNSt15iterator_traitsISG_E10value_typeEPNSM_ISH_E10value_typeEPSI_NS1_7vsmem_tEENKUlT_SG_SH_SI_E_clIS7_S7_PlSB_EESF_SV_SG_SH_SI_EUlSV_E1_NS1_11comp_targetILNS1_3genE0ELNS1_11target_archE4294967295ELNS1_3gpuE0ELNS1_3repE0EEENS1_36merge_oddeven_config_static_selectorELNS0_4arch9wavefront6targetE1EEEvSH_
		.amdhsa_group_segment_fixed_size 0
		.amdhsa_private_segment_fixed_size 0
		.amdhsa_kernarg_size 48
		.amdhsa_user_sgpr_count 6
		.amdhsa_user_sgpr_private_segment_buffer 1
		.amdhsa_user_sgpr_dispatch_ptr 0
		.amdhsa_user_sgpr_queue_ptr 0
		.amdhsa_user_sgpr_kernarg_segment_ptr 1
		.amdhsa_user_sgpr_dispatch_id 0
		.amdhsa_user_sgpr_flat_scratch_init 0
		.amdhsa_user_sgpr_private_segment_size 0
		.amdhsa_uses_dynamic_stack 0
		.amdhsa_system_sgpr_private_segment_wavefront_offset 0
		.amdhsa_system_sgpr_workgroup_id_x 1
		.amdhsa_system_sgpr_workgroup_id_y 0
		.amdhsa_system_sgpr_workgroup_id_z 0
		.amdhsa_system_sgpr_workgroup_info 0
		.amdhsa_system_vgpr_workitem_id 0
		.amdhsa_next_free_vgpr 1
		.amdhsa_next_free_sgpr 0
		.amdhsa_reserve_vcc 0
		.amdhsa_reserve_flat_scratch 0
		.amdhsa_float_round_mode_32 0
		.amdhsa_float_round_mode_16_64 0
		.amdhsa_float_denorm_mode_32 3
		.amdhsa_float_denorm_mode_16_64 3
		.amdhsa_dx10_clamp 1
		.amdhsa_ieee_mode 1
		.amdhsa_fp16_overflow 0
		.amdhsa_exception_fp_ieee_invalid_op 0
		.amdhsa_exception_fp_denorm_src 0
		.amdhsa_exception_fp_ieee_div_zero 0
		.amdhsa_exception_fp_ieee_overflow 0
		.amdhsa_exception_fp_ieee_underflow 0
		.amdhsa_exception_fp_ieee_inexact 0
		.amdhsa_exception_int_div_zero 0
	.end_amdhsa_kernel
	.section	.text._ZN7rocprim17ROCPRIM_400000_NS6detail17trampoline_kernelINS0_14default_configENS1_38merge_sort_block_merge_config_selectorIilEEZZNS1_27merge_sort_block_merge_implIS3_PiN6thrust23THRUST_200600_302600_NS10device_ptrIlEEjNS1_19radix_merge_compareILb0ELb1EiNS0_19identity_decomposerEEEEE10hipError_tT0_T1_T2_jT3_P12ihipStream_tbPNSt15iterator_traitsISG_E10value_typeEPNSM_ISH_E10value_typeEPSI_NS1_7vsmem_tEENKUlT_SG_SH_SI_E_clIS7_S7_PlSB_EESF_SV_SG_SH_SI_EUlSV_E1_NS1_11comp_targetILNS1_3genE0ELNS1_11target_archE4294967295ELNS1_3gpuE0ELNS1_3repE0EEENS1_36merge_oddeven_config_static_selectorELNS0_4arch9wavefront6targetE1EEEvSH_,"axG",@progbits,_ZN7rocprim17ROCPRIM_400000_NS6detail17trampoline_kernelINS0_14default_configENS1_38merge_sort_block_merge_config_selectorIilEEZZNS1_27merge_sort_block_merge_implIS3_PiN6thrust23THRUST_200600_302600_NS10device_ptrIlEEjNS1_19radix_merge_compareILb0ELb1EiNS0_19identity_decomposerEEEEE10hipError_tT0_T1_T2_jT3_P12ihipStream_tbPNSt15iterator_traitsISG_E10value_typeEPNSM_ISH_E10value_typeEPSI_NS1_7vsmem_tEENKUlT_SG_SH_SI_E_clIS7_S7_PlSB_EESF_SV_SG_SH_SI_EUlSV_E1_NS1_11comp_targetILNS1_3genE0ELNS1_11target_archE4294967295ELNS1_3gpuE0ELNS1_3repE0EEENS1_36merge_oddeven_config_static_selectorELNS0_4arch9wavefront6targetE1EEEvSH_,comdat
.Lfunc_end816:
	.size	_ZN7rocprim17ROCPRIM_400000_NS6detail17trampoline_kernelINS0_14default_configENS1_38merge_sort_block_merge_config_selectorIilEEZZNS1_27merge_sort_block_merge_implIS3_PiN6thrust23THRUST_200600_302600_NS10device_ptrIlEEjNS1_19radix_merge_compareILb0ELb1EiNS0_19identity_decomposerEEEEE10hipError_tT0_T1_T2_jT3_P12ihipStream_tbPNSt15iterator_traitsISG_E10value_typeEPNSM_ISH_E10value_typeEPSI_NS1_7vsmem_tEENKUlT_SG_SH_SI_E_clIS7_S7_PlSB_EESF_SV_SG_SH_SI_EUlSV_E1_NS1_11comp_targetILNS1_3genE0ELNS1_11target_archE4294967295ELNS1_3gpuE0ELNS1_3repE0EEENS1_36merge_oddeven_config_static_selectorELNS0_4arch9wavefront6targetE1EEEvSH_, .Lfunc_end816-_ZN7rocprim17ROCPRIM_400000_NS6detail17trampoline_kernelINS0_14default_configENS1_38merge_sort_block_merge_config_selectorIilEEZZNS1_27merge_sort_block_merge_implIS3_PiN6thrust23THRUST_200600_302600_NS10device_ptrIlEEjNS1_19radix_merge_compareILb0ELb1EiNS0_19identity_decomposerEEEEE10hipError_tT0_T1_T2_jT3_P12ihipStream_tbPNSt15iterator_traitsISG_E10value_typeEPNSM_ISH_E10value_typeEPSI_NS1_7vsmem_tEENKUlT_SG_SH_SI_E_clIS7_S7_PlSB_EESF_SV_SG_SH_SI_EUlSV_E1_NS1_11comp_targetILNS1_3genE0ELNS1_11target_archE4294967295ELNS1_3gpuE0ELNS1_3repE0EEENS1_36merge_oddeven_config_static_selectorELNS0_4arch9wavefront6targetE1EEEvSH_
                                        ; -- End function
	.set _ZN7rocprim17ROCPRIM_400000_NS6detail17trampoline_kernelINS0_14default_configENS1_38merge_sort_block_merge_config_selectorIilEEZZNS1_27merge_sort_block_merge_implIS3_PiN6thrust23THRUST_200600_302600_NS10device_ptrIlEEjNS1_19radix_merge_compareILb0ELb1EiNS0_19identity_decomposerEEEEE10hipError_tT0_T1_T2_jT3_P12ihipStream_tbPNSt15iterator_traitsISG_E10value_typeEPNSM_ISH_E10value_typeEPSI_NS1_7vsmem_tEENKUlT_SG_SH_SI_E_clIS7_S7_PlSB_EESF_SV_SG_SH_SI_EUlSV_E1_NS1_11comp_targetILNS1_3genE0ELNS1_11target_archE4294967295ELNS1_3gpuE0ELNS1_3repE0EEENS1_36merge_oddeven_config_static_selectorELNS0_4arch9wavefront6targetE1EEEvSH_.num_vgpr, 0
	.set _ZN7rocprim17ROCPRIM_400000_NS6detail17trampoline_kernelINS0_14default_configENS1_38merge_sort_block_merge_config_selectorIilEEZZNS1_27merge_sort_block_merge_implIS3_PiN6thrust23THRUST_200600_302600_NS10device_ptrIlEEjNS1_19radix_merge_compareILb0ELb1EiNS0_19identity_decomposerEEEEE10hipError_tT0_T1_T2_jT3_P12ihipStream_tbPNSt15iterator_traitsISG_E10value_typeEPNSM_ISH_E10value_typeEPSI_NS1_7vsmem_tEENKUlT_SG_SH_SI_E_clIS7_S7_PlSB_EESF_SV_SG_SH_SI_EUlSV_E1_NS1_11comp_targetILNS1_3genE0ELNS1_11target_archE4294967295ELNS1_3gpuE0ELNS1_3repE0EEENS1_36merge_oddeven_config_static_selectorELNS0_4arch9wavefront6targetE1EEEvSH_.num_agpr, 0
	.set _ZN7rocprim17ROCPRIM_400000_NS6detail17trampoline_kernelINS0_14default_configENS1_38merge_sort_block_merge_config_selectorIilEEZZNS1_27merge_sort_block_merge_implIS3_PiN6thrust23THRUST_200600_302600_NS10device_ptrIlEEjNS1_19radix_merge_compareILb0ELb1EiNS0_19identity_decomposerEEEEE10hipError_tT0_T1_T2_jT3_P12ihipStream_tbPNSt15iterator_traitsISG_E10value_typeEPNSM_ISH_E10value_typeEPSI_NS1_7vsmem_tEENKUlT_SG_SH_SI_E_clIS7_S7_PlSB_EESF_SV_SG_SH_SI_EUlSV_E1_NS1_11comp_targetILNS1_3genE0ELNS1_11target_archE4294967295ELNS1_3gpuE0ELNS1_3repE0EEENS1_36merge_oddeven_config_static_selectorELNS0_4arch9wavefront6targetE1EEEvSH_.numbered_sgpr, 0
	.set _ZN7rocprim17ROCPRIM_400000_NS6detail17trampoline_kernelINS0_14default_configENS1_38merge_sort_block_merge_config_selectorIilEEZZNS1_27merge_sort_block_merge_implIS3_PiN6thrust23THRUST_200600_302600_NS10device_ptrIlEEjNS1_19radix_merge_compareILb0ELb1EiNS0_19identity_decomposerEEEEE10hipError_tT0_T1_T2_jT3_P12ihipStream_tbPNSt15iterator_traitsISG_E10value_typeEPNSM_ISH_E10value_typeEPSI_NS1_7vsmem_tEENKUlT_SG_SH_SI_E_clIS7_S7_PlSB_EESF_SV_SG_SH_SI_EUlSV_E1_NS1_11comp_targetILNS1_3genE0ELNS1_11target_archE4294967295ELNS1_3gpuE0ELNS1_3repE0EEENS1_36merge_oddeven_config_static_selectorELNS0_4arch9wavefront6targetE1EEEvSH_.num_named_barrier, 0
	.set _ZN7rocprim17ROCPRIM_400000_NS6detail17trampoline_kernelINS0_14default_configENS1_38merge_sort_block_merge_config_selectorIilEEZZNS1_27merge_sort_block_merge_implIS3_PiN6thrust23THRUST_200600_302600_NS10device_ptrIlEEjNS1_19radix_merge_compareILb0ELb1EiNS0_19identity_decomposerEEEEE10hipError_tT0_T1_T2_jT3_P12ihipStream_tbPNSt15iterator_traitsISG_E10value_typeEPNSM_ISH_E10value_typeEPSI_NS1_7vsmem_tEENKUlT_SG_SH_SI_E_clIS7_S7_PlSB_EESF_SV_SG_SH_SI_EUlSV_E1_NS1_11comp_targetILNS1_3genE0ELNS1_11target_archE4294967295ELNS1_3gpuE0ELNS1_3repE0EEENS1_36merge_oddeven_config_static_selectorELNS0_4arch9wavefront6targetE1EEEvSH_.private_seg_size, 0
	.set _ZN7rocprim17ROCPRIM_400000_NS6detail17trampoline_kernelINS0_14default_configENS1_38merge_sort_block_merge_config_selectorIilEEZZNS1_27merge_sort_block_merge_implIS3_PiN6thrust23THRUST_200600_302600_NS10device_ptrIlEEjNS1_19radix_merge_compareILb0ELb1EiNS0_19identity_decomposerEEEEE10hipError_tT0_T1_T2_jT3_P12ihipStream_tbPNSt15iterator_traitsISG_E10value_typeEPNSM_ISH_E10value_typeEPSI_NS1_7vsmem_tEENKUlT_SG_SH_SI_E_clIS7_S7_PlSB_EESF_SV_SG_SH_SI_EUlSV_E1_NS1_11comp_targetILNS1_3genE0ELNS1_11target_archE4294967295ELNS1_3gpuE0ELNS1_3repE0EEENS1_36merge_oddeven_config_static_selectorELNS0_4arch9wavefront6targetE1EEEvSH_.uses_vcc, 0
	.set _ZN7rocprim17ROCPRIM_400000_NS6detail17trampoline_kernelINS0_14default_configENS1_38merge_sort_block_merge_config_selectorIilEEZZNS1_27merge_sort_block_merge_implIS3_PiN6thrust23THRUST_200600_302600_NS10device_ptrIlEEjNS1_19radix_merge_compareILb0ELb1EiNS0_19identity_decomposerEEEEE10hipError_tT0_T1_T2_jT3_P12ihipStream_tbPNSt15iterator_traitsISG_E10value_typeEPNSM_ISH_E10value_typeEPSI_NS1_7vsmem_tEENKUlT_SG_SH_SI_E_clIS7_S7_PlSB_EESF_SV_SG_SH_SI_EUlSV_E1_NS1_11comp_targetILNS1_3genE0ELNS1_11target_archE4294967295ELNS1_3gpuE0ELNS1_3repE0EEENS1_36merge_oddeven_config_static_selectorELNS0_4arch9wavefront6targetE1EEEvSH_.uses_flat_scratch, 0
	.set _ZN7rocprim17ROCPRIM_400000_NS6detail17trampoline_kernelINS0_14default_configENS1_38merge_sort_block_merge_config_selectorIilEEZZNS1_27merge_sort_block_merge_implIS3_PiN6thrust23THRUST_200600_302600_NS10device_ptrIlEEjNS1_19radix_merge_compareILb0ELb1EiNS0_19identity_decomposerEEEEE10hipError_tT0_T1_T2_jT3_P12ihipStream_tbPNSt15iterator_traitsISG_E10value_typeEPNSM_ISH_E10value_typeEPSI_NS1_7vsmem_tEENKUlT_SG_SH_SI_E_clIS7_S7_PlSB_EESF_SV_SG_SH_SI_EUlSV_E1_NS1_11comp_targetILNS1_3genE0ELNS1_11target_archE4294967295ELNS1_3gpuE0ELNS1_3repE0EEENS1_36merge_oddeven_config_static_selectorELNS0_4arch9wavefront6targetE1EEEvSH_.has_dyn_sized_stack, 0
	.set _ZN7rocprim17ROCPRIM_400000_NS6detail17trampoline_kernelINS0_14default_configENS1_38merge_sort_block_merge_config_selectorIilEEZZNS1_27merge_sort_block_merge_implIS3_PiN6thrust23THRUST_200600_302600_NS10device_ptrIlEEjNS1_19radix_merge_compareILb0ELb1EiNS0_19identity_decomposerEEEEE10hipError_tT0_T1_T2_jT3_P12ihipStream_tbPNSt15iterator_traitsISG_E10value_typeEPNSM_ISH_E10value_typeEPSI_NS1_7vsmem_tEENKUlT_SG_SH_SI_E_clIS7_S7_PlSB_EESF_SV_SG_SH_SI_EUlSV_E1_NS1_11comp_targetILNS1_3genE0ELNS1_11target_archE4294967295ELNS1_3gpuE0ELNS1_3repE0EEENS1_36merge_oddeven_config_static_selectorELNS0_4arch9wavefront6targetE1EEEvSH_.has_recursion, 0
	.set _ZN7rocprim17ROCPRIM_400000_NS6detail17trampoline_kernelINS0_14default_configENS1_38merge_sort_block_merge_config_selectorIilEEZZNS1_27merge_sort_block_merge_implIS3_PiN6thrust23THRUST_200600_302600_NS10device_ptrIlEEjNS1_19radix_merge_compareILb0ELb1EiNS0_19identity_decomposerEEEEE10hipError_tT0_T1_T2_jT3_P12ihipStream_tbPNSt15iterator_traitsISG_E10value_typeEPNSM_ISH_E10value_typeEPSI_NS1_7vsmem_tEENKUlT_SG_SH_SI_E_clIS7_S7_PlSB_EESF_SV_SG_SH_SI_EUlSV_E1_NS1_11comp_targetILNS1_3genE0ELNS1_11target_archE4294967295ELNS1_3gpuE0ELNS1_3repE0EEENS1_36merge_oddeven_config_static_selectorELNS0_4arch9wavefront6targetE1EEEvSH_.has_indirect_call, 0
	.section	.AMDGPU.csdata,"",@progbits
; Kernel info:
; codeLenInByte = 0
; TotalNumSgprs: 4
; NumVgprs: 0
; ScratchSize: 0
; MemoryBound: 0
; FloatMode: 240
; IeeeMode: 1
; LDSByteSize: 0 bytes/workgroup (compile time only)
; SGPRBlocks: 0
; VGPRBlocks: 0
; NumSGPRsForWavesPerEU: 4
; NumVGPRsForWavesPerEU: 1
; Occupancy: 10
; WaveLimiterHint : 0
; COMPUTE_PGM_RSRC2:SCRATCH_EN: 0
; COMPUTE_PGM_RSRC2:USER_SGPR: 6
; COMPUTE_PGM_RSRC2:TRAP_HANDLER: 0
; COMPUTE_PGM_RSRC2:TGID_X_EN: 1
; COMPUTE_PGM_RSRC2:TGID_Y_EN: 0
; COMPUTE_PGM_RSRC2:TGID_Z_EN: 0
; COMPUTE_PGM_RSRC2:TIDIG_COMP_CNT: 0
	.section	.text._ZN7rocprim17ROCPRIM_400000_NS6detail17trampoline_kernelINS0_14default_configENS1_38merge_sort_block_merge_config_selectorIilEEZZNS1_27merge_sort_block_merge_implIS3_PiN6thrust23THRUST_200600_302600_NS10device_ptrIlEEjNS1_19radix_merge_compareILb0ELb1EiNS0_19identity_decomposerEEEEE10hipError_tT0_T1_T2_jT3_P12ihipStream_tbPNSt15iterator_traitsISG_E10value_typeEPNSM_ISH_E10value_typeEPSI_NS1_7vsmem_tEENKUlT_SG_SH_SI_E_clIS7_S7_PlSB_EESF_SV_SG_SH_SI_EUlSV_E1_NS1_11comp_targetILNS1_3genE10ELNS1_11target_archE1201ELNS1_3gpuE5ELNS1_3repE0EEENS1_36merge_oddeven_config_static_selectorELNS0_4arch9wavefront6targetE1EEEvSH_,"axG",@progbits,_ZN7rocprim17ROCPRIM_400000_NS6detail17trampoline_kernelINS0_14default_configENS1_38merge_sort_block_merge_config_selectorIilEEZZNS1_27merge_sort_block_merge_implIS3_PiN6thrust23THRUST_200600_302600_NS10device_ptrIlEEjNS1_19radix_merge_compareILb0ELb1EiNS0_19identity_decomposerEEEEE10hipError_tT0_T1_T2_jT3_P12ihipStream_tbPNSt15iterator_traitsISG_E10value_typeEPNSM_ISH_E10value_typeEPSI_NS1_7vsmem_tEENKUlT_SG_SH_SI_E_clIS7_S7_PlSB_EESF_SV_SG_SH_SI_EUlSV_E1_NS1_11comp_targetILNS1_3genE10ELNS1_11target_archE1201ELNS1_3gpuE5ELNS1_3repE0EEENS1_36merge_oddeven_config_static_selectorELNS0_4arch9wavefront6targetE1EEEvSH_,comdat
	.protected	_ZN7rocprim17ROCPRIM_400000_NS6detail17trampoline_kernelINS0_14default_configENS1_38merge_sort_block_merge_config_selectorIilEEZZNS1_27merge_sort_block_merge_implIS3_PiN6thrust23THRUST_200600_302600_NS10device_ptrIlEEjNS1_19radix_merge_compareILb0ELb1EiNS0_19identity_decomposerEEEEE10hipError_tT0_T1_T2_jT3_P12ihipStream_tbPNSt15iterator_traitsISG_E10value_typeEPNSM_ISH_E10value_typeEPSI_NS1_7vsmem_tEENKUlT_SG_SH_SI_E_clIS7_S7_PlSB_EESF_SV_SG_SH_SI_EUlSV_E1_NS1_11comp_targetILNS1_3genE10ELNS1_11target_archE1201ELNS1_3gpuE5ELNS1_3repE0EEENS1_36merge_oddeven_config_static_selectorELNS0_4arch9wavefront6targetE1EEEvSH_ ; -- Begin function _ZN7rocprim17ROCPRIM_400000_NS6detail17trampoline_kernelINS0_14default_configENS1_38merge_sort_block_merge_config_selectorIilEEZZNS1_27merge_sort_block_merge_implIS3_PiN6thrust23THRUST_200600_302600_NS10device_ptrIlEEjNS1_19radix_merge_compareILb0ELb1EiNS0_19identity_decomposerEEEEE10hipError_tT0_T1_T2_jT3_P12ihipStream_tbPNSt15iterator_traitsISG_E10value_typeEPNSM_ISH_E10value_typeEPSI_NS1_7vsmem_tEENKUlT_SG_SH_SI_E_clIS7_S7_PlSB_EESF_SV_SG_SH_SI_EUlSV_E1_NS1_11comp_targetILNS1_3genE10ELNS1_11target_archE1201ELNS1_3gpuE5ELNS1_3repE0EEENS1_36merge_oddeven_config_static_selectorELNS0_4arch9wavefront6targetE1EEEvSH_
	.globl	_ZN7rocprim17ROCPRIM_400000_NS6detail17trampoline_kernelINS0_14default_configENS1_38merge_sort_block_merge_config_selectorIilEEZZNS1_27merge_sort_block_merge_implIS3_PiN6thrust23THRUST_200600_302600_NS10device_ptrIlEEjNS1_19radix_merge_compareILb0ELb1EiNS0_19identity_decomposerEEEEE10hipError_tT0_T1_T2_jT3_P12ihipStream_tbPNSt15iterator_traitsISG_E10value_typeEPNSM_ISH_E10value_typeEPSI_NS1_7vsmem_tEENKUlT_SG_SH_SI_E_clIS7_S7_PlSB_EESF_SV_SG_SH_SI_EUlSV_E1_NS1_11comp_targetILNS1_3genE10ELNS1_11target_archE1201ELNS1_3gpuE5ELNS1_3repE0EEENS1_36merge_oddeven_config_static_selectorELNS0_4arch9wavefront6targetE1EEEvSH_
	.p2align	8
	.type	_ZN7rocprim17ROCPRIM_400000_NS6detail17trampoline_kernelINS0_14default_configENS1_38merge_sort_block_merge_config_selectorIilEEZZNS1_27merge_sort_block_merge_implIS3_PiN6thrust23THRUST_200600_302600_NS10device_ptrIlEEjNS1_19radix_merge_compareILb0ELb1EiNS0_19identity_decomposerEEEEE10hipError_tT0_T1_T2_jT3_P12ihipStream_tbPNSt15iterator_traitsISG_E10value_typeEPNSM_ISH_E10value_typeEPSI_NS1_7vsmem_tEENKUlT_SG_SH_SI_E_clIS7_S7_PlSB_EESF_SV_SG_SH_SI_EUlSV_E1_NS1_11comp_targetILNS1_3genE10ELNS1_11target_archE1201ELNS1_3gpuE5ELNS1_3repE0EEENS1_36merge_oddeven_config_static_selectorELNS0_4arch9wavefront6targetE1EEEvSH_,@function
_ZN7rocprim17ROCPRIM_400000_NS6detail17trampoline_kernelINS0_14default_configENS1_38merge_sort_block_merge_config_selectorIilEEZZNS1_27merge_sort_block_merge_implIS3_PiN6thrust23THRUST_200600_302600_NS10device_ptrIlEEjNS1_19radix_merge_compareILb0ELb1EiNS0_19identity_decomposerEEEEE10hipError_tT0_T1_T2_jT3_P12ihipStream_tbPNSt15iterator_traitsISG_E10value_typeEPNSM_ISH_E10value_typeEPSI_NS1_7vsmem_tEENKUlT_SG_SH_SI_E_clIS7_S7_PlSB_EESF_SV_SG_SH_SI_EUlSV_E1_NS1_11comp_targetILNS1_3genE10ELNS1_11target_archE1201ELNS1_3gpuE5ELNS1_3repE0EEENS1_36merge_oddeven_config_static_selectorELNS0_4arch9wavefront6targetE1EEEvSH_: ; @_ZN7rocprim17ROCPRIM_400000_NS6detail17trampoline_kernelINS0_14default_configENS1_38merge_sort_block_merge_config_selectorIilEEZZNS1_27merge_sort_block_merge_implIS3_PiN6thrust23THRUST_200600_302600_NS10device_ptrIlEEjNS1_19radix_merge_compareILb0ELb1EiNS0_19identity_decomposerEEEEE10hipError_tT0_T1_T2_jT3_P12ihipStream_tbPNSt15iterator_traitsISG_E10value_typeEPNSM_ISH_E10value_typeEPSI_NS1_7vsmem_tEENKUlT_SG_SH_SI_E_clIS7_S7_PlSB_EESF_SV_SG_SH_SI_EUlSV_E1_NS1_11comp_targetILNS1_3genE10ELNS1_11target_archE1201ELNS1_3gpuE5ELNS1_3repE0EEENS1_36merge_oddeven_config_static_selectorELNS0_4arch9wavefront6targetE1EEEvSH_
; %bb.0:
	.section	.rodata,"a",@progbits
	.p2align	6, 0x0
	.amdhsa_kernel _ZN7rocprim17ROCPRIM_400000_NS6detail17trampoline_kernelINS0_14default_configENS1_38merge_sort_block_merge_config_selectorIilEEZZNS1_27merge_sort_block_merge_implIS3_PiN6thrust23THRUST_200600_302600_NS10device_ptrIlEEjNS1_19radix_merge_compareILb0ELb1EiNS0_19identity_decomposerEEEEE10hipError_tT0_T1_T2_jT3_P12ihipStream_tbPNSt15iterator_traitsISG_E10value_typeEPNSM_ISH_E10value_typeEPSI_NS1_7vsmem_tEENKUlT_SG_SH_SI_E_clIS7_S7_PlSB_EESF_SV_SG_SH_SI_EUlSV_E1_NS1_11comp_targetILNS1_3genE10ELNS1_11target_archE1201ELNS1_3gpuE5ELNS1_3repE0EEENS1_36merge_oddeven_config_static_selectorELNS0_4arch9wavefront6targetE1EEEvSH_
		.amdhsa_group_segment_fixed_size 0
		.amdhsa_private_segment_fixed_size 0
		.amdhsa_kernarg_size 48
		.amdhsa_user_sgpr_count 6
		.amdhsa_user_sgpr_private_segment_buffer 1
		.amdhsa_user_sgpr_dispatch_ptr 0
		.amdhsa_user_sgpr_queue_ptr 0
		.amdhsa_user_sgpr_kernarg_segment_ptr 1
		.amdhsa_user_sgpr_dispatch_id 0
		.amdhsa_user_sgpr_flat_scratch_init 0
		.amdhsa_user_sgpr_private_segment_size 0
		.amdhsa_uses_dynamic_stack 0
		.amdhsa_system_sgpr_private_segment_wavefront_offset 0
		.amdhsa_system_sgpr_workgroup_id_x 1
		.amdhsa_system_sgpr_workgroup_id_y 0
		.amdhsa_system_sgpr_workgroup_id_z 0
		.amdhsa_system_sgpr_workgroup_info 0
		.amdhsa_system_vgpr_workitem_id 0
		.amdhsa_next_free_vgpr 1
		.amdhsa_next_free_sgpr 0
		.amdhsa_reserve_vcc 0
		.amdhsa_reserve_flat_scratch 0
		.amdhsa_float_round_mode_32 0
		.amdhsa_float_round_mode_16_64 0
		.amdhsa_float_denorm_mode_32 3
		.amdhsa_float_denorm_mode_16_64 3
		.amdhsa_dx10_clamp 1
		.amdhsa_ieee_mode 1
		.amdhsa_fp16_overflow 0
		.amdhsa_exception_fp_ieee_invalid_op 0
		.amdhsa_exception_fp_denorm_src 0
		.amdhsa_exception_fp_ieee_div_zero 0
		.amdhsa_exception_fp_ieee_overflow 0
		.amdhsa_exception_fp_ieee_underflow 0
		.amdhsa_exception_fp_ieee_inexact 0
		.amdhsa_exception_int_div_zero 0
	.end_amdhsa_kernel
	.section	.text._ZN7rocprim17ROCPRIM_400000_NS6detail17trampoline_kernelINS0_14default_configENS1_38merge_sort_block_merge_config_selectorIilEEZZNS1_27merge_sort_block_merge_implIS3_PiN6thrust23THRUST_200600_302600_NS10device_ptrIlEEjNS1_19radix_merge_compareILb0ELb1EiNS0_19identity_decomposerEEEEE10hipError_tT0_T1_T2_jT3_P12ihipStream_tbPNSt15iterator_traitsISG_E10value_typeEPNSM_ISH_E10value_typeEPSI_NS1_7vsmem_tEENKUlT_SG_SH_SI_E_clIS7_S7_PlSB_EESF_SV_SG_SH_SI_EUlSV_E1_NS1_11comp_targetILNS1_3genE10ELNS1_11target_archE1201ELNS1_3gpuE5ELNS1_3repE0EEENS1_36merge_oddeven_config_static_selectorELNS0_4arch9wavefront6targetE1EEEvSH_,"axG",@progbits,_ZN7rocprim17ROCPRIM_400000_NS6detail17trampoline_kernelINS0_14default_configENS1_38merge_sort_block_merge_config_selectorIilEEZZNS1_27merge_sort_block_merge_implIS3_PiN6thrust23THRUST_200600_302600_NS10device_ptrIlEEjNS1_19radix_merge_compareILb0ELb1EiNS0_19identity_decomposerEEEEE10hipError_tT0_T1_T2_jT3_P12ihipStream_tbPNSt15iterator_traitsISG_E10value_typeEPNSM_ISH_E10value_typeEPSI_NS1_7vsmem_tEENKUlT_SG_SH_SI_E_clIS7_S7_PlSB_EESF_SV_SG_SH_SI_EUlSV_E1_NS1_11comp_targetILNS1_3genE10ELNS1_11target_archE1201ELNS1_3gpuE5ELNS1_3repE0EEENS1_36merge_oddeven_config_static_selectorELNS0_4arch9wavefront6targetE1EEEvSH_,comdat
.Lfunc_end817:
	.size	_ZN7rocprim17ROCPRIM_400000_NS6detail17trampoline_kernelINS0_14default_configENS1_38merge_sort_block_merge_config_selectorIilEEZZNS1_27merge_sort_block_merge_implIS3_PiN6thrust23THRUST_200600_302600_NS10device_ptrIlEEjNS1_19radix_merge_compareILb0ELb1EiNS0_19identity_decomposerEEEEE10hipError_tT0_T1_T2_jT3_P12ihipStream_tbPNSt15iterator_traitsISG_E10value_typeEPNSM_ISH_E10value_typeEPSI_NS1_7vsmem_tEENKUlT_SG_SH_SI_E_clIS7_S7_PlSB_EESF_SV_SG_SH_SI_EUlSV_E1_NS1_11comp_targetILNS1_3genE10ELNS1_11target_archE1201ELNS1_3gpuE5ELNS1_3repE0EEENS1_36merge_oddeven_config_static_selectorELNS0_4arch9wavefront6targetE1EEEvSH_, .Lfunc_end817-_ZN7rocprim17ROCPRIM_400000_NS6detail17trampoline_kernelINS0_14default_configENS1_38merge_sort_block_merge_config_selectorIilEEZZNS1_27merge_sort_block_merge_implIS3_PiN6thrust23THRUST_200600_302600_NS10device_ptrIlEEjNS1_19radix_merge_compareILb0ELb1EiNS0_19identity_decomposerEEEEE10hipError_tT0_T1_T2_jT3_P12ihipStream_tbPNSt15iterator_traitsISG_E10value_typeEPNSM_ISH_E10value_typeEPSI_NS1_7vsmem_tEENKUlT_SG_SH_SI_E_clIS7_S7_PlSB_EESF_SV_SG_SH_SI_EUlSV_E1_NS1_11comp_targetILNS1_3genE10ELNS1_11target_archE1201ELNS1_3gpuE5ELNS1_3repE0EEENS1_36merge_oddeven_config_static_selectorELNS0_4arch9wavefront6targetE1EEEvSH_
                                        ; -- End function
	.set _ZN7rocprim17ROCPRIM_400000_NS6detail17trampoline_kernelINS0_14default_configENS1_38merge_sort_block_merge_config_selectorIilEEZZNS1_27merge_sort_block_merge_implIS3_PiN6thrust23THRUST_200600_302600_NS10device_ptrIlEEjNS1_19radix_merge_compareILb0ELb1EiNS0_19identity_decomposerEEEEE10hipError_tT0_T1_T2_jT3_P12ihipStream_tbPNSt15iterator_traitsISG_E10value_typeEPNSM_ISH_E10value_typeEPSI_NS1_7vsmem_tEENKUlT_SG_SH_SI_E_clIS7_S7_PlSB_EESF_SV_SG_SH_SI_EUlSV_E1_NS1_11comp_targetILNS1_3genE10ELNS1_11target_archE1201ELNS1_3gpuE5ELNS1_3repE0EEENS1_36merge_oddeven_config_static_selectorELNS0_4arch9wavefront6targetE1EEEvSH_.num_vgpr, 0
	.set _ZN7rocprim17ROCPRIM_400000_NS6detail17trampoline_kernelINS0_14default_configENS1_38merge_sort_block_merge_config_selectorIilEEZZNS1_27merge_sort_block_merge_implIS3_PiN6thrust23THRUST_200600_302600_NS10device_ptrIlEEjNS1_19radix_merge_compareILb0ELb1EiNS0_19identity_decomposerEEEEE10hipError_tT0_T1_T2_jT3_P12ihipStream_tbPNSt15iterator_traitsISG_E10value_typeEPNSM_ISH_E10value_typeEPSI_NS1_7vsmem_tEENKUlT_SG_SH_SI_E_clIS7_S7_PlSB_EESF_SV_SG_SH_SI_EUlSV_E1_NS1_11comp_targetILNS1_3genE10ELNS1_11target_archE1201ELNS1_3gpuE5ELNS1_3repE0EEENS1_36merge_oddeven_config_static_selectorELNS0_4arch9wavefront6targetE1EEEvSH_.num_agpr, 0
	.set _ZN7rocprim17ROCPRIM_400000_NS6detail17trampoline_kernelINS0_14default_configENS1_38merge_sort_block_merge_config_selectorIilEEZZNS1_27merge_sort_block_merge_implIS3_PiN6thrust23THRUST_200600_302600_NS10device_ptrIlEEjNS1_19radix_merge_compareILb0ELb1EiNS0_19identity_decomposerEEEEE10hipError_tT0_T1_T2_jT3_P12ihipStream_tbPNSt15iterator_traitsISG_E10value_typeEPNSM_ISH_E10value_typeEPSI_NS1_7vsmem_tEENKUlT_SG_SH_SI_E_clIS7_S7_PlSB_EESF_SV_SG_SH_SI_EUlSV_E1_NS1_11comp_targetILNS1_3genE10ELNS1_11target_archE1201ELNS1_3gpuE5ELNS1_3repE0EEENS1_36merge_oddeven_config_static_selectorELNS0_4arch9wavefront6targetE1EEEvSH_.numbered_sgpr, 0
	.set _ZN7rocprim17ROCPRIM_400000_NS6detail17trampoline_kernelINS0_14default_configENS1_38merge_sort_block_merge_config_selectorIilEEZZNS1_27merge_sort_block_merge_implIS3_PiN6thrust23THRUST_200600_302600_NS10device_ptrIlEEjNS1_19radix_merge_compareILb0ELb1EiNS0_19identity_decomposerEEEEE10hipError_tT0_T1_T2_jT3_P12ihipStream_tbPNSt15iterator_traitsISG_E10value_typeEPNSM_ISH_E10value_typeEPSI_NS1_7vsmem_tEENKUlT_SG_SH_SI_E_clIS7_S7_PlSB_EESF_SV_SG_SH_SI_EUlSV_E1_NS1_11comp_targetILNS1_3genE10ELNS1_11target_archE1201ELNS1_3gpuE5ELNS1_3repE0EEENS1_36merge_oddeven_config_static_selectorELNS0_4arch9wavefront6targetE1EEEvSH_.num_named_barrier, 0
	.set _ZN7rocprim17ROCPRIM_400000_NS6detail17trampoline_kernelINS0_14default_configENS1_38merge_sort_block_merge_config_selectorIilEEZZNS1_27merge_sort_block_merge_implIS3_PiN6thrust23THRUST_200600_302600_NS10device_ptrIlEEjNS1_19radix_merge_compareILb0ELb1EiNS0_19identity_decomposerEEEEE10hipError_tT0_T1_T2_jT3_P12ihipStream_tbPNSt15iterator_traitsISG_E10value_typeEPNSM_ISH_E10value_typeEPSI_NS1_7vsmem_tEENKUlT_SG_SH_SI_E_clIS7_S7_PlSB_EESF_SV_SG_SH_SI_EUlSV_E1_NS1_11comp_targetILNS1_3genE10ELNS1_11target_archE1201ELNS1_3gpuE5ELNS1_3repE0EEENS1_36merge_oddeven_config_static_selectorELNS0_4arch9wavefront6targetE1EEEvSH_.private_seg_size, 0
	.set _ZN7rocprim17ROCPRIM_400000_NS6detail17trampoline_kernelINS0_14default_configENS1_38merge_sort_block_merge_config_selectorIilEEZZNS1_27merge_sort_block_merge_implIS3_PiN6thrust23THRUST_200600_302600_NS10device_ptrIlEEjNS1_19radix_merge_compareILb0ELb1EiNS0_19identity_decomposerEEEEE10hipError_tT0_T1_T2_jT3_P12ihipStream_tbPNSt15iterator_traitsISG_E10value_typeEPNSM_ISH_E10value_typeEPSI_NS1_7vsmem_tEENKUlT_SG_SH_SI_E_clIS7_S7_PlSB_EESF_SV_SG_SH_SI_EUlSV_E1_NS1_11comp_targetILNS1_3genE10ELNS1_11target_archE1201ELNS1_3gpuE5ELNS1_3repE0EEENS1_36merge_oddeven_config_static_selectorELNS0_4arch9wavefront6targetE1EEEvSH_.uses_vcc, 0
	.set _ZN7rocprim17ROCPRIM_400000_NS6detail17trampoline_kernelINS0_14default_configENS1_38merge_sort_block_merge_config_selectorIilEEZZNS1_27merge_sort_block_merge_implIS3_PiN6thrust23THRUST_200600_302600_NS10device_ptrIlEEjNS1_19radix_merge_compareILb0ELb1EiNS0_19identity_decomposerEEEEE10hipError_tT0_T1_T2_jT3_P12ihipStream_tbPNSt15iterator_traitsISG_E10value_typeEPNSM_ISH_E10value_typeEPSI_NS1_7vsmem_tEENKUlT_SG_SH_SI_E_clIS7_S7_PlSB_EESF_SV_SG_SH_SI_EUlSV_E1_NS1_11comp_targetILNS1_3genE10ELNS1_11target_archE1201ELNS1_3gpuE5ELNS1_3repE0EEENS1_36merge_oddeven_config_static_selectorELNS0_4arch9wavefront6targetE1EEEvSH_.uses_flat_scratch, 0
	.set _ZN7rocprim17ROCPRIM_400000_NS6detail17trampoline_kernelINS0_14default_configENS1_38merge_sort_block_merge_config_selectorIilEEZZNS1_27merge_sort_block_merge_implIS3_PiN6thrust23THRUST_200600_302600_NS10device_ptrIlEEjNS1_19radix_merge_compareILb0ELb1EiNS0_19identity_decomposerEEEEE10hipError_tT0_T1_T2_jT3_P12ihipStream_tbPNSt15iterator_traitsISG_E10value_typeEPNSM_ISH_E10value_typeEPSI_NS1_7vsmem_tEENKUlT_SG_SH_SI_E_clIS7_S7_PlSB_EESF_SV_SG_SH_SI_EUlSV_E1_NS1_11comp_targetILNS1_3genE10ELNS1_11target_archE1201ELNS1_3gpuE5ELNS1_3repE0EEENS1_36merge_oddeven_config_static_selectorELNS0_4arch9wavefront6targetE1EEEvSH_.has_dyn_sized_stack, 0
	.set _ZN7rocprim17ROCPRIM_400000_NS6detail17trampoline_kernelINS0_14default_configENS1_38merge_sort_block_merge_config_selectorIilEEZZNS1_27merge_sort_block_merge_implIS3_PiN6thrust23THRUST_200600_302600_NS10device_ptrIlEEjNS1_19radix_merge_compareILb0ELb1EiNS0_19identity_decomposerEEEEE10hipError_tT0_T1_T2_jT3_P12ihipStream_tbPNSt15iterator_traitsISG_E10value_typeEPNSM_ISH_E10value_typeEPSI_NS1_7vsmem_tEENKUlT_SG_SH_SI_E_clIS7_S7_PlSB_EESF_SV_SG_SH_SI_EUlSV_E1_NS1_11comp_targetILNS1_3genE10ELNS1_11target_archE1201ELNS1_3gpuE5ELNS1_3repE0EEENS1_36merge_oddeven_config_static_selectorELNS0_4arch9wavefront6targetE1EEEvSH_.has_recursion, 0
	.set _ZN7rocprim17ROCPRIM_400000_NS6detail17trampoline_kernelINS0_14default_configENS1_38merge_sort_block_merge_config_selectorIilEEZZNS1_27merge_sort_block_merge_implIS3_PiN6thrust23THRUST_200600_302600_NS10device_ptrIlEEjNS1_19radix_merge_compareILb0ELb1EiNS0_19identity_decomposerEEEEE10hipError_tT0_T1_T2_jT3_P12ihipStream_tbPNSt15iterator_traitsISG_E10value_typeEPNSM_ISH_E10value_typeEPSI_NS1_7vsmem_tEENKUlT_SG_SH_SI_E_clIS7_S7_PlSB_EESF_SV_SG_SH_SI_EUlSV_E1_NS1_11comp_targetILNS1_3genE10ELNS1_11target_archE1201ELNS1_3gpuE5ELNS1_3repE0EEENS1_36merge_oddeven_config_static_selectorELNS0_4arch9wavefront6targetE1EEEvSH_.has_indirect_call, 0
	.section	.AMDGPU.csdata,"",@progbits
; Kernel info:
; codeLenInByte = 0
; TotalNumSgprs: 4
; NumVgprs: 0
; ScratchSize: 0
; MemoryBound: 0
; FloatMode: 240
; IeeeMode: 1
; LDSByteSize: 0 bytes/workgroup (compile time only)
; SGPRBlocks: 0
; VGPRBlocks: 0
; NumSGPRsForWavesPerEU: 4
; NumVGPRsForWavesPerEU: 1
; Occupancy: 10
; WaveLimiterHint : 0
; COMPUTE_PGM_RSRC2:SCRATCH_EN: 0
; COMPUTE_PGM_RSRC2:USER_SGPR: 6
; COMPUTE_PGM_RSRC2:TRAP_HANDLER: 0
; COMPUTE_PGM_RSRC2:TGID_X_EN: 1
; COMPUTE_PGM_RSRC2:TGID_Y_EN: 0
; COMPUTE_PGM_RSRC2:TGID_Z_EN: 0
; COMPUTE_PGM_RSRC2:TIDIG_COMP_CNT: 0
	.section	.text._ZN7rocprim17ROCPRIM_400000_NS6detail17trampoline_kernelINS0_14default_configENS1_38merge_sort_block_merge_config_selectorIilEEZZNS1_27merge_sort_block_merge_implIS3_PiN6thrust23THRUST_200600_302600_NS10device_ptrIlEEjNS1_19radix_merge_compareILb0ELb1EiNS0_19identity_decomposerEEEEE10hipError_tT0_T1_T2_jT3_P12ihipStream_tbPNSt15iterator_traitsISG_E10value_typeEPNSM_ISH_E10value_typeEPSI_NS1_7vsmem_tEENKUlT_SG_SH_SI_E_clIS7_S7_PlSB_EESF_SV_SG_SH_SI_EUlSV_E1_NS1_11comp_targetILNS1_3genE5ELNS1_11target_archE942ELNS1_3gpuE9ELNS1_3repE0EEENS1_36merge_oddeven_config_static_selectorELNS0_4arch9wavefront6targetE1EEEvSH_,"axG",@progbits,_ZN7rocprim17ROCPRIM_400000_NS6detail17trampoline_kernelINS0_14default_configENS1_38merge_sort_block_merge_config_selectorIilEEZZNS1_27merge_sort_block_merge_implIS3_PiN6thrust23THRUST_200600_302600_NS10device_ptrIlEEjNS1_19radix_merge_compareILb0ELb1EiNS0_19identity_decomposerEEEEE10hipError_tT0_T1_T2_jT3_P12ihipStream_tbPNSt15iterator_traitsISG_E10value_typeEPNSM_ISH_E10value_typeEPSI_NS1_7vsmem_tEENKUlT_SG_SH_SI_E_clIS7_S7_PlSB_EESF_SV_SG_SH_SI_EUlSV_E1_NS1_11comp_targetILNS1_3genE5ELNS1_11target_archE942ELNS1_3gpuE9ELNS1_3repE0EEENS1_36merge_oddeven_config_static_selectorELNS0_4arch9wavefront6targetE1EEEvSH_,comdat
	.protected	_ZN7rocprim17ROCPRIM_400000_NS6detail17trampoline_kernelINS0_14default_configENS1_38merge_sort_block_merge_config_selectorIilEEZZNS1_27merge_sort_block_merge_implIS3_PiN6thrust23THRUST_200600_302600_NS10device_ptrIlEEjNS1_19radix_merge_compareILb0ELb1EiNS0_19identity_decomposerEEEEE10hipError_tT0_T1_T2_jT3_P12ihipStream_tbPNSt15iterator_traitsISG_E10value_typeEPNSM_ISH_E10value_typeEPSI_NS1_7vsmem_tEENKUlT_SG_SH_SI_E_clIS7_S7_PlSB_EESF_SV_SG_SH_SI_EUlSV_E1_NS1_11comp_targetILNS1_3genE5ELNS1_11target_archE942ELNS1_3gpuE9ELNS1_3repE0EEENS1_36merge_oddeven_config_static_selectorELNS0_4arch9wavefront6targetE1EEEvSH_ ; -- Begin function _ZN7rocprim17ROCPRIM_400000_NS6detail17trampoline_kernelINS0_14default_configENS1_38merge_sort_block_merge_config_selectorIilEEZZNS1_27merge_sort_block_merge_implIS3_PiN6thrust23THRUST_200600_302600_NS10device_ptrIlEEjNS1_19radix_merge_compareILb0ELb1EiNS0_19identity_decomposerEEEEE10hipError_tT0_T1_T2_jT3_P12ihipStream_tbPNSt15iterator_traitsISG_E10value_typeEPNSM_ISH_E10value_typeEPSI_NS1_7vsmem_tEENKUlT_SG_SH_SI_E_clIS7_S7_PlSB_EESF_SV_SG_SH_SI_EUlSV_E1_NS1_11comp_targetILNS1_3genE5ELNS1_11target_archE942ELNS1_3gpuE9ELNS1_3repE0EEENS1_36merge_oddeven_config_static_selectorELNS0_4arch9wavefront6targetE1EEEvSH_
	.globl	_ZN7rocprim17ROCPRIM_400000_NS6detail17trampoline_kernelINS0_14default_configENS1_38merge_sort_block_merge_config_selectorIilEEZZNS1_27merge_sort_block_merge_implIS3_PiN6thrust23THRUST_200600_302600_NS10device_ptrIlEEjNS1_19radix_merge_compareILb0ELb1EiNS0_19identity_decomposerEEEEE10hipError_tT0_T1_T2_jT3_P12ihipStream_tbPNSt15iterator_traitsISG_E10value_typeEPNSM_ISH_E10value_typeEPSI_NS1_7vsmem_tEENKUlT_SG_SH_SI_E_clIS7_S7_PlSB_EESF_SV_SG_SH_SI_EUlSV_E1_NS1_11comp_targetILNS1_3genE5ELNS1_11target_archE942ELNS1_3gpuE9ELNS1_3repE0EEENS1_36merge_oddeven_config_static_selectorELNS0_4arch9wavefront6targetE1EEEvSH_
	.p2align	8
	.type	_ZN7rocprim17ROCPRIM_400000_NS6detail17trampoline_kernelINS0_14default_configENS1_38merge_sort_block_merge_config_selectorIilEEZZNS1_27merge_sort_block_merge_implIS3_PiN6thrust23THRUST_200600_302600_NS10device_ptrIlEEjNS1_19radix_merge_compareILb0ELb1EiNS0_19identity_decomposerEEEEE10hipError_tT0_T1_T2_jT3_P12ihipStream_tbPNSt15iterator_traitsISG_E10value_typeEPNSM_ISH_E10value_typeEPSI_NS1_7vsmem_tEENKUlT_SG_SH_SI_E_clIS7_S7_PlSB_EESF_SV_SG_SH_SI_EUlSV_E1_NS1_11comp_targetILNS1_3genE5ELNS1_11target_archE942ELNS1_3gpuE9ELNS1_3repE0EEENS1_36merge_oddeven_config_static_selectorELNS0_4arch9wavefront6targetE1EEEvSH_,@function
_ZN7rocprim17ROCPRIM_400000_NS6detail17trampoline_kernelINS0_14default_configENS1_38merge_sort_block_merge_config_selectorIilEEZZNS1_27merge_sort_block_merge_implIS3_PiN6thrust23THRUST_200600_302600_NS10device_ptrIlEEjNS1_19radix_merge_compareILb0ELb1EiNS0_19identity_decomposerEEEEE10hipError_tT0_T1_T2_jT3_P12ihipStream_tbPNSt15iterator_traitsISG_E10value_typeEPNSM_ISH_E10value_typeEPSI_NS1_7vsmem_tEENKUlT_SG_SH_SI_E_clIS7_S7_PlSB_EESF_SV_SG_SH_SI_EUlSV_E1_NS1_11comp_targetILNS1_3genE5ELNS1_11target_archE942ELNS1_3gpuE9ELNS1_3repE0EEENS1_36merge_oddeven_config_static_selectorELNS0_4arch9wavefront6targetE1EEEvSH_: ; @_ZN7rocprim17ROCPRIM_400000_NS6detail17trampoline_kernelINS0_14default_configENS1_38merge_sort_block_merge_config_selectorIilEEZZNS1_27merge_sort_block_merge_implIS3_PiN6thrust23THRUST_200600_302600_NS10device_ptrIlEEjNS1_19radix_merge_compareILb0ELb1EiNS0_19identity_decomposerEEEEE10hipError_tT0_T1_T2_jT3_P12ihipStream_tbPNSt15iterator_traitsISG_E10value_typeEPNSM_ISH_E10value_typeEPSI_NS1_7vsmem_tEENKUlT_SG_SH_SI_E_clIS7_S7_PlSB_EESF_SV_SG_SH_SI_EUlSV_E1_NS1_11comp_targetILNS1_3genE5ELNS1_11target_archE942ELNS1_3gpuE9ELNS1_3repE0EEENS1_36merge_oddeven_config_static_selectorELNS0_4arch9wavefront6targetE1EEEvSH_
; %bb.0:
	.section	.rodata,"a",@progbits
	.p2align	6, 0x0
	.amdhsa_kernel _ZN7rocprim17ROCPRIM_400000_NS6detail17trampoline_kernelINS0_14default_configENS1_38merge_sort_block_merge_config_selectorIilEEZZNS1_27merge_sort_block_merge_implIS3_PiN6thrust23THRUST_200600_302600_NS10device_ptrIlEEjNS1_19radix_merge_compareILb0ELb1EiNS0_19identity_decomposerEEEEE10hipError_tT0_T1_T2_jT3_P12ihipStream_tbPNSt15iterator_traitsISG_E10value_typeEPNSM_ISH_E10value_typeEPSI_NS1_7vsmem_tEENKUlT_SG_SH_SI_E_clIS7_S7_PlSB_EESF_SV_SG_SH_SI_EUlSV_E1_NS1_11comp_targetILNS1_3genE5ELNS1_11target_archE942ELNS1_3gpuE9ELNS1_3repE0EEENS1_36merge_oddeven_config_static_selectorELNS0_4arch9wavefront6targetE1EEEvSH_
		.amdhsa_group_segment_fixed_size 0
		.amdhsa_private_segment_fixed_size 0
		.amdhsa_kernarg_size 48
		.amdhsa_user_sgpr_count 6
		.amdhsa_user_sgpr_private_segment_buffer 1
		.amdhsa_user_sgpr_dispatch_ptr 0
		.amdhsa_user_sgpr_queue_ptr 0
		.amdhsa_user_sgpr_kernarg_segment_ptr 1
		.amdhsa_user_sgpr_dispatch_id 0
		.amdhsa_user_sgpr_flat_scratch_init 0
		.amdhsa_user_sgpr_private_segment_size 0
		.amdhsa_uses_dynamic_stack 0
		.amdhsa_system_sgpr_private_segment_wavefront_offset 0
		.amdhsa_system_sgpr_workgroup_id_x 1
		.amdhsa_system_sgpr_workgroup_id_y 0
		.amdhsa_system_sgpr_workgroup_id_z 0
		.amdhsa_system_sgpr_workgroup_info 0
		.amdhsa_system_vgpr_workitem_id 0
		.amdhsa_next_free_vgpr 1
		.amdhsa_next_free_sgpr 0
		.amdhsa_reserve_vcc 0
		.amdhsa_reserve_flat_scratch 0
		.amdhsa_float_round_mode_32 0
		.amdhsa_float_round_mode_16_64 0
		.amdhsa_float_denorm_mode_32 3
		.amdhsa_float_denorm_mode_16_64 3
		.amdhsa_dx10_clamp 1
		.amdhsa_ieee_mode 1
		.amdhsa_fp16_overflow 0
		.amdhsa_exception_fp_ieee_invalid_op 0
		.amdhsa_exception_fp_denorm_src 0
		.amdhsa_exception_fp_ieee_div_zero 0
		.amdhsa_exception_fp_ieee_overflow 0
		.amdhsa_exception_fp_ieee_underflow 0
		.amdhsa_exception_fp_ieee_inexact 0
		.amdhsa_exception_int_div_zero 0
	.end_amdhsa_kernel
	.section	.text._ZN7rocprim17ROCPRIM_400000_NS6detail17trampoline_kernelINS0_14default_configENS1_38merge_sort_block_merge_config_selectorIilEEZZNS1_27merge_sort_block_merge_implIS3_PiN6thrust23THRUST_200600_302600_NS10device_ptrIlEEjNS1_19radix_merge_compareILb0ELb1EiNS0_19identity_decomposerEEEEE10hipError_tT0_T1_T2_jT3_P12ihipStream_tbPNSt15iterator_traitsISG_E10value_typeEPNSM_ISH_E10value_typeEPSI_NS1_7vsmem_tEENKUlT_SG_SH_SI_E_clIS7_S7_PlSB_EESF_SV_SG_SH_SI_EUlSV_E1_NS1_11comp_targetILNS1_3genE5ELNS1_11target_archE942ELNS1_3gpuE9ELNS1_3repE0EEENS1_36merge_oddeven_config_static_selectorELNS0_4arch9wavefront6targetE1EEEvSH_,"axG",@progbits,_ZN7rocprim17ROCPRIM_400000_NS6detail17trampoline_kernelINS0_14default_configENS1_38merge_sort_block_merge_config_selectorIilEEZZNS1_27merge_sort_block_merge_implIS3_PiN6thrust23THRUST_200600_302600_NS10device_ptrIlEEjNS1_19radix_merge_compareILb0ELb1EiNS0_19identity_decomposerEEEEE10hipError_tT0_T1_T2_jT3_P12ihipStream_tbPNSt15iterator_traitsISG_E10value_typeEPNSM_ISH_E10value_typeEPSI_NS1_7vsmem_tEENKUlT_SG_SH_SI_E_clIS7_S7_PlSB_EESF_SV_SG_SH_SI_EUlSV_E1_NS1_11comp_targetILNS1_3genE5ELNS1_11target_archE942ELNS1_3gpuE9ELNS1_3repE0EEENS1_36merge_oddeven_config_static_selectorELNS0_4arch9wavefront6targetE1EEEvSH_,comdat
.Lfunc_end818:
	.size	_ZN7rocprim17ROCPRIM_400000_NS6detail17trampoline_kernelINS0_14default_configENS1_38merge_sort_block_merge_config_selectorIilEEZZNS1_27merge_sort_block_merge_implIS3_PiN6thrust23THRUST_200600_302600_NS10device_ptrIlEEjNS1_19radix_merge_compareILb0ELb1EiNS0_19identity_decomposerEEEEE10hipError_tT0_T1_T2_jT3_P12ihipStream_tbPNSt15iterator_traitsISG_E10value_typeEPNSM_ISH_E10value_typeEPSI_NS1_7vsmem_tEENKUlT_SG_SH_SI_E_clIS7_S7_PlSB_EESF_SV_SG_SH_SI_EUlSV_E1_NS1_11comp_targetILNS1_3genE5ELNS1_11target_archE942ELNS1_3gpuE9ELNS1_3repE0EEENS1_36merge_oddeven_config_static_selectorELNS0_4arch9wavefront6targetE1EEEvSH_, .Lfunc_end818-_ZN7rocprim17ROCPRIM_400000_NS6detail17trampoline_kernelINS0_14default_configENS1_38merge_sort_block_merge_config_selectorIilEEZZNS1_27merge_sort_block_merge_implIS3_PiN6thrust23THRUST_200600_302600_NS10device_ptrIlEEjNS1_19radix_merge_compareILb0ELb1EiNS0_19identity_decomposerEEEEE10hipError_tT0_T1_T2_jT3_P12ihipStream_tbPNSt15iterator_traitsISG_E10value_typeEPNSM_ISH_E10value_typeEPSI_NS1_7vsmem_tEENKUlT_SG_SH_SI_E_clIS7_S7_PlSB_EESF_SV_SG_SH_SI_EUlSV_E1_NS1_11comp_targetILNS1_3genE5ELNS1_11target_archE942ELNS1_3gpuE9ELNS1_3repE0EEENS1_36merge_oddeven_config_static_selectorELNS0_4arch9wavefront6targetE1EEEvSH_
                                        ; -- End function
	.set _ZN7rocprim17ROCPRIM_400000_NS6detail17trampoline_kernelINS0_14default_configENS1_38merge_sort_block_merge_config_selectorIilEEZZNS1_27merge_sort_block_merge_implIS3_PiN6thrust23THRUST_200600_302600_NS10device_ptrIlEEjNS1_19radix_merge_compareILb0ELb1EiNS0_19identity_decomposerEEEEE10hipError_tT0_T1_T2_jT3_P12ihipStream_tbPNSt15iterator_traitsISG_E10value_typeEPNSM_ISH_E10value_typeEPSI_NS1_7vsmem_tEENKUlT_SG_SH_SI_E_clIS7_S7_PlSB_EESF_SV_SG_SH_SI_EUlSV_E1_NS1_11comp_targetILNS1_3genE5ELNS1_11target_archE942ELNS1_3gpuE9ELNS1_3repE0EEENS1_36merge_oddeven_config_static_selectorELNS0_4arch9wavefront6targetE1EEEvSH_.num_vgpr, 0
	.set _ZN7rocprim17ROCPRIM_400000_NS6detail17trampoline_kernelINS0_14default_configENS1_38merge_sort_block_merge_config_selectorIilEEZZNS1_27merge_sort_block_merge_implIS3_PiN6thrust23THRUST_200600_302600_NS10device_ptrIlEEjNS1_19radix_merge_compareILb0ELb1EiNS0_19identity_decomposerEEEEE10hipError_tT0_T1_T2_jT3_P12ihipStream_tbPNSt15iterator_traitsISG_E10value_typeEPNSM_ISH_E10value_typeEPSI_NS1_7vsmem_tEENKUlT_SG_SH_SI_E_clIS7_S7_PlSB_EESF_SV_SG_SH_SI_EUlSV_E1_NS1_11comp_targetILNS1_3genE5ELNS1_11target_archE942ELNS1_3gpuE9ELNS1_3repE0EEENS1_36merge_oddeven_config_static_selectorELNS0_4arch9wavefront6targetE1EEEvSH_.num_agpr, 0
	.set _ZN7rocprim17ROCPRIM_400000_NS6detail17trampoline_kernelINS0_14default_configENS1_38merge_sort_block_merge_config_selectorIilEEZZNS1_27merge_sort_block_merge_implIS3_PiN6thrust23THRUST_200600_302600_NS10device_ptrIlEEjNS1_19radix_merge_compareILb0ELb1EiNS0_19identity_decomposerEEEEE10hipError_tT0_T1_T2_jT3_P12ihipStream_tbPNSt15iterator_traitsISG_E10value_typeEPNSM_ISH_E10value_typeEPSI_NS1_7vsmem_tEENKUlT_SG_SH_SI_E_clIS7_S7_PlSB_EESF_SV_SG_SH_SI_EUlSV_E1_NS1_11comp_targetILNS1_3genE5ELNS1_11target_archE942ELNS1_3gpuE9ELNS1_3repE0EEENS1_36merge_oddeven_config_static_selectorELNS0_4arch9wavefront6targetE1EEEvSH_.numbered_sgpr, 0
	.set _ZN7rocprim17ROCPRIM_400000_NS6detail17trampoline_kernelINS0_14default_configENS1_38merge_sort_block_merge_config_selectorIilEEZZNS1_27merge_sort_block_merge_implIS3_PiN6thrust23THRUST_200600_302600_NS10device_ptrIlEEjNS1_19radix_merge_compareILb0ELb1EiNS0_19identity_decomposerEEEEE10hipError_tT0_T1_T2_jT3_P12ihipStream_tbPNSt15iterator_traitsISG_E10value_typeEPNSM_ISH_E10value_typeEPSI_NS1_7vsmem_tEENKUlT_SG_SH_SI_E_clIS7_S7_PlSB_EESF_SV_SG_SH_SI_EUlSV_E1_NS1_11comp_targetILNS1_3genE5ELNS1_11target_archE942ELNS1_3gpuE9ELNS1_3repE0EEENS1_36merge_oddeven_config_static_selectorELNS0_4arch9wavefront6targetE1EEEvSH_.num_named_barrier, 0
	.set _ZN7rocprim17ROCPRIM_400000_NS6detail17trampoline_kernelINS0_14default_configENS1_38merge_sort_block_merge_config_selectorIilEEZZNS1_27merge_sort_block_merge_implIS3_PiN6thrust23THRUST_200600_302600_NS10device_ptrIlEEjNS1_19radix_merge_compareILb0ELb1EiNS0_19identity_decomposerEEEEE10hipError_tT0_T1_T2_jT3_P12ihipStream_tbPNSt15iterator_traitsISG_E10value_typeEPNSM_ISH_E10value_typeEPSI_NS1_7vsmem_tEENKUlT_SG_SH_SI_E_clIS7_S7_PlSB_EESF_SV_SG_SH_SI_EUlSV_E1_NS1_11comp_targetILNS1_3genE5ELNS1_11target_archE942ELNS1_3gpuE9ELNS1_3repE0EEENS1_36merge_oddeven_config_static_selectorELNS0_4arch9wavefront6targetE1EEEvSH_.private_seg_size, 0
	.set _ZN7rocprim17ROCPRIM_400000_NS6detail17trampoline_kernelINS0_14default_configENS1_38merge_sort_block_merge_config_selectorIilEEZZNS1_27merge_sort_block_merge_implIS3_PiN6thrust23THRUST_200600_302600_NS10device_ptrIlEEjNS1_19radix_merge_compareILb0ELb1EiNS0_19identity_decomposerEEEEE10hipError_tT0_T1_T2_jT3_P12ihipStream_tbPNSt15iterator_traitsISG_E10value_typeEPNSM_ISH_E10value_typeEPSI_NS1_7vsmem_tEENKUlT_SG_SH_SI_E_clIS7_S7_PlSB_EESF_SV_SG_SH_SI_EUlSV_E1_NS1_11comp_targetILNS1_3genE5ELNS1_11target_archE942ELNS1_3gpuE9ELNS1_3repE0EEENS1_36merge_oddeven_config_static_selectorELNS0_4arch9wavefront6targetE1EEEvSH_.uses_vcc, 0
	.set _ZN7rocprim17ROCPRIM_400000_NS6detail17trampoline_kernelINS0_14default_configENS1_38merge_sort_block_merge_config_selectorIilEEZZNS1_27merge_sort_block_merge_implIS3_PiN6thrust23THRUST_200600_302600_NS10device_ptrIlEEjNS1_19radix_merge_compareILb0ELb1EiNS0_19identity_decomposerEEEEE10hipError_tT0_T1_T2_jT3_P12ihipStream_tbPNSt15iterator_traitsISG_E10value_typeEPNSM_ISH_E10value_typeEPSI_NS1_7vsmem_tEENKUlT_SG_SH_SI_E_clIS7_S7_PlSB_EESF_SV_SG_SH_SI_EUlSV_E1_NS1_11comp_targetILNS1_3genE5ELNS1_11target_archE942ELNS1_3gpuE9ELNS1_3repE0EEENS1_36merge_oddeven_config_static_selectorELNS0_4arch9wavefront6targetE1EEEvSH_.uses_flat_scratch, 0
	.set _ZN7rocprim17ROCPRIM_400000_NS6detail17trampoline_kernelINS0_14default_configENS1_38merge_sort_block_merge_config_selectorIilEEZZNS1_27merge_sort_block_merge_implIS3_PiN6thrust23THRUST_200600_302600_NS10device_ptrIlEEjNS1_19radix_merge_compareILb0ELb1EiNS0_19identity_decomposerEEEEE10hipError_tT0_T1_T2_jT3_P12ihipStream_tbPNSt15iterator_traitsISG_E10value_typeEPNSM_ISH_E10value_typeEPSI_NS1_7vsmem_tEENKUlT_SG_SH_SI_E_clIS7_S7_PlSB_EESF_SV_SG_SH_SI_EUlSV_E1_NS1_11comp_targetILNS1_3genE5ELNS1_11target_archE942ELNS1_3gpuE9ELNS1_3repE0EEENS1_36merge_oddeven_config_static_selectorELNS0_4arch9wavefront6targetE1EEEvSH_.has_dyn_sized_stack, 0
	.set _ZN7rocprim17ROCPRIM_400000_NS6detail17trampoline_kernelINS0_14default_configENS1_38merge_sort_block_merge_config_selectorIilEEZZNS1_27merge_sort_block_merge_implIS3_PiN6thrust23THRUST_200600_302600_NS10device_ptrIlEEjNS1_19radix_merge_compareILb0ELb1EiNS0_19identity_decomposerEEEEE10hipError_tT0_T1_T2_jT3_P12ihipStream_tbPNSt15iterator_traitsISG_E10value_typeEPNSM_ISH_E10value_typeEPSI_NS1_7vsmem_tEENKUlT_SG_SH_SI_E_clIS7_S7_PlSB_EESF_SV_SG_SH_SI_EUlSV_E1_NS1_11comp_targetILNS1_3genE5ELNS1_11target_archE942ELNS1_3gpuE9ELNS1_3repE0EEENS1_36merge_oddeven_config_static_selectorELNS0_4arch9wavefront6targetE1EEEvSH_.has_recursion, 0
	.set _ZN7rocprim17ROCPRIM_400000_NS6detail17trampoline_kernelINS0_14default_configENS1_38merge_sort_block_merge_config_selectorIilEEZZNS1_27merge_sort_block_merge_implIS3_PiN6thrust23THRUST_200600_302600_NS10device_ptrIlEEjNS1_19radix_merge_compareILb0ELb1EiNS0_19identity_decomposerEEEEE10hipError_tT0_T1_T2_jT3_P12ihipStream_tbPNSt15iterator_traitsISG_E10value_typeEPNSM_ISH_E10value_typeEPSI_NS1_7vsmem_tEENKUlT_SG_SH_SI_E_clIS7_S7_PlSB_EESF_SV_SG_SH_SI_EUlSV_E1_NS1_11comp_targetILNS1_3genE5ELNS1_11target_archE942ELNS1_3gpuE9ELNS1_3repE0EEENS1_36merge_oddeven_config_static_selectorELNS0_4arch9wavefront6targetE1EEEvSH_.has_indirect_call, 0
	.section	.AMDGPU.csdata,"",@progbits
; Kernel info:
; codeLenInByte = 0
; TotalNumSgprs: 4
; NumVgprs: 0
; ScratchSize: 0
; MemoryBound: 0
; FloatMode: 240
; IeeeMode: 1
; LDSByteSize: 0 bytes/workgroup (compile time only)
; SGPRBlocks: 0
; VGPRBlocks: 0
; NumSGPRsForWavesPerEU: 4
; NumVGPRsForWavesPerEU: 1
; Occupancy: 10
; WaveLimiterHint : 0
; COMPUTE_PGM_RSRC2:SCRATCH_EN: 0
; COMPUTE_PGM_RSRC2:USER_SGPR: 6
; COMPUTE_PGM_RSRC2:TRAP_HANDLER: 0
; COMPUTE_PGM_RSRC2:TGID_X_EN: 1
; COMPUTE_PGM_RSRC2:TGID_Y_EN: 0
; COMPUTE_PGM_RSRC2:TGID_Z_EN: 0
; COMPUTE_PGM_RSRC2:TIDIG_COMP_CNT: 0
	.section	.text._ZN7rocprim17ROCPRIM_400000_NS6detail17trampoline_kernelINS0_14default_configENS1_38merge_sort_block_merge_config_selectorIilEEZZNS1_27merge_sort_block_merge_implIS3_PiN6thrust23THRUST_200600_302600_NS10device_ptrIlEEjNS1_19radix_merge_compareILb0ELb1EiNS0_19identity_decomposerEEEEE10hipError_tT0_T1_T2_jT3_P12ihipStream_tbPNSt15iterator_traitsISG_E10value_typeEPNSM_ISH_E10value_typeEPSI_NS1_7vsmem_tEENKUlT_SG_SH_SI_E_clIS7_S7_PlSB_EESF_SV_SG_SH_SI_EUlSV_E1_NS1_11comp_targetILNS1_3genE4ELNS1_11target_archE910ELNS1_3gpuE8ELNS1_3repE0EEENS1_36merge_oddeven_config_static_selectorELNS0_4arch9wavefront6targetE1EEEvSH_,"axG",@progbits,_ZN7rocprim17ROCPRIM_400000_NS6detail17trampoline_kernelINS0_14default_configENS1_38merge_sort_block_merge_config_selectorIilEEZZNS1_27merge_sort_block_merge_implIS3_PiN6thrust23THRUST_200600_302600_NS10device_ptrIlEEjNS1_19radix_merge_compareILb0ELb1EiNS0_19identity_decomposerEEEEE10hipError_tT0_T1_T2_jT3_P12ihipStream_tbPNSt15iterator_traitsISG_E10value_typeEPNSM_ISH_E10value_typeEPSI_NS1_7vsmem_tEENKUlT_SG_SH_SI_E_clIS7_S7_PlSB_EESF_SV_SG_SH_SI_EUlSV_E1_NS1_11comp_targetILNS1_3genE4ELNS1_11target_archE910ELNS1_3gpuE8ELNS1_3repE0EEENS1_36merge_oddeven_config_static_selectorELNS0_4arch9wavefront6targetE1EEEvSH_,comdat
	.protected	_ZN7rocprim17ROCPRIM_400000_NS6detail17trampoline_kernelINS0_14default_configENS1_38merge_sort_block_merge_config_selectorIilEEZZNS1_27merge_sort_block_merge_implIS3_PiN6thrust23THRUST_200600_302600_NS10device_ptrIlEEjNS1_19radix_merge_compareILb0ELb1EiNS0_19identity_decomposerEEEEE10hipError_tT0_T1_T2_jT3_P12ihipStream_tbPNSt15iterator_traitsISG_E10value_typeEPNSM_ISH_E10value_typeEPSI_NS1_7vsmem_tEENKUlT_SG_SH_SI_E_clIS7_S7_PlSB_EESF_SV_SG_SH_SI_EUlSV_E1_NS1_11comp_targetILNS1_3genE4ELNS1_11target_archE910ELNS1_3gpuE8ELNS1_3repE0EEENS1_36merge_oddeven_config_static_selectorELNS0_4arch9wavefront6targetE1EEEvSH_ ; -- Begin function _ZN7rocprim17ROCPRIM_400000_NS6detail17trampoline_kernelINS0_14default_configENS1_38merge_sort_block_merge_config_selectorIilEEZZNS1_27merge_sort_block_merge_implIS3_PiN6thrust23THRUST_200600_302600_NS10device_ptrIlEEjNS1_19radix_merge_compareILb0ELb1EiNS0_19identity_decomposerEEEEE10hipError_tT0_T1_T2_jT3_P12ihipStream_tbPNSt15iterator_traitsISG_E10value_typeEPNSM_ISH_E10value_typeEPSI_NS1_7vsmem_tEENKUlT_SG_SH_SI_E_clIS7_S7_PlSB_EESF_SV_SG_SH_SI_EUlSV_E1_NS1_11comp_targetILNS1_3genE4ELNS1_11target_archE910ELNS1_3gpuE8ELNS1_3repE0EEENS1_36merge_oddeven_config_static_selectorELNS0_4arch9wavefront6targetE1EEEvSH_
	.globl	_ZN7rocprim17ROCPRIM_400000_NS6detail17trampoline_kernelINS0_14default_configENS1_38merge_sort_block_merge_config_selectorIilEEZZNS1_27merge_sort_block_merge_implIS3_PiN6thrust23THRUST_200600_302600_NS10device_ptrIlEEjNS1_19radix_merge_compareILb0ELb1EiNS0_19identity_decomposerEEEEE10hipError_tT0_T1_T2_jT3_P12ihipStream_tbPNSt15iterator_traitsISG_E10value_typeEPNSM_ISH_E10value_typeEPSI_NS1_7vsmem_tEENKUlT_SG_SH_SI_E_clIS7_S7_PlSB_EESF_SV_SG_SH_SI_EUlSV_E1_NS1_11comp_targetILNS1_3genE4ELNS1_11target_archE910ELNS1_3gpuE8ELNS1_3repE0EEENS1_36merge_oddeven_config_static_selectorELNS0_4arch9wavefront6targetE1EEEvSH_
	.p2align	8
	.type	_ZN7rocprim17ROCPRIM_400000_NS6detail17trampoline_kernelINS0_14default_configENS1_38merge_sort_block_merge_config_selectorIilEEZZNS1_27merge_sort_block_merge_implIS3_PiN6thrust23THRUST_200600_302600_NS10device_ptrIlEEjNS1_19radix_merge_compareILb0ELb1EiNS0_19identity_decomposerEEEEE10hipError_tT0_T1_T2_jT3_P12ihipStream_tbPNSt15iterator_traitsISG_E10value_typeEPNSM_ISH_E10value_typeEPSI_NS1_7vsmem_tEENKUlT_SG_SH_SI_E_clIS7_S7_PlSB_EESF_SV_SG_SH_SI_EUlSV_E1_NS1_11comp_targetILNS1_3genE4ELNS1_11target_archE910ELNS1_3gpuE8ELNS1_3repE0EEENS1_36merge_oddeven_config_static_selectorELNS0_4arch9wavefront6targetE1EEEvSH_,@function
_ZN7rocprim17ROCPRIM_400000_NS6detail17trampoline_kernelINS0_14default_configENS1_38merge_sort_block_merge_config_selectorIilEEZZNS1_27merge_sort_block_merge_implIS3_PiN6thrust23THRUST_200600_302600_NS10device_ptrIlEEjNS1_19radix_merge_compareILb0ELb1EiNS0_19identity_decomposerEEEEE10hipError_tT0_T1_T2_jT3_P12ihipStream_tbPNSt15iterator_traitsISG_E10value_typeEPNSM_ISH_E10value_typeEPSI_NS1_7vsmem_tEENKUlT_SG_SH_SI_E_clIS7_S7_PlSB_EESF_SV_SG_SH_SI_EUlSV_E1_NS1_11comp_targetILNS1_3genE4ELNS1_11target_archE910ELNS1_3gpuE8ELNS1_3repE0EEENS1_36merge_oddeven_config_static_selectorELNS0_4arch9wavefront6targetE1EEEvSH_: ; @_ZN7rocprim17ROCPRIM_400000_NS6detail17trampoline_kernelINS0_14default_configENS1_38merge_sort_block_merge_config_selectorIilEEZZNS1_27merge_sort_block_merge_implIS3_PiN6thrust23THRUST_200600_302600_NS10device_ptrIlEEjNS1_19radix_merge_compareILb0ELb1EiNS0_19identity_decomposerEEEEE10hipError_tT0_T1_T2_jT3_P12ihipStream_tbPNSt15iterator_traitsISG_E10value_typeEPNSM_ISH_E10value_typeEPSI_NS1_7vsmem_tEENKUlT_SG_SH_SI_E_clIS7_S7_PlSB_EESF_SV_SG_SH_SI_EUlSV_E1_NS1_11comp_targetILNS1_3genE4ELNS1_11target_archE910ELNS1_3gpuE8ELNS1_3repE0EEENS1_36merge_oddeven_config_static_selectorELNS0_4arch9wavefront6targetE1EEEvSH_
; %bb.0:
	.section	.rodata,"a",@progbits
	.p2align	6, 0x0
	.amdhsa_kernel _ZN7rocprim17ROCPRIM_400000_NS6detail17trampoline_kernelINS0_14default_configENS1_38merge_sort_block_merge_config_selectorIilEEZZNS1_27merge_sort_block_merge_implIS3_PiN6thrust23THRUST_200600_302600_NS10device_ptrIlEEjNS1_19radix_merge_compareILb0ELb1EiNS0_19identity_decomposerEEEEE10hipError_tT0_T1_T2_jT3_P12ihipStream_tbPNSt15iterator_traitsISG_E10value_typeEPNSM_ISH_E10value_typeEPSI_NS1_7vsmem_tEENKUlT_SG_SH_SI_E_clIS7_S7_PlSB_EESF_SV_SG_SH_SI_EUlSV_E1_NS1_11comp_targetILNS1_3genE4ELNS1_11target_archE910ELNS1_3gpuE8ELNS1_3repE0EEENS1_36merge_oddeven_config_static_selectorELNS0_4arch9wavefront6targetE1EEEvSH_
		.amdhsa_group_segment_fixed_size 0
		.amdhsa_private_segment_fixed_size 0
		.amdhsa_kernarg_size 48
		.amdhsa_user_sgpr_count 6
		.amdhsa_user_sgpr_private_segment_buffer 1
		.amdhsa_user_sgpr_dispatch_ptr 0
		.amdhsa_user_sgpr_queue_ptr 0
		.amdhsa_user_sgpr_kernarg_segment_ptr 1
		.amdhsa_user_sgpr_dispatch_id 0
		.amdhsa_user_sgpr_flat_scratch_init 0
		.amdhsa_user_sgpr_private_segment_size 0
		.amdhsa_uses_dynamic_stack 0
		.amdhsa_system_sgpr_private_segment_wavefront_offset 0
		.amdhsa_system_sgpr_workgroup_id_x 1
		.amdhsa_system_sgpr_workgroup_id_y 0
		.amdhsa_system_sgpr_workgroup_id_z 0
		.amdhsa_system_sgpr_workgroup_info 0
		.amdhsa_system_vgpr_workitem_id 0
		.amdhsa_next_free_vgpr 1
		.amdhsa_next_free_sgpr 0
		.amdhsa_reserve_vcc 0
		.amdhsa_reserve_flat_scratch 0
		.amdhsa_float_round_mode_32 0
		.amdhsa_float_round_mode_16_64 0
		.amdhsa_float_denorm_mode_32 3
		.amdhsa_float_denorm_mode_16_64 3
		.amdhsa_dx10_clamp 1
		.amdhsa_ieee_mode 1
		.amdhsa_fp16_overflow 0
		.amdhsa_exception_fp_ieee_invalid_op 0
		.amdhsa_exception_fp_denorm_src 0
		.amdhsa_exception_fp_ieee_div_zero 0
		.amdhsa_exception_fp_ieee_overflow 0
		.amdhsa_exception_fp_ieee_underflow 0
		.amdhsa_exception_fp_ieee_inexact 0
		.amdhsa_exception_int_div_zero 0
	.end_amdhsa_kernel
	.section	.text._ZN7rocprim17ROCPRIM_400000_NS6detail17trampoline_kernelINS0_14default_configENS1_38merge_sort_block_merge_config_selectorIilEEZZNS1_27merge_sort_block_merge_implIS3_PiN6thrust23THRUST_200600_302600_NS10device_ptrIlEEjNS1_19radix_merge_compareILb0ELb1EiNS0_19identity_decomposerEEEEE10hipError_tT0_T1_T2_jT3_P12ihipStream_tbPNSt15iterator_traitsISG_E10value_typeEPNSM_ISH_E10value_typeEPSI_NS1_7vsmem_tEENKUlT_SG_SH_SI_E_clIS7_S7_PlSB_EESF_SV_SG_SH_SI_EUlSV_E1_NS1_11comp_targetILNS1_3genE4ELNS1_11target_archE910ELNS1_3gpuE8ELNS1_3repE0EEENS1_36merge_oddeven_config_static_selectorELNS0_4arch9wavefront6targetE1EEEvSH_,"axG",@progbits,_ZN7rocprim17ROCPRIM_400000_NS6detail17trampoline_kernelINS0_14default_configENS1_38merge_sort_block_merge_config_selectorIilEEZZNS1_27merge_sort_block_merge_implIS3_PiN6thrust23THRUST_200600_302600_NS10device_ptrIlEEjNS1_19radix_merge_compareILb0ELb1EiNS0_19identity_decomposerEEEEE10hipError_tT0_T1_T2_jT3_P12ihipStream_tbPNSt15iterator_traitsISG_E10value_typeEPNSM_ISH_E10value_typeEPSI_NS1_7vsmem_tEENKUlT_SG_SH_SI_E_clIS7_S7_PlSB_EESF_SV_SG_SH_SI_EUlSV_E1_NS1_11comp_targetILNS1_3genE4ELNS1_11target_archE910ELNS1_3gpuE8ELNS1_3repE0EEENS1_36merge_oddeven_config_static_selectorELNS0_4arch9wavefront6targetE1EEEvSH_,comdat
.Lfunc_end819:
	.size	_ZN7rocprim17ROCPRIM_400000_NS6detail17trampoline_kernelINS0_14default_configENS1_38merge_sort_block_merge_config_selectorIilEEZZNS1_27merge_sort_block_merge_implIS3_PiN6thrust23THRUST_200600_302600_NS10device_ptrIlEEjNS1_19radix_merge_compareILb0ELb1EiNS0_19identity_decomposerEEEEE10hipError_tT0_T1_T2_jT3_P12ihipStream_tbPNSt15iterator_traitsISG_E10value_typeEPNSM_ISH_E10value_typeEPSI_NS1_7vsmem_tEENKUlT_SG_SH_SI_E_clIS7_S7_PlSB_EESF_SV_SG_SH_SI_EUlSV_E1_NS1_11comp_targetILNS1_3genE4ELNS1_11target_archE910ELNS1_3gpuE8ELNS1_3repE0EEENS1_36merge_oddeven_config_static_selectorELNS0_4arch9wavefront6targetE1EEEvSH_, .Lfunc_end819-_ZN7rocprim17ROCPRIM_400000_NS6detail17trampoline_kernelINS0_14default_configENS1_38merge_sort_block_merge_config_selectorIilEEZZNS1_27merge_sort_block_merge_implIS3_PiN6thrust23THRUST_200600_302600_NS10device_ptrIlEEjNS1_19radix_merge_compareILb0ELb1EiNS0_19identity_decomposerEEEEE10hipError_tT0_T1_T2_jT3_P12ihipStream_tbPNSt15iterator_traitsISG_E10value_typeEPNSM_ISH_E10value_typeEPSI_NS1_7vsmem_tEENKUlT_SG_SH_SI_E_clIS7_S7_PlSB_EESF_SV_SG_SH_SI_EUlSV_E1_NS1_11comp_targetILNS1_3genE4ELNS1_11target_archE910ELNS1_3gpuE8ELNS1_3repE0EEENS1_36merge_oddeven_config_static_selectorELNS0_4arch9wavefront6targetE1EEEvSH_
                                        ; -- End function
	.set _ZN7rocprim17ROCPRIM_400000_NS6detail17trampoline_kernelINS0_14default_configENS1_38merge_sort_block_merge_config_selectorIilEEZZNS1_27merge_sort_block_merge_implIS3_PiN6thrust23THRUST_200600_302600_NS10device_ptrIlEEjNS1_19radix_merge_compareILb0ELb1EiNS0_19identity_decomposerEEEEE10hipError_tT0_T1_T2_jT3_P12ihipStream_tbPNSt15iterator_traitsISG_E10value_typeEPNSM_ISH_E10value_typeEPSI_NS1_7vsmem_tEENKUlT_SG_SH_SI_E_clIS7_S7_PlSB_EESF_SV_SG_SH_SI_EUlSV_E1_NS1_11comp_targetILNS1_3genE4ELNS1_11target_archE910ELNS1_3gpuE8ELNS1_3repE0EEENS1_36merge_oddeven_config_static_selectorELNS0_4arch9wavefront6targetE1EEEvSH_.num_vgpr, 0
	.set _ZN7rocprim17ROCPRIM_400000_NS6detail17trampoline_kernelINS0_14default_configENS1_38merge_sort_block_merge_config_selectorIilEEZZNS1_27merge_sort_block_merge_implIS3_PiN6thrust23THRUST_200600_302600_NS10device_ptrIlEEjNS1_19radix_merge_compareILb0ELb1EiNS0_19identity_decomposerEEEEE10hipError_tT0_T1_T2_jT3_P12ihipStream_tbPNSt15iterator_traitsISG_E10value_typeEPNSM_ISH_E10value_typeEPSI_NS1_7vsmem_tEENKUlT_SG_SH_SI_E_clIS7_S7_PlSB_EESF_SV_SG_SH_SI_EUlSV_E1_NS1_11comp_targetILNS1_3genE4ELNS1_11target_archE910ELNS1_3gpuE8ELNS1_3repE0EEENS1_36merge_oddeven_config_static_selectorELNS0_4arch9wavefront6targetE1EEEvSH_.num_agpr, 0
	.set _ZN7rocprim17ROCPRIM_400000_NS6detail17trampoline_kernelINS0_14default_configENS1_38merge_sort_block_merge_config_selectorIilEEZZNS1_27merge_sort_block_merge_implIS3_PiN6thrust23THRUST_200600_302600_NS10device_ptrIlEEjNS1_19radix_merge_compareILb0ELb1EiNS0_19identity_decomposerEEEEE10hipError_tT0_T1_T2_jT3_P12ihipStream_tbPNSt15iterator_traitsISG_E10value_typeEPNSM_ISH_E10value_typeEPSI_NS1_7vsmem_tEENKUlT_SG_SH_SI_E_clIS7_S7_PlSB_EESF_SV_SG_SH_SI_EUlSV_E1_NS1_11comp_targetILNS1_3genE4ELNS1_11target_archE910ELNS1_3gpuE8ELNS1_3repE0EEENS1_36merge_oddeven_config_static_selectorELNS0_4arch9wavefront6targetE1EEEvSH_.numbered_sgpr, 0
	.set _ZN7rocprim17ROCPRIM_400000_NS6detail17trampoline_kernelINS0_14default_configENS1_38merge_sort_block_merge_config_selectorIilEEZZNS1_27merge_sort_block_merge_implIS3_PiN6thrust23THRUST_200600_302600_NS10device_ptrIlEEjNS1_19radix_merge_compareILb0ELb1EiNS0_19identity_decomposerEEEEE10hipError_tT0_T1_T2_jT3_P12ihipStream_tbPNSt15iterator_traitsISG_E10value_typeEPNSM_ISH_E10value_typeEPSI_NS1_7vsmem_tEENKUlT_SG_SH_SI_E_clIS7_S7_PlSB_EESF_SV_SG_SH_SI_EUlSV_E1_NS1_11comp_targetILNS1_3genE4ELNS1_11target_archE910ELNS1_3gpuE8ELNS1_3repE0EEENS1_36merge_oddeven_config_static_selectorELNS0_4arch9wavefront6targetE1EEEvSH_.num_named_barrier, 0
	.set _ZN7rocprim17ROCPRIM_400000_NS6detail17trampoline_kernelINS0_14default_configENS1_38merge_sort_block_merge_config_selectorIilEEZZNS1_27merge_sort_block_merge_implIS3_PiN6thrust23THRUST_200600_302600_NS10device_ptrIlEEjNS1_19radix_merge_compareILb0ELb1EiNS0_19identity_decomposerEEEEE10hipError_tT0_T1_T2_jT3_P12ihipStream_tbPNSt15iterator_traitsISG_E10value_typeEPNSM_ISH_E10value_typeEPSI_NS1_7vsmem_tEENKUlT_SG_SH_SI_E_clIS7_S7_PlSB_EESF_SV_SG_SH_SI_EUlSV_E1_NS1_11comp_targetILNS1_3genE4ELNS1_11target_archE910ELNS1_3gpuE8ELNS1_3repE0EEENS1_36merge_oddeven_config_static_selectorELNS0_4arch9wavefront6targetE1EEEvSH_.private_seg_size, 0
	.set _ZN7rocprim17ROCPRIM_400000_NS6detail17trampoline_kernelINS0_14default_configENS1_38merge_sort_block_merge_config_selectorIilEEZZNS1_27merge_sort_block_merge_implIS3_PiN6thrust23THRUST_200600_302600_NS10device_ptrIlEEjNS1_19radix_merge_compareILb0ELb1EiNS0_19identity_decomposerEEEEE10hipError_tT0_T1_T2_jT3_P12ihipStream_tbPNSt15iterator_traitsISG_E10value_typeEPNSM_ISH_E10value_typeEPSI_NS1_7vsmem_tEENKUlT_SG_SH_SI_E_clIS7_S7_PlSB_EESF_SV_SG_SH_SI_EUlSV_E1_NS1_11comp_targetILNS1_3genE4ELNS1_11target_archE910ELNS1_3gpuE8ELNS1_3repE0EEENS1_36merge_oddeven_config_static_selectorELNS0_4arch9wavefront6targetE1EEEvSH_.uses_vcc, 0
	.set _ZN7rocprim17ROCPRIM_400000_NS6detail17trampoline_kernelINS0_14default_configENS1_38merge_sort_block_merge_config_selectorIilEEZZNS1_27merge_sort_block_merge_implIS3_PiN6thrust23THRUST_200600_302600_NS10device_ptrIlEEjNS1_19radix_merge_compareILb0ELb1EiNS0_19identity_decomposerEEEEE10hipError_tT0_T1_T2_jT3_P12ihipStream_tbPNSt15iterator_traitsISG_E10value_typeEPNSM_ISH_E10value_typeEPSI_NS1_7vsmem_tEENKUlT_SG_SH_SI_E_clIS7_S7_PlSB_EESF_SV_SG_SH_SI_EUlSV_E1_NS1_11comp_targetILNS1_3genE4ELNS1_11target_archE910ELNS1_3gpuE8ELNS1_3repE0EEENS1_36merge_oddeven_config_static_selectorELNS0_4arch9wavefront6targetE1EEEvSH_.uses_flat_scratch, 0
	.set _ZN7rocprim17ROCPRIM_400000_NS6detail17trampoline_kernelINS0_14default_configENS1_38merge_sort_block_merge_config_selectorIilEEZZNS1_27merge_sort_block_merge_implIS3_PiN6thrust23THRUST_200600_302600_NS10device_ptrIlEEjNS1_19radix_merge_compareILb0ELb1EiNS0_19identity_decomposerEEEEE10hipError_tT0_T1_T2_jT3_P12ihipStream_tbPNSt15iterator_traitsISG_E10value_typeEPNSM_ISH_E10value_typeEPSI_NS1_7vsmem_tEENKUlT_SG_SH_SI_E_clIS7_S7_PlSB_EESF_SV_SG_SH_SI_EUlSV_E1_NS1_11comp_targetILNS1_3genE4ELNS1_11target_archE910ELNS1_3gpuE8ELNS1_3repE0EEENS1_36merge_oddeven_config_static_selectorELNS0_4arch9wavefront6targetE1EEEvSH_.has_dyn_sized_stack, 0
	.set _ZN7rocprim17ROCPRIM_400000_NS6detail17trampoline_kernelINS0_14default_configENS1_38merge_sort_block_merge_config_selectorIilEEZZNS1_27merge_sort_block_merge_implIS3_PiN6thrust23THRUST_200600_302600_NS10device_ptrIlEEjNS1_19radix_merge_compareILb0ELb1EiNS0_19identity_decomposerEEEEE10hipError_tT0_T1_T2_jT3_P12ihipStream_tbPNSt15iterator_traitsISG_E10value_typeEPNSM_ISH_E10value_typeEPSI_NS1_7vsmem_tEENKUlT_SG_SH_SI_E_clIS7_S7_PlSB_EESF_SV_SG_SH_SI_EUlSV_E1_NS1_11comp_targetILNS1_3genE4ELNS1_11target_archE910ELNS1_3gpuE8ELNS1_3repE0EEENS1_36merge_oddeven_config_static_selectorELNS0_4arch9wavefront6targetE1EEEvSH_.has_recursion, 0
	.set _ZN7rocprim17ROCPRIM_400000_NS6detail17trampoline_kernelINS0_14default_configENS1_38merge_sort_block_merge_config_selectorIilEEZZNS1_27merge_sort_block_merge_implIS3_PiN6thrust23THRUST_200600_302600_NS10device_ptrIlEEjNS1_19radix_merge_compareILb0ELb1EiNS0_19identity_decomposerEEEEE10hipError_tT0_T1_T2_jT3_P12ihipStream_tbPNSt15iterator_traitsISG_E10value_typeEPNSM_ISH_E10value_typeEPSI_NS1_7vsmem_tEENKUlT_SG_SH_SI_E_clIS7_S7_PlSB_EESF_SV_SG_SH_SI_EUlSV_E1_NS1_11comp_targetILNS1_3genE4ELNS1_11target_archE910ELNS1_3gpuE8ELNS1_3repE0EEENS1_36merge_oddeven_config_static_selectorELNS0_4arch9wavefront6targetE1EEEvSH_.has_indirect_call, 0
	.section	.AMDGPU.csdata,"",@progbits
; Kernel info:
; codeLenInByte = 0
; TotalNumSgprs: 4
; NumVgprs: 0
; ScratchSize: 0
; MemoryBound: 0
; FloatMode: 240
; IeeeMode: 1
; LDSByteSize: 0 bytes/workgroup (compile time only)
; SGPRBlocks: 0
; VGPRBlocks: 0
; NumSGPRsForWavesPerEU: 4
; NumVGPRsForWavesPerEU: 1
; Occupancy: 10
; WaveLimiterHint : 0
; COMPUTE_PGM_RSRC2:SCRATCH_EN: 0
; COMPUTE_PGM_RSRC2:USER_SGPR: 6
; COMPUTE_PGM_RSRC2:TRAP_HANDLER: 0
; COMPUTE_PGM_RSRC2:TGID_X_EN: 1
; COMPUTE_PGM_RSRC2:TGID_Y_EN: 0
; COMPUTE_PGM_RSRC2:TGID_Z_EN: 0
; COMPUTE_PGM_RSRC2:TIDIG_COMP_CNT: 0
	.section	.text._ZN7rocprim17ROCPRIM_400000_NS6detail17trampoline_kernelINS0_14default_configENS1_38merge_sort_block_merge_config_selectorIilEEZZNS1_27merge_sort_block_merge_implIS3_PiN6thrust23THRUST_200600_302600_NS10device_ptrIlEEjNS1_19radix_merge_compareILb0ELb1EiNS0_19identity_decomposerEEEEE10hipError_tT0_T1_T2_jT3_P12ihipStream_tbPNSt15iterator_traitsISG_E10value_typeEPNSM_ISH_E10value_typeEPSI_NS1_7vsmem_tEENKUlT_SG_SH_SI_E_clIS7_S7_PlSB_EESF_SV_SG_SH_SI_EUlSV_E1_NS1_11comp_targetILNS1_3genE3ELNS1_11target_archE908ELNS1_3gpuE7ELNS1_3repE0EEENS1_36merge_oddeven_config_static_selectorELNS0_4arch9wavefront6targetE1EEEvSH_,"axG",@progbits,_ZN7rocprim17ROCPRIM_400000_NS6detail17trampoline_kernelINS0_14default_configENS1_38merge_sort_block_merge_config_selectorIilEEZZNS1_27merge_sort_block_merge_implIS3_PiN6thrust23THRUST_200600_302600_NS10device_ptrIlEEjNS1_19radix_merge_compareILb0ELb1EiNS0_19identity_decomposerEEEEE10hipError_tT0_T1_T2_jT3_P12ihipStream_tbPNSt15iterator_traitsISG_E10value_typeEPNSM_ISH_E10value_typeEPSI_NS1_7vsmem_tEENKUlT_SG_SH_SI_E_clIS7_S7_PlSB_EESF_SV_SG_SH_SI_EUlSV_E1_NS1_11comp_targetILNS1_3genE3ELNS1_11target_archE908ELNS1_3gpuE7ELNS1_3repE0EEENS1_36merge_oddeven_config_static_selectorELNS0_4arch9wavefront6targetE1EEEvSH_,comdat
	.protected	_ZN7rocprim17ROCPRIM_400000_NS6detail17trampoline_kernelINS0_14default_configENS1_38merge_sort_block_merge_config_selectorIilEEZZNS1_27merge_sort_block_merge_implIS3_PiN6thrust23THRUST_200600_302600_NS10device_ptrIlEEjNS1_19radix_merge_compareILb0ELb1EiNS0_19identity_decomposerEEEEE10hipError_tT0_T1_T2_jT3_P12ihipStream_tbPNSt15iterator_traitsISG_E10value_typeEPNSM_ISH_E10value_typeEPSI_NS1_7vsmem_tEENKUlT_SG_SH_SI_E_clIS7_S7_PlSB_EESF_SV_SG_SH_SI_EUlSV_E1_NS1_11comp_targetILNS1_3genE3ELNS1_11target_archE908ELNS1_3gpuE7ELNS1_3repE0EEENS1_36merge_oddeven_config_static_selectorELNS0_4arch9wavefront6targetE1EEEvSH_ ; -- Begin function _ZN7rocprim17ROCPRIM_400000_NS6detail17trampoline_kernelINS0_14default_configENS1_38merge_sort_block_merge_config_selectorIilEEZZNS1_27merge_sort_block_merge_implIS3_PiN6thrust23THRUST_200600_302600_NS10device_ptrIlEEjNS1_19radix_merge_compareILb0ELb1EiNS0_19identity_decomposerEEEEE10hipError_tT0_T1_T2_jT3_P12ihipStream_tbPNSt15iterator_traitsISG_E10value_typeEPNSM_ISH_E10value_typeEPSI_NS1_7vsmem_tEENKUlT_SG_SH_SI_E_clIS7_S7_PlSB_EESF_SV_SG_SH_SI_EUlSV_E1_NS1_11comp_targetILNS1_3genE3ELNS1_11target_archE908ELNS1_3gpuE7ELNS1_3repE0EEENS1_36merge_oddeven_config_static_selectorELNS0_4arch9wavefront6targetE1EEEvSH_
	.globl	_ZN7rocprim17ROCPRIM_400000_NS6detail17trampoline_kernelINS0_14default_configENS1_38merge_sort_block_merge_config_selectorIilEEZZNS1_27merge_sort_block_merge_implIS3_PiN6thrust23THRUST_200600_302600_NS10device_ptrIlEEjNS1_19radix_merge_compareILb0ELb1EiNS0_19identity_decomposerEEEEE10hipError_tT0_T1_T2_jT3_P12ihipStream_tbPNSt15iterator_traitsISG_E10value_typeEPNSM_ISH_E10value_typeEPSI_NS1_7vsmem_tEENKUlT_SG_SH_SI_E_clIS7_S7_PlSB_EESF_SV_SG_SH_SI_EUlSV_E1_NS1_11comp_targetILNS1_3genE3ELNS1_11target_archE908ELNS1_3gpuE7ELNS1_3repE0EEENS1_36merge_oddeven_config_static_selectorELNS0_4arch9wavefront6targetE1EEEvSH_
	.p2align	8
	.type	_ZN7rocprim17ROCPRIM_400000_NS6detail17trampoline_kernelINS0_14default_configENS1_38merge_sort_block_merge_config_selectorIilEEZZNS1_27merge_sort_block_merge_implIS3_PiN6thrust23THRUST_200600_302600_NS10device_ptrIlEEjNS1_19radix_merge_compareILb0ELb1EiNS0_19identity_decomposerEEEEE10hipError_tT0_T1_T2_jT3_P12ihipStream_tbPNSt15iterator_traitsISG_E10value_typeEPNSM_ISH_E10value_typeEPSI_NS1_7vsmem_tEENKUlT_SG_SH_SI_E_clIS7_S7_PlSB_EESF_SV_SG_SH_SI_EUlSV_E1_NS1_11comp_targetILNS1_3genE3ELNS1_11target_archE908ELNS1_3gpuE7ELNS1_3repE0EEENS1_36merge_oddeven_config_static_selectorELNS0_4arch9wavefront6targetE1EEEvSH_,@function
_ZN7rocprim17ROCPRIM_400000_NS6detail17trampoline_kernelINS0_14default_configENS1_38merge_sort_block_merge_config_selectorIilEEZZNS1_27merge_sort_block_merge_implIS3_PiN6thrust23THRUST_200600_302600_NS10device_ptrIlEEjNS1_19radix_merge_compareILb0ELb1EiNS0_19identity_decomposerEEEEE10hipError_tT0_T1_T2_jT3_P12ihipStream_tbPNSt15iterator_traitsISG_E10value_typeEPNSM_ISH_E10value_typeEPSI_NS1_7vsmem_tEENKUlT_SG_SH_SI_E_clIS7_S7_PlSB_EESF_SV_SG_SH_SI_EUlSV_E1_NS1_11comp_targetILNS1_3genE3ELNS1_11target_archE908ELNS1_3gpuE7ELNS1_3repE0EEENS1_36merge_oddeven_config_static_selectorELNS0_4arch9wavefront6targetE1EEEvSH_: ; @_ZN7rocprim17ROCPRIM_400000_NS6detail17trampoline_kernelINS0_14default_configENS1_38merge_sort_block_merge_config_selectorIilEEZZNS1_27merge_sort_block_merge_implIS3_PiN6thrust23THRUST_200600_302600_NS10device_ptrIlEEjNS1_19radix_merge_compareILb0ELb1EiNS0_19identity_decomposerEEEEE10hipError_tT0_T1_T2_jT3_P12ihipStream_tbPNSt15iterator_traitsISG_E10value_typeEPNSM_ISH_E10value_typeEPSI_NS1_7vsmem_tEENKUlT_SG_SH_SI_E_clIS7_S7_PlSB_EESF_SV_SG_SH_SI_EUlSV_E1_NS1_11comp_targetILNS1_3genE3ELNS1_11target_archE908ELNS1_3gpuE7ELNS1_3repE0EEENS1_36merge_oddeven_config_static_selectorELNS0_4arch9wavefront6targetE1EEEvSH_
; %bb.0:
	.section	.rodata,"a",@progbits
	.p2align	6, 0x0
	.amdhsa_kernel _ZN7rocprim17ROCPRIM_400000_NS6detail17trampoline_kernelINS0_14default_configENS1_38merge_sort_block_merge_config_selectorIilEEZZNS1_27merge_sort_block_merge_implIS3_PiN6thrust23THRUST_200600_302600_NS10device_ptrIlEEjNS1_19radix_merge_compareILb0ELb1EiNS0_19identity_decomposerEEEEE10hipError_tT0_T1_T2_jT3_P12ihipStream_tbPNSt15iterator_traitsISG_E10value_typeEPNSM_ISH_E10value_typeEPSI_NS1_7vsmem_tEENKUlT_SG_SH_SI_E_clIS7_S7_PlSB_EESF_SV_SG_SH_SI_EUlSV_E1_NS1_11comp_targetILNS1_3genE3ELNS1_11target_archE908ELNS1_3gpuE7ELNS1_3repE0EEENS1_36merge_oddeven_config_static_selectorELNS0_4arch9wavefront6targetE1EEEvSH_
		.amdhsa_group_segment_fixed_size 0
		.amdhsa_private_segment_fixed_size 0
		.amdhsa_kernarg_size 48
		.amdhsa_user_sgpr_count 6
		.amdhsa_user_sgpr_private_segment_buffer 1
		.amdhsa_user_sgpr_dispatch_ptr 0
		.amdhsa_user_sgpr_queue_ptr 0
		.amdhsa_user_sgpr_kernarg_segment_ptr 1
		.amdhsa_user_sgpr_dispatch_id 0
		.amdhsa_user_sgpr_flat_scratch_init 0
		.amdhsa_user_sgpr_private_segment_size 0
		.amdhsa_uses_dynamic_stack 0
		.amdhsa_system_sgpr_private_segment_wavefront_offset 0
		.amdhsa_system_sgpr_workgroup_id_x 1
		.amdhsa_system_sgpr_workgroup_id_y 0
		.amdhsa_system_sgpr_workgroup_id_z 0
		.amdhsa_system_sgpr_workgroup_info 0
		.amdhsa_system_vgpr_workitem_id 0
		.amdhsa_next_free_vgpr 1
		.amdhsa_next_free_sgpr 0
		.amdhsa_reserve_vcc 0
		.amdhsa_reserve_flat_scratch 0
		.amdhsa_float_round_mode_32 0
		.amdhsa_float_round_mode_16_64 0
		.amdhsa_float_denorm_mode_32 3
		.amdhsa_float_denorm_mode_16_64 3
		.amdhsa_dx10_clamp 1
		.amdhsa_ieee_mode 1
		.amdhsa_fp16_overflow 0
		.amdhsa_exception_fp_ieee_invalid_op 0
		.amdhsa_exception_fp_denorm_src 0
		.amdhsa_exception_fp_ieee_div_zero 0
		.amdhsa_exception_fp_ieee_overflow 0
		.amdhsa_exception_fp_ieee_underflow 0
		.amdhsa_exception_fp_ieee_inexact 0
		.amdhsa_exception_int_div_zero 0
	.end_amdhsa_kernel
	.section	.text._ZN7rocprim17ROCPRIM_400000_NS6detail17trampoline_kernelINS0_14default_configENS1_38merge_sort_block_merge_config_selectorIilEEZZNS1_27merge_sort_block_merge_implIS3_PiN6thrust23THRUST_200600_302600_NS10device_ptrIlEEjNS1_19radix_merge_compareILb0ELb1EiNS0_19identity_decomposerEEEEE10hipError_tT0_T1_T2_jT3_P12ihipStream_tbPNSt15iterator_traitsISG_E10value_typeEPNSM_ISH_E10value_typeEPSI_NS1_7vsmem_tEENKUlT_SG_SH_SI_E_clIS7_S7_PlSB_EESF_SV_SG_SH_SI_EUlSV_E1_NS1_11comp_targetILNS1_3genE3ELNS1_11target_archE908ELNS1_3gpuE7ELNS1_3repE0EEENS1_36merge_oddeven_config_static_selectorELNS0_4arch9wavefront6targetE1EEEvSH_,"axG",@progbits,_ZN7rocprim17ROCPRIM_400000_NS6detail17trampoline_kernelINS0_14default_configENS1_38merge_sort_block_merge_config_selectorIilEEZZNS1_27merge_sort_block_merge_implIS3_PiN6thrust23THRUST_200600_302600_NS10device_ptrIlEEjNS1_19radix_merge_compareILb0ELb1EiNS0_19identity_decomposerEEEEE10hipError_tT0_T1_T2_jT3_P12ihipStream_tbPNSt15iterator_traitsISG_E10value_typeEPNSM_ISH_E10value_typeEPSI_NS1_7vsmem_tEENKUlT_SG_SH_SI_E_clIS7_S7_PlSB_EESF_SV_SG_SH_SI_EUlSV_E1_NS1_11comp_targetILNS1_3genE3ELNS1_11target_archE908ELNS1_3gpuE7ELNS1_3repE0EEENS1_36merge_oddeven_config_static_selectorELNS0_4arch9wavefront6targetE1EEEvSH_,comdat
.Lfunc_end820:
	.size	_ZN7rocprim17ROCPRIM_400000_NS6detail17trampoline_kernelINS0_14default_configENS1_38merge_sort_block_merge_config_selectorIilEEZZNS1_27merge_sort_block_merge_implIS3_PiN6thrust23THRUST_200600_302600_NS10device_ptrIlEEjNS1_19radix_merge_compareILb0ELb1EiNS0_19identity_decomposerEEEEE10hipError_tT0_T1_T2_jT3_P12ihipStream_tbPNSt15iterator_traitsISG_E10value_typeEPNSM_ISH_E10value_typeEPSI_NS1_7vsmem_tEENKUlT_SG_SH_SI_E_clIS7_S7_PlSB_EESF_SV_SG_SH_SI_EUlSV_E1_NS1_11comp_targetILNS1_3genE3ELNS1_11target_archE908ELNS1_3gpuE7ELNS1_3repE0EEENS1_36merge_oddeven_config_static_selectorELNS0_4arch9wavefront6targetE1EEEvSH_, .Lfunc_end820-_ZN7rocprim17ROCPRIM_400000_NS6detail17trampoline_kernelINS0_14default_configENS1_38merge_sort_block_merge_config_selectorIilEEZZNS1_27merge_sort_block_merge_implIS3_PiN6thrust23THRUST_200600_302600_NS10device_ptrIlEEjNS1_19radix_merge_compareILb0ELb1EiNS0_19identity_decomposerEEEEE10hipError_tT0_T1_T2_jT3_P12ihipStream_tbPNSt15iterator_traitsISG_E10value_typeEPNSM_ISH_E10value_typeEPSI_NS1_7vsmem_tEENKUlT_SG_SH_SI_E_clIS7_S7_PlSB_EESF_SV_SG_SH_SI_EUlSV_E1_NS1_11comp_targetILNS1_3genE3ELNS1_11target_archE908ELNS1_3gpuE7ELNS1_3repE0EEENS1_36merge_oddeven_config_static_selectorELNS0_4arch9wavefront6targetE1EEEvSH_
                                        ; -- End function
	.set _ZN7rocprim17ROCPRIM_400000_NS6detail17trampoline_kernelINS0_14default_configENS1_38merge_sort_block_merge_config_selectorIilEEZZNS1_27merge_sort_block_merge_implIS3_PiN6thrust23THRUST_200600_302600_NS10device_ptrIlEEjNS1_19radix_merge_compareILb0ELb1EiNS0_19identity_decomposerEEEEE10hipError_tT0_T1_T2_jT3_P12ihipStream_tbPNSt15iterator_traitsISG_E10value_typeEPNSM_ISH_E10value_typeEPSI_NS1_7vsmem_tEENKUlT_SG_SH_SI_E_clIS7_S7_PlSB_EESF_SV_SG_SH_SI_EUlSV_E1_NS1_11comp_targetILNS1_3genE3ELNS1_11target_archE908ELNS1_3gpuE7ELNS1_3repE0EEENS1_36merge_oddeven_config_static_selectorELNS0_4arch9wavefront6targetE1EEEvSH_.num_vgpr, 0
	.set _ZN7rocprim17ROCPRIM_400000_NS6detail17trampoline_kernelINS0_14default_configENS1_38merge_sort_block_merge_config_selectorIilEEZZNS1_27merge_sort_block_merge_implIS3_PiN6thrust23THRUST_200600_302600_NS10device_ptrIlEEjNS1_19radix_merge_compareILb0ELb1EiNS0_19identity_decomposerEEEEE10hipError_tT0_T1_T2_jT3_P12ihipStream_tbPNSt15iterator_traitsISG_E10value_typeEPNSM_ISH_E10value_typeEPSI_NS1_7vsmem_tEENKUlT_SG_SH_SI_E_clIS7_S7_PlSB_EESF_SV_SG_SH_SI_EUlSV_E1_NS1_11comp_targetILNS1_3genE3ELNS1_11target_archE908ELNS1_3gpuE7ELNS1_3repE0EEENS1_36merge_oddeven_config_static_selectorELNS0_4arch9wavefront6targetE1EEEvSH_.num_agpr, 0
	.set _ZN7rocprim17ROCPRIM_400000_NS6detail17trampoline_kernelINS0_14default_configENS1_38merge_sort_block_merge_config_selectorIilEEZZNS1_27merge_sort_block_merge_implIS3_PiN6thrust23THRUST_200600_302600_NS10device_ptrIlEEjNS1_19radix_merge_compareILb0ELb1EiNS0_19identity_decomposerEEEEE10hipError_tT0_T1_T2_jT3_P12ihipStream_tbPNSt15iterator_traitsISG_E10value_typeEPNSM_ISH_E10value_typeEPSI_NS1_7vsmem_tEENKUlT_SG_SH_SI_E_clIS7_S7_PlSB_EESF_SV_SG_SH_SI_EUlSV_E1_NS1_11comp_targetILNS1_3genE3ELNS1_11target_archE908ELNS1_3gpuE7ELNS1_3repE0EEENS1_36merge_oddeven_config_static_selectorELNS0_4arch9wavefront6targetE1EEEvSH_.numbered_sgpr, 0
	.set _ZN7rocprim17ROCPRIM_400000_NS6detail17trampoline_kernelINS0_14default_configENS1_38merge_sort_block_merge_config_selectorIilEEZZNS1_27merge_sort_block_merge_implIS3_PiN6thrust23THRUST_200600_302600_NS10device_ptrIlEEjNS1_19radix_merge_compareILb0ELb1EiNS0_19identity_decomposerEEEEE10hipError_tT0_T1_T2_jT3_P12ihipStream_tbPNSt15iterator_traitsISG_E10value_typeEPNSM_ISH_E10value_typeEPSI_NS1_7vsmem_tEENKUlT_SG_SH_SI_E_clIS7_S7_PlSB_EESF_SV_SG_SH_SI_EUlSV_E1_NS1_11comp_targetILNS1_3genE3ELNS1_11target_archE908ELNS1_3gpuE7ELNS1_3repE0EEENS1_36merge_oddeven_config_static_selectorELNS0_4arch9wavefront6targetE1EEEvSH_.num_named_barrier, 0
	.set _ZN7rocprim17ROCPRIM_400000_NS6detail17trampoline_kernelINS0_14default_configENS1_38merge_sort_block_merge_config_selectorIilEEZZNS1_27merge_sort_block_merge_implIS3_PiN6thrust23THRUST_200600_302600_NS10device_ptrIlEEjNS1_19radix_merge_compareILb0ELb1EiNS0_19identity_decomposerEEEEE10hipError_tT0_T1_T2_jT3_P12ihipStream_tbPNSt15iterator_traitsISG_E10value_typeEPNSM_ISH_E10value_typeEPSI_NS1_7vsmem_tEENKUlT_SG_SH_SI_E_clIS7_S7_PlSB_EESF_SV_SG_SH_SI_EUlSV_E1_NS1_11comp_targetILNS1_3genE3ELNS1_11target_archE908ELNS1_3gpuE7ELNS1_3repE0EEENS1_36merge_oddeven_config_static_selectorELNS0_4arch9wavefront6targetE1EEEvSH_.private_seg_size, 0
	.set _ZN7rocprim17ROCPRIM_400000_NS6detail17trampoline_kernelINS0_14default_configENS1_38merge_sort_block_merge_config_selectorIilEEZZNS1_27merge_sort_block_merge_implIS3_PiN6thrust23THRUST_200600_302600_NS10device_ptrIlEEjNS1_19radix_merge_compareILb0ELb1EiNS0_19identity_decomposerEEEEE10hipError_tT0_T1_T2_jT3_P12ihipStream_tbPNSt15iterator_traitsISG_E10value_typeEPNSM_ISH_E10value_typeEPSI_NS1_7vsmem_tEENKUlT_SG_SH_SI_E_clIS7_S7_PlSB_EESF_SV_SG_SH_SI_EUlSV_E1_NS1_11comp_targetILNS1_3genE3ELNS1_11target_archE908ELNS1_3gpuE7ELNS1_3repE0EEENS1_36merge_oddeven_config_static_selectorELNS0_4arch9wavefront6targetE1EEEvSH_.uses_vcc, 0
	.set _ZN7rocprim17ROCPRIM_400000_NS6detail17trampoline_kernelINS0_14default_configENS1_38merge_sort_block_merge_config_selectorIilEEZZNS1_27merge_sort_block_merge_implIS3_PiN6thrust23THRUST_200600_302600_NS10device_ptrIlEEjNS1_19radix_merge_compareILb0ELb1EiNS0_19identity_decomposerEEEEE10hipError_tT0_T1_T2_jT3_P12ihipStream_tbPNSt15iterator_traitsISG_E10value_typeEPNSM_ISH_E10value_typeEPSI_NS1_7vsmem_tEENKUlT_SG_SH_SI_E_clIS7_S7_PlSB_EESF_SV_SG_SH_SI_EUlSV_E1_NS1_11comp_targetILNS1_3genE3ELNS1_11target_archE908ELNS1_3gpuE7ELNS1_3repE0EEENS1_36merge_oddeven_config_static_selectorELNS0_4arch9wavefront6targetE1EEEvSH_.uses_flat_scratch, 0
	.set _ZN7rocprim17ROCPRIM_400000_NS6detail17trampoline_kernelINS0_14default_configENS1_38merge_sort_block_merge_config_selectorIilEEZZNS1_27merge_sort_block_merge_implIS3_PiN6thrust23THRUST_200600_302600_NS10device_ptrIlEEjNS1_19radix_merge_compareILb0ELb1EiNS0_19identity_decomposerEEEEE10hipError_tT0_T1_T2_jT3_P12ihipStream_tbPNSt15iterator_traitsISG_E10value_typeEPNSM_ISH_E10value_typeEPSI_NS1_7vsmem_tEENKUlT_SG_SH_SI_E_clIS7_S7_PlSB_EESF_SV_SG_SH_SI_EUlSV_E1_NS1_11comp_targetILNS1_3genE3ELNS1_11target_archE908ELNS1_3gpuE7ELNS1_3repE0EEENS1_36merge_oddeven_config_static_selectorELNS0_4arch9wavefront6targetE1EEEvSH_.has_dyn_sized_stack, 0
	.set _ZN7rocprim17ROCPRIM_400000_NS6detail17trampoline_kernelINS0_14default_configENS1_38merge_sort_block_merge_config_selectorIilEEZZNS1_27merge_sort_block_merge_implIS3_PiN6thrust23THRUST_200600_302600_NS10device_ptrIlEEjNS1_19radix_merge_compareILb0ELb1EiNS0_19identity_decomposerEEEEE10hipError_tT0_T1_T2_jT3_P12ihipStream_tbPNSt15iterator_traitsISG_E10value_typeEPNSM_ISH_E10value_typeEPSI_NS1_7vsmem_tEENKUlT_SG_SH_SI_E_clIS7_S7_PlSB_EESF_SV_SG_SH_SI_EUlSV_E1_NS1_11comp_targetILNS1_3genE3ELNS1_11target_archE908ELNS1_3gpuE7ELNS1_3repE0EEENS1_36merge_oddeven_config_static_selectorELNS0_4arch9wavefront6targetE1EEEvSH_.has_recursion, 0
	.set _ZN7rocprim17ROCPRIM_400000_NS6detail17trampoline_kernelINS0_14default_configENS1_38merge_sort_block_merge_config_selectorIilEEZZNS1_27merge_sort_block_merge_implIS3_PiN6thrust23THRUST_200600_302600_NS10device_ptrIlEEjNS1_19radix_merge_compareILb0ELb1EiNS0_19identity_decomposerEEEEE10hipError_tT0_T1_T2_jT3_P12ihipStream_tbPNSt15iterator_traitsISG_E10value_typeEPNSM_ISH_E10value_typeEPSI_NS1_7vsmem_tEENKUlT_SG_SH_SI_E_clIS7_S7_PlSB_EESF_SV_SG_SH_SI_EUlSV_E1_NS1_11comp_targetILNS1_3genE3ELNS1_11target_archE908ELNS1_3gpuE7ELNS1_3repE0EEENS1_36merge_oddeven_config_static_selectorELNS0_4arch9wavefront6targetE1EEEvSH_.has_indirect_call, 0
	.section	.AMDGPU.csdata,"",@progbits
; Kernel info:
; codeLenInByte = 0
; TotalNumSgprs: 4
; NumVgprs: 0
; ScratchSize: 0
; MemoryBound: 0
; FloatMode: 240
; IeeeMode: 1
; LDSByteSize: 0 bytes/workgroup (compile time only)
; SGPRBlocks: 0
; VGPRBlocks: 0
; NumSGPRsForWavesPerEU: 4
; NumVGPRsForWavesPerEU: 1
; Occupancy: 10
; WaveLimiterHint : 0
; COMPUTE_PGM_RSRC2:SCRATCH_EN: 0
; COMPUTE_PGM_RSRC2:USER_SGPR: 6
; COMPUTE_PGM_RSRC2:TRAP_HANDLER: 0
; COMPUTE_PGM_RSRC2:TGID_X_EN: 1
; COMPUTE_PGM_RSRC2:TGID_Y_EN: 0
; COMPUTE_PGM_RSRC2:TGID_Z_EN: 0
; COMPUTE_PGM_RSRC2:TIDIG_COMP_CNT: 0
	.section	.text._ZN7rocprim17ROCPRIM_400000_NS6detail17trampoline_kernelINS0_14default_configENS1_38merge_sort_block_merge_config_selectorIilEEZZNS1_27merge_sort_block_merge_implIS3_PiN6thrust23THRUST_200600_302600_NS10device_ptrIlEEjNS1_19radix_merge_compareILb0ELb1EiNS0_19identity_decomposerEEEEE10hipError_tT0_T1_T2_jT3_P12ihipStream_tbPNSt15iterator_traitsISG_E10value_typeEPNSM_ISH_E10value_typeEPSI_NS1_7vsmem_tEENKUlT_SG_SH_SI_E_clIS7_S7_PlSB_EESF_SV_SG_SH_SI_EUlSV_E1_NS1_11comp_targetILNS1_3genE2ELNS1_11target_archE906ELNS1_3gpuE6ELNS1_3repE0EEENS1_36merge_oddeven_config_static_selectorELNS0_4arch9wavefront6targetE1EEEvSH_,"axG",@progbits,_ZN7rocprim17ROCPRIM_400000_NS6detail17trampoline_kernelINS0_14default_configENS1_38merge_sort_block_merge_config_selectorIilEEZZNS1_27merge_sort_block_merge_implIS3_PiN6thrust23THRUST_200600_302600_NS10device_ptrIlEEjNS1_19radix_merge_compareILb0ELb1EiNS0_19identity_decomposerEEEEE10hipError_tT0_T1_T2_jT3_P12ihipStream_tbPNSt15iterator_traitsISG_E10value_typeEPNSM_ISH_E10value_typeEPSI_NS1_7vsmem_tEENKUlT_SG_SH_SI_E_clIS7_S7_PlSB_EESF_SV_SG_SH_SI_EUlSV_E1_NS1_11comp_targetILNS1_3genE2ELNS1_11target_archE906ELNS1_3gpuE6ELNS1_3repE0EEENS1_36merge_oddeven_config_static_selectorELNS0_4arch9wavefront6targetE1EEEvSH_,comdat
	.protected	_ZN7rocprim17ROCPRIM_400000_NS6detail17trampoline_kernelINS0_14default_configENS1_38merge_sort_block_merge_config_selectorIilEEZZNS1_27merge_sort_block_merge_implIS3_PiN6thrust23THRUST_200600_302600_NS10device_ptrIlEEjNS1_19radix_merge_compareILb0ELb1EiNS0_19identity_decomposerEEEEE10hipError_tT0_T1_T2_jT3_P12ihipStream_tbPNSt15iterator_traitsISG_E10value_typeEPNSM_ISH_E10value_typeEPSI_NS1_7vsmem_tEENKUlT_SG_SH_SI_E_clIS7_S7_PlSB_EESF_SV_SG_SH_SI_EUlSV_E1_NS1_11comp_targetILNS1_3genE2ELNS1_11target_archE906ELNS1_3gpuE6ELNS1_3repE0EEENS1_36merge_oddeven_config_static_selectorELNS0_4arch9wavefront6targetE1EEEvSH_ ; -- Begin function _ZN7rocprim17ROCPRIM_400000_NS6detail17trampoline_kernelINS0_14default_configENS1_38merge_sort_block_merge_config_selectorIilEEZZNS1_27merge_sort_block_merge_implIS3_PiN6thrust23THRUST_200600_302600_NS10device_ptrIlEEjNS1_19radix_merge_compareILb0ELb1EiNS0_19identity_decomposerEEEEE10hipError_tT0_T1_T2_jT3_P12ihipStream_tbPNSt15iterator_traitsISG_E10value_typeEPNSM_ISH_E10value_typeEPSI_NS1_7vsmem_tEENKUlT_SG_SH_SI_E_clIS7_S7_PlSB_EESF_SV_SG_SH_SI_EUlSV_E1_NS1_11comp_targetILNS1_3genE2ELNS1_11target_archE906ELNS1_3gpuE6ELNS1_3repE0EEENS1_36merge_oddeven_config_static_selectorELNS0_4arch9wavefront6targetE1EEEvSH_
	.globl	_ZN7rocprim17ROCPRIM_400000_NS6detail17trampoline_kernelINS0_14default_configENS1_38merge_sort_block_merge_config_selectorIilEEZZNS1_27merge_sort_block_merge_implIS3_PiN6thrust23THRUST_200600_302600_NS10device_ptrIlEEjNS1_19radix_merge_compareILb0ELb1EiNS0_19identity_decomposerEEEEE10hipError_tT0_T1_T2_jT3_P12ihipStream_tbPNSt15iterator_traitsISG_E10value_typeEPNSM_ISH_E10value_typeEPSI_NS1_7vsmem_tEENKUlT_SG_SH_SI_E_clIS7_S7_PlSB_EESF_SV_SG_SH_SI_EUlSV_E1_NS1_11comp_targetILNS1_3genE2ELNS1_11target_archE906ELNS1_3gpuE6ELNS1_3repE0EEENS1_36merge_oddeven_config_static_selectorELNS0_4arch9wavefront6targetE1EEEvSH_
	.p2align	8
	.type	_ZN7rocprim17ROCPRIM_400000_NS6detail17trampoline_kernelINS0_14default_configENS1_38merge_sort_block_merge_config_selectorIilEEZZNS1_27merge_sort_block_merge_implIS3_PiN6thrust23THRUST_200600_302600_NS10device_ptrIlEEjNS1_19radix_merge_compareILb0ELb1EiNS0_19identity_decomposerEEEEE10hipError_tT0_T1_T2_jT3_P12ihipStream_tbPNSt15iterator_traitsISG_E10value_typeEPNSM_ISH_E10value_typeEPSI_NS1_7vsmem_tEENKUlT_SG_SH_SI_E_clIS7_S7_PlSB_EESF_SV_SG_SH_SI_EUlSV_E1_NS1_11comp_targetILNS1_3genE2ELNS1_11target_archE906ELNS1_3gpuE6ELNS1_3repE0EEENS1_36merge_oddeven_config_static_selectorELNS0_4arch9wavefront6targetE1EEEvSH_,@function
_ZN7rocprim17ROCPRIM_400000_NS6detail17trampoline_kernelINS0_14default_configENS1_38merge_sort_block_merge_config_selectorIilEEZZNS1_27merge_sort_block_merge_implIS3_PiN6thrust23THRUST_200600_302600_NS10device_ptrIlEEjNS1_19radix_merge_compareILb0ELb1EiNS0_19identity_decomposerEEEEE10hipError_tT0_T1_T2_jT3_P12ihipStream_tbPNSt15iterator_traitsISG_E10value_typeEPNSM_ISH_E10value_typeEPSI_NS1_7vsmem_tEENKUlT_SG_SH_SI_E_clIS7_S7_PlSB_EESF_SV_SG_SH_SI_EUlSV_E1_NS1_11comp_targetILNS1_3genE2ELNS1_11target_archE906ELNS1_3gpuE6ELNS1_3repE0EEENS1_36merge_oddeven_config_static_selectorELNS0_4arch9wavefront6targetE1EEEvSH_: ; @_ZN7rocprim17ROCPRIM_400000_NS6detail17trampoline_kernelINS0_14default_configENS1_38merge_sort_block_merge_config_selectorIilEEZZNS1_27merge_sort_block_merge_implIS3_PiN6thrust23THRUST_200600_302600_NS10device_ptrIlEEjNS1_19radix_merge_compareILb0ELb1EiNS0_19identity_decomposerEEEEE10hipError_tT0_T1_T2_jT3_P12ihipStream_tbPNSt15iterator_traitsISG_E10value_typeEPNSM_ISH_E10value_typeEPSI_NS1_7vsmem_tEENKUlT_SG_SH_SI_E_clIS7_S7_PlSB_EESF_SV_SG_SH_SI_EUlSV_E1_NS1_11comp_targetILNS1_3genE2ELNS1_11target_archE906ELNS1_3gpuE6ELNS1_3repE0EEENS1_36merge_oddeven_config_static_selectorELNS0_4arch9wavefront6targetE1EEEvSH_
; %bb.0:
	s_load_dword s20, s[4:5], 0x20
	s_waitcnt lgkmcnt(0)
	s_lshr_b32 s0, s20, 8
	s_cmp_eq_u32 s6, s0
	s_cselect_b64 s[16:17], -1, 0
	s_cmp_lg_u32 s6, s0
	s_cselect_b64 s[0:1], -1, 0
	s_lshl_b32 s18, s6, 8
	s_sub_i32 s2, s20, s18
	v_cmp_gt_u32_e64 s[2:3], s2, v0
	s_or_b64 s[0:1], s[0:1], s[2:3]
	s_and_saveexec_b64 s[8:9], s[0:1]
	s_cbranch_execz .LBB821_24
; %bb.1:
	s_load_dwordx8 s[8:15], s[4:5], 0x0
	s_mov_b32 s19, 0
	s_lshl_b64 s[0:1], s[18:19], 2
	v_lshlrev_b32_e32 v4, 3, v0
	v_lshlrev_b32_e32 v3, 2, v0
	s_waitcnt lgkmcnt(0)
	s_add_u32 s0, s8, s0
	s_addc_u32 s1, s9, s1
	s_lshl_b64 s[22:23], s[18:19], 3
	s_add_u32 s12, s12, s22
	s_addc_u32 s13, s13, s23
	global_load_dwordx2 v[1:2], v4, s[12:13]
	global_load_dword v5, v3, s[0:1]
	s_load_dword s13, s[4:5], 0x24
	v_add_u32_e32 v3, s18, v0
	s_waitcnt lgkmcnt(0)
	s_lshr_b32 s0, s13, 8
	s_sub_i32 s1, 0, s0
	s_and_b32 s1, s6, s1
	s_and_b32 s0, s1, s0
	s_lshl_b32 s19, s1, 8
	s_sub_i32 s12, 0, s13
	s_cmp_eq_u32 s0, 0
	s_cselect_b64 s[0:1], -1, 0
	s_and_b64 s[6:7], s[0:1], exec
	s_cselect_b32 s12, s13, s12
	s_add_i32 s12, s12, s19
	s_mov_b64 s[6:7], -1
	s_cmp_gt_u32 s20, s12
	s_cbranch_scc1 .LBB821_9
; %bb.2:
	s_and_b64 vcc, exec, s[16:17]
	s_cbranch_vccz .LBB821_6
; %bb.3:
	v_cmp_gt_u32_e32 vcc, s20, v3
	s_and_saveexec_b64 s[6:7], vcc
	s_cbranch_execz .LBB821_5
; %bb.4:
	v_mov_b32_e32 v4, 0
	v_lshlrev_b64 v[6:7], 2, v[3:4]
	v_mov_b32_e32 v0, s11
	v_add_co_u32_e32 v6, vcc, s10, v6
	v_lshlrev_b64 v[8:9], 3, v[3:4]
	v_addc_co_u32_e32 v7, vcc, v0, v7, vcc
	v_mov_b32_e32 v0, s15
	v_add_co_u32_e32 v8, vcc, s14, v8
	v_addc_co_u32_e32 v9, vcc, v0, v9, vcc
	s_waitcnt vmcnt(0)
	global_store_dword v[6:7], v5, off
	global_store_dwordx2 v[8:9], v[1:2], off
.LBB821_5:
	s_or_b64 exec, exec, s[6:7]
	s_mov_b64 s[6:7], 0
.LBB821_6:
	s_andn2_b64 vcc, exec, s[6:7]
	s_cbranch_vccnz .LBB821_8
; %bb.7:
	v_mov_b32_e32 v4, 0
	v_lshlrev_b64 v[6:7], 2, v[3:4]
	v_mov_b32_e32 v0, s11
	v_add_co_u32_e32 v6, vcc, s10, v6
	v_lshlrev_b64 v[8:9], 3, v[3:4]
	v_addc_co_u32_e32 v7, vcc, v0, v7, vcc
	v_mov_b32_e32 v0, s15
	v_add_co_u32_e32 v8, vcc, s14, v8
	v_addc_co_u32_e32 v9, vcc, v0, v9, vcc
	s_waitcnt vmcnt(0)
	global_store_dword v[6:7], v5, off
	global_store_dwordx2 v[8:9], v[1:2], off
.LBB821_8:
	s_mov_b64 s[6:7], 0
.LBB821_9:
	s_andn2_b64 vcc, exec, s[6:7]
	s_cbranch_vccnz .LBB821_24
; %bb.10:
	s_load_dword s6, s[4:5], 0x28
	s_min_u32 s7, s12, s20
	s_add_i32 s4, s7, s13
	s_min_u32 s13, s4, s20
	s_min_u32 s4, s19, s7
	s_add_i32 s19, s19, s7
	v_subrev_u32_e32 v0, s19, v3
	v_add_u32_e32 v0, s4, v0
	s_waitcnt vmcnt(0) lgkmcnt(0)
	v_and_b32_e32 v6, s6, v5
	s_mov_b64 s[4:5], -1
	s_and_b64 vcc, exec, s[16:17]
	s_cbranch_vccz .LBB821_18
; %bb.11:
	s_and_saveexec_b64 s[4:5], s[2:3]
	s_cbranch_execz .LBB821_17
; %bb.12:
	s_cmp_ge_u32 s12, s13
	v_mov_b32_e32 v7, s7
	s_cbranch_scc1 .LBB821_16
; %bb.13:
	s_mov_b64 s[2:3], 0
	v_mov_b32_e32 v8, s13
	v_mov_b32_e32 v7, s7
	v_mov_b32_e32 v4, 0
	v_mov_b32_e32 v9, s9
.LBB821_14:                             ; =>This Inner Loop Header: Depth=1
	v_add_u32_e32 v3, v7, v8
	v_lshrrev_b32_e32 v3, 1, v3
	v_lshlrev_b64 v[10:11], 2, v[3:4]
	v_add_co_u32_e32 v10, vcc, s8, v10
	v_addc_co_u32_e32 v11, vcc, v9, v11, vcc
	global_load_dword v10, v[10:11], off
	v_add_u32_e32 v11, 1, v3
	s_waitcnt vmcnt(0)
	v_and_b32_e32 v10, s6, v10
	v_cmp_gt_i32_e32 vcc, v6, v10
	v_cndmask_b32_e64 v12, 0, 1, vcc
	v_cmp_le_i32_e32 vcc, v10, v6
	v_cndmask_b32_e64 v10, 0, 1, vcc
	v_cndmask_b32_e64 v10, v10, v12, s[0:1]
	v_and_b32_e32 v10, 1, v10
	v_cmp_eq_u32_e32 vcc, 1, v10
	v_cndmask_b32_e32 v8, v3, v8, vcc
	v_cndmask_b32_e32 v7, v7, v11, vcc
	v_cmp_ge_u32_e32 vcc, v7, v8
	s_or_b64 s[2:3], vcc, s[2:3]
	s_andn2_b64 exec, exec, s[2:3]
	s_cbranch_execnz .LBB821_14
; %bb.15:
	s_or_b64 exec, exec, s[2:3]
.LBB821_16:
	v_add_u32_e32 v3, v7, v0
	v_mov_b32_e32 v4, 0
	v_lshlrev_b64 v[7:8], 2, v[3:4]
	v_mov_b32_e32 v9, s11
	v_add_co_u32_e32 v7, vcc, s10, v7
	v_lshlrev_b64 v[3:4], 3, v[3:4]
	v_addc_co_u32_e32 v8, vcc, v9, v8, vcc
	global_store_dword v[7:8], v5, off
	v_mov_b32_e32 v7, s15
	v_add_co_u32_e32 v3, vcc, s14, v3
	v_addc_co_u32_e32 v4, vcc, v7, v4, vcc
	global_store_dwordx2 v[3:4], v[1:2], off
.LBB821_17:
	s_or_b64 exec, exec, s[4:5]
	s_mov_b64 s[4:5], 0
.LBB821_18:
	s_andn2_b64 vcc, exec, s[4:5]
	s_cbranch_vccnz .LBB821_24
; %bb.19:
	s_cmp_ge_u32 s12, s13
	v_mov_b32_e32 v7, s7
	s_cbranch_scc1 .LBB821_23
; %bb.20:
	s_mov_b64 s[2:3], 0
	v_mov_b32_e32 v8, s13
	v_mov_b32_e32 v7, s7
	;; [unrolled: 1-line block ×4, first 2 shown]
.LBB821_21:                             ; =>This Inner Loop Header: Depth=1
	v_add_u32_e32 v3, v7, v8
	v_lshrrev_b32_e32 v3, 1, v3
	v_lshlrev_b64 v[10:11], 2, v[3:4]
	v_add_co_u32_e32 v10, vcc, s8, v10
	v_addc_co_u32_e32 v11, vcc, v9, v11, vcc
	global_load_dword v10, v[10:11], off
	v_add_u32_e32 v11, 1, v3
	s_waitcnt vmcnt(0)
	v_and_b32_e32 v10, s6, v10
	v_cmp_gt_i32_e32 vcc, v6, v10
	v_cndmask_b32_e64 v12, 0, 1, vcc
	v_cmp_le_i32_e32 vcc, v10, v6
	v_cndmask_b32_e64 v10, 0, 1, vcc
	v_cndmask_b32_e64 v10, v10, v12, s[0:1]
	v_and_b32_e32 v10, 1, v10
	v_cmp_eq_u32_e32 vcc, 1, v10
	v_cndmask_b32_e32 v8, v3, v8, vcc
	v_cndmask_b32_e32 v7, v7, v11, vcc
	v_cmp_ge_u32_e32 vcc, v7, v8
	s_or_b64 s[2:3], vcc, s[2:3]
	s_andn2_b64 exec, exec, s[2:3]
	s_cbranch_execnz .LBB821_21
; %bb.22:
	s_or_b64 exec, exec, s[2:3]
.LBB821_23:
	v_add_u32_e32 v3, v7, v0
	v_mov_b32_e32 v4, 0
	v_lshlrev_b64 v[6:7], 2, v[3:4]
	v_mov_b32_e32 v0, s11
	v_add_co_u32_e32 v6, vcc, s10, v6
	v_lshlrev_b64 v[3:4], 3, v[3:4]
	v_addc_co_u32_e32 v7, vcc, v0, v7, vcc
	v_mov_b32_e32 v0, s15
	v_add_co_u32_e32 v3, vcc, s14, v3
	v_addc_co_u32_e32 v4, vcc, v0, v4, vcc
	global_store_dword v[6:7], v5, off
	global_store_dwordx2 v[3:4], v[1:2], off
.LBB821_24:
	s_endpgm
	.section	.rodata,"a",@progbits
	.p2align	6, 0x0
	.amdhsa_kernel _ZN7rocprim17ROCPRIM_400000_NS6detail17trampoline_kernelINS0_14default_configENS1_38merge_sort_block_merge_config_selectorIilEEZZNS1_27merge_sort_block_merge_implIS3_PiN6thrust23THRUST_200600_302600_NS10device_ptrIlEEjNS1_19radix_merge_compareILb0ELb1EiNS0_19identity_decomposerEEEEE10hipError_tT0_T1_T2_jT3_P12ihipStream_tbPNSt15iterator_traitsISG_E10value_typeEPNSM_ISH_E10value_typeEPSI_NS1_7vsmem_tEENKUlT_SG_SH_SI_E_clIS7_S7_PlSB_EESF_SV_SG_SH_SI_EUlSV_E1_NS1_11comp_targetILNS1_3genE2ELNS1_11target_archE906ELNS1_3gpuE6ELNS1_3repE0EEENS1_36merge_oddeven_config_static_selectorELNS0_4arch9wavefront6targetE1EEEvSH_
		.amdhsa_group_segment_fixed_size 0
		.amdhsa_private_segment_fixed_size 0
		.amdhsa_kernarg_size 48
		.amdhsa_user_sgpr_count 6
		.amdhsa_user_sgpr_private_segment_buffer 1
		.amdhsa_user_sgpr_dispatch_ptr 0
		.amdhsa_user_sgpr_queue_ptr 0
		.amdhsa_user_sgpr_kernarg_segment_ptr 1
		.amdhsa_user_sgpr_dispatch_id 0
		.amdhsa_user_sgpr_flat_scratch_init 0
		.amdhsa_user_sgpr_private_segment_size 0
		.amdhsa_uses_dynamic_stack 0
		.amdhsa_system_sgpr_private_segment_wavefront_offset 0
		.amdhsa_system_sgpr_workgroup_id_x 1
		.amdhsa_system_sgpr_workgroup_id_y 0
		.amdhsa_system_sgpr_workgroup_id_z 0
		.amdhsa_system_sgpr_workgroup_info 0
		.amdhsa_system_vgpr_workitem_id 0
		.amdhsa_next_free_vgpr 13
		.amdhsa_next_free_sgpr 24
		.amdhsa_reserve_vcc 1
		.amdhsa_reserve_flat_scratch 0
		.amdhsa_float_round_mode_32 0
		.amdhsa_float_round_mode_16_64 0
		.amdhsa_float_denorm_mode_32 3
		.amdhsa_float_denorm_mode_16_64 3
		.amdhsa_dx10_clamp 1
		.amdhsa_ieee_mode 1
		.amdhsa_fp16_overflow 0
		.amdhsa_exception_fp_ieee_invalid_op 0
		.amdhsa_exception_fp_denorm_src 0
		.amdhsa_exception_fp_ieee_div_zero 0
		.amdhsa_exception_fp_ieee_overflow 0
		.amdhsa_exception_fp_ieee_underflow 0
		.amdhsa_exception_fp_ieee_inexact 0
		.amdhsa_exception_int_div_zero 0
	.end_amdhsa_kernel
	.section	.text._ZN7rocprim17ROCPRIM_400000_NS6detail17trampoline_kernelINS0_14default_configENS1_38merge_sort_block_merge_config_selectorIilEEZZNS1_27merge_sort_block_merge_implIS3_PiN6thrust23THRUST_200600_302600_NS10device_ptrIlEEjNS1_19radix_merge_compareILb0ELb1EiNS0_19identity_decomposerEEEEE10hipError_tT0_T1_T2_jT3_P12ihipStream_tbPNSt15iterator_traitsISG_E10value_typeEPNSM_ISH_E10value_typeEPSI_NS1_7vsmem_tEENKUlT_SG_SH_SI_E_clIS7_S7_PlSB_EESF_SV_SG_SH_SI_EUlSV_E1_NS1_11comp_targetILNS1_3genE2ELNS1_11target_archE906ELNS1_3gpuE6ELNS1_3repE0EEENS1_36merge_oddeven_config_static_selectorELNS0_4arch9wavefront6targetE1EEEvSH_,"axG",@progbits,_ZN7rocprim17ROCPRIM_400000_NS6detail17trampoline_kernelINS0_14default_configENS1_38merge_sort_block_merge_config_selectorIilEEZZNS1_27merge_sort_block_merge_implIS3_PiN6thrust23THRUST_200600_302600_NS10device_ptrIlEEjNS1_19radix_merge_compareILb0ELb1EiNS0_19identity_decomposerEEEEE10hipError_tT0_T1_T2_jT3_P12ihipStream_tbPNSt15iterator_traitsISG_E10value_typeEPNSM_ISH_E10value_typeEPSI_NS1_7vsmem_tEENKUlT_SG_SH_SI_E_clIS7_S7_PlSB_EESF_SV_SG_SH_SI_EUlSV_E1_NS1_11comp_targetILNS1_3genE2ELNS1_11target_archE906ELNS1_3gpuE6ELNS1_3repE0EEENS1_36merge_oddeven_config_static_selectorELNS0_4arch9wavefront6targetE1EEEvSH_,comdat
.Lfunc_end821:
	.size	_ZN7rocprim17ROCPRIM_400000_NS6detail17trampoline_kernelINS0_14default_configENS1_38merge_sort_block_merge_config_selectorIilEEZZNS1_27merge_sort_block_merge_implIS3_PiN6thrust23THRUST_200600_302600_NS10device_ptrIlEEjNS1_19radix_merge_compareILb0ELb1EiNS0_19identity_decomposerEEEEE10hipError_tT0_T1_T2_jT3_P12ihipStream_tbPNSt15iterator_traitsISG_E10value_typeEPNSM_ISH_E10value_typeEPSI_NS1_7vsmem_tEENKUlT_SG_SH_SI_E_clIS7_S7_PlSB_EESF_SV_SG_SH_SI_EUlSV_E1_NS1_11comp_targetILNS1_3genE2ELNS1_11target_archE906ELNS1_3gpuE6ELNS1_3repE0EEENS1_36merge_oddeven_config_static_selectorELNS0_4arch9wavefront6targetE1EEEvSH_, .Lfunc_end821-_ZN7rocprim17ROCPRIM_400000_NS6detail17trampoline_kernelINS0_14default_configENS1_38merge_sort_block_merge_config_selectorIilEEZZNS1_27merge_sort_block_merge_implIS3_PiN6thrust23THRUST_200600_302600_NS10device_ptrIlEEjNS1_19radix_merge_compareILb0ELb1EiNS0_19identity_decomposerEEEEE10hipError_tT0_T1_T2_jT3_P12ihipStream_tbPNSt15iterator_traitsISG_E10value_typeEPNSM_ISH_E10value_typeEPSI_NS1_7vsmem_tEENKUlT_SG_SH_SI_E_clIS7_S7_PlSB_EESF_SV_SG_SH_SI_EUlSV_E1_NS1_11comp_targetILNS1_3genE2ELNS1_11target_archE906ELNS1_3gpuE6ELNS1_3repE0EEENS1_36merge_oddeven_config_static_selectorELNS0_4arch9wavefront6targetE1EEEvSH_
                                        ; -- End function
	.set _ZN7rocprim17ROCPRIM_400000_NS6detail17trampoline_kernelINS0_14default_configENS1_38merge_sort_block_merge_config_selectorIilEEZZNS1_27merge_sort_block_merge_implIS3_PiN6thrust23THRUST_200600_302600_NS10device_ptrIlEEjNS1_19radix_merge_compareILb0ELb1EiNS0_19identity_decomposerEEEEE10hipError_tT0_T1_T2_jT3_P12ihipStream_tbPNSt15iterator_traitsISG_E10value_typeEPNSM_ISH_E10value_typeEPSI_NS1_7vsmem_tEENKUlT_SG_SH_SI_E_clIS7_S7_PlSB_EESF_SV_SG_SH_SI_EUlSV_E1_NS1_11comp_targetILNS1_3genE2ELNS1_11target_archE906ELNS1_3gpuE6ELNS1_3repE0EEENS1_36merge_oddeven_config_static_selectorELNS0_4arch9wavefront6targetE1EEEvSH_.num_vgpr, 13
	.set _ZN7rocprim17ROCPRIM_400000_NS6detail17trampoline_kernelINS0_14default_configENS1_38merge_sort_block_merge_config_selectorIilEEZZNS1_27merge_sort_block_merge_implIS3_PiN6thrust23THRUST_200600_302600_NS10device_ptrIlEEjNS1_19radix_merge_compareILb0ELb1EiNS0_19identity_decomposerEEEEE10hipError_tT0_T1_T2_jT3_P12ihipStream_tbPNSt15iterator_traitsISG_E10value_typeEPNSM_ISH_E10value_typeEPSI_NS1_7vsmem_tEENKUlT_SG_SH_SI_E_clIS7_S7_PlSB_EESF_SV_SG_SH_SI_EUlSV_E1_NS1_11comp_targetILNS1_3genE2ELNS1_11target_archE906ELNS1_3gpuE6ELNS1_3repE0EEENS1_36merge_oddeven_config_static_selectorELNS0_4arch9wavefront6targetE1EEEvSH_.num_agpr, 0
	.set _ZN7rocprim17ROCPRIM_400000_NS6detail17trampoline_kernelINS0_14default_configENS1_38merge_sort_block_merge_config_selectorIilEEZZNS1_27merge_sort_block_merge_implIS3_PiN6thrust23THRUST_200600_302600_NS10device_ptrIlEEjNS1_19radix_merge_compareILb0ELb1EiNS0_19identity_decomposerEEEEE10hipError_tT0_T1_T2_jT3_P12ihipStream_tbPNSt15iterator_traitsISG_E10value_typeEPNSM_ISH_E10value_typeEPSI_NS1_7vsmem_tEENKUlT_SG_SH_SI_E_clIS7_S7_PlSB_EESF_SV_SG_SH_SI_EUlSV_E1_NS1_11comp_targetILNS1_3genE2ELNS1_11target_archE906ELNS1_3gpuE6ELNS1_3repE0EEENS1_36merge_oddeven_config_static_selectorELNS0_4arch9wavefront6targetE1EEEvSH_.numbered_sgpr, 24
	.set _ZN7rocprim17ROCPRIM_400000_NS6detail17trampoline_kernelINS0_14default_configENS1_38merge_sort_block_merge_config_selectorIilEEZZNS1_27merge_sort_block_merge_implIS3_PiN6thrust23THRUST_200600_302600_NS10device_ptrIlEEjNS1_19radix_merge_compareILb0ELb1EiNS0_19identity_decomposerEEEEE10hipError_tT0_T1_T2_jT3_P12ihipStream_tbPNSt15iterator_traitsISG_E10value_typeEPNSM_ISH_E10value_typeEPSI_NS1_7vsmem_tEENKUlT_SG_SH_SI_E_clIS7_S7_PlSB_EESF_SV_SG_SH_SI_EUlSV_E1_NS1_11comp_targetILNS1_3genE2ELNS1_11target_archE906ELNS1_3gpuE6ELNS1_3repE0EEENS1_36merge_oddeven_config_static_selectorELNS0_4arch9wavefront6targetE1EEEvSH_.num_named_barrier, 0
	.set _ZN7rocprim17ROCPRIM_400000_NS6detail17trampoline_kernelINS0_14default_configENS1_38merge_sort_block_merge_config_selectorIilEEZZNS1_27merge_sort_block_merge_implIS3_PiN6thrust23THRUST_200600_302600_NS10device_ptrIlEEjNS1_19radix_merge_compareILb0ELb1EiNS0_19identity_decomposerEEEEE10hipError_tT0_T1_T2_jT3_P12ihipStream_tbPNSt15iterator_traitsISG_E10value_typeEPNSM_ISH_E10value_typeEPSI_NS1_7vsmem_tEENKUlT_SG_SH_SI_E_clIS7_S7_PlSB_EESF_SV_SG_SH_SI_EUlSV_E1_NS1_11comp_targetILNS1_3genE2ELNS1_11target_archE906ELNS1_3gpuE6ELNS1_3repE0EEENS1_36merge_oddeven_config_static_selectorELNS0_4arch9wavefront6targetE1EEEvSH_.private_seg_size, 0
	.set _ZN7rocprim17ROCPRIM_400000_NS6detail17trampoline_kernelINS0_14default_configENS1_38merge_sort_block_merge_config_selectorIilEEZZNS1_27merge_sort_block_merge_implIS3_PiN6thrust23THRUST_200600_302600_NS10device_ptrIlEEjNS1_19radix_merge_compareILb0ELb1EiNS0_19identity_decomposerEEEEE10hipError_tT0_T1_T2_jT3_P12ihipStream_tbPNSt15iterator_traitsISG_E10value_typeEPNSM_ISH_E10value_typeEPSI_NS1_7vsmem_tEENKUlT_SG_SH_SI_E_clIS7_S7_PlSB_EESF_SV_SG_SH_SI_EUlSV_E1_NS1_11comp_targetILNS1_3genE2ELNS1_11target_archE906ELNS1_3gpuE6ELNS1_3repE0EEENS1_36merge_oddeven_config_static_selectorELNS0_4arch9wavefront6targetE1EEEvSH_.uses_vcc, 1
	.set _ZN7rocprim17ROCPRIM_400000_NS6detail17trampoline_kernelINS0_14default_configENS1_38merge_sort_block_merge_config_selectorIilEEZZNS1_27merge_sort_block_merge_implIS3_PiN6thrust23THRUST_200600_302600_NS10device_ptrIlEEjNS1_19radix_merge_compareILb0ELb1EiNS0_19identity_decomposerEEEEE10hipError_tT0_T1_T2_jT3_P12ihipStream_tbPNSt15iterator_traitsISG_E10value_typeEPNSM_ISH_E10value_typeEPSI_NS1_7vsmem_tEENKUlT_SG_SH_SI_E_clIS7_S7_PlSB_EESF_SV_SG_SH_SI_EUlSV_E1_NS1_11comp_targetILNS1_3genE2ELNS1_11target_archE906ELNS1_3gpuE6ELNS1_3repE0EEENS1_36merge_oddeven_config_static_selectorELNS0_4arch9wavefront6targetE1EEEvSH_.uses_flat_scratch, 0
	.set _ZN7rocprim17ROCPRIM_400000_NS6detail17trampoline_kernelINS0_14default_configENS1_38merge_sort_block_merge_config_selectorIilEEZZNS1_27merge_sort_block_merge_implIS3_PiN6thrust23THRUST_200600_302600_NS10device_ptrIlEEjNS1_19radix_merge_compareILb0ELb1EiNS0_19identity_decomposerEEEEE10hipError_tT0_T1_T2_jT3_P12ihipStream_tbPNSt15iterator_traitsISG_E10value_typeEPNSM_ISH_E10value_typeEPSI_NS1_7vsmem_tEENKUlT_SG_SH_SI_E_clIS7_S7_PlSB_EESF_SV_SG_SH_SI_EUlSV_E1_NS1_11comp_targetILNS1_3genE2ELNS1_11target_archE906ELNS1_3gpuE6ELNS1_3repE0EEENS1_36merge_oddeven_config_static_selectorELNS0_4arch9wavefront6targetE1EEEvSH_.has_dyn_sized_stack, 0
	.set _ZN7rocprim17ROCPRIM_400000_NS6detail17trampoline_kernelINS0_14default_configENS1_38merge_sort_block_merge_config_selectorIilEEZZNS1_27merge_sort_block_merge_implIS3_PiN6thrust23THRUST_200600_302600_NS10device_ptrIlEEjNS1_19radix_merge_compareILb0ELb1EiNS0_19identity_decomposerEEEEE10hipError_tT0_T1_T2_jT3_P12ihipStream_tbPNSt15iterator_traitsISG_E10value_typeEPNSM_ISH_E10value_typeEPSI_NS1_7vsmem_tEENKUlT_SG_SH_SI_E_clIS7_S7_PlSB_EESF_SV_SG_SH_SI_EUlSV_E1_NS1_11comp_targetILNS1_3genE2ELNS1_11target_archE906ELNS1_3gpuE6ELNS1_3repE0EEENS1_36merge_oddeven_config_static_selectorELNS0_4arch9wavefront6targetE1EEEvSH_.has_recursion, 0
	.set _ZN7rocprim17ROCPRIM_400000_NS6detail17trampoline_kernelINS0_14default_configENS1_38merge_sort_block_merge_config_selectorIilEEZZNS1_27merge_sort_block_merge_implIS3_PiN6thrust23THRUST_200600_302600_NS10device_ptrIlEEjNS1_19radix_merge_compareILb0ELb1EiNS0_19identity_decomposerEEEEE10hipError_tT0_T1_T2_jT3_P12ihipStream_tbPNSt15iterator_traitsISG_E10value_typeEPNSM_ISH_E10value_typeEPSI_NS1_7vsmem_tEENKUlT_SG_SH_SI_E_clIS7_S7_PlSB_EESF_SV_SG_SH_SI_EUlSV_E1_NS1_11comp_targetILNS1_3genE2ELNS1_11target_archE906ELNS1_3gpuE6ELNS1_3repE0EEENS1_36merge_oddeven_config_static_selectorELNS0_4arch9wavefront6targetE1EEEvSH_.has_indirect_call, 0
	.section	.AMDGPU.csdata,"",@progbits
; Kernel info:
; codeLenInByte = 872
; TotalNumSgprs: 28
; NumVgprs: 13
; ScratchSize: 0
; MemoryBound: 0
; FloatMode: 240
; IeeeMode: 1
; LDSByteSize: 0 bytes/workgroup (compile time only)
; SGPRBlocks: 3
; VGPRBlocks: 3
; NumSGPRsForWavesPerEU: 28
; NumVGPRsForWavesPerEU: 13
; Occupancy: 10
; WaveLimiterHint : 0
; COMPUTE_PGM_RSRC2:SCRATCH_EN: 0
; COMPUTE_PGM_RSRC2:USER_SGPR: 6
; COMPUTE_PGM_RSRC2:TRAP_HANDLER: 0
; COMPUTE_PGM_RSRC2:TGID_X_EN: 1
; COMPUTE_PGM_RSRC2:TGID_Y_EN: 0
; COMPUTE_PGM_RSRC2:TGID_Z_EN: 0
; COMPUTE_PGM_RSRC2:TIDIG_COMP_CNT: 0
	.section	.text._ZN7rocprim17ROCPRIM_400000_NS6detail17trampoline_kernelINS0_14default_configENS1_38merge_sort_block_merge_config_selectorIilEEZZNS1_27merge_sort_block_merge_implIS3_PiN6thrust23THRUST_200600_302600_NS10device_ptrIlEEjNS1_19radix_merge_compareILb0ELb1EiNS0_19identity_decomposerEEEEE10hipError_tT0_T1_T2_jT3_P12ihipStream_tbPNSt15iterator_traitsISG_E10value_typeEPNSM_ISH_E10value_typeEPSI_NS1_7vsmem_tEENKUlT_SG_SH_SI_E_clIS7_S7_PlSB_EESF_SV_SG_SH_SI_EUlSV_E1_NS1_11comp_targetILNS1_3genE9ELNS1_11target_archE1100ELNS1_3gpuE3ELNS1_3repE0EEENS1_36merge_oddeven_config_static_selectorELNS0_4arch9wavefront6targetE1EEEvSH_,"axG",@progbits,_ZN7rocprim17ROCPRIM_400000_NS6detail17trampoline_kernelINS0_14default_configENS1_38merge_sort_block_merge_config_selectorIilEEZZNS1_27merge_sort_block_merge_implIS3_PiN6thrust23THRUST_200600_302600_NS10device_ptrIlEEjNS1_19radix_merge_compareILb0ELb1EiNS0_19identity_decomposerEEEEE10hipError_tT0_T1_T2_jT3_P12ihipStream_tbPNSt15iterator_traitsISG_E10value_typeEPNSM_ISH_E10value_typeEPSI_NS1_7vsmem_tEENKUlT_SG_SH_SI_E_clIS7_S7_PlSB_EESF_SV_SG_SH_SI_EUlSV_E1_NS1_11comp_targetILNS1_3genE9ELNS1_11target_archE1100ELNS1_3gpuE3ELNS1_3repE0EEENS1_36merge_oddeven_config_static_selectorELNS0_4arch9wavefront6targetE1EEEvSH_,comdat
	.protected	_ZN7rocprim17ROCPRIM_400000_NS6detail17trampoline_kernelINS0_14default_configENS1_38merge_sort_block_merge_config_selectorIilEEZZNS1_27merge_sort_block_merge_implIS3_PiN6thrust23THRUST_200600_302600_NS10device_ptrIlEEjNS1_19radix_merge_compareILb0ELb1EiNS0_19identity_decomposerEEEEE10hipError_tT0_T1_T2_jT3_P12ihipStream_tbPNSt15iterator_traitsISG_E10value_typeEPNSM_ISH_E10value_typeEPSI_NS1_7vsmem_tEENKUlT_SG_SH_SI_E_clIS7_S7_PlSB_EESF_SV_SG_SH_SI_EUlSV_E1_NS1_11comp_targetILNS1_3genE9ELNS1_11target_archE1100ELNS1_3gpuE3ELNS1_3repE0EEENS1_36merge_oddeven_config_static_selectorELNS0_4arch9wavefront6targetE1EEEvSH_ ; -- Begin function _ZN7rocprim17ROCPRIM_400000_NS6detail17trampoline_kernelINS0_14default_configENS1_38merge_sort_block_merge_config_selectorIilEEZZNS1_27merge_sort_block_merge_implIS3_PiN6thrust23THRUST_200600_302600_NS10device_ptrIlEEjNS1_19radix_merge_compareILb0ELb1EiNS0_19identity_decomposerEEEEE10hipError_tT0_T1_T2_jT3_P12ihipStream_tbPNSt15iterator_traitsISG_E10value_typeEPNSM_ISH_E10value_typeEPSI_NS1_7vsmem_tEENKUlT_SG_SH_SI_E_clIS7_S7_PlSB_EESF_SV_SG_SH_SI_EUlSV_E1_NS1_11comp_targetILNS1_3genE9ELNS1_11target_archE1100ELNS1_3gpuE3ELNS1_3repE0EEENS1_36merge_oddeven_config_static_selectorELNS0_4arch9wavefront6targetE1EEEvSH_
	.globl	_ZN7rocprim17ROCPRIM_400000_NS6detail17trampoline_kernelINS0_14default_configENS1_38merge_sort_block_merge_config_selectorIilEEZZNS1_27merge_sort_block_merge_implIS3_PiN6thrust23THRUST_200600_302600_NS10device_ptrIlEEjNS1_19radix_merge_compareILb0ELb1EiNS0_19identity_decomposerEEEEE10hipError_tT0_T1_T2_jT3_P12ihipStream_tbPNSt15iterator_traitsISG_E10value_typeEPNSM_ISH_E10value_typeEPSI_NS1_7vsmem_tEENKUlT_SG_SH_SI_E_clIS7_S7_PlSB_EESF_SV_SG_SH_SI_EUlSV_E1_NS1_11comp_targetILNS1_3genE9ELNS1_11target_archE1100ELNS1_3gpuE3ELNS1_3repE0EEENS1_36merge_oddeven_config_static_selectorELNS0_4arch9wavefront6targetE1EEEvSH_
	.p2align	8
	.type	_ZN7rocprim17ROCPRIM_400000_NS6detail17trampoline_kernelINS0_14default_configENS1_38merge_sort_block_merge_config_selectorIilEEZZNS1_27merge_sort_block_merge_implIS3_PiN6thrust23THRUST_200600_302600_NS10device_ptrIlEEjNS1_19radix_merge_compareILb0ELb1EiNS0_19identity_decomposerEEEEE10hipError_tT0_T1_T2_jT3_P12ihipStream_tbPNSt15iterator_traitsISG_E10value_typeEPNSM_ISH_E10value_typeEPSI_NS1_7vsmem_tEENKUlT_SG_SH_SI_E_clIS7_S7_PlSB_EESF_SV_SG_SH_SI_EUlSV_E1_NS1_11comp_targetILNS1_3genE9ELNS1_11target_archE1100ELNS1_3gpuE3ELNS1_3repE0EEENS1_36merge_oddeven_config_static_selectorELNS0_4arch9wavefront6targetE1EEEvSH_,@function
_ZN7rocprim17ROCPRIM_400000_NS6detail17trampoline_kernelINS0_14default_configENS1_38merge_sort_block_merge_config_selectorIilEEZZNS1_27merge_sort_block_merge_implIS3_PiN6thrust23THRUST_200600_302600_NS10device_ptrIlEEjNS1_19radix_merge_compareILb0ELb1EiNS0_19identity_decomposerEEEEE10hipError_tT0_T1_T2_jT3_P12ihipStream_tbPNSt15iterator_traitsISG_E10value_typeEPNSM_ISH_E10value_typeEPSI_NS1_7vsmem_tEENKUlT_SG_SH_SI_E_clIS7_S7_PlSB_EESF_SV_SG_SH_SI_EUlSV_E1_NS1_11comp_targetILNS1_3genE9ELNS1_11target_archE1100ELNS1_3gpuE3ELNS1_3repE0EEENS1_36merge_oddeven_config_static_selectorELNS0_4arch9wavefront6targetE1EEEvSH_: ; @_ZN7rocprim17ROCPRIM_400000_NS6detail17trampoline_kernelINS0_14default_configENS1_38merge_sort_block_merge_config_selectorIilEEZZNS1_27merge_sort_block_merge_implIS3_PiN6thrust23THRUST_200600_302600_NS10device_ptrIlEEjNS1_19radix_merge_compareILb0ELb1EiNS0_19identity_decomposerEEEEE10hipError_tT0_T1_T2_jT3_P12ihipStream_tbPNSt15iterator_traitsISG_E10value_typeEPNSM_ISH_E10value_typeEPSI_NS1_7vsmem_tEENKUlT_SG_SH_SI_E_clIS7_S7_PlSB_EESF_SV_SG_SH_SI_EUlSV_E1_NS1_11comp_targetILNS1_3genE9ELNS1_11target_archE1100ELNS1_3gpuE3ELNS1_3repE0EEENS1_36merge_oddeven_config_static_selectorELNS0_4arch9wavefront6targetE1EEEvSH_
; %bb.0:
	.section	.rodata,"a",@progbits
	.p2align	6, 0x0
	.amdhsa_kernel _ZN7rocprim17ROCPRIM_400000_NS6detail17trampoline_kernelINS0_14default_configENS1_38merge_sort_block_merge_config_selectorIilEEZZNS1_27merge_sort_block_merge_implIS3_PiN6thrust23THRUST_200600_302600_NS10device_ptrIlEEjNS1_19radix_merge_compareILb0ELb1EiNS0_19identity_decomposerEEEEE10hipError_tT0_T1_T2_jT3_P12ihipStream_tbPNSt15iterator_traitsISG_E10value_typeEPNSM_ISH_E10value_typeEPSI_NS1_7vsmem_tEENKUlT_SG_SH_SI_E_clIS7_S7_PlSB_EESF_SV_SG_SH_SI_EUlSV_E1_NS1_11comp_targetILNS1_3genE9ELNS1_11target_archE1100ELNS1_3gpuE3ELNS1_3repE0EEENS1_36merge_oddeven_config_static_selectorELNS0_4arch9wavefront6targetE1EEEvSH_
		.amdhsa_group_segment_fixed_size 0
		.amdhsa_private_segment_fixed_size 0
		.amdhsa_kernarg_size 48
		.amdhsa_user_sgpr_count 6
		.amdhsa_user_sgpr_private_segment_buffer 1
		.amdhsa_user_sgpr_dispatch_ptr 0
		.amdhsa_user_sgpr_queue_ptr 0
		.amdhsa_user_sgpr_kernarg_segment_ptr 1
		.amdhsa_user_sgpr_dispatch_id 0
		.amdhsa_user_sgpr_flat_scratch_init 0
		.amdhsa_user_sgpr_private_segment_size 0
		.amdhsa_uses_dynamic_stack 0
		.amdhsa_system_sgpr_private_segment_wavefront_offset 0
		.amdhsa_system_sgpr_workgroup_id_x 1
		.amdhsa_system_sgpr_workgroup_id_y 0
		.amdhsa_system_sgpr_workgroup_id_z 0
		.amdhsa_system_sgpr_workgroup_info 0
		.amdhsa_system_vgpr_workitem_id 0
		.amdhsa_next_free_vgpr 1
		.amdhsa_next_free_sgpr 0
		.amdhsa_reserve_vcc 0
		.amdhsa_reserve_flat_scratch 0
		.amdhsa_float_round_mode_32 0
		.amdhsa_float_round_mode_16_64 0
		.amdhsa_float_denorm_mode_32 3
		.amdhsa_float_denorm_mode_16_64 3
		.amdhsa_dx10_clamp 1
		.amdhsa_ieee_mode 1
		.amdhsa_fp16_overflow 0
		.amdhsa_exception_fp_ieee_invalid_op 0
		.amdhsa_exception_fp_denorm_src 0
		.amdhsa_exception_fp_ieee_div_zero 0
		.amdhsa_exception_fp_ieee_overflow 0
		.amdhsa_exception_fp_ieee_underflow 0
		.amdhsa_exception_fp_ieee_inexact 0
		.amdhsa_exception_int_div_zero 0
	.end_amdhsa_kernel
	.section	.text._ZN7rocprim17ROCPRIM_400000_NS6detail17trampoline_kernelINS0_14default_configENS1_38merge_sort_block_merge_config_selectorIilEEZZNS1_27merge_sort_block_merge_implIS3_PiN6thrust23THRUST_200600_302600_NS10device_ptrIlEEjNS1_19radix_merge_compareILb0ELb1EiNS0_19identity_decomposerEEEEE10hipError_tT0_T1_T2_jT3_P12ihipStream_tbPNSt15iterator_traitsISG_E10value_typeEPNSM_ISH_E10value_typeEPSI_NS1_7vsmem_tEENKUlT_SG_SH_SI_E_clIS7_S7_PlSB_EESF_SV_SG_SH_SI_EUlSV_E1_NS1_11comp_targetILNS1_3genE9ELNS1_11target_archE1100ELNS1_3gpuE3ELNS1_3repE0EEENS1_36merge_oddeven_config_static_selectorELNS0_4arch9wavefront6targetE1EEEvSH_,"axG",@progbits,_ZN7rocprim17ROCPRIM_400000_NS6detail17trampoline_kernelINS0_14default_configENS1_38merge_sort_block_merge_config_selectorIilEEZZNS1_27merge_sort_block_merge_implIS3_PiN6thrust23THRUST_200600_302600_NS10device_ptrIlEEjNS1_19radix_merge_compareILb0ELb1EiNS0_19identity_decomposerEEEEE10hipError_tT0_T1_T2_jT3_P12ihipStream_tbPNSt15iterator_traitsISG_E10value_typeEPNSM_ISH_E10value_typeEPSI_NS1_7vsmem_tEENKUlT_SG_SH_SI_E_clIS7_S7_PlSB_EESF_SV_SG_SH_SI_EUlSV_E1_NS1_11comp_targetILNS1_3genE9ELNS1_11target_archE1100ELNS1_3gpuE3ELNS1_3repE0EEENS1_36merge_oddeven_config_static_selectorELNS0_4arch9wavefront6targetE1EEEvSH_,comdat
.Lfunc_end822:
	.size	_ZN7rocprim17ROCPRIM_400000_NS6detail17trampoline_kernelINS0_14default_configENS1_38merge_sort_block_merge_config_selectorIilEEZZNS1_27merge_sort_block_merge_implIS3_PiN6thrust23THRUST_200600_302600_NS10device_ptrIlEEjNS1_19radix_merge_compareILb0ELb1EiNS0_19identity_decomposerEEEEE10hipError_tT0_T1_T2_jT3_P12ihipStream_tbPNSt15iterator_traitsISG_E10value_typeEPNSM_ISH_E10value_typeEPSI_NS1_7vsmem_tEENKUlT_SG_SH_SI_E_clIS7_S7_PlSB_EESF_SV_SG_SH_SI_EUlSV_E1_NS1_11comp_targetILNS1_3genE9ELNS1_11target_archE1100ELNS1_3gpuE3ELNS1_3repE0EEENS1_36merge_oddeven_config_static_selectorELNS0_4arch9wavefront6targetE1EEEvSH_, .Lfunc_end822-_ZN7rocprim17ROCPRIM_400000_NS6detail17trampoline_kernelINS0_14default_configENS1_38merge_sort_block_merge_config_selectorIilEEZZNS1_27merge_sort_block_merge_implIS3_PiN6thrust23THRUST_200600_302600_NS10device_ptrIlEEjNS1_19radix_merge_compareILb0ELb1EiNS0_19identity_decomposerEEEEE10hipError_tT0_T1_T2_jT3_P12ihipStream_tbPNSt15iterator_traitsISG_E10value_typeEPNSM_ISH_E10value_typeEPSI_NS1_7vsmem_tEENKUlT_SG_SH_SI_E_clIS7_S7_PlSB_EESF_SV_SG_SH_SI_EUlSV_E1_NS1_11comp_targetILNS1_3genE9ELNS1_11target_archE1100ELNS1_3gpuE3ELNS1_3repE0EEENS1_36merge_oddeven_config_static_selectorELNS0_4arch9wavefront6targetE1EEEvSH_
                                        ; -- End function
	.set _ZN7rocprim17ROCPRIM_400000_NS6detail17trampoline_kernelINS0_14default_configENS1_38merge_sort_block_merge_config_selectorIilEEZZNS1_27merge_sort_block_merge_implIS3_PiN6thrust23THRUST_200600_302600_NS10device_ptrIlEEjNS1_19radix_merge_compareILb0ELb1EiNS0_19identity_decomposerEEEEE10hipError_tT0_T1_T2_jT3_P12ihipStream_tbPNSt15iterator_traitsISG_E10value_typeEPNSM_ISH_E10value_typeEPSI_NS1_7vsmem_tEENKUlT_SG_SH_SI_E_clIS7_S7_PlSB_EESF_SV_SG_SH_SI_EUlSV_E1_NS1_11comp_targetILNS1_3genE9ELNS1_11target_archE1100ELNS1_3gpuE3ELNS1_3repE0EEENS1_36merge_oddeven_config_static_selectorELNS0_4arch9wavefront6targetE1EEEvSH_.num_vgpr, 0
	.set _ZN7rocprim17ROCPRIM_400000_NS6detail17trampoline_kernelINS0_14default_configENS1_38merge_sort_block_merge_config_selectorIilEEZZNS1_27merge_sort_block_merge_implIS3_PiN6thrust23THRUST_200600_302600_NS10device_ptrIlEEjNS1_19radix_merge_compareILb0ELb1EiNS0_19identity_decomposerEEEEE10hipError_tT0_T1_T2_jT3_P12ihipStream_tbPNSt15iterator_traitsISG_E10value_typeEPNSM_ISH_E10value_typeEPSI_NS1_7vsmem_tEENKUlT_SG_SH_SI_E_clIS7_S7_PlSB_EESF_SV_SG_SH_SI_EUlSV_E1_NS1_11comp_targetILNS1_3genE9ELNS1_11target_archE1100ELNS1_3gpuE3ELNS1_3repE0EEENS1_36merge_oddeven_config_static_selectorELNS0_4arch9wavefront6targetE1EEEvSH_.num_agpr, 0
	.set _ZN7rocprim17ROCPRIM_400000_NS6detail17trampoline_kernelINS0_14default_configENS1_38merge_sort_block_merge_config_selectorIilEEZZNS1_27merge_sort_block_merge_implIS3_PiN6thrust23THRUST_200600_302600_NS10device_ptrIlEEjNS1_19radix_merge_compareILb0ELb1EiNS0_19identity_decomposerEEEEE10hipError_tT0_T1_T2_jT3_P12ihipStream_tbPNSt15iterator_traitsISG_E10value_typeEPNSM_ISH_E10value_typeEPSI_NS1_7vsmem_tEENKUlT_SG_SH_SI_E_clIS7_S7_PlSB_EESF_SV_SG_SH_SI_EUlSV_E1_NS1_11comp_targetILNS1_3genE9ELNS1_11target_archE1100ELNS1_3gpuE3ELNS1_3repE0EEENS1_36merge_oddeven_config_static_selectorELNS0_4arch9wavefront6targetE1EEEvSH_.numbered_sgpr, 0
	.set _ZN7rocprim17ROCPRIM_400000_NS6detail17trampoline_kernelINS0_14default_configENS1_38merge_sort_block_merge_config_selectorIilEEZZNS1_27merge_sort_block_merge_implIS3_PiN6thrust23THRUST_200600_302600_NS10device_ptrIlEEjNS1_19radix_merge_compareILb0ELb1EiNS0_19identity_decomposerEEEEE10hipError_tT0_T1_T2_jT3_P12ihipStream_tbPNSt15iterator_traitsISG_E10value_typeEPNSM_ISH_E10value_typeEPSI_NS1_7vsmem_tEENKUlT_SG_SH_SI_E_clIS7_S7_PlSB_EESF_SV_SG_SH_SI_EUlSV_E1_NS1_11comp_targetILNS1_3genE9ELNS1_11target_archE1100ELNS1_3gpuE3ELNS1_3repE0EEENS1_36merge_oddeven_config_static_selectorELNS0_4arch9wavefront6targetE1EEEvSH_.num_named_barrier, 0
	.set _ZN7rocprim17ROCPRIM_400000_NS6detail17trampoline_kernelINS0_14default_configENS1_38merge_sort_block_merge_config_selectorIilEEZZNS1_27merge_sort_block_merge_implIS3_PiN6thrust23THRUST_200600_302600_NS10device_ptrIlEEjNS1_19radix_merge_compareILb0ELb1EiNS0_19identity_decomposerEEEEE10hipError_tT0_T1_T2_jT3_P12ihipStream_tbPNSt15iterator_traitsISG_E10value_typeEPNSM_ISH_E10value_typeEPSI_NS1_7vsmem_tEENKUlT_SG_SH_SI_E_clIS7_S7_PlSB_EESF_SV_SG_SH_SI_EUlSV_E1_NS1_11comp_targetILNS1_3genE9ELNS1_11target_archE1100ELNS1_3gpuE3ELNS1_3repE0EEENS1_36merge_oddeven_config_static_selectorELNS0_4arch9wavefront6targetE1EEEvSH_.private_seg_size, 0
	.set _ZN7rocprim17ROCPRIM_400000_NS6detail17trampoline_kernelINS0_14default_configENS1_38merge_sort_block_merge_config_selectorIilEEZZNS1_27merge_sort_block_merge_implIS3_PiN6thrust23THRUST_200600_302600_NS10device_ptrIlEEjNS1_19radix_merge_compareILb0ELb1EiNS0_19identity_decomposerEEEEE10hipError_tT0_T1_T2_jT3_P12ihipStream_tbPNSt15iterator_traitsISG_E10value_typeEPNSM_ISH_E10value_typeEPSI_NS1_7vsmem_tEENKUlT_SG_SH_SI_E_clIS7_S7_PlSB_EESF_SV_SG_SH_SI_EUlSV_E1_NS1_11comp_targetILNS1_3genE9ELNS1_11target_archE1100ELNS1_3gpuE3ELNS1_3repE0EEENS1_36merge_oddeven_config_static_selectorELNS0_4arch9wavefront6targetE1EEEvSH_.uses_vcc, 0
	.set _ZN7rocprim17ROCPRIM_400000_NS6detail17trampoline_kernelINS0_14default_configENS1_38merge_sort_block_merge_config_selectorIilEEZZNS1_27merge_sort_block_merge_implIS3_PiN6thrust23THRUST_200600_302600_NS10device_ptrIlEEjNS1_19radix_merge_compareILb0ELb1EiNS0_19identity_decomposerEEEEE10hipError_tT0_T1_T2_jT3_P12ihipStream_tbPNSt15iterator_traitsISG_E10value_typeEPNSM_ISH_E10value_typeEPSI_NS1_7vsmem_tEENKUlT_SG_SH_SI_E_clIS7_S7_PlSB_EESF_SV_SG_SH_SI_EUlSV_E1_NS1_11comp_targetILNS1_3genE9ELNS1_11target_archE1100ELNS1_3gpuE3ELNS1_3repE0EEENS1_36merge_oddeven_config_static_selectorELNS0_4arch9wavefront6targetE1EEEvSH_.uses_flat_scratch, 0
	.set _ZN7rocprim17ROCPRIM_400000_NS6detail17trampoline_kernelINS0_14default_configENS1_38merge_sort_block_merge_config_selectorIilEEZZNS1_27merge_sort_block_merge_implIS3_PiN6thrust23THRUST_200600_302600_NS10device_ptrIlEEjNS1_19radix_merge_compareILb0ELb1EiNS0_19identity_decomposerEEEEE10hipError_tT0_T1_T2_jT3_P12ihipStream_tbPNSt15iterator_traitsISG_E10value_typeEPNSM_ISH_E10value_typeEPSI_NS1_7vsmem_tEENKUlT_SG_SH_SI_E_clIS7_S7_PlSB_EESF_SV_SG_SH_SI_EUlSV_E1_NS1_11comp_targetILNS1_3genE9ELNS1_11target_archE1100ELNS1_3gpuE3ELNS1_3repE0EEENS1_36merge_oddeven_config_static_selectorELNS0_4arch9wavefront6targetE1EEEvSH_.has_dyn_sized_stack, 0
	.set _ZN7rocprim17ROCPRIM_400000_NS6detail17trampoline_kernelINS0_14default_configENS1_38merge_sort_block_merge_config_selectorIilEEZZNS1_27merge_sort_block_merge_implIS3_PiN6thrust23THRUST_200600_302600_NS10device_ptrIlEEjNS1_19radix_merge_compareILb0ELb1EiNS0_19identity_decomposerEEEEE10hipError_tT0_T1_T2_jT3_P12ihipStream_tbPNSt15iterator_traitsISG_E10value_typeEPNSM_ISH_E10value_typeEPSI_NS1_7vsmem_tEENKUlT_SG_SH_SI_E_clIS7_S7_PlSB_EESF_SV_SG_SH_SI_EUlSV_E1_NS1_11comp_targetILNS1_3genE9ELNS1_11target_archE1100ELNS1_3gpuE3ELNS1_3repE0EEENS1_36merge_oddeven_config_static_selectorELNS0_4arch9wavefront6targetE1EEEvSH_.has_recursion, 0
	.set _ZN7rocprim17ROCPRIM_400000_NS6detail17trampoline_kernelINS0_14default_configENS1_38merge_sort_block_merge_config_selectorIilEEZZNS1_27merge_sort_block_merge_implIS3_PiN6thrust23THRUST_200600_302600_NS10device_ptrIlEEjNS1_19radix_merge_compareILb0ELb1EiNS0_19identity_decomposerEEEEE10hipError_tT0_T1_T2_jT3_P12ihipStream_tbPNSt15iterator_traitsISG_E10value_typeEPNSM_ISH_E10value_typeEPSI_NS1_7vsmem_tEENKUlT_SG_SH_SI_E_clIS7_S7_PlSB_EESF_SV_SG_SH_SI_EUlSV_E1_NS1_11comp_targetILNS1_3genE9ELNS1_11target_archE1100ELNS1_3gpuE3ELNS1_3repE0EEENS1_36merge_oddeven_config_static_selectorELNS0_4arch9wavefront6targetE1EEEvSH_.has_indirect_call, 0
	.section	.AMDGPU.csdata,"",@progbits
; Kernel info:
; codeLenInByte = 0
; TotalNumSgprs: 4
; NumVgprs: 0
; ScratchSize: 0
; MemoryBound: 0
; FloatMode: 240
; IeeeMode: 1
; LDSByteSize: 0 bytes/workgroup (compile time only)
; SGPRBlocks: 0
; VGPRBlocks: 0
; NumSGPRsForWavesPerEU: 4
; NumVGPRsForWavesPerEU: 1
; Occupancy: 10
; WaveLimiterHint : 0
; COMPUTE_PGM_RSRC2:SCRATCH_EN: 0
; COMPUTE_PGM_RSRC2:USER_SGPR: 6
; COMPUTE_PGM_RSRC2:TRAP_HANDLER: 0
; COMPUTE_PGM_RSRC2:TGID_X_EN: 1
; COMPUTE_PGM_RSRC2:TGID_Y_EN: 0
; COMPUTE_PGM_RSRC2:TGID_Z_EN: 0
; COMPUTE_PGM_RSRC2:TIDIG_COMP_CNT: 0
	.section	.text._ZN7rocprim17ROCPRIM_400000_NS6detail17trampoline_kernelINS0_14default_configENS1_38merge_sort_block_merge_config_selectorIilEEZZNS1_27merge_sort_block_merge_implIS3_PiN6thrust23THRUST_200600_302600_NS10device_ptrIlEEjNS1_19radix_merge_compareILb0ELb1EiNS0_19identity_decomposerEEEEE10hipError_tT0_T1_T2_jT3_P12ihipStream_tbPNSt15iterator_traitsISG_E10value_typeEPNSM_ISH_E10value_typeEPSI_NS1_7vsmem_tEENKUlT_SG_SH_SI_E_clIS7_S7_PlSB_EESF_SV_SG_SH_SI_EUlSV_E1_NS1_11comp_targetILNS1_3genE8ELNS1_11target_archE1030ELNS1_3gpuE2ELNS1_3repE0EEENS1_36merge_oddeven_config_static_selectorELNS0_4arch9wavefront6targetE1EEEvSH_,"axG",@progbits,_ZN7rocprim17ROCPRIM_400000_NS6detail17trampoline_kernelINS0_14default_configENS1_38merge_sort_block_merge_config_selectorIilEEZZNS1_27merge_sort_block_merge_implIS3_PiN6thrust23THRUST_200600_302600_NS10device_ptrIlEEjNS1_19radix_merge_compareILb0ELb1EiNS0_19identity_decomposerEEEEE10hipError_tT0_T1_T2_jT3_P12ihipStream_tbPNSt15iterator_traitsISG_E10value_typeEPNSM_ISH_E10value_typeEPSI_NS1_7vsmem_tEENKUlT_SG_SH_SI_E_clIS7_S7_PlSB_EESF_SV_SG_SH_SI_EUlSV_E1_NS1_11comp_targetILNS1_3genE8ELNS1_11target_archE1030ELNS1_3gpuE2ELNS1_3repE0EEENS1_36merge_oddeven_config_static_selectorELNS0_4arch9wavefront6targetE1EEEvSH_,comdat
	.protected	_ZN7rocprim17ROCPRIM_400000_NS6detail17trampoline_kernelINS0_14default_configENS1_38merge_sort_block_merge_config_selectorIilEEZZNS1_27merge_sort_block_merge_implIS3_PiN6thrust23THRUST_200600_302600_NS10device_ptrIlEEjNS1_19radix_merge_compareILb0ELb1EiNS0_19identity_decomposerEEEEE10hipError_tT0_T1_T2_jT3_P12ihipStream_tbPNSt15iterator_traitsISG_E10value_typeEPNSM_ISH_E10value_typeEPSI_NS1_7vsmem_tEENKUlT_SG_SH_SI_E_clIS7_S7_PlSB_EESF_SV_SG_SH_SI_EUlSV_E1_NS1_11comp_targetILNS1_3genE8ELNS1_11target_archE1030ELNS1_3gpuE2ELNS1_3repE0EEENS1_36merge_oddeven_config_static_selectorELNS0_4arch9wavefront6targetE1EEEvSH_ ; -- Begin function _ZN7rocprim17ROCPRIM_400000_NS6detail17trampoline_kernelINS0_14default_configENS1_38merge_sort_block_merge_config_selectorIilEEZZNS1_27merge_sort_block_merge_implIS3_PiN6thrust23THRUST_200600_302600_NS10device_ptrIlEEjNS1_19radix_merge_compareILb0ELb1EiNS0_19identity_decomposerEEEEE10hipError_tT0_T1_T2_jT3_P12ihipStream_tbPNSt15iterator_traitsISG_E10value_typeEPNSM_ISH_E10value_typeEPSI_NS1_7vsmem_tEENKUlT_SG_SH_SI_E_clIS7_S7_PlSB_EESF_SV_SG_SH_SI_EUlSV_E1_NS1_11comp_targetILNS1_3genE8ELNS1_11target_archE1030ELNS1_3gpuE2ELNS1_3repE0EEENS1_36merge_oddeven_config_static_selectorELNS0_4arch9wavefront6targetE1EEEvSH_
	.globl	_ZN7rocprim17ROCPRIM_400000_NS6detail17trampoline_kernelINS0_14default_configENS1_38merge_sort_block_merge_config_selectorIilEEZZNS1_27merge_sort_block_merge_implIS3_PiN6thrust23THRUST_200600_302600_NS10device_ptrIlEEjNS1_19radix_merge_compareILb0ELb1EiNS0_19identity_decomposerEEEEE10hipError_tT0_T1_T2_jT3_P12ihipStream_tbPNSt15iterator_traitsISG_E10value_typeEPNSM_ISH_E10value_typeEPSI_NS1_7vsmem_tEENKUlT_SG_SH_SI_E_clIS7_S7_PlSB_EESF_SV_SG_SH_SI_EUlSV_E1_NS1_11comp_targetILNS1_3genE8ELNS1_11target_archE1030ELNS1_3gpuE2ELNS1_3repE0EEENS1_36merge_oddeven_config_static_selectorELNS0_4arch9wavefront6targetE1EEEvSH_
	.p2align	8
	.type	_ZN7rocprim17ROCPRIM_400000_NS6detail17trampoline_kernelINS0_14default_configENS1_38merge_sort_block_merge_config_selectorIilEEZZNS1_27merge_sort_block_merge_implIS3_PiN6thrust23THRUST_200600_302600_NS10device_ptrIlEEjNS1_19radix_merge_compareILb0ELb1EiNS0_19identity_decomposerEEEEE10hipError_tT0_T1_T2_jT3_P12ihipStream_tbPNSt15iterator_traitsISG_E10value_typeEPNSM_ISH_E10value_typeEPSI_NS1_7vsmem_tEENKUlT_SG_SH_SI_E_clIS7_S7_PlSB_EESF_SV_SG_SH_SI_EUlSV_E1_NS1_11comp_targetILNS1_3genE8ELNS1_11target_archE1030ELNS1_3gpuE2ELNS1_3repE0EEENS1_36merge_oddeven_config_static_selectorELNS0_4arch9wavefront6targetE1EEEvSH_,@function
_ZN7rocprim17ROCPRIM_400000_NS6detail17trampoline_kernelINS0_14default_configENS1_38merge_sort_block_merge_config_selectorIilEEZZNS1_27merge_sort_block_merge_implIS3_PiN6thrust23THRUST_200600_302600_NS10device_ptrIlEEjNS1_19radix_merge_compareILb0ELb1EiNS0_19identity_decomposerEEEEE10hipError_tT0_T1_T2_jT3_P12ihipStream_tbPNSt15iterator_traitsISG_E10value_typeEPNSM_ISH_E10value_typeEPSI_NS1_7vsmem_tEENKUlT_SG_SH_SI_E_clIS7_S7_PlSB_EESF_SV_SG_SH_SI_EUlSV_E1_NS1_11comp_targetILNS1_3genE8ELNS1_11target_archE1030ELNS1_3gpuE2ELNS1_3repE0EEENS1_36merge_oddeven_config_static_selectorELNS0_4arch9wavefront6targetE1EEEvSH_: ; @_ZN7rocprim17ROCPRIM_400000_NS6detail17trampoline_kernelINS0_14default_configENS1_38merge_sort_block_merge_config_selectorIilEEZZNS1_27merge_sort_block_merge_implIS3_PiN6thrust23THRUST_200600_302600_NS10device_ptrIlEEjNS1_19radix_merge_compareILb0ELb1EiNS0_19identity_decomposerEEEEE10hipError_tT0_T1_T2_jT3_P12ihipStream_tbPNSt15iterator_traitsISG_E10value_typeEPNSM_ISH_E10value_typeEPSI_NS1_7vsmem_tEENKUlT_SG_SH_SI_E_clIS7_S7_PlSB_EESF_SV_SG_SH_SI_EUlSV_E1_NS1_11comp_targetILNS1_3genE8ELNS1_11target_archE1030ELNS1_3gpuE2ELNS1_3repE0EEENS1_36merge_oddeven_config_static_selectorELNS0_4arch9wavefront6targetE1EEEvSH_
; %bb.0:
	.section	.rodata,"a",@progbits
	.p2align	6, 0x0
	.amdhsa_kernel _ZN7rocprim17ROCPRIM_400000_NS6detail17trampoline_kernelINS0_14default_configENS1_38merge_sort_block_merge_config_selectorIilEEZZNS1_27merge_sort_block_merge_implIS3_PiN6thrust23THRUST_200600_302600_NS10device_ptrIlEEjNS1_19radix_merge_compareILb0ELb1EiNS0_19identity_decomposerEEEEE10hipError_tT0_T1_T2_jT3_P12ihipStream_tbPNSt15iterator_traitsISG_E10value_typeEPNSM_ISH_E10value_typeEPSI_NS1_7vsmem_tEENKUlT_SG_SH_SI_E_clIS7_S7_PlSB_EESF_SV_SG_SH_SI_EUlSV_E1_NS1_11comp_targetILNS1_3genE8ELNS1_11target_archE1030ELNS1_3gpuE2ELNS1_3repE0EEENS1_36merge_oddeven_config_static_selectorELNS0_4arch9wavefront6targetE1EEEvSH_
		.amdhsa_group_segment_fixed_size 0
		.amdhsa_private_segment_fixed_size 0
		.amdhsa_kernarg_size 48
		.amdhsa_user_sgpr_count 6
		.amdhsa_user_sgpr_private_segment_buffer 1
		.amdhsa_user_sgpr_dispatch_ptr 0
		.amdhsa_user_sgpr_queue_ptr 0
		.amdhsa_user_sgpr_kernarg_segment_ptr 1
		.amdhsa_user_sgpr_dispatch_id 0
		.amdhsa_user_sgpr_flat_scratch_init 0
		.amdhsa_user_sgpr_private_segment_size 0
		.amdhsa_uses_dynamic_stack 0
		.amdhsa_system_sgpr_private_segment_wavefront_offset 0
		.amdhsa_system_sgpr_workgroup_id_x 1
		.amdhsa_system_sgpr_workgroup_id_y 0
		.amdhsa_system_sgpr_workgroup_id_z 0
		.amdhsa_system_sgpr_workgroup_info 0
		.amdhsa_system_vgpr_workitem_id 0
		.amdhsa_next_free_vgpr 1
		.amdhsa_next_free_sgpr 0
		.amdhsa_reserve_vcc 0
		.amdhsa_reserve_flat_scratch 0
		.amdhsa_float_round_mode_32 0
		.amdhsa_float_round_mode_16_64 0
		.amdhsa_float_denorm_mode_32 3
		.amdhsa_float_denorm_mode_16_64 3
		.amdhsa_dx10_clamp 1
		.amdhsa_ieee_mode 1
		.amdhsa_fp16_overflow 0
		.amdhsa_exception_fp_ieee_invalid_op 0
		.amdhsa_exception_fp_denorm_src 0
		.amdhsa_exception_fp_ieee_div_zero 0
		.amdhsa_exception_fp_ieee_overflow 0
		.amdhsa_exception_fp_ieee_underflow 0
		.amdhsa_exception_fp_ieee_inexact 0
		.amdhsa_exception_int_div_zero 0
	.end_amdhsa_kernel
	.section	.text._ZN7rocprim17ROCPRIM_400000_NS6detail17trampoline_kernelINS0_14default_configENS1_38merge_sort_block_merge_config_selectorIilEEZZNS1_27merge_sort_block_merge_implIS3_PiN6thrust23THRUST_200600_302600_NS10device_ptrIlEEjNS1_19radix_merge_compareILb0ELb1EiNS0_19identity_decomposerEEEEE10hipError_tT0_T1_T2_jT3_P12ihipStream_tbPNSt15iterator_traitsISG_E10value_typeEPNSM_ISH_E10value_typeEPSI_NS1_7vsmem_tEENKUlT_SG_SH_SI_E_clIS7_S7_PlSB_EESF_SV_SG_SH_SI_EUlSV_E1_NS1_11comp_targetILNS1_3genE8ELNS1_11target_archE1030ELNS1_3gpuE2ELNS1_3repE0EEENS1_36merge_oddeven_config_static_selectorELNS0_4arch9wavefront6targetE1EEEvSH_,"axG",@progbits,_ZN7rocprim17ROCPRIM_400000_NS6detail17trampoline_kernelINS0_14default_configENS1_38merge_sort_block_merge_config_selectorIilEEZZNS1_27merge_sort_block_merge_implIS3_PiN6thrust23THRUST_200600_302600_NS10device_ptrIlEEjNS1_19radix_merge_compareILb0ELb1EiNS0_19identity_decomposerEEEEE10hipError_tT0_T1_T2_jT3_P12ihipStream_tbPNSt15iterator_traitsISG_E10value_typeEPNSM_ISH_E10value_typeEPSI_NS1_7vsmem_tEENKUlT_SG_SH_SI_E_clIS7_S7_PlSB_EESF_SV_SG_SH_SI_EUlSV_E1_NS1_11comp_targetILNS1_3genE8ELNS1_11target_archE1030ELNS1_3gpuE2ELNS1_3repE0EEENS1_36merge_oddeven_config_static_selectorELNS0_4arch9wavefront6targetE1EEEvSH_,comdat
.Lfunc_end823:
	.size	_ZN7rocprim17ROCPRIM_400000_NS6detail17trampoline_kernelINS0_14default_configENS1_38merge_sort_block_merge_config_selectorIilEEZZNS1_27merge_sort_block_merge_implIS3_PiN6thrust23THRUST_200600_302600_NS10device_ptrIlEEjNS1_19radix_merge_compareILb0ELb1EiNS0_19identity_decomposerEEEEE10hipError_tT0_T1_T2_jT3_P12ihipStream_tbPNSt15iterator_traitsISG_E10value_typeEPNSM_ISH_E10value_typeEPSI_NS1_7vsmem_tEENKUlT_SG_SH_SI_E_clIS7_S7_PlSB_EESF_SV_SG_SH_SI_EUlSV_E1_NS1_11comp_targetILNS1_3genE8ELNS1_11target_archE1030ELNS1_3gpuE2ELNS1_3repE0EEENS1_36merge_oddeven_config_static_selectorELNS0_4arch9wavefront6targetE1EEEvSH_, .Lfunc_end823-_ZN7rocprim17ROCPRIM_400000_NS6detail17trampoline_kernelINS0_14default_configENS1_38merge_sort_block_merge_config_selectorIilEEZZNS1_27merge_sort_block_merge_implIS3_PiN6thrust23THRUST_200600_302600_NS10device_ptrIlEEjNS1_19radix_merge_compareILb0ELb1EiNS0_19identity_decomposerEEEEE10hipError_tT0_T1_T2_jT3_P12ihipStream_tbPNSt15iterator_traitsISG_E10value_typeEPNSM_ISH_E10value_typeEPSI_NS1_7vsmem_tEENKUlT_SG_SH_SI_E_clIS7_S7_PlSB_EESF_SV_SG_SH_SI_EUlSV_E1_NS1_11comp_targetILNS1_3genE8ELNS1_11target_archE1030ELNS1_3gpuE2ELNS1_3repE0EEENS1_36merge_oddeven_config_static_selectorELNS0_4arch9wavefront6targetE1EEEvSH_
                                        ; -- End function
	.set _ZN7rocprim17ROCPRIM_400000_NS6detail17trampoline_kernelINS0_14default_configENS1_38merge_sort_block_merge_config_selectorIilEEZZNS1_27merge_sort_block_merge_implIS3_PiN6thrust23THRUST_200600_302600_NS10device_ptrIlEEjNS1_19radix_merge_compareILb0ELb1EiNS0_19identity_decomposerEEEEE10hipError_tT0_T1_T2_jT3_P12ihipStream_tbPNSt15iterator_traitsISG_E10value_typeEPNSM_ISH_E10value_typeEPSI_NS1_7vsmem_tEENKUlT_SG_SH_SI_E_clIS7_S7_PlSB_EESF_SV_SG_SH_SI_EUlSV_E1_NS1_11comp_targetILNS1_3genE8ELNS1_11target_archE1030ELNS1_3gpuE2ELNS1_3repE0EEENS1_36merge_oddeven_config_static_selectorELNS0_4arch9wavefront6targetE1EEEvSH_.num_vgpr, 0
	.set _ZN7rocprim17ROCPRIM_400000_NS6detail17trampoline_kernelINS0_14default_configENS1_38merge_sort_block_merge_config_selectorIilEEZZNS1_27merge_sort_block_merge_implIS3_PiN6thrust23THRUST_200600_302600_NS10device_ptrIlEEjNS1_19radix_merge_compareILb0ELb1EiNS0_19identity_decomposerEEEEE10hipError_tT0_T1_T2_jT3_P12ihipStream_tbPNSt15iterator_traitsISG_E10value_typeEPNSM_ISH_E10value_typeEPSI_NS1_7vsmem_tEENKUlT_SG_SH_SI_E_clIS7_S7_PlSB_EESF_SV_SG_SH_SI_EUlSV_E1_NS1_11comp_targetILNS1_3genE8ELNS1_11target_archE1030ELNS1_3gpuE2ELNS1_3repE0EEENS1_36merge_oddeven_config_static_selectorELNS0_4arch9wavefront6targetE1EEEvSH_.num_agpr, 0
	.set _ZN7rocprim17ROCPRIM_400000_NS6detail17trampoline_kernelINS0_14default_configENS1_38merge_sort_block_merge_config_selectorIilEEZZNS1_27merge_sort_block_merge_implIS3_PiN6thrust23THRUST_200600_302600_NS10device_ptrIlEEjNS1_19radix_merge_compareILb0ELb1EiNS0_19identity_decomposerEEEEE10hipError_tT0_T1_T2_jT3_P12ihipStream_tbPNSt15iterator_traitsISG_E10value_typeEPNSM_ISH_E10value_typeEPSI_NS1_7vsmem_tEENKUlT_SG_SH_SI_E_clIS7_S7_PlSB_EESF_SV_SG_SH_SI_EUlSV_E1_NS1_11comp_targetILNS1_3genE8ELNS1_11target_archE1030ELNS1_3gpuE2ELNS1_3repE0EEENS1_36merge_oddeven_config_static_selectorELNS0_4arch9wavefront6targetE1EEEvSH_.numbered_sgpr, 0
	.set _ZN7rocprim17ROCPRIM_400000_NS6detail17trampoline_kernelINS0_14default_configENS1_38merge_sort_block_merge_config_selectorIilEEZZNS1_27merge_sort_block_merge_implIS3_PiN6thrust23THRUST_200600_302600_NS10device_ptrIlEEjNS1_19radix_merge_compareILb0ELb1EiNS0_19identity_decomposerEEEEE10hipError_tT0_T1_T2_jT3_P12ihipStream_tbPNSt15iterator_traitsISG_E10value_typeEPNSM_ISH_E10value_typeEPSI_NS1_7vsmem_tEENKUlT_SG_SH_SI_E_clIS7_S7_PlSB_EESF_SV_SG_SH_SI_EUlSV_E1_NS1_11comp_targetILNS1_3genE8ELNS1_11target_archE1030ELNS1_3gpuE2ELNS1_3repE0EEENS1_36merge_oddeven_config_static_selectorELNS0_4arch9wavefront6targetE1EEEvSH_.num_named_barrier, 0
	.set _ZN7rocprim17ROCPRIM_400000_NS6detail17trampoline_kernelINS0_14default_configENS1_38merge_sort_block_merge_config_selectorIilEEZZNS1_27merge_sort_block_merge_implIS3_PiN6thrust23THRUST_200600_302600_NS10device_ptrIlEEjNS1_19radix_merge_compareILb0ELb1EiNS0_19identity_decomposerEEEEE10hipError_tT0_T1_T2_jT3_P12ihipStream_tbPNSt15iterator_traitsISG_E10value_typeEPNSM_ISH_E10value_typeEPSI_NS1_7vsmem_tEENKUlT_SG_SH_SI_E_clIS7_S7_PlSB_EESF_SV_SG_SH_SI_EUlSV_E1_NS1_11comp_targetILNS1_3genE8ELNS1_11target_archE1030ELNS1_3gpuE2ELNS1_3repE0EEENS1_36merge_oddeven_config_static_selectorELNS0_4arch9wavefront6targetE1EEEvSH_.private_seg_size, 0
	.set _ZN7rocprim17ROCPRIM_400000_NS6detail17trampoline_kernelINS0_14default_configENS1_38merge_sort_block_merge_config_selectorIilEEZZNS1_27merge_sort_block_merge_implIS3_PiN6thrust23THRUST_200600_302600_NS10device_ptrIlEEjNS1_19radix_merge_compareILb0ELb1EiNS0_19identity_decomposerEEEEE10hipError_tT0_T1_T2_jT3_P12ihipStream_tbPNSt15iterator_traitsISG_E10value_typeEPNSM_ISH_E10value_typeEPSI_NS1_7vsmem_tEENKUlT_SG_SH_SI_E_clIS7_S7_PlSB_EESF_SV_SG_SH_SI_EUlSV_E1_NS1_11comp_targetILNS1_3genE8ELNS1_11target_archE1030ELNS1_3gpuE2ELNS1_3repE0EEENS1_36merge_oddeven_config_static_selectorELNS0_4arch9wavefront6targetE1EEEvSH_.uses_vcc, 0
	.set _ZN7rocprim17ROCPRIM_400000_NS6detail17trampoline_kernelINS0_14default_configENS1_38merge_sort_block_merge_config_selectorIilEEZZNS1_27merge_sort_block_merge_implIS3_PiN6thrust23THRUST_200600_302600_NS10device_ptrIlEEjNS1_19radix_merge_compareILb0ELb1EiNS0_19identity_decomposerEEEEE10hipError_tT0_T1_T2_jT3_P12ihipStream_tbPNSt15iterator_traitsISG_E10value_typeEPNSM_ISH_E10value_typeEPSI_NS1_7vsmem_tEENKUlT_SG_SH_SI_E_clIS7_S7_PlSB_EESF_SV_SG_SH_SI_EUlSV_E1_NS1_11comp_targetILNS1_3genE8ELNS1_11target_archE1030ELNS1_3gpuE2ELNS1_3repE0EEENS1_36merge_oddeven_config_static_selectorELNS0_4arch9wavefront6targetE1EEEvSH_.uses_flat_scratch, 0
	.set _ZN7rocprim17ROCPRIM_400000_NS6detail17trampoline_kernelINS0_14default_configENS1_38merge_sort_block_merge_config_selectorIilEEZZNS1_27merge_sort_block_merge_implIS3_PiN6thrust23THRUST_200600_302600_NS10device_ptrIlEEjNS1_19radix_merge_compareILb0ELb1EiNS0_19identity_decomposerEEEEE10hipError_tT0_T1_T2_jT3_P12ihipStream_tbPNSt15iterator_traitsISG_E10value_typeEPNSM_ISH_E10value_typeEPSI_NS1_7vsmem_tEENKUlT_SG_SH_SI_E_clIS7_S7_PlSB_EESF_SV_SG_SH_SI_EUlSV_E1_NS1_11comp_targetILNS1_3genE8ELNS1_11target_archE1030ELNS1_3gpuE2ELNS1_3repE0EEENS1_36merge_oddeven_config_static_selectorELNS0_4arch9wavefront6targetE1EEEvSH_.has_dyn_sized_stack, 0
	.set _ZN7rocprim17ROCPRIM_400000_NS6detail17trampoline_kernelINS0_14default_configENS1_38merge_sort_block_merge_config_selectorIilEEZZNS1_27merge_sort_block_merge_implIS3_PiN6thrust23THRUST_200600_302600_NS10device_ptrIlEEjNS1_19radix_merge_compareILb0ELb1EiNS0_19identity_decomposerEEEEE10hipError_tT0_T1_T2_jT3_P12ihipStream_tbPNSt15iterator_traitsISG_E10value_typeEPNSM_ISH_E10value_typeEPSI_NS1_7vsmem_tEENKUlT_SG_SH_SI_E_clIS7_S7_PlSB_EESF_SV_SG_SH_SI_EUlSV_E1_NS1_11comp_targetILNS1_3genE8ELNS1_11target_archE1030ELNS1_3gpuE2ELNS1_3repE0EEENS1_36merge_oddeven_config_static_selectorELNS0_4arch9wavefront6targetE1EEEvSH_.has_recursion, 0
	.set _ZN7rocprim17ROCPRIM_400000_NS6detail17trampoline_kernelINS0_14default_configENS1_38merge_sort_block_merge_config_selectorIilEEZZNS1_27merge_sort_block_merge_implIS3_PiN6thrust23THRUST_200600_302600_NS10device_ptrIlEEjNS1_19radix_merge_compareILb0ELb1EiNS0_19identity_decomposerEEEEE10hipError_tT0_T1_T2_jT3_P12ihipStream_tbPNSt15iterator_traitsISG_E10value_typeEPNSM_ISH_E10value_typeEPSI_NS1_7vsmem_tEENKUlT_SG_SH_SI_E_clIS7_S7_PlSB_EESF_SV_SG_SH_SI_EUlSV_E1_NS1_11comp_targetILNS1_3genE8ELNS1_11target_archE1030ELNS1_3gpuE2ELNS1_3repE0EEENS1_36merge_oddeven_config_static_selectorELNS0_4arch9wavefront6targetE1EEEvSH_.has_indirect_call, 0
	.section	.AMDGPU.csdata,"",@progbits
; Kernel info:
; codeLenInByte = 0
; TotalNumSgprs: 4
; NumVgprs: 0
; ScratchSize: 0
; MemoryBound: 0
; FloatMode: 240
; IeeeMode: 1
; LDSByteSize: 0 bytes/workgroup (compile time only)
; SGPRBlocks: 0
; VGPRBlocks: 0
; NumSGPRsForWavesPerEU: 4
; NumVGPRsForWavesPerEU: 1
; Occupancy: 10
; WaveLimiterHint : 0
; COMPUTE_PGM_RSRC2:SCRATCH_EN: 0
; COMPUTE_PGM_RSRC2:USER_SGPR: 6
; COMPUTE_PGM_RSRC2:TRAP_HANDLER: 0
; COMPUTE_PGM_RSRC2:TGID_X_EN: 1
; COMPUTE_PGM_RSRC2:TGID_Y_EN: 0
; COMPUTE_PGM_RSRC2:TGID_Z_EN: 0
; COMPUTE_PGM_RSRC2:TIDIG_COMP_CNT: 0
	.section	.text._ZN7rocprim17ROCPRIM_400000_NS6detail17trampoline_kernelINS0_14default_configENS1_38merge_sort_block_merge_config_selectorIilEEZZNS1_27merge_sort_block_merge_implIS3_PiN6thrust23THRUST_200600_302600_NS10device_ptrIlEEjNS1_19radix_merge_compareILb0ELb1EiNS0_19identity_decomposerEEEEE10hipError_tT0_T1_T2_jT3_P12ihipStream_tbPNSt15iterator_traitsISG_E10value_typeEPNSM_ISH_E10value_typeEPSI_NS1_7vsmem_tEENKUlT_SG_SH_SI_E_clIS7_S7_SB_PlEESF_SV_SG_SH_SI_EUlSV_E_NS1_11comp_targetILNS1_3genE0ELNS1_11target_archE4294967295ELNS1_3gpuE0ELNS1_3repE0EEENS1_48merge_mergepath_partition_config_static_selectorELNS0_4arch9wavefront6targetE1EEEvSH_,"axG",@progbits,_ZN7rocprim17ROCPRIM_400000_NS6detail17trampoline_kernelINS0_14default_configENS1_38merge_sort_block_merge_config_selectorIilEEZZNS1_27merge_sort_block_merge_implIS3_PiN6thrust23THRUST_200600_302600_NS10device_ptrIlEEjNS1_19radix_merge_compareILb0ELb1EiNS0_19identity_decomposerEEEEE10hipError_tT0_T1_T2_jT3_P12ihipStream_tbPNSt15iterator_traitsISG_E10value_typeEPNSM_ISH_E10value_typeEPSI_NS1_7vsmem_tEENKUlT_SG_SH_SI_E_clIS7_S7_SB_PlEESF_SV_SG_SH_SI_EUlSV_E_NS1_11comp_targetILNS1_3genE0ELNS1_11target_archE4294967295ELNS1_3gpuE0ELNS1_3repE0EEENS1_48merge_mergepath_partition_config_static_selectorELNS0_4arch9wavefront6targetE1EEEvSH_,comdat
	.protected	_ZN7rocprim17ROCPRIM_400000_NS6detail17trampoline_kernelINS0_14default_configENS1_38merge_sort_block_merge_config_selectorIilEEZZNS1_27merge_sort_block_merge_implIS3_PiN6thrust23THRUST_200600_302600_NS10device_ptrIlEEjNS1_19radix_merge_compareILb0ELb1EiNS0_19identity_decomposerEEEEE10hipError_tT0_T1_T2_jT3_P12ihipStream_tbPNSt15iterator_traitsISG_E10value_typeEPNSM_ISH_E10value_typeEPSI_NS1_7vsmem_tEENKUlT_SG_SH_SI_E_clIS7_S7_SB_PlEESF_SV_SG_SH_SI_EUlSV_E_NS1_11comp_targetILNS1_3genE0ELNS1_11target_archE4294967295ELNS1_3gpuE0ELNS1_3repE0EEENS1_48merge_mergepath_partition_config_static_selectorELNS0_4arch9wavefront6targetE1EEEvSH_ ; -- Begin function _ZN7rocprim17ROCPRIM_400000_NS6detail17trampoline_kernelINS0_14default_configENS1_38merge_sort_block_merge_config_selectorIilEEZZNS1_27merge_sort_block_merge_implIS3_PiN6thrust23THRUST_200600_302600_NS10device_ptrIlEEjNS1_19radix_merge_compareILb0ELb1EiNS0_19identity_decomposerEEEEE10hipError_tT0_T1_T2_jT3_P12ihipStream_tbPNSt15iterator_traitsISG_E10value_typeEPNSM_ISH_E10value_typeEPSI_NS1_7vsmem_tEENKUlT_SG_SH_SI_E_clIS7_S7_SB_PlEESF_SV_SG_SH_SI_EUlSV_E_NS1_11comp_targetILNS1_3genE0ELNS1_11target_archE4294967295ELNS1_3gpuE0ELNS1_3repE0EEENS1_48merge_mergepath_partition_config_static_selectorELNS0_4arch9wavefront6targetE1EEEvSH_
	.globl	_ZN7rocprim17ROCPRIM_400000_NS6detail17trampoline_kernelINS0_14default_configENS1_38merge_sort_block_merge_config_selectorIilEEZZNS1_27merge_sort_block_merge_implIS3_PiN6thrust23THRUST_200600_302600_NS10device_ptrIlEEjNS1_19radix_merge_compareILb0ELb1EiNS0_19identity_decomposerEEEEE10hipError_tT0_T1_T2_jT3_P12ihipStream_tbPNSt15iterator_traitsISG_E10value_typeEPNSM_ISH_E10value_typeEPSI_NS1_7vsmem_tEENKUlT_SG_SH_SI_E_clIS7_S7_SB_PlEESF_SV_SG_SH_SI_EUlSV_E_NS1_11comp_targetILNS1_3genE0ELNS1_11target_archE4294967295ELNS1_3gpuE0ELNS1_3repE0EEENS1_48merge_mergepath_partition_config_static_selectorELNS0_4arch9wavefront6targetE1EEEvSH_
	.p2align	8
	.type	_ZN7rocprim17ROCPRIM_400000_NS6detail17trampoline_kernelINS0_14default_configENS1_38merge_sort_block_merge_config_selectorIilEEZZNS1_27merge_sort_block_merge_implIS3_PiN6thrust23THRUST_200600_302600_NS10device_ptrIlEEjNS1_19radix_merge_compareILb0ELb1EiNS0_19identity_decomposerEEEEE10hipError_tT0_T1_T2_jT3_P12ihipStream_tbPNSt15iterator_traitsISG_E10value_typeEPNSM_ISH_E10value_typeEPSI_NS1_7vsmem_tEENKUlT_SG_SH_SI_E_clIS7_S7_SB_PlEESF_SV_SG_SH_SI_EUlSV_E_NS1_11comp_targetILNS1_3genE0ELNS1_11target_archE4294967295ELNS1_3gpuE0ELNS1_3repE0EEENS1_48merge_mergepath_partition_config_static_selectorELNS0_4arch9wavefront6targetE1EEEvSH_,@function
_ZN7rocprim17ROCPRIM_400000_NS6detail17trampoline_kernelINS0_14default_configENS1_38merge_sort_block_merge_config_selectorIilEEZZNS1_27merge_sort_block_merge_implIS3_PiN6thrust23THRUST_200600_302600_NS10device_ptrIlEEjNS1_19radix_merge_compareILb0ELb1EiNS0_19identity_decomposerEEEEE10hipError_tT0_T1_T2_jT3_P12ihipStream_tbPNSt15iterator_traitsISG_E10value_typeEPNSM_ISH_E10value_typeEPSI_NS1_7vsmem_tEENKUlT_SG_SH_SI_E_clIS7_S7_SB_PlEESF_SV_SG_SH_SI_EUlSV_E_NS1_11comp_targetILNS1_3genE0ELNS1_11target_archE4294967295ELNS1_3gpuE0ELNS1_3repE0EEENS1_48merge_mergepath_partition_config_static_selectorELNS0_4arch9wavefront6targetE1EEEvSH_: ; @_ZN7rocprim17ROCPRIM_400000_NS6detail17trampoline_kernelINS0_14default_configENS1_38merge_sort_block_merge_config_selectorIilEEZZNS1_27merge_sort_block_merge_implIS3_PiN6thrust23THRUST_200600_302600_NS10device_ptrIlEEjNS1_19radix_merge_compareILb0ELb1EiNS0_19identity_decomposerEEEEE10hipError_tT0_T1_T2_jT3_P12ihipStream_tbPNSt15iterator_traitsISG_E10value_typeEPNSM_ISH_E10value_typeEPSI_NS1_7vsmem_tEENKUlT_SG_SH_SI_E_clIS7_S7_SB_PlEESF_SV_SG_SH_SI_EUlSV_E_NS1_11comp_targetILNS1_3genE0ELNS1_11target_archE4294967295ELNS1_3gpuE0ELNS1_3repE0EEENS1_48merge_mergepath_partition_config_static_selectorELNS0_4arch9wavefront6targetE1EEEvSH_
; %bb.0:
	.section	.rodata,"a",@progbits
	.p2align	6, 0x0
	.amdhsa_kernel _ZN7rocprim17ROCPRIM_400000_NS6detail17trampoline_kernelINS0_14default_configENS1_38merge_sort_block_merge_config_selectorIilEEZZNS1_27merge_sort_block_merge_implIS3_PiN6thrust23THRUST_200600_302600_NS10device_ptrIlEEjNS1_19radix_merge_compareILb0ELb1EiNS0_19identity_decomposerEEEEE10hipError_tT0_T1_T2_jT3_P12ihipStream_tbPNSt15iterator_traitsISG_E10value_typeEPNSM_ISH_E10value_typeEPSI_NS1_7vsmem_tEENKUlT_SG_SH_SI_E_clIS7_S7_SB_PlEESF_SV_SG_SH_SI_EUlSV_E_NS1_11comp_targetILNS1_3genE0ELNS1_11target_archE4294967295ELNS1_3gpuE0ELNS1_3repE0EEENS1_48merge_mergepath_partition_config_static_selectorELNS0_4arch9wavefront6targetE1EEEvSH_
		.amdhsa_group_segment_fixed_size 0
		.amdhsa_private_segment_fixed_size 0
		.amdhsa_kernarg_size 40
		.amdhsa_user_sgpr_count 6
		.amdhsa_user_sgpr_private_segment_buffer 1
		.amdhsa_user_sgpr_dispatch_ptr 0
		.amdhsa_user_sgpr_queue_ptr 0
		.amdhsa_user_sgpr_kernarg_segment_ptr 1
		.amdhsa_user_sgpr_dispatch_id 0
		.amdhsa_user_sgpr_flat_scratch_init 0
		.amdhsa_user_sgpr_private_segment_size 0
		.amdhsa_uses_dynamic_stack 0
		.amdhsa_system_sgpr_private_segment_wavefront_offset 0
		.amdhsa_system_sgpr_workgroup_id_x 1
		.amdhsa_system_sgpr_workgroup_id_y 0
		.amdhsa_system_sgpr_workgroup_id_z 0
		.amdhsa_system_sgpr_workgroup_info 0
		.amdhsa_system_vgpr_workitem_id 0
		.amdhsa_next_free_vgpr 1
		.amdhsa_next_free_sgpr 0
		.amdhsa_reserve_vcc 0
		.amdhsa_reserve_flat_scratch 0
		.amdhsa_float_round_mode_32 0
		.amdhsa_float_round_mode_16_64 0
		.amdhsa_float_denorm_mode_32 3
		.amdhsa_float_denorm_mode_16_64 3
		.amdhsa_dx10_clamp 1
		.amdhsa_ieee_mode 1
		.amdhsa_fp16_overflow 0
		.amdhsa_exception_fp_ieee_invalid_op 0
		.amdhsa_exception_fp_denorm_src 0
		.amdhsa_exception_fp_ieee_div_zero 0
		.amdhsa_exception_fp_ieee_overflow 0
		.amdhsa_exception_fp_ieee_underflow 0
		.amdhsa_exception_fp_ieee_inexact 0
		.amdhsa_exception_int_div_zero 0
	.end_amdhsa_kernel
	.section	.text._ZN7rocprim17ROCPRIM_400000_NS6detail17trampoline_kernelINS0_14default_configENS1_38merge_sort_block_merge_config_selectorIilEEZZNS1_27merge_sort_block_merge_implIS3_PiN6thrust23THRUST_200600_302600_NS10device_ptrIlEEjNS1_19radix_merge_compareILb0ELb1EiNS0_19identity_decomposerEEEEE10hipError_tT0_T1_T2_jT3_P12ihipStream_tbPNSt15iterator_traitsISG_E10value_typeEPNSM_ISH_E10value_typeEPSI_NS1_7vsmem_tEENKUlT_SG_SH_SI_E_clIS7_S7_SB_PlEESF_SV_SG_SH_SI_EUlSV_E_NS1_11comp_targetILNS1_3genE0ELNS1_11target_archE4294967295ELNS1_3gpuE0ELNS1_3repE0EEENS1_48merge_mergepath_partition_config_static_selectorELNS0_4arch9wavefront6targetE1EEEvSH_,"axG",@progbits,_ZN7rocprim17ROCPRIM_400000_NS6detail17trampoline_kernelINS0_14default_configENS1_38merge_sort_block_merge_config_selectorIilEEZZNS1_27merge_sort_block_merge_implIS3_PiN6thrust23THRUST_200600_302600_NS10device_ptrIlEEjNS1_19radix_merge_compareILb0ELb1EiNS0_19identity_decomposerEEEEE10hipError_tT0_T1_T2_jT3_P12ihipStream_tbPNSt15iterator_traitsISG_E10value_typeEPNSM_ISH_E10value_typeEPSI_NS1_7vsmem_tEENKUlT_SG_SH_SI_E_clIS7_S7_SB_PlEESF_SV_SG_SH_SI_EUlSV_E_NS1_11comp_targetILNS1_3genE0ELNS1_11target_archE4294967295ELNS1_3gpuE0ELNS1_3repE0EEENS1_48merge_mergepath_partition_config_static_selectorELNS0_4arch9wavefront6targetE1EEEvSH_,comdat
.Lfunc_end824:
	.size	_ZN7rocprim17ROCPRIM_400000_NS6detail17trampoline_kernelINS0_14default_configENS1_38merge_sort_block_merge_config_selectorIilEEZZNS1_27merge_sort_block_merge_implIS3_PiN6thrust23THRUST_200600_302600_NS10device_ptrIlEEjNS1_19radix_merge_compareILb0ELb1EiNS0_19identity_decomposerEEEEE10hipError_tT0_T1_T2_jT3_P12ihipStream_tbPNSt15iterator_traitsISG_E10value_typeEPNSM_ISH_E10value_typeEPSI_NS1_7vsmem_tEENKUlT_SG_SH_SI_E_clIS7_S7_SB_PlEESF_SV_SG_SH_SI_EUlSV_E_NS1_11comp_targetILNS1_3genE0ELNS1_11target_archE4294967295ELNS1_3gpuE0ELNS1_3repE0EEENS1_48merge_mergepath_partition_config_static_selectorELNS0_4arch9wavefront6targetE1EEEvSH_, .Lfunc_end824-_ZN7rocprim17ROCPRIM_400000_NS6detail17trampoline_kernelINS0_14default_configENS1_38merge_sort_block_merge_config_selectorIilEEZZNS1_27merge_sort_block_merge_implIS3_PiN6thrust23THRUST_200600_302600_NS10device_ptrIlEEjNS1_19radix_merge_compareILb0ELb1EiNS0_19identity_decomposerEEEEE10hipError_tT0_T1_T2_jT3_P12ihipStream_tbPNSt15iterator_traitsISG_E10value_typeEPNSM_ISH_E10value_typeEPSI_NS1_7vsmem_tEENKUlT_SG_SH_SI_E_clIS7_S7_SB_PlEESF_SV_SG_SH_SI_EUlSV_E_NS1_11comp_targetILNS1_3genE0ELNS1_11target_archE4294967295ELNS1_3gpuE0ELNS1_3repE0EEENS1_48merge_mergepath_partition_config_static_selectorELNS0_4arch9wavefront6targetE1EEEvSH_
                                        ; -- End function
	.set _ZN7rocprim17ROCPRIM_400000_NS6detail17trampoline_kernelINS0_14default_configENS1_38merge_sort_block_merge_config_selectorIilEEZZNS1_27merge_sort_block_merge_implIS3_PiN6thrust23THRUST_200600_302600_NS10device_ptrIlEEjNS1_19radix_merge_compareILb0ELb1EiNS0_19identity_decomposerEEEEE10hipError_tT0_T1_T2_jT3_P12ihipStream_tbPNSt15iterator_traitsISG_E10value_typeEPNSM_ISH_E10value_typeEPSI_NS1_7vsmem_tEENKUlT_SG_SH_SI_E_clIS7_S7_SB_PlEESF_SV_SG_SH_SI_EUlSV_E_NS1_11comp_targetILNS1_3genE0ELNS1_11target_archE4294967295ELNS1_3gpuE0ELNS1_3repE0EEENS1_48merge_mergepath_partition_config_static_selectorELNS0_4arch9wavefront6targetE1EEEvSH_.num_vgpr, 0
	.set _ZN7rocprim17ROCPRIM_400000_NS6detail17trampoline_kernelINS0_14default_configENS1_38merge_sort_block_merge_config_selectorIilEEZZNS1_27merge_sort_block_merge_implIS3_PiN6thrust23THRUST_200600_302600_NS10device_ptrIlEEjNS1_19radix_merge_compareILb0ELb1EiNS0_19identity_decomposerEEEEE10hipError_tT0_T1_T2_jT3_P12ihipStream_tbPNSt15iterator_traitsISG_E10value_typeEPNSM_ISH_E10value_typeEPSI_NS1_7vsmem_tEENKUlT_SG_SH_SI_E_clIS7_S7_SB_PlEESF_SV_SG_SH_SI_EUlSV_E_NS1_11comp_targetILNS1_3genE0ELNS1_11target_archE4294967295ELNS1_3gpuE0ELNS1_3repE0EEENS1_48merge_mergepath_partition_config_static_selectorELNS0_4arch9wavefront6targetE1EEEvSH_.num_agpr, 0
	.set _ZN7rocprim17ROCPRIM_400000_NS6detail17trampoline_kernelINS0_14default_configENS1_38merge_sort_block_merge_config_selectorIilEEZZNS1_27merge_sort_block_merge_implIS3_PiN6thrust23THRUST_200600_302600_NS10device_ptrIlEEjNS1_19radix_merge_compareILb0ELb1EiNS0_19identity_decomposerEEEEE10hipError_tT0_T1_T2_jT3_P12ihipStream_tbPNSt15iterator_traitsISG_E10value_typeEPNSM_ISH_E10value_typeEPSI_NS1_7vsmem_tEENKUlT_SG_SH_SI_E_clIS7_S7_SB_PlEESF_SV_SG_SH_SI_EUlSV_E_NS1_11comp_targetILNS1_3genE0ELNS1_11target_archE4294967295ELNS1_3gpuE0ELNS1_3repE0EEENS1_48merge_mergepath_partition_config_static_selectorELNS0_4arch9wavefront6targetE1EEEvSH_.numbered_sgpr, 0
	.set _ZN7rocprim17ROCPRIM_400000_NS6detail17trampoline_kernelINS0_14default_configENS1_38merge_sort_block_merge_config_selectorIilEEZZNS1_27merge_sort_block_merge_implIS3_PiN6thrust23THRUST_200600_302600_NS10device_ptrIlEEjNS1_19radix_merge_compareILb0ELb1EiNS0_19identity_decomposerEEEEE10hipError_tT0_T1_T2_jT3_P12ihipStream_tbPNSt15iterator_traitsISG_E10value_typeEPNSM_ISH_E10value_typeEPSI_NS1_7vsmem_tEENKUlT_SG_SH_SI_E_clIS7_S7_SB_PlEESF_SV_SG_SH_SI_EUlSV_E_NS1_11comp_targetILNS1_3genE0ELNS1_11target_archE4294967295ELNS1_3gpuE0ELNS1_3repE0EEENS1_48merge_mergepath_partition_config_static_selectorELNS0_4arch9wavefront6targetE1EEEvSH_.num_named_barrier, 0
	.set _ZN7rocprim17ROCPRIM_400000_NS6detail17trampoline_kernelINS0_14default_configENS1_38merge_sort_block_merge_config_selectorIilEEZZNS1_27merge_sort_block_merge_implIS3_PiN6thrust23THRUST_200600_302600_NS10device_ptrIlEEjNS1_19radix_merge_compareILb0ELb1EiNS0_19identity_decomposerEEEEE10hipError_tT0_T1_T2_jT3_P12ihipStream_tbPNSt15iterator_traitsISG_E10value_typeEPNSM_ISH_E10value_typeEPSI_NS1_7vsmem_tEENKUlT_SG_SH_SI_E_clIS7_S7_SB_PlEESF_SV_SG_SH_SI_EUlSV_E_NS1_11comp_targetILNS1_3genE0ELNS1_11target_archE4294967295ELNS1_3gpuE0ELNS1_3repE0EEENS1_48merge_mergepath_partition_config_static_selectorELNS0_4arch9wavefront6targetE1EEEvSH_.private_seg_size, 0
	.set _ZN7rocprim17ROCPRIM_400000_NS6detail17trampoline_kernelINS0_14default_configENS1_38merge_sort_block_merge_config_selectorIilEEZZNS1_27merge_sort_block_merge_implIS3_PiN6thrust23THRUST_200600_302600_NS10device_ptrIlEEjNS1_19radix_merge_compareILb0ELb1EiNS0_19identity_decomposerEEEEE10hipError_tT0_T1_T2_jT3_P12ihipStream_tbPNSt15iterator_traitsISG_E10value_typeEPNSM_ISH_E10value_typeEPSI_NS1_7vsmem_tEENKUlT_SG_SH_SI_E_clIS7_S7_SB_PlEESF_SV_SG_SH_SI_EUlSV_E_NS1_11comp_targetILNS1_3genE0ELNS1_11target_archE4294967295ELNS1_3gpuE0ELNS1_3repE0EEENS1_48merge_mergepath_partition_config_static_selectorELNS0_4arch9wavefront6targetE1EEEvSH_.uses_vcc, 0
	.set _ZN7rocprim17ROCPRIM_400000_NS6detail17trampoline_kernelINS0_14default_configENS1_38merge_sort_block_merge_config_selectorIilEEZZNS1_27merge_sort_block_merge_implIS3_PiN6thrust23THRUST_200600_302600_NS10device_ptrIlEEjNS1_19radix_merge_compareILb0ELb1EiNS0_19identity_decomposerEEEEE10hipError_tT0_T1_T2_jT3_P12ihipStream_tbPNSt15iterator_traitsISG_E10value_typeEPNSM_ISH_E10value_typeEPSI_NS1_7vsmem_tEENKUlT_SG_SH_SI_E_clIS7_S7_SB_PlEESF_SV_SG_SH_SI_EUlSV_E_NS1_11comp_targetILNS1_3genE0ELNS1_11target_archE4294967295ELNS1_3gpuE0ELNS1_3repE0EEENS1_48merge_mergepath_partition_config_static_selectorELNS0_4arch9wavefront6targetE1EEEvSH_.uses_flat_scratch, 0
	.set _ZN7rocprim17ROCPRIM_400000_NS6detail17trampoline_kernelINS0_14default_configENS1_38merge_sort_block_merge_config_selectorIilEEZZNS1_27merge_sort_block_merge_implIS3_PiN6thrust23THRUST_200600_302600_NS10device_ptrIlEEjNS1_19radix_merge_compareILb0ELb1EiNS0_19identity_decomposerEEEEE10hipError_tT0_T1_T2_jT3_P12ihipStream_tbPNSt15iterator_traitsISG_E10value_typeEPNSM_ISH_E10value_typeEPSI_NS1_7vsmem_tEENKUlT_SG_SH_SI_E_clIS7_S7_SB_PlEESF_SV_SG_SH_SI_EUlSV_E_NS1_11comp_targetILNS1_3genE0ELNS1_11target_archE4294967295ELNS1_3gpuE0ELNS1_3repE0EEENS1_48merge_mergepath_partition_config_static_selectorELNS0_4arch9wavefront6targetE1EEEvSH_.has_dyn_sized_stack, 0
	.set _ZN7rocprim17ROCPRIM_400000_NS6detail17trampoline_kernelINS0_14default_configENS1_38merge_sort_block_merge_config_selectorIilEEZZNS1_27merge_sort_block_merge_implIS3_PiN6thrust23THRUST_200600_302600_NS10device_ptrIlEEjNS1_19radix_merge_compareILb0ELb1EiNS0_19identity_decomposerEEEEE10hipError_tT0_T1_T2_jT3_P12ihipStream_tbPNSt15iterator_traitsISG_E10value_typeEPNSM_ISH_E10value_typeEPSI_NS1_7vsmem_tEENKUlT_SG_SH_SI_E_clIS7_S7_SB_PlEESF_SV_SG_SH_SI_EUlSV_E_NS1_11comp_targetILNS1_3genE0ELNS1_11target_archE4294967295ELNS1_3gpuE0ELNS1_3repE0EEENS1_48merge_mergepath_partition_config_static_selectorELNS0_4arch9wavefront6targetE1EEEvSH_.has_recursion, 0
	.set _ZN7rocprim17ROCPRIM_400000_NS6detail17trampoline_kernelINS0_14default_configENS1_38merge_sort_block_merge_config_selectorIilEEZZNS1_27merge_sort_block_merge_implIS3_PiN6thrust23THRUST_200600_302600_NS10device_ptrIlEEjNS1_19radix_merge_compareILb0ELb1EiNS0_19identity_decomposerEEEEE10hipError_tT0_T1_T2_jT3_P12ihipStream_tbPNSt15iterator_traitsISG_E10value_typeEPNSM_ISH_E10value_typeEPSI_NS1_7vsmem_tEENKUlT_SG_SH_SI_E_clIS7_S7_SB_PlEESF_SV_SG_SH_SI_EUlSV_E_NS1_11comp_targetILNS1_3genE0ELNS1_11target_archE4294967295ELNS1_3gpuE0ELNS1_3repE0EEENS1_48merge_mergepath_partition_config_static_selectorELNS0_4arch9wavefront6targetE1EEEvSH_.has_indirect_call, 0
	.section	.AMDGPU.csdata,"",@progbits
; Kernel info:
; codeLenInByte = 0
; TotalNumSgprs: 4
; NumVgprs: 0
; ScratchSize: 0
; MemoryBound: 0
; FloatMode: 240
; IeeeMode: 1
; LDSByteSize: 0 bytes/workgroup (compile time only)
; SGPRBlocks: 0
; VGPRBlocks: 0
; NumSGPRsForWavesPerEU: 4
; NumVGPRsForWavesPerEU: 1
; Occupancy: 10
; WaveLimiterHint : 0
; COMPUTE_PGM_RSRC2:SCRATCH_EN: 0
; COMPUTE_PGM_RSRC2:USER_SGPR: 6
; COMPUTE_PGM_RSRC2:TRAP_HANDLER: 0
; COMPUTE_PGM_RSRC2:TGID_X_EN: 1
; COMPUTE_PGM_RSRC2:TGID_Y_EN: 0
; COMPUTE_PGM_RSRC2:TGID_Z_EN: 0
; COMPUTE_PGM_RSRC2:TIDIG_COMP_CNT: 0
	.section	.text._ZN7rocprim17ROCPRIM_400000_NS6detail17trampoline_kernelINS0_14default_configENS1_38merge_sort_block_merge_config_selectorIilEEZZNS1_27merge_sort_block_merge_implIS3_PiN6thrust23THRUST_200600_302600_NS10device_ptrIlEEjNS1_19radix_merge_compareILb0ELb1EiNS0_19identity_decomposerEEEEE10hipError_tT0_T1_T2_jT3_P12ihipStream_tbPNSt15iterator_traitsISG_E10value_typeEPNSM_ISH_E10value_typeEPSI_NS1_7vsmem_tEENKUlT_SG_SH_SI_E_clIS7_S7_SB_PlEESF_SV_SG_SH_SI_EUlSV_E_NS1_11comp_targetILNS1_3genE10ELNS1_11target_archE1201ELNS1_3gpuE5ELNS1_3repE0EEENS1_48merge_mergepath_partition_config_static_selectorELNS0_4arch9wavefront6targetE1EEEvSH_,"axG",@progbits,_ZN7rocprim17ROCPRIM_400000_NS6detail17trampoline_kernelINS0_14default_configENS1_38merge_sort_block_merge_config_selectorIilEEZZNS1_27merge_sort_block_merge_implIS3_PiN6thrust23THRUST_200600_302600_NS10device_ptrIlEEjNS1_19radix_merge_compareILb0ELb1EiNS0_19identity_decomposerEEEEE10hipError_tT0_T1_T2_jT3_P12ihipStream_tbPNSt15iterator_traitsISG_E10value_typeEPNSM_ISH_E10value_typeEPSI_NS1_7vsmem_tEENKUlT_SG_SH_SI_E_clIS7_S7_SB_PlEESF_SV_SG_SH_SI_EUlSV_E_NS1_11comp_targetILNS1_3genE10ELNS1_11target_archE1201ELNS1_3gpuE5ELNS1_3repE0EEENS1_48merge_mergepath_partition_config_static_selectorELNS0_4arch9wavefront6targetE1EEEvSH_,comdat
	.protected	_ZN7rocprim17ROCPRIM_400000_NS6detail17trampoline_kernelINS0_14default_configENS1_38merge_sort_block_merge_config_selectorIilEEZZNS1_27merge_sort_block_merge_implIS3_PiN6thrust23THRUST_200600_302600_NS10device_ptrIlEEjNS1_19radix_merge_compareILb0ELb1EiNS0_19identity_decomposerEEEEE10hipError_tT0_T1_T2_jT3_P12ihipStream_tbPNSt15iterator_traitsISG_E10value_typeEPNSM_ISH_E10value_typeEPSI_NS1_7vsmem_tEENKUlT_SG_SH_SI_E_clIS7_S7_SB_PlEESF_SV_SG_SH_SI_EUlSV_E_NS1_11comp_targetILNS1_3genE10ELNS1_11target_archE1201ELNS1_3gpuE5ELNS1_3repE0EEENS1_48merge_mergepath_partition_config_static_selectorELNS0_4arch9wavefront6targetE1EEEvSH_ ; -- Begin function _ZN7rocprim17ROCPRIM_400000_NS6detail17trampoline_kernelINS0_14default_configENS1_38merge_sort_block_merge_config_selectorIilEEZZNS1_27merge_sort_block_merge_implIS3_PiN6thrust23THRUST_200600_302600_NS10device_ptrIlEEjNS1_19radix_merge_compareILb0ELb1EiNS0_19identity_decomposerEEEEE10hipError_tT0_T1_T2_jT3_P12ihipStream_tbPNSt15iterator_traitsISG_E10value_typeEPNSM_ISH_E10value_typeEPSI_NS1_7vsmem_tEENKUlT_SG_SH_SI_E_clIS7_S7_SB_PlEESF_SV_SG_SH_SI_EUlSV_E_NS1_11comp_targetILNS1_3genE10ELNS1_11target_archE1201ELNS1_3gpuE5ELNS1_3repE0EEENS1_48merge_mergepath_partition_config_static_selectorELNS0_4arch9wavefront6targetE1EEEvSH_
	.globl	_ZN7rocprim17ROCPRIM_400000_NS6detail17trampoline_kernelINS0_14default_configENS1_38merge_sort_block_merge_config_selectorIilEEZZNS1_27merge_sort_block_merge_implIS3_PiN6thrust23THRUST_200600_302600_NS10device_ptrIlEEjNS1_19radix_merge_compareILb0ELb1EiNS0_19identity_decomposerEEEEE10hipError_tT0_T1_T2_jT3_P12ihipStream_tbPNSt15iterator_traitsISG_E10value_typeEPNSM_ISH_E10value_typeEPSI_NS1_7vsmem_tEENKUlT_SG_SH_SI_E_clIS7_S7_SB_PlEESF_SV_SG_SH_SI_EUlSV_E_NS1_11comp_targetILNS1_3genE10ELNS1_11target_archE1201ELNS1_3gpuE5ELNS1_3repE0EEENS1_48merge_mergepath_partition_config_static_selectorELNS0_4arch9wavefront6targetE1EEEvSH_
	.p2align	8
	.type	_ZN7rocprim17ROCPRIM_400000_NS6detail17trampoline_kernelINS0_14default_configENS1_38merge_sort_block_merge_config_selectorIilEEZZNS1_27merge_sort_block_merge_implIS3_PiN6thrust23THRUST_200600_302600_NS10device_ptrIlEEjNS1_19radix_merge_compareILb0ELb1EiNS0_19identity_decomposerEEEEE10hipError_tT0_T1_T2_jT3_P12ihipStream_tbPNSt15iterator_traitsISG_E10value_typeEPNSM_ISH_E10value_typeEPSI_NS1_7vsmem_tEENKUlT_SG_SH_SI_E_clIS7_S7_SB_PlEESF_SV_SG_SH_SI_EUlSV_E_NS1_11comp_targetILNS1_3genE10ELNS1_11target_archE1201ELNS1_3gpuE5ELNS1_3repE0EEENS1_48merge_mergepath_partition_config_static_selectorELNS0_4arch9wavefront6targetE1EEEvSH_,@function
_ZN7rocprim17ROCPRIM_400000_NS6detail17trampoline_kernelINS0_14default_configENS1_38merge_sort_block_merge_config_selectorIilEEZZNS1_27merge_sort_block_merge_implIS3_PiN6thrust23THRUST_200600_302600_NS10device_ptrIlEEjNS1_19radix_merge_compareILb0ELb1EiNS0_19identity_decomposerEEEEE10hipError_tT0_T1_T2_jT3_P12ihipStream_tbPNSt15iterator_traitsISG_E10value_typeEPNSM_ISH_E10value_typeEPSI_NS1_7vsmem_tEENKUlT_SG_SH_SI_E_clIS7_S7_SB_PlEESF_SV_SG_SH_SI_EUlSV_E_NS1_11comp_targetILNS1_3genE10ELNS1_11target_archE1201ELNS1_3gpuE5ELNS1_3repE0EEENS1_48merge_mergepath_partition_config_static_selectorELNS0_4arch9wavefront6targetE1EEEvSH_: ; @_ZN7rocprim17ROCPRIM_400000_NS6detail17trampoline_kernelINS0_14default_configENS1_38merge_sort_block_merge_config_selectorIilEEZZNS1_27merge_sort_block_merge_implIS3_PiN6thrust23THRUST_200600_302600_NS10device_ptrIlEEjNS1_19radix_merge_compareILb0ELb1EiNS0_19identity_decomposerEEEEE10hipError_tT0_T1_T2_jT3_P12ihipStream_tbPNSt15iterator_traitsISG_E10value_typeEPNSM_ISH_E10value_typeEPSI_NS1_7vsmem_tEENKUlT_SG_SH_SI_E_clIS7_S7_SB_PlEESF_SV_SG_SH_SI_EUlSV_E_NS1_11comp_targetILNS1_3genE10ELNS1_11target_archE1201ELNS1_3gpuE5ELNS1_3repE0EEENS1_48merge_mergepath_partition_config_static_selectorELNS0_4arch9wavefront6targetE1EEEvSH_
; %bb.0:
	.section	.rodata,"a",@progbits
	.p2align	6, 0x0
	.amdhsa_kernel _ZN7rocprim17ROCPRIM_400000_NS6detail17trampoline_kernelINS0_14default_configENS1_38merge_sort_block_merge_config_selectorIilEEZZNS1_27merge_sort_block_merge_implIS3_PiN6thrust23THRUST_200600_302600_NS10device_ptrIlEEjNS1_19radix_merge_compareILb0ELb1EiNS0_19identity_decomposerEEEEE10hipError_tT0_T1_T2_jT3_P12ihipStream_tbPNSt15iterator_traitsISG_E10value_typeEPNSM_ISH_E10value_typeEPSI_NS1_7vsmem_tEENKUlT_SG_SH_SI_E_clIS7_S7_SB_PlEESF_SV_SG_SH_SI_EUlSV_E_NS1_11comp_targetILNS1_3genE10ELNS1_11target_archE1201ELNS1_3gpuE5ELNS1_3repE0EEENS1_48merge_mergepath_partition_config_static_selectorELNS0_4arch9wavefront6targetE1EEEvSH_
		.amdhsa_group_segment_fixed_size 0
		.amdhsa_private_segment_fixed_size 0
		.amdhsa_kernarg_size 40
		.amdhsa_user_sgpr_count 6
		.amdhsa_user_sgpr_private_segment_buffer 1
		.amdhsa_user_sgpr_dispatch_ptr 0
		.amdhsa_user_sgpr_queue_ptr 0
		.amdhsa_user_sgpr_kernarg_segment_ptr 1
		.amdhsa_user_sgpr_dispatch_id 0
		.amdhsa_user_sgpr_flat_scratch_init 0
		.amdhsa_user_sgpr_private_segment_size 0
		.amdhsa_uses_dynamic_stack 0
		.amdhsa_system_sgpr_private_segment_wavefront_offset 0
		.amdhsa_system_sgpr_workgroup_id_x 1
		.amdhsa_system_sgpr_workgroup_id_y 0
		.amdhsa_system_sgpr_workgroup_id_z 0
		.amdhsa_system_sgpr_workgroup_info 0
		.amdhsa_system_vgpr_workitem_id 0
		.amdhsa_next_free_vgpr 1
		.amdhsa_next_free_sgpr 0
		.amdhsa_reserve_vcc 0
		.amdhsa_reserve_flat_scratch 0
		.amdhsa_float_round_mode_32 0
		.amdhsa_float_round_mode_16_64 0
		.amdhsa_float_denorm_mode_32 3
		.amdhsa_float_denorm_mode_16_64 3
		.amdhsa_dx10_clamp 1
		.amdhsa_ieee_mode 1
		.amdhsa_fp16_overflow 0
		.amdhsa_exception_fp_ieee_invalid_op 0
		.amdhsa_exception_fp_denorm_src 0
		.amdhsa_exception_fp_ieee_div_zero 0
		.amdhsa_exception_fp_ieee_overflow 0
		.amdhsa_exception_fp_ieee_underflow 0
		.amdhsa_exception_fp_ieee_inexact 0
		.amdhsa_exception_int_div_zero 0
	.end_amdhsa_kernel
	.section	.text._ZN7rocprim17ROCPRIM_400000_NS6detail17trampoline_kernelINS0_14default_configENS1_38merge_sort_block_merge_config_selectorIilEEZZNS1_27merge_sort_block_merge_implIS3_PiN6thrust23THRUST_200600_302600_NS10device_ptrIlEEjNS1_19radix_merge_compareILb0ELb1EiNS0_19identity_decomposerEEEEE10hipError_tT0_T1_T2_jT3_P12ihipStream_tbPNSt15iterator_traitsISG_E10value_typeEPNSM_ISH_E10value_typeEPSI_NS1_7vsmem_tEENKUlT_SG_SH_SI_E_clIS7_S7_SB_PlEESF_SV_SG_SH_SI_EUlSV_E_NS1_11comp_targetILNS1_3genE10ELNS1_11target_archE1201ELNS1_3gpuE5ELNS1_3repE0EEENS1_48merge_mergepath_partition_config_static_selectorELNS0_4arch9wavefront6targetE1EEEvSH_,"axG",@progbits,_ZN7rocprim17ROCPRIM_400000_NS6detail17trampoline_kernelINS0_14default_configENS1_38merge_sort_block_merge_config_selectorIilEEZZNS1_27merge_sort_block_merge_implIS3_PiN6thrust23THRUST_200600_302600_NS10device_ptrIlEEjNS1_19radix_merge_compareILb0ELb1EiNS0_19identity_decomposerEEEEE10hipError_tT0_T1_T2_jT3_P12ihipStream_tbPNSt15iterator_traitsISG_E10value_typeEPNSM_ISH_E10value_typeEPSI_NS1_7vsmem_tEENKUlT_SG_SH_SI_E_clIS7_S7_SB_PlEESF_SV_SG_SH_SI_EUlSV_E_NS1_11comp_targetILNS1_3genE10ELNS1_11target_archE1201ELNS1_3gpuE5ELNS1_3repE0EEENS1_48merge_mergepath_partition_config_static_selectorELNS0_4arch9wavefront6targetE1EEEvSH_,comdat
.Lfunc_end825:
	.size	_ZN7rocprim17ROCPRIM_400000_NS6detail17trampoline_kernelINS0_14default_configENS1_38merge_sort_block_merge_config_selectorIilEEZZNS1_27merge_sort_block_merge_implIS3_PiN6thrust23THRUST_200600_302600_NS10device_ptrIlEEjNS1_19radix_merge_compareILb0ELb1EiNS0_19identity_decomposerEEEEE10hipError_tT0_T1_T2_jT3_P12ihipStream_tbPNSt15iterator_traitsISG_E10value_typeEPNSM_ISH_E10value_typeEPSI_NS1_7vsmem_tEENKUlT_SG_SH_SI_E_clIS7_S7_SB_PlEESF_SV_SG_SH_SI_EUlSV_E_NS1_11comp_targetILNS1_3genE10ELNS1_11target_archE1201ELNS1_3gpuE5ELNS1_3repE0EEENS1_48merge_mergepath_partition_config_static_selectorELNS0_4arch9wavefront6targetE1EEEvSH_, .Lfunc_end825-_ZN7rocprim17ROCPRIM_400000_NS6detail17trampoline_kernelINS0_14default_configENS1_38merge_sort_block_merge_config_selectorIilEEZZNS1_27merge_sort_block_merge_implIS3_PiN6thrust23THRUST_200600_302600_NS10device_ptrIlEEjNS1_19radix_merge_compareILb0ELb1EiNS0_19identity_decomposerEEEEE10hipError_tT0_T1_T2_jT3_P12ihipStream_tbPNSt15iterator_traitsISG_E10value_typeEPNSM_ISH_E10value_typeEPSI_NS1_7vsmem_tEENKUlT_SG_SH_SI_E_clIS7_S7_SB_PlEESF_SV_SG_SH_SI_EUlSV_E_NS1_11comp_targetILNS1_3genE10ELNS1_11target_archE1201ELNS1_3gpuE5ELNS1_3repE0EEENS1_48merge_mergepath_partition_config_static_selectorELNS0_4arch9wavefront6targetE1EEEvSH_
                                        ; -- End function
	.set _ZN7rocprim17ROCPRIM_400000_NS6detail17trampoline_kernelINS0_14default_configENS1_38merge_sort_block_merge_config_selectorIilEEZZNS1_27merge_sort_block_merge_implIS3_PiN6thrust23THRUST_200600_302600_NS10device_ptrIlEEjNS1_19radix_merge_compareILb0ELb1EiNS0_19identity_decomposerEEEEE10hipError_tT0_T1_T2_jT3_P12ihipStream_tbPNSt15iterator_traitsISG_E10value_typeEPNSM_ISH_E10value_typeEPSI_NS1_7vsmem_tEENKUlT_SG_SH_SI_E_clIS7_S7_SB_PlEESF_SV_SG_SH_SI_EUlSV_E_NS1_11comp_targetILNS1_3genE10ELNS1_11target_archE1201ELNS1_3gpuE5ELNS1_3repE0EEENS1_48merge_mergepath_partition_config_static_selectorELNS0_4arch9wavefront6targetE1EEEvSH_.num_vgpr, 0
	.set _ZN7rocprim17ROCPRIM_400000_NS6detail17trampoline_kernelINS0_14default_configENS1_38merge_sort_block_merge_config_selectorIilEEZZNS1_27merge_sort_block_merge_implIS3_PiN6thrust23THRUST_200600_302600_NS10device_ptrIlEEjNS1_19radix_merge_compareILb0ELb1EiNS0_19identity_decomposerEEEEE10hipError_tT0_T1_T2_jT3_P12ihipStream_tbPNSt15iterator_traitsISG_E10value_typeEPNSM_ISH_E10value_typeEPSI_NS1_7vsmem_tEENKUlT_SG_SH_SI_E_clIS7_S7_SB_PlEESF_SV_SG_SH_SI_EUlSV_E_NS1_11comp_targetILNS1_3genE10ELNS1_11target_archE1201ELNS1_3gpuE5ELNS1_3repE0EEENS1_48merge_mergepath_partition_config_static_selectorELNS0_4arch9wavefront6targetE1EEEvSH_.num_agpr, 0
	.set _ZN7rocprim17ROCPRIM_400000_NS6detail17trampoline_kernelINS0_14default_configENS1_38merge_sort_block_merge_config_selectorIilEEZZNS1_27merge_sort_block_merge_implIS3_PiN6thrust23THRUST_200600_302600_NS10device_ptrIlEEjNS1_19radix_merge_compareILb0ELb1EiNS0_19identity_decomposerEEEEE10hipError_tT0_T1_T2_jT3_P12ihipStream_tbPNSt15iterator_traitsISG_E10value_typeEPNSM_ISH_E10value_typeEPSI_NS1_7vsmem_tEENKUlT_SG_SH_SI_E_clIS7_S7_SB_PlEESF_SV_SG_SH_SI_EUlSV_E_NS1_11comp_targetILNS1_3genE10ELNS1_11target_archE1201ELNS1_3gpuE5ELNS1_3repE0EEENS1_48merge_mergepath_partition_config_static_selectorELNS0_4arch9wavefront6targetE1EEEvSH_.numbered_sgpr, 0
	.set _ZN7rocprim17ROCPRIM_400000_NS6detail17trampoline_kernelINS0_14default_configENS1_38merge_sort_block_merge_config_selectorIilEEZZNS1_27merge_sort_block_merge_implIS3_PiN6thrust23THRUST_200600_302600_NS10device_ptrIlEEjNS1_19radix_merge_compareILb0ELb1EiNS0_19identity_decomposerEEEEE10hipError_tT0_T1_T2_jT3_P12ihipStream_tbPNSt15iterator_traitsISG_E10value_typeEPNSM_ISH_E10value_typeEPSI_NS1_7vsmem_tEENKUlT_SG_SH_SI_E_clIS7_S7_SB_PlEESF_SV_SG_SH_SI_EUlSV_E_NS1_11comp_targetILNS1_3genE10ELNS1_11target_archE1201ELNS1_3gpuE5ELNS1_3repE0EEENS1_48merge_mergepath_partition_config_static_selectorELNS0_4arch9wavefront6targetE1EEEvSH_.num_named_barrier, 0
	.set _ZN7rocprim17ROCPRIM_400000_NS6detail17trampoline_kernelINS0_14default_configENS1_38merge_sort_block_merge_config_selectorIilEEZZNS1_27merge_sort_block_merge_implIS3_PiN6thrust23THRUST_200600_302600_NS10device_ptrIlEEjNS1_19radix_merge_compareILb0ELb1EiNS0_19identity_decomposerEEEEE10hipError_tT0_T1_T2_jT3_P12ihipStream_tbPNSt15iterator_traitsISG_E10value_typeEPNSM_ISH_E10value_typeEPSI_NS1_7vsmem_tEENKUlT_SG_SH_SI_E_clIS7_S7_SB_PlEESF_SV_SG_SH_SI_EUlSV_E_NS1_11comp_targetILNS1_3genE10ELNS1_11target_archE1201ELNS1_3gpuE5ELNS1_3repE0EEENS1_48merge_mergepath_partition_config_static_selectorELNS0_4arch9wavefront6targetE1EEEvSH_.private_seg_size, 0
	.set _ZN7rocprim17ROCPRIM_400000_NS6detail17trampoline_kernelINS0_14default_configENS1_38merge_sort_block_merge_config_selectorIilEEZZNS1_27merge_sort_block_merge_implIS3_PiN6thrust23THRUST_200600_302600_NS10device_ptrIlEEjNS1_19radix_merge_compareILb0ELb1EiNS0_19identity_decomposerEEEEE10hipError_tT0_T1_T2_jT3_P12ihipStream_tbPNSt15iterator_traitsISG_E10value_typeEPNSM_ISH_E10value_typeEPSI_NS1_7vsmem_tEENKUlT_SG_SH_SI_E_clIS7_S7_SB_PlEESF_SV_SG_SH_SI_EUlSV_E_NS1_11comp_targetILNS1_3genE10ELNS1_11target_archE1201ELNS1_3gpuE5ELNS1_3repE0EEENS1_48merge_mergepath_partition_config_static_selectorELNS0_4arch9wavefront6targetE1EEEvSH_.uses_vcc, 0
	.set _ZN7rocprim17ROCPRIM_400000_NS6detail17trampoline_kernelINS0_14default_configENS1_38merge_sort_block_merge_config_selectorIilEEZZNS1_27merge_sort_block_merge_implIS3_PiN6thrust23THRUST_200600_302600_NS10device_ptrIlEEjNS1_19radix_merge_compareILb0ELb1EiNS0_19identity_decomposerEEEEE10hipError_tT0_T1_T2_jT3_P12ihipStream_tbPNSt15iterator_traitsISG_E10value_typeEPNSM_ISH_E10value_typeEPSI_NS1_7vsmem_tEENKUlT_SG_SH_SI_E_clIS7_S7_SB_PlEESF_SV_SG_SH_SI_EUlSV_E_NS1_11comp_targetILNS1_3genE10ELNS1_11target_archE1201ELNS1_3gpuE5ELNS1_3repE0EEENS1_48merge_mergepath_partition_config_static_selectorELNS0_4arch9wavefront6targetE1EEEvSH_.uses_flat_scratch, 0
	.set _ZN7rocprim17ROCPRIM_400000_NS6detail17trampoline_kernelINS0_14default_configENS1_38merge_sort_block_merge_config_selectorIilEEZZNS1_27merge_sort_block_merge_implIS3_PiN6thrust23THRUST_200600_302600_NS10device_ptrIlEEjNS1_19radix_merge_compareILb0ELb1EiNS0_19identity_decomposerEEEEE10hipError_tT0_T1_T2_jT3_P12ihipStream_tbPNSt15iterator_traitsISG_E10value_typeEPNSM_ISH_E10value_typeEPSI_NS1_7vsmem_tEENKUlT_SG_SH_SI_E_clIS7_S7_SB_PlEESF_SV_SG_SH_SI_EUlSV_E_NS1_11comp_targetILNS1_3genE10ELNS1_11target_archE1201ELNS1_3gpuE5ELNS1_3repE0EEENS1_48merge_mergepath_partition_config_static_selectorELNS0_4arch9wavefront6targetE1EEEvSH_.has_dyn_sized_stack, 0
	.set _ZN7rocprim17ROCPRIM_400000_NS6detail17trampoline_kernelINS0_14default_configENS1_38merge_sort_block_merge_config_selectorIilEEZZNS1_27merge_sort_block_merge_implIS3_PiN6thrust23THRUST_200600_302600_NS10device_ptrIlEEjNS1_19radix_merge_compareILb0ELb1EiNS0_19identity_decomposerEEEEE10hipError_tT0_T1_T2_jT3_P12ihipStream_tbPNSt15iterator_traitsISG_E10value_typeEPNSM_ISH_E10value_typeEPSI_NS1_7vsmem_tEENKUlT_SG_SH_SI_E_clIS7_S7_SB_PlEESF_SV_SG_SH_SI_EUlSV_E_NS1_11comp_targetILNS1_3genE10ELNS1_11target_archE1201ELNS1_3gpuE5ELNS1_3repE0EEENS1_48merge_mergepath_partition_config_static_selectorELNS0_4arch9wavefront6targetE1EEEvSH_.has_recursion, 0
	.set _ZN7rocprim17ROCPRIM_400000_NS6detail17trampoline_kernelINS0_14default_configENS1_38merge_sort_block_merge_config_selectorIilEEZZNS1_27merge_sort_block_merge_implIS3_PiN6thrust23THRUST_200600_302600_NS10device_ptrIlEEjNS1_19radix_merge_compareILb0ELb1EiNS0_19identity_decomposerEEEEE10hipError_tT0_T1_T2_jT3_P12ihipStream_tbPNSt15iterator_traitsISG_E10value_typeEPNSM_ISH_E10value_typeEPSI_NS1_7vsmem_tEENKUlT_SG_SH_SI_E_clIS7_S7_SB_PlEESF_SV_SG_SH_SI_EUlSV_E_NS1_11comp_targetILNS1_3genE10ELNS1_11target_archE1201ELNS1_3gpuE5ELNS1_3repE0EEENS1_48merge_mergepath_partition_config_static_selectorELNS0_4arch9wavefront6targetE1EEEvSH_.has_indirect_call, 0
	.section	.AMDGPU.csdata,"",@progbits
; Kernel info:
; codeLenInByte = 0
; TotalNumSgprs: 4
; NumVgprs: 0
; ScratchSize: 0
; MemoryBound: 0
; FloatMode: 240
; IeeeMode: 1
; LDSByteSize: 0 bytes/workgroup (compile time only)
; SGPRBlocks: 0
; VGPRBlocks: 0
; NumSGPRsForWavesPerEU: 4
; NumVGPRsForWavesPerEU: 1
; Occupancy: 10
; WaveLimiterHint : 0
; COMPUTE_PGM_RSRC2:SCRATCH_EN: 0
; COMPUTE_PGM_RSRC2:USER_SGPR: 6
; COMPUTE_PGM_RSRC2:TRAP_HANDLER: 0
; COMPUTE_PGM_RSRC2:TGID_X_EN: 1
; COMPUTE_PGM_RSRC2:TGID_Y_EN: 0
; COMPUTE_PGM_RSRC2:TGID_Z_EN: 0
; COMPUTE_PGM_RSRC2:TIDIG_COMP_CNT: 0
	.section	.text._ZN7rocprim17ROCPRIM_400000_NS6detail17trampoline_kernelINS0_14default_configENS1_38merge_sort_block_merge_config_selectorIilEEZZNS1_27merge_sort_block_merge_implIS3_PiN6thrust23THRUST_200600_302600_NS10device_ptrIlEEjNS1_19radix_merge_compareILb0ELb1EiNS0_19identity_decomposerEEEEE10hipError_tT0_T1_T2_jT3_P12ihipStream_tbPNSt15iterator_traitsISG_E10value_typeEPNSM_ISH_E10value_typeEPSI_NS1_7vsmem_tEENKUlT_SG_SH_SI_E_clIS7_S7_SB_PlEESF_SV_SG_SH_SI_EUlSV_E_NS1_11comp_targetILNS1_3genE5ELNS1_11target_archE942ELNS1_3gpuE9ELNS1_3repE0EEENS1_48merge_mergepath_partition_config_static_selectorELNS0_4arch9wavefront6targetE1EEEvSH_,"axG",@progbits,_ZN7rocprim17ROCPRIM_400000_NS6detail17trampoline_kernelINS0_14default_configENS1_38merge_sort_block_merge_config_selectorIilEEZZNS1_27merge_sort_block_merge_implIS3_PiN6thrust23THRUST_200600_302600_NS10device_ptrIlEEjNS1_19radix_merge_compareILb0ELb1EiNS0_19identity_decomposerEEEEE10hipError_tT0_T1_T2_jT3_P12ihipStream_tbPNSt15iterator_traitsISG_E10value_typeEPNSM_ISH_E10value_typeEPSI_NS1_7vsmem_tEENKUlT_SG_SH_SI_E_clIS7_S7_SB_PlEESF_SV_SG_SH_SI_EUlSV_E_NS1_11comp_targetILNS1_3genE5ELNS1_11target_archE942ELNS1_3gpuE9ELNS1_3repE0EEENS1_48merge_mergepath_partition_config_static_selectorELNS0_4arch9wavefront6targetE1EEEvSH_,comdat
	.protected	_ZN7rocprim17ROCPRIM_400000_NS6detail17trampoline_kernelINS0_14default_configENS1_38merge_sort_block_merge_config_selectorIilEEZZNS1_27merge_sort_block_merge_implIS3_PiN6thrust23THRUST_200600_302600_NS10device_ptrIlEEjNS1_19radix_merge_compareILb0ELb1EiNS0_19identity_decomposerEEEEE10hipError_tT0_T1_T2_jT3_P12ihipStream_tbPNSt15iterator_traitsISG_E10value_typeEPNSM_ISH_E10value_typeEPSI_NS1_7vsmem_tEENKUlT_SG_SH_SI_E_clIS7_S7_SB_PlEESF_SV_SG_SH_SI_EUlSV_E_NS1_11comp_targetILNS1_3genE5ELNS1_11target_archE942ELNS1_3gpuE9ELNS1_3repE0EEENS1_48merge_mergepath_partition_config_static_selectorELNS0_4arch9wavefront6targetE1EEEvSH_ ; -- Begin function _ZN7rocprim17ROCPRIM_400000_NS6detail17trampoline_kernelINS0_14default_configENS1_38merge_sort_block_merge_config_selectorIilEEZZNS1_27merge_sort_block_merge_implIS3_PiN6thrust23THRUST_200600_302600_NS10device_ptrIlEEjNS1_19radix_merge_compareILb0ELb1EiNS0_19identity_decomposerEEEEE10hipError_tT0_T1_T2_jT3_P12ihipStream_tbPNSt15iterator_traitsISG_E10value_typeEPNSM_ISH_E10value_typeEPSI_NS1_7vsmem_tEENKUlT_SG_SH_SI_E_clIS7_S7_SB_PlEESF_SV_SG_SH_SI_EUlSV_E_NS1_11comp_targetILNS1_3genE5ELNS1_11target_archE942ELNS1_3gpuE9ELNS1_3repE0EEENS1_48merge_mergepath_partition_config_static_selectorELNS0_4arch9wavefront6targetE1EEEvSH_
	.globl	_ZN7rocprim17ROCPRIM_400000_NS6detail17trampoline_kernelINS0_14default_configENS1_38merge_sort_block_merge_config_selectorIilEEZZNS1_27merge_sort_block_merge_implIS3_PiN6thrust23THRUST_200600_302600_NS10device_ptrIlEEjNS1_19radix_merge_compareILb0ELb1EiNS0_19identity_decomposerEEEEE10hipError_tT0_T1_T2_jT3_P12ihipStream_tbPNSt15iterator_traitsISG_E10value_typeEPNSM_ISH_E10value_typeEPSI_NS1_7vsmem_tEENKUlT_SG_SH_SI_E_clIS7_S7_SB_PlEESF_SV_SG_SH_SI_EUlSV_E_NS1_11comp_targetILNS1_3genE5ELNS1_11target_archE942ELNS1_3gpuE9ELNS1_3repE0EEENS1_48merge_mergepath_partition_config_static_selectorELNS0_4arch9wavefront6targetE1EEEvSH_
	.p2align	8
	.type	_ZN7rocprim17ROCPRIM_400000_NS6detail17trampoline_kernelINS0_14default_configENS1_38merge_sort_block_merge_config_selectorIilEEZZNS1_27merge_sort_block_merge_implIS3_PiN6thrust23THRUST_200600_302600_NS10device_ptrIlEEjNS1_19radix_merge_compareILb0ELb1EiNS0_19identity_decomposerEEEEE10hipError_tT0_T1_T2_jT3_P12ihipStream_tbPNSt15iterator_traitsISG_E10value_typeEPNSM_ISH_E10value_typeEPSI_NS1_7vsmem_tEENKUlT_SG_SH_SI_E_clIS7_S7_SB_PlEESF_SV_SG_SH_SI_EUlSV_E_NS1_11comp_targetILNS1_3genE5ELNS1_11target_archE942ELNS1_3gpuE9ELNS1_3repE0EEENS1_48merge_mergepath_partition_config_static_selectorELNS0_4arch9wavefront6targetE1EEEvSH_,@function
_ZN7rocprim17ROCPRIM_400000_NS6detail17trampoline_kernelINS0_14default_configENS1_38merge_sort_block_merge_config_selectorIilEEZZNS1_27merge_sort_block_merge_implIS3_PiN6thrust23THRUST_200600_302600_NS10device_ptrIlEEjNS1_19radix_merge_compareILb0ELb1EiNS0_19identity_decomposerEEEEE10hipError_tT0_T1_T2_jT3_P12ihipStream_tbPNSt15iterator_traitsISG_E10value_typeEPNSM_ISH_E10value_typeEPSI_NS1_7vsmem_tEENKUlT_SG_SH_SI_E_clIS7_S7_SB_PlEESF_SV_SG_SH_SI_EUlSV_E_NS1_11comp_targetILNS1_3genE5ELNS1_11target_archE942ELNS1_3gpuE9ELNS1_3repE0EEENS1_48merge_mergepath_partition_config_static_selectorELNS0_4arch9wavefront6targetE1EEEvSH_: ; @_ZN7rocprim17ROCPRIM_400000_NS6detail17trampoline_kernelINS0_14default_configENS1_38merge_sort_block_merge_config_selectorIilEEZZNS1_27merge_sort_block_merge_implIS3_PiN6thrust23THRUST_200600_302600_NS10device_ptrIlEEjNS1_19radix_merge_compareILb0ELb1EiNS0_19identity_decomposerEEEEE10hipError_tT0_T1_T2_jT3_P12ihipStream_tbPNSt15iterator_traitsISG_E10value_typeEPNSM_ISH_E10value_typeEPSI_NS1_7vsmem_tEENKUlT_SG_SH_SI_E_clIS7_S7_SB_PlEESF_SV_SG_SH_SI_EUlSV_E_NS1_11comp_targetILNS1_3genE5ELNS1_11target_archE942ELNS1_3gpuE9ELNS1_3repE0EEENS1_48merge_mergepath_partition_config_static_selectorELNS0_4arch9wavefront6targetE1EEEvSH_
; %bb.0:
	.section	.rodata,"a",@progbits
	.p2align	6, 0x0
	.amdhsa_kernel _ZN7rocprim17ROCPRIM_400000_NS6detail17trampoline_kernelINS0_14default_configENS1_38merge_sort_block_merge_config_selectorIilEEZZNS1_27merge_sort_block_merge_implIS3_PiN6thrust23THRUST_200600_302600_NS10device_ptrIlEEjNS1_19radix_merge_compareILb0ELb1EiNS0_19identity_decomposerEEEEE10hipError_tT0_T1_T2_jT3_P12ihipStream_tbPNSt15iterator_traitsISG_E10value_typeEPNSM_ISH_E10value_typeEPSI_NS1_7vsmem_tEENKUlT_SG_SH_SI_E_clIS7_S7_SB_PlEESF_SV_SG_SH_SI_EUlSV_E_NS1_11comp_targetILNS1_3genE5ELNS1_11target_archE942ELNS1_3gpuE9ELNS1_3repE0EEENS1_48merge_mergepath_partition_config_static_selectorELNS0_4arch9wavefront6targetE1EEEvSH_
		.amdhsa_group_segment_fixed_size 0
		.amdhsa_private_segment_fixed_size 0
		.amdhsa_kernarg_size 40
		.amdhsa_user_sgpr_count 6
		.amdhsa_user_sgpr_private_segment_buffer 1
		.amdhsa_user_sgpr_dispatch_ptr 0
		.amdhsa_user_sgpr_queue_ptr 0
		.amdhsa_user_sgpr_kernarg_segment_ptr 1
		.amdhsa_user_sgpr_dispatch_id 0
		.amdhsa_user_sgpr_flat_scratch_init 0
		.amdhsa_user_sgpr_private_segment_size 0
		.amdhsa_uses_dynamic_stack 0
		.amdhsa_system_sgpr_private_segment_wavefront_offset 0
		.amdhsa_system_sgpr_workgroup_id_x 1
		.amdhsa_system_sgpr_workgroup_id_y 0
		.amdhsa_system_sgpr_workgroup_id_z 0
		.amdhsa_system_sgpr_workgroup_info 0
		.amdhsa_system_vgpr_workitem_id 0
		.amdhsa_next_free_vgpr 1
		.amdhsa_next_free_sgpr 0
		.amdhsa_reserve_vcc 0
		.amdhsa_reserve_flat_scratch 0
		.amdhsa_float_round_mode_32 0
		.amdhsa_float_round_mode_16_64 0
		.amdhsa_float_denorm_mode_32 3
		.amdhsa_float_denorm_mode_16_64 3
		.amdhsa_dx10_clamp 1
		.amdhsa_ieee_mode 1
		.amdhsa_fp16_overflow 0
		.amdhsa_exception_fp_ieee_invalid_op 0
		.amdhsa_exception_fp_denorm_src 0
		.amdhsa_exception_fp_ieee_div_zero 0
		.amdhsa_exception_fp_ieee_overflow 0
		.amdhsa_exception_fp_ieee_underflow 0
		.amdhsa_exception_fp_ieee_inexact 0
		.amdhsa_exception_int_div_zero 0
	.end_amdhsa_kernel
	.section	.text._ZN7rocprim17ROCPRIM_400000_NS6detail17trampoline_kernelINS0_14default_configENS1_38merge_sort_block_merge_config_selectorIilEEZZNS1_27merge_sort_block_merge_implIS3_PiN6thrust23THRUST_200600_302600_NS10device_ptrIlEEjNS1_19radix_merge_compareILb0ELb1EiNS0_19identity_decomposerEEEEE10hipError_tT0_T1_T2_jT3_P12ihipStream_tbPNSt15iterator_traitsISG_E10value_typeEPNSM_ISH_E10value_typeEPSI_NS1_7vsmem_tEENKUlT_SG_SH_SI_E_clIS7_S7_SB_PlEESF_SV_SG_SH_SI_EUlSV_E_NS1_11comp_targetILNS1_3genE5ELNS1_11target_archE942ELNS1_3gpuE9ELNS1_3repE0EEENS1_48merge_mergepath_partition_config_static_selectorELNS0_4arch9wavefront6targetE1EEEvSH_,"axG",@progbits,_ZN7rocprim17ROCPRIM_400000_NS6detail17trampoline_kernelINS0_14default_configENS1_38merge_sort_block_merge_config_selectorIilEEZZNS1_27merge_sort_block_merge_implIS3_PiN6thrust23THRUST_200600_302600_NS10device_ptrIlEEjNS1_19radix_merge_compareILb0ELb1EiNS0_19identity_decomposerEEEEE10hipError_tT0_T1_T2_jT3_P12ihipStream_tbPNSt15iterator_traitsISG_E10value_typeEPNSM_ISH_E10value_typeEPSI_NS1_7vsmem_tEENKUlT_SG_SH_SI_E_clIS7_S7_SB_PlEESF_SV_SG_SH_SI_EUlSV_E_NS1_11comp_targetILNS1_3genE5ELNS1_11target_archE942ELNS1_3gpuE9ELNS1_3repE0EEENS1_48merge_mergepath_partition_config_static_selectorELNS0_4arch9wavefront6targetE1EEEvSH_,comdat
.Lfunc_end826:
	.size	_ZN7rocprim17ROCPRIM_400000_NS6detail17trampoline_kernelINS0_14default_configENS1_38merge_sort_block_merge_config_selectorIilEEZZNS1_27merge_sort_block_merge_implIS3_PiN6thrust23THRUST_200600_302600_NS10device_ptrIlEEjNS1_19radix_merge_compareILb0ELb1EiNS0_19identity_decomposerEEEEE10hipError_tT0_T1_T2_jT3_P12ihipStream_tbPNSt15iterator_traitsISG_E10value_typeEPNSM_ISH_E10value_typeEPSI_NS1_7vsmem_tEENKUlT_SG_SH_SI_E_clIS7_S7_SB_PlEESF_SV_SG_SH_SI_EUlSV_E_NS1_11comp_targetILNS1_3genE5ELNS1_11target_archE942ELNS1_3gpuE9ELNS1_3repE0EEENS1_48merge_mergepath_partition_config_static_selectorELNS0_4arch9wavefront6targetE1EEEvSH_, .Lfunc_end826-_ZN7rocprim17ROCPRIM_400000_NS6detail17trampoline_kernelINS0_14default_configENS1_38merge_sort_block_merge_config_selectorIilEEZZNS1_27merge_sort_block_merge_implIS3_PiN6thrust23THRUST_200600_302600_NS10device_ptrIlEEjNS1_19radix_merge_compareILb0ELb1EiNS0_19identity_decomposerEEEEE10hipError_tT0_T1_T2_jT3_P12ihipStream_tbPNSt15iterator_traitsISG_E10value_typeEPNSM_ISH_E10value_typeEPSI_NS1_7vsmem_tEENKUlT_SG_SH_SI_E_clIS7_S7_SB_PlEESF_SV_SG_SH_SI_EUlSV_E_NS1_11comp_targetILNS1_3genE5ELNS1_11target_archE942ELNS1_3gpuE9ELNS1_3repE0EEENS1_48merge_mergepath_partition_config_static_selectorELNS0_4arch9wavefront6targetE1EEEvSH_
                                        ; -- End function
	.set _ZN7rocprim17ROCPRIM_400000_NS6detail17trampoline_kernelINS0_14default_configENS1_38merge_sort_block_merge_config_selectorIilEEZZNS1_27merge_sort_block_merge_implIS3_PiN6thrust23THRUST_200600_302600_NS10device_ptrIlEEjNS1_19radix_merge_compareILb0ELb1EiNS0_19identity_decomposerEEEEE10hipError_tT0_T1_T2_jT3_P12ihipStream_tbPNSt15iterator_traitsISG_E10value_typeEPNSM_ISH_E10value_typeEPSI_NS1_7vsmem_tEENKUlT_SG_SH_SI_E_clIS7_S7_SB_PlEESF_SV_SG_SH_SI_EUlSV_E_NS1_11comp_targetILNS1_3genE5ELNS1_11target_archE942ELNS1_3gpuE9ELNS1_3repE0EEENS1_48merge_mergepath_partition_config_static_selectorELNS0_4arch9wavefront6targetE1EEEvSH_.num_vgpr, 0
	.set _ZN7rocprim17ROCPRIM_400000_NS6detail17trampoline_kernelINS0_14default_configENS1_38merge_sort_block_merge_config_selectorIilEEZZNS1_27merge_sort_block_merge_implIS3_PiN6thrust23THRUST_200600_302600_NS10device_ptrIlEEjNS1_19radix_merge_compareILb0ELb1EiNS0_19identity_decomposerEEEEE10hipError_tT0_T1_T2_jT3_P12ihipStream_tbPNSt15iterator_traitsISG_E10value_typeEPNSM_ISH_E10value_typeEPSI_NS1_7vsmem_tEENKUlT_SG_SH_SI_E_clIS7_S7_SB_PlEESF_SV_SG_SH_SI_EUlSV_E_NS1_11comp_targetILNS1_3genE5ELNS1_11target_archE942ELNS1_3gpuE9ELNS1_3repE0EEENS1_48merge_mergepath_partition_config_static_selectorELNS0_4arch9wavefront6targetE1EEEvSH_.num_agpr, 0
	.set _ZN7rocprim17ROCPRIM_400000_NS6detail17trampoline_kernelINS0_14default_configENS1_38merge_sort_block_merge_config_selectorIilEEZZNS1_27merge_sort_block_merge_implIS3_PiN6thrust23THRUST_200600_302600_NS10device_ptrIlEEjNS1_19radix_merge_compareILb0ELb1EiNS0_19identity_decomposerEEEEE10hipError_tT0_T1_T2_jT3_P12ihipStream_tbPNSt15iterator_traitsISG_E10value_typeEPNSM_ISH_E10value_typeEPSI_NS1_7vsmem_tEENKUlT_SG_SH_SI_E_clIS7_S7_SB_PlEESF_SV_SG_SH_SI_EUlSV_E_NS1_11comp_targetILNS1_3genE5ELNS1_11target_archE942ELNS1_3gpuE9ELNS1_3repE0EEENS1_48merge_mergepath_partition_config_static_selectorELNS0_4arch9wavefront6targetE1EEEvSH_.numbered_sgpr, 0
	.set _ZN7rocprim17ROCPRIM_400000_NS6detail17trampoline_kernelINS0_14default_configENS1_38merge_sort_block_merge_config_selectorIilEEZZNS1_27merge_sort_block_merge_implIS3_PiN6thrust23THRUST_200600_302600_NS10device_ptrIlEEjNS1_19radix_merge_compareILb0ELb1EiNS0_19identity_decomposerEEEEE10hipError_tT0_T1_T2_jT3_P12ihipStream_tbPNSt15iterator_traitsISG_E10value_typeEPNSM_ISH_E10value_typeEPSI_NS1_7vsmem_tEENKUlT_SG_SH_SI_E_clIS7_S7_SB_PlEESF_SV_SG_SH_SI_EUlSV_E_NS1_11comp_targetILNS1_3genE5ELNS1_11target_archE942ELNS1_3gpuE9ELNS1_3repE0EEENS1_48merge_mergepath_partition_config_static_selectorELNS0_4arch9wavefront6targetE1EEEvSH_.num_named_barrier, 0
	.set _ZN7rocprim17ROCPRIM_400000_NS6detail17trampoline_kernelINS0_14default_configENS1_38merge_sort_block_merge_config_selectorIilEEZZNS1_27merge_sort_block_merge_implIS3_PiN6thrust23THRUST_200600_302600_NS10device_ptrIlEEjNS1_19radix_merge_compareILb0ELb1EiNS0_19identity_decomposerEEEEE10hipError_tT0_T1_T2_jT3_P12ihipStream_tbPNSt15iterator_traitsISG_E10value_typeEPNSM_ISH_E10value_typeEPSI_NS1_7vsmem_tEENKUlT_SG_SH_SI_E_clIS7_S7_SB_PlEESF_SV_SG_SH_SI_EUlSV_E_NS1_11comp_targetILNS1_3genE5ELNS1_11target_archE942ELNS1_3gpuE9ELNS1_3repE0EEENS1_48merge_mergepath_partition_config_static_selectorELNS0_4arch9wavefront6targetE1EEEvSH_.private_seg_size, 0
	.set _ZN7rocprim17ROCPRIM_400000_NS6detail17trampoline_kernelINS0_14default_configENS1_38merge_sort_block_merge_config_selectorIilEEZZNS1_27merge_sort_block_merge_implIS3_PiN6thrust23THRUST_200600_302600_NS10device_ptrIlEEjNS1_19radix_merge_compareILb0ELb1EiNS0_19identity_decomposerEEEEE10hipError_tT0_T1_T2_jT3_P12ihipStream_tbPNSt15iterator_traitsISG_E10value_typeEPNSM_ISH_E10value_typeEPSI_NS1_7vsmem_tEENKUlT_SG_SH_SI_E_clIS7_S7_SB_PlEESF_SV_SG_SH_SI_EUlSV_E_NS1_11comp_targetILNS1_3genE5ELNS1_11target_archE942ELNS1_3gpuE9ELNS1_3repE0EEENS1_48merge_mergepath_partition_config_static_selectorELNS0_4arch9wavefront6targetE1EEEvSH_.uses_vcc, 0
	.set _ZN7rocprim17ROCPRIM_400000_NS6detail17trampoline_kernelINS0_14default_configENS1_38merge_sort_block_merge_config_selectorIilEEZZNS1_27merge_sort_block_merge_implIS3_PiN6thrust23THRUST_200600_302600_NS10device_ptrIlEEjNS1_19radix_merge_compareILb0ELb1EiNS0_19identity_decomposerEEEEE10hipError_tT0_T1_T2_jT3_P12ihipStream_tbPNSt15iterator_traitsISG_E10value_typeEPNSM_ISH_E10value_typeEPSI_NS1_7vsmem_tEENKUlT_SG_SH_SI_E_clIS7_S7_SB_PlEESF_SV_SG_SH_SI_EUlSV_E_NS1_11comp_targetILNS1_3genE5ELNS1_11target_archE942ELNS1_3gpuE9ELNS1_3repE0EEENS1_48merge_mergepath_partition_config_static_selectorELNS0_4arch9wavefront6targetE1EEEvSH_.uses_flat_scratch, 0
	.set _ZN7rocprim17ROCPRIM_400000_NS6detail17trampoline_kernelINS0_14default_configENS1_38merge_sort_block_merge_config_selectorIilEEZZNS1_27merge_sort_block_merge_implIS3_PiN6thrust23THRUST_200600_302600_NS10device_ptrIlEEjNS1_19radix_merge_compareILb0ELb1EiNS0_19identity_decomposerEEEEE10hipError_tT0_T1_T2_jT3_P12ihipStream_tbPNSt15iterator_traitsISG_E10value_typeEPNSM_ISH_E10value_typeEPSI_NS1_7vsmem_tEENKUlT_SG_SH_SI_E_clIS7_S7_SB_PlEESF_SV_SG_SH_SI_EUlSV_E_NS1_11comp_targetILNS1_3genE5ELNS1_11target_archE942ELNS1_3gpuE9ELNS1_3repE0EEENS1_48merge_mergepath_partition_config_static_selectorELNS0_4arch9wavefront6targetE1EEEvSH_.has_dyn_sized_stack, 0
	.set _ZN7rocprim17ROCPRIM_400000_NS6detail17trampoline_kernelINS0_14default_configENS1_38merge_sort_block_merge_config_selectorIilEEZZNS1_27merge_sort_block_merge_implIS3_PiN6thrust23THRUST_200600_302600_NS10device_ptrIlEEjNS1_19radix_merge_compareILb0ELb1EiNS0_19identity_decomposerEEEEE10hipError_tT0_T1_T2_jT3_P12ihipStream_tbPNSt15iterator_traitsISG_E10value_typeEPNSM_ISH_E10value_typeEPSI_NS1_7vsmem_tEENKUlT_SG_SH_SI_E_clIS7_S7_SB_PlEESF_SV_SG_SH_SI_EUlSV_E_NS1_11comp_targetILNS1_3genE5ELNS1_11target_archE942ELNS1_3gpuE9ELNS1_3repE0EEENS1_48merge_mergepath_partition_config_static_selectorELNS0_4arch9wavefront6targetE1EEEvSH_.has_recursion, 0
	.set _ZN7rocprim17ROCPRIM_400000_NS6detail17trampoline_kernelINS0_14default_configENS1_38merge_sort_block_merge_config_selectorIilEEZZNS1_27merge_sort_block_merge_implIS3_PiN6thrust23THRUST_200600_302600_NS10device_ptrIlEEjNS1_19radix_merge_compareILb0ELb1EiNS0_19identity_decomposerEEEEE10hipError_tT0_T1_T2_jT3_P12ihipStream_tbPNSt15iterator_traitsISG_E10value_typeEPNSM_ISH_E10value_typeEPSI_NS1_7vsmem_tEENKUlT_SG_SH_SI_E_clIS7_S7_SB_PlEESF_SV_SG_SH_SI_EUlSV_E_NS1_11comp_targetILNS1_3genE5ELNS1_11target_archE942ELNS1_3gpuE9ELNS1_3repE0EEENS1_48merge_mergepath_partition_config_static_selectorELNS0_4arch9wavefront6targetE1EEEvSH_.has_indirect_call, 0
	.section	.AMDGPU.csdata,"",@progbits
; Kernel info:
; codeLenInByte = 0
; TotalNumSgprs: 4
; NumVgprs: 0
; ScratchSize: 0
; MemoryBound: 0
; FloatMode: 240
; IeeeMode: 1
; LDSByteSize: 0 bytes/workgroup (compile time only)
; SGPRBlocks: 0
; VGPRBlocks: 0
; NumSGPRsForWavesPerEU: 4
; NumVGPRsForWavesPerEU: 1
; Occupancy: 10
; WaveLimiterHint : 0
; COMPUTE_PGM_RSRC2:SCRATCH_EN: 0
; COMPUTE_PGM_RSRC2:USER_SGPR: 6
; COMPUTE_PGM_RSRC2:TRAP_HANDLER: 0
; COMPUTE_PGM_RSRC2:TGID_X_EN: 1
; COMPUTE_PGM_RSRC2:TGID_Y_EN: 0
; COMPUTE_PGM_RSRC2:TGID_Z_EN: 0
; COMPUTE_PGM_RSRC2:TIDIG_COMP_CNT: 0
	.section	.text._ZN7rocprim17ROCPRIM_400000_NS6detail17trampoline_kernelINS0_14default_configENS1_38merge_sort_block_merge_config_selectorIilEEZZNS1_27merge_sort_block_merge_implIS3_PiN6thrust23THRUST_200600_302600_NS10device_ptrIlEEjNS1_19radix_merge_compareILb0ELb1EiNS0_19identity_decomposerEEEEE10hipError_tT0_T1_T2_jT3_P12ihipStream_tbPNSt15iterator_traitsISG_E10value_typeEPNSM_ISH_E10value_typeEPSI_NS1_7vsmem_tEENKUlT_SG_SH_SI_E_clIS7_S7_SB_PlEESF_SV_SG_SH_SI_EUlSV_E_NS1_11comp_targetILNS1_3genE4ELNS1_11target_archE910ELNS1_3gpuE8ELNS1_3repE0EEENS1_48merge_mergepath_partition_config_static_selectorELNS0_4arch9wavefront6targetE1EEEvSH_,"axG",@progbits,_ZN7rocprim17ROCPRIM_400000_NS6detail17trampoline_kernelINS0_14default_configENS1_38merge_sort_block_merge_config_selectorIilEEZZNS1_27merge_sort_block_merge_implIS3_PiN6thrust23THRUST_200600_302600_NS10device_ptrIlEEjNS1_19radix_merge_compareILb0ELb1EiNS0_19identity_decomposerEEEEE10hipError_tT0_T1_T2_jT3_P12ihipStream_tbPNSt15iterator_traitsISG_E10value_typeEPNSM_ISH_E10value_typeEPSI_NS1_7vsmem_tEENKUlT_SG_SH_SI_E_clIS7_S7_SB_PlEESF_SV_SG_SH_SI_EUlSV_E_NS1_11comp_targetILNS1_3genE4ELNS1_11target_archE910ELNS1_3gpuE8ELNS1_3repE0EEENS1_48merge_mergepath_partition_config_static_selectorELNS0_4arch9wavefront6targetE1EEEvSH_,comdat
	.protected	_ZN7rocprim17ROCPRIM_400000_NS6detail17trampoline_kernelINS0_14default_configENS1_38merge_sort_block_merge_config_selectorIilEEZZNS1_27merge_sort_block_merge_implIS3_PiN6thrust23THRUST_200600_302600_NS10device_ptrIlEEjNS1_19radix_merge_compareILb0ELb1EiNS0_19identity_decomposerEEEEE10hipError_tT0_T1_T2_jT3_P12ihipStream_tbPNSt15iterator_traitsISG_E10value_typeEPNSM_ISH_E10value_typeEPSI_NS1_7vsmem_tEENKUlT_SG_SH_SI_E_clIS7_S7_SB_PlEESF_SV_SG_SH_SI_EUlSV_E_NS1_11comp_targetILNS1_3genE4ELNS1_11target_archE910ELNS1_3gpuE8ELNS1_3repE0EEENS1_48merge_mergepath_partition_config_static_selectorELNS0_4arch9wavefront6targetE1EEEvSH_ ; -- Begin function _ZN7rocprim17ROCPRIM_400000_NS6detail17trampoline_kernelINS0_14default_configENS1_38merge_sort_block_merge_config_selectorIilEEZZNS1_27merge_sort_block_merge_implIS3_PiN6thrust23THRUST_200600_302600_NS10device_ptrIlEEjNS1_19radix_merge_compareILb0ELb1EiNS0_19identity_decomposerEEEEE10hipError_tT0_T1_T2_jT3_P12ihipStream_tbPNSt15iterator_traitsISG_E10value_typeEPNSM_ISH_E10value_typeEPSI_NS1_7vsmem_tEENKUlT_SG_SH_SI_E_clIS7_S7_SB_PlEESF_SV_SG_SH_SI_EUlSV_E_NS1_11comp_targetILNS1_3genE4ELNS1_11target_archE910ELNS1_3gpuE8ELNS1_3repE0EEENS1_48merge_mergepath_partition_config_static_selectorELNS0_4arch9wavefront6targetE1EEEvSH_
	.globl	_ZN7rocprim17ROCPRIM_400000_NS6detail17trampoline_kernelINS0_14default_configENS1_38merge_sort_block_merge_config_selectorIilEEZZNS1_27merge_sort_block_merge_implIS3_PiN6thrust23THRUST_200600_302600_NS10device_ptrIlEEjNS1_19radix_merge_compareILb0ELb1EiNS0_19identity_decomposerEEEEE10hipError_tT0_T1_T2_jT3_P12ihipStream_tbPNSt15iterator_traitsISG_E10value_typeEPNSM_ISH_E10value_typeEPSI_NS1_7vsmem_tEENKUlT_SG_SH_SI_E_clIS7_S7_SB_PlEESF_SV_SG_SH_SI_EUlSV_E_NS1_11comp_targetILNS1_3genE4ELNS1_11target_archE910ELNS1_3gpuE8ELNS1_3repE0EEENS1_48merge_mergepath_partition_config_static_selectorELNS0_4arch9wavefront6targetE1EEEvSH_
	.p2align	8
	.type	_ZN7rocprim17ROCPRIM_400000_NS6detail17trampoline_kernelINS0_14default_configENS1_38merge_sort_block_merge_config_selectorIilEEZZNS1_27merge_sort_block_merge_implIS3_PiN6thrust23THRUST_200600_302600_NS10device_ptrIlEEjNS1_19radix_merge_compareILb0ELb1EiNS0_19identity_decomposerEEEEE10hipError_tT0_T1_T2_jT3_P12ihipStream_tbPNSt15iterator_traitsISG_E10value_typeEPNSM_ISH_E10value_typeEPSI_NS1_7vsmem_tEENKUlT_SG_SH_SI_E_clIS7_S7_SB_PlEESF_SV_SG_SH_SI_EUlSV_E_NS1_11comp_targetILNS1_3genE4ELNS1_11target_archE910ELNS1_3gpuE8ELNS1_3repE0EEENS1_48merge_mergepath_partition_config_static_selectorELNS0_4arch9wavefront6targetE1EEEvSH_,@function
_ZN7rocprim17ROCPRIM_400000_NS6detail17trampoline_kernelINS0_14default_configENS1_38merge_sort_block_merge_config_selectorIilEEZZNS1_27merge_sort_block_merge_implIS3_PiN6thrust23THRUST_200600_302600_NS10device_ptrIlEEjNS1_19radix_merge_compareILb0ELb1EiNS0_19identity_decomposerEEEEE10hipError_tT0_T1_T2_jT3_P12ihipStream_tbPNSt15iterator_traitsISG_E10value_typeEPNSM_ISH_E10value_typeEPSI_NS1_7vsmem_tEENKUlT_SG_SH_SI_E_clIS7_S7_SB_PlEESF_SV_SG_SH_SI_EUlSV_E_NS1_11comp_targetILNS1_3genE4ELNS1_11target_archE910ELNS1_3gpuE8ELNS1_3repE0EEENS1_48merge_mergepath_partition_config_static_selectorELNS0_4arch9wavefront6targetE1EEEvSH_: ; @_ZN7rocprim17ROCPRIM_400000_NS6detail17trampoline_kernelINS0_14default_configENS1_38merge_sort_block_merge_config_selectorIilEEZZNS1_27merge_sort_block_merge_implIS3_PiN6thrust23THRUST_200600_302600_NS10device_ptrIlEEjNS1_19radix_merge_compareILb0ELb1EiNS0_19identity_decomposerEEEEE10hipError_tT0_T1_T2_jT3_P12ihipStream_tbPNSt15iterator_traitsISG_E10value_typeEPNSM_ISH_E10value_typeEPSI_NS1_7vsmem_tEENKUlT_SG_SH_SI_E_clIS7_S7_SB_PlEESF_SV_SG_SH_SI_EUlSV_E_NS1_11comp_targetILNS1_3genE4ELNS1_11target_archE910ELNS1_3gpuE8ELNS1_3repE0EEENS1_48merge_mergepath_partition_config_static_selectorELNS0_4arch9wavefront6targetE1EEEvSH_
; %bb.0:
	.section	.rodata,"a",@progbits
	.p2align	6, 0x0
	.amdhsa_kernel _ZN7rocprim17ROCPRIM_400000_NS6detail17trampoline_kernelINS0_14default_configENS1_38merge_sort_block_merge_config_selectorIilEEZZNS1_27merge_sort_block_merge_implIS3_PiN6thrust23THRUST_200600_302600_NS10device_ptrIlEEjNS1_19radix_merge_compareILb0ELb1EiNS0_19identity_decomposerEEEEE10hipError_tT0_T1_T2_jT3_P12ihipStream_tbPNSt15iterator_traitsISG_E10value_typeEPNSM_ISH_E10value_typeEPSI_NS1_7vsmem_tEENKUlT_SG_SH_SI_E_clIS7_S7_SB_PlEESF_SV_SG_SH_SI_EUlSV_E_NS1_11comp_targetILNS1_3genE4ELNS1_11target_archE910ELNS1_3gpuE8ELNS1_3repE0EEENS1_48merge_mergepath_partition_config_static_selectorELNS0_4arch9wavefront6targetE1EEEvSH_
		.amdhsa_group_segment_fixed_size 0
		.amdhsa_private_segment_fixed_size 0
		.amdhsa_kernarg_size 40
		.amdhsa_user_sgpr_count 6
		.amdhsa_user_sgpr_private_segment_buffer 1
		.amdhsa_user_sgpr_dispatch_ptr 0
		.amdhsa_user_sgpr_queue_ptr 0
		.amdhsa_user_sgpr_kernarg_segment_ptr 1
		.amdhsa_user_sgpr_dispatch_id 0
		.amdhsa_user_sgpr_flat_scratch_init 0
		.amdhsa_user_sgpr_private_segment_size 0
		.amdhsa_uses_dynamic_stack 0
		.amdhsa_system_sgpr_private_segment_wavefront_offset 0
		.amdhsa_system_sgpr_workgroup_id_x 1
		.amdhsa_system_sgpr_workgroup_id_y 0
		.amdhsa_system_sgpr_workgroup_id_z 0
		.amdhsa_system_sgpr_workgroup_info 0
		.amdhsa_system_vgpr_workitem_id 0
		.amdhsa_next_free_vgpr 1
		.amdhsa_next_free_sgpr 0
		.amdhsa_reserve_vcc 0
		.amdhsa_reserve_flat_scratch 0
		.amdhsa_float_round_mode_32 0
		.amdhsa_float_round_mode_16_64 0
		.amdhsa_float_denorm_mode_32 3
		.amdhsa_float_denorm_mode_16_64 3
		.amdhsa_dx10_clamp 1
		.amdhsa_ieee_mode 1
		.amdhsa_fp16_overflow 0
		.amdhsa_exception_fp_ieee_invalid_op 0
		.amdhsa_exception_fp_denorm_src 0
		.amdhsa_exception_fp_ieee_div_zero 0
		.amdhsa_exception_fp_ieee_overflow 0
		.amdhsa_exception_fp_ieee_underflow 0
		.amdhsa_exception_fp_ieee_inexact 0
		.amdhsa_exception_int_div_zero 0
	.end_amdhsa_kernel
	.section	.text._ZN7rocprim17ROCPRIM_400000_NS6detail17trampoline_kernelINS0_14default_configENS1_38merge_sort_block_merge_config_selectorIilEEZZNS1_27merge_sort_block_merge_implIS3_PiN6thrust23THRUST_200600_302600_NS10device_ptrIlEEjNS1_19radix_merge_compareILb0ELb1EiNS0_19identity_decomposerEEEEE10hipError_tT0_T1_T2_jT3_P12ihipStream_tbPNSt15iterator_traitsISG_E10value_typeEPNSM_ISH_E10value_typeEPSI_NS1_7vsmem_tEENKUlT_SG_SH_SI_E_clIS7_S7_SB_PlEESF_SV_SG_SH_SI_EUlSV_E_NS1_11comp_targetILNS1_3genE4ELNS1_11target_archE910ELNS1_3gpuE8ELNS1_3repE0EEENS1_48merge_mergepath_partition_config_static_selectorELNS0_4arch9wavefront6targetE1EEEvSH_,"axG",@progbits,_ZN7rocprim17ROCPRIM_400000_NS6detail17trampoline_kernelINS0_14default_configENS1_38merge_sort_block_merge_config_selectorIilEEZZNS1_27merge_sort_block_merge_implIS3_PiN6thrust23THRUST_200600_302600_NS10device_ptrIlEEjNS1_19radix_merge_compareILb0ELb1EiNS0_19identity_decomposerEEEEE10hipError_tT0_T1_T2_jT3_P12ihipStream_tbPNSt15iterator_traitsISG_E10value_typeEPNSM_ISH_E10value_typeEPSI_NS1_7vsmem_tEENKUlT_SG_SH_SI_E_clIS7_S7_SB_PlEESF_SV_SG_SH_SI_EUlSV_E_NS1_11comp_targetILNS1_3genE4ELNS1_11target_archE910ELNS1_3gpuE8ELNS1_3repE0EEENS1_48merge_mergepath_partition_config_static_selectorELNS0_4arch9wavefront6targetE1EEEvSH_,comdat
.Lfunc_end827:
	.size	_ZN7rocprim17ROCPRIM_400000_NS6detail17trampoline_kernelINS0_14default_configENS1_38merge_sort_block_merge_config_selectorIilEEZZNS1_27merge_sort_block_merge_implIS3_PiN6thrust23THRUST_200600_302600_NS10device_ptrIlEEjNS1_19radix_merge_compareILb0ELb1EiNS0_19identity_decomposerEEEEE10hipError_tT0_T1_T2_jT3_P12ihipStream_tbPNSt15iterator_traitsISG_E10value_typeEPNSM_ISH_E10value_typeEPSI_NS1_7vsmem_tEENKUlT_SG_SH_SI_E_clIS7_S7_SB_PlEESF_SV_SG_SH_SI_EUlSV_E_NS1_11comp_targetILNS1_3genE4ELNS1_11target_archE910ELNS1_3gpuE8ELNS1_3repE0EEENS1_48merge_mergepath_partition_config_static_selectorELNS0_4arch9wavefront6targetE1EEEvSH_, .Lfunc_end827-_ZN7rocprim17ROCPRIM_400000_NS6detail17trampoline_kernelINS0_14default_configENS1_38merge_sort_block_merge_config_selectorIilEEZZNS1_27merge_sort_block_merge_implIS3_PiN6thrust23THRUST_200600_302600_NS10device_ptrIlEEjNS1_19radix_merge_compareILb0ELb1EiNS0_19identity_decomposerEEEEE10hipError_tT0_T1_T2_jT3_P12ihipStream_tbPNSt15iterator_traitsISG_E10value_typeEPNSM_ISH_E10value_typeEPSI_NS1_7vsmem_tEENKUlT_SG_SH_SI_E_clIS7_S7_SB_PlEESF_SV_SG_SH_SI_EUlSV_E_NS1_11comp_targetILNS1_3genE4ELNS1_11target_archE910ELNS1_3gpuE8ELNS1_3repE0EEENS1_48merge_mergepath_partition_config_static_selectorELNS0_4arch9wavefront6targetE1EEEvSH_
                                        ; -- End function
	.set _ZN7rocprim17ROCPRIM_400000_NS6detail17trampoline_kernelINS0_14default_configENS1_38merge_sort_block_merge_config_selectorIilEEZZNS1_27merge_sort_block_merge_implIS3_PiN6thrust23THRUST_200600_302600_NS10device_ptrIlEEjNS1_19radix_merge_compareILb0ELb1EiNS0_19identity_decomposerEEEEE10hipError_tT0_T1_T2_jT3_P12ihipStream_tbPNSt15iterator_traitsISG_E10value_typeEPNSM_ISH_E10value_typeEPSI_NS1_7vsmem_tEENKUlT_SG_SH_SI_E_clIS7_S7_SB_PlEESF_SV_SG_SH_SI_EUlSV_E_NS1_11comp_targetILNS1_3genE4ELNS1_11target_archE910ELNS1_3gpuE8ELNS1_3repE0EEENS1_48merge_mergepath_partition_config_static_selectorELNS0_4arch9wavefront6targetE1EEEvSH_.num_vgpr, 0
	.set _ZN7rocprim17ROCPRIM_400000_NS6detail17trampoline_kernelINS0_14default_configENS1_38merge_sort_block_merge_config_selectorIilEEZZNS1_27merge_sort_block_merge_implIS3_PiN6thrust23THRUST_200600_302600_NS10device_ptrIlEEjNS1_19radix_merge_compareILb0ELb1EiNS0_19identity_decomposerEEEEE10hipError_tT0_T1_T2_jT3_P12ihipStream_tbPNSt15iterator_traitsISG_E10value_typeEPNSM_ISH_E10value_typeEPSI_NS1_7vsmem_tEENKUlT_SG_SH_SI_E_clIS7_S7_SB_PlEESF_SV_SG_SH_SI_EUlSV_E_NS1_11comp_targetILNS1_3genE4ELNS1_11target_archE910ELNS1_3gpuE8ELNS1_3repE0EEENS1_48merge_mergepath_partition_config_static_selectorELNS0_4arch9wavefront6targetE1EEEvSH_.num_agpr, 0
	.set _ZN7rocprim17ROCPRIM_400000_NS6detail17trampoline_kernelINS0_14default_configENS1_38merge_sort_block_merge_config_selectorIilEEZZNS1_27merge_sort_block_merge_implIS3_PiN6thrust23THRUST_200600_302600_NS10device_ptrIlEEjNS1_19radix_merge_compareILb0ELb1EiNS0_19identity_decomposerEEEEE10hipError_tT0_T1_T2_jT3_P12ihipStream_tbPNSt15iterator_traitsISG_E10value_typeEPNSM_ISH_E10value_typeEPSI_NS1_7vsmem_tEENKUlT_SG_SH_SI_E_clIS7_S7_SB_PlEESF_SV_SG_SH_SI_EUlSV_E_NS1_11comp_targetILNS1_3genE4ELNS1_11target_archE910ELNS1_3gpuE8ELNS1_3repE0EEENS1_48merge_mergepath_partition_config_static_selectorELNS0_4arch9wavefront6targetE1EEEvSH_.numbered_sgpr, 0
	.set _ZN7rocprim17ROCPRIM_400000_NS6detail17trampoline_kernelINS0_14default_configENS1_38merge_sort_block_merge_config_selectorIilEEZZNS1_27merge_sort_block_merge_implIS3_PiN6thrust23THRUST_200600_302600_NS10device_ptrIlEEjNS1_19radix_merge_compareILb0ELb1EiNS0_19identity_decomposerEEEEE10hipError_tT0_T1_T2_jT3_P12ihipStream_tbPNSt15iterator_traitsISG_E10value_typeEPNSM_ISH_E10value_typeEPSI_NS1_7vsmem_tEENKUlT_SG_SH_SI_E_clIS7_S7_SB_PlEESF_SV_SG_SH_SI_EUlSV_E_NS1_11comp_targetILNS1_3genE4ELNS1_11target_archE910ELNS1_3gpuE8ELNS1_3repE0EEENS1_48merge_mergepath_partition_config_static_selectorELNS0_4arch9wavefront6targetE1EEEvSH_.num_named_barrier, 0
	.set _ZN7rocprim17ROCPRIM_400000_NS6detail17trampoline_kernelINS0_14default_configENS1_38merge_sort_block_merge_config_selectorIilEEZZNS1_27merge_sort_block_merge_implIS3_PiN6thrust23THRUST_200600_302600_NS10device_ptrIlEEjNS1_19radix_merge_compareILb0ELb1EiNS0_19identity_decomposerEEEEE10hipError_tT0_T1_T2_jT3_P12ihipStream_tbPNSt15iterator_traitsISG_E10value_typeEPNSM_ISH_E10value_typeEPSI_NS1_7vsmem_tEENKUlT_SG_SH_SI_E_clIS7_S7_SB_PlEESF_SV_SG_SH_SI_EUlSV_E_NS1_11comp_targetILNS1_3genE4ELNS1_11target_archE910ELNS1_3gpuE8ELNS1_3repE0EEENS1_48merge_mergepath_partition_config_static_selectorELNS0_4arch9wavefront6targetE1EEEvSH_.private_seg_size, 0
	.set _ZN7rocprim17ROCPRIM_400000_NS6detail17trampoline_kernelINS0_14default_configENS1_38merge_sort_block_merge_config_selectorIilEEZZNS1_27merge_sort_block_merge_implIS3_PiN6thrust23THRUST_200600_302600_NS10device_ptrIlEEjNS1_19radix_merge_compareILb0ELb1EiNS0_19identity_decomposerEEEEE10hipError_tT0_T1_T2_jT3_P12ihipStream_tbPNSt15iterator_traitsISG_E10value_typeEPNSM_ISH_E10value_typeEPSI_NS1_7vsmem_tEENKUlT_SG_SH_SI_E_clIS7_S7_SB_PlEESF_SV_SG_SH_SI_EUlSV_E_NS1_11comp_targetILNS1_3genE4ELNS1_11target_archE910ELNS1_3gpuE8ELNS1_3repE0EEENS1_48merge_mergepath_partition_config_static_selectorELNS0_4arch9wavefront6targetE1EEEvSH_.uses_vcc, 0
	.set _ZN7rocprim17ROCPRIM_400000_NS6detail17trampoline_kernelINS0_14default_configENS1_38merge_sort_block_merge_config_selectorIilEEZZNS1_27merge_sort_block_merge_implIS3_PiN6thrust23THRUST_200600_302600_NS10device_ptrIlEEjNS1_19radix_merge_compareILb0ELb1EiNS0_19identity_decomposerEEEEE10hipError_tT0_T1_T2_jT3_P12ihipStream_tbPNSt15iterator_traitsISG_E10value_typeEPNSM_ISH_E10value_typeEPSI_NS1_7vsmem_tEENKUlT_SG_SH_SI_E_clIS7_S7_SB_PlEESF_SV_SG_SH_SI_EUlSV_E_NS1_11comp_targetILNS1_3genE4ELNS1_11target_archE910ELNS1_3gpuE8ELNS1_3repE0EEENS1_48merge_mergepath_partition_config_static_selectorELNS0_4arch9wavefront6targetE1EEEvSH_.uses_flat_scratch, 0
	.set _ZN7rocprim17ROCPRIM_400000_NS6detail17trampoline_kernelINS0_14default_configENS1_38merge_sort_block_merge_config_selectorIilEEZZNS1_27merge_sort_block_merge_implIS3_PiN6thrust23THRUST_200600_302600_NS10device_ptrIlEEjNS1_19radix_merge_compareILb0ELb1EiNS0_19identity_decomposerEEEEE10hipError_tT0_T1_T2_jT3_P12ihipStream_tbPNSt15iterator_traitsISG_E10value_typeEPNSM_ISH_E10value_typeEPSI_NS1_7vsmem_tEENKUlT_SG_SH_SI_E_clIS7_S7_SB_PlEESF_SV_SG_SH_SI_EUlSV_E_NS1_11comp_targetILNS1_3genE4ELNS1_11target_archE910ELNS1_3gpuE8ELNS1_3repE0EEENS1_48merge_mergepath_partition_config_static_selectorELNS0_4arch9wavefront6targetE1EEEvSH_.has_dyn_sized_stack, 0
	.set _ZN7rocprim17ROCPRIM_400000_NS6detail17trampoline_kernelINS0_14default_configENS1_38merge_sort_block_merge_config_selectorIilEEZZNS1_27merge_sort_block_merge_implIS3_PiN6thrust23THRUST_200600_302600_NS10device_ptrIlEEjNS1_19radix_merge_compareILb0ELb1EiNS0_19identity_decomposerEEEEE10hipError_tT0_T1_T2_jT3_P12ihipStream_tbPNSt15iterator_traitsISG_E10value_typeEPNSM_ISH_E10value_typeEPSI_NS1_7vsmem_tEENKUlT_SG_SH_SI_E_clIS7_S7_SB_PlEESF_SV_SG_SH_SI_EUlSV_E_NS1_11comp_targetILNS1_3genE4ELNS1_11target_archE910ELNS1_3gpuE8ELNS1_3repE0EEENS1_48merge_mergepath_partition_config_static_selectorELNS0_4arch9wavefront6targetE1EEEvSH_.has_recursion, 0
	.set _ZN7rocprim17ROCPRIM_400000_NS6detail17trampoline_kernelINS0_14default_configENS1_38merge_sort_block_merge_config_selectorIilEEZZNS1_27merge_sort_block_merge_implIS3_PiN6thrust23THRUST_200600_302600_NS10device_ptrIlEEjNS1_19radix_merge_compareILb0ELb1EiNS0_19identity_decomposerEEEEE10hipError_tT0_T1_T2_jT3_P12ihipStream_tbPNSt15iterator_traitsISG_E10value_typeEPNSM_ISH_E10value_typeEPSI_NS1_7vsmem_tEENKUlT_SG_SH_SI_E_clIS7_S7_SB_PlEESF_SV_SG_SH_SI_EUlSV_E_NS1_11comp_targetILNS1_3genE4ELNS1_11target_archE910ELNS1_3gpuE8ELNS1_3repE0EEENS1_48merge_mergepath_partition_config_static_selectorELNS0_4arch9wavefront6targetE1EEEvSH_.has_indirect_call, 0
	.section	.AMDGPU.csdata,"",@progbits
; Kernel info:
; codeLenInByte = 0
; TotalNumSgprs: 4
; NumVgprs: 0
; ScratchSize: 0
; MemoryBound: 0
; FloatMode: 240
; IeeeMode: 1
; LDSByteSize: 0 bytes/workgroup (compile time only)
; SGPRBlocks: 0
; VGPRBlocks: 0
; NumSGPRsForWavesPerEU: 4
; NumVGPRsForWavesPerEU: 1
; Occupancy: 10
; WaveLimiterHint : 0
; COMPUTE_PGM_RSRC2:SCRATCH_EN: 0
; COMPUTE_PGM_RSRC2:USER_SGPR: 6
; COMPUTE_PGM_RSRC2:TRAP_HANDLER: 0
; COMPUTE_PGM_RSRC2:TGID_X_EN: 1
; COMPUTE_PGM_RSRC2:TGID_Y_EN: 0
; COMPUTE_PGM_RSRC2:TGID_Z_EN: 0
; COMPUTE_PGM_RSRC2:TIDIG_COMP_CNT: 0
	.section	.text._ZN7rocprim17ROCPRIM_400000_NS6detail17trampoline_kernelINS0_14default_configENS1_38merge_sort_block_merge_config_selectorIilEEZZNS1_27merge_sort_block_merge_implIS3_PiN6thrust23THRUST_200600_302600_NS10device_ptrIlEEjNS1_19radix_merge_compareILb0ELb1EiNS0_19identity_decomposerEEEEE10hipError_tT0_T1_T2_jT3_P12ihipStream_tbPNSt15iterator_traitsISG_E10value_typeEPNSM_ISH_E10value_typeEPSI_NS1_7vsmem_tEENKUlT_SG_SH_SI_E_clIS7_S7_SB_PlEESF_SV_SG_SH_SI_EUlSV_E_NS1_11comp_targetILNS1_3genE3ELNS1_11target_archE908ELNS1_3gpuE7ELNS1_3repE0EEENS1_48merge_mergepath_partition_config_static_selectorELNS0_4arch9wavefront6targetE1EEEvSH_,"axG",@progbits,_ZN7rocprim17ROCPRIM_400000_NS6detail17trampoline_kernelINS0_14default_configENS1_38merge_sort_block_merge_config_selectorIilEEZZNS1_27merge_sort_block_merge_implIS3_PiN6thrust23THRUST_200600_302600_NS10device_ptrIlEEjNS1_19radix_merge_compareILb0ELb1EiNS0_19identity_decomposerEEEEE10hipError_tT0_T1_T2_jT3_P12ihipStream_tbPNSt15iterator_traitsISG_E10value_typeEPNSM_ISH_E10value_typeEPSI_NS1_7vsmem_tEENKUlT_SG_SH_SI_E_clIS7_S7_SB_PlEESF_SV_SG_SH_SI_EUlSV_E_NS1_11comp_targetILNS1_3genE3ELNS1_11target_archE908ELNS1_3gpuE7ELNS1_3repE0EEENS1_48merge_mergepath_partition_config_static_selectorELNS0_4arch9wavefront6targetE1EEEvSH_,comdat
	.protected	_ZN7rocprim17ROCPRIM_400000_NS6detail17trampoline_kernelINS0_14default_configENS1_38merge_sort_block_merge_config_selectorIilEEZZNS1_27merge_sort_block_merge_implIS3_PiN6thrust23THRUST_200600_302600_NS10device_ptrIlEEjNS1_19radix_merge_compareILb0ELb1EiNS0_19identity_decomposerEEEEE10hipError_tT0_T1_T2_jT3_P12ihipStream_tbPNSt15iterator_traitsISG_E10value_typeEPNSM_ISH_E10value_typeEPSI_NS1_7vsmem_tEENKUlT_SG_SH_SI_E_clIS7_S7_SB_PlEESF_SV_SG_SH_SI_EUlSV_E_NS1_11comp_targetILNS1_3genE3ELNS1_11target_archE908ELNS1_3gpuE7ELNS1_3repE0EEENS1_48merge_mergepath_partition_config_static_selectorELNS0_4arch9wavefront6targetE1EEEvSH_ ; -- Begin function _ZN7rocprim17ROCPRIM_400000_NS6detail17trampoline_kernelINS0_14default_configENS1_38merge_sort_block_merge_config_selectorIilEEZZNS1_27merge_sort_block_merge_implIS3_PiN6thrust23THRUST_200600_302600_NS10device_ptrIlEEjNS1_19radix_merge_compareILb0ELb1EiNS0_19identity_decomposerEEEEE10hipError_tT0_T1_T2_jT3_P12ihipStream_tbPNSt15iterator_traitsISG_E10value_typeEPNSM_ISH_E10value_typeEPSI_NS1_7vsmem_tEENKUlT_SG_SH_SI_E_clIS7_S7_SB_PlEESF_SV_SG_SH_SI_EUlSV_E_NS1_11comp_targetILNS1_3genE3ELNS1_11target_archE908ELNS1_3gpuE7ELNS1_3repE0EEENS1_48merge_mergepath_partition_config_static_selectorELNS0_4arch9wavefront6targetE1EEEvSH_
	.globl	_ZN7rocprim17ROCPRIM_400000_NS6detail17trampoline_kernelINS0_14default_configENS1_38merge_sort_block_merge_config_selectorIilEEZZNS1_27merge_sort_block_merge_implIS3_PiN6thrust23THRUST_200600_302600_NS10device_ptrIlEEjNS1_19radix_merge_compareILb0ELb1EiNS0_19identity_decomposerEEEEE10hipError_tT0_T1_T2_jT3_P12ihipStream_tbPNSt15iterator_traitsISG_E10value_typeEPNSM_ISH_E10value_typeEPSI_NS1_7vsmem_tEENKUlT_SG_SH_SI_E_clIS7_S7_SB_PlEESF_SV_SG_SH_SI_EUlSV_E_NS1_11comp_targetILNS1_3genE3ELNS1_11target_archE908ELNS1_3gpuE7ELNS1_3repE0EEENS1_48merge_mergepath_partition_config_static_selectorELNS0_4arch9wavefront6targetE1EEEvSH_
	.p2align	8
	.type	_ZN7rocprim17ROCPRIM_400000_NS6detail17trampoline_kernelINS0_14default_configENS1_38merge_sort_block_merge_config_selectorIilEEZZNS1_27merge_sort_block_merge_implIS3_PiN6thrust23THRUST_200600_302600_NS10device_ptrIlEEjNS1_19radix_merge_compareILb0ELb1EiNS0_19identity_decomposerEEEEE10hipError_tT0_T1_T2_jT3_P12ihipStream_tbPNSt15iterator_traitsISG_E10value_typeEPNSM_ISH_E10value_typeEPSI_NS1_7vsmem_tEENKUlT_SG_SH_SI_E_clIS7_S7_SB_PlEESF_SV_SG_SH_SI_EUlSV_E_NS1_11comp_targetILNS1_3genE3ELNS1_11target_archE908ELNS1_3gpuE7ELNS1_3repE0EEENS1_48merge_mergepath_partition_config_static_selectorELNS0_4arch9wavefront6targetE1EEEvSH_,@function
_ZN7rocprim17ROCPRIM_400000_NS6detail17trampoline_kernelINS0_14default_configENS1_38merge_sort_block_merge_config_selectorIilEEZZNS1_27merge_sort_block_merge_implIS3_PiN6thrust23THRUST_200600_302600_NS10device_ptrIlEEjNS1_19radix_merge_compareILb0ELb1EiNS0_19identity_decomposerEEEEE10hipError_tT0_T1_T2_jT3_P12ihipStream_tbPNSt15iterator_traitsISG_E10value_typeEPNSM_ISH_E10value_typeEPSI_NS1_7vsmem_tEENKUlT_SG_SH_SI_E_clIS7_S7_SB_PlEESF_SV_SG_SH_SI_EUlSV_E_NS1_11comp_targetILNS1_3genE3ELNS1_11target_archE908ELNS1_3gpuE7ELNS1_3repE0EEENS1_48merge_mergepath_partition_config_static_selectorELNS0_4arch9wavefront6targetE1EEEvSH_: ; @_ZN7rocprim17ROCPRIM_400000_NS6detail17trampoline_kernelINS0_14default_configENS1_38merge_sort_block_merge_config_selectorIilEEZZNS1_27merge_sort_block_merge_implIS3_PiN6thrust23THRUST_200600_302600_NS10device_ptrIlEEjNS1_19radix_merge_compareILb0ELb1EiNS0_19identity_decomposerEEEEE10hipError_tT0_T1_T2_jT3_P12ihipStream_tbPNSt15iterator_traitsISG_E10value_typeEPNSM_ISH_E10value_typeEPSI_NS1_7vsmem_tEENKUlT_SG_SH_SI_E_clIS7_S7_SB_PlEESF_SV_SG_SH_SI_EUlSV_E_NS1_11comp_targetILNS1_3genE3ELNS1_11target_archE908ELNS1_3gpuE7ELNS1_3repE0EEENS1_48merge_mergepath_partition_config_static_selectorELNS0_4arch9wavefront6targetE1EEEvSH_
; %bb.0:
	.section	.rodata,"a",@progbits
	.p2align	6, 0x0
	.amdhsa_kernel _ZN7rocprim17ROCPRIM_400000_NS6detail17trampoline_kernelINS0_14default_configENS1_38merge_sort_block_merge_config_selectorIilEEZZNS1_27merge_sort_block_merge_implIS3_PiN6thrust23THRUST_200600_302600_NS10device_ptrIlEEjNS1_19radix_merge_compareILb0ELb1EiNS0_19identity_decomposerEEEEE10hipError_tT0_T1_T2_jT3_P12ihipStream_tbPNSt15iterator_traitsISG_E10value_typeEPNSM_ISH_E10value_typeEPSI_NS1_7vsmem_tEENKUlT_SG_SH_SI_E_clIS7_S7_SB_PlEESF_SV_SG_SH_SI_EUlSV_E_NS1_11comp_targetILNS1_3genE3ELNS1_11target_archE908ELNS1_3gpuE7ELNS1_3repE0EEENS1_48merge_mergepath_partition_config_static_selectorELNS0_4arch9wavefront6targetE1EEEvSH_
		.amdhsa_group_segment_fixed_size 0
		.amdhsa_private_segment_fixed_size 0
		.amdhsa_kernarg_size 40
		.amdhsa_user_sgpr_count 6
		.amdhsa_user_sgpr_private_segment_buffer 1
		.amdhsa_user_sgpr_dispatch_ptr 0
		.amdhsa_user_sgpr_queue_ptr 0
		.amdhsa_user_sgpr_kernarg_segment_ptr 1
		.amdhsa_user_sgpr_dispatch_id 0
		.amdhsa_user_sgpr_flat_scratch_init 0
		.amdhsa_user_sgpr_private_segment_size 0
		.amdhsa_uses_dynamic_stack 0
		.amdhsa_system_sgpr_private_segment_wavefront_offset 0
		.amdhsa_system_sgpr_workgroup_id_x 1
		.amdhsa_system_sgpr_workgroup_id_y 0
		.amdhsa_system_sgpr_workgroup_id_z 0
		.amdhsa_system_sgpr_workgroup_info 0
		.amdhsa_system_vgpr_workitem_id 0
		.amdhsa_next_free_vgpr 1
		.amdhsa_next_free_sgpr 0
		.amdhsa_reserve_vcc 0
		.amdhsa_reserve_flat_scratch 0
		.amdhsa_float_round_mode_32 0
		.amdhsa_float_round_mode_16_64 0
		.amdhsa_float_denorm_mode_32 3
		.amdhsa_float_denorm_mode_16_64 3
		.amdhsa_dx10_clamp 1
		.amdhsa_ieee_mode 1
		.amdhsa_fp16_overflow 0
		.amdhsa_exception_fp_ieee_invalid_op 0
		.amdhsa_exception_fp_denorm_src 0
		.amdhsa_exception_fp_ieee_div_zero 0
		.amdhsa_exception_fp_ieee_overflow 0
		.amdhsa_exception_fp_ieee_underflow 0
		.amdhsa_exception_fp_ieee_inexact 0
		.amdhsa_exception_int_div_zero 0
	.end_amdhsa_kernel
	.section	.text._ZN7rocprim17ROCPRIM_400000_NS6detail17trampoline_kernelINS0_14default_configENS1_38merge_sort_block_merge_config_selectorIilEEZZNS1_27merge_sort_block_merge_implIS3_PiN6thrust23THRUST_200600_302600_NS10device_ptrIlEEjNS1_19radix_merge_compareILb0ELb1EiNS0_19identity_decomposerEEEEE10hipError_tT0_T1_T2_jT3_P12ihipStream_tbPNSt15iterator_traitsISG_E10value_typeEPNSM_ISH_E10value_typeEPSI_NS1_7vsmem_tEENKUlT_SG_SH_SI_E_clIS7_S7_SB_PlEESF_SV_SG_SH_SI_EUlSV_E_NS1_11comp_targetILNS1_3genE3ELNS1_11target_archE908ELNS1_3gpuE7ELNS1_3repE0EEENS1_48merge_mergepath_partition_config_static_selectorELNS0_4arch9wavefront6targetE1EEEvSH_,"axG",@progbits,_ZN7rocprim17ROCPRIM_400000_NS6detail17trampoline_kernelINS0_14default_configENS1_38merge_sort_block_merge_config_selectorIilEEZZNS1_27merge_sort_block_merge_implIS3_PiN6thrust23THRUST_200600_302600_NS10device_ptrIlEEjNS1_19radix_merge_compareILb0ELb1EiNS0_19identity_decomposerEEEEE10hipError_tT0_T1_T2_jT3_P12ihipStream_tbPNSt15iterator_traitsISG_E10value_typeEPNSM_ISH_E10value_typeEPSI_NS1_7vsmem_tEENKUlT_SG_SH_SI_E_clIS7_S7_SB_PlEESF_SV_SG_SH_SI_EUlSV_E_NS1_11comp_targetILNS1_3genE3ELNS1_11target_archE908ELNS1_3gpuE7ELNS1_3repE0EEENS1_48merge_mergepath_partition_config_static_selectorELNS0_4arch9wavefront6targetE1EEEvSH_,comdat
.Lfunc_end828:
	.size	_ZN7rocprim17ROCPRIM_400000_NS6detail17trampoline_kernelINS0_14default_configENS1_38merge_sort_block_merge_config_selectorIilEEZZNS1_27merge_sort_block_merge_implIS3_PiN6thrust23THRUST_200600_302600_NS10device_ptrIlEEjNS1_19radix_merge_compareILb0ELb1EiNS0_19identity_decomposerEEEEE10hipError_tT0_T1_T2_jT3_P12ihipStream_tbPNSt15iterator_traitsISG_E10value_typeEPNSM_ISH_E10value_typeEPSI_NS1_7vsmem_tEENKUlT_SG_SH_SI_E_clIS7_S7_SB_PlEESF_SV_SG_SH_SI_EUlSV_E_NS1_11comp_targetILNS1_3genE3ELNS1_11target_archE908ELNS1_3gpuE7ELNS1_3repE0EEENS1_48merge_mergepath_partition_config_static_selectorELNS0_4arch9wavefront6targetE1EEEvSH_, .Lfunc_end828-_ZN7rocprim17ROCPRIM_400000_NS6detail17trampoline_kernelINS0_14default_configENS1_38merge_sort_block_merge_config_selectorIilEEZZNS1_27merge_sort_block_merge_implIS3_PiN6thrust23THRUST_200600_302600_NS10device_ptrIlEEjNS1_19radix_merge_compareILb0ELb1EiNS0_19identity_decomposerEEEEE10hipError_tT0_T1_T2_jT3_P12ihipStream_tbPNSt15iterator_traitsISG_E10value_typeEPNSM_ISH_E10value_typeEPSI_NS1_7vsmem_tEENKUlT_SG_SH_SI_E_clIS7_S7_SB_PlEESF_SV_SG_SH_SI_EUlSV_E_NS1_11comp_targetILNS1_3genE3ELNS1_11target_archE908ELNS1_3gpuE7ELNS1_3repE0EEENS1_48merge_mergepath_partition_config_static_selectorELNS0_4arch9wavefront6targetE1EEEvSH_
                                        ; -- End function
	.set _ZN7rocprim17ROCPRIM_400000_NS6detail17trampoline_kernelINS0_14default_configENS1_38merge_sort_block_merge_config_selectorIilEEZZNS1_27merge_sort_block_merge_implIS3_PiN6thrust23THRUST_200600_302600_NS10device_ptrIlEEjNS1_19radix_merge_compareILb0ELb1EiNS0_19identity_decomposerEEEEE10hipError_tT0_T1_T2_jT3_P12ihipStream_tbPNSt15iterator_traitsISG_E10value_typeEPNSM_ISH_E10value_typeEPSI_NS1_7vsmem_tEENKUlT_SG_SH_SI_E_clIS7_S7_SB_PlEESF_SV_SG_SH_SI_EUlSV_E_NS1_11comp_targetILNS1_3genE3ELNS1_11target_archE908ELNS1_3gpuE7ELNS1_3repE0EEENS1_48merge_mergepath_partition_config_static_selectorELNS0_4arch9wavefront6targetE1EEEvSH_.num_vgpr, 0
	.set _ZN7rocprim17ROCPRIM_400000_NS6detail17trampoline_kernelINS0_14default_configENS1_38merge_sort_block_merge_config_selectorIilEEZZNS1_27merge_sort_block_merge_implIS3_PiN6thrust23THRUST_200600_302600_NS10device_ptrIlEEjNS1_19radix_merge_compareILb0ELb1EiNS0_19identity_decomposerEEEEE10hipError_tT0_T1_T2_jT3_P12ihipStream_tbPNSt15iterator_traitsISG_E10value_typeEPNSM_ISH_E10value_typeEPSI_NS1_7vsmem_tEENKUlT_SG_SH_SI_E_clIS7_S7_SB_PlEESF_SV_SG_SH_SI_EUlSV_E_NS1_11comp_targetILNS1_3genE3ELNS1_11target_archE908ELNS1_3gpuE7ELNS1_3repE0EEENS1_48merge_mergepath_partition_config_static_selectorELNS0_4arch9wavefront6targetE1EEEvSH_.num_agpr, 0
	.set _ZN7rocprim17ROCPRIM_400000_NS6detail17trampoline_kernelINS0_14default_configENS1_38merge_sort_block_merge_config_selectorIilEEZZNS1_27merge_sort_block_merge_implIS3_PiN6thrust23THRUST_200600_302600_NS10device_ptrIlEEjNS1_19radix_merge_compareILb0ELb1EiNS0_19identity_decomposerEEEEE10hipError_tT0_T1_T2_jT3_P12ihipStream_tbPNSt15iterator_traitsISG_E10value_typeEPNSM_ISH_E10value_typeEPSI_NS1_7vsmem_tEENKUlT_SG_SH_SI_E_clIS7_S7_SB_PlEESF_SV_SG_SH_SI_EUlSV_E_NS1_11comp_targetILNS1_3genE3ELNS1_11target_archE908ELNS1_3gpuE7ELNS1_3repE0EEENS1_48merge_mergepath_partition_config_static_selectorELNS0_4arch9wavefront6targetE1EEEvSH_.numbered_sgpr, 0
	.set _ZN7rocprim17ROCPRIM_400000_NS6detail17trampoline_kernelINS0_14default_configENS1_38merge_sort_block_merge_config_selectorIilEEZZNS1_27merge_sort_block_merge_implIS3_PiN6thrust23THRUST_200600_302600_NS10device_ptrIlEEjNS1_19radix_merge_compareILb0ELb1EiNS0_19identity_decomposerEEEEE10hipError_tT0_T1_T2_jT3_P12ihipStream_tbPNSt15iterator_traitsISG_E10value_typeEPNSM_ISH_E10value_typeEPSI_NS1_7vsmem_tEENKUlT_SG_SH_SI_E_clIS7_S7_SB_PlEESF_SV_SG_SH_SI_EUlSV_E_NS1_11comp_targetILNS1_3genE3ELNS1_11target_archE908ELNS1_3gpuE7ELNS1_3repE0EEENS1_48merge_mergepath_partition_config_static_selectorELNS0_4arch9wavefront6targetE1EEEvSH_.num_named_barrier, 0
	.set _ZN7rocprim17ROCPRIM_400000_NS6detail17trampoline_kernelINS0_14default_configENS1_38merge_sort_block_merge_config_selectorIilEEZZNS1_27merge_sort_block_merge_implIS3_PiN6thrust23THRUST_200600_302600_NS10device_ptrIlEEjNS1_19radix_merge_compareILb0ELb1EiNS0_19identity_decomposerEEEEE10hipError_tT0_T1_T2_jT3_P12ihipStream_tbPNSt15iterator_traitsISG_E10value_typeEPNSM_ISH_E10value_typeEPSI_NS1_7vsmem_tEENKUlT_SG_SH_SI_E_clIS7_S7_SB_PlEESF_SV_SG_SH_SI_EUlSV_E_NS1_11comp_targetILNS1_3genE3ELNS1_11target_archE908ELNS1_3gpuE7ELNS1_3repE0EEENS1_48merge_mergepath_partition_config_static_selectorELNS0_4arch9wavefront6targetE1EEEvSH_.private_seg_size, 0
	.set _ZN7rocprim17ROCPRIM_400000_NS6detail17trampoline_kernelINS0_14default_configENS1_38merge_sort_block_merge_config_selectorIilEEZZNS1_27merge_sort_block_merge_implIS3_PiN6thrust23THRUST_200600_302600_NS10device_ptrIlEEjNS1_19radix_merge_compareILb0ELb1EiNS0_19identity_decomposerEEEEE10hipError_tT0_T1_T2_jT3_P12ihipStream_tbPNSt15iterator_traitsISG_E10value_typeEPNSM_ISH_E10value_typeEPSI_NS1_7vsmem_tEENKUlT_SG_SH_SI_E_clIS7_S7_SB_PlEESF_SV_SG_SH_SI_EUlSV_E_NS1_11comp_targetILNS1_3genE3ELNS1_11target_archE908ELNS1_3gpuE7ELNS1_3repE0EEENS1_48merge_mergepath_partition_config_static_selectorELNS0_4arch9wavefront6targetE1EEEvSH_.uses_vcc, 0
	.set _ZN7rocprim17ROCPRIM_400000_NS6detail17trampoline_kernelINS0_14default_configENS1_38merge_sort_block_merge_config_selectorIilEEZZNS1_27merge_sort_block_merge_implIS3_PiN6thrust23THRUST_200600_302600_NS10device_ptrIlEEjNS1_19radix_merge_compareILb0ELb1EiNS0_19identity_decomposerEEEEE10hipError_tT0_T1_T2_jT3_P12ihipStream_tbPNSt15iterator_traitsISG_E10value_typeEPNSM_ISH_E10value_typeEPSI_NS1_7vsmem_tEENKUlT_SG_SH_SI_E_clIS7_S7_SB_PlEESF_SV_SG_SH_SI_EUlSV_E_NS1_11comp_targetILNS1_3genE3ELNS1_11target_archE908ELNS1_3gpuE7ELNS1_3repE0EEENS1_48merge_mergepath_partition_config_static_selectorELNS0_4arch9wavefront6targetE1EEEvSH_.uses_flat_scratch, 0
	.set _ZN7rocprim17ROCPRIM_400000_NS6detail17trampoline_kernelINS0_14default_configENS1_38merge_sort_block_merge_config_selectorIilEEZZNS1_27merge_sort_block_merge_implIS3_PiN6thrust23THRUST_200600_302600_NS10device_ptrIlEEjNS1_19radix_merge_compareILb0ELb1EiNS0_19identity_decomposerEEEEE10hipError_tT0_T1_T2_jT3_P12ihipStream_tbPNSt15iterator_traitsISG_E10value_typeEPNSM_ISH_E10value_typeEPSI_NS1_7vsmem_tEENKUlT_SG_SH_SI_E_clIS7_S7_SB_PlEESF_SV_SG_SH_SI_EUlSV_E_NS1_11comp_targetILNS1_3genE3ELNS1_11target_archE908ELNS1_3gpuE7ELNS1_3repE0EEENS1_48merge_mergepath_partition_config_static_selectorELNS0_4arch9wavefront6targetE1EEEvSH_.has_dyn_sized_stack, 0
	.set _ZN7rocprim17ROCPRIM_400000_NS6detail17trampoline_kernelINS0_14default_configENS1_38merge_sort_block_merge_config_selectorIilEEZZNS1_27merge_sort_block_merge_implIS3_PiN6thrust23THRUST_200600_302600_NS10device_ptrIlEEjNS1_19radix_merge_compareILb0ELb1EiNS0_19identity_decomposerEEEEE10hipError_tT0_T1_T2_jT3_P12ihipStream_tbPNSt15iterator_traitsISG_E10value_typeEPNSM_ISH_E10value_typeEPSI_NS1_7vsmem_tEENKUlT_SG_SH_SI_E_clIS7_S7_SB_PlEESF_SV_SG_SH_SI_EUlSV_E_NS1_11comp_targetILNS1_3genE3ELNS1_11target_archE908ELNS1_3gpuE7ELNS1_3repE0EEENS1_48merge_mergepath_partition_config_static_selectorELNS0_4arch9wavefront6targetE1EEEvSH_.has_recursion, 0
	.set _ZN7rocprim17ROCPRIM_400000_NS6detail17trampoline_kernelINS0_14default_configENS1_38merge_sort_block_merge_config_selectorIilEEZZNS1_27merge_sort_block_merge_implIS3_PiN6thrust23THRUST_200600_302600_NS10device_ptrIlEEjNS1_19radix_merge_compareILb0ELb1EiNS0_19identity_decomposerEEEEE10hipError_tT0_T1_T2_jT3_P12ihipStream_tbPNSt15iterator_traitsISG_E10value_typeEPNSM_ISH_E10value_typeEPSI_NS1_7vsmem_tEENKUlT_SG_SH_SI_E_clIS7_S7_SB_PlEESF_SV_SG_SH_SI_EUlSV_E_NS1_11comp_targetILNS1_3genE3ELNS1_11target_archE908ELNS1_3gpuE7ELNS1_3repE0EEENS1_48merge_mergepath_partition_config_static_selectorELNS0_4arch9wavefront6targetE1EEEvSH_.has_indirect_call, 0
	.section	.AMDGPU.csdata,"",@progbits
; Kernel info:
; codeLenInByte = 0
; TotalNumSgprs: 4
; NumVgprs: 0
; ScratchSize: 0
; MemoryBound: 0
; FloatMode: 240
; IeeeMode: 1
; LDSByteSize: 0 bytes/workgroup (compile time only)
; SGPRBlocks: 0
; VGPRBlocks: 0
; NumSGPRsForWavesPerEU: 4
; NumVGPRsForWavesPerEU: 1
; Occupancy: 10
; WaveLimiterHint : 0
; COMPUTE_PGM_RSRC2:SCRATCH_EN: 0
; COMPUTE_PGM_RSRC2:USER_SGPR: 6
; COMPUTE_PGM_RSRC2:TRAP_HANDLER: 0
; COMPUTE_PGM_RSRC2:TGID_X_EN: 1
; COMPUTE_PGM_RSRC2:TGID_Y_EN: 0
; COMPUTE_PGM_RSRC2:TGID_Z_EN: 0
; COMPUTE_PGM_RSRC2:TIDIG_COMP_CNT: 0
	.section	.text._ZN7rocprim17ROCPRIM_400000_NS6detail17trampoline_kernelINS0_14default_configENS1_38merge_sort_block_merge_config_selectorIilEEZZNS1_27merge_sort_block_merge_implIS3_PiN6thrust23THRUST_200600_302600_NS10device_ptrIlEEjNS1_19radix_merge_compareILb0ELb1EiNS0_19identity_decomposerEEEEE10hipError_tT0_T1_T2_jT3_P12ihipStream_tbPNSt15iterator_traitsISG_E10value_typeEPNSM_ISH_E10value_typeEPSI_NS1_7vsmem_tEENKUlT_SG_SH_SI_E_clIS7_S7_SB_PlEESF_SV_SG_SH_SI_EUlSV_E_NS1_11comp_targetILNS1_3genE2ELNS1_11target_archE906ELNS1_3gpuE6ELNS1_3repE0EEENS1_48merge_mergepath_partition_config_static_selectorELNS0_4arch9wavefront6targetE1EEEvSH_,"axG",@progbits,_ZN7rocprim17ROCPRIM_400000_NS6detail17trampoline_kernelINS0_14default_configENS1_38merge_sort_block_merge_config_selectorIilEEZZNS1_27merge_sort_block_merge_implIS3_PiN6thrust23THRUST_200600_302600_NS10device_ptrIlEEjNS1_19radix_merge_compareILb0ELb1EiNS0_19identity_decomposerEEEEE10hipError_tT0_T1_T2_jT3_P12ihipStream_tbPNSt15iterator_traitsISG_E10value_typeEPNSM_ISH_E10value_typeEPSI_NS1_7vsmem_tEENKUlT_SG_SH_SI_E_clIS7_S7_SB_PlEESF_SV_SG_SH_SI_EUlSV_E_NS1_11comp_targetILNS1_3genE2ELNS1_11target_archE906ELNS1_3gpuE6ELNS1_3repE0EEENS1_48merge_mergepath_partition_config_static_selectorELNS0_4arch9wavefront6targetE1EEEvSH_,comdat
	.protected	_ZN7rocprim17ROCPRIM_400000_NS6detail17trampoline_kernelINS0_14default_configENS1_38merge_sort_block_merge_config_selectorIilEEZZNS1_27merge_sort_block_merge_implIS3_PiN6thrust23THRUST_200600_302600_NS10device_ptrIlEEjNS1_19radix_merge_compareILb0ELb1EiNS0_19identity_decomposerEEEEE10hipError_tT0_T1_T2_jT3_P12ihipStream_tbPNSt15iterator_traitsISG_E10value_typeEPNSM_ISH_E10value_typeEPSI_NS1_7vsmem_tEENKUlT_SG_SH_SI_E_clIS7_S7_SB_PlEESF_SV_SG_SH_SI_EUlSV_E_NS1_11comp_targetILNS1_3genE2ELNS1_11target_archE906ELNS1_3gpuE6ELNS1_3repE0EEENS1_48merge_mergepath_partition_config_static_selectorELNS0_4arch9wavefront6targetE1EEEvSH_ ; -- Begin function _ZN7rocprim17ROCPRIM_400000_NS6detail17trampoline_kernelINS0_14default_configENS1_38merge_sort_block_merge_config_selectorIilEEZZNS1_27merge_sort_block_merge_implIS3_PiN6thrust23THRUST_200600_302600_NS10device_ptrIlEEjNS1_19radix_merge_compareILb0ELb1EiNS0_19identity_decomposerEEEEE10hipError_tT0_T1_T2_jT3_P12ihipStream_tbPNSt15iterator_traitsISG_E10value_typeEPNSM_ISH_E10value_typeEPSI_NS1_7vsmem_tEENKUlT_SG_SH_SI_E_clIS7_S7_SB_PlEESF_SV_SG_SH_SI_EUlSV_E_NS1_11comp_targetILNS1_3genE2ELNS1_11target_archE906ELNS1_3gpuE6ELNS1_3repE0EEENS1_48merge_mergepath_partition_config_static_selectorELNS0_4arch9wavefront6targetE1EEEvSH_
	.globl	_ZN7rocprim17ROCPRIM_400000_NS6detail17trampoline_kernelINS0_14default_configENS1_38merge_sort_block_merge_config_selectorIilEEZZNS1_27merge_sort_block_merge_implIS3_PiN6thrust23THRUST_200600_302600_NS10device_ptrIlEEjNS1_19radix_merge_compareILb0ELb1EiNS0_19identity_decomposerEEEEE10hipError_tT0_T1_T2_jT3_P12ihipStream_tbPNSt15iterator_traitsISG_E10value_typeEPNSM_ISH_E10value_typeEPSI_NS1_7vsmem_tEENKUlT_SG_SH_SI_E_clIS7_S7_SB_PlEESF_SV_SG_SH_SI_EUlSV_E_NS1_11comp_targetILNS1_3genE2ELNS1_11target_archE906ELNS1_3gpuE6ELNS1_3repE0EEENS1_48merge_mergepath_partition_config_static_selectorELNS0_4arch9wavefront6targetE1EEEvSH_
	.p2align	8
	.type	_ZN7rocprim17ROCPRIM_400000_NS6detail17trampoline_kernelINS0_14default_configENS1_38merge_sort_block_merge_config_selectorIilEEZZNS1_27merge_sort_block_merge_implIS3_PiN6thrust23THRUST_200600_302600_NS10device_ptrIlEEjNS1_19radix_merge_compareILb0ELb1EiNS0_19identity_decomposerEEEEE10hipError_tT0_T1_T2_jT3_P12ihipStream_tbPNSt15iterator_traitsISG_E10value_typeEPNSM_ISH_E10value_typeEPSI_NS1_7vsmem_tEENKUlT_SG_SH_SI_E_clIS7_S7_SB_PlEESF_SV_SG_SH_SI_EUlSV_E_NS1_11comp_targetILNS1_3genE2ELNS1_11target_archE906ELNS1_3gpuE6ELNS1_3repE0EEENS1_48merge_mergepath_partition_config_static_selectorELNS0_4arch9wavefront6targetE1EEEvSH_,@function
_ZN7rocprim17ROCPRIM_400000_NS6detail17trampoline_kernelINS0_14default_configENS1_38merge_sort_block_merge_config_selectorIilEEZZNS1_27merge_sort_block_merge_implIS3_PiN6thrust23THRUST_200600_302600_NS10device_ptrIlEEjNS1_19radix_merge_compareILb0ELb1EiNS0_19identity_decomposerEEEEE10hipError_tT0_T1_T2_jT3_P12ihipStream_tbPNSt15iterator_traitsISG_E10value_typeEPNSM_ISH_E10value_typeEPSI_NS1_7vsmem_tEENKUlT_SG_SH_SI_E_clIS7_S7_SB_PlEESF_SV_SG_SH_SI_EUlSV_E_NS1_11comp_targetILNS1_3genE2ELNS1_11target_archE906ELNS1_3gpuE6ELNS1_3repE0EEENS1_48merge_mergepath_partition_config_static_selectorELNS0_4arch9wavefront6targetE1EEEvSH_: ; @_ZN7rocprim17ROCPRIM_400000_NS6detail17trampoline_kernelINS0_14default_configENS1_38merge_sort_block_merge_config_selectorIilEEZZNS1_27merge_sort_block_merge_implIS3_PiN6thrust23THRUST_200600_302600_NS10device_ptrIlEEjNS1_19radix_merge_compareILb0ELb1EiNS0_19identity_decomposerEEEEE10hipError_tT0_T1_T2_jT3_P12ihipStream_tbPNSt15iterator_traitsISG_E10value_typeEPNSM_ISH_E10value_typeEPSI_NS1_7vsmem_tEENKUlT_SG_SH_SI_E_clIS7_S7_SB_PlEESF_SV_SG_SH_SI_EUlSV_E_NS1_11comp_targetILNS1_3genE2ELNS1_11target_archE906ELNS1_3gpuE6ELNS1_3repE0EEENS1_48merge_mergepath_partition_config_static_selectorELNS0_4arch9wavefront6targetE1EEEvSH_
; %bb.0:
	s_load_dword s0, s[4:5], 0x0
	v_lshl_or_b32 v0, s6, 7, v0
	s_waitcnt lgkmcnt(0)
	v_cmp_gt_u32_e32 vcc, s0, v0
	s_and_saveexec_b64 s[0:1], vcc
	s_cbranch_execz .LBB829_6
; %bb.1:
	s_load_dwordx2 s[2:3], s[4:5], 0x4
	s_load_dwordx2 s[0:1], s[4:5], 0x20
	s_waitcnt lgkmcnt(0)
	s_lshr_b32 s6, s2, 9
	s_and_b32 s6, s6, 0x7ffffe
	s_add_i32 s7, s6, -1
	s_sub_i32 s6, 0, s6
	v_and_b32_e32 v1, s6, v0
	v_lshlrev_b32_e32 v3, 10, v1
	v_min_u32_e32 v1, s3, v3
	v_add_u32_e32 v3, s2, v3
	v_min_u32_e32 v3, s3, v3
	v_add_u32_e32 v4, s2, v3
	v_and_b32_e32 v2, s7, v0
	v_min_u32_e32 v4, s3, v4
	v_sub_u32_e32 v5, v4, v1
	v_lshlrev_b32_e32 v2, 10, v2
	v_min_u32_e32 v6, v5, v2
	v_sub_u32_e32 v2, v3, v1
	v_sub_u32_e32 v4, v4, v3
	v_sub_u32_e64 v5, v6, v4 clamp
	v_min_u32_e32 v7, v6, v2
	v_cmp_lt_u32_e32 vcc, v5, v7
	s_and_saveexec_b64 s[2:3], vcc
	s_cbranch_execz .LBB829_5
; %bb.2:
	s_load_dwordx2 s[8:9], s[4:5], 0x10
	s_load_dword s6, s[4:5], 0x18
	v_mov_b32_e32 v4, 0
	v_mov_b32_e32 v2, v4
	v_lshlrev_b64 v[8:9], 2, v[1:2]
	s_waitcnt lgkmcnt(0)
	v_mov_b32_e32 v11, s9
	v_add_co_u32_e32 v2, vcc, s8, v8
	v_addc_co_u32_e32 v8, vcc, v11, v9, vcc
	v_lshlrev_b64 v[9:10], 2, v[3:4]
	s_mov_b64 s[4:5], 0
	v_add_co_u32_e32 v9, vcc, s8, v9
	v_addc_co_u32_e32 v10, vcc, v11, v10, vcc
.LBB829_3:                              ; =>This Inner Loop Header: Depth=1
	v_add_u32_e32 v3, v7, v5
	v_lshrrev_b32_e32 v3, 1, v3
	v_lshlrev_b64 v[13:14], 2, v[3:4]
	v_mov_b32_e32 v12, v4
	v_xad_u32 v11, v3, -1, v6
	v_lshlrev_b64 v[11:12], 2, v[11:12]
	v_add_co_u32_e32 v13, vcc, v2, v13
	v_addc_co_u32_e32 v14, vcc, v8, v14, vcc
	v_add_co_u32_e32 v11, vcc, v9, v11
	v_addc_co_u32_e32 v12, vcc, v10, v12, vcc
	global_load_dword v15, v[13:14], off
	global_load_dword v16, v[11:12], off
	v_add_u32_e32 v11, 1, v3
	s_waitcnt vmcnt(1)
	v_and_b32_e32 v12, s6, v15
	s_waitcnt vmcnt(0)
	v_and_b32_e32 v13, s6, v16
	v_cmp_gt_i32_e32 vcc, v12, v13
	v_cndmask_b32_e32 v7, v7, v3, vcc
	v_cndmask_b32_e32 v5, v11, v5, vcc
	v_cmp_ge_u32_e32 vcc, v5, v7
	s_or_b64 s[4:5], vcc, s[4:5]
	s_andn2_b64 exec, exec, s[4:5]
	s_cbranch_execnz .LBB829_3
; %bb.4:
	s_or_b64 exec, exec, s[4:5]
.LBB829_5:
	s_or_b64 exec, exec, s[2:3]
	v_add_u32_e32 v2, v5, v1
	v_mov_b32_e32 v1, 0
	v_lshlrev_b64 v[0:1], 2, v[0:1]
	v_mov_b32_e32 v3, s1
	v_add_co_u32_e32 v0, vcc, s0, v0
	v_addc_co_u32_e32 v1, vcc, v3, v1, vcc
	global_store_dword v[0:1], v2, off
.LBB829_6:
	s_endpgm
	.section	.rodata,"a",@progbits
	.p2align	6, 0x0
	.amdhsa_kernel _ZN7rocprim17ROCPRIM_400000_NS6detail17trampoline_kernelINS0_14default_configENS1_38merge_sort_block_merge_config_selectorIilEEZZNS1_27merge_sort_block_merge_implIS3_PiN6thrust23THRUST_200600_302600_NS10device_ptrIlEEjNS1_19radix_merge_compareILb0ELb1EiNS0_19identity_decomposerEEEEE10hipError_tT0_T1_T2_jT3_P12ihipStream_tbPNSt15iterator_traitsISG_E10value_typeEPNSM_ISH_E10value_typeEPSI_NS1_7vsmem_tEENKUlT_SG_SH_SI_E_clIS7_S7_SB_PlEESF_SV_SG_SH_SI_EUlSV_E_NS1_11comp_targetILNS1_3genE2ELNS1_11target_archE906ELNS1_3gpuE6ELNS1_3repE0EEENS1_48merge_mergepath_partition_config_static_selectorELNS0_4arch9wavefront6targetE1EEEvSH_
		.amdhsa_group_segment_fixed_size 0
		.amdhsa_private_segment_fixed_size 0
		.amdhsa_kernarg_size 40
		.amdhsa_user_sgpr_count 6
		.amdhsa_user_sgpr_private_segment_buffer 1
		.amdhsa_user_sgpr_dispatch_ptr 0
		.amdhsa_user_sgpr_queue_ptr 0
		.amdhsa_user_sgpr_kernarg_segment_ptr 1
		.amdhsa_user_sgpr_dispatch_id 0
		.amdhsa_user_sgpr_flat_scratch_init 0
		.amdhsa_user_sgpr_private_segment_size 0
		.amdhsa_uses_dynamic_stack 0
		.amdhsa_system_sgpr_private_segment_wavefront_offset 0
		.amdhsa_system_sgpr_workgroup_id_x 1
		.amdhsa_system_sgpr_workgroup_id_y 0
		.amdhsa_system_sgpr_workgroup_id_z 0
		.amdhsa_system_sgpr_workgroup_info 0
		.amdhsa_system_vgpr_workitem_id 0
		.amdhsa_next_free_vgpr 17
		.amdhsa_next_free_sgpr 10
		.amdhsa_reserve_vcc 1
		.amdhsa_reserve_flat_scratch 0
		.amdhsa_float_round_mode_32 0
		.amdhsa_float_round_mode_16_64 0
		.amdhsa_float_denorm_mode_32 3
		.amdhsa_float_denorm_mode_16_64 3
		.amdhsa_dx10_clamp 1
		.amdhsa_ieee_mode 1
		.amdhsa_fp16_overflow 0
		.amdhsa_exception_fp_ieee_invalid_op 0
		.amdhsa_exception_fp_denorm_src 0
		.amdhsa_exception_fp_ieee_div_zero 0
		.amdhsa_exception_fp_ieee_overflow 0
		.amdhsa_exception_fp_ieee_underflow 0
		.amdhsa_exception_fp_ieee_inexact 0
		.amdhsa_exception_int_div_zero 0
	.end_amdhsa_kernel
	.section	.text._ZN7rocprim17ROCPRIM_400000_NS6detail17trampoline_kernelINS0_14default_configENS1_38merge_sort_block_merge_config_selectorIilEEZZNS1_27merge_sort_block_merge_implIS3_PiN6thrust23THRUST_200600_302600_NS10device_ptrIlEEjNS1_19radix_merge_compareILb0ELb1EiNS0_19identity_decomposerEEEEE10hipError_tT0_T1_T2_jT3_P12ihipStream_tbPNSt15iterator_traitsISG_E10value_typeEPNSM_ISH_E10value_typeEPSI_NS1_7vsmem_tEENKUlT_SG_SH_SI_E_clIS7_S7_SB_PlEESF_SV_SG_SH_SI_EUlSV_E_NS1_11comp_targetILNS1_3genE2ELNS1_11target_archE906ELNS1_3gpuE6ELNS1_3repE0EEENS1_48merge_mergepath_partition_config_static_selectorELNS0_4arch9wavefront6targetE1EEEvSH_,"axG",@progbits,_ZN7rocprim17ROCPRIM_400000_NS6detail17trampoline_kernelINS0_14default_configENS1_38merge_sort_block_merge_config_selectorIilEEZZNS1_27merge_sort_block_merge_implIS3_PiN6thrust23THRUST_200600_302600_NS10device_ptrIlEEjNS1_19radix_merge_compareILb0ELb1EiNS0_19identity_decomposerEEEEE10hipError_tT0_T1_T2_jT3_P12ihipStream_tbPNSt15iterator_traitsISG_E10value_typeEPNSM_ISH_E10value_typeEPSI_NS1_7vsmem_tEENKUlT_SG_SH_SI_E_clIS7_S7_SB_PlEESF_SV_SG_SH_SI_EUlSV_E_NS1_11comp_targetILNS1_3genE2ELNS1_11target_archE906ELNS1_3gpuE6ELNS1_3repE0EEENS1_48merge_mergepath_partition_config_static_selectorELNS0_4arch9wavefront6targetE1EEEvSH_,comdat
.Lfunc_end829:
	.size	_ZN7rocprim17ROCPRIM_400000_NS6detail17trampoline_kernelINS0_14default_configENS1_38merge_sort_block_merge_config_selectorIilEEZZNS1_27merge_sort_block_merge_implIS3_PiN6thrust23THRUST_200600_302600_NS10device_ptrIlEEjNS1_19radix_merge_compareILb0ELb1EiNS0_19identity_decomposerEEEEE10hipError_tT0_T1_T2_jT3_P12ihipStream_tbPNSt15iterator_traitsISG_E10value_typeEPNSM_ISH_E10value_typeEPSI_NS1_7vsmem_tEENKUlT_SG_SH_SI_E_clIS7_S7_SB_PlEESF_SV_SG_SH_SI_EUlSV_E_NS1_11comp_targetILNS1_3genE2ELNS1_11target_archE906ELNS1_3gpuE6ELNS1_3repE0EEENS1_48merge_mergepath_partition_config_static_selectorELNS0_4arch9wavefront6targetE1EEEvSH_, .Lfunc_end829-_ZN7rocprim17ROCPRIM_400000_NS6detail17trampoline_kernelINS0_14default_configENS1_38merge_sort_block_merge_config_selectorIilEEZZNS1_27merge_sort_block_merge_implIS3_PiN6thrust23THRUST_200600_302600_NS10device_ptrIlEEjNS1_19radix_merge_compareILb0ELb1EiNS0_19identity_decomposerEEEEE10hipError_tT0_T1_T2_jT3_P12ihipStream_tbPNSt15iterator_traitsISG_E10value_typeEPNSM_ISH_E10value_typeEPSI_NS1_7vsmem_tEENKUlT_SG_SH_SI_E_clIS7_S7_SB_PlEESF_SV_SG_SH_SI_EUlSV_E_NS1_11comp_targetILNS1_3genE2ELNS1_11target_archE906ELNS1_3gpuE6ELNS1_3repE0EEENS1_48merge_mergepath_partition_config_static_selectorELNS0_4arch9wavefront6targetE1EEEvSH_
                                        ; -- End function
	.set _ZN7rocprim17ROCPRIM_400000_NS6detail17trampoline_kernelINS0_14default_configENS1_38merge_sort_block_merge_config_selectorIilEEZZNS1_27merge_sort_block_merge_implIS3_PiN6thrust23THRUST_200600_302600_NS10device_ptrIlEEjNS1_19radix_merge_compareILb0ELb1EiNS0_19identity_decomposerEEEEE10hipError_tT0_T1_T2_jT3_P12ihipStream_tbPNSt15iterator_traitsISG_E10value_typeEPNSM_ISH_E10value_typeEPSI_NS1_7vsmem_tEENKUlT_SG_SH_SI_E_clIS7_S7_SB_PlEESF_SV_SG_SH_SI_EUlSV_E_NS1_11comp_targetILNS1_3genE2ELNS1_11target_archE906ELNS1_3gpuE6ELNS1_3repE0EEENS1_48merge_mergepath_partition_config_static_selectorELNS0_4arch9wavefront6targetE1EEEvSH_.num_vgpr, 17
	.set _ZN7rocprim17ROCPRIM_400000_NS6detail17trampoline_kernelINS0_14default_configENS1_38merge_sort_block_merge_config_selectorIilEEZZNS1_27merge_sort_block_merge_implIS3_PiN6thrust23THRUST_200600_302600_NS10device_ptrIlEEjNS1_19radix_merge_compareILb0ELb1EiNS0_19identity_decomposerEEEEE10hipError_tT0_T1_T2_jT3_P12ihipStream_tbPNSt15iterator_traitsISG_E10value_typeEPNSM_ISH_E10value_typeEPSI_NS1_7vsmem_tEENKUlT_SG_SH_SI_E_clIS7_S7_SB_PlEESF_SV_SG_SH_SI_EUlSV_E_NS1_11comp_targetILNS1_3genE2ELNS1_11target_archE906ELNS1_3gpuE6ELNS1_3repE0EEENS1_48merge_mergepath_partition_config_static_selectorELNS0_4arch9wavefront6targetE1EEEvSH_.num_agpr, 0
	.set _ZN7rocprim17ROCPRIM_400000_NS6detail17trampoline_kernelINS0_14default_configENS1_38merge_sort_block_merge_config_selectorIilEEZZNS1_27merge_sort_block_merge_implIS3_PiN6thrust23THRUST_200600_302600_NS10device_ptrIlEEjNS1_19radix_merge_compareILb0ELb1EiNS0_19identity_decomposerEEEEE10hipError_tT0_T1_T2_jT3_P12ihipStream_tbPNSt15iterator_traitsISG_E10value_typeEPNSM_ISH_E10value_typeEPSI_NS1_7vsmem_tEENKUlT_SG_SH_SI_E_clIS7_S7_SB_PlEESF_SV_SG_SH_SI_EUlSV_E_NS1_11comp_targetILNS1_3genE2ELNS1_11target_archE906ELNS1_3gpuE6ELNS1_3repE0EEENS1_48merge_mergepath_partition_config_static_selectorELNS0_4arch9wavefront6targetE1EEEvSH_.numbered_sgpr, 10
	.set _ZN7rocprim17ROCPRIM_400000_NS6detail17trampoline_kernelINS0_14default_configENS1_38merge_sort_block_merge_config_selectorIilEEZZNS1_27merge_sort_block_merge_implIS3_PiN6thrust23THRUST_200600_302600_NS10device_ptrIlEEjNS1_19radix_merge_compareILb0ELb1EiNS0_19identity_decomposerEEEEE10hipError_tT0_T1_T2_jT3_P12ihipStream_tbPNSt15iterator_traitsISG_E10value_typeEPNSM_ISH_E10value_typeEPSI_NS1_7vsmem_tEENKUlT_SG_SH_SI_E_clIS7_S7_SB_PlEESF_SV_SG_SH_SI_EUlSV_E_NS1_11comp_targetILNS1_3genE2ELNS1_11target_archE906ELNS1_3gpuE6ELNS1_3repE0EEENS1_48merge_mergepath_partition_config_static_selectorELNS0_4arch9wavefront6targetE1EEEvSH_.num_named_barrier, 0
	.set _ZN7rocprim17ROCPRIM_400000_NS6detail17trampoline_kernelINS0_14default_configENS1_38merge_sort_block_merge_config_selectorIilEEZZNS1_27merge_sort_block_merge_implIS3_PiN6thrust23THRUST_200600_302600_NS10device_ptrIlEEjNS1_19radix_merge_compareILb0ELb1EiNS0_19identity_decomposerEEEEE10hipError_tT0_T1_T2_jT3_P12ihipStream_tbPNSt15iterator_traitsISG_E10value_typeEPNSM_ISH_E10value_typeEPSI_NS1_7vsmem_tEENKUlT_SG_SH_SI_E_clIS7_S7_SB_PlEESF_SV_SG_SH_SI_EUlSV_E_NS1_11comp_targetILNS1_3genE2ELNS1_11target_archE906ELNS1_3gpuE6ELNS1_3repE0EEENS1_48merge_mergepath_partition_config_static_selectorELNS0_4arch9wavefront6targetE1EEEvSH_.private_seg_size, 0
	.set _ZN7rocprim17ROCPRIM_400000_NS6detail17trampoline_kernelINS0_14default_configENS1_38merge_sort_block_merge_config_selectorIilEEZZNS1_27merge_sort_block_merge_implIS3_PiN6thrust23THRUST_200600_302600_NS10device_ptrIlEEjNS1_19radix_merge_compareILb0ELb1EiNS0_19identity_decomposerEEEEE10hipError_tT0_T1_T2_jT3_P12ihipStream_tbPNSt15iterator_traitsISG_E10value_typeEPNSM_ISH_E10value_typeEPSI_NS1_7vsmem_tEENKUlT_SG_SH_SI_E_clIS7_S7_SB_PlEESF_SV_SG_SH_SI_EUlSV_E_NS1_11comp_targetILNS1_3genE2ELNS1_11target_archE906ELNS1_3gpuE6ELNS1_3repE0EEENS1_48merge_mergepath_partition_config_static_selectorELNS0_4arch9wavefront6targetE1EEEvSH_.uses_vcc, 1
	.set _ZN7rocprim17ROCPRIM_400000_NS6detail17trampoline_kernelINS0_14default_configENS1_38merge_sort_block_merge_config_selectorIilEEZZNS1_27merge_sort_block_merge_implIS3_PiN6thrust23THRUST_200600_302600_NS10device_ptrIlEEjNS1_19radix_merge_compareILb0ELb1EiNS0_19identity_decomposerEEEEE10hipError_tT0_T1_T2_jT3_P12ihipStream_tbPNSt15iterator_traitsISG_E10value_typeEPNSM_ISH_E10value_typeEPSI_NS1_7vsmem_tEENKUlT_SG_SH_SI_E_clIS7_S7_SB_PlEESF_SV_SG_SH_SI_EUlSV_E_NS1_11comp_targetILNS1_3genE2ELNS1_11target_archE906ELNS1_3gpuE6ELNS1_3repE0EEENS1_48merge_mergepath_partition_config_static_selectorELNS0_4arch9wavefront6targetE1EEEvSH_.uses_flat_scratch, 0
	.set _ZN7rocprim17ROCPRIM_400000_NS6detail17trampoline_kernelINS0_14default_configENS1_38merge_sort_block_merge_config_selectorIilEEZZNS1_27merge_sort_block_merge_implIS3_PiN6thrust23THRUST_200600_302600_NS10device_ptrIlEEjNS1_19radix_merge_compareILb0ELb1EiNS0_19identity_decomposerEEEEE10hipError_tT0_T1_T2_jT3_P12ihipStream_tbPNSt15iterator_traitsISG_E10value_typeEPNSM_ISH_E10value_typeEPSI_NS1_7vsmem_tEENKUlT_SG_SH_SI_E_clIS7_S7_SB_PlEESF_SV_SG_SH_SI_EUlSV_E_NS1_11comp_targetILNS1_3genE2ELNS1_11target_archE906ELNS1_3gpuE6ELNS1_3repE0EEENS1_48merge_mergepath_partition_config_static_selectorELNS0_4arch9wavefront6targetE1EEEvSH_.has_dyn_sized_stack, 0
	.set _ZN7rocprim17ROCPRIM_400000_NS6detail17trampoline_kernelINS0_14default_configENS1_38merge_sort_block_merge_config_selectorIilEEZZNS1_27merge_sort_block_merge_implIS3_PiN6thrust23THRUST_200600_302600_NS10device_ptrIlEEjNS1_19radix_merge_compareILb0ELb1EiNS0_19identity_decomposerEEEEE10hipError_tT0_T1_T2_jT3_P12ihipStream_tbPNSt15iterator_traitsISG_E10value_typeEPNSM_ISH_E10value_typeEPSI_NS1_7vsmem_tEENKUlT_SG_SH_SI_E_clIS7_S7_SB_PlEESF_SV_SG_SH_SI_EUlSV_E_NS1_11comp_targetILNS1_3genE2ELNS1_11target_archE906ELNS1_3gpuE6ELNS1_3repE0EEENS1_48merge_mergepath_partition_config_static_selectorELNS0_4arch9wavefront6targetE1EEEvSH_.has_recursion, 0
	.set _ZN7rocprim17ROCPRIM_400000_NS6detail17trampoline_kernelINS0_14default_configENS1_38merge_sort_block_merge_config_selectorIilEEZZNS1_27merge_sort_block_merge_implIS3_PiN6thrust23THRUST_200600_302600_NS10device_ptrIlEEjNS1_19radix_merge_compareILb0ELb1EiNS0_19identity_decomposerEEEEE10hipError_tT0_T1_T2_jT3_P12ihipStream_tbPNSt15iterator_traitsISG_E10value_typeEPNSM_ISH_E10value_typeEPSI_NS1_7vsmem_tEENKUlT_SG_SH_SI_E_clIS7_S7_SB_PlEESF_SV_SG_SH_SI_EUlSV_E_NS1_11comp_targetILNS1_3genE2ELNS1_11target_archE906ELNS1_3gpuE6ELNS1_3repE0EEENS1_48merge_mergepath_partition_config_static_selectorELNS0_4arch9wavefront6targetE1EEEvSH_.has_indirect_call, 0
	.section	.AMDGPU.csdata,"",@progbits
; Kernel info:
; codeLenInByte = 380
; TotalNumSgprs: 14
; NumVgprs: 17
; ScratchSize: 0
; MemoryBound: 0
; FloatMode: 240
; IeeeMode: 1
; LDSByteSize: 0 bytes/workgroup (compile time only)
; SGPRBlocks: 1
; VGPRBlocks: 4
; NumSGPRsForWavesPerEU: 14
; NumVGPRsForWavesPerEU: 17
; Occupancy: 10
; WaveLimiterHint : 0
; COMPUTE_PGM_RSRC2:SCRATCH_EN: 0
; COMPUTE_PGM_RSRC2:USER_SGPR: 6
; COMPUTE_PGM_RSRC2:TRAP_HANDLER: 0
; COMPUTE_PGM_RSRC2:TGID_X_EN: 1
; COMPUTE_PGM_RSRC2:TGID_Y_EN: 0
; COMPUTE_PGM_RSRC2:TGID_Z_EN: 0
; COMPUTE_PGM_RSRC2:TIDIG_COMP_CNT: 0
	.section	.text._ZN7rocprim17ROCPRIM_400000_NS6detail17trampoline_kernelINS0_14default_configENS1_38merge_sort_block_merge_config_selectorIilEEZZNS1_27merge_sort_block_merge_implIS3_PiN6thrust23THRUST_200600_302600_NS10device_ptrIlEEjNS1_19radix_merge_compareILb0ELb1EiNS0_19identity_decomposerEEEEE10hipError_tT0_T1_T2_jT3_P12ihipStream_tbPNSt15iterator_traitsISG_E10value_typeEPNSM_ISH_E10value_typeEPSI_NS1_7vsmem_tEENKUlT_SG_SH_SI_E_clIS7_S7_SB_PlEESF_SV_SG_SH_SI_EUlSV_E_NS1_11comp_targetILNS1_3genE9ELNS1_11target_archE1100ELNS1_3gpuE3ELNS1_3repE0EEENS1_48merge_mergepath_partition_config_static_selectorELNS0_4arch9wavefront6targetE1EEEvSH_,"axG",@progbits,_ZN7rocprim17ROCPRIM_400000_NS6detail17trampoline_kernelINS0_14default_configENS1_38merge_sort_block_merge_config_selectorIilEEZZNS1_27merge_sort_block_merge_implIS3_PiN6thrust23THRUST_200600_302600_NS10device_ptrIlEEjNS1_19radix_merge_compareILb0ELb1EiNS0_19identity_decomposerEEEEE10hipError_tT0_T1_T2_jT3_P12ihipStream_tbPNSt15iterator_traitsISG_E10value_typeEPNSM_ISH_E10value_typeEPSI_NS1_7vsmem_tEENKUlT_SG_SH_SI_E_clIS7_S7_SB_PlEESF_SV_SG_SH_SI_EUlSV_E_NS1_11comp_targetILNS1_3genE9ELNS1_11target_archE1100ELNS1_3gpuE3ELNS1_3repE0EEENS1_48merge_mergepath_partition_config_static_selectorELNS0_4arch9wavefront6targetE1EEEvSH_,comdat
	.protected	_ZN7rocprim17ROCPRIM_400000_NS6detail17trampoline_kernelINS0_14default_configENS1_38merge_sort_block_merge_config_selectorIilEEZZNS1_27merge_sort_block_merge_implIS3_PiN6thrust23THRUST_200600_302600_NS10device_ptrIlEEjNS1_19radix_merge_compareILb0ELb1EiNS0_19identity_decomposerEEEEE10hipError_tT0_T1_T2_jT3_P12ihipStream_tbPNSt15iterator_traitsISG_E10value_typeEPNSM_ISH_E10value_typeEPSI_NS1_7vsmem_tEENKUlT_SG_SH_SI_E_clIS7_S7_SB_PlEESF_SV_SG_SH_SI_EUlSV_E_NS1_11comp_targetILNS1_3genE9ELNS1_11target_archE1100ELNS1_3gpuE3ELNS1_3repE0EEENS1_48merge_mergepath_partition_config_static_selectorELNS0_4arch9wavefront6targetE1EEEvSH_ ; -- Begin function _ZN7rocprim17ROCPRIM_400000_NS6detail17trampoline_kernelINS0_14default_configENS1_38merge_sort_block_merge_config_selectorIilEEZZNS1_27merge_sort_block_merge_implIS3_PiN6thrust23THRUST_200600_302600_NS10device_ptrIlEEjNS1_19radix_merge_compareILb0ELb1EiNS0_19identity_decomposerEEEEE10hipError_tT0_T1_T2_jT3_P12ihipStream_tbPNSt15iterator_traitsISG_E10value_typeEPNSM_ISH_E10value_typeEPSI_NS1_7vsmem_tEENKUlT_SG_SH_SI_E_clIS7_S7_SB_PlEESF_SV_SG_SH_SI_EUlSV_E_NS1_11comp_targetILNS1_3genE9ELNS1_11target_archE1100ELNS1_3gpuE3ELNS1_3repE0EEENS1_48merge_mergepath_partition_config_static_selectorELNS0_4arch9wavefront6targetE1EEEvSH_
	.globl	_ZN7rocprim17ROCPRIM_400000_NS6detail17trampoline_kernelINS0_14default_configENS1_38merge_sort_block_merge_config_selectorIilEEZZNS1_27merge_sort_block_merge_implIS3_PiN6thrust23THRUST_200600_302600_NS10device_ptrIlEEjNS1_19radix_merge_compareILb0ELb1EiNS0_19identity_decomposerEEEEE10hipError_tT0_T1_T2_jT3_P12ihipStream_tbPNSt15iterator_traitsISG_E10value_typeEPNSM_ISH_E10value_typeEPSI_NS1_7vsmem_tEENKUlT_SG_SH_SI_E_clIS7_S7_SB_PlEESF_SV_SG_SH_SI_EUlSV_E_NS1_11comp_targetILNS1_3genE9ELNS1_11target_archE1100ELNS1_3gpuE3ELNS1_3repE0EEENS1_48merge_mergepath_partition_config_static_selectorELNS0_4arch9wavefront6targetE1EEEvSH_
	.p2align	8
	.type	_ZN7rocprim17ROCPRIM_400000_NS6detail17trampoline_kernelINS0_14default_configENS1_38merge_sort_block_merge_config_selectorIilEEZZNS1_27merge_sort_block_merge_implIS3_PiN6thrust23THRUST_200600_302600_NS10device_ptrIlEEjNS1_19radix_merge_compareILb0ELb1EiNS0_19identity_decomposerEEEEE10hipError_tT0_T1_T2_jT3_P12ihipStream_tbPNSt15iterator_traitsISG_E10value_typeEPNSM_ISH_E10value_typeEPSI_NS1_7vsmem_tEENKUlT_SG_SH_SI_E_clIS7_S7_SB_PlEESF_SV_SG_SH_SI_EUlSV_E_NS1_11comp_targetILNS1_3genE9ELNS1_11target_archE1100ELNS1_3gpuE3ELNS1_3repE0EEENS1_48merge_mergepath_partition_config_static_selectorELNS0_4arch9wavefront6targetE1EEEvSH_,@function
_ZN7rocprim17ROCPRIM_400000_NS6detail17trampoline_kernelINS0_14default_configENS1_38merge_sort_block_merge_config_selectorIilEEZZNS1_27merge_sort_block_merge_implIS3_PiN6thrust23THRUST_200600_302600_NS10device_ptrIlEEjNS1_19radix_merge_compareILb0ELb1EiNS0_19identity_decomposerEEEEE10hipError_tT0_T1_T2_jT3_P12ihipStream_tbPNSt15iterator_traitsISG_E10value_typeEPNSM_ISH_E10value_typeEPSI_NS1_7vsmem_tEENKUlT_SG_SH_SI_E_clIS7_S7_SB_PlEESF_SV_SG_SH_SI_EUlSV_E_NS1_11comp_targetILNS1_3genE9ELNS1_11target_archE1100ELNS1_3gpuE3ELNS1_3repE0EEENS1_48merge_mergepath_partition_config_static_selectorELNS0_4arch9wavefront6targetE1EEEvSH_: ; @_ZN7rocprim17ROCPRIM_400000_NS6detail17trampoline_kernelINS0_14default_configENS1_38merge_sort_block_merge_config_selectorIilEEZZNS1_27merge_sort_block_merge_implIS3_PiN6thrust23THRUST_200600_302600_NS10device_ptrIlEEjNS1_19radix_merge_compareILb0ELb1EiNS0_19identity_decomposerEEEEE10hipError_tT0_T1_T2_jT3_P12ihipStream_tbPNSt15iterator_traitsISG_E10value_typeEPNSM_ISH_E10value_typeEPSI_NS1_7vsmem_tEENKUlT_SG_SH_SI_E_clIS7_S7_SB_PlEESF_SV_SG_SH_SI_EUlSV_E_NS1_11comp_targetILNS1_3genE9ELNS1_11target_archE1100ELNS1_3gpuE3ELNS1_3repE0EEENS1_48merge_mergepath_partition_config_static_selectorELNS0_4arch9wavefront6targetE1EEEvSH_
; %bb.0:
	.section	.rodata,"a",@progbits
	.p2align	6, 0x0
	.amdhsa_kernel _ZN7rocprim17ROCPRIM_400000_NS6detail17trampoline_kernelINS0_14default_configENS1_38merge_sort_block_merge_config_selectorIilEEZZNS1_27merge_sort_block_merge_implIS3_PiN6thrust23THRUST_200600_302600_NS10device_ptrIlEEjNS1_19radix_merge_compareILb0ELb1EiNS0_19identity_decomposerEEEEE10hipError_tT0_T1_T2_jT3_P12ihipStream_tbPNSt15iterator_traitsISG_E10value_typeEPNSM_ISH_E10value_typeEPSI_NS1_7vsmem_tEENKUlT_SG_SH_SI_E_clIS7_S7_SB_PlEESF_SV_SG_SH_SI_EUlSV_E_NS1_11comp_targetILNS1_3genE9ELNS1_11target_archE1100ELNS1_3gpuE3ELNS1_3repE0EEENS1_48merge_mergepath_partition_config_static_selectorELNS0_4arch9wavefront6targetE1EEEvSH_
		.amdhsa_group_segment_fixed_size 0
		.amdhsa_private_segment_fixed_size 0
		.amdhsa_kernarg_size 40
		.amdhsa_user_sgpr_count 6
		.amdhsa_user_sgpr_private_segment_buffer 1
		.amdhsa_user_sgpr_dispatch_ptr 0
		.amdhsa_user_sgpr_queue_ptr 0
		.amdhsa_user_sgpr_kernarg_segment_ptr 1
		.amdhsa_user_sgpr_dispatch_id 0
		.amdhsa_user_sgpr_flat_scratch_init 0
		.amdhsa_user_sgpr_private_segment_size 0
		.amdhsa_uses_dynamic_stack 0
		.amdhsa_system_sgpr_private_segment_wavefront_offset 0
		.amdhsa_system_sgpr_workgroup_id_x 1
		.amdhsa_system_sgpr_workgroup_id_y 0
		.amdhsa_system_sgpr_workgroup_id_z 0
		.amdhsa_system_sgpr_workgroup_info 0
		.amdhsa_system_vgpr_workitem_id 0
		.amdhsa_next_free_vgpr 1
		.amdhsa_next_free_sgpr 0
		.amdhsa_reserve_vcc 0
		.amdhsa_reserve_flat_scratch 0
		.amdhsa_float_round_mode_32 0
		.amdhsa_float_round_mode_16_64 0
		.amdhsa_float_denorm_mode_32 3
		.amdhsa_float_denorm_mode_16_64 3
		.amdhsa_dx10_clamp 1
		.amdhsa_ieee_mode 1
		.amdhsa_fp16_overflow 0
		.amdhsa_exception_fp_ieee_invalid_op 0
		.amdhsa_exception_fp_denorm_src 0
		.amdhsa_exception_fp_ieee_div_zero 0
		.amdhsa_exception_fp_ieee_overflow 0
		.amdhsa_exception_fp_ieee_underflow 0
		.amdhsa_exception_fp_ieee_inexact 0
		.amdhsa_exception_int_div_zero 0
	.end_amdhsa_kernel
	.section	.text._ZN7rocprim17ROCPRIM_400000_NS6detail17trampoline_kernelINS0_14default_configENS1_38merge_sort_block_merge_config_selectorIilEEZZNS1_27merge_sort_block_merge_implIS3_PiN6thrust23THRUST_200600_302600_NS10device_ptrIlEEjNS1_19radix_merge_compareILb0ELb1EiNS0_19identity_decomposerEEEEE10hipError_tT0_T1_T2_jT3_P12ihipStream_tbPNSt15iterator_traitsISG_E10value_typeEPNSM_ISH_E10value_typeEPSI_NS1_7vsmem_tEENKUlT_SG_SH_SI_E_clIS7_S7_SB_PlEESF_SV_SG_SH_SI_EUlSV_E_NS1_11comp_targetILNS1_3genE9ELNS1_11target_archE1100ELNS1_3gpuE3ELNS1_3repE0EEENS1_48merge_mergepath_partition_config_static_selectorELNS0_4arch9wavefront6targetE1EEEvSH_,"axG",@progbits,_ZN7rocprim17ROCPRIM_400000_NS6detail17trampoline_kernelINS0_14default_configENS1_38merge_sort_block_merge_config_selectorIilEEZZNS1_27merge_sort_block_merge_implIS3_PiN6thrust23THRUST_200600_302600_NS10device_ptrIlEEjNS1_19radix_merge_compareILb0ELb1EiNS0_19identity_decomposerEEEEE10hipError_tT0_T1_T2_jT3_P12ihipStream_tbPNSt15iterator_traitsISG_E10value_typeEPNSM_ISH_E10value_typeEPSI_NS1_7vsmem_tEENKUlT_SG_SH_SI_E_clIS7_S7_SB_PlEESF_SV_SG_SH_SI_EUlSV_E_NS1_11comp_targetILNS1_3genE9ELNS1_11target_archE1100ELNS1_3gpuE3ELNS1_3repE0EEENS1_48merge_mergepath_partition_config_static_selectorELNS0_4arch9wavefront6targetE1EEEvSH_,comdat
.Lfunc_end830:
	.size	_ZN7rocprim17ROCPRIM_400000_NS6detail17trampoline_kernelINS0_14default_configENS1_38merge_sort_block_merge_config_selectorIilEEZZNS1_27merge_sort_block_merge_implIS3_PiN6thrust23THRUST_200600_302600_NS10device_ptrIlEEjNS1_19radix_merge_compareILb0ELb1EiNS0_19identity_decomposerEEEEE10hipError_tT0_T1_T2_jT3_P12ihipStream_tbPNSt15iterator_traitsISG_E10value_typeEPNSM_ISH_E10value_typeEPSI_NS1_7vsmem_tEENKUlT_SG_SH_SI_E_clIS7_S7_SB_PlEESF_SV_SG_SH_SI_EUlSV_E_NS1_11comp_targetILNS1_3genE9ELNS1_11target_archE1100ELNS1_3gpuE3ELNS1_3repE0EEENS1_48merge_mergepath_partition_config_static_selectorELNS0_4arch9wavefront6targetE1EEEvSH_, .Lfunc_end830-_ZN7rocprim17ROCPRIM_400000_NS6detail17trampoline_kernelINS0_14default_configENS1_38merge_sort_block_merge_config_selectorIilEEZZNS1_27merge_sort_block_merge_implIS3_PiN6thrust23THRUST_200600_302600_NS10device_ptrIlEEjNS1_19radix_merge_compareILb0ELb1EiNS0_19identity_decomposerEEEEE10hipError_tT0_T1_T2_jT3_P12ihipStream_tbPNSt15iterator_traitsISG_E10value_typeEPNSM_ISH_E10value_typeEPSI_NS1_7vsmem_tEENKUlT_SG_SH_SI_E_clIS7_S7_SB_PlEESF_SV_SG_SH_SI_EUlSV_E_NS1_11comp_targetILNS1_3genE9ELNS1_11target_archE1100ELNS1_3gpuE3ELNS1_3repE0EEENS1_48merge_mergepath_partition_config_static_selectorELNS0_4arch9wavefront6targetE1EEEvSH_
                                        ; -- End function
	.set _ZN7rocprim17ROCPRIM_400000_NS6detail17trampoline_kernelINS0_14default_configENS1_38merge_sort_block_merge_config_selectorIilEEZZNS1_27merge_sort_block_merge_implIS3_PiN6thrust23THRUST_200600_302600_NS10device_ptrIlEEjNS1_19radix_merge_compareILb0ELb1EiNS0_19identity_decomposerEEEEE10hipError_tT0_T1_T2_jT3_P12ihipStream_tbPNSt15iterator_traitsISG_E10value_typeEPNSM_ISH_E10value_typeEPSI_NS1_7vsmem_tEENKUlT_SG_SH_SI_E_clIS7_S7_SB_PlEESF_SV_SG_SH_SI_EUlSV_E_NS1_11comp_targetILNS1_3genE9ELNS1_11target_archE1100ELNS1_3gpuE3ELNS1_3repE0EEENS1_48merge_mergepath_partition_config_static_selectorELNS0_4arch9wavefront6targetE1EEEvSH_.num_vgpr, 0
	.set _ZN7rocprim17ROCPRIM_400000_NS6detail17trampoline_kernelINS0_14default_configENS1_38merge_sort_block_merge_config_selectorIilEEZZNS1_27merge_sort_block_merge_implIS3_PiN6thrust23THRUST_200600_302600_NS10device_ptrIlEEjNS1_19radix_merge_compareILb0ELb1EiNS0_19identity_decomposerEEEEE10hipError_tT0_T1_T2_jT3_P12ihipStream_tbPNSt15iterator_traitsISG_E10value_typeEPNSM_ISH_E10value_typeEPSI_NS1_7vsmem_tEENKUlT_SG_SH_SI_E_clIS7_S7_SB_PlEESF_SV_SG_SH_SI_EUlSV_E_NS1_11comp_targetILNS1_3genE9ELNS1_11target_archE1100ELNS1_3gpuE3ELNS1_3repE0EEENS1_48merge_mergepath_partition_config_static_selectorELNS0_4arch9wavefront6targetE1EEEvSH_.num_agpr, 0
	.set _ZN7rocprim17ROCPRIM_400000_NS6detail17trampoline_kernelINS0_14default_configENS1_38merge_sort_block_merge_config_selectorIilEEZZNS1_27merge_sort_block_merge_implIS3_PiN6thrust23THRUST_200600_302600_NS10device_ptrIlEEjNS1_19radix_merge_compareILb0ELb1EiNS0_19identity_decomposerEEEEE10hipError_tT0_T1_T2_jT3_P12ihipStream_tbPNSt15iterator_traitsISG_E10value_typeEPNSM_ISH_E10value_typeEPSI_NS1_7vsmem_tEENKUlT_SG_SH_SI_E_clIS7_S7_SB_PlEESF_SV_SG_SH_SI_EUlSV_E_NS1_11comp_targetILNS1_3genE9ELNS1_11target_archE1100ELNS1_3gpuE3ELNS1_3repE0EEENS1_48merge_mergepath_partition_config_static_selectorELNS0_4arch9wavefront6targetE1EEEvSH_.numbered_sgpr, 0
	.set _ZN7rocprim17ROCPRIM_400000_NS6detail17trampoline_kernelINS0_14default_configENS1_38merge_sort_block_merge_config_selectorIilEEZZNS1_27merge_sort_block_merge_implIS3_PiN6thrust23THRUST_200600_302600_NS10device_ptrIlEEjNS1_19radix_merge_compareILb0ELb1EiNS0_19identity_decomposerEEEEE10hipError_tT0_T1_T2_jT3_P12ihipStream_tbPNSt15iterator_traitsISG_E10value_typeEPNSM_ISH_E10value_typeEPSI_NS1_7vsmem_tEENKUlT_SG_SH_SI_E_clIS7_S7_SB_PlEESF_SV_SG_SH_SI_EUlSV_E_NS1_11comp_targetILNS1_3genE9ELNS1_11target_archE1100ELNS1_3gpuE3ELNS1_3repE0EEENS1_48merge_mergepath_partition_config_static_selectorELNS0_4arch9wavefront6targetE1EEEvSH_.num_named_barrier, 0
	.set _ZN7rocprim17ROCPRIM_400000_NS6detail17trampoline_kernelINS0_14default_configENS1_38merge_sort_block_merge_config_selectorIilEEZZNS1_27merge_sort_block_merge_implIS3_PiN6thrust23THRUST_200600_302600_NS10device_ptrIlEEjNS1_19radix_merge_compareILb0ELb1EiNS0_19identity_decomposerEEEEE10hipError_tT0_T1_T2_jT3_P12ihipStream_tbPNSt15iterator_traitsISG_E10value_typeEPNSM_ISH_E10value_typeEPSI_NS1_7vsmem_tEENKUlT_SG_SH_SI_E_clIS7_S7_SB_PlEESF_SV_SG_SH_SI_EUlSV_E_NS1_11comp_targetILNS1_3genE9ELNS1_11target_archE1100ELNS1_3gpuE3ELNS1_3repE0EEENS1_48merge_mergepath_partition_config_static_selectorELNS0_4arch9wavefront6targetE1EEEvSH_.private_seg_size, 0
	.set _ZN7rocprim17ROCPRIM_400000_NS6detail17trampoline_kernelINS0_14default_configENS1_38merge_sort_block_merge_config_selectorIilEEZZNS1_27merge_sort_block_merge_implIS3_PiN6thrust23THRUST_200600_302600_NS10device_ptrIlEEjNS1_19radix_merge_compareILb0ELb1EiNS0_19identity_decomposerEEEEE10hipError_tT0_T1_T2_jT3_P12ihipStream_tbPNSt15iterator_traitsISG_E10value_typeEPNSM_ISH_E10value_typeEPSI_NS1_7vsmem_tEENKUlT_SG_SH_SI_E_clIS7_S7_SB_PlEESF_SV_SG_SH_SI_EUlSV_E_NS1_11comp_targetILNS1_3genE9ELNS1_11target_archE1100ELNS1_3gpuE3ELNS1_3repE0EEENS1_48merge_mergepath_partition_config_static_selectorELNS0_4arch9wavefront6targetE1EEEvSH_.uses_vcc, 0
	.set _ZN7rocprim17ROCPRIM_400000_NS6detail17trampoline_kernelINS0_14default_configENS1_38merge_sort_block_merge_config_selectorIilEEZZNS1_27merge_sort_block_merge_implIS3_PiN6thrust23THRUST_200600_302600_NS10device_ptrIlEEjNS1_19radix_merge_compareILb0ELb1EiNS0_19identity_decomposerEEEEE10hipError_tT0_T1_T2_jT3_P12ihipStream_tbPNSt15iterator_traitsISG_E10value_typeEPNSM_ISH_E10value_typeEPSI_NS1_7vsmem_tEENKUlT_SG_SH_SI_E_clIS7_S7_SB_PlEESF_SV_SG_SH_SI_EUlSV_E_NS1_11comp_targetILNS1_3genE9ELNS1_11target_archE1100ELNS1_3gpuE3ELNS1_3repE0EEENS1_48merge_mergepath_partition_config_static_selectorELNS0_4arch9wavefront6targetE1EEEvSH_.uses_flat_scratch, 0
	.set _ZN7rocprim17ROCPRIM_400000_NS6detail17trampoline_kernelINS0_14default_configENS1_38merge_sort_block_merge_config_selectorIilEEZZNS1_27merge_sort_block_merge_implIS3_PiN6thrust23THRUST_200600_302600_NS10device_ptrIlEEjNS1_19radix_merge_compareILb0ELb1EiNS0_19identity_decomposerEEEEE10hipError_tT0_T1_T2_jT3_P12ihipStream_tbPNSt15iterator_traitsISG_E10value_typeEPNSM_ISH_E10value_typeEPSI_NS1_7vsmem_tEENKUlT_SG_SH_SI_E_clIS7_S7_SB_PlEESF_SV_SG_SH_SI_EUlSV_E_NS1_11comp_targetILNS1_3genE9ELNS1_11target_archE1100ELNS1_3gpuE3ELNS1_3repE0EEENS1_48merge_mergepath_partition_config_static_selectorELNS0_4arch9wavefront6targetE1EEEvSH_.has_dyn_sized_stack, 0
	.set _ZN7rocprim17ROCPRIM_400000_NS6detail17trampoline_kernelINS0_14default_configENS1_38merge_sort_block_merge_config_selectorIilEEZZNS1_27merge_sort_block_merge_implIS3_PiN6thrust23THRUST_200600_302600_NS10device_ptrIlEEjNS1_19radix_merge_compareILb0ELb1EiNS0_19identity_decomposerEEEEE10hipError_tT0_T1_T2_jT3_P12ihipStream_tbPNSt15iterator_traitsISG_E10value_typeEPNSM_ISH_E10value_typeEPSI_NS1_7vsmem_tEENKUlT_SG_SH_SI_E_clIS7_S7_SB_PlEESF_SV_SG_SH_SI_EUlSV_E_NS1_11comp_targetILNS1_3genE9ELNS1_11target_archE1100ELNS1_3gpuE3ELNS1_3repE0EEENS1_48merge_mergepath_partition_config_static_selectorELNS0_4arch9wavefront6targetE1EEEvSH_.has_recursion, 0
	.set _ZN7rocprim17ROCPRIM_400000_NS6detail17trampoline_kernelINS0_14default_configENS1_38merge_sort_block_merge_config_selectorIilEEZZNS1_27merge_sort_block_merge_implIS3_PiN6thrust23THRUST_200600_302600_NS10device_ptrIlEEjNS1_19radix_merge_compareILb0ELb1EiNS0_19identity_decomposerEEEEE10hipError_tT0_T1_T2_jT3_P12ihipStream_tbPNSt15iterator_traitsISG_E10value_typeEPNSM_ISH_E10value_typeEPSI_NS1_7vsmem_tEENKUlT_SG_SH_SI_E_clIS7_S7_SB_PlEESF_SV_SG_SH_SI_EUlSV_E_NS1_11comp_targetILNS1_3genE9ELNS1_11target_archE1100ELNS1_3gpuE3ELNS1_3repE0EEENS1_48merge_mergepath_partition_config_static_selectorELNS0_4arch9wavefront6targetE1EEEvSH_.has_indirect_call, 0
	.section	.AMDGPU.csdata,"",@progbits
; Kernel info:
; codeLenInByte = 0
; TotalNumSgprs: 4
; NumVgprs: 0
; ScratchSize: 0
; MemoryBound: 0
; FloatMode: 240
; IeeeMode: 1
; LDSByteSize: 0 bytes/workgroup (compile time only)
; SGPRBlocks: 0
; VGPRBlocks: 0
; NumSGPRsForWavesPerEU: 4
; NumVGPRsForWavesPerEU: 1
; Occupancy: 10
; WaveLimiterHint : 0
; COMPUTE_PGM_RSRC2:SCRATCH_EN: 0
; COMPUTE_PGM_RSRC2:USER_SGPR: 6
; COMPUTE_PGM_RSRC2:TRAP_HANDLER: 0
; COMPUTE_PGM_RSRC2:TGID_X_EN: 1
; COMPUTE_PGM_RSRC2:TGID_Y_EN: 0
; COMPUTE_PGM_RSRC2:TGID_Z_EN: 0
; COMPUTE_PGM_RSRC2:TIDIG_COMP_CNT: 0
	.section	.text._ZN7rocprim17ROCPRIM_400000_NS6detail17trampoline_kernelINS0_14default_configENS1_38merge_sort_block_merge_config_selectorIilEEZZNS1_27merge_sort_block_merge_implIS3_PiN6thrust23THRUST_200600_302600_NS10device_ptrIlEEjNS1_19radix_merge_compareILb0ELb1EiNS0_19identity_decomposerEEEEE10hipError_tT0_T1_T2_jT3_P12ihipStream_tbPNSt15iterator_traitsISG_E10value_typeEPNSM_ISH_E10value_typeEPSI_NS1_7vsmem_tEENKUlT_SG_SH_SI_E_clIS7_S7_SB_PlEESF_SV_SG_SH_SI_EUlSV_E_NS1_11comp_targetILNS1_3genE8ELNS1_11target_archE1030ELNS1_3gpuE2ELNS1_3repE0EEENS1_48merge_mergepath_partition_config_static_selectorELNS0_4arch9wavefront6targetE1EEEvSH_,"axG",@progbits,_ZN7rocprim17ROCPRIM_400000_NS6detail17trampoline_kernelINS0_14default_configENS1_38merge_sort_block_merge_config_selectorIilEEZZNS1_27merge_sort_block_merge_implIS3_PiN6thrust23THRUST_200600_302600_NS10device_ptrIlEEjNS1_19radix_merge_compareILb0ELb1EiNS0_19identity_decomposerEEEEE10hipError_tT0_T1_T2_jT3_P12ihipStream_tbPNSt15iterator_traitsISG_E10value_typeEPNSM_ISH_E10value_typeEPSI_NS1_7vsmem_tEENKUlT_SG_SH_SI_E_clIS7_S7_SB_PlEESF_SV_SG_SH_SI_EUlSV_E_NS1_11comp_targetILNS1_3genE8ELNS1_11target_archE1030ELNS1_3gpuE2ELNS1_3repE0EEENS1_48merge_mergepath_partition_config_static_selectorELNS0_4arch9wavefront6targetE1EEEvSH_,comdat
	.protected	_ZN7rocprim17ROCPRIM_400000_NS6detail17trampoline_kernelINS0_14default_configENS1_38merge_sort_block_merge_config_selectorIilEEZZNS1_27merge_sort_block_merge_implIS3_PiN6thrust23THRUST_200600_302600_NS10device_ptrIlEEjNS1_19radix_merge_compareILb0ELb1EiNS0_19identity_decomposerEEEEE10hipError_tT0_T1_T2_jT3_P12ihipStream_tbPNSt15iterator_traitsISG_E10value_typeEPNSM_ISH_E10value_typeEPSI_NS1_7vsmem_tEENKUlT_SG_SH_SI_E_clIS7_S7_SB_PlEESF_SV_SG_SH_SI_EUlSV_E_NS1_11comp_targetILNS1_3genE8ELNS1_11target_archE1030ELNS1_3gpuE2ELNS1_3repE0EEENS1_48merge_mergepath_partition_config_static_selectorELNS0_4arch9wavefront6targetE1EEEvSH_ ; -- Begin function _ZN7rocprim17ROCPRIM_400000_NS6detail17trampoline_kernelINS0_14default_configENS1_38merge_sort_block_merge_config_selectorIilEEZZNS1_27merge_sort_block_merge_implIS3_PiN6thrust23THRUST_200600_302600_NS10device_ptrIlEEjNS1_19radix_merge_compareILb0ELb1EiNS0_19identity_decomposerEEEEE10hipError_tT0_T1_T2_jT3_P12ihipStream_tbPNSt15iterator_traitsISG_E10value_typeEPNSM_ISH_E10value_typeEPSI_NS1_7vsmem_tEENKUlT_SG_SH_SI_E_clIS7_S7_SB_PlEESF_SV_SG_SH_SI_EUlSV_E_NS1_11comp_targetILNS1_3genE8ELNS1_11target_archE1030ELNS1_3gpuE2ELNS1_3repE0EEENS1_48merge_mergepath_partition_config_static_selectorELNS0_4arch9wavefront6targetE1EEEvSH_
	.globl	_ZN7rocprim17ROCPRIM_400000_NS6detail17trampoline_kernelINS0_14default_configENS1_38merge_sort_block_merge_config_selectorIilEEZZNS1_27merge_sort_block_merge_implIS3_PiN6thrust23THRUST_200600_302600_NS10device_ptrIlEEjNS1_19radix_merge_compareILb0ELb1EiNS0_19identity_decomposerEEEEE10hipError_tT0_T1_T2_jT3_P12ihipStream_tbPNSt15iterator_traitsISG_E10value_typeEPNSM_ISH_E10value_typeEPSI_NS1_7vsmem_tEENKUlT_SG_SH_SI_E_clIS7_S7_SB_PlEESF_SV_SG_SH_SI_EUlSV_E_NS1_11comp_targetILNS1_3genE8ELNS1_11target_archE1030ELNS1_3gpuE2ELNS1_3repE0EEENS1_48merge_mergepath_partition_config_static_selectorELNS0_4arch9wavefront6targetE1EEEvSH_
	.p2align	8
	.type	_ZN7rocprim17ROCPRIM_400000_NS6detail17trampoline_kernelINS0_14default_configENS1_38merge_sort_block_merge_config_selectorIilEEZZNS1_27merge_sort_block_merge_implIS3_PiN6thrust23THRUST_200600_302600_NS10device_ptrIlEEjNS1_19radix_merge_compareILb0ELb1EiNS0_19identity_decomposerEEEEE10hipError_tT0_T1_T2_jT3_P12ihipStream_tbPNSt15iterator_traitsISG_E10value_typeEPNSM_ISH_E10value_typeEPSI_NS1_7vsmem_tEENKUlT_SG_SH_SI_E_clIS7_S7_SB_PlEESF_SV_SG_SH_SI_EUlSV_E_NS1_11comp_targetILNS1_3genE8ELNS1_11target_archE1030ELNS1_3gpuE2ELNS1_3repE0EEENS1_48merge_mergepath_partition_config_static_selectorELNS0_4arch9wavefront6targetE1EEEvSH_,@function
_ZN7rocprim17ROCPRIM_400000_NS6detail17trampoline_kernelINS0_14default_configENS1_38merge_sort_block_merge_config_selectorIilEEZZNS1_27merge_sort_block_merge_implIS3_PiN6thrust23THRUST_200600_302600_NS10device_ptrIlEEjNS1_19radix_merge_compareILb0ELb1EiNS0_19identity_decomposerEEEEE10hipError_tT0_T1_T2_jT3_P12ihipStream_tbPNSt15iterator_traitsISG_E10value_typeEPNSM_ISH_E10value_typeEPSI_NS1_7vsmem_tEENKUlT_SG_SH_SI_E_clIS7_S7_SB_PlEESF_SV_SG_SH_SI_EUlSV_E_NS1_11comp_targetILNS1_3genE8ELNS1_11target_archE1030ELNS1_3gpuE2ELNS1_3repE0EEENS1_48merge_mergepath_partition_config_static_selectorELNS0_4arch9wavefront6targetE1EEEvSH_: ; @_ZN7rocprim17ROCPRIM_400000_NS6detail17trampoline_kernelINS0_14default_configENS1_38merge_sort_block_merge_config_selectorIilEEZZNS1_27merge_sort_block_merge_implIS3_PiN6thrust23THRUST_200600_302600_NS10device_ptrIlEEjNS1_19radix_merge_compareILb0ELb1EiNS0_19identity_decomposerEEEEE10hipError_tT0_T1_T2_jT3_P12ihipStream_tbPNSt15iterator_traitsISG_E10value_typeEPNSM_ISH_E10value_typeEPSI_NS1_7vsmem_tEENKUlT_SG_SH_SI_E_clIS7_S7_SB_PlEESF_SV_SG_SH_SI_EUlSV_E_NS1_11comp_targetILNS1_3genE8ELNS1_11target_archE1030ELNS1_3gpuE2ELNS1_3repE0EEENS1_48merge_mergepath_partition_config_static_selectorELNS0_4arch9wavefront6targetE1EEEvSH_
; %bb.0:
	.section	.rodata,"a",@progbits
	.p2align	6, 0x0
	.amdhsa_kernel _ZN7rocprim17ROCPRIM_400000_NS6detail17trampoline_kernelINS0_14default_configENS1_38merge_sort_block_merge_config_selectorIilEEZZNS1_27merge_sort_block_merge_implIS3_PiN6thrust23THRUST_200600_302600_NS10device_ptrIlEEjNS1_19radix_merge_compareILb0ELb1EiNS0_19identity_decomposerEEEEE10hipError_tT0_T1_T2_jT3_P12ihipStream_tbPNSt15iterator_traitsISG_E10value_typeEPNSM_ISH_E10value_typeEPSI_NS1_7vsmem_tEENKUlT_SG_SH_SI_E_clIS7_S7_SB_PlEESF_SV_SG_SH_SI_EUlSV_E_NS1_11comp_targetILNS1_3genE8ELNS1_11target_archE1030ELNS1_3gpuE2ELNS1_3repE0EEENS1_48merge_mergepath_partition_config_static_selectorELNS0_4arch9wavefront6targetE1EEEvSH_
		.amdhsa_group_segment_fixed_size 0
		.amdhsa_private_segment_fixed_size 0
		.amdhsa_kernarg_size 40
		.amdhsa_user_sgpr_count 6
		.amdhsa_user_sgpr_private_segment_buffer 1
		.amdhsa_user_sgpr_dispatch_ptr 0
		.amdhsa_user_sgpr_queue_ptr 0
		.amdhsa_user_sgpr_kernarg_segment_ptr 1
		.amdhsa_user_sgpr_dispatch_id 0
		.amdhsa_user_sgpr_flat_scratch_init 0
		.amdhsa_user_sgpr_private_segment_size 0
		.amdhsa_uses_dynamic_stack 0
		.amdhsa_system_sgpr_private_segment_wavefront_offset 0
		.amdhsa_system_sgpr_workgroup_id_x 1
		.amdhsa_system_sgpr_workgroup_id_y 0
		.amdhsa_system_sgpr_workgroup_id_z 0
		.amdhsa_system_sgpr_workgroup_info 0
		.amdhsa_system_vgpr_workitem_id 0
		.amdhsa_next_free_vgpr 1
		.amdhsa_next_free_sgpr 0
		.amdhsa_reserve_vcc 0
		.amdhsa_reserve_flat_scratch 0
		.amdhsa_float_round_mode_32 0
		.amdhsa_float_round_mode_16_64 0
		.amdhsa_float_denorm_mode_32 3
		.amdhsa_float_denorm_mode_16_64 3
		.amdhsa_dx10_clamp 1
		.amdhsa_ieee_mode 1
		.amdhsa_fp16_overflow 0
		.amdhsa_exception_fp_ieee_invalid_op 0
		.amdhsa_exception_fp_denorm_src 0
		.amdhsa_exception_fp_ieee_div_zero 0
		.amdhsa_exception_fp_ieee_overflow 0
		.amdhsa_exception_fp_ieee_underflow 0
		.amdhsa_exception_fp_ieee_inexact 0
		.amdhsa_exception_int_div_zero 0
	.end_amdhsa_kernel
	.section	.text._ZN7rocprim17ROCPRIM_400000_NS6detail17trampoline_kernelINS0_14default_configENS1_38merge_sort_block_merge_config_selectorIilEEZZNS1_27merge_sort_block_merge_implIS3_PiN6thrust23THRUST_200600_302600_NS10device_ptrIlEEjNS1_19radix_merge_compareILb0ELb1EiNS0_19identity_decomposerEEEEE10hipError_tT0_T1_T2_jT3_P12ihipStream_tbPNSt15iterator_traitsISG_E10value_typeEPNSM_ISH_E10value_typeEPSI_NS1_7vsmem_tEENKUlT_SG_SH_SI_E_clIS7_S7_SB_PlEESF_SV_SG_SH_SI_EUlSV_E_NS1_11comp_targetILNS1_3genE8ELNS1_11target_archE1030ELNS1_3gpuE2ELNS1_3repE0EEENS1_48merge_mergepath_partition_config_static_selectorELNS0_4arch9wavefront6targetE1EEEvSH_,"axG",@progbits,_ZN7rocprim17ROCPRIM_400000_NS6detail17trampoline_kernelINS0_14default_configENS1_38merge_sort_block_merge_config_selectorIilEEZZNS1_27merge_sort_block_merge_implIS3_PiN6thrust23THRUST_200600_302600_NS10device_ptrIlEEjNS1_19radix_merge_compareILb0ELb1EiNS0_19identity_decomposerEEEEE10hipError_tT0_T1_T2_jT3_P12ihipStream_tbPNSt15iterator_traitsISG_E10value_typeEPNSM_ISH_E10value_typeEPSI_NS1_7vsmem_tEENKUlT_SG_SH_SI_E_clIS7_S7_SB_PlEESF_SV_SG_SH_SI_EUlSV_E_NS1_11comp_targetILNS1_3genE8ELNS1_11target_archE1030ELNS1_3gpuE2ELNS1_3repE0EEENS1_48merge_mergepath_partition_config_static_selectorELNS0_4arch9wavefront6targetE1EEEvSH_,comdat
.Lfunc_end831:
	.size	_ZN7rocprim17ROCPRIM_400000_NS6detail17trampoline_kernelINS0_14default_configENS1_38merge_sort_block_merge_config_selectorIilEEZZNS1_27merge_sort_block_merge_implIS3_PiN6thrust23THRUST_200600_302600_NS10device_ptrIlEEjNS1_19radix_merge_compareILb0ELb1EiNS0_19identity_decomposerEEEEE10hipError_tT0_T1_T2_jT3_P12ihipStream_tbPNSt15iterator_traitsISG_E10value_typeEPNSM_ISH_E10value_typeEPSI_NS1_7vsmem_tEENKUlT_SG_SH_SI_E_clIS7_S7_SB_PlEESF_SV_SG_SH_SI_EUlSV_E_NS1_11comp_targetILNS1_3genE8ELNS1_11target_archE1030ELNS1_3gpuE2ELNS1_3repE0EEENS1_48merge_mergepath_partition_config_static_selectorELNS0_4arch9wavefront6targetE1EEEvSH_, .Lfunc_end831-_ZN7rocprim17ROCPRIM_400000_NS6detail17trampoline_kernelINS0_14default_configENS1_38merge_sort_block_merge_config_selectorIilEEZZNS1_27merge_sort_block_merge_implIS3_PiN6thrust23THRUST_200600_302600_NS10device_ptrIlEEjNS1_19radix_merge_compareILb0ELb1EiNS0_19identity_decomposerEEEEE10hipError_tT0_T1_T2_jT3_P12ihipStream_tbPNSt15iterator_traitsISG_E10value_typeEPNSM_ISH_E10value_typeEPSI_NS1_7vsmem_tEENKUlT_SG_SH_SI_E_clIS7_S7_SB_PlEESF_SV_SG_SH_SI_EUlSV_E_NS1_11comp_targetILNS1_3genE8ELNS1_11target_archE1030ELNS1_3gpuE2ELNS1_3repE0EEENS1_48merge_mergepath_partition_config_static_selectorELNS0_4arch9wavefront6targetE1EEEvSH_
                                        ; -- End function
	.set _ZN7rocprim17ROCPRIM_400000_NS6detail17trampoline_kernelINS0_14default_configENS1_38merge_sort_block_merge_config_selectorIilEEZZNS1_27merge_sort_block_merge_implIS3_PiN6thrust23THRUST_200600_302600_NS10device_ptrIlEEjNS1_19radix_merge_compareILb0ELb1EiNS0_19identity_decomposerEEEEE10hipError_tT0_T1_T2_jT3_P12ihipStream_tbPNSt15iterator_traitsISG_E10value_typeEPNSM_ISH_E10value_typeEPSI_NS1_7vsmem_tEENKUlT_SG_SH_SI_E_clIS7_S7_SB_PlEESF_SV_SG_SH_SI_EUlSV_E_NS1_11comp_targetILNS1_3genE8ELNS1_11target_archE1030ELNS1_3gpuE2ELNS1_3repE0EEENS1_48merge_mergepath_partition_config_static_selectorELNS0_4arch9wavefront6targetE1EEEvSH_.num_vgpr, 0
	.set _ZN7rocprim17ROCPRIM_400000_NS6detail17trampoline_kernelINS0_14default_configENS1_38merge_sort_block_merge_config_selectorIilEEZZNS1_27merge_sort_block_merge_implIS3_PiN6thrust23THRUST_200600_302600_NS10device_ptrIlEEjNS1_19radix_merge_compareILb0ELb1EiNS0_19identity_decomposerEEEEE10hipError_tT0_T1_T2_jT3_P12ihipStream_tbPNSt15iterator_traitsISG_E10value_typeEPNSM_ISH_E10value_typeEPSI_NS1_7vsmem_tEENKUlT_SG_SH_SI_E_clIS7_S7_SB_PlEESF_SV_SG_SH_SI_EUlSV_E_NS1_11comp_targetILNS1_3genE8ELNS1_11target_archE1030ELNS1_3gpuE2ELNS1_3repE0EEENS1_48merge_mergepath_partition_config_static_selectorELNS0_4arch9wavefront6targetE1EEEvSH_.num_agpr, 0
	.set _ZN7rocprim17ROCPRIM_400000_NS6detail17trampoline_kernelINS0_14default_configENS1_38merge_sort_block_merge_config_selectorIilEEZZNS1_27merge_sort_block_merge_implIS3_PiN6thrust23THRUST_200600_302600_NS10device_ptrIlEEjNS1_19radix_merge_compareILb0ELb1EiNS0_19identity_decomposerEEEEE10hipError_tT0_T1_T2_jT3_P12ihipStream_tbPNSt15iterator_traitsISG_E10value_typeEPNSM_ISH_E10value_typeEPSI_NS1_7vsmem_tEENKUlT_SG_SH_SI_E_clIS7_S7_SB_PlEESF_SV_SG_SH_SI_EUlSV_E_NS1_11comp_targetILNS1_3genE8ELNS1_11target_archE1030ELNS1_3gpuE2ELNS1_3repE0EEENS1_48merge_mergepath_partition_config_static_selectorELNS0_4arch9wavefront6targetE1EEEvSH_.numbered_sgpr, 0
	.set _ZN7rocprim17ROCPRIM_400000_NS6detail17trampoline_kernelINS0_14default_configENS1_38merge_sort_block_merge_config_selectorIilEEZZNS1_27merge_sort_block_merge_implIS3_PiN6thrust23THRUST_200600_302600_NS10device_ptrIlEEjNS1_19radix_merge_compareILb0ELb1EiNS0_19identity_decomposerEEEEE10hipError_tT0_T1_T2_jT3_P12ihipStream_tbPNSt15iterator_traitsISG_E10value_typeEPNSM_ISH_E10value_typeEPSI_NS1_7vsmem_tEENKUlT_SG_SH_SI_E_clIS7_S7_SB_PlEESF_SV_SG_SH_SI_EUlSV_E_NS1_11comp_targetILNS1_3genE8ELNS1_11target_archE1030ELNS1_3gpuE2ELNS1_3repE0EEENS1_48merge_mergepath_partition_config_static_selectorELNS0_4arch9wavefront6targetE1EEEvSH_.num_named_barrier, 0
	.set _ZN7rocprim17ROCPRIM_400000_NS6detail17trampoline_kernelINS0_14default_configENS1_38merge_sort_block_merge_config_selectorIilEEZZNS1_27merge_sort_block_merge_implIS3_PiN6thrust23THRUST_200600_302600_NS10device_ptrIlEEjNS1_19radix_merge_compareILb0ELb1EiNS0_19identity_decomposerEEEEE10hipError_tT0_T1_T2_jT3_P12ihipStream_tbPNSt15iterator_traitsISG_E10value_typeEPNSM_ISH_E10value_typeEPSI_NS1_7vsmem_tEENKUlT_SG_SH_SI_E_clIS7_S7_SB_PlEESF_SV_SG_SH_SI_EUlSV_E_NS1_11comp_targetILNS1_3genE8ELNS1_11target_archE1030ELNS1_3gpuE2ELNS1_3repE0EEENS1_48merge_mergepath_partition_config_static_selectorELNS0_4arch9wavefront6targetE1EEEvSH_.private_seg_size, 0
	.set _ZN7rocprim17ROCPRIM_400000_NS6detail17trampoline_kernelINS0_14default_configENS1_38merge_sort_block_merge_config_selectorIilEEZZNS1_27merge_sort_block_merge_implIS3_PiN6thrust23THRUST_200600_302600_NS10device_ptrIlEEjNS1_19radix_merge_compareILb0ELb1EiNS0_19identity_decomposerEEEEE10hipError_tT0_T1_T2_jT3_P12ihipStream_tbPNSt15iterator_traitsISG_E10value_typeEPNSM_ISH_E10value_typeEPSI_NS1_7vsmem_tEENKUlT_SG_SH_SI_E_clIS7_S7_SB_PlEESF_SV_SG_SH_SI_EUlSV_E_NS1_11comp_targetILNS1_3genE8ELNS1_11target_archE1030ELNS1_3gpuE2ELNS1_3repE0EEENS1_48merge_mergepath_partition_config_static_selectorELNS0_4arch9wavefront6targetE1EEEvSH_.uses_vcc, 0
	.set _ZN7rocprim17ROCPRIM_400000_NS6detail17trampoline_kernelINS0_14default_configENS1_38merge_sort_block_merge_config_selectorIilEEZZNS1_27merge_sort_block_merge_implIS3_PiN6thrust23THRUST_200600_302600_NS10device_ptrIlEEjNS1_19radix_merge_compareILb0ELb1EiNS0_19identity_decomposerEEEEE10hipError_tT0_T1_T2_jT3_P12ihipStream_tbPNSt15iterator_traitsISG_E10value_typeEPNSM_ISH_E10value_typeEPSI_NS1_7vsmem_tEENKUlT_SG_SH_SI_E_clIS7_S7_SB_PlEESF_SV_SG_SH_SI_EUlSV_E_NS1_11comp_targetILNS1_3genE8ELNS1_11target_archE1030ELNS1_3gpuE2ELNS1_3repE0EEENS1_48merge_mergepath_partition_config_static_selectorELNS0_4arch9wavefront6targetE1EEEvSH_.uses_flat_scratch, 0
	.set _ZN7rocprim17ROCPRIM_400000_NS6detail17trampoline_kernelINS0_14default_configENS1_38merge_sort_block_merge_config_selectorIilEEZZNS1_27merge_sort_block_merge_implIS3_PiN6thrust23THRUST_200600_302600_NS10device_ptrIlEEjNS1_19radix_merge_compareILb0ELb1EiNS0_19identity_decomposerEEEEE10hipError_tT0_T1_T2_jT3_P12ihipStream_tbPNSt15iterator_traitsISG_E10value_typeEPNSM_ISH_E10value_typeEPSI_NS1_7vsmem_tEENKUlT_SG_SH_SI_E_clIS7_S7_SB_PlEESF_SV_SG_SH_SI_EUlSV_E_NS1_11comp_targetILNS1_3genE8ELNS1_11target_archE1030ELNS1_3gpuE2ELNS1_3repE0EEENS1_48merge_mergepath_partition_config_static_selectorELNS0_4arch9wavefront6targetE1EEEvSH_.has_dyn_sized_stack, 0
	.set _ZN7rocprim17ROCPRIM_400000_NS6detail17trampoline_kernelINS0_14default_configENS1_38merge_sort_block_merge_config_selectorIilEEZZNS1_27merge_sort_block_merge_implIS3_PiN6thrust23THRUST_200600_302600_NS10device_ptrIlEEjNS1_19radix_merge_compareILb0ELb1EiNS0_19identity_decomposerEEEEE10hipError_tT0_T1_T2_jT3_P12ihipStream_tbPNSt15iterator_traitsISG_E10value_typeEPNSM_ISH_E10value_typeEPSI_NS1_7vsmem_tEENKUlT_SG_SH_SI_E_clIS7_S7_SB_PlEESF_SV_SG_SH_SI_EUlSV_E_NS1_11comp_targetILNS1_3genE8ELNS1_11target_archE1030ELNS1_3gpuE2ELNS1_3repE0EEENS1_48merge_mergepath_partition_config_static_selectorELNS0_4arch9wavefront6targetE1EEEvSH_.has_recursion, 0
	.set _ZN7rocprim17ROCPRIM_400000_NS6detail17trampoline_kernelINS0_14default_configENS1_38merge_sort_block_merge_config_selectorIilEEZZNS1_27merge_sort_block_merge_implIS3_PiN6thrust23THRUST_200600_302600_NS10device_ptrIlEEjNS1_19radix_merge_compareILb0ELb1EiNS0_19identity_decomposerEEEEE10hipError_tT0_T1_T2_jT3_P12ihipStream_tbPNSt15iterator_traitsISG_E10value_typeEPNSM_ISH_E10value_typeEPSI_NS1_7vsmem_tEENKUlT_SG_SH_SI_E_clIS7_S7_SB_PlEESF_SV_SG_SH_SI_EUlSV_E_NS1_11comp_targetILNS1_3genE8ELNS1_11target_archE1030ELNS1_3gpuE2ELNS1_3repE0EEENS1_48merge_mergepath_partition_config_static_selectorELNS0_4arch9wavefront6targetE1EEEvSH_.has_indirect_call, 0
	.section	.AMDGPU.csdata,"",@progbits
; Kernel info:
; codeLenInByte = 0
; TotalNumSgprs: 4
; NumVgprs: 0
; ScratchSize: 0
; MemoryBound: 0
; FloatMode: 240
; IeeeMode: 1
; LDSByteSize: 0 bytes/workgroup (compile time only)
; SGPRBlocks: 0
; VGPRBlocks: 0
; NumSGPRsForWavesPerEU: 4
; NumVGPRsForWavesPerEU: 1
; Occupancy: 10
; WaveLimiterHint : 0
; COMPUTE_PGM_RSRC2:SCRATCH_EN: 0
; COMPUTE_PGM_RSRC2:USER_SGPR: 6
; COMPUTE_PGM_RSRC2:TRAP_HANDLER: 0
; COMPUTE_PGM_RSRC2:TGID_X_EN: 1
; COMPUTE_PGM_RSRC2:TGID_Y_EN: 0
; COMPUTE_PGM_RSRC2:TGID_Z_EN: 0
; COMPUTE_PGM_RSRC2:TIDIG_COMP_CNT: 0
	.section	.text._ZN7rocprim17ROCPRIM_400000_NS6detail17trampoline_kernelINS0_14default_configENS1_38merge_sort_block_merge_config_selectorIilEEZZNS1_27merge_sort_block_merge_implIS3_PiN6thrust23THRUST_200600_302600_NS10device_ptrIlEEjNS1_19radix_merge_compareILb0ELb1EiNS0_19identity_decomposerEEEEE10hipError_tT0_T1_T2_jT3_P12ihipStream_tbPNSt15iterator_traitsISG_E10value_typeEPNSM_ISH_E10value_typeEPSI_NS1_7vsmem_tEENKUlT_SG_SH_SI_E_clIS7_S7_SB_PlEESF_SV_SG_SH_SI_EUlSV_E0_NS1_11comp_targetILNS1_3genE0ELNS1_11target_archE4294967295ELNS1_3gpuE0ELNS1_3repE0EEENS1_38merge_mergepath_config_static_selectorELNS0_4arch9wavefront6targetE1EEEvSH_,"axG",@progbits,_ZN7rocprim17ROCPRIM_400000_NS6detail17trampoline_kernelINS0_14default_configENS1_38merge_sort_block_merge_config_selectorIilEEZZNS1_27merge_sort_block_merge_implIS3_PiN6thrust23THRUST_200600_302600_NS10device_ptrIlEEjNS1_19radix_merge_compareILb0ELb1EiNS0_19identity_decomposerEEEEE10hipError_tT0_T1_T2_jT3_P12ihipStream_tbPNSt15iterator_traitsISG_E10value_typeEPNSM_ISH_E10value_typeEPSI_NS1_7vsmem_tEENKUlT_SG_SH_SI_E_clIS7_S7_SB_PlEESF_SV_SG_SH_SI_EUlSV_E0_NS1_11comp_targetILNS1_3genE0ELNS1_11target_archE4294967295ELNS1_3gpuE0ELNS1_3repE0EEENS1_38merge_mergepath_config_static_selectorELNS0_4arch9wavefront6targetE1EEEvSH_,comdat
	.protected	_ZN7rocprim17ROCPRIM_400000_NS6detail17trampoline_kernelINS0_14default_configENS1_38merge_sort_block_merge_config_selectorIilEEZZNS1_27merge_sort_block_merge_implIS3_PiN6thrust23THRUST_200600_302600_NS10device_ptrIlEEjNS1_19radix_merge_compareILb0ELb1EiNS0_19identity_decomposerEEEEE10hipError_tT0_T1_T2_jT3_P12ihipStream_tbPNSt15iterator_traitsISG_E10value_typeEPNSM_ISH_E10value_typeEPSI_NS1_7vsmem_tEENKUlT_SG_SH_SI_E_clIS7_S7_SB_PlEESF_SV_SG_SH_SI_EUlSV_E0_NS1_11comp_targetILNS1_3genE0ELNS1_11target_archE4294967295ELNS1_3gpuE0ELNS1_3repE0EEENS1_38merge_mergepath_config_static_selectorELNS0_4arch9wavefront6targetE1EEEvSH_ ; -- Begin function _ZN7rocprim17ROCPRIM_400000_NS6detail17trampoline_kernelINS0_14default_configENS1_38merge_sort_block_merge_config_selectorIilEEZZNS1_27merge_sort_block_merge_implIS3_PiN6thrust23THRUST_200600_302600_NS10device_ptrIlEEjNS1_19radix_merge_compareILb0ELb1EiNS0_19identity_decomposerEEEEE10hipError_tT0_T1_T2_jT3_P12ihipStream_tbPNSt15iterator_traitsISG_E10value_typeEPNSM_ISH_E10value_typeEPSI_NS1_7vsmem_tEENKUlT_SG_SH_SI_E_clIS7_S7_SB_PlEESF_SV_SG_SH_SI_EUlSV_E0_NS1_11comp_targetILNS1_3genE0ELNS1_11target_archE4294967295ELNS1_3gpuE0ELNS1_3repE0EEENS1_38merge_mergepath_config_static_selectorELNS0_4arch9wavefront6targetE1EEEvSH_
	.globl	_ZN7rocprim17ROCPRIM_400000_NS6detail17trampoline_kernelINS0_14default_configENS1_38merge_sort_block_merge_config_selectorIilEEZZNS1_27merge_sort_block_merge_implIS3_PiN6thrust23THRUST_200600_302600_NS10device_ptrIlEEjNS1_19radix_merge_compareILb0ELb1EiNS0_19identity_decomposerEEEEE10hipError_tT0_T1_T2_jT3_P12ihipStream_tbPNSt15iterator_traitsISG_E10value_typeEPNSM_ISH_E10value_typeEPSI_NS1_7vsmem_tEENKUlT_SG_SH_SI_E_clIS7_S7_SB_PlEESF_SV_SG_SH_SI_EUlSV_E0_NS1_11comp_targetILNS1_3genE0ELNS1_11target_archE4294967295ELNS1_3gpuE0ELNS1_3repE0EEENS1_38merge_mergepath_config_static_selectorELNS0_4arch9wavefront6targetE1EEEvSH_
	.p2align	8
	.type	_ZN7rocprim17ROCPRIM_400000_NS6detail17trampoline_kernelINS0_14default_configENS1_38merge_sort_block_merge_config_selectorIilEEZZNS1_27merge_sort_block_merge_implIS3_PiN6thrust23THRUST_200600_302600_NS10device_ptrIlEEjNS1_19radix_merge_compareILb0ELb1EiNS0_19identity_decomposerEEEEE10hipError_tT0_T1_T2_jT3_P12ihipStream_tbPNSt15iterator_traitsISG_E10value_typeEPNSM_ISH_E10value_typeEPSI_NS1_7vsmem_tEENKUlT_SG_SH_SI_E_clIS7_S7_SB_PlEESF_SV_SG_SH_SI_EUlSV_E0_NS1_11comp_targetILNS1_3genE0ELNS1_11target_archE4294967295ELNS1_3gpuE0ELNS1_3repE0EEENS1_38merge_mergepath_config_static_selectorELNS0_4arch9wavefront6targetE1EEEvSH_,@function
_ZN7rocprim17ROCPRIM_400000_NS6detail17trampoline_kernelINS0_14default_configENS1_38merge_sort_block_merge_config_selectorIilEEZZNS1_27merge_sort_block_merge_implIS3_PiN6thrust23THRUST_200600_302600_NS10device_ptrIlEEjNS1_19radix_merge_compareILb0ELb1EiNS0_19identity_decomposerEEEEE10hipError_tT0_T1_T2_jT3_P12ihipStream_tbPNSt15iterator_traitsISG_E10value_typeEPNSM_ISH_E10value_typeEPSI_NS1_7vsmem_tEENKUlT_SG_SH_SI_E_clIS7_S7_SB_PlEESF_SV_SG_SH_SI_EUlSV_E0_NS1_11comp_targetILNS1_3genE0ELNS1_11target_archE4294967295ELNS1_3gpuE0ELNS1_3repE0EEENS1_38merge_mergepath_config_static_selectorELNS0_4arch9wavefront6targetE1EEEvSH_: ; @_ZN7rocprim17ROCPRIM_400000_NS6detail17trampoline_kernelINS0_14default_configENS1_38merge_sort_block_merge_config_selectorIilEEZZNS1_27merge_sort_block_merge_implIS3_PiN6thrust23THRUST_200600_302600_NS10device_ptrIlEEjNS1_19radix_merge_compareILb0ELb1EiNS0_19identity_decomposerEEEEE10hipError_tT0_T1_T2_jT3_P12ihipStream_tbPNSt15iterator_traitsISG_E10value_typeEPNSM_ISH_E10value_typeEPSI_NS1_7vsmem_tEENKUlT_SG_SH_SI_E_clIS7_S7_SB_PlEESF_SV_SG_SH_SI_EUlSV_E0_NS1_11comp_targetILNS1_3genE0ELNS1_11target_archE4294967295ELNS1_3gpuE0ELNS1_3repE0EEENS1_38merge_mergepath_config_static_selectorELNS0_4arch9wavefront6targetE1EEEvSH_
; %bb.0:
	.section	.rodata,"a",@progbits
	.p2align	6, 0x0
	.amdhsa_kernel _ZN7rocprim17ROCPRIM_400000_NS6detail17trampoline_kernelINS0_14default_configENS1_38merge_sort_block_merge_config_selectorIilEEZZNS1_27merge_sort_block_merge_implIS3_PiN6thrust23THRUST_200600_302600_NS10device_ptrIlEEjNS1_19radix_merge_compareILb0ELb1EiNS0_19identity_decomposerEEEEE10hipError_tT0_T1_T2_jT3_P12ihipStream_tbPNSt15iterator_traitsISG_E10value_typeEPNSM_ISH_E10value_typeEPSI_NS1_7vsmem_tEENKUlT_SG_SH_SI_E_clIS7_S7_SB_PlEESF_SV_SG_SH_SI_EUlSV_E0_NS1_11comp_targetILNS1_3genE0ELNS1_11target_archE4294967295ELNS1_3gpuE0ELNS1_3repE0EEENS1_38merge_mergepath_config_static_selectorELNS0_4arch9wavefront6targetE1EEEvSH_
		.amdhsa_group_segment_fixed_size 0
		.amdhsa_private_segment_fixed_size 0
		.amdhsa_kernarg_size 64
		.amdhsa_user_sgpr_count 6
		.amdhsa_user_sgpr_private_segment_buffer 1
		.amdhsa_user_sgpr_dispatch_ptr 0
		.amdhsa_user_sgpr_queue_ptr 0
		.amdhsa_user_sgpr_kernarg_segment_ptr 1
		.amdhsa_user_sgpr_dispatch_id 0
		.amdhsa_user_sgpr_flat_scratch_init 0
		.amdhsa_user_sgpr_private_segment_size 0
		.amdhsa_uses_dynamic_stack 0
		.amdhsa_system_sgpr_private_segment_wavefront_offset 0
		.amdhsa_system_sgpr_workgroup_id_x 1
		.amdhsa_system_sgpr_workgroup_id_y 0
		.amdhsa_system_sgpr_workgroup_id_z 0
		.amdhsa_system_sgpr_workgroup_info 0
		.amdhsa_system_vgpr_workitem_id 0
		.amdhsa_next_free_vgpr 1
		.amdhsa_next_free_sgpr 0
		.amdhsa_reserve_vcc 0
		.amdhsa_reserve_flat_scratch 0
		.amdhsa_float_round_mode_32 0
		.amdhsa_float_round_mode_16_64 0
		.amdhsa_float_denorm_mode_32 3
		.amdhsa_float_denorm_mode_16_64 3
		.amdhsa_dx10_clamp 1
		.amdhsa_ieee_mode 1
		.amdhsa_fp16_overflow 0
		.amdhsa_exception_fp_ieee_invalid_op 0
		.amdhsa_exception_fp_denorm_src 0
		.amdhsa_exception_fp_ieee_div_zero 0
		.amdhsa_exception_fp_ieee_overflow 0
		.amdhsa_exception_fp_ieee_underflow 0
		.amdhsa_exception_fp_ieee_inexact 0
		.amdhsa_exception_int_div_zero 0
	.end_amdhsa_kernel
	.section	.text._ZN7rocprim17ROCPRIM_400000_NS6detail17trampoline_kernelINS0_14default_configENS1_38merge_sort_block_merge_config_selectorIilEEZZNS1_27merge_sort_block_merge_implIS3_PiN6thrust23THRUST_200600_302600_NS10device_ptrIlEEjNS1_19radix_merge_compareILb0ELb1EiNS0_19identity_decomposerEEEEE10hipError_tT0_T1_T2_jT3_P12ihipStream_tbPNSt15iterator_traitsISG_E10value_typeEPNSM_ISH_E10value_typeEPSI_NS1_7vsmem_tEENKUlT_SG_SH_SI_E_clIS7_S7_SB_PlEESF_SV_SG_SH_SI_EUlSV_E0_NS1_11comp_targetILNS1_3genE0ELNS1_11target_archE4294967295ELNS1_3gpuE0ELNS1_3repE0EEENS1_38merge_mergepath_config_static_selectorELNS0_4arch9wavefront6targetE1EEEvSH_,"axG",@progbits,_ZN7rocprim17ROCPRIM_400000_NS6detail17trampoline_kernelINS0_14default_configENS1_38merge_sort_block_merge_config_selectorIilEEZZNS1_27merge_sort_block_merge_implIS3_PiN6thrust23THRUST_200600_302600_NS10device_ptrIlEEjNS1_19radix_merge_compareILb0ELb1EiNS0_19identity_decomposerEEEEE10hipError_tT0_T1_T2_jT3_P12ihipStream_tbPNSt15iterator_traitsISG_E10value_typeEPNSM_ISH_E10value_typeEPSI_NS1_7vsmem_tEENKUlT_SG_SH_SI_E_clIS7_S7_SB_PlEESF_SV_SG_SH_SI_EUlSV_E0_NS1_11comp_targetILNS1_3genE0ELNS1_11target_archE4294967295ELNS1_3gpuE0ELNS1_3repE0EEENS1_38merge_mergepath_config_static_selectorELNS0_4arch9wavefront6targetE1EEEvSH_,comdat
.Lfunc_end832:
	.size	_ZN7rocprim17ROCPRIM_400000_NS6detail17trampoline_kernelINS0_14default_configENS1_38merge_sort_block_merge_config_selectorIilEEZZNS1_27merge_sort_block_merge_implIS3_PiN6thrust23THRUST_200600_302600_NS10device_ptrIlEEjNS1_19radix_merge_compareILb0ELb1EiNS0_19identity_decomposerEEEEE10hipError_tT0_T1_T2_jT3_P12ihipStream_tbPNSt15iterator_traitsISG_E10value_typeEPNSM_ISH_E10value_typeEPSI_NS1_7vsmem_tEENKUlT_SG_SH_SI_E_clIS7_S7_SB_PlEESF_SV_SG_SH_SI_EUlSV_E0_NS1_11comp_targetILNS1_3genE0ELNS1_11target_archE4294967295ELNS1_3gpuE0ELNS1_3repE0EEENS1_38merge_mergepath_config_static_selectorELNS0_4arch9wavefront6targetE1EEEvSH_, .Lfunc_end832-_ZN7rocprim17ROCPRIM_400000_NS6detail17trampoline_kernelINS0_14default_configENS1_38merge_sort_block_merge_config_selectorIilEEZZNS1_27merge_sort_block_merge_implIS3_PiN6thrust23THRUST_200600_302600_NS10device_ptrIlEEjNS1_19radix_merge_compareILb0ELb1EiNS0_19identity_decomposerEEEEE10hipError_tT0_T1_T2_jT3_P12ihipStream_tbPNSt15iterator_traitsISG_E10value_typeEPNSM_ISH_E10value_typeEPSI_NS1_7vsmem_tEENKUlT_SG_SH_SI_E_clIS7_S7_SB_PlEESF_SV_SG_SH_SI_EUlSV_E0_NS1_11comp_targetILNS1_3genE0ELNS1_11target_archE4294967295ELNS1_3gpuE0ELNS1_3repE0EEENS1_38merge_mergepath_config_static_selectorELNS0_4arch9wavefront6targetE1EEEvSH_
                                        ; -- End function
	.set _ZN7rocprim17ROCPRIM_400000_NS6detail17trampoline_kernelINS0_14default_configENS1_38merge_sort_block_merge_config_selectorIilEEZZNS1_27merge_sort_block_merge_implIS3_PiN6thrust23THRUST_200600_302600_NS10device_ptrIlEEjNS1_19radix_merge_compareILb0ELb1EiNS0_19identity_decomposerEEEEE10hipError_tT0_T1_T2_jT3_P12ihipStream_tbPNSt15iterator_traitsISG_E10value_typeEPNSM_ISH_E10value_typeEPSI_NS1_7vsmem_tEENKUlT_SG_SH_SI_E_clIS7_S7_SB_PlEESF_SV_SG_SH_SI_EUlSV_E0_NS1_11comp_targetILNS1_3genE0ELNS1_11target_archE4294967295ELNS1_3gpuE0ELNS1_3repE0EEENS1_38merge_mergepath_config_static_selectorELNS0_4arch9wavefront6targetE1EEEvSH_.num_vgpr, 0
	.set _ZN7rocprim17ROCPRIM_400000_NS6detail17trampoline_kernelINS0_14default_configENS1_38merge_sort_block_merge_config_selectorIilEEZZNS1_27merge_sort_block_merge_implIS3_PiN6thrust23THRUST_200600_302600_NS10device_ptrIlEEjNS1_19radix_merge_compareILb0ELb1EiNS0_19identity_decomposerEEEEE10hipError_tT0_T1_T2_jT3_P12ihipStream_tbPNSt15iterator_traitsISG_E10value_typeEPNSM_ISH_E10value_typeEPSI_NS1_7vsmem_tEENKUlT_SG_SH_SI_E_clIS7_S7_SB_PlEESF_SV_SG_SH_SI_EUlSV_E0_NS1_11comp_targetILNS1_3genE0ELNS1_11target_archE4294967295ELNS1_3gpuE0ELNS1_3repE0EEENS1_38merge_mergepath_config_static_selectorELNS0_4arch9wavefront6targetE1EEEvSH_.num_agpr, 0
	.set _ZN7rocprim17ROCPRIM_400000_NS6detail17trampoline_kernelINS0_14default_configENS1_38merge_sort_block_merge_config_selectorIilEEZZNS1_27merge_sort_block_merge_implIS3_PiN6thrust23THRUST_200600_302600_NS10device_ptrIlEEjNS1_19radix_merge_compareILb0ELb1EiNS0_19identity_decomposerEEEEE10hipError_tT0_T1_T2_jT3_P12ihipStream_tbPNSt15iterator_traitsISG_E10value_typeEPNSM_ISH_E10value_typeEPSI_NS1_7vsmem_tEENKUlT_SG_SH_SI_E_clIS7_S7_SB_PlEESF_SV_SG_SH_SI_EUlSV_E0_NS1_11comp_targetILNS1_3genE0ELNS1_11target_archE4294967295ELNS1_3gpuE0ELNS1_3repE0EEENS1_38merge_mergepath_config_static_selectorELNS0_4arch9wavefront6targetE1EEEvSH_.numbered_sgpr, 0
	.set _ZN7rocprim17ROCPRIM_400000_NS6detail17trampoline_kernelINS0_14default_configENS1_38merge_sort_block_merge_config_selectorIilEEZZNS1_27merge_sort_block_merge_implIS3_PiN6thrust23THRUST_200600_302600_NS10device_ptrIlEEjNS1_19radix_merge_compareILb0ELb1EiNS0_19identity_decomposerEEEEE10hipError_tT0_T1_T2_jT3_P12ihipStream_tbPNSt15iterator_traitsISG_E10value_typeEPNSM_ISH_E10value_typeEPSI_NS1_7vsmem_tEENKUlT_SG_SH_SI_E_clIS7_S7_SB_PlEESF_SV_SG_SH_SI_EUlSV_E0_NS1_11comp_targetILNS1_3genE0ELNS1_11target_archE4294967295ELNS1_3gpuE0ELNS1_3repE0EEENS1_38merge_mergepath_config_static_selectorELNS0_4arch9wavefront6targetE1EEEvSH_.num_named_barrier, 0
	.set _ZN7rocprim17ROCPRIM_400000_NS6detail17trampoline_kernelINS0_14default_configENS1_38merge_sort_block_merge_config_selectorIilEEZZNS1_27merge_sort_block_merge_implIS3_PiN6thrust23THRUST_200600_302600_NS10device_ptrIlEEjNS1_19radix_merge_compareILb0ELb1EiNS0_19identity_decomposerEEEEE10hipError_tT0_T1_T2_jT3_P12ihipStream_tbPNSt15iterator_traitsISG_E10value_typeEPNSM_ISH_E10value_typeEPSI_NS1_7vsmem_tEENKUlT_SG_SH_SI_E_clIS7_S7_SB_PlEESF_SV_SG_SH_SI_EUlSV_E0_NS1_11comp_targetILNS1_3genE0ELNS1_11target_archE4294967295ELNS1_3gpuE0ELNS1_3repE0EEENS1_38merge_mergepath_config_static_selectorELNS0_4arch9wavefront6targetE1EEEvSH_.private_seg_size, 0
	.set _ZN7rocprim17ROCPRIM_400000_NS6detail17trampoline_kernelINS0_14default_configENS1_38merge_sort_block_merge_config_selectorIilEEZZNS1_27merge_sort_block_merge_implIS3_PiN6thrust23THRUST_200600_302600_NS10device_ptrIlEEjNS1_19radix_merge_compareILb0ELb1EiNS0_19identity_decomposerEEEEE10hipError_tT0_T1_T2_jT3_P12ihipStream_tbPNSt15iterator_traitsISG_E10value_typeEPNSM_ISH_E10value_typeEPSI_NS1_7vsmem_tEENKUlT_SG_SH_SI_E_clIS7_S7_SB_PlEESF_SV_SG_SH_SI_EUlSV_E0_NS1_11comp_targetILNS1_3genE0ELNS1_11target_archE4294967295ELNS1_3gpuE0ELNS1_3repE0EEENS1_38merge_mergepath_config_static_selectorELNS0_4arch9wavefront6targetE1EEEvSH_.uses_vcc, 0
	.set _ZN7rocprim17ROCPRIM_400000_NS6detail17trampoline_kernelINS0_14default_configENS1_38merge_sort_block_merge_config_selectorIilEEZZNS1_27merge_sort_block_merge_implIS3_PiN6thrust23THRUST_200600_302600_NS10device_ptrIlEEjNS1_19radix_merge_compareILb0ELb1EiNS0_19identity_decomposerEEEEE10hipError_tT0_T1_T2_jT3_P12ihipStream_tbPNSt15iterator_traitsISG_E10value_typeEPNSM_ISH_E10value_typeEPSI_NS1_7vsmem_tEENKUlT_SG_SH_SI_E_clIS7_S7_SB_PlEESF_SV_SG_SH_SI_EUlSV_E0_NS1_11comp_targetILNS1_3genE0ELNS1_11target_archE4294967295ELNS1_3gpuE0ELNS1_3repE0EEENS1_38merge_mergepath_config_static_selectorELNS0_4arch9wavefront6targetE1EEEvSH_.uses_flat_scratch, 0
	.set _ZN7rocprim17ROCPRIM_400000_NS6detail17trampoline_kernelINS0_14default_configENS1_38merge_sort_block_merge_config_selectorIilEEZZNS1_27merge_sort_block_merge_implIS3_PiN6thrust23THRUST_200600_302600_NS10device_ptrIlEEjNS1_19radix_merge_compareILb0ELb1EiNS0_19identity_decomposerEEEEE10hipError_tT0_T1_T2_jT3_P12ihipStream_tbPNSt15iterator_traitsISG_E10value_typeEPNSM_ISH_E10value_typeEPSI_NS1_7vsmem_tEENKUlT_SG_SH_SI_E_clIS7_S7_SB_PlEESF_SV_SG_SH_SI_EUlSV_E0_NS1_11comp_targetILNS1_3genE0ELNS1_11target_archE4294967295ELNS1_3gpuE0ELNS1_3repE0EEENS1_38merge_mergepath_config_static_selectorELNS0_4arch9wavefront6targetE1EEEvSH_.has_dyn_sized_stack, 0
	.set _ZN7rocprim17ROCPRIM_400000_NS6detail17trampoline_kernelINS0_14default_configENS1_38merge_sort_block_merge_config_selectorIilEEZZNS1_27merge_sort_block_merge_implIS3_PiN6thrust23THRUST_200600_302600_NS10device_ptrIlEEjNS1_19radix_merge_compareILb0ELb1EiNS0_19identity_decomposerEEEEE10hipError_tT0_T1_T2_jT3_P12ihipStream_tbPNSt15iterator_traitsISG_E10value_typeEPNSM_ISH_E10value_typeEPSI_NS1_7vsmem_tEENKUlT_SG_SH_SI_E_clIS7_S7_SB_PlEESF_SV_SG_SH_SI_EUlSV_E0_NS1_11comp_targetILNS1_3genE0ELNS1_11target_archE4294967295ELNS1_3gpuE0ELNS1_3repE0EEENS1_38merge_mergepath_config_static_selectorELNS0_4arch9wavefront6targetE1EEEvSH_.has_recursion, 0
	.set _ZN7rocprim17ROCPRIM_400000_NS6detail17trampoline_kernelINS0_14default_configENS1_38merge_sort_block_merge_config_selectorIilEEZZNS1_27merge_sort_block_merge_implIS3_PiN6thrust23THRUST_200600_302600_NS10device_ptrIlEEjNS1_19radix_merge_compareILb0ELb1EiNS0_19identity_decomposerEEEEE10hipError_tT0_T1_T2_jT3_P12ihipStream_tbPNSt15iterator_traitsISG_E10value_typeEPNSM_ISH_E10value_typeEPSI_NS1_7vsmem_tEENKUlT_SG_SH_SI_E_clIS7_S7_SB_PlEESF_SV_SG_SH_SI_EUlSV_E0_NS1_11comp_targetILNS1_3genE0ELNS1_11target_archE4294967295ELNS1_3gpuE0ELNS1_3repE0EEENS1_38merge_mergepath_config_static_selectorELNS0_4arch9wavefront6targetE1EEEvSH_.has_indirect_call, 0
	.section	.AMDGPU.csdata,"",@progbits
; Kernel info:
; codeLenInByte = 0
; TotalNumSgprs: 4
; NumVgprs: 0
; ScratchSize: 0
; MemoryBound: 0
; FloatMode: 240
; IeeeMode: 1
; LDSByteSize: 0 bytes/workgroup (compile time only)
; SGPRBlocks: 0
; VGPRBlocks: 0
; NumSGPRsForWavesPerEU: 4
; NumVGPRsForWavesPerEU: 1
; Occupancy: 10
; WaveLimiterHint : 0
; COMPUTE_PGM_RSRC2:SCRATCH_EN: 0
; COMPUTE_PGM_RSRC2:USER_SGPR: 6
; COMPUTE_PGM_RSRC2:TRAP_HANDLER: 0
; COMPUTE_PGM_RSRC2:TGID_X_EN: 1
; COMPUTE_PGM_RSRC2:TGID_Y_EN: 0
; COMPUTE_PGM_RSRC2:TGID_Z_EN: 0
; COMPUTE_PGM_RSRC2:TIDIG_COMP_CNT: 0
	.section	.text._ZN7rocprim17ROCPRIM_400000_NS6detail17trampoline_kernelINS0_14default_configENS1_38merge_sort_block_merge_config_selectorIilEEZZNS1_27merge_sort_block_merge_implIS3_PiN6thrust23THRUST_200600_302600_NS10device_ptrIlEEjNS1_19radix_merge_compareILb0ELb1EiNS0_19identity_decomposerEEEEE10hipError_tT0_T1_T2_jT3_P12ihipStream_tbPNSt15iterator_traitsISG_E10value_typeEPNSM_ISH_E10value_typeEPSI_NS1_7vsmem_tEENKUlT_SG_SH_SI_E_clIS7_S7_SB_PlEESF_SV_SG_SH_SI_EUlSV_E0_NS1_11comp_targetILNS1_3genE10ELNS1_11target_archE1201ELNS1_3gpuE5ELNS1_3repE0EEENS1_38merge_mergepath_config_static_selectorELNS0_4arch9wavefront6targetE1EEEvSH_,"axG",@progbits,_ZN7rocprim17ROCPRIM_400000_NS6detail17trampoline_kernelINS0_14default_configENS1_38merge_sort_block_merge_config_selectorIilEEZZNS1_27merge_sort_block_merge_implIS3_PiN6thrust23THRUST_200600_302600_NS10device_ptrIlEEjNS1_19radix_merge_compareILb0ELb1EiNS0_19identity_decomposerEEEEE10hipError_tT0_T1_T2_jT3_P12ihipStream_tbPNSt15iterator_traitsISG_E10value_typeEPNSM_ISH_E10value_typeEPSI_NS1_7vsmem_tEENKUlT_SG_SH_SI_E_clIS7_S7_SB_PlEESF_SV_SG_SH_SI_EUlSV_E0_NS1_11comp_targetILNS1_3genE10ELNS1_11target_archE1201ELNS1_3gpuE5ELNS1_3repE0EEENS1_38merge_mergepath_config_static_selectorELNS0_4arch9wavefront6targetE1EEEvSH_,comdat
	.protected	_ZN7rocprim17ROCPRIM_400000_NS6detail17trampoline_kernelINS0_14default_configENS1_38merge_sort_block_merge_config_selectorIilEEZZNS1_27merge_sort_block_merge_implIS3_PiN6thrust23THRUST_200600_302600_NS10device_ptrIlEEjNS1_19radix_merge_compareILb0ELb1EiNS0_19identity_decomposerEEEEE10hipError_tT0_T1_T2_jT3_P12ihipStream_tbPNSt15iterator_traitsISG_E10value_typeEPNSM_ISH_E10value_typeEPSI_NS1_7vsmem_tEENKUlT_SG_SH_SI_E_clIS7_S7_SB_PlEESF_SV_SG_SH_SI_EUlSV_E0_NS1_11comp_targetILNS1_3genE10ELNS1_11target_archE1201ELNS1_3gpuE5ELNS1_3repE0EEENS1_38merge_mergepath_config_static_selectorELNS0_4arch9wavefront6targetE1EEEvSH_ ; -- Begin function _ZN7rocprim17ROCPRIM_400000_NS6detail17trampoline_kernelINS0_14default_configENS1_38merge_sort_block_merge_config_selectorIilEEZZNS1_27merge_sort_block_merge_implIS3_PiN6thrust23THRUST_200600_302600_NS10device_ptrIlEEjNS1_19radix_merge_compareILb0ELb1EiNS0_19identity_decomposerEEEEE10hipError_tT0_T1_T2_jT3_P12ihipStream_tbPNSt15iterator_traitsISG_E10value_typeEPNSM_ISH_E10value_typeEPSI_NS1_7vsmem_tEENKUlT_SG_SH_SI_E_clIS7_S7_SB_PlEESF_SV_SG_SH_SI_EUlSV_E0_NS1_11comp_targetILNS1_3genE10ELNS1_11target_archE1201ELNS1_3gpuE5ELNS1_3repE0EEENS1_38merge_mergepath_config_static_selectorELNS0_4arch9wavefront6targetE1EEEvSH_
	.globl	_ZN7rocprim17ROCPRIM_400000_NS6detail17trampoline_kernelINS0_14default_configENS1_38merge_sort_block_merge_config_selectorIilEEZZNS1_27merge_sort_block_merge_implIS3_PiN6thrust23THRUST_200600_302600_NS10device_ptrIlEEjNS1_19radix_merge_compareILb0ELb1EiNS0_19identity_decomposerEEEEE10hipError_tT0_T1_T2_jT3_P12ihipStream_tbPNSt15iterator_traitsISG_E10value_typeEPNSM_ISH_E10value_typeEPSI_NS1_7vsmem_tEENKUlT_SG_SH_SI_E_clIS7_S7_SB_PlEESF_SV_SG_SH_SI_EUlSV_E0_NS1_11comp_targetILNS1_3genE10ELNS1_11target_archE1201ELNS1_3gpuE5ELNS1_3repE0EEENS1_38merge_mergepath_config_static_selectorELNS0_4arch9wavefront6targetE1EEEvSH_
	.p2align	8
	.type	_ZN7rocprim17ROCPRIM_400000_NS6detail17trampoline_kernelINS0_14default_configENS1_38merge_sort_block_merge_config_selectorIilEEZZNS1_27merge_sort_block_merge_implIS3_PiN6thrust23THRUST_200600_302600_NS10device_ptrIlEEjNS1_19radix_merge_compareILb0ELb1EiNS0_19identity_decomposerEEEEE10hipError_tT0_T1_T2_jT3_P12ihipStream_tbPNSt15iterator_traitsISG_E10value_typeEPNSM_ISH_E10value_typeEPSI_NS1_7vsmem_tEENKUlT_SG_SH_SI_E_clIS7_S7_SB_PlEESF_SV_SG_SH_SI_EUlSV_E0_NS1_11comp_targetILNS1_3genE10ELNS1_11target_archE1201ELNS1_3gpuE5ELNS1_3repE0EEENS1_38merge_mergepath_config_static_selectorELNS0_4arch9wavefront6targetE1EEEvSH_,@function
_ZN7rocprim17ROCPRIM_400000_NS6detail17trampoline_kernelINS0_14default_configENS1_38merge_sort_block_merge_config_selectorIilEEZZNS1_27merge_sort_block_merge_implIS3_PiN6thrust23THRUST_200600_302600_NS10device_ptrIlEEjNS1_19radix_merge_compareILb0ELb1EiNS0_19identity_decomposerEEEEE10hipError_tT0_T1_T2_jT3_P12ihipStream_tbPNSt15iterator_traitsISG_E10value_typeEPNSM_ISH_E10value_typeEPSI_NS1_7vsmem_tEENKUlT_SG_SH_SI_E_clIS7_S7_SB_PlEESF_SV_SG_SH_SI_EUlSV_E0_NS1_11comp_targetILNS1_3genE10ELNS1_11target_archE1201ELNS1_3gpuE5ELNS1_3repE0EEENS1_38merge_mergepath_config_static_selectorELNS0_4arch9wavefront6targetE1EEEvSH_: ; @_ZN7rocprim17ROCPRIM_400000_NS6detail17trampoline_kernelINS0_14default_configENS1_38merge_sort_block_merge_config_selectorIilEEZZNS1_27merge_sort_block_merge_implIS3_PiN6thrust23THRUST_200600_302600_NS10device_ptrIlEEjNS1_19radix_merge_compareILb0ELb1EiNS0_19identity_decomposerEEEEE10hipError_tT0_T1_T2_jT3_P12ihipStream_tbPNSt15iterator_traitsISG_E10value_typeEPNSM_ISH_E10value_typeEPSI_NS1_7vsmem_tEENKUlT_SG_SH_SI_E_clIS7_S7_SB_PlEESF_SV_SG_SH_SI_EUlSV_E0_NS1_11comp_targetILNS1_3genE10ELNS1_11target_archE1201ELNS1_3gpuE5ELNS1_3repE0EEENS1_38merge_mergepath_config_static_selectorELNS0_4arch9wavefront6targetE1EEEvSH_
; %bb.0:
	.section	.rodata,"a",@progbits
	.p2align	6, 0x0
	.amdhsa_kernel _ZN7rocprim17ROCPRIM_400000_NS6detail17trampoline_kernelINS0_14default_configENS1_38merge_sort_block_merge_config_selectorIilEEZZNS1_27merge_sort_block_merge_implIS3_PiN6thrust23THRUST_200600_302600_NS10device_ptrIlEEjNS1_19radix_merge_compareILb0ELb1EiNS0_19identity_decomposerEEEEE10hipError_tT0_T1_T2_jT3_P12ihipStream_tbPNSt15iterator_traitsISG_E10value_typeEPNSM_ISH_E10value_typeEPSI_NS1_7vsmem_tEENKUlT_SG_SH_SI_E_clIS7_S7_SB_PlEESF_SV_SG_SH_SI_EUlSV_E0_NS1_11comp_targetILNS1_3genE10ELNS1_11target_archE1201ELNS1_3gpuE5ELNS1_3repE0EEENS1_38merge_mergepath_config_static_selectorELNS0_4arch9wavefront6targetE1EEEvSH_
		.amdhsa_group_segment_fixed_size 0
		.amdhsa_private_segment_fixed_size 0
		.amdhsa_kernarg_size 64
		.amdhsa_user_sgpr_count 6
		.amdhsa_user_sgpr_private_segment_buffer 1
		.amdhsa_user_sgpr_dispatch_ptr 0
		.amdhsa_user_sgpr_queue_ptr 0
		.amdhsa_user_sgpr_kernarg_segment_ptr 1
		.amdhsa_user_sgpr_dispatch_id 0
		.amdhsa_user_sgpr_flat_scratch_init 0
		.amdhsa_user_sgpr_private_segment_size 0
		.amdhsa_uses_dynamic_stack 0
		.amdhsa_system_sgpr_private_segment_wavefront_offset 0
		.amdhsa_system_sgpr_workgroup_id_x 1
		.amdhsa_system_sgpr_workgroup_id_y 0
		.amdhsa_system_sgpr_workgroup_id_z 0
		.amdhsa_system_sgpr_workgroup_info 0
		.amdhsa_system_vgpr_workitem_id 0
		.amdhsa_next_free_vgpr 1
		.amdhsa_next_free_sgpr 0
		.amdhsa_reserve_vcc 0
		.amdhsa_reserve_flat_scratch 0
		.amdhsa_float_round_mode_32 0
		.amdhsa_float_round_mode_16_64 0
		.amdhsa_float_denorm_mode_32 3
		.amdhsa_float_denorm_mode_16_64 3
		.amdhsa_dx10_clamp 1
		.amdhsa_ieee_mode 1
		.amdhsa_fp16_overflow 0
		.amdhsa_exception_fp_ieee_invalid_op 0
		.amdhsa_exception_fp_denorm_src 0
		.amdhsa_exception_fp_ieee_div_zero 0
		.amdhsa_exception_fp_ieee_overflow 0
		.amdhsa_exception_fp_ieee_underflow 0
		.amdhsa_exception_fp_ieee_inexact 0
		.amdhsa_exception_int_div_zero 0
	.end_amdhsa_kernel
	.section	.text._ZN7rocprim17ROCPRIM_400000_NS6detail17trampoline_kernelINS0_14default_configENS1_38merge_sort_block_merge_config_selectorIilEEZZNS1_27merge_sort_block_merge_implIS3_PiN6thrust23THRUST_200600_302600_NS10device_ptrIlEEjNS1_19radix_merge_compareILb0ELb1EiNS0_19identity_decomposerEEEEE10hipError_tT0_T1_T2_jT3_P12ihipStream_tbPNSt15iterator_traitsISG_E10value_typeEPNSM_ISH_E10value_typeEPSI_NS1_7vsmem_tEENKUlT_SG_SH_SI_E_clIS7_S7_SB_PlEESF_SV_SG_SH_SI_EUlSV_E0_NS1_11comp_targetILNS1_3genE10ELNS1_11target_archE1201ELNS1_3gpuE5ELNS1_3repE0EEENS1_38merge_mergepath_config_static_selectorELNS0_4arch9wavefront6targetE1EEEvSH_,"axG",@progbits,_ZN7rocprim17ROCPRIM_400000_NS6detail17trampoline_kernelINS0_14default_configENS1_38merge_sort_block_merge_config_selectorIilEEZZNS1_27merge_sort_block_merge_implIS3_PiN6thrust23THRUST_200600_302600_NS10device_ptrIlEEjNS1_19radix_merge_compareILb0ELb1EiNS0_19identity_decomposerEEEEE10hipError_tT0_T1_T2_jT3_P12ihipStream_tbPNSt15iterator_traitsISG_E10value_typeEPNSM_ISH_E10value_typeEPSI_NS1_7vsmem_tEENKUlT_SG_SH_SI_E_clIS7_S7_SB_PlEESF_SV_SG_SH_SI_EUlSV_E0_NS1_11comp_targetILNS1_3genE10ELNS1_11target_archE1201ELNS1_3gpuE5ELNS1_3repE0EEENS1_38merge_mergepath_config_static_selectorELNS0_4arch9wavefront6targetE1EEEvSH_,comdat
.Lfunc_end833:
	.size	_ZN7rocprim17ROCPRIM_400000_NS6detail17trampoline_kernelINS0_14default_configENS1_38merge_sort_block_merge_config_selectorIilEEZZNS1_27merge_sort_block_merge_implIS3_PiN6thrust23THRUST_200600_302600_NS10device_ptrIlEEjNS1_19radix_merge_compareILb0ELb1EiNS0_19identity_decomposerEEEEE10hipError_tT0_T1_T2_jT3_P12ihipStream_tbPNSt15iterator_traitsISG_E10value_typeEPNSM_ISH_E10value_typeEPSI_NS1_7vsmem_tEENKUlT_SG_SH_SI_E_clIS7_S7_SB_PlEESF_SV_SG_SH_SI_EUlSV_E0_NS1_11comp_targetILNS1_3genE10ELNS1_11target_archE1201ELNS1_3gpuE5ELNS1_3repE0EEENS1_38merge_mergepath_config_static_selectorELNS0_4arch9wavefront6targetE1EEEvSH_, .Lfunc_end833-_ZN7rocprim17ROCPRIM_400000_NS6detail17trampoline_kernelINS0_14default_configENS1_38merge_sort_block_merge_config_selectorIilEEZZNS1_27merge_sort_block_merge_implIS3_PiN6thrust23THRUST_200600_302600_NS10device_ptrIlEEjNS1_19radix_merge_compareILb0ELb1EiNS0_19identity_decomposerEEEEE10hipError_tT0_T1_T2_jT3_P12ihipStream_tbPNSt15iterator_traitsISG_E10value_typeEPNSM_ISH_E10value_typeEPSI_NS1_7vsmem_tEENKUlT_SG_SH_SI_E_clIS7_S7_SB_PlEESF_SV_SG_SH_SI_EUlSV_E0_NS1_11comp_targetILNS1_3genE10ELNS1_11target_archE1201ELNS1_3gpuE5ELNS1_3repE0EEENS1_38merge_mergepath_config_static_selectorELNS0_4arch9wavefront6targetE1EEEvSH_
                                        ; -- End function
	.set _ZN7rocprim17ROCPRIM_400000_NS6detail17trampoline_kernelINS0_14default_configENS1_38merge_sort_block_merge_config_selectorIilEEZZNS1_27merge_sort_block_merge_implIS3_PiN6thrust23THRUST_200600_302600_NS10device_ptrIlEEjNS1_19radix_merge_compareILb0ELb1EiNS0_19identity_decomposerEEEEE10hipError_tT0_T1_T2_jT3_P12ihipStream_tbPNSt15iterator_traitsISG_E10value_typeEPNSM_ISH_E10value_typeEPSI_NS1_7vsmem_tEENKUlT_SG_SH_SI_E_clIS7_S7_SB_PlEESF_SV_SG_SH_SI_EUlSV_E0_NS1_11comp_targetILNS1_3genE10ELNS1_11target_archE1201ELNS1_3gpuE5ELNS1_3repE0EEENS1_38merge_mergepath_config_static_selectorELNS0_4arch9wavefront6targetE1EEEvSH_.num_vgpr, 0
	.set _ZN7rocprim17ROCPRIM_400000_NS6detail17trampoline_kernelINS0_14default_configENS1_38merge_sort_block_merge_config_selectorIilEEZZNS1_27merge_sort_block_merge_implIS3_PiN6thrust23THRUST_200600_302600_NS10device_ptrIlEEjNS1_19radix_merge_compareILb0ELb1EiNS0_19identity_decomposerEEEEE10hipError_tT0_T1_T2_jT3_P12ihipStream_tbPNSt15iterator_traitsISG_E10value_typeEPNSM_ISH_E10value_typeEPSI_NS1_7vsmem_tEENKUlT_SG_SH_SI_E_clIS7_S7_SB_PlEESF_SV_SG_SH_SI_EUlSV_E0_NS1_11comp_targetILNS1_3genE10ELNS1_11target_archE1201ELNS1_3gpuE5ELNS1_3repE0EEENS1_38merge_mergepath_config_static_selectorELNS0_4arch9wavefront6targetE1EEEvSH_.num_agpr, 0
	.set _ZN7rocprim17ROCPRIM_400000_NS6detail17trampoline_kernelINS0_14default_configENS1_38merge_sort_block_merge_config_selectorIilEEZZNS1_27merge_sort_block_merge_implIS3_PiN6thrust23THRUST_200600_302600_NS10device_ptrIlEEjNS1_19radix_merge_compareILb0ELb1EiNS0_19identity_decomposerEEEEE10hipError_tT0_T1_T2_jT3_P12ihipStream_tbPNSt15iterator_traitsISG_E10value_typeEPNSM_ISH_E10value_typeEPSI_NS1_7vsmem_tEENKUlT_SG_SH_SI_E_clIS7_S7_SB_PlEESF_SV_SG_SH_SI_EUlSV_E0_NS1_11comp_targetILNS1_3genE10ELNS1_11target_archE1201ELNS1_3gpuE5ELNS1_3repE0EEENS1_38merge_mergepath_config_static_selectorELNS0_4arch9wavefront6targetE1EEEvSH_.numbered_sgpr, 0
	.set _ZN7rocprim17ROCPRIM_400000_NS6detail17trampoline_kernelINS0_14default_configENS1_38merge_sort_block_merge_config_selectorIilEEZZNS1_27merge_sort_block_merge_implIS3_PiN6thrust23THRUST_200600_302600_NS10device_ptrIlEEjNS1_19radix_merge_compareILb0ELb1EiNS0_19identity_decomposerEEEEE10hipError_tT0_T1_T2_jT3_P12ihipStream_tbPNSt15iterator_traitsISG_E10value_typeEPNSM_ISH_E10value_typeEPSI_NS1_7vsmem_tEENKUlT_SG_SH_SI_E_clIS7_S7_SB_PlEESF_SV_SG_SH_SI_EUlSV_E0_NS1_11comp_targetILNS1_3genE10ELNS1_11target_archE1201ELNS1_3gpuE5ELNS1_3repE0EEENS1_38merge_mergepath_config_static_selectorELNS0_4arch9wavefront6targetE1EEEvSH_.num_named_barrier, 0
	.set _ZN7rocprim17ROCPRIM_400000_NS6detail17trampoline_kernelINS0_14default_configENS1_38merge_sort_block_merge_config_selectorIilEEZZNS1_27merge_sort_block_merge_implIS3_PiN6thrust23THRUST_200600_302600_NS10device_ptrIlEEjNS1_19radix_merge_compareILb0ELb1EiNS0_19identity_decomposerEEEEE10hipError_tT0_T1_T2_jT3_P12ihipStream_tbPNSt15iterator_traitsISG_E10value_typeEPNSM_ISH_E10value_typeEPSI_NS1_7vsmem_tEENKUlT_SG_SH_SI_E_clIS7_S7_SB_PlEESF_SV_SG_SH_SI_EUlSV_E0_NS1_11comp_targetILNS1_3genE10ELNS1_11target_archE1201ELNS1_3gpuE5ELNS1_3repE0EEENS1_38merge_mergepath_config_static_selectorELNS0_4arch9wavefront6targetE1EEEvSH_.private_seg_size, 0
	.set _ZN7rocprim17ROCPRIM_400000_NS6detail17trampoline_kernelINS0_14default_configENS1_38merge_sort_block_merge_config_selectorIilEEZZNS1_27merge_sort_block_merge_implIS3_PiN6thrust23THRUST_200600_302600_NS10device_ptrIlEEjNS1_19radix_merge_compareILb0ELb1EiNS0_19identity_decomposerEEEEE10hipError_tT0_T1_T2_jT3_P12ihipStream_tbPNSt15iterator_traitsISG_E10value_typeEPNSM_ISH_E10value_typeEPSI_NS1_7vsmem_tEENKUlT_SG_SH_SI_E_clIS7_S7_SB_PlEESF_SV_SG_SH_SI_EUlSV_E0_NS1_11comp_targetILNS1_3genE10ELNS1_11target_archE1201ELNS1_3gpuE5ELNS1_3repE0EEENS1_38merge_mergepath_config_static_selectorELNS0_4arch9wavefront6targetE1EEEvSH_.uses_vcc, 0
	.set _ZN7rocprim17ROCPRIM_400000_NS6detail17trampoline_kernelINS0_14default_configENS1_38merge_sort_block_merge_config_selectorIilEEZZNS1_27merge_sort_block_merge_implIS3_PiN6thrust23THRUST_200600_302600_NS10device_ptrIlEEjNS1_19radix_merge_compareILb0ELb1EiNS0_19identity_decomposerEEEEE10hipError_tT0_T1_T2_jT3_P12ihipStream_tbPNSt15iterator_traitsISG_E10value_typeEPNSM_ISH_E10value_typeEPSI_NS1_7vsmem_tEENKUlT_SG_SH_SI_E_clIS7_S7_SB_PlEESF_SV_SG_SH_SI_EUlSV_E0_NS1_11comp_targetILNS1_3genE10ELNS1_11target_archE1201ELNS1_3gpuE5ELNS1_3repE0EEENS1_38merge_mergepath_config_static_selectorELNS0_4arch9wavefront6targetE1EEEvSH_.uses_flat_scratch, 0
	.set _ZN7rocprim17ROCPRIM_400000_NS6detail17trampoline_kernelINS0_14default_configENS1_38merge_sort_block_merge_config_selectorIilEEZZNS1_27merge_sort_block_merge_implIS3_PiN6thrust23THRUST_200600_302600_NS10device_ptrIlEEjNS1_19radix_merge_compareILb0ELb1EiNS0_19identity_decomposerEEEEE10hipError_tT0_T1_T2_jT3_P12ihipStream_tbPNSt15iterator_traitsISG_E10value_typeEPNSM_ISH_E10value_typeEPSI_NS1_7vsmem_tEENKUlT_SG_SH_SI_E_clIS7_S7_SB_PlEESF_SV_SG_SH_SI_EUlSV_E0_NS1_11comp_targetILNS1_3genE10ELNS1_11target_archE1201ELNS1_3gpuE5ELNS1_3repE0EEENS1_38merge_mergepath_config_static_selectorELNS0_4arch9wavefront6targetE1EEEvSH_.has_dyn_sized_stack, 0
	.set _ZN7rocprim17ROCPRIM_400000_NS6detail17trampoline_kernelINS0_14default_configENS1_38merge_sort_block_merge_config_selectorIilEEZZNS1_27merge_sort_block_merge_implIS3_PiN6thrust23THRUST_200600_302600_NS10device_ptrIlEEjNS1_19radix_merge_compareILb0ELb1EiNS0_19identity_decomposerEEEEE10hipError_tT0_T1_T2_jT3_P12ihipStream_tbPNSt15iterator_traitsISG_E10value_typeEPNSM_ISH_E10value_typeEPSI_NS1_7vsmem_tEENKUlT_SG_SH_SI_E_clIS7_S7_SB_PlEESF_SV_SG_SH_SI_EUlSV_E0_NS1_11comp_targetILNS1_3genE10ELNS1_11target_archE1201ELNS1_3gpuE5ELNS1_3repE0EEENS1_38merge_mergepath_config_static_selectorELNS0_4arch9wavefront6targetE1EEEvSH_.has_recursion, 0
	.set _ZN7rocprim17ROCPRIM_400000_NS6detail17trampoline_kernelINS0_14default_configENS1_38merge_sort_block_merge_config_selectorIilEEZZNS1_27merge_sort_block_merge_implIS3_PiN6thrust23THRUST_200600_302600_NS10device_ptrIlEEjNS1_19radix_merge_compareILb0ELb1EiNS0_19identity_decomposerEEEEE10hipError_tT0_T1_T2_jT3_P12ihipStream_tbPNSt15iterator_traitsISG_E10value_typeEPNSM_ISH_E10value_typeEPSI_NS1_7vsmem_tEENKUlT_SG_SH_SI_E_clIS7_S7_SB_PlEESF_SV_SG_SH_SI_EUlSV_E0_NS1_11comp_targetILNS1_3genE10ELNS1_11target_archE1201ELNS1_3gpuE5ELNS1_3repE0EEENS1_38merge_mergepath_config_static_selectorELNS0_4arch9wavefront6targetE1EEEvSH_.has_indirect_call, 0
	.section	.AMDGPU.csdata,"",@progbits
; Kernel info:
; codeLenInByte = 0
; TotalNumSgprs: 4
; NumVgprs: 0
; ScratchSize: 0
; MemoryBound: 0
; FloatMode: 240
; IeeeMode: 1
; LDSByteSize: 0 bytes/workgroup (compile time only)
; SGPRBlocks: 0
; VGPRBlocks: 0
; NumSGPRsForWavesPerEU: 4
; NumVGPRsForWavesPerEU: 1
; Occupancy: 10
; WaveLimiterHint : 0
; COMPUTE_PGM_RSRC2:SCRATCH_EN: 0
; COMPUTE_PGM_RSRC2:USER_SGPR: 6
; COMPUTE_PGM_RSRC2:TRAP_HANDLER: 0
; COMPUTE_PGM_RSRC2:TGID_X_EN: 1
; COMPUTE_PGM_RSRC2:TGID_Y_EN: 0
; COMPUTE_PGM_RSRC2:TGID_Z_EN: 0
; COMPUTE_PGM_RSRC2:TIDIG_COMP_CNT: 0
	.section	.text._ZN7rocprim17ROCPRIM_400000_NS6detail17trampoline_kernelINS0_14default_configENS1_38merge_sort_block_merge_config_selectorIilEEZZNS1_27merge_sort_block_merge_implIS3_PiN6thrust23THRUST_200600_302600_NS10device_ptrIlEEjNS1_19radix_merge_compareILb0ELb1EiNS0_19identity_decomposerEEEEE10hipError_tT0_T1_T2_jT3_P12ihipStream_tbPNSt15iterator_traitsISG_E10value_typeEPNSM_ISH_E10value_typeEPSI_NS1_7vsmem_tEENKUlT_SG_SH_SI_E_clIS7_S7_SB_PlEESF_SV_SG_SH_SI_EUlSV_E0_NS1_11comp_targetILNS1_3genE5ELNS1_11target_archE942ELNS1_3gpuE9ELNS1_3repE0EEENS1_38merge_mergepath_config_static_selectorELNS0_4arch9wavefront6targetE1EEEvSH_,"axG",@progbits,_ZN7rocprim17ROCPRIM_400000_NS6detail17trampoline_kernelINS0_14default_configENS1_38merge_sort_block_merge_config_selectorIilEEZZNS1_27merge_sort_block_merge_implIS3_PiN6thrust23THRUST_200600_302600_NS10device_ptrIlEEjNS1_19radix_merge_compareILb0ELb1EiNS0_19identity_decomposerEEEEE10hipError_tT0_T1_T2_jT3_P12ihipStream_tbPNSt15iterator_traitsISG_E10value_typeEPNSM_ISH_E10value_typeEPSI_NS1_7vsmem_tEENKUlT_SG_SH_SI_E_clIS7_S7_SB_PlEESF_SV_SG_SH_SI_EUlSV_E0_NS1_11comp_targetILNS1_3genE5ELNS1_11target_archE942ELNS1_3gpuE9ELNS1_3repE0EEENS1_38merge_mergepath_config_static_selectorELNS0_4arch9wavefront6targetE1EEEvSH_,comdat
	.protected	_ZN7rocprim17ROCPRIM_400000_NS6detail17trampoline_kernelINS0_14default_configENS1_38merge_sort_block_merge_config_selectorIilEEZZNS1_27merge_sort_block_merge_implIS3_PiN6thrust23THRUST_200600_302600_NS10device_ptrIlEEjNS1_19radix_merge_compareILb0ELb1EiNS0_19identity_decomposerEEEEE10hipError_tT0_T1_T2_jT3_P12ihipStream_tbPNSt15iterator_traitsISG_E10value_typeEPNSM_ISH_E10value_typeEPSI_NS1_7vsmem_tEENKUlT_SG_SH_SI_E_clIS7_S7_SB_PlEESF_SV_SG_SH_SI_EUlSV_E0_NS1_11comp_targetILNS1_3genE5ELNS1_11target_archE942ELNS1_3gpuE9ELNS1_3repE0EEENS1_38merge_mergepath_config_static_selectorELNS0_4arch9wavefront6targetE1EEEvSH_ ; -- Begin function _ZN7rocprim17ROCPRIM_400000_NS6detail17trampoline_kernelINS0_14default_configENS1_38merge_sort_block_merge_config_selectorIilEEZZNS1_27merge_sort_block_merge_implIS3_PiN6thrust23THRUST_200600_302600_NS10device_ptrIlEEjNS1_19radix_merge_compareILb0ELb1EiNS0_19identity_decomposerEEEEE10hipError_tT0_T1_T2_jT3_P12ihipStream_tbPNSt15iterator_traitsISG_E10value_typeEPNSM_ISH_E10value_typeEPSI_NS1_7vsmem_tEENKUlT_SG_SH_SI_E_clIS7_S7_SB_PlEESF_SV_SG_SH_SI_EUlSV_E0_NS1_11comp_targetILNS1_3genE5ELNS1_11target_archE942ELNS1_3gpuE9ELNS1_3repE0EEENS1_38merge_mergepath_config_static_selectorELNS0_4arch9wavefront6targetE1EEEvSH_
	.globl	_ZN7rocprim17ROCPRIM_400000_NS6detail17trampoline_kernelINS0_14default_configENS1_38merge_sort_block_merge_config_selectorIilEEZZNS1_27merge_sort_block_merge_implIS3_PiN6thrust23THRUST_200600_302600_NS10device_ptrIlEEjNS1_19radix_merge_compareILb0ELb1EiNS0_19identity_decomposerEEEEE10hipError_tT0_T1_T2_jT3_P12ihipStream_tbPNSt15iterator_traitsISG_E10value_typeEPNSM_ISH_E10value_typeEPSI_NS1_7vsmem_tEENKUlT_SG_SH_SI_E_clIS7_S7_SB_PlEESF_SV_SG_SH_SI_EUlSV_E0_NS1_11comp_targetILNS1_3genE5ELNS1_11target_archE942ELNS1_3gpuE9ELNS1_3repE0EEENS1_38merge_mergepath_config_static_selectorELNS0_4arch9wavefront6targetE1EEEvSH_
	.p2align	8
	.type	_ZN7rocprim17ROCPRIM_400000_NS6detail17trampoline_kernelINS0_14default_configENS1_38merge_sort_block_merge_config_selectorIilEEZZNS1_27merge_sort_block_merge_implIS3_PiN6thrust23THRUST_200600_302600_NS10device_ptrIlEEjNS1_19radix_merge_compareILb0ELb1EiNS0_19identity_decomposerEEEEE10hipError_tT0_T1_T2_jT3_P12ihipStream_tbPNSt15iterator_traitsISG_E10value_typeEPNSM_ISH_E10value_typeEPSI_NS1_7vsmem_tEENKUlT_SG_SH_SI_E_clIS7_S7_SB_PlEESF_SV_SG_SH_SI_EUlSV_E0_NS1_11comp_targetILNS1_3genE5ELNS1_11target_archE942ELNS1_3gpuE9ELNS1_3repE0EEENS1_38merge_mergepath_config_static_selectorELNS0_4arch9wavefront6targetE1EEEvSH_,@function
_ZN7rocprim17ROCPRIM_400000_NS6detail17trampoline_kernelINS0_14default_configENS1_38merge_sort_block_merge_config_selectorIilEEZZNS1_27merge_sort_block_merge_implIS3_PiN6thrust23THRUST_200600_302600_NS10device_ptrIlEEjNS1_19radix_merge_compareILb0ELb1EiNS0_19identity_decomposerEEEEE10hipError_tT0_T1_T2_jT3_P12ihipStream_tbPNSt15iterator_traitsISG_E10value_typeEPNSM_ISH_E10value_typeEPSI_NS1_7vsmem_tEENKUlT_SG_SH_SI_E_clIS7_S7_SB_PlEESF_SV_SG_SH_SI_EUlSV_E0_NS1_11comp_targetILNS1_3genE5ELNS1_11target_archE942ELNS1_3gpuE9ELNS1_3repE0EEENS1_38merge_mergepath_config_static_selectorELNS0_4arch9wavefront6targetE1EEEvSH_: ; @_ZN7rocprim17ROCPRIM_400000_NS6detail17trampoline_kernelINS0_14default_configENS1_38merge_sort_block_merge_config_selectorIilEEZZNS1_27merge_sort_block_merge_implIS3_PiN6thrust23THRUST_200600_302600_NS10device_ptrIlEEjNS1_19radix_merge_compareILb0ELb1EiNS0_19identity_decomposerEEEEE10hipError_tT0_T1_T2_jT3_P12ihipStream_tbPNSt15iterator_traitsISG_E10value_typeEPNSM_ISH_E10value_typeEPSI_NS1_7vsmem_tEENKUlT_SG_SH_SI_E_clIS7_S7_SB_PlEESF_SV_SG_SH_SI_EUlSV_E0_NS1_11comp_targetILNS1_3genE5ELNS1_11target_archE942ELNS1_3gpuE9ELNS1_3repE0EEENS1_38merge_mergepath_config_static_selectorELNS0_4arch9wavefront6targetE1EEEvSH_
; %bb.0:
	.section	.rodata,"a",@progbits
	.p2align	6, 0x0
	.amdhsa_kernel _ZN7rocprim17ROCPRIM_400000_NS6detail17trampoline_kernelINS0_14default_configENS1_38merge_sort_block_merge_config_selectorIilEEZZNS1_27merge_sort_block_merge_implIS3_PiN6thrust23THRUST_200600_302600_NS10device_ptrIlEEjNS1_19radix_merge_compareILb0ELb1EiNS0_19identity_decomposerEEEEE10hipError_tT0_T1_T2_jT3_P12ihipStream_tbPNSt15iterator_traitsISG_E10value_typeEPNSM_ISH_E10value_typeEPSI_NS1_7vsmem_tEENKUlT_SG_SH_SI_E_clIS7_S7_SB_PlEESF_SV_SG_SH_SI_EUlSV_E0_NS1_11comp_targetILNS1_3genE5ELNS1_11target_archE942ELNS1_3gpuE9ELNS1_3repE0EEENS1_38merge_mergepath_config_static_selectorELNS0_4arch9wavefront6targetE1EEEvSH_
		.amdhsa_group_segment_fixed_size 0
		.amdhsa_private_segment_fixed_size 0
		.amdhsa_kernarg_size 64
		.amdhsa_user_sgpr_count 6
		.amdhsa_user_sgpr_private_segment_buffer 1
		.amdhsa_user_sgpr_dispatch_ptr 0
		.amdhsa_user_sgpr_queue_ptr 0
		.amdhsa_user_sgpr_kernarg_segment_ptr 1
		.amdhsa_user_sgpr_dispatch_id 0
		.amdhsa_user_sgpr_flat_scratch_init 0
		.amdhsa_user_sgpr_private_segment_size 0
		.amdhsa_uses_dynamic_stack 0
		.amdhsa_system_sgpr_private_segment_wavefront_offset 0
		.amdhsa_system_sgpr_workgroup_id_x 1
		.amdhsa_system_sgpr_workgroup_id_y 0
		.amdhsa_system_sgpr_workgroup_id_z 0
		.amdhsa_system_sgpr_workgroup_info 0
		.amdhsa_system_vgpr_workitem_id 0
		.amdhsa_next_free_vgpr 1
		.amdhsa_next_free_sgpr 0
		.amdhsa_reserve_vcc 0
		.amdhsa_reserve_flat_scratch 0
		.amdhsa_float_round_mode_32 0
		.amdhsa_float_round_mode_16_64 0
		.amdhsa_float_denorm_mode_32 3
		.amdhsa_float_denorm_mode_16_64 3
		.amdhsa_dx10_clamp 1
		.amdhsa_ieee_mode 1
		.amdhsa_fp16_overflow 0
		.amdhsa_exception_fp_ieee_invalid_op 0
		.amdhsa_exception_fp_denorm_src 0
		.amdhsa_exception_fp_ieee_div_zero 0
		.amdhsa_exception_fp_ieee_overflow 0
		.amdhsa_exception_fp_ieee_underflow 0
		.amdhsa_exception_fp_ieee_inexact 0
		.amdhsa_exception_int_div_zero 0
	.end_amdhsa_kernel
	.section	.text._ZN7rocprim17ROCPRIM_400000_NS6detail17trampoline_kernelINS0_14default_configENS1_38merge_sort_block_merge_config_selectorIilEEZZNS1_27merge_sort_block_merge_implIS3_PiN6thrust23THRUST_200600_302600_NS10device_ptrIlEEjNS1_19radix_merge_compareILb0ELb1EiNS0_19identity_decomposerEEEEE10hipError_tT0_T1_T2_jT3_P12ihipStream_tbPNSt15iterator_traitsISG_E10value_typeEPNSM_ISH_E10value_typeEPSI_NS1_7vsmem_tEENKUlT_SG_SH_SI_E_clIS7_S7_SB_PlEESF_SV_SG_SH_SI_EUlSV_E0_NS1_11comp_targetILNS1_3genE5ELNS1_11target_archE942ELNS1_3gpuE9ELNS1_3repE0EEENS1_38merge_mergepath_config_static_selectorELNS0_4arch9wavefront6targetE1EEEvSH_,"axG",@progbits,_ZN7rocprim17ROCPRIM_400000_NS6detail17trampoline_kernelINS0_14default_configENS1_38merge_sort_block_merge_config_selectorIilEEZZNS1_27merge_sort_block_merge_implIS3_PiN6thrust23THRUST_200600_302600_NS10device_ptrIlEEjNS1_19radix_merge_compareILb0ELb1EiNS0_19identity_decomposerEEEEE10hipError_tT0_T1_T2_jT3_P12ihipStream_tbPNSt15iterator_traitsISG_E10value_typeEPNSM_ISH_E10value_typeEPSI_NS1_7vsmem_tEENKUlT_SG_SH_SI_E_clIS7_S7_SB_PlEESF_SV_SG_SH_SI_EUlSV_E0_NS1_11comp_targetILNS1_3genE5ELNS1_11target_archE942ELNS1_3gpuE9ELNS1_3repE0EEENS1_38merge_mergepath_config_static_selectorELNS0_4arch9wavefront6targetE1EEEvSH_,comdat
.Lfunc_end834:
	.size	_ZN7rocprim17ROCPRIM_400000_NS6detail17trampoline_kernelINS0_14default_configENS1_38merge_sort_block_merge_config_selectorIilEEZZNS1_27merge_sort_block_merge_implIS3_PiN6thrust23THRUST_200600_302600_NS10device_ptrIlEEjNS1_19radix_merge_compareILb0ELb1EiNS0_19identity_decomposerEEEEE10hipError_tT0_T1_T2_jT3_P12ihipStream_tbPNSt15iterator_traitsISG_E10value_typeEPNSM_ISH_E10value_typeEPSI_NS1_7vsmem_tEENKUlT_SG_SH_SI_E_clIS7_S7_SB_PlEESF_SV_SG_SH_SI_EUlSV_E0_NS1_11comp_targetILNS1_3genE5ELNS1_11target_archE942ELNS1_3gpuE9ELNS1_3repE0EEENS1_38merge_mergepath_config_static_selectorELNS0_4arch9wavefront6targetE1EEEvSH_, .Lfunc_end834-_ZN7rocprim17ROCPRIM_400000_NS6detail17trampoline_kernelINS0_14default_configENS1_38merge_sort_block_merge_config_selectorIilEEZZNS1_27merge_sort_block_merge_implIS3_PiN6thrust23THRUST_200600_302600_NS10device_ptrIlEEjNS1_19radix_merge_compareILb0ELb1EiNS0_19identity_decomposerEEEEE10hipError_tT0_T1_T2_jT3_P12ihipStream_tbPNSt15iterator_traitsISG_E10value_typeEPNSM_ISH_E10value_typeEPSI_NS1_7vsmem_tEENKUlT_SG_SH_SI_E_clIS7_S7_SB_PlEESF_SV_SG_SH_SI_EUlSV_E0_NS1_11comp_targetILNS1_3genE5ELNS1_11target_archE942ELNS1_3gpuE9ELNS1_3repE0EEENS1_38merge_mergepath_config_static_selectorELNS0_4arch9wavefront6targetE1EEEvSH_
                                        ; -- End function
	.set _ZN7rocprim17ROCPRIM_400000_NS6detail17trampoline_kernelINS0_14default_configENS1_38merge_sort_block_merge_config_selectorIilEEZZNS1_27merge_sort_block_merge_implIS3_PiN6thrust23THRUST_200600_302600_NS10device_ptrIlEEjNS1_19radix_merge_compareILb0ELb1EiNS0_19identity_decomposerEEEEE10hipError_tT0_T1_T2_jT3_P12ihipStream_tbPNSt15iterator_traitsISG_E10value_typeEPNSM_ISH_E10value_typeEPSI_NS1_7vsmem_tEENKUlT_SG_SH_SI_E_clIS7_S7_SB_PlEESF_SV_SG_SH_SI_EUlSV_E0_NS1_11comp_targetILNS1_3genE5ELNS1_11target_archE942ELNS1_3gpuE9ELNS1_3repE0EEENS1_38merge_mergepath_config_static_selectorELNS0_4arch9wavefront6targetE1EEEvSH_.num_vgpr, 0
	.set _ZN7rocprim17ROCPRIM_400000_NS6detail17trampoline_kernelINS0_14default_configENS1_38merge_sort_block_merge_config_selectorIilEEZZNS1_27merge_sort_block_merge_implIS3_PiN6thrust23THRUST_200600_302600_NS10device_ptrIlEEjNS1_19radix_merge_compareILb0ELb1EiNS0_19identity_decomposerEEEEE10hipError_tT0_T1_T2_jT3_P12ihipStream_tbPNSt15iterator_traitsISG_E10value_typeEPNSM_ISH_E10value_typeEPSI_NS1_7vsmem_tEENKUlT_SG_SH_SI_E_clIS7_S7_SB_PlEESF_SV_SG_SH_SI_EUlSV_E0_NS1_11comp_targetILNS1_3genE5ELNS1_11target_archE942ELNS1_3gpuE9ELNS1_3repE0EEENS1_38merge_mergepath_config_static_selectorELNS0_4arch9wavefront6targetE1EEEvSH_.num_agpr, 0
	.set _ZN7rocprim17ROCPRIM_400000_NS6detail17trampoline_kernelINS0_14default_configENS1_38merge_sort_block_merge_config_selectorIilEEZZNS1_27merge_sort_block_merge_implIS3_PiN6thrust23THRUST_200600_302600_NS10device_ptrIlEEjNS1_19radix_merge_compareILb0ELb1EiNS0_19identity_decomposerEEEEE10hipError_tT0_T1_T2_jT3_P12ihipStream_tbPNSt15iterator_traitsISG_E10value_typeEPNSM_ISH_E10value_typeEPSI_NS1_7vsmem_tEENKUlT_SG_SH_SI_E_clIS7_S7_SB_PlEESF_SV_SG_SH_SI_EUlSV_E0_NS1_11comp_targetILNS1_3genE5ELNS1_11target_archE942ELNS1_3gpuE9ELNS1_3repE0EEENS1_38merge_mergepath_config_static_selectorELNS0_4arch9wavefront6targetE1EEEvSH_.numbered_sgpr, 0
	.set _ZN7rocprim17ROCPRIM_400000_NS6detail17trampoline_kernelINS0_14default_configENS1_38merge_sort_block_merge_config_selectorIilEEZZNS1_27merge_sort_block_merge_implIS3_PiN6thrust23THRUST_200600_302600_NS10device_ptrIlEEjNS1_19radix_merge_compareILb0ELb1EiNS0_19identity_decomposerEEEEE10hipError_tT0_T1_T2_jT3_P12ihipStream_tbPNSt15iterator_traitsISG_E10value_typeEPNSM_ISH_E10value_typeEPSI_NS1_7vsmem_tEENKUlT_SG_SH_SI_E_clIS7_S7_SB_PlEESF_SV_SG_SH_SI_EUlSV_E0_NS1_11comp_targetILNS1_3genE5ELNS1_11target_archE942ELNS1_3gpuE9ELNS1_3repE0EEENS1_38merge_mergepath_config_static_selectorELNS0_4arch9wavefront6targetE1EEEvSH_.num_named_barrier, 0
	.set _ZN7rocprim17ROCPRIM_400000_NS6detail17trampoline_kernelINS0_14default_configENS1_38merge_sort_block_merge_config_selectorIilEEZZNS1_27merge_sort_block_merge_implIS3_PiN6thrust23THRUST_200600_302600_NS10device_ptrIlEEjNS1_19radix_merge_compareILb0ELb1EiNS0_19identity_decomposerEEEEE10hipError_tT0_T1_T2_jT3_P12ihipStream_tbPNSt15iterator_traitsISG_E10value_typeEPNSM_ISH_E10value_typeEPSI_NS1_7vsmem_tEENKUlT_SG_SH_SI_E_clIS7_S7_SB_PlEESF_SV_SG_SH_SI_EUlSV_E0_NS1_11comp_targetILNS1_3genE5ELNS1_11target_archE942ELNS1_3gpuE9ELNS1_3repE0EEENS1_38merge_mergepath_config_static_selectorELNS0_4arch9wavefront6targetE1EEEvSH_.private_seg_size, 0
	.set _ZN7rocprim17ROCPRIM_400000_NS6detail17trampoline_kernelINS0_14default_configENS1_38merge_sort_block_merge_config_selectorIilEEZZNS1_27merge_sort_block_merge_implIS3_PiN6thrust23THRUST_200600_302600_NS10device_ptrIlEEjNS1_19radix_merge_compareILb0ELb1EiNS0_19identity_decomposerEEEEE10hipError_tT0_T1_T2_jT3_P12ihipStream_tbPNSt15iterator_traitsISG_E10value_typeEPNSM_ISH_E10value_typeEPSI_NS1_7vsmem_tEENKUlT_SG_SH_SI_E_clIS7_S7_SB_PlEESF_SV_SG_SH_SI_EUlSV_E0_NS1_11comp_targetILNS1_3genE5ELNS1_11target_archE942ELNS1_3gpuE9ELNS1_3repE0EEENS1_38merge_mergepath_config_static_selectorELNS0_4arch9wavefront6targetE1EEEvSH_.uses_vcc, 0
	.set _ZN7rocprim17ROCPRIM_400000_NS6detail17trampoline_kernelINS0_14default_configENS1_38merge_sort_block_merge_config_selectorIilEEZZNS1_27merge_sort_block_merge_implIS3_PiN6thrust23THRUST_200600_302600_NS10device_ptrIlEEjNS1_19radix_merge_compareILb0ELb1EiNS0_19identity_decomposerEEEEE10hipError_tT0_T1_T2_jT3_P12ihipStream_tbPNSt15iterator_traitsISG_E10value_typeEPNSM_ISH_E10value_typeEPSI_NS1_7vsmem_tEENKUlT_SG_SH_SI_E_clIS7_S7_SB_PlEESF_SV_SG_SH_SI_EUlSV_E0_NS1_11comp_targetILNS1_3genE5ELNS1_11target_archE942ELNS1_3gpuE9ELNS1_3repE0EEENS1_38merge_mergepath_config_static_selectorELNS0_4arch9wavefront6targetE1EEEvSH_.uses_flat_scratch, 0
	.set _ZN7rocprim17ROCPRIM_400000_NS6detail17trampoline_kernelINS0_14default_configENS1_38merge_sort_block_merge_config_selectorIilEEZZNS1_27merge_sort_block_merge_implIS3_PiN6thrust23THRUST_200600_302600_NS10device_ptrIlEEjNS1_19radix_merge_compareILb0ELb1EiNS0_19identity_decomposerEEEEE10hipError_tT0_T1_T2_jT3_P12ihipStream_tbPNSt15iterator_traitsISG_E10value_typeEPNSM_ISH_E10value_typeEPSI_NS1_7vsmem_tEENKUlT_SG_SH_SI_E_clIS7_S7_SB_PlEESF_SV_SG_SH_SI_EUlSV_E0_NS1_11comp_targetILNS1_3genE5ELNS1_11target_archE942ELNS1_3gpuE9ELNS1_3repE0EEENS1_38merge_mergepath_config_static_selectorELNS0_4arch9wavefront6targetE1EEEvSH_.has_dyn_sized_stack, 0
	.set _ZN7rocprim17ROCPRIM_400000_NS6detail17trampoline_kernelINS0_14default_configENS1_38merge_sort_block_merge_config_selectorIilEEZZNS1_27merge_sort_block_merge_implIS3_PiN6thrust23THRUST_200600_302600_NS10device_ptrIlEEjNS1_19radix_merge_compareILb0ELb1EiNS0_19identity_decomposerEEEEE10hipError_tT0_T1_T2_jT3_P12ihipStream_tbPNSt15iterator_traitsISG_E10value_typeEPNSM_ISH_E10value_typeEPSI_NS1_7vsmem_tEENKUlT_SG_SH_SI_E_clIS7_S7_SB_PlEESF_SV_SG_SH_SI_EUlSV_E0_NS1_11comp_targetILNS1_3genE5ELNS1_11target_archE942ELNS1_3gpuE9ELNS1_3repE0EEENS1_38merge_mergepath_config_static_selectorELNS0_4arch9wavefront6targetE1EEEvSH_.has_recursion, 0
	.set _ZN7rocprim17ROCPRIM_400000_NS6detail17trampoline_kernelINS0_14default_configENS1_38merge_sort_block_merge_config_selectorIilEEZZNS1_27merge_sort_block_merge_implIS3_PiN6thrust23THRUST_200600_302600_NS10device_ptrIlEEjNS1_19radix_merge_compareILb0ELb1EiNS0_19identity_decomposerEEEEE10hipError_tT0_T1_T2_jT3_P12ihipStream_tbPNSt15iterator_traitsISG_E10value_typeEPNSM_ISH_E10value_typeEPSI_NS1_7vsmem_tEENKUlT_SG_SH_SI_E_clIS7_S7_SB_PlEESF_SV_SG_SH_SI_EUlSV_E0_NS1_11comp_targetILNS1_3genE5ELNS1_11target_archE942ELNS1_3gpuE9ELNS1_3repE0EEENS1_38merge_mergepath_config_static_selectorELNS0_4arch9wavefront6targetE1EEEvSH_.has_indirect_call, 0
	.section	.AMDGPU.csdata,"",@progbits
; Kernel info:
; codeLenInByte = 0
; TotalNumSgprs: 4
; NumVgprs: 0
; ScratchSize: 0
; MemoryBound: 0
; FloatMode: 240
; IeeeMode: 1
; LDSByteSize: 0 bytes/workgroup (compile time only)
; SGPRBlocks: 0
; VGPRBlocks: 0
; NumSGPRsForWavesPerEU: 4
; NumVGPRsForWavesPerEU: 1
; Occupancy: 10
; WaveLimiterHint : 0
; COMPUTE_PGM_RSRC2:SCRATCH_EN: 0
; COMPUTE_PGM_RSRC2:USER_SGPR: 6
; COMPUTE_PGM_RSRC2:TRAP_HANDLER: 0
; COMPUTE_PGM_RSRC2:TGID_X_EN: 1
; COMPUTE_PGM_RSRC2:TGID_Y_EN: 0
; COMPUTE_PGM_RSRC2:TGID_Z_EN: 0
; COMPUTE_PGM_RSRC2:TIDIG_COMP_CNT: 0
	.section	.text._ZN7rocprim17ROCPRIM_400000_NS6detail17trampoline_kernelINS0_14default_configENS1_38merge_sort_block_merge_config_selectorIilEEZZNS1_27merge_sort_block_merge_implIS3_PiN6thrust23THRUST_200600_302600_NS10device_ptrIlEEjNS1_19radix_merge_compareILb0ELb1EiNS0_19identity_decomposerEEEEE10hipError_tT0_T1_T2_jT3_P12ihipStream_tbPNSt15iterator_traitsISG_E10value_typeEPNSM_ISH_E10value_typeEPSI_NS1_7vsmem_tEENKUlT_SG_SH_SI_E_clIS7_S7_SB_PlEESF_SV_SG_SH_SI_EUlSV_E0_NS1_11comp_targetILNS1_3genE4ELNS1_11target_archE910ELNS1_3gpuE8ELNS1_3repE0EEENS1_38merge_mergepath_config_static_selectorELNS0_4arch9wavefront6targetE1EEEvSH_,"axG",@progbits,_ZN7rocprim17ROCPRIM_400000_NS6detail17trampoline_kernelINS0_14default_configENS1_38merge_sort_block_merge_config_selectorIilEEZZNS1_27merge_sort_block_merge_implIS3_PiN6thrust23THRUST_200600_302600_NS10device_ptrIlEEjNS1_19radix_merge_compareILb0ELb1EiNS0_19identity_decomposerEEEEE10hipError_tT0_T1_T2_jT3_P12ihipStream_tbPNSt15iterator_traitsISG_E10value_typeEPNSM_ISH_E10value_typeEPSI_NS1_7vsmem_tEENKUlT_SG_SH_SI_E_clIS7_S7_SB_PlEESF_SV_SG_SH_SI_EUlSV_E0_NS1_11comp_targetILNS1_3genE4ELNS1_11target_archE910ELNS1_3gpuE8ELNS1_3repE0EEENS1_38merge_mergepath_config_static_selectorELNS0_4arch9wavefront6targetE1EEEvSH_,comdat
	.protected	_ZN7rocprim17ROCPRIM_400000_NS6detail17trampoline_kernelINS0_14default_configENS1_38merge_sort_block_merge_config_selectorIilEEZZNS1_27merge_sort_block_merge_implIS3_PiN6thrust23THRUST_200600_302600_NS10device_ptrIlEEjNS1_19radix_merge_compareILb0ELb1EiNS0_19identity_decomposerEEEEE10hipError_tT0_T1_T2_jT3_P12ihipStream_tbPNSt15iterator_traitsISG_E10value_typeEPNSM_ISH_E10value_typeEPSI_NS1_7vsmem_tEENKUlT_SG_SH_SI_E_clIS7_S7_SB_PlEESF_SV_SG_SH_SI_EUlSV_E0_NS1_11comp_targetILNS1_3genE4ELNS1_11target_archE910ELNS1_3gpuE8ELNS1_3repE0EEENS1_38merge_mergepath_config_static_selectorELNS0_4arch9wavefront6targetE1EEEvSH_ ; -- Begin function _ZN7rocprim17ROCPRIM_400000_NS6detail17trampoline_kernelINS0_14default_configENS1_38merge_sort_block_merge_config_selectorIilEEZZNS1_27merge_sort_block_merge_implIS3_PiN6thrust23THRUST_200600_302600_NS10device_ptrIlEEjNS1_19radix_merge_compareILb0ELb1EiNS0_19identity_decomposerEEEEE10hipError_tT0_T1_T2_jT3_P12ihipStream_tbPNSt15iterator_traitsISG_E10value_typeEPNSM_ISH_E10value_typeEPSI_NS1_7vsmem_tEENKUlT_SG_SH_SI_E_clIS7_S7_SB_PlEESF_SV_SG_SH_SI_EUlSV_E0_NS1_11comp_targetILNS1_3genE4ELNS1_11target_archE910ELNS1_3gpuE8ELNS1_3repE0EEENS1_38merge_mergepath_config_static_selectorELNS0_4arch9wavefront6targetE1EEEvSH_
	.globl	_ZN7rocprim17ROCPRIM_400000_NS6detail17trampoline_kernelINS0_14default_configENS1_38merge_sort_block_merge_config_selectorIilEEZZNS1_27merge_sort_block_merge_implIS3_PiN6thrust23THRUST_200600_302600_NS10device_ptrIlEEjNS1_19radix_merge_compareILb0ELb1EiNS0_19identity_decomposerEEEEE10hipError_tT0_T1_T2_jT3_P12ihipStream_tbPNSt15iterator_traitsISG_E10value_typeEPNSM_ISH_E10value_typeEPSI_NS1_7vsmem_tEENKUlT_SG_SH_SI_E_clIS7_S7_SB_PlEESF_SV_SG_SH_SI_EUlSV_E0_NS1_11comp_targetILNS1_3genE4ELNS1_11target_archE910ELNS1_3gpuE8ELNS1_3repE0EEENS1_38merge_mergepath_config_static_selectorELNS0_4arch9wavefront6targetE1EEEvSH_
	.p2align	8
	.type	_ZN7rocprim17ROCPRIM_400000_NS6detail17trampoline_kernelINS0_14default_configENS1_38merge_sort_block_merge_config_selectorIilEEZZNS1_27merge_sort_block_merge_implIS3_PiN6thrust23THRUST_200600_302600_NS10device_ptrIlEEjNS1_19radix_merge_compareILb0ELb1EiNS0_19identity_decomposerEEEEE10hipError_tT0_T1_T2_jT3_P12ihipStream_tbPNSt15iterator_traitsISG_E10value_typeEPNSM_ISH_E10value_typeEPSI_NS1_7vsmem_tEENKUlT_SG_SH_SI_E_clIS7_S7_SB_PlEESF_SV_SG_SH_SI_EUlSV_E0_NS1_11comp_targetILNS1_3genE4ELNS1_11target_archE910ELNS1_3gpuE8ELNS1_3repE0EEENS1_38merge_mergepath_config_static_selectorELNS0_4arch9wavefront6targetE1EEEvSH_,@function
_ZN7rocprim17ROCPRIM_400000_NS6detail17trampoline_kernelINS0_14default_configENS1_38merge_sort_block_merge_config_selectorIilEEZZNS1_27merge_sort_block_merge_implIS3_PiN6thrust23THRUST_200600_302600_NS10device_ptrIlEEjNS1_19radix_merge_compareILb0ELb1EiNS0_19identity_decomposerEEEEE10hipError_tT0_T1_T2_jT3_P12ihipStream_tbPNSt15iterator_traitsISG_E10value_typeEPNSM_ISH_E10value_typeEPSI_NS1_7vsmem_tEENKUlT_SG_SH_SI_E_clIS7_S7_SB_PlEESF_SV_SG_SH_SI_EUlSV_E0_NS1_11comp_targetILNS1_3genE4ELNS1_11target_archE910ELNS1_3gpuE8ELNS1_3repE0EEENS1_38merge_mergepath_config_static_selectorELNS0_4arch9wavefront6targetE1EEEvSH_: ; @_ZN7rocprim17ROCPRIM_400000_NS6detail17trampoline_kernelINS0_14default_configENS1_38merge_sort_block_merge_config_selectorIilEEZZNS1_27merge_sort_block_merge_implIS3_PiN6thrust23THRUST_200600_302600_NS10device_ptrIlEEjNS1_19radix_merge_compareILb0ELb1EiNS0_19identity_decomposerEEEEE10hipError_tT0_T1_T2_jT3_P12ihipStream_tbPNSt15iterator_traitsISG_E10value_typeEPNSM_ISH_E10value_typeEPSI_NS1_7vsmem_tEENKUlT_SG_SH_SI_E_clIS7_S7_SB_PlEESF_SV_SG_SH_SI_EUlSV_E0_NS1_11comp_targetILNS1_3genE4ELNS1_11target_archE910ELNS1_3gpuE8ELNS1_3repE0EEENS1_38merge_mergepath_config_static_selectorELNS0_4arch9wavefront6targetE1EEEvSH_
; %bb.0:
	.section	.rodata,"a",@progbits
	.p2align	6, 0x0
	.amdhsa_kernel _ZN7rocprim17ROCPRIM_400000_NS6detail17trampoline_kernelINS0_14default_configENS1_38merge_sort_block_merge_config_selectorIilEEZZNS1_27merge_sort_block_merge_implIS3_PiN6thrust23THRUST_200600_302600_NS10device_ptrIlEEjNS1_19radix_merge_compareILb0ELb1EiNS0_19identity_decomposerEEEEE10hipError_tT0_T1_T2_jT3_P12ihipStream_tbPNSt15iterator_traitsISG_E10value_typeEPNSM_ISH_E10value_typeEPSI_NS1_7vsmem_tEENKUlT_SG_SH_SI_E_clIS7_S7_SB_PlEESF_SV_SG_SH_SI_EUlSV_E0_NS1_11comp_targetILNS1_3genE4ELNS1_11target_archE910ELNS1_3gpuE8ELNS1_3repE0EEENS1_38merge_mergepath_config_static_selectorELNS0_4arch9wavefront6targetE1EEEvSH_
		.amdhsa_group_segment_fixed_size 0
		.amdhsa_private_segment_fixed_size 0
		.amdhsa_kernarg_size 64
		.amdhsa_user_sgpr_count 6
		.amdhsa_user_sgpr_private_segment_buffer 1
		.amdhsa_user_sgpr_dispatch_ptr 0
		.amdhsa_user_sgpr_queue_ptr 0
		.amdhsa_user_sgpr_kernarg_segment_ptr 1
		.amdhsa_user_sgpr_dispatch_id 0
		.amdhsa_user_sgpr_flat_scratch_init 0
		.amdhsa_user_sgpr_private_segment_size 0
		.amdhsa_uses_dynamic_stack 0
		.amdhsa_system_sgpr_private_segment_wavefront_offset 0
		.amdhsa_system_sgpr_workgroup_id_x 1
		.amdhsa_system_sgpr_workgroup_id_y 0
		.amdhsa_system_sgpr_workgroup_id_z 0
		.amdhsa_system_sgpr_workgroup_info 0
		.amdhsa_system_vgpr_workitem_id 0
		.amdhsa_next_free_vgpr 1
		.amdhsa_next_free_sgpr 0
		.amdhsa_reserve_vcc 0
		.amdhsa_reserve_flat_scratch 0
		.amdhsa_float_round_mode_32 0
		.amdhsa_float_round_mode_16_64 0
		.amdhsa_float_denorm_mode_32 3
		.amdhsa_float_denorm_mode_16_64 3
		.amdhsa_dx10_clamp 1
		.amdhsa_ieee_mode 1
		.amdhsa_fp16_overflow 0
		.amdhsa_exception_fp_ieee_invalid_op 0
		.amdhsa_exception_fp_denorm_src 0
		.amdhsa_exception_fp_ieee_div_zero 0
		.amdhsa_exception_fp_ieee_overflow 0
		.amdhsa_exception_fp_ieee_underflow 0
		.amdhsa_exception_fp_ieee_inexact 0
		.amdhsa_exception_int_div_zero 0
	.end_amdhsa_kernel
	.section	.text._ZN7rocprim17ROCPRIM_400000_NS6detail17trampoline_kernelINS0_14default_configENS1_38merge_sort_block_merge_config_selectorIilEEZZNS1_27merge_sort_block_merge_implIS3_PiN6thrust23THRUST_200600_302600_NS10device_ptrIlEEjNS1_19radix_merge_compareILb0ELb1EiNS0_19identity_decomposerEEEEE10hipError_tT0_T1_T2_jT3_P12ihipStream_tbPNSt15iterator_traitsISG_E10value_typeEPNSM_ISH_E10value_typeEPSI_NS1_7vsmem_tEENKUlT_SG_SH_SI_E_clIS7_S7_SB_PlEESF_SV_SG_SH_SI_EUlSV_E0_NS1_11comp_targetILNS1_3genE4ELNS1_11target_archE910ELNS1_3gpuE8ELNS1_3repE0EEENS1_38merge_mergepath_config_static_selectorELNS0_4arch9wavefront6targetE1EEEvSH_,"axG",@progbits,_ZN7rocprim17ROCPRIM_400000_NS6detail17trampoline_kernelINS0_14default_configENS1_38merge_sort_block_merge_config_selectorIilEEZZNS1_27merge_sort_block_merge_implIS3_PiN6thrust23THRUST_200600_302600_NS10device_ptrIlEEjNS1_19radix_merge_compareILb0ELb1EiNS0_19identity_decomposerEEEEE10hipError_tT0_T1_T2_jT3_P12ihipStream_tbPNSt15iterator_traitsISG_E10value_typeEPNSM_ISH_E10value_typeEPSI_NS1_7vsmem_tEENKUlT_SG_SH_SI_E_clIS7_S7_SB_PlEESF_SV_SG_SH_SI_EUlSV_E0_NS1_11comp_targetILNS1_3genE4ELNS1_11target_archE910ELNS1_3gpuE8ELNS1_3repE0EEENS1_38merge_mergepath_config_static_selectorELNS0_4arch9wavefront6targetE1EEEvSH_,comdat
.Lfunc_end835:
	.size	_ZN7rocprim17ROCPRIM_400000_NS6detail17trampoline_kernelINS0_14default_configENS1_38merge_sort_block_merge_config_selectorIilEEZZNS1_27merge_sort_block_merge_implIS3_PiN6thrust23THRUST_200600_302600_NS10device_ptrIlEEjNS1_19radix_merge_compareILb0ELb1EiNS0_19identity_decomposerEEEEE10hipError_tT0_T1_T2_jT3_P12ihipStream_tbPNSt15iterator_traitsISG_E10value_typeEPNSM_ISH_E10value_typeEPSI_NS1_7vsmem_tEENKUlT_SG_SH_SI_E_clIS7_S7_SB_PlEESF_SV_SG_SH_SI_EUlSV_E0_NS1_11comp_targetILNS1_3genE4ELNS1_11target_archE910ELNS1_3gpuE8ELNS1_3repE0EEENS1_38merge_mergepath_config_static_selectorELNS0_4arch9wavefront6targetE1EEEvSH_, .Lfunc_end835-_ZN7rocprim17ROCPRIM_400000_NS6detail17trampoline_kernelINS0_14default_configENS1_38merge_sort_block_merge_config_selectorIilEEZZNS1_27merge_sort_block_merge_implIS3_PiN6thrust23THRUST_200600_302600_NS10device_ptrIlEEjNS1_19radix_merge_compareILb0ELb1EiNS0_19identity_decomposerEEEEE10hipError_tT0_T1_T2_jT3_P12ihipStream_tbPNSt15iterator_traitsISG_E10value_typeEPNSM_ISH_E10value_typeEPSI_NS1_7vsmem_tEENKUlT_SG_SH_SI_E_clIS7_S7_SB_PlEESF_SV_SG_SH_SI_EUlSV_E0_NS1_11comp_targetILNS1_3genE4ELNS1_11target_archE910ELNS1_3gpuE8ELNS1_3repE0EEENS1_38merge_mergepath_config_static_selectorELNS0_4arch9wavefront6targetE1EEEvSH_
                                        ; -- End function
	.set _ZN7rocprim17ROCPRIM_400000_NS6detail17trampoline_kernelINS0_14default_configENS1_38merge_sort_block_merge_config_selectorIilEEZZNS1_27merge_sort_block_merge_implIS3_PiN6thrust23THRUST_200600_302600_NS10device_ptrIlEEjNS1_19radix_merge_compareILb0ELb1EiNS0_19identity_decomposerEEEEE10hipError_tT0_T1_T2_jT3_P12ihipStream_tbPNSt15iterator_traitsISG_E10value_typeEPNSM_ISH_E10value_typeEPSI_NS1_7vsmem_tEENKUlT_SG_SH_SI_E_clIS7_S7_SB_PlEESF_SV_SG_SH_SI_EUlSV_E0_NS1_11comp_targetILNS1_3genE4ELNS1_11target_archE910ELNS1_3gpuE8ELNS1_3repE0EEENS1_38merge_mergepath_config_static_selectorELNS0_4arch9wavefront6targetE1EEEvSH_.num_vgpr, 0
	.set _ZN7rocprim17ROCPRIM_400000_NS6detail17trampoline_kernelINS0_14default_configENS1_38merge_sort_block_merge_config_selectorIilEEZZNS1_27merge_sort_block_merge_implIS3_PiN6thrust23THRUST_200600_302600_NS10device_ptrIlEEjNS1_19radix_merge_compareILb0ELb1EiNS0_19identity_decomposerEEEEE10hipError_tT0_T1_T2_jT3_P12ihipStream_tbPNSt15iterator_traitsISG_E10value_typeEPNSM_ISH_E10value_typeEPSI_NS1_7vsmem_tEENKUlT_SG_SH_SI_E_clIS7_S7_SB_PlEESF_SV_SG_SH_SI_EUlSV_E0_NS1_11comp_targetILNS1_3genE4ELNS1_11target_archE910ELNS1_3gpuE8ELNS1_3repE0EEENS1_38merge_mergepath_config_static_selectorELNS0_4arch9wavefront6targetE1EEEvSH_.num_agpr, 0
	.set _ZN7rocprim17ROCPRIM_400000_NS6detail17trampoline_kernelINS0_14default_configENS1_38merge_sort_block_merge_config_selectorIilEEZZNS1_27merge_sort_block_merge_implIS3_PiN6thrust23THRUST_200600_302600_NS10device_ptrIlEEjNS1_19radix_merge_compareILb0ELb1EiNS0_19identity_decomposerEEEEE10hipError_tT0_T1_T2_jT3_P12ihipStream_tbPNSt15iterator_traitsISG_E10value_typeEPNSM_ISH_E10value_typeEPSI_NS1_7vsmem_tEENKUlT_SG_SH_SI_E_clIS7_S7_SB_PlEESF_SV_SG_SH_SI_EUlSV_E0_NS1_11comp_targetILNS1_3genE4ELNS1_11target_archE910ELNS1_3gpuE8ELNS1_3repE0EEENS1_38merge_mergepath_config_static_selectorELNS0_4arch9wavefront6targetE1EEEvSH_.numbered_sgpr, 0
	.set _ZN7rocprim17ROCPRIM_400000_NS6detail17trampoline_kernelINS0_14default_configENS1_38merge_sort_block_merge_config_selectorIilEEZZNS1_27merge_sort_block_merge_implIS3_PiN6thrust23THRUST_200600_302600_NS10device_ptrIlEEjNS1_19radix_merge_compareILb0ELb1EiNS0_19identity_decomposerEEEEE10hipError_tT0_T1_T2_jT3_P12ihipStream_tbPNSt15iterator_traitsISG_E10value_typeEPNSM_ISH_E10value_typeEPSI_NS1_7vsmem_tEENKUlT_SG_SH_SI_E_clIS7_S7_SB_PlEESF_SV_SG_SH_SI_EUlSV_E0_NS1_11comp_targetILNS1_3genE4ELNS1_11target_archE910ELNS1_3gpuE8ELNS1_3repE0EEENS1_38merge_mergepath_config_static_selectorELNS0_4arch9wavefront6targetE1EEEvSH_.num_named_barrier, 0
	.set _ZN7rocprim17ROCPRIM_400000_NS6detail17trampoline_kernelINS0_14default_configENS1_38merge_sort_block_merge_config_selectorIilEEZZNS1_27merge_sort_block_merge_implIS3_PiN6thrust23THRUST_200600_302600_NS10device_ptrIlEEjNS1_19radix_merge_compareILb0ELb1EiNS0_19identity_decomposerEEEEE10hipError_tT0_T1_T2_jT3_P12ihipStream_tbPNSt15iterator_traitsISG_E10value_typeEPNSM_ISH_E10value_typeEPSI_NS1_7vsmem_tEENKUlT_SG_SH_SI_E_clIS7_S7_SB_PlEESF_SV_SG_SH_SI_EUlSV_E0_NS1_11comp_targetILNS1_3genE4ELNS1_11target_archE910ELNS1_3gpuE8ELNS1_3repE0EEENS1_38merge_mergepath_config_static_selectorELNS0_4arch9wavefront6targetE1EEEvSH_.private_seg_size, 0
	.set _ZN7rocprim17ROCPRIM_400000_NS6detail17trampoline_kernelINS0_14default_configENS1_38merge_sort_block_merge_config_selectorIilEEZZNS1_27merge_sort_block_merge_implIS3_PiN6thrust23THRUST_200600_302600_NS10device_ptrIlEEjNS1_19radix_merge_compareILb0ELb1EiNS0_19identity_decomposerEEEEE10hipError_tT0_T1_T2_jT3_P12ihipStream_tbPNSt15iterator_traitsISG_E10value_typeEPNSM_ISH_E10value_typeEPSI_NS1_7vsmem_tEENKUlT_SG_SH_SI_E_clIS7_S7_SB_PlEESF_SV_SG_SH_SI_EUlSV_E0_NS1_11comp_targetILNS1_3genE4ELNS1_11target_archE910ELNS1_3gpuE8ELNS1_3repE0EEENS1_38merge_mergepath_config_static_selectorELNS0_4arch9wavefront6targetE1EEEvSH_.uses_vcc, 0
	.set _ZN7rocprim17ROCPRIM_400000_NS6detail17trampoline_kernelINS0_14default_configENS1_38merge_sort_block_merge_config_selectorIilEEZZNS1_27merge_sort_block_merge_implIS3_PiN6thrust23THRUST_200600_302600_NS10device_ptrIlEEjNS1_19radix_merge_compareILb0ELb1EiNS0_19identity_decomposerEEEEE10hipError_tT0_T1_T2_jT3_P12ihipStream_tbPNSt15iterator_traitsISG_E10value_typeEPNSM_ISH_E10value_typeEPSI_NS1_7vsmem_tEENKUlT_SG_SH_SI_E_clIS7_S7_SB_PlEESF_SV_SG_SH_SI_EUlSV_E0_NS1_11comp_targetILNS1_3genE4ELNS1_11target_archE910ELNS1_3gpuE8ELNS1_3repE0EEENS1_38merge_mergepath_config_static_selectorELNS0_4arch9wavefront6targetE1EEEvSH_.uses_flat_scratch, 0
	.set _ZN7rocprim17ROCPRIM_400000_NS6detail17trampoline_kernelINS0_14default_configENS1_38merge_sort_block_merge_config_selectorIilEEZZNS1_27merge_sort_block_merge_implIS3_PiN6thrust23THRUST_200600_302600_NS10device_ptrIlEEjNS1_19radix_merge_compareILb0ELb1EiNS0_19identity_decomposerEEEEE10hipError_tT0_T1_T2_jT3_P12ihipStream_tbPNSt15iterator_traitsISG_E10value_typeEPNSM_ISH_E10value_typeEPSI_NS1_7vsmem_tEENKUlT_SG_SH_SI_E_clIS7_S7_SB_PlEESF_SV_SG_SH_SI_EUlSV_E0_NS1_11comp_targetILNS1_3genE4ELNS1_11target_archE910ELNS1_3gpuE8ELNS1_3repE0EEENS1_38merge_mergepath_config_static_selectorELNS0_4arch9wavefront6targetE1EEEvSH_.has_dyn_sized_stack, 0
	.set _ZN7rocprim17ROCPRIM_400000_NS6detail17trampoline_kernelINS0_14default_configENS1_38merge_sort_block_merge_config_selectorIilEEZZNS1_27merge_sort_block_merge_implIS3_PiN6thrust23THRUST_200600_302600_NS10device_ptrIlEEjNS1_19radix_merge_compareILb0ELb1EiNS0_19identity_decomposerEEEEE10hipError_tT0_T1_T2_jT3_P12ihipStream_tbPNSt15iterator_traitsISG_E10value_typeEPNSM_ISH_E10value_typeEPSI_NS1_7vsmem_tEENKUlT_SG_SH_SI_E_clIS7_S7_SB_PlEESF_SV_SG_SH_SI_EUlSV_E0_NS1_11comp_targetILNS1_3genE4ELNS1_11target_archE910ELNS1_3gpuE8ELNS1_3repE0EEENS1_38merge_mergepath_config_static_selectorELNS0_4arch9wavefront6targetE1EEEvSH_.has_recursion, 0
	.set _ZN7rocprim17ROCPRIM_400000_NS6detail17trampoline_kernelINS0_14default_configENS1_38merge_sort_block_merge_config_selectorIilEEZZNS1_27merge_sort_block_merge_implIS3_PiN6thrust23THRUST_200600_302600_NS10device_ptrIlEEjNS1_19radix_merge_compareILb0ELb1EiNS0_19identity_decomposerEEEEE10hipError_tT0_T1_T2_jT3_P12ihipStream_tbPNSt15iterator_traitsISG_E10value_typeEPNSM_ISH_E10value_typeEPSI_NS1_7vsmem_tEENKUlT_SG_SH_SI_E_clIS7_S7_SB_PlEESF_SV_SG_SH_SI_EUlSV_E0_NS1_11comp_targetILNS1_3genE4ELNS1_11target_archE910ELNS1_3gpuE8ELNS1_3repE0EEENS1_38merge_mergepath_config_static_selectorELNS0_4arch9wavefront6targetE1EEEvSH_.has_indirect_call, 0
	.section	.AMDGPU.csdata,"",@progbits
; Kernel info:
; codeLenInByte = 0
; TotalNumSgprs: 4
; NumVgprs: 0
; ScratchSize: 0
; MemoryBound: 0
; FloatMode: 240
; IeeeMode: 1
; LDSByteSize: 0 bytes/workgroup (compile time only)
; SGPRBlocks: 0
; VGPRBlocks: 0
; NumSGPRsForWavesPerEU: 4
; NumVGPRsForWavesPerEU: 1
; Occupancy: 10
; WaveLimiterHint : 0
; COMPUTE_PGM_RSRC2:SCRATCH_EN: 0
; COMPUTE_PGM_RSRC2:USER_SGPR: 6
; COMPUTE_PGM_RSRC2:TRAP_HANDLER: 0
; COMPUTE_PGM_RSRC2:TGID_X_EN: 1
; COMPUTE_PGM_RSRC2:TGID_Y_EN: 0
; COMPUTE_PGM_RSRC2:TGID_Z_EN: 0
; COMPUTE_PGM_RSRC2:TIDIG_COMP_CNT: 0
	.section	.text._ZN7rocprim17ROCPRIM_400000_NS6detail17trampoline_kernelINS0_14default_configENS1_38merge_sort_block_merge_config_selectorIilEEZZNS1_27merge_sort_block_merge_implIS3_PiN6thrust23THRUST_200600_302600_NS10device_ptrIlEEjNS1_19radix_merge_compareILb0ELb1EiNS0_19identity_decomposerEEEEE10hipError_tT0_T1_T2_jT3_P12ihipStream_tbPNSt15iterator_traitsISG_E10value_typeEPNSM_ISH_E10value_typeEPSI_NS1_7vsmem_tEENKUlT_SG_SH_SI_E_clIS7_S7_SB_PlEESF_SV_SG_SH_SI_EUlSV_E0_NS1_11comp_targetILNS1_3genE3ELNS1_11target_archE908ELNS1_3gpuE7ELNS1_3repE0EEENS1_38merge_mergepath_config_static_selectorELNS0_4arch9wavefront6targetE1EEEvSH_,"axG",@progbits,_ZN7rocprim17ROCPRIM_400000_NS6detail17trampoline_kernelINS0_14default_configENS1_38merge_sort_block_merge_config_selectorIilEEZZNS1_27merge_sort_block_merge_implIS3_PiN6thrust23THRUST_200600_302600_NS10device_ptrIlEEjNS1_19radix_merge_compareILb0ELb1EiNS0_19identity_decomposerEEEEE10hipError_tT0_T1_T2_jT3_P12ihipStream_tbPNSt15iterator_traitsISG_E10value_typeEPNSM_ISH_E10value_typeEPSI_NS1_7vsmem_tEENKUlT_SG_SH_SI_E_clIS7_S7_SB_PlEESF_SV_SG_SH_SI_EUlSV_E0_NS1_11comp_targetILNS1_3genE3ELNS1_11target_archE908ELNS1_3gpuE7ELNS1_3repE0EEENS1_38merge_mergepath_config_static_selectorELNS0_4arch9wavefront6targetE1EEEvSH_,comdat
	.protected	_ZN7rocprim17ROCPRIM_400000_NS6detail17trampoline_kernelINS0_14default_configENS1_38merge_sort_block_merge_config_selectorIilEEZZNS1_27merge_sort_block_merge_implIS3_PiN6thrust23THRUST_200600_302600_NS10device_ptrIlEEjNS1_19radix_merge_compareILb0ELb1EiNS0_19identity_decomposerEEEEE10hipError_tT0_T1_T2_jT3_P12ihipStream_tbPNSt15iterator_traitsISG_E10value_typeEPNSM_ISH_E10value_typeEPSI_NS1_7vsmem_tEENKUlT_SG_SH_SI_E_clIS7_S7_SB_PlEESF_SV_SG_SH_SI_EUlSV_E0_NS1_11comp_targetILNS1_3genE3ELNS1_11target_archE908ELNS1_3gpuE7ELNS1_3repE0EEENS1_38merge_mergepath_config_static_selectorELNS0_4arch9wavefront6targetE1EEEvSH_ ; -- Begin function _ZN7rocprim17ROCPRIM_400000_NS6detail17trampoline_kernelINS0_14default_configENS1_38merge_sort_block_merge_config_selectorIilEEZZNS1_27merge_sort_block_merge_implIS3_PiN6thrust23THRUST_200600_302600_NS10device_ptrIlEEjNS1_19radix_merge_compareILb0ELb1EiNS0_19identity_decomposerEEEEE10hipError_tT0_T1_T2_jT3_P12ihipStream_tbPNSt15iterator_traitsISG_E10value_typeEPNSM_ISH_E10value_typeEPSI_NS1_7vsmem_tEENKUlT_SG_SH_SI_E_clIS7_S7_SB_PlEESF_SV_SG_SH_SI_EUlSV_E0_NS1_11comp_targetILNS1_3genE3ELNS1_11target_archE908ELNS1_3gpuE7ELNS1_3repE0EEENS1_38merge_mergepath_config_static_selectorELNS0_4arch9wavefront6targetE1EEEvSH_
	.globl	_ZN7rocprim17ROCPRIM_400000_NS6detail17trampoline_kernelINS0_14default_configENS1_38merge_sort_block_merge_config_selectorIilEEZZNS1_27merge_sort_block_merge_implIS3_PiN6thrust23THRUST_200600_302600_NS10device_ptrIlEEjNS1_19radix_merge_compareILb0ELb1EiNS0_19identity_decomposerEEEEE10hipError_tT0_T1_T2_jT3_P12ihipStream_tbPNSt15iterator_traitsISG_E10value_typeEPNSM_ISH_E10value_typeEPSI_NS1_7vsmem_tEENKUlT_SG_SH_SI_E_clIS7_S7_SB_PlEESF_SV_SG_SH_SI_EUlSV_E0_NS1_11comp_targetILNS1_3genE3ELNS1_11target_archE908ELNS1_3gpuE7ELNS1_3repE0EEENS1_38merge_mergepath_config_static_selectorELNS0_4arch9wavefront6targetE1EEEvSH_
	.p2align	8
	.type	_ZN7rocprim17ROCPRIM_400000_NS6detail17trampoline_kernelINS0_14default_configENS1_38merge_sort_block_merge_config_selectorIilEEZZNS1_27merge_sort_block_merge_implIS3_PiN6thrust23THRUST_200600_302600_NS10device_ptrIlEEjNS1_19radix_merge_compareILb0ELb1EiNS0_19identity_decomposerEEEEE10hipError_tT0_T1_T2_jT3_P12ihipStream_tbPNSt15iterator_traitsISG_E10value_typeEPNSM_ISH_E10value_typeEPSI_NS1_7vsmem_tEENKUlT_SG_SH_SI_E_clIS7_S7_SB_PlEESF_SV_SG_SH_SI_EUlSV_E0_NS1_11comp_targetILNS1_3genE3ELNS1_11target_archE908ELNS1_3gpuE7ELNS1_3repE0EEENS1_38merge_mergepath_config_static_selectorELNS0_4arch9wavefront6targetE1EEEvSH_,@function
_ZN7rocprim17ROCPRIM_400000_NS6detail17trampoline_kernelINS0_14default_configENS1_38merge_sort_block_merge_config_selectorIilEEZZNS1_27merge_sort_block_merge_implIS3_PiN6thrust23THRUST_200600_302600_NS10device_ptrIlEEjNS1_19radix_merge_compareILb0ELb1EiNS0_19identity_decomposerEEEEE10hipError_tT0_T1_T2_jT3_P12ihipStream_tbPNSt15iterator_traitsISG_E10value_typeEPNSM_ISH_E10value_typeEPSI_NS1_7vsmem_tEENKUlT_SG_SH_SI_E_clIS7_S7_SB_PlEESF_SV_SG_SH_SI_EUlSV_E0_NS1_11comp_targetILNS1_3genE3ELNS1_11target_archE908ELNS1_3gpuE7ELNS1_3repE0EEENS1_38merge_mergepath_config_static_selectorELNS0_4arch9wavefront6targetE1EEEvSH_: ; @_ZN7rocprim17ROCPRIM_400000_NS6detail17trampoline_kernelINS0_14default_configENS1_38merge_sort_block_merge_config_selectorIilEEZZNS1_27merge_sort_block_merge_implIS3_PiN6thrust23THRUST_200600_302600_NS10device_ptrIlEEjNS1_19radix_merge_compareILb0ELb1EiNS0_19identity_decomposerEEEEE10hipError_tT0_T1_T2_jT3_P12ihipStream_tbPNSt15iterator_traitsISG_E10value_typeEPNSM_ISH_E10value_typeEPSI_NS1_7vsmem_tEENKUlT_SG_SH_SI_E_clIS7_S7_SB_PlEESF_SV_SG_SH_SI_EUlSV_E0_NS1_11comp_targetILNS1_3genE3ELNS1_11target_archE908ELNS1_3gpuE7ELNS1_3repE0EEENS1_38merge_mergepath_config_static_selectorELNS0_4arch9wavefront6targetE1EEEvSH_
; %bb.0:
	.section	.rodata,"a",@progbits
	.p2align	6, 0x0
	.amdhsa_kernel _ZN7rocprim17ROCPRIM_400000_NS6detail17trampoline_kernelINS0_14default_configENS1_38merge_sort_block_merge_config_selectorIilEEZZNS1_27merge_sort_block_merge_implIS3_PiN6thrust23THRUST_200600_302600_NS10device_ptrIlEEjNS1_19radix_merge_compareILb0ELb1EiNS0_19identity_decomposerEEEEE10hipError_tT0_T1_T2_jT3_P12ihipStream_tbPNSt15iterator_traitsISG_E10value_typeEPNSM_ISH_E10value_typeEPSI_NS1_7vsmem_tEENKUlT_SG_SH_SI_E_clIS7_S7_SB_PlEESF_SV_SG_SH_SI_EUlSV_E0_NS1_11comp_targetILNS1_3genE3ELNS1_11target_archE908ELNS1_3gpuE7ELNS1_3repE0EEENS1_38merge_mergepath_config_static_selectorELNS0_4arch9wavefront6targetE1EEEvSH_
		.amdhsa_group_segment_fixed_size 0
		.amdhsa_private_segment_fixed_size 0
		.amdhsa_kernarg_size 64
		.amdhsa_user_sgpr_count 6
		.amdhsa_user_sgpr_private_segment_buffer 1
		.amdhsa_user_sgpr_dispatch_ptr 0
		.amdhsa_user_sgpr_queue_ptr 0
		.amdhsa_user_sgpr_kernarg_segment_ptr 1
		.amdhsa_user_sgpr_dispatch_id 0
		.amdhsa_user_sgpr_flat_scratch_init 0
		.amdhsa_user_sgpr_private_segment_size 0
		.amdhsa_uses_dynamic_stack 0
		.amdhsa_system_sgpr_private_segment_wavefront_offset 0
		.amdhsa_system_sgpr_workgroup_id_x 1
		.amdhsa_system_sgpr_workgroup_id_y 0
		.amdhsa_system_sgpr_workgroup_id_z 0
		.amdhsa_system_sgpr_workgroup_info 0
		.amdhsa_system_vgpr_workitem_id 0
		.amdhsa_next_free_vgpr 1
		.amdhsa_next_free_sgpr 0
		.amdhsa_reserve_vcc 0
		.amdhsa_reserve_flat_scratch 0
		.amdhsa_float_round_mode_32 0
		.amdhsa_float_round_mode_16_64 0
		.amdhsa_float_denorm_mode_32 3
		.amdhsa_float_denorm_mode_16_64 3
		.amdhsa_dx10_clamp 1
		.amdhsa_ieee_mode 1
		.amdhsa_fp16_overflow 0
		.amdhsa_exception_fp_ieee_invalid_op 0
		.amdhsa_exception_fp_denorm_src 0
		.amdhsa_exception_fp_ieee_div_zero 0
		.amdhsa_exception_fp_ieee_overflow 0
		.amdhsa_exception_fp_ieee_underflow 0
		.amdhsa_exception_fp_ieee_inexact 0
		.amdhsa_exception_int_div_zero 0
	.end_amdhsa_kernel
	.section	.text._ZN7rocprim17ROCPRIM_400000_NS6detail17trampoline_kernelINS0_14default_configENS1_38merge_sort_block_merge_config_selectorIilEEZZNS1_27merge_sort_block_merge_implIS3_PiN6thrust23THRUST_200600_302600_NS10device_ptrIlEEjNS1_19radix_merge_compareILb0ELb1EiNS0_19identity_decomposerEEEEE10hipError_tT0_T1_T2_jT3_P12ihipStream_tbPNSt15iterator_traitsISG_E10value_typeEPNSM_ISH_E10value_typeEPSI_NS1_7vsmem_tEENKUlT_SG_SH_SI_E_clIS7_S7_SB_PlEESF_SV_SG_SH_SI_EUlSV_E0_NS1_11comp_targetILNS1_3genE3ELNS1_11target_archE908ELNS1_3gpuE7ELNS1_3repE0EEENS1_38merge_mergepath_config_static_selectorELNS0_4arch9wavefront6targetE1EEEvSH_,"axG",@progbits,_ZN7rocprim17ROCPRIM_400000_NS6detail17trampoline_kernelINS0_14default_configENS1_38merge_sort_block_merge_config_selectorIilEEZZNS1_27merge_sort_block_merge_implIS3_PiN6thrust23THRUST_200600_302600_NS10device_ptrIlEEjNS1_19radix_merge_compareILb0ELb1EiNS0_19identity_decomposerEEEEE10hipError_tT0_T1_T2_jT3_P12ihipStream_tbPNSt15iterator_traitsISG_E10value_typeEPNSM_ISH_E10value_typeEPSI_NS1_7vsmem_tEENKUlT_SG_SH_SI_E_clIS7_S7_SB_PlEESF_SV_SG_SH_SI_EUlSV_E0_NS1_11comp_targetILNS1_3genE3ELNS1_11target_archE908ELNS1_3gpuE7ELNS1_3repE0EEENS1_38merge_mergepath_config_static_selectorELNS0_4arch9wavefront6targetE1EEEvSH_,comdat
.Lfunc_end836:
	.size	_ZN7rocprim17ROCPRIM_400000_NS6detail17trampoline_kernelINS0_14default_configENS1_38merge_sort_block_merge_config_selectorIilEEZZNS1_27merge_sort_block_merge_implIS3_PiN6thrust23THRUST_200600_302600_NS10device_ptrIlEEjNS1_19radix_merge_compareILb0ELb1EiNS0_19identity_decomposerEEEEE10hipError_tT0_T1_T2_jT3_P12ihipStream_tbPNSt15iterator_traitsISG_E10value_typeEPNSM_ISH_E10value_typeEPSI_NS1_7vsmem_tEENKUlT_SG_SH_SI_E_clIS7_S7_SB_PlEESF_SV_SG_SH_SI_EUlSV_E0_NS1_11comp_targetILNS1_3genE3ELNS1_11target_archE908ELNS1_3gpuE7ELNS1_3repE0EEENS1_38merge_mergepath_config_static_selectorELNS0_4arch9wavefront6targetE1EEEvSH_, .Lfunc_end836-_ZN7rocprim17ROCPRIM_400000_NS6detail17trampoline_kernelINS0_14default_configENS1_38merge_sort_block_merge_config_selectorIilEEZZNS1_27merge_sort_block_merge_implIS3_PiN6thrust23THRUST_200600_302600_NS10device_ptrIlEEjNS1_19radix_merge_compareILb0ELb1EiNS0_19identity_decomposerEEEEE10hipError_tT0_T1_T2_jT3_P12ihipStream_tbPNSt15iterator_traitsISG_E10value_typeEPNSM_ISH_E10value_typeEPSI_NS1_7vsmem_tEENKUlT_SG_SH_SI_E_clIS7_S7_SB_PlEESF_SV_SG_SH_SI_EUlSV_E0_NS1_11comp_targetILNS1_3genE3ELNS1_11target_archE908ELNS1_3gpuE7ELNS1_3repE0EEENS1_38merge_mergepath_config_static_selectorELNS0_4arch9wavefront6targetE1EEEvSH_
                                        ; -- End function
	.set _ZN7rocprim17ROCPRIM_400000_NS6detail17trampoline_kernelINS0_14default_configENS1_38merge_sort_block_merge_config_selectorIilEEZZNS1_27merge_sort_block_merge_implIS3_PiN6thrust23THRUST_200600_302600_NS10device_ptrIlEEjNS1_19radix_merge_compareILb0ELb1EiNS0_19identity_decomposerEEEEE10hipError_tT0_T1_T2_jT3_P12ihipStream_tbPNSt15iterator_traitsISG_E10value_typeEPNSM_ISH_E10value_typeEPSI_NS1_7vsmem_tEENKUlT_SG_SH_SI_E_clIS7_S7_SB_PlEESF_SV_SG_SH_SI_EUlSV_E0_NS1_11comp_targetILNS1_3genE3ELNS1_11target_archE908ELNS1_3gpuE7ELNS1_3repE0EEENS1_38merge_mergepath_config_static_selectorELNS0_4arch9wavefront6targetE1EEEvSH_.num_vgpr, 0
	.set _ZN7rocprim17ROCPRIM_400000_NS6detail17trampoline_kernelINS0_14default_configENS1_38merge_sort_block_merge_config_selectorIilEEZZNS1_27merge_sort_block_merge_implIS3_PiN6thrust23THRUST_200600_302600_NS10device_ptrIlEEjNS1_19radix_merge_compareILb0ELb1EiNS0_19identity_decomposerEEEEE10hipError_tT0_T1_T2_jT3_P12ihipStream_tbPNSt15iterator_traitsISG_E10value_typeEPNSM_ISH_E10value_typeEPSI_NS1_7vsmem_tEENKUlT_SG_SH_SI_E_clIS7_S7_SB_PlEESF_SV_SG_SH_SI_EUlSV_E0_NS1_11comp_targetILNS1_3genE3ELNS1_11target_archE908ELNS1_3gpuE7ELNS1_3repE0EEENS1_38merge_mergepath_config_static_selectorELNS0_4arch9wavefront6targetE1EEEvSH_.num_agpr, 0
	.set _ZN7rocprim17ROCPRIM_400000_NS6detail17trampoline_kernelINS0_14default_configENS1_38merge_sort_block_merge_config_selectorIilEEZZNS1_27merge_sort_block_merge_implIS3_PiN6thrust23THRUST_200600_302600_NS10device_ptrIlEEjNS1_19radix_merge_compareILb0ELb1EiNS0_19identity_decomposerEEEEE10hipError_tT0_T1_T2_jT3_P12ihipStream_tbPNSt15iterator_traitsISG_E10value_typeEPNSM_ISH_E10value_typeEPSI_NS1_7vsmem_tEENKUlT_SG_SH_SI_E_clIS7_S7_SB_PlEESF_SV_SG_SH_SI_EUlSV_E0_NS1_11comp_targetILNS1_3genE3ELNS1_11target_archE908ELNS1_3gpuE7ELNS1_3repE0EEENS1_38merge_mergepath_config_static_selectorELNS0_4arch9wavefront6targetE1EEEvSH_.numbered_sgpr, 0
	.set _ZN7rocprim17ROCPRIM_400000_NS6detail17trampoline_kernelINS0_14default_configENS1_38merge_sort_block_merge_config_selectorIilEEZZNS1_27merge_sort_block_merge_implIS3_PiN6thrust23THRUST_200600_302600_NS10device_ptrIlEEjNS1_19radix_merge_compareILb0ELb1EiNS0_19identity_decomposerEEEEE10hipError_tT0_T1_T2_jT3_P12ihipStream_tbPNSt15iterator_traitsISG_E10value_typeEPNSM_ISH_E10value_typeEPSI_NS1_7vsmem_tEENKUlT_SG_SH_SI_E_clIS7_S7_SB_PlEESF_SV_SG_SH_SI_EUlSV_E0_NS1_11comp_targetILNS1_3genE3ELNS1_11target_archE908ELNS1_3gpuE7ELNS1_3repE0EEENS1_38merge_mergepath_config_static_selectorELNS0_4arch9wavefront6targetE1EEEvSH_.num_named_barrier, 0
	.set _ZN7rocprim17ROCPRIM_400000_NS6detail17trampoline_kernelINS0_14default_configENS1_38merge_sort_block_merge_config_selectorIilEEZZNS1_27merge_sort_block_merge_implIS3_PiN6thrust23THRUST_200600_302600_NS10device_ptrIlEEjNS1_19radix_merge_compareILb0ELb1EiNS0_19identity_decomposerEEEEE10hipError_tT0_T1_T2_jT3_P12ihipStream_tbPNSt15iterator_traitsISG_E10value_typeEPNSM_ISH_E10value_typeEPSI_NS1_7vsmem_tEENKUlT_SG_SH_SI_E_clIS7_S7_SB_PlEESF_SV_SG_SH_SI_EUlSV_E0_NS1_11comp_targetILNS1_3genE3ELNS1_11target_archE908ELNS1_3gpuE7ELNS1_3repE0EEENS1_38merge_mergepath_config_static_selectorELNS0_4arch9wavefront6targetE1EEEvSH_.private_seg_size, 0
	.set _ZN7rocprim17ROCPRIM_400000_NS6detail17trampoline_kernelINS0_14default_configENS1_38merge_sort_block_merge_config_selectorIilEEZZNS1_27merge_sort_block_merge_implIS3_PiN6thrust23THRUST_200600_302600_NS10device_ptrIlEEjNS1_19radix_merge_compareILb0ELb1EiNS0_19identity_decomposerEEEEE10hipError_tT0_T1_T2_jT3_P12ihipStream_tbPNSt15iterator_traitsISG_E10value_typeEPNSM_ISH_E10value_typeEPSI_NS1_7vsmem_tEENKUlT_SG_SH_SI_E_clIS7_S7_SB_PlEESF_SV_SG_SH_SI_EUlSV_E0_NS1_11comp_targetILNS1_3genE3ELNS1_11target_archE908ELNS1_3gpuE7ELNS1_3repE0EEENS1_38merge_mergepath_config_static_selectorELNS0_4arch9wavefront6targetE1EEEvSH_.uses_vcc, 0
	.set _ZN7rocprim17ROCPRIM_400000_NS6detail17trampoline_kernelINS0_14default_configENS1_38merge_sort_block_merge_config_selectorIilEEZZNS1_27merge_sort_block_merge_implIS3_PiN6thrust23THRUST_200600_302600_NS10device_ptrIlEEjNS1_19radix_merge_compareILb0ELb1EiNS0_19identity_decomposerEEEEE10hipError_tT0_T1_T2_jT3_P12ihipStream_tbPNSt15iterator_traitsISG_E10value_typeEPNSM_ISH_E10value_typeEPSI_NS1_7vsmem_tEENKUlT_SG_SH_SI_E_clIS7_S7_SB_PlEESF_SV_SG_SH_SI_EUlSV_E0_NS1_11comp_targetILNS1_3genE3ELNS1_11target_archE908ELNS1_3gpuE7ELNS1_3repE0EEENS1_38merge_mergepath_config_static_selectorELNS0_4arch9wavefront6targetE1EEEvSH_.uses_flat_scratch, 0
	.set _ZN7rocprim17ROCPRIM_400000_NS6detail17trampoline_kernelINS0_14default_configENS1_38merge_sort_block_merge_config_selectorIilEEZZNS1_27merge_sort_block_merge_implIS3_PiN6thrust23THRUST_200600_302600_NS10device_ptrIlEEjNS1_19radix_merge_compareILb0ELb1EiNS0_19identity_decomposerEEEEE10hipError_tT0_T1_T2_jT3_P12ihipStream_tbPNSt15iterator_traitsISG_E10value_typeEPNSM_ISH_E10value_typeEPSI_NS1_7vsmem_tEENKUlT_SG_SH_SI_E_clIS7_S7_SB_PlEESF_SV_SG_SH_SI_EUlSV_E0_NS1_11comp_targetILNS1_3genE3ELNS1_11target_archE908ELNS1_3gpuE7ELNS1_3repE0EEENS1_38merge_mergepath_config_static_selectorELNS0_4arch9wavefront6targetE1EEEvSH_.has_dyn_sized_stack, 0
	.set _ZN7rocprim17ROCPRIM_400000_NS6detail17trampoline_kernelINS0_14default_configENS1_38merge_sort_block_merge_config_selectorIilEEZZNS1_27merge_sort_block_merge_implIS3_PiN6thrust23THRUST_200600_302600_NS10device_ptrIlEEjNS1_19radix_merge_compareILb0ELb1EiNS0_19identity_decomposerEEEEE10hipError_tT0_T1_T2_jT3_P12ihipStream_tbPNSt15iterator_traitsISG_E10value_typeEPNSM_ISH_E10value_typeEPSI_NS1_7vsmem_tEENKUlT_SG_SH_SI_E_clIS7_S7_SB_PlEESF_SV_SG_SH_SI_EUlSV_E0_NS1_11comp_targetILNS1_3genE3ELNS1_11target_archE908ELNS1_3gpuE7ELNS1_3repE0EEENS1_38merge_mergepath_config_static_selectorELNS0_4arch9wavefront6targetE1EEEvSH_.has_recursion, 0
	.set _ZN7rocprim17ROCPRIM_400000_NS6detail17trampoline_kernelINS0_14default_configENS1_38merge_sort_block_merge_config_selectorIilEEZZNS1_27merge_sort_block_merge_implIS3_PiN6thrust23THRUST_200600_302600_NS10device_ptrIlEEjNS1_19radix_merge_compareILb0ELb1EiNS0_19identity_decomposerEEEEE10hipError_tT0_T1_T2_jT3_P12ihipStream_tbPNSt15iterator_traitsISG_E10value_typeEPNSM_ISH_E10value_typeEPSI_NS1_7vsmem_tEENKUlT_SG_SH_SI_E_clIS7_S7_SB_PlEESF_SV_SG_SH_SI_EUlSV_E0_NS1_11comp_targetILNS1_3genE3ELNS1_11target_archE908ELNS1_3gpuE7ELNS1_3repE0EEENS1_38merge_mergepath_config_static_selectorELNS0_4arch9wavefront6targetE1EEEvSH_.has_indirect_call, 0
	.section	.AMDGPU.csdata,"",@progbits
; Kernel info:
; codeLenInByte = 0
; TotalNumSgprs: 4
; NumVgprs: 0
; ScratchSize: 0
; MemoryBound: 0
; FloatMode: 240
; IeeeMode: 1
; LDSByteSize: 0 bytes/workgroup (compile time only)
; SGPRBlocks: 0
; VGPRBlocks: 0
; NumSGPRsForWavesPerEU: 4
; NumVGPRsForWavesPerEU: 1
; Occupancy: 10
; WaveLimiterHint : 0
; COMPUTE_PGM_RSRC2:SCRATCH_EN: 0
; COMPUTE_PGM_RSRC2:USER_SGPR: 6
; COMPUTE_PGM_RSRC2:TRAP_HANDLER: 0
; COMPUTE_PGM_RSRC2:TGID_X_EN: 1
; COMPUTE_PGM_RSRC2:TGID_Y_EN: 0
; COMPUTE_PGM_RSRC2:TGID_Z_EN: 0
; COMPUTE_PGM_RSRC2:TIDIG_COMP_CNT: 0
	.section	.text._ZN7rocprim17ROCPRIM_400000_NS6detail17trampoline_kernelINS0_14default_configENS1_38merge_sort_block_merge_config_selectorIilEEZZNS1_27merge_sort_block_merge_implIS3_PiN6thrust23THRUST_200600_302600_NS10device_ptrIlEEjNS1_19radix_merge_compareILb0ELb1EiNS0_19identity_decomposerEEEEE10hipError_tT0_T1_T2_jT3_P12ihipStream_tbPNSt15iterator_traitsISG_E10value_typeEPNSM_ISH_E10value_typeEPSI_NS1_7vsmem_tEENKUlT_SG_SH_SI_E_clIS7_S7_SB_PlEESF_SV_SG_SH_SI_EUlSV_E0_NS1_11comp_targetILNS1_3genE2ELNS1_11target_archE906ELNS1_3gpuE6ELNS1_3repE0EEENS1_38merge_mergepath_config_static_selectorELNS0_4arch9wavefront6targetE1EEEvSH_,"axG",@progbits,_ZN7rocprim17ROCPRIM_400000_NS6detail17trampoline_kernelINS0_14default_configENS1_38merge_sort_block_merge_config_selectorIilEEZZNS1_27merge_sort_block_merge_implIS3_PiN6thrust23THRUST_200600_302600_NS10device_ptrIlEEjNS1_19radix_merge_compareILb0ELb1EiNS0_19identity_decomposerEEEEE10hipError_tT0_T1_T2_jT3_P12ihipStream_tbPNSt15iterator_traitsISG_E10value_typeEPNSM_ISH_E10value_typeEPSI_NS1_7vsmem_tEENKUlT_SG_SH_SI_E_clIS7_S7_SB_PlEESF_SV_SG_SH_SI_EUlSV_E0_NS1_11comp_targetILNS1_3genE2ELNS1_11target_archE906ELNS1_3gpuE6ELNS1_3repE0EEENS1_38merge_mergepath_config_static_selectorELNS0_4arch9wavefront6targetE1EEEvSH_,comdat
	.protected	_ZN7rocprim17ROCPRIM_400000_NS6detail17trampoline_kernelINS0_14default_configENS1_38merge_sort_block_merge_config_selectorIilEEZZNS1_27merge_sort_block_merge_implIS3_PiN6thrust23THRUST_200600_302600_NS10device_ptrIlEEjNS1_19radix_merge_compareILb0ELb1EiNS0_19identity_decomposerEEEEE10hipError_tT0_T1_T2_jT3_P12ihipStream_tbPNSt15iterator_traitsISG_E10value_typeEPNSM_ISH_E10value_typeEPSI_NS1_7vsmem_tEENKUlT_SG_SH_SI_E_clIS7_S7_SB_PlEESF_SV_SG_SH_SI_EUlSV_E0_NS1_11comp_targetILNS1_3genE2ELNS1_11target_archE906ELNS1_3gpuE6ELNS1_3repE0EEENS1_38merge_mergepath_config_static_selectorELNS0_4arch9wavefront6targetE1EEEvSH_ ; -- Begin function _ZN7rocprim17ROCPRIM_400000_NS6detail17trampoline_kernelINS0_14default_configENS1_38merge_sort_block_merge_config_selectorIilEEZZNS1_27merge_sort_block_merge_implIS3_PiN6thrust23THRUST_200600_302600_NS10device_ptrIlEEjNS1_19radix_merge_compareILb0ELb1EiNS0_19identity_decomposerEEEEE10hipError_tT0_T1_T2_jT3_P12ihipStream_tbPNSt15iterator_traitsISG_E10value_typeEPNSM_ISH_E10value_typeEPSI_NS1_7vsmem_tEENKUlT_SG_SH_SI_E_clIS7_S7_SB_PlEESF_SV_SG_SH_SI_EUlSV_E0_NS1_11comp_targetILNS1_3genE2ELNS1_11target_archE906ELNS1_3gpuE6ELNS1_3repE0EEENS1_38merge_mergepath_config_static_selectorELNS0_4arch9wavefront6targetE1EEEvSH_
	.globl	_ZN7rocprim17ROCPRIM_400000_NS6detail17trampoline_kernelINS0_14default_configENS1_38merge_sort_block_merge_config_selectorIilEEZZNS1_27merge_sort_block_merge_implIS3_PiN6thrust23THRUST_200600_302600_NS10device_ptrIlEEjNS1_19radix_merge_compareILb0ELb1EiNS0_19identity_decomposerEEEEE10hipError_tT0_T1_T2_jT3_P12ihipStream_tbPNSt15iterator_traitsISG_E10value_typeEPNSM_ISH_E10value_typeEPSI_NS1_7vsmem_tEENKUlT_SG_SH_SI_E_clIS7_S7_SB_PlEESF_SV_SG_SH_SI_EUlSV_E0_NS1_11comp_targetILNS1_3genE2ELNS1_11target_archE906ELNS1_3gpuE6ELNS1_3repE0EEENS1_38merge_mergepath_config_static_selectorELNS0_4arch9wavefront6targetE1EEEvSH_
	.p2align	8
	.type	_ZN7rocprim17ROCPRIM_400000_NS6detail17trampoline_kernelINS0_14default_configENS1_38merge_sort_block_merge_config_selectorIilEEZZNS1_27merge_sort_block_merge_implIS3_PiN6thrust23THRUST_200600_302600_NS10device_ptrIlEEjNS1_19radix_merge_compareILb0ELb1EiNS0_19identity_decomposerEEEEE10hipError_tT0_T1_T2_jT3_P12ihipStream_tbPNSt15iterator_traitsISG_E10value_typeEPNSM_ISH_E10value_typeEPSI_NS1_7vsmem_tEENKUlT_SG_SH_SI_E_clIS7_S7_SB_PlEESF_SV_SG_SH_SI_EUlSV_E0_NS1_11comp_targetILNS1_3genE2ELNS1_11target_archE906ELNS1_3gpuE6ELNS1_3repE0EEENS1_38merge_mergepath_config_static_selectorELNS0_4arch9wavefront6targetE1EEEvSH_,@function
_ZN7rocprim17ROCPRIM_400000_NS6detail17trampoline_kernelINS0_14default_configENS1_38merge_sort_block_merge_config_selectorIilEEZZNS1_27merge_sort_block_merge_implIS3_PiN6thrust23THRUST_200600_302600_NS10device_ptrIlEEjNS1_19radix_merge_compareILb0ELb1EiNS0_19identity_decomposerEEEEE10hipError_tT0_T1_T2_jT3_P12ihipStream_tbPNSt15iterator_traitsISG_E10value_typeEPNSM_ISH_E10value_typeEPSI_NS1_7vsmem_tEENKUlT_SG_SH_SI_E_clIS7_S7_SB_PlEESF_SV_SG_SH_SI_EUlSV_E0_NS1_11comp_targetILNS1_3genE2ELNS1_11target_archE906ELNS1_3gpuE6ELNS1_3repE0EEENS1_38merge_mergepath_config_static_selectorELNS0_4arch9wavefront6targetE1EEEvSH_: ; @_ZN7rocprim17ROCPRIM_400000_NS6detail17trampoline_kernelINS0_14default_configENS1_38merge_sort_block_merge_config_selectorIilEEZZNS1_27merge_sort_block_merge_implIS3_PiN6thrust23THRUST_200600_302600_NS10device_ptrIlEEjNS1_19radix_merge_compareILb0ELb1EiNS0_19identity_decomposerEEEEE10hipError_tT0_T1_T2_jT3_P12ihipStream_tbPNSt15iterator_traitsISG_E10value_typeEPNSM_ISH_E10value_typeEPSI_NS1_7vsmem_tEENKUlT_SG_SH_SI_E_clIS7_S7_SB_PlEESF_SV_SG_SH_SI_EUlSV_E0_NS1_11comp_targetILNS1_3genE2ELNS1_11target_archE906ELNS1_3gpuE6ELNS1_3repE0EEENS1_38merge_mergepath_config_static_selectorELNS0_4arch9wavefront6targetE1EEEvSH_
; %bb.0:
	s_load_dwordx2 s[22:23], s[4:5], 0x40
	s_load_dwordx2 s[16:17], s[4:5], 0x30
	s_add_u32 s20, s4, 64
	s_addc_u32 s21, s5, 0
	s_waitcnt lgkmcnt(0)
	s_mul_i32 s0, s23, s8
	s_add_i32 s0, s0, s7
	s_mul_i32 s0, s0, s22
	s_add_i32 s0, s0, s6
	s_cmp_ge_u32 s0, s16
	s_cbranch_scc1 .LBB837_46
; %bb.1:
	s_load_dwordx8 s[8:15], s[4:5], 0x10
	s_load_dwordx2 s[28:29], s[4:5], 0x8
	s_load_dwordx2 s[2:3], s[4:5], 0x38
	s_mov_b32 s1, 0
	v_mov_b32_e32 v2, 0
	s_waitcnt lgkmcnt(0)
	s_lshr_b32 s33, s14, 10
	s_cmp_lg_u32 s0, s33
	s_cselect_b64 s[18:19], -1, 0
	s_lshl_b64 s[4:5], s[0:1], 2
	s_add_u32 s4, s2, s4
	s_addc_u32 s5, s3, s5
	s_load_dwordx2 s[2:3], s[4:5], 0x0
	s_lshr_b32 s4, s15, 9
	s_and_b32 s4, s4, 0x7ffffe
	s_sub_i32 s5, 0, s4
	s_and_b32 s4, s0, s5
	s_lshl_b32 s7, s4, 10
	s_lshl_b32 s16, s0, 10
	;; [unrolled: 1-line block ×3, first 2 shown]
	s_sub_i32 s23, s16, s7
	s_add_i32 s24, s4, s15
	s_add_i32 s23, s24, s23
	s_waitcnt lgkmcnt(0)
	s_sub_i32 s4, s23, s2
	s_sub_i32 s23, s23, s3
	;; [unrolled: 1-line block ×3, first 2 shown]
	s_min_u32 s4, s14, s4
	s_addk_i32 s23, 0x400
	s_or_b32 s5, s0, s5
	s_min_u32 s24, s14, s7
	s_add_i32 s7, s7, s15
	s_cmp_eq_u32 s5, -1
	s_cselect_b32 s3, s24, s3
	s_cselect_b32 s5, s7, s23
	s_sub_i32 s15, s3, s2
	s_mov_b32 s3, s1
	s_min_u32 s27, s5, s14
	s_lshl_b64 s[24:25], s[2:3], 2
	s_add_u32 s24, s28, s24
	s_mov_b32 s5, s1
	s_addc_u32 s25, s29, s25
	s_lshl_b64 s[30:31], s[4:5], 2
	s_add_u32 s23, s28, s30
	global_load_dword v1, v2, s[20:21] offset:14
	s_addc_u32 s26, s29, s31
	s_cmp_lt_u32 s6, s22
	s_cselect_b32 s1, 12, 18
	s_add_u32 s6, s20, s1
	s_addc_u32 s7, s21, 0
	global_load_ushort v3, v2, s[6:7]
	s_cmp_eq_u32 s0, s33
	v_lshlrev_b32_e32 v17, 2, v0
	s_waitcnt vmcnt(1)
	v_lshrrev_b32_e32 v4, 16, v1
	v_and_b32_e32 v1, 0xffff, v1
	v_mul_lo_u32 v1, v1, v4
	s_waitcnt vmcnt(0)
	v_mul_lo_u32 v19, v1, v3
	v_add_u32_e32 v15, v19, v0
	v_add_u32_e32 v13, v15, v19
	s_cbranch_scc1 .LBB837_3
; %bb.2:
	v_mov_b32_e32 v1, s25
	v_add_co_u32_e32 v5, vcc, s24, v17
	v_addc_co_u32_e32 v6, vcc, 0, v1, vcc
	v_subrev_co_u32_e32 v1, vcc, s15, v0
	v_lshlrev_b64 v[3:4], 2, v[1:2]
	v_mov_b32_e32 v1, s26
	v_add_co_u32_e64 v3, s[0:1], s23, v3
	v_addc_co_u32_e64 v1, s[0:1], v1, v4, s[0:1]
	v_cndmask_b32_e32 v4, v1, v6, vcc
	v_cndmask_b32_e32 v3, v3, v5, vcc
	v_mov_b32_e32 v16, v2
	global_load_dword v9, v[3:4], off
	v_lshlrev_b64 v[3:4], 2, v[15:16]
	v_mov_b32_e32 v1, s25
	v_add_co_u32_e32 v5, vcc, s24, v3
	v_addc_co_u32_e32 v6, vcc, v1, v4, vcc
	v_subrev_co_u32_e32 v1, vcc, s15, v15
	v_lshlrev_b64 v[3:4], 2, v[1:2]
	v_mov_b32_e32 v1, s26
	v_add_co_u32_e64 v3, s[0:1], s23, v3
	v_addc_co_u32_e64 v1, s[0:1], v1, v4, s[0:1]
	v_cndmask_b32_e32 v4, v1, v6, vcc
	v_cndmask_b32_e32 v3, v3, v5, vcc
	v_mov_b32_e32 v14, v2
	global_load_dword v10, v[3:4], off
	v_lshlrev_b64 v[3:4], 2, v[13:14]
	v_mov_b32_e32 v1, s25
	v_add_co_u32_e32 v3, vcc, s24, v3
	v_addc_co_u32_e32 v4, vcc, v1, v4, vcc
	v_subrev_co_u32_e32 v1, vcc, s15, v13
	v_lshlrev_b64 v[1:2], 2, v[1:2]
	v_mov_b32_e32 v5, s26
	v_add_co_u32_e64 v1, s[0:1], s23, v1
	v_addc_co_u32_e64 v2, s[0:1], v5, v2, s[0:1]
	v_cndmask_b32_e32 v2, v2, v4, vcc
	v_cndmask_b32_e32 v1, v1, v3, vcc
	global_load_dword v11, v[1:2], off
	v_add_u32_e32 v1, v13, v19
	s_mov_b64 s[0:1], -1
	s_sub_i32 s20, s27, s4
	s_cbranch_execz .LBB837_4
	s_branch .LBB837_9
.LBB837_3:
	s_mov_b64 s[0:1], 0
                                        ; implicit-def: $vgpr1
                                        ; implicit-def: $vgpr9_vgpr10_vgpr11_vgpr12
	s_sub_i32 s20, s27, s4
.LBB837_4:
	s_add_i32 s21, s20, s15
	s_waitcnt vmcnt(2)
	v_mov_b32_e32 v9, 0
	v_cmp_gt_u32_e32 vcc, s21, v0
	s_waitcnt vmcnt(1)
	v_mov_b32_e32 v10, v9
	s_waitcnt vmcnt(0)
	v_mov_b32_e32 v11, v9
	v_mov_b32_e32 v12, v9
	s_and_saveexec_b64 s[6:7], vcc
	s_cbranch_execnz .LBB837_47
; %bb.5:
	s_or_b64 exec, exec, s[6:7]
	v_cmp_gt_u32_e32 vcc, s21, v15
	s_and_saveexec_b64 s[6:7], vcc
	s_cbranch_execnz .LBB837_48
.LBB837_6:
	s_or_b64 exec, exec, s[6:7]
	v_cmp_gt_u32_e32 vcc, s21, v13
	s_and_saveexec_b64 s[6:7], vcc
	s_cbranch_execz .LBB837_8
.LBB837_7:
	v_mov_b32_e32 v14, 0
	v_lshlrev_b64 v[1:2], 2, v[13:14]
	v_mov_b32_e32 v3, s25
	v_add_co_u32_e32 v4, vcc, s24, v1
	v_addc_co_u32_e32 v3, vcc, v3, v2, vcc
	v_subrev_co_u32_e32 v1, vcc, s15, v13
	v_mov_b32_e32 v2, v14
	v_lshlrev_b64 v[1:2], 2, v[1:2]
	v_mov_b32_e32 v5, s26
	v_add_co_u32_e64 v1, s[0:1], s23, v1
	v_addc_co_u32_e64 v2, s[0:1], v5, v2, s[0:1]
	v_cndmask_b32_e32 v2, v2, v3, vcc
	v_cndmask_b32_e32 v1, v1, v4, vcc
	global_load_dword v11, v[1:2], off
.LBB837_8:
	s_or_b64 exec, exec, s[6:7]
	v_add_u32_e32 v1, v13, v19
	v_cmp_gt_u32_e64 s[0:1], s21, v1
.LBB837_9:
	s_and_saveexec_b64 s[6:7], s[0:1]
	s_cbranch_execz .LBB837_11
; %bb.10:
	v_mov_b32_e32 v2, 0
	v_lshlrev_b64 v[3:4], 2, v[1:2]
	v_mov_b32_e32 v5, s25
	v_add_co_u32_e32 v3, vcc, s24, v3
	v_addc_co_u32_e32 v4, vcc, v5, v4, vcc
	v_subrev_co_u32_e32 v1, vcc, s15, v1
	v_lshlrev_b64 v[1:2], 2, v[1:2]
	v_mov_b32_e32 v5, s26
	v_add_co_u32_e64 v1, s[0:1], s23, v1
	v_addc_co_u32_e64 v2, s[0:1], v5, v2, s[0:1]
	v_cndmask_b32_e32 v2, v2, v4, vcc
	v_cndmask_b32_e32 v1, v1, v3, vcc
	global_load_dword v12, v[1:2], off
.LBB837_11:
	s_or_b64 exec, exec, s[6:7]
	s_lshl_b64 s[0:1], s[2:3], 3
	s_add_u32 s6, s10, s0
	s_addc_u32 s7, s11, s1
	s_lshl_b64 s[0:1], s[4:5], 3
	s_add_u32 s4, s10, s0
	v_mov_b32_e32 v7, 0
	s_addc_u32 s5, s11, s1
	s_andn2_b64 vcc, exec, s[18:19]
	v_lshlrev_b32_e32 v18, 3, v0
	s_waitcnt vmcnt(0)
	ds_write2st64_b32 v17, v9, v10 offset1:4
	ds_write2st64_b32 v17, v11, v12 offset0:8 offset1:12
	s_cbranch_vccnz .LBB837_13
; %bb.12:
	v_mov_b32_e32 v1, s7
	v_add_co_u32_e32 v3, vcc, s6, v18
	v_addc_co_u32_e32 v4, vcc, 0, v1, vcc
	v_subrev_co_u32_e32 v6, vcc, s15, v0
	v_lshlrev_b64 v[1:2], 3, v[6:7]
	v_mov_b32_e32 v5, s5
	v_add_co_u32_e64 v1, s[0:1], s4, v1
	v_addc_co_u32_e64 v2, s[0:1], v5, v2, s[0:1]
	v_mov_b32_e32 v16, v7
	v_cndmask_b32_e32 v2, v2, v4, vcc
	v_cndmask_b32_e32 v1, v1, v3, vcc
	v_lshlrev_b64 v[3:4], 3, v[15:16]
	v_mov_b32_e32 v5, s7
	v_add_co_u32_e32 v8, vcc, s6, v3
	v_addc_co_u32_e32 v5, vcc, v5, v4, vcc
	v_subrev_co_u32_e32 v6, vcc, s15, v15
	v_lshlrev_b64 v[3:4], 3, v[6:7]
	v_mov_b32_e32 v6, s5
	v_add_co_u32_e64 v3, s[0:1], s4, v3
	v_addc_co_u32_e64 v4, s[0:1], v6, v4, s[0:1]
	v_mov_b32_e32 v14, v7
	v_cndmask_b32_e32 v4, v4, v5, vcc
	v_lshlrev_b64 v[5:6], 3, v[13:14]
	v_cndmask_b32_e32 v3, v3, v8, vcc
	v_mov_b32_e32 v8, s7
	v_add_co_u32_e32 v14, vcc, s6, v5
	v_addc_co_u32_e32 v8, vcc, v8, v6, vcc
	v_subrev_co_u32_e32 v6, vcc, s15, v13
	v_lshlrev_b64 v[5:6], 3, v[6:7]
	v_mov_b32_e32 v16, s5
	v_add_co_u32_e64 v5, s[0:1], s4, v5
	v_addc_co_u32_e64 v6, s[0:1], v16, v6, s[0:1]
	v_cndmask_b32_e32 v6, v6, v8, vcc
	v_cndmask_b32_e32 v5, v5, v14, vcc
	global_load_dwordx2 v[1:2], v[1:2], off
	s_add_i32 s10, s20, s15
	global_load_dwordx2 v[3:4], v[3:4], off
	v_mov_b32_e32 v8, v7
	global_load_dwordx2 v[5:6], v[5:6], off
	v_add_u32_e32 v14, v13, v19
	s_mov_b64 s[0:1], -1
	v_mov_b32_e32 v16, s10
	s_cbranch_execz .LBB837_14
	s_branch .LBB837_19
.LBB837_13:
	s_mov_b64 s[0:1], 0
                                        ; implicit-def: $vgpr14
                                        ; implicit-def: $vgpr1_vgpr2_vgpr3_vgpr4_vgpr5_vgpr6_vgpr7_vgpr8
                                        ; implicit-def: $vgpr16
.LBB837_14:
	s_add_i32 s10, s20, s15
	s_waitcnt vmcnt(2)
	v_mov_b32_e32 v1, 0
	v_cmp_gt_u32_e32 vcc, s10, v0
	v_mov_b32_e32 v2, v1
	s_waitcnt vmcnt(1)
	v_mov_b32_e32 v3, v1
	v_mov_b32_e32 v4, v1
	s_waitcnt vmcnt(0)
	v_mov_b32_e32 v5, v1
	v_mov_b32_e32 v6, v1
	;; [unrolled: 1-line block ×4, first 2 shown]
	s_and_saveexec_b64 s[2:3], vcc
	s_cbranch_execnz .LBB837_49
; %bb.15:
	s_or_b64 exec, exec, s[2:3]
	v_cmp_gt_u32_e32 vcc, s10, v15
	s_and_saveexec_b64 s[2:3], vcc
	s_cbranch_execnz .LBB837_50
.LBB837_16:
	s_or_b64 exec, exec, s[2:3]
	v_cmp_gt_u32_e32 vcc, s10, v13
	s_and_saveexec_b64 s[2:3], vcc
	s_cbranch_execz .LBB837_18
.LBB837_17:
	v_mov_b32_e32 v14, 0
	v_lshlrev_b64 v[5:6], 3, v[13:14]
	v_mov_b32_e32 v15, s7
	v_add_co_u32_e32 v16, vcc, s6, v5
	v_addc_co_u32_e32 v15, vcc, v15, v6, vcc
	v_subrev_co_u32_e32 v5, vcc, s15, v13
	v_mov_b32_e32 v6, v14
	v_lshlrev_b64 v[5:6], 3, v[5:6]
	v_mov_b32_e32 v14, s5
	v_add_co_u32_e64 v5, s[0:1], s4, v5
	v_addc_co_u32_e64 v6, s[0:1], v14, v6, s[0:1]
	v_cndmask_b32_e32 v6, v6, v15, vcc
	v_cndmask_b32_e32 v5, v5, v16, vcc
	global_load_dwordx2 v[5:6], v[5:6], off
.LBB837_18:
	s_or_b64 exec, exec, s[2:3]
	v_add_u32_e32 v14, v13, v19
	v_cmp_gt_u32_e64 s[0:1], s10, v14
	v_mov_b32_e32 v16, s10
.LBB837_19:
	s_and_saveexec_b64 s[2:3], s[0:1]
	s_cbranch_execz .LBB837_21
; %bb.20:
	v_mov_b32_e32 v8, 0
	v_mov_b32_e32 v15, v8
	v_lshlrev_b64 v[19:20], 3, v[14:15]
	v_mov_b32_e32 v7, s7
	v_add_co_u32_e32 v13, vcc, s6, v19
	v_addc_co_u32_e32 v15, vcc, v7, v20, vcc
	v_subrev_co_u32_e32 v7, vcc, s15, v14
	v_lshlrev_b64 v[7:8], 3, v[7:8]
	v_mov_b32_e32 v14, s5
	v_add_co_u32_e64 v7, s[0:1], s4, v7
	v_addc_co_u32_e64 v8, s[0:1], v14, v8, s[0:1]
	v_cndmask_b32_e32 v8, v8, v15, vcc
	v_cndmask_b32_e32 v7, v7, v13, vcc
	global_load_dwordx2 v[7:8], v[7:8], off
.LBB837_21:
	s_or_b64 exec, exec, s[2:3]
	v_min_u32_e32 v14, v16, v17
	v_sub_u32_e64 v13, v14, s20 clamp
	v_min_u32_e32 v15, s15, v14
	v_cmp_lt_u32_e32 vcc, v13, v15
	s_waitcnt vmcnt(0) lgkmcnt(0)
	s_barrier
	s_and_saveexec_b64 s[0:1], vcc
	s_cbranch_execz .LBB837_25
; %bb.22:
	v_lshlrev_b32_e32 v19, 2, v14
	v_lshl_add_u32 v19, s15, 2, v19
	s_mov_b64 s[2:3], 0
.LBB837_23:                             ; =>This Inner Loop Header: Depth=1
	v_add_u32_e32 v20, v15, v13
	v_lshrrev_b32_e32 v20, 1, v20
	v_not_b32_e32 v21, v20
	v_lshlrev_b32_e32 v22, 2, v20
	v_lshl_add_u32 v21, v21, 2, v19
	ds_read_b32 v22, v22
	ds_read_b32 v21, v21
	v_add_u32_e32 v23, 1, v20
	s_waitcnt lgkmcnt(1)
	v_and_b32_e32 v22, s17, v22
	s_waitcnt lgkmcnt(0)
	v_and_b32_e32 v21, s17, v21
	v_cmp_gt_i32_e32 vcc, v22, v21
	v_cndmask_b32_e32 v15, v15, v20, vcc
	v_cndmask_b32_e32 v13, v23, v13, vcc
	v_cmp_ge_u32_e32 vcc, v13, v15
	s_or_b64 s[2:3], vcc, s[2:3]
	s_andn2_b64 exec, exec, s[2:3]
	s_cbranch_execnz .LBB837_23
; %bb.24:
	s_or_b64 exec, exec, s[2:3]
.LBB837_25:
	s_or_b64 exec, exec, s[0:1]
	v_sub_u32_e32 v14, v14, v13
	v_add_u32_e32 v20, s15, v14
	v_cmp_ge_u32_e32 vcc, s15, v13
	v_cmp_le_u32_e64 s[0:1], v20, v16
	s_or_b64 s[0:1], vcc, s[0:1]
	v_mov_b32_e32 v21, 0
	v_mov_b32_e32 v19, 0
	;; [unrolled: 1-line block ×4, first 2 shown]
	s_and_saveexec_b64 s[10:11], s[0:1]
	s_cbranch_execz .LBB837_31
; %bb.26:
	v_cmp_gt_u32_e32 vcc, s15, v13
                                        ; implicit-def: $vgpr9
	s_and_saveexec_b64 s[0:1], vcc
; %bb.27:
	v_lshlrev_b32_e32 v9, 2, v13
	ds_read_b32 v9, v9
; %bb.28:
	s_or_b64 exec, exec, s[0:1]
	v_cmp_ge_u32_e64 s[0:1], v20, v16
	v_cmp_lt_u32_e64 s[2:3], v20, v16
                                        ; implicit-def: $vgpr10
	s_and_saveexec_b64 s[4:5], s[2:3]
; %bb.29:
	v_lshlrev_b32_e32 v10, 2, v20
	ds_read_b32 v10, v10
; %bb.30:
	s_or_b64 exec, exec, s[4:5]
	s_waitcnt lgkmcnt(0)
	v_and_b32_e32 v11, s17, v10
	v_and_b32_e32 v12, s17, v9
	v_cmp_le_i32_e64 s[2:3], v12, v11
	s_and_b64 s[2:3], vcc, s[2:3]
	s_or_b64 vcc, s[0:1], s[2:3]
	v_mov_b32_e32 v11, s15
	v_cndmask_b32_e32 v14, v20, v13, vcc
	v_cndmask_b32_e32 v12, v16, v11, vcc
	v_add_u32_e32 v15, 1, v14
	v_add_u32_e32 v12, -1, v12
	v_min_u32_e32 v12, v15, v12
	v_lshlrev_b32_e32 v12, 2, v12
	ds_read_b32 v12, v12
	v_cndmask_b32_e32 v19, v15, v20, vcc
	v_cndmask_b32_e32 v13, v13, v15, vcc
	v_cmp_gt_u32_e64 s[2:3], s15, v13
	v_cmp_ge_u32_e64 s[0:1], v19, v16
	s_waitcnt lgkmcnt(0)
	v_cndmask_b32_e32 v21, v12, v10, vcc
	v_cndmask_b32_e32 v12, v9, v12, vcc
	v_and_b32_e32 v15, s17, v21
	v_and_b32_e32 v20, s17, v12
	v_cmp_le_i32_e64 s[4:5], v20, v15
	s_and_b64 s[2:3], s[2:3], s[4:5]
	s_or_b64 s[0:1], s[0:1], s[2:3]
	v_cndmask_b32_e64 v15, v19, v13, s[0:1]
	v_cndmask_b32_e64 v20, v16, v11, s[0:1]
	v_add_u32_e32 v22, 1, v15
	v_add_u32_e32 v20, -1, v20
	v_min_u32_e32 v20, v22, v20
	v_lshlrev_b32_e32 v20, 2, v20
	ds_read_b32 v20, v20
	v_cndmask_b32_e64 v24, v22, v19, s[0:1]
	v_cndmask_b32_e64 v13, v13, v22, s[0:1]
	v_cmp_gt_u32_e64 s[4:5], s15, v13
	v_cmp_ge_u32_e64 s[2:3], v24, v16
	s_waitcnt lgkmcnt(0)
	v_cndmask_b32_e64 v23, v20, v21, s[0:1]
	v_cndmask_b32_e64 v20, v12, v20, s[0:1]
	v_and_b32_e32 v19, s17, v23
	v_and_b32_e32 v22, s17, v20
	v_cmp_le_i32_e64 s[6:7], v22, v19
	s_and_b64 s[4:5], s[4:5], s[6:7]
	s_or_b64 s[2:3], s[2:3], s[4:5]
	v_cndmask_b32_e64 v19, v24, v13, s[2:3]
	v_cndmask_b32_e64 v11, v16, v11, s[2:3]
	v_add_u32_e32 v22, 1, v19
	v_add_u32_e32 v11, -1, v11
	v_min_u32_e32 v11, v22, v11
	v_lshlrev_b32_e32 v11, 2, v11
	ds_read_b32 v25, v11
	v_cndmask_b32_e32 v9, v10, v9, vcc
	v_cndmask_b32_e64 v10, v21, v12, s[0:1]
	v_cndmask_b32_e64 v11, v23, v20, s[2:3]
	;; [unrolled: 1-line block ×3, first 2 shown]
	s_waitcnt lgkmcnt(0)
	v_cndmask_b32_e64 v12, v25, v23, s[2:3]
	v_cndmask_b32_e64 v20, v20, v25, s[2:3]
	;; [unrolled: 1-line block ×3, first 2 shown]
	v_cmp_ge_u32_e32 vcc, v21, v16
	v_and_b32_e32 v16, s17, v12
	v_and_b32_e32 v22, s17, v20
	v_cmp_gt_u32_e64 s[0:1], s15, v13
	v_cmp_le_i32_e64 s[2:3], v22, v16
	s_and_b64 s[0:1], s[0:1], s[2:3]
	s_or_b64 vcc, vcc, s[0:1]
	v_cndmask_b32_e32 v21, v21, v13, vcc
	v_cndmask_b32_e32 v12, v12, v20, vcc
.LBB837_31:
	s_or_b64 exec, exec, s[10:11]
	v_add_u32_e32 v24, v17, v17
	s_barrier
	ds_write2st64_b64 v24, v[1:2], v[3:4] offset1:4
	ds_write2st64_b64 v24, v[5:6], v[7:8] offset0:8 offset1:12
	v_lshlrev_b32_e32 v1, 3, v14
	v_lshlrev_b32_e32 v2, 3, v15
	;; [unrolled: 1-line block ×4, first 2 shown]
	s_waitcnt lgkmcnt(0)
	s_barrier
	ds_read_b64 v[5:6], v1
	ds_read_b64 v[7:8], v2
	;; [unrolled: 1-line block ×4, first 2 shown]
	s_mov_b32 s17, 0
	s_lshl_b64 s[0:1], s[16:17], 2
	v_lshrrev_b32_e32 v13, 3, v0
	s_add_u32 s0, s8, s0
	v_add_u32_e32 v15, v13, v17
	s_addc_u32 s1, s9, s1
	v_lshlrev_b32_e32 v16, 2, v15
	s_waitcnt lgkmcnt(0)
	s_barrier
	s_barrier
	ds_write2_b32 v16, v9, v10 offset1:1
	ds_write2_b32 v16, v11, v12 offset0:2 offset1:3
	v_or_b32_e32 v23, 0x100, v0
	v_or_b32_e32 v22, 0x200, v0
	v_or_b32_e32 v21, 0x300, v0
	v_mov_b32_e32 v10, s1
	v_add_co_u32_e32 v9, vcc, s0, v17
	v_lshrrev_b32_e32 v13, 5, v0
	v_lshrrev_b32_e32 v11, 5, v23
	;; [unrolled: 1-line block ×4, first 2 shown]
	v_addc_co_u32_e32 v10, vcc, 0, v10, vcc
	v_lshl_add_u32 v14, v13, 2, v17
	v_lshl_add_u32 v25, v11, 2, v17
	;; [unrolled: 1-line block ×4, first 2 shown]
	s_and_b64 vcc, exec, s[18:19]
	v_lshl_add_u32 v17, v11, 3, v24
	v_lshl_add_u32 v19, v12, 3, v24
	;; [unrolled: 1-line block ×3, first 2 shown]
	s_waitcnt lgkmcnt(0)
	s_cbranch_vccz .LBB837_33
; %bb.32:
	s_barrier
	ds_read_b32 v11, v14
	ds_read_b32 v12, v25 offset:1024
	ds_read_b32 v28, v26 offset:2048
	;; [unrolled: 1-line block ×3, first 2 shown]
	s_lshl_b64 s[0:1], s[16:17], 3
	s_add_u32 s0, s12, s0
	s_waitcnt lgkmcnt(3)
	global_store_dword v[9:10], v11, off
	s_waitcnt lgkmcnt(2)
	global_store_dword v[9:10], v12, off offset:1024
	s_waitcnt lgkmcnt(1)
	global_store_dword v[9:10], v28, off offset:2048
	;; [unrolled: 2-line block ×3, first 2 shown]
	v_lshlrev_b32_e32 v11, 3, v15
	s_waitcnt vmcnt(0)
	s_barrier
	ds_write2_b64 v11, v[5:6], v[7:8] offset1:1
	ds_write2_b64 v11, v[1:2], v[3:4] offset0:2 offset1:3
	v_lshl_add_u32 v11, v13, 3, v24
	s_addc_u32 s1, s13, s1
	s_waitcnt lgkmcnt(0)
	s_barrier
	ds_read_b64 v[28:29], v11
	ds_read_b64 v[30:31], v17 offset:2048
	ds_read_b64 v[32:33], v19 offset:4096
	;; [unrolled: 1-line block ×3, first 2 shown]
	v_mov_b32_e32 v24, s1
	v_add_co_u32_e32 v34, vcc, s0, v18
	v_addc_co_u32_e32 v24, vcc, 0, v24, vcc
	s_waitcnt lgkmcnt(3)
	global_store_dwordx2 v18, v[28:29], s[0:1]
	s_waitcnt lgkmcnt(2)
	global_store_dwordx2 v18, v[30:31], s[0:1] offset:2048
	v_add_co_u32_e32 v28, vcc, 0x1000, v34
	v_addc_co_u32_e32 v29, vcc, 0, v24, vcc
	s_waitcnt lgkmcnt(1)
	global_store_dwordx2 v[28:29], v[32:33], off
	s_mov_b64 s[6:7], -1
	s_cbranch_execz .LBB837_34
	s_branch .LBB837_44
.LBB837_33:
	s_mov_b64 s[6:7], 0
                                        ; implicit-def: $vgpr11_vgpr12
.LBB837_34:
	s_waitcnt vmcnt(0) lgkmcnt(0)
	s_barrier
	ds_read_b32 v24, v25 offset:1024
	ds_read_b32 v12, v26 offset:2048
	;; [unrolled: 1-line block ×3, first 2 shown]
	s_sub_i32 s6, s14, s16
	v_cmp_gt_u32_e32 vcc, s6, v0
	s_and_saveexec_b64 s[0:1], vcc
	s_cbranch_execnz .LBB837_51
; %bb.35:
	s_or_b64 exec, exec, s[0:1]
	v_cmp_gt_u32_e64 s[0:1], s6, v23
	s_and_saveexec_b64 s[2:3], s[0:1]
	s_cbranch_execnz .LBB837_52
.LBB837_36:
	s_or_b64 exec, exec, s[2:3]
	v_cmp_gt_u32_e64 s[2:3], s6, v22
	s_and_saveexec_b64 s[4:5], s[2:3]
	s_cbranch_execnz .LBB837_53
.LBB837_37:
	s_or_b64 exec, exec, s[4:5]
	v_cmp_gt_u32_e64 s[6:7], s6, v21
	s_and_saveexec_b64 s[4:5], s[6:7]
	s_cbranch_execz .LBB837_39
.LBB837_38:
	s_waitcnt lgkmcnt(0)
	global_store_dword v[9:10], v11, off offset:3072
.LBB837_39:
	s_or_b64 exec, exec, s[4:5]
	v_lshl_add_u32 v9, v15, 2, v16
	s_waitcnt vmcnt(0) lgkmcnt(0)
	s_barrier
	ds_write2_b64 v9, v[5:6], v[7:8] offset1:1
	ds_write2_b64 v9, v[1:2], v[3:4] offset0:2 offset1:3
	s_waitcnt lgkmcnt(0)
	s_barrier
	ds_read_b64 v[5:6], v17 offset:2048
	ds_read_b64 v[1:2], v19 offset:4096
	;; [unrolled: 1-line block ×3, first 2 shown]
	s_lshl_b64 s[4:5], s[16:17], 3
	s_add_u32 s4, s12, s4
	s_addc_u32 s5, s13, s5
	v_mov_b32_e32 v4, s5
	v_add_co_u32_e64 v3, s[4:5], s4, v18
	v_addc_co_u32_e64 v4, s[4:5], 0, v4, s[4:5]
	s_and_saveexec_b64 s[4:5], vcc
	s_cbranch_execnz .LBB837_54
; %bb.40:
	s_or_b64 exec, exec, s[4:5]
	s_and_saveexec_b64 s[4:5], s[0:1]
	s_cbranch_execnz .LBB837_55
.LBB837_41:
	s_or_b64 exec, exec, s[4:5]
	s_and_saveexec_b64 s[0:1], s[2:3]
	s_cbranch_execz .LBB837_43
.LBB837_42:
	v_add_co_u32_e32 v3, vcc, 0x1000, v3
	v_addc_co_u32_e32 v4, vcc, 0, v4, vcc
	s_waitcnt lgkmcnt(1)
	global_store_dwordx2 v[3:4], v[1:2], off
.LBB837_43:
	s_or_b64 exec, exec, s[0:1]
.LBB837_44:
	s_and_saveexec_b64 s[0:1], s[6:7]
	s_cbranch_execz .LBB837_46
; %bb.45:
	s_lshl_b64 s[0:1], s[16:17], 3
	s_add_u32 s0, s12, s0
	s_addc_u32 s1, s13, s1
	v_mov_b32_e32 v0, s1
	s_waitcnt lgkmcnt(1)
	v_add_co_u32_e32 v1, vcc, s0, v18
	v_addc_co_u32_e32 v2, vcc, 0, v0, vcc
	v_add_co_u32_e32 v0, vcc, 0x1000, v1
	v_addc_co_u32_e32 v1, vcc, 0, v2, vcc
	s_waitcnt lgkmcnt(0)
	global_store_dwordx2 v[0:1], v[11:12], off offset:2048
.LBB837_46:
	s_endpgm
.LBB837_47:
	v_mov_b32_e32 v1, s25
	v_add_co_u32_e32 v3, vcc, s24, v17
	v_addc_co_u32_e32 v4, vcc, 0, v1, vcc
	v_subrev_co_u32_e32 v1, vcc, s15, v0
	v_mov_b32_e32 v2, v9
	v_lshlrev_b64 v[1:2], 2, v[1:2]
	v_mov_b32_e32 v5, s26
	v_add_co_u32_e64 v1, s[0:1], s23, v1
	v_addc_co_u32_e64 v2, s[0:1], v5, v2, s[0:1]
	v_cndmask_b32_e32 v2, v2, v4, vcc
	v_cndmask_b32_e32 v1, v1, v3, vcc
	global_load_dword v1, v[1:2], off
	v_mov_b32_e32 v4, v9
	v_mov_b32_e32 v2, v9
	;; [unrolled: 1-line block ×3, first 2 shown]
	s_waitcnt vmcnt(0)
	v_mov_b32_e32 v12, v4
	v_mov_b32_e32 v11, v3
	;; [unrolled: 1-line block ×4, first 2 shown]
	s_or_b64 exec, exec, s[6:7]
	v_cmp_gt_u32_e32 vcc, s21, v15
	s_and_saveexec_b64 s[6:7], vcc
	s_cbranch_execz .LBB837_6
.LBB837_48:
	v_mov_b32_e32 v16, 0
	v_lshlrev_b64 v[1:2], 2, v[15:16]
	v_mov_b32_e32 v3, s25
	v_add_co_u32_e32 v4, vcc, s24, v1
	v_addc_co_u32_e32 v3, vcc, v3, v2, vcc
	v_subrev_co_u32_e32 v1, vcc, s15, v15
	v_mov_b32_e32 v2, v16
	v_lshlrev_b64 v[1:2], 2, v[1:2]
	v_mov_b32_e32 v5, s26
	v_add_co_u32_e64 v1, s[0:1], s23, v1
	v_addc_co_u32_e64 v2, s[0:1], v5, v2, s[0:1]
	v_cndmask_b32_e32 v2, v2, v3, vcc
	v_cndmask_b32_e32 v1, v1, v4, vcc
	global_load_dword v10, v[1:2], off
	s_or_b64 exec, exec, s[6:7]
	v_cmp_gt_u32_e32 vcc, s21, v13
	s_and_saveexec_b64 s[6:7], vcc
	s_cbranch_execnz .LBB837_7
	s_branch .LBB837_8
.LBB837_49:
	v_mov_b32_e32 v2, s7
	v_add_co_u32_e32 v4, vcc, s6, v18
	v_addc_co_u32_e32 v5, vcc, 0, v2, vcc
	v_subrev_co_u32_e32 v2, vcc, s15, v0
	v_mov_b32_e32 v3, v1
	v_lshlrev_b64 v[2:3], 3, v[2:3]
	v_mov_b32_e32 v6, s5
	v_add_co_u32_e64 v2, s[0:1], s4, v2
	v_addc_co_u32_e64 v3, s[0:1], v6, v3, s[0:1]
	v_cndmask_b32_e32 v3, v3, v5, vcc
	v_cndmask_b32_e32 v2, v2, v4, vcc
	global_load_dwordx2 v[20:21], v[2:3], off
	v_mov_b32_e32 v22, v1
	v_mov_b32_e32 v23, v1
	;; [unrolled: 1-line block ×6, first 2 shown]
	s_waitcnt vmcnt(0)
	v_mov_b32_e32 v1, v20
	v_mov_b32_e32 v2, v21
	;; [unrolled: 1-line block ×8, first 2 shown]
	s_or_b64 exec, exec, s[2:3]
	v_cmp_gt_u32_e32 vcc, s10, v15
	s_and_saveexec_b64 s[2:3], vcc
	s_cbranch_execz .LBB837_16
.LBB837_50:
	v_mov_b32_e32 v16, 0
	v_lshlrev_b64 v[3:4], 3, v[15:16]
	v_mov_b32_e32 v14, s7
	v_add_co_u32_e32 v20, vcc, s6, v3
	v_addc_co_u32_e32 v14, vcc, v14, v4, vcc
	v_subrev_co_u32_e32 v15, vcc, s15, v15
	v_lshlrev_b64 v[3:4], 3, v[15:16]
	v_mov_b32_e32 v15, s5
	v_add_co_u32_e64 v3, s[0:1], s4, v3
	v_addc_co_u32_e64 v4, s[0:1], v15, v4, s[0:1]
	v_cndmask_b32_e32 v4, v4, v14, vcc
	v_cndmask_b32_e32 v3, v3, v20, vcc
	global_load_dwordx2 v[3:4], v[3:4], off
	s_or_b64 exec, exec, s[2:3]
	v_cmp_gt_u32_e32 vcc, s10, v13
	s_and_saveexec_b64 s[2:3], vcc
	s_cbranch_execnz .LBB837_17
	s_branch .LBB837_18
.LBB837_51:
	ds_read_b32 v25, v14
	s_waitcnt lgkmcnt(0)
	global_store_dword v[9:10], v25, off
	s_or_b64 exec, exec, s[0:1]
	v_cmp_gt_u32_e64 s[0:1], s6, v23
	s_and_saveexec_b64 s[2:3], s[0:1]
	s_cbranch_execz .LBB837_36
.LBB837_52:
	s_waitcnt lgkmcnt(2)
	global_store_dword v[9:10], v24, off offset:1024
	s_or_b64 exec, exec, s[2:3]
	v_cmp_gt_u32_e64 s[2:3], s6, v22
	s_and_saveexec_b64 s[4:5], s[2:3]
	s_cbranch_execz .LBB837_37
.LBB837_53:
	s_waitcnt lgkmcnt(1)
	global_store_dword v[9:10], v12, off offset:2048
	s_or_b64 exec, exec, s[4:5]
	v_cmp_gt_u32_e64 s[6:7], s6, v21
	s_and_saveexec_b64 s[4:5], s[6:7]
	s_cbranch_execnz .LBB837_38
	s_branch .LBB837_39
.LBB837_54:
	v_add_u32_e32 v0, v13, v0
	v_lshl_add_u32 v0, v0, 2, v14
	ds_read_b64 v[7:8], v0
	s_waitcnt lgkmcnt(0)
	global_store_dwordx2 v[3:4], v[7:8], off
	s_or_b64 exec, exec, s[4:5]
	s_and_saveexec_b64 s[4:5], s[0:1]
	s_cbranch_execz .LBB837_41
.LBB837_55:
	s_waitcnt lgkmcnt(2)
	global_store_dwordx2 v[3:4], v[5:6], off offset:2048
	s_or_b64 exec, exec, s[4:5]
	s_and_saveexec_b64 s[0:1], s[2:3]
	s_cbranch_execnz .LBB837_42
	s_branch .LBB837_43
	.section	.rodata,"a",@progbits
	.p2align	6, 0x0
	.amdhsa_kernel _ZN7rocprim17ROCPRIM_400000_NS6detail17trampoline_kernelINS0_14default_configENS1_38merge_sort_block_merge_config_selectorIilEEZZNS1_27merge_sort_block_merge_implIS3_PiN6thrust23THRUST_200600_302600_NS10device_ptrIlEEjNS1_19radix_merge_compareILb0ELb1EiNS0_19identity_decomposerEEEEE10hipError_tT0_T1_T2_jT3_P12ihipStream_tbPNSt15iterator_traitsISG_E10value_typeEPNSM_ISH_E10value_typeEPSI_NS1_7vsmem_tEENKUlT_SG_SH_SI_E_clIS7_S7_SB_PlEESF_SV_SG_SH_SI_EUlSV_E0_NS1_11comp_targetILNS1_3genE2ELNS1_11target_archE906ELNS1_3gpuE6ELNS1_3repE0EEENS1_38merge_mergepath_config_static_selectorELNS0_4arch9wavefront6targetE1EEEvSH_
		.amdhsa_group_segment_fixed_size 8448
		.amdhsa_private_segment_fixed_size 0
		.amdhsa_kernarg_size 320
		.amdhsa_user_sgpr_count 6
		.amdhsa_user_sgpr_private_segment_buffer 1
		.amdhsa_user_sgpr_dispatch_ptr 0
		.amdhsa_user_sgpr_queue_ptr 0
		.amdhsa_user_sgpr_kernarg_segment_ptr 1
		.amdhsa_user_sgpr_dispatch_id 0
		.amdhsa_user_sgpr_flat_scratch_init 0
		.amdhsa_user_sgpr_private_segment_size 0
		.amdhsa_uses_dynamic_stack 0
		.amdhsa_system_sgpr_private_segment_wavefront_offset 0
		.amdhsa_system_sgpr_workgroup_id_x 1
		.amdhsa_system_sgpr_workgroup_id_y 1
		.amdhsa_system_sgpr_workgroup_id_z 1
		.amdhsa_system_sgpr_workgroup_info 0
		.amdhsa_system_vgpr_workitem_id 0
		.amdhsa_next_free_vgpr 35
		.amdhsa_next_free_sgpr 77
		.amdhsa_reserve_vcc 1
		.amdhsa_reserve_flat_scratch 0
		.amdhsa_float_round_mode_32 0
		.amdhsa_float_round_mode_16_64 0
		.amdhsa_float_denorm_mode_32 3
		.amdhsa_float_denorm_mode_16_64 3
		.amdhsa_dx10_clamp 1
		.amdhsa_ieee_mode 1
		.amdhsa_fp16_overflow 0
		.amdhsa_exception_fp_ieee_invalid_op 0
		.amdhsa_exception_fp_denorm_src 0
		.amdhsa_exception_fp_ieee_div_zero 0
		.amdhsa_exception_fp_ieee_overflow 0
		.amdhsa_exception_fp_ieee_underflow 0
		.amdhsa_exception_fp_ieee_inexact 0
		.amdhsa_exception_int_div_zero 0
	.end_amdhsa_kernel
	.section	.text._ZN7rocprim17ROCPRIM_400000_NS6detail17trampoline_kernelINS0_14default_configENS1_38merge_sort_block_merge_config_selectorIilEEZZNS1_27merge_sort_block_merge_implIS3_PiN6thrust23THRUST_200600_302600_NS10device_ptrIlEEjNS1_19radix_merge_compareILb0ELb1EiNS0_19identity_decomposerEEEEE10hipError_tT0_T1_T2_jT3_P12ihipStream_tbPNSt15iterator_traitsISG_E10value_typeEPNSM_ISH_E10value_typeEPSI_NS1_7vsmem_tEENKUlT_SG_SH_SI_E_clIS7_S7_SB_PlEESF_SV_SG_SH_SI_EUlSV_E0_NS1_11comp_targetILNS1_3genE2ELNS1_11target_archE906ELNS1_3gpuE6ELNS1_3repE0EEENS1_38merge_mergepath_config_static_selectorELNS0_4arch9wavefront6targetE1EEEvSH_,"axG",@progbits,_ZN7rocprim17ROCPRIM_400000_NS6detail17trampoline_kernelINS0_14default_configENS1_38merge_sort_block_merge_config_selectorIilEEZZNS1_27merge_sort_block_merge_implIS3_PiN6thrust23THRUST_200600_302600_NS10device_ptrIlEEjNS1_19radix_merge_compareILb0ELb1EiNS0_19identity_decomposerEEEEE10hipError_tT0_T1_T2_jT3_P12ihipStream_tbPNSt15iterator_traitsISG_E10value_typeEPNSM_ISH_E10value_typeEPSI_NS1_7vsmem_tEENKUlT_SG_SH_SI_E_clIS7_S7_SB_PlEESF_SV_SG_SH_SI_EUlSV_E0_NS1_11comp_targetILNS1_3genE2ELNS1_11target_archE906ELNS1_3gpuE6ELNS1_3repE0EEENS1_38merge_mergepath_config_static_selectorELNS0_4arch9wavefront6targetE1EEEvSH_,comdat
.Lfunc_end837:
	.size	_ZN7rocprim17ROCPRIM_400000_NS6detail17trampoline_kernelINS0_14default_configENS1_38merge_sort_block_merge_config_selectorIilEEZZNS1_27merge_sort_block_merge_implIS3_PiN6thrust23THRUST_200600_302600_NS10device_ptrIlEEjNS1_19radix_merge_compareILb0ELb1EiNS0_19identity_decomposerEEEEE10hipError_tT0_T1_T2_jT3_P12ihipStream_tbPNSt15iterator_traitsISG_E10value_typeEPNSM_ISH_E10value_typeEPSI_NS1_7vsmem_tEENKUlT_SG_SH_SI_E_clIS7_S7_SB_PlEESF_SV_SG_SH_SI_EUlSV_E0_NS1_11comp_targetILNS1_3genE2ELNS1_11target_archE906ELNS1_3gpuE6ELNS1_3repE0EEENS1_38merge_mergepath_config_static_selectorELNS0_4arch9wavefront6targetE1EEEvSH_, .Lfunc_end837-_ZN7rocprim17ROCPRIM_400000_NS6detail17trampoline_kernelINS0_14default_configENS1_38merge_sort_block_merge_config_selectorIilEEZZNS1_27merge_sort_block_merge_implIS3_PiN6thrust23THRUST_200600_302600_NS10device_ptrIlEEjNS1_19radix_merge_compareILb0ELb1EiNS0_19identity_decomposerEEEEE10hipError_tT0_T1_T2_jT3_P12ihipStream_tbPNSt15iterator_traitsISG_E10value_typeEPNSM_ISH_E10value_typeEPSI_NS1_7vsmem_tEENKUlT_SG_SH_SI_E_clIS7_S7_SB_PlEESF_SV_SG_SH_SI_EUlSV_E0_NS1_11comp_targetILNS1_3genE2ELNS1_11target_archE906ELNS1_3gpuE6ELNS1_3repE0EEENS1_38merge_mergepath_config_static_selectorELNS0_4arch9wavefront6targetE1EEEvSH_
                                        ; -- End function
	.set _ZN7rocprim17ROCPRIM_400000_NS6detail17trampoline_kernelINS0_14default_configENS1_38merge_sort_block_merge_config_selectorIilEEZZNS1_27merge_sort_block_merge_implIS3_PiN6thrust23THRUST_200600_302600_NS10device_ptrIlEEjNS1_19radix_merge_compareILb0ELb1EiNS0_19identity_decomposerEEEEE10hipError_tT0_T1_T2_jT3_P12ihipStream_tbPNSt15iterator_traitsISG_E10value_typeEPNSM_ISH_E10value_typeEPSI_NS1_7vsmem_tEENKUlT_SG_SH_SI_E_clIS7_S7_SB_PlEESF_SV_SG_SH_SI_EUlSV_E0_NS1_11comp_targetILNS1_3genE2ELNS1_11target_archE906ELNS1_3gpuE6ELNS1_3repE0EEENS1_38merge_mergepath_config_static_selectorELNS0_4arch9wavefront6targetE1EEEvSH_.num_vgpr, 35
	.set _ZN7rocprim17ROCPRIM_400000_NS6detail17trampoline_kernelINS0_14default_configENS1_38merge_sort_block_merge_config_selectorIilEEZZNS1_27merge_sort_block_merge_implIS3_PiN6thrust23THRUST_200600_302600_NS10device_ptrIlEEjNS1_19radix_merge_compareILb0ELb1EiNS0_19identity_decomposerEEEEE10hipError_tT0_T1_T2_jT3_P12ihipStream_tbPNSt15iterator_traitsISG_E10value_typeEPNSM_ISH_E10value_typeEPSI_NS1_7vsmem_tEENKUlT_SG_SH_SI_E_clIS7_S7_SB_PlEESF_SV_SG_SH_SI_EUlSV_E0_NS1_11comp_targetILNS1_3genE2ELNS1_11target_archE906ELNS1_3gpuE6ELNS1_3repE0EEENS1_38merge_mergepath_config_static_selectorELNS0_4arch9wavefront6targetE1EEEvSH_.num_agpr, 0
	.set _ZN7rocprim17ROCPRIM_400000_NS6detail17trampoline_kernelINS0_14default_configENS1_38merge_sort_block_merge_config_selectorIilEEZZNS1_27merge_sort_block_merge_implIS3_PiN6thrust23THRUST_200600_302600_NS10device_ptrIlEEjNS1_19radix_merge_compareILb0ELb1EiNS0_19identity_decomposerEEEEE10hipError_tT0_T1_T2_jT3_P12ihipStream_tbPNSt15iterator_traitsISG_E10value_typeEPNSM_ISH_E10value_typeEPSI_NS1_7vsmem_tEENKUlT_SG_SH_SI_E_clIS7_S7_SB_PlEESF_SV_SG_SH_SI_EUlSV_E0_NS1_11comp_targetILNS1_3genE2ELNS1_11target_archE906ELNS1_3gpuE6ELNS1_3repE0EEENS1_38merge_mergepath_config_static_selectorELNS0_4arch9wavefront6targetE1EEEvSH_.numbered_sgpr, 34
	.set _ZN7rocprim17ROCPRIM_400000_NS6detail17trampoline_kernelINS0_14default_configENS1_38merge_sort_block_merge_config_selectorIilEEZZNS1_27merge_sort_block_merge_implIS3_PiN6thrust23THRUST_200600_302600_NS10device_ptrIlEEjNS1_19radix_merge_compareILb0ELb1EiNS0_19identity_decomposerEEEEE10hipError_tT0_T1_T2_jT3_P12ihipStream_tbPNSt15iterator_traitsISG_E10value_typeEPNSM_ISH_E10value_typeEPSI_NS1_7vsmem_tEENKUlT_SG_SH_SI_E_clIS7_S7_SB_PlEESF_SV_SG_SH_SI_EUlSV_E0_NS1_11comp_targetILNS1_3genE2ELNS1_11target_archE906ELNS1_3gpuE6ELNS1_3repE0EEENS1_38merge_mergepath_config_static_selectorELNS0_4arch9wavefront6targetE1EEEvSH_.num_named_barrier, 0
	.set _ZN7rocprim17ROCPRIM_400000_NS6detail17trampoline_kernelINS0_14default_configENS1_38merge_sort_block_merge_config_selectorIilEEZZNS1_27merge_sort_block_merge_implIS3_PiN6thrust23THRUST_200600_302600_NS10device_ptrIlEEjNS1_19radix_merge_compareILb0ELb1EiNS0_19identity_decomposerEEEEE10hipError_tT0_T1_T2_jT3_P12ihipStream_tbPNSt15iterator_traitsISG_E10value_typeEPNSM_ISH_E10value_typeEPSI_NS1_7vsmem_tEENKUlT_SG_SH_SI_E_clIS7_S7_SB_PlEESF_SV_SG_SH_SI_EUlSV_E0_NS1_11comp_targetILNS1_3genE2ELNS1_11target_archE906ELNS1_3gpuE6ELNS1_3repE0EEENS1_38merge_mergepath_config_static_selectorELNS0_4arch9wavefront6targetE1EEEvSH_.private_seg_size, 0
	.set _ZN7rocprim17ROCPRIM_400000_NS6detail17trampoline_kernelINS0_14default_configENS1_38merge_sort_block_merge_config_selectorIilEEZZNS1_27merge_sort_block_merge_implIS3_PiN6thrust23THRUST_200600_302600_NS10device_ptrIlEEjNS1_19radix_merge_compareILb0ELb1EiNS0_19identity_decomposerEEEEE10hipError_tT0_T1_T2_jT3_P12ihipStream_tbPNSt15iterator_traitsISG_E10value_typeEPNSM_ISH_E10value_typeEPSI_NS1_7vsmem_tEENKUlT_SG_SH_SI_E_clIS7_S7_SB_PlEESF_SV_SG_SH_SI_EUlSV_E0_NS1_11comp_targetILNS1_3genE2ELNS1_11target_archE906ELNS1_3gpuE6ELNS1_3repE0EEENS1_38merge_mergepath_config_static_selectorELNS0_4arch9wavefront6targetE1EEEvSH_.uses_vcc, 1
	.set _ZN7rocprim17ROCPRIM_400000_NS6detail17trampoline_kernelINS0_14default_configENS1_38merge_sort_block_merge_config_selectorIilEEZZNS1_27merge_sort_block_merge_implIS3_PiN6thrust23THRUST_200600_302600_NS10device_ptrIlEEjNS1_19radix_merge_compareILb0ELb1EiNS0_19identity_decomposerEEEEE10hipError_tT0_T1_T2_jT3_P12ihipStream_tbPNSt15iterator_traitsISG_E10value_typeEPNSM_ISH_E10value_typeEPSI_NS1_7vsmem_tEENKUlT_SG_SH_SI_E_clIS7_S7_SB_PlEESF_SV_SG_SH_SI_EUlSV_E0_NS1_11comp_targetILNS1_3genE2ELNS1_11target_archE906ELNS1_3gpuE6ELNS1_3repE0EEENS1_38merge_mergepath_config_static_selectorELNS0_4arch9wavefront6targetE1EEEvSH_.uses_flat_scratch, 0
	.set _ZN7rocprim17ROCPRIM_400000_NS6detail17trampoline_kernelINS0_14default_configENS1_38merge_sort_block_merge_config_selectorIilEEZZNS1_27merge_sort_block_merge_implIS3_PiN6thrust23THRUST_200600_302600_NS10device_ptrIlEEjNS1_19radix_merge_compareILb0ELb1EiNS0_19identity_decomposerEEEEE10hipError_tT0_T1_T2_jT3_P12ihipStream_tbPNSt15iterator_traitsISG_E10value_typeEPNSM_ISH_E10value_typeEPSI_NS1_7vsmem_tEENKUlT_SG_SH_SI_E_clIS7_S7_SB_PlEESF_SV_SG_SH_SI_EUlSV_E0_NS1_11comp_targetILNS1_3genE2ELNS1_11target_archE906ELNS1_3gpuE6ELNS1_3repE0EEENS1_38merge_mergepath_config_static_selectorELNS0_4arch9wavefront6targetE1EEEvSH_.has_dyn_sized_stack, 0
	.set _ZN7rocprim17ROCPRIM_400000_NS6detail17trampoline_kernelINS0_14default_configENS1_38merge_sort_block_merge_config_selectorIilEEZZNS1_27merge_sort_block_merge_implIS3_PiN6thrust23THRUST_200600_302600_NS10device_ptrIlEEjNS1_19radix_merge_compareILb0ELb1EiNS0_19identity_decomposerEEEEE10hipError_tT0_T1_T2_jT3_P12ihipStream_tbPNSt15iterator_traitsISG_E10value_typeEPNSM_ISH_E10value_typeEPSI_NS1_7vsmem_tEENKUlT_SG_SH_SI_E_clIS7_S7_SB_PlEESF_SV_SG_SH_SI_EUlSV_E0_NS1_11comp_targetILNS1_3genE2ELNS1_11target_archE906ELNS1_3gpuE6ELNS1_3repE0EEENS1_38merge_mergepath_config_static_selectorELNS0_4arch9wavefront6targetE1EEEvSH_.has_recursion, 0
	.set _ZN7rocprim17ROCPRIM_400000_NS6detail17trampoline_kernelINS0_14default_configENS1_38merge_sort_block_merge_config_selectorIilEEZZNS1_27merge_sort_block_merge_implIS3_PiN6thrust23THRUST_200600_302600_NS10device_ptrIlEEjNS1_19radix_merge_compareILb0ELb1EiNS0_19identity_decomposerEEEEE10hipError_tT0_T1_T2_jT3_P12ihipStream_tbPNSt15iterator_traitsISG_E10value_typeEPNSM_ISH_E10value_typeEPSI_NS1_7vsmem_tEENKUlT_SG_SH_SI_E_clIS7_S7_SB_PlEESF_SV_SG_SH_SI_EUlSV_E0_NS1_11comp_targetILNS1_3genE2ELNS1_11target_archE906ELNS1_3gpuE6ELNS1_3repE0EEENS1_38merge_mergepath_config_static_selectorELNS0_4arch9wavefront6targetE1EEEvSH_.has_indirect_call, 0
	.section	.AMDGPU.csdata,"",@progbits
; Kernel info:
; codeLenInByte = 3504
; TotalNumSgprs: 38
; NumVgprs: 35
; ScratchSize: 0
; MemoryBound: 0
; FloatMode: 240
; IeeeMode: 1
; LDSByteSize: 8448 bytes/workgroup (compile time only)
; SGPRBlocks: 10
; VGPRBlocks: 8
; NumSGPRsForWavesPerEU: 81
; NumVGPRsForWavesPerEU: 35
; Occupancy: 7
; WaveLimiterHint : 1
; COMPUTE_PGM_RSRC2:SCRATCH_EN: 0
; COMPUTE_PGM_RSRC2:USER_SGPR: 6
; COMPUTE_PGM_RSRC2:TRAP_HANDLER: 0
; COMPUTE_PGM_RSRC2:TGID_X_EN: 1
; COMPUTE_PGM_RSRC2:TGID_Y_EN: 1
; COMPUTE_PGM_RSRC2:TGID_Z_EN: 1
; COMPUTE_PGM_RSRC2:TIDIG_COMP_CNT: 0
	.section	.text._ZN7rocprim17ROCPRIM_400000_NS6detail17trampoline_kernelINS0_14default_configENS1_38merge_sort_block_merge_config_selectorIilEEZZNS1_27merge_sort_block_merge_implIS3_PiN6thrust23THRUST_200600_302600_NS10device_ptrIlEEjNS1_19radix_merge_compareILb0ELb1EiNS0_19identity_decomposerEEEEE10hipError_tT0_T1_T2_jT3_P12ihipStream_tbPNSt15iterator_traitsISG_E10value_typeEPNSM_ISH_E10value_typeEPSI_NS1_7vsmem_tEENKUlT_SG_SH_SI_E_clIS7_S7_SB_PlEESF_SV_SG_SH_SI_EUlSV_E0_NS1_11comp_targetILNS1_3genE9ELNS1_11target_archE1100ELNS1_3gpuE3ELNS1_3repE0EEENS1_38merge_mergepath_config_static_selectorELNS0_4arch9wavefront6targetE1EEEvSH_,"axG",@progbits,_ZN7rocprim17ROCPRIM_400000_NS6detail17trampoline_kernelINS0_14default_configENS1_38merge_sort_block_merge_config_selectorIilEEZZNS1_27merge_sort_block_merge_implIS3_PiN6thrust23THRUST_200600_302600_NS10device_ptrIlEEjNS1_19radix_merge_compareILb0ELb1EiNS0_19identity_decomposerEEEEE10hipError_tT0_T1_T2_jT3_P12ihipStream_tbPNSt15iterator_traitsISG_E10value_typeEPNSM_ISH_E10value_typeEPSI_NS1_7vsmem_tEENKUlT_SG_SH_SI_E_clIS7_S7_SB_PlEESF_SV_SG_SH_SI_EUlSV_E0_NS1_11comp_targetILNS1_3genE9ELNS1_11target_archE1100ELNS1_3gpuE3ELNS1_3repE0EEENS1_38merge_mergepath_config_static_selectorELNS0_4arch9wavefront6targetE1EEEvSH_,comdat
	.protected	_ZN7rocprim17ROCPRIM_400000_NS6detail17trampoline_kernelINS0_14default_configENS1_38merge_sort_block_merge_config_selectorIilEEZZNS1_27merge_sort_block_merge_implIS3_PiN6thrust23THRUST_200600_302600_NS10device_ptrIlEEjNS1_19radix_merge_compareILb0ELb1EiNS0_19identity_decomposerEEEEE10hipError_tT0_T1_T2_jT3_P12ihipStream_tbPNSt15iterator_traitsISG_E10value_typeEPNSM_ISH_E10value_typeEPSI_NS1_7vsmem_tEENKUlT_SG_SH_SI_E_clIS7_S7_SB_PlEESF_SV_SG_SH_SI_EUlSV_E0_NS1_11comp_targetILNS1_3genE9ELNS1_11target_archE1100ELNS1_3gpuE3ELNS1_3repE0EEENS1_38merge_mergepath_config_static_selectorELNS0_4arch9wavefront6targetE1EEEvSH_ ; -- Begin function _ZN7rocprim17ROCPRIM_400000_NS6detail17trampoline_kernelINS0_14default_configENS1_38merge_sort_block_merge_config_selectorIilEEZZNS1_27merge_sort_block_merge_implIS3_PiN6thrust23THRUST_200600_302600_NS10device_ptrIlEEjNS1_19radix_merge_compareILb0ELb1EiNS0_19identity_decomposerEEEEE10hipError_tT0_T1_T2_jT3_P12ihipStream_tbPNSt15iterator_traitsISG_E10value_typeEPNSM_ISH_E10value_typeEPSI_NS1_7vsmem_tEENKUlT_SG_SH_SI_E_clIS7_S7_SB_PlEESF_SV_SG_SH_SI_EUlSV_E0_NS1_11comp_targetILNS1_3genE9ELNS1_11target_archE1100ELNS1_3gpuE3ELNS1_3repE0EEENS1_38merge_mergepath_config_static_selectorELNS0_4arch9wavefront6targetE1EEEvSH_
	.globl	_ZN7rocprim17ROCPRIM_400000_NS6detail17trampoline_kernelINS0_14default_configENS1_38merge_sort_block_merge_config_selectorIilEEZZNS1_27merge_sort_block_merge_implIS3_PiN6thrust23THRUST_200600_302600_NS10device_ptrIlEEjNS1_19radix_merge_compareILb0ELb1EiNS0_19identity_decomposerEEEEE10hipError_tT0_T1_T2_jT3_P12ihipStream_tbPNSt15iterator_traitsISG_E10value_typeEPNSM_ISH_E10value_typeEPSI_NS1_7vsmem_tEENKUlT_SG_SH_SI_E_clIS7_S7_SB_PlEESF_SV_SG_SH_SI_EUlSV_E0_NS1_11comp_targetILNS1_3genE9ELNS1_11target_archE1100ELNS1_3gpuE3ELNS1_3repE0EEENS1_38merge_mergepath_config_static_selectorELNS0_4arch9wavefront6targetE1EEEvSH_
	.p2align	8
	.type	_ZN7rocprim17ROCPRIM_400000_NS6detail17trampoline_kernelINS0_14default_configENS1_38merge_sort_block_merge_config_selectorIilEEZZNS1_27merge_sort_block_merge_implIS3_PiN6thrust23THRUST_200600_302600_NS10device_ptrIlEEjNS1_19radix_merge_compareILb0ELb1EiNS0_19identity_decomposerEEEEE10hipError_tT0_T1_T2_jT3_P12ihipStream_tbPNSt15iterator_traitsISG_E10value_typeEPNSM_ISH_E10value_typeEPSI_NS1_7vsmem_tEENKUlT_SG_SH_SI_E_clIS7_S7_SB_PlEESF_SV_SG_SH_SI_EUlSV_E0_NS1_11comp_targetILNS1_3genE9ELNS1_11target_archE1100ELNS1_3gpuE3ELNS1_3repE0EEENS1_38merge_mergepath_config_static_selectorELNS0_4arch9wavefront6targetE1EEEvSH_,@function
_ZN7rocprim17ROCPRIM_400000_NS6detail17trampoline_kernelINS0_14default_configENS1_38merge_sort_block_merge_config_selectorIilEEZZNS1_27merge_sort_block_merge_implIS3_PiN6thrust23THRUST_200600_302600_NS10device_ptrIlEEjNS1_19radix_merge_compareILb0ELb1EiNS0_19identity_decomposerEEEEE10hipError_tT0_T1_T2_jT3_P12ihipStream_tbPNSt15iterator_traitsISG_E10value_typeEPNSM_ISH_E10value_typeEPSI_NS1_7vsmem_tEENKUlT_SG_SH_SI_E_clIS7_S7_SB_PlEESF_SV_SG_SH_SI_EUlSV_E0_NS1_11comp_targetILNS1_3genE9ELNS1_11target_archE1100ELNS1_3gpuE3ELNS1_3repE0EEENS1_38merge_mergepath_config_static_selectorELNS0_4arch9wavefront6targetE1EEEvSH_: ; @_ZN7rocprim17ROCPRIM_400000_NS6detail17trampoline_kernelINS0_14default_configENS1_38merge_sort_block_merge_config_selectorIilEEZZNS1_27merge_sort_block_merge_implIS3_PiN6thrust23THRUST_200600_302600_NS10device_ptrIlEEjNS1_19radix_merge_compareILb0ELb1EiNS0_19identity_decomposerEEEEE10hipError_tT0_T1_T2_jT3_P12ihipStream_tbPNSt15iterator_traitsISG_E10value_typeEPNSM_ISH_E10value_typeEPSI_NS1_7vsmem_tEENKUlT_SG_SH_SI_E_clIS7_S7_SB_PlEESF_SV_SG_SH_SI_EUlSV_E0_NS1_11comp_targetILNS1_3genE9ELNS1_11target_archE1100ELNS1_3gpuE3ELNS1_3repE0EEENS1_38merge_mergepath_config_static_selectorELNS0_4arch9wavefront6targetE1EEEvSH_
; %bb.0:
	.section	.rodata,"a",@progbits
	.p2align	6, 0x0
	.amdhsa_kernel _ZN7rocprim17ROCPRIM_400000_NS6detail17trampoline_kernelINS0_14default_configENS1_38merge_sort_block_merge_config_selectorIilEEZZNS1_27merge_sort_block_merge_implIS3_PiN6thrust23THRUST_200600_302600_NS10device_ptrIlEEjNS1_19radix_merge_compareILb0ELb1EiNS0_19identity_decomposerEEEEE10hipError_tT0_T1_T2_jT3_P12ihipStream_tbPNSt15iterator_traitsISG_E10value_typeEPNSM_ISH_E10value_typeEPSI_NS1_7vsmem_tEENKUlT_SG_SH_SI_E_clIS7_S7_SB_PlEESF_SV_SG_SH_SI_EUlSV_E0_NS1_11comp_targetILNS1_3genE9ELNS1_11target_archE1100ELNS1_3gpuE3ELNS1_3repE0EEENS1_38merge_mergepath_config_static_selectorELNS0_4arch9wavefront6targetE1EEEvSH_
		.amdhsa_group_segment_fixed_size 0
		.amdhsa_private_segment_fixed_size 0
		.amdhsa_kernarg_size 64
		.amdhsa_user_sgpr_count 6
		.amdhsa_user_sgpr_private_segment_buffer 1
		.amdhsa_user_sgpr_dispatch_ptr 0
		.amdhsa_user_sgpr_queue_ptr 0
		.amdhsa_user_sgpr_kernarg_segment_ptr 1
		.amdhsa_user_sgpr_dispatch_id 0
		.amdhsa_user_sgpr_flat_scratch_init 0
		.amdhsa_user_sgpr_private_segment_size 0
		.amdhsa_uses_dynamic_stack 0
		.amdhsa_system_sgpr_private_segment_wavefront_offset 0
		.amdhsa_system_sgpr_workgroup_id_x 1
		.amdhsa_system_sgpr_workgroup_id_y 0
		.amdhsa_system_sgpr_workgroup_id_z 0
		.amdhsa_system_sgpr_workgroup_info 0
		.amdhsa_system_vgpr_workitem_id 0
		.amdhsa_next_free_vgpr 1
		.amdhsa_next_free_sgpr 0
		.amdhsa_reserve_vcc 0
		.amdhsa_reserve_flat_scratch 0
		.amdhsa_float_round_mode_32 0
		.amdhsa_float_round_mode_16_64 0
		.amdhsa_float_denorm_mode_32 3
		.amdhsa_float_denorm_mode_16_64 3
		.amdhsa_dx10_clamp 1
		.amdhsa_ieee_mode 1
		.amdhsa_fp16_overflow 0
		.amdhsa_exception_fp_ieee_invalid_op 0
		.amdhsa_exception_fp_denorm_src 0
		.amdhsa_exception_fp_ieee_div_zero 0
		.amdhsa_exception_fp_ieee_overflow 0
		.amdhsa_exception_fp_ieee_underflow 0
		.amdhsa_exception_fp_ieee_inexact 0
		.amdhsa_exception_int_div_zero 0
	.end_amdhsa_kernel
	.section	.text._ZN7rocprim17ROCPRIM_400000_NS6detail17trampoline_kernelINS0_14default_configENS1_38merge_sort_block_merge_config_selectorIilEEZZNS1_27merge_sort_block_merge_implIS3_PiN6thrust23THRUST_200600_302600_NS10device_ptrIlEEjNS1_19radix_merge_compareILb0ELb1EiNS0_19identity_decomposerEEEEE10hipError_tT0_T1_T2_jT3_P12ihipStream_tbPNSt15iterator_traitsISG_E10value_typeEPNSM_ISH_E10value_typeEPSI_NS1_7vsmem_tEENKUlT_SG_SH_SI_E_clIS7_S7_SB_PlEESF_SV_SG_SH_SI_EUlSV_E0_NS1_11comp_targetILNS1_3genE9ELNS1_11target_archE1100ELNS1_3gpuE3ELNS1_3repE0EEENS1_38merge_mergepath_config_static_selectorELNS0_4arch9wavefront6targetE1EEEvSH_,"axG",@progbits,_ZN7rocprim17ROCPRIM_400000_NS6detail17trampoline_kernelINS0_14default_configENS1_38merge_sort_block_merge_config_selectorIilEEZZNS1_27merge_sort_block_merge_implIS3_PiN6thrust23THRUST_200600_302600_NS10device_ptrIlEEjNS1_19radix_merge_compareILb0ELb1EiNS0_19identity_decomposerEEEEE10hipError_tT0_T1_T2_jT3_P12ihipStream_tbPNSt15iterator_traitsISG_E10value_typeEPNSM_ISH_E10value_typeEPSI_NS1_7vsmem_tEENKUlT_SG_SH_SI_E_clIS7_S7_SB_PlEESF_SV_SG_SH_SI_EUlSV_E0_NS1_11comp_targetILNS1_3genE9ELNS1_11target_archE1100ELNS1_3gpuE3ELNS1_3repE0EEENS1_38merge_mergepath_config_static_selectorELNS0_4arch9wavefront6targetE1EEEvSH_,comdat
.Lfunc_end838:
	.size	_ZN7rocprim17ROCPRIM_400000_NS6detail17trampoline_kernelINS0_14default_configENS1_38merge_sort_block_merge_config_selectorIilEEZZNS1_27merge_sort_block_merge_implIS3_PiN6thrust23THRUST_200600_302600_NS10device_ptrIlEEjNS1_19radix_merge_compareILb0ELb1EiNS0_19identity_decomposerEEEEE10hipError_tT0_T1_T2_jT3_P12ihipStream_tbPNSt15iterator_traitsISG_E10value_typeEPNSM_ISH_E10value_typeEPSI_NS1_7vsmem_tEENKUlT_SG_SH_SI_E_clIS7_S7_SB_PlEESF_SV_SG_SH_SI_EUlSV_E0_NS1_11comp_targetILNS1_3genE9ELNS1_11target_archE1100ELNS1_3gpuE3ELNS1_3repE0EEENS1_38merge_mergepath_config_static_selectorELNS0_4arch9wavefront6targetE1EEEvSH_, .Lfunc_end838-_ZN7rocprim17ROCPRIM_400000_NS6detail17trampoline_kernelINS0_14default_configENS1_38merge_sort_block_merge_config_selectorIilEEZZNS1_27merge_sort_block_merge_implIS3_PiN6thrust23THRUST_200600_302600_NS10device_ptrIlEEjNS1_19radix_merge_compareILb0ELb1EiNS0_19identity_decomposerEEEEE10hipError_tT0_T1_T2_jT3_P12ihipStream_tbPNSt15iterator_traitsISG_E10value_typeEPNSM_ISH_E10value_typeEPSI_NS1_7vsmem_tEENKUlT_SG_SH_SI_E_clIS7_S7_SB_PlEESF_SV_SG_SH_SI_EUlSV_E0_NS1_11comp_targetILNS1_3genE9ELNS1_11target_archE1100ELNS1_3gpuE3ELNS1_3repE0EEENS1_38merge_mergepath_config_static_selectorELNS0_4arch9wavefront6targetE1EEEvSH_
                                        ; -- End function
	.set _ZN7rocprim17ROCPRIM_400000_NS6detail17trampoline_kernelINS0_14default_configENS1_38merge_sort_block_merge_config_selectorIilEEZZNS1_27merge_sort_block_merge_implIS3_PiN6thrust23THRUST_200600_302600_NS10device_ptrIlEEjNS1_19radix_merge_compareILb0ELb1EiNS0_19identity_decomposerEEEEE10hipError_tT0_T1_T2_jT3_P12ihipStream_tbPNSt15iterator_traitsISG_E10value_typeEPNSM_ISH_E10value_typeEPSI_NS1_7vsmem_tEENKUlT_SG_SH_SI_E_clIS7_S7_SB_PlEESF_SV_SG_SH_SI_EUlSV_E0_NS1_11comp_targetILNS1_3genE9ELNS1_11target_archE1100ELNS1_3gpuE3ELNS1_3repE0EEENS1_38merge_mergepath_config_static_selectorELNS0_4arch9wavefront6targetE1EEEvSH_.num_vgpr, 0
	.set _ZN7rocprim17ROCPRIM_400000_NS6detail17trampoline_kernelINS0_14default_configENS1_38merge_sort_block_merge_config_selectorIilEEZZNS1_27merge_sort_block_merge_implIS3_PiN6thrust23THRUST_200600_302600_NS10device_ptrIlEEjNS1_19radix_merge_compareILb0ELb1EiNS0_19identity_decomposerEEEEE10hipError_tT0_T1_T2_jT3_P12ihipStream_tbPNSt15iterator_traitsISG_E10value_typeEPNSM_ISH_E10value_typeEPSI_NS1_7vsmem_tEENKUlT_SG_SH_SI_E_clIS7_S7_SB_PlEESF_SV_SG_SH_SI_EUlSV_E0_NS1_11comp_targetILNS1_3genE9ELNS1_11target_archE1100ELNS1_3gpuE3ELNS1_3repE0EEENS1_38merge_mergepath_config_static_selectorELNS0_4arch9wavefront6targetE1EEEvSH_.num_agpr, 0
	.set _ZN7rocprim17ROCPRIM_400000_NS6detail17trampoline_kernelINS0_14default_configENS1_38merge_sort_block_merge_config_selectorIilEEZZNS1_27merge_sort_block_merge_implIS3_PiN6thrust23THRUST_200600_302600_NS10device_ptrIlEEjNS1_19radix_merge_compareILb0ELb1EiNS0_19identity_decomposerEEEEE10hipError_tT0_T1_T2_jT3_P12ihipStream_tbPNSt15iterator_traitsISG_E10value_typeEPNSM_ISH_E10value_typeEPSI_NS1_7vsmem_tEENKUlT_SG_SH_SI_E_clIS7_S7_SB_PlEESF_SV_SG_SH_SI_EUlSV_E0_NS1_11comp_targetILNS1_3genE9ELNS1_11target_archE1100ELNS1_3gpuE3ELNS1_3repE0EEENS1_38merge_mergepath_config_static_selectorELNS0_4arch9wavefront6targetE1EEEvSH_.numbered_sgpr, 0
	.set _ZN7rocprim17ROCPRIM_400000_NS6detail17trampoline_kernelINS0_14default_configENS1_38merge_sort_block_merge_config_selectorIilEEZZNS1_27merge_sort_block_merge_implIS3_PiN6thrust23THRUST_200600_302600_NS10device_ptrIlEEjNS1_19radix_merge_compareILb0ELb1EiNS0_19identity_decomposerEEEEE10hipError_tT0_T1_T2_jT3_P12ihipStream_tbPNSt15iterator_traitsISG_E10value_typeEPNSM_ISH_E10value_typeEPSI_NS1_7vsmem_tEENKUlT_SG_SH_SI_E_clIS7_S7_SB_PlEESF_SV_SG_SH_SI_EUlSV_E0_NS1_11comp_targetILNS1_3genE9ELNS1_11target_archE1100ELNS1_3gpuE3ELNS1_3repE0EEENS1_38merge_mergepath_config_static_selectorELNS0_4arch9wavefront6targetE1EEEvSH_.num_named_barrier, 0
	.set _ZN7rocprim17ROCPRIM_400000_NS6detail17trampoline_kernelINS0_14default_configENS1_38merge_sort_block_merge_config_selectorIilEEZZNS1_27merge_sort_block_merge_implIS3_PiN6thrust23THRUST_200600_302600_NS10device_ptrIlEEjNS1_19radix_merge_compareILb0ELb1EiNS0_19identity_decomposerEEEEE10hipError_tT0_T1_T2_jT3_P12ihipStream_tbPNSt15iterator_traitsISG_E10value_typeEPNSM_ISH_E10value_typeEPSI_NS1_7vsmem_tEENKUlT_SG_SH_SI_E_clIS7_S7_SB_PlEESF_SV_SG_SH_SI_EUlSV_E0_NS1_11comp_targetILNS1_3genE9ELNS1_11target_archE1100ELNS1_3gpuE3ELNS1_3repE0EEENS1_38merge_mergepath_config_static_selectorELNS0_4arch9wavefront6targetE1EEEvSH_.private_seg_size, 0
	.set _ZN7rocprim17ROCPRIM_400000_NS6detail17trampoline_kernelINS0_14default_configENS1_38merge_sort_block_merge_config_selectorIilEEZZNS1_27merge_sort_block_merge_implIS3_PiN6thrust23THRUST_200600_302600_NS10device_ptrIlEEjNS1_19radix_merge_compareILb0ELb1EiNS0_19identity_decomposerEEEEE10hipError_tT0_T1_T2_jT3_P12ihipStream_tbPNSt15iterator_traitsISG_E10value_typeEPNSM_ISH_E10value_typeEPSI_NS1_7vsmem_tEENKUlT_SG_SH_SI_E_clIS7_S7_SB_PlEESF_SV_SG_SH_SI_EUlSV_E0_NS1_11comp_targetILNS1_3genE9ELNS1_11target_archE1100ELNS1_3gpuE3ELNS1_3repE0EEENS1_38merge_mergepath_config_static_selectorELNS0_4arch9wavefront6targetE1EEEvSH_.uses_vcc, 0
	.set _ZN7rocprim17ROCPRIM_400000_NS6detail17trampoline_kernelINS0_14default_configENS1_38merge_sort_block_merge_config_selectorIilEEZZNS1_27merge_sort_block_merge_implIS3_PiN6thrust23THRUST_200600_302600_NS10device_ptrIlEEjNS1_19radix_merge_compareILb0ELb1EiNS0_19identity_decomposerEEEEE10hipError_tT0_T1_T2_jT3_P12ihipStream_tbPNSt15iterator_traitsISG_E10value_typeEPNSM_ISH_E10value_typeEPSI_NS1_7vsmem_tEENKUlT_SG_SH_SI_E_clIS7_S7_SB_PlEESF_SV_SG_SH_SI_EUlSV_E0_NS1_11comp_targetILNS1_3genE9ELNS1_11target_archE1100ELNS1_3gpuE3ELNS1_3repE0EEENS1_38merge_mergepath_config_static_selectorELNS0_4arch9wavefront6targetE1EEEvSH_.uses_flat_scratch, 0
	.set _ZN7rocprim17ROCPRIM_400000_NS6detail17trampoline_kernelINS0_14default_configENS1_38merge_sort_block_merge_config_selectorIilEEZZNS1_27merge_sort_block_merge_implIS3_PiN6thrust23THRUST_200600_302600_NS10device_ptrIlEEjNS1_19radix_merge_compareILb0ELb1EiNS0_19identity_decomposerEEEEE10hipError_tT0_T1_T2_jT3_P12ihipStream_tbPNSt15iterator_traitsISG_E10value_typeEPNSM_ISH_E10value_typeEPSI_NS1_7vsmem_tEENKUlT_SG_SH_SI_E_clIS7_S7_SB_PlEESF_SV_SG_SH_SI_EUlSV_E0_NS1_11comp_targetILNS1_3genE9ELNS1_11target_archE1100ELNS1_3gpuE3ELNS1_3repE0EEENS1_38merge_mergepath_config_static_selectorELNS0_4arch9wavefront6targetE1EEEvSH_.has_dyn_sized_stack, 0
	.set _ZN7rocprim17ROCPRIM_400000_NS6detail17trampoline_kernelINS0_14default_configENS1_38merge_sort_block_merge_config_selectorIilEEZZNS1_27merge_sort_block_merge_implIS3_PiN6thrust23THRUST_200600_302600_NS10device_ptrIlEEjNS1_19radix_merge_compareILb0ELb1EiNS0_19identity_decomposerEEEEE10hipError_tT0_T1_T2_jT3_P12ihipStream_tbPNSt15iterator_traitsISG_E10value_typeEPNSM_ISH_E10value_typeEPSI_NS1_7vsmem_tEENKUlT_SG_SH_SI_E_clIS7_S7_SB_PlEESF_SV_SG_SH_SI_EUlSV_E0_NS1_11comp_targetILNS1_3genE9ELNS1_11target_archE1100ELNS1_3gpuE3ELNS1_3repE0EEENS1_38merge_mergepath_config_static_selectorELNS0_4arch9wavefront6targetE1EEEvSH_.has_recursion, 0
	.set _ZN7rocprim17ROCPRIM_400000_NS6detail17trampoline_kernelINS0_14default_configENS1_38merge_sort_block_merge_config_selectorIilEEZZNS1_27merge_sort_block_merge_implIS3_PiN6thrust23THRUST_200600_302600_NS10device_ptrIlEEjNS1_19radix_merge_compareILb0ELb1EiNS0_19identity_decomposerEEEEE10hipError_tT0_T1_T2_jT3_P12ihipStream_tbPNSt15iterator_traitsISG_E10value_typeEPNSM_ISH_E10value_typeEPSI_NS1_7vsmem_tEENKUlT_SG_SH_SI_E_clIS7_S7_SB_PlEESF_SV_SG_SH_SI_EUlSV_E0_NS1_11comp_targetILNS1_3genE9ELNS1_11target_archE1100ELNS1_3gpuE3ELNS1_3repE0EEENS1_38merge_mergepath_config_static_selectorELNS0_4arch9wavefront6targetE1EEEvSH_.has_indirect_call, 0
	.section	.AMDGPU.csdata,"",@progbits
; Kernel info:
; codeLenInByte = 0
; TotalNumSgprs: 4
; NumVgprs: 0
; ScratchSize: 0
; MemoryBound: 0
; FloatMode: 240
; IeeeMode: 1
; LDSByteSize: 0 bytes/workgroup (compile time only)
; SGPRBlocks: 0
; VGPRBlocks: 0
; NumSGPRsForWavesPerEU: 4
; NumVGPRsForWavesPerEU: 1
; Occupancy: 10
; WaveLimiterHint : 0
; COMPUTE_PGM_RSRC2:SCRATCH_EN: 0
; COMPUTE_PGM_RSRC2:USER_SGPR: 6
; COMPUTE_PGM_RSRC2:TRAP_HANDLER: 0
; COMPUTE_PGM_RSRC2:TGID_X_EN: 1
; COMPUTE_PGM_RSRC2:TGID_Y_EN: 0
; COMPUTE_PGM_RSRC2:TGID_Z_EN: 0
; COMPUTE_PGM_RSRC2:TIDIG_COMP_CNT: 0
	.section	.text._ZN7rocprim17ROCPRIM_400000_NS6detail17trampoline_kernelINS0_14default_configENS1_38merge_sort_block_merge_config_selectorIilEEZZNS1_27merge_sort_block_merge_implIS3_PiN6thrust23THRUST_200600_302600_NS10device_ptrIlEEjNS1_19radix_merge_compareILb0ELb1EiNS0_19identity_decomposerEEEEE10hipError_tT0_T1_T2_jT3_P12ihipStream_tbPNSt15iterator_traitsISG_E10value_typeEPNSM_ISH_E10value_typeEPSI_NS1_7vsmem_tEENKUlT_SG_SH_SI_E_clIS7_S7_SB_PlEESF_SV_SG_SH_SI_EUlSV_E0_NS1_11comp_targetILNS1_3genE8ELNS1_11target_archE1030ELNS1_3gpuE2ELNS1_3repE0EEENS1_38merge_mergepath_config_static_selectorELNS0_4arch9wavefront6targetE1EEEvSH_,"axG",@progbits,_ZN7rocprim17ROCPRIM_400000_NS6detail17trampoline_kernelINS0_14default_configENS1_38merge_sort_block_merge_config_selectorIilEEZZNS1_27merge_sort_block_merge_implIS3_PiN6thrust23THRUST_200600_302600_NS10device_ptrIlEEjNS1_19radix_merge_compareILb0ELb1EiNS0_19identity_decomposerEEEEE10hipError_tT0_T1_T2_jT3_P12ihipStream_tbPNSt15iterator_traitsISG_E10value_typeEPNSM_ISH_E10value_typeEPSI_NS1_7vsmem_tEENKUlT_SG_SH_SI_E_clIS7_S7_SB_PlEESF_SV_SG_SH_SI_EUlSV_E0_NS1_11comp_targetILNS1_3genE8ELNS1_11target_archE1030ELNS1_3gpuE2ELNS1_3repE0EEENS1_38merge_mergepath_config_static_selectorELNS0_4arch9wavefront6targetE1EEEvSH_,comdat
	.protected	_ZN7rocprim17ROCPRIM_400000_NS6detail17trampoline_kernelINS0_14default_configENS1_38merge_sort_block_merge_config_selectorIilEEZZNS1_27merge_sort_block_merge_implIS3_PiN6thrust23THRUST_200600_302600_NS10device_ptrIlEEjNS1_19radix_merge_compareILb0ELb1EiNS0_19identity_decomposerEEEEE10hipError_tT0_T1_T2_jT3_P12ihipStream_tbPNSt15iterator_traitsISG_E10value_typeEPNSM_ISH_E10value_typeEPSI_NS1_7vsmem_tEENKUlT_SG_SH_SI_E_clIS7_S7_SB_PlEESF_SV_SG_SH_SI_EUlSV_E0_NS1_11comp_targetILNS1_3genE8ELNS1_11target_archE1030ELNS1_3gpuE2ELNS1_3repE0EEENS1_38merge_mergepath_config_static_selectorELNS0_4arch9wavefront6targetE1EEEvSH_ ; -- Begin function _ZN7rocprim17ROCPRIM_400000_NS6detail17trampoline_kernelINS0_14default_configENS1_38merge_sort_block_merge_config_selectorIilEEZZNS1_27merge_sort_block_merge_implIS3_PiN6thrust23THRUST_200600_302600_NS10device_ptrIlEEjNS1_19radix_merge_compareILb0ELb1EiNS0_19identity_decomposerEEEEE10hipError_tT0_T1_T2_jT3_P12ihipStream_tbPNSt15iterator_traitsISG_E10value_typeEPNSM_ISH_E10value_typeEPSI_NS1_7vsmem_tEENKUlT_SG_SH_SI_E_clIS7_S7_SB_PlEESF_SV_SG_SH_SI_EUlSV_E0_NS1_11comp_targetILNS1_3genE8ELNS1_11target_archE1030ELNS1_3gpuE2ELNS1_3repE0EEENS1_38merge_mergepath_config_static_selectorELNS0_4arch9wavefront6targetE1EEEvSH_
	.globl	_ZN7rocprim17ROCPRIM_400000_NS6detail17trampoline_kernelINS0_14default_configENS1_38merge_sort_block_merge_config_selectorIilEEZZNS1_27merge_sort_block_merge_implIS3_PiN6thrust23THRUST_200600_302600_NS10device_ptrIlEEjNS1_19radix_merge_compareILb0ELb1EiNS0_19identity_decomposerEEEEE10hipError_tT0_T1_T2_jT3_P12ihipStream_tbPNSt15iterator_traitsISG_E10value_typeEPNSM_ISH_E10value_typeEPSI_NS1_7vsmem_tEENKUlT_SG_SH_SI_E_clIS7_S7_SB_PlEESF_SV_SG_SH_SI_EUlSV_E0_NS1_11comp_targetILNS1_3genE8ELNS1_11target_archE1030ELNS1_3gpuE2ELNS1_3repE0EEENS1_38merge_mergepath_config_static_selectorELNS0_4arch9wavefront6targetE1EEEvSH_
	.p2align	8
	.type	_ZN7rocprim17ROCPRIM_400000_NS6detail17trampoline_kernelINS0_14default_configENS1_38merge_sort_block_merge_config_selectorIilEEZZNS1_27merge_sort_block_merge_implIS3_PiN6thrust23THRUST_200600_302600_NS10device_ptrIlEEjNS1_19radix_merge_compareILb0ELb1EiNS0_19identity_decomposerEEEEE10hipError_tT0_T1_T2_jT3_P12ihipStream_tbPNSt15iterator_traitsISG_E10value_typeEPNSM_ISH_E10value_typeEPSI_NS1_7vsmem_tEENKUlT_SG_SH_SI_E_clIS7_S7_SB_PlEESF_SV_SG_SH_SI_EUlSV_E0_NS1_11comp_targetILNS1_3genE8ELNS1_11target_archE1030ELNS1_3gpuE2ELNS1_3repE0EEENS1_38merge_mergepath_config_static_selectorELNS0_4arch9wavefront6targetE1EEEvSH_,@function
_ZN7rocprim17ROCPRIM_400000_NS6detail17trampoline_kernelINS0_14default_configENS1_38merge_sort_block_merge_config_selectorIilEEZZNS1_27merge_sort_block_merge_implIS3_PiN6thrust23THRUST_200600_302600_NS10device_ptrIlEEjNS1_19radix_merge_compareILb0ELb1EiNS0_19identity_decomposerEEEEE10hipError_tT0_T1_T2_jT3_P12ihipStream_tbPNSt15iterator_traitsISG_E10value_typeEPNSM_ISH_E10value_typeEPSI_NS1_7vsmem_tEENKUlT_SG_SH_SI_E_clIS7_S7_SB_PlEESF_SV_SG_SH_SI_EUlSV_E0_NS1_11comp_targetILNS1_3genE8ELNS1_11target_archE1030ELNS1_3gpuE2ELNS1_3repE0EEENS1_38merge_mergepath_config_static_selectorELNS0_4arch9wavefront6targetE1EEEvSH_: ; @_ZN7rocprim17ROCPRIM_400000_NS6detail17trampoline_kernelINS0_14default_configENS1_38merge_sort_block_merge_config_selectorIilEEZZNS1_27merge_sort_block_merge_implIS3_PiN6thrust23THRUST_200600_302600_NS10device_ptrIlEEjNS1_19radix_merge_compareILb0ELb1EiNS0_19identity_decomposerEEEEE10hipError_tT0_T1_T2_jT3_P12ihipStream_tbPNSt15iterator_traitsISG_E10value_typeEPNSM_ISH_E10value_typeEPSI_NS1_7vsmem_tEENKUlT_SG_SH_SI_E_clIS7_S7_SB_PlEESF_SV_SG_SH_SI_EUlSV_E0_NS1_11comp_targetILNS1_3genE8ELNS1_11target_archE1030ELNS1_3gpuE2ELNS1_3repE0EEENS1_38merge_mergepath_config_static_selectorELNS0_4arch9wavefront6targetE1EEEvSH_
; %bb.0:
	.section	.rodata,"a",@progbits
	.p2align	6, 0x0
	.amdhsa_kernel _ZN7rocprim17ROCPRIM_400000_NS6detail17trampoline_kernelINS0_14default_configENS1_38merge_sort_block_merge_config_selectorIilEEZZNS1_27merge_sort_block_merge_implIS3_PiN6thrust23THRUST_200600_302600_NS10device_ptrIlEEjNS1_19radix_merge_compareILb0ELb1EiNS0_19identity_decomposerEEEEE10hipError_tT0_T1_T2_jT3_P12ihipStream_tbPNSt15iterator_traitsISG_E10value_typeEPNSM_ISH_E10value_typeEPSI_NS1_7vsmem_tEENKUlT_SG_SH_SI_E_clIS7_S7_SB_PlEESF_SV_SG_SH_SI_EUlSV_E0_NS1_11comp_targetILNS1_3genE8ELNS1_11target_archE1030ELNS1_3gpuE2ELNS1_3repE0EEENS1_38merge_mergepath_config_static_selectorELNS0_4arch9wavefront6targetE1EEEvSH_
		.amdhsa_group_segment_fixed_size 0
		.amdhsa_private_segment_fixed_size 0
		.amdhsa_kernarg_size 64
		.amdhsa_user_sgpr_count 6
		.amdhsa_user_sgpr_private_segment_buffer 1
		.amdhsa_user_sgpr_dispatch_ptr 0
		.amdhsa_user_sgpr_queue_ptr 0
		.amdhsa_user_sgpr_kernarg_segment_ptr 1
		.amdhsa_user_sgpr_dispatch_id 0
		.amdhsa_user_sgpr_flat_scratch_init 0
		.amdhsa_user_sgpr_private_segment_size 0
		.amdhsa_uses_dynamic_stack 0
		.amdhsa_system_sgpr_private_segment_wavefront_offset 0
		.amdhsa_system_sgpr_workgroup_id_x 1
		.amdhsa_system_sgpr_workgroup_id_y 0
		.amdhsa_system_sgpr_workgroup_id_z 0
		.amdhsa_system_sgpr_workgroup_info 0
		.amdhsa_system_vgpr_workitem_id 0
		.amdhsa_next_free_vgpr 1
		.amdhsa_next_free_sgpr 0
		.amdhsa_reserve_vcc 0
		.amdhsa_reserve_flat_scratch 0
		.amdhsa_float_round_mode_32 0
		.amdhsa_float_round_mode_16_64 0
		.amdhsa_float_denorm_mode_32 3
		.amdhsa_float_denorm_mode_16_64 3
		.amdhsa_dx10_clamp 1
		.amdhsa_ieee_mode 1
		.amdhsa_fp16_overflow 0
		.amdhsa_exception_fp_ieee_invalid_op 0
		.amdhsa_exception_fp_denorm_src 0
		.amdhsa_exception_fp_ieee_div_zero 0
		.amdhsa_exception_fp_ieee_overflow 0
		.amdhsa_exception_fp_ieee_underflow 0
		.amdhsa_exception_fp_ieee_inexact 0
		.amdhsa_exception_int_div_zero 0
	.end_amdhsa_kernel
	.section	.text._ZN7rocprim17ROCPRIM_400000_NS6detail17trampoline_kernelINS0_14default_configENS1_38merge_sort_block_merge_config_selectorIilEEZZNS1_27merge_sort_block_merge_implIS3_PiN6thrust23THRUST_200600_302600_NS10device_ptrIlEEjNS1_19radix_merge_compareILb0ELb1EiNS0_19identity_decomposerEEEEE10hipError_tT0_T1_T2_jT3_P12ihipStream_tbPNSt15iterator_traitsISG_E10value_typeEPNSM_ISH_E10value_typeEPSI_NS1_7vsmem_tEENKUlT_SG_SH_SI_E_clIS7_S7_SB_PlEESF_SV_SG_SH_SI_EUlSV_E0_NS1_11comp_targetILNS1_3genE8ELNS1_11target_archE1030ELNS1_3gpuE2ELNS1_3repE0EEENS1_38merge_mergepath_config_static_selectorELNS0_4arch9wavefront6targetE1EEEvSH_,"axG",@progbits,_ZN7rocprim17ROCPRIM_400000_NS6detail17trampoline_kernelINS0_14default_configENS1_38merge_sort_block_merge_config_selectorIilEEZZNS1_27merge_sort_block_merge_implIS3_PiN6thrust23THRUST_200600_302600_NS10device_ptrIlEEjNS1_19radix_merge_compareILb0ELb1EiNS0_19identity_decomposerEEEEE10hipError_tT0_T1_T2_jT3_P12ihipStream_tbPNSt15iterator_traitsISG_E10value_typeEPNSM_ISH_E10value_typeEPSI_NS1_7vsmem_tEENKUlT_SG_SH_SI_E_clIS7_S7_SB_PlEESF_SV_SG_SH_SI_EUlSV_E0_NS1_11comp_targetILNS1_3genE8ELNS1_11target_archE1030ELNS1_3gpuE2ELNS1_3repE0EEENS1_38merge_mergepath_config_static_selectorELNS0_4arch9wavefront6targetE1EEEvSH_,comdat
.Lfunc_end839:
	.size	_ZN7rocprim17ROCPRIM_400000_NS6detail17trampoline_kernelINS0_14default_configENS1_38merge_sort_block_merge_config_selectorIilEEZZNS1_27merge_sort_block_merge_implIS3_PiN6thrust23THRUST_200600_302600_NS10device_ptrIlEEjNS1_19radix_merge_compareILb0ELb1EiNS0_19identity_decomposerEEEEE10hipError_tT0_T1_T2_jT3_P12ihipStream_tbPNSt15iterator_traitsISG_E10value_typeEPNSM_ISH_E10value_typeEPSI_NS1_7vsmem_tEENKUlT_SG_SH_SI_E_clIS7_S7_SB_PlEESF_SV_SG_SH_SI_EUlSV_E0_NS1_11comp_targetILNS1_3genE8ELNS1_11target_archE1030ELNS1_3gpuE2ELNS1_3repE0EEENS1_38merge_mergepath_config_static_selectorELNS0_4arch9wavefront6targetE1EEEvSH_, .Lfunc_end839-_ZN7rocprim17ROCPRIM_400000_NS6detail17trampoline_kernelINS0_14default_configENS1_38merge_sort_block_merge_config_selectorIilEEZZNS1_27merge_sort_block_merge_implIS3_PiN6thrust23THRUST_200600_302600_NS10device_ptrIlEEjNS1_19radix_merge_compareILb0ELb1EiNS0_19identity_decomposerEEEEE10hipError_tT0_T1_T2_jT3_P12ihipStream_tbPNSt15iterator_traitsISG_E10value_typeEPNSM_ISH_E10value_typeEPSI_NS1_7vsmem_tEENKUlT_SG_SH_SI_E_clIS7_S7_SB_PlEESF_SV_SG_SH_SI_EUlSV_E0_NS1_11comp_targetILNS1_3genE8ELNS1_11target_archE1030ELNS1_3gpuE2ELNS1_3repE0EEENS1_38merge_mergepath_config_static_selectorELNS0_4arch9wavefront6targetE1EEEvSH_
                                        ; -- End function
	.set _ZN7rocprim17ROCPRIM_400000_NS6detail17trampoline_kernelINS0_14default_configENS1_38merge_sort_block_merge_config_selectorIilEEZZNS1_27merge_sort_block_merge_implIS3_PiN6thrust23THRUST_200600_302600_NS10device_ptrIlEEjNS1_19radix_merge_compareILb0ELb1EiNS0_19identity_decomposerEEEEE10hipError_tT0_T1_T2_jT3_P12ihipStream_tbPNSt15iterator_traitsISG_E10value_typeEPNSM_ISH_E10value_typeEPSI_NS1_7vsmem_tEENKUlT_SG_SH_SI_E_clIS7_S7_SB_PlEESF_SV_SG_SH_SI_EUlSV_E0_NS1_11comp_targetILNS1_3genE8ELNS1_11target_archE1030ELNS1_3gpuE2ELNS1_3repE0EEENS1_38merge_mergepath_config_static_selectorELNS0_4arch9wavefront6targetE1EEEvSH_.num_vgpr, 0
	.set _ZN7rocprim17ROCPRIM_400000_NS6detail17trampoline_kernelINS0_14default_configENS1_38merge_sort_block_merge_config_selectorIilEEZZNS1_27merge_sort_block_merge_implIS3_PiN6thrust23THRUST_200600_302600_NS10device_ptrIlEEjNS1_19radix_merge_compareILb0ELb1EiNS0_19identity_decomposerEEEEE10hipError_tT0_T1_T2_jT3_P12ihipStream_tbPNSt15iterator_traitsISG_E10value_typeEPNSM_ISH_E10value_typeEPSI_NS1_7vsmem_tEENKUlT_SG_SH_SI_E_clIS7_S7_SB_PlEESF_SV_SG_SH_SI_EUlSV_E0_NS1_11comp_targetILNS1_3genE8ELNS1_11target_archE1030ELNS1_3gpuE2ELNS1_3repE0EEENS1_38merge_mergepath_config_static_selectorELNS0_4arch9wavefront6targetE1EEEvSH_.num_agpr, 0
	.set _ZN7rocprim17ROCPRIM_400000_NS6detail17trampoline_kernelINS0_14default_configENS1_38merge_sort_block_merge_config_selectorIilEEZZNS1_27merge_sort_block_merge_implIS3_PiN6thrust23THRUST_200600_302600_NS10device_ptrIlEEjNS1_19radix_merge_compareILb0ELb1EiNS0_19identity_decomposerEEEEE10hipError_tT0_T1_T2_jT3_P12ihipStream_tbPNSt15iterator_traitsISG_E10value_typeEPNSM_ISH_E10value_typeEPSI_NS1_7vsmem_tEENKUlT_SG_SH_SI_E_clIS7_S7_SB_PlEESF_SV_SG_SH_SI_EUlSV_E0_NS1_11comp_targetILNS1_3genE8ELNS1_11target_archE1030ELNS1_3gpuE2ELNS1_3repE0EEENS1_38merge_mergepath_config_static_selectorELNS0_4arch9wavefront6targetE1EEEvSH_.numbered_sgpr, 0
	.set _ZN7rocprim17ROCPRIM_400000_NS6detail17trampoline_kernelINS0_14default_configENS1_38merge_sort_block_merge_config_selectorIilEEZZNS1_27merge_sort_block_merge_implIS3_PiN6thrust23THRUST_200600_302600_NS10device_ptrIlEEjNS1_19radix_merge_compareILb0ELb1EiNS0_19identity_decomposerEEEEE10hipError_tT0_T1_T2_jT3_P12ihipStream_tbPNSt15iterator_traitsISG_E10value_typeEPNSM_ISH_E10value_typeEPSI_NS1_7vsmem_tEENKUlT_SG_SH_SI_E_clIS7_S7_SB_PlEESF_SV_SG_SH_SI_EUlSV_E0_NS1_11comp_targetILNS1_3genE8ELNS1_11target_archE1030ELNS1_3gpuE2ELNS1_3repE0EEENS1_38merge_mergepath_config_static_selectorELNS0_4arch9wavefront6targetE1EEEvSH_.num_named_barrier, 0
	.set _ZN7rocprim17ROCPRIM_400000_NS6detail17trampoline_kernelINS0_14default_configENS1_38merge_sort_block_merge_config_selectorIilEEZZNS1_27merge_sort_block_merge_implIS3_PiN6thrust23THRUST_200600_302600_NS10device_ptrIlEEjNS1_19radix_merge_compareILb0ELb1EiNS0_19identity_decomposerEEEEE10hipError_tT0_T1_T2_jT3_P12ihipStream_tbPNSt15iterator_traitsISG_E10value_typeEPNSM_ISH_E10value_typeEPSI_NS1_7vsmem_tEENKUlT_SG_SH_SI_E_clIS7_S7_SB_PlEESF_SV_SG_SH_SI_EUlSV_E0_NS1_11comp_targetILNS1_3genE8ELNS1_11target_archE1030ELNS1_3gpuE2ELNS1_3repE0EEENS1_38merge_mergepath_config_static_selectorELNS0_4arch9wavefront6targetE1EEEvSH_.private_seg_size, 0
	.set _ZN7rocprim17ROCPRIM_400000_NS6detail17trampoline_kernelINS0_14default_configENS1_38merge_sort_block_merge_config_selectorIilEEZZNS1_27merge_sort_block_merge_implIS3_PiN6thrust23THRUST_200600_302600_NS10device_ptrIlEEjNS1_19radix_merge_compareILb0ELb1EiNS0_19identity_decomposerEEEEE10hipError_tT0_T1_T2_jT3_P12ihipStream_tbPNSt15iterator_traitsISG_E10value_typeEPNSM_ISH_E10value_typeEPSI_NS1_7vsmem_tEENKUlT_SG_SH_SI_E_clIS7_S7_SB_PlEESF_SV_SG_SH_SI_EUlSV_E0_NS1_11comp_targetILNS1_3genE8ELNS1_11target_archE1030ELNS1_3gpuE2ELNS1_3repE0EEENS1_38merge_mergepath_config_static_selectorELNS0_4arch9wavefront6targetE1EEEvSH_.uses_vcc, 0
	.set _ZN7rocprim17ROCPRIM_400000_NS6detail17trampoline_kernelINS0_14default_configENS1_38merge_sort_block_merge_config_selectorIilEEZZNS1_27merge_sort_block_merge_implIS3_PiN6thrust23THRUST_200600_302600_NS10device_ptrIlEEjNS1_19radix_merge_compareILb0ELb1EiNS0_19identity_decomposerEEEEE10hipError_tT0_T1_T2_jT3_P12ihipStream_tbPNSt15iterator_traitsISG_E10value_typeEPNSM_ISH_E10value_typeEPSI_NS1_7vsmem_tEENKUlT_SG_SH_SI_E_clIS7_S7_SB_PlEESF_SV_SG_SH_SI_EUlSV_E0_NS1_11comp_targetILNS1_3genE8ELNS1_11target_archE1030ELNS1_3gpuE2ELNS1_3repE0EEENS1_38merge_mergepath_config_static_selectorELNS0_4arch9wavefront6targetE1EEEvSH_.uses_flat_scratch, 0
	.set _ZN7rocprim17ROCPRIM_400000_NS6detail17trampoline_kernelINS0_14default_configENS1_38merge_sort_block_merge_config_selectorIilEEZZNS1_27merge_sort_block_merge_implIS3_PiN6thrust23THRUST_200600_302600_NS10device_ptrIlEEjNS1_19radix_merge_compareILb0ELb1EiNS0_19identity_decomposerEEEEE10hipError_tT0_T1_T2_jT3_P12ihipStream_tbPNSt15iterator_traitsISG_E10value_typeEPNSM_ISH_E10value_typeEPSI_NS1_7vsmem_tEENKUlT_SG_SH_SI_E_clIS7_S7_SB_PlEESF_SV_SG_SH_SI_EUlSV_E0_NS1_11comp_targetILNS1_3genE8ELNS1_11target_archE1030ELNS1_3gpuE2ELNS1_3repE0EEENS1_38merge_mergepath_config_static_selectorELNS0_4arch9wavefront6targetE1EEEvSH_.has_dyn_sized_stack, 0
	.set _ZN7rocprim17ROCPRIM_400000_NS6detail17trampoline_kernelINS0_14default_configENS1_38merge_sort_block_merge_config_selectorIilEEZZNS1_27merge_sort_block_merge_implIS3_PiN6thrust23THRUST_200600_302600_NS10device_ptrIlEEjNS1_19radix_merge_compareILb0ELb1EiNS0_19identity_decomposerEEEEE10hipError_tT0_T1_T2_jT3_P12ihipStream_tbPNSt15iterator_traitsISG_E10value_typeEPNSM_ISH_E10value_typeEPSI_NS1_7vsmem_tEENKUlT_SG_SH_SI_E_clIS7_S7_SB_PlEESF_SV_SG_SH_SI_EUlSV_E0_NS1_11comp_targetILNS1_3genE8ELNS1_11target_archE1030ELNS1_3gpuE2ELNS1_3repE0EEENS1_38merge_mergepath_config_static_selectorELNS0_4arch9wavefront6targetE1EEEvSH_.has_recursion, 0
	.set _ZN7rocprim17ROCPRIM_400000_NS6detail17trampoline_kernelINS0_14default_configENS1_38merge_sort_block_merge_config_selectorIilEEZZNS1_27merge_sort_block_merge_implIS3_PiN6thrust23THRUST_200600_302600_NS10device_ptrIlEEjNS1_19radix_merge_compareILb0ELb1EiNS0_19identity_decomposerEEEEE10hipError_tT0_T1_T2_jT3_P12ihipStream_tbPNSt15iterator_traitsISG_E10value_typeEPNSM_ISH_E10value_typeEPSI_NS1_7vsmem_tEENKUlT_SG_SH_SI_E_clIS7_S7_SB_PlEESF_SV_SG_SH_SI_EUlSV_E0_NS1_11comp_targetILNS1_3genE8ELNS1_11target_archE1030ELNS1_3gpuE2ELNS1_3repE0EEENS1_38merge_mergepath_config_static_selectorELNS0_4arch9wavefront6targetE1EEEvSH_.has_indirect_call, 0
	.section	.AMDGPU.csdata,"",@progbits
; Kernel info:
; codeLenInByte = 0
; TotalNumSgprs: 4
; NumVgprs: 0
; ScratchSize: 0
; MemoryBound: 0
; FloatMode: 240
; IeeeMode: 1
; LDSByteSize: 0 bytes/workgroup (compile time only)
; SGPRBlocks: 0
; VGPRBlocks: 0
; NumSGPRsForWavesPerEU: 4
; NumVGPRsForWavesPerEU: 1
; Occupancy: 10
; WaveLimiterHint : 0
; COMPUTE_PGM_RSRC2:SCRATCH_EN: 0
; COMPUTE_PGM_RSRC2:USER_SGPR: 6
; COMPUTE_PGM_RSRC2:TRAP_HANDLER: 0
; COMPUTE_PGM_RSRC2:TGID_X_EN: 1
; COMPUTE_PGM_RSRC2:TGID_Y_EN: 0
; COMPUTE_PGM_RSRC2:TGID_Z_EN: 0
; COMPUTE_PGM_RSRC2:TIDIG_COMP_CNT: 0
	.section	.text._ZN7rocprim17ROCPRIM_400000_NS6detail17trampoline_kernelINS0_14default_configENS1_38merge_sort_block_merge_config_selectorIilEEZZNS1_27merge_sort_block_merge_implIS3_PiN6thrust23THRUST_200600_302600_NS10device_ptrIlEEjNS1_19radix_merge_compareILb0ELb1EiNS0_19identity_decomposerEEEEE10hipError_tT0_T1_T2_jT3_P12ihipStream_tbPNSt15iterator_traitsISG_E10value_typeEPNSM_ISH_E10value_typeEPSI_NS1_7vsmem_tEENKUlT_SG_SH_SI_E_clIS7_S7_SB_PlEESF_SV_SG_SH_SI_EUlSV_E1_NS1_11comp_targetILNS1_3genE0ELNS1_11target_archE4294967295ELNS1_3gpuE0ELNS1_3repE0EEENS1_36merge_oddeven_config_static_selectorELNS0_4arch9wavefront6targetE1EEEvSH_,"axG",@progbits,_ZN7rocprim17ROCPRIM_400000_NS6detail17trampoline_kernelINS0_14default_configENS1_38merge_sort_block_merge_config_selectorIilEEZZNS1_27merge_sort_block_merge_implIS3_PiN6thrust23THRUST_200600_302600_NS10device_ptrIlEEjNS1_19radix_merge_compareILb0ELb1EiNS0_19identity_decomposerEEEEE10hipError_tT0_T1_T2_jT3_P12ihipStream_tbPNSt15iterator_traitsISG_E10value_typeEPNSM_ISH_E10value_typeEPSI_NS1_7vsmem_tEENKUlT_SG_SH_SI_E_clIS7_S7_SB_PlEESF_SV_SG_SH_SI_EUlSV_E1_NS1_11comp_targetILNS1_3genE0ELNS1_11target_archE4294967295ELNS1_3gpuE0ELNS1_3repE0EEENS1_36merge_oddeven_config_static_selectorELNS0_4arch9wavefront6targetE1EEEvSH_,comdat
	.protected	_ZN7rocprim17ROCPRIM_400000_NS6detail17trampoline_kernelINS0_14default_configENS1_38merge_sort_block_merge_config_selectorIilEEZZNS1_27merge_sort_block_merge_implIS3_PiN6thrust23THRUST_200600_302600_NS10device_ptrIlEEjNS1_19radix_merge_compareILb0ELb1EiNS0_19identity_decomposerEEEEE10hipError_tT0_T1_T2_jT3_P12ihipStream_tbPNSt15iterator_traitsISG_E10value_typeEPNSM_ISH_E10value_typeEPSI_NS1_7vsmem_tEENKUlT_SG_SH_SI_E_clIS7_S7_SB_PlEESF_SV_SG_SH_SI_EUlSV_E1_NS1_11comp_targetILNS1_3genE0ELNS1_11target_archE4294967295ELNS1_3gpuE0ELNS1_3repE0EEENS1_36merge_oddeven_config_static_selectorELNS0_4arch9wavefront6targetE1EEEvSH_ ; -- Begin function _ZN7rocprim17ROCPRIM_400000_NS6detail17trampoline_kernelINS0_14default_configENS1_38merge_sort_block_merge_config_selectorIilEEZZNS1_27merge_sort_block_merge_implIS3_PiN6thrust23THRUST_200600_302600_NS10device_ptrIlEEjNS1_19radix_merge_compareILb0ELb1EiNS0_19identity_decomposerEEEEE10hipError_tT0_T1_T2_jT3_P12ihipStream_tbPNSt15iterator_traitsISG_E10value_typeEPNSM_ISH_E10value_typeEPSI_NS1_7vsmem_tEENKUlT_SG_SH_SI_E_clIS7_S7_SB_PlEESF_SV_SG_SH_SI_EUlSV_E1_NS1_11comp_targetILNS1_3genE0ELNS1_11target_archE4294967295ELNS1_3gpuE0ELNS1_3repE0EEENS1_36merge_oddeven_config_static_selectorELNS0_4arch9wavefront6targetE1EEEvSH_
	.globl	_ZN7rocprim17ROCPRIM_400000_NS6detail17trampoline_kernelINS0_14default_configENS1_38merge_sort_block_merge_config_selectorIilEEZZNS1_27merge_sort_block_merge_implIS3_PiN6thrust23THRUST_200600_302600_NS10device_ptrIlEEjNS1_19radix_merge_compareILb0ELb1EiNS0_19identity_decomposerEEEEE10hipError_tT0_T1_T2_jT3_P12ihipStream_tbPNSt15iterator_traitsISG_E10value_typeEPNSM_ISH_E10value_typeEPSI_NS1_7vsmem_tEENKUlT_SG_SH_SI_E_clIS7_S7_SB_PlEESF_SV_SG_SH_SI_EUlSV_E1_NS1_11comp_targetILNS1_3genE0ELNS1_11target_archE4294967295ELNS1_3gpuE0ELNS1_3repE0EEENS1_36merge_oddeven_config_static_selectorELNS0_4arch9wavefront6targetE1EEEvSH_
	.p2align	8
	.type	_ZN7rocprim17ROCPRIM_400000_NS6detail17trampoline_kernelINS0_14default_configENS1_38merge_sort_block_merge_config_selectorIilEEZZNS1_27merge_sort_block_merge_implIS3_PiN6thrust23THRUST_200600_302600_NS10device_ptrIlEEjNS1_19radix_merge_compareILb0ELb1EiNS0_19identity_decomposerEEEEE10hipError_tT0_T1_T2_jT3_P12ihipStream_tbPNSt15iterator_traitsISG_E10value_typeEPNSM_ISH_E10value_typeEPSI_NS1_7vsmem_tEENKUlT_SG_SH_SI_E_clIS7_S7_SB_PlEESF_SV_SG_SH_SI_EUlSV_E1_NS1_11comp_targetILNS1_3genE0ELNS1_11target_archE4294967295ELNS1_3gpuE0ELNS1_3repE0EEENS1_36merge_oddeven_config_static_selectorELNS0_4arch9wavefront6targetE1EEEvSH_,@function
_ZN7rocprim17ROCPRIM_400000_NS6detail17trampoline_kernelINS0_14default_configENS1_38merge_sort_block_merge_config_selectorIilEEZZNS1_27merge_sort_block_merge_implIS3_PiN6thrust23THRUST_200600_302600_NS10device_ptrIlEEjNS1_19radix_merge_compareILb0ELb1EiNS0_19identity_decomposerEEEEE10hipError_tT0_T1_T2_jT3_P12ihipStream_tbPNSt15iterator_traitsISG_E10value_typeEPNSM_ISH_E10value_typeEPSI_NS1_7vsmem_tEENKUlT_SG_SH_SI_E_clIS7_S7_SB_PlEESF_SV_SG_SH_SI_EUlSV_E1_NS1_11comp_targetILNS1_3genE0ELNS1_11target_archE4294967295ELNS1_3gpuE0ELNS1_3repE0EEENS1_36merge_oddeven_config_static_selectorELNS0_4arch9wavefront6targetE1EEEvSH_: ; @_ZN7rocprim17ROCPRIM_400000_NS6detail17trampoline_kernelINS0_14default_configENS1_38merge_sort_block_merge_config_selectorIilEEZZNS1_27merge_sort_block_merge_implIS3_PiN6thrust23THRUST_200600_302600_NS10device_ptrIlEEjNS1_19radix_merge_compareILb0ELb1EiNS0_19identity_decomposerEEEEE10hipError_tT0_T1_T2_jT3_P12ihipStream_tbPNSt15iterator_traitsISG_E10value_typeEPNSM_ISH_E10value_typeEPSI_NS1_7vsmem_tEENKUlT_SG_SH_SI_E_clIS7_S7_SB_PlEESF_SV_SG_SH_SI_EUlSV_E1_NS1_11comp_targetILNS1_3genE0ELNS1_11target_archE4294967295ELNS1_3gpuE0ELNS1_3repE0EEENS1_36merge_oddeven_config_static_selectorELNS0_4arch9wavefront6targetE1EEEvSH_
; %bb.0:
	.section	.rodata,"a",@progbits
	.p2align	6, 0x0
	.amdhsa_kernel _ZN7rocprim17ROCPRIM_400000_NS6detail17trampoline_kernelINS0_14default_configENS1_38merge_sort_block_merge_config_selectorIilEEZZNS1_27merge_sort_block_merge_implIS3_PiN6thrust23THRUST_200600_302600_NS10device_ptrIlEEjNS1_19radix_merge_compareILb0ELb1EiNS0_19identity_decomposerEEEEE10hipError_tT0_T1_T2_jT3_P12ihipStream_tbPNSt15iterator_traitsISG_E10value_typeEPNSM_ISH_E10value_typeEPSI_NS1_7vsmem_tEENKUlT_SG_SH_SI_E_clIS7_S7_SB_PlEESF_SV_SG_SH_SI_EUlSV_E1_NS1_11comp_targetILNS1_3genE0ELNS1_11target_archE4294967295ELNS1_3gpuE0ELNS1_3repE0EEENS1_36merge_oddeven_config_static_selectorELNS0_4arch9wavefront6targetE1EEEvSH_
		.amdhsa_group_segment_fixed_size 0
		.amdhsa_private_segment_fixed_size 0
		.amdhsa_kernarg_size 48
		.amdhsa_user_sgpr_count 6
		.amdhsa_user_sgpr_private_segment_buffer 1
		.amdhsa_user_sgpr_dispatch_ptr 0
		.amdhsa_user_sgpr_queue_ptr 0
		.amdhsa_user_sgpr_kernarg_segment_ptr 1
		.amdhsa_user_sgpr_dispatch_id 0
		.amdhsa_user_sgpr_flat_scratch_init 0
		.amdhsa_user_sgpr_private_segment_size 0
		.amdhsa_uses_dynamic_stack 0
		.amdhsa_system_sgpr_private_segment_wavefront_offset 0
		.amdhsa_system_sgpr_workgroup_id_x 1
		.amdhsa_system_sgpr_workgroup_id_y 0
		.amdhsa_system_sgpr_workgroup_id_z 0
		.amdhsa_system_sgpr_workgroup_info 0
		.amdhsa_system_vgpr_workitem_id 0
		.amdhsa_next_free_vgpr 1
		.amdhsa_next_free_sgpr 0
		.amdhsa_reserve_vcc 0
		.amdhsa_reserve_flat_scratch 0
		.amdhsa_float_round_mode_32 0
		.amdhsa_float_round_mode_16_64 0
		.amdhsa_float_denorm_mode_32 3
		.amdhsa_float_denorm_mode_16_64 3
		.amdhsa_dx10_clamp 1
		.amdhsa_ieee_mode 1
		.amdhsa_fp16_overflow 0
		.amdhsa_exception_fp_ieee_invalid_op 0
		.amdhsa_exception_fp_denorm_src 0
		.amdhsa_exception_fp_ieee_div_zero 0
		.amdhsa_exception_fp_ieee_overflow 0
		.amdhsa_exception_fp_ieee_underflow 0
		.amdhsa_exception_fp_ieee_inexact 0
		.amdhsa_exception_int_div_zero 0
	.end_amdhsa_kernel
	.section	.text._ZN7rocprim17ROCPRIM_400000_NS6detail17trampoline_kernelINS0_14default_configENS1_38merge_sort_block_merge_config_selectorIilEEZZNS1_27merge_sort_block_merge_implIS3_PiN6thrust23THRUST_200600_302600_NS10device_ptrIlEEjNS1_19radix_merge_compareILb0ELb1EiNS0_19identity_decomposerEEEEE10hipError_tT0_T1_T2_jT3_P12ihipStream_tbPNSt15iterator_traitsISG_E10value_typeEPNSM_ISH_E10value_typeEPSI_NS1_7vsmem_tEENKUlT_SG_SH_SI_E_clIS7_S7_SB_PlEESF_SV_SG_SH_SI_EUlSV_E1_NS1_11comp_targetILNS1_3genE0ELNS1_11target_archE4294967295ELNS1_3gpuE0ELNS1_3repE0EEENS1_36merge_oddeven_config_static_selectorELNS0_4arch9wavefront6targetE1EEEvSH_,"axG",@progbits,_ZN7rocprim17ROCPRIM_400000_NS6detail17trampoline_kernelINS0_14default_configENS1_38merge_sort_block_merge_config_selectorIilEEZZNS1_27merge_sort_block_merge_implIS3_PiN6thrust23THRUST_200600_302600_NS10device_ptrIlEEjNS1_19radix_merge_compareILb0ELb1EiNS0_19identity_decomposerEEEEE10hipError_tT0_T1_T2_jT3_P12ihipStream_tbPNSt15iterator_traitsISG_E10value_typeEPNSM_ISH_E10value_typeEPSI_NS1_7vsmem_tEENKUlT_SG_SH_SI_E_clIS7_S7_SB_PlEESF_SV_SG_SH_SI_EUlSV_E1_NS1_11comp_targetILNS1_3genE0ELNS1_11target_archE4294967295ELNS1_3gpuE0ELNS1_3repE0EEENS1_36merge_oddeven_config_static_selectorELNS0_4arch9wavefront6targetE1EEEvSH_,comdat
.Lfunc_end840:
	.size	_ZN7rocprim17ROCPRIM_400000_NS6detail17trampoline_kernelINS0_14default_configENS1_38merge_sort_block_merge_config_selectorIilEEZZNS1_27merge_sort_block_merge_implIS3_PiN6thrust23THRUST_200600_302600_NS10device_ptrIlEEjNS1_19radix_merge_compareILb0ELb1EiNS0_19identity_decomposerEEEEE10hipError_tT0_T1_T2_jT3_P12ihipStream_tbPNSt15iterator_traitsISG_E10value_typeEPNSM_ISH_E10value_typeEPSI_NS1_7vsmem_tEENKUlT_SG_SH_SI_E_clIS7_S7_SB_PlEESF_SV_SG_SH_SI_EUlSV_E1_NS1_11comp_targetILNS1_3genE0ELNS1_11target_archE4294967295ELNS1_3gpuE0ELNS1_3repE0EEENS1_36merge_oddeven_config_static_selectorELNS0_4arch9wavefront6targetE1EEEvSH_, .Lfunc_end840-_ZN7rocprim17ROCPRIM_400000_NS6detail17trampoline_kernelINS0_14default_configENS1_38merge_sort_block_merge_config_selectorIilEEZZNS1_27merge_sort_block_merge_implIS3_PiN6thrust23THRUST_200600_302600_NS10device_ptrIlEEjNS1_19radix_merge_compareILb0ELb1EiNS0_19identity_decomposerEEEEE10hipError_tT0_T1_T2_jT3_P12ihipStream_tbPNSt15iterator_traitsISG_E10value_typeEPNSM_ISH_E10value_typeEPSI_NS1_7vsmem_tEENKUlT_SG_SH_SI_E_clIS7_S7_SB_PlEESF_SV_SG_SH_SI_EUlSV_E1_NS1_11comp_targetILNS1_3genE0ELNS1_11target_archE4294967295ELNS1_3gpuE0ELNS1_3repE0EEENS1_36merge_oddeven_config_static_selectorELNS0_4arch9wavefront6targetE1EEEvSH_
                                        ; -- End function
	.set _ZN7rocprim17ROCPRIM_400000_NS6detail17trampoline_kernelINS0_14default_configENS1_38merge_sort_block_merge_config_selectorIilEEZZNS1_27merge_sort_block_merge_implIS3_PiN6thrust23THRUST_200600_302600_NS10device_ptrIlEEjNS1_19radix_merge_compareILb0ELb1EiNS0_19identity_decomposerEEEEE10hipError_tT0_T1_T2_jT3_P12ihipStream_tbPNSt15iterator_traitsISG_E10value_typeEPNSM_ISH_E10value_typeEPSI_NS1_7vsmem_tEENKUlT_SG_SH_SI_E_clIS7_S7_SB_PlEESF_SV_SG_SH_SI_EUlSV_E1_NS1_11comp_targetILNS1_3genE0ELNS1_11target_archE4294967295ELNS1_3gpuE0ELNS1_3repE0EEENS1_36merge_oddeven_config_static_selectorELNS0_4arch9wavefront6targetE1EEEvSH_.num_vgpr, 0
	.set _ZN7rocprim17ROCPRIM_400000_NS6detail17trampoline_kernelINS0_14default_configENS1_38merge_sort_block_merge_config_selectorIilEEZZNS1_27merge_sort_block_merge_implIS3_PiN6thrust23THRUST_200600_302600_NS10device_ptrIlEEjNS1_19radix_merge_compareILb0ELb1EiNS0_19identity_decomposerEEEEE10hipError_tT0_T1_T2_jT3_P12ihipStream_tbPNSt15iterator_traitsISG_E10value_typeEPNSM_ISH_E10value_typeEPSI_NS1_7vsmem_tEENKUlT_SG_SH_SI_E_clIS7_S7_SB_PlEESF_SV_SG_SH_SI_EUlSV_E1_NS1_11comp_targetILNS1_3genE0ELNS1_11target_archE4294967295ELNS1_3gpuE0ELNS1_3repE0EEENS1_36merge_oddeven_config_static_selectorELNS0_4arch9wavefront6targetE1EEEvSH_.num_agpr, 0
	.set _ZN7rocprim17ROCPRIM_400000_NS6detail17trampoline_kernelINS0_14default_configENS1_38merge_sort_block_merge_config_selectorIilEEZZNS1_27merge_sort_block_merge_implIS3_PiN6thrust23THRUST_200600_302600_NS10device_ptrIlEEjNS1_19radix_merge_compareILb0ELb1EiNS0_19identity_decomposerEEEEE10hipError_tT0_T1_T2_jT3_P12ihipStream_tbPNSt15iterator_traitsISG_E10value_typeEPNSM_ISH_E10value_typeEPSI_NS1_7vsmem_tEENKUlT_SG_SH_SI_E_clIS7_S7_SB_PlEESF_SV_SG_SH_SI_EUlSV_E1_NS1_11comp_targetILNS1_3genE0ELNS1_11target_archE4294967295ELNS1_3gpuE0ELNS1_3repE0EEENS1_36merge_oddeven_config_static_selectorELNS0_4arch9wavefront6targetE1EEEvSH_.numbered_sgpr, 0
	.set _ZN7rocprim17ROCPRIM_400000_NS6detail17trampoline_kernelINS0_14default_configENS1_38merge_sort_block_merge_config_selectorIilEEZZNS1_27merge_sort_block_merge_implIS3_PiN6thrust23THRUST_200600_302600_NS10device_ptrIlEEjNS1_19radix_merge_compareILb0ELb1EiNS0_19identity_decomposerEEEEE10hipError_tT0_T1_T2_jT3_P12ihipStream_tbPNSt15iterator_traitsISG_E10value_typeEPNSM_ISH_E10value_typeEPSI_NS1_7vsmem_tEENKUlT_SG_SH_SI_E_clIS7_S7_SB_PlEESF_SV_SG_SH_SI_EUlSV_E1_NS1_11comp_targetILNS1_3genE0ELNS1_11target_archE4294967295ELNS1_3gpuE0ELNS1_3repE0EEENS1_36merge_oddeven_config_static_selectorELNS0_4arch9wavefront6targetE1EEEvSH_.num_named_barrier, 0
	.set _ZN7rocprim17ROCPRIM_400000_NS6detail17trampoline_kernelINS0_14default_configENS1_38merge_sort_block_merge_config_selectorIilEEZZNS1_27merge_sort_block_merge_implIS3_PiN6thrust23THRUST_200600_302600_NS10device_ptrIlEEjNS1_19radix_merge_compareILb0ELb1EiNS0_19identity_decomposerEEEEE10hipError_tT0_T1_T2_jT3_P12ihipStream_tbPNSt15iterator_traitsISG_E10value_typeEPNSM_ISH_E10value_typeEPSI_NS1_7vsmem_tEENKUlT_SG_SH_SI_E_clIS7_S7_SB_PlEESF_SV_SG_SH_SI_EUlSV_E1_NS1_11comp_targetILNS1_3genE0ELNS1_11target_archE4294967295ELNS1_3gpuE0ELNS1_3repE0EEENS1_36merge_oddeven_config_static_selectorELNS0_4arch9wavefront6targetE1EEEvSH_.private_seg_size, 0
	.set _ZN7rocprim17ROCPRIM_400000_NS6detail17trampoline_kernelINS0_14default_configENS1_38merge_sort_block_merge_config_selectorIilEEZZNS1_27merge_sort_block_merge_implIS3_PiN6thrust23THRUST_200600_302600_NS10device_ptrIlEEjNS1_19radix_merge_compareILb0ELb1EiNS0_19identity_decomposerEEEEE10hipError_tT0_T1_T2_jT3_P12ihipStream_tbPNSt15iterator_traitsISG_E10value_typeEPNSM_ISH_E10value_typeEPSI_NS1_7vsmem_tEENKUlT_SG_SH_SI_E_clIS7_S7_SB_PlEESF_SV_SG_SH_SI_EUlSV_E1_NS1_11comp_targetILNS1_3genE0ELNS1_11target_archE4294967295ELNS1_3gpuE0ELNS1_3repE0EEENS1_36merge_oddeven_config_static_selectorELNS0_4arch9wavefront6targetE1EEEvSH_.uses_vcc, 0
	.set _ZN7rocprim17ROCPRIM_400000_NS6detail17trampoline_kernelINS0_14default_configENS1_38merge_sort_block_merge_config_selectorIilEEZZNS1_27merge_sort_block_merge_implIS3_PiN6thrust23THRUST_200600_302600_NS10device_ptrIlEEjNS1_19radix_merge_compareILb0ELb1EiNS0_19identity_decomposerEEEEE10hipError_tT0_T1_T2_jT3_P12ihipStream_tbPNSt15iterator_traitsISG_E10value_typeEPNSM_ISH_E10value_typeEPSI_NS1_7vsmem_tEENKUlT_SG_SH_SI_E_clIS7_S7_SB_PlEESF_SV_SG_SH_SI_EUlSV_E1_NS1_11comp_targetILNS1_3genE0ELNS1_11target_archE4294967295ELNS1_3gpuE0ELNS1_3repE0EEENS1_36merge_oddeven_config_static_selectorELNS0_4arch9wavefront6targetE1EEEvSH_.uses_flat_scratch, 0
	.set _ZN7rocprim17ROCPRIM_400000_NS6detail17trampoline_kernelINS0_14default_configENS1_38merge_sort_block_merge_config_selectorIilEEZZNS1_27merge_sort_block_merge_implIS3_PiN6thrust23THRUST_200600_302600_NS10device_ptrIlEEjNS1_19radix_merge_compareILb0ELb1EiNS0_19identity_decomposerEEEEE10hipError_tT0_T1_T2_jT3_P12ihipStream_tbPNSt15iterator_traitsISG_E10value_typeEPNSM_ISH_E10value_typeEPSI_NS1_7vsmem_tEENKUlT_SG_SH_SI_E_clIS7_S7_SB_PlEESF_SV_SG_SH_SI_EUlSV_E1_NS1_11comp_targetILNS1_3genE0ELNS1_11target_archE4294967295ELNS1_3gpuE0ELNS1_3repE0EEENS1_36merge_oddeven_config_static_selectorELNS0_4arch9wavefront6targetE1EEEvSH_.has_dyn_sized_stack, 0
	.set _ZN7rocprim17ROCPRIM_400000_NS6detail17trampoline_kernelINS0_14default_configENS1_38merge_sort_block_merge_config_selectorIilEEZZNS1_27merge_sort_block_merge_implIS3_PiN6thrust23THRUST_200600_302600_NS10device_ptrIlEEjNS1_19radix_merge_compareILb0ELb1EiNS0_19identity_decomposerEEEEE10hipError_tT0_T1_T2_jT3_P12ihipStream_tbPNSt15iterator_traitsISG_E10value_typeEPNSM_ISH_E10value_typeEPSI_NS1_7vsmem_tEENKUlT_SG_SH_SI_E_clIS7_S7_SB_PlEESF_SV_SG_SH_SI_EUlSV_E1_NS1_11comp_targetILNS1_3genE0ELNS1_11target_archE4294967295ELNS1_3gpuE0ELNS1_3repE0EEENS1_36merge_oddeven_config_static_selectorELNS0_4arch9wavefront6targetE1EEEvSH_.has_recursion, 0
	.set _ZN7rocprim17ROCPRIM_400000_NS6detail17trampoline_kernelINS0_14default_configENS1_38merge_sort_block_merge_config_selectorIilEEZZNS1_27merge_sort_block_merge_implIS3_PiN6thrust23THRUST_200600_302600_NS10device_ptrIlEEjNS1_19radix_merge_compareILb0ELb1EiNS0_19identity_decomposerEEEEE10hipError_tT0_T1_T2_jT3_P12ihipStream_tbPNSt15iterator_traitsISG_E10value_typeEPNSM_ISH_E10value_typeEPSI_NS1_7vsmem_tEENKUlT_SG_SH_SI_E_clIS7_S7_SB_PlEESF_SV_SG_SH_SI_EUlSV_E1_NS1_11comp_targetILNS1_3genE0ELNS1_11target_archE4294967295ELNS1_3gpuE0ELNS1_3repE0EEENS1_36merge_oddeven_config_static_selectorELNS0_4arch9wavefront6targetE1EEEvSH_.has_indirect_call, 0
	.section	.AMDGPU.csdata,"",@progbits
; Kernel info:
; codeLenInByte = 0
; TotalNumSgprs: 4
; NumVgprs: 0
; ScratchSize: 0
; MemoryBound: 0
; FloatMode: 240
; IeeeMode: 1
; LDSByteSize: 0 bytes/workgroup (compile time only)
; SGPRBlocks: 0
; VGPRBlocks: 0
; NumSGPRsForWavesPerEU: 4
; NumVGPRsForWavesPerEU: 1
; Occupancy: 10
; WaveLimiterHint : 0
; COMPUTE_PGM_RSRC2:SCRATCH_EN: 0
; COMPUTE_PGM_RSRC2:USER_SGPR: 6
; COMPUTE_PGM_RSRC2:TRAP_HANDLER: 0
; COMPUTE_PGM_RSRC2:TGID_X_EN: 1
; COMPUTE_PGM_RSRC2:TGID_Y_EN: 0
; COMPUTE_PGM_RSRC2:TGID_Z_EN: 0
; COMPUTE_PGM_RSRC2:TIDIG_COMP_CNT: 0
	.section	.text._ZN7rocprim17ROCPRIM_400000_NS6detail17trampoline_kernelINS0_14default_configENS1_38merge_sort_block_merge_config_selectorIilEEZZNS1_27merge_sort_block_merge_implIS3_PiN6thrust23THRUST_200600_302600_NS10device_ptrIlEEjNS1_19radix_merge_compareILb0ELb1EiNS0_19identity_decomposerEEEEE10hipError_tT0_T1_T2_jT3_P12ihipStream_tbPNSt15iterator_traitsISG_E10value_typeEPNSM_ISH_E10value_typeEPSI_NS1_7vsmem_tEENKUlT_SG_SH_SI_E_clIS7_S7_SB_PlEESF_SV_SG_SH_SI_EUlSV_E1_NS1_11comp_targetILNS1_3genE10ELNS1_11target_archE1201ELNS1_3gpuE5ELNS1_3repE0EEENS1_36merge_oddeven_config_static_selectorELNS0_4arch9wavefront6targetE1EEEvSH_,"axG",@progbits,_ZN7rocprim17ROCPRIM_400000_NS6detail17trampoline_kernelINS0_14default_configENS1_38merge_sort_block_merge_config_selectorIilEEZZNS1_27merge_sort_block_merge_implIS3_PiN6thrust23THRUST_200600_302600_NS10device_ptrIlEEjNS1_19radix_merge_compareILb0ELb1EiNS0_19identity_decomposerEEEEE10hipError_tT0_T1_T2_jT3_P12ihipStream_tbPNSt15iterator_traitsISG_E10value_typeEPNSM_ISH_E10value_typeEPSI_NS1_7vsmem_tEENKUlT_SG_SH_SI_E_clIS7_S7_SB_PlEESF_SV_SG_SH_SI_EUlSV_E1_NS1_11comp_targetILNS1_3genE10ELNS1_11target_archE1201ELNS1_3gpuE5ELNS1_3repE0EEENS1_36merge_oddeven_config_static_selectorELNS0_4arch9wavefront6targetE1EEEvSH_,comdat
	.protected	_ZN7rocprim17ROCPRIM_400000_NS6detail17trampoline_kernelINS0_14default_configENS1_38merge_sort_block_merge_config_selectorIilEEZZNS1_27merge_sort_block_merge_implIS3_PiN6thrust23THRUST_200600_302600_NS10device_ptrIlEEjNS1_19radix_merge_compareILb0ELb1EiNS0_19identity_decomposerEEEEE10hipError_tT0_T1_T2_jT3_P12ihipStream_tbPNSt15iterator_traitsISG_E10value_typeEPNSM_ISH_E10value_typeEPSI_NS1_7vsmem_tEENKUlT_SG_SH_SI_E_clIS7_S7_SB_PlEESF_SV_SG_SH_SI_EUlSV_E1_NS1_11comp_targetILNS1_3genE10ELNS1_11target_archE1201ELNS1_3gpuE5ELNS1_3repE0EEENS1_36merge_oddeven_config_static_selectorELNS0_4arch9wavefront6targetE1EEEvSH_ ; -- Begin function _ZN7rocprim17ROCPRIM_400000_NS6detail17trampoline_kernelINS0_14default_configENS1_38merge_sort_block_merge_config_selectorIilEEZZNS1_27merge_sort_block_merge_implIS3_PiN6thrust23THRUST_200600_302600_NS10device_ptrIlEEjNS1_19radix_merge_compareILb0ELb1EiNS0_19identity_decomposerEEEEE10hipError_tT0_T1_T2_jT3_P12ihipStream_tbPNSt15iterator_traitsISG_E10value_typeEPNSM_ISH_E10value_typeEPSI_NS1_7vsmem_tEENKUlT_SG_SH_SI_E_clIS7_S7_SB_PlEESF_SV_SG_SH_SI_EUlSV_E1_NS1_11comp_targetILNS1_3genE10ELNS1_11target_archE1201ELNS1_3gpuE5ELNS1_3repE0EEENS1_36merge_oddeven_config_static_selectorELNS0_4arch9wavefront6targetE1EEEvSH_
	.globl	_ZN7rocprim17ROCPRIM_400000_NS6detail17trampoline_kernelINS0_14default_configENS1_38merge_sort_block_merge_config_selectorIilEEZZNS1_27merge_sort_block_merge_implIS3_PiN6thrust23THRUST_200600_302600_NS10device_ptrIlEEjNS1_19radix_merge_compareILb0ELb1EiNS0_19identity_decomposerEEEEE10hipError_tT0_T1_T2_jT3_P12ihipStream_tbPNSt15iterator_traitsISG_E10value_typeEPNSM_ISH_E10value_typeEPSI_NS1_7vsmem_tEENKUlT_SG_SH_SI_E_clIS7_S7_SB_PlEESF_SV_SG_SH_SI_EUlSV_E1_NS1_11comp_targetILNS1_3genE10ELNS1_11target_archE1201ELNS1_3gpuE5ELNS1_3repE0EEENS1_36merge_oddeven_config_static_selectorELNS0_4arch9wavefront6targetE1EEEvSH_
	.p2align	8
	.type	_ZN7rocprim17ROCPRIM_400000_NS6detail17trampoline_kernelINS0_14default_configENS1_38merge_sort_block_merge_config_selectorIilEEZZNS1_27merge_sort_block_merge_implIS3_PiN6thrust23THRUST_200600_302600_NS10device_ptrIlEEjNS1_19radix_merge_compareILb0ELb1EiNS0_19identity_decomposerEEEEE10hipError_tT0_T1_T2_jT3_P12ihipStream_tbPNSt15iterator_traitsISG_E10value_typeEPNSM_ISH_E10value_typeEPSI_NS1_7vsmem_tEENKUlT_SG_SH_SI_E_clIS7_S7_SB_PlEESF_SV_SG_SH_SI_EUlSV_E1_NS1_11comp_targetILNS1_3genE10ELNS1_11target_archE1201ELNS1_3gpuE5ELNS1_3repE0EEENS1_36merge_oddeven_config_static_selectorELNS0_4arch9wavefront6targetE1EEEvSH_,@function
_ZN7rocprim17ROCPRIM_400000_NS6detail17trampoline_kernelINS0_14default_configENS1_38merge_sort_block_merge_config_selectorIilEEZZNS1_27merge_sort_block_merge_implIS3_PiN6thrust23THRUST_200600_302600_NS10device_ptrIlEEjNS1_19radix_merge_compareILb0ELb1EiNS0_19identity_decomposerEEEEE10hipError_tT0_T1_T2_jT3_P12ihipStream_tbPNSt15iterator_traitsISG_E10value_typeEPNSM_ISH_E10value_typeEPSI_NS1_7vsmem_tEENKUlT_SG_SH_SI_E_clIS7_S7_SB_PlEESF_SV_SG_SH_SI_EUlSV_E1_NS1_11comp_targetILNS1_3genE10ELNS1_11target_archE1201ELNS1_3gpuE5ELNS1_3repE0EEENS1_36merge_oddeven_config_static_selectorELNS0_4arch9wavefront6targetE1EEEvSH_: ; @_ZN7rocprim17ROCPRIM_400000_NS6detail17trampoline_kernelINS0_14default_configENS1_38merge_sort_block_merge_config_selectorIilEEZZNS1_27merge_sort_block_merge_implIS3_PiN6thrust23THRUST_200600_302600_NS10device_ptrIlEEjNS1_19radix_merge_compareILb0ELb1EiNS0_19identity_decomposerEEEEE10hipError_tT0_T1_T2_jT3_P12ihipStream_tbPNSt15iterator_traitsISG_E10value_typeEPNSM_ISH_E10value_typeEPSI_NS1_7vsmem_tEENKUlT_SG_SH_SI_E_clIS7_S7_SB_PlEESF_SV_SG_SH_SI_EUlSV_E1_NS1_11comp_targetILNS1_3genE10ELNS1_11target_archE1201ELNS1_3gpuE5ELNS1_3repE0EEENS1_36merge_oddeven_config_static_selectorELNS0_4arch9wavefront6targetE1EEEvSH_
; %bb.0:
	.section	.rodata,"a",@progbits
	.p2align	6, 0x0
	.amdhsa_kernel _ZN7rocprim17ROCPRIM_400000_NS6detail17trampoline_kernelINS0_14default_configENS1_38merge_sort_block_merge_config_selectorIilEEZZNS1_27merge_sort_block_merge_implIS3_PiN6thrust23THRUST_200600_302600_NS10device_ptrIlEEjNS1_19radix_merge_compareILb0ELb1EiNS0_19identity_decomposerEEEEE10hipError_tT0_T1_T2_jT3_P12ihipStream_tbPNSt15iterator_traitsISG_E10value_typeEPNSM_ISH_E10value_typeEPSI_NS1_7vsmem_tEENKUlT_SG_SH_SI_E_clIS7_S7_SB_PlEESF_SV_SG_SH_SI_EUlSV_E1_NS1_11comp_targetILNS1_3genE10ELNS1_11target_archE1201ELNS1_3gpuE5ELNS1_3repE0EEENS1_36merge_oddeven_config_static_selectorELNS0_4arch9wavefront6targetE1EEEvSH_
		.amdhsa_group_segment_fixed_size 0
		.amdhsa_private_segment_fixed_size 0
		.amdhsa_kernarg_size 48
		.amdhsa_user_sgpr_count 6
		.amdhsa_user_sgpr_private_segment_buffer 1
		.amdhsa_user_sgpr_dispatch_ptr 0
		.amdhsa_user_sgpr_queue_ptr 0
		.amdhsa_user_sgpr_kernarg_segment_ptr 1
		.amdhsa_user_sgpr_dispatch_id 0
		.amdhsa_user_sgpr_flat_scratch_init 0
		.amdhsa_user_sgpr_private_segment_size 0
		.amdhsa_uses_dynamic_stack 0
		.amdhsa_system_sgpr_private_segment_wavefront_offset 0
		.amdhsa_system_sgpr_workgroup_id_x 1
		.amdhsa_system_sgpr_workgroup_id_y 0
		.amdhsa_system_sgpr_workgroup_id_z 0
		.amdhsa_system_sgpr_workgroup_info 0
		.amdhsa_system_vgpr_workitem_id 0
		.amdhsa_next_free_vgpr 1
		.amdhsa_next_free_sgpr 0
		.amdhsa_reserve_vcc 0
		.amdhsa_reserve_flat_scratch 0
		.amdhsa_float_round_mode_32 0
		.amdhsa_float_round_mode_16_64 0
		.amdhsa_float_denorm_mode_32 3
		.amdhsa_float_denorm_mode_16_64 3
		.amdhsa_dx10_clamp 1
		.amdhsa_ieee_mode 1
		.amdhsa_fp16_overflow 0
		.amdhsa_exception_fp_ieee_invalid_op 0
		.amdhsa_exception_fp_denorm_src 0
		.amdhsa_exception_fp_ieee_div_zero 0
		.amdhsa_exception_fp_ieee_overflow 0
		.amdhsa_exception_fp_ieee_underflow 0
		.amdhsa_exception_fp_ieee_inexact 0
		.amdhsa_exception_int_div_zero 0
	.end_amdhsa_kernel
	.section	.text._ZN7rocprim17ROCPRIM_400000_NS6detail17trampoline_kernelINS0_14default_configENS1_38merge_sort_block_merge_config_selectorIilEEZZNS1_27merge_sort_block_merge_implIS3_PiN6thrust23THRUST_200600_302600_NS10device_ptrIlEEjNS1_19radix_merge_compareILb0ELb1EiNS0_19identity_decomposerEEEEE10hipError_tT0_T1_T2_jT3_P12ihipStream_tbPNSt15iterator_traitsISG_E10value_typeEPNSM_ISH_E10value_typeEPSI_NS1_7vsmem_tEENKUlT_SG_SH_SI_E_clIS7_S7_SB_PlEESF_SV_SG_SH_SI_EUlSV_E1_NS1_11comp_targetILNS1_3genE10ELNS1_11target_archE1201ELNS1_3gpuE5ELNS1_3repE0EEENS1_36merge_oddeven_config_static_selectorELNS0_4arch9wavefront6targetE1EEEvSH_,"axG",@progbits,_ZN7rocprim17ROCPRIM_400000_NS6detail17trampoline_kernelINS0_14default_configENS1_38merge_sort_block_merge_config_selectorIilEEZZNS1_27merge_sort_block_merge_implIS3_PiN6thrust23THRUST_200600_302600_NS10device_ptrIlEEjNS1_19radix_merge_compareILb0ELb1EiNS0_19identity_decomposerEEEEE10hipError_tT0_T1_T2_jT3_P12ihipStream_tbPNSt15iterator_traitsISG_E10value_typeEPNSM_ISH_E10value_typeEPSI_NS1_7vsmem_tEENKUlT_SG_SH_SI_E_clIS7_S7_SB_PlEESF_SV_SG_SH_SI_EUlSV_E1_NS1_11comp_targetILNS1_3genE10ELNS1_11target_archE1201ELNS1_3gpuE5ELNS1_3repE0EEENS1_36merge_oddeven_config_static_selectorELNS0_4arch9wavefront6targetE1EEEvSH_,comdat
.Lfunc_end841:
	.size	_ZN7rocprim17ROCPRIM_400000_NS6detail17trampoline_kernelINS0_14default_configENS1_38merge_sort_block_merge_config_selectorIilEEZZNS1_27merge_sort_block_merge_implIS3_PiN6thrust23THRUST_200600_302600_NS10device_ptrIlEEjNS1_19radix_merge_compareILb0ELb1EiNS0_19identity_decomposerEEEEE10hipError_tT0_T1_T2_jT3_P12ihipStream_tbPNSt15iterator_traitsISG_E10value_typeEPNSM_ISH_E10value_typeEPSI_NS1_7vsmem_tEENKUlT_SG_SH_SI_E_clIS7_S7_SB_PlEESF_SV_SG_SH_SI_EUlSV_E1_NS1_11comp_targetILNS1_3genE10ELNS1_11target_archE1201ELNS1_3gpuE5ELNS1_3repE0EEENS1_36merge_oddeven_config_static_selectorELNS0_4arch9wavefront6targetE1EEEvSH_, .Lfunc_end841-_ZN7rocprim17ROCPRIM_400000_NS6detail17trampoline_kernelINS0_14default_configENS1_38merge_sort_block_merge_config_selectorIilEEZZNS1_27merge_sort_block_merge_implIS3_PiN6thrust23THRUST_200600_302600_NS10device_ptrIlEEjNS1_19radix_merge_compareILb0ELb1EiNS0_19identity_decomposerEEEEE10hipError_tT0_T1_T2_jT3_P12ihipStream_tbPNSt15iterator_traitsISG_E10value_typeEPNSM_ISH_E10value_typeEPSI_NS1_7vsmem_tEENKUlT_SG_SH_SI_E_clIS7_S7_SB_PlEESF_SV_SG_SH_SI_EUlSV_E1_NS1_11comp_targetILNS1_3genE10ELNS1_11target_archE1201ELNS1_3gpuE5ELNS1_3repE0EEENS1_36merge_oddeven_config_static_selectorELNS0_4arch9wavefront6targetE1EEEvSH_
                                        ; -- End function
	.set _ZN7rocprim17ROCPRIM_400000_NS6detail17trampoline_kernelINS0_14default_configENS1_38merge_sort_block_merge_config_selectorIilEEZZNS1_27merge_sort_block_merge_implIS3_PiN6thrust23THRUST_200600_302600_NS10device_ptrIlEEjNS1_19radix_merge_compareILb0ELb1EiNS0_19identity_decomposerEEEEE10hipError_tT0_T1_T2_jT3_P12ihipStream_tbPNSt15iterator_traitsISG_E10value_typeEPNSM_ISH_E10value_typeEPSI_NS1_7vsmem_tEENKUlT_SG_SH_SI_E_clIS7_S7_SB_PlEESF_SV_SG_SH_SI_EUlSV_E1_NS1_11comp_targetILNS1_3genE10ELNS1_11target_archE1201ELNS1_3gpuE5ELNS1_3repE0EEENS1_36merge_oddeven_config_static_selectorELNS0_4arch9wavefront6targetE1EEEvSH_.num_vgpr, 0
	.set _ZN7rocprim17ROCPRIM_400000_NS6detail17trampoline_kernelINS0_14default_configENS1_38merge_sort_block_merge_config_selectorIilEEZZNS1_27merge_sort_block_merge_implIS3_PiN6thrust23THRUST_200600_302600_NS10device_ptrIlEEjNS1_19radix_merge_compareILb0ELb1EiNS0_19identity_decomposerEEEEE10hipError_tT0_T1_T2_jT3_P12ihipStream_tbPNSt15iterator_traitsISG_E10value_typeEPNSM_ISH_E10value_typeEPSI_NS1_7vsmem_tEENKUlT_SG_SH_SI_E_clIS7_S7_SB_PlEESF_SV_SG_SH_SI_EUlSV_E1_NS1_11comp_targetILNS1_3genE10ELNS1_11target_archE1201ELNS1_3gpuE5ELNS1_3repE0EEENS1_36merge_oddeven_config_static_selectorELNS0_4arch9wavefront6targetE1EEEvSH_.num_agpr, 0
	.set _ZN7rocprim17ROCPRIM_400000_NS6detail17trampoline_kernelINS0_14default_configENS1_38merge_sort_block_merge_config_selectorIilEEZZNS1_27merge_sort_block_merge_implIS3_PiN6thrust23THRUST_200600_302600_NS10device_ptrIlEEjNS1_19radix_merge_compareILb0ELb1EiNS0_19identity_decomposerEEEEE10hipError_tT0_T1_T2_jT3_P12ihipStream_tbPNSt15iterator_traitsISG_E10value_typeEPNSM_ISH_E10value_typeEPSI_NS1_7vsmem_tEENKUlT_SG_SH_SI_E_clIS7_S7_SB_PlEESF_SV_SG_SH_SI_EUlSV_E1_NS1_11comp_targetILNS1_3genE10ELNS1_11target_archE1201ELNS1_3gpuE5ELNS1_3repE0EEENS1_36merge_oddeven_config_static_selectorELNS0_4arch9wavefront6targetE1EEEvSH_.numbered_sgpr, 0
	.set _ZN7rocprim17ROCPRIM_400000_NS6detail17trampoline_kernelINS0_14default_configENS1_38merge_sort_block_merge_config_selectorIilEEZZNS1_27merge_sort_block_merge_implIS3_PiN6thrust23THRUST_200600_302600_NS10device_ptrIlEEjNS1_19radix_merge_compareILb0ELb1EiNS0_19identity_decomposerEEEEE10hipError_tT0_T1_T2_jT3_P12ihipStream_tbPNSt15iterator_traitsISG_E10value_typeEPNSM_ISH_E10value_typeEPSI_NS1_7vsmem_tEENKUlT_SG_SH_SI_E_clIS7_S7_SB_PlEESF_SV_SG_SH_SI_EUlSV_E1_NS1_11comp_targetILNS1_3genE10ELNS1_11target_archE1201ELNS1_3gpuE5ELNS1_3repE0EEENS1_36merge_oddeven_config_static_selectorELNS0_4arch9wavefront6targetE1EEEvSH_.num_named_barrier, 0
	.set _ZN7rocprim17ROCPRIM_400000_NS6detail17trampoline_kernelINS0_14default_configENS1_38merge_sort_block_merge_config_selectorIilEEZZNS1_27merge_sort_block_merge_implIS3_PiN6thrust23THRUST_200600_302600_NS10device_ptrIlEEjNS1_19radix_merge_compareILb0ELb1EiNS0_19identity_decomposerEEEEE10hipError_tT0_T1_T2_jT3_P12ihipStream_tbPNSt15iterator_traitsISG_E10value_typeEPNSM_ISH_E10value_typeEPSI_NS1_7vsmem_tEENKUlT_SG_SH_SI_E_clIS7_S7_SB_PlEESF_SV_SG_SH_SI_EUlSV_E1_NS1_11comp_targetILNS1_3genE10ELNS1_11target_archE1201ELNS1_3gpuE5ELNS1_3repE0EEENS1_36merge_oddeven_config_static_selectorELNS0_4arch9wavefront6targetE1EEEvSH_.private_seg_size, 0
	.set _ZN7rocprim17ROCPRIM_400000_NS6detail17trampoline_kernelINS0_14default_configENS1_38merge_sort_block_merge_config_selectorIilEEZZNS1_27merge_sort_block_merge_implIS3_PiN6thrust23THRUST_200600_302600_NS10device_ptrIlEEjNS1_19radix_merge_compareILb0ELb1EiNS0_19identity_decomposerEEEEE10hipError_tT0_T1_T2_jT3_P12ihipStream_tbPNSt15iterator_traitsISG_E10value_typeEPNSM_ISH_E10value_typeEPSI_NS1_7vsmem_tEENKUlT_SG_SH_SI_E_clIS7_S7_SB_PlEESF_SV_SG_SH_SI_EUlSV_E1_NS1_11comp_targetILNS1_3genE10ELNS1_11target_archE1201ELNS1_3gpuE5ELNS1_3repE0EEENS1_36merge_oddeven_config_static_selectorELNS0_4arch9wavefront6targetE1EEEvSH_.uses_vcc, 0
	.set _ZN7rocprim17ROCPRIM_400000_NS6detail17trampoline_kernelINS0_14default_configENS1_38merge_sort_block_merge_config_selectorIilEEZZNS1_27merge_sort_block_merge_implIS3_PiN6thrust23THRUST_200600_302600_NS10device_ptrIlEEjNS1_19radix_merge_compareILb0ELb1EiNS0_19identity_decomposerEEEEE10hipError_tT0_T1_T2_jT3_P12ihipStream_tbPNSt15iterator_traitsISG_E10value_typeEPNSM_ISH_E10value_typeEPSI_NS1_7vsmem_tEENKUlT_SG_SH_SI_E_clIS7_S7_SB_PlEESF_SV_SG_SH_SI_EUlSV_E1_NS1_11comp_targetILNS1_3genE10ELNS1_11target_archE1201ELNS1_3gpuE5ELNS1_3repE0EEENS1_36merge_oddeven_config_static_selectorELNS0_4arch9wavefront6targetE1EEEvSH_.uses_flat_scratch, 0
	.set _ZN7rocprim17ROCPRIM_400000_NS6detail17trampoline_kernelINS0_14default_configENS1_38merge_sort_block_merge_config_selectorIilEEZZNS1_27merge_sort_block_merge_implIS3_PiN6thrust23THRUST_200600_302600_NS10device_ptrIlEEjNS1_19radix_merge_compareILb0ELb1EiNS0_19identity_decomposerEEEEE10hipError_tT0_T1_T2_jT3_P12ihipStream_tbPNSt15iterator_traitsISG_E10value_typeEPNSM_ISH_E10value_typeEPSI_NS1_7vsmem_tEENKUlT_SG_SH_SI_E_clIS7_S7_SB_PlEESF_SV_SG_SH_SI_EUlSV_E1_NS1_11comp_targetILNS1_3genE10ELNS1_11target_archE1201ELNS1_3gpuE5ELNS1_3repE0EEENS1_36merge_oddeven_config_static_selectorELNS0_4arch9wavefront6targetE1EEEvSH_.has_dyn_sized_stack, 0
	.set _ZN7rocprim17ROCPRIM_400000_NS6detail17trampoline_kernelINS0_14default_configENS1_38merge_sort_block_merge_config_selectorIilEEZZNS1_27merge_sort_block_merge_implIS3_PiN6thrust23THRUST_200600_302600_NS10device_ptrIlEEjNS1_19radix_merge_compareILb0ELb1EiNS0_19identity_decomposerEEEEE10hipError_tT0_T1_T2_jT3_P12ihipStream_tbPNSt15iterator_traitsISG_E10value_typeEPNSM_ISH_E10value_typeEPSI_NS1_7vsmem_tEENKUlT_SG_SH_SI_E_clIS7_S7_SB_PlEESF_SV_SG_SH_SI_EUlSV_E1_NS1_11comp_targetILNS1_3genE10ELNS1_11target_archE1201ELNS1_3gpuE5ELNS1_3repE0EEENS1_36merge_oddeven_config_static_selectorELNS0_4arch9wavefront6targetE1EEEvSH_.has_recursion, 0
	.set _ZN7rocprim17ROCPRIM_400000_NS6detail17trampoline_kernelINS0_14default_configENS1_38merge_sort_block_merge_config_selectorIilEEZZNS1_27merge_sort_block_merge_implIS3_PiN6thrust23THRUST_200600_302600_NS10device_ptrIlEEjNS1_19radix_merge_compareILb0ELb1EiNS0_19identity_decomposerEEEEE10hipError_tT0_T1_T2_jT3_P12ihipStream_tbPNSt15iterator_traitsISG_E10value_typeEPNSM_ISH_E10value_typeEPSI_NS1_7vsmem_tEENKUlT_SG_SH_SI_E_clIS7_S7_SB_PlEESF_SV_SG_SH_SI_EUlSV_E1_NS1_11comp_targetILNS1_3genE10ELNS1_11target_archE1201ELNS1_3gpuE5ELNS1_3repE0EEENS1_36merge_oddeven_config_static_selectorELNS0_4arch9wavefront6targetE1EEEvSH_.has_indirect_call, 0
	.section	.AMDGPU.csdata,"",@progbits
; Kernel info:
; codeLenInByte = 0
; TotalNumSgprs: 4
; NumVgprs: 0
; ScratchSize: 0
; MemoryBound: 0
; FloatMode: 240
; IeeeMode: 1
; LDSByteSize: 0 bytes/workgroup (compile time only)
; SGPRBlocks: 0
; VGPRBlocks: 0
; NumSGPRsForWavesPerEU: 4
; NumVGPRsForWavesPerEU: 1
; Occupancy: 10
; WaveLimiterHint : 0
; COMPUTE_PGM_RSRC2:SCRATCH_EN: 0
; COMPUTE_PGM_RSRC2:USER_SGPR: 6
; COMPUTE_PGM_RSRC2:TRAP_HANDLER: 0
; COMPUTE_PGM_RSRC2:TGID_X_EN: 1
; COMPUTE_PGM_RSRC2:TGID_Y_EN: 0
; COMPUTE_PGM_RSRC2:TGID_Z_EN: 0
; COMPUTE_PGM_RSRC2:TIDIG_COMP_CNT: 0
	.section	.text._ZN7rocprim17ROCPRIM_400000_NS6detail17trampoline_kernelINS0_14default_configENS1_38merge_sort_block_merge_config_selectorIilEEZZNS1_27merge_sort_block_merge_implIS3_PiN6thrust23THRUST_200600_302600_NS10device_ptrIlEEjNS1_19radix_merge_compareILb0ELb1EiNS0_19identity_decomposerEEEEE10hipError_tT0_T1_T2_jT3_P12ihipStream_tbPNSt15iterator_traitsISG_E10value_typeEPNSM_ISH_E10value_typeEPSI_NS1_7vsmem_tEENKUlT_SG_SH_SI_E_clIS7_S7_SB_PlEESF_SV_SG_SH_SI_EUlSV_E1_NS1_11comp_targetILNS1_3genE5ELNS1_11target_archE942ELNS1_3gpuE9ELNS1_3repE0EEENS1_36merge_oddeven_config_static_selectorELNS0_4arch9wavefront6targetE1EEEvSH_,"axG",@progbits,_ZN7rocprim17ROCPRIM_400000_NS6detail17trampoline_kernelINS0_14default_configENS1_38merge_sort_block_merge_config_selectorIilEEZZNS1_27merge_sort_block_merge_implIS3_PiN6thrust23THRUST_200600_302600_NS10device_ptrIlEEjNS1_19radix_merge_compareILb0ELb1EiNS0_19identity_decomposerEEEEE10hipError_tT0_T1_T2_jT3_P12ihipStream_tbPNSt15iterator_traitsISG_E10value_typeEPNSM_ISH_E10value_typeEPSI_NS1_7vsmem_tEENKUlT_SG_SH_SI_E_clIS7_S7_SB_PlEESF_SV_SG_SH_SI_EUlSV_E1_NS1_11comp_targetILNS1_3genE5ELNS1_11target_archE942ELNS1_3gpuE9ELNS1_3repE0EEENS1_36merge_oddeven_config_static_selectorELNS0_4arch9wavefront6targetE1EEEvSH_,comdat
	.protected	_ZN7rocprim17ROCPRIM_400000_NS6detail17trampoline_kernelINS0_14default_configENS1_38merge_sort_block_merge_config_selectorIilEEZZNS1_27merge_sort_block_merge_implIS3_PiN6thrust23THRUST_200600_302600_NS10device_ptrIlEEjNS1_19radix_merge_compareILb0ELb1EiNS0_19identity_decomposerEEEEE10hipError_tT0_T1_T2_jT3_P12ihipStream_tbPNSt15iterator_traitsISG_E10value_typeEPNSM_ISH_E10value_typeEPSI_NS1_7vsmem_tEENKUlT_SG_SH_SI_E_clIS7_S7_SB_PlEESF_SV_SG_SH_SI_EUlSV_E1_NS1_11comp_targetILNS1_3genE5ELNS1_11target_archE942ELNS1_3gpuE9ELNS1_3repE0EEENS1_36merge_oddeven_config_static_selectorELNS0_4arch9wavefront6targetE1EEEvSH_ ; -- Begin function _ZN7rocprim17ROCPRIM_400000_NS6detail17trampoline_kernelINS0_14default_configENS1_38merge_sort_block_merge_config_selectorIilEEZZNS1_27merge_sort_block_merge_implIS3_PiN6thrust23THRUST_200600_302600_NS10device_ptrIlEEjNS1_19radix_merge_compareILb0ELb1EiNS0_19identity_decomposerEEEEE10hipError_tT0_T1_T2_jT3_P12ihipStream_tbPNSt15iterator_traitsISG_E10value_typeEPNSM_ISH_E10value_typeEPSI_NS1_7vsmem_tEENKUlT_SG_SH_SI_E_clIS7_S7_SB_PlEESF_SV_SG_SH_SI_EUlSV_E1_NS1_11comp_targetILNS1_3genE5ELNS1_11target_archE942ELNS1_3gpuE9ELNS1_3repE0EEENS1_36merge_oddeven_config_static_selectorELNS0_4arch9wavefront6targetE1EEEvSH_
	.globl	_ZN7rocprim17ROCPRIM_400000_NS6detail17trampoline_kernelINS0_14default_configENS1_38merge_sort_block_merge_config_selectorIilEEZZNS1_27merge_sort_block_merge_implIS3_PiN6thrust23THRUST_200600_302600_NS10device_ptrIlEEjNS1_19radix_merge_compareILb0ELb1EiNS0_19identity_decomposerEEEEE10hipError_tT0_T1_T2_jT3_P12ihipStream_tbPNSt15iterator_traitsISG_E10value_typeEPNSM_ISH_E10value_typeEPSI_NS1_7vsmem_tEENKUlT_SG_SH_SI_E_clIS7_S7_SB_PlEESF_SV_SG_SH_SI_EUlSV_E1_NS1_11comp_targetILNS1_3genE5ELNS1_11target_archE942ELNS1_3gpuE9ELNS1_3repE0EEENS1_36merge_oddeven_config_static_selectorELNS0_4arch9wavefront6targetE1EEEvSH_
	.p2align	8
	.type	_ZN7rocprim17ROCPRIM_400000_NS6detail17trampoline_kernelINS0_14default_configENS1_38merge_sort_block_merge_config_selectorIilEEZZNS1_27merge_sort_block_merge_implIS3_PiN6thrust23THRUST_200600_302600_NS10device_ptrIlEEjNS1_19radix_merge_compareILb0ELb1EiNS0_19identity_decomposerEEEEE10hipError_tT0_T1_T2_jT3_P12ihipStream_tbPNSt15iterator_traitsISG_E10value_typeEPNSM_ISH_E10value_typeEPSI_NS1_7vsmem_tEENKUlT_SG_SH_SI_E_clIS7_S7_SB_PlEESF_SV_SG_SH_SI_EUlSV_E1_NS1_11comp_targetILNS1_3genE5ELNS1_11target_archE942ELNS1_3gpuE9ELNS1_3repE0EEENS1_36merge_oddeven_config_static_selectorELNS0_4arch9wavefront6targetE1EEEvSH_,@function
_ZN7rocprim17ROCPRIM_400000_NS6detail17trampoline_kernelINS0_14default_configENS1_38merge_sort_block_merge_config_selectorIilEEZZNS1_27merge_sort_block_merge_implIS3_PiN6thrust23THRUST_200600_302600_NS10device_ptrIlEEjNS1_19radix_merge_compareILb0ELb1EiNS0_19identity_decomposerEEEEE10hipError_tT0_T1_T2_jT3_P12ihipStream_tbPNSt15iterator_traitsISG_E10value_typeEPNSM_ISH_E10value_typeEPSI_NS1_7vsmem_tEENKUlT_SG_SH_SI_E_clIS7_S7_SB_PlEESF_SV_SG_SH_SI_EUlSV_E1_NS1_11comp_targetILNS1_3genE5ELNS1_11target_archE942ELNS1_3gpuE9ELNS1_3repE0EEENS1_36merge_oddeven_config_static_selectorELNS0_4arch9wavefront6targetE1EEEvSH_: ; @_ZN7rocprim17ROCPRIM_400000_NS6detail17trampoline_kernelINS0_14default_configENS1_38merge_sort_block_merge_config_selectorIilEEZZNS1_27merge_sort_block_merge_implIS3_PiN6thrust23THRUST_200600_302600_NS10device_ptrIlEEjNS1_19radix_merge_compareILb0ELb1EiNS0_19identity_decomposerEEEEE10hipError_tT0_T1_T2_jT3_P12ihipStream_tbPNSt15iterator_traitsISG_E10value_typeEPNSM_ISH_E10value_typeEPSI_NS1_7vsmem_tEENKUlT_SG_SH_SI_E_clIS7_S7_SB_PlEESF_SV_SG_SH_SI_EUlSV_E1_NS1_11comp_targetILNS1_3genE5ELNS1_11target_archE942ELNS1_3gpuE9ELNS1_3repE0EEENS1_36merge_oddeven_config_static_selectorELNS0_4arch9wavefront6targetE1EEEvSH_
; %bb.0:
	.section	.rodata,"a",@progbits
	.p2align	6, 0x0
	.amdhsa_kernel _ZN7rocprim17ROCPRIM_400000_NS6detail17trampoline_kernelINS0_14default_configENS1_38merge_sort_block_merge_config_selectorIilEEZZNS1_27merge_sort_block_merge_implIS3_PiN6thrust23THRUST_200600_302600_NS10device_ptrIlEEjNS1_19radix_merge_compareILb0ELb1EiNS0_19identity_decomposerEEEEE10hipError_tT0_T1_T2_jT3_P12ihipStream_tbPNSt15iterator_traitsISG_E10value_typeEPNSM_ISH_E10value_typeEPSI_NS1_7vsmem_tEENKUlT_SG_SH_SI_E_clIS7_S7_SB_PlEESF_SV_SG_SH_SI_EUlSV_E1_NS1_11comp_targetILNS1_3genE5ELNS1_11target_archE942ELNS1_3gpuE9ELNS1_3repE0EEENS1_36merge_oddeven_config_static_selectorELNS0_4arch9wavefront6targetE1EEEvSH_
		.amdhsa_group_segment_fixed_size 0
		.amdhsa_private_segment_fixed_size 0
		.amdhsa_kernarg_size 48
		.amdhsa_user_sgpr_count 6
		.amdhsa_user_sgpr_private_segment_buffer 1
		.amdhsa_user_sgpr_dispatch_ptr 0
		.amdhsa_user_sgpr_queue_ptr 0
		.amdhsa_user_sgpr_kernarg_segment_ptr 1
		.amdhsa_user_sgpr_dispatch_id 0
		.amdhsa_user_sgpr_flat_scratch_init 0
		.amdhsa_user_sgpr_private_segment_size 0
		.amdhsa_uses_dynamic_stack 0
		.amdhsa_system_sgpr_private_segment_wavefront_offset 0
		.amdhsa_system_sgpr_workgroup_id_x 1
		.amdhsa_system_sgpr_workgroup_id_y 0
		.amdhsa_system_sgpr_workgroup_id_z 0
		.amdhsa_system_sgpr_workgroup_info 0
		.amdhsa_system_vgpr_workitem_id 0
		.amdhsa_next_free_vgpr 1
		.amdhsa_next_free_sgpr 0
		.amdhsa_reserve_vcc 0
		.amdhsa_reserve_flat_scratch 0
		.amdhsa_float_round_mode_32 0
		.amdhsa_float_round_mode_16_64 0
		.amdhsa_float_denorm_mode_32 3
		.amdhsa_float_denorm_mode_16_64 3
		.amdhsa_dx10_clamp 1
		.amdhsa_ieee_mode 1
		.amdhsa_fp16_overflow 0
		.amdhsa_exception_fp_ieee_invalid_op 0
		.amdhsa_exception_fp_denorm_src 0
		.amdhsa_exception_fp_ieee_div_zero 0
		.amdhsa_exception_fp_ieee_overflow 0
		.amdhsa_exception_fp_ieee_underflow 0
		.amdhsa_exception_fp_ieee_inexact 0
		.amdhsa_exception_int_div_zero 0
	.end_amdhsa_kernel
	.section	.text._ZN7rocprim17ROCPRIM_400000_NS6detail17trampoline_kernelINS0_14default_configENS1_38merge_sort_block_merge_config_selectorIilEEZZNS1_27merge_sort_block_merge_implIS3_PiN6thrust23THRUST_200600_302600_NS10device_ptrIlEEjNS1_19radix_merge_compareILb0ELb1EiNS0_19identity_decomposerEEEEE10hipError_tT0_T1_T2_jT3_P12ihipStream_tbPNSt15iterator_traitsISG_E10value_typeEPNSM_ISH_E10value_typeEPSI_NS1_7vsmem_tEENKUlT_SG_SH_SI_E_clIS7_S7_SB_PlEESF_SV_SG_SH_SI_EUlSV_E1_NS1_11comp_targetILNS1_3genE5ELNS1_11target_archE942ELNS1_3gpuE9ELNS1_3repE0EEENS1_36merge_oddeven_config_static_selectorELNS0_4arch9wavefront6targetE1EEEvSH_,"axG",@progbits,_ZN7rocprim17ROCPRIM_400000_NS6detail17trampoline_kernelINS0_14default_configENS1_38merge_sort_block_merge_config_selectorIilEEZZNS1_27merge_sort_block_merge_implIS3_PiN6thrust23THRUST_200600_302600_NS10device_ptrIlEEjNS1_19radix_merge_compareILb0ELb1EiNS0_19identity_decomposerEEEEE10hipError_tT0_T1_T2_jT3_P12ihipStream_tbPNSt15iterator_traitsISG_E10value_typeEPNSM_ISH_E10value_typeEPSI_NS1_7vsmem_tEENKUlT_SG_SH_SI_E_clIS7_S7_SB_PlEESF_SV_SG_SH_SI_EUlSV_E1_NS1_11comp_targetILNS1_3genE5ELNS1_11target_archE942ELNS1_3gpuE9ELNS1_3repE0EEENS1_36merge_oddeven_config_static_selectorELNS0_4arch9wavefront6targetE1EEEvSH_,comdat
.Lfunc_end842:
	.size	_ZN7rocprim17ROCPRIM_400000_NS6detail17trampoline_kernelINS0_14default_configENS1_38merge_sort_block_merge_config_selectorIilEEZZNS1_27merge_sort_block_merge_implIS3_PiN6thrust23THRUST_200600_302600_NS10device_ptrIlEEjNS1_19radix_merge_compareILb0ELb1EiNS0_19identity_decomposerEEEEE10hipError_tT0_T1_T2_jT3_P12ihipStream_tbPNSt15iterator_traitsISG_E10value_typeEPNSM_ISH_E10value_typeEPSI_NS1_7vsmem_tEENKUlT_SG_SH_SI_E_clIS7_S7_SB_PlEESF_SV_SG_SH_SI_EUlSV_E1_NS1_11comp_targetILNS1_3genE5ELNS1_11target_archE942ELNS1_3gpuE9ELNS1_3repE0EEENS1_36merge_oddeven_config_static_selectorELNS0_4arch9wavefront6targetE1EEEvSH_, .Lfunc_end842-_ZN7rocprim17ROCPRIM_400000_NS6detail17trampoline_kernelINS0_14default_configENS1_38merge_sort_block_merge_config_selectorIilEEZZNS1_27merge_sort_block_merge_implIS3_PiN6thrust23THRUST_200600_302600_NS10device_ptrIlEEjNS1_19radix_merge_compareILb0ELb1EiNS0_19identity_decomposerEEEEE10hipError_tT0_T1_T2_jT3_P12ihipStream_tbPNSt15iterator_traitsISG_E10value_typeEPNSM_ISH_E10value_typeEPSI_NS1_7vsmem_tEENKUlT_SG_SH_SI_E_clIS7_S7_SB_PlEESF_SV_SG_SH_SI_EUlSV_E1_NS1_11comp_targetILNS1_3genE5ELNS1_11target_archE942ELNS1_3gpuE9ELNS1_3repE0EEENS1_36merge_oddeven_config_static_selectorELNS0_4arch9wavefront6targetE1EEEvSH_
                                        ; -- End function
	.set _ZN7rocprim17ROCPRIM_400000_NS6detail17trampoline_kernelINS0_14default_configENS1_38merge_sort_block_merge_config_selectorIilEEZZNS1_27merge_sort_block_merge_implIS3_PiN6thrust23THRUST_200600_302600_NS10device_ptrIlEEjNS1_19radix_merge_compareILb0ELb1EiNS0_19identity_decomposerEEEEE10hipError_tT0_T1_T2_jT3_P12ihipStream_tbPNSt15iterator_traitsISG_E10value_typeEPNSM_ISH_E10value_typeEPSI_NS1_7vsmem_tEENKUlT_SG_SH_SI_E_clIS7_S7_SB_PlEESF_SV_SG_SH_SI_EUlSV_E1_NS1_11comp_targetILNS1_3genE5ELNS1_11target_archE942ELNS1_3gpuE9ELNS1_3repE0EEENS1_36merge_oddeven_config_static_selectorELNS0_4arch9wavefront6targetE1EEEvSH_.num_vgpr, 0
	.set _ZN7rocprim17ROCPRIM_400000_NS6detail17trampoline_kernelINS0_14default_configENS1_38merge_sort_block_merge_config_selectorIilEEZZNS1_27merge_sort_block_merge_implIS3_PiN6thrust23THRUST_200600_302600_NS10device_ptrIlEEjNS1_19radix_merge_compareILb0ELb1EiNS0_19identity_decomposerEEEEE10hipError_tT0_T1_T2_jT3_P12ihipStream_tbPNSt15iterator_traitsISG_E10value_typeEPNSM_ISH_E10value_typeEPSI_NS1_7vsmem_tEENKUlT_SG_SH_SI_E_clIS7_S7_SB_PlEESF_SV_SG_SH_SI_EUlSV_E1_NS1_11comp_targetILNS1_3genE5ELNS1_11target_archE942ELNS1_3gpuE9ELNS1_3repE0EEENS1_36merge_oddeven_config_static_selectorELNS0_4arch9wavefront6targetE1EEEvSH_.num_agpr, 0
	.set _ZN7rocprim17ROCPRIM_400000_NS6detail17trampoline_kernelINS0_14default_configENS1_38merge_sort_block_merge_config_selectorIilEEZZNS1_27merge_sort_block_merge_implIS3_PiN6thrust23THRUST_200600_302600_NS10device_ptrIlEEjNS1_19radix_merge_compareILb0ELb1EiNS0_19identity_decomposerEEEEE10hipError_tT0_T1_T2_jT3_P12ihipStream_tbPNSt15iterator_traitsISG_E10value_typeEPNSM_ISH_E10value_typeEPSI_NS1_7vsmem_tEENKUlT_SG_SH_SI_E_clIS7_S7_SB_PlEESF_SV_SG_SH_SI_EUlSV_E1_NS1_11comp_targetILNS1_3genE5ELNS1_11target_archE942ELNS1_3gpuE9ELNS1_3repE0EEENS1_36merge_oddeven_config_static_selectorELNS0_4arch9wavefront6targetE1EEEvSH_.numbered_sgpr, 0
	.set _ZN7rocprim17ROCPRIM_400000_NS6detail17trampoline_kernelINS0_14default_configENS1_38merge_sort_block_merge_config_selectorIilEEZZNS1_27merge_sort_block_merge_implIS3_PiN6thrust23THRUST_200600_302600_NS10device_ptrIlEEjNS1_19radix_merge_compareILb0ELb1EiNS0_19identity_decomposerEEEEE10hipError_tT0_T1_T2_jT3_P12ihipStream_tbPNSt15iterator_traitsISG_E10value_typeEPNSM_ISH_E10value_typeEPSI_NS1_7vsmem_tEENKUlT_SG_SH_SI_E_clIS7_S7_SB_PlEESF_SV_SG_SH_SI_EUlSV_E1_NS1_11comp_targetILNS1_3genE5ELNS1_11target_archE942ELNS1_3gpuE9ELNS1_3repE0EEENS1_36merge_oddeven_config_static_selectorELNS0_4arch9wavefront6targetE1EEEvSH_.num_named_barrier, 0
	.set _ZN7rocprim17ROCPRIM_400000_NS6detail17trampoline_kernelINS0_14default_configENS1_38merge_sort_block_merge_config_selectorIilEEZZNS1_27merge_sort_block_merge_implIS3_PiN6thrust23THRUST_200600_302600_NS10device_ptrIlEEjNS1_19radix_merge_compareILb0ELb1EiNS0_19identity_decomposerEEEEE10hipError_tT0_T1_T2_jT3_P12ihipStream_tbPNSt15iterator_traitsISG_E10value_typeEPNSM_ISH_E10value_typeEPSI_NS1_7vsmem_tEENKUlT_SG_SH_SI_E_clIS7_S7_SB_PlEESF_SV_SG_SH_SI_EUlSV_E1_NS1_11comp_targetILNS1_3genE5ELNS1_11target_archE942ELNS1_3gpuE9ELNS1_3repE0EEENS1_36merge_oddeven_config_static_selectorELNS0_4arch9wavefront6targetE1EEEvSH_.private_seg_size, 0
	.set _ZN7rocprim17ROCPRIM_400000_NS6detail17trampoline_kernelINS0_14default_configENS1_38merge_sort_block_merge_config_selectorIilEEZZNS1_27merge_sort_block_merge_implIS3_PiN6thrust23THRUST_200600_302600_NS10device_ptrIlEEjNS1_19radix_merge_compareILb0ELb1EiNS0_19identity_decomposerEEEEE10hipError_tT0_T1_T2_jT3_P12ihipStream_tbPNSt15iterator_traitsISG_E10value_typeEPNSM_ISH_E10value_typeEPSI_NS1_7vsmem_tEENKUlT_SG_SH_SI_E_clIS7_S7_SB_PlEESF_SV_SG_SH_SI_EUlSV_E1_NS1_11comp_targetILNS1_3genE5ELNS1_11target_archE942ELNS1_3gpuE9ELNS1_3repE0EEENS1_36merge_oddeven_config_static_selectorELNS0_4arch9wavefront6targetE1EEEvSH_.uses_vcc, 0
	.set _ZN7rocprim17ROCPRIM_400000_NS6detail17trampoline_kernelINS0_14default_configENS1_38merge_sort_block_merge_config_selectorIilEEZZNS1_27merge_sort_block_merge_implIS3_PiN6thrust23THRUST_200600_302600_NS10device_ptrIlEEjNS1_19radix_merge_compareILb0ELb1EiNS0_19identity_decomposerEEEEE10hipError_tT0_T1_T2_jT3_P12ihipStream_tbPNSt15iterator_traitsISG_E10value_typeEPNSM_ISH_E10value_typeEPSI_NS1_7vsmem_tEENKUlT_SG_SH_SI_E_clIS7_S7_SB_PlEESF_SV_SG_SH_SI_EUlSV_E1_NS1_11comp_targetILNS1_3genE5ELNS1_11target_archE942ELNS1_3gpuE9ELNS1_3repE0EEENS1_36merge_oddeven_config_static_selectorELNS0_4arch9wavefront6targetE1EEEvSH_.uses_flat_scratch, 0
	.set _ZN7rocprim17ROCPRIM_400000_NS6detail17trampoline_kernelINS0_14default_configENS1_38merge_sort_block_merge_config_selectorIilEEZZNS1_27merge_sort_block_merge_implIS3_PiN6thrust23THRUST_200600_302600_NS10device_ptrIlEEjNS1_19radix_merge_compareILb0ELb1EiNS0_19identity_decomposerEEEEE10hipError_tT0_T1_T2_jT3_P12ihipStream_tbPNSt15iterator_traitsISG_E10value_typeEPNSM_ISH_E10value_typeEPSI_NS1_7vsmem_tEENKUlT_SG_SH_SI_E_clIS7_S7_SB_PlEESF_SV_SG_SH_SI_EUlSV_E1_NS1_11comp_targetILNS1_3genE5ELNS1_11target_archE942ELNS1_3gpuE9ELNS1_3repE0EEENS1_36merge_oddeven_config_static_selectorELNS0_4arch9wavefront6targetE1EEEvSH_.has_dyn_sized_stack, 0
	.set _ZN7rocprim17ROCPRIM_400000_NS6detail17trampoline_kernelINS0_14default_configENS1_38merge_sort_block_merge_config_selectorIilEEZZNS1_27merge_sort_block_merge_implIS3_PiN6thrust23THRUST_200600_302600_NS10device_ptrIlEEjNS1_19radix_merge_compareILb0ELb1EiNS0_19identity_decomposerEEEEE10hipError_tT0_T1_T2_jT3_P12ihipStream_tbPNSt15iterator_traitsISG_E10value_typeEPNSM_ISH_E10value_typeEPSI_NS1_7vsmem_tEENKUlT_SG_SH_SI_E_clIS7_S7_SB_PlEESF_SV_SG_SH_SI_EUlSV_E1_NS1_11comp_targetILNS1_3genE5ELNS1_11target_archE942ELNS1_3gpuE9ELNS1_3repE0EEENS1_36merge_oddeven_config_static_selectorELNS0_4arch9wavefront6targetE1EEEvSH_.has_recursion, 0
	.set _ZN7rocprim17ROCPRIM_400000_NS6detail17trampoline_kernelINS0_14default_configENS1_38merge_sort_block_merge_config_selectorIilEEZZNS1_27merge_sort_block_merge_implIS3_PiN6thrust23THRUST_200600_302600_NS10device_ptrIlEEjNS1_19radix_merge_compareILb0ELb1EiNS0_19identity_decomposerEEEEE10hipError_tT0_T1_T2_jT3_P12ihipStream_tbPNSt15iterator_traitsISG_E10value_typeEPNSM_ISH_E10value_typeEPSI_NS1_7vsmem_tEENKUlT_SG_SH_SI_E_clIS7_S7_SB_PlEESF_SV_SG_SH_SI_EUlSV_E1_NS1_11comp_targetILNS1_3genE5ELNS1_11target_archE942ELNS1_3gpuE9ELNS1_3repE0EEENS1_36merge_oddeven_config_static_selectorELNS0_4arch9wavefront6targetE1EEEvSH_.has_indirect_call, 0
	.section	.AMDGPU.csdata,"",@progbits
; Kernel info:
; codeLenInByte = 0
; TotalNumSgprs: 4
; NumVgprs: 0
; ScratchSize: 0
; MemoryBound: 0
; FloatMode: 240
; IeeeMode: 1
; LDSByteSize: 0 bytes/workgroup (compile time only)
; SGPRBlocks: 0
; VGPRBlocks: 0
; NumSGPRsForWavesPerEU: 4
; NumVGPRsForWavesPerEU: 1
; Occupancy: 10
; WaveLimiterHint : 0
; COMPUTE_PGM_RSRC2:SCRATCH_EN: 0
; COMPUTE_PGM_RSRC2:USER_SGPR: 6
; COMPUTE_PGM_RSRC2:TRAP_HANDLER: 0
; COMPUTE_PGM_RSRC2:TGID_X_EN: 1
; COMPUTE_PGM_RSRC2:TGID_Y_EN: 0
; COMPUTE_PGM_RSRC2:TGID_Z_EN: 0
; COMPUTE_PGM_RSRC2:TIDIG_COMP_CNT: 0
	.section	.text._ZN7rocprim17ROCPRIM_400000_NS6detail17trampoline_kernelINS0_14default_configENS1_38merge_sort_block_merge_config_selectorIilEEZZNS1_27merge_sort_block_merge_implIS3_PiN6thrust23THRUST_200600_302600_NS10device_ptrIlEEjNS1_19radix_merge_compareILb0ELb1EiNS0_19identity_decomposerEEEEE10hipError_tT0_T1_T2_jT3_P12ihipStream_tbPNSt15iterator_traitsISG_E10value_typeEPNSM_ISH_E10value_typeEPSI_NS1_7vsmem_tEENKUlT_SG_SH_SI_E_clIS7_S7_SB_PlEESF_SV_SG_SH_SI_EUlSV_E1_NS1_11comp_targetILNS1_3genE4ELNS1_11target_archE910ELNS1_3gpuE8ELNS1_3repE0EEENS1_36merge_oddeven_config_static_selectorELNS0_4arch9wavefront6targetE1EEEvSH_,"axG",@progbits,_ZN7rocprim17ROCPRIM_400000_NS6detail17trampoline_kernelINS0_14default_configENS1_38merge_sort_block_merge_config_selectorIilEEZZNS1_27merge_sort_block_merge_implIS3_PiN6thrust23THRUST_200600_302600_NS10device_ptrIlEEjNS1_19radix_merge_compareILb0ELb1EiNS0_19identity_decomposerEEEEE10hipError_tT0_T1_T2_jT3_P12ihipStream_tbPNSt15iterator_traitsISG_E10value_typeEPNSM_ISH_E10value_typeEPSI_NS1_7vsmem_tEENKUlT_SG_SH_SI_E_clIS7_S7_SB_PlEESF_SV_SG_SH_SI_EUlSV_E1_NS1_11comp_targetILNS1_3genE4ELNS1_11target_archE910ELNS1_3gpuE8ELNS1_3repE0EEENS1_36merge_oddeven_config_static_selectorELNS0_4arch9wavefront6targetE1EEEvSH_,comdat
	.protected	_ZN7rocprim17ROCPRIM_400000_NS6detail17trampoline_kernelINS0_14default_configENS1_38merge_sort_block_merge_config_selectorIilEEZZNS1_27merge_sort_block_merge_implIS3_PiN6thrust23THRUST_200600_302600_NS10device_ptrIlEEjNS1_19radix_merge_compareILb0ELb1EiNS0_19identity_decomposerEEEEE10hipError_tT0_T1_T2_jT3_P12ihipStream_tbPNSt15iterator_traitsISG_E10value_typeEPNSM_ISH_E10value_typeEPSI_NS1_7vsmem_tEENKUlT_SG_SH_SI_E_clIS7_S7_SB_PlEESF_SV_SG_SH_SI_EUlSV_E1_NS1_11comp_targetILNS1_3genE4ELNS1_11target_archE910ELNS1_3gpuE8ELNS1_3repE0EEENS1_36merge_oddeven_config_static_selectorELNS0_4arch9wavefront6targetE1EEEvSH_ ; -- Begin function _ZN7rocprim17ROCPRIM_400000_NS6detail17trampoline_kernelINS0_14default_configENS1_38merge_sort_block_merge_config_selectorIilEEZZNS1_27merge_sort_block_merge_implIS3_PiN6thrust23THRUST_200600_302600_NS10device_ptrIlEEjNS1_19radix_merge_compareILb0ELb1EiNS0_19identity_decomposerEEEEE10hipError_tT0_T1_T2_jT3_P12ihipStream_tbPNSt15iterator_traitsISG_E10value_typeEPNSM_ISH_E10value_typeEPSI_NS1_7vsmem_tEENKUlT_SG_SH_SI_E_clIS7_S7_SB_PlEESF_SV_SG_SH_SI_EUlSV_E1_NS1_11comp_targetILNS1_3genE4ELNS1_11target_archE910ELNS1_3gpuE8ELNS1_3repE0EEENS1_36merge_oddeven_config_static_selectorELNS0_4arch9wavefront6targetE1EEEvSH_
	.globl	_ZN7rocprim17ROCPRIM_400000_NS6detail17trampoline_kernelINS0_14default_configENS1_38merge_sort_block_merge_config_selectorIilEEZZNS1_27merge_sort_block_merge_implIS3_PiN6thrust23THRUST_200600_302600_NS10device_ptrIlEEjNS1_19radix_merge_compareILb0ELb1EiNS0_19identity_decomposerEEEEE10hipError_tT0_T1_T2_jT3_P12ihipStream_tbPNSt15iterator_traitsISG_E10value_typeEPNSM_ISH_E10value_typeEPSI_NS1_7vsmem_tEENKUlT_SG_SH_SI_E_clIS7_S7_SB_PlEESF_SV_SG_SH_SI_EUlSV_E1_NS1_11comp_targetILNS1_3genE4ELNS1_11target_archE910ELNS1_3gpuE8ELNS1_3repE0EEENS1_36merge_oddeven_config_static_selectorELNS0_4arch9wavefront6targetE1EEEvSH_
	.p2align	8
	.type	_ZN7rocprim17ROCPRIM_400000_NS6detail17trampoline_kernelINS0_14default_configENS1_38merge_sort_block_merge_config_selectorIilEEZZNS1_27merge_sort_block_merge_implIS3_PiN6thrust23THRUST_200600_302600_NS10device_ptrIlEEjNS1_19radix_merge_compareILb0ELb1EiNS0_19identity_decomposerEEEEE10hipError_tT0_T1_T2_jT3_P12ihipStream_tbPNSt15iterator_traitsISG_E10value_typeEPNSM_ISH_E10value_typeEPSI_NS1_7vsmem_tEENKUlT_SG_SH_SI_E_clIS7_S7_SB_PlEESF_SV_SG_SH_SI_EUlSV_E1_NS1_11comp_targetILNS1_3genE4ELNS1_11target_archE910ELNS1_3gpuE8ELNS1_3repE0EEENS1_36merge_oddeven_config_static_selectorELNS0_4arch9wavefront6targetE1EEEvSH_,@function
_ZN7rocprim17ROCPRIM_400000_NS6detail17trampoline_kernelINS0_14default_configENS1_38merge_sort_block_merge_config_selectorIilEEZZNS1_27merge_sort_block_merge_implIS3_PiN6thrust23THRUST_200600_302600_NS10device_ptrIlEEjNS1_19radix_merge_compareILb0ELb1EiNS0_19identity_decomposerEEEEE10hipError_tT0_T1_T2_jT3_P12ihipStream_tbPNSt15iterator_traitsISG_E10value_typeEPNSM_ISH_E10value_typeEPSI_NS1_7vsmem_tEENKUlT_SG_SH_SI_E_clIS7_S7_SB_PlEESF_SV_SG_SH_SI_EUlSV_E1_NS1_11comp_targetILNS1_3genE4ELNS1_11target_archE910ELNS1_3gpuE8ELNS1_3repE0EEENS1_36merge_oddeven_config_static_selectorELNS0_4arch9wavefront6targetE1EEEvSH_: ; @_ZN7rocprim17ROCPRIM_400000_NS6detail17trampoline_kernelINS0_14default_configENS1_38merge_sort_block_merge_config_selectorIilEEZZNS1_27merge_sort_block_merge_implIS3_PiN6thrust23THRUST_200600_302600_NS10device_ptrIlEEjNS1_19radix_merge_compareILb0ELb1EiNS0_19identity_decomposerEEEEE10hipError_tT0_T1_T2_jT3_P12ihipStream_tbPNSt15iterator_traitsISG_E10value_typeEPNSM_ISH_E10value_typeEPSI_NS1_7vsmem_tEENKUlT_SG_SH_SI_E_clIS7_S7_SB_PlEESF_SV_SG_SH_SI_EUlSV_E1_NS1_11comp_targetILNS1_3genE4ELNS1_11target_archE910ELNS1_3gpuE8ELNS1_3repE0EEENS1_36merge_oddeven_config_static_selectorELNS0_4arch9wavefront6targetE1EEEvSH_
; %bb.0:
	.section	.rodata,"a",@progbits
	.p2align	6, 0x0
	.amdhsa_kernel _ZN7rocprim17ROCPRIM_400000_NS6detail17trampoline_kernelINS0_14default_configENS1_38merge_sort_block_merge_config_selectorIilEEZZNS1_27merge_sort_block_merge_implIS3_PiN6thrust23THRUST_200600_302600_NS10device_ptrIlEEjNS1_19radix_merge_compareILb0ELb1EiNS0_19identity_decomposerEEEEE10hipError_tT0_T1_T2_jT3_P12ihipStream_tbPNSt15iterator_traitsISG_E10value_typeEPNSM_ISH_E10value_typeEPSI_NS1_7vsmem_tEENKUlT_SG_SH_SI_E_clIS7_S7_SB_PlEESF_SV_SG_SH_SI_EUlSV_E1_NS1_11comp_targetILNS1_3genE4ELNS1_11target_archE910ELNS1_3gpuE8ELNS1_3repE0EEENS1_36merge_oddeven_config_static_selectorELNS0_4arch9wavefront6targetE1EEEvSH_
		.amdhsa_group_segment_fixed_size 0
		.amdhsa_private_segment_fixed_size 0
		.amdhsa_kernarg_size 48
		.amdhsa_user_sgpr_count 6
		.amdhsa_user_sgpr_private_segment_buffer 1
		.amdhsa_user_sgpr_dispatch_ptr 0
		.amdhsa_user_sgpr_queue_ptr 0
		.amdhsa_user_sgpr_kernarg_segment_ptr 1
		.amdhsa_user_sgpr_dispatch_id 0
		.amdhsa_user_sgpr_flat_scratch_init 0
		.amdhsa_user_sgpr_private_segment_size 0
		.amdhsa_uses_dynamic_stack 0
		.amdhsa_system_sgpr_private_segment_wavefront_offset 0
		.amdhsa_system_sgpr_workgroup_id_x 1
		.amdhsa_system_sgpr_workgroup_id_y 0
		.amdhsa_system_sgpr_workgroup_id_z 0
		.amdhsa_system_sgpr_workgroup_info 0
		.amdhsa_system_vgpr_workitem_id 0
		.amdhsa_next_free_vgpr 1
		.amdhsa_next_free_sgpr 0
		.amdhsa_reserve_vcc 0
		.amdhsa_reserve_flat_scratch 0
		.amdhsa_float_round_mode_32 0
		.amdhsa_float_round_mode_16_64 0
		.amdhsa_float_denorm_mode_32 3
		.amdhsa_float_denorm_mode_16_64 3
		.amdhsa_dx10_clamp 1
		.amdhsa_ieee_mode 1
		.amdhsa_fp16_overflow 0
		.amdhsa_exception_fp_ieee_invalid_op 0
		.amdhsa_exception_fp_denorm_src 0
		.amdhsa_exception_fp_ieee_div_zero 0
		.amdhsa_exception_fp_ieee_overflow 0
		.amdhsa_exception_fp_ieee_underflow 0
		.amdhsa_exception_fp_ieee_inexact 0
		.amdhsa_exception_int_div_zero 0
	.end_amdhsa_kernel
	.section	.text._ZN7rocprim17ROCPRIM_400000_NS6detail17trampoline_kernelINS0_14default_configENS1_38merge_sort_block_merge_config_selectorIilEEZZNS1_27merge_sort_block_merge_implIS3_PiN6thrust23THRUST_200600_302600_NS10device_ptrIlEEjNS1_19radix_merge_compareILb0ELb1EiNS0_19identity_decomposerEEEEE10hipError_tT0_T1_T2_jT3_P12ihipStream_tbPNSt15iterator_traitsISG_E10value_typeEPNSM_ISH_E10value_typeEPSI_NS1_7vsmem_tEENKUlT_SG_SH_SI_E_clIS7_S7_SB_PlEESF_SV_SG_SH_SI_EUlSV_E1_NS1_11comp_targetILNS1_3genE4ELNS1_11target_archE910ELNS1_3gpuE8ELNS1_3repE0EEENS1_36merge_oddeven_config_static_selectorELNS0_4arch9wavefront6targetE1EEEvSH_,"axG",@progbits,_ZN7rocprim17ROCPRIM_400000_NS6detail17trampoline_kernelINS0_14default_configENS1_38merge_sort_block_merge_config_selectorIilEEZZNS1_27merge_sort_block_merge_implIS3_PiN6thrust23THRUST_200600_302600_NS10device_ptrIlEEjNS1_19radix_merge_compareILb0ELb1EiNS0_19identity_decomposerEEEEE10hipError_tT0_T1_T2_jT3_P12ihipStream_tbPNSt15iterator_traitsISG_E10value_typeEPNSM_ISH_E10value_typeEPSI_NS1_7vsmem_tEENKUlT_SG_SH_SI_E_clIS7_S7_SB_PlEESF_SV_SG_SH_SI_EUlSV_E1_NS1_11comp_targetILNS1_3genE4ELNS1_11target_archE910ELNS1_3gpuE8ELNS1_3repE0EEENS1_36merge_oddeven_config_static_selectorELNS0_4arch9wavefront6targetE1EEEvSH_,comdat
.Lfunc_end843:
	.size	_ZN7rocprim17ROCPRIM_400000_NS6detail17trampoline_kernelINS0_14default_configENS1_38merge_sort_block_merge_config_selectorIilEEZZNS1_27merge_sort_block_merge_implIS3_PiN6thrust23THRUST_200600_302600_NS10device_ptrIlEEjNS1_19radix_merge_compareILb0ELb1EiNS0_19identity_decomposerEEEEE10hipError_tT0_T1_T2_jT3_P12ihipStream_tbPNSt15iterator_traitsISG_E10value_typeEPNSM_ISH_E10value_typeEPSI_NS1_7vsmem_tEENKUlT_SG_SH_SI_E_clIS7_S7_SB_PlEESF_SV_SG_SH_SI_EUlSV_E1_NS1_11comp_targetILNS1_3genE4ELNS1_11target_archE910ELNS1_3gpuE8ELNS1_3repE0EEENS1_36merge_oddeven_config_static_selectorELNS0_4arch9wavefront6targetE1EEEvSH_, .Lfunc_end843-_ZN7rocprim17ROCPRIM_400000_NS6detail17trampoline_kernelINS0_14default_configENS1_38merge_sort_block_merge_config_selectorIilEEZZNS1_27merge_sort_block_merge_implIS3_PiN6thrust23THRUST_200600_302600_NS10device_ptrIlEEjNS1_19radix_merge_compareILb0ELb1EiNS0_19identity_decomposerEEEEE10hipError_tT0_T1_T2_jT3_P12ihipStream_tbPNSt15iterator_traitsISG_E10value_typeEPNSM_ISH_E10value_typeEPSI_NS1_7vsmem_tEENKUlT_SG_SH_SI_E_clIS7_S7_SB_PlEESF_SV_SG_SH_SI_EUlSV_E1_NS1_11comp_targetILNS1_3genE4ELNS1_11target_archE910ELNS1_3gpuE8ELNS1_3repE0EEENS1_36merge_oddeven_config_static_selectorELNS0_4arch9wavefront6targetE1EEEvSH_
                                        ; -- End function
	.set _ZN7rocprim17ROCPRIM_400000_NS6detail17trampoline_kernelINS0_14default_configENS1_38merge_sort_block_merge_config_selectorIilEEZZNS1_27merge_sort_block_merge_implIS3_PiN6thrust23THRUST_200600_302600_NS10device_ptrIlEEjNS1_19radix_merge_compareILb0ELb1EiNS0_19identity_decomposerEEEEE10hipError_tT0_T1_T2_jT3_P12ihipStream_tbPNSt15iterator_traitsISG_E10value_typeEPNSM_ISH_E10value_typeEPSI_NS1_7vsmem_tEENKUlT_SG_SH_SI_E_clIS7_S7_SB_PlEESF_SV_SG_SH_SI_EUlSV_E1_NS1_11comp_targetILNS1_3genE4ELNS1_11target_archE910ELNS1_3gpuE8ELNS1_3repE0EEENS1_36merge_oddeven_config_static_selectorELNS0_4arch9wavefront6targetE1EEEvSH_.num_vgpr, 0
	.set _ZN7rocprim17ROCPRIM_400000_NS6detail17trampoline_kernelINS0_14default_configENS1_38merge_sort_block_merge_config_selectorIilEEZZNS1_27merge_sort_block_merge_implIS3_PiN6thrust23THRUST_200600_302600_NS10device_ptrIlEEjNS1_19radix_merge_compareILb0ELb1EiNS0_19identity_decomposerEEEEE10hipError_tT0_T1_T2_jT3_P12ihipStream_tbPNSt15iterator_traitsISG_E10value_typeEPNSM_ISH_E10value_typeEPSI_NS1_7vsmem_tEENKUlT_SG_SH_SI_E_clIS7_S7_SB_PlEESF_SV_SG_SH_SI_EUlSV_E1_NS1_11comp_targetILNS1_3genE4ELNS1_11target_archE910ELNS1_3gpuE8ELNS1_3repE0EEENS1_36merge_oddeven_config_static_selectorELNS0_4arch9wavefront6targetE1EEEvSH_.num_agpr, 0
	.set _ZN7rocprim17ROCPRIM_400000_NS6detail17trampoline_kernelINS0_14default_configENS1_38merge_sort_block_merge_config_selectorIilEEZZNS1_27merge_sort_block_merge_implIS3_PiN6thrust23THRUST_200600_302600_NS10device_ptrIlEEjNS1_19radix_merge_compareILb0ELb1EiNS0_19identity_decomposerEEEEE10hipError_tT0_T1_T2_jT3_P12ihipStream_tbPNSt15iterator_traitsISG_E10value_typeEPNSM_ISH_E10value_typeEPSI_NS1_7vsmem_tEENKUlT_SG_SH_SI_E_clIS7_S7_SB_PlEESF_SV_SG_SH_SI_EUlSV_E1_NS1_11comp_targetILNS1_3genE4ELNS1_11target_archE910ELNS1_3gpuE8ELNS1_3repE0EEENS1_36merge_oddeven_config_static_selectorELNS0_4arch9wavefront6targetE1EEEvSH_.numbered_sgpr, 0
	.set _ZN7rocprim17ROCPRIM_400000_NS6detail17trampoline_kernelINS0_14default_configENS1_38merge_sort_block_merge_config_selectorIilEEZZNS1_27merge_sort_block_merge_implIS3_PiN6thrust23THRUST_200600_302600_NS10device_ptrIlEEjNS1_19radix_merge_compareILb0ELb1EiNS0_19identity_decomposerEEEEE10hipError_tT0_T1_T2_jT3_P12ihipStream_tbPNSt15iterator_traitsISG_E10value_typeEPNSM_ISH_E10value_typeEPSI_NS1_7vsmem_tEENKUlT_SG_SH_SI_E_clIS7_S7_SB_PlEESF_SV_SG_SH_SI_EUlSV_E1_NS1_11comp_targetILNS1_3genE4ELNS1_11target_archE910ELNS1_3gpuE8ELNS1_3repE0EEENS1_36merge_oddeven_config_static_selectorELNS0_4arch9wavefront6targetE1EEEvSH_.num_named_barrier, 0
	.set _ZN7rocprim17ROCPRIM_400000_NS6detail17trampoline_kernelINS0_14default_configENS1_38merge_sort_block_merge_config_selectorIilEEZZNS1_27merge_sort_block_merge_implIS3_PiN6thrust23THRUST_200600_302600_NS10device_ptrIlEEjNS1_19radix_merge_compareILb0ELb1EiNS0_19identity_decomposerEEEEE10hipError_tT0_T1_T2_jT3_P12ihipStream_tbPNSt15iterator_traitsISG_E10value_typeEPNSM_ISH_E10value_typeEPSI_NS1_7vsmem_tEENKUlT_SG_SH_SI_E_clIS7_S7_SB_PlEESF_SV_SG_SH_SI_EUlSV_E1_NS1_11comp_targetILNS1_3genE4ELNS1_11target_archE910ELNS1_3gpuE8ELNS1_3repE0EEENS1_36merge_oddeven_config_static_selectorELNS0_4arch9wavefront6targetE1EEEvSH_.private_seg_size, 0
	.set _ZN7rocprim17ROCPRIM_400000_NS6detail17trampoline_kernelINS0_14default_configENS1_38merge_sort_block_merge_config_selectorIilEEZZNS1_27merge_sort_block_merge_implIS3_PiN6thrust23THRUST_200600_302600_NS10device_ptrIlEEjNS1_19radix_merge_compareILb0ELb1EiNS0_19identity_decomposerEEEEE10hipError_tT0_T1_T2_jT3_P12ihipStream_tbPNSt15iterator_traitsISG_E10value_typeEPNSM_ISH_E10value_typeEPSI_NS1_7vsmem_tEENKUlT_SG_SH_SI_E_clIS7_S7_SB_PlEESF_SV_SG_SH_SI_EUlSV_E1_NS1_11comp_targetILNS1_3genE4ELNS1_11target_archE910ELNS1_3gpuE8ELNS1_3repE0EEENS1_36merge_oddeven_config_static_selectorELNS0_4arch9wavefront6targetE1EEEvSH_.uses_vcc, 0
	.set _ZN7rocprim17ROCPRIM_400000_NS6detail17trampoline_kernelINS0_14default_configENS1_38merge_sort_block_merge_config_selectorIilEEZZNS1_27merge_sort_block_merge_implIS3_PiN6thrust23THRUST_200600_302600_NS10device_ptrIlEEjNS1_19radix_merge_compareILb0ELb1EiNS0_19identity_decomposerEEEEE10hipError_tT0_T1_T2_jT3_P12ihipStream_tbPNSt15iterator_traitsISG_E10value_typeEPNSM_ISH_E10value_typeEPSI_NS1_7vsmem_tEENKUlT_SG_SH_SI_E_clIS7_S7_SB_PlEESF_SV_SG_SH_SI_EUlSV_E1_NS1_11comp_targetILNS1_3genE4ELNS1_11target_archE910ELNS1_3gpuE8ELNS1_3repE0EEENS1_36merge_oddeven_config_static_selectorELNS0_4arch9wavefront6targetE1EEEvSH_.uses_flat_scratch, 0
	.set _ZN7rocprim17ROCPRIM_400000_NS6detail17trampoline_kernelINS0_14default_configENS1_38merge_sort_block_merge_config_selectorIilEEZZNS1_27merge_sort_block_merge_implIS3_PiN6thrust23THRUST_200600_302600_NS10device_ptrIlEEjNS1_19radix_merge_compareILb0ELb1EiNS0_19identity_decomposerEEEEE10hipError_tT0_T1_T2_jT3_P12ihipStream_tbPNSt15iterator_traitsISG_E10value_typeEPNSM_ISH_E10value_typeEPSI_NS1_7vsmem_tEENKUlT_SG_SH_SI_E_clIS7_S7_SB_PlEESF_SV_SG_SH_SI_EUlSV_E1_NS1_11comp_targetILNS1_3genE4ELNS1_11target_archE910ELNS1_3gpuE8ELNS1_3repE0EEENS1_36merge_oddeven_config_static_selectorELNS0_4arch9wavefront6targetE1EEEvSH_.has_dyn_sized_stack, 0
	.set _ZN7rocprim17ROCPRIM_400000_NS6detail17trampoline_kernelINS0_14default_configENS1_38merge_sort_block_merge_config_selectorIilEEZZNS1_27merge_sort_block_merge_implIS3_PiN6thrust23THRUST_200600_302600_NS10device_ptrIlEEjNS1_19radix_merge_compareILb0ELb1EiNS0_19identity_decomposerEEEEE10hipError_tT0_T1_T2_jT3_P12ihipStream_tbPNSt15iterator_traitsISG_E10value_typeEPNSM_ISH_E10value_typeEPSI_NS1_7vsmem_tEENKUlT_SG_SH_SI_E_clIS7_S7_SB_PlEESF_SV_SG_SH_SI_EUlSV_E1_NS1_11comp_targetILNS1_3genE4ELNS1_11target_archE910ELNS1_3gpuE8ELNS1_3repE0EEENS1_36merge_oddeven_config_static_selectorELNS0_4arch9wavefront6targetE1EEEvSH_.has_recursion, 0
	.set _ZN7rocprim17ROCPRIM_400000_NS6detail17trampoline_kernelINS0_14default_configENS1_38merge_sort_block_merge_config_selectorIilEEZZNS1_27merge_sort_block_merge_implIS3_PiN6thrust23THRUST_200600_302600_NS10device_ptrIlEEjNS1_19radix_merge_compareILb0ELb1EiNS0_19identity_decomposerEEEEE10hipError_tT0_T1_T2_jT3_P12ihipStream_tbPNSt15iterator_traitsISG_E10value_typeEPNSM_ISH_E10value_typeEPSI_NS1_7vsmem_tEENKUlT_SG_SH_SI_E_clIS7_S7_SB_PlEESF_SV_SG_SH_SI_EUlSV_E1_NS1_11comp_targetILNS1_3genE4ELNS1_11target_archE910ELNS1_3gpuE8ELNS1_3repE0EEENS1_36merge_oddeven_config_static_selectorELNS0_4arch9wavefront6targetE1EEEvSH_.has_indirect_call, 0
	.section	.AMDGPU.csdata,"",@progbits
; Kernel info:
; codeLenInByte = 0
; TotalNumSgprs: 4
; NumVgprs: 0
; ScratchSize: 0
; MemoryBound: 0
; FloatMode: 240
; IeeeMode: 1
; LDSByteSize: 0 bytes/workgroup (compile time only)
; SGPRBlocks: 0
; VGPRBlocks: 0
; NumSGPRsForWavesPerEU: 4
; NumVGPRsForWavesPerEU: 1
; Occupancy: 10
; WaveLimiterHint : 0
; COMPUTE_PGM_RSRC2:SCRATCH_EN: 0
; COMPUTE_PGM_RSRC2:USER_SGPR: 6
; COMPUTE_PGM_RSRC2:TRAP_HANDLER: 0
; COMPUTE_PGM_RSRC2:TGID_X_EN: 1
; COMPUTE_PGM_RSRC2:TGID_Y_EN: 0
; COMPUTE_PGM_RSRC2:TGID_Z_EN: 0
; COMPUTE_PGM_RSRC2:TIDIG_COMP_CNT: 0
	.section	.text._ZN7rocprim17ROCPRIM_400000_NS6detail17trampoline_kernelINS0_14default_configENS1_38merge_sort_block_merge_config_selectorIilEEZZNS1_27merge_sort_block_merge_implIS3_PiN6thrust23THRUST_200600_302600_NS10device_ptrIlEEjNS1_19radix_merge_compareILb0ELb1EiNS0_19identity_decomposerEEEEE10hipError_tT0_T1_T2_jT3_P12ihipStream_tbPNSt15iterator_traitsISG_E10value_typeEPNSM_ISH_E10value_typeEPSI_NS1_7vsmem_tEENKUlT_SG_SH_SI_E_clIS7_S7_SB_PlEESF_SV_SG_SH_SI_EUlSV_E1_NS1_11comp_targetILNS1_3genE3ELNS1_11target_archE908ELNS1_3gpuE7ELNS1_3repE0EEENS1_36merge_oddeven_config_static_selectorELNS0_4arch9wavefront6targetE1EEEvSH_,"axG",@progbits,_ZN7rocprim17ROCPRIM_400000_NS6detail17trampoline_kernelINS0_14default_configENS1_38merge_sort_block_merge_config_selectorIilEEZZNS1_27merge_sort_block_merge_implIS3_PiN6thrust23THRUST_200600_302600_NS10device_ptrIlEEjNS1_19radix_merge_compareILb0ELb1EiNS0_19identity_decomposerEEEEE10hipError_tT0_T1_T2_jT3_P12ihipStream_tbPNSt15iterator_traitsISG_E10value_typeEPNSM_ISH_E10value_typeEPSI_NS1_7vsmem_tEENKUlT_SG_SH_SI_E_clIS7_S7_SB_PlEESF_SV_SG_SH_SI_EUlSV_E1_NS1_11comp_targetILNS1_3genE3ELNS1_11target_archE908ELNS1_3gpuE7ELNS1_3repE0EEENS1_36merge_oddeven_config_static_selectorELNS0_4arch9wavefront6targetE1EEEvSH_,comdat
	.protected	_ZN7rocprim17ROCPRIM_400000_NS6detail17trampoline_kernelINS0_14default_configENS1_38merge_sort_block_merge_config_selectorIilEEZZNS1_27merge_sort_block_merge_implIS3_PiN6thrust23THRUST_200600_302600_NS10device_ptrIlEEjNS1_19radix_merge_compareILb0ELb1EiNS0_19identity_decomposerEEEEE10hipError_tT0_T1_T2_jT3_P12ihipStream_tbPNSt15iterator_traitsISG_E10value_typeEPNSM_ISH_E10value_typeEPSI_NS1_7vsmem_tEENKUlT_SG_SH_SI_E_clIS7_S7_SB_PlEESF_SV_SG_SH_SI_EUlSV_E1_NS1_11comp_targetILNS1_3genE3ELNS1_11target_archE908ELNS1_3gpuE7ELNS1_3repE0EEENS1_36merge_oddeven_config_static_selectorELNS0_4arch9wavefront6targetE1EEEvSH_ ; -- Begin function _ZN7rocprim17ROCPRIM_400000_NS6detail17trampoline_kernelINS0_14default_configENS1_38merge_sort_block_merge_config_selectorIilEEZZNS1_27merge_sort_block_merge_implIS3_PiN6thrust23THRUST_200600_302600_NS10device_ptrIlEEjNS1_19radix_merge_compareILb0ELb1EiNS0_19identity_decomposerEEEEE10hipError_tT0_T1_T2_jT3_P12ihipStream_tbPNSt15iterator_traitsISG_E10value_typeEPNSM_ISH_E10value_typeEPSI_NS1_7vsmem_tEENKUlT_SG_SH_SI_E_clIS7_S7_SB_PlEESF_SV_SG_SH_SI_EUlSV_E1_NS1_11comp_targetILNS1_3genE3ELNS1_11target_archE908ELNS1_3gpuE7ELNS1_3repE0EEENS1_36merge_oddeven_config_static_selectorELNS0_4arch9wavefront6targetE1EEEvSH_
	.globl	_ZN7rocprim17ROCPRIM_400000_NS6detail17trampoline_kernelINS0_14default_configENS1_38merge_sort_block_merge_config_selectorIilEEZZNS1_27merge_sort_block_merge_implIS3_PiN6thrust23THRUST_200600_302600_NS10device_ptrIlEEjNS1_19radix_merge_compareILb0ELb1EiNS0_19identity_decomposerEEEEE10hipError_tT0_T1_T2_jT3_P12ihipStream_tbPNSt15iterator_traitsISG_E10value_typeEPNSM_ISH_E10value_typeEPSI_NS1_7vsmem_tEENKUlT_SG_SH_SI_E_clIS7_S7_SB_PlEESF_SV_SG_SH_SI_EUlSV_E1_NS1_11comp_targetILNS1_3genE3ELNS1_11target_archE908ELNS1_3gpuE7ELNS1_3repE0EEENS1_36merge_oddeven_config_static_selectorELNS0_4arch9wavefront6targetE1EEEvSH_
	.p2align	8
	.type	_ZN7rocprim17ROCPRIM_400000_NS6detail17trampoline_kernelINS0_14default_configENS1_38merge_sort_block_merge_config_selectorIilEEZZNS1_27merge_sort_block_merge_implIS3_PiN6thrust23THRUST_200600_302600_NS10device_ptrIlEEjNS1_19radix_merge_compareILb0ELb1EiNS0_19identity_decomposerEEEEE10hipError_tT0_T1_T2_jT3_P12ihipStream_tbPNSt15iterator_traitsISG_E10value_typeEPNSM_ISH_E10value_typeEPSI_NS1_7vsmem_tEENKUlT_SG_SH_SI_E_clIS7_S7_SB_PlEESF_SV_SG_SH_SI_EUlSV_E1_NS1_11comp_targetILNS1_3genE3ELNS1_11target_archE908ELNS1_3gpuE7ELNS1_3repE0EEENS1_36merge_oddeven_config_static_selectorELNS0_4arch9wavefront6targetE1EEEvSH_,@function
_ZN7rocprim17ROCPRIM_400000_NS6detail17trampoline_kernelINS0_14default_configENS1_38merge_sort_block_merge_config_selectorIilEEZZNS1_27merge_sort_block_merge_implIS3_PiN6thrust23THRUST_200600_302600_NS10device_ptrIlEEjNS1_19radix_merge_compareILb0ELb1EiNS0_19identity_decomposerEEEEE10hipError_tT0_T1_T2_jT3_P12ihipStream_tbPNSt15iterator_traitsISG_E10value_typeEPNSM_ISH_E10value_typeEPSI_NS1_7vsmem_tEENKUlT_SG_SH_SI_E_clIS7_S7_SB_PlEESF_SV_SG_SH_SI_EUlSV_E1_NS1_11comp_targetILNS1_3genE3ELNS1_11target_archE908ELNS1_3gpuE7ELNS1_3repE0EEENS1_36merge_oddeven_config_static_selectorELNS0_4arch9wavefront6targetE1EEEvSH_: ; @_ZN7rocprim17ROCPRIM_400000_NS6detail17trampoline_kernelINS0_14default_configENS1_38merge_sort_block_merge_config_selectorIilEEZZNS1_27merge_sort_block_merge_implIS3_PiN6thrust23THRUST_200600_302600_NS10device_ptrIlEEjNS1_19radix_merge_compareILb0ELb1EiNS0_19identity_decomposerEEEEE10hipError_tT0_T1_T2_jT3_P12ihipStream_tbPNSt15iterator_traitsISG_E10value_typeEPNSM_ISH_E10value_typeEPSI_NS1_7vsmem_tEENKUlT_SG_SH_SI_E_clIS7_S7_SB_PlEESF_SV_SG_SH_SI_EUlSV_E1_NS1_11comp_targetILNS1_3genE3ELNS1_11target_archE908ELNS1_3gpuE7ELNS1_3repE0EEENS1_36merge_oddeven_config_static_selectorELNS0_4arch9wavefront6targetE1EEEvSH_
; %bb.0:
	.section	.rodata,"a",@progbits
	.p2align	6, 0x0
	.amdhsa_kernel _ZN7rocprim17ROCPRIM_400000_NS6detail17trampoline_kernelINS0_14default_configENS1_38merge_sort_block_merge_config_selectorIilEEZZNS1_27merge_sort_block_merge_implIS3_PiN6thrust23THRUST_200600_302600_NS10device_ptrIlEEjNS1_19radix_merge_compareILb0ELb1EiNS0_19identity_decomposerEEEEE10hipError_tT0_T1_T2_jT3_P12ihipStream_tbPNSt15iterator_traitsISG_E10value_typeEPNSM_ISH_E10value_typeEPSI_NS1_7vsmem_tEENKUlT_SG_SH_SI_E_clIS7_S7_SB_PlEESF_SV_SG_SH_SI_EUlSV_E1_NS1_11comp_targetILNS1_3genE3ELNS1_11target_archE908ELNS1_3gpuE7ELNS1_3repE0EEENS1_36merge_oddeven_config_static_selectorELNS0_4arch9wavefront6targetE1EEEvSH_
		.amdhsa_group_segment_fixed_size 0
		.amdhsa_private_segment_fixed_size 0
		.amdhsa_kernarg_size 48
		.amdhsa_user_sgpr_count 6
		.amdhsa_user_sgpr_private_segment_buffer 1
		.amdhsa_user_sgpr_dispatch_ptr 0
		.amdhsa_user_sgpr_queue_ptr 0
		.amdhsa_user_sgpr_kernarg_segment_ptr 1
		.amdhsa_user_sgpr_dispatch_id 0
		.amdhsa_user_sgpr_flat_scratch_init 0
		.amdhsa_user_sgpr_private_segment_size 0
		.amdhsa_uses_dynamic_stack 0
		.amdhsa_system_sgpr_private_segment_wavefront_offset 0
		.amdhsa_system_sgpr_workgroup_id_x 1
		.amdhsa_system_sgpr_workgroup_id_y 0
		.amdhsa_system_sgpr_workgroup_id_z 0
		.amdhsa_system_sgpr_workgroup_info 0
		.amdhsa_system_vgpr_workitem_id 0
		.amdhsa_next_free_vgpr 1
		.amdhsa_next_free_sgpr 0
		.amdhsa_reserve_vcc 0
		.amdhsa_reserve_flat_scratch 0
		.amdhsa_float_round_mode_32 0
		.amdhsa_float_round_mode_16_64 0
		.amdhsa_float_denorm_mode_32 3
		.amdhsa_float_denorm_mode_16_64 3
		.amdhsa_dx10_clamp 1
		.amdhsa_ieee_mode 1
		.amdhsa_fp16_overflow 0
		.amdhsa_exception_fp_ieee_invalid_op 0
		.amdhsa_exception_fp_denorm_src 0
		.amdhsa_exception_fp_ieee_div_zero 0
		.amdhsa_exception_fp_ieee_overflow 0
		.amdhsa_exception_fp_ieee_underflow 0
		.amdhsa_exception_fp_ieee_inexact 0
		.amdhsa_exception_int_div_zero 0
	.end_amdhsa_kernel
	.section	.text._ZN7rocprim17ROCPRIM_400000_NS6detail17trampoline_kernelINS0_14default_configENS1_38merge_sort_block_merge_config_selectorIilEEZZNS1_27merge_sort_block_merge_implIS3_PiN6thrust23THRUST_200600_302600_NS10device_ptrIlEEjNS1_19radix_merge_compareILb0ELb1EiNS0_19identity_decomposerEEEEE10hipError_tT0_T1_T2_jT3_P12ihipStream_tbPNSt15iterator_traitsISG_E10value_typeEPNSM_ISH_E10value_typeEPSI_NS1_7vsmem_tEENKUlT_SG_SH_SI_E_clIS7_S7_SB_PlEESF_SV_SG_SH_SI_EUlSV_E1_NS1_11comp_targetILNS1_3genE3ELNS1_11target_archE908ELNS1_3gpuE7ELNS1_3repE0EEENS1_36merge_oddeven_config_static_selectorELNS0_4arch9wavefront6targetE1EEEvSH_,"axG",@progbits,_ZN7rocprim17ROCPRIM_400000_NS6detail17trampoline_kernelINS0_14default_configENS1_38merge_sort_block_merge_config_selectorIilEEZZNS1_27merge_sort_block_merge_implIS3_PiN6thrust23THRUST_200600_302600_NS10device_ptrIlEEjNS1_19radix_merge_compareILb0ELb1EiNS0_19identity_decomposerEEEEE10hipError_tT0_T1_T2_jT3_P12ihipStream_tbPNSt15iterator_traitsISG_E10value_typeEPNSM_ISH_E10value_typeEPSI_NS1_7vsmem_tEENKUlT_SG_SH_SI_E_clIS7_S7_SB_PlEESF_SV_SG_SH_SI_EUlSV_E1_NS1_11comp_targetILNS1_3genE3ELNS1_11target_archE908ELNS1_3gpuE7ELNS1_3repE0EEENS1_36merge_oddeven_config_static_selectorELNS0_4arch9wavefront6targetE1EEEvSH_,comdat
.Lfunc_end844:
	.size	_ZN7rocprim17ROCPRIM_400000_NS6detail17trampoline_kernelINS0_14default_configENS1_38merge_sort_block_merge_config_selectorIilEEZZNS1_27merge_sort_block_merge_implIS3_PiN6thrust23THRUST_200600_302600_NS10device_ptrIlEEjNS1_19radix_merge_compareILb0ELb1EiNS0_19identity_decomposerEEEEE10hipError_tT0_T1_T2_jT3_P12ihipStream_tbPNSt15iterator_traitsISG_E10value_typeEPNSM_ISH_E10value_typeEPSI_NS1_7vsmem_tEENKUlT_SG_SH_SI_E_clIS7_S7_SB_PlEESF_SV_SG_SH_SI_EUlSV_E1_NS1_11comp_targetILNS1_3genE3ELNS1_11target_archE908ELNS1_3gpuE7ELNS1_3repE0EEENS1_36merge_oddeven_config_static_selectorELNS0_4arch9wavefront6targetE1EEEvSH_, .Lfunc_end844-_ZN7rocprim17ROCPRIM_400000_NS6detail17trampoline_kernelINS0_14default_configENS1_38merge_sort_block_merge_config_selectorIilEEZZNS1_27merge_sort_block_merge_implIS3_PiN6thrust23THRUST_200600_302600_NS10device_ptrIlEEjNS1_19radix_merge_compareILb0ELb1EiNS0_19identity_decomposerEEEEE10hipError_tT0_T1_T2_jT3_P12ihipStream_tbPNSt15iterator_traitsISG_E10value_typeEPNSM_ISH_E10value_typeEPSI_NS1_7vsmem_tEENKUlT_SG_SH_SI_E_clIS7_S7_SB_PlEESF_SV_SG_SH_SI_EUlSV_E1_NS1_11comp_targetILNS1_3genE3ELNS1_11target_archE908ELNS1_3gpuE7ELNS1_3repE0EEENS1_36merge_oddeven_config_static_selectorELNS0_4arch9wavefront6targetE1EEEvSH_
                                        ; -- End function
	.set _ZN7rocprim17ROCPRIM_400000_NS6detail17trampoline_kernelINS0_14default_configENS1_38merge_sort_block_merge_config_selectorIilEEZZNS1_27merge_sort_block_merge_implIS3_PiN6thrust23THRUST_200600_302600_NS10device_ptrIlEEjNS1_19radix_merge_compareILb0ELb1EiNS0_19identity_decomposerEEEEE10hipError_tT0_T1_T2_jT3_P12ihipStream_tbPNSt15iterator_traitsISG_E10value_typeEPNSM_ISH_E10value_typeEPSI_NS1_7vsmem_tEENKUlT_SG_SH_SI_E_clIS7_S7_SB_PlEESF_SV_SG_SH_SI_EUlSV_E1_NS1_11comp_targetILNS1_3genE3ELNS1_11target_archE908ELNS1_3gpuE7ELNS1_3repE0EEENS1_36merge_oddeven_config_static_selectorELNS0_4arch9wavefront6targetE1EEEvSH_.num_vgpr, 0
	.set _ZN7rocprim17ROCPRIM_400000_NS6detail17trampoline_kernelINS0_14default_configENS1_38merge_sort_block_merge_config_selectorIilEEZZNS1_27merge_sort_block_merge_implIS3_PiN6thrust23THRUST_200600_302600_NS10device_ptrIlEEjNS1_19radix_merge_compareILb0ELb1EiNS0_19identity_decomposerEEEEE10hipError_tT0_T1_T2_jT3_P12ihipStream_tbPNSt15iterator_traitsISG_E10value_typeEPNSM_ISH_E10value_typeEPSI_NS1_7vsmem_tEENKUlT_SG_SH_SI_E_clIS7_S7_SB_PlEESF_SV_SG_SH_SI_EUlSV_E1_NS1_11comp_targetILNS1_3genE3ELNS1_11target_archE908ELNS1_3gpuE7ELNS1_3repE0EEENS1_36merge_oddeven_config_static_selectorELNS0_4arch9wavefront6targetE1EEEvSH_.num_agpr, 0
	.set _ZN7rocprim17ROCPRIM_400000_NS6detail17trampoline_kernelINS0_14default_configENS1_38merge_sort_block_merge_config_selectorIilEEZZNS1_27merge_sort_block_merge_implIS3_PiN6thrust23THRUST_200600_302600_NS10device_ptrIlEEjNS1_19radix_merge_compareILb0ELb1EiNS0_19identity_decomposerEEEEE10hipError_tT0_T1_T2_jT3_P12ihipStream_tbPNSt15iterator_traitsISG_E10value_typeEPNSM_ISH_E10value_typeEPSI_NS1_7vsmem_tEENKUlT_SG_SH_SI_E_clIS7_S7_SB_PlEESF_SV_SG_SH_SI_EUlSV_E1_NS1_11comp_targetILNS1_3genE3ELNS1_11target_archE908ELNS1_3gpuE7ELNS1_3repE0EEENS1_36merge_oddeven_config_static_selectorELNS0_4arch9wavefront6targetE1EEEvSH_.numbered_sgpr, 0
	.set _ZN7rocprim17ROCPRIM_400000_NS6detail17trampoline_kernelINS0_14default_configENS1_38merge_sort_block_merge_config_selectorIilEEZZNS1_27merge_sort_block_merge_implIS3_PiN6thrust23THRUST_200600_302600_NS10device_ptrIlEEjNS1_19radix_merge_compareILb0ELb1EiNS0_19identity_decomposerEEEEE10hipError_tT0_T1_T2_jT3_P12ihipStream_tbPNSt15iterator_traitsISG_E10value_typeEPNSM_ISH_E10value_typeEPSI_NS1_7vsmem_tEENKUlT_SG_SH_SI_E_clIS7_S7_SB_PlEESF_SV_SG_SH_SI_EUlSV_E1_NS1_11comp_targetILNS1_3genE3ELNS1_11target_archE908ELNS1_3gpuE7ELNS1_3repE0EEENS1_36merge_oddeven_config_static_selectorELNS0_4arch9wavefront6targetE1EEEvSH_.num_named_barrier, 0
	.set _ZN7rocprim17ROCPRIM_400000_NS6detail17trampoline_kernelINS0_14default_configENS1_38merge_sort_block_merge_config_selectorIilEEZZNS1_27merge_sort_block_merge_implIS3_PiN6thrust23THRUST_200600_302600_NS10device_ptrIlEEjNS1_19radix_merge_compareILb0ELb1EiNS0_19identity_decomposerEEEEE10hipError_tT0_T1_T2_jT3_P12ihipStream_tbPNSt15iterator_traitsISG_E10value_typeEPNSM_ISH_E10value_typeEPSI_NS1_7vsmem_tEENKUlT_SG_SH_SI_E_clIS7_S7_SB_PlEESF_SV_SG_SH_SI_EUlSV_E1_NS1_11comp_targetILNS1_3genE3ELNS1_11target_archE908ELNS1_3gpuE7ELNS1_3repE0EEENS1_36merge_oddeven_config_static_selectorELNS0_4arch9wavefront6targetE1EEEvSH_.private_seg_size, 0
	.set _ZN7rocprim17ROCPRIM_400000_NS6detail17trampoline_kernelINS0_14default_configENS1_38merge_sort_block_merge_config_selectorIilEEZZNS1_27merge_sort_block_merge_implIS3_PiN6thrust23THRUST_200600_302600_NS10device_ptrIlEEjNS1_19radix_merge_compareILb0ELb1EiNS0_19identity_decomposerEEEEE10hipError_tT0_T1_T2_jT3_P12ihipStream_tbPNSt15iterator_traitsISG_E10value_typeEPNSM_ISH_E10value_typeEPSI_NS1_7vsmem_tEENKUlT_SG_SH_SI_E_clIS7_S7_SB_PlEESF_SV_SG_SH_SI_EUlSV_E1_NS1_11comp_targetILNS1_3genE3ELNS1_11target_archE908ELNS1_3gpuE7ELNS1_3repE0EEENS1_36merge_oddeven_config_static_selectorELNS0_4arch9wavefront6targetE1EEEvSH_.uses_vcc, 0
	.set _ZN7rocprim17ROCPRIM_400000_NS6detail17trampoline_kernelINS0_14default_configENS1_38merge_sort_block_merge_config_selectorIilEEZZNS1_27merge_sort_block_merge_implIS3_PiN6thrust23THRUST_200600_302600_NS10device_ptrIlEEjNS1_19radix_merge_compareILb0ELb1EiNS0_19identity_decomposerEEEEE10hipError_tT0_T1_T2_jT3_P12ihipStream_tbPNSt15iterator_traitsISG_E10value_typeEPNSM_ISH_E10value_typeEPSI_NS1_7vsmem_tEENKUlT_SG_SH_SI_E_clIS7_S7_SB_PlEESF_SV_SG_SH_SI_EUlSV_E1_NS1_11comp_targetILNS1_3genE3ELNS1_11target_archE908ELNS1_3gpuE7ELNS1_3repE0EEENS1_36merge_oddeven_config_static_selectorELNS0_4arch9wavefront6targetE1EEEvSH_.uses_flat_scratch, 0
	.set _ZN7rocprim17ROCPRIM_400000_NS6detail17trampoline_kernelINS0_14default_configENS1_38merge_sort_block_merge_config_selectorIilEEZZNS1_27merge_sort_block_merge_implIS3_PiN6thrust23THRUST_200600_302600_NS10device_ptrIlEEjNS1_19radix_merge_compareILb0ELb1EiNS0_19identity_decomposerEEEEE10hipError_tT0_T1_T2_jT3_P12ihipStream_tbPNSt15iterator_traitsISG_E10value_typeEPNSM_ISH_E10value_typeEPSI_NS1_7vsmem_tEENKUlT_SG_SH_SI_E_clIS7_S7_SB_PlEESF_SV_SG_SH_SI_EUlSV_E1_NS1_11comp_targetILNS1_3genE3ELNS1_11target_archE908ELNS1_3gpuE7ELNS1_3repE0EEENS1_36merge_oddeven_config_static_selectorELNS0_4arch9wavefront6targetE1EEEvSH_.has_dyn_sized_stack, 0
	.set _ZN7rocprim17ROCPRIM_400000_NS6detail17trampoline_kernelINS0_14default_configENS1_38merge_sort_block_merge_config_selectorIilEEZZNS1_27merge_sort_block_merge_implIS3_PiN6thrust23THRUST_200600_302600_NS10device_ptrIlEEjNS1_19radix_merge_compareILb0ELb1EiNS0_19identity_decomposerEEEEE10hipError_tT0_T1_T2_jT3_P12ihipStream_tbPNSt15iterator_traitsISG_E10value_typeEPNSM_ISH_E10value_typeEPSI_NS1_7vsmem_tEENKUlT_SG_SH_SI_E_clIS7_S7_SB_PlEESF_SV_SG_SH_SI_EUlSV_E1_NS1_11comp_targetILNS1_3genE3ELNS1_11target_archE908ELNS1_3gpuE7ELNS1_3repE0EEENS1_36merge_oddeven_config_static_selectorELNS0_4arch9wavefront6targetE1EEEvSH_.has_recursion, 0
	.set _ZN7rocprim17ROCPRIM_400000_NS6detail17trampoline_kernelINS0_14default_configENS1_38merge_sort_block_merge_config_selectorIilEEZZNS1_27merge_sort_block_merge_implIS3_PiN6thrust23THRUST_200600_302600_NS10device_ptrIlEEjNS1_19radix_merge_compareILb0ELb1EiNS0_19identity_decomposerEEEEE10hipError_tT0_T1_T2_jT3_P12ihipStream_tbPNSt15iterator_traitsISG_E10value_typeEPNSM_ISH_E10value_typeEPSI_NS1_7vsmem_tEENKUlT_SG_SH_SI_E_clIS7_S7_SB_PlEESF_SV_SG_SH_SI_EUlSV_E1_NS1_11comp_targetILNS1_3genE3ELNS1_11target_archE908ELNS1_3gpuE7ELNS1_3repE0EEENS1_36merge_oddeven_config_static_selectorELNS0_4arch9wavefront6targetE1EEEvSH_.has_indirect_call, 0
	.section	.AMDGPU.csdata,"",@progbits
; Kernel info:
; codeLenInByte = 0
; TotalNumSgprs: 4
; NumVgprs: 0
; ScratchSize: 0
; MemoryBound: 0
; FloatMode: 240
; IeeeMode: 1
; LDSByteSize: 0 bytes/workgroup (compile time only)
; SGPRBlocks: 0
; VGPRBlocks: 0
; NumSGPRsForWavesPerEU: 4
; NumVGPRsForWavesPerEU: 1
; Occupancy: 10
; WaveLimiterHint : 0
; COMPUTE_PGM_RSRC2:SCRATCH_EN: 0
; COMPUTE_PGM_RSRC2:USER_SGPR: 6
; COMPUTE_PGM_RSRC2:TRAP_HANDLER: 0
; COMPUTE_PGM_RSRC2:TGID_X_EN: 1
; COMPUTE_PGM_RSRC2:TGID_Y_EN: 0
; COMPUTE_PGM_RSRC2:TGID_Z_EN: 0
; COMPUTE_PGM_RSRC2:TIDIG_COMP_CNT: 0
	.section	.text._ZN7rocprim17ROCPRIM_400000_NS6detail17trampoline_kernelINS0_14default_configENS1_38merge_sort_block_merge_config_selectorIilEEZZNS1_27merge_sort_block_merge_implIS3_PiN6thrust23THRUST_200600_302600_NS10device_ptrIlEEjNS1_19radix_merge_compareILb0ELb1EiNS0_19identity_decomposerEEEEE10hipError_tT0_T1_T2_jT3_P12ihipStream_tbPNSt15iterator_traitsISG_E10value_typeEPNSM_ISH_E10value_typeEPSI_NS1_7vsmem_tEENKUlT_SG_SH_SI_E_clIS7_S7_SB_PlEESF_SV_SG_SH_SI_EUlSV_E1_NS1_11comp_targetILNS1_3genE2ELNS1_11target_archE906ELNS1_3gpuE6ELNS1_3repE0EEENS1_36merge_oddeven_config_static_selectorELNS0_4arch9wavefront6targetE1EEEvSH_,"axG",@progbits,_ZN7rocprim17ROCPRIM_400000_NS6detail17trampoline_kernelINS0_14default_configENS1_38merge_sort_block_merge_config_selectorIilEEZZNS1_27merge_sort_block_merge_implIS3_PiN6thrust23THRUST_200600_302600_NS10device_ptrIlEEjNS1_19radix_merge_compareILb0ELb1EiNS0_19identity_decomposerEEEEE10hipError_tT0_T1_T2_jT3_P12ihipStream_tbPNSt15iterator_traitsISG_E10value_typeEPNSM_ISH_E10value_typeEPSI_NS1_7vsmem_tEENKUlT_SG_SH_SI_E_clIS7_S7_SB_PlEESF_SV_SG_SH_SI_EUlSV_E1_NS1_11comp_targetILNS1_3genE2ELNS1_11target_archE906ELNS1_3gpuE6ELNS1_3repE0EEENS1_36merge_oddeven_config_static_selectorELNS0_4arch9wavefront6targetE1EEEvSH_,comdat
	.protected	_ZN7rocprim17ROCPRIM_400000_NS6detail17trampoline_kernelINS0_14default_configENS1_38merge_sort_block_merge_config_selectorIilEEZZNS1_27merge_sort_block_merge_implIS3_PiN6thrust23THRUST_200600_302600_NS10device_ptrIlEEjNS1_19radix_merge_compareILb0ELb1EiNS0_19identity_decomposerEEEEE10hipError_tT0_T1_T2_jT3_P12ihipStream_tbPNSt15iterator_traitsISG_E10value_typeEPNSM_ISH_E10value_typeEPSI_NS1_7vsmem_tEENKUlT_SG_SH_SI_E_clIS7_S7_SB_PlEESF_SV_SG_SH_SI_EUlSV_E1_NS1_11comp_targetILNS1_3genE2ELNS1_11target_archE906ELNS1_3gpuE6ELNS1_3repE0EEENS1_36merge_oddeven_config_static_selectorELNS0_4arch9wavefront6targetE1EEEvSH_ ; -- Begin function _ZN7rocprim17ROCPRIM_400000_NS6detail17trampoline_kernelINS0_14default_configENS1_38merge_sort_block_merge_config_selectorIilEEZZNS1_27merge_sort_block_merge_implIS3_PiN6thrust23THRUST_200600_302600_NS10device_ptrIlEEjNS1_19radix_merge_compareILb0ELb1EiNS0_19identity_decomposerEEEEE10hipError_tT0_T1_T2_jT3_P12ihipStream_tbPNSt15iterator_traitsISG_E10value_typeEPNSM_ISH_E10value_typeEPSI_NS1_7vsmem_tEENKUlT_SG_SH_SI_E_clIS7_S7_SB_PlEESF_SV_SG_SH_SI_EUlSV_E1_NS1_11comp_targetILNS1_3genE2ELNS1_11target_archE906ELNS1_3gpuE6ELNS1_3repE0EEENS1_36merge_oddeven_config_static_selectorELNS0_4arch9wavefront6targetE1EEEvSH_
	.globl	_ZN7rocprim17ROCPRIM_400000_NS6detail17trampoline_kernelINS0_14default_configENS1_38merge_sort_block_merge_config_selectorIilEEZZNS1_27merge_sort_block_merge_implIS3_PiN6thrust23THRUST_200600_302600_NS10device_ptrIlEEjNS1_19radix_merge_compareILb0ELb1EiNS0_19identity_decomposerEEEEE10hipError_tT0_T1_T2_jT3_P12ihipStream_tbPNSt15iterator_traitsISG_E10value_typeEPNSM_ISH_E10value_typeEPSI_NS1_7vsmem_tEENKUlT_SG_SH_SI_E_clIS7_S7_SB_PlEESF_SV_SG_SH_SI_EUlSV_E1_NS1_11comp_targetILNS1_3genE2ELNS1_11target_archE906ELNS1_3gpuE6ELNS1_3repE0EEENS1_36merge_oddeven_config_static_selectorELNS0_4arch9wavefront6targetE1EEEvSH_
	.p2align	8
	.type	_ZN7rocprim17ROCPRIM_400000_NS6detail17trampoline_kernelINS0_14default_configENS1_38merge_sort_block_merge_config_selectorIilEEZZNS1_27merge_sort_block_merge_implIS3_PiN6thrust23THRUST_200600_302600_NS10device_ptrIlEEjNS1_19radix_merge_compareILb0ELb1EiNS0_19identity_decomposerEEEEE10hipError_tT0_T1_T2_jT3_P12ihipStream_tbPNSt15iterator_traitsISG_E10value_typeEPNSM_ISH_E10value_typeEPSI_NS1_7vsmem_tEENKUlT_SG_SH_SI_E_clIS7_S7_SB_PlEESF_SV_SG_SH_SI_EUlSV_E1_NS1_11comp_targetILNS1_3genE2ELNS1_11target_archE906ELNS1_3gpuE6ELNS1_3repE0EEENS1_36merge_oddeven_config_static_selectorELNS0_4arch9wavefront6targetE1EEEvSH_,@function
_ZN7rocprim17ROCPRIM_400000_NS6detail17trampoline_kernelINS0_14default_configENS1_38merge_sort_block_merge_config_selectorIilEEZZNS1_27merge_sort_block_merge_implIS3_PiN6thrust23THRUST_200600_302600_NS10device_ptrIlEEjNS1_19radix_merge_compareILb0ELb1EiNS0_19identity_decomposerEEEEE10hipError_tT0_T1_T2_jT3_P12ihipStream_tbPNSt15iterator_traitsISG_E10value_typeEPNSM_ISH_E10value_typeEPSI_NS1_7vsmem_tEENKUlT_SG_SH_SI_E_clIS7_S7_SB_PlEESF_SV_SG_SH_SI_EUlSV_E1_NS1_11comp_targetILNS1_3genE2ELNS1_11target_archE906ELNS1_3gpuE6ELNS1_3repE0EEENS1_36merge_oddeven_config_static_selectorELNS0_4arch9wavefront6targetE1EEEvSH_: ; @_ZN7rocprim17ROCPRIM_400000_NS6detail17trampoline_kernelINS0_14default_configENS1_38merge_sort_block_merge_config_selectorIilEEZZNS1_27merge_sort_block_merge_implIS3_PiN6thrust23THRUST_200600_302600_NS10device_ptrIlEEjNS1_19radix_merge_compareILb0ELb1EiNS0_19identity_decomposerEEEEE10hipError_tT0_T1_T2_jT3_P12ihipStream_tbPNSt15iterator_traitsISG_E10value_typeEPNSM_ISH_E10value_typeEPSI_NS1_7vsmem_tEENKUlT_SG_SH_SI_E_clIS7_S7_SB_PlEESF_SV_SG_SH_SI_EUlSV_E1_NS1_11comp_targetILNS1_3genE2ELNS1_11target_archE906ELNS1_3gpuE6ELNS1_3repE0EEENS1_36merge_oddeven_config_static_selectorELNS0_4arch9wavefront6targetE1EEEvSH_
; %bb.0:
	s_load_dword s20, s[4:5], 0x20
	s_waitcnt lgkmcnt(0)
	s_lshr_b32 s0, s20, 8
	s_cmp_eq_u32 s6, s0
	s_cselect_b64 s[16:17], -1, 0
	s_cmp_lg_u32 s6, s0
	s_cselect_b64 s[0:1], -1, 0
	s_lshl_b32 s18, s6, 8
	s_sub_i32 s2, s20, s18
	v_cmp_gt_u32_e64 s[2:3], s2, v0
	s_or_b64 s[0:1], s[0:1], s[2:3]
	s_and_saveexec_b64 s[8:9], s[0:1]
	s_cbranch_execz .LBB845_24
; %bb.1:
	s_load_dwordx8 s[8:15], s[4:5], 0x0
	s_mov_b32 s19, 0
	s_lshl_b64 s[0:1], s[18:19], 2
	v_lshlrev_b32_e32 v4, 3, v0
	v_lshlrev_b32_e32 v3, 2, v0
	s_waitcnt lgkmcnt(0)
	s_add_u32 s0, s8, s0
	s_addc_u32 s1, s9, s1
	s_lshl_b64 s[22:23], s[18:19], 3
	s_add_u32 s12, s12, s22
	s_addc_u32 s13, s13, s23
	global_load_dwordx2 v[1:2], v4, s[12:13]
	global_load_dword v5, v3, s[0:1]
	s_load_dword s13, s[4:5], 0x24
	v_add_u32_e32 v3, s18, v0
	s_waitcnt lgkmcnt(0)
	s_lshr_b32 s0, s13, 8
	s_sub_i32 s1, 0, s0
	s_and_b32 s1, s6, s1
	s_and_b32 s0, s1, s0
	s_lshl_b32 s19, s1, 8
	s_sub_i32 s12, 0, s13
	s_cmp_eq_u32 s0, 0
	s_cselect_b64 s[0:1], -1, 0
	s_and_b64 s[6:7], s[0:1], exec
	s_cselect_b32 s12, s13, s12
	s_add_i32 s12, s12, s19
	s_mov_b64 s[6:7], -1
	s_cmp_gt_u32 s20, s12
	s_cbranch_scc1 .LBB845_9
; %bb.2:
	s_and_b64 vcc, exec, s[16:17]
	s_cbranch_vccz .LBB845_6
; %bb.3:
	v_cmp_gt_u32_e32 vcc, s20, v3
	s_and_saveexec_b64 s[6:7], vcc
	s_cbranch_execz .LBB845_5
; %bb.4:
	v_mov_b32_e32 v4, 0
	v_lshlrev_b64 v[6:7], 2, v[3:4]
	v_mov_b32_e32 v0, s11
	v_add_co_u32_e32 v6, vcc, s10, v6
	v_lshlrev_b64 v[8:9], 3, v[3:4]
	v_addc_co_u32_e32 v7, vcc, v0, v7, vcc
	v_mov_b32_e32 v0, s15
	v_add_co_u32_e32 v8, vcc, s14, v8
	v_addc_co_u32_e32 v9, vcc, v0, v9, vcc
	s_waitcnt vmcnt(0)
	global_store_dword v[6:7], v5, off
	global_store_dwordx2 v[8:9], v[1:2], off
.LBB845_5:
	s_or_b64 exec, exec, s[6:7]
	s_mov_b64 s[6:7], 0
.LBB845_6:
	s_andn2_b64 vcc, exec, s[6:7]
	s_cbranch_vccnz .LBB845_8
; %bb.7:
	v_mov_b32_e32 v4, 0
	v_lshlrev_b64 v[6:7], 2, v[3:4]
	v_mov_b32_e32 v0, s11
	v_add_co_u32_e32 v6, vcc, s10, v6
	v_lshlrev_b64 v[8:9], 3, v[3:4]
	v_addc_co_u32_e32 v7, vcc, v0, v7, vcc
	v_mov_b32_e32 v0, s15
	v_add_co_u32_e32 v8, vcc, s14, v8
	v_addc_co_u32_e32 v9, vcc, v0, v9, vcc
	s_waitcnt vmcnt(0)
	global_store_dword v[6:7], v5, off
	global_store_dwordx2 v[8:9], v[1:2], off
.LBB845_8:
	s_mov_b64 s[6:7], 0
.LBB845_9:
	s_andn2_b64 vcc, exec, s[6:7]
	s_cbranch_vccnz .LBB845_24
; %bb.10:
	s_load_dword s6, s[4:5], 0x28
	s_min_u32 s7, s12, s20
	s_add_i32 s4, s7, s13
	s_min_u32 s13, s4, s20
	s_min_u32 s4, s19, s7
	s_add_i32 s19, s19, s7
	v_subrev_u32_e32 v0, s19, v3
	v_add_u32_e32 v0, s4, v0
	s_waitcnt vmcnt(0) lgkmcnt(0)
	v_and_b32_e32 v6, s6, v5
	s_mov_b64 s[4:5], -1
	s_and_b64 vcc, exec, s[16:17]
	s_cbranch_vccz .LBB845_18
; %bb.11:
	s_and_saveexec_b64 s[4:5], s[2:3]
	s_cbranch_execz .LBB845_17
; %bb.12:
	s_cmp_ge_u32 s12, s13
	v_mov_b32_e32 v7, s7
	s_cbranch_scc1 .LBB845_16
; %bb.13:
	s_mov_b64 s[2:3], 0
	v_mov_b32_e32 v8, s13
	v_mov_b32_e32 v7, s7
	;; [unrolled: 1-line block ×4, first 2 shown]
.LBB845_14:                             ; =>This Inner Loop Header: Depth=1
	v_add_u32_e32 v3, v7, v8
	v_lshrrev_b32_e32 v3, 1, v3
	v_lshlrev_b64 v[10:11], 2, v[3:4]
	v_add_co_u32_e32 v10, vcc, s8, v10
	v_addc_co_u32_e32 v11, vcc, v9, v11, vcc
	global_load_dword v10, v[10:11], off
	v_add_u32_e32 v11, 1, v3
	s_waitcnt vmcnt(0)
	v_and_b32_e32 v10, s6, v10
	v_cmp_gt_i32_e32 vcc, v6, v10
	v_cndmask_b32_e64 v12, 0, 1, vcc
	v_cmp_le_i32_e32 vcc, v10, v6
	v_cndmask_b32_e64 v10, 0, 1, vcc
	v_cndmask_b32_e64 v10, v10, v12, s[0:1]
	v_and_b32_e32 v10, 1, v10
	v_cmp_eq_u32_e32 vcc, 1, v10
	v_cndmask_b32_e32 v8, v3, v8, vcc
	v_cndmask_b32_e32 v7, v7, v11, vcc
	v_cmp_ge_u32_e32 vcc, v7, v8
	s_or_b64 s[2:3], vcc, s[2:3]
	s_andn2_b64 exec, exec, s[2:3]
	s_cbranch_execnz .LBB845_14
; %bb.15:
	s_or_b64 exec, exec, s[2:3]
.LBB845_16:
	v_add_u32_e32 v3, v7, v0
	v_mov_b32_e32 v4, 0
	v_lshlrev_b64 v[7:8], 2, v[3:4]
	v_mov_b32_e32 v9, s11
	v_add_co_u32_e32 v7, vcc, s10, v7
	v_lshlrev_b64 v[3:4], 3, v[3:4]
	v_addc_co_u32_e32 v8, vcc, v9, v8, vcc
	global_store_dword v[7:8], v5, off
	v_mov_b32_e32 v7, s15
	v_add_co_u32_e32 v3, vcc, s14, v3
	v_addc_co_u32_e32 v4, vcc, v7, v4, vcc
	global_store_dwordx2 v[3:4], v[1:2], off
.LBB845_17:
	s_or_b64 exec, exec, s[4:5]
	s_mov_b64 s[4:5], 0
.LBB845_18:
	s_andn2_b64 vcc, exec, s[4:5]
	s_cbranch_vccnz .LBB845_24
; %bb.19:
	s_cmp_ge_u32 s12, s13
	v_mov_b32_e32 v7, s7
	s_cbranch_scc1 .LBB845_23
; %bb.20:
	s_mov_b64 s[2:3], 0
	v_mov_b32_e32 v8, s13
	v_mov_b32_e32 v7, s7
	;; [unrolled: 1-line block ×4, first 2 shown]
.LBB845_21:                             ; =>This Inner Loop Header: Depth=1
	v_add_u32_e32 v3, v7, v8
	v_lshrrev_b32_e32 v3, 1, v3
	v_lshlrev_b64 v[10:11], 2, v[3:4]
	v_add_co_u32_e32 v10, vcc, s8, v10
	v_addc_co_u32_e32 v11, vcc, v9, v11, vcc
	global_load_dword v10, v[10:11], off
	v_add_u32_e32 v11, 1, v3
	s_waitcnt vmcnt(0)
	v_and_b32_e32 v10, s6, v10
	v_cmp_gt_i32_e32 vcc, v6, v10
	v_cndmask_b32_e64 v12, 0, 1, vcc
	v_cmp_le_i32_e32 vcc, v10, v6
	v_cndmask_b32_e64 v10, 0, 1, vcc
	v_cndmask_b32_e64 v10, v10, v12, s[0:1]
	v_and_b32_e32 v10, 1, v10
	v_cmp_eq_u32_e32 vcc, 1, v10
	v_cndmask_b32_e32 v8, v3, v8, vcc
	v_cndmask_b32_e32 v7, v7, v11, vcc
	v_cmp_ge_u32_e32 vcc, v7, v8
	s_or_b64 s[2:3], vcc, s[2:3]
	s_andn2_b64 exec, exec, s[2:3]
	s_cbranch_execnz .LBB845_21
; %bb.22:
	s_or_b64 exec, exec, s[2:3]
.LBB845_23:
	v_add_u32_e32 v3, v7, v0
	v_mov_b32_e32 v4, 0
	v_lshlrev_b64 v[6:7], 2, v[3:4]
	v_mov_b32_e32 v0, s11
	v_add_co_u32_e32 v6, vcc, s10, v6
	v_lshlrev_b64 v[3:4], 3, v[3:4]
	v_addc_co_u32_e32 v7, vcc, v0, v7, vcc
	v_mov_b32_e32 v0, s15
	v_add_co_u32_e32 v3, vcc, s14, v3
	v_addc_co_u32_e32 v4, vcc, v0, v4, vcc
	global_store_dword v[6:7], v5, off
	global_store_dwordx2 v[3:4], v[1:2], off
.LBB845_24:
	s_endpgm
	.section	.rodata,"a",@progbits
	.p2align	6, 0x0
	.amdhsa_kernel _ZN7rocprim17ROCPRIM_400000_NS6detail17trampoline_kernelINS0_14default_configENS1_38merge_sort_block_merge_config_selectorIilEEZZNS1_27merge_sort_block_merge_implIS3_PiN6thrust23THRUST_200600_302600_NS10device_ptrIlEEjNS1_19radix_merge_compareILb0ELb1EiNS0_19identity_decomposerEEEEE10hipError_tT0_T1_T2_jT3_P12ihipStream_tbPNSt15iterator_traitsISG_E10value_typeEPNSM_ISH_E10value_typeEPSI_NS1_7vsmem_tEENKUlT_SG_SH_SI_E_clIS7_S7_SB_PlEESF_SV_SG_SH_SI_EUlSV_E1_NS1_11comp_targetILNS1_3genE2ELNS1_11target_archE906ELNS1_3gpuE6ELNS1_3repE0EEENS1_36merge_oddeven_config_static_selectorELNS0_4arch9wavefront6targetE1EEEvSH_
		.amdhsa_group_segment_fixed_size 0
		.amdhsa_private_segment_fixed_size 0
		.amdhsa_kernarg_size 48
		.amdhsa_user_sgpr_count 6
		.amdhsa_user_sgpr_private_segment_buffer 1
		.amdhsa_user_sgpr_dispatch_ptr 0
		.amdhsa_user_sgpr_queue_ptr 0
		.amdhsa_user_sgpr_kernarg_segment_ptr 1
		.amdhsa_user_sgpr_dispatch_id 0
		.amdhsa_user_sgpr_flat_scratch_init 0
		.amdhsa_user_sgpr_private_segment_size 0
		.amdhsa_uses_dynamic_stack 0
		.amdhsa_system_sgpr_private_segment_wavefront_offset 0
		.amdhsa_system_sgpr_workgroup_id_x 1
		.amdhsa_system_sgpr_workgroup_id_y 0
		.amdhsa_system_sgpr_workgroup_id_z 0
		.amdhsa_system_sgpr_workgroup_info 0
		.amdhsa_system_vgpr_workitem_id 0
		.amdhsa_next_free_vgpr 13
		.amdhsa_next_free_sgpr 24
		.amdhsa_reserve_vcc 1
		.amdhsa_reserve_flat_scratch 0
		.amdhsa_float_round_mode_32 0
		.amdhsa_float_round_mode_16_64 0
		.amdhsa_float_denorm_mode_32 3
		.amdhsa_float_denorm_mode_16_64 3
		.amdhsa_dx10_clamp 1
		.amdhsa_ieee_mode 1
		.amdhsa_fp16_overflow 0
		.amdhsa_exception_fp_ieee_invalid_op 0
		.amdhsa_exception_fp_denorm_src 0
		.amdhsa_exception_fp_ieee_div_zero 0
		.amdhsa_exception_fp_ieee_overflow 0
		.amdhsa_exception_fp_ieee_underflow 0
		.amdhsa_exception_fp_ieee_inexact 0
		.amdhsa_exception_int_div_zero 0
	.end_amdhsa_kernel
	.section	.text._ZN7rocprim17ROCPRIM_400000_NS6detail17trampoline_kernelINS0_14default_configENS1_38merge_sort_block_merge_config_selectorIilEEZZNS1_27merge_sort_block_merge_implIS3_PiN6thrust23THRUST_200600_302600_NS10device_ptrIlEEjNS1_19radix_merge_compareILb0ELb1EiNS0_19identity_decomposerEEEEE10hipError_tT0_T1_T2_jT3_P12ihipStream_tbPNSt15iterator_traitsISG_E10value_typeEPNSM_ISH_E10value_typeEPSI_NS1_7vsmem_tEENKUlT_SG_SH_SI_E_clIS7_S7_SB_PlEESF_SV_SG_SH_SI_EUlSV_E1_NS1_11comp_targetILNS1_3genE2ELNS1_11target_archE906ELNS1_3gpuE6ELNS1_3repE0EEENS1_36merge_oddeven_config_static_selectorELNS0_4arch9wavefront6targetE1EEEvSH_,"axG",@progbits,_ZN7rocprim17ROCPRIM_400000_NS6detail17trampoline_kernelINS0_14default_configENS1_38merge_sort_block_merge_config_selectorIilEEZZNS1_27merge_sort_block_merge_implIS3_PiN6thrust23THRUST_200600_302600_NS10device_ptrIlEEjNS1_19radix_merge_compareILb0ELb1EiNS0_19identity_decomposerEEEEE10hipError_tT0_T1_T2_jT3_P12ihipStream_tbPNSt15iterator_traitsISG_E10value_typeEPNSM_ISH_E10value_typeEPSI_NS1_7vsmem_tEENKUlT_SG_SH_SI_E_clIS7_S7_SB_PlEESF_SV_SG_SH_SI_EUlSV_E1_NS1_11comp_targetILNS1_3genE2ELNS1_11target_archE906ELNS1_3gpuE6ELNS1_3repE0EEENS1_36merge_oddeven_config_static_selectorELNS0_4arch9wavefront6targetE1EEEvSH_,comdat
.Lfunc_end845:
	.size	_ZN7rocprim17ROCPRIM_400000_NS6detail17trampoline_kernelINS0_14default_configENS1_38merge_sort_block_merge_config_selectorIilEEZZNS1_27merge_sort_block_merge_implIS3_PiN6thrust23THRUST_200600_302600_NS10device_ptrIlEEjNS1_19radix_merge_compareILb0ELb1EiNS0_19identity_decomposerEEEEE10hipError_tT0_T1_T2_jT3_P12ihipStream_tbPNSt15iterator_traitsISG_E10value_typeEPNSM_ISH_E10value_typeEPSI_NS1_7vsmem_tEENKUlT_SG_SH_SI_E_clIS7_S7_SB_PlEESF_SV_SG_SH_SI_EUlSV_E1_NS1_11comp_targetILNS1_3genE2ELNS1_11target_archE906ELNS1_3gpuE6ELNS1_3repE0EEENS1_36merge_oddeven_config_static_selectorELNS0_4arch9wavefront6targetE1EEEvSH_, .Lfunc_end845-_ZN7rocprim17ROCPRIM_400000_NS6detail17trampoline_kernelINS0_14default_configENS1_38merge_sort_block_merge_config_selectorIilEEZZNS1_27merge_sort_block_merge_implIS3_PiN6thrust23THRUST_200600_302600_NS10device_ptrIlEEjNS1_19radix_merge_compareILb0ELb1EiNS0_19identity_decomposerEEEEE10hipError_tT0_T1_T2_jT3_P12ihipStream_tbPNSt15iterator_traitsISG_E10value_typeEPNSM_ISH_E10value_typeEPSI_NS1_7vsmem_tEENKUlT_SG_SH_SI_E_clIS7_S7_SB_PlEESF_SV_SG_SH_SI_EUlSV_E1_NS1_11comp_targetILNS1_3genE2ELNS1_11target_archE906ELNS1_3gpuE6ELNS1_3repE0EEENS1_36merge_oddeven_config_static_selectorELNS0_4arch9wavefront6targetE1EEEvSH_
                                        ; -- End function
	.set _ZN7rocprim17ROCPRIM_400000_NS6detail17trampoline_kernelINS0_14default_configENS1_38merge_sort_block_merge_config_selectorIilEEZZNS1_27merge_sort_block_merge_implIS3_PiN6thrust23THRUST_200600_302600_NS10device_ptrIlEEjNS1_19radix_merge_compareILb0ELb1EiNS0_19identity_decomposerEEEEE10hipError_tT0_T1_T2_jT3_P12ihipStream_tbPNSt15iterator_traitsISG_E10value_typeEPNSM_ISH_E10value_typeEPSI_NS1_7vsmem_tEENKUlT_SG_SH_SI_E_clIS7_S7_SB_PlEESF_SV_SG_SH_SI_EUlSV_E1_NS1_11comp_targetILNS1_3genE2ELNS1_11target_archE906ELNS1_3gpuE6ELNS1_3repE0EEENS1_36merge_oddeven_config_static_selectorELNS0_4arch9wavefront6targetE1EEEvSH_.num_vgpr, 13
	.set _ZN7rocprim17ROCPRIM_400000_NS6detail17trampoline_kernelINS0_14default_configENS1_38merge_sort_block_merge_config_selectorIilEEZZNS1_27merge_sort_block_merge_implIS3_PiN6thrust23THRUST_200600_302600_NS10device_ptrIlEEjNS1_19radix_merge_compareILb0ELb1EiNS0_19identity_decomposerEEEEE10hipError_tT0_T1_T2_jT3_P12ihipStream_tbPNSt15iterator_traitsISG_E10value_typeEPNSM_ISH_E10value_typeEPSI_NS1_7vsmem_tEENKUlT_SG_SH_SI_E_clIS7_S7_SB_PlEESF_SV_SG_SH_SI_EUlSV_E1_NS1_11comp_targetILNS1_3genE2ELNS1_11target_archE906ELNS1_3gpuE6ELNS1_3repE0EEENS1_36merge_oddeven_config_static_selectorELNS0_4arch9wavefront6targetE1EEEvSH_.num_agpr, 0
	.set _ZN7rocprim17ROCPRIM_400000_NS6detail17trampoline_kernelINS0_14default_configENS1_38merge_sort_block_merge_config_selectorIilEEZZNS1_27merge_sort_block_merge_implIS3_PiN6thrust23THRUST_200600_302600_NS10device_ptrIlEEjNS1_19radix_merge_compareILb0ELb1EiNS0_19identity_decomposerEEEEE10hipError_tT0_T1_T2_jT3_P12ihipStream_tbPNSt15iterator_traitsISG_E10value_typeEPNSM_ISH_E10value_typeEPSI_NS1_7vsmem_tEENKUlT_SG_SH_SI_E_clIS7_S7_SB_PlEESF_SV_SG_SH_SI_EUlSV_E1_NS1_11comp_targetILNS1_3genE2ELNS1_11target_archE906ELNS1_3gpuE6ELNS1_3repE0EEENS1_36merge_oddeven_config_static_selectorELNS0_4arch9wavefront6targetE1EEEvSH_.numbered_sgpr, 24
	.set _ZN7rocprim17ROCPRIM_400000_NS6detail17trampoline_kernelINS0_14default_configENS1_38merge_sort_block_merge_config_selectorIilEEZZNS1_27merge_sort_block_merge_implIS3_PiN6thrust23THRUST_200600_302600_NS10device_ptrIlEEjNS1_19radix_merge_compareILb0ELb1EiNS0_19identity_decomposerEEEEE10hipError_tT0_T1_T2_jT3_P12ihipStream_tbPNSt15iterator_traitsISG_E10value_typeEPNSM_ISH_E10value_typeEPSI_NS1_7vsmem_tEENKUlT_SG_SH_SI_E_clIS7_S7_SB_PlEESF_SV_SG_SH_SI_EUlSV_E1_NS1_11comp_targetILNS1_3genE2ELNS1_11target_archE906ELNS1_3gpuE6ELNS1_3repE0EEENS1_36merge_oddeven_config_static_selectorELNS0_4arch9wavefront6targetE1EEEvSH_.num_named_barrier, 0
	.set _ZN7rocprim17ROCPRIM_400000_NS6detail17trampoline_kernelINS0_14default_configENS1_38merge_sort_block_merge_config_selectorIilEEZZNS1_27merge_sort_block_merge_implIS3_PiN6thrust23THRUST_200600_302600_NS10device_ptrIlEEjNS1_19radix_merge_compareILb0ELb1EiNS0_19identity_decomposerEEEEE10hipError_tT0_T1_T2_jT3_P12ihipStream_tbPNSt15iterator_traitsISG_E10value_typeEPNSM_ISH_E10value_typeEPSI_NS1_7vsmem_tEENKUlT_SG_SH_SI_E_clIS7_S7_SB_PlEESF_SV_SG_SH_SI_EUlSV_E1_NS1_11comp_targetILNS1_3genE2ELNS1_11target_archE906ELNS1_3gpuE6ELNS1_3repE0EEENS1_36merge_oddeven_config_static_selectorELNS0_4arch9wavefront6targetE1EEEvSH_.private_seg_size, 0
	.set _ZN7rocprim17ROCPRIM_400000_NS6detail17trampoline_kernelINS0_14default_configENS1_38merge_sort_block_merge_config_selectorIilEEZZNS1_27merge_sort_block_merge_implIS3_PiN6thrust23THRUST_200600_302600_NS10device_ptrIlEEjNS1_19radix_merge_compareILb0ELb1EiNS0_19identity_decomposerEEEEE10hipError_tT0_T1_T2_jT3_P12ihipStream_tbPNSt15iterator_traitsISG_E10value_typeEPNSM_ISH_E10value_typeEPSI_NS1_7vsmem_tEENKUlT_SG_SH_SI_E_clIS7_S7_SB_PlEESF_SV_SG_SH_SI_EUlSV_E1_NS1_11comp_targetILNS1_3genE2ELNS1_11target_archE906ELNS1_3gpuE6ELNS1_3repE0EEENS1_36merge_oddeven_config_static_selectorELNS0_4arch9wavefront6targetE1EEEvSH_.uses_vcc, 1
	.set _ZN7rocprim17ROCPRIM_400000_NS6detail17trampoline_kernelINS0_14default_configENS1_38merge_sort_block_merge_config_selectorIilEEZZNS1_27merge_sort_block_merge_implIS3_PiN6thrust23THRUST_200600_302600_NS10device_ptrIlEEjNS1_19radix_merge_compareILb0ELb1EiNS0_19identity_decomposerEEEEE10hipError_tT0_T1_T2_jT3_P12ihipStream_tbPNSt15iterator_traitsISG_E10value_typeEPNSM_ISH_E10value_typeEPSI_NS1_7vsmem_tEENKUlT_SG_SH_SI_E_clIS7_S7_SB_PlEESF_SV_SG_SH_SI_EUlSV_E1_NS1_11comp_targetILNS1_3genE2ELNS1_11target_archE906ELNS1_3gpuE6ELNS1_3repE0EEENS1_36merge_oddeven_config_static_selectorELNS0_4arch9wavefront6targetE1EEEvSH_.uses_flat_scratch, 0
	.set _ZN7rocprim17ROCPRIM_400000_NS6detail17trampoline_kernelINS0_14default_configENS1_38merge_sort_block_merge_config_selectorIilEEZZNS1_27merge_sort_block_merge_implIS3_PiN6thrust23THRUST_200600_302600_NS10device_ptrIlEEjNS1_19radix_merge_compareILb0ELb1EiNS0_19identity_decomposerEEEEE10hipError_tT0_T1_T2_jT3_P12ihipStream_tbPNSt15iterator_traitsISG_E10value_typeEPNSM_ISH_E10value_typeEPSI_NS1_7vsmem_tEENKUlT_SG_SH_SI_E_clIS7_S7_SB_PlEESF_SV_SG_SH_SI_EUlSV_E1_NS1_11comp_targetILNS1_3genE2ELNS1_11target_archE906ELNS1_3gpuE6ELNS1_3repE0EEENS1_36merge_oddeven_config_static_selectorELNS0_4arch9wavefront6targetE1EEEvSH_.has_dyn_sized_stack, 0
	.set _ZN7rocprim17ROCPRIM_400000_NS6detail17trampoline_kernelINS0_14default_configENS1_38merge_sort_block_merge_config_selectorIilEEZZNS1_27merge_sort_block_merge_implIS3_PiN6thrust23THRUST_200600_302600_NS10device_ptrIlEEjNS1_19radix_merge_compareILb0ELb1EiNS0_19identity_decomposerEEEEE10hipError_tT0_T1_T2_jT3_P12ihipStream_tbPNSt15iterator_traitsISG_E10value_typeEPNSM_ISH_E10value_typeEPSI_NS1_7vsmem_tEENKUlT_SG_SH_SI_E_clIS7_S7_SB_PlEESF_SV_SG_SH_SI_EUlSV_E1_NS1_11comp_targetILNS1_3genE2ELNS1_11target_archE906ELNS1_3gpuE6ELNS1_3repE0EEENS1_36merge_oddeven_config_static_selectorELNS0_4arch9wavefront6targetE1EEEvSH_.has_recursion, 0
	.set _ZN7rocprim17ROCPRIM_400000_NS6detail17trampoline_kernelINS0_14default_configENS1_38merge_sort_block_merge_config_selectorIilEEZZNS1_27merge_sort_block_merge_implIS3_PiN6thrust23THRUST_200600_302600_NS10device_ptrIlEEjNS1_19radix_merge_compareILb0ELb1EiNS0_19identity_decomposerEEEEE10hipError_tT0_T1_T2_jT3_P12ihipStream_tbPNSt15iterator_traitsISG_E10value_typeEPNSM_ISH_E10value_typeEPSI_NS1_7vsmem_tEENKUlT_SG_SH_SI_E_clIS7_S7_SB_PlEESF_SV_SG_SH_SI_EUlSV_E1_NS1_11comp_targetILNS1_3genE2ELNS1_11target_archE906ELNS1_3gpuE6ELNS1_3repE0EEENS1_36merge_oddeven_config_static_selectorELNS0_4arch9wavefront6targetE1EEEvSH_.has_indirect_call, 0
	.section	.AMDGPU.csdata,"",@progbits
; Kernel info:
; codeLenInByte = 872
; TotalNumSgprs: 28
; NumVgprs: 13
; ScratchSize: 0
; MemoryBound: 0
; FloatMode: 240
; IeeeMode: 1
; LDSByteSize: 0 bytes/workgroup (compile time only)
; SGPRBlocks: 3
; VGPRBlocks: 3
; NumSGPRsForWavesPerEU: 28
; NumVGPRsForWavesPerEU: 13
; Occupancy: 10
; WaveLimiterHint : 0
; COMPUTE_PGM_RSRC2:SCRATCH_EN: 0
; COMPUTE_PGM_RSRC2:USER_SGPR: 6
; COMPUTE_PGM_RSRC2:TRAP_HANDLER: 0
; COMPUTE_PGM_RSRC2:TGID_X_EN: 1
; COMPUTE_PGM_RSRC2:TGID_Y_EN: 0
; COMPUTE_PGM_RSRC2:TGID_Z_EN: 0
; COMPUTE_PGM_RSRC2:TIDIG_COMP_CNT: 0
	.section	.text._ZN7rocprim17ROCPRIM_400000_NS6detail17trampoline_kernelINS0_14default_configENS1_38merge_sort_block_merge_config_selectorIilEEZZNS1_27merge_sort_block_merge_implIS3_PiN6thrust23THRUST_200600_302600_NS10device_ptrIlEEjNS1_19radix_merge_compareILb0ELb1EiNS0_19identity_decomposerEEEEE10hipError_tT0_T1_T2_jT3_P12ihipStream_tbPNSt15iterator_traitsISG_E10value_typeEPNSM_ISH_E10value_typeEPSI_NS1_7vsmem_tEENKUlT_SG_SH_SI_E_clIS7_S7_SB_PlEESF_SV_SG_SH_SI_EUlSV_E1_NS1_11comp_targetILNS1_3genE9ELNS1_11target_archE1100ELNS1_3gpuE3ELNS1_3repE0EEENS1_36merge_oddeven_config_static_selectorELNS0_4arch9wavefront6targetE1EEEvSH_,"axG",@progbits,_ZN7rocprim17ROCPRIM_400000_NS6detail17trampoline_kernelINS0_14default_configENS1_38merge_sort_block_merge_config_selectorIilEEZZNS1_27merge_sort_block_merge_implIS3_PiN6thrust23THRUST_200600_302600_NS10device_ptrIlEEjNS1_19radix_merge_compareILb0ELb1EiNS0_19identity_decomposerEEEEE10hipError_tT0_T1_T2_jT3_P12ihipStream_tbPNSt15iterator_traitsISG_E10value_typeEPNSM_ISH_E10value_typeEPSI_NS1_7vsmem_tEENKUlT_SG_SH_SI_E_clIS7_S7_SB_PlEESF_SV_SG_SH_SI_EUlSV_E1_NS1_11comp_targetILNS1_3genE9ELNS1_11target_archE1100ELNS1_3gpuE3ELNS1_3repE0EEENS1_36merge_oddeven_config_static_selectorELNS0_4arch9wavefront6targetE1EEEvSH_,comdat
	.protected	_ZN7rocprim17ROCPRIM_400000_NS6detail17trampoline_kernelINS0_14default_configENS1_38merge_sort_block_merge_config_selectorIilEEZZNS1_27merge_sort_block_merge_implIS3_PiN6thrust23THRUST_200600_302600_NS10device_ptrIlEEjNS1_19radix_merge_compareILb0ELb1EiNS0_19identity_decomposerEEEEE10hipError_tT0_T1_T2_jT3_P12ihipStream_tbPNSt15iterator_traitsISG_E10value_typeEPNSM_ISH_E10value_typeEPSI_NS1_7vsmem_tEENKUlT_SG_SH_SI_E_clIS7_S7_SB_PlEESF_SV_SG_SH_SI_EUlSV_E1_NS1_11comp_targetILNS1_3genE9ELNS1_11target_archE1100ELNS1_3gpuE3ELNS1_3repE0EEENS1_36merge_oddeven_config_static_selectorELNS0_4arch9wavefront6targetE1EEEvSH_ ; -- Begin function _ZN7rocprim17ROCPRIM_400000_NS6detail17trampoline_kernelINS0_14default_configENS1_38merge_sort_block_merge_config_selectorIilEEZZNS1_27merge_sort_block_merge_implIS3_PiN6thrust23THRUST_200600_302600_NS10device_ptrIlEEjNS1_19radix_merge_compareILb0ELb1EiNS0_19identity_decomposerEEEEE10hipError_tT0_T1_T2_jT3_P12ihipStream_tbPNSt15iterator_traitsISG_E10value_typeEPNSM_ISH_E10value_typeEPSI_NS1_7vsmem_tEENKUlT_SG_SH_SI_E_clIS7_S7_SB_PlEESF_SV_SG_SH_SI_EUlSV_E1_NS1_11comp_targetILNS1_3genE9ELNS1_11target_archE1100ELNS1_3gpuE3ELNS1_3repE0EEENS1_36merge_oddeven_config_static_selectorELNS0_4arch9wavefront6targetE1EEEvSH_
	.globl	_ZN7rocprim17ROCPRIM_400000_NS6detail17trampoline_kernelINS0_14default_configENS1_38merge_sort_block_merge_config_selectorIilEEZZNS1_27merge_sort_block_merge_implIS3_PiN6thrust23THRUST_200600_302600_NS10device_ptrIlEEjNS1_19radix_merge_compareILb0ELb1EiNS0_19identity_decomposerEEEEE10hipError_tT0_T1_T2_jT3_P12ihipStream_tbPNSt15iterator_traitsISG_E10value_typeEPNSM_ISH_E10value_typeEPSI_NS1_7vsmem_tEENKUlT_SG_SH_SI_E_clIS7_S7_SB_PlEESF_SV_SG_SH_SI_EUlSV_E1_NS1_11comp_targetILNS1_3genE9ELNS1_11target_archE1100ELNS1_3gpuE3ELNS1_3repE0EEENS1_36merge_oddeven_config_static_selectorELNS0_4arch9wavefront6targetE1EEEvSH_
	.p2align	8
	.type	_ZN7rocprim17ROCPRIM_400000_NS6detail17trampoline_kernelINS0_14default_configENS1_38merge_sort_block_merge_config_selectorIilEEZZNS1_27merge_sort_block_merge_implIS3_PiN6thrust23THRUST_200600_302600_NS10device_ptrIlEEjNS1_19radix_merge_compareILb0ELb1EiNS0_19identity_decomposerEEEEE10hipError_tT0_T1_T2_jT3_P12ihipStream_tbPNSt15iterator_traitsISG_E10value_typeEPNSM_ISH_E10value_typeEPSI_NS1_7vsmem_tEENKUlT_SG_SH_SI_E_clIS7_S7_SB_PlEESF_SV_SG_SH_SI_EUlSV_E1_NS1_11comp_targetILNS1_3genE9ELNS1_11target_archE1100ELNS1_3gpuE3ELNS1_3repE0EEENS1_36merge_oddeven_config_static_selectorELNS0_4arch9wavefront6targetE1EEEvSH_,@function
_ZN7rocprim17ROCPRIM_400000_NS6detail17trampoline_kernelINS0_14default_configENS1_38merge_sort_block_merge_config_selectorIilEEZZNS1_27merge_sort_block_merge_implIS3_PiN6thrust23THRUST_200600_302600_NS10device_ptrIlEEjNS1_19radix_merge_compareILb0ELb1EiNS0_19identity_decomposerEEEEE10hipError_tT0_T1_T2_jT3_P12ihipStream_tbPNSt15iterator_traitsISG_E10value_typeEPNSM_ISH_E10value_typeEPSI_NS1_7vsmem_tEENKUlT_SG_SH_SI_E_clIS7_S7_SB_PlEESF_SV_SG_SH_SI_EUlSV_E1_NS1_11comp_targetILNS1_3genE9ELNS1_11target_archE1100ELNS1_3gpuE3ELNS1_3repE0EEENS1_36merge_oddeven_config_static_selectorELNS0_4arch9wavefront6targetE1EEEvSH_: ; @_ZN7rocprim17ROCPRIM_400000_NS6detail17trampoline_kernelINS0_14default_configENS1_38merge_sort_block_merge_config_selectorIilEEZZNS1_27merge_sort_block_merge_implIS3_PiN6thrust23THRUST_200600_302600_NS10device_ptrIlEEjNS1_19radix_merge_compareILb0ELb1EiNS0_19identity_decomposerEEEEE10hipError_tT0_T1_T2_jT3_P12ihipStream_tbPNSt15iterator_traitsISG_E10value_typeEPNSM_ISH_E10value_typeEPSI_NS1_7vsmem_tEENKUlT_SG_SH_SI_E_clIS7_S7_SB_PlEESF_SV_SG_SH_SI_EUlSV_E1_NS1_11comp_targetILNS1_3genE9ELNS1_11target_archE1100ELNS1_3gpuE3ELNS1_3repE0EEENS1_36merge_oddeven_config_static_selectorELNS0_4arch9wavefront6targetE1EEEvSH_
; %bb.0:
	.section	.rodata,"a",@progbits
	.p2align	6, 0x0
	.amdhsa_kernel _ZN7rocprim17ROCPRIM_400000_NS6detail17trampoline_kernelINS0_14default_configENS1_38merge_sort_block_merge_config_selectorIilEEZZNS1_27merge_sort_block_merge_implIS3_PiN6thrust23THRUST_200600_302600_NS10device_ptrIlEEjNS1_19radix_merge_compareILb0ELb1EiNS0_19identity_decomposerEEEEE10hipError_tT0_T1_T2_jT3_P12ihipStream_tbPNSt15iterator_traitsISG_E10value_typeEPNSM_ISH_E10value_typeEPSI_NS1_7vsmem_tEENKUlT_SG_SH_SI_E_clIS7_S7_SB_PlEESF_SV_SG_SH_SI_EUlSV_E1_NS1_11comp_targetILNS1_3genE9ELNS1_11target_archE1100ELNS1_3gpuE3ELNS1_3repE0EEENS1_36merge_oddeven_config_static_selectorELNS0_4arch9wavefront6targetE1EEEvSH_
		.amdhsa_group_segment_fixed_size 0
		.amdhsa_private_segment_fixed_size 0
		.amdhsa_kernarg_size 48
		.amdhsa_user_sgpr_count 6
		.amdhsa_user_sgpr_private_segment_buffer 1
		.amdhsa_user_sgpr_dispatch_ptr 0
		.amdhsa_user_sgpr_queue_ptr 0
		.amdhsa_user_sgpr_kernarg_segment_ptr 1
		.amdhsa_user_sgpr_dispatch_id 0
		.amdhsa_user_sgpr_flat_scratch_init 0
		.amdhsa_user_sgpr_private_segment_size 0
		.amdhsa_uses_dynamic_stack 0
		.amdhsa_system_sgpr_private_segment_wavefront_offset 0
		.amdhsa_system_sgpr_workgroup_id_x 1
		.amdhsa_system_sgpr_workgroup_id_y 0
		.amdhsa_system_sgpr_workgroup_id_z 0
		.amdhsa_system_sgpr_workgroup_info 0
		.amdhsa_system_vgpr_workitem_id 0
		.amdhsa_next_free_vgpr 1
		.amdhsa_next_free_sgpr 0
		.amdhsa_reserve_vcc 0
		.amdhsa_reserve_flat_scratch 0
		.amdhsa_float_round_mode_32 0
		.amdhsa_float_round_mode_16_64 0
		.amdhsa_float_denorm_mode_32 3
		.amdhsa_float_denorm_mode_16_64 3
		.amdhsa_dx10_clamp 1
		.amdhsa_ieee_mode 1
		.amdhsa_fp16_overflow 0
		.amdhsa_exception_fp_ieee_invalid_op 0
		.amdhsa_exception_fp_denorm_src 0
		.amdhsa_exception_fp_ieee_div_zero 0
		.amdhsa_exception_fp_ieee_overflow 0
		.amdhsa_exception_fp_ieee_underflow 0
		.amdhsa_exception_fp_ieee_inexact 0
		.amdhsa_exception_int_div_zero 0
	.end_amdhsa_kernel
	.section	.text._ZN7rocprim17ROCPRIM_400000_NS6detail17trampoline_kernelINS0_14default_configENS1_38merge_sort_block_merge_config_selectorIilEEZZNS1_27merge_sort_block_merge_implIS3_PiN6thrust23THRUST_200600_302600_NS10device_ptrIlEEjNS1_19radix_merge_compareILb0ELb1EiNS0_19identity_decomposerEEEEE10hipError_tT0_T1_T2_jT3_P12ihipStream_tbPNSt15iterator_traitsISG_E10value_typeEPNSM_ISH_E10value_typeEPSI_NS1_7vsmem_tEENKUlT_SG_SH_SI_E_clIS7_S7_SB_PlEESF_SV_SG_SH_SI_EUlSV_E1_NS1_11comp_targetILNS1_3genE9ELNS1_11target_archE1100ELNS1_3gpuE3ELNS1_3repE0EEENS1_36merge_oddeven_config_static_selectorELNS0_4arch9wavefront6targetE1EEEvSH_,"axG",@progbits,_ZN7rocprim17ROCPRIM_400000_NS6detail17trampoline_kernelINS0_14default_configENS1_38merge_sort_block_merge_config_selectorIilEEZZNS1_27merge_sort_block_merge_implIS3_PiN6thrust23THRUST_200600_302600_NS10device_ptrIlEEjNS1_19radix_merge_compareILb0ELb1EiNS0_19identity_decomposerEEEEE10hipError_tT0_T1_T2_jT3_P12ihipStream_tbPNSt15iterator_traitsISG_E10value_typeEPNSM_ISH_E10value_typeEPSI_NS1_7vsmem_tEENKUlT_SG_SH_SI_E_clIS7_S7_SB_PlEESF_SV_SG_SH_SI_EUlSV_E1_NS1_11comp_targetILNS1_3genE9ELNS1_11target_archE1100ELNS1_3gpuE3ELNS1_3repE0EEENS1_36merge_oddeven_config_static_selectorELNS0_4arch9wavefront6targetE1EEEvSH_,comdat
.Lfunc_end846:
	.size	_ZN7rocprim17ROCPRIM_400000_NS6detail17trampoline_kernelINS0_14default_configENS1_38merge_sort_block_merge_config_selectorIilEEZZNS1_27merge_sort_block_merge_implIS3_PiN6thrust23THRUST_200600_302600_NS10device_ptrIlEEjNS1_19radix_merge_compareILb0ELb1EiNS0_19identity_decomposerEEEEE10hipError_tT0_T1_T2_jT3_P12ihipStream_tbPNSt15iterator_traitsISG_E10value_typeEPNSM_ISH_E10value_typeEPSI_NS1_7vsmem_tEENKUlT_SG_SH_SI_E_clIS7_S7_SB_PlEESF_SV_SG_SH_SI_EUlSV_E1_NS1_11comp_targetILNS1_3genE9ELNS1_11target_archE1100ELNS1_3gpuE3ELNS1_3repE0EEENS1_36merge_oddeven_config_static_selectorELNS0_4arch9wavefront6targetE1EEEvSH_, .Lfunc_end846-_ZN7rocprim17ROCPRIM_400000_NS6detail17trampoline_kernelINS0_14default_configENS1_38merge_sort_block_merge_config_selectorIilEEZZNS1_27merge_sort_block_merge_implIS3_PiN6thrust23THRUST_200600_302600_NS10device_ptrIlEEjNS1_19radix_merge_compareILb0ELb1EiNS0_19identity_decomposerEEEEE10hipError_tT0_T1_T2_jT3_P12ihipStream_tbPNSt15iterator_traitsISG_E10value_typeEPNSM_ISH_E10value_typeEPSI_NS1_7vsmem_tEENKUlT_SG_SH_SI_E_clIS7_S7_SB_PlEESF_SV_SG_SH_SI_EUlSV_E1_NS1_11comp_targetILNS1_3genE9ELNS1_11target_archE1100ELNS1_3gpuE3ELNS1_3repE0EEENS1_36merge_oddeven_config_static_selectorELNS0_4arch9wavefront6targetE1EEEvSH_
                                        ; -- End function
	.set _ZN7rocprim17ROCPRIM_400000_NS6detail17trampoline_kernelINS0_14default_configENS1_38merge_sort_block_merge_config_selectorIilEEZZNS1_27merge_sort_block_merge_implIS3_PiN6thrust23THRUST_200600_302600_NS10device_ptrIlEEjNS1_19radix_merge_compareILb0ELb1EiNS0_19identity_decomposerEEEEE10hipError_tT0_T1_T2_jT3_P12ihipStream_tbPNSt15iterator_traitsISG_E10value_typeEPNSM_ISH_E10value_typeEPSI_NS1_7vsmem_tEENKUlT_SG_SH_SI_E_clIS7_S7_SB_PlEESF_SV_SG_SH_SI_EUlSV_E1_NS1_11comp_targetILNS1_3genE9ELNS1_11target_archE1100ELNS1_3gpuE3ELNS1_3repE0EEENS1_36merge_oddeven_config_static_selectorELNS0_4arch9wavefront6targetE1EEEvSH_.num_vgpr, 0
	.set _ZN7rocprim17ROCPRIM_400000_NS6detail17trampoline_kernelINS0_14default_configENS1_38merge_sort_block_merge_config_selectorIilEEZZNS1_27merge_sort_block_merge_implIS3_PiN6thrust23THRUST_200600_302600_NS10device_ptrIlEEjNS1_19radix_merge_compareILb0ELb1EiNS0_19identity_decomposerEEEEE10hipError_tT0_T1_T2_jT3_P12ihipStream_tbPNSt15iterator_traitsISG_E10value_typeEPNSM_ISH_E10value_typeEPSI_NS1_7vsmem_tEENKUlT_SG_SH_SI_E_clIS7_S7_SB_PlEESF_SV_SG_SH_SI_EUlSV_E1_NS1_11comp_targetILNS1_3genE9ELNS1_11target_archE1100ELNS1_3gpuE3ELNS1_3repE0EEENS1_36merge_oddeven_config_static_selectorELNS0_4arch9wavefront6targetE1EEEvSH_.num_agpr, 0
	.set _ZN7rocprim17ROCPRIM_400000_NS6detail17trampoline_kernelINS0_14default_configENS1_38merge_sort_block_merge_config_selectorIilEEZZNS1_27merge_sort_block_merge_implIS3_PiN6thrust23THRUST_200600_302600_NS10device_ptrIlEEjNS1_19radix_merge_compareILb0ELb1EiNS0_19identity_decomposerEEEEE10hipError_tT0_T1_T2_jT3_P12ihipStream_tbPNSt15iterator_traitsISG_E10value_typeEPNSM_ISH_E10value_typeEPSI_NS1_7vsmem_tEENKUlT_SG_SH_SI_E_clIS7_S7_SB_PlEESF_SV_SG_SH_SI_EUlSV_E1_NS1_11comp_targetILNS1_3genE9ELNS1_11target_archE1100ELNS1_3gpuE3ELNS1_3repE0EEENS1_36merge_oddeven_config_static_selectorELNS0_4arch9wavefront6targetE1EEEvSH_.numbered_sgpr, 0
	.set _ZN7rocprim17ROCPRIM_400000_NS6detail17trampoline_kernelINS0_14default_configENS1_38merge_sort_block_merge_config_selectorIilEEZZNS1_27merge_sort_block_merge_implIS3_PiN6thrust23THRUST_200600_302600_NS10device_ptrIlEEjNS1_19radix_merge_compareILb0ELb1EiNS0_19identity_decomposerEEEEE10hipError_tT0_T1_T2_jT3_P12ihipStream_tbPNSt15iterator_traitsISG_E10value_typeEPNSM_ISH_E10value_typeEPSI_NS1_7vsmem_tEENKUlT_SG_SH_SI_E_clIS7_S7_SB_PlEESF_SV_SG_SH_SI_EUlSV_E1_NS1_11comp_targetILNS1_3genE9ELNS1_11target_archE1100ELNS1_3gpuE3ELNS1_3repE0EEENS1_36merge_oddeven_config_static_selectorELNS0_4arch9wavefront6targetE1EEEvSH_.num_named_barrier, 0
	.set _ZN7rocprim17ROCPRIM_400000_NS6detail17trampoline_kernelINS0_14default_configENS1_38merge_sort_block_merge_config_selectorIilEEZZNS1_27merge_sort_block_merge_implIS3_PiN6thrust23THRUST_200600_302600_NS10device_ptrIlEEjNS1_19radix_merge_compareILb0ELb1EiNS0_19identity_decomposerEEEEE10hipError_tT0_T1_T2_jT3_P12ihipStream_tbPNSt15iterator_traitsISG_E10value_typeEPNSM_ISH_E10value_typeEPSI_NS1_7vsmem_tEENKUlT_SG_SH_SI_E_clIS7_S7_SB_PlEESF_SV_SG_SH_SI_EUlSV_E1_NS1_11comp_targetILNS1_3genE9ELNS1_11target_archE1100ELNS1_3gpuE3ELNS1_3repE0EEENS1_36merge_oddeven_config_static_selectorELNS0_4arch9wavefront6targetE1EEEvSH_.private_seg_size, 0
	.set _ZN7rocprim17ROCPRIM_400000_NS6detail17trampoline_kernelINS0_14default_configENS1_38merge_sort_block_merge_config_selectorIilEEZZNS1_27merge_sort_block_merge_implIS3_PiN6thrust23THRUST_200600_302600_NS10device_ptrIlEEjNS1_19radix_merge_compareILb0ELb1EiNS0_19identity_decomposerEEEEE10hipError_tT0_T1_T2_jT3_P12ihipStream_tbPNSt15iterator_traitsISG_E10value_typeEPNSM_ISH_E10value_typeEPSI_NS1_7vsmem_tEENKUlT_SG_SH_SI_E_clIS7_S7_SB_PlEESF_SV_SG_SH_SI_EUlSV_E1_NS1_11comp_targetILNS1_3genE9ELNS1_11target_archE1100ELNS1_3gpuE3ELNS1_3repE0EEENS1_36merge_oddeven_config_static_selectorELNS0_4arch9wavefront6targetE1EEEvSH_.uses_vcc, 0
	.set _ZN7rocprim17ROCPRIM_400000_NS6detail17trampoline_kernelINS0_14default_configENS1_38merge_sort_block_merge_config_selectorIilEEZZNS1_27merge_sort_block_merge_implIS3_PiN6thrust23THRUST_200600_302600_NS10device_ptrIlEEjNS1_19radix_merge_compareILb0ELb1EiNS0_19identity_decomposerEEEEE10hipError_tT0_T1_T2_jT3_P12ihipStream_tbPNSt15iterator_traitsISG_E10value_typeEPNSM_ISH_E10value_typeEPSI_NS1_7vsmem_tEENKUlT_SG_SH_SI_E_clIS7_S7_SB_PlEESF_SV_SG_SH_SI_EUlSV_E1_NS1_11comp_targetILNS1_3genE9ELNS1_11target_archE1100ELNS1_3gpuE3ELNS1_3repE0EEENS1_36merge_oddeven_config_static_selectorELNS0_4arch9wavefront6targetE1EEEvSH_.uses_flat_scratch, 0
	.set _ZN7rocprim17ROCPRIM_400000_NS6detail17trampoline_kernelINS0_14default_configENS1_38merge_sort_block_merge_config_selectorIilEEZZNS1_27merge_sort_block_merge_implIS3_PiN6thrust23THRUST_200600_302600_NS10device_ptrIlEEjNS1_19radix_merge_compareILb0ELb1EiNS0_19identity_decomposerEEEEE10hipError_tT0_T1_T2_jT3_P12ihipStream_tbPNSt15iterator_traitsISG_E10value_typeEPNSM_ISH_E10value_typeEPSI_NS1_7vsmem_tEENKUlT_SG_SH_SI_E_clIS7_S7_SB_PlEESF_SV_SG_SH_SI_EUlSV_E1_NS1_11comp_targetILNS1_3genE9ELNS1_11target_archE1100ELNS1_3gpuE3ELNS1_3repE0EEENS1_36merge_oddeven_config_static_selectorELNS0_4arch9wavefront6targetE1EEEvSH_.has_dyn_sized_stack, 0
	.set _ZN7rocprim17ROCPRIM_400000_NS6detail17trampoline_kernelINS0_14default_configENS1_38merge_sort_block_merge_config_selectorIilEEZZNS1_27merge_sort_block_merge_implIS3_PiN6thrust23THRUST_200600_302600_NS10device_ptrIlEEjNS1_19radix_merge_compareILb0ELb1EiNS0_19identity_decomposerEEEEE10hipError_tT0_T1_T2_jT3_P12ihipStream_tbPNSt15iterator_traitsISG_E10value_typeEPNSM_ISH_E10value_typeEPSI_NS1_7vsmem_tEENKUlT_SG_SH_SI_E_clIS7_S7_SB_PlEESF_SV_SG_SH_SI_EUlSV_E1_NS1_11comp_targetILNS1_3genE9ELNS1_11target_archE1100ELNS1_3gpuE3ELNS1_3repE0EEENS1_36merge_oddeven_config_static_selectorELNS0_4arch9wavefront6targetE1EEEvSH_.has_recursion, 0
	.set _ZN7rocprim17ROCPRIM_400000_NS6detail17trampoline_kernelINS0_14default_configENS1_38merge_sort_block_merge_config_selectorIilEEZZNS1_27merge_sort_block_merge_implIS3_PiN6thrust23THRUST_200600_302600_NS10device_ptrIlEEjNS1_19radix_merge_compareILb0ELb1EiNS0_19identity_decomposerEEEEE10hipError_tT0_T1_T2_jT3_P12ihipStream_tbPNSt15iterator_traitsISG_E10value_typeEPNSM_ISH_E10value_typeEPSI_NS1_7vsmem_tEENKUlT_SG_SH_SI_E_clIS7_S7_SB_PlEESF_SV_SG_SH_SI_EUlSV_E1_NS1_11comp_targetILNS1_3genE9ELNS1_11target_archE1100ELNS1_3gpuE3ELNS1_3repE0EEENS1_36merge_oddeven_config_static_selectorELNS0_4arch9wavefront6targetE1EEEvSH_.has_indirect_call, 0
	.section	.AMDGPU.csdata,"",@progbits
; Kernel info:
; codeLenInByte = 0
; TotalNumSgprs: 4
; NumVgprs: 0
; ScratchSize: 0
; MemoryBound: 0
; FloatMode: 240
; IeeeMode: 1
; LDSByteSize: 0 bytes/workgroup (compile time only)
; SGPRBlocks: 0
; VGPRBlocks: 0
; NumSGPRsForWavesPerEU: 4
; NumVGPRsForWavesPerEU: 1
; Occupancy: 10
; WaveLimiterHint : 0
; COMPUTE_PGM_RSRC2:SCRATCH_EN: 0
; COMPUTE_PGM_RSRC2:USER_SGPR: 6
; COMPUTE_PGM_RSRC2:TRAP_HANDLER: 0
; COMPUTE_PGM_RSRC2:TGID_X_EN: 1
; COMPUTE_PGM_RSRC2:TGID_Y_EN: 0
; COMPUTE_PGM_RSRC2:TGID_Z_EN: 0
; COMPUTE_PGM_RSRC2:TIDIG_COMP_CNT: 0
	.section	.text._ZN7rocprim17ROCPRIM_400000_NS6detail17trampoline_kernelINS0_14default_configENS1_38merge_sort_block_merge_config_selectorIilEEZZNS1_27merge_sort_block_merge_implIS3_PiN6thrust23THRUST_200600_302600_NS10device_ptrIlEEjNS1_19radix_merge_compareILb0ELb1EiNS0_19identity_decomposerEEEEE10hipError_tT0_T1_T2_jT3_P12ihipStream_tbPNSt15iterator_traitsISG_E10value_typeEPNSM_ISH_E10value_typeEPSI_NS1_7vsmem_tEENKUlT_SG_SH_SI_E_clIS7_S7_SB_PlEESF_SV_SG_SH_SI_EUlSV_E1_NS1_11comp_targetILNS1_3genE8ELNS1_11target_archE1030ELNS1_3gpuE2ELNS1_3repE0EEENS1_36merge_oddeven_config_static_selectorELNS0_4arch9wavefront6targetE1EEEvSH_,"axG",@progbits,_ZN7rocprim17ROCPRIM_400000_NS6detail17trampoline_kernelINS0_14default_configENS1_38merge_sort_block_merge_config_selectorIilEEZZNS1_27merge_sort_block_merge_implIS3_PiN6thrust23THRUST_200600_302600_NS10device_ptrIlEEjNS1_19radix_merge_compareILb0ELb1EiNS0_19identity_decomposerEEEEE10hipError_tT0_T1_T2_jT3_P12ihipStream_tbPNSt15iterator_traitsISG_E10value_typeEPNSM_ISH_E10value_typeEPSI_NS1_7vsmem_tEENKUlT_SG_SH_SI_E_clIS7_S7_SB_PlEESF_SV_SG_SH_SI_EUlSV_E1_NS1_11comp_targetILNS1_3genE8ELNS1_11target_archE1030ELNS1_3gpuE2ELNS1_3repE0EEENS1_36merge_oddeven_config_static_selectorELNS0_4arch9wavefront6targetE1EEEvSH_,comdat
	.protected	_ZN7rocprim17ROCPRIM_400000_NS6detail17trampoline_kernelINS0_14default_configENS1_38merge_sort_block_merge_config_selectorIilEEZZNS1_27merge_sort_block_merge_implIS3_PiN6thrust23THRUST_200600_302600_NS10device_ptrIlEEjNS1_19radix_merge_compareILb0ELb1EiNS0_19identity_decomposerEEEEE10hipError_tT0_T1_T2_jT3_P12ihipStream_tbPNSt15iterator_traitsISG_E10value_typeEPNSM_ISH_E10value_typeEPSI_NS1_7vsmem_tEENKUlT_SG_SH_SI_E_clIS7_S7_SB_PlEESF_SV_SG_SH_SI_EUlSV_E1_NS1_11comp_targetILNS1_3genE8ELNS1_11target_archE1030ELNS1_3gpuE2ELNS1_3repE0EEENS1_36merge_oddeven_config_static_selectorELNS0_4arch9wavefront6targetE1EEEvSH_ ; -- Begin function _ZN7rocprim17ROCPRIM_400000_NS6detail17trampoline_kernelINS0_14default_configENS1_38merge_sort_block_merge_config_selectorIilEEZZNS1_27merge_sort_block_merge_implIS3_PiN6thrust23THRUST_200600_302600_NS10device_ptrIlEEjNS1_19radix_merge_compareILb0ELb1EiNS0_19identity_decomposerEEEEE10hipError_tT0_T1_T2_jT3_P12ihipStream_tbPNSt15iterator_traitsISG_E10value_typeEPNSM_ISH_E10value_typeEPSI_NS1_7vsmem_tEENKUlT_SG_SH_SI_E_clIS7_S7_SB_PlEESF_SV_SG_SH_SI_EUlSV_E1_NS1_11comp_targetILNS1_3genE8ELNS1_11target_archE1030ELNS1_3gpuE2ELNS1_3repE0EEENS1_36merge_oddeven_config_static_selectorELNS0_4arch9wavefront6targetE1EEEvSH_
	.globl	_ZN7rocprim17ROCPRIM_400000_NS6detail17trampoline_kernelINS0_14default_configENS1_38merge_sort_block_merge_config_selectorIilEEZZNS1_27merge_sort_block_merge_implIS3_PiN6thrust23THRUST_200600_302600_NS10device_ptrIlEEjNS1_19radix_merge_compareILb0ELb1EiNS0_19identity_decomposerEEEEE10hipError_tT0_T1_T2_jT3_P12ihipStream_tbPNSt15iterator_traitsISG_E10value_typeEPNSM_ISH_E10value_typeEPSI_NS1_7vsmem_tEENKUlT_SG_SH_SI_E_clIS7_S7_SB_PlEESF_SV_SG_SH_SI_EUlSV_E1_NS1_11comp_targetILNS1_3genE8ELNS1_11target_archE1030ELNS1_3gpuE2ELNS1_3repE0EEENS1_36merge_oddeven_config_static_selectorELNS0_4arch9wavefront6targetE1EEEvSH_
	.p2align	8
	.type	_ZN7rocprim17ROCPRIM_400000_NS6detail17trampoline_kernelINS0_14default_configENS1_38merge_sort_block_merge_config_selectorIilEEZZNS1_27merge_sort_block_merge_implIS3_PiN6thrust23THRUST_200600_302600_NS10device_ptrIlEEjNS1_19radix_merge_compareILb0ELb1EiNS0_19identity_decomposerEEEEE10hipError_tT0_T1_T2_jT3_P12ihipStream_tbPNSt15iterator_traitsISG_E10value_typeEPNSM_ISH_E10value_typeEPSI_NS1_7vsmem_tEENKUlT_SG_SH_SI_E_clIS7_S7_SB_PlEESF_SV_SG_SH_SI_EUlSV_E1_NS1_11comp_targetILNS1_3genE8ELNS1_11target_archE1030ELNS1_3gpuE2ELNS1_3repE0EEENS1_36merge_oddeven_config_static_selectorELNS0_4arch9wavefront6targetE1EEEvSH_,@function
_ZN7rocprim17ROCPRIM_400000_NS6detail17trampoline_kernelINS0_14default_configENS1_38merge_sort_block_merge_config_selectorIilEEZZNS1_27merge_sort_block_merge_implIS3_PiN6thrust23THRUST_200600_302600_NS10device_ptrIlEEjNS1_19radix_merge_compareILb0ELb1EiNS0_19identity_decomposerEEEEE10hipError_tT0_T1_T2_jT3_P12ihipStream_tbPNSt15iterator_traitsISG_E10value_typeEPNSM_ISH_E10value_typeEPSI_NS1_7vsmem_tEENKUlT_SG_SH_SI_E_clIS7_S7_SB_PlEESF_SV_SG_SH_SI_EUlSV_E1_NS1_11comp_targetILNS1_3genE8ELNS1_11target_archE1030ELNS1_3gpuE2ELNS1_3repE0EEENS1_36merge_oddeven_config_static_selectorELNS0_4arch9wavefront6targetE1EEEvSH_: ; @_ZN7rocprim17ROCPRIM_400000_NS6detail17trampoline_kernelINS0_14default_configENS1_38merge_sort_block_merge_config_selectorIilEEZZNS1_27merge_sort_block_merge_implIS3_PiN6thrust23THRUST_200600_302600_NS10device_ptrIlEEjNS1_19radix_merge_compareILb0ELb1EiNS0_19identity_decomposerEEEEE10hipError_tT0_T1_T2_jT3_P12ihipStream_tbPNSt15iterator_traitsISG_E10value_typeEPNSM_ISH_E10value_typeEPSI_NS1_7vsmem_tEENKUlT_SG_SH_SI_E_clIS7_S7_SB_PlEESF_SV_SG_SH_SI_EUlSV_E1_NS1_11comp_targetILNS1_3genE8ELNS1_11target_archE1030ELNS1_3gpuE2ELNS1_3repE0EEENS1_36merge_oddeven_config_static_selectorELNS0_4arch9wavefront6targetE1EEEvSH_
; %bb.0:
	.section	.rodata,"a",@progbits
	.p2align	6, 0x0
	.amdhsa_kernel _ZN7rocprim17ROCPRIM_400000_NS6detail17trampoline_kernelINS0_14default_configENS1_38merge_sort_block_merge_config_selectorIilEEZZNS1_27merge_sort_block_merge_implIS3_PiN6thrust23THRUST_200600_302600_NS10device_ptrIlEEjNS1_19radix_merge_compareILb0ELb1EiNS0_19identity_decomposerEEEEE10hipError_tT0_T1_T2_jT3_P12ihipStream_tbPNSt15iterator_traitsISG_E10value_typeEPNSM_ISH_E10value_typeEPSI_NS1_7vsmem_tEENKUlT_SG_SH_SI_E_clIS7_S7_SB_PlEESF_SV_SG_SH_SI_EUlSV_E1_NS1_11comp_targetILNS1_3genE8ELNS1_11target_archE1030ELNS1_3gpuE2ELNS1_3repE0EEENS1_36merge_oddeven_config_static_selectorELNS0_4arch9wavefront6targetE1EEEvSH_
		.amdhsa_group_segment_fixed_size 0
		.amdhsa_private_segment_fixed_size 0
		.amdhsa_kernarg_size 48
		.amdhsa_user_sgpr_count 6
		.amdhsa_user_sgpr_private_segment_buffer 1
		.amdhsa_user_sgpr_dispatch_ptr 0
		.amdhsa_user_sgpr_queue_ptr 0
		.amdhsa_user_sgpr_kernarg_segment_ptr 1
		.amdhsa_user_sgpr_dispatch_id 0
		.amdhsa_user_sgpr_flat_scratch_init 0
		.amdhsa_user_sgpr_private_segment_size 0
		.amdhsa_uses_dynamic_stack 0
		.amdhsa_system_sgpr_private_segment_wavefront_offset 0
		.amdhsa_system_sgpr_workgroup_id_x 1
		.amdhsa_system_sgpr_workgroup_id_y 0
		.amdhsa_system_sgpr_workgroup_id_z 0
		.amdhsa_system_sgpr_workgroup_info 0
		.amdhsa_system_vgpr_workitem_id 0
		.amdhsa_next_free_vgpr 1
		.amdhsa_next_free_sgpr 0
		.amdhsa_reserve_vcc 0
		.amdhsa_reserve_flat_scratch 0
		.amdhsa_float_round_mode_32 0
		.amdhsa_float_round_mode_16_64 0
		.amdhsa_float_denorm_mode_32 3
		.amdhsa_float_denorm_mode_16_64 3
		.amdhsa_dx10_clamp 1
		.amdhsa_ieee_mode 1
		.amdhsa_fp16_overflow 0
		.amdhsa_exception_fp_ieee_invalid_op 0
		.amdhsa_exception_fp_denorm_src 0
		.amdhsa_exception_fp_ieee_div_zero 0
		.amdhsa_exception_fp_ieee_overflow 0
		.amdhsa_exception_fp_ieee_underflow 0
		.amdhsa_exception_fp_ieee_inexact 0
		.amdhsa_exception_int_div_zero 0
	.end_amdhsa_kernel
	.section	.text._ZN7rocprim17ROCPRIM_400000_NS6detail17trampoline_kernelINS0_14default_configENS1_38merge_sort_block_merge_config_selectorIilEEZZNS1_27merge_sort_block_merge_implIS3_PiN6thrust23THRUST_200600_302600_NS10device_ptrIlEEjNS1_19radix_merge_compareILb0ELb1EiNS0_19identity_decomposerEEEEE10hipError_tT0_T1_T2_jT3_P12ihipStream_tbPNSt15iterator_traitsISG_E10value_typeEPNSM_ISH_E10value_typeEPSI_NS1_7vsmem_tEENKUlT_SG_SH_SI_E_clIS7_S7_SB_PlEESF_SV_SG_SH_SI_EUlSV_E1_NS1_11comp_targetILNS1_3genE8ELNS1_11target_archE1030ELNS1_3gpuE2ELNS1_3repE0EEENS1_36merge_oddeven_config_static_selectorELNS0_4arch9wavefront6targetE1EEEvSH_,"axG",@progbits,_ZN7rocprim17ROCPRIM_400000_NS6detail17trampoline_kernelINS0_14default_configENS1_38merge_sort_block_merge_config_selectorIilEEZZNS1_27merge_sort_block_merge_implIS3_PiN6thrust23THRUST_200600_302600_NS10device_ptrIlEEjNS1_19radix_merge_compareILb0ELb1EiNS0_19identity_decomposerEEEEE10hipError_tT0_T1_T2_jT3_P12ihipStream_tbPNSt15iterator_traitsISG_E10value_typeEPNSM_ISH_E10value_typeEPSI_NS1_7vsmem_tEENKUlT_SG_SH_SI_E_clIS7_S7_SB_PlEESF_SV_SG_SH_SI_EUlSV_E1_NS1_11comp_targetILNS1_3genE8ELNS1_11target_archE1030ELNS1_3gpuE2ELNS1_3repE0EEENS1_36merge_oddeven_config_static_selectorELNS0_4arch9wavefront6targetE1EEEvSH_,comdat
.Lfunc_end847:
	.size	_ZN7rocprim17ROCPRIM_400000_NS6detail17trampoline_kernelINS0_14default_configENS1_38merge_sort_block_merge_config_selectorIilEEZZNS1_27merge_sort_block_merge_implIS3_PiN6thrust23THRUST_200600_302600_NS10device_ptrIlEEjNS1_19radix_merge_compareILb0ELb1EiNS0_19identity_decomposerEEEEE10hipError_tT0_T1_T2_jT3_P12ihipStream_tbPNSt15iterator_traitsISG_E10value_typeEPNSM_ISH_E10value_typeEPSI_NS1_7vsmem_tEENKUlT_SG_SH_SI_E_clIS7_S7_SB_PlEESF_SV_SG_SH_SI_EUlSV_E1_NS1_11comp_targetILNS1_3genE8ELNS1_11target_archE1030ELNS1_3gpuE2ELNS1_3repE0EEENS1_36merge_oddeven_config_static_selectorELNS0_4arch9wavefront6targetE1EEEvSH_, .Lfunc_end847-_ZN7rocprim17ROCPRIM_400000_NS6detail17trampoline_kernelINS0_14default_configENS1_38merge_sort_block_merge_config_selectorIilEEZZNS1_27merge_sort_block_merge_implIS3_PiN6thrust23THRUST_200600_302600_NS10device_ptrIlEEjNS1_19radix_merge_compareILb0ELb1EiNS0_19identity_decomposerEEEEE10hipError_tT0_T1_T2_jT3_P12ihipStream_tbPNSt15iterator_traitsISG_E10value_typeEPNSM_ISH_E10value_typeEPSI_NS1_7vsmem_tEENKUlT_SG_SH_SI_E_clIS7_S7_SB_PlEESF_SV_SG_SH_SI_EUlSV_E1_NS1_11comp_targetILNS1_3genE8ELNS1_11target_archE1030ELNS1_3gpuE2ELNS1_3repE0EEENS1_36merge_oddeven_config_static_selectorELNS0_4arch9wavefront6targetE1EEEvSH_
                                        ; -- End function
	.set _ZN7rocprim17ROCPRIM_400000_NS6detail17trampoline_kernelINS0_14default_configENS1_38merge_sort_block_merge_config_selectorIilEEZZNS1_27merge_sort_block_merge_implIS3_PiN6thrust23THRUST_200600_302600_NS10device_ptrIlEEjNS1_19radix_merge_compareILb0ELb1EiNS0_19identity_decomposerEEEEE10hipError_tT0_T1_T2_jT3_P12ihipStream_tbPNSt15iterator_traitsISG_E10value_typeEPNSM_ISH_E10value_typeEPSI_NS1_7vsmem_tEENKUlT_SG_SH_SI_E_clIS7_S7_SB_PlEESF_SV_SG_SH_SI_EUlSV_E1_NS1_11comp_targetILNS1_3genE8ELNS1_11target_archE1030ELNS1_3gpuE2ELNS1_3repE0EEENS1_36merge_oddeven_config_static_selectorELNS0_4arch9wavefront6targetE1EEEvSH_.num_vgpr, 0
	.set _ZN7rocprim17ROCPRIM_400000_NS6detail17trampoline_kernelINS0_14default_configENS1_38merge_sort_block_merge_config_selectorIilEEZZNS1_27merge_sort_block_merge_implIS3_PiN6thrust23THRUST_200600_302600_NS10device_ptrIlEEjNS1_19radix_merge_compareILb0ELb1EiNS0_19identity_decomposerEEEEE10hipError_tT0_T1_T2_jT3_P12ihipStream_tbPNSt15iterator_traitsISG_E10value_typeEPNSM_ISH_E10value_typeEPSI_NS1_7vsmem_tEENKUlT_SG_SH_SI_E_clIS7_S7_SB_PlEESF_SV_SG_SH_SI_EUlSV_E1_NS1_11comp_targetILNS1_3genE8ELNS1_11target_archE1030ELNS1_3gpuE2ELNS1_3repE0EEENS1_36merge_oddeven_config_static_selectorELNS0_4arch9wavefront6targetE1EEEvSH_.num_agpr, 0
	.set _ZN7rocprim17ROCPRIM_400000_NS6detail17trampoline_kernelINS0_14default_configENS1_38merge_sort_block_merge_config_selectorIilEEZZNS1_27merge_sort_block_merge_implIS3_PiN6thrust23THRUST_200600_302600_NS10device_ptrIlEEjNS1_19radix_merge_compareILb0ELb1EiNS0_19identity_decomposerEEEEE10hipError_tT0_T1_T2_jT3_P12ihipStream_tbPNSt15iterator_traitsISG_E10value_typeEPNSM_ISH_E10value_typeEPSI_NS1_7vsmem_tEENKUlT_SG_SH_SI_E_clIS7_S7_SB_PlEESF_SV_SG_SH_SI_EUlSV_E1_NS1_11comp_targetILNS1_3genE8ELNS1_11target_archE1030ELNS1_3gpuE2ELNS1_3repE0EEENS1_36merge_oddeven_config_static_selectorELNS0_4arch9wavefront6targetE1EEEvSH_.numbered_sgpr, 0
	.set _ZN7rocprim17ROCPRIM_400000_NS6detail17trampoline_kernelINS0_14default_configENS1_38merge_sort_block_merge_config_selectorIilEEZZNS1_27merge_sort_block_merge_implIS3_PiN6thrust23THRUST_200600_302600_NS10device_ptrIlEEjNS1_19radix_merge_compareILb0ELb1EiNS0_19identity_decomposerEEEEE10hipError_tT0_T1_T2_jT3_P12ihipStream_tbPNSt15iterator_traitsISG_E10value_typeEPNSM_ISH_E10value_typeEPSI_NS1_7vsmem_tEENKUlT_SG_SH_SI_E_clIS7_S7_SB_PlEESF_SV_SG_SH_SI_EUlSV_E1_NS1_11comp_targetILNS1_3genE8ELNS1_11target_archE1030ELNS1_3gpuE2ELNS1_3repE0EEENS1_36merge_oddeven_config_static_selectorELNS0_4arch9wavefront6targetE1EEEvSH_.num_named_barrier, 0
	.set _ZN7rocprim17ROCPRIM_400000_NS6detail17trampoline_kernelINS0_14default_configENS1_38merge_sort_block_merge_config_selectorIilEEZZNS1_27merge_sort_block_merge_implIS3_PiN6thrust23THRUST_200600_302600_NS10device_ptrIlEEjNS1_19radix_merge_compareILb0ELb1EiNS0_19identity_decomposerEEEEE10hipError_tT0_T1_T2_jT3_P12ihipStream_tbPNSt15iterator_traitsISG_E10value_typeEPNSM_ISH_E10value_typeEPSI_NS1_7vsmem_tEENKUlT_SG_SH_SI_E_clIS7_S7_SB_PlEESF_SV_SG_SH_SI_EUlSV_E1_NS1_11comp_targetILNS1_3genE8ELNS1_11target_archE1030ELNS1_3gpuE2ELNS1_3repE0EEENS1_36merge_oddeven_config_static_selectorELNS0_4arch9wavefront6targetE1EEEvSH_.private_seg_size, 0
	.set _ZN7rocprim17ROCPRIM_400000_NS6detail17trampoline_kernelINS0_14default_configENS1_38merge_sort_block_merge_config_selectorIilEEZZNS1_27merge_sort_block_merge_implIS3_PiN6thrust23THRUST_200600_302600_NS10device_ptrIlEEjNS1_19radix_merge_compareILb0ELb1EiNS0_19identity_decomposerEEEEE10hipError_tT0_T1_T2_jT3_P12ihipStream_tbPNSt15iterator_traitsISG_E10value_typeEPNSM_ISH_E10value_typeEPSI_NS1_7vsmem_tEENKUlT_SG_SH_SI_E_clIS7_S7_SB_PlEESF_SV_SG_SH_SI_EUlSV_E1_NS1_11comp_targetILNS1_3genE8ELNS1_11target_archE1030ELNS1_3gpuE2ELNS1_3repE0EEENS1_36merge_oddeven_config_static_selectorELNS0_4arch9wavefront6targetE1EEEvSH_.uses_vcc, 0
	.set _ZN7rocprim17ROCPRIM_400000_NS6detail17trampoline_kernelINS0_14default_configENS1_38merge_sort_block_merge_config_selectorIilEEZZNS1_27merge_sort_block_merge_implIS3_PiN6thrust23THRUST_200600_302600_NS10device_ptrIlEEjNS1_19radix_merge_compareILb0ELb1EiNS0_19identity_decomposerEEEEE10hipError_tT0_T1_T2_jT3_P12ihipStream_tbPNSt15iterator_traitsISG_E10value_typeEPNSM_ISH_E10value_typeEPSI_NS1_7vsmem_tEENKUlT_SG_SH_SI_E_clIS7_S7_SB_PlEESF_SV_SG_SH_SI_EUlSV_E1_NS1_11comp_targetILNS1_3genE8ELNS1_11target_archE1030ELNS1_3gpuE2ELNS1_3repE0EEENS1_36merge_oddeven_config_static_selectorELNS0_4arch9wavefront6targetE1EEEvSH_.uses_flat_scratch, 0
	.set _ZN7rocprim17ROCPRIM_400000_NS6detail17trampoline_kernelINS0_14default_configENS1_38merge_sort_block_merge_config_selectorIilEEZZNS1_27merge_sort_block_merge_implIS3_PiN6thrust23THRUST_200600_302600_NS10device_ptrIlEEjNS1_19radix_merge_compareILb0ELb1EiNS0_19identity_decomposerEEEEE10hipError_tT0_T1_T2_jT3_P12ihipStream_tbPNSt15iterator_traitsISG_E10value_typeEPNSM_ISH_E10value_typeEPSI_NS1_7vsmem_tEENKUlT_SG_SH_SI_E_clIS7_S7_SB_PlEESF_SV_SG_SH_SI_EUlSV_E1_NS1_11comp_targetILNS1_3genE8ELNS1_11target_archE1030ELNS1_3gpuE2ELNS1_3repE0EEENS1_36merge_oddeven_config_static_selectorELNS0_4arch9wavefront6targetE1EEEvSH_.has_dyn_sized_stack, 0
	.set _ZN7rocprim17ROCPRIM_400000_NS6detail17trampoline_kernelINS0_14default_configENS1_38merge_sort_block_merge_config_selectorIilEEZZNS1_27merge_sort_block_merge_implIS3_PiN6thrust23THRUST_200600_302600_NS10device_ptrIlEEjNS1_19radix_merge_compareILb0ELb1EiNS0_19identity_decomposerEEEEE10hipError_tT0_T1_T2_jT3_P12ihipStream_tbPNSt15iterator_traitsISG_E10value_typeEPNSM_ISH_E10value_typeEPSI_NS1_7vsmem_tEENKUlT_SG_SH_SI_E_clIS7_S7_SB_PlEESF_SV_SG_SH_SI_EUlSV_E1_NS1_11comp_targetILNS1_3genE8ELNS1_11target_archE1030ELNS1_3gpuE2ELNS1_3repE0EEENS1_36merge_oddeven_config_static_selectorELNS0_4arch9wavefront6targetE1EEEvSH_.has_recursion, 0
	.set _ZN7rocprim17ROCPRIM_400000_NS6detail17trampoline_kernelINS0_14default_configENS1_38merge_sort_block_merge_config_selectorIilEEZZNS1_27merge_sort_block_merge_implIS3_PiN6thrust23THRUST_200600_302600_NS10device_ptrIlEEjNS1_19radix_merge_compareILb0ELb1EiNS0_19identity_decomposerEEEEE10hipError_tT0_T1_T2_jT3_P12ihipStream_tbPNSt15iterator_traitsISG_E10value_typeEPNSM_ISH_E10value_typeEPSI_NS1_7vsmem_tEENKUlT_SG_SH_SI_E_clIS7_S7_SB_PlEESF_SV_SG_SH_SI_EUlSV_E1_NS1_11comp_targetILNS1_3genE8ELNS1_11target_archE1030ELNS1_3gpuE2ELNS1_3repE0EEENS1_36merge_oddeven_config_static_selectorELNS0_4arch9wavefront6targetE1EEEvSH_.has_indirect_call, 0
	.section	.AMDGPU.csdata,"",@progbits
; Kernel info:
; codeLenInByte = 0
; TotalNumSgprs: 4
; NumVgprs: 0
; ScratchSize: 0
; MemoryBound: 0
; FloatMode: 240
; IeeeMode: 1
; LDSByteSize: 0 bytes/workgroup (compile time only)
; SGPRBlocks: 0
; VGPRBlocks: 0
; NumSGPRsForWavesPerEU: 4
; NumVGPRsForWavesPerEU: 1
; Occupancy: 10
; WaveLimiterHint : 0
; COMPUTE_PGM_RSRC2:SCRATCH_EN: 0
; COMPUTE_PGM_RSRC2:USER_SGPR: 6
; COMPUTE_PGM_RSRC2:TRAP_HANDLER: 0
; COMPUTE_PGM_RSRC2:TGID_X_EN: 1
; COMPUTE_PGM_RSRC2:TGID_Y_EN: 0
; COMPUTE_PGM_RSRC2:TGID_Z_EN: 0
; COMPUTE_PGM_RSRC2:TIDIG_COMP_CNT: 0
	.section	.text._ZN7rocprim17ROCPRIM_400000_NS6detail17trampoline_kernelINS0_14default_configENS1_35radix_sort_onesweep_config_selectorIilEEZNS1_34radix_sort_onesweep_global_offsetsIS3_Lb0EPiN6thrust23THRUST_200600_302600_NS10device_ptrIlEEjNS0_19identity_decomposerEEE10hipError_tT1_T2_PT3_SG_jT4_jjP12ihipStream_tbEUlT_E_NS1_11comp_targetILNS1_3genE0ELNS1_11target_archE4294967295ELNS1_3gpuE0ELNS1_3repE0EEENS1_52radix_sort_onesweep_histogram_config_static_selectorELNS0_4arch9wavefront6targetE1EEEvSE_,"axG",@progbits,_ZN7rocprim17ROCPRIM_400000_NS6detail17trampoline_kernelINS0_14default_configENS1_35radix_sort_onesweep_config_selectorIilEEZNS1_34radix_sort_onesweep_global_offsetsIS3_Lb0EPiN6thrust23THRUST_200600_302600_NS10device_ptrIlEEjNS0_19identity_decomposerEEE10hipError_tT1_T2_PT3_SG_jT4_jjP12ihipStream_tbEUlT_E_NS1_11comp_targetILNS1_3genE0ELNS1_11target_archE4294967295ELNS1_3gpuE0ELNS1_3repE0EEENS1_52radix_sort_onesweep_histogram_config_static_selectorELNS0_4arch9wavefront6targetE1EEEvSE_,comdat
	.protected	_ZN7rocprim17ROCPRIM_400000_NS6detail17trampoline_kernelINS0_14default_configENS1_35radix_sort_onesweep_config_selectorIilEEZNS1_34radix_sort_onesweep_global_offsetsIS3_Lb0EPiN6thrust23THRUST_200600_302600_NS10device_ptrIlEEjNS0_19identity_decomposerEEE10hipError_tT1_T2_PT3_SG_jT4_jjP12ihipStream_tbEUlT_E_NS1_11comp_targetILNS1_3genE0ELNS1_11target_archE4294967295ELNS1_3gpuE0ELNS1_3repE0EEENS1_52radix_sort_onesweep_histogram_config_static_selectorELNS0_4arch9wavefront6targetE1EEEvSE_ ; -- Begin function _ZN7rocprim17ROCPRIM_400000_NS6detail17trampoline_kernelINS0_14default_configENS1_35radix_sort_onesweep_config_selectorIilEEZNS1_34radix_sort_onesweep_global_offsetsIS3_Lb0EPiN6thrust23THRUST_200600_302600_NS10device_ptrIlEEjNS0_19identity_decomposerEEE10hipError_tT1_T2_PT3_SG_jT4_jjP12ihipStream_tbEUlT_E_NS1_11comp_targetILNS1_3genE0ELNS1_11target_archE4294967295ELNS1_3gpuE0ELNS1_3repE0EEENS1_52radix_sort_onesweep_histogram_config_static_selectorELNS0_4arch9wavefront6targetE1EEEvSE_
	.globl	_ZN7rocprim17ROCPRIM_400000_NS6detail17trampoline_kernelINS0_14default_configENS1_35radix_sort_onesweep_config_selectorIilEEZNS1_34radix_sort_onesweep_global_offsetsIS3_Lb0EPiN6thrust23THRUST_200600_302600_NS10device_ptrIlEEjNS0_19identity_decomposerEEE10hipError_tT1_T2_PT3_SG_jT4_jjP12ihipStream_tbEUlT_E_NS1_11comp_targetILNS1_3genE0ELNS1_11target_archE4294967295ELNS1_3gpuE0ELNS1_3repE0EEENS1_52radix_sort_onesweep_histogram_config_static_selectorELNS0_4arch9wavefront6targetE1EEEvSE_
	.p2align	8
	.type	_ZN7rocprim17ROCPRIM_400000_NS6detail17trampoline_kernelINS0_14default_configENS1_35radix_sort_onesweep_config_selectorIilEEZNS1_34radix_sort_onesweep_global_offsetsIS3_Lb0EPiN6thrust23THRUST_200600_302600_NS10device_ptrIlEEjNS0_19identity_decomposerEEE10hipError_tT1_T2_PT3_SG_jT4_jjP12ihipStream_tbEUlT_E_NS1_11comp_targetILNS1_3genE0ELNS1_11target_archE4294967295ELNS1_3gpuE0ELNS1_3repE0EEENS1_52radix_sort_onesweep_histogram_config_static_selectorELNS0_4arch9wavefront6targetE1EEEvSE_,@function
_ZN7rocprim17ROCPRIM_400000_NS6detail17trampoline_kernelINS0_14default_configENS1_35radix_sort_onesweep_config_selectorIilEEZNS1_34radix_sort_onesweep_global_offsetsIS3_Lb0EPiN6thrust23THRUST_200600_302600_NS10device_ptrIlEEjNS0_19identity_decomposerEEE10hipError_tT1_T2_PT3_SG_jT4_jjP12ihipStream_tbEUlT_E_NS1_11comp_targetILNS1_3genE0ELNS1_11target_archE4294967295ELNS1_3gpuE0ELNS1_3repE0EEENS1_52radix_sort_onesweep_histogram_config_static_selectorELNS0_4arch9wavefront6targetE1EEEvSE_: ; @_ZN7rocprim17ROCPRIM_400000_NS6detail17trampoline_kernelINS0_14default_configENS1_35radix_sort_onesweep_config_selectorIilEEZNS1_34radix_sort_onesweep_global_offsetsIS3_Lb0EPiN6thrust23THRUST_200600_302600_NS10device_ptrIlEEjNS0_19identity_decomposerEEE10hipError_tT1_T2_PT3_SG_jT4_jjP12ihipStream_tbEUlT_E_NS1_11comp_targetILNS1_3genE0ELNS1_11target_archE4294967295ELNS1_3gpuE0ELNS1_3repE0EEENS1_52radix_sort_onesweep_histogram_config_static_selectorELNS0_4arch9wavefront6targetE1EEEvSE_
; %bb.0:
	.section	.rodata,"a",@progbits
	.p2align	6, 0x0
	.amdhsa_kernel _ZN7rocprim17ROCPRIM_400000_NS6detail17trampoline_kernelINS0_14default_configENS1_35radix_sort_onesweep_config_selectorIilEEZNS1_34radix_sort_onesweep_global_offsetsIS3_Lb0EPiN6thrust23THRUST_200600_302600_NS10device_ptrIlEEjNS0_19identity_decomposerEEE10hipError_tT1_T2_PT3_SG_jT4_jjP12ihipStream_tbEUlT_E_NS1_11comp_targetILNS1_3genE0ELNS1_11target_archE4294967295ELNS1_3gpuE0ELNS1_3repE0EEENS1_52radix_sort_onesweep_histogram_config_static_selectorELNS0_4arch9wavefront6targetE1EEEvSE_
		.amdhsa_group_segment_fixed_size 0
		.amdhsa_private_segment_fixed_size 0
		.amdhsa_kernarg_size 40
		.amdhsa_user_sgpr_count 6
		.amdhsa_user_sgpr_private_segment_buffer 1
		.amdhsa_user_sgpr_dispatch_ptr 0
		.amdhsa_user_sgpr_queue_ptr 0
		.amdhsa_user_sgpr_kernarg_segment_ptr 1
		.amdhsa_user_sgpr_dispatch_id 0
		.amdhsa_user_sgpr_flat_scratch_init 0
		.amdhsa_user_sgpr_private_segment_size 0
		.amdhsa_uses_dynamic_stack 0
		.amdhsa_system_sgpr_private_segment_wavefront_offset 0
		.amdhsa_system_sgpr_workgroup_id_x 1
		.amdhsa_system_sgpr_workgroup_id_y 0
		.amdhsa_system_sgpr_workgroup_id_z 0
		.amdhsa_system_sgpr_workgroup_info 0
		.amdhsa_system_vgpr_workitem_id 0
		.amdhsa_next_free_vgpr 1
		.amdhsa_next_free_sgpr 0
		.amdhsa_reserve_vcc 0
		.amdhsa_reserve_flat_scratch 0
		.amdhsa_float_round_mode_32 0
		.amdhsa_float_round_mode_16_64 0
		.amdhsa_float_denorm_mode_32 3
		.amdhsa_float_denorm_mode_16_64 3
		.amdhsa_dx10_clamp 1
		.amdhsa_ieee_mode 1
		.amdhsa_fp16_overflow 0
		.amdhsa_exception_fp_ieee_invalid_op 0
		.amdhsa_exception_fp_denorm_src 0
		.amdhsa_exception_fp_ieee_div_zero 0
		.amdhsa_exception_fp_ieee_overflow 0
		.amdhsa_exception_fp_ieee_underflow 0
		.amdhsa_exception_fp_ieee_inexact 0
		.amdhsa_exception_int_div_zero 0
	.end_amdhsa_kernel
	.section	.text._ZN7rocprim17ROCPRIM_400000_NS6detail17trampoline_kernelINS0_14default_configENS1_35radix_sort_onesweep_config_selectorIilEEZNS1_34radix_sort_onesweep_global_offsetsIS3_Lb0EPiN6thrust23THRUST_200600_302600_NS10device_ptrIlEEjNS0_19identity_decomposerEEE10hipError_tT1_T2_PT3_SG_jT4_jjP12ihipStream_tbEUlT_E_NS1_11comp_targetILNS1_3genE0ELNS1_11target_archE4294967295ELNS1_3gpuE0ELNS1_3repE0EEENS1_52radix_sort_onesweep_histogram_config_static_selectorELNS0_4arch9wavefront6targetE1EEEvSE_,"axG",@progbits,_ZN7rocprim17ROCPRIM_400000_NS6detail17trampoline_kernelINS0_14default_configENS1_35radix_sort_onesweep_config_selectorIilEEZNS1_34radix_sort_onesweep_global_offsetsIS3_Lb0EPiN6thrust23THRUST_200600_302600_NS10device_ptrIlEEjNS0_19identity_decomposerEEE10hipError_tT1_T2_PT3_SG_jT4_jjP12ihipStream_tbEUlT_E_NS1_11comp_targetILNS1_3genE0ELNS1_11target_archE4294967295ELNS1_3gpuE0ELNS1_3repE0EEENS1_52radix_sort_onesweep_histogram_config_static_selectorELNS0_4arch9wavefront6targetE1EEEvSE_,comdat
.Lfunc_end848:
	.size	_ZN7rocprim17ROCPRIM_400000_NS6detail17trampoline_kernelINS0_14default_configENS1_35radix_sort_onesweep_config_selectorIilEEZNS1_34radix_sort_onesweep_global_offsetsIS3_Lb0EPiN6thrust23THRUST_200600_302600_NS10device_ptrIlEEjNS0_19identity_decomposerEEE10hipError_tT1_T2_PT3_SG_jT4_jjP12ihipStream_tbEUlT_E_NS1_11comp_targetILNS1_3genE0ELNS1_11target_archE4294967295ELNS1_3gpuE0ELNS1_3repE0EEENS1_52radix_sort_onesweep_histogram_config_static_selectorELNS0_4arch9wavefront6targetE1EEEvSE_, .Lfunc_end848-_ZN7rocprim17ROCPRIM_400000_NS6detail17trampoline_kernelINS0_14default_configENS1_35radix_sort_onesweep_config_selectorIilEEZNS1_34radix_sort_onesweep_global_offsetsIS3_Lb0EPiN6thrust23THRUST_200600_302600_NS10device_ptrIlEEjNS0_19identity_decomposerEEE10hipError_tT1_T2_PT3_SG_jT4_jjP12ihipStream_tbEUlT_E_NS1_11comp_targetILNS1_3genE0ELNS1_11target_archE4294967295ELNS1_3gpuE0ELNS1_3repE0EEENS1_52radix_sort_onesweep_histogram_config_static_selectorELNS0_4arch9wavefront6targetE1EEEvSE_
                                        ; -- End function
	.set _ZN7rocprim17ROCPRIM_400000_NS6detail17trampoline_kernelINS0_14default_configENS1_35radix_sort_onesweep_config_selectorIilEEZNS1_34radix_sort_onesweep_global_offsetsIS3_Lb0EPiN6thrust23THRUST_200600_302600_NS10device_ptrIlEEjNS0_19identity_decomposerEEE10hipError_tT1_T2_PT3_SG_jT4_jjP12ihipStream_tbEUlT_E_NS1_11comp_targetILNS1_3genE0ELNS1_11target_archE4294967295ELNS1_3gpuE0ELNS1_3repE0EEENS1_52radix_sort_onesweep_histogram_config_static_selectorELNS0_4arch9wavefront6targetE1EEEvSE_.num_vgpr, 0
	.set _ZN7rocprim17ROCPRIM_400000_NS6detail17trampoline_kernelINS0_14default_configENS1_35radix_sort_onesweep_config_selectorIilEEZNS1_34radix_sort_onesweep_global_offsetsIS3_Lb0EPiN6thrust23THRUST_200600_302600_NS10device_ptrIlEEjNS0_19identity_decomposerEEE10hipError_tT1_T2_PT3_SG_jT4_jjP12ihipStream_tbEUlT_E_NS1_11comp_targetILNS1_3genE0ELNS1_11target_archE4294967295ELNS1_3gpuE0ELNS1_3repE0EEENS1_52radix_sort_onesweep_histogram_config_static_selectorELNS0_4arch9wavefront6targetE1EEEvSE_.num_agpr, 0
	.set _ZN7rocprim17ROCPRIM_400000_NS6detail17trampoline_kernelINS0_14default_configENS1_35radix_sort_onesweep_config_selectorIilEEZNS1_34radix_sort_onesweep_global_offsetsIS3_Lb0EPiN6thrust23THRUST_200600_302600_NS10device_ptrIlEEjNS0_19identity_decomposerEEE10hipError_tT1_T2_PT3_SG_jT4_jjP12ihipStream_tbEUlT_E_NS1_11comp_targetILNS1_3genE0ELNS1_11target_archE4294967295ELNS1_3gpuE0ELNS1_3repE0EEENS1_52radix_sort_onesweep_histogram_config_static_selectorELNS0_4arch9wavefront6targetE1EEEvSE_.numbered_sgpr, 0
	.set _ZN7rocprim17ROCPRIM_400000_NS6detail17trampoline_kernelINS0_14default_configENS1_35radix_sort_onesweep_config_selectorIilEEZNS1_34radix_sort_onesweep_global_offsetsIS3_Lb0EPiN6thrust23THRUST_200600_302600_NS10device_ptrIlEEjNS0_19identity_decomposerEEE10hipError_tT1_T2_PT3_SG_jT4_jjP12ihipStream_tbEUlT_E_NS1_11comp_targetILNS1_3genE0ELNS1_11target_archE4294967295ELNS1_3gpuE0ELNS1_3repE0EEENS1_52radix_sort_onesweep_histogram_config_static_selectorELNS0_4arch9wavefront6targetE1EEEvSE_.num_named_barrier, 0
	.set _ZN7rocprim17ROCPRIM_400000_NS6detail17trampoline_kernelINS0_14default_configENS1_35radix_sort_onesweep_config_selectorIilEEZNS1_34radix_sort_onesweep_global_offsetsIS3_Lb0EPiN6thrust23THRUST_200600_302600_NS10device_ptrIlEEjNS0_19identity_decomposerEEE10hipError_tT1_T2_PT3_SG_jT4_jjP12ihipStream_tbEUlT_E_NS1_11comp_targetILNS1_3genE0ELNS1_11target_archE4294967295ELNS1_3gpuE0ELNS1_3repE0EEENS1_52radix_sort_onesweep_histogram_config_static_selectorELNS0_4arch9wavefront6targetE1EEEvSE_.private_seg_size, 0
	.set _ZN7rocprim17ROCPRIM_400000_NS6detail17trampoline_kernelINS0_14default_configENS1_35radix_sort_onesweep_config_selectorIilEEZNS1_34radix_sort_onesweep_global_offsetsIS3_Lb0EPiN6thrust23THRUST_200600_302600_NS10device_ptrIlEEjNS0_19identity_decomposerEEE10hipError_tT1_T2_PT3_SG_jT4_jjP12ihipStream_tbEUlT_E_NS1_11comp_targetILNS1_3genE0ELNS1_11target_archE4294967295ELNS1_3gpuE0ELNS1_3repE0EEENS1_52radix_sort_onesweep_histogram_config_static_selectorELNS0_4arch9wavefront6targetE1EEEvSE_.uses_vcc, 0
	.set _ZN7rocprim17ROCPRIM_400000_NS6detail17trampoline_kernelINS0_14default_configENS1_35radix_sort_onesweep_config_selectorIilEEZNS1_34radix_sort_onesweep_global_offsetsIS3_Lb0EPiN6thrust23THRUST_200600_302600_NS10device_ptrIlEEjNS0_19identity_decomposerEEE10hipError_tT1_T2_PT3_SG_jT4_jjP12ihipStream_tbEUlT_E_NS1_11comp_targetILNS1_3genE0ELNS1_11target_archE4294967295ELNS1_3gpuE0ELNS1_3repE0EEENS1_52radix_sort_onesweep_histogram_config_static_selectorELNS0_4arch9wavefront6targetE1EEEvSE_.uses_flat_scratch, 0
	.set _ZN7rocprim17ROCPRIM_400000_NS6detail17trampoline_kernelINS0_14default_configENS1_35radix_sort_onesweep_config_selectorIilEEZNS1_34radix_sort_onesweep_global_offsetsIS3_Lb0EPiN6thrust23THRUST_200600_302600_NS10device_ptrIlEEjNS0_19identity_decomposerEEE10hipError_tT1_T2_PT3_SG_jT4_jjP12ihipStream_tbEUlT_E_NS1_11comp_targetILNS1_3genE0ELNS1_11target_archE4294967295ELNS1_3gpuE0ELNS1_3repE0EEENS1_52radix_sort_onesweep_histogram_config_static_selectorELNS0_4arch9wavefront6targetE1EEEvSE_.has_dyn_sized_stack, 0
	.set _ZN7rocprim17ROCPRIM_400000_NS6detail17trampoline_kernelINS0_14default_configENS1_35radix_sort_onesweep_config_selectorIilEEZNS1_34radix_sort_onesweep_global_offsetsIS3_Lb0EPiN6thrust23THRUST_200600_302600_NS10device_ptrIlEEjNS0_19identity_decomposerEEE10hipError_tT1_T2_PT3_SG_jT4_jjP12ihipStream_tbEUlT_E_NS1_11comp_targetILNS1_3genE0ELNS1_11target_archE4294967295ELNS1_3gpuE0ELNS1_3repE0EEENS1_52radix_sort_onesweep_histogram_config_static_selectorELNS0_4arch9wavefront6targetE1EEEvSE_.has_recursion, 0
	.set _ZN7rocprim17ROCPRIM_400000_NS6detail17trampoline_kernelINS0_14default_configENS1_35radix_sort_onesweep_config_selectorIilEEZNS1_34radix_sort_onesweep_global_offsetsIS3_Lb0EPiN6thrust23THRUST_200600_302600_NS10device_ptrIlEEjNS0_19identity_decomposerEEE10hipError_tT1_T2_PT3_SG_jT4_jjP12ihipStream_tbEUlT_E_NS1_11comp_targetILNS1_3genE0ELNS1_11target_archE4294967295ELNS1_3gpuE0ELNS1_3repE0EEENS1_52radix_sort_onesweep_histogram_config_static_selectorELNS0_4arch9wavefront6targetE1EEEvSE_.has_indirect_call, 0
	.section	.AMDGPU.csdata,"",@progbits
; Kernel info:
; codeLenInByte = 0
; TotalNumSgprs: 4
; NumVgprs: 0
; ScratchSize: 0
; MemoryBound: 0
; FloatMode: 240
; IeeeMode: 1
; LDSByteSize: 0 bytes/workgroup (compile time only)
; SGPRBlocks: 0
; VGPRBlocks: 0
; NumSGPRsForWavesPerEU: 4
; NumVGPRsForWavesPerEU: 1
; Occupancy: 10
; WaveLimiterHint : 0
; COMPUTE_PGM_RSRC2:SCRATCH_EN: 0
; COMPUTE_PGM_RSRC2:USER_SGPR: 6
; COMPUTE_PGM_RSRC2:TRAP_HANDLER: 0
; COMPUTE_PGM_RSRC2:TGID_X_EN: 1
; COMPUTE_PGM_RSRC2:TGID_Y_EN: 0
; COMPUTE_PGM_RSRC2:TGID_Z_EN: 0
; COMPUTE_PGM_RSRC2:TIDIG_COMP_CNT: 0
	.section	.text._ZN7rocprim17ROCPRIM_400000_NS6detail17trampoline_kernelINS0_14default_configENS1_35radix_sort_onesweep_config_selectorIilEEZNS1_34radix_sort_onesweep_global_offsetsIS3_Lb0EPiN6thrust23THRUST_200600_302600_NS10device_ptrIlEEjNS0_19identity_decomposerEEE10hipError_tT1_T2_PT3_SG_jT4_jjP12ihipStream_tbEUlT_E_NS1_11comp_targetILNS1_3genE6ELNS1_11target_archE950ELNS1_3gpuE13ELNS1_3repE0EEENS1_52radix_sort_onesweep_histogram_config_static_selectorELNS0_4arch9wavefront6targetE1EEEvSE_,"axG",@progbits,_ZN7rocprim17ROCPRIM_400000_NS6detail17trampoline_kernelINS0_14default_configENS1_35radix_sort_onesweep_config_selectorIilEEZNS1_34radix_sort_onesweep_global_offsetsIS3_Lb0EPiN6thrust23THRUST_200600_302600_NS10device_ptrIlEEjNS0_19identity_decomposerEEE10hipError_tT1_T2_PT3_SG_jT4_jjP12ihipStream_tbEUlT_E_NS1_11comp_targetILNS1_3genE6ELNS1_11target_archE950ELNS1_3gpuE13ELNS1_3repE0EEENS1_52radix_sort_onesweep_histogram_config_static_selectorELNS0_4arch9wavefront6targetE1EEEvSE_,comdat
	.protected	_ZN7rocprim17ROCPRIM_400000_NS6detail17trampoline_kernelINS0_14default_configENS1_35radix_sort_onesweep_config_selectorIilEEZNS1_34radix_sort_onesweep_global_offsetsIS3_Lb0EPiN6thrust23THRUST_200600_302600_NS10device_ptrIlEEjNS0_19identity_decomposerEEE10hipError_tT1_T2_PT3_SG_jT4_jjP12ihipStream_tbEUlT_E_NS1_11comp_targetILNS1_3genE6ELNS1_11target_archE950ELNS1_3gpuE13ELNS1_3repE0EEENS1_52radix_sort_onesweep_histogram_config_static_selectorELNS0_4arch9wavefront6targetE1EEEvSE_ ; -- Begin function _ZN7rocprim17ROCPRIM_400000_NS6detail17trampoline_kernelINS0_14default_configENS1_35radix_sort_onesweep_config_selectorIilEEZNS1_34radix_sort_onesweep_global_offsetsIS3_Lb0EPiN6thrust23THRUST_200600_302600_NS10device_ptrIlEEjNS0_19identity_decomposerEEE10hipError_tT1_T2_PT3_SG_jT4_jjP12ihipStream_tbEUlT_E_NS1_11comp_targetILNS1_3genE6ELNS1_11target_archE950ELNS1_3gpuE13ELNS1_3repE0EEENS1_52radix_sort_onesweep_histogram_config_static_selectorELNS0_4arch9wavefront6targetE1EEEvSE_
	.globl	_ZN7rocprim17ROCPRIM_400000_NS6detail17trampoline_kernelINS0_14default_configENS1_35radix_sort_onesweep_config_selectorIilEEZNS1_34radix_sort_onesweep_global_offsetsIS3_Lb0EPiN6thrust23THRUST_200600_302600_NS10device_ptrIlEEjNS0_19identity_decomposerEEE10hipError_tT1_T2_PT3_SG_jT4_jjP12ihipStream_tbEUlT_E_NS1_11comp_targetILNS1_3genE6ELNS1_11target_archE950ELNS1_3gpuE13ELNS1_3repE0EEENS1_52radix_sort_onesweep_histogram_config_static_selectorELNS0_4arch9wavefront6targetE1EEEvSE_
	.p2align	8
	.type	_ZN7rocprim17ROCPRIM_400000_NS6detail17trampoline_kernelINS0_14default_configENS1_35radix_sort_onesweep_config_selectorIilEEZNS1_34radix_sort_onesweep_global_offsetsIS3_Lb0EPiN6thrust23THRUST_200600_302600_NS10device_ptrIlEEjNS0_19identity_decomposerEEE10hipError_tT1_T2_PT3_SG_jT4_jjP12ihipStream_tbEUlT_E_NS1_11comp_targetILNS1_3genE6ELNS1_11target_archE950ELNS1_3gpuE13ELNS1_3repE0EEENS1_52radix_sort_onesweep_histogram_config_static_selectorELNS0_4arch9wavefront6targetE1EEEvSE_,@function
_ZN7rocprim17ROCPRIM_400000_NS6detail17trampoline_kernelINS0_14default_configENS1_35radix_sort_onesweep_config_selectorIilEEZNS1_34radix_sort_onesweep_global_offsetsIS3_Lb0EPiN6thrust23THRUST_200600_302600_NS10device_ptrIlEEjNS0_19identity_decomposerEEE10hipError_tT1_T2_PT3_SG_jT4_jjP12ihipStream_tbEUlT_E_NS1_11comp_targetILNS1_3genE6ELNS1_11target_archE950ELNS1_3gpuE13ELNS1_3repE0EEENS1_52radix_sort_onesweep_histogram_config_static_selectorELNS0_4arch9wavefront6targetE1EEEvSE_: ; @_ZN7rocprim17ROCPRIM_400000_NS6detail17trampoline_kernelINS0_14default_configENS1_35radix_sort_onesweep_config_selectorIilEEZNS1_34radix_sort_onesweep_global_offsetsIS3_Lb0EPiN6thrust23THRUST_200600_302600_NS10device_ptrIlEEjNS0_19identity_decomposerEEE10hipError_tT1_T2_PT3_SG_jT4_jjP12ihipStream_tbEUlT_E_NS1_11comp_targetILNS1_3genE6ELNS1_11target_archE950ELNS1_3gpuE13ELNS1_3repE0EEENS1_52radix_sort_onesweep_histogram_config_static_selectorELNS0_4arch9wavefront6targetE1EEEvSE_
; %bb.0:
	.section	.rodata,"a",@progbits
	.p2align	6, 0x0
	.amdhsa_kernel _ZN7rocprim17ROCPRIM_400000_NS6detail17trampoline_kernelINS0_14default_configENS1_35radix_sort_onesweep_config_selectorIilEEZNS1_34radix_sort_onesweep_global_offsetsIS3_Lb0EPiN6thrust23THRUST_200600_302600_NS10device_ptrIlEEjNS0_19identity_decomposerEEE10hipError_tT1_T2_PT3_SG_jT4_jjP12ihipStream_tbEUlT_E_NS1_11comp_targetILNS1_3genE6ELNS1_11target_archE950ELNS1_3gpuE13ELNS1_3repE0EEENS1_52radix_sort_onesweep_histogram_config_static_selectorELNS0_4arch9wavefront6targetE1EEEvSE_
		.amdhsa_group_segment_fixed_size 0
		.amdhsa_private_segment_fixed_size 0
		.amdhsa_kernarg_size 40
		.amdhsa_user_sgpr_count 6
		.amdhsa_user_sgpr_private_segment_buffer 1
		.amdhsa_user_sgpr_dispatch_ptr 0
		.amdhsa_user_sgpr_queue_ptr 0
		.amdhsa_user_sgpr_kernarg_segment_ptr 1
		.amdhsa_user_sgpr_dispatch_id 0
		.amdhsa_user_sgpr_flat_scratch_init 0
		.amdhsa_user_sgpr_private_segment_size 0
		.amdhsa_uses_dynamic_stack 0
		.amdhsa_system_sgpr_private_segment_wavefront_offset 0
		.amdhsa_system_sgpr_workgroup_id_x 1
		.amdhsa_system_sgpr_workgroup_id_y 0
		.amdhsa_system_sgpr_workgroup_id_z 0
		.amdhsa_system_sgpr_workgroup_info 0
		.amdhsa_system_vgpr_workitem_id 0
		.amdhsa_next_free_vgpr 1
		.amdhsa_next_free_sgpr 0
		.amdhsa_reserve_vcc 0
		.amdhsa_reserve_flat_scratch 0
		.amdhsa_float_round_mode_32 0
		.amdhsa_float_round_mode_16_64 0
		.amdhsa_float_denorm_mode_32 3
		.amdhsa_float_denorm_mode_16_64 3
		.amdhsa_dx10_clamp 1
		.amdhsa_ieee_mode 1
		.amdhsa_fp16_overflow 0
		.amdhsa_exception_fp_ieee_invalid_op 0
		.amdhsa_exception_fp_denorm_src 0
		.amdhsa_exception_fp_ieee_div_zero 0
		.amdhsa_exception_fp_ieee_overflow 0
		.amdhsa_exception_fp_ieee_underflow 0
		.amdhsa_exception_fp_ieee_inexact 0
		.amdhsa_exception_int_div_zero 0
	.end_amdhsa_kernel
	.section	.text._ZN7rocprim17ROCPRIM_400000_NS6detail17trampoline_kernelINS0_14default_configENS1_35radix_sort_onesweep_config_selectorIilEEZNS1_34radix_sort_onesweep_global_offsetsIS3_Lb0EPiN6thrust23THRUST_200600_302600_NS10device_ptrIlEEjNS0_19identity_decomposerEEE10hipError_tT1_T2_PT3_SG_jT4_jjP12ihipStream_tbEUlT_E_NS1_11comp_targetILNS1_3genE6ELNS1_11target_archE950ELNS1_3gpuE13ELNS1_3repE0EEENS1_52radix_sort_onesweep_histogram_config_static_selectorELNS0_4arch9wavefront6targetE1EEEvSE_,"axG",@progbits,_ZN7rocprim17ROCPRIM_400000_NS6detail17trampoline_kernelINS0_14default_configENS1_35radix_sort_onesweep_config_selectorIilEEZNS1_34radix_sort_onesweep_global_offsetsIS3_Lb0EPiN6thrust23THRUST_200600_302600_NS10device_ptrIlEEjNS0_19identity_decomposerEEE10hipError_tT1_T2_PT3_SG_jT4_jjP12ihipStream_tbEUlT_E_NS1_11comp_targetILNS1_3genE6ELNS1_11target_archE950ELNS1_3gpuE13ELNS1_3repE0EEENS1_52radix_sort_onesweep_histogram_config_static_selectorELNS0_4arch9wavefront6targetE1EEEvSE_,comdat
.Lfunc_end849:
	.size	_ZN7rocprim17ROCPRIM_400000_NS6detail17trampoline_kernelINS0_14default_configENS1_35radix_sort_onesweep_config_selectorIilEEZNS1_34radix_sort_onesweep_global_offsetsIS3_Lb0EPiN6thrust23THRUST_200600_302600_NS10device_ptrIlEEjNS0_19identity_decomposerEEE10hipError_tT1_T2_PT3_SG_jT4_jjP12ihipStream_tbEUlT_E_NS1_11comp_targetILNS1_3genE6ELNS1_11target_archE950ELNS1_3gpuE13ELNS1_3repE0EEENS1_52radix_sort_onesweep_histogram_config_static_selectorELNS0_4arch9wavefront6targetE1EEEvSE_, .Lfunc_end849-_ZN7rocprim17ROCPRIM_400000_NS6detail17trampoline_kernelINS0_14default_configENS1_35radix_sort_onesweep_config_selectorIilEEZNS1_34radix_sort_onesweep_global_offsetsIS3_Lb0EPiN6thrust23THRUST_200600_302600_NS10device_ptrIlEEjNS0_19identity_decomposerEEE10hipError_tT1_T2_PT3_SG_jT4_jjP12ihipStream_tbEUlT_E_NS1_11comp_targetILNS1_3genE6ELNS1_11target_archE950ELNS1_3gpuE13ELNS1_3repE0EEENS1_52radix_sort_onesweep_histogram_config_static_selectorELNS0_4arch9wavefront6targetE1EEEvSE_
                                        ; -- End function
	.set _ZN7rocprim17ROCPRIM_400000_NS6detail17trampoline_kernelINS0_14default_configENS1_35radix_sort_onesweep_config_selectorIilEEZNS1_34radix_sort_onesweep_global_offsetsIS3_Lb0EPiN6thrust23THRUST_200600_302600_NS10device_ptrIlEEjNS0_19identity_decomposerEEE10hipError_tT1_T2_PT3_SG_jT4_jjP12ihipStream_tbEUlT_E_NS1_11comp_targetILNS1_3genE6ELNS1_11target_archE950ELNS1_3gpuE13ELNS1_3repE0EEENS1_52radix_sort_onesweep_histogram_config_static_selectorELNS0_4arch9wavefront6targetE1EEEvSE_.num_vgpr, 0
	.set _ZN7rocprim17ROCPRIM_400000_NS6detail17trampoline_kernelINS0_14default_configENS1_35radix_sort_onesweep_config_selectorIilEEZNS1_34radix_sort_onesweep_global_offsetsIS3_Lb0EPiN6thrust23THRUST_200600_302600_NS10device_ptrIlEEjNS0_19identity_decomposerEEE10hipError_tT1_T2_PT3_SG_jT4_jjP12ihipStream_tbEUlT_E_NS1_11comp_targetILNS1_3genE6ELNS1_11target_archE950ELNS1_3gpuE13ELNS1_3repE0EEENS1_52radix_sort_onesweep_histogram_config_static_selectorELNS0_4arch9wavefront6targetE1EEEvSE_.num_agpr, 0
	.set _ZN7rocprim17ROCPRIM_400000_NS6detail17trampoline_kernelINS0_14default_configENS1_35radix_sort_onesweep_config_selectorIilEEZNS1_34radix_sort_onesweep_global_offsetsIS3_Lb0EPiN6thrust23THRUST_200600_302600_NS10device_ptrIlEEjNS0_19identity_decomposerEEE10hipError_tT1_T2_PT3_SG_jT4_jjP12ihipStream_tbEUlT_E_NS1_11comp_targetILNS1_3genE6ELNS1_11target_archE950ELNS1_3gpuE13ELNS1_3repE0EEENS1_52radix_sort_onesweep_histogram_config_static_selectorELNS0_4arch9wavefront6targetE1EEEvSE_.numbered_sgpr, 0
	.set _ZN7rocprim17ROCPRIM_400000_NS6detail17trampoline_kernelINS0_14default_configENS1_35radix_sort_onesweep_config_selectorIilEEZNS1_34radix_sort_onesweep_global_offsetsIS3_Lb0EPiN6thrust23THRUST_200600_302600_NS10device_ptrIlEEjNS0_19identity_decomposerEEE10hipError_tT1_T2_PT3_SG_jT4_jjP12ihipStream_tbEUlT_E_NS1_11comp_targetILNS1_3genE6ELNS1_11target_archE950ELNS1_3gpuE13ELNS1_3repE0EEENS1_52radix_sort_onesweep_histogram_config_static_selectorELNS0_4arch9wavefront6targetE1EEEvSE_.num_named_barrier, 0
	.set _ZN7rocprim17ROCPRIM_400000_NS6detail17trampoline_kernelINS0_14default_configENS1_35radix_sort_onesweep_config_selectorIilEEZNS1_34radix_sort_onesweep_global_offsetsIS3_Lb0EPiN6thrust23THRUST_200600_302600_NS10device_ptrIlEEjNS0_19identity_decomposerEEE10hipError_tT1_T2_PT3_SG_jT4_jjP12ihipStream_tbEUlT_E_NS1_11comp_targetILNS1_3genE6ELNS1_11target_archE950ELNS1_3gpuE13ELNS1_3repE0EEENS1_52radix_sort_onesweep_histogram_config_static_selectorELNS0_4arch9wavefront6targetE1EEEvSE_.private_seg_size, 0
	.set _ZN7rocprim17ROCPRIM_400000_NS6detail17trampoline_kernelINS0_14default_configENS1_35radix_sort_onesweep_config_selectorIilEEZNS1_34radix_sort_onesweep_global_offsetsIS3_Lb0EPiN6thrust23THRUST_200600_302600_NS10device_ptrIlEEjNS0_19identity_decomposerEEE10hipError_tT1_T2_PT3_SG_jT4_jjP12ihipStream_tbEUlT_E_NS1_11comp_targetILNS1_3genE6ELNS1_11target_archE950ELNS1_3gpuE13ELNS1_3repE0EEENS1_52radix_sort_onesweep_histogram_config_static_selectorELNS0_4arch9wavefront6targetE1EEEvSE_.uses_vcc, 0
	.set _ZN7rocprim17ROCPRIM_400000_NS6detail17trampoline_kernelINS0_14default_configENS1_35radix_sort_onesweep_config_selectorIilEEZNS1_34radix_sort_onesweep_global_offsetsIS3_Lb0EPiN6thrust23THRUST_200600_302600_NS10device_ptrIlEEjNS0_19identity_decomposerEEE10hipError_tT1_T2_PT3_SG_jT4_jjP12ihipStream_tbEUlT_E_NS1_11comp_targetILNS1_3genE6ELNS1_11target_archE950ELNS1_3gpuE13ELNS1_3repE0EEENS1_52radix_sort_onesweep_histogram_config_static_selectorELNS0_4arch9wavefront6targetE1EEEvSE_.uses_flat_scratch, 0
	.set _ZN7rocprim17ROCPRIM_400000_NS6detail17trampoline_kernelINS0_14default_configENS1_35radix_sort_onesweep_config_selectorIilEEZNS1_34radix_sort_onesweep_global_offsetsIS3_Lb0EPiN6thrust23THRUST_200600_302600_NS10device_ptrIlEEjNS0_19identity_decomposerEEE10hipError_tT1_T2_PT3_SG_jT4_jjP12ihipStream_tbEUlT_E_NS1_11comp_targetILNS1_3genE6ELNS1_11target_archE950ELNS1_3gpuE13ELNS1_3repE0EEENS1_52radix_sort_onesweep_histogram_config_static_selectorELNS0_4arch9wavefront6targetE1EEEvSE_.has_dyn_sized_stack, 0
	.set _ZN7rocprim17ROCPRIM_400000_NS6detail17trampoline_kernelINS0_14default_configENS1_35radix_sort_onesweep_config_selectorIilEEZNS1_34radix_sort_onesweep_global_offsetsIS3_Lb0EPiN6thrust23THRUST_200600_302600_NS10device_ptrIlEEjNS0_19identity_decomposerEEE10hipError_tT1_T2_PT3_SG_jT4_jjP12ihipStream_tbEUlT_E_NS1_11comp_targetILNS1_3genE6ELNS1_11target_archE950ELNS1_3gpuE13ELNS1_3repE0EEENS1_52radix_sort_onesweep_histogram_config_static_selectorELNS0_4arch9wavefront6targetE1EEEvSE_.has_recursion, 0
	.set _ZN7rocprim17ROCPRIM_400000_NS6detail17trampoline_kernelINS0_14default_configENS1_35radix_sort_onesweep_config_selectorIilEEZNS1_34radix_sort_onesweep_global_offsetsIS3_Lb0EPiN6thrust23THRUST_200600_302600_NS10device_ptrIlEEjNS0_19identity_decomposerEEE10hipError_tT1_T2_PT3_SG_jT4_jjP12ihipStream_tbEUlT_E_NS1_11comp_targetILNS1_3genE6ELNS1_11target_archE950ELNS1_3gpuE13ELNS1_3repE0EEENS1_52radix_sort_onesweep_histogram_config_static_selectorELNS0_4arch9wavefront6targetE1EEEvSE_.has_indirect_call, 0
	.section	.AMDGPU.csdata,"",@progbits
; Kernel info:
; codeLenInByte = 0
; TotalNumSgprs: 4
; NumVgprs: 0
; ScratchSize: 0
; MemoryBound: 0
; FloatMode: 240
; IeeeMode: 1
; LDSByteSize: 0 bytes/workgroup (compile time only)
; SGPRBlocks: 0
; VGPRBlocks: 0
; NumSGPRsForWavesPerEU: 4
; NumVGPRsForWavesPerEU: 1
; Occupancy: 10
; WaveLimiterHint : 0
; COMPUTE_PGM_RSRC2:SCRATCH_EN: 0
; COMPUTE_PGM_RSRC2:USER_SGPR: 6
; COMPUTE_PGM_RSRC2:TRAP_HANDLER: 0
; COMPUTE_PGM_RSRC2:TGID_X_EN: 1
; COMPUTE_PGM_RSRC2:TGID_Y_EN: 0
; COMPUTE_PGM_RSRC2:TGID_Z_EN: 0
; COMPUTE_PGM_RSRC2:TIDIG_COMP_CNT: 0
	.section	.text._ZN7rocprim17ROCPRIM_400000_NS6detail17trampoline_kernelINS0_14default_configENS1_35radix_sort_onesweep_config_selectorIilEEZNS1_34radix_sort_onesweep_global_offsetsIS3_Lb0EPiN6thrust23THRUST_200600_302600_NS10device_ptrIlEEjNS0_19identity_decomposerEEE10hipError_tT1_T2_PT3_SG_jT4_jjP12ihipStream_tbEUlT_E_NS1_11comp_targetILNS1_3genE5ELNS1_11target_archE942ELNS1_3gpuE9ELNS1_3repE0EEENS1_52radix_sort_onesweep_histogram_config_static_selectorELNS0_4arch9wavefront6targetE1EEEvSE_,"axG",@progbits,_ZN7rocprim17ROCPRIM_400000_NS6detail17trampoline_kernelINS0_14default_configENS1_35radix_sort_onesweep_config_selectorIilEEZNS1_34radix_sort_onesweep_global_offsetsIS3_Lb0EPiN6thrust23THRUST_200600_302600_NS10device_ptrIlEEjNS0_19identity_decomposerEEE10hipError_tT1_T2_PT3_SG_jT4_jjP12ihipStream_tbEUlT_E_NS1_11comp_targetILNS1_3genE5ELNS1_11target_archE942ELNS1_3gpuE9ELNS1_3repE0EEENS1_52radix_sort_onesweep_histogram_config_static_selectorELNS0_4arch9wavefront6targetE1EEEvSE_,comdat
	.protected	_ZN7rocprim17ROCPRIM_400000_NS6detail17trampoline_kernelINS0_14default_configENS1_35radix_sort_onesweep_config_selectorIilEEZNS1_34radix_sort_onesweep_global_offsetsIS3_Lb0EPiN6thrust23THRUST_200600_302600_NS10device_ptrIlEEjNS0_19identity_decomposerEEE10hipError_tT1_T2_PT3_SG_jT4_jjP12ihipStream_tbEUlT_E_NS1_11comp_targetILNS1_3genE5ELNS1_11target_archE942ELNS1_3gpuE9ELNS1_3repE0EEENS1_52radix_sort_onesweep_histogram_config_static_selectorELNS0_4arch9wavefront6targetE1EEEvSE_ ; -- Begin function _ZN7rocprim17ROCPRIM_400000_NS6detail17trampoline_kernelINS0_14default_configENS1_35radix_sort_onesweep_config_selectorIilEEZNS1_34radix_sort_onesweep_global_offsetsIS3_Lb0EPiN6thrust23THRUST_200600_302600_NS10device_ptrIlEEjNS0_19identity_decomposerEEE10hipError_tT1_T2_PT3_SG_jT4_jjP12ihipStream_tbEUlT_E_NS1_11comp_targetILNS1_3genE5ELNS1_11target_archE942ELNS1_3gpuE9ELNS1_3repE0EEENS1_52radix_sort_onesweep_histogram_config_static_selectorELNS0_4arch9wavefront6targetE1EEEvSE_
	.globl	_ZN7rocprim17ROCPRIM_400000_NS6detail17trampoline_kernelINS0_14default_configENS1_35radix_sort_onesweep_config_selectorIilEEZNS1_34radix_sort_onesweep_global_offsetsIS3_Lb0EPiN6thrust23THRUST_200600_302600_NS10device_ptrIlEEjNS0_19identity_decomposerEEE10hipError_tT1_T2_PT3_SG_jT4_jjP12ihipStream_tbEUlT_E_NS1_11comp_targetILNS1_3genE5ELNS1_11target_archE942ELNS1_3gpuE9ELNS1_3repE0EEENS1_52radix_sort_onesweep_histogram_config_static_selectorELNS0_4arch9wavefront6targetE1EEEvSE_
	.p2align	8
	.type	_ZN7rocprim17ROCPRIM_400000_NS6detail17trampoline_kernelINS0_14default_configENS1_35radix_sort_onesweep_config_selectorIilEEZNS1_34radix_sort_onesweep_global_offsetsIS3_Lb0EPiN6thrust23THRUST_200600_302600_NS10device_ptrIlEEjNS0_19identity_decomposerEEE10hipError_tT1_T2_PT3_SG_jT4_jjP12ihipStream_tbEUlT_E_NS1_11comp_targetILNS1_3genE5ELNS1_11target_archE942ELNS1_3gpuE9ELNS1_3repE0EEENS1_52radix_sort_onesweep_histogram_config_static_selectorELNS0_4arch9wavefront6targetE1EEEvSE_,@function
_ZN7rocprim17ROCPRIM_400000_NS6detail17trampoline_kernelINS0_14default_configENS1_35radix_sort_onesweep_config_selectorIilEEZNS1_34radix_sort_onesweep_global_offsetsIS3_Lb0EPiN6thrust23THRUST_200600_302600_NS10device_ptrIlEEjNS0_19identity_decomposerEEE10hipError_tT1_T2_PT3_SG_jT4_jjP12ihipStream_tbEUlT_E_NS1_11comp_targetILNS1_3genE5ELNS1_11target_archE942ELNS1_3gpuE9ELNS1_3repE0EEENS1_52radix_sort_onesweep_histogram_config_static_selectorELNS0_4arch9wavefront6targetE1EEEvSE_: ; @_ZN7rocprim17ROCPRIM_400000_NS6detail17trampoline_kernelINS0_14default_configENS1_35radix_sort_onesweep_config_selectorIilEEZNS1_34radix_sort_onesweep_global_offsetsIS3_Lb0EPiN6thrust23THRUST_200600_302600_NS10device_ptrIlEEjNS0_19identity_decomposerEEE10hipError_tT1_T2_PT3_SG_jT4_jjP12ihipStream_tbEUlT_E_NS1_11comp_targetILNS1_3genE5ELNS1_11target_archE942ELNS1_3gpuE9ELNS1_3repE0EEENS1_52radix_sort_onesweep_histogram_config_static_selectorELNS0_4arch9wavefront6targetE1EEEvSE_
; %bb.0:
	.section	.rodata,"a",@progbits
	.p2align	6, 0x0
	.amdhsa_kernel _ZN7rocprim17ROCPRIM_400000_NS6detail17trampoline_kernelINS0_14default_configENS1_35radix_sort_onesweep_config_selectorIilEEZNS1_34radix_sort_onesweep_global_offsetsIS3_Lb0EPiN6thrust23THRUST_200600_302600_NS10device_ptrIlEEjNS0_19identity_decomposerEEE10hipError_tT1_T2_PT3_SG_jT4_jjP12ihipStream_tbEUlT_E_NS1_11comp_targetILNS1_3genE5ELNS1_11target_archE942ELNS1_3gpuE9ELNS1_3repE0EEENS1_52radix_sort_onesweep_histogram_config_static_selectorELNS0_4arch9wavefront6targetE1EEEvSE_
		.amdhsa_group_segment_fixed_size 0
		.amdhsa_private_segment_fixed_size 0
		.amdhsa_kernarg_size 40
		.amdhsa_user_sgpr_count 6
		.amdhsa_user_sgpr_private_segment_buffer 1
		.amdhsa_user_sgpr_dispatch_ptr 0
		.amdhsa_user_sgpr_queue_ptr 0
		.amdhsa_user_sgpr_kernarg_segment_ptr 1
		.amdhsa_user_sgpr_dispatch_id 0
		.amdhsa_user_sgpr_flat_scratch_init 0
		.amdhsa_user_sgpr_private_segment_size 0
		.amdhsa_uses_dynamic_stack 0
		.amdhsa_system_sgpr_private_segment_wavefront_offset 0
		.amdhsa_system_sgpr_workgroup_id_x 1
		.amdhsa_system_sgpr_workgroup_id_y 0
		.amdhsa_system_sgpr_workgroup_id_z 0
		.amdhsa_system_sgpr_workgroup_info 0
		.amdhsa_system_vgpr_workitem_id 0
		.amdhsa_next_free_vgpr 1
		.amdhsa_next_free_sgpr 0
		.amdhsa_reserve_vcc 0
		.amdhsa_reserve_flat_scratch 0
		.amdhsa_float_round_mode_32 0
		.amdhsa_float_round_mode_16_64 0
		.amdhsa_float_denorm_mode_32 3
		.amdhsa_float_denorm_mode_16_64 3
		.amdhsa_dx10_clamp 1
		.amdhsa_ieee_mode 1
		.amdhsa_fp16_overflow 0
		.amdhsa_exception_fp_ieee_invalid_op 0
		.amdhsa_exception_fp_denorm_src 0
		.amdhsa_exception_fp_ieee_div_zero 0
		.amdhsa_exception_fp_ieee_overflow 0
		.amdhsa_exception_fp_ieee_underflow 0
		.amdhsa_exception_fp_ieee_inexact 0
		.amdhsa_exception_int_div_zero 0
	.end_amdhsa_kernel
	.section	.text._ZN7rocprim17ROCPRIM_400000_NS6detail17trampoline_kernelINS0_14default_configENS1_35radix_sort_onesweep_config_selectorIilEEZNS1_34radix_sort_onesweep_global_offsetsIS3_Lb0EPiN6thrust23THRUST_200600_302600_NS10device_ptrIlEEjNS0_19identity_decomposerEEE10hipError_tT1_T2_PT3_SG_jT4_jjP12ihipStream_tbEUlT_E_NS1_11comp_targetILNS1_3genE5ELNS1_11target_archE942ELNS1_3gpuE9ELNS1_3repE0EEENS1_52radix_sort_onesweep_histogram_config_static_selectorELNS0_4arch9wavefront6targetE1EEEvSE_,"axG",@progbits,_ZN7rocprim17ROCPRIM_400000_NS6detail17trampoline_kernelINS0_14default_configENS1_35radix_sort_onesweep_config_selectorIilEEZNS1_34radix_sort_onesweep_global_offsetsIS3_Lb0EPiN6thrust23THRUST_200600_302600_NS10device_ptrIlEEjNS0_19identity_decomposerEEE10hipError_tT1_T2_PT3_SG_jT4_jjP12ihipStream_tbEUlT_E_NS1_11comp_targetILNS1_3genE5ELNS1_11target_archE942ELNS1_3gpuE9ELNS1_3repE0EEENS1_52radix_sort_onesweep_histogram_config_static_selectorELNS0_4arch9wavefront6targetE1EEEvSE_,comdat
.Lfunc_end850:
	.size	_ZN7rocprim17ROCPRIM_400000_NS6detail17trampoline_kernelINS0_14default_configENS1_35radix_sort_onesweep_config_selectorIilEEZNS1_34radix_sort_onesweep_global_offsetsIS3_Lb0EPiN6thrust23THRUST_200600_302600_NS10device_ptrIlEEjNS0_19identity_decomposerEEE10hipError_tT1_T2_PT3_SG_jT4_jjP12ihipStream_tbEUlT_E_NS1_11comp_targetILNS1_3genE5ELNS1_11target_archE942ELNS1_3gpuE9ELNS1_3repE0EEENS1_52radix_sort_onesweep_histogram_config_static_selectorELNS0_4arch9wavefront6targetE1EEEvSE_, .Lfunc_end850-_ZN7rocprim17ROCPRIM_400000_NS6detail17trampoline_kernelINS0_14default_configENS1_35radix_sort_onesweep_config_selectorIilEEZNS1_34radix_sort_onesweep_global_offsetsIS3_Lb0EPiN6thrust23THRUST_200600_302600_NS10device_ptrIlEEjNS0_19identity_decomposerEEE10hipError_tT1_T2_PT3_SG_jT4_jjP12ihipStream_tbEUlT_E_NS1_11comp_targetILNS1_3genE5ELNS1_11target_archE942ELNS1_3gpuE9ELNS1_3repE0EEENS1_52radix_sort_onesweep_histogram_config_static_selectorELNS0_4arch9wavefront6targetE1EEEvSE_
                                        ; -- End function
	.set _ZN7rocprim17ROCPRIM_400000_NS6detail17trampoline_kernelINS0_14default_configENS1_35radix_sort_onesweep_config_selectorIilEEZNS1_34radix_sort_onesweep_global_offsetsIS3_Lb0EPiN6thrust23THRUST_200600_302600_NS10device_ptrIlEEjNS0_19identity_decomposerEEE10hipError_tT1_T2_PT3_SG_jT4_jjP12ihipStream_tbEUlT_E_NS1_11comp_targetILNS1_3genE5ELNS1_11target_archE942ELNS1_3gpuE9ELNS1_3repE0EEENS1_52radix_sort_onesweep_histogram_config_static_selectorELNS0_4arch9wavefront6targetE1EEEvSE_.num_vgpr, 0
	.set _ZN7rocprim17ROCPRIM_400000_NS6detail17trampoline_kernelINS0_14default_configENS1_35radix_sort_onesweep_config_selectorIilEEZNS1_34radix_sort_onesweep_global_offsetsIS3_Lb0EPiN6thrust23THRUST_200600_302600_NS10device_ptrIlEEjNS0_19identity_decomposerEEE10hipError_tT1_T2_PT3_SG_jT4_jjP12ihipStream_tbEUlT_E_NS1_11comp_targetILNS1_3genE5ELNS1_11target_archE942ELNS1_3gpuE9ELNS1_3repE0EEENS1_52radix_sort_onesweep_histogram_config_static_selectorELNS0_4arch9wavefront6targetE1EEEvSE_.num_agpr, 0
	.set _ZN7rocprim17ROCPRIM_400000_NS6detail17trampoline_kernelINS0_14default_configENS1_35radix_sort_onesweep_config_selectorIilEEZNS1_34radix_sort_onesweep_global_offsetsIS3_Lb0EPiN6thrust23THRUST_200600_302600_NS10device_ptrIlEEjNS0_19identity_decomposerEEE10hipError_tT1_T2_PT3_SG_jT4_jjP12ihipStream_tbEUlT_E_NS1_11comp_targetILNS1_3genE5ELNS1_11target_archE942ELNS1_3gpuE9ELNS1_3repE0EEENS1_52radix_sort_onesweep_histogram_config_static_selectorELNS0_4arch9wavefront6targetE1EEEvSE_.numbered_sgpr, 0
	.set _ZN7rocprim17ROCPRIM_400000_NS6detail17trampoline_kernelINS0_14default_configENS1_35radix_sort_onesweep_config_selectorIilEEZNS1_34radix_sort_onesweep_global_offsetsIS3_Lb0EPiN6thrust23THRUST_200600_302600_NS10device_ptrIlEEjNS0_19identity_decomposerEEE10hipError_tT1_T2_PT3_SG_jT4_jjP12ihipStream_tbEUlT_E_NS1_11comp_targetILNS1_3genE5ELNS1_11target_archE942ELNS1_3gpuE9ELNS1_3repE0EEENS1_52radix_sort_onesweep_histogram_config_static_selectorELNS0_4arch9wavefront6targetE1EEEvSE_.num_named_barrier, 0
	.set _ZN7rocprim17ROCPRIM_400000_NS6detail17trampoline_kernelINS0_14default_configENS1_35radix_sort_onesweep_config_selectorIilEEZNS1_34radix_sort_onesweep_global_offsetsIS3_Lb0EPiN6thrust23THRUST_200600_302600_NS10device_ptrIlEEjNS0_19identity_decomposerEEE10hipError_tT1_T2_PT3_SG_jT4_jjP12ihipStream_tbEUlT_E_NS1_11comp_targetILNS1_3genE5ELNS1_11target_archE942ELNS1_3gpuE9ELNS1_3repE0EEENS1_52radix_sort_onesweep_histogram_config_static_selectorELNS0_4arch9wavefront6targetE1EEEvSE_.private_seg_size, 0
	.set _ZN7rocprim17ROCPRIM_400000_NS6detail17trampoline_kernelINS0_14default_configENS1_35radix_sort_onesweep_config_selectorIilEEZNS1_34radix_sort_onesweep_global_offsetsIS3_Lb0EPiN6thrust23THRUST_200600_302600_NS10device_ptrIlEEjNS0_19identity_decomposerEEE10hipError_tT1_T2_PT3_SG_jT4_jjP12ihipStream_tbEUlT_E_NS1_11comp_targetILNS1_3genE5ELNS1_11target_archE942ELNS1_3gpuE9ELNS1_3repE0EEENS1_52radix_sort_onesweep_histogram_config_static_selectorELNS0_4arch9wavefront6targetE1EEEvSE_.uses_vcc, 0
	.set _ZN7rocprim17ROCPRIM_400000_NS6detail17trampoline_kernelINS0_14default_configENS1_35radix_sort_onesweep_config_selectorIilEEZNS1_34radix_sort_onesweep_global_offsetsIS3_Lb0EPiN6thrust23THRUST_200600_302600_NS10device_ptrIlEEjNS0_19identity_decomposerEEE10hipError_tT1_T2_PT3_SG_jT4_jjP12ihipStream_tbEUlT_E_NS1_11comp_targetILNS1_3genE5ELNS1_11target_archE942ELNS1_3gpuE9ELNS1_3repE0EEENS1_52radix_sort_onesweep_histogram_config_static_selectorELNS0_4arch9wavefront6targetE1EEEvSE_.uses_flat_scratch, 0
	.set _ZN7rocprim17ROCPRIM_400000_NS6detail17trampoline_kernelINS0_14default_configENS1_35radix_sort_onesweep_config_selectorIilEEZNS1_34radix_sort_onesweep_global_offsetsIS3_Lb0EPiN6thrust23THRUST_200600_302600_NS10device_ptrIlEEjNS0_19identity_decomposerEEE10hipError_tT1_T2_PT3_SG_jT4_jjP12ihipStream_tbEUlT_E_NS1_11comp_targetILNS1_3genE5ELNS1_11target_archE942ELNS1_3gpuE9ELNS1_3repE0EEENS1_52radix_sort_onesweep_histogram_config_static_selectorELNS0_4arch9wavefront6targetE1EEEvSE_.has_dyn_sized_stack, 0
	.set _ZN7rocprim17ROCPRIM_400000_NS6detail17trampoline_kernelINS0_14default_configENS1_35radix_sort_onesweep_config_selectorIilEEZNS1_34radix_sort_onesweep_global_offsetsIS3_Lb0EPiN6thrust23THRUST_200600_302600_NS10device_ptrIlEEjNS0_19identity_decomposerEEE10hipError_tT1_T2_PT3_SG_jT4_jjP12ihipStream_tbEUlT_E_NS1_11comp_targetILNS1_3genE5ELNS1_11target_archE942ELNS1_3gpuE9ELNS1_3repE0EEENS1_52radix_sort_onesweep_histogram_config_static_selectorELNS0_4arch9wavefront6targetE1EEEvSE_.has_recursion, 0
	.set _ZN7rocprim17ROCPRIM_400000_NS6detail17trampoline_kernelINS0_14default_configENS1_35radix_sort_onesweep_config_selectorIilEEZNS1_34radix_sort_onesweep_global_offsetsIS3_Lb0EPiN6thrust23THRUST_200600_302600_NS10device_ptrIlEEjNS0_19identity_decomposerEEE10hipError_tT1_T2_PT3_SG_jT4_jjP12ihipStream_tbEUlT_E_NS1_11comp_targetILNS1_3genE5ELNS1_11target_archE942ELNS1_3gpuE9ELNS1_3repE0EEENS1_52radix_sort_onesweep_histogram_config_static_selectorELNS0_4arch9wavefront6targetE1EEEvSE_.has_indirect_call, 0
	.section	.AMDGPU.csdata,"",@progbits
; Kernel info:
; codeLenInByte = 0
; TotalNumSgprs: 4
; NumVgprs: 0
; ScratchSize: 0
; MemoryBound: 0
; FloatMode: 240
; IeeeMode: 1
; LDSByteSize: 0 bytes/workgroup (compile time only)
; SGPRBlocks: 0
; VGPRBlocks: 0
; NumSGPRsForWavesPerEU: 4
; NumVGPRsForWavesPerEU: 1
; Occupancy: 10
; WaveLimiterHint : 0
; COMPUTE_PGM_RSRC2:SCRATCH_EN: 0
; COMPUTE_PGM_RSRC2:USER_SGPR: 6
; COMPUTE_PGM_RSRC2:TRAP_HANDLER: 0
; COMPUTE_PGM_RSRC2:TGID_X_EN: 1
; COMPUTE_PGM_RSRC2:TGID_Y_EN: 0
; COMPUTE_PGM_RSRC2:TGID_Z_EN: 0
; COMPUTE_PGM_RSRC2:TIDIG_COMP_CNT: 0
	.section	.text._ZN7rocprim17ROCPRIM_400000_NS6detail17trampoline_kernelINS0_14default_configENS1_35radix_sort_onesweep_config_selectorIilEEZNS1_34radix_sort_onesweep_global_offsetsIS3_Lb0EPiN6thrust23THRUST_200600_302600_NS10device_ptrIlEEjNS0_19identity_decomposerEEE10hipError_tT1_T2_PT3_SG_jT4_jjP12ihipStream_tbEUlT_E_NS1_11comp_targetILNS1_3genE2ELNS1_11target_archE906ELNS1_3gpuE6ELNS1_3repE0EEENS1_52radix_sort_onesweep_histogram_config_static_selectorELNS0_4arch9wavefront6targetE1EEEvSE_,"axG",@progbits,_ZN7rocprim17ROCPRIM_400000_NS6detail17trampoline_kernelINS0_14default_configENS1_35radix_sort_onesweep_config_selectorIilEEZNS1_34radix_sort_onesweep_global_offsetsIS3_Lb0EPiN6thrust23THRUST_200600_302600_NS10device_ptrIlEEjNS0_19identity_decomposerEEE10hipError_tT1_T2_PT3_SG_jT4_jjP12ihipStream_tbEUlT_E_NS1_11comp_targetILNS1_3genE2ELNS1_11target_archE906ELNS1_3gpuE6ELNS1_3repE0EEENS1_52radix_sort_onesweep_histogram_config_static_selectorELNS0_4arch9wavefront6targetE1EEEvSE_,comdat
	.protected	_ZN7rocprim17ROCPRIM_400000_NS6detail17trampoline_kernelINS0_14default_configENS1_35radix_sort_onesweep_config_selectorIilEEZNS1_34radix_sort_onesweep_global_offsetsIS3_Lb0EPiN6thrust23THRUST_200600_302600_NS10device_ptrIlEEjNS0_19identity_decomposerEEE10hipError_tT1_T2_PT3_SG_jT4_jjP12ihipStream_tbEUlT_E_NS1_11comp_targetILNS1_3genE2ELNS1_11target_archE906ELNS1_3gpuE6ELNS1_3repE0EEENS1_52radix_sort_onesweep_histogram_config_static_selectorELNS0_4arch9wavefront6targetE1EEEvSE_ ; -- Begin function _ZN7rocprim17ROCPRIM_400000_NS6detail17trampoline_kernelINS0_14default_configENS1_35radix_sort_onesweep_config_selectorIilEEZNS1_34radix_sort_onesweep_global_offsetsIS3_Lb0EPiN6thrust23THRUST_200600_302600_NS10device_ptrIlEEjNS0_19identity_decomposerEEE10hipError_tT1_T2_PT3_SG_jT4_jjP12ihipStream_tbEUlT_E_NS1_11comp_targetILNS1_3genE2ELNS1_11target_archE906ELNS1_3gpuE6ELNS1_3repE0EEENS1_52radix_sort_onesweep_histogram_config_static_selectorELNS0_4arch9wavefront6targetE1EEEvSE_
	.globl	_ZN7rocprim17ROCPRIM_400000_NS6detail17trampoline_kernelINS0_14default_configENS1_35radix_sort_onesweep_config_selectorIilEEZNS1_34radix_sort_onesweep_global_offsetsIS3_Lb0EPiN6thrust23THRUST_200600_302600_NS10device_ptrIlEEjNS0_19identity_decomposerEEE10hipError_tT1_T2_PT3_SG_jT4_jjP12ihipStream_tbEUlT_E_NS1_11comp_targetILNS1_3genE2ELNS1_11target_archE906ELNS1_3gpuE6ELNS1_3repE0EEENS1_52radix_sort_onesweep_histogram_config_static_selectorELNS0_4arch9wavefront6targetE1EEEvSE_
	.p2align	8
	.type	_ZN7rocprim17ROCPRIM_400000_NS6detail17trampoline_kernelINS0_14default_configENS1_35radix_sort_onesweep_config_selectorIilEEZNS1_34radix_sort_onesweep_global_offsetsIS3_Lb0EPiN6thrust23THRUST_200600_302600_NS10device_ptrIlEEjNS0_19identity_decomposerEEE10hipError_tT1_T2_PT3_SG_jT4_jjP12ihipStream_tbEUlT_E_NS1_11comp_targetILNS1_3genE2ELNS1_11target_archE906ELNS1_3gpuE6ELNS1_3repE0EEENS1_52radix_sort_onesweep_histogram_config_static_selectorELNS0_4arch9wavefront6targetE1EEEvSE_,@function
_ZN7rocprim17ROCPRIM_400000_NS6detail17trampoline_kernelINS0_14default_configENS1_35radix_sort_onesweep_config_selectorIilEEZNS1_34radix_sort_onesweep_global_offsetsIS3_Lb0EPiN6thrust23THRUST_200600_302600_NS10device_ptrIlEEjNS0_19identity_decomposerEEE10hipError_tT1_T2_PT3_SG_jT4_jjP12ihipStream_tbEUlT_E_NS1_11comp_targetILNS1_3genE2ELNS1_11target_archE906ELNS1_3gpuE6ELNS1_3repE0EEENS1_52radix_sort_onesweep_histogram_config_static_selectorELNS0_4arch9wavefront6targetE1EEEvSE_: ; @_ZN7rocprim17ROCPRIM_400000_NS6detail17trampoline_kernelINS0_14default_configENS1_35radix_sort_onesweep_config_selectorIilEEZNS1_34radix_sort_onesweep_global_offsetsIS3_Lb0EPiN6thrust23THRUST_200600_302600_NS10device_ptrIlEEjNS0_19identity_decomposerEEE10hipError_tT1_T2_PT3_SG_jT4_jjP12ihipStream_tbEUlT_E_NS1_11comp_targetILNS1_3genE2ELNS1_11target_archE906ELNS1_3gpuE6ELNS1_3repE0EEENS1_52radix_sort_onesweep_histogram_config_static_selectorELNS0_4arch9wavefront6targetE1EEEvSE_
; %bb.0:
	s_load_dword s7, s[4:5], 0x14
	s_load_dwordx4 s[8:11], s[4:5], 0x0
	s_load_dwordx2 s[2:3], s[4:5], 0x1c
	s_lshl_b32 s12, s6, 12
	s_mov_b64 s[0:1], -1
	s_waitcnt lgkmcnt(0)
	s_cmp_ge_u32 s6, s7
	s_cbranch_scc0 .LBB851_161
; %bb.1:
	s_load_dword s4, s[4:5], 0x10
	s_lshl_b32 s5, s7, 12
	s_mov_b32 s13, 0
	s_lshl_b64 s[0:1], s[12:13], 2
	v_mov_b32_e32 v1, 0
	s_waitcnt lgkmcnt(0)
	s_sub_i32 s13, s4, s5
	s_add_u32 s0, s8, s0
	v_cmp_gt_u32_e32 vcc, s13, v0
	s_addc_u32 s1, s9, s1
	v_mov_b32_e32 v2, v1
	v_mov_b32_e32 v3, v1
	;; [unrolled: 1-line block ×7, first 2 shown]
	s_and_saveexec_b64 s[4:5], vcc
	s_cbranch_execz .LBB851_3
; %bb.2:
	v_lshlrev_b32_e32 v2, 2, v0
	global_load_dword v2, v2, s[0:1]
	v_mov_b32_e32 v3, v1
	v_mov_b32_e32 v4, v1
	;; [unrolled: 1-line block ×7, first 2 shown]
	s_waitcnt vmcnt(0)
	v_mov_b32_e32 v1, v2
	v_mov_b32_e32 v2, v3
	;; [unrolled: 1-line block ×8, first 2 shown]
.LBB851_3:
	s_or_b64 exec, exec, s[4:5]
	v_or_b32_e32 v17, 0x200, v0
	v_cmp_gt_u32_e32 vcc, s13, v17
	s_and_saveexec_b64 s[4:5], vcc
	s_cbranch_execz .LBB851_5
; %bb.4:
	v_lshlrev_b32_e32 v2, 2, v0
	global_load_dword v2, v2, s[0:1] offset:2048
.LBB851_5:
	s_or_b64 exec, exec, s[4:5]
	v_or_b32_e32 v16, 0x400, v0
	v_cmp_gt_u32_e32 vcc, s13, v16
	s_and_saveexec_b64 s[4:5], vcc
	s_cbranch_execz .LBB851_7
; %bb.6:
	v_lshlrev_b32_e32 v3, 2, v16
	global_load_dword v3, v3, s[0:1]
.LBB851_7:
	s_or_b64 exec, exec, s[4:5]
	v_or_b32_e32 v15, 0x600, v0
	v_cmp_gt_u32_e32 vcc, s13, v15
	s_and_saveexec_b64 s[4:5], vcc
	s_cbranch_execz .LBB851_9
; %bb.8:
	v_lshlrev_b32_e32 v4, 2, v15
	global_load_dword v4, v4, s[0:1]
.LBB851_9:
	;; [unrolled: 9-line block ×5, first 2 shown]
	s_or_b64 exec, exec, s[4:5]
	v_or_b32_e32 v11, 0xe00, v0
	s_movk_i32 s6, 0xe00
	v_cmp_gt_u32_e32 vcc, s13, v11
	s_and_saveexec_b64 s[4:5], vcc
	s_cbranch_execz .LBB851_17
; %bb.16:
	v_lshlrev_b32_e32 v8, 2, v11
	global_load_dword v8, v8, s[0:1]
.LBB851_17:
	s_or_b64 exec, exec, s[4:5]
	v_lshlrev_b32_e32 v9, 2, v0
	v_mov_b32_e32 v10, 0
	v_cmp_gt_u32_e32 vcc, s6, v12
	ds_write2st64_b32 v9, v10, v10 offset1:8
	ds_write2st64_b32 v9, v10, v10 offset0:16 offset1:24
	ds_write2st64_b32 v9, v10, v10 offset0:32 offset1:40
	ds_write_b32 v9, v10 offset:12288
	s_and_saveexec_b64 s[0:1], vcc
; %bb.18:
	ds_write_b32 v9, v10 offset:14336
; %bb.19:
	s_or_b64 exec, exec, s[0:1]
	s_cmp_le_u32 s3, s2
	s_cselect_b64 s[4:5], -1, 0
	s_and_b64 s[0:1], s[4:5], exec
	v_cmp_le_u32_e32 vcc, s13, v0
	s_cselect_b32 s18, 8, 10
	v_and_b32_e32 v10, 3, v0
	v_xor_b32_e32 v1, 0x80000000, v1
	s_nor_b64 s[6:7], s[4:5], vcc
	v_mov_b32_e32 v18, s18
	s_waitcnt vmcnt(0) lgkmcnt(0)
	s_barrier
	s_and_saveexec_b64 s[0:1], s[6:7]
	s_cbranch_execz .LBB851_21
; %bb.20:
	s_sub_i32 s6, s3, s2
	s_min_u32 s6, s6, 8
	v_lshrrev_b32_e32 v18, s2, v1
	v_bfe_u32 v18, v18, 0, s6
	v_lshlrev_b32_e32 v19, 2, v10
	v_lshl_or_b32 v18, v18, 4, v19
	v_mov_b32_e32 v19, 1
	ds_add_u32 v18, v19
	v_mov_b32_e32 v18, 0
.LBB851_21:
	s_or_b64 exec, exec, s[0:1]
	v_cmp_gt_i32_e64 s[0:1], 10, v18
	s_mov_b64 s[14:15], -1
	s_and_saveexec_b64 s[6:7], s[0:1]
; %bb.22:
	v_cmp_eq_u32_e64 s[0:1], 0, v18
	s_orn2_b64 s[14:15], s[0:1], exec
; %bb.23:
	s_or_b64 exec, exec, s[6:7]
	s_and_saveexec_b64 s[6:7], s[14:15]
	s_cbranch_execz .LBB851_36
; %bb.24:
	s_add_i32 s14, s2, 8
	s_cmp_le_u32 s3, s14
	s_cselect_b64 s[0:1], -1, 0
	s_and_b64 s[16:17], s[0:1], exec
	s_cselect_b32 s15, 8, 10
	s_nor_b64 s[16:17], s[0:1], vcc
	v_mov_b32_e32 v18, s15
	s_and_saveexec_b64 s[0:1], s[16:17]
	s_cbranch_execz .LBB851_26
; %bb.25:
	s_sub_i32 s15, s3, s14
	s_min_u32 s15, s15, 8
	v_lshrrev_b32_e32 v18, s14, v1
	v_bfe_u32 v18, v18, 0, s15
	v_lshlrev_b32_e32 v19, 2, v10
	v_lshl_or_b32 v18, v18, 4, v19
	v_mov_b32_e32 v19, 1
	ds_add_u32 v18, v19 offset:4096
	v_mov_b32_e32 v18, 0
.LBB851_26:
	s_or_b64 exec, exec, s[0:1]
	v_cmp_gt_i32_e64 s[0:1], 10, v18
	s_mov_b64 s[14:15], -1
	s_and_saveexec_b64 s[16:17], s[0:1]
; %bb.27:
	v_cmp_eq_u32_e64 s[0:1], 0, v18
	s_orn2_b64 s[14:15], s[0:1], exec
; %bb.28:
	s_or_b64 exec, exec, s[16:17]
	s_and_b64 exec, exec, s[14:15]
	s_cbranch_execz .LBB851_36
; %bb.29:
	s_add_i32 s14, s2, 16
	s_cmp_le_u32 s3, s14
	s_cselect_b64 s[0:1], -1, 0
	s_and_b64 s[16:17], s[0:1], exec
	s_cselect_b32 s15, 8, 10
	s_nor_b64 s[16:17], s[0:1], vcc
	v_mov_b32_e32 v18, s15
	s_and_saveexec_b64 s[0:1], s[16:17]
	s_cbranch_execz .LBB851_31
; %bb.30:
	s_sub_i32 s15, s3, s14
	s_min_u32 s15, s15, 8
	v_lshrrev_b32_e32 v18, s14, v1
	v_bfe_u32 v18, v18, 0, s15
	v_lshlrev_b32_e32 v19, 2, v10
	v_lshl_or_b32 v18, v18, 4, v19
	v_mov_b32_e32 v19, 1
	ds_add_u32 v18, v19 offset:8192
	v_mov_b32_e32 v18, 0
.LBB851_31:
	s_or_b64 exec, exec, s[0:1]
	v_cmp_gt_i32_e64 s[0:1], 10, v18
	s_mov_b64 s[14:15], -1
	s_and_saveexec_b64 s[16:17], s[0:1]
; %bb.32:
	v_cmp_eq_u32_e64 s[0:1], 0, v18
	s_orn2_b64 s[14:15], s[0:1], exec
; %bb.33:
	s_or_b64 exec, exec, s[16:17]
	s_and_b64 exec, exec, s[14:15]
	s_cbranch_execz .LBB851_36
; %bb.34:
	s_add_i32 s0, s2, 24
	s_cmp_gt_u32 s3, s0
	s_cselect_b64 s[14:15], -1, 0
	s_xor_b64 s[16:17], vcc, -1
	s_and_b64 s[14:15], s[14:15], s[16:17]
	s_and_b64 exec, exec, s[14:15]
	s_cbranch_execz .LBB851_36
; %bb.35:
	s_sub_i32 s1, s3, s0
	s_min_u32 s1, s1, 8
	v_lshrrev_b32_e32 v1, s0, v1
	v_bfe_u32 v1, v1, 0, s1
	v_lshlrev_b32_e32 v18, 2, v10
	v_lshl_or_b32 v1, v1, 4, v18
	v_mov_b32_e32 v18, 1
	ds_add_u32 v1, v18 offset:12288
.LBB851_36:
	s_or_b64 exec, exec, s[6:7]
	v_cmp_le_u32_e32 vcc, s13, v17
	v_xor_b32_e32 v1, 0x80000000, v2
	s_nor_b64 s[6:7], s[4:5], vcc
	v_mov_b32_e32 v2, s18
	s_and_saveexec_b64 s[0:1], s[6:7]
	s_cbranch_execz .LBB851_38
; %bb.37:
	s_sub_i32 s6, s3, s2
	s_min_u32 s6, s6, 8
	v_lshrrev_b32_e32 v2, s2, v1
	v_bfe_u32 v2, v2, 0, s6
	v_lshlrev_b32_e32 v17, 2, v10
	v_lshl_or_b32 v2, v2, 4, v17
	v_mov_b32_e32 v17, 1
	ds_add_u32 v2, v17
	v_mov_b32_e32 v2, 0
.LBB851_38:
	s_or_b64 exec, exec, s[0:1]
	v_cmp_gt_i32_e64 s[0:1], 10, v2
	s_mov_b64 s[14:15], -1
	s_and_saveexec_b64 s[6:7], s[0:1]
; %bb.39:
	v_cmp_eq_u32_e64 s[0:1], 0, v2
	s_orn2_b64 s[14:15], s[0:1], exec
; %bb.40:
	s_or_b64 exec, exec, s[6:7]
	s_and_saveexec_b64 s[6:7], s[14:15]
	s_cbranch_execz .LBB851_53
; %bb.41:
	s_add_i32 s14, s2, 8
	s_cmp_le_u32 s3, s14
	s_cselect_b64 s[0:1], -1, 0
	s_and_b64 s[16:17], s[0:1], exec
	s_cselect_b32 s15, 8, 10
	s_nor_b64 s[16:17], s[0:1], vcc
	v_mov_b32_e32 v2, s15
	s_and_saveexec_b64 s[0:1], s[16:17]
	s_cbranch_execz .LBB851_43
; %bb.42:
	s_sub_i32 s15, s3, s14
	s_min_u32 s15, s15, 8
	v_lshrrev_b32_e32 v2, s14, v1
	v_bfe_u32 v2, v2, 0, s15
	v_lshlrev_b32_e32 v17, 2, v10
	v_lshl_or_b32 v2, v2, 4, v17
	v_mov_b32_e32 v17, 1
	ds_add_u32 v2, v17 offset:4096
	v_mov_b32_e32 v2, 0
.LBB851_43:
	s_or_b64 exec, exec, s[0:1]
	v_cmp_gt_i32_e64 s[0:1], 10, v2
	s_mov_b64 s[14:15], -1
	s_and_saveexec_b64 s[16:17], s[0:1]
; %bb.44:
	v_cmp_eq_u32_e64 s[0:1], 0, v2
	s_orn2_b64 s[14:15], s[0:1], exec
; %bb.45:
	s_or_b64 exec, exec, s[16:17]
	s_and_b64 exec, exec, s[14:15]
	s_cbranch_execz .LBB851_53
; %bb.46:
	s_add_i32 s14, s2, 16
	s_cmp_le_u32 s3, s14
	s_cselect_b64 s[0:1], -1, 0
	s_and_b64 s[16:17], s[0:1], exec
	s_cselect_b32 s15, 8, 10
	s_nor_b64 s[16:17], s[0:1], vcc
	v_mov_b32_e32 v2, s15
	s_and_saveexec_b64 s[0:1], s[16:17]
	s_cbranch_execz .LBB851_48
; %bb.47:
	s_sub_i32 s15, s3, s14
	s_min_u32 s15, s15, 8
	v_lshrrev_b32_e32 v2, s14, v1
	v_bfe_u32 v2, v2, 0, s15
	v_lshlrev_b32_e32 v17, 2, v10
	v_lshl_or_b32 v2, v2, 4, v17
	v_mov_b32_e32 v17, 1
	ds_add_u32 v2, v17 offset:8192
	v_mov_b32_e32 v2, 0
.LBB851_48:
	s_or_b64 exec, exec, s[0:1]
	v_cmp_gt_i32_e64 s[0:1], 10, v2
	s_mov_b64 s[14:15], -1
	s_and_saveexec_b64 s[16:17], s[0:1]
; %bb.49:
	v_cmp_eq_u32_e64 s[0:1], 0, v2
	s_orn2_b64 s[14:15], s[0:1], exec
; %bb.50:
	s_or_b64 exec, exec, s[16:17]
	s_and_b64 exec, exec, s[14:15]
	s_cbranch_execz .LBB851_53
; %bb.51:
	s_add_i32 s0, s2, 24
	s_cmp_gt_u32 s3, s0
	s_cselect_b64 s[14:15], -1, 0
	s_xor_b64 s[16:17], vcc, -1
	s_and_b64 s[14:15], s[14:15], s[16:17]
	s_and_b64 exec, exec, s[14:15]
	s_cbranch_execz .LBB851_53
; %bb.52:
	s_sub_i32 s1, s3, s0
	s_min_u32 s1, s1, 8
	v_lshrrev_b32_e32 v1, s0, v1
	v_bfe_u32 v1, v1, 0, s1
	v_lshlrev_b32_e32 v2, 2, v10
	v_lshl_or_b32 v1, v1, 4, v2
	v_mov_b32_e32 v2, 1
	ds_add_u32 v1, v2 offset:12288
.LBB851_53:
	s_or_b64 exec, exec, s[6:7]
	v_cmp_le_u32_e32 vcc, s13, v16
	v_xor_b32_e32 v1, 0x80000000, v3
	s_nor_b64 s[6:7], s[4:5], vcc
	v_mov_b32_e32 v2, s18
	s_and_saveexec_b64 s[0:1], s[6:7]
	s_cbranch_execz .LBB851_55
; %bb.54:
	s_sub_i32 s6, s3, s2
	s_min_u32 s6, s6, 8
	v_lshrrev_b32_e32 v2, s2, v1
	v_bfe_u32 v2, v2, 0, s6
	v_lshlrev_b32_e32 v3, 2, v10
	v_lshl_or_b32 v2, v2, 4, v3
	v_mov_b32_e32 v3, 1
	ds_add_u32 v2, v3
	v_mov_b32_e32 v2, 0
.LBB851_55:
	s_or_b64 exec, exec, s[0:1]
	v_cmp_gt_i32_e64 s[0:1], 10, v2
	s_mov_b64 s[14:15], -1
	s_and_saveexec_b64 s[6:7], s[0:1]
; %bb.56:
	v_cmp_eq_u32_e64 s[0:1], 0, v2
	s_orn2_b64 s[14:15], s[0:1], exec
; %bb.57:
	s_or_b64 exec, exec, s[6:7]
	s_and_saveexec_b64 s[6:7], s[14:15]
	s_cbranch_execz .LBB851_70
; %bb.58:
	s_add_i32 s14, s2, 8
	s_cmp_le_u32 s3, s14
	s_cselect_b64 s[0:1], -1, 0
	s_and_b64 s[16:17], s[0:1], exec
	s_cselect_b32 s15, 8, 10
	s_nor_b64 s[16:17], s[0:1], vcc
	v_mov_b32_e32 v2, s15
	s_and_saveexec_b64 s[0:1], s[16:17]
	s_cbranch_execz .LBB851_60
; %bb.59:
	s_sub_i32 s15, s3, s14
	s_min_u32 s15, s15, 8
	v_lshrrev_b32_e32 v2, s14, v1
	v_bfe_u32 v2, v2, 0, s15
	v_lshlrev_b32_e32 v3, 2, v10
	v_lshl_or_b32 v2, v2, 4, v3
	v_mov_b32_e32 v3, 1
	ds_add_u32 v2, v3 offset:4096
	v_mov_b32_e32 v2, 0
.LBB851_60:
	s_or_b64 exec, exec, s[0:1]
	v_cmp_gt_i32_e64 s[0:1], 10, v2
	s_mov_b64 s[14:15], -1
	s_and_saveexec_b64 s[16:17], s[0:1]
; %bb.61:
	v_cmp_eq_u32_e64 s[0:1], 0, v2
	s_orn2_b64 s[14:15], s[0:1], exec
; %bb.62:
	s_or_b64 exec, exec, s[16:17]
	s_and_b64 exec, exec, s[14:15]
	s_cbranch_execz .LBB851_70
; %bb.63:
	s_add_i32 s14, s2, 16
	s_cmp_le_u32 s3, s14
	s_cselect_b64 s[0:1], -1, 0
	s_and_b64 s[16:17], s[0:1], exec
	s_cselect_b32 s15, 8, 10
	s_nor_b64 s[16:17], s[0:1], vcc
	v_mov_b32_e32 v2, s15
	s_and_saveexec_b64 s[0:1], s[16:17]
	s_cbranch_execz .LBB851_65
; %bb.64:
	s_sub_i32 s15, s3, s14
	s_min_u32 s15, s15, 8
	v_lshrrev_b32_e32 v2, s14, v1
	v_bfe_u32 v2, v2, 0, s15
	v_lshlrev_b32_e32 v3, 2, v10
	v_lshl_or_b32 v2, v2, 4, v3
	v_mov_b32_e32 v3, 1
	ds_add_u32 v2, v3 offset:8192
	v_mov_b32_e32 v2, 0
.LBB851_65:
	s_or_b64 exec, exec, s[0:1]
	v_cmp_gt_i32_e64 s[0:1], 10, v2
	s_mov_b64 s[14:15], -1
	s_and_saveexec_b64 s[16:17], s[0:1]
; %bb.66:
	v_cmp_eq_u32_e64 s[0:1], 0, v2
	s_orn2_b64 s[14:15], s[0:1], exec
; %bb.67:
	s_or_b64 exec, exec, s[16:17]
	s_and_b64 exec, exec, s[14:15]
	s_cbranch_execz .LBB851_70
; %bb.68:
	s_add_i32 s0, s2, 24
	s_cmp_gt_u32 s3, s0
	s_cselect_b64 s[14:15], -1, 0
	s_xor_b64 s[16:17], vcc, -1
	s_and_b64 s[14:15], s[14:15], s[16:17]
	s_and_b64 exec, exec, s[14:15]
	s_cbranch_execz .LBB851_70
; %bb.69:
	s_sub_i32 s1, s3, s0
	s_min_u32 s1, s1, 8
	v_lshrrev_b32_e32 v1, s0, v1
	v_bfe_u32 v1, v1, 0, s1
	v_lshlrev_b32_e32 v2, 2, v10
	v_lshl_or_b32 v1, v1, 4, v2
	v_mov_b32_e32 v2, 1
	ds_add_u32 v1, v2 offset:12288
.LBB851_70:
	s_or_b64 exec, exec, s[6:7]
	v_cmp_le_u32_e32 vcc, s13, v15
	v_xor_b32_e32 v1, 0x80000000, v4
	s_nor_b64 s[6:7], s[4:5], vcc
	v_mov_b32_e32 v2, s18
	s_and_saveexec_b64 s[0:1], s[6:7]
	s_cbranch_execz .LBB851_72
; %bb.71:
	s_sub_i32 s6, s3, s2
	s_min_u32 s6, s6, 8
	v_lshrrev_b32_e32 v2, s2, v1
	v_bfe_u32 v2, v2, 0, s6
	v_lshlrev_b32_e32 v3, 2, v10
	v_lshl_or_b32 v2, v2, 4, v3
	v_mov_b32_e32 v3, 1
	ds_add_u32 v2, v3
	v_mov_b32_e32 v2, 0
.LBB851_72:
	s_or_b64 exec, exec, s[0:1]
	v_cmp_gt_i32_e64 s[0:1], 10, v2
	s_mov_b64 s[14:15], -1
	s_and_saveexec_b64 s[6:7], s[0:1]
; %bb.73:
	v_cmp_eq_u32_e64 s[0:1], 0, v2
	s_orn2_b64 s[14:15], s[0:1], exec
; %bb.74:
	s_or_b64 exec, exec, s[6:7]
	s_and_saveexec_b64 s[6:7], s[14:15]
	s_cbranch_execz .LBB851_87
; %bb.75:
	s_add_i32 s14, s2, 8
	s_cmp_le_u32 s3, s14
	s_cselect_b64 s[0:1], -1, 0
	s_and_b64 s[16:17], s[0:1], exec
	s_cselect_b32 s15, 8, 10
	s_nor_b64 s[16:17], s[0:1], vcc
	v_mov_b32_e32 v2, s15
	s_and_saveexec_b64 s[0:1], s[16:17]
	s_cbranch_execz .LBB851_77
; %bb.76:
	s_sub_i32 s15, s3, s14
	s_min_u32 s15, s15, 8
	v_lshrrev_b32_e32 v2, s14, v1
	v_bfe_u32 v2, v2, 0, s15
	v_lshlrev_b32_e32 v3, 2, v10
	v_lshl_or_b32 v2, v2, 4, v3
	v_mov_b32_e32 v3, 1
	ds_add_u32 v2, v3 offset:4096
	v_mov_b32_e32 v2, 0
.LBB851_77:
	s_or_b64 exec, exec, s[0:1]
	v_cmp_gt_i32_e64 s[0:1], 10, v2
	s_mov_b64 s[14:15], -1
	s_and_saveexec_b64 s[16:17], s[0:1]
; %bb.78:
	v_cmp_eq_u32_e64 s[0:1], 0, v2
	s_orn2_b64 s[14:15], s[0:1], exec
; %bb.79:
	s_or_b64 exec, exec, s[16:17]
	s_and_b64 exec, exec, s[14:15]
	s_cbranch_execz .LBB851_87
; %bb.80:
	s_add_i32 s14, s2, 16
	s_cmp_le_u32 s3, s14
	s_cselect_b64 s[0:1], -1, 0
	s_and_b64 s[16:17], s[0:1], exec
	s_cselect_b32 s15, 8, 10
	s_nor_b64 s[16:17], s[0:1], vcc
	v_mov_b32_e32 v2, s15
	s_and_saveexec_b64 s[0:1], s[16:17]
	s_cbranch_execz .LBB851_82
; %bb.81:
	s_sub_i32 s15, s3, s14
	s_min_u32 s15, s15, 8
	v_lshrrev_b32_e32 v2, s14, v1
	v_bfe_u32 v2, v2, 0, s15
	v_lshlrev_b32_e32 v3, 2, v10
	v_lshl_or_b32 v2, v2, 4, v3
	v_mov_b32_e32 v3, 1
	ds_add_u32 v2, v3 offset:8192
	v_mov_b32_e32 v2, 0
.LBB851_82:
	s_or_b64 exec, exec, s[0:1]
	v_cmp_gt_i32_e64 s[0:1], 10, v2
	s_mov_b64 s[14:15], -1
	s_and_saveexec_b64 s[16:17], s[0:1]
; %bb.83:
	v_cmp_eq_u32_e64 s[0:1], 0, v2
	s_orn2_b64 s[14:15], s[0:1], exec
; %bb.84:
	s_or_b64 exec, exec, s[16:17]
	s_and_b64 exec, exec, s[14:15]
	s_cbranch_execz .LBB851_87
; %bb.85:
	s_add_i32 s0, s2, 24
	s_cmp_gt_u32 s3, s0
	s_cselect_b64 s[14:15], -1, 0
	s_xor_b64 s[16:17], vcc, -1
	s_and_b64 s[14:15], s[14:15], s[16:17]
	s_and_b64 exec, exec, s[14:15]
	s_cbranch_execz .LBB851_87
; %bb.86:
	s_sub_i32 s1, s3, s0
	s_min_u32 s1, s1, 8
	v_lshrrev_b32_e32 v1, s0, v1
	v_bfe_u32 v1, v1, 0, s1
	v_lshlrev_b32_e32 v2, 2, v10
	v_lshl_or_b32 v1, v1, 4, v2
	v_mov_b32_e32 v2, 1
	ds_add_u32 v1, v2 offset:12288
.LBB851_87:
	s_or_b64 exec, exec, s[6:7]
	v_cmp_le_u32_e32 vcc, s13, v14
	v_xor_b32_e32 v1, 0x80000000, v5
	s_nor_b64 s[6:7], s[4:5], vcc
	v_mov_b32_e32 v2, s18
	s_and_saveexec_b64 s[0:1], s[6:7]
	s_cbranch_execz .LBB851_89
; %bb.88:
	s_sub_i32 s6, s3, s2
	s_min_u32 s6, s6, 8
	v_lshrrev_b32_e32 v2, s2, v1
	v_bfe_u32 v2, v2, 0, s6
	v_lshlrev_b32_e32 v3, 2, v10
	v_lshl_or_b32 v2, v2, 4, v3
	v_mov_b32_e32 v3, 1
	ds_add_u32 v2, v3
	v_mov_b32_e32 v2, 0
.LBB851_89:
	s_or_b64 exec, exec, s[0:1]
	v_cmp_gt_i32_e64 s[0:1], 10, v2
	s_mov_b64 s[14:15], -1
	s_and_saveexec_b64 s[6:7], s[0:1]
; %bb.90:
	v_cmp_eq_u32_e64 s[0:1], 0, v2
	s_orn2_b64 s[14:15], s[0:1], exec
; %bb.91:
	s_or_b64 exec, exec, s[6:7]
	s_and_saveexec_b64 s[6:7], s[14:15]
	s_cbranch_execz .LBB851_104
; %bb.92:
	s_add_i32 s14, s2, 8
	s_cmp_le_u32 s3, s14
	s_cselect_b64 s[0:1], -1, 0
	s_and_b64 s[16:17], s[0:1], exec
	s_cselect_b32 s15, 8, 10
	s_nor_b64 s[16:17], s[0:1], vcc
	v_mov_b32_e32 v2, s15
	s_and_saveexec_b64 s[0:1], s[16:17]
	s_cbranch_execz .LBB851_94
; %bb.93:
	s_sub_i32 s15, s3, s14
	s_min_u32 s15, s15, 8
	v_lshrrev_b32_e32 v2, s14, v1
	v_bfe_u32 v2, v2, 0, s15
	v_lshlrev_b32_e32 v3, 2, v10
	v_lshl_or_b32 v2, v2, 4, v3
	v_mov_b32_e32 v3, 1
	ds_add_u32 v2, v3 offset:4096
	v_mov_b32_e32 v2, 0
.LBB851_94:
	s_or_b64 exec, exec, s[0:1]
	v_cmp_gt_i32_e64 s[0:1], 10, v2
	s_mov_b64 s[14:15], -1
	s_and_saveexec_b64 s[16:17], s[0:1]
; %bb.95:
	v_cmp_eq_u32_e64 s[0:1], 0, v2
	s_orn2_b64 s[14:15], s[0:1], exec
; %bb.96:
	s_or_b64 exec, exec, s[16:17]
	s_and_b64 exec, exec, s[14:15]
	s_cbranch_execz .LBB851_104
; %bb.97:
	s_add_i32 s14, s2, 16
	s_cmp_le_u32 s3, s14
	s_cselect_b64 s[0:1], -1, 0
	s_and_b64 s[16:17], s[0:1], exec
	s_cselect_b32 s15, 8, 10
	s_nor_b64 s[16:17], s[0:1], vcc
	v_mov_b32_e32 v2, s15
	s_and_saveexec_b64 s[0:1], s[16:17]
	s_cbranch_execz .LBB851_99
; %bb.98:
	s_sub_i32 s15, s3, s14
	s_min_u32 s15, s15, 8
	v_lshrrev_b32_e32 v2, s14, v1
	v_bfe_u32 v2, v2, 0, s15
	v_lshlrev_b32_e32 v3, 2, v10
	v_lshl_or_b32 v2, v2, 4, v3
	v_mov_b32_e32 v3, 1
	ds_add_u32 v2, v3 offset:8192
	v_mov_b32_e32 v2, 0
.LBB851_99:
	s_or_b64 exec, exec, s[0:1]
	v_cmp_gt_i32_e64 s[0:1], 10, v2
	s_mov_b64 s[14:15], -1
	s_and_saveexec_b64 s[16:17], s[0:1]
; %bb.100:
	v_cmp_eq_u32_e64 s[0:1], 0, v2
	s_orn2_b64 s[14:15], s[0:1], exec
; %bb.101:
	s_or_b64 exec, exec, s[16:17]
	s_and_b64 exec, exec, s[14:15]
	s_cbranch_execz .LBB851_104
; %bb.102:
	s_add_i32 s0, s2, 24
	s_cmp_gt_u32 s3, s0
	s_cselect_b64 s[14:15], -1, 0
	s_xor_b64 s[16:17], vcc, -1
	s_and_b64 s[14:15], s[14:15], s[16:17]
	s_and_b64 exec, exec, s[14:15]
	s_cbranch_execz .LBB851_104
; %bb.103:
	s_sub_i32 s1, s3, s0
	s_min_u32 s1, s1, 8
	v_lshrrev_b32_e32 v1, s0, v1
	v_bfe_u32 v1, v1, 0, s1
	v_lshlrev_b32_e32 v2, 2, v10
	v_lshl_or_b32 v1, v1, 4, v2
	v_mov_b32_e32 v2, 1
	ds_add_u32 v1, v2 offset:12288
.LBB851_104:
	s_or_b64 exec, exec, s[6:7]
	v_cmp_le_u32_e32 vcc, s13, v13
	v_xor_b32_e32 v1, 0x80000000, v6
	s_nor_b64 s[6:7], s[4:5], vcc
	v_mov_b32_e32 v2, s18
	s_and_saveexec_b64 s[0:1], s[6:7]
	s_cbranch_execz .LBB851_106
; %bb.105:
	s_sub_i32 s6, s3, s2
	s_min_u32 s6, s6, 8
	v_lshrrev_b32_e32 v2, s2, v1
	v_bfe_u32 v2, v2, 0, s6
	v_lshlrev_b32_e32 v3, 2, v10
	v_lshl_or_b32 v2, v2, 4, v3
	v_mov_b32_e32 v3, 1
	ds_add_u32 v2, v3
	v_mov_b32_e32 v2, 0
.LBB851_106:
	s_or_b64 exec, exec, s[0:1]
	v_cmp_gt_i32_e64 s[0:1], 10, v2
	s_mov_b64 s[14:15], -1
	s_and_saveexec_b64 s[6:7], s[0:1]
; %bb.107:
	v_cmp_eq_u32_e64 s[0:1], 0, v2
	s_orn2_b64 s[14:15], s[0:1], exec
; %bb.108:
	s_or_b64 exec, exec, s[6:7]
	s_and_saveexec_b64 s[6:7], s[14:15]
	s_cbranch_execz .LBB851_121
; %bb.109:
	s_add_i32 s14, s2, 8
	s_cmp_le_u32 s3, s14
	s_cselect_b64 s[0:1], -1, 0
	s_and_b64 s[16:17], s[0:1], exec
	s_cselect_b32 s15, 8, 10
	s_nor_b64 s[16:17], s[0:1], vcc
	v_mov_b32_e32 v2, s15
	s_and_saveexec_b64 s[0:1], s[16:17]
	s_cbranch_execz .LBB851_111
; %bb.110:
	s_sub_i32 s15, s3, s14
	s_min_u32 s15, s15, 8
	v_lshrrev_b32_e32 v2, s14, v1
	v_bfe_u32 v2, v2, 0, s15
	v_lshlrev_b32_e32 v3, 2, v10
	v_lshl_or_b32 v2, v2, 4, v3
	v_mov_b32_e32 v3, 1
	ds_add_u32 v2, v3 offset:4096
	v_mov_b32_e32 v2, 0
.LBB851_111:
	s_or_b64 exec, exec, s[0:1]
	v_cmp_gt_i32_e64 s[0:1], 10, v2
	s_mov_b64 s[14:15], -1
	s_and_saveexec_b64 s[16:17], s[0:1]
; %bb.112:
	v_cmp_eq_u32_e64 s[0:1], 0, v2
	s_orn2_b64 s[14:15], s[0:1], exec
; %bb.113:
	s_or_b64 exec, exec, s[16:17]
	s_and_b64 exec, exec, s[14:15]
	s_cbranch_execz .LBB851_121
; %bb.114:
	s_add_i32 s14, s2, 16
	s_cmp_le_u32 s3, s14
	s_cselect_b64 s[0:1], -1, 0
	s_and_b64 s[16:17], s[0:1], exec
	s_cselect_b32 s15, 8, 10
	s_nor_b64 s[16:17], s[0:1], vcc
	v_mov_b32_e32 v2, s15
	s_and_saveexec_b64 s[0:1], s[16:17]
	s_cbranch_execz .LBB851_116
; %bb.115:
	s_sub_i32 s15, s3, s14
	s_min_u32 s15, s15, 8
	v_lshrrev_b32_e32 v2, s14, v1
	v_bfe_u32 v2, v2, 0, s15
	v_lshlrev_b32_e32 v3, 2, v10
	v_lshl_or_b32 v2, v2, 4, v3
	v_mov_b32_e32 v3, 1
	ds_add_u32 v2, v3 offset:8192
	v_mov_b32_e32 v2, 0
.LBB851_116:
	s_or_b64 exec, exec, s[0:1]
	v_cmp_gt_i32_e64 s[0:1], 10, v2
	s_mov_b64 s[14:15], -1
	s_and_saveexec_b64 s[16:17], s[0:1]
; %bb.117:
	v_cmp_eq_u32_e64 s[0:1], 0, v2
	s_orn2_b64 s[14:15], s[0:1], exec
; %bb.118:
	s_or_b64 exec, exec, s[16:17]
	s_and_b64 exec, exec, s[14:15]
	s_cbranch_execz .LBB851_121
; %bb.119:
	s_add_i32 s0, s2, 24
	s_cmp_gt_u32 s3, s0
	s_cselect_b64 s[14:15], -1, 0
	s_xor_b64 s[16:17], vcc, -1
	s_and_b64 s[14:15], s[14:15], s[16:17]
	s_and_b64 exec, exec, s[14:15]
	s_cbranch_execz .LBB851_121
; %bb.120:
	s_sub_i32 s1, s3, s0
	s_min_u32 s1, s1, 8
	v_lshrrev_b32_e32 v1, s0, v1
	v_bfe_u32 v1, v1, 0, s1
	v_lshlrev_b32_e32 v2, 2, v10
	v_lshl_or_b32 v1, v1, 4, v2
	v_mov_b32_e32 v2, 1
	ds_add_u32 v1, v2 offset:12288
.LBB851_121:
	s_or_b64 exec, exec, s[6:7]
	v_cmp_le_u32_e32 vcc, s13, v12
	v_xor_b32_e32 v1, 0x80000000, v7
	s_nor_b64 s[6:7], s[4:5], vcc
	v_mov_b32_e32 v2, s18
	s_and_saveexec_b64 s[0:1], s[6:7]
	s_cbranch_execz .LBB851_123
; %bb.122:
	s_sub_i32 s6, s3, s2
	s_min_u32 s6, s6, 8
	v_lshrrev_b32_e32 v2, s2, v1
	v_bfe_u32 v2, v2, 0, s6
	v_lshlrev_b32_e32 v3, 2, v10
	v_lshl_or_b32 v2, v2, 4, v3
	v_mov_b32_e32 v3, 1
	ds_add_u32 v2, v3
	v_mov_b32_e32 v2, 0
.LBB851_123:
	s_or_b64 exec, exec, s[0:1]
	v_cmp_gt_i32_e64 s[0:1], 10, v2
	s_mov_b64 s[14:15], -1
	s_and_saveexec_b64 s[6:7], s[0:1]
; %bb.124:
	v_cmp_eq_u32_e64 s[0:1], 0, v2
	s_orn2_b64 s[14:15], s[0:1], exec
; %bb.125:
	s_or_b64 exec, exec, s[6:7]
	s_and_saveexec_b64 s[6:7], s[14:15]
	s_cbranch_execz .LBB851_138
; %bb.126:
	s_add_i32 s14, s2, 8
	s_cmp_le_u32 s3, s14
	s_cselect_b64 s[0:1], -1, 0
	s_and_b64 s[16:17], s[0:1], exec
	s_cselect_b32 s15, 8, 10
	s_nor_b64 s[16:17], s[0:1], vcc
	v_mov_b32_e32 v2, s15
	s_and_saveexec_b64 s[0:1], s[16:17]
	s_cbranch_execz .LBB851_128
; %bb.127:
	s_sub_i32 s15, s3, s14
	s_min_u32 s15, s15, 8
	v_lshrrev_b32_e32 v2, s14, v1
	v_bfe_u32 v2, v2, 0, s15
	v_lshlrev_b32_e32 v3, 2, v10
	v_lshl_or_b32 v2, v2, 4, v3
	v_mov_b32_e32 v3, 1
	ds_add_u32 v2, v3 offset:4096
	v_mov_b32_e32 v2, 0
.LBB851_128:
	s_or_b64 exec, exec, s[0:1]
	v_cmp_gt_i32_e64 s[0:1], 10, v2
	s_mov_b64 s[14:15], -1
	s_and_saveexec_b64 s[16:17], s[0:1]
; %bb.129:
	v_cmp_eq_u32_e64 s[0:1], 0, v2
	s_orn2_b64 s[14:15], s[0:1], exec
; %bb.130:
	s_or_b64 exec, exec, s[16:17]
	s_and_b64 exec, exec, s[14:15]
	s_cbranch_execz .LBB851_138
; %bb.131:
	s_add_i32 s14, s2, 16
	s_cmp_le_u32 s3, s14
	s_cselect_b64 s[0:1], -1, 0
	s_and_b64 s[16:17], s[0:1], exec
	s_cselect_b32 s15, 8, 10
	s_nor_b64 s[16:17], s[0:1], vcc
	v_mov_b32_e32 v2, s15
	s_and_saveexec_b64 s[0:1], s[16:17]
	s_cbranch_execz .LBB851_133
; %bb.132:
	s_sub_i32 s15, s3, s14
	s_min_u32 s15, s15, 8
	v_lshrrev_b32_e32 v2, s14, v1
	v_bfe_u32 v2, v2, 0, s15
	v_lshlrev_b32_e32 v3, 2, v10
	v_lshl_or_b32 v2, v2, 4, v3
	v_mov_b32_e32 v3, 1
	ds_add_u32 v2, v3 offset:8192
	v_mov_b32_e32 v2, 0
.LBB851_133:
	s_or_b64 exec, exec, s[0:1]
	v_cmp_gt_i32_e64 s[0:1], 10, v2
	s_mov_b64 s[14:15], -1
	s_and_saveexec_b64 s[16:17], s[0:1]
; %bb.134:
	v_cmp_eq_u32_e64 s[0:1], 0, v2
	s_orn2_b64 s[14:15], s[0:1], exec
; %bb.135:
	s_or_b64 exec, exec, s[16:17]
	s_and_b64 exec, exec, s[14:15]
	s_cbranch_execz .LBB851_138
; %bb.136:
	s_add_i32 s0, s2, 24
	s_cmp_gt_u32 s3, s0
	s_cselect_b64 s[14:15], -1, 0
	s_xor_b64 s[16:17], vcc, -1
	s_and_b64 s[14:15], s[14:15], s[16:17]
	s_and_b64 exec, exec, s[14:15]
	s_cbranch_execz .LBB851_138
; %bb.137:
	s_sub_i32 s1, s3, s0
	s_min_u32 s1, s1, 8
	v_lshrrev_b32_e32 v1, s0, v1
	v_bfe_u32 v1, v1, 0, s1
	v_lshlrev_b32_e32 v2, 2, v10
	v_lshl_or_b32 v1, v1, 4, v2
	v_mov_b32_e32 v2, 1
	ds_add_u32 v1, v2 offset:12288
.LBB851_138:
	s_or_b64 exec, exec, s[6:7]
	v_cmp_le_u32_e32 vcc, s13, v11
	v_xor_b32_e32 v1, 0x80000000, v8
	s_nor_b64 s[4:5], s[4:5], vcc
	v_mov_b32_e32 v2, s18
	s_and_saveexec_b64 s[0:1], s[4:5]
	s_cbranch_execz .LBB851_140
; %bb.139:
	s_sub_i32 s4, s3, s2
	s_min_u32 s4, s4, 8
	v_lshrrev_b32_e32 v2, s2, v1
	v_bfe_u32 v2, v2, 0, s4
	v_lshlrev_b32_e32 v3, 2, v10
	v_lshl_or_b32 v2, v2, 4, v3
	v_mov_b32_e32 v3, 1
	ds_add_u32 v2, v3
	v_mov_b32_e32 v2, 0
.LBB851_140:
	s_or_b64 exec, exec, s[0:1]
	v_cmp_gt_i32_e64 s[0:1], 10, v2
	s_mov_b64 s[6:7], -1
	s_and_saveexec_b64 s[4:5], s[0:1]
; %bb.141:
	v_cmp_eq_u32_e64 s[0:1], 0, v2
	s_orn2_b64 s[6:7], s[0:1], exec
; %bb.142:
	s_or_b64 exec, exec, s[4:5]
	s_and_saveexec_b64 s[4:5], s[6:7]
	s_cbranch_execz .LBB851_155
; %bb.143:
	s_add_i32 s6, s2, 8
	s_cmp_le_u32 s3, s6
	s_cselect_b64 s[0:1], -1, 0
	s_and_b64 s[14:15], s[0:1], exec
	s_cselect_b32 s7, 8, 10
	s_nor_b64 s[14:15], s[0:1], vcc
	v_mov_b32_e32 v2, s7
	s_and_saveexec_b64 s[0:1], s[14:15]
	s_cbranch_execz .LBB851_145
; %bb.144:
	s_sub_i32 s7, s3, s6
	s_min_u32 s7, s7, 8
	v_lshrrev_b32_e32 v2, s6, v1
	v_bfe_u32 v2, v2, 0, s7
	v_lshlrev_b32_e32 v3, 2, v10
	v_lshl_or_b32 v2, v2, 4, v3
	v_mov_b32_e32 v3, 1
	ds_add_u32 v2, v3 offset:4096
	v_mov_b32_e32 v2, 0
.LBB851_145:
	s_or_b64 exec, exec, s[0:1]
	v_cmp_gt_i32_e64 s[0:1], 10, v2
	s_mov_b64 s[6:7], -1
	s_and_saveexec_b64 s[14:15], s[0:1]
; %bb.146:
	v_cmp_eq_u32_e64 s[0:1], 0, v2
	s_orn2_b64 s[6:7], s[0:1], exec
; %bb.147:
	s_or_b64 exec, exec, s[14:15]
	s_and_b64 exec, exec, s[6:7]
	s_cbranch_execz .LBB851_155
; %bb.148:
	s_add_i32 s6, s2, 16
	s_cmp_le_u32 s3, s6
	s_cselect_b64 s[0:1], -1, 0
	s_and_b64 s[14:15], s[0:1], exec
	s_cselect_b32 s7, 8, 10
	s_nor_b64 s[14:15], s[0:1], vcc
	v_mov_b32_e32 v2, s7
	s_and_saveexec_b64 s[0:1], s[14:15]
	s_cbranch_execz .LBB851_150
; %bb.149:
	s_sub_i32 s7, s3, s6
	s_min_u32 s7, s7, 8
	v_lshrrev_b32_e32 v2, s6, v1
	v_bfe_u32 v2, v2, 0, s7
	v_lshlrev_b32_e32 v3, 2, v10
	v_lshl_or_b32 v2, v2, 4, v3
	v_mov_b32_e32 v3, 1
	ds_add_u32 v2, v3 offset:8192
	v_mov_b32_e32 v2, 0
.LBB851_150:
	s_or_b64 exec, exec, s[0:1]
	v_cmp_gt_i32_e64 s[0:1], 10, v2
	s_mov_b64 s[6:7], -1
	s_and_saveexec_b64 s[14:15], s[0:1]
; %bb.151:
	v_cmp_eq_u32_e64 s[0:1], 0, v2
	s_orn2_b64 s[6:7], s[0:1], exec
; %bb.152:
	s_or_b64 exec, exec, s[14:15]
	s_and_b64 exec, exec, s[6:7]
	s_cbranch_execz .LBB851_155
; %bb.153:
	s_add_i32 s0, s2, 24
	s_cmp_gt_u32 s3, s0
	s_cselect_b64 s[6:7], -1, 0
	s_xor_b64 s[14:15], vcc, -1
	s_and_b64 s[6:7], s[6:7], s[14:15]
	s_and_b64 exec, exec, s[6:7]
	s_cbranch_execz .LBB851_155
; %bb.154:
	s_sub_i32 s1, s3, s0
	s_min_u32 s1, s1, 8
	v_lshrrev_b32_e32 v1, s0, v1
	v_bfe_u32 v1, v1, 0, s1
	v_lshlrev_b32_e32 v2, 2, v10
	v_lshl_or_b32 v1, v1, 4, v2
	v_mov_b32_e32 v2, 1
	ds_add_u32 v1, v2 offset:12288
.LBB851_155:
	s_or_b64 exec, exec, s[4:5]
	s_cmp_gt_u32 s3, s2
	s_waitcnt lgkmcnt(0)
	s_barrier
	s_cbranch_scc0 .LBB851_160
; %bb.156:
	s_movk_i32 s0, 0x100
	v_cmp_gt_u32_e32 vcc, s0, v0
	v_mad_u32_u24 v3, v0, 12, v9
	v_mov_b32_e32 v2, 0
	v_mov_b32_e32 v1, v0
	s_mov_b32 s6, s2
	s_branch .LBB851_158
.LBB851_157:                            ;   in Loop: Header=BB851_158 Depth=1
	s_or_b64 exec, exec, s[4:5]
	s_add_i32 s6, s6, 8
	v_add_u32_e32 v1, 0x100, v1
	s_cmp_lt_u32 s6, s3
	v_add_u32_e32 v3, 0x1000, v3
	s_cbranch_scc0 .LBB851_160
.LBB851_158:                            ; =>This Inner Loop Header: Depth=1
	s_and_saveexec_b64 s[4:5], vcc
	s_cbranch_execz .LBB851_157
; %bb.159:                              ;   in Loop: Header=BB851_158 Depth=1
	ds_read2_b32 v[4:5], v3 offset1:1
	ds_read2_b32 v[6:7], v3 offset0:2 offset1:3
	v_lshlrev_b64 v[8:9], 2, v[1:2]
	v_mov_b32_e32 v10, s11
	s_waitcnt lgkmcnt(1)
	v_add_u32_e32 v4, v5, v4
	s_waitcnt lgkmcnt(0)
	v_add3_u32 v6, v4, v6, v7
	v_add_co_u32_e64 v4, s[0:1], s10, v8
	v_addc_co_u32_e64 v5, s[0:1], v10, v9, s[0:1]
	global_atomic_add v[4:5], v6, off
	s_branch .LBB851_157
.LBB851_160:
	s_mov_b64 s[0:1], 0
.LBB851_161:
	s_and_b64 vcc, exec, s[0:1]
	s_cbranch_vccz .LBB851_225
; %bb.162:
	s_cmp_lg_u32 s2, 0
	s_cselect_b64 s[0:1], -1, 0
	s_cmp_lg_u32 s3, 32
	s_mov_b32 s13, 0
	s_cselect_b64 s[4:5], -1, 0
	s_or_b64 s[4:5], s[0:1], s[4:5]
	s_lshl_b64 s[0:1], s[12:13], 2
	s_add_u32 s0, s8, s0
	s_addc_u32 s1, s9, s1
	v_lshlrev_b32_e32 v3, 2, v0
	v_mov_b32_e32 v1, s1
	v_add_co_u32_e32 v4, vcc, s0, v3
	v_addc_co_u32_e32 v5, vcc, 0, v1, vcc
	s_movk_i32 s6, 0x1000
	v_add_co_u32_e32 v1, vcc, s6, v4
	v_addc_co_u32_e32 v2, vcc, 0, v5, vcc
	v_add_co_u32_e32 v12, vcc, 0x2000, v4
	v_addc_co_u32_e32 v13, vcc, 0, v5, vcc
	;; [unrolled: 2-line block ×3, first 2 shown]
	global_load_dword v11, v3, s[0:1]
	global_load_dword v10, v3, s[0:1] offset:2048
	global_load_dword v9, v[1:2], off
	global_load_dword v8, v[1:2], off offset:2048
	global_load_dword v7, v[12:13], off
	global_load_dword v6, v[12:13], off offset:2048
	;; [unrolled: 2-line block ×3, first 2 shown]
	v_mov_b32_e32 v1, 0
	s_mov_b64 s[0:1], -1
	s_and_b64 vcc, exec, s[4:5]
	s_cbranch_vccz .LBB851_220
; %bb.163:
	v_or_b32_e32 v2, 0xc00, v0
	s_movk_i32 s0, 0xe00
	v_cmp_gt_u32_e32 vcc, s0, v2
	ds_write2st64_b32 v3, v1, v1 offset1:8
	ds_write2st64_b32 v3, v1, v1 offset0:16 offset1:24
	ds_write2st64_b32 v3, v1, v1 offset0:32 offset1:40
	ds_write_b32 v3, v1 offset:12288
	s_and_saveexec_b64 s[0:1], vcc
; %bb.164:
	v_mov_b32_e32 v1, 0
	ds_write_b32 v3, v1 offset:14336
; %bb.165:
	s_or_b64 exec, exec, s[0:1]
	s_cmp_gt_u32 s3, s2
	s_cselect_b64 s[0:1], -1, 0
	s_and_b64 vcc, exec, s[0:1]
	s_waitcnt vmcnt(0) lgkmcnt(0)
	s_barrier
	s_cbranch_vccz .LBB851_214
; %bb.166:
	s_sub_i32 s4, s3, s2
	s_min_u32 s4, s4, 8
	v_xor_b32_e32 v13, 0x80000000, v11
	s_lshl_b32 s4, -1, s4
	v_and_b32_e32 v1, 3, v0
	s_not_b32 s13, s4
	v_lshrrev_b32_e32 v2, s2, v13
	v_and_b32_e32 v14, s13, v2
	v_lshlrev_b32_e32 v2, 2, v1
	v_lshl_or_b32 v14, v14, 4, v2
	v_mov_b32_e32 v15, 1
	ds_add_u32 v14, v15
	s_add_i32 s12, s2, 8
	v_xor_b32_e32 v12, 0x80000000, v10
	s_cmp_le_u32 s3, s12
	s_cselect_b64 s[4:5], -1, 0
	v_lshrrev_b32_e32 v14, s2, v12
	s_and_b64 vcc, exec, s[4:5]
	v_and_b32_e32 v14, s13, v14
	s_cbranch_vccz .LBB851_168
; %bb.167:
	v_lshlrev_b32_e32 v15, 4, v14
	s_mov_b64 s[6:7], -1
	s_cbranch_execz .LBB851_169
	s_branch .LBB851_176
.LBB851_168:
	s_mov_b64 s[6:7], 0
                                        ; implicit-def: $vgpr15
.LBB851_169:
	s_sub_i32 s8, s3, s12
	s_min_u32 s8, s8, 8
	s_lshl_b32 s8, -1, s8
	s_not_b32 s15, s8
	v_lshrrev_b32_e32 v15, s12, v13
	v_and_b32_e32 v15, s15, v15
	v_lshl_or_b32 v16, v15, 4, v2
	v_mov_b32_e32 v15, 1
	ds_add_u32 v16, v15 offset:4096
	s_add_i32 s14, s2, 16
	s_cmp_gt_u32 s3, s14
	s_cselect_b64 s[8:9], -1, 0
	s_cmp_le_u32 s3, s14
	s_cbranch_scc1 .LBB851_172
; %bb.170:
	s_sub_i32 s16, s3, s14
	s_min_u32 s16, s16, 8
	v_lshrrev_b32_e32 v16, s14, v13
	v_bfe_u32 v16, v16, 0, s16
	v_lshl_or_b32 v16, v16, 4, v2
	ds_add_u32 v16, v15 offset:8192
	s_add_i32 s16, s2, 24
	s_cmp_le_u32 s3, s16
	s_cbranch_scc1 .LBB851_172
; %bb.171:
	s_sub_i32 s17, s3, s16
	s_min_u32 s17, s17, 8
	v_lshrrev_b32_e32 v13, s16, v13
	v_bfe_u32 v13, v13, 0, s17
	v_lshl_or_b32 v13, v13, 4, v2
	v_mov_b32_e32 v16, 1
	ds_add_u32 v13, v16 offset:12288
.LBB851_172:
	v_lshl_or_b32 v13, v14, 4, v2
	ds_add_u32 v13, v15
	v_lshrrev_b32_e32 v13, s12, v12
	v_and_b32_e32 v13, s15, v13
	v_lshl_or_b32 v13, v13, 4, v2
	ds_add_u32 v13, v15 offset:4096
	s_andn2_b64 vcc, exec, s[8:9]
	s_cbranch_vccnz .LBB851_175
; %bb.173:
	s_sub_i32 s8, s3, s14
	s_min_u32 s8, s8, 8
	v_lshrrev_b32_e32 v13, s14, v12
	v_bfe_u32 v13, v13, 0, s8
	v_lshl_or_b32 v13, v13, 4, v2
	v_mov_b32_e32 v14, 1
	ds_add_u32 v13, v14 offset:8192
	s_add_i32 s8, s2, 24
	s_cmp_gt_u32 s3, s8
                                        ; implicit-def: $vgpr15
	s_cbranch_scc0 .LBB851_176
; %bb.174:
	s_sub_i32 s6, s3, s8
	s_min_u32 s6, s6, 8
	v_lshrrev_b32_e32 v12, s8, v12
	v_bfe_u32 v12, v12, 0, s6
	v_mov_b32_e32 v13, 0x3000
	v_lshl_add_u32 v15, v12, 4, v13
	s_mov_b64 s[6:7], -1
	s_branch .LBB851_176
.LBB851_175:
                                        ; implicit-def: $vgpr15
.LBB851_176:
	s_and_b64 vcc, exec, s[6:7]
	s_cbranch_vccz .LBB851_178
; %bb.177:
	v_lshl_add_u32 v12, v1, 2, v15
	v_mov_b32_e32 v13, 1
	ds_add_u32 v12, v13
.LBB851_178:
	v_xor_b32_e32 v13, 0x80000000, v9
	v_lshrrev_b32_e32 v14, s2, v13
	v_and_b32_e32 v14, s13, v14
	v_lshl_or_b32 v14, v14, 4, v2
	v_mov_b32_e32 v15, 1
	ds_add_u32 v14, v15
	v_xor_b32_e32 v12, 0x80000000, v8
	v_lshrrev_b32_e32 v14, s2, v12
	s_and_b64 vcc, exec, s[4:5]
	v_and_b32_e32 v14, s13, v14
	s_cbranch_vccz .LBB851_180
; %bb.179:
	v_lshlrev_b32_e32 v15, 4, v14
	s_mov_b64 s[6:7], -1
	s_cbranch_execz .LBB851_181
	s_branch .LBB851_188
.LBB851_180:
	s_mov_b64 s[6:7], 0
                                        ; implicit-def: $vgpr15
.LBB851_181:
	s_sub_i32 s8, s3, s12
	s_min_u32 s8, s8, 8
	s_lshl_b32 s8, -1, s8
	s_not_b32 s15, s8
	v_lshrrev_b32_e32 v15, s12, v13
	v_and_b32_e32 v15, s15, v15
	v_lshl_or_b32 v16, v15, 4, v2
	v_mov_b32_e32 v15, 1
	ds_add_u32 v16, v15 offset:4096
	s_add_i32 s14, s2, 16
	s_cmp_gt_u32 s3, s14
	s_cselect_b64 s[8:9], -1, 0
	s_cmp_le_u32 s3, s14
	s_cbranch_scc1 .LBB851_184
; %bb.182:
	s_sub_i32 s16, s3, s14
	s_min_u32 s16, s16, 8
	v_lshrrev_b32_e32 v16, s14, v13
	v_bfe_u32 v16, v16, 0, s16
	v_lshl_or_b32 v16, v16, 4, v2
	ds_add_u32 v16, v15 offset:8192
	s_add_i32 s16, s2, 24
	s_cmp_le_u32 s3, s16
	s_cbranch_scc1 .LBB851_184
; %bb.183:
	s_sub_i32 s17, s3, s16
	s_min_u32 s17, s17, 8
	v_lshrrev_b32_e32 v13, s16, v13
	v_bfe_u32 v13, v13, 0, s17
	v_lshl_or_b32 v13, v13, 4, v2
	v_mov_b32_e32 v16, 1
	ds_add_u32 v13, v16 offset:12288
.LBB851_184:
	v_lshl_or_b32 v13, v14, 4, v2
	ds_add_u32 v13, v15
	v_lshrrev_b32_e32 v13, s12, v12
	v_and_b32_e32 v13, s15, v13
	v_lshl_or_b32 v13, v13, 4, v2
	ds_add_u32 v13, v15 offset:4096
	s_andn2_b64 vcc, exec, s[8:9]
	s_cbranch_vccnz .LBB851_187
; %bb.185:
	s_sub_i32 s8, s3, s14
	s_min_u32 s8, s8, 8
	v_lshrrev_b32_e32 v13, s14, v12
	v_bfe_u32 v13, v13, 0, s8
	v_lshl_or_b32 v13, v13, 4, v2
	v_mov_b32_e32 v14, 1
	ds_add_u32 v13, v14 offset:8192
	s_add_i32 s8, s2, 24
	s_cmp_gt_u32 s3, s8
                                        ; implicit-def: $vgpr15
	s_cbranch_scc0 .LBB851_188
; %bb.186:
	s_sub_i32 s6, s3, s8
	s_min_u32 s6, s6, 8
	v_lshrrev_b32_e32 v12, s8, v12
	v_bfe_u32 v12, v12, 0, s6
	v_mov_b32_e32 v13, 0x3000
	v_lshl_add_u32 v15, v12, 4, v13
	s_mov_b64 s[6:7], -1
	s_branch .LBB851_188
.LBB851_187:
                                        ; implicit-def: $vgpr15
.LBB851_188:
	s_and_b64 vcc, exec, s[6:7]
	s_cbranch_vccz .LBB851_190
; %bb.189:
	v_lshl_add_u32 v12, v1, 2, v15
	v_mov_b32_e32 v13, 1
	ds_add_u32 v12, v13
.LBB851_190:
	v_xor_b32_e32 v13, 0x80000000, v7
	v_lshrrev_b32_e32 v14, s2, v13
	v_and_b32_e32 v14, s13, v14
	v_lshl_or_b32 v14, v14, 4, v2
	v_mov_b32_e32 v15, 1
	ds_add_u32 v14, v15
	v_xor_b32_e32 v12, 0x80000000, v6
	v_lshrrev_b32_e32 v14, s2, v12
	s_and_b64 vcc, exec, s[4:5]
	v_and_b32_e32 v14, s13, v14
	s_cbranch_vccz .LBB851_192
; %bb.191:
	v_lshlrev_b32_e32 v15, 4, v14
	s_mov_b64 s[6:7], -1
	s_cbranch_execz .LBB851_193
	s_branch .LBB851_200
.LBB851_192:
	s_mov_b64 s[6:7], 0
                                        ; implicit-def: $vgpr15
.LBB851_193:
	s_sub_i32 s8, s3, s12
	s_min_u32 s8, s8, 8
	s_lshl_b32 s8, -1, s8
	s_not_b32 s15, s8
	v_lshrrev_b32_e32 v15, s12, v13
	v_and_b32_e32 v15, s15, v15
	v_lshl_or_b32 v16, v15, 4, v2
	v_mov_b32_e32 v15, 1
	ds_add_u32 v16, v15 offset:4096
	s_add_i32 s14, s2, 16
	s_cmp_gt_u32 s3, s14
	s_cselect_b64 s[8:9], -1, 0
	s_cmp_le_u32 s3, s14
	s_cbranch_scc1 .LBB851_196
; %bb.194:
	s_sub_i32 s16, s3, s14
	s_min_u32 s16, s16, 8
	v_lshrrev_b32_e32 v16, s14, v13
	v_bfe_u32 v16, v16, 0, s16
	v_lshl_or_b32 v16, v16, 4, v2
	ds_add_u32 v16, v15 offset:8192
	s_add_i32 s16, s2, 24
	s_cmp_le_u32 s3, s16
	s_cbranch_scc1 .LBB851_196
; %bb.195:
	s_sub_i32 s17, s3, s16
	s_min_u32 s17, s17, 8
	v_lshrrev_b32_e32 v13, s16, v13
	v_bfe_u32 v13, v13, 0, s17
	v_lshl_or_b32 v13, v13, 4, v2
	v_mov_b32_e32 v16, 1
	ds_add_u32 v13, v16 offset:12288
.LBB851_196:
	v_lshl_or_b32 v13, v14, 4, v2
	ds_add_u32 v13, v15
	v_lshrrev_b32_e32 v13, s12, v12
	v_and_b32_e32 v13, s15, v13
	v_lshl_or_b32 v13, v13, 4, v2
	ds_add_u32 v13, v15 offset:4096
	s_andn2_b64 vcc, exec, s[8:9]
	s_cbranch_vccnz .LBB851_199
; %bb.197:
	s_sub_i32 s8, s3, s14
	s_min_u32 s8, s8, 8
	v_lshrrev_b32_e32 v13, s14, v12
	v_bfe_u32 v13, v13, 0, s8
	v_lshl_or_b32 v13, v13, 4, v2
	v_mov_b32_e32 v14, 1
	ds_add_u32 v13, v14 offset:8192
	s_add_i32 s8, s2, 24
	s_cmp_gt_u32 s3, s8
                                        ; implicit-def: $vgpr15
	s_cbranch_scc0 .LBB851_200
; %bb.198:
	s_sub_i32 s6, s3, s8
	s_min_u32 s6, s6, 8
	v_lshrrev_b32_e32 v12, s8, v12
	v_bfe_u32 v12, v12, 0, s6
	v_mov_b32_e32 v13, 0x3000
	v_lshl_add_u32 v15, v12, 4, v13
	s_mov_b64 s[6:7], -1
	s_branch .LBB851_200
.LBB851_199:
                                        ; implicit-def: $vgpr15
.LBB851_200:
	s_and_b64 vcc, exec, s[6:7]
	s_cbranch_vccz .LBB851_202
; %bb.201:
	v_lshl_add_u32 v12, v1, 2, v15
	v_mov_b32_e32 v13, 1
	ds_add_u32 v12, v13
.LBB851_202:
	v_xor_b32_e32 v13, 0x80000000, v5
	v_lshrrev_b32_e32 v14, s2, v13
	v_and_b32_e32 v14, s13, v14
	v_lshl_or_b32 v14, v14, 4, v2
	v_mov_b32_e32 v15, 1
	ds_add_u32 v14, v15
	v_xor_b32_e32 v12, 0x80000000, v4
	v_lshrrev_b32_e32 v14, s2, v12
	s_and_b64 vcc, exec, s[4:5]
	v_and_b32_e32 v14, s13, v14
	s_cbranch_vccz .LBB851_204
; %bb.203:
	v_lshlrev_b32_e32 v15, 4, v14
	s_mov_b64 s[4:5], -1
	s_cbranch_execz .LBB851_205
	s_branch .LBB851_212
.LBB851_204:
	s_mov_b64 s[4:5], 0
                                        ; implicit-def: $vgpr15
.LBB851_205:
	s_sub_i32 s6, s3, s12
	s_min_u32 s6, s6, 8
	s_lshl_b32 s6, -1, s6
	s_not_b32 s9, s6
	v_lshrrev_b32_e32 v15, s12, v13
	v_and_b32_e32 v15, s9, v15
	v_lshl_or_b32 v16, v15, 4, v2
	v_mov_b32_e32 v15, 1
	ds_add_u32 v16, v15 offset:4096
	s_add_i32 s8, s2, 16
	s_cmp_gt_u32 s3, s8
	s_cselect_b64 s[6:7], -1, 0
	s_cmp_le_u32 s3, s8
	s_cbranch_scc1 .LBB851_208
; %bb.206:
	s_sub_i32 s13, s3, s8
	s_min_u32 s13, s13, 8
	v_lshrrev_b32_e32 v16, s8, v13
	v_bfe_u32 v16, v16, 0, s13
	v_lshl_or_b32 v16, v16, 4, v2
	ds_add_u32 v16, v15 offset:8192
	s_add_i32 s13, s2, 24
	s_cmp_le_u32 s3, s13
	s_cbranch_scc1 .LBB851_208
; %bb.207:
	s_sub_i32 s14, s3, s13
	s_min_u32 s14, s14, 8
	v_lshrrev_b32_e32 v13, s13, v13
	v_bfe_u32 v13, v13, 0, s14
	v_lshl_or_b32 v13, v13, 4, v2
	v_mov_b32_e32 v16, 1
	ds_add_u32 v13, v16 offset:12288
.LBB851_208:
	v_lshl_or_b32 v13, v14, 4, v2
	ds_add_u32 v13, v15
	v_lshrrev_b32_e32 v13, s12, v12
	v_and_b32_e32 v13, s9, v13
	v_lshl_or_b32 v13, v13, 4, v2
	ds_add_u32 v13, v15 offset:4096
	s_andn2_b64 vcc, exec, s[6:7]
	s_cbranch_vccnz .LBB851_211
; %bb.209:
	s_sub_i32 s6, s3, s8
	s_min_u32 s6, s6, 8
	v_lshrrev_b32_e32 v13, s8, v12
	v_bfe_u32 v13, v13, 0, s6
	v_lshl_or_b32 v2, v13, 4, v2
	v_mov_b32_e32 v13, 1
	ds_add_u32 v2, v13 offset:8192
	s_add_i32 s6, s2, 24
	s_cmp_gt_u32 s3, s6
                                        ; implicit-def: $vgpr15
	s_cbranch_scc0 .LBB851_212
; %bb.210:
	s_sub_i32 s4, s3, s6
	s_min_u32 s4, s4, 8
	v_lshrrev_b32_e32 v2, s6, v12
	v_bfe_u32 v2, v2, 0, s4
	v_mov_b32_e32 v12, 0x3000
	v_lshl_add_u32 v15, v2, 4, v12
	s_mov_b64 s[4:5], -1
	s_branch .LBB851_212
.LBB851_211:
                                        ; implicit-def: $vgpr15
.LBB851_212:
	s_and_b64 vcc, exec, s[4:5]
	s_cbranch_vccz .LBB851_214
; %bb.213:
	v_lshl_add_u32 v1, v1, 2, v15
	v_mov_b32_e32 v2, 1
	ds_add_u32 v1, v2
.LBB851_214:
	s_and_b64 vcc, exec, s[0:1]
	s_waitcnt lgkmcnt(0)
	s_barrier
	s_cbranch_vccz .LBB851_219
; %bb.215:
	s_movk_i32 s0, 0x100
	v_cmp_gt_u32_e32 vcc, s0, v0
	v_lshlrev_b32_e32 v12, 4, v0
	v_mov_b32_e32 v2, 0
	v_mov_b32_e32 v1, v0
	s_branch .LBB851_217
.LBB851_216:                            ;   in Loop: Header=BB851_217 Depth=1
	s_or_b64 exec, exec, s[4:5]
	s_add_i32 s2, s2, 8
	v_add_u32_e32 v1, 0x100, v1
	s_cmp_ge_u32 s2, s3
	v_add_u32_e32 v12, 0x1000, v12
	s_cbranch_scc1 .LBB851_219
.LBB851_217:                            ; =>This Inner Loop Header: Depth=1
	s_and_saveexec_b64 s[4:5], vcc
	s_cbranch_execz .LBB851_216
; %bb.218:                              ;   in Loop: Header=BB851_217 Depth=1
	ds_read2_b32 v[13:14], v12 offset1:1
	ds_read2_b32 v[15:16], v12 offset0:2 offset1:3
	v_lshlrev_b64 v[17:18], 2, v[1:2]
	v_mov_b32_e32 v19, s11
	s_waitcnt lgkmcnt(1)
	v_add_u32_e32 v13, v14, v13
	s_waitcnt lgkmcnt(0)
	v_add3_u32 v15, v13, v15, v16
	v_add_co_u32_e64 v13, s[0:1], s10, v17
	v_addc_co_u32_e64 v14, s[0:1], v19, v18, s[0:1]
	global_atomic_add v[13:14], v15, off
	s_branch .LBB851_216
.LBB851_219:
	s_mov_b64 s[0:1], 0
.LBB851_220:
	s_and_b64 vcc, exec, s[0:1]
	s_cbranch_vccz .LBB851_225
; %bb.221:
	v_or_b32_e32 v2, 0xc00, v0
	s_movk_i32 s0, 0xe00
	v_mov_b32_e32 v1, 0
	v_cmp_gt_u32_e32 vcc, s0, v2
	ds_write2st64_b32 v3, v1, v1 offset1:8
	ds_write2st64_b32 v3, v1, v1 offset0:16 offset1:24
	ds_write2st64_b32 v3, v1, v1 offset0:32 offset1:40
	ds_write_b32 v3, v1 offset:12288
	s_and_saveexec_b64 s[0:1], vcc
; %bb.222:
	ds_write_b32 v3, v1 offset:14336
; %bb.223:
	s_or_b64 exec, exec, s[0:1]
	v_and_b32_e32 v1, 3, v0
	s_waitcnt vmcnt(7)
	v_lshlrev_b32_e32 v2, 4, v11
	v_lshlrev_b32_e32 v1, 2, v1
	s_movk_i32 s0, 0xff0
	v_and_or_b32 v2, v2, s0, v1
	v_mov_b32_e32 v12, 1
	s_waitcnt vmcnt(0) lgkmcnt(0)
	s_barrier
	ds_add_u32 v2, v12
	v_bfe_u32 v2, v11, 8, 8
	v_lshl_or_b32 v2, v2, 4, v1
	ds_add_u32 v2, v12 offset:4096
	v_bfe_u32 v2, v11, 16, 8
	v_lshl_or_b32 v2, v2, 4, v1
	ds_add_u32 v2, v12 offset:8192
	v_mov_b32_e32 v2, 2
	v_lshlrev_b32_sdwa v11, v2, v11 dst_sel:DWORD dst_unused:UNUSED_PAD src0_sel:DWORD src1_sel:BYTE_3
	v_xor_b32_e32 v11, 0x200, v11
	v_lshl_or_b32 v11, v11, 2, v1
	ds_add_u32 v11, v12 offset:12288
	v_lshlrev_b32_e32 v11, 4, v10
	v_and_or_b32 v11, v11, s0, v1
	ds_add_u32 v11, v12
	v_bfe_u32 v11, v10, 8, 8
	v_lshl_or_b32 v11, v11, 4, v1
	ds_add_u32 v11, v12 offset:4096
	v_bfe_u32 v11, v10, 16, 8
	v_lshlrev_b32_sdwa v10, v2, v10 dst_sel:DWORD dst_unused:UNUSED_PAD src0_sel:DWORD src1_sel:BYTE_3
	v_lshl_or_b32 v11, v11, 4, v1
	v_xor_b32_e32 v10, 0x200, v10
	ds_add_u32 v11, v12 offset:8192
	v_lshl_or_b32 v10, v10, 2, v1
	ds_add_u32 v10, v12 offset:12288
	v_lshlrev_b32_e32 v10, 4, v9
	v_and_or_b32 v10, v10, s0, v1
	ds_add_u32 v10, v12
	v_bfe_u32 v10, v9, 8, 8
	v_lshl_or_b32 v10, v10, 4, v1
	ds_add_u32 v10, v12 offset:4096
	v_bfe_u32 v10, v9, 16, 8
	v_lshlrev_b32_sdwa v9, v2, v9 dst_sel:DWORD dst_unused:UNUSED_PAD src0_sel:DWORD src1_sel:BYTE_3
	v_lshl_or_b32 v10, v10, 4, v1
	v_xor_b32_e32 v9, 0x200, v9
	ds_add_u32 v10, v12 offset:8192
	;; [unrolled: 13-line block ×7, first 2 shown]
	v_lshl_or_b32 v1, v2, 2, v1
	ds_add_u32 v1, v12 offset:12288
	s_movk_i32 s0, 0x100
	v_cmp_gt_u32_e32 vcc, s0, v0
	s_waitcnt lgkmcnt(0)
	s_barrier
	s_and_saveexec_b64 s[0:1], vcc
	s_cbranch_execz .LBB851_225
; %bb.224:
	v_lshlrev_b32_e32 v2, 4, v0
	ds_read2_b32 v[0:1], v2 offset1:1
	ds_read2_b32 v[4:5], v2 offset0:2 offset1:3
	v_add_u32_e32 v6, 0x1000, v2
	v_add_u32_e32 v7, 0x1008, v2
	s_waitcnt lgkmcnt(1)
	v_add_u32_e32 v0, v1, v0
	s_waitcnt lgkmcnt(0)
	v_add3_u32 v0, v0, v4, v5
	global_atomic_add v3, v0, s[10:11]
	ds_read2_b32 v[0:1], v6 offset1:1
	ds_read2_b32 v[4:5], v7 offset1:1
	v_or_b32_e32 v6, 0x2000, v2
	v_or_b32_e32 v7, 0x2008, v2
	s_waitcnt lgkmcnt(1)
	v_add_u32_e32 v0, v1, v0
	s_waitcnt lgkmcnt(0)
	v_add3_u32 v0, v0, v4, v5
	global_atomic_add v3, v0, s[10:11] offset:1024
	ds_read2_b32 v[0:1], v6 offset1:1
	ds_read2_b32 v[4:5], v7 offset1:1
	v_add_u32_e32 v6, 0x3000, v2
	v_add_u32_e32 v2, 0x3008, v2
	s_waitcnt lgkmcnt(1)
	v_add_u32_e32 v0, v1, v0
	s_waitcnt lgkmcnt(0)
	v_add3_u32 v0, v0, v4, v5
	global_atomic_add v3, v0, s[10:11] offset:2048
	ds_read2_b32 v[0:1], v6 offset1:1
	ds_read2_b32 v[4:5], v2 offset1:1
	s_waitcnt lgkmcnt(1)
	v_add_u32_e32 v0, v1, v0
	s_waitcnt lgkmcnt(0)
	v_add3_u32 v0, v0, v4, v5
	global_atomic_add v3, v0, s[10:11] offset:3072
.LBB851_225:
	s_endpgm
	.section	.rodata,"a",@progbits
	.p2align	6, 0x0
	.amdhsa_kernel _ZN7rocprim17ROCPRIM_400000_NS6detail17trampoline_kernelINS0_14default_configENS1_35radix_sort_onesweep_config_selectorIilEEZNS1_34radix_sort_onesweep_global_offsetsIS3_Lb0EPiN6thrust23THRUST_200600_302600_NS10device_ptrIlEEjNS0_19identity_decomposerEEE10hipError_tT1_T2_PT3_SG_jT4_jjP12ihipStream_tbEUlT_E_NS1_11comp_targetILNS1_3genE2ELNS1_11target_archE906ELNS1_3gpuE6ELNS1_3repE0EEENS1_52radix_sort_onesweep_histogram_config_static_selectorELNS0_4arch9wavefront6targetE1EEEvSE_
		.amdhsa_group_segment_fixed_size 16384
		.amdhsa_private_segment_fixed_size 0
		.amdhsa_kernarg_size 40
		.amdhsa_user_sgpr_count 6
		.amdhsa_user_sgpr_private_segment_buffer 1
		.amdhsa_user_sgpr_dispatch_ptr 0
		.amdhsa_user_sgpr_queue_ptr 0
		.amdhsa_user_sgpr_kernarg_segment_ptr 1
		.amdhsa_user_sgpr_dispatch_id 0
		.amdhsa_user_sgpr_flat_scratch_init 0
		.amdhsa_user_sgpr_private_segment_size 0
		.amdhsa_uses_dynamic_stack 0
		.amdhsa_system_sgpr_private_segment_wavefront_offset 0
		.amdhsa_system_sgpr_workgroup_id_x 1
		.amdhsa_system_sgpr_workgroup_id_y 0
		.amdhsa_system_sgpr_workgroup_id_z 0
		.amdhsa_system_sgpr_workgroup_info 0
		.amdhsa_system_vgpr_workitem_id 0
		.amdhsa_next_free_vgpr 29
		.amdhsa_next_free_sgpr 61
		.amdhsa_reserve_vcc 1
		.amdhsa_reserve_flat_scratch 0
		.amdhsa_float_round_mode_32 0
		.amdhsa_float_round_mode_16_64 0
		.amdhsa_float_denorm_mode_32 3
		.amdhsa_float_denorm_mode_16_64 3
		.amdhsa_dx10_clamp 1
		.amdhsa_ieee_mode 1
		.amdhsa_fp16_overflow 0
		.amdhsa_exception_fp_ieee_invalid_op 0
		.amdhsa_exception_fp_denorm_src 0
		.amdhsa_exception_fp_ieee_div_zero 0
		.amdhsa_exception_fp_ieee_overflow 0
		.amdhsa_exception_fp_ieee_underflow 0
		.amdhsa_exception_fp_ieee_inexact 0
		.amdhsa_exception_int_div_zero 0
	.end_amdhsa_kernel
	.section	.text._ZN7rocprim17ROCPRIM_400000_NS6detail17trampoline_kernelINS0_14default_configENS1_35radix_sort_onesweep_config_selectorIilEEZNS1_34radix_sort_onesweep_global_offsetsIS3_Lb0EPiN6thrust23THRUST_200600_302600_NS10device_ptrIlEEjNS0_19identity_decomposerEEE10hipError_tT1_T2_PT3_SG_jT4_jjP12ihipStream_tbEUlT_E_NS1_11comp_targetILNS1_3genE2ELNS1_11target_archE906ELNS1_3gpuE6ELNS1_3repE0EEENS1_52radix_sort_onesweep_histogram_config_static_selectorELNS0_4arch9wavefront6targetE1EEEvSE_,"axG",@progbits,_ZN7rocprim17ROCPRIM_400000_NS6detail17trampoline_kernelINS0_14default_configENS1_35radix_sort_onesweep_config_selectorIilEEZNS1_34radix_sort_onesweep_global_offsetsIS3_Lb0EPiN6thrust23THRUST_200600_302600_NS10device_ptrIlEEjNS0_19identity_decomposerEEE10hipError_tT1_T2_PT3_SG_jT4_jjP12ihipStream_tbEUlT_E_NS1_11comp_targetILNS1_3genE2ELNS1_11target_archE906ELNS1_3gpuE6ELNS1_3repE0EEENS1_52radix_sort_onesweep_histogram_config_static_selectorELNS0_4arch9wavefront6targetE1EEEvSE_,comdat
.Lfunc_end851:
	.size	_ZN7rocprim17ROCPRIM_400000_NS6detail17trampoline_kernelINS0_14default_configENS1_35radix_sort_onesweep_config_selectorIilEEZNS1_34radix_sort_onesweep_global_offsetsIS3_Lb0EPiN6thrust23THRUST_200600_302600_NS10device_ptrIlEEjNS0_19identity_decomposerEEE10hipError_tT1_T2_PT3_SG_jT4_jjP12ihipStream_tbEUlT_E_NS1_11comp_targetILNS1_3genE2ELNS1_11target_archE906ELNS1_3gpuE6ELNS1_3repE0EEENS1_52radix_sort_onesweep_histogram_config_static_selectorELNS0_4arch9wavefront6targetE1EEEvSE_, .Lfunc_end851-_ZN7rocprim17ROCPRIM_400000_NS6detail17trampoline_kernelINS0_14default_configENS1_35radix_sort_onesweep_config_selectorIilEEZNS1_34radix_sort_onesweep_global_offsetsIS3_Lb0EPiN6thrust23THRUST_200600_302600_NS10device_ptrIlEEjNS0_19identity_decomposerEEE10hipError_tT1_T2_PT3_SG_jT4_jjP12ihipStream_tbEUlT_E_NS1_11comp_targetILNS1_3genE2ELNS1_11target_archE906ELNS1_3gpuE6ELNS1_3repE0EEENS1_52radix_sort_onesweep_histogram_config_static_selectorELNS0_4arch9wavefront6targetE1EEEvSE_
                                        ; -- End function
	.set _ZN7rocprim17ROCPRIM_400000_NS6detail17trampoline_kernelINS0_14default_configENS1_35radix_sort_onesweep_config_selectorIilEEZNS1_34radix_sort_onesweep_global_offsetsIS3_Lb0EPiN6thrust23THRUST_200600_302600_NS10device_ptrIlEEjNS0_19identity_decomposerEEE10hipError_tT1_T2_PT3_SG_jT4_jjP12ihipStream_tbEUlT_E_NS1_11comp_targetILNS1_3genE2ELNS1_11target_archE906ELNS1_3gpuE6ELNS1_3repE0EEENS1_52radix_sort_onesweep_histogram_config_static_selectorELNS0_4arch9wavefront6targetE1EEEvSE_.num_vgpr, 20
	.set _ZN7rocprim17ROCPRIM_400000_NS6detail17trampoline_kernelINS0_14default_configENS1_35radix_sort_onesweep_config_selectorIilEEZNS1_34radix_sort_onesweep_global_offsetsIS3_Lb0EPiN6thrust23THRUST_200600_302600_NS10device_ptrIlEEjNS0_19identity_decomposerEEE10hipError_tT1_T2_PT3_SG_jT4_jjP12ihipStream_tbEUlT_E_NS1_11comp_targetILNS1_3genE2ELNS1_11target_archE906ELNS1_3gpuE6ELNS1_3repE0EEENS1_52radix_sort_onesweep_histogram_config_static_selectorELNS0_4arch9wavefront6targetE1EEEvSE_.num_agpr, 0
	.set _ZN7rocprim17ROCPRIM_400000_NS6detail17trampoline_kernelINS0_14default_configENS1_35radix_sort_onesweep_config_selectorIilEEZNS1_34radix_sort_onesweep_global_offsetsIS3_Lb0EPiN6thrust23THRUST_200600_302600_NS10device_ptrIlEEjNS0_19identity_decomposerEEE10hipError_tT1_T2_PT3_SG_jT4_jjP12ihipStream_tbEUlT_E_NS1_11comp_targetILNS1_3genE2ELNS1_11target_archE906ELNS1_3gpuE6ELNS1_3repE0EEENS1_52radix_sort_onesweep_histogram_config_static_selectorELNS0_4arch9wavefront6targetE1EEEvSE_.numbered_sgpr, 19
	.set _ZN7rocprim17ROCPRIM_400000_NS6detail17trampoline_kernelINS0_14default_configENS1_35radix_sort_onesweep_config_selectorIilEEZNS1_34radix_sort_onesweep_global_offsetsIS3_Lb0EPiN6thrust23THRUST_200600_302600_NS10device_ptrIlEEjNS0_19identity_decomposerEEE10hipError_tT1_T2_PT3_SG_jT4_jjP12ihipStream_tbEUlT_E_NS1_11comp_targetILNS1_3genE2ELNS1_11target_archE906ELNS1_3gpuE6ELNS1_3repE0EEENS1_52radix_sort_onesweep_histogram_config_static_selectorELNS0_4arch9wavefront6targetE1EEEvSE_.num_named_barrier, 0
	.set _ZN7rocprim17ROCPRIM_400000_NS6detail17trampoline_kernelINS0_14default_configENS1_35radix_sort_onesweep_config_selectorIilEEZNS1_34radix_sort_onesweep_global_offsetsIS3_Lb0EPiN6thrust23THRUST_200600_302600_NS10device_ptrIlEEjNS0_19identity_decomposerEEE10hipError_tT1_T2_PT3_SG_jT4_jjP12ihipStream_tbEUlT_E_NS1_11comp_targetILNS1_3genE2ELNS1_11target_archE906ELNS1_3gpuE6ELNS1_3repE0EEENS1_52radix_sort_onesweep_histogram_config_static_selectorELNS0_4arch9wavefront6targetE1EEEvSE_.private_seg_size, 0
	.set _ZN7rocprim17ROCPRIM_400000_NS6detail17trampoline_kernelINS0_14default_configENS1_35radix_sort_onesweep_config_selectorIilEEZNS1_34radix_sort_onesweep_global_offsetsIS3_Lb0EPiN6thrust23THRUST_200600_302600_NS10device_ptrIlEEjNS0_19identity_decomposerEEE10hipError_tT1_T2_PT3_SG_jT4_jjP12ihipStream_tbEUlT_E_NS1_11comp_targetILNS1_3genE2ELNS1_11target_archE906ELNS1_3gpuE6ELNS1_3repE0EEENS1_52radix_sort_onesweep_histogram_config_static_selectorELNS0_4arch9wavefront6targetE1EEEvSE_.uses_vcc, 1
	.set _ZN7rocprim17ROCPRIM_400000_NS6detail17trampoline_kernelINS0_14default_configENS1_35radix_sort_onesweep_config_selectorIilEEZNS1_34radix_sort_onesweep_global_offsetsIS3_Lb0EPiN6thrust23THRUST_200600_302600_NS10device_ptrIlEEjNS0_19identity_decomposerEEE10hipError_tT1_T2_PT3_SG_jT4_jjP12ihipStream_tbEUlT_E_NS1_11comp_targetILNS1_3genE2ELNS1_11target_archE906ELNS1_3gpuE6ELNS1_3repE0EEENS1_52radix_sort_onesweep_histogram_config_static_selectorELNS0_4arch9wavefront6targetE1EEEvSE_.uses_flat_scratch, 0
	.set _ZN7rocprim17ROCPRIM_400000_NS6detail17trampoline_kernelINS0_14default_configENS1_35radix_sort_onesweep_config_selectorIilEEZNS1_34radix_sort_onesweep_global_offsetsIS3_Lb0EPiN6thrust23THRUST_200600_302600_NS10device_ptrIlEEjNS0_19identity_decomposerEEE10hipError_tT1_T2_PT3_SG_jT4_jjP12ihipStream_tbEUlT_E_NS1_11comp_targetILNS1_3genE2ELNS1_11target_archE906ELNS1_3gpuE6ELNS1_3repE0EEENS1_52radix_sort_onesweep_histogram_config_static_selectorELNS0_4arch9wavefront6targetE1EEEvSE_.has_dyn_sized_stack, 0
	.set _ZN7rocprim17ROCPRIM_400000_NS6detail17trampoline_kernelINS0_14default_configENS1_35radix_sort_onesweep_config_selectorIilEEZNS1_34radix_sort_onesweep_global_offsetsIS3_Lb0EPiN6thrust23THRUST_200600_302600_NS10device_ptrIlEEjNS0_19identity_decomposerEEE10hipError_tT1_T2_PT3_SG_jT4_jjP12ihipStream_tbEUlT_E_NS1_11comp_targetILNS1_3genE2ELNS1_11target_archE906ELNS1_3gpuE6ELNS1_3repE0EEENS1_52radix_sort_onesweep_histogram_config_static_selectorELNS0_4arch9wavefront6targetE1EEEvSE_.has_recursion, 0
	.set _ZN7rocprim17ROCPRIM_400000_NS6detail17trampoline_kernelINS0_14default_configENS1_35radix_sort_onesweep_config_selectorIilEEZNS1_34radix_sort_onesweep_global_offsetsIS3_Lb0EPiN6thrust23THRUST_200600_302600_NS10device_ptrIlEEjNS0_19identity_decomposerEEE10hipError_tT1_T2_PT3_SG_jT4_jjP12ihipStream_tbEUlT_E_NS1_11comp_targetILNS1_3genE2ELNS1_11target_archE906ELNS1_3gpuE6ELNS1_3repE0EEENS1_52radix_sort_onesweep_histogram_config_static_selectorELNS0_4arch9wavefront6targetE1EEEvSE_.has_indirect_call, 0
	.section	.AMDGPU.csdata,"",@progbits
; Kernel info:
; codeLenInByte = 7576
; TotalNumSgprs: 23
; NumVgprs: 20
; ScratchSize: 0
; MemoryBound: 0
; FloatMode: 240
; IeeeMode: 1
; LDSByteSize: 16384 bytes/workgroup (compile time only)
; SGPRBlocks: 8
; VGPRBlocks: 7
; NumSGPRsForWavesPerEU: 65
; NumVGPRsForWavesPerEU: 29
; Occupancy: 8
; WaveLimiterHint : 1
; COMPUTE_PGM_RSRC2:SCRATCH_EN: 0
; COMPUTE_PGM_RSRC2:USER_SGPR: 6
; COMPUTE_PGM_RSRC2:TRAP_HANDLER: 0
; COMPUTE_PGM_RSRC2:TGID_X_EN: 1
; COMPUTE_PGM_RSRC2:TGID_Y_EN: 0
; COMPUTE_PGM_RSRC2:TGID_Z_EN: 0
; COMPUTE_PGM_RSRC2:TIDIG_COMP_CNT: 0
	.section	.text._ZN7rocprim17ROCPRIM_400000_NS6detail17trampoline_kernelINS0_14default_configENS1_35radix_sort_onesweep_config_selectorIilEEZNS1_34radix_sort_onesweep_global_offsetsIS3_Lb0EPiN6thrust23THRUST_200600_302600_NS10device_ptrIlEEjNS0_19identity_decomposerEEE10hipError_tT1_T2_PT3_SG_jT4_jjP12ihipStream_tbEUlT_E_NS1_11comp_targetILNS1_3genE4ELNS1_11target_archE910ELNS1_3gpuE8ELNS1_3repE0EEENS1_52radix_sort_onesweep_histogram_config_static_selectorELNS0_4arch9wavefront6targetE1EEEvSE_,"axG",@progbits,_ZN7rocprim17ROCPRIM_400000_NS6detail17trampoline_kernelINS0_14default_configENS1_35radix_sort_onesweep_config_selectorIilEEZNS1_34radix_sort_onesweep_global_offsetsIS3_Lb0EPiN6thrust23THRUST_200600_302600_NS10device_ptrIlEEjNS0_19identity_decomposerEEE10hipError_tT1_T2_PT3_SG_jT4_jjP12ihipStream_tbEUlT_E_NS1_11comp_targetILNS1_3genE4ELNS1_11target_archE910ELNS1_3gpuE8ELNS1_3repE0EEENS1_52radix_sort_onesweep_histogram_config_static_selectorELNS0_4arch9wavefront6targetE1EEEvSE_,comdat
	.protected	_ZN7rocprim17ROCPRIM_400000_NS6detail17trampoline_kernelINS0_14default_configENS1_35radix_sort_onesweep_config_selectorIilEEZNS1_34radix_sort_onesweep_global_offsetsIS3_Lb0EPiN6thrust23THRUST_200600_302600_NS10device_ptrIlEEjNS0_19identity_decomposerEEE10hipError_tT1_T2_PT3_SG_jT4_jjP12ihipStream_tbEUlT_E_NS1_11comp_targetILNS1_3genE4ELNS1_11target_archE910ELNS1_3gpuE8ELNS1_3repE0EEENS1_52radix_sort_onesweep_histogram_config_static_selectorELNS0_4arch9wavefront6targetE1EEEvSE_ ; -- Begin function _ZN7rocprim17ROCPRIM_400000_NS6detail17trampoline_kernelINS0_14default_configENS1_35radix_sort_onesweep_config_selectorIilEEZNS1_34radix_sort_onesweep_global_offsetsIS3_Lb0EPiN6thrust23THRUST_200600_302600_NS10device_ptrIlEEjNS0_19identity_decomposerEEE10hipError_tT1_T2_PT3_SG_jT4_jjP12ihipStream_tbEUlT_E_NS1_11comp_targetILNS1_3genE4ELNS1_11target_archE910ELNS1_3gpuE8ELNS1_3repE0EEENS1_52radix_sort_onesweep_histogram_config_static_selectorELNS0_4arch9wavefront6targetE1EEEvSE_
	.globl	_ZN7rocprim17ROCPRIM_400000_NS6detail17trampoline_kernelINS0_14default_configENS1_35radix_sort_onesweep_config_selectorIilEEZNS1_34radix_sort_onesweep_global_offsetsIS3_Lb0EPiN6thrust23THRUST_200600_302600_NS10device_ptrIlEEjNS0_19identity_decomposerEEE10hipError_tT1_T2_PT3_SG_jT4_jjP12ihipStream_tbEUlT_E_NS1_11comp_targetILNS1_3genE4ELNS1_11target_archE910ELNS1_3gpuE8ELNS1_3repE0EEENS1_52radix_sort_onesweep_histogram_config_static_selectorELNS0_4arch9wavefront6targetE1EEEvSE_
	.p2align	8
	.type	_ZN7rocprim17ROCPRIM_400000_NS6detail17trampoline_kernelINS0_14default_configENS1_35radix_sort_onesweep_config_selectorIilEEZNS1_34radix_sort_onesweep_global_offsetsIS3_Lb0EPiN6thrust23THRUST_200600_302600_NS10device_ptrIlEEjNS0_19identity_decomposerEEE10hipError_tT1_T2_PT3_SG_jT4_jjP12ihipStream_tbEUlT_E_NS1_11comp_targetILNS1_3genE4ELNS1_11target_archE910ELNS1_3gpuE8ELNS1_3repE0EEENS1_52radix_sort_onesweep_histogram_config_static_selectorELNS0_4arch9wavefront6targetE1EEEvSE_,@function
_ZN7rocprim17ROCPRIM_400000_NS6detail17trampoline_kernelINS0_14default_configENS1_35radix_sort_onesweep_config_selectorIilEEZNS1_34radix_sort_onesweep_global_offsetsIS3_Lb0EPiN6thrust23THRUST_200600_302600_NS10device_ptrIlEEjNS0_19identity_decomposerEEE10hipError_tT1_T2_PT3_SG_jT4_jjP12ihipStream_tbEUlT_E_NS1_11comp_targetILNS1_3genE4ELNS1_11target_archE910ELNS1_3gpuE8ELNS1_3repE0EEENS1_52radix_sort_onesweep_histogram_config_static_selectorELNS0_4arch9wavefront6targetE1EEEvSE_: ; @_ZN7rocprim17ROCPRIM_400000_NS6detail17trampoline_kernelINS0_14default_configENS1_35radix_sort_onesweep_config_selectorIilEEZNS1_34radix_sort_onesweep_global_offsetsIS3_Lb0EPiN6thrust23THRUST_200600_302600_NS10device_ptrIlEEjNS0_19identity_decomposerEEE10hipError_tT1_T2_PT3_SG_jT4_jjP12ihipStream_tbEUlT_E_NS1_11comp_targetILNS1_3genE4ELNS1_11target_archE910ELNS1_3gpuE8ELNS1_3repE0EEENS1_52radix_sort_onesweep_histogram_config_static_selectorELNS0_4arch9wavefront6targetE1EEEvSE_
; %bb.0:
	.section	.rodata,"a",@progbits
	.p2align	6, 0x0
	.amdhsa_kernel _ZN7rocprim17ROCPRIM_400000_NS6detail17trampoline_kernelINS0_14default_configENS1_35radix_sort_onesweep_config_selectorIilEEZNS1_34radix_sort_onesweep_global_offsetsIS3_Lb0EPiN6thrust23THRUST_200600_302600_NS10device_ptrIlEEjNS0_19identity_decomposerEEE10hipError_tT1_T2_PT3_SG_jT4_jjP12ihipStream_tbEUlT_E_NS1_11comp_targetILNS1_3genE4ELNS1_11target_archE910ELNS1_3gpuE8ELNS1_3repE0EEENS1_52radix_sort_onesweep_histogram_config_static_selectorELNS0_4arch9wavefront6targetE1EEEvSE_
		.amdhsa_group_segment_fixed_size 0
		.amdhsa_private_segment_fixed_size 0
		.amdhsa_kernarg_size 40
		.amdhsa_user_sgpr_count 6
		.amdhsa_user_sgpr_private_segment_buffer 1
		.amdhsa_user_sgpr_dispatch_ptr 0
		.amdhsa_user_sgpr_queue_ptr 0
		.amdhsa_user_sgpr_kernarg_segment_ptr 1
		.amdhsa_user_sgpr_dispatch_id 0
		.amdhsa_user_sgpr_flat_scratch_init 0
		.amdhsa_user_sgpr_private_segment_size 0
		.amdhsa_uses_dynamic_stack 0
		.amdhsa_system_sgpr_private_segment_wavefront_offset 0
		.amdhsa_system_sgpr_workgroup_id_x 1
		.amdhsa_system_sgpr_workgroup_id_y 0
		.amdhsa_system_sgpr_workgroup_id_z 0
		.amdhsa_system_sgpr_workgroup_info 0
		.amdhsa_system_vgpr_workitem_id 0
		.amdhsa_next_free_vgpr 1
		.amdhsa_next_free_sgpr 0
		.amdhsa_reserve_vcc 0
		.amdhsa_reserve_flat_scratch 0
		.amdhsa_float_round_mode_32 0
		.amdhsa_float_round_mode_16_64 0
		.amdhsa_float_denorm_mode_32 3
		.amdhsa_float_denorm_mode_16_64 3
		.amdhsa_dx10_clamp 1
		.amdhsa_ieee_mode 1
		.amdhsa_fp16_overflow 0
		.amdhsa_exception_fp_ieee_invalid_op 0
		.amdhsa_exception_fp_denorm_src 0
		.amdhsa_exception_fp_ieee_div_zero 0
		.amdhsa_exception_fp_ieee_overflow 0
		.amdhsa_exception_fp_ieee_underflow 0
		.amdhsa_exception_fp_ieee_inexact 0
		.amdhsa_exception_int_div_zero 0
	.end_amdhsa_kernel
	.section	.text._ZN7rocprim17ROCPRIM_400000_NS6detail17trampoline_kernelINS0_14default_configENS1_35radix_sort_onesweep_config_selectorIilEEZNS1_34radix_sort_onesweep_global_offsetsIS3_Lb0EPiN6thrust23THRUST_200600_302600_NS10device_ptrIlEEjNS0_19identity_decomposerEEE10hipError_tT1_T2_PT3_SG_jT4_jjP12ihipStream_tbEUlT_E_NS1_11comp_targetILNS1_3genE4ELNS1_11target_archE910ELNS1_3gpuE8ELNS1_3repE0EEENS1_52radix_sort_onesweep_histogram_config_static_selectorELNS0_4arch9wavefront6targetE1EEEvSE_,"axG",@progbits,_ZN7rocprim17ROCPRIM_400000_NS6detail17trampoline_kernelINS0_14default_configENS1_35radix_sort_onesweep_config_selectorIilEEZNS1_34radix_sort_onesweep_global_offsetsIS3_Lb0EPiN6thrust23THRUST_200600_302600_NS10device_ptrIlEEjNS0_19identity_decomposerEEE10hipError_tT1_T2_PT3_SG_jT4_jjP12ihipStream_tbEUlT_E_NS1_11comp_targetILNS1_3genE4ELNS1_11target_archE910ELNS1_3gpuE8ELNS1_3repE0EEENS1_52radix_sort_onesweep_histogram_config_static_selectorELNS0_4arch9wavefront6targetE1EEEvSE_,comdat
.Lfunc_end852:
	.size	_ZN7rocprim17ROCPRIM_400000_NS6detail17trampoline_kernelINS0_14default_configENS1_35radix_sort_onesweep_config_selectorIilEEZNS1_34radix_sort_onesweep_global_offsetsIS3_Lb0EPiN6thrust23THRUST_200600_302600_NS10device_ptrIlEEjNS0_19identity_decomposerEEE10hipError_tT1_T2_PT3_SG_jT4_jjP12ihipStream_tbEUlT_E_NS1_11comp_targetILNS1_3genE4ELNS1_11target_archE910ELNS1_3gpuE8ELNS1_3repE0EEENS1_52radix_sort_onesweep_histogram_config_static_selectorELNS0_4arch9wavefront6targetE1EEEvSE_, .Lfunc_end852-_ZN7rocprim17ROCPRIM_400000_NS6detail17trampoline_kernelINS0_14default_configENS1_35radix_sort_onesweep_config_selectorIilEEZNS1_34radix_sort_onesweep_global_offsetsIS3_Lb0EPiN6thrust23THRUST_200600_302600_NS10device_ptrIlEEjNS0_19identity_decomposerEEE10hipError_tT1_T2_PT3_SG_jT4_jjP12ihipStream_tbEUlT_E_NS1_11comp_targetILNS1_3genE4ELNS1_11target_archE910ELNS1_3gpuE8ELNS1_3repE0EEENS1_52radix_sort_onesweep_histogram_config_static_selectorELNS0_4arch9wavefront6targetE1EEEvSE_
                                        ; -- End function
	.set _ZN7rocprim17ROCPRIM_400000_NS6detail17trampoline_kernelINS0_14default_configENS1_35radix_sort_onesweep_config_selectorIilEEZNS1_34radix_sort_onesweep_global_offsetsIS3_Lb0EPiN6thrust23THRUST_200600_302600_NS10device_ptrIlEEjNS0_19identity_decomposerEEE10hipError_tT1_T2_PT3_SG_jT4_jjP12ihipStream_tbEUlT_E_NS1_11comp_targetILNS1_3genE4ELNS1_11target_archE910ELNS1_3gpuE8ELNS1_3repE0EEENS1_52radix_sort_onesweep_histogram_config_static_selectorELNS0_4arch9wavefront6targetE1EEEvSE_.num_vgpr, 0
	.set _ZN7rocprim17ROCPRIM_400000_NS6detail17trampoline_kernelINS0_14default_configENS1_35radix_sort_onesweep_config_selectorIilEEZNS1_34radix_sort_onesweep_global_offsetsIS3_Lb0EPiN6thrust23THRUST_200600_302600_NS10device_ptrIlEEjNS0_19identity_decomposerEEE10hipError_tT1_T2_PT3_SG_jT4_jjP12ihipStream_tbEUlT_E_NS1_11comp_targetILNS1_3genE4ELNS1_11target_archE910ELNS1_3gpuE8ELNS1_3repE0EEENS1_52radix_sort_onesweep_histogram_config_static_selectorELNS0_4arch9wavefront6targetE1EEEvSE_.num_agpr, 0
	.set _ZN7rocprim17ROCPRIM_400000_NS6detail17trampoline_kernelINS0_14default_configENS1_35radix_sort_onesweep_config_selectorIilEEZNS1_34radix_sort_onesweep_global_offsetsIS3_Lb0EPiN6thrust23THRUST_200600_302600_NS10device_ptrIlEEjNS0_19identity_decomposerEEE10hipError_tT1_T2_PT3_SG_jT4_jjP12ihipStream_tbEUlT_E_NS1_11comp_targetILNS1_3genE4ELNS1_11target_archE910ELNS1_3gpuE8ELNS1_3repE0EEENS1_52radix_sort_onesweep_histogram_config_static_selectorELNS0_4arch9wavefront6targetE1EEEvSE_.numbered_sgpr, 0
	.set _ZN7rocprim17ROCPRIM_400000_NS6detail17trampoline_kernelINS0_14default_configENS1_35radix_sort_onesweep_config_selectorIilEEZNS1_34radix_sort_onesweep_global_offsetsIS3_Lb0EPiN6thrust23THRUST_200600_302600_NS10device_ptrIlEEjNS0_19identity_decomposerEEE10hipError_tT1_T2_PT3_SG_jT4_jjP12ihipStream_tbEUlT_E_NS1_11comp_targetILNS1_3genE4ELNS1_11target_archE910ELNS1_3gpuE8ELNS1_3repE0EEENS1_52radix_sort_onesweep_histogram_config_static_selectorELNS0_4arch9wavefront6targetE1EEEvSE_.num_named_barrier, 0
	.set _ZN7rocprim17ROCPRIM_400000_NS6detail17trampoline_kernelINS0_14default_configENS1_35radix_sort_onesweep_config_selectorIilEEZNS1_34radix_sort_onesweep_global_offsetsIS3_Lb0EPiN6thrust23THRUST_200600_302600_NS10device_ptrIlEEjNS0_19identity_decomposerEEE10hipError_tT1_T2_PT3_SG_jT4_jjP12ihipStream_tbEUlT_E_NS1_11comp_targetILNS1_3genE4ELNS1_11target_archE910ELNS1_3gpuE8ELNS1_3repE0EEENS1_52radix_sort_onesweep_histogram_config_static_selectorELNS0_4arch9wavefront6targetE1EEEvSE_.private_seg_size, 0
	.set _ZN7rocprim17ROCPRIM_400000_NS6detail17trampoline_kernelINS0_14default_configENS1_35radix_sort_onesweep_config_selectorIilEEZNS1_34radix_sort_onesweep_global_offsetsIS3_Lb0EPiN6thrust23THRUST_200600_302600_NS10device_ptrIlEEjNS0_19identity_decomposerEEE10hipError_tT1_T2_PT3_SG_jT4_jjP12ihipStream_tbEUlT_E_NS1_11comp_targetILNS1_3genE4ELNS1_11target_archE910ELNS1_3gpuE8ELNS1_3repE0EEENS1_52radix_sort_onesweep_histogram_config_static_selectorELNS0_4arch9wavefront6targetE1EEEvSE_.uses_vcc, 0
	.set _ZN7rocprim17ROCPRIM_400000_NS6detail17trampoline_kernelINS0_14default_configENS1_35radix_sort_onesweep_config_selectorIilEEZNS1_34radix_sort_onesweep_global_offsetsIS3_Lb0EPiN6thrust23THRUST_200600_302600_NS10device_ptrIlEEjNS0_19identity_decomposerEEE10hipError_tT1_T2_PT3_SG_jT4_jjP12ihipStream_tbEUlT_E_NS1_11comp_targetILNS1_3genE4ELNS1_11target_archE910ELNS1_3gpuE8ELNS1_3repE0EEENS1_52radix_sort_onesweep_histogram_config_static_selectorELNS0_4arch9wavefront6targetE1EEEvSE_.uses_flat_scratch, 0
	.set _ZN7rocprim17ROCPRIM_400000_NS6detail17trampoline_kernelINS0_14default_configENS1_35radix_sort_onesweep_config_selectorIilEEZNS1_34radix_sort_onesweep_global_offsetsIS3_Lb0EPiN6thrust23THRUST_200600_302600_NS10device_ptrIlEEjNS0_19identity_decomposerEEE10hipError_tT1_T2_PT3_SG_jT4_jjP12ihipStream_tbEUlT_E_NS1_11comp_targetILNS1_3genE4ELNS1_11target_archE910ELNS1_3gpuE8ELNS1_3repE0EEENS1_52radix_sort_onesweep_histogram_config_static_selectorELNS0_4arch9wavefront6targetE1EEEvSE_.has_dyn_sized_stack, 0
	.set _ZN7rocprim17ROCPRIM_400000_NS6detail17trampoline_kernelINS0_14default_configENS1_35radix_sort_onesweep_config_selectorIilEEZNS1_34radix_sort_onesweep_global_offsetsIS3_Lb0EPiN6thrust23THRUST_200600_302600_NS10device_ptrIlEEjNS0_19identity_decomposerEEE10hipError_tT1_T2_PT3_SG_jT4_jjP12ihipStream_tbEUlT_E_NS1_11comp_targetILNS1_3genE4ELNS1_11target_archE910ELNS1_3gpuE8ELNS1_3repE0EEENS1_52radix_sort_onesweep_histogram_config_static_selectorELNS0_4arch9wavefront6targetE1EEEvSE_.has_recursion, 0
	.set _ZN7rocprim17ROCPRIM_400000_NS6detail17trampoline_kernelINS0_14default_configENS1_35radix_sort_onesweep_config_selectorIilEEZNS1_34radix_sort_onesweep_global_offsetsIS3_Lb0EPiN6thrust23THRUST_200600_302600_NS10device_ptrIlEEjNS0_19identity_decomposerEEE10hipError_tT1_T2_PT3_SG_jT4_jjP12ihipStream_tbEUlT_E_NS1_11comp_targetILNS1_3genE4ELNS1_11target_archE910ELNS1_3gpuE8ELNS1_3repE0EEENS1_52radix_sort_onesweep_histogram_config_static_selectorELNS0_4arch9wavefront6targetE1EEEvSE_.has_indirect_call, 0
	.section	.AMDGPU.csdata,"",@progbits
; Kernel info:
; codeLenInByte = 0
; TotalNumSgprs: 4
; NumVgprs: 0
; ScratchSize: 0
; MemoryBound: 0
; FloatMode: 240
; IeeeMode: 1
; LDSByteSize: 0 bytes/workgroup (compile time only)
; SGPRBlocks: 0
; VGPRBlocks: 0
; NumSGPRsForWavesPerEU: 4
; NumVGPRsForWavesPerEU: 1
; Occupancy: 10
; WaveLimiterHint : 0
; COMPUTE_PGM_RSRC2:SCRATCH_EN: 0
; COMPUTE_PGM_RSRC2:USER_SGPR: 6
; COMPUTE_PGM_RSRC2:TRAP_HANDLER: 0
; COMPUTE_PGM_RSRC2:TGID_X_EN: 1
; COMPUTE_PGM_RSRC2:TGID_Y_EN: 0
; COMPUTE_PGM_RSRC2:TGID_Z_EN: 0
; COMPUTE_PGM_RSRC2:TIDIG_COMP_CNT: 0
	.section	.text._ZN7rocprim17ROCPRIM_400000_NS6detail17trampoline_kernelINS0_14default_configENS1_35radix_sort_onesweep_config_selectorIilEEZNS1_34radix_sort_onesweep_global_offsetsIS3_Lb0EPiN6thrust23THRUST_200600_302600_NS10device_ptrIlEEjNS0_19identity_decomposerEEE10hipError_tT1_T2_PT3_SG_jT4_jjP12ihipStream_tbEUlT_E_NS1_11comp_targetILNS1_3genE3ELNS1_11target_archE908ELNS1_3gpuE7ELNS1_3repE0EEENS1_52radix_sort_onesweep_histogram_config_static_selectorELNS0_4arch9wavefront6targetE1EEEvSE_,"axG",@progbits,_ZN7rocprim17ROCPRIM_400000_NS6detail17trampoline_kernelINS0_14default_configENS1_35radix_sort_onesweep_config_selectorIilEEZNS1_34radix_sort_onesweep_global_offsetsIS3_Lb0EPiN6thrust23THRUST_200600_302600_NS10device_ptrIlEEjNS0_19identity_decomposerEEE10hipError_tT1_T2_PT3_SG_jT4_jjP12ihipStream_tbEUlT_E_NS1_11comp_targetILNS1_3genE3ELNS1_11target_archE908ELNS1_3gpuE7ELNS1_3repE0EEENS1_52radix_sort_onesweep_histogram_config_static_selectorELNS0_4arch9wavefront6targetE1EEEvSE_,comdat
	.protected	_ZN7rocprim17ROCPRIM_400000_NS6detail17trampoline_kernelINS0_14default_configENS1_35radix_sort_onesweep_config_selectorIilEEZNS1_34radix_sort_onesweep_global_offsetsIS3_Lb0EPiN6thrust23THRUST_200600_302600_NS10device_ptrIlEEjNS0_19identity_decomposerEEE10hipError_tT1_T2_PT3_SG_jT4_jjP12ihipStream_tbEUlT_E_NS1_11comp_targetILNS1_3genE3ELNS1_11target_archE908ELNS1_3gpuE7ELNS1_3repE0EEENS1_52radix_sort_onesweep_histogram_config_static_selectorELNS0_4arch9wavefront6targetE1EEEvSE_ ; -- Begin function _ZN7rocprim17ROCPRIM_400000_NS6detail17trampoline_kernelINS0_14default_configENS1_35radix_sort_onesweep_config_selectorIilEEZNS1_34radix_sort_onesweep_global_offsetsIS3_Lb0EPiN6thrust23THRUST_200600_302600_NS10device_ptrIlEEjNS0_19identity_decomposerEEE10hipError_tT1_T2_PT3_SG_jT4_jjP12ihipStream_tbEUlT_E_NS1_11comp_targetILNS1_3genE3ELNS1_11target_archE908ELNS1_3gpuE7ELNS1_3repE0EEENS1_52radix_sort_onesweep_histogram_config_static_selectorELNS0_4arch9wavefront6targetE1EEEvSE_
	.globl	_ZN7rocprim17ROCPRIM_400000_NS6detail17trampoline_kernelINS0_14default_configENS1_35radix_sort_onesweep_config_selectorIilEEZNS1_34radix_sort_onesweep_global_offsetsIS3_Lb0EPiN6thrust23THRUST_200600_302600_NS10device_ptrIlEEjNS0_19identity_decomposerEEE10hipError_tT1_T2_PT3_SG_jT4_jjP12ihipStream_tbEUlT_E_NS1_11comp_targetILNS1_3genE3ELNS1_11target_archE908ELNS1_3gpuE7ELNS1_3repE0EEENS1_52radix_sort_onesweep_histogram_config_static_selectorELNS0_4arch9wavefront6targetE1EEEvSE_
	.p2align	8
	.type	_ZN7rocprim17ROCPRIM_400000_NS6detail17trampoline_kernelINS0_14default_configENS1_35radix_sort_onesweep_config_selectorIilEEZNS1_34radix_sort_onesweep_global_offsetsIS3_Lb0EPiN6thrust23THRUST_200600_302600_NS10device_ptrIlEEjNS0_19identity_decomposerEEE10hipError_tT1_T2_PT3_SG_jT4_jjP12ihipStream_tbEUlT_E_NS1_11comp_targetILNS1_3genE3ELNS1_11target_archE908ELNS1_3gpuE7ELNS1_3repE0EEENS1_52radix_sort_onesweep_histogram_config_static_selectorELNS0_4arch9wavefront6targetE1EEEvSE_,@function
_ZN7rocprim17ROCPRIM_400000_NS6detail17trampoline_kernelINS0_14default_configENS1_35radix_sort_onesweep_config_selectorIilEEZNS1_34radix_sort_onesweep_global_offsetsIS3_Lb0EPiN6thrust23THRUST_200600_302600_NS10device_ptrIlEEjNS0_19identity_decomposerEEE10hipError_tT1_T2_PT3_SG_jT4_jjP12ihipStream_tbEUlT_E_NS1_11comp_targetILNS1_3genE3ELNS1_11target_archE908ELNS1_3gpuE7ELNS1_3repE0EEENS1_52radix_sort_onesweep_histogram_config_static_selectorELNS0_4arch9wavefront6targetE1EEEvSE_: ; @_ZN7rocprim17ROCPRIM_400000_NS6detail17trampoline_kernelINS0_14default_configENS1_35radix_sort_onesweep_config_selectorIilEEZNS1_34radix_sort_onesweep_global_offsetsIS3_Lb0EPiN6thrust23THRUST_200600_302600_NS10device_ptrIlEEjNS0_19identity_decomposerEEE10hipError_tT1_T2_PT3_SG_jT4_jjP12ihipStream_tbEUlT_E_NS1_11comp_targetILNS1_3genE3ELNS1_11target_archE908ELNS1_3gpuE7ELNS1_3repE0EEENS1_52radix_sort_onesweep_histogram_config_static_selectorELNS0_4arch9wavefront6targetE1EEEvSE_
; %bb.0:
	.section	.rodata,"a",@progbits
	.p2align	6, 0x0
	.amdhsa_kernel _ZN7rocprim17ROCPRIM_400000_NS6detail17trampoline_kernelINS0_14default_configENS1_35radix_sort_onesweep_config_selectorIilEEZNS1_34radix_sort_onesweep_global_offsetsIS3_Lb0EPiN6thrust23THRUST_200600_302600_NS10device_ptrIlEEjNS0_19identity_decomposerEEE10hipError_tT1_T2_PT3_SG_jT4_jjP12ihipStream_tbEUlT_E_NS1_11comp_targetILNS1_3genE3ELNS1_11target_archE908ELNS1_3gpuE7ELNS1_3repE0EEENS1_52radix_sort_onesweep_histogram_config_static_selectorELNS0_4arch9wavefront6targetE1EEEvSE_
		.amdhsa_group_segment_fixed_size 0
		.amdhsa_private_segment_fixed_size 0
		.amdhsa_kernarg_size 40
		.amdhsa_user_sgpr_count 6
		.amdhsa_user_sgpr_private_segment_buffer 1
		.amdhsa_user_sgpr_dispatch_ptr 0
		.amdhsa_user_sgpr_queue_ptr 0
		.amdhsa_user_sgpr_kernarg_segment_ptr 1
		.amdhsa_user_sgpr_dispatch_id 0
		.amdhsa_user_sgpr_flat_scratch_init 0
		.amdhsa_user_sgpr_private_segment_size 0
		.amdhsa_uses_dynamic_stack 0
		.amdhsa_system_sgpr_private_segment_wavefront_offset 0
		.amdhsa_system_sgpr_workgroup_id_x 1
		.amdhsa_system_sgpr_workgroup_id_y 0
		.amdhsa_system_sgpr_workgroup_id_z 0
		.amdhsa_system_sgpr_workgroup_info 0
		.amdhsa_system_vgpr_workitem_id 0
		.amdhsa_next_free_vgpr 1
		.amdhsa_next_free_sgpr 0
		.amdhsa_reserve_vcc 0
		.amdhsa_reserve_flat_scratch 0
		.amdhsa_float_round_mode_32 0
		.amdhsa_float_round_mode_16_64 0
		.amdhsa_float_denorm_mode_32 3
		.amdhsa_float_denorm_mode_16_64 3
		.amdhsa_dx10_clamp 1
		.amdhsa_ieee_mode 1
		.amdhsa_fp16_overflow 0
		.amdhsa_exception_fp_ieee_invalid_op 0
		.amdhsa_exception_fp_denorm_src 0
		.amdhsa_exception_fp_ieee_div_zero 0
		.amdhsa_exception_fp_ieee_overflow 0
		.amdhsa_exception_fp_ieee_underflow 0
		.amdhsa_exception_fp_ieee_inexact 0
		.amdhsa_exception_int_div_zero 0
	.end_amdhsa_kernel
	.section	.text._ZN7rocprim17ROCPRIM_400000_NS6detail17trampoline_kernelINS0_14default_configENS1_35radix_sort_onesweep_config_selectorIilEEZNS1_34radix_sort_onesweep_global_offsetsIS3_Lb0EPiN6thrust23THRUST_200600_302600_NS10device_ptrIlEEjNS0_19identity_decomposerEEE10hipError_tT1_T2_PT3_SG_jT4_jjP12ihipStream_tbEUlT_E_NS1_11comp_targetILNS1_3genE3ELNS1_11target_archE908ELNS1_3gpuE7ELNS1_3repE0EEENS1_52radix_sort_onesweep_histogram_config_static_selectorELNS0_4arch9wavefront6targetE1EEEvSE_,"axG",@progbits,_ZN7rocprim17ROCPRIM_400000_NS6detail17trampoline_kernelINS0_14default_configENS1_35radix_sort_onesweep_config_selectorIilEEZNS1_34radix_sort_onesweep_global_offsetsIS3_Lb0EPiN6thrust23THRUST_200600_302600_NS10device_ptrIlEEjNS0_19identity_decomposerEEE10hipError_tT1_T2_PT3_SG_jT4_jjP12ihipStream_tbEUlT_E_NS1_11comp_targetILNS1_3genE3ELNS1_11target_archE908ELNS1_3gpuE7ELNS1_3repE0EEENS1_52radix_sort_onesweep_histogram_config_static_selectorELNS0_4arch9wavefront6targetE1EEEvSE_,comdat
.Lfunc_end853:
	.size	_ZN7rocprim17ROCPRIM_400000_NS6detail17trampoline_kernelINS0_14default_configENS1_35radix_sort_onesweep_config_selectorIilEEZNS1_34radix_sort_onesweep_global_offsetsIS3_Lb0EPiN6thrust23THRUST_200600_302600_NS10device_ptrIlEEjNS0_19identity_decomposerEEE10hipError_tT1_T2_PT3_SG_jT4_jjP12ihipStream_tbEUlT_E_NS1_11comp_targetILNS1_3genE3ELNS1_11target_archE908ELNS1_3gpuE7ELNS1_3repE0EEENS1_52radix_sort_onesweep_histogram_config_static_selectorELNS0_4arch9wavefront6targetE1EEEvSE_, .Lfunc_end853-_ZN7rocprim17ROCPRIM_400000_NS6detail17trampoline_kernelINS0_14default_configENS1_35radix_sort_onesweep_config_selectorIilEEZNS1_34radix_sort_onesweep_global_offsetsIS3_Lb0EPiN6thrust23THRUST_200600_302600_NS10device_ptrIlEEjNS0_19identity_decomposerEEE10hipError_tT1_T2_PT3_SG_jT4_jjP12ihipStream_tbEUlT_E_NS1_11comp_targetILNS1_3genE3ELNS1_11target_archE908ELNS1_3gpuE7ELNS1_3repE0EEENS1_52radix_sort_onesweep_histogram_config_static_selectorELNS0_4arch9wavefront6targetE1EEEvSE_
                                        ; -- End function
	.set _ZN7rocprim17ROCPRIM_400000_NS6detail17trampoline_kernelINS0_14default_configENS1_35radix_sort_onesweep_config_selectorIilEEZNS1_34radix_sort_onesweep_global_offsetsIS3_Lb0EPiN6thrust23THRUST_200600_302600_NS10device_ptrIlEEjNS0_19identity_decomposerEEE10hipError_tT1_T2_PT3_SG_jT4_jjP12ihipStream_tbEUlT_E_NS1_11comp_targetILNS1_3genE3ELNS1_11target_archE908ELNS1_3gpuE7ELNS1_3repE0EEENS1_52radix_sort_onesweep_histogram_config_static_selectorELNS0_4arch9wavefront6targetE1EEEvSE_.num_vgpr, 0
	.set _ZN7rocprim17ROCPRIM_400000_NS6detail17trampoline_kernelINS0_14default_configENS1_35radix_sort_onesweep_config_selectorIilEEZNS1_34radix_sort_onesweep_global_offsetsIS3_Lb0EPiN6thrust23THRUST_200600_302600_NS10device_ptrIlEEjNS0_19identity_decomposerEEE10hipError_tT1_T2_PT3_SG_jT4_jjP12ihipStream_tbEUlT_E_NS1_11comp_targetILNS1_3genE3ELNS1_11target_archE908ELNS1_3gpuE7ELNS1_3repE0EEENS1_52radix_sort_onesweep_histogram_config_static_selectorELNS0_4arch9wavefront6targetE1EEEvSE_.num_agpr, 0
	.set _ZN7rocprim17ROCPRIM_400000_NS6detail17trampoline_kernelINS0_14default_configENS1_35radix_sort_onesweep_config_selectorIilEEZNS1_34radix_sort_onesweep_global_offsetsIS3_Lb0EPiN6thrust23THRUST_200600_302600_NS10device_ptrIlEEjNS0_19identity_decomposerEEE10hipError_tT1_T2_PT3_SG_jT4_jjP12ihipStream_tbEUlT_E_NS1_11comp_targetILNS1_3genE3ELNS1_11target_archE908ELNS1_3gpuE7ELNS1_3repE0EEENS1_52radix_sort_onesweep_histogram_config_static_selectorELNS0_4arch9wavefront6targetE1EEEvSE_.numbered_sgpr, 0
	.set _ZN7rocprim17ROCPRIM_400000_NS6detail17trampoline_kernelINS0_14default_configENS1_35radix_sort_onesweep_config_selectorIilEEZNS1_34radix_sort_onesweep_global_offsetsIS3_Lb0EPiN6thrust23THRUST_200600_302600_NS10device_ptrIlEEjNS0_19identity_decomposerEEE10hipError_tT1_T2_PT3_SG_jT4_jjP12ihipStream_tbEUlT_E_NS1_11comp_targetILNS1_3genE3ELNS1_11target_archE908ELNS1_3gpuE7ELNS1_3repE0EEENS1_52radix_sort_onesweep_histogram_config_static_selectorELNS0_4arch9wavefront6targetE1EEEvSE_.num_named_barrier, 0
	.set _ZN7rocprim17ROCPRIM_400000_NS6detail17trampoline_kernelINS0_14default_configENS1_35radix_sort_onesweep_config_selectorIilEEZNS1_34radix_sort_onesweep_global_offsetsIS3_Lb0EPiN6thrust23THRUST_200600_302600_NS10device_ptrIlEEjNS0_19identity_decomposerEEE10hipError_tT1_T2_PT3_SG_jT4_jjP12ihipStream_tbEUlT_E_NS1_11comp_targetILNS1_3genE3ELNS1_11target_archE908ELNS1_3gpuE7ELNS1_3repE0EEENS1_52radix_sort_onesweep_histogram_config_static_selectorELNS0_4arch9wavefront6targetE1EEEvSE_.private_seg_size, 0
	.set _ZN7rocprim17ROCPRIM_400000_NS6detail17trampoline_kernelINS0_14default_configENS1_35radix_sort_onesweep_config_selectorIilEEZNS1_34radix_sort_onesweep_global_offsetsIS3_Lb0EPiN6thrust23THRUST_200600_302600_NS10device_ptrIlEEjNS0_19identity_decomposerEEE10hipError_tT1_T2_PT3_SG_jT4_jjP12ihipStream_tbEUlT_E_NS1_11comp_targetILNS1_3genE3ELNS1_11target_archE908ELNS1_3gpuE7ELNS1_3repE0EEENS1_52radix_sort_onesweep_histogram_config_static_selectorELNS0_4arch9wavefront6targetE1EEEvSE_.uses_vcc, 0
	.set _ZN7rocprim17ROCPRIM_400000_NS6detail17trampoline_kernelINS0_14default_configENS1_35radix_sort_onesweep_config_selectorIilEEZNS1_34radix_sort_onesweep_global_offsetsIS3_Lb0EPiN6thrust23THRUST_200600_302600_NS10device_ptrIlEEjNS0_19identity_decomposerEEE10hipError_tT1_T2_PT3_SG_jT4_jjP12ihipStream_tbEUlT_E_NS1_11comp_targetILNS1_3genE3ELNS1_11target_archE908ELNS1_3gpuE7ELNS1_3repE0EEENS1_52radix_sort_onesweep_histogram_config_static_selectorELNS0_4arch9wavefront6targetE1EEEvSE_.uses_flat_scratch, 0
	.set _ZN7rocprim17ROCPRIM_400000_NS6detail17trampoline_kernelINS0_14default_configENS1_35radix_sort_onesweep_config_selectorIilEEZNS1_34radix_sort_onesweep_global_offsetsIS3_Lb0EPiN6thrust23THRUST_200600_302600_NS10device_ptrIlEEjNS0_19identity_decomposerEEE10hipError_tT1_T2_PT3_SG_jT4_jjP12ihipStream_tbEUlT_E_NS1_11comp_targetILNS1_3genE3ELNS1_11target_archE908ELNS1_3gpuE7ELNS1_3repE0EEENS1_52radix_sort_onesweep_histogram_config_static_selectorELNS0_4arch9wavefront6targetE1EEEvSE_.has_dyn_sized_stack, 0
	.set _ZN7rocprim17ROCPRIM_400000_NS6detail17trampoline_kernelINS0_14default_configENS1_35radix_sort_onesweep_config_selectorIilEEZNS1_34radix_sort_onesweep_global_offsetsIS3_Lb0EPiN6thrust23THRUST_200600_302600_NS10device_ptrIlEEjNS0_19identity_decomposerEEE10hipError_tT1_T2_PT3_SG_jT4_jjP12ihipStream_tbEUlT_E_NS1_11comp_targetILNS1_3genE3ELNS1_11target_archE908ELNS1_3gpuE7ELNS1_3repE0EEENS1_52radix_sort_onesweep_histogram_config_static_selectorELNS0_4arch9wavefront6targetE1EEEvSE_.has_recursion, 0
	.set _ZN7rocprim17ROCPRIM_400000_NS6detail17trampoline_kernelINS0_14default_configENS1_35radix_sort_onesweep_config_selectorIilEEZNS1_34radix_sort_onesweep_global_offsetsIS3_Lb0EPiN6thrust23THRUST_200600_302600_NS10device_ptrIlEEjNS0_19identity_decomposerEEE10hipError_tT1_T2_PT3_SG_jT4_jjP12ihipStream_tbEUlT_E_NS1_11comp_targetILNS1_3genE3ELNS1_11target_archE908ELNS1_3gpuE7ELNS1_3repE0EEENS1_52radix_sort_onesweep_histogram_config_static_selectorELNS0_4arch9wavefront6targetE1EEEvSE_.has_indirect_call, 0
	.section	.AMDGPU.csdata,"",@progbits
; Kernel info:
; codeLenInByte = 0
; TotalNumSgprs: 4
; NumVgprs: 0
; ScratchSize: 0
; MemoryBound: 0
; FloatMode: 240
; IeeeMode: 1
; LDSByteSize: 0 bytes/workgroup (compile time only)
; SGPRBlocks: 0
; VGPRBlocks: 0
; NumSGPRsForWavesPerEU: 4
; NumVGPRsForWavesPerEU: 1
; Occupancy: 10
; WaveLimiterHint : 0
; COMPUTE_PGM_RSRC2:SCRATCH_EN: 0
; COMPUTE_PGM_RSRC2:USER_SGPR: 6
; COMPUTE_PGM_RSRC2:TRAP_HANDLER: 0
; COMPUTE_PGM_RSRC2:TGID_X_EN: 1
; COMPUTE_PGM_RSRC2:TGID_Y_EN: 0
; COMPUTE_PGM_RSRC2:TGID_Z_EN: 0
; COMPUTE_PGM_RSRC2:TIDIG_COMP_CNT: 0
	.section	.text._ZN7rocprim17ROCPRIM_400000_NS6detail17trampoline_kernelINS0_14default_configENS1_35radix_sort_onesweep_config_selectorIilEEZNS1_34radix_sort_onesweep_global_offsetsIS3_Lb0EPiN6thrust23THRUST_200600_302600_NS10device_ptrIlEEjNS0_19identity_decomposerEEE10hipError_tT1_T2_PT3_SG_jT4_jjP12ihipStream_tbEUlT_E_NS1_11comp_targetILNS1_3genE10ELNS1_11target_archE1201ELNS1_3gpuE5ELNS1_3repE0EEENS1_52radix_sort_onesweep_histogram_config_static_selectorELNS0_4arch9wavefront6targetE1EEEvSE_,"axG",@progbits,_ZN7rocprim17ROCPRIM_400000_NS6detail17trampoline_kernelINS0_14default_configENS1_35radix_sort_onesweep_config_selectorIilEEZNS1_34radix_sort_onesweep_global_offsetsIS3_Lb0EPiN6thrust23THRUST_200600_302600_NS10device_ptrIlEEjNS0_19identity_decomposerEEE10hipError_tT1_T2_PT3_SG_jT4_jjP12ihipStream_tbEUlT_E_NS1_11comp_targetILNS1_3genE10ELNS1_11target_archE1201ELNS1_3gpuE5ELNS1_3repE0EEENS1_52radix_sort_onesweep_histogram_config_static_selectorELNS0_4arch9wavefront6targetE1EEEvSE_,comdat
	.protected	_ZN7rocprim17ROCPRIM_400000_NS6detail17trampoline_kernelINS0_14default_configENS1_35radix_sort_onesweep_config_selectorIilEEZNS1_34radix_sort_onesweep_global_offsetsIS3_Lb0EPiN6thrust23THRUST_200600_302600_NS10device_ptrIlEEjNS0_19identity_decomposerEEE10hipError_tT1_T2_PT3_SG_jT4_jjP12ihipStream_tbEUlT_E_NS1_11comp_targetILNS1_3genE10ELNS1_11target_archE1201ELNS1_3gpuE5ELNS1_3repE0EEENS1_52radix_sort_onesweep_histogram_config_static_selectorELNS0_4arch9wavefront6targetE1EEEvSE_ ; -- Begin function _ZN7rocprim17ROCPRIM_400000_NS6detail17trampoline_kernelINS0_14default_configENS1_35radix_sort_onesweep_config_selectorIilEEZNS1_34radix_sort_onesweep_global_offsetsIS3_Lb0EPiN6thrust23THRUST_200600_302600_NS10device_ptrIlEEjNS0_19identity_decomposerEEE10hipError_tT1_T2_PT3_SG_jT4_jjP12ihipStream_tbEUlT_E_NS1_11comp_targetILNS1_3genE10ELNS1_11target_archE1201ELNS1_3gpuE5ELNS1_3repE0EEENS1_52radix_sort_onesweep_histogram_config_static_selectorELNS0_4arch9wavefront6targetE1EEEvSE_
	.globl	_ZN7rocprim17ROCPRIM_400000_NS6detail17trampoline_kernelINS0_14default_configENS1_35radix_sort_onesweep_config_selectorIilEEZNS1_34radix_sort_onesweep_global_offsetsIS3_Lb0EPiN6thrust23THRUST_200600_302600_NS10device_ptrIlEEjNS0_19identity_decomposerEEE10hipError_tT1_T2_PT3_SG_jT4_jjP12ihipStream_tbEUlT_E_NS1_11comp_targetILNS1_3genE10ELNS1_11target_archE1201ELNS1_3gpuE5ELNS1_3repE0EEENS1_52radix_sort_onesweep_histogram_config_static_selectorELNS0_4arch9wavefront6targetE1EEEvSE_
	.p2align	8
	.type	_ZN7rocprim17ROCPRIM_400000_NS6detail17trampoline_kernelINS0_14default_configENS1_35radix_sort_onesweep_config_selectorIilEEZNS1_34radix_sort_onesweep_global_offsetsIS3_Lb0EPiN6thrust23THRUST_200600_302600_NS10device_ptrIlEEjNS0_19identity_decomposerEEE10hipError_tT1_T2_PT3_SG_jT4_jjP12ihipStream_tbEUlT_E_NS1_11comp_targetILNS1_3genE10ELNS1_11target_archE1201ELNS1_3gpuE5ELNS1_3repE0EEENS1_52radix_sort_onesweep_histogram_config_static_selectorELNS0_4arch9wavefront6targetE1EEEvSE_,@function
_ZN7rocprim17ROCPRIM_400000_NS6detail17trampoline_kernelINS0_14default_configENS1_35radix_sort_onesweep_config_selectorIilEEZNS1_34radix_sort_onesweep_global_offsetsIS3_Lb0EPiN6thrust23THRUST_200600_302600_NS10device_ptrIlEEjNS0_19identity_decomposerEEE10hipError_tT1_T2_PT3_SG_jT4_jjP12ihipStream_tbEUlT_E_NS1_11comp_targetILNS1_3genE10ELNS1_11target_archE1201ELNS1_3gpuE5ELNS1_3repE0EEENS1_52radix_sort_onesweep_histogram_config_static_selectorELNS0_4arch9wavefront6targetE1EEEvSE_: ; @_ZN7rocprim17ROCPRIM_400000_NS6detail17trampoline_kernelINS0_14default_configENS1_35radix_sort_onesweep_config_selectorIilEEZNS1_34radix_sort_onesweep_global_offsetsIS3_Lb0EPiN6thrust23THRUST_200600_302600_NS10device_ptrIlEEjNS0_19identity_decomposerEEE10hipError_tT1_T2_PT3_SG_jT4_jjP12ihipStream_tbEUlT_E_NS1_11comp_targetILNS1_3genE10ELNS1_11target_archE1201ELNS1_3gpuE5ELNS1_3repE0EEENS1_52radix_sort_onesweep_histogram_config_static_selectorELNS0_4arch9wavefront6targetE1EEEvSE_
; %bb.0:
	.section	.rodata,"a",@progbits
	.p2align	6, 0x0
	.amdhsa_kernel _ZN7rocprim17ROCPRIM_400000_NS6detail17trampoline_kernelINS0_14default_configENS1_35radix_sort_onesweep_config_selectorIilEEZNS1_34radix_sort_onesweep_global_offsetsIS3_Lb0EPiN6thrust23THRUST_200600_302600_NS10device_ptrIlEEjNS0_19identity_decomposerEEE10hipError_tT1_T2_PT3_SG_jT4_jjP12ihipStream_tbEUlT_E_NS1_11comp_targetILNS1_3genE10ELNS1_11target_archE1201ELNS1_3gpuE5ELNS1_3repE0EEENS1_52radix_sort_onesweep_histogram_config_static_selectorELNS0_4arch9wavefront6targetE1EEEvSE_
		.amdhsa_group_segment_fixed_size 0
		.amdhsa_private_segment_fixed_size 0
		.amdhsa_kernarg_size 40
		.amdhsa_user_sgpr_count 6
		.amdhsa_user_sgpr_private_segment_buffer 1
		.amdhsa_user_sgpr_dispatch_ptr 0
		.amdhsa_user_sgpr_queue_ptr 0
		.amdhsa_user_sgpr_kernarg_segment_ptr 1
		.amdhsa_user_sgpr_dispatch_id 0
		.amdhsa_user_sgpr_flat_scratch_init 0
		.amdhsa_user_sgpr_private_segment_size 0
		.amdhsa_uses_dynamic_stack 0
		.amdhsa_system_sgpr_private_segment_wavefront_offset 0
		.amdhsa_system_sgpr_workgroup_id_x 1
		.amdhsa_system_sgpr_workgroup_id_y 0
		.amdhsa_system_sgpr_workgroup_id_z 0
		.amdhsa_system_sgpr_workgroup_info 0
		.amdhsa_system_vgpr_workitem_id 0
		.amdhsa_next_free_vgpr 1
		.amdhsa_next_free_sgpr 0
		.amdhsa_reserve_vcc 0
		.amdhsa_reserve_flat_scratch 0
		.amdhsa_float_round_mode_32 0
		.amdhsa_float_round_mode_16_64 0
		.amdhsa_float_denorm_mode_32 3
		.amdhsa_float_denorm_mode_16_64 3
		.amdhsa_dx10_clamp 1
		.amdhsa_ieee_mode 1
		.amdhsa_fp16_overflow 0
		.amdhsa_exception_fp_ieee_invalid_op 0
		.amdhsa_exception_fp_denorm_src 0
		.amdhsa_exception_fp_ieee_div_zero 0
		.amdhsa_exception_fp_ieee_overflow 0
		.amdhsa_exception_fp_ieee_underflow 0
		.amdhsa_exception_fp_ieee_inexact 0
		.amdhsa_exception_int_div_zero 0
	.end_amdhsa_kernel
	.section	.text._ZN7rocprim17ROCPRIM_400000_NS6detail17trampoline_kernelINS0_14default_configENS1_35radix_sort_onesweep_config_selectorIilEEZNS1_34radix_sort_onesweep_global_offsetsIS3_Lb0EPiN6thrust23THRUST_200600_302600_NS10device_ptrIlEEjNS0_19identity_decomposerEEE10hipError_tT1_T2_PT3_SG_jT4_jjP12ihipStream_tbEUlT_E_NS1_11comp_targetILNS1_3genE10ELNS1_11target_archE1201ELNS1_3gpuE5ELNS1_3repE0EEENS1_52radix_sort_onesweep_histogram_config_static_selectorELNS0_4arch9wavefront6targetE1EEEvSE_,"axG",@progbits,_ZN7rocprim17ROCPRIM_400000_NS6detail17trampoline_kernelINS0_14default_configENS1_35radix_sort_onesweep_config_selectorIilEEZNS1_34radix_sort_onesweep_global_offsetsIS3_Lb0EPiN6thrust23THRUST_200600_302600_NS10device_ptrIlEEjNS0_19identity_decomposerEEE10hipError_tT1_T2_PT3_SG_jT4_jjP12ihipStream_tbEUlT_E_NS1_11comp_targetILNS1_3genE10ELNS1_11target_archE1201ELNS1_3gpuE5ELNS1_3repE0EEENS1_52radix_sort_onesweep_histogram_config_static_selectorELNS0_4arch9wavefront6targetE1EEEvSE_,comdat
.Lfunc_end854:
	.size	_ZN7rocprim17ROCPRIM_400000_NS6detail17trampoline_kernelINS0_14default_configENS1_35radix_sort_onesweep_config_selectorIilEEZNS1_34radix_sort_onesweep_global_offsetsIS3_Lb0EPiN6thrust23THRUST_200600_302600_NS10device_ptrIlEEjNS0_19identity_decomposerEEE10hipError_tT1_T2_PT3_SG_jT4_jjP12ihipStream_tbEUlT_E_NS1_11comp_targetILNS1_3genE10ELNS1_11target_archE1201ELNS1_3gpuE5ELNS1_3repE0EEENS1_52radix_sort_onesweep_histogram_config_static_selectorELNS0_4arch9wavefront6targetE1EEEvSE_, .Lfunc_end854-_ZN7rocprim17ROCPRIM_400000_NS6detail17trampoline_kernelINS0_14default_configENS1_35radix_sort_onesweep_config_selectorIilEEZNS1_34radix_sort_onesweep_global_offsetsIS3_Lb0EPiN6thrust23THRUST_200600_302600_NS10device_ptrIlEEjNS0_19identity_decomposerEEE10hipError_tT1_T2_PT3_SG_jT4_jjP12ihipStream_tbEUlT_E_NS1_11comp_targetILNS1_3genE10ELNS1_11target_archE1201ELNS1_3gpuE5ELNS1_3repE0EEENS1_52radix_sort_onesweep_histogram_config_static_selectorELNS0_4arch9wavefront6targetE1EEEvSE_
                                        ; -- End function
	.set _ZN7rocprim17ROCPRIM_400000_NS6detail17trampoline_kernelINS0_14default_configENS1_35radix_sort_onesweep_config_selectorIilEEZNS1_34radix_sort_onesweep_global_offsetsIS3_Lb0EPiN6thrust23THRUST_200600_302600_NS10device_ptrIlEEjNS0_19identity_decomposerEEE10hipError_tT1_T2_PT3_SG_jT4_jjP12ihipStream_tbEUlT_E_NS1_11comp_targetILNS1_3genE10ELNS1_11target_archE1201ELNS1_3gpuE5ELNS1_3repE0EEENS1_52radix_sort_onesweep_histogram_config_static_selectorELNS0_4arch9wavefront6targetE1EEEvSE_.num_vgpr, 0
	.set _ZN7rocprim17ROCPRIM_400000_NS6detail17trampoline_kernelINS0_14default_configENS1_35radix_sort_onesweep_config_selectorIilEEZNS1_34radix_sort_onesweep_global_offsetsIS3_Lb0EPiN6thrust23THRUST_200600_302600_NS10device_ptrIlEEjNS0_19identity_decomposerEEE10hipError_tT1_T2_PT3_SG_jT4_jjP12ihipStream_tbEUlT_E_NS1_11comp_targetILNS1_3genE10ELNS1_11target_archE1201ELNS1_3gpuE5ELNS1_3repE0EEENS1_52radix_sort_onesweep_histogram_config_static_selectorELNS0_4arch9wavefront6targetE1EEEvSE_.num_agpr, 0
	.set _ZN7rocprim17ROCPRIM_400000_NS6detail17trampoline_kernelINS0_14default_configENS1_35radix_sort_onesweep_config_selectorIilEEZNS1_34radix_sort_onesweep_global_offsetsIS3_Lb0EPiN6thrust23THRUST_200600_302600_NS10device_ptrIlEEjNS0_19identity_decomposerEEE10hipError_tT1_T2_PT3_SG_jT4_jjP12ihipStream_tbEUlT_E_NS1_11comp_targetILNS1_3genE10ELNS1_11target_archE1201ELNS1_3gpuE5ELNS1_3repE0EEENS1_52radix_sort_onesweep_histogram_config_static_selectorELNS0_4arch9wavefront6targetE1EEEvSE_.numbered_sgpr, 0
	.set _ZN7rocprim17ROCPRIM_400000_NS6detail17trampoline_kernelINS0_14default_configENS1_35radix_sort_onesweep_config_selectorIilEEZNS1_34radix_sort_onesweep_global_offsetsIS3_Lb0EPiN6thrust23THRUST_200600_302600_NS10device_ptrIlEEjNS0_19identity_decomposerEEE10hipError_tT1_T2_PT3_SG_jT4_jjP12ihipStream_tbEUlT_E_NS1_11comp_targetILNS1_3genE10ELNS1_11target_archE1201ELNS1_3gpuE5ELNS1_3repE0EEENS1_52radix_sort_onesweep_histogram_config_static_selectorELNS0_4arch9wavefront6targetE1EEEvSE_.num_named_barrier, 0
	.set _ZN7rocprim17ROCPRIM_400000_NS6detail17trampoline_kernelINS0_14default_configENS1_35radix_sort_onesweep_config_selectorIilEEZNS1_34radix_sort_onesweep_global_offsetsIS3_Lb0EPiN6thrust23THRUST_200600_302600_NS10device_ptrIlEEjNS0_19identity_decomposerEEE10hipError_tT1_T2_PT3_SG_jT4_jjP12ihipStream_tbEUlT_E_NS1_11comp_targetILNS1_3genE10ELNS1_11target_archE1201ELNS1_3gpuE5ELNS1_3repE0EEENS1_52radix_sort_onesweep_histogram_config_static_selectorELNS0_4arch9wavefront6targetE1EEEvSE_.private_seg_size, 0
	.set _ZN7rocprim17ROCPRIM_400000_NS6detail17trampoline_kernelINS0_14default_configENS1_35radix_sort_onesweep_config_selectorIilEEZNS1_34radix_sort_onesweep_global_offsetsIS3_Lb0EPiN6thrust23THRUST_200600_302600_NS10device_ptrIlEEjNS0_19identity_decomposerEEE10hipError_tT1_T2_PT3_SG_jT4_jjP12ihipStream_tbEUlT_E_NS1_11comp_targetILNS1_3genE10ELNS1_11target_archE1201ELNS1_3gpuE5ELNS1_3repE0EEENS1_52radix_sort_onesweep_histogram_config_static_selectorELNS0_4arch9wavefront6targetE1EEEvSE_.uses_vcc, 0
	.set _ZN7rocprim17ROCPRIM_400000_NS6detail17trampoline_kernelINS0_14default_configENS1_35radix_sort_onesweep_config_selectorIilEEZNS1_34radix_sort_onesweep_global_offsetsIS3_Lb0EPiN6thrust23THRUST_200600_302600_NS10device_ptrIlEEjNS0_19identity_decomposerEEE10hipError_tT1_T2_PT3_SG_jT4_jjP12ihipStream_tbEUlT_E_NS1_11comp_targetILNS1_3genE10ELNS1_11target_archE1201ELNS1_3gpuE5ELNS1_3repE0EEENS1_52radix_sort_onesweep_histogram_config_static_selectorELNS0_4arch9wavefront6targetE1EEEvSE_.uses_flat_scratch, 0
	.set _ZN7rocprim17ROCPRIM_400000_NS6detail17trampoline_kernelINS0_14default_configENS1_35radix_sort_onesweep_config_selectorIilEEZNS1_34radix_sort_onesweep_global_offsetsIS3_Lb0EPiN6thrust23THRUST_200600_302600_NS10device_ptrIlEEjNS0_19identity_decomposerEEE10hipError_tT1_T2_PT3_SG_jT4_jjP12ihipStream_tbEUlT_E_NS1_11comp_targetILNS1_3genE10ELNS1_11target_archE1201ELNS1_3gpuE5ELNS1_3repE0EEENS1_52radix_sort_onesweep_histogram_config_static_selectorELNS0_4arch9wavefront6targetE1EEEvSE_.has_dyn_sized_stack, 0
	.set _ZN7rocprim17ROCPRIM_400000_NS6detail17trampoline_kernelINS0_14default_configENS1_35radix_sort_onesweep_config_selectorIilEEZNS1_34radix_sort_onesweep_global_offsetsIS3_Lb0EPiN6thrust23THRUST_200600_302600_NS10device_ptrIlEEjNS0_19identity_decomposerEEE10hipError_tT1_T2_PT3_SG_jT4_jjP12ihipStream_tbEUlT_E_NS1_11comp_targetILNS1_3genE10ELNS1_11target_archE1201ELNS1_3gpuE5ELNS1_3repE0EEENS1_52radix_sort_onesweep_histogram_config_static_selectorELNS0_4arch9wavefront6targetE1EEEvSE_.has_recursion, 0
	.set _ZN7rocprim17ROCPRIM_400000_NS6detail17trampoline_kernelINS0_14default_configENS1_35radix_sort_onesweep_config_selectorIilEEZNS1_34radix_sort_onesweep_global_offsetsIS3_Lb0EPiN6thrust23THRUST_200600_302600_NS10device_ptrIlEEjNS0_19identity_decomposerEEE10hipError_tT1_T2_PT3_SG_jT4_jjP12ihipStream_tbEUlT_E_NS1_11comp_targetILNS1_3genE10ELNS1_11target_archE1201ELNS1_3gpuE5ELNS1_3repE0EEENS1_52radix_sort_onesweep_histogram_config_static_selectorELNS0_4arch9wavefront6targetE1EEEvSE_.has_indirect_call, 0
	.section	.AMDGPU.csdata,"",@progbits
; Kernel info:
; codeLenInByte = 0
; TotalNumSgprs: 4
; NumVgprs: 0
; ScratchSize: 0
; MemoryBound: 0
; FloatMode: 240
; IeeeMode: 1
; LDSByteSize: 0 bytes/workgroup (compile time only)
; SGPRBlocks: 0
; VGPRBlocks: 0
; NumSGPRsForWavesPerEU: 4
; NumVGPRsForWavesPerEU: 1
; Occupancy: 10
; WaveLimiterHint : 0
; COMPUTE_PGM_RSRC2:SCRATCH_EN: 0
; COMPUTE_PGM_RSRC2:USER_SGPR: 6
; COMPUTE_PGM_RSRC2:TRAP_HANDLER: 0
; COMPUTE_PGM_RSRC2:TGID_X_EN: 1
; COMPUTE_PGM_RSRC2:TGID_Y_EN: 0
; COMPUTE_PGM_RSRC2:TGID_Z_EN: 0
; COMPUTE_PGM_RSRC2:TIDIG_COMP_CNT: 0
	.section	.text._ZN7rocprim17ROCPRIM_400000_NS6detail17trampoline_kernelINS0_14default_configENS1_35radix_sort_onesweep_config_selectorIilEEZNS1_34radix_sort_onesweep_global_offsetsIS3_Lb0EPiN6thrust23THRUST_200600_302600_NS10device_ptrIlEEjNS0_19identity_decomposerEEE10hipError_tT1_T2_PT3_SG_jT4_jjP12ihipStream_tbEUlT_E_NS1_11comp_targetILNS1_3genE9ELNS1_11target_archE1100ELNS1_3gpuE3ELNS1_3repE0EEENS1_52radix_sort_onesweep_histogram_config_static_selectorELNS0_4arch9wavefront6targetE1EEEvSE_,"axG",@progbits,_ZN7rocprim17ROCPRIM_400000_NS6detail17trampoline_kernelINS0_14default_configENS1_35radix_sort_onesweep_config_selectorIilEEZNS1_34radix_sort_onesweep_global_offsetsIS3_Lb0EPiN6thrust23THRUST_200600_302600_NS10device_ptrIlEEjNS0_19identity_decomposerEEE10hipError_tT1_T2_PT3_SG_jT4_jjP12ihipStream_tbEUlT_E_NS1_11comp_targetILNS1_3genE9ELNS1_11target_archE1100ELNS1_3gpuE3ELNS1_3repE0EEENS1_52radix_sort_onesweep_histogram_config_static_selectorELNS0_4arch9wavefront6targetE1EEEvSE_,comdat
	.protected	_ZN7rocprim17ROCPRIM_400000_NS6detail17trampoline_kernelINS0_14default_configENS1_35radix_sort_onesweep_config_selectorIilEEZNS1_34radix_sort_onesweep_global_offsetsIS3_Lb0EPiN6thrust23THRUST_200600_302600_NS10device_ptrIlEEjNS0_19identity_decomposerEEE10hipError_tT1_T2_PT3_SG_jT4_jjP12ihipStream_tbEUlT_E_NS1_11comp_targetILNS1_3genE9ELNS1_11target_archE1100ELNS1_3gpuE3ELNS1_3repE0EEENS1_52radix_sort_onesweep_histogram_config_static_selectorELNS0_4arch9wavefront6targetE1EEEvSE_ ; -- Begin function _ZN7rocprim17ROCPRIM_400000_NS6detail17trampoline_kernelINS0_14default_configENS1_35radix_sort_onesweep_config_selectorIilEEZNS1_34radix_sort_onesweep_global_offsetsIS3_Lb0EPiN6thrust23THRUST_200600_302600_NS10device_ptrIlEEjNS0_19identity_decomposerEEE10hipError_tT1_T2_PT3_SG_jT4_jjP12ihipStream_tbEUlT_E_NS1_11comp_targetILNS1_3genE9ELNS1_11target_archE1100ELNS1_3gpuE3ELNS1_3repE0EEENS1_52radix_sort_onesweep_histogram_config_static_selectorELNS0_4arch9wavefront6targetE1EEEvSE_
	.globl	_ZN7rocprim17ROCPRIM_400000_NS6detail17trampoline_kernelINS0_14default_configENS1_35radix_sort_onesweep_config_selectorIilEEZNS1_34radix_sort_onesweep_global_offsetsIS3_Lb0EPiN6thrust23THRUST_200600_302600_NS10device_ptrIlEEjNS0_19identity_decomposerEEE10hipError_tT1_T2_PT3_SG_jT4_jjP12ihipStream_tbEUlT_E_NS1_11comp_targetILNS1_3genE9ELNS1_11target_archE1100ELNS1_3gpuE3ELNS1_3repE0EEENS1_52radix_sort_onesweep_histogram_config_static_selectorELNS0_4arch9wavefront6targetE1EEEvSE_
	.p2align	8
	.type	_ZN7rocprim17ROCPRIM_400000_NS6detail17trampoline_kernelINS0_14default_configENS1_35radix_sort_onesweep_config_selectorIilEEZNS1_34radix_sort_onesweep_global_offsetsIS3_Lb0EPiN6thrust23THRUST_200600_302600_NS10device_ptrIlEEjNS0_19identity_decomposerEEE10hipError_tT1_T2_PT3_SG_jT4_jjP12ihipStream_tbEUlT_E_NS1_11comp_targetILNS1_3genE9ELNS1_11target_archE1100ELNS1_3gpuE3ELNS1_3repE0EEENS1_52radix_sort_onesweep_histogram_config_static_selectorELNS0_4arch9wavefront6targetE1EEEvSE_,@function
_ZN7rocprim17ROCPRIM_400000_NS6detail17trampoline_kernelINS0_14default_configENS1_35radix_sort_onesweep_config_selectorIilEEZNS1_34radix_sort_onesweep_global_offsetsIS3_Lb0EPiN6thrust23THRUST_200600_302600_NS10device_ptrIlEEjNS0_19identity_decomposerEEE10hipError_tT1_T2_PT3_SG_jT4_jjP12ihipStream_tbEUlT_E_NS1_11comp_targetILNS1_3genE9ELNS1_11target_archE1100ELNS1_3gpuE3ELNS1_3repE0EEENS1_52radix_sort_onesweep_histogram_config_static_selectorELNS0_4arch9wavefront6targetE1EEEvSE_: ; @_ZN7rocprim17ROCPRIM_400000_NS6detail17trampoline_kernelINS0_14default_configENS1_35radix_sort_onesweep_config_selectorIilEEZNS1_34radix_sort_onesweep_global_offsetsIS3_Lb0EPiN6thrust23THRUST_200600_302600_NS10device_ptrIlEEjNS0_19identity_decomposerEEE10hipError_tT1_T2_PT3_SG_jT4_jjP12ihipStream_tbEUlT_E_NS1_11comp_targetILNS1_3genE9ELNS1_11target_archE1100ELNS1_3gpuE3ELNS1_3repE0EEENS1_52radix_sort_onesweep_histogram_config_static_selectorELNS0_4arch9wavefront6targetE1EEEvSE_
; %bb.0:
	.section	.rodata,"a",@progbits
	.p2align	6, 0x0
	.amdhsa_kernel _ZN7rocprim17ROCPRIM_400000_NS6detail17trampoline_kernelINS0_14default_configENS1_35radix_sort_onesweep_config_selectorIilEEZNS1_34radix_sort_onesweep_global_offsetsIS3_Lb0EPiN6thrust23THRUST_200600_302600_NS10device_ptrIlEEjNS0_19identity_decomposerEEE10hipError_tT1_T2_PT3_SG_jT4_jjP12ihipStream_tbEUlT_E_NS1_11comp_targetILNS1_3genE9ELNS1_11target_archE1100ELNS1_3gpuE3ELNS1_3repE0EEENS1_52radix_sort_onesweep_histogram_config_static_selectorELNS0_4arch9wavefront6targetE1EEEvSE_
		.amdhsa_group_segment_fixed_size 0
		.amdhsa_private_segment_fixed_size 0
		.amdhsa_kernarg_size 40
		.amdhsa_user_sgpr_count 6
		.amdhsa_user_sgpr_private_segment_buffer 1
		.amdhsa_user_sgpr_dispatch_ptr 0
		.amdhsa_user_sgpr_queue_ptr 0
		.amdhsa_user_sgpr_kernarg_segment_ptr 1
		.amdhsa_user_sgpr_dispatch_id 0
		.amdhsa_user_sgpr_flat_scratch_init 0
		.amdhsa_user_sgpr_private_segment_size 0
		.amdhsa_uses_dynamic_stack 0
		.amdhsa_system_sgpr_private_segment_wavefront_offset 0
		.amdhsa_system_sgpr_workgroup_id_x 1
		.amdhsa_system_sgpr_workgroup_id_y 0
		.amdhsa_system_sgpr_workgroup_id_z 0
		.amdhsa_system_sgpr_workgroup_info 0
		.amdhsa_system_vgpr_workitem_id 0
		.amdhsa_next_free_vgpr 1
		.amdhsa_next_free_sgpr 0
		.amdhsa_reserve_vcc 0
		.amdhsa_reserve_flat_scratch 0
		.amdhsa_float_round_mode_32 0
		.amdhsa_float_round_mode_16_64 0
		.amdhsa_float_denorm_mode_32 3
		.amdhsa_float_denorm_mode_16_64 3
		.amdhsa_dx10_clamp 1
		.amdhsa_ieee_mode 1
		.amdhsa_fp16_overflow 0
		.amdhsa_exception_fp_ieee_invalid_op 0
		.amdhsa_exception_fp_denorm_src 0
		.amdhsa_exception_fp_ieee_div_zero 0
		.amdhsa_exception_fp_ieee_overflow 0
		.amdhsa_exception_fp_ieee_underflow 0
		.amdhsa_exception_fp_ieee_inexact 0
		.amdhsa_exception_int_div_zero 0
	.end_amdhsa_kernel
	.section	.text._ZN7rocprim17ROCPRIM_400000_NS6detail17trampoline_kernelINS0_14default_configENS1_35radix_sort_onesweep_config_selectorIilEEZNS1_34radix_sort_onesweep_global_offsetsIS3_Lb0EPiN6thrust23THRUST_200600_302600_NS10device_ptrIlEEjNS0_19identity_decomposerEEE10hipError_tT1_T2_PT3_SG_jT4_jjP12ihipStream_tbEUlT_E_NS1_11comp_targetILNS1_3genE9ELNS1_11target_archE1100ELNS1_3gpuE3ELNS1_3repE0EEENS1_52radix_sort_onesweep_histogram_config_static_selectorELNS0_4arch9wavefront6targetE1EEEvSE_,"axG",@progbits,_ZN7rocprim17ROCPRIM_400000_NS6detail17trampoline_kernelINS0_14default_configENS1_35radix_sort_onesweep_config_selectorIilEEZNS1_34radix_sort_onesweep_global_offsetsIS3_Lb0EPiN6thrust23THRUST_200600_302600_NS10device_ptrIlEEjNS0_19identity_decomposerEEE10hipError_tT1_T2_PT3_SG_jT4_jjP12ihipStream_tbEUlT_E_NS1_11comp_targetILNS1_3genE9ELNS1_11target_archE1100ELNS1_3gpuE3ELNS1_3repE0EEENS1_52radix_sort_onesweep_histogram_config_static_selectorELNS0_4arch9wavefront6targetE1EEEvSE_,comdat
.Lfunc_end855:
	.size	_ZN7rocprim17ROCPRIM_400000_NS6detail17trampoline_kernelINS0_14default_configENS1_35radix_sort_onesweep_config_selectorIilEEZNS1_34radix_sort_onesweep_global_offsetsIS3_Lb0EPiN6thrust23THRUST_200600_302600_NS10device_ptrIlEEjNS0_19identity_decomposerEEE10hipError_tT1_T2_PT3_SG_jT4_jjP12ihipStream_tbEUlT_E_NS1_11comp_targetILNS1_3genE9ELNS1_11target_archE1100ELNS1_3gpuE3ELNS1_3repE0EEENS1_52radix_sort_onesweep_histogram_config_static_selectorELNS0_4arch9wavefront6targetE1EEEvSE_, .Lfunc_end855-_ZN7rocprim17ROCPRIM_400000_NS6detail17trampoline_kernelINS0_14default_configENS1_35radix_sort_onesweep_config_selectorIilEEZNS1_34radix_sort_onesweep_global_offsetsIS3_Lb0EPiN6thrust23THRUST_200600_302600_NS10device_ptrIlEEjNS0_19identity_decomposerEEE10hipError_tT1_T2_PT3_SG_jT4_jjP12ihipStream_tbEUlT_E_NS1_11comp_targetILNS1_3genE9ELNS1_11target_archE1100ELNS1_3gpuE3ELNS1_3repE0EEENS1_52radix_sort_onesweep_histogram_config_static_selectorELNS0_4arch9wavefront6targetE1EEEvSE_
                                        ; -- End function
	.set _ZN7rocprim17ROCPRIM_400000_NS6detail17trampoline_kernelINS0_14default_configENS1_35radix_sort_onesweep_config_selectorIilEEZNS1_34radix_sort_onesweep_global_offsetsIS3_Lb0EPiN6thrust23THRUST_200600_302600_NS10device_ptrIlEEjNS0_19identity_decomposerEEE10hipError_tT1_T2_PT3_SG_jT4_jjP12ihipStream_tbEUlT_E_NS1_11comp_targetILNS1_3genE9ELNS1_11target_archE1100ELNS1_3gpuE3ELNS1_3repE0EEENS1_52radix_sort_onesweep_histogram_config_static_selectorELNS0_4arch9wavefront6targetE1EEEvSE_.num_vgpr, 0
	.set _ZN7rocprim17ROCPRIM_400000_NS6detail17trampoline_kernelINS0_14default_configENS1_35radix_sort_onesweep_config_selectorIilEEZNS1_34radix_sort_onesweep_global_offsetsIS3_Lb0EPiN6thrust23THRUST_200600_302600_NS10device_ptrIlEEjNS0_19identity_decomposerEEE10hipError_tT1_T2_PT3_SG_jT4_jjP12ihipStream_tbEUlT_E_NS1_11comp_targetILNS1_3genE9ELNS1_11target_archE1100ELNS1_3gpuE3ELNS1_3repE0EEENS1_52radix_sort_onesweep_histogram_config_static_selectorELNS0_4arch9wavefront6targetE1EEEvSE_.num_agpr, 0
	.set _ZN7rocprim17ROCPRIM_400000_NS6detail17trampoline_kernelINS0_14default_configENS1_35radix_sort_onesweep_config_selectorIilEEZNS1_34radix_sort_onesweep_global_offsetsIS3_Lb0EPiN6thrust23THRUST_200600_302600_NS10device_ptrIlEEjNS0_19identity_decomposerEEE10hipError_tT1_T2_PT3_SG_jT4_jjP12ihipStream_tbEUlT_E_NS1_11comp_targetILNS1_3genE9ELNS1_11target_archE1100ELNS1_3gpuE3ELNS1_3repE0EEENS1_52radix_sort_onesweep_histogram_config_static_selectorELNS0_4arch9wavefront6targetE1EEEvSE_.numbered_sgpr, 0
	.set _ZN7rocprim17ROCPRIM_400000_NS6detail17trampoline_kernelINS0_14default_configENS1_35radix_sort_onesweep_config_selectorIilEEZNS1_34radix_sort_onesweep_global_offsetsIS3_Lb0EPiN6thrust23THRUST_200600_302600_NS10device_ptrIlEEjNS0_19identity_decomposerEEE10hipError_tT1_T2_PT3_SG_jT4_jjP12ihipStream_tbEUlT_E_NS1_11comp_targetILNS1_3genE9ELNS1_11target_archE1100ELNS1_3gpuE3ELNS1_3repE0EEENS1_52radix_sort_onesweep_histogram_config_static_selectorELNS0_4arch9wavefront6targetE1EEEvSE_.num_named_barrier, 0
	.set _ZN7rocprim17ROCPRIM_400000_NS6detail17trampoline_kernelINS0_14default_configENS1_35radix_sort_onesweep_config_selectorIilEEZNS1_34radix_sort_onesweep_global_offsetsIS3_Lb0EPiN6thrust23THRUST_200600_302600_NS10device_ptrIlEEjNS0_19identity_decomposerEEE10hipError_tT1_T2_PT3_SG_jT4_jjP12ihipStream_tbEUlT_E_NS1_11comp_targetILNS1_3genE9ELNS1_11target_archE1100ELNS1_3gpuE3ELNS1_3repE0EEENS1_52radix_sort_onesweep_histogram_config_static_selectorELNS0_4arch9wavefront6targetE1EEEvSE_.private_seg_size, 0
	.set _ZN7rocprim17ROCPRIM_400000_NS6detail17trampoline_kernelINS0_14default_configENS1_35radix_sort_onesweep_config_selectorIilEEZNS1_34radix_sort_onesweep_global_offsetsIS3_Lb0EPiN6thrust23THRUST_200600_302600_NS10device_ptrIlEEjNS0_19identity_decomposerEEE10hipError_tT1_T2_PT3_SG_jT4_jjP12ihipStream_tbEUlT_E_NS1_11comp_targetILNS1_3genE9ELNS1_11target_archE1100ELNS1_3gpuE3ELNS1_3repE0EEENS1_52radix_sort_onesweep_histogram_config_static_selectorELNS0_4arch9wavefront6targetE1EEEvSE_.uses_vcc, 0
	.set _ZN7rocprim17ROCPRIM_400000_NS6detail17trampoline_kernelINS0_14default_configENS1_35radix_sort_onesweep_config_selectorIilEEZNS1_34radix_sort_onesweep_global_offsetsIS3_Lb0EPiN6thrust23THRUST_200600_302600_NS10device_ptrIlEEjNS0_19identity_decomposerEEE10hipError_tT1_T2_PT3_SG_jT4_jjP12ihipStream_tbEUlT_E_NS1_11comp_targetILNS1_3genE9ELNS1_11target_archE1100ELNS1_3gpuE3ELNS1_3repE0EEENS1_52radix_sort_onesweep_histogram_config_static_selectorELNS0_4arch9wavefront6targetE1EEEvSE_.uses_flat_scratch, 0
	.set _ZN7rocprim17ROCPRIM_400000_NS6detail17trampoline_kernelINS0_14default_configENS1_35radix_sort_onesweep_config_selectorIilEEZNS1_34radix_sort_onesweep_global_offsetsIS3_Lb0EPiN6thrust23THRUST_200600_302600_NS10device_ptrIlEEjNS0_19identity_decomposerEEE10hipError_tT1_T2_PT3_SG_jT4_jjP12ihipStream_tbEUlT_E_NS1_11comp_targetILNS1_3genE9ELNS1_11target_archE1100ELNS1_3gpuE3ELNS1_3repE0EEENS1_52radix_sort_onesweep_histogram_config_static_selectorELNS0_4arch9wavefront6targetE1EEEvSE_.has_dyn_sized_stack, 0
	.set _ZN7rocprim17ROCPRIM_400000_NS6detail17trampoline_kernelINS0_14default_configENS1_35radix_sort_onesweep_config_selectorIilEEZNS1_34radix_sort_onesweep_global_offsetsIS3_Lb0EPiN6thrust23THRUST_200600_302600_NS10device_ptrIlEEjNS0_19identity_decomposerEEE10hipError_tT1_T2_PT3_SG_jT4_jjP12ihipStream_tbEUlT_E_NS1_11comp_targetILNS1_3genE9ELNS1_11target_archE1100ELNS1_3gpuE3ELNS1_3repE0EEENS1_52radix_sort_onesweep_histogram_config_static_selectorELNS0_4arch9wavefront6targetE1EEEvSE_.has_recursion, 0
	.set _ZN7rocprim17ROCPRIM_400000_NS6detail17trampoline_kernelINS0_14default_configENS1_35radix_sort_onesweep_config_selectorIilEEZNS1_34radix_sort_onesweep_global_offsetsIS3_Lb0EPiN6thrust23THRUST_200600_302600_NS10device_ptrIlEEjNS0_19identity_decomposerEEE10hipError_tT1_T2_PT3_SG_jT4_jjP12ihipStream_tbEUlT_E_NS1_11comp_targetILNS1_3genE9ELNS1_11target_archE1100ELNS1_3gpuE3ELNS1_3repE0EEENS1_52radix_sort_onesweep_histogram_config_static_selectorELNS0_4arch9wavefront6targetE1EEEvSE_.has_indirect_call, 0
	.section	.AMDGPU.csdata,"",@progbits
; Kernel info:
; codeLenInByte = 0
; TotalNumSgprs: 4
; NumVgprs: 0
; ScratchSize: 0
; MemoryBound: 0
; FloatMode: 240
; IeeeMode: 1
; LDSByteSize: 0 bytes/workgroup (compile time only)
; SGPRBlocks: 0
; VGPRBlocks: 0
; NumSGPRsForWavesPerEU: 4
; NumVGPRsForWavesPerEU: 1
; Occupancy: 10
; WaveLimiterHint : 0
; COMPUTE_PGM_RSRC2:SCRATCH_EN: 0
; COMPUTE_PGM_RSRC2:USER_SGPR: 6
; COMPUTE_PGM_RSRC2:TRAP_HANDLER: 0
; COMPUTE_PGM_RSRC2:TGID_X_EN: 1
; COMPUTE_PGM_RSRC2:TGID_Y_EN: 0
; COMPUTE_PGM_RSRC2:TGID_Z_EN: 0
; COMPUTE_PGM_RSRC2:TIDIG_COMP_CNT: 0
	.section	.text._ZN7rocprim17ROCPRIM_400000_NS6detail17trampoline_kernelINS0_14default_configENS1_35radix_sort_onesweep_config_selectorIilEEZNS1_34radix_sort_onesweep_global_offsetsIS3_Lb0EPiN6thrust23THRUST_200600_302600_NS10device_ptrIlEEjNS0_19identity_decomposerEEE10hipError_tT1_T2_PT3_SG_jT4_jjP12ihipStream_tbEUlT_E_NS1_11comp_targetILNS1_3genE8ELNS1_11target_archE1030ELNS1_3gpuE2ELNS1_3repE0EEENS1_52radix_sort_onesweep_histogram_config_static_selectorELNS0_4arch9wavefront6targetE1EEEvSE_,"axG",@progbits,_ZN7rocprim17ROCPRIM_400000_NS6detail17trampoline_kernelINS0_14default_configENS1_35radix_sort_onesweep_config_selectorIilEEZNS1_34radix_sort_onesweep_global_offsetsIS3_Lb0EPiN6thrust23THRUST_200600_302600_NS10device_ptrIlEEjNS0_19identity_decomposerEEE10hipError_tT1_T2_PT3_SG_jT4_jjP12ihipStream_tbEUlT_E_NS1_11comp_targetILNS1_3genE8ELNS1_11target_archE1030ELNS1_3gpuE2ELNS1_3repE0EEENS1_52radix_sort_onesweep_histogram_config_static_selectorELNS0_4arch9wavefront6targetE1EEEvSE_,comdat
	.protected	_ZN7rocprim17ROCPRIM_400000_NS6detail17trampoline_kernelINS0_14default_configENS1_35radix_sort_onesweep_config_selectorIilEEZNS1_34radix_sort_onesweep_global_offsetsIS3_Lb0EPiN6thrust23THRUST_200600_302600_NS10device_ptrIlEEjNS0_19identity_decomposerEEE10hipError_tT1_T2_PT3_SG_jT4_jjP12ihipStream_tbEUlT_E_NS1_11comp_targetILNS1_3genE8ELNS1_11target_archE1030ELNS1_3gpuE2ELNS1_3repE0EEENS1_52radix_sort_onesweep_histogram_config_static_selectorELNS0_4arch9wavefront6targetE1EEEvSE_ ; -- Begin function _ZN7rocprim17ROCPRIM_400000_NS6detail17trampoline_kernelINS0_14default_configENS1_35radix_sort_onesweep_config_selectorIilEEZNS1_34radix_sort_onesweep_global_offsetsIS3_Lb0EPiN6thrust23THRUST_200600_302600_NS10device_ptrIlEEjNS0_19identity_decomposerEEE10hipError_tT1_T2_PT3_SG_jT4_jjP12ihipStream_tbEUlT_E_NS1_11comp_targetILNS1_3genE8ELNS1_11target_archE1030ELNS1_3gpuE2ELNS1_3repE0EEENS1_52radix_sort_onesweep_histogram_config_static_selectorELNS0_4arch9wavefront6targetE1EEEvSE_
	.globl	_ZN7rocprim17ROCPRIM_400000_NS6detail17trampoline_kernelINS0_14default_configENS1_35radix_sort_onesweep_config_selectorIilEEZNS1_34radix_sort_onesweep_global_offsetsIS3_Lb0EPiN6thrust23THRUST_200600_302600_NS10device_ptrIlEEjNS0_19identity_decomposerEEE10hipError_tT1_T2_PT3_SG_jT4_jjP12ihipStream_tbEUlT_E_NS1_11comp_targetILNS1_3genE8ELNS1_11target_archE1030ELNS1_3gpuE2ELNS1_3repE0EEENS1_52radix_sort_onesweep_histogram_config_static_selectorELNS0_4arch9wavefront6targetE1EEEvSE_
	.p2align	8
	.type	_ZN7rocprim17ROCPRIM_400000_NS6detail17trampoline_kernelINS0_14default_configENS1_35radix_sort_onesweep_config_selectorIilEEZNS1_34radix_sort_onesweep_global_offsetsIS3_Lb0EPiN6thrust23THRUST_200600_302600_NS10device_ptrIlEEjNS0_19identity_decomposerEEE10hipError_tT1_T2_PT3_SG_jT4_jjP12ihipStream_tbEUlT_E_NS1_11comp_targetILNS1_3genE8ELNS1_11target_archE1030ELNS1_3gpuE2ELNS1_3repE0EEENS1_52radix_sort_onesweep_histogram_config_static_selectorELNS0_4arch9wavefront6targetE1EEEvSE_,@function
_ZN7rocprim17ROCPRIM_400000_NS6detail17trampoline_kernelINS0_14default_configENS1_35radix_sort_onesweep_config_selectorIilEEZNS1_34radix_sort_onesweep_global_offsetsIS3_Lb0EPiN6thrust23THRUST_200600_302600_NS10device_ptrIlEEjNS0_19identity_decomposerEEE10hipError_tT1_T2_PT3_SG_jT4_jjP12ihipStream_tbEUlT_E_NS1_11comp_targetILNS1_3genE8ELNS1_11target_archE1030ELNS1_3gpuE2ELNS1_3repE0EEENS1_52radix_sort_onesweep_histogram_config_static_selectorELNS0_4arch9wavefront6targetE1EEEvSE_: ; @_ZN7rocprim17ROCPRIM_400000_NS6detail17trampoline_kernelINS0_14default_configENS1_35radix_sort_onesweep_config_selectorIilEEZNS1_34radix_sort_onesweep_global_offsetsIS3_Lb0EPiN6thrust23THRUST_200600_302600_NS10device_ptrIlEEjNS0_19identity_decomposerEEE10hipError_tT1_T2_PT3_SG_jT4_jjP12ihipStream_tbEUlT_E_NS1_11comp_targetILNS1_3genE8ELNS1_11target_archE1030ELNS1_3gpuE2ELNS1_3repE0EEENS1_52radix_sort_onesweep_histogram_config_static_selectorELNS0_4arch9wavefront6targetE1EEEvSE_
; %bb.0:
	.section	.rodata,"a",@progbits
	.p2align	6, 0x0
	.amdhsa_kernel _ZN7rocprim17ROCPRIM_400000_NS6detail17trampoline_kernelINS0_14default_configENS1_35radix_sort_onesweep_config_selectorIilEEZNS1_34radix_sort_onesweep_global_offsetsIS3_Lb0EPiN6thrust23THRUST_200600_302600_NS10device_ptrIlEEjNS0_19identity_decomposerEEE10hipError_tT1_T2_PT3_SG_jT4_jjP12ihipStream_tbEUlT_E_NS1_11comp_targetILNS1_3genE8ELNS1_11target_archE1030ELNS1_3gpuE2ELNS1_3repE0EEENS1_52radix_sort_onesweep_histogram_config_static_selectorELNS0_4arch9wavefront6targetE1EEEvSE_
		.amdhsa_group_segment_fixed_size 0
		.amdhsa_private_segment_fixed_size 0
		.amdhsa_kernarg_size 40
		.amdhsa_user_sgpr_count 6
		.amdhsa_user_sgpr_private_segment_buffer 1
		.amdhsa_user_sgpr_dispatch_ptr 0
		.amdhsa_user_sgpr_queue_ptr 0
		.amdhsa_user_sgpr_kernarg_segment_ptr 1
		.amdhsa_user_sgpr_dispatch_id 0
		.amdhsa_user_sgpr_flat_scratch_init 0
		.amdhsa_user_sgpr_private_segment_size 0
		.amdhsa_uses_dynamic_stack 0
		.amdhsa_system_sgpr_private_segment_wavefront_offset 0
		.amdhsa_system_sgpr_workgroup_id_x 1
		.amdhsa_system_sgpr_workgroup_id_y 0
		.amdhsa_system_sgpr_workgroup_id_z 0
		.amdhsa_system_sgpr_workgroup_info 0
		.amdhsa_system_vgpr_workitem_id 0
		.amdhsa_next_free_vgpr 1
		.amdhsa_next_free_sgpr 0
		.amdhsa_reserve_vcc 0
		.amdhsa_reserve_flat_scratch 0
		.amdhsa_float_round_mode_32 0
		.amdhsa_float_round_mode_16_64 0
		.amdhsa_float_denorm_mode_32 3
		.amdhsa_float_denorm_mode_16_64 3
		.amdhsa_dx10_clamp 1
		.amdhsa_ieee_mode 1
		.amdhsa_fp16_overflow 0
		.amdhsa_exception_fp_ieee_invalid_op 0
		.amdhsa_exception_fp_denorm_src 0
		.amdhsa_exception_fp_ieee_div_zero 0
		.amdhsa_exception_fp_ieee_overflow 0
		.amdhsa_exception_fp_ieee_underflow 0
		.amdhsa_exception_fp_ieee_inexact 0
		.amdhsa_exception_int_div_zero 0
	.end_amdhsa_kernel
	.section	.text._ZN7rocprim17ROCPRIM_400000_NS6detail17trampoline_kernelINS0_14default_configENS1_35radix_sort_onesweep_config_selectorIilEEZNS1_34radix_sort_onesweep_global_offsetsIS3_Lb0EPiN6thrust23THRUST_200600_302600_NS10device_ptrIlEEjNS0_19identity_decomposerEEE10hipError_tT1_T2_PT3_SG_jT4_jjP12ihipStream_tbEUlT_E_NS1_11comp_targetILNS1_3genE8ELNS1_11target_archE1030ELNS1_3gpuE2ELNS1_3repE0EEENS1_52radix_sort_onesweep_histogram_config_static_selectorELNS0_4arch9wavefront6targetE1EEEvSE_,"axG",@progbits,_ZN7rocprim17ROCPRIM_400000_NS6detail17trampoline_kernelINS0_14default_configENS1_35radix_sort_onesweep_config_selectorIilEEZNS1_34radix_sort_onesweep_global_offsetsIS3_Lb0EPiN6thrust23THRUST_200600_302600_NS10device_ptrIlEEjNS0_19identity_decomposerEEE10hipError_tT1_T2_PT3_SG_jT4_jjP12ihipStream_tbEUlT_E_NS1_11comp_targetILNS1_3genE8ELNS1_11target_archE1030ELNS1_3gpuE2ELNS1_3repE0EEENS1_52radix_sort_onesweep_histogram_config_static_selectorELNS0_4arch9wavefront6targetE1EEEvSE_,comdat
.Lfunc_end856:
	.size	_ZN7rocprim17ROCPRIM_400000_NS6detail17trampoline_kernelINS0_14default_configENS1_35radix_sort_onesweep_config_selectorIilEEZNS1_34radix_sort_onesweep_global_offsetsIS3_Lb0EPiN6thrust23THRUST_200600_302600_NS10device_ptrIlEEjNS0_19identity_decomposerEEE10hipError_tT1_T2_PT3_SG_jT4_jjP12ihipStream_tbEUlT_E_NS1_11comp_targetILNS1_3genE8ELNS1_11target_archE1030ELNS1_3gpuE2ELNS1_3repE0EEENS1_52radix_sort_onesweep_histogram_config_static_selectorELNS0_4arch9wavefront6targetE1EEEvSE_, .Lfunc_end856-_ZN7rocprim17ROCPRIM_400000_NS6detail17trampoline_kernelINS0_14default_configENS1_35radix_sort_onesweep_config_selectorIilEEZNS1_34radix_sort_onesweep_global_offsetsIS3_Lb0EPiN6thrust23THRUST_200600_302600_NS10device_ptrIlEEjNS0_19identity_decomposerEEE10hipError_tT1_T2_PT3_SG_jT4_jjP12ihipStream_tbEUlT_E_NS1_11comp_targetILNS1_3genE8ELNS1_11target_archE1030ELNS1_3gpuE2ELNS1_3repE0EEENS1_52radix_sort_onesweep_histogram_config_static_selectorELNS0_4arch9wavefront6targetE1EEEvSE_
                                        ; -- End function
	.set _ZN7rocprim17ROCPRIM_400000_NS6detail17trampoline_kernelINS0_14default_configENS1_35radix_sort_onesweep_config_selectorIilEEZNS1_34radix_sort_onesweep_global_offsetsIS3_Lb0EPiN6thrust23THRUST_200600_302600_NS10device_ptrIlEEjNS0_19identity_decomposerEEE10hipError_tT1_T2_PT3_SG_jT4_jjP12ihipStream_tbEUlT_E_NS1_11comp_targetILNS1_3genE8ELNS1_11target_archE1030ELNS1_3gpuE2ELNS1_3repE0EEENS1_52radix_sort_onesweep_histogram_config_static_selectorELNS0_4arch9wavefront6targetE1EEEvSE_.num_vgpr, 0
	.set _ZN7rocprim17ROCPRIM_400000_NS6detail17trampoline_kernelINS0_14default_configENS1_35radix_sort_onesweep_config_selectorIilEEZNS1_34radix_sort_onesweep_global_offsetsIS3_Lb0EPiN6thrust23THRUST_200600_302600_NS10device_ptrIlEEjNS0_19identity_decomposerEEE10hipError_tT1_T2_PT3_SG_jT4_jjP12ihipStream_tbEUlT_E_NS1_11comp_targetILNS1_3genE8ELNS1_11target_archE1030ELNS1_3gpuE2ELNS1_3repE0EEENS1_52radix_sort_onesweep_histogram_config_static_selectorELNS0_4arch9wavefront6targetE1EEEvSE_.num_agpr, 0
	.set _ZN7rocprim17ROCPRIM_400000_NS6detail17trampoline_kernelINS0_14default_configENS1_35radix_sort_onesweep_config_selectorIilEEZNS1_34radix_sort_onesweep_global_offsetsIS3_Lb0EPiN6thrust23THRUST_200600_302600_NS10device_ptrIlEEjNS0_19identity_decomposerEEE10hipError_tT1_T2_PT3_SG_jT4_jjP12ihipStream_tbEUlT_E_NS1_11comp_targetILNS1_3genE8ELNS1_11target_archE1030ELNS1_3gpuE2ELNS1_3repE0EEENS1_52radix_sort_onesweep_histogram_config_static_selectorELNS0_4arch9wavefront6targetE1EEEvSE_.numbered_sgpr, 0
	.set _ZN7rocprim17ROCPRIM_400000_NS6detail17trampoline_kernelINS0_14default_configENS1_35radix_sort_onesweep_config_selectorIilEEZNS1_34radix_sort_onesweep_global_offsetsIS3_Lb0EPiN6thrust23THRUST_200600_302600_NS10device_ptrIlEEjNS0_19identity_decomposerEEE10hipError_tT1_T2_PT3_SG_jT4_jjP12ihipStream_tbEUlT_E_NS1_11comp_targetILNS1_3genE8ELNS1_11target_archE1030ELNS1_3gpuE2ELNS1_3repE0EEENS1_52radix_sort_onesweep_histogram_config_static_selectorELNS0_4arch9wavefront6targetE1EEEvSE_.num_named_barrier, 0
	.set _ZN7rocprim17ROCPRIM_400000_NS6detail17trampoline_kernelINS0_14default_configENS1_35radix_sort_onesweep_config_selectorIilEEZNS1_34radix_sort_onesweep_global_offsetsIS3_Lb0EPiN6thrust23THRUST_200600_302600_NS10device_ptrIlEEjNS0_19identity_decomposerEEE10hipError_tT1_T2_PT3_SG_jT4_jjP12ihipStream_tbEUlT_E_NS1_11comp_targetILNS1_3genE8ELNS1_11target_archE1030ELNS1_3gpuE2ELNS1_3repE0EEENS1_52radix_sort_onesweep_histogram_config_static_selectorELNS0_4arch9wavefront6targetE1EEEvSE_.private_seg_size, 0
	.set _ZN7rocprim17ROCPRIM_400000_NS6detail17trampoline_kernelINS0_14default_configENS1_35radix_sort_onesweep_config_selectorIilEEZNS1_34radix_sort_onesweep_global_offsetsIS3_Lb0EPiN6thrust23THRUST_200600_302600_NS10device_ptrIlEEjNS0_19identity_decomposerEEE10hipError_tT1_T2_PT3_SG_jT4_jjP12ihipStream_tbEUlT_E_NS1_11comp_targetILNS1_3genE8ELNS1_11target_archE1030ELNS1_3gpuE2ELNS1_3repE0EEENS1_52radix_sort_onesweep_histogram_config_static_selectorELNS0_4arch9wavefront6targetE1EEEvSE_.uses_vcc, 0
	.set _ZN7rocprim17ROCPRIM_400000_NS6detail17trampoline_kernelINS0_14default_configENS1_35radix_sort_onesweep_config_selectorIilEEZNS1_34radix_sort_onesweep_global_offsetsIS3_Lb0EPiN6thrust23THRUST_200600_302600_NS10device_ptrIlEEjNS0_19identity_decomposerEEE10hipError_tT1_T2_PT3_SG_jT4_jjP12ihipStream_tbEUlT_E_NS1_11comp_targetILNS1_3genE8ELNS1_11target_archE1030ELNS1_3gpuE2ELNS1_3repE0EEENS1_52radix_sort_onesweep_histogram_config_static_selectorELNS0_4arch9wavefront6targetE1EEEvSE_.uses_flat_scratch, 0
	.set _ZN7rocprim17ROCPRIM_400000_NS6detail17trampoline_kernelINS0_14default_configENS1_35radix_sort_onesweep_config_selectorIilEEZNS1_34radix_sort_onesweep_global_offsetsIS3_Lb0EPiN6thrust23THRUST_200600_302600_NS10device_ptrIlEEjNS0_19identity_decomposerEEE10hipError_tT1_T2_PT3_SG_jT4_jjP12ihipStream_tbEUlT_E_NS1_11comp_targetILNS1_3genE8ELNS1_11target_archE1030ELNS1_3gpuE2ELNS1_3repE0EEENS1_52radix_sort_onesweep_histogram_config_static_selectorELNS0_4arch9wavefront6targetE1EEEvSE_.has_dyn_sized_stack, 0
	.set _ZN7rocprim17ROCPRIM_400000_NS6detail17trampoline_kernelINS0_14default_configENS1_35radix_sort_onesweep_config_selectorIilEEZNS1_34radix_sort_onesweep_global_offsetsIS3_Lb0EPiN6thrust23THRUST_200600_302600_NS10device_ptrIlEEjNS0_19identity_decomposerEEE10hipError_tT1_T2_PT3_SG_jT4_jjP12ihipStream_tbEUlT_E_NS1_11comp_targetILNS1_3genE8ELNS1_11target_archE1030ELNS1_3gpuE2ELNS1_3repE0EEENS1_52radix_sort_onesweep_histogram_config_static_selectorELNS0_4arch9wavefront6targetE1EEEvSE_.has_recursion, 0
	.set _ZN7rocprim17ROCPRIM_400000_NS6detail17trampoline_kernelINS0_14default_configENS1_35radix_sort_onesweep_config_selectorIilEEZNS1_34radix_sort_onesweep_global_offsetsIS3_Lb0EPiN6thrust23THRUST_200600_302600_NS10device_ptrIlEEjNS0_19identity_decomposerEEE10hipError_tT1_T2_PT3_SG_jT4_jjP12ihipStream_tbEUlT_E_NS1_11comp_targetILNS1_3genE8ELNS1_11target_archE1030ELNS1_3gpuE2ELNS1_3repE0EEENS1_52radix_sort_onesweep_histogram_config_static_selectorELNS0_4arch9wavefront6targetE1EEEvSE_.has_indirect_call, 0
	.section	.AMDGPU.csdata,"",@progbits
; Kernel info:
; codeLenInByte = 0
; TotalNumSgprs: 4
; NumVgprs: 0
; ScratchSize: 0
; MemoryBound: 0
; FloatMode: 240
; IeeeMode: 1
; LDSByteSize: 0 bytes/workgroup (compile time only)
; SGPRBlocks: 0
; VGPRBlocks: 0
; NumSGPRsForWavesPerEU: 4
; NumVGPRsForWavesPerEU: 1
; Occupancy: 10
; WaveLimiterHint : 0
; COMPUTE_PGM_RSRC2:SCRATCH_EN: 0
; COMPUTE_PGM_RSRC2:USER_SGPR: 6
; COMPUTE_PGM_RSRC2:TRAP_HANDLER: 0
; COMPUTE_PGM_RSRC2:TGID_X_EN: 1
; COMPUTE_PGM_RSRC2:TGID_Y_EN: 0
; COMPUTE_PGM_RSRC2:TGID_Z_EN: 0
; COMPUTE_PGM_RSRC2:TIDIG_COMP_CNT: 0
	.section	.text._ZN7rocprim17ROCPRIM_400000_NS6detail17trampoline_kernelINS0_14default_configENS1_35radix_sort_onesweep_config_selectorIilEEZNS1_34radix_sort_onesweep_global_offsetsIS3_Lb0EPiN6thrust23THRUST_200600_302600_NS10device_ptrIlEEjNS0_19identity_decomposerEEE10hipError_tT1_T2_PT3_SG_jT4_jjP12ihipStream_tbEUlT_E0_NS1_11comp_targetILNS1_3genE0ELNS1_11target_archE4294967295ELNS1_3gpuE0ELNS1_3repE0EEENS1_52radix_sort_onesweep_histogram_config_static_selectorELNS0_4arch9wavefront6targetE1EEEvSE_,"axG",@progbits,_ZN7rocprim17ROCPRIM_400000_NS6detail17trampoline_kernelINS0_14default_configENS1_35radix_sort_onesweep_config_selectorIilEEZNS1_34radix_sort_onesweep_global_offsetsIS3_Lb0EPiN6thrust23THRUST_200600_302600_NS10device_ptrIlEEjNS0_19identity_decomposerEEE10hipError_tT1_T2_PT3_SG_jT4_jjP12ihipStream_tbEUlT_E0_NS1_11comp_targetILNS1_3genE0ELNS1_11target_archE4294967295ELNS1_3gpuE0ELNS1_3repE0EEENS1_52radix_sort_onesweep_histogram_config_static_selectorELNS0_4arch9wavefront6targetE1EEEvSE_,comdat
	.protected	_ZN7rocprim17ROCPRIM_400000_NS6detail17trampoline_kernelINS0_14default_configENS1_35radix_sort_onesweep_config_selectorIilEEZNS1_34radix_sort_onesweep_global_offsetsIS3_Lb0EPiN6thrust23THRUST_200600_302600_NS10device_ptrIlEEjNS0_19identity_decomposerEEE10hipError_tT1_T2_PT3_SG_jT4_jjP12ihipStream_tbEUlT_E0_NS1_11comp_targetILNS1_3genE0ELNS1_11target_archE4294967295ELNS1_3gpuE0ELNS1_3repE0EEENS1_52radix_sort_onesweep_histogram_config_static_selectorELNS0_4arch9wavefront6targetE1EEEvSE_ ; -- Begin function _ZN7rocprim17ROCPRIM_400000_NS6detail17trampoline_kernelINS0_14default_configENS1_35radix_sort_onesweep_config_selectorIilEEZNS1_34radix_sort_onesweep_global_offsetsIS3_Lb0EPiN6thrust23THRUST_200600_302600_NS10device_ptrIlEEjNS0_19identity_decomposerEEE10hipError_tT1_T2_PT3_SG_jT4_jjP12ihipStream_tbEUlT_E0_NS1_11comp_targetILNS1_3genE0ELNS1_11target_archE4294967295ELNS1_3gpuE0ELNS1_3repE0EEENS1_52radix_sort_onesweep_histogram_config_static_selectorELNS0_4arch9wavefront6targetE1EEEvSE_
	.globl	_ZN7rocprim17ROCPRIM_400000_NS6detail17trampoline_kernelINS0_14default_configENS1_35radix_sort_onesweep_config_selectorIilEEZNS1_34radix_sort_onesweep_global_offsetsIS3_Lb0EPiN6thrust23THRUST_200600_302600_NS10device_ptrIlEEjNS0_19identity_decomposerEEE10hipError_tT1_T2_PT3_SG_jT4_jjP12ihipStream_tbEUlT_E0_NS1_11comp_targetILNS1_3genE0ELNS1_11target_archE4294967295ELNS1_3gpuE0ELNS1_3repE0EEENS1_52radix_sort_onesweep_histogram_config_static_selectorELNS0_4arch9wavefront6targetE1EEEvSE_
	.p2align	8
	.type	_ZN7rocprim17ROCPRIM_400000_NS6detail17trampoline_kernelINS0_14default_configENS1_35radix_sort_onesweep_config_selectorIilEEZNS1_34radix_sort_onesweep_global_offsetsIS3_Lb0EPiN6thrust23THRUST_200600_302600_NS10device_ptrIlEEjNS0_19identity_decomposerEEE10hipError_tT1_T2_PT3_SG_jT4_jjP12ihipStream_tbEUlT_E0_NS1_11comp_targetILNS1_3genE0ELNS1_11target_archE4294967295ELNS1_3gpuE0ELNS1_3repE0EEENS1_52radix_sort_onesweep_histogram_config_static_selectorELNS0_4arch9wavefront6targetE1EEEvSE_,@function
_ZN7rocprim17ROCPRIM_400000_NS6detail17trampoline_kernelINS0_14default_configENS1_35radix_sort_onesweep_config_selectorIilEEZNS1_34radix_sort_onesweep_global_offsetsIS3_Lb0EPiN6thrust23THRUST_200600_302600_NS10device_ptrIlEEjNS0_19identity_decomposerEEE10hipError_tT1_T2_PT3_SG_jT4_jjP12ihipStream_tbEUlT_E0_NS1_11comp_targetILNS1_3genE0ELNS1_11target_archE4294967295ELNS1_3gpuE0ELNS1_3repE0EEENS1_52radix_sort_onesweep_histogram_config_static_selectorELNS0_4arch9wavefront6targetE1EEEvSE_: ; @_ZN7rocprim17ROCPRIM_400000_NS6detail17trampoline_kernelINS0_14default_configENS1_35radix_sort_onesweep_config_selectorIilEEZNS1_34radix_sort_onesweep_global_offsetsIS3_Lb0EPiN6thrust23THRUST_200600_302600_NS10device_ptrIlEEjNS0_19identity_decomposerEEE10hipError_tT1_T2_PT3_SG_jT4_jjP12ihipStream_tbEUlT_E0_NS1_11comp_targetILNS1_3genE0ELNS1_11target_archE4294967295ELNS1_3gpuE0ELNS1_3repE0EEENS1_52radix_sort_onesweep_histogram_config_static_selectorELNS0_4arch9wavefront6targetE1EEEvSE_
; %bb.0:
	.section	.rodata,"a",@progbits
	.p2align	6, 0x0
	.amdhsa_kernel _ZN7rocprim17ROCPRIM_400000_NS6detail17trampoline_kernelINS0_14default_configENS1_35radix_sort_onesweep_config_selectorIilEEZNS1_34radix_sort_onesweep_global_offsetsIS3_Lb0EPiN6thrust23THRUST_200600_302600_NS10device_ptrIlEEjNS0_19identity_decomposerEEE10hipError_tT1_T2_PT3_SG_jT4_jjP12ihipStream_tbEUlT_E0_NS1_11comp_targetILNS1_3genE0ELNS1_11target_archE4294967295ELNS1_3gpuE0ELNS1_3repE0EEENS1_52radix_sort_onesweep_histogram_config_static_selectorELNS0_4arch9wavefront6targetE1EEEvSE_
		.amdhsa_group_segment_fixed_size 0
		.amdhsa_private_segment_fixed_size 0
		.amdhsa_kernarg_size 8
		.amdhsa_user_sgpr_count 6
		.amdhsa_user_sgpr_private_segment_buffer 1
		.amdhsa_user_sgpr_dispatch_ptr 0
		.amdhsa_user_sgpr_queue_ptr 0
		.amdhsa_user_sgpr_kernarg_segment_ptr 1
		.amdhsa_user_sgpr_dispatch_id 0
		.amdhsa_user_sgpr_flat_scratch_init 0
		.amdhsa_user_sgpr_private_segment_size 0
		.amdhsa_uses_dynamic_stack 0
		.amdhsa_system_sgpr_private_segment_wavefront_offset 0
		.amdhsa_system_sgpr_workgroup_id_x 1
		.amdhsa_system_sgpr_workgroup_id_y 0
		.amdhsa_system_sgpr_workgroup_id_z 0
		.amdhsa_system_sgpr_workgroup_info 0
		.amdhsa_system_vgpr_workitem_id 0
		.amdhsa_next_free_vgpr 1
		.amdhsa_next_free_sgpr 0
		.amdhsa_reserve_vcc 0
		.amdhsa_reserve_flat_scratch 0
		.amdhsa_float_round_mode_32 0
		.amdhsa_float_round_mode_16_64 0
		.amdhsa_float_denorm_mode_32 3
		.amdhsa_float_denorm_mode_16_64 3
		.amdhsa_dx10_clamp 1
		.amdhsa_ieee_mode 1
		.amdhsa_fp16_overflow 0
		.amdhsa_exception_fp_ieee_invalid_op 0
		.amdhsa_exception_fp_denorm_src 0
		.amdhsa_exception_fp_ieee_div_zero 0
		.amdhsa_exception_fp_ieee_overflow 0
		.amdhsa_exception_fp_ieee_underflow 0
		.amdhsa_exception_fp_ieee_inexact 0
		.amdhsa_exception_int_div_zero 0
	.end_amdhsa_kernel
	.section	.text._ZN7rocprim17ROCPRIM_400000_NS6detail17trampoline_kernelINS0_14default_configENS1_35radix_sort_onesweep_config_selectorIilEEZNS1_34radix_sort_onesweep_global_offsetsIS3_Lb0EPiN6thrust23THRUST_200600_302600_NS10device_ptrIlEEjNS0_19identity_decomposerEEE10hipError_tT1_T2_PT3_SG_jT4_jjP12ihipStream_tbEUlT_E0_NS1_11comp_targetILNS1_3genE0ELNS1_11target_archE4294967295ELNS1_3gpuE0ELNS1_3repE0EEENS1_52radix_sort_onesweep_histogram_config_static_selectorELNS0_4arch9wavefront6targetE1EEEvSE_,"axG",@progbits,_ZN7rocprim17ROCPRIM_400000_NS6detail17trampoline_kernelINS0_14default_configENS1_35radix_sort_onesweep_config_selectorIilEEZNS1_34radix_sort_onesweep_global_offsetsIS3_Lb0EPiN6thrust23THRUST_200600_302600_NS10device_ptrIlEEjNS0_19identity_decomposerEEE10hipError_tT1_T2_PT3_SG_jT4_jjP12ihipStream_tbEUlT_E0_NS1_11comp_targetILNS1_3genE0ELNS1_11target_archE4294967295ELNS1_3gpuE0ELNS1_3repE0EEENS1_52radix_sort_onesweep_histogram_config_static_selectorELNS0_4arch9wavefront6targetE1EEEvSE_,comdat
.Lfunc_end857:
	.size	_ZN7rocprim17ROCPRIM_400000_NS6detail17trampoline_kernelINS0_14default_configENS1_35radix_sort_onesweep_config_selectorIilEEZNS1_34radix_sort_onesweep_global_offsetsIS3_Lb0EPiN6thrust23THRUST_200600_302600_NS10device_ptrIlEEjNS0_19identity_decomposerEEE10hipError_tT1_T2_PT3_SG_jT4_jjP12ihipStream_tbEUlT_E0_NS1_11comp_targetILNS1_3genE0ELNS1_11target_archE4294967295ELNS1_3gpuE0ELNS1_3repE0EEENS1_52radix_sort_onesweep_histogram_config_static_selectorELNS0_4arch9wavefront6targetE1EEEvSE_, .Lfunc_end857-_ZN7rocprim17ROCPRIM_400000_NS6detail17trampoline_kernelINS0_14default_configENS1_35radix_sort_onesweep_config_selectorIilEEZNS1_34radix_sort_onesweep_global_offsetsIS3_Lb0EPiN6thrust23THRUST_200600_302600_NS10device_ptrIlEEjNS0_19identity_decomposerEEE10hipError_tT1_T2_PT3_SG_jT4_jjP12ihipStream_tbEUlT_E0_NS1_11comp_targetILNS1_3genE0ELNS1_11target_archE4294967295ELNS1_3gpuE0ELNS1_3repE0EEENS1_52radix_sort_onesweep_histogram_config_static_selectorELNS0_4arch9wavefront6targetE1EEEvSE_
                                        ; -- End function
	.set _ZN7rocprim17ROCPRIM_400000_NS6detail17trampoline_kernelINS0_14default_configENS1_35radix_sort_onesweep_config_selectorIilEEZNS1_34radix_sort_onesweep_global_offsetsIS3_Lb0EPiN6thrust23THRUST_200600_302600_NS10device_ptrIlEEjNS0_19identity_decomposerEEE10hipError_tT1_T2_PT3_SG_jT4_jjP12ihipStream_tbEUlT_E0_NS1_11comp_targetILNS1_3genE0ELNS1_11target_archE4294967295ELNS1_3gpuE0ELNS1_3repE0EEENS1_52radix_sort_onesweep_histogram_config_static_selectorELNS0_4arch9wavefront6targetE1EEEvSE_.num_vgpr, 0
	.set _ZN7rocprim17ROCPRIM_400000_NS6detail17trampoline_kernelINS0_14default_configENS1_35radix_sort_onesweep_config_selectorIilEEZNS1_34radix_sort_onesweep_global_offsetsIS3_Lb0EPiN6thrust23THRUST_200600_302600_NS10device_ptrIlEEjNS0_19identity_decomposerEEE10hipError_tT1_T2_PT3_SG_jT4_jjP12ihipStream_tbEUlT_E0_NS1_11comp_targetILNS1_3genE0ELNS1_11target_archE4294967295ELNS1_3gpuE0ELNS1_3repE0EEENS1_52radix_sort_onesweep_histogram_config_static_selectorELNS0_4arch9wavefront6targetE1EEEvSE_.num_agpr, 0
	.set _ZN7rocprim17ROCPRIM_400000_NS6detail17trampoline_kernelINS0_14default_configENS1_35radix_sort_onesweep_config_selectorIilEEZNS1_34radix_sort_onesweep_global_offsetsIS3_Lb0EPiN6thrust23THRUST_200600_302600_NS10device_ptrIlEEjNS0_19identity_decomposerEEE10hipError_tT1_T2_PT3_SG_jT4_jjP12ihipStream_tbEUlT_E0_NS1_11comp_targetILNS1_3genE0ELNS1_11target_archE4294967295ELNS1_3gpuE0ELNS1_3repE0EEENS1_52radix_sort_onesweep_histogram_config_static_selectorELNS0_4arch9wavefront6targetE1EEEvSE_.numbered_sgpr, 0
	.set _ZN7rocprim17ROCPRIM_400000_NS6detail17trampoline_kernelINS0_14default_configENS1_35radix_sort_onesweep_config_selectorIilEEZNS1_34radix_sort_onesweep_global_offsetsIS3_Lb0EPiN6thrust23THRUST_200600_302600_NS10device_ptrIlEEjNS0_19identity_decomposerEEE10hipError_tT1_T2_PT3_SG_jT4_jjP12ihipStream_tbEUlT_E0_NS1_11comp_targetILNS1_3genE0ELNS1_11target_archE4294967295ELNS1_3gpuE0ELNS1_3repE0EEENS1_52radix_sort_onesweep_histogram_config_static_selectorELNS0_4arch9wavefront6targetE1EEEvSE_.num_named_barrier, 0
	.set _ZN7rocprim17ROCPRIM_400000_NS6detail17trampoline_kernelINS0_14default_configENS1_35radix_sort_onesweep_config_selectorIilEEZNS1_34radix_sort_onesweep_global_offsetsIS3_Lb0EPiN6thrust23THRUST_200600_302600_NS10device_ptrIlEEjNS0_19identity_decomposerEEE10hipError_tT1_T2_PT3_SG_jT4_jjP12ihipStream_tbEUlT_E0_NS1_11comp_targetILNS1_3genE0ELNS1_11target_archE4294967295ELNS1_3gpuE0ELNS1_3repE0EEENS1_52radix_sort_onesweep_histogram_config_static_selectorELNS0_4arch9wavefront6targetE1EEEvSE_.private_seg_size, 0
	.set _ZN7rocprim17ROCPRIM_400000_NS6detail17trampoline_kernelINS0_14default_configENS1_35radix_sort_onesweep_config_selectorIilEEZNS1_34radix_sort_onesweep_global_offsetsIS3_Lb0EPiN6thrust23THRUST_200600_302600_NS10device_ptrIlEEjNS0_19identity_decomposerEEE10hipError_tT1_T2_PT3_SG_jT4_jjP12ihipStream_tbEUlT_E0_NS1_11comp_targetILNS1_3genE0ELNS1_11target_archE4294967295ELNS1_3gpuE0ELNS1_3repE0EEENS1_52radix_sort_onesweep_histogram_config_static_selectorELNS0_4arch9wavefront6targetE1EEEvSE_.uses_vcc, 0
	.set _ZN7rocprim17ROCPRIM_400000_NS6detail17trampoline_kernelINS0_14default_configENS1_35radix_sort_onesweep_config_selectorIilEEZNS1_34radix_sort_onesweep_global_offsetsIS3_Lb0EPiN6thrust23THRUST_200600_302600_NS10device_ptrIlEEjNS0_19identity_decomposerEEE10hipError_tT1_T2_PT3_SG_jT4_jjP12ihipStream_tbEUlT_E0_NS1_11comp_targetILNS1_3genE0ELNS1_11target_archE4294967295ELNS1_3gpuE0ELNS1_3repE0EEENS1_52radix_sort_onesweep_histogram_config_static_selectorELNS0_4arch9wavefront6targetE1EEEvSE_.uses_flat_scratch, 0
	.set _ZN7rocprim17ROCPRIM_400000_NS6detail17trampoline_kernelINS0_14default_configENS1_35radix_sort_onesweep_config_selectorIilEEZNS1_34radix_sort_onesweep_global_offsetsIS3_Lb0EPiN6thrust23THRUST_200600_302600_NS10device_ptrIlEEjNS0_19identity_decomposerEEE10hipError_tT1_T2_PT3_SG_jT4_jjP12ihipStream_tbEUlT_E0_NS1_11comp_targetILNS1_3genE0ELNS1_11target_archE4294967295ELNS1_3gpuE0ELNS1_3repE0EEENS1_52radix_sort_onesweep_histogram_config_static_selectorELNS0_4arch9wavefront6targetE1EEEvSE_.has_dyn_sized_stack, 0
	.set _ZN7rocprim17ROCPRIM_400000_NS6detail17trampoline_kernelINS0_14default_configENS1_35radix_sort_onesweep_config_selectorIilEEZNS1_34radix_sort_onesweep_global_offsetsIS3_Lb0EPiN6thrust23THRUST_200600_302600_NS10device_ptrIlEEjNS0_19identity_decomposerEEE10hipError_tT1_T2_PT3_SG_jT4_jjP12ihipStream_tbEUlT_E0_NS1_11comp_targetILNS1_3genE0ELNS1_11target_archE4294967295ELNS1_3gpuE0ELNS1_3repE0EEENS1_52radix_sort_onesweep_histogram_config_static_selectorELNS0_4arch9wavefront6targetE1EEEvSE_.has_recursion, 0
	.set _ZN7rocprim17ROCPRIM_400000_NS6detail17trampoline_kernelINS0_14default_configENS1_35radix_sort_onesweep_config_selectorIilEEZNS1_34radix_sort_onesweep_global_offsetsIS3_Lb0EPiN6thrust23THRUST_200600_302600_NS10device_ptrIlEEjNS0_19identity_decomposerEEE10hipError_tT1_T2_PT3_SG_jT4_jjP12ihipStream_tbEUlT_E0_NS1_11comp_targetILNS1_3genE0ELNS1_11target_archE4294967295ELNS1_3gpuE0ELNS1_3repE0EEENS1_52radix_sort_onesweep_histogram_config_static_selectorELNS0_4arch9wavefront6targetE1EEEvSE_.has_indirect_call, 0
	.section	.AMDGPU.csdata,"",@progbits
; Kernel info:
; codeLenInByte = 0
; TotalNumSgprs: 4
; NumVgprs: 0
; ScratchSize: 0
; MemoryBound: 0
; FloatMode: 240
; IeeeMode: 1
; LDSByteSize: 0 bytes/workgroup (compile time only)
; SGPRBlocks: 0
; VGPRBlocks: 0
; NumSGPRsForWavesPerEU: 4
; NumVGPRsForWavesPerEU: 1
; Occupancy: 10
; WaveLimiterHint : 0
; COMPUTE_PGM_RSRC2:SCRATCH_EN: 0
; COMPUTE_PGM_RSRC2:USER_SGPR: 6
; COMPUTE_PGM_RSRC2:TRAP_HANDLER: 0
; COMPUTE_PGM_RSRC2:TGID_X_EN: 1
; COMPUTE_PGM_RSRC2:TGID_Y_EN: 0
; COMPUTE_PGM_RSRC2:TGID_Z_EN: 0
; COMPUTE_PGM_RSRC2:TIDIG_COMP_CNT: 0
	.section	.text._ZN7rocprim17ROCPRIM_400000_NS6detail17trampoline_kernelINS0_14default_configENS1_35radix_sort_onesweep_config_selectorIilEEZNS1_34radix_sort_onesweep_global_offsetsIS3_Lb0EPiN6thrust23THRUST_200600_302600_NS10device_ptrIlEEjNS0_19identity_decomposerEEE10hipError_tT1_T2_PT3_SG_jT4_jjP12ihipStream_tbEUlT_E0_NS1_11comp_targetILNS1_3genE6ELNS1_11target_archE950ELNS1_3gpuE13ELNS1_3repE0EEENS1_52radix_sort_onesweep_histogram_config_static_selectorELNS0_4arch9wavefront6targetE1EEEvSE_,"axG",@progbits,_ZN7rocprim17ROCPRIM_400000_NS6detail17trampoline_kernelINS0_14default_configENS1_35radix_sort_onesweep_config_selectorIilEEZNS1_34radix_sort_onesweep_global_offsetsIS3_Lb0EPiN6thrust23THRUST_200600_302600_NS10device_ptrIlEEjNS0_19identity_decomposerEEE10hipError_tT1_T2_PT3_SG_jT4_jjP12ihipStream_tbEUlT_E0_NS1_11comp_targetILNS1_3genE6ELNS1_11target_archE950ELNS1_3gpuE13ELNS1_3repE0EEENS1_52radix_sort_onesweep_histogram_config_static_selectorELNS0_4arch9wavefront6targetE1EEEvSE_,comdat
	.protected	_ZN7rocprim17ROCPRIM_400000_NS6detail17trampoline_kernelINS0_14default_configENS1_35radix_sort_onesweep_config_selectorIilEEZNS1_34radix_sort_onesweep_global_offsetsIS3_Lb0EPiN6thrust23THRUST_200600_302600_NS10device_ptrIlEEjNS0_19identity_decomposerEEE10hipError_tT1_T2_PT3_SG_jT4_jjP12ihipStream_tbEUlT_E0_NS1_11comp_targetILNS1_3genE6ELNS1_11target_archE950ELNS1_3gpuE13ELNS1_3repE0EEENS1_52radix_sort_onesweep_histogram_config_static_selectorELNS0_4arch9wavefront6targetE1EEEvSE_ ; -- Begin function _ZN7rocprim17ROCPRIM_400000_NS6detail17trampoline_kernelINS0_14default_configENS1_35radix_sort_onesweep_config_selectorIilEEZNS1_34radix_sort_onesweep_global_offsetsIS3_Lb0EPiN6thrust23THRUST_200600_302600_NS10device_ptrIlEEjNS0_19identity_decomposerEEE10hipError_tT1_T2_PT3_SG_jT4_jjP12ihipStream_tbEUlT_E0_NS1_11comp_targetILNS1_3genE6ELNS1_11target_archE950ELNS1_3gpuE13ELNS1_3repE0EEENS1_52radix_sort_onesweep_histogram_config_static_selectorELNS0_4arch9wavefront6targetE1EEEvSE_
	.globl	_ZN7rocprim17ROCPRIM_400000_NS6detail17trampoline_kernelINS0_14default_configENS1_35radix_sort_onesweep_config_selectorIilEEZNS1_34radix_sort_onesweep_global_offsetsIS3_Lb0EPiN6thrust23THRUST_200600_302600_NS10device_ptrIlEEjNS0_19identity_decomposerEEE10hipError_tT1_T2_PT3_SG_jT4_jjP12ihipStream_tbEUlT_E0_NS1_11comp_targetILNS1_3genE6ELNS1_11target_archE950ELNS1_3gpuE13ELNS1_3repE0EEENS1_52radix_sort_onesweep_histogram_config_static_selectorELNS0_4arch9wavefront6targetE1EEEvSE_
	.p2align	8
	.type	_ZN7rocprim17ROCPRIM_400000_NS6detail17trampoline_kernelINS0_14default_configENS1_35radix_sort_onesweep_config_selectorIilEEZNS1_34radix_sort_onesweep_global_offsetsIS3_Lb0EPiN6thrust23THRUST_200600_302600_NS10device_ptrIlEEjNS0_19identity_decomposerEEE10hipError_tT1_T2_PT3_SG_jT4_jjP12ihipStream_tbEUlT_E0_NS1_11comp_targetILNS1_3genE6ELNS1_11target_archE950ELNS1_3gpuE13ELNS1_3repE0EEENS1_52radix_sort_onesweep_histogram_config_static_selectorELNS0_4arch9wavefront6targetE1EEEvSE_,@function
_ZN7rocprim17ROCPRIM_400000_NS6detail17trampoline_kernelINS0_14default_configENS1_35radix_sort_onesweep_config_selectorIilEEZNS1_34radix_sort_onesweep_global_offsetsIS3_Lb0EPiN6thrust23THRUST_200600_302600_NS10device_ptrIlEEjNS0_19identity_decomposerEEE10hipError_tT1_T2_PT3_SG_jT4_jjP12ihipStream_tbEUlT_E0_NS1_11comp_targetILNS1_3genE6ELNS1_11target_archE950ELNS1_3gpuE13ELNS1_3repE0EEENS1_52radix_sort_onesweep_histogram_config_static_selectorELNS0_4arch9wavefront6targetE1EEEvSE_: ; @_ZN7rocprim17ROCPRIM_400000_NS6detail17trampoline_kernelINS0_14default_configENS1_35radix_sort_onesweep_config_selectorIilEEZNS1_34radix_sort_onesweep_global_offsetsIS3_Lb0EPiN6thrust23THRUST_200600_302600_NS10device_ptrIlEEjNS0_19identity_decomposerEEE10hipError_tT1_T2_PT3_SG_jT4_jjP12ihipStream_tbEUlT_E0_NS1_11comp_targetILNS1_3genE6ELNS1_11target_archE950ELNS1_3gpuE13ELNS1_3repE0EEENS1_52radix_sort_onesweep_histogram_config_static_selectorELNS0_4arch9wavefront6targetE1EEEvSE_
; %bb.0:
	.section	.rodata,"a",@progbits
	.p2align	6, 0x0
	.amdhsa_kernel _ZN7rocprim17ROCPRIM_400000_NS6detail17trampoline_kernelINS0_14default_configENS1_35radix_sort_onesweep_config_selectorIilEEZNS1_34radix_sort_onesweep_global_offsetsIS3_Lb0EPiN6thrust23THRUST_200600_302600_NS10device_ptrIlEEjNS0_19identity_decomposerEEE10hipError_tT1_T2_PT3_SG_jT4_jjP12ihipStream_tbEUlT_E0_NS1_11comp_targetILNS1_3genE6ELNS1_11target_archE950ELNS1_3gpuE13ELNS1_3repE0EEENS1_52radix_sort_onesweep_histogram_config_static_selectorELNS0_4arch9wavefront6targetE1EEEvSE_
		.amdhsa_group_segment_fixed_size 0
		.amdhsa_private_segment_fixed_size 0
		.amdhsa_kernarg_size 8
		.amdhsa_user_sgpr_count 6
		.amdhsa_user_sgpr_private_segment_buffer 1
		.amdhsa_user_sgpr_dispatch_ptr 0
		.amdhsa_user_sgpr_queue_ptr 0
		.amdhsa_user_sgpr_kernarg_segment_ptr 1
		.amdhsa_user_sgpr_dispatch_id 0
		.amdhsa_user_sgpr_flat_scratch_init 0
		.amdhsa_user_sgpr_private_segment_size 0
		.amdhsa_uses_dynamic_stack 0
		.amdhsa_system_sgpr_private_segment_wavefront_offset 0
		.amdhsa_system_sgpr_workgroup_id_x 1
		.amdhsa_system_sgpr_workgroup_id_y 0
		.amdhsa_system_sgpr_workgroup_id_z 0
		.amdhsa_system_sgpr_workgroup_info 0
		.amdhsa_system_vgpr_workitem_id 0
		.amdhsa_next_free_vgpr 1
		.amdhsa_next_free_sgpr 0
		.amdhsa_reserve_vcc 0
		.amdhsa_reserve_flat_scratch 0
		.amdhsa_float_round_mode_32 0
		.amdhsa_float_round_mode_16_64 0
		.amdhsa_float_denorm_mode_32 3
		.amdhsa_float_denorm_mode_16_64 3
		.amdhsa_dx10_clamp 1
		.amdhsa_ieee_mode 1
		.amdhsa_fp16_overflow 0
		.amdhsa_exception_fp_ieee_invalid_op 0
		.amdhsa_exception_fp_denorm_src 0
		.amdhsa_exception_fp_ieee_div_zero 0
		.amdhsa_exception_fp_ieee_overflow 0
		.amdhsa_exception_fp_ieee_underflow 0
		.amdhsa_exception_fp_ieee_inexact 0
		.amdhsa_exception_int_div_zero 0
	.end_amdhsa_kernel
	.section	.text._ZN7rocprim17ROCPRIM_400000_NS6detail17trampoline_kernelINS0_14default_configENS1_35radix_sort_onesweep_config_selectorIilEEZNS1_34radix_sort_onesweep_global_offsetsIS3_Lb0EPiN6thrust23THRUST_200600_302600_NS10device_ptrIlEEjNS0_19identity_decomposerEEE10hipError_tT1_T2_PT3_SG_jT4_jjP12ihipStream_tbEUlT_E0_NS1_11comp_targetILNS1_3genE6ELNS1_11target_archE950ELNS1_3gpuE13ELNS1_3repE0EEENS1_52radix_sort_onesweep_histogram_config_static_selectorELNS0_4arch9wavefront6targetE1EEEvSE_,"axG",@progbits,_ZN7rocprim17ROCPRIM_400000_NS6detail17trampoline_kernelINS0_14default_configENS1_35radix_sort_onesweep_config_selectorIilEEZNS1_34radix_sort_onesweep_global_offsetsIS3_Lb0EPiN6thrust23THRUST_200600_302600_NS10device_ptrIlEEjNS0_19identity_decomposerEEE10hipError_tT1_T2_PT3_SG_jT4_jjP12ihipStream_tbEUlT_E0_NS1_11comp_targetILNS1_3genE6ELNS1_11target_archE950ELNS1_3gpuE13ELNS1_3repE0EEENS1_52radix_sort_onesweep_histogram_config_static_selectorELNS0_4arch9wavefront6targetE1EEEvSE_,comdat
.Lfunc_end858:
	.size	_ZN7rocprim17ROCPRIM_400000_NS6detail17trampoline_kernelINS0_14default_configENS1_35radix_sort_onesweep_config_selectorIilEEZNS1_34radix_sort_onesweep_global_offsetsIS3_Lb0EPiN6thrust23THRUST_200600_302600_NS10device_ptrIlEEjNS0_19identity_decomposerEEE10hipError_tT1_T2_PT3_SG_jT4_jjP12ihipStream_tbEUlT_E0_NS1_11comp_targetILNS1_3genE6ELNS1_11target_archE950ELNS1_3gpuE13ELNS1_3repE0EEENS1_52radix_sort_onesweep_histogram_config_static_selectorELNS0_4arch9wavefront6targetE1EEEvSE_, .Lfunc_end858-_ZN7rocprim17ROCPRIM_400000_NS6detail17trampoline_kernelINS0_14default_configENS1_35radix_sort_onesweep_config_selectorIilEEZNS1_34radix_sort_onesweep_global_offsetsIS3_Lb0EPiN6thrust23THRUST_200600_302600_NS10device_ptrIlEEjNS0_19identity_decomposerEEE10hipError_tT1_T2_PT3_SG_jT4_jjP12ihipStream_tbEUlT_E0_NS1_11comp_targetILNS1_3genE6ELNS1_11target_archE950ELNS1_3gpuE13ELNS1_3repE0EEENS1_52radix_sort_onesweep_histogram_config_static_selectorELNS0_4arch9wavefront6targetE1EEEvSE_
                                        ; -- End function
	.set _ZN7rocprim17ROCPRIM_400000_NS6detail17trampoline_kernelINS0_14default_configENS1_35radix_sort_onesweep_config_selectorIilEEZNS1_34radix_sort_onesweep_global_offsetsIS3_Lb0EPiN6thrust23THRUST_200600_302600_NS10device_ptrIlEEjNS0_19identity_decomposerEEE10hipError_tT1_T2_PT3_SG_jT4_jjP12ihipStream_tbEUlT_E0_NS1_11comp_targetILNS1_3genE6ELNS1_11target_archE950ELNS1_3gpuE13ELNS1_3repE0EEENS1_52radix_sort_onesweep_histogram_config_static_selectorELNS0_4arch9wavefront6targetE1EEEvSE_.num_vgpr, 0
	.set _ZN7rocprim17ROCPRIM_400000_NS6detail17trampoline_kernelINS0_14default_configENS1_35radix_sort_onesweep_config_selectorIilEEZNS1_34radix_sort_onesweep_global_offsetsIS3_Lb0EPiN6thrust23THRUST_200600_302600_NS10device_ptrIlEEjNS0_19identity_decomposerEEE10hipError_tT1_T2_PT3_SG_jT4_jjP12ihipStream_tbEUlT_E0_NS1_11comp_targetILNS1_3genE6ELNS1_11target_archE950ELNS1_3gpuE13ELNS1_3repE0EEENS1_52radix_sort_onesweep_histogram_config_static_selectorELNS0_4arch9wavefront6targetE1EEEvSE_.num_agpr, 0
	.set _ZN7rocprim17ROCPRIM_400000_NS6detail17trampoline_kernelINS0_14default_configENS1_35radix_sort_onesweep_config_selectorIilEEZNS1_34radix_sort_onesweep_global_offsetsIS3_Lb0EPiN6thrust23THRUST_200600_302600_NS10device_ptrIlEEjNS0_19identity_decomposerEEE10hipError_tT1_T2_PT3_SG_jT4_jjP12ihipStream_tbEUlT_E0_NS1_11comp_targetILNS1_3genE6ELNS1_11target_archE950ELNS1_3gpuE13ELNS1_3repE0EEENS1_52radix_sort_onesweep_histogram_config_static_selectorELNS0_4arch9wavefront6targetE1EEEvSE_.numbered_sgpr, 0
	.set _ZN7rocprim17ROCPRIM_400000_NS6detail17trampoline_kernelINS0_14default_configENS1_35radix_sort_onesweep_config_selectorIilEEZNS1_34radix_sort_onesweep_global_offsetsIS3_Lb0EPiN6thrust23THRUST_200600_302600_NS10device_ptrIlEEjNS0_19identity_decomposerEEE10hipError_tT1_T2_PT3_SG_jT4_jjP12ihipStream_tbEUlT_E0_NS1_11comp_targetILNS1_3genE6ELNS1_11target_archE950ELNS1_3gpuE13ELNS1_3repE0EEENS1_52radix_sort_onesweep_histogram_config_static_selectorELNS0_4arch9wavefront6targetE1EEEvSE_.num_named_barrier, 0
	.set _ZN7rocprim17ROCPRIM_400000_NS6detail17trampoline_kernelINS0_14default_configENS1_35radix_sort_onesweep_config_selectorIilEEZNS1_34radix_sort_onesweep_global_offsetsIS3_Lb0EPiN6thrust23THRUST_200600_302600_NS10device_ptrIlEEjNS0_19identity_decomposerEEE10hipError_tT1_T2_PT3_SG_jT4_jjP12ihipStream_tbEUlT_E0_NS1_11comp_targetILNS1_3genE6ELNS1_11target_archE950ELNS1_3gpuE13ELNS1_3repE0EEENS1_52radix_sort_onesweep_histogram_config_static_selectorELNS0_4arch9wavefront6targetE1EEEvSE_.private_seg_size, 0
	.set _ZN7rocprim17ROCPRIM_400000_NS6detail17trampoline_kernelINS0_14default_configENS1_35radix_sort_onesweep_config_selectorIilEEZNS1_34radix_sort_onesweep_global_offsetsIS3_Lb0EPiN6thrust23THRUST_200600_302600_NS10device_ptrIlEEjNS0_19identity_decomposerEEE10hipError_tT1_T2_PT3_SG_jT4_jjP12ihipStream_tbEUlT_E0_NS1_11comp_targetILNS1_3genE6ELNS1_11target_archE950ELNS1_3gpuE13ELNS1_3repE0EEENS1_52radix_sort_onesweep_histogram_config_static_selectorELNS0_4arch9wavefront6targetE1EEEvSE_.uses_vcc, 0
	.set _ZN7rocprim17ROCPRIM_400000_NS6detail17trampoline_kernelINS0_14default_configENS1_35radix_sort_onesweep_config_selectorIilEEZNS1_34radix_sort_onesweep_global_offsetsIS3_Lb0EPiN6thrust23THRUST_200600_302600_NS10device_ptrIlEEjNS0_19identity_decomposerEEE10hipError_tT1_T2_PT3_SG_jT4_jjP12ihipStream_tbEUlT_E0_NS1_11comp_targetILNS1_3genE6ELNS1_11target_archE950ELNS1_3gpuE13ELNS1_3repE0EEENS1_52radix_sort_onesweep_histogram_config_static_selectorELNS0_4arch9wavefront6targetE1EEEvSE_.uses_flat_scratch, 0
	.set _ZN7rocprim17ROCPRIM_400000_NS6detail17trampoline_kernelINS0_14default_configENS1_35radix_sort_onesweep_config_selectorIilEEZNS1_34radix_sort_onesweep_global_offsetsIS3_Lb0EPiN6thrust23THRUST_200600_302600_NS10device_ptrIlEEjNS0_19identity_decomposerEEE10hipError_tT1_T2_PT3_SG_jT4_jjP12ihipStream_tbEUlT_E0_NS1_11comp_targetILNS1_3genE6ELNS1_11target_archE950ELNS1_3gpuE13ELNS1_3repE0EEENS1_52radix_sort_onesweep_histogram_config_static_selectorELNS0_4arch9wavefront6targetE1EEEvSE_.has_dyn_sized_stack, 0
	.set _ZN7rocprim17ROCPRIM_400000_NS6detail17trampoline_kernelINS0_14default_configENS1_35radix_sort_onesweep_config_selectorIilEEZNS1_34radix_sort_onesweep_global_offsetsIS3_Lb0EPiN6thrust23THRUST_200600_302600_NS10device_ptrIlEEjNS0_19identity_decomposerEEE10hipError_tT1_T2_PT3_SG_jT4_jjP12ihipStream_tbEUlT_E0_NS1_11comp_targetILNS1_3genE6ELNS1_11target_archE950ELNS1_3gpuE13ELNS1_3repE0EEENS1_52radix_sort_onesweep_histogram_config_static_selectorELNS0_4arch9wavefront6targetE1EEEvSE_.has_recursion, 0
	.set _ZN7rocprim17ROCPRIM_400000_NS6detail17trampoline_kernelINS0_14default_configENS1_35radix_sort_onesweep_config_selectorIilEEZNS1_34radix_sort_onesweep_global_offsetsIS3_Lb0EPiN6thrust23THRUST_200600_302600_NS10device_ptrIlEEjNS0_19identity_decomposerEEE10hipError_tT1_T2_PT3_SG_jT4_jjP12ihipStream_tbEUlT_E0_NS1_11comp_targetILNS1_3genE6ELNS1_11target_archE950ELNS1_3gpuE13ELNS1_3repE0EEENS1_52radix_sort_onesweep_histogram_config_static_selectorELNS0_4arch9wavefront6targetE1EEEvSE_.has_indirect_call, 0
	.section	.AMDGPU.csdata,"",@progbits
; Kernel info:
; codeLenInByte = 0
; TotalNumSgprs: 4
; NumVgprs: 0
; ScratchSize: 0
; MemoryBound: 0
; FloatMode: 240
; IeeeMode: 1
; LDSByteSize: 0 bytes/workgroup (compile time only)
; SGPRBlocks: 0
; VGPRBlocks: 0
; NumSGPRsForWavesPerEU: 4
; NumVGPRsForWavesPerEU: 1
; Occupancy: 10
; WaveLimiterHint : 0
; COMPUTE_PGM_RSRC2:SCRATCH_EN: 0
; COMPUTE_PGM_RSRC2:USER_SGPR: 6
; COMPUTE_PGM_RSRC2:TRAP_HANDLER: 0
; COMPUTE_PGM_RSRC2:TGID_X_EN: 1
; COMPUTE_PGM_RSRC2:TGID_Y_EN: 0
; COMPUTE_PGM_RSRC2:TGID_Z_EN: 0
; COMPUTE_PGM_RSRC2:TIDIG_COMP_CNT: 0
	.section	.text._ZN7rocprim17ROCPRIM_400000_NS6detail17trampoline_kernelINS0_14default_configENS1_35radix_sort_onesweep_config_selectorIilEEZNS1_34radix_sort_onesweep_global_offsetsIS3_Lb0EPiN6thrust23THRUST_200600_302600_NS10device_ptrIlEEjNS0_19identity_decomposerEEE10hipError_tT1_T2_PT3_SG_jT4_jjP12ihipStream_tbEUlT_E0_NS1_11comp_targetILNS1_3genE5ELNS1_11target_archE942ELNS1_3gpuE9ELNS1_3repE0EEENS1_52radix_sort_onesweep_histogram_config_static_selectorELNS0_4arch9wavefront6targetE1EEEvSE_,"axG",@progbits,_ZN7rocprim17ROCPRIM_400000_NS6detail17trampoline_kernelINS0_14default_configENS1_35radix_sort_onesweep_config_selectorIilEEZNS1_34radix_sort_onesweep_global_offsetsIS3_Lb0EPiN6thrust23THRUST_200600_302600_NS10device_ptrIlEEjNS0_19identity_decomposerEEE10hipError_tT1_T2_PT3_SG_jT4_jjP12ihipStream_tbEUlT_E0_NS1_11comp_targetILNS1_3genE5ELNS1_11target_archE942ELNS1_3gpuE9ELNS1_3repE0EEENS1_52radix_sort_onesweep_histogram_config_static_selectorELNS0_4arch9wavefront6targetE1EEEvSE_,comdat
	.protected	_ZN7rocprim17ROCPRIM_400000_NS6detail17trampoline_kernelINS0_14default_configENS1_35radix_sort_onesweep_config_selectorIilEEZNS1_34radix_sort_onesweep_global_offsetsIS3_Lb0EPiN6thrust23THRUST_200600_302600_NS10device_ptrIlEEjNS0_19identity_decomposerEEE10hipError_tT1_T2_PT3_SG_jT4_jjP12ihipStream_tbEUlT_E0_NS1_11comp_targetILNS1_3genE5ELNS1_11target_archE942ELNS1_3gpuE9ELNS1_3repE0EEENS1_52radix_sort_onesweep_histogram_config_static_selectorELNS0_4arch9wavefront6targetE1EEEvSE_ ; -- Begin function _ZN7rocprim17ROCPRIM_400000_NS6detail17trampoline_kernelINS0_14default_configENS1_35radix_sort_onesweep_config_selectorIilEEZNS1_34radix_sort_onesweep_global_offsetsIS3_Lb0EPiN6thrust23THRUST_200600_302600_NS10device_ptrIlEEjNS0_19identity_decomposerEEE10hipError_tT1_T2_PT3_SG_jT4_jjP12ihipStream_tbEUlT_E0_NS1_11comp_targetILNS1_3genE5ELNS1_11target_archE942ELNS1_3gpuE9ELNS1_3repE0EEENS1_52radix_sort_onesweep_histogram_config_static_selectorELNS0_4arch9wavefront6targetE1EEEvSE_
	.globl	_ZN7rocprim17ROCPRIM_400000_NS6detail17trampoline_kernelINS0_14default_configENS1_35radix_sort_onesweep_config_selectorIilEEZNS1_34radix_sort_onesweep_global_offsetsIS3_Lb0EPiN6thrust23THRUST_200600_302600_NS10device_ptrIlEEjNS0_19identity_decomposerEEE10hipError_tT1_T2_PT3_SG_jT4_jjP12ihipStream_tbEUlT_E0_NS1_11comp_targetILNS1_3genE5ELNS1_11target_archE942ELNS1_3gpuE9ELNS1_3repE0EEENS1_52radix_sort_onesweep_histogram_config_static_selectorELNS0_4arch9wavefront6targetE1EEEvSE_
	.p2align	8
	.type	_ZN7rocprim17ROCPRIM_400000_NS6detail17trampoline_kernelINS0_14default_configENS1_35radix_sort_onesweep_config_selectorIilEEZNS1_34radix_sort_onesweep_global_offsetsIS3_Lb0EPiN6thrust23THRUST_200600_302600_NS10device_ptrIlEEjNS0_19identity_decomposerEEE10hipError_tT1_T2_PT3_SG_jT4_jjP12ihipStream_tbEUlT_E0_NS1_11comp_targetILNS1_3genE5ELNS1_11target_archE942ELNS1_3gpuE9ELNS1_3repE0EEENS1_52radix_sort_onesweep_histogram_config_static_selectorELNS0_4arch9wavefront6targetE1EEEvSE_,@function
_ZN7rocprim17ROCPRIM_400000_NS6detail17trampoline_kernelINS0_14default_configENS1_35radix_sort_onesweep_config_selectorIilEEZNS1_34radix_sort_onesweep_global_offsetsIS3_Lb0EPiN6thrust23THRUST_200600_302600_NS10device_ptrIlEEjNS0_19identity_decomposerEEE10hipError_tT1_T2_PT3_SG_jT4_jjP12ihipStream_tbEUlT_E0_NS1_11comp_targetILNS1_3genE5ELNS1_11target_archE942ELNS1_3gpuE9ELNS1_3repE0EEENS1_52radix_sort_onesweep_histogram_config_static_selectorELNS0_4arch9wavefront6targetE1EEEvSE_: ; @_ZN7rocprim17ROCPRIM_400000_NS6detail17trampoline_kernelINS0_14default_configENS1_35radix_sort_onesweep_config_selectorIilEEZNS1_34radix_sort_onesweep_global_offsetsIS3_Lb0EPiN6thrust23THRUST_200600_302600_NS10device_ptrIlEEjNS0_19identity_decomposerEEE10hipError_tT1_T2_PT3_SG_jT4_jjP12ihipStream_tbEUlT_E0_NS1_11comp_targetILNS1_3genE5ELNS1_11target_archE942ELNS1_3gpuE9ELNS1_3repE0EEENS1_52radix_sort_onesweep_histogram_config_static_selectorELNS0_4arch9wavefront6targetE1EEEvSE_
; %bb.0:
	.section	.rodata,"a",@progbits
	.p2align	6, 0x0
	.amdhsa_kernel _ZN7rocprim17ROCPRIM_400000_NS6detail17trampoline_kernelINS0_14default_configENS1_35radix_sort_onesweep_config_selectorIilEEZNS1_34radix_sort_onesweep_global_offsetsIS3_Lb0EPiN6thrust23THRUST_200600_302600_NS10device_ptrIlEEjNS0_19identity_decomposerEEE10hipError_tT1_T2_PT3_SG_jT4_jjP12ihipStream_tbEUlT_E0_NS1_11comp_targetILNS1_3genE5ELNS1_11target_archE942ELNS1_3gpuE9ELNS1_3repE0EEENS1_52radix_sort_onesweep_histogram_config_static_selectorELNS0_4arch9wavefront6targetE1EEEvSE_
		.amdhsa_group_segment_fixed_size 0
		.amdhsa_private_segment_fixed_size 0
		.amdhsa_kernarg_size 8
		.amdhsa_user_sgpr_count 6
		.amdhsa_user_sgpr_private_segment_buffer 1
		.amdhsa_user_sgpr_dispatch_ptr 0
		.amdhsa_user_sgpr_queue_ptr 0
		.amdhsa_user_sgpr_kernarg_segment_ptr 1
		.amdhsa_user_sgpr_dispatch_id 0
		.amdhsa_user_sgpr_flat_scratch_init 0
		.amdhsa_user_sgpr_private_segment_size 0
		.amdhsa_uses_dynamic_stack 0
		.amdhsa_system_sgpr_private_segment_wavefront_offset 0
		.amdhsa_system_sgpr_workgroup_id_x 1
		.amdhsa_system_sgpr_workgroup_id_y 0
		.amdhsa_system_sgpr_workgroup_id_z 0
		.amdhsa_system_sgpr_workgroup_info 0
		.amdhsa_system_vgpr_workitem_id 0
		.amdhsa_next_free_vgpr 1
		.amdhsa_next_free_sgpr 0
		.amdhsa_reserve_vcc 0
		.amdhsa_reserve_flat_scratch 0
		.amdhsa_float_round_mode_32 0
		.amdhsa_float_round_mode_16_64 0
		.amdhsa_float_denorm_mode_32 3
		.amdhsa_float_denorm_mode_16_64 3
		.amdhsa_dx10_clamp 1
		.amdhsa_ieee_mode 1
		.amdhsa_fp16_overflow 0
		.amdhsa_exception_fp_ieee_invalid_op 0
		.amdhsa_exception_fp_denorm_src 0
		.amdhsa_exception_fp_ieee_div_zero 0
		.amdhsa_exception_fp_ieee_overflow 0
		.amdhsa_exception_fp_ieee_underflow 0
		.amdhsa_exception_fp_ieee_inexact 0
		.amdhsa_exception_int_div_zero 0
	.end_amdhsa_kernel
	.section	.text._ZN7rocprim17ROCPRIM_400000_NS6detail17trampoline_kernelINS0_14default_configENS1_35radix_sort_onesweep_config_selectorIilEEZNS1_34radix_sort_onesweep_global_offsetsIS3_Lb0EPiN6thrust23THRUST_200600_302600_NS10device_ptrIlEEjNS0_19identity_decomposerEEE10hipError_tT1_T2_PT3_SG_jT4_jjP12ihipStream_tbEUlT_E0_NS1_11comp_targetILNS1_3genE5ELNS1_11target_archE942ELNS1_3gpuE9ELNS1_3repE0EEENS1_52radix_sort_onesweep_histogram_config_static_selectorELNS0_4arch9wavefront6targetE1EEEvSE_,"axG",@progbits,_ZN7rocprim17ROCPRIM_400000_NS6detail17trampoline_kernelINS0_14default_configENS1_35radix_sort_onesweep_config_selectorIilEEZNS1_34radix_sort_onesweep_global_offsetsIS3_Lb0EPiN6thrust23THRUST_200600_302600_NS10device_ptrIlEEjNS0_19identity_decomposerEEE10hipError_tT1_T2_PT3_SG_jT4_jjP12ihipStream_tbEUlT_E0_NS1_11comp_targetILNS1_3genE5ELNS1_11target_archE942ELNS1_3gpuE9ELNS1_3repE0EEENS1_52radix_sort_onesweep_histogram_config_static_selectorELNS0_4arch9wavefront6targetE1EEEvSE_,comdat
.Lfunc_end859:
	.size	_ZN7rocprim17ROCPRIM_400000_NS6detail17trampoline_kernelINS0_14default_configENS1_35radix_sort_onesweep_config_selectorIilEEZNS1_34radix_sort_onesweep_global_offsetsIS3_Lb0EPiN6thrust23THRUST_200600_302600_NS10device_ptrIlEEjNS0_19identity_decomposerEEE10hipError_tT1_T2_PT3_SG_jT4_jjP12ihipStream_tbEUlT_E0_NS1_11comp_targetILNS1_3genE5ELNS1_11target_archE942ELNS1_3gpuE9ELNS1_3repE0EEENS1_52radix_sort_onesweep_histogram_config_static_selectorELNS0_4arch9wavefront6targetE1EEEvSE_, .Lfunc_end859-_ZN7rocprim17ROCPRIM_400000_NS6detail17trampoline_kernelINS0_14default_configENS1_35radix_sort_onesweep_config_selectorIilEEZNS1_34radix_sort_onesweep_global_offsetsIS3_Lb0EPiN6thrust23THRUST_200600_302600_NS10device_ptrIlEEjNS0_19identity_decomposerEEE10hipError_tT1_T2_PT3_SG_jT4_jjP12ihipStream_tbEUlT_E0_NS1_11comp_targetILNS1_3genE5ELNS1_11target_archE942ELNS1_3gpuE9ELNS1_3repE0EEENS1_52radix_sort_onesweep_histogram_config_static_selectorELNS0_4arch9wavefront6targetE1EEEvSE_
                                        ; -- End function
	.set _ZN7rocprim17ROCPRIM_400000_NS6detail17trampoline_kernelINS0_14default_configENS1_35radix_sort_onesweep_config_selectorIilEEZNS1_34radix_sort_onesweep_global_offsetsIS3_Lb0EPiN6thrust23THRUST_200600_302600_NS10device_ptrIlEEjNS0_19identity_decomposerEEE10hipError_tT1_T2_PT3_SG_jT4_jjP12ihipStream_tbEUlT_E0_NS1_11comp_targetILNS1_3genE5ELNS1_11target_archE942ELNS1_3gpuE9ELNS1_3repE0EEENS1_52radix_sort_onesweep_histogram_config_static_selectorELNS0_4arch9wavefront6targetE1EEEvSE_.num_vgpr, 0
	.set _ZN7rocprim17ROCPRIM_400000_NS6detail17trampoline_kernelINS0_14default_configENS1_35radix_sort_onesweep_config_selectorIilEEZNS1_34radix_sort_onesweep_global_offsetsIS3_Lb0EPiN6thrust23THRUST_200600_302600_NS10device_ptrIlEEjNS0_19identity_decomposerEEE10hipError_tT1_T2_PT3_SG_jT4_jjP12ihipStream_tbEUlT_E0_NS1_11comp_targetILNS1_3genE5ELNS1_11target_archE942ELNS1_3gpuE9ELNS1_3repE0EEENS1_52radix_sort_onesweep_histogram_config_static_selectorELNS0_4arch9wavefront6targetE1EEEvSE_.num_agpr, 0
	.set _ZN7rocprim17ROCPRIM_400000_NS6detail17trampoline_kernelINS0_14default_configENS1_35radix_sort_onesweep_config_selectorIilEEZNS1_34radix_sort_onesweep_global_offsetsIS3_Lb0EPiN6thrust23THRUST_200600_302600_NS10device_ptrIlEEjNS0_19identity_decomposerEEE10hipError_tT1_T2_PT3_SG_jT4_jjP12ihipStream_tbEUlT_E0_NS1_11comp_targetILNS1_3genE5ELNS1_11target_archE942ELNS1_3gpuE9ELNS1_3repE0EEENS1_52radix_sort_onesweep_histogram_config_static_selectorELNS0_4arch9wavefront6targetE1EEEvSE_.numbered_sgpr, 0
	.set _ZN7rocprim17ROCPRIM_400000_NS6detail17trampoline_kernelINS0_14default_configENS1_35radix_sort_onesweep_config_selectorIilEEZNS1_34radix_sort_onesweep_global_offsetsIS3_Lb0EPiN6thrust23THRUST_200600_302600_NS10device_ptrIlEEjNS0_19identity_decomposerEEE10hipError_tT1_T2_PT3_SG_jT4_jjP12ihipStream_tbEUlT_E0_NS1_11comp_targetILNS1_3genE5ELNS1_11target_archE942ELNS1_3gpuE9ELNS1_3repE0EEENS1_52radix_sort_onesweep_histogram_config_static_selectorELNS0_4arch9wavefront6targetE1EEEvSE_.num_named_barrier, 0
	.set _ZN7rocprim17ROCPRIM_400000_NS6detail17trampoline_kernelINS0_14default_configENS1_35radix_sort_onesweep_config_selectorIilEEZNS1_34radix_sort_onesweep_global_offsetsIS3_Lb0EPiN6thrust23THRUST_200600_302600_NS10device_ptrIlEEjNS0_19identity_decomposerEEE10hipError_tT1_T2_PT3_SG_jT4_jjP12ihipStream_tbEUlT_E0_NS1_11comp_targetILNS1_3genE5ELNS1_11target_archE942ELNS1_3gpuE9ELNS1_3repE0EEENS1_52radix_sort_onesweep_histogram_config_static_selectorELNS0_4arch9wavefront6targetE1EEEvSE_.private_seg_size, 0
	.set _ZN7rocprim17ROCPRIM_400000_NS6detail17trampoline_kernelINS0_14default_configENS1_35radix_sort_onesweep_config_selectorIilEEZNS1_34radix_sort_onesweep_global_offsetsIS3_Lb0EPiN6thrust23THRUST_200600_302600_NS10device_ptrIlEEjNS0_19identity_decomposerEEE10hipError_tT1_T2_PT3_SG_jT4_jjP12ihipStream_tbEUlT_E0_NS1_11comp_targetILNS1_3genE5ELNS1_11target_archE942ELNS1_3gpuE9ELNS1_3repE0EEENS1_52radix_sort_onesweep_histogram_config_static_selectorELNS0_4arch9wavefront6targetE1EEEvSE_.uses_vcc, 0
	.set _ZN7rocprim17ROCPRIM_400000_NS6detail17trampoline_kernelINS0_14default_configENS1_35radix_sort_onesweep_config_selectorIilEEZNS1_34radix_sort_onesweep_global_offsetsIS3_Lb0EPiN6thrust23THRUST_200600_302600_NS10device_ptrIlEEjNS0_19identity_decomposerEEE10hipError_tT1_T2_PT3_SG_jT4_jjP12ihipStream_tbEUlT_E0_NS1_11comp_targetILNS1_3genE5ELNS1_11target_archE942ELNS1_3gpuE9ELNS1_3repE0EEENS1_52radix_sort_onesweep_histogram_config_static_selectorELNS0_4arch9wavefront6targetE1EEEvSE_.uses_flat_scratch, 0
	.set _ZN7rocprim17ROCPRIM_400000_NS6detail17trampoline_kernelINS0_14default_configENS1_35radix_sort_onesweep_config_selectorIilEEZNS1_34radix_sort_onesweep_global_offsetsIS3_Lb0EPiN6thrust23THRUST_200600_302600_NS10device_ptrIlEEjNS0_19identity_decomposerEEE10hipError_tT1_T2_PT3_SG_jT4_jjP12ihipStream_tbEUlT_E0_NS1_11comp_targetILNS1_3genE5ELNS1_11target_archE942ELNS1_3gpuE9ELNS1_3repE0EEENS1_52radix_sort_onesweep_histogram_config_static_selectorELNS0_4arch9wavefront6targetE1EEEvSE_.has_dyn_sized_stack, 0
	.set _ZN7rocprim17ROCPRIM_400000_NS6detail17trampoline_kernelINS0_14default_configENS1_35radix_sort_onesweep_config_selectorIilEEZNS1_34radix_sort_onesweep_global_offsetsIS3_Lb0EPiN6thrust23THRUST_200600_302600_NS10device_ptrIlEEjNS0_19identity_decomposerEEE10hipError_tT1_T2_PT3_SG_jT4_jjP12ihipStream_tbEUlT_E0_NS1_11comp_targetILNS1_3genE5ELNS1_11target_archE942ELNS1_3gpuE9ELNS1_3repE0EEENS1_52radix_sort_onesweep_histogram_config_static_selectorELNS0_4arch9wavefront6targetE1EEEvSE_.has_recursion, 0
	.set _ZN7rocprim17ROCPRIM_400000_NS6detail17trampoline_kernelINS0_14default_configENS1_35radix_sort_onesweep_config_selectorIilEEZNS1_34radix_sort_onesweep_global_offsetsIS3_Lb0EPiN6thrust23THRUST_200600_302600_NS10device_ptrIlEEjNS0_19identity_decomposerEEE10hipError_tT1_T2_PT3_SG_jT4_jjP12ihipStream_tbEUlT_E0_NS1_11comp_targetILNS1_3genE5ELNS1_11target_archE942ELNS1_3gpuE9ELNS1_3repE0EEENS1_52radix_sort_onesweep_histogram_config_static_selectorELNS0_4arch9wavefront6targetE1EEEvSE_.has_indirect_call, 0
	.section	.AMDGPU.csdata,"",@progbits
; Kernel info:
; codeLenInByte = 0
; TotalNumSgprs: 4
; NumVgprs: 0
; ScratchSize: 0
; MemoryBound: 0
; FloatMode: 240
; IeeeMode: 1
; LDSByteSize: 0 bytes/workgroup (compile time only)
; SGPRBlocks: 0
; VGPRBlocks: 0
; NumSGPRsForWavesPerEU: 4
; NumVGPRsForWavesPerEU: 1
; Occupancy: 10
; WaveLimiterHint : 0
; COMPUTE_PGM_RSRC2:SCRATCH_EN: 0
; COMPUTE_PGM_RSRC2:USER_SGPR: 6
; COMPUTE_PGM_RSRC2:TRAP_HANDLER: 0
; COMPUTE_PGM_RSRC2:TGID_X_EN: 1
; COMPUTE_PGM_RSRC2:TGID_Y_EN: 0
; COMPUTE_PGM_RSRC2:TGID_Z_EN: 0
; COMPUTE_PGM_RSRC2:TIDIG_COMP_CNT: 0
	.section	.text._ZN7rocprim17ROCPRIM_400000_NS6detail17trampoline_kernelINS0_14default_configENS1_35radix_sort_onesweep_config_selectorIilEEZNS1_34radix_sort_onesweep_global_offsetsIS3_Lb0EPiN6thrust23THRUST_200600_302600_NS10device_ptrIlEEjNS0_19identity_decomposerEEE10hipError_tT1_T2_PT3_SG_jT4_jjP12ihipStream_tbEUlT_E0_NS1_11comp_targetILNS1_3genE2ELNS1_11target_archE906ELNS1_3gpuE6ELNS1_3repE0EEENS1_52radix_sort_onesweep_histogram_config_static_selectorELNS0_4arch9wavefront6targetE1EEEvSE_,"axG",@progbits,_ZN7rocprim17ROCPRIM_400000_NS6detail17trampoline_kernelINS0_14default_configENS1_35radix_sort_onesweep_config_selectorIilEEZNS1_34radix_sort_onesweep_global_offsetsIS3_Lb0EPiN6thrust23THRUST_200600_302600_NS10device_ptrIlEEjNS0_19identity_decomposerEEE10hipError_tT1_T2_PT3_SG_jT4_jjP12ihipStream_tbEUlT_E0_NS1_11comp_targetILNS1_3genE2ELNS1_11target_archE906ELNS1_3gpuE6ELNS1_3repE0EEENS1_52radix_sort_onesweep_histogram_config_static_selectorELNS0_4arch9wavefront6targetE1EEEvSE_,comdat
	.protected	_ZN7rocprim17ROCPRIM_400000_NS6detail17trampoline_kernelINS0_14default_configENS1_35radix_sort_onesweep_config_selectorIilEEZNS1_34radix_sort_onesweep_global_offsetsIS3_Lb0EPiN6thrust23THRUST_200600_302600_NS10device_ptrIlEEjNS0_19identity_decomposerEEE10hipError_tT1_T2_PT3_SG_jT4_jjP12ihipStream_tbEUlT_E0_NS1_11comp_targetILNS1_3genE2ELNS1_11target_archE906ELNS1_3gpuE6ELNS1_3repE0EEENS1_52radix_sort_onesweep_histogram_config_static_selectorELNS0_4arch9wavefront6targetE1EEEvSE_ ; -- Begin function _ZN7rocprim17ROCPRIM_400000_NS6detail17trampoline_kernelINS0_14default_configENS1_35radix_sort_onesweep_config_selectorIilEEZNS1_34radix_sort_onesweep_global_offsetsIS3_Lb0EPiN6thrust23THRUST_200600_302600_NS10device_ptrIlEEjNS0_19identity_decomposerEEE10hipError_tT1_T2_PT3_SG_jT4_jjP12ihipStream_tbEUlT_E0_NS1_11comp_targetILNS1_3genE2ELNS1_11target_archE906ELNS1_3gpuE6ELNS1_3repE0EEENS1_52radix_sort_onesweep_histogram_config_static_selectorELNS0_4arch9wavefront6targetE1EEEvSE_
	.globl	_ZN7rocprim17ROCPRIM_400000_NS6detail17trampoline_kernelINS0_14default_configENS1_35radix_sort_onesweep_config_selectorIilEEZNS1_34radix_sort_onesweep_global_offsetsIS3_Lb0EPiN6thrust23THRUST_200600_302600_NS10device_ptrIlEEjNS0_19identity_decomposerEEE10hipError_tT1_T2_PT3_SG_jT4_jjP12ihipStream_tbEUlT_E0_NS1_11comp_targetILNS1_3genE2ELNS1_11target_archE906ELNS1_3gpuE6ELNS1_3repE0EEENS1_52radix_sort_onesweep_histogram_config_static_selectorELNS0_4arch9wavefront6targetE1EEEvSE_
	.p2align	8
	.type	_ZN7rocprim17ROCPRIM_400000_NS6detail17trampoline_kernelINS0_14default_configENS1_35radix_sort_onesweep_config_selectorIilEEZNS1_34radix_sort_onesweep_global_offsetsIS3_Lb0EPiN6thrust23THRUST_200600_302600_NS10device_ptrIlEEjNS0_19identity_decomposerEEE10hipError_tT1_T2_PT3_SG_jT4_jjP12ihipStream_tbEUlT_E0_NS1_11comp_targetILNS1_3genE2ELNS1_11target_archE906ELNS1_3gpuE6ELNS1_3repE0EEENS1_52radix_sort_onesweep_histogram_config_static_selectorELNS0_4arch9wavefront6targetE1EEEvSE_,@function
_ZN7rocprim17ROCPRIM_400000_NS6detail17trampoline_kernelINS0_14default_configENS1_35radix_sort_onesweep_config_selectorIilEEZNS1_34radix_sort_onesweep_global_offsetsIS3_Lb0EPiN6thrust23THRUST_200600_302600_NS10device_ptrIlEEjNS0_19identity_decomposerEEE10hipError_tT1_T2_PT3_SG_jT4_jjP12ihipStream_tbEUlT_E0_NS1_11comp_targetILNS1_3genE2ELNS1_11target_archE906ELNS1_3gpuE6ELNS1_3repE0EEENS1_52radix_sort_onesweep_histogram_config_static_selectorELNS0_4arch9wavefront6targetE1EEEvSE_: ; @_ZN7rocprim17ROCPRIM_400000_NS6detail17trampoline_kernelINS0_14default_configENS1_35radix_sort_onesweep_config_selectorIilEEZNS1_34radix_sort_onesweep_global_offsetsIS3_Lb0EPiN6thrust23THRUST_200600_302600_NS10device_ptrIlEEjNS0_19identity_decomposerEEE10hipError_tT1_T2_PT3_SG_jT4_jjP12ihipStream_tbEUlT_E0_NS1_11comp_targetILNS1_3genE2ELNS1_11target_archE906ELNS1_3gpuE6ELNS1_3repE0EEENS1_52radix_sort_onesweep_histogram_config_static_selectorELNS0_4arch9wavefront6targetE1EEEvSE_
; %bb.0:
	s_load_dwordx2 s[0:1], s[4:5], 0x0
	s_lshl_b32 s2, s6, 8
	s_mov_b32 s3, 0
	s_lshl_b64 s[2:3], s[2:3], 2
	v_lshlrev_b32_e32 v1, 2, v0
	s_waitcnt lgkmcnt(0)
	s_add_u32 s2, s0, s2
	s_movk_i32 s0, 0x100
	s_addc_u32 s3, s1, s3
	v_cmp_gt_u32_e32 vcc, s0, v0
                                        ; implicit-def: $vgpr3
	s_and_saveexec_b64 s[0:1], vcc
	s_cbranch_execz .LBB860_2
; %bb.1:
	global_load_dword v3, v1, s[2:3]
.LBB860_2:
	s_or_b64 exec, exec, s[0:1]
	v_mbcnt_lo_u32_b32 v2, -1, 0
	v_mbcnt_hi_u32_b32 v2, -1, v2
	v_and_b32_e32 v4, 15, v2
	s_waitcnt vmcnt(0)
	v_mov_b32_dpp v5, v3 row_shr:1 row_mask:0xf bank_mask:0xf
	v_cmp_ne_u32_e64 s[0:1], 0, v4
	v_cndmask_b32_e64 v5, 0, v5, s[0:1]
	v_add_u32_e32 v3, v5, v3
	v_cmp_lt_u32_e64 s[0:1], 1, v4
	s_nop 0
	v_mov_b32_dpp v5, v3 row_shr:2 row_mask:0xf bank_mask:0xf
	v_cndmask_b32_e64 v5, 0, v5, s[0:1]
	v_add_u32_e32 v3, v3, v5
	v_cmp_lt_u32_e64 s[0:1], 3, v4
	s_nop 0
	v_mov_b32_dpp v5, v3 row_shr:4 row_mask:0xf bank_mask:0xf
	;; [unrolled: 5-line block ×3, first 2 shown]
	v_cndmask_b32_e64 v4, 0, v5, s[0:1]
	v_add_u32_e32 v3, v3, v4
	v_bfe_i32 v5, v2, 4, 1
	v_cmp_lt_u32_e64 s[0:1], 31, v2
	v_mov_b32_dpp v4, v3 row_bcast:15 row_mask:0xf bank_mask:0xf
	v_and_b32_e32 v4, v5, v4
	v_add_u32_e32 v3, v3, v4
	v_or_b32_e32 v5, 63, v0
	s_nop 0
	v_mov_b32_dpp v4, v3 row_bcast:31 row_mask:0xf bank_mask:0xf
	v_cndmask_b32_e64 v4, 0, v4, s[0:1]
	v_add_u32_e32 v3, v3, v4
	v_lshrrev_b32_e32 v4, 6, v0
	v_cmp_eq_u32_e64 s[0:1], v0, v5
	s_and_saveexec_b64 s[4:5], s[0:1]
; %bb.3:
	v_lshlrev_b32_e32 v5, 2, v4
	ds_write_b32 v5, v3
; %bb.4:
	s_or_b64 exec, exec, s[4:5]
	v_cmp_gt_u32_e64 s[0:1], 8, v0
	s_waitcnt lgkmcnt(0)
	s_barrier
	s_and_saveexec_b64 s[4:5], s[0:1]
	s_cbranch_execz .LBB860_6
; %bb.5:
	ds_read_b32 v5, v1
	v_and_b32_e32 v6, 7, v2
	v_cmp_ne_u32_e64 s[0:1], 0, v6
	s_waitcnt lgkmcnt(0)
	v_mov_b32_dpp v7, v5 row_shr:1 row_mask:0xf bank_mask:0xf
	v_cndmask_b32_e64 v7, 0, v7, s[0:1]
	v_add_u32_e32 v5, v7, v5
	v_cmp_lt_u32_e64 s[0:1], 1, v6
	s_nop 0
	v_mov_b32_dpp v7, v5 row_shr:2 row_mask:0xf bank_mask:0xf
	v_cndmask_b32_e64 v7, 0, v7, s[0:1]
	v_add_u32_e32 v5, v5, v7
	v_cmp_lt_u32_e64 s[0:1], 3, v6
	s_nop 0
	v_mov_b32_dpp v7, v5 row_shr:4 row_mask:0xf bank_mask:0xf
	v_cndmask_b32_e64 v6, 0, v7, s[0:1]
	v_add_u32_e32 v5, v5, v6
	ds_write_b32 v1, v5
.LBB860_6:
	s_or_b64 exec, exec, s[4:5]
	v_cmp_lt_u32_e64 s[0:1], 63, v0
	v_mov_b32_e32 v0, 0
	s_waitcnt lgkmcnt(0)
	s_barrier
	s_and_saveexec_b64 s[4:5], s[0:1]
; %bb.7:
	v_lshl_add_u32 v0, v4, 2, -4
	ds_read_b32 v0, v0
; %bb.8:
	s_or_b64 exec, exec, s[4:5]
	v_add_u32_e32 v4, -1, v2
	v_and_b32_e32 v5, 64, v2
	v_cmp_lt_i32_e64 s[0:1], v4, v5
	v_cndmask_b32_e64 v4, v4, v2, s[0:1]
	s_waitcnt lgkmcnt(0)
	v_add_u32_e32 v3, v0, v3
	v_lshlrev_b32_e32 v4, 2, v4
	ds_bpermute_b32 v3, v4, v3
	s_and_saveexec_b64 s[0:1], vcc
	s_cbranch_execz .LBB860_10
; %bb.9:
	v_cmp_eq_u32_e32 vcc, 0, v2
	s_waitcnt lgkmcnt(0)
	v_cndmask_b32_e32 v0, v3, v0, vcc
	global_store_dword v1, v0, s[2:3]
.LBB860_10:
	s_endpgm
	.section	.rodata,"a",@progbits
	.p2align	6, 0x0
	.amdhsa_kernel _ZN7rocprim17ROCPRIM_400000_NS6detail17trampoline_kernelINS0_14default_configENS1_35radix_sort_onesweep_config_selectorIilEEZNS1_34radix_sort_onesweep_global_offsetsIS3_Lb0EPiN6thrust23THRUST_200600_302600_NS10device_ptrIlEEjNS0_19identity_decomposerEEE10hipError_tT1_T2_PT3_SG_jT4_jjP12ihipStream_tbEUlT_E0_NS1_11comp_targetILNS1_3genE2ELNS1_11target_archE906ELNS1_3gpuE6ELNS1_3repE0EEENS1_52radix_sort_onesweep_histogram_config_static_selectorELNS0_4arch9wavefront6targetE1EEEvSE_
		.amdhsa_group_segment_fixed_size 32
		.amdhsa_private_segment_fixed_size 0
		.amdhsa_kernarg_size 8
		.amdhsa_user_sgpr_count 6
		.amdhsa_user_sgpr_private_segment_buffer 1
		.amdhsa_user_sgpr_dispatch_ptr 0
		.amdhsa_user_sgpr_queue_ptr 0
		.amdhsa_user_sgpr_kernarg_segment_ptr 1
		.amdhsa_user_sgpr_dispatch_id 0
		.amdhsa_user_sgpr_flat_scratch_init 0
		.amdhsa_user_sgpr_private_segment_size 0
		.amdhsa_uses_dynamic_stack 0
		.amdhsa_system_sgpr_private_segment_wavefront_offset 0
		.amdhsa_system_sgpr_workgroup_id_x 1
		.amdhsa_system_sgpr_workgroup_id_y 0
		.amdhsa_system_sgpr_workgroup_id_z 0
		.amdhsa_system_sgpr_workgroup_info 0
		.amdhsa_system_vgpr_workitem_id 0
		.amdhsa_next_free_vgpr 8
		.amdhsa_next_free_sgpr 7
		.amdhsa_reserve_vcc 1
		.amdhsa_reserve_flat_scratch 0
		.amdhsa_float_round_mode_32 0
		.amdhsa_float_round_mode_16_64 0
		.amdhsa_float_denorm_mode_32 3
		.amdhsa_float_denorm_mode_16_64 3
		.amdhsa_dx10_clamp 1
		.amdhsa_ieee_mode 1
		.amdhsa_fp16_overflow 0
		.amdhsa_exception_fp_ieee_invalid_op 0
		.amdhsa_exception_fp_denorm_src 0
		.amdhsa_exception_fp_ieee_div_zero 0
		.amdhsa_exception_fp_ieee_overflow 0
		.amdhsa_exception_fp_ieee_underflow 0
		.amdhsa_exception_fp_ieee_inexact 0
		.amdhsa_exception_int_div_zero 0
	.end_amdhsa_kernel
	.section	.text._ZN7rocprim17ROCPRIM_400000_NS6detail17trampoline_kernelINS0_14default_configENS1_35radix_sort_onesweep_config_selectorIilEEZNS1_34radix_sort_onesweep_global_offsetsIS3_Lb0EPiN6thrust23THRUST_200600_302600_NS10device_ptrIlEEjNS0_19identity_decomposerEEE10hipError_tT1_T2_PT3_SG_jT4_jjP12ihipStream_tbEUlT_E0_NS1_11comp_targetILNS1_3genE2ELNS1_11target_archE906ELNS1_3gpuE6ELNS1_3repE0EEENS1_52radix_sort_onesweep_histogram_config_static_selectorELNS0_4arch9wavefront6targetE1EEEvSE_,"axG",@progbits,_ZN7rocprim17ROCPRIM_400000_NS6detail17trampoline_kernelINS0_14default_configENS1_35radix_sort_onesweep_config_selectorIilEEZNS1_34radix_sort_onesweep_global_offsetsIS3_Lb0EPiN6thrust23THRUST_200600_302600_NS10device_ptrIlEEjNS0_19identity_decomposerEEE10hipError_tT1_T2_PT3_SG_jT4_jjP12ihipStream_tbEUlT_E0_NS1_11comp_targetILNS1_3genE2ELNS1_11target_archE906ELNS1_3gpuE6ELNS1_3repE0EEENS1_52radix_sort_onesweep_histogram_config_static_selectorELNS0_4arch9wavefront6targetE1EEEvSE_,comdat
.Lfunc_end860:
	.size	_ZN7rocprim17ROCPRIM_400000_NS6detail17trampoline_kernelINS0_14default_configENS1_35radix_sort_onesweep_config_selectorIilEEZNS1_34radix_sort_onesweep_global_offsetsIS3_Lb0EPiN6thrust23THRUST_200600_302600_NS10device_ptrIlEEjNS0_19identity_decomposerEEE10hipError_tT1_T2_PT3_SG_jT4_jjP12ihipStream_tbEUlT_E0_NS1_11comp_targetILNS1_3genE2ELNS1_11target_archE906ELNS1_3gpuE6ELNS1_3repE0EEENS1_52radix_sort_onesweep_histogram_config_static_selectorELNS0_4arch9wavefront6targetE1EEEvSE_, .Lfunc_end860-_ZN7rocprim17ROCPRIM_400000_NS6detail17trampoline_kernelINS0_14default_configENS1_35radix_sort_onesweep_config_selectorIilEEZNS1_34radix_sort_onesweep_global_offsetsIS3_Lb0EPiN6thrust23THRUST_200600_302600_NS10device_ptrIlEEjNS0_19identity_decomposerEEE10hipError_tT1_T2_PT3_SG_jT4_jjP12ihipStream_tbEUlT_E0_NS1_11comp_targetILNS1_3genE2ELNS1_11target_archE906ELNS1_3gpuE6ELNS1_3repE0EEENS1_52radix_sort_onesweep_histogram_config_static_selectorELNS0_4arch9wavefront6targetE1EEEvSE_
                                        ; -- End function
	.set _ZN7rocprim17ROCPRIM_400000_NS6detail17trampoline_kernelINS0_14default_configENS1_35radix_sort_onesweep_config_selectorIilEEZNS1_34radix_sort_onesweep_global_offsetsIS3_Lb0EPiN6thrust23THRUST_200600_302600_NS10device_ptrIlEEjNS0_19identity_decomposerEEE10hipError_tT1_T2_PT3_SG_jT4_jjP12ihipStream_tbEUlT_E0_NS1_11comp_targetILNS1_3genE2ELNS1_11target_archE906ELNS1_3gpuE6ELNS1_3repE0EEENS1_52radix_sort_onesweep_histogram_config_static_selectorELNS0_4arch9wavefront6targetE1EEEvSE_.num_vgpr, 8
	.set _ZN7rocprim17ROCPRIM_400000_NS6detail17trampoline_kernelINS0_14default_configENS1_35radix_sort_onesweep_config_selectorIilEEZNS1_34radix_sort_onesweep_global_offsetsIS3_Lb0EPiN6thrust23THRUST_200600_302600_NS10device_ptrIlEEjNS0_19identity_decomposerEEE10hipError_tT1_T2_PT3_SG_jT4_jjP12ihipStream_tbEUlT_E0_NS1_11comp_targetILNS1_3genE2ELNS1_11target_archE906ELNS1_3gpuE6ELNS1_3repE0EEENS1_52radix_sort_onesweep_histogram_config_static_selectorELNS0_4arch9wavefront6targetE1EEEvSE_.num_agpr, 0
	.set _ZN7rocprim17ROCPRIM_400000_NS6detail17trampoline_kernelINS0_14default_configENS1_35radix_sort_onesweep_config_selectorIilEEZNS1_34radix_sort_onesweep_global_offsetsIS3_Lb0EPiN6thrust23THRUST_200600_302600_NS10device_ptrIlEEjNS0_19identity_decomposerEEE10hipError_tT1_T2_PT3_SG_jT4_jjP12ihipStream_tbEUlT_E0_NS1_11comp_targetILNS1_3genE2ELNS1_11target_archE906ELNS1_3gpuE6ELNS1_3repE0EEENS1_52radix_sort_onesweep_histogram_config_static_selectorELNS0_4arch9wavefront6targetE1EEEvSE_.numbered_sgpr, 7
	.set _ZN7rocprim17ROCPRIM_400000_NS6detail17trampoline_kernelINS0_14default_configENS1_35radix_sort_onesweep_config_selectorIilEEZNS1_34radix_sort_onesweep_global_offsetsIS3_Lb0EPiN6thrust23THRUST_200600_302600_NS10device_ptrIlEEjNS0_19identity_decomposerEEE10hipError_tT1_T2_PT3_SG_jT4_jjP12ihipStream_tbEUlT_E0_NS1_11comp_targetILNS1_3genE2ELNS1_11target_archE906ELNS1_3gpuE6ELNS1_3repE0EEENS1_52radix_sort_onesweep_histogram_config_static_selectorELNS0_4arch9wavefront6targetE1EEEvSE_.num_named_barrier, 0
	.set _ZN7rocprim17ROCPRIM_400000_NS6detail17trampoline_kernelINS0_14default_configENS1_35radix_sort_onesweep_config_selectorIilEEZNS1_34radix_sort_onesweep_global_offsetsIS3_Lb0EPiN6thrust23THRUST_200600_302600_NS10device_ptrIlEEjNS0_19identity_decomposerEEE10hipError_tT1_T2_PT3_SG_jT4_jjP12ihipStream_tbEUlT_E0_NS1_11comp_targetILNS1_3genE2ELNS1_11target_archE906ELNS1_3gpuE6ELNS1_3repE0EEENS1_52radix_sort_onesweep_histogram_config_static_selectorELNS0_4arch9wavefront6targetE1EEEvSE_.private_seg_size, 0
	.set _ZN7rocprim17ROCPRIM_400000_NS6detail17trampoline_kernelINS0_14default_configENS1_35radix_sort_onesweep_config_selectorIilEEZNS1_34radix_sort_onesweep_global_offsetsIS3_Lb0EPiN6thrust23THRUST_200600_302600_NS10device_ptrIlEEjNS0_19identity_decomposerEEE10hipError_tT1_T2_PT3_SG_jT4_jjP12ihipStream_tbEUlT_E0_NS1_11comp_targetILNS1_3genE2ELNS1_11target_archE906ELNS1_3gpuE6ELNS1_3repE0EEENS1_52radix_sort_onesweep_histogram_config_static_selectorELNS0_4arch9wavefront6targetE1EEEvSE_.uses_vcc, 1
	.set _ZN7rocprim17ROCPRIM_400000_NS6detail17trampoline_kernelINS0_14default_configENS1_35radix_sort_onesweep_config_selectorIilEEZNS1_34radix_sort_onesweep_global_offsetsIS3_Lb0EPiN6thrust23THRUST_200600_302600_NS10device_ptrIlEEjNS0_19identity_decomposerEEE10hipError_tT1_T2_PT3_SG_jT4_jjP12ihipStream_tbEUlT_E0_NS1_11comp_targetILNS1_3genE2ELNS1_11target_archE906ELNS1_3gpuE6ELNS1_3repE0EEENS1_52radix_sort_onesweep_histogram_config_static_selectorELNS0_4arch9wavefront6targetE1EEEvSE_.uses_flat_scratch, 0
	.set _ZN7rocprim17ROCPRIM_400000_NS6detail17trampoline_kernelINS0_14default_configENS1_35radix_sort_onesweep_config_selectorIilEEZNS1_34radix_sort_onesweep_global_offsetsIS3_Lb0EPiN6thrust23THRUST_200600_302600_NS10device_ptrIlEEjNS0_19identity_decomposerEEE10hipError_tT1_T2_PT3_SG_jT4_jjP12ihipStream_tbEUlT_E0_NS1_11comp_targetILNS1_3genE2ELNS1_11target_archE906ELNS1_3gpuE6ELNS1_3repE0EEENS1_52radix_sort_onesweep_histogram_config_static_selectorELNS0_4arch9wavefront6targetE1EEEvSE_.has_dyn_sized_stack, 0
	.set _ZN7rocprim17ROCPRIM_400000_NS6detail17trampoline_kernelINS0_14default_configENS1_35radix_sort_onesweep_config_selectorIilEEZNS1_34radix_sort_onesweep_global_offsetsIS3_Lb0EPiN6thrust23THRUST_200600_302600_NS10device_ptrIlEEjNS0_19identity_decomposerEEE10hipError_tT1_T2_PT3_SG_jT4_jjP12ihipStream_tbEUlT_E0_NS1_11comp_targetILNS1_3genE2ELNS1_11target_archE906ELNS1_3gpuE6ELNS1_3repE0EEENS1_52radix_sort_onesweep_histogram_config_static_selectorELNS0_4arch9wavefront6targetE1EEEvSE_.has_recursion, 0
	.set _ZN7rocprim17ROCPRIM_400000_NS6detail17trampoline_kernelINS0_14default_configENS1_35radix_sort_onesweep_config_selectorIilEEZNS1_34radix_sort_onesweep_global_offsetsIS3_Lb0EPiN6thrust23THRUST_200600_302600_NS10device_ptrIlEEjNS0_19identity_decomposerEEE10hipError_tT1_T2_PT3_SG_jT4_jjP12ihipStream_tbEUlT_E0_NS1_11comp_targetILNS1_3genE2ELNS1_11target_archE906ELNS1_3gpuE6ELNS1_3repE0EEENS1_52radix_sort_onesweep_histogram_config_static_selectorELNS0_4arch9wavefront6targetE1EEEvSE_.has_indirect_call, 0
	.section	.AMDGPU.csdata,"",@progbits
; Kernel info:
; codeLenInByte = 568
; TotalNumSgprs: 11
; NumVgprs: 8
; ScratchSize: 0
; MemoryBound: 0
; FloatMode: 240
; IeeeMode: 1
; LDSByteSize: 32 bytes/workgroup (compile time only)
; SGPRBlocks: 1
; VGPRBlocks: 1
; NumSGPRsForWavesPerEU: 11
; NumVGPRsForWavesPerEU: 8
; Occupancy: 10
; WaveLimiterHint : 0
; COMPUTE_PGM_RSRC2:SCRATCH_EN: 0
; COMPUTE_PGM_RSRC2:USER_SGPR: 6
; COMPUTE_PGM_RSRC2:TRAP_HANDLER: 0
; COMPUTE_PGM_RSRC2:TGID_X_EN: 1
; COMPUTE_PGM_RSRC2:TGID_Y_EN: 0
; COMPUTE_PGM_RSRC2:TGID_Z_EN: 0
; COMPUTE_PGM_RSRC2:TIDIG_COMP_CNT: 0
	.section	.text._ZN7rocprim17ROCPRIM_400000_NS6detail17trampoline_kernelINS0_14default_configENS1_35radix_sort_onesweep_config_selectorIilEEZNS1_34radix_sort_onesweep_global_offsetsIS3_Lb0EPiN6thrust23THRUST_200600_302600_NS10device_ptrIlEEjNS0_19identity_decomposerEEE10hipError_tT1_T2_PT3_SG_jT4_jjP12ihipStream_tbEUlT_E0_NS1_11comp_targetILNS1_3genE4ELNS1_11target_archE910ELNS1_3gpuE8ELNS1_3repE0EEENS1_52radix_sort_onesweep_histogram_config_static_selectorELNS0_4arch9wavefront6targetE1EEEvSE_,"axG",@progbits,_ZN7rocprim17ROCPRIM_400000_NS6detail17trampoline_kernelINS0_14default_configENS1_35radix_sort_onesweep_config_selectorIilEEZNS1_34radix_sort_onesweep_global_offsetsIS3_Lb0EPiN6thrust23THRUST_200600_302600_NS10device_ptrIlEEjNS0_19identity_decomposerEEE10hipError_tT1_T2_PT3_SG_jT4_jjP12ihipStream_tbEUlT_E0_NS1_11comp_targetILNS1_3genE4ELNS1_11target_archE910ELNS1_3gpuE8ELNS1_3repE0EEENS1_52radix_sort_onesweep_histogram_config_static_selectorELNS0_4arch9wavefront6targetE1EEEvSE_,comdat
	.protected	_ZN7rocprim17ROCPRIM_400000_NS6detail17trampoline_kernelINS0_14default_configENS1_35radix_sort_onesweep_config_selectorIilEEZNS1_34radix_sort_onesweep_global_offsetsIS3_Lb0EPiN6thrust23THRUST_200600_302600_NS10device_ptrIlEEjNS0_19identity_decomposerEEE10hipError_tT1_T2_PT3_SG_jT4_jjP12ihipStream_tbEUlT_E0_NS1_11comp_targetILNS1_3genE4ELNS1_11target_archE910ELNS1_3gpuE8ELNS1_3repE0EEENS1_52radix_sort_onesweep_histogram_config_static_selectorELNS0_4arch9wavefront6targetE1EEEvSE_ ; -- Begin function _ZN7rocprim17ROCPRIM_400000_NS6detail17trampoline_kernelINS0_14default_configENS1_35radix_sort_onesweep_config_selectorIilEEZNS1_34radix_sort_onesweep_global_offsetsIS3_Lb0EPiN6thrust23THRUST_200600_302600_NS10device_ptrIlEEjNS0_19identity_decomposerEEE10hipError_tT1_T2_PT3_SG_jT4_jjP12ihipStream_tbEUlT_E0_NS1_11comp_targetILNS1_3genE4ELNS1_11target_archE910ELNS1_3gpuE8ELNS1_3repE0EEENS1_52radix_sort_onesweep_histogram_config_static_selectorELNS0_4arch9wavefront6targetE1EEEvSE_
	.globl	_ZN7rocprim17ROCPRIM_400000_NS6detail17trampoline_kernelINS0_14default_configENS1_35radix_sort_onesweep_config_selectorIilEEZNS1_34radix_sort_onesweep_global_offsetsIS3_Lb0EPiN6thrust23THRUST_200600_302600_NS10device_ptrIlEEjNS0_19identity_decomposerEEE10hipError_tT1_T2_PT3_SG_jT4_jjP12ihipStream_tbEUlT_E0_NS1_11comp_targetILNS1_3genE4ELNS1_11target_archE910ELNS1_3gpuE8ELNS1_3repE0EEENS1_52radix_sort_onesweep_histogram_config_static_selectorELNS0_4arch9wavefront6targetE1EEEvSE_
	.p2align	8
	.type	_ZN7rocprim17ROCPRIM_400000_NS6detail17trampoline_kernelINS0_14default_configENS1_35radix_sort_onesweep_config_selectorIilEEZNS1_34radix_sort_onesweep_global_offsetsIS3_Lb0EPiN6thrust23THRUST_200600_302600_NS10device_ptrIlEEjNS0_19identity_decomposerEEE10hipError_tT1_T2_PT3_SG_jT4_jjP12ihipStream_tbEUlT_E0_NS1_11comp_targetILNS1_3genE4ELNS1_11target_archE910ELNS1_3gpuE8ELNS1_3repE0EEENS1_52radix_sort_onesweep_histogram_config_static_selectorELNS0_4arch9wavefront6targetE1EEEvSE_,@function
_ZN7rocprim17ROCPRIM_400000_NS6detail17trampoline_kernelINS0_14default_configENS1_35radix_sort_onesweep_config_selectorIilEEZNS1_34radix_sort_onesweep_global_offsetsIS3_Lb0EPiN6thrust23THRUST_200600_302600_NS10device_ptrIlEEjNS0_19identity_decomposerEEE10hipError_tT1_T2_PT3_SG_jT4_jjP12ihipStream_tbEUlT_E0_NS1_11comp_targetILNS1_3genE4ELNS1_11target_archE910ELNS1_3gpuE8ELNS1_3repE0EEENS1_52radix_sort_onesweep_histogram_config_static_selectorELNS0_4arch9wavefront6targetE1EEEvSE_: ; @_ZN7rocprim17ROCPRIM_400000_NS6detail17trampoline_kernelINS0_14default_configENS1_35radix_sort_onesweep_config_selectorIilEEZNS1_34radix_sort_onesweep_global_offsetsIS3_Lb0EPiN6thrust23THRUST_200600_302600_NS10device_ptrIlEEjNS0_19identity_decomposerEEE10hipError_tT1_T2_PT3_SG_jT4_jjP12ihipStream_tbEUlT_E0_NS1_11comp_targetILNS1_3genE4ELNS1_11target_archE910ELNS1_3gpuE8ELNS1_3repE0EEENS1_52radix_sort_onesweep_histogram_config_static_selectorELNS0_4arch9wavefront6targetE1EEEvSE_
; %bb.0:
	.section	.rodata,"a",@progbits
	.p2align	6, 0x0
	.amdhsa_kernel _ZN7rocprim17ROCPRIM_400000_NS6detail17trampoline_kernelINS0_14default_configENS1_35radix_sort_onesweep_config_selectorIilEEZNS1_34radix_sort_onesweep_global_offsetsIS3_Lb0EPiN6thrust23THRUST_200600_302600_NS10device_ptrIlEEjNS0_19identity_decomposerEEE10hipError_tT1_T2_PT3_SG_jT4_jjP12ihipStream_tbEUlT_E0_NS1_11comp_targetILNS1_3genE4ELNS1_11target_archE910ELNS1_3gpuE8ELNS1_3repE0EEENS1_52radix_sort_onesweep_histogram_config_static_selectorELNS0_4arch9wavefront6targetE1EEEvSE_
		.amdhsa_group_segment_fixed_size 0
		.amdhsa_private_segment_fixed_size 0
		.amdhsa_kernarg_size 8
		.amdhsa_user_sgpr_count 6
		.amdhsa_user_sgpr_private_segment_buffer 1
		.amdhsa_user_sgpr_dispatch_ptr 0
		.amdhsa_user_sgpr_queue_ptr 0
		.amdhsa_user_sgpr_kernarg_segment_ptr 1
		.amdhsa_user_sgpr_dispatch_id 0
		.amdhsa_user_sgpr_flat_scratch_init 0
		.amdhsa_user_sgpr_private_segment_size 0
		.amdhsa_uses_dynamic_stack 0
		.amdhsa_system_sgpr_private_segment_wavefront_offset 0
		.amdhsa_system_sgpr_workgroup_id_x 1
		.amdhsa_system_sgpr_workgroup_id_y 0
		.amdhsa_system_sgpr_workgroup_id_z 0
		.amdhsa_system_sgpr_workgroup_info 0
		.amdhsa_system_vgpr_workitem_id 0
		.amdhsa_next_free_vgpr 1
		.amdhsa_next_free_sgpr 0
		.amdhsa_reserve_vcc 0
		.amdhsa_reserve_flat_scratch 0
		.amdhsa_float_round_mode_32 0
		.amdhsa_float_round_mode_16_64 0
		.amdhsa_float_denorm_mode_32 3
		.amdhsa_float_denorm_mode_16_64 3
		.amdhsa_dx10_clamp 1
		.amdhsa_ieee_mode 1
		.amdhsa_fp16_overflow 0
		.amdhsa_exception_fp_ieee_invalid_op 0
		.amdhsa_exception_fp_denorm_src 0
		.amdhsa_exception_fp_ieee_div_zero 0
		.amdhsa_exception_fp_ieee_overflow 0
		.amdhsa_exception_fp_ieee_underflow 0
		.amdhsa_exception_fp_ieee_inexact 0
		.amdhsa_exception_int_div_zero 0
	.end_amdhsa_kernel
	.section	.text._ZN7rocprim17ROCPRIM_400000_NS6detail17trampoline_kernelINS0_14default_configENS1_35radix_sort_onesweep_config_selectorIilEEZNS1_34radix_sort_onesweep_global_offsetsIS3_Lb0EPiN6thrust23THRUST_200600_302600_NS10device_ptrIlEEjNS0_19identity_decomposerEEE10hipError_tT1_T2_PT3_SG_jT4_jjP12ihipStream_tbEUlT_E0_NS1_11comp_targetILNS1_3genE4ELNS1_11target_archE910ELNS1_3gpuE8ELNS1_3repE0EEENS1_52radix_sort_onesweep_histogram_config_static_selectorELNS0_4arch9wavefront6targetE1EEEvSE_,"axG",@progbits,_ZN7rocprim17ROCPRIM_400000_NS6detail17trampoline_kernelINS0_14default_configENS1_35radix_sort_onesweep_config_selectorIilEEZNS1_34radix_sort_onesweep_global_offsetsIS3_Lb0EPiN6thrust23THRUST_200600_302600_NS10device_ptrIlEEjNS0_19identity_decomposerEEE10hipError_tT1_T2_PT3_SG_jT4_jjP12ihipStream_tbEUlT_E0_NS1_11comp_targetILNS1_3genE4ELNS1_11target_archE910ELNS1_3gpuE8ELNS1_3repE0EEENS1_52radix_sort_onesweep_histogram_config_static_selectorELNS0_4arch9wavefront6targetE1EEEvSE_,comdat
.Lfunc_end861:
	.size	_ZN7rocprim17ROCPRIM_400000_NS6detail17trampoline_kernelINS0_14default_configENS1_35radix_sort_onesweep_config_selectorIilEEZNS1_34radix_sort_onesweep_global_offsetsIS3_Lb0EPiN6thrust23THRUST_200600_302600_NS10device_ptrIlEEjNS0_19identity_decomposerEEE10hipError_tT1_T2_PT3_SG_jT4_jjP12ihipStream_tbEUlT_E0_NS1_11comp_targetILNS1_3genE4ELNS1_11target_archE910ELNS1_3gpuE8ELNS1_3repE0EEENS1_52radix_sort_onesweep_histogram_config_static_selectorELNS0_4arch9wavefront6targetE1EEEvSE_, .Lfunc_end861-_ZN7rocprim17ROCPRIM_400000_NS6detail17trampoline_kernelINS0_14default_configENS1_35radix_sort_onesweep_config_selectorIilEEZNS1_34radix_sort_onesweep_global_offsetsIS3_Lb0EPiN6thrust23THRUST_200600_302600_NS10device_ptrIlEEjNS0_19identity_decomposerEEE10hipError_tT1_T2_PT3_SG_jT4_jjP12ihipStream_tbEUlT_E0_NS1_11comp_targetILNS1_3genE4ELNS1_11target_archE910ELNS1_3gpuE8ELNS1_3repE0EEENS1_52radix_sort_onesweep_histogram_config_static_selectorELNS0_4arch9wavefront6targetE1EEEvSE_
                                        ; -- End function
	.set _ZN7rocprim17ROCPRIM_400000_NS6detail17trampoline_kernelINS0_14default_configENS1_35radix_sort_onesweep_config_selectorIilEEZNS1_34radix_sort_onesweep_global_offsetsIS3_Lb0EPiN6thrust23THRUST_200600_302600_NS10device_ptrIlEEjNS0_19identity_decomposerEEE10hipError_tT1_T2_PT3_SG_jT4_jjP12ihipStream_tbEUlT_E0_NS1_11comp_targetILNS1_3genE4ELNS1_11target_archE910ELNS1_3gpuE8ELNS1_3repE0EEENS1_52radix_sort_onesweep_histogram_config_static_selectorELNS0_4arch9wavefront6targetE1EEEvSE_.num_vgpr, 0
	.set _ZN7rocprim17ROCPRIM_400000_NS6detail17trampoline_kernelINS0_14default_configENS1_35radix_sort_onesweep_config_selectorIilEEZNS1_34radix_sort_onesweep_global_offsetsIS3_Lb0EPiN6thrust23THRUST_200600_302600_NS10device_ptrIlEEjNS0_19identity_decomposerEEE10hipError_tT1_T2_PT3_SG_jT4_jjP12ihipStream_tbEUlT_E0_NS1_11comp_targetILNS1_3genE4ELNS1_11target_archE910ELNS1_3gpuE8ELNS1_3repE0EEENS1_52radix_sort_onesweep_histogram_config_static_selectorELNS0_4arch9wavefront6targetE1EEEvSE_.num_agpr, 0
	.set _ZN7rocprim17ROCPRIM_400000_NS6detail17trampoline_kernelINS0_14default_configENS1_35radix_sort_onesweep_config_selectorIilEEZNS1_34radix_sort_onesweep_global_offsetsIS3_Lb0EPiN6thrust23THRUST_200600_302600_NS10device_ptrIlEEjNS0_19identity_decomposerEEE10hipError_tT1_T2_PT3_SG_jT4_jjP12ihipStream_tbEUlT_E0_NS1_11comp_targetILNS1_3genE4ELNS1_11target_archE910ELNS1_3gpuE8ELNS1_3repE0EEENS1_52radix_sort_onesweep_histogram_config_static_selectorELNS0_4arch9wavefront6targetE1EEEvSE_.numbered_sgpr, 0
	.set _ZN7rocprim17ROCPRIM_400000_NS6detail17trampoline_kernelINS0_14default_configENS1_35radix_sort_onesweep_config_selectorIilEEZNS1_34radix_sort_onesweep_global_offsetsIS3_Lb0EPiN6thrust23THRUST_200600_302600_NS10device_ptrIlEEjNS0_19identity_decomposerEEE10hipError_tT1_T2_PT3_SG_jT4_jjP12ihipStream_tbEUlT_E0_NS1_11comp_targetILNS1_3genE4ELNS1_11target_archE910ELNS1_3gpuE8ELNS1_3repE0EEENS1_52radix_sort_onesweep_histogram_config_static_selectorELNS0_4arch9wavefront6targetE1EEEvSE_.num_named_barrier, 0
	.set _ZN7rocprim17ROCPRIM_400000_NS6detail17trampoline_kernelINS0_14default_configENS1_35radix_sort_onesweep_config_selectorIilEEZNS1_34radix_sort_onesweep_global_offsetsIS3_Lb0EPiN6thrust23THRUST_200600_302600_NS10device_ptrIlEEjNS0_19identity_decomposerEEE10hipError_tT1_T2_PT3_SG_jT4_jjP12ihipStream_tbEUlT_E0_NS1_11comp_targetILNS1_3genE4ELNS1_11target_archE910ELNS1_3gpuE8ELNS1_3repE0EEENS1_52radix_sort_onesweep_histogram_config_static_selectorELNS0_4arch9wavefront6targetE1EEEvSE_.private_seg_size, 0
	.set _ZN7rocprim17ROCPRIM_400000_NS6detail17trampoline_kernelINS0_14default_configENS1_35radix_sort_onesweep_config_selectorIilEEZNS1_34radix_sort_onesweep_global_offsetsIS3_Lb0EPiN6thrust23THRUST_200600_302600_NS10device_ptrIlEEjNS0_19identity_decomposerEEE10hipError_tT1_T2_PT3_SG_jT4_jjP12ihipStream_tbEUlT_E0_NS1_11comp_targetILNS1_3genE4ELNS1_11target_archE910ELNS1_3gpuE8ELNS1_3repE0EEENS1_52radix_sort_onesweep_histogram_config_static_selectorELNS0_4arch9wavefront6targetE1EEEvSE_.uses_vcc, 0
	.set _ZN7rocprim17ROCPRIM_400000_NS6detail17trampoline_kernelINS0_14default_configENS1_35radix_sort_onesweep_config_selectorIilEEZNS1_34radix_sort_onesweep_global_offsetsIS3_Lb0EPiN6thrust23THRUST_200600_302600_NS10device_ptrIlEEjNS0_19identity_decomposerEEE10hipError_tT1_T2_PT3_SG_jT4_jjP12ihipStream_tbEUlT_E0_NS1_11comp_targetILNS1_3genE4ELNS1_11target_archE910ELNS1_3gpuE8ELNS1_3repE0EEENS1_52radix_sort_onesweep_histogram_config_static_selectorELNS0_4arch9wavefront6targetE1EEEvSE_.uses_flat_scratch, 0
	.set _ZN7rocprim17ROCPRIM_400000_NS6detail17trampoline_kernelINS0_14default_configENS1_35radix_sort_onesweep_config_selectorIilEEZNS1_34radix_sort_onesweep_global_offsetsIS3_Lb0EPiN6thrust23THRUST_200600_302600_NS10device_ptrIlEEjNS0_19identity_decomposerEEE10hipError_tT1_T2_PT3_SG_jT4_jjP12ihipStream_tbEUlT_E0_NS1_11comp_targetILNS1_3genE4ELNS1_11target_archE910ELNS1_3gpuE8ELNS1_3repE0EEENS1_52radix_sort_onesweep_histogram_config_static_selectorELNS0_4arch9wavefront6targetE1EEEvSE_.has_dyn_sized_stack, 0
	.set _ZN7rocprim17ROCPRIM_400000_NS6detail17trampoline_kernelINS0_14default_configENS1_35radix_sort_onesweep_config_selectorIilEEZNS1_34radix_sort_onesweep_global_offsetsIS3_Lb0EPiN6thrust23THRUST_200600_302600_NS10device_ptrIlEEjNS0_19identity_decomposerEEE10hipError_tT1_T2_PT3_SG_jT4_jjP12ihipStream_tbEUlT_E0_NS1_11comp_targetILNS1_3genE4ELNS1_11target_archE910ELNS1_3gpuE8ELNS1_3repE0EEENS1_52radix_sort_onesweep_histogram_config_static_selectorELNS0_4arch9wavefront6targetE1EEEvSE_.has_recursion, 0
	.set _ZN7rocprim17ROCPRIM_400000_NS6detail17trampoline_kernelINS0_14default_configENS1_35radix_sort_onesweep_config_selectorIilEEZNS1_34radix_sort_onesweep_global_offsetsIS3_Lb0EPiN6thrust23THRUST_200600_302600_NS10device_ptrIlEEjNS0_19identity_decomposerEEE10hipError_tT1_T2_PT3_SG_jT4_jjP12ihipStream_tbEUlT_E0_NS1_11comp_targetILNS1_3genE4ELNS1_11target_archE910ELNS1_3gpuE8ELNS1_3repE0EEENS1_52radix_sort_onesweep_histogram_config_static_selectorELNS0_4arch9wavefront6targetE1EEEvSE_.has_indirect_call, 0
	.section	.AMDGPU.csdata,"",@progbits
; Kernel info:
; codeLenInByte = 0
; TotalNumSgprs: 4
; NumVgprs: 0
; ScratchSize: 0
; MemoryBound: 0
; FloatMode: 240
; IeeeMode: 1
; LDSByteSize: 0 bytes/workgroup (compile time only)
; SGPRBlocks: 0
; VGPRBlocks: 0
; NumSGPRsForWavesPerEU: 4
; NumVGPRsForWavesPerEU: 1
; Occupancy: 10
; WaveLimiterHint : 0
; COMPUTE_PGM_RSRC2:SCRATCH_EN: 0
; COMPUTE_PGM_RSRC2:USER_SGPR: 6
; COMPUTE_PGM_RSRC2:TRAP_HANDLER: 0
; COMPUTE_PGM_RSRC2:TGID_X_EN: 1
; COMPUTE_PGM_RSRC2:TGID_Y_EN: 0
; COMPUTE_PGM_RSRC2:TGID_Z_EN: 0
; COMPUTE_PGM_RSRC2:TIDIG_COMP_CNT: 0
	.section	.text._ZN7rocprim17ROCPRIM_400000_NS6detail17trampoline_kernelINS0_14default_configENS1_35radix_sort_onesweep_config_selectorIilEEZNS1_34radix_sort_onesweep_global_offsetsIS3_Lb0EPiN6thrust23THRUST_200600_302600_NS10device_ptrIlEEjNS0_19identity_decomposerEEE10hipError_tT1_T2_PT3_SG_jT4_jjP12ihipStream_tbEUlT_E0_NS1_11comp_targetILNS1_3genE3ELNS1_11target_archE908ELNS1_3gpuE7ELNS1_3repE0EEENS1_52radix_sort_onesweep_histogram_config_static_selectorELNS0_4arch9wavefront6targetE1EEEvSE_,"axG",@progbits,_ZN7rocprim17ROCPRIM_400000_NS6detail17trampoline_kernelINS0_14default_configENS1_35radix_sort_onesweep_config_selectorIilEEZNS1_34radix_sort_onesweep_global_offsetsIS3_Lb0EPiN6thrust23THRUST_200600_302600_NS10device_ptrIlEEjNS0_19identity_decomposerEEE10hipError_tT1_T2_PT3_SG_jT4_jjP12ihipStream_tbEUlT_E0_NS1_11comp_targetILNS1_3genE3ELNS1_11target_archE908ELNS1_3gpuE7ELNS1_3repE0EEENS1_52radix_sort_onesweep_histogram_config_static_selectorELNS0_4arch9wavefront6targetE1EEEvSE_,comdat
	.protected	_ZN7rocprim17ROCPRIM_400000_NS6detail17trampoline_kernelINS0_14default_configENS1_35radix_sort_onesweep_config_selectorIilEEZNS1_34radix_sort_onesweep_global_offsetsIS3_Lb0EPiN6thrust23THRUST_200600_302600_NS10device_ptrIlEEjNS0_19identity_decomposerEEE10hipError_tT1_T2_PT3_SG_jT4_jjP12ihipStream_tbEUlT_E0_NS1_11comp_targetILNS1_3genE3ELNS1_11target_archE908ELNS1_3gpuE7ELNS1_3repE0EEENS1_52radix_sort_onesweep_histogram_config_static_selectorELNS0_4arch9wavefront6targetE1EEEvSE_ ; -- Begin function _ZN7rocprim17ROCPRIM_400000_NS6detail17trampoline_kernelINS0_14default_configENS1_35radix_sort_onesweep_config_selectorIilEEZNS1_34radix_sort_onesweep_global_offsetsIS3_Lb0EPiN6thrust23THRUST_200600_302600_NS10device_ptrIlEEjNS0_19identity_decomposerEEE10hipError_tT1_T2_PT3_SG_jT4_jjP12ihipStream_tbEUlT_E0_NS1_11comp_targetILNS1_3genE3ELNS1_11target_archE908ELNS1_3gpuE7ELNS1_3repE0EEENS1_52radix_sort_onesweep_histogram_config_static_selectorELNS0_4arch9wavefront6targetE1EEEvSE_
	.globl	_ZN7rocprim17ROCPRIM_400000_NS6detail17trampoline_kernelINS0_14default_configENS1_35radix_sort_onesweep_config_selectorIilEEZNS1_34radix_sort_onesweep_global_offsetsIS3_Lb0EPiN6thrust23THRUST_200600_302600_NS10device_ptrIlEEjNS0_19identity_decomposerEEE10hipError_tT1_T2_PT3_SG_jT4_jjP12ihipStream_tbEUlT_E0_NS1_11comp_targetILNS1_3genE3ELNS1_11target_archE908ELNS1_3gpuE7ELNS1_3repE0EEENS1_52radix_sort_onesweep_histogram_config_static_selectorELNS0_4arch9wavefront6targetE1EEEvSE_
	.p2align	8
	.type	_ZN7rocprim17ROCPRIM_400000_NS6detail17trampoline_kernelINS0_14default_configENS1_35radix_sort_onesweep_config_selectorIilEEZNS1_34radix_sort_onesweep_global_offsetsIS3_Lb0EPiN6thrust23THRUST_200600_302600_NS10device_ptrIlEEjNS0_19identity_decomposerEEE10hipError_tT1_T2_PT3_SG_jT4_jjP12ihipStream_tbEUlT_E0_NS1_11comp_targetILNS1_3genE3ELNS1_11target_archE908ELNS1_3gpuE7ELNS1_3repE0EEENS1_52radix_sort_onesweep_histogram_config_static_selectorELNS0_4arch9wavefront6targetE1EEEvSE_,@function
_ZN7rocprim17ROCPRIM_400000_NS6detail17trampoline_kernelINS0_14default_configENS1_35radix_sort_onesweep_config_selectorIilEEZNS1_34radix_sort_onesweep_global_offsetsIS3_Lb0EPiN6thrust23THRUST_200600_302600_NS10device_ptrIlEEjNS0_19identity_decomposerEEE10hipError_tT1_T2_PT3_SG_jT4_jjP12ihipStream_tbEUlT_E0_NS1_11comp_targetILNS1_3genE3ELNS1_11target_archE908ELNS1_3gpuE7ELNS1_3repE0EEENS1_52radix_sort_onesweep_histogram_config_static_selectorELNS0_4arch9wavefront6targetE1EEEvSE_: ; @_ZN7rocprim17ROCPRIM_400000_NS6detail17trampoline_kernelINS0_14default_configENS1_35radix_sort_onesweep_config_selectorIilEEZNS1_34radix_sort_onesweep_global_offsetsIS3_Lb0EPiN6thrust23THRUST_200600_302600_NS10device_ptrIlEEjNS0_19identity_decomposerEEE10hipError_tT1_T2_PT3_SG_jT4_jjP12ihipStream_tbEUlT_E0_NS1_11comp_targetILNS1_3genE3ELNS1_11target_archE908ELNS1_3gpuE7ELNS1_3repE0EEENS1_52radix_sort_onesweep_histogram_config_static_selectorELNS0_4arch9wavefront6targetE1EEEvSE_
; %bb.0:
	.section	.rodata,"a",@progbits
	.p2align	6, 0x0
	.amdhsa_kernel _ZN7rocprim17ROCPRIM_400000_NS6detail17trampoline_kernelINS0_14default_configENS1_35radix_sort_onesweep_config_selectorIilEEZNS1_34radix_sort_onesweep_global_offsetsIS3_Lb0EPiN6thrust23THRUST_200600_302600_NS10device_ptrIlEEjNS0_19identity_decomposerEEE10hipError_tT1_T2_PT3_SG_jT4_jjP12ihipStream_tbEUlT_E0_NS1_11comp_targetILNS1_3genE3ELNS1_11target_archE908ELNS1_3gpuE7ELNS1_3repE0EEENS1_52radix_sort_onesweep_histogram_config_static_selectorELNS0_4arch9wavefront6targetE1EEEvSE_
		.amdhsa_group_segment_fixed_size 0
		.amdhsa_private_segment_fixed_size 0
		.amdhsa_kernarg_size 8
		.amdhsa_user_sgpr_count 6
		.amdhsa_user_sgpr_private_segment_buffer 1
		.amdhsa_user_sgpr_dispatch_ptr 0
		.amdhsa_user_sgpr_queue_ptr 0
		.amdhsa_user_sgpr_kernarg_segment_ptr 1
		.amdhsa_user_sgpr_dispatch_id 0
		.amdhsa_user_sgpr_flat_scratch_init 0
		.amdhsa_user_sgpr_private_segment_size 0
		.amdhsa_uses_dynamic_stack 0
		.amdhsa_system_sgpr_private_segment_wavefront_offset 0
		.amdhsa_system_sgpr_workgroup_id_x 1
		.amdhsa_system_sgpr_workgroup_id_y 0
		.amdhsa_system_sgpr_workgroup_id_z 0
		.amdhsa_system_sgpr_workgroup_info 0
		.amdhsa_system_vgpr_workitem_id 0
		.amdhsa_next_free_vgpr 1
		.amdhsa_next_free_sgpr 0
		.amdhsa_reserve_vcc 0
		.amdhsa_reserve_flat_scratch 0
		.amdhsa_float_round_mode_32 0
		.amdhsa_float_round_mode_16_64 0
		.amdhsa_float_denorm_mode_32 3
		.amdhsa_float_denorm_mode_16_64 3
		.amdhsa_dx10_clamp 1
		.amdhsa_ieee_mode 1
		.amdhsa_fp16_overflow 0
		.amdhsa_exception_fp_ieee_invalid_op 0
		.amdhsa_exception_fp_denorm_src 0
		.amdhsa_exception_fp_ieee_div_zero 0
		.amdhsa_exception_fp_ieee_overflow 0
		.amdhsa_exception_fp_ieee_underflow 0
		.amdhsa_exception_fp_ieee_inexact 0
		.amdhsa_exception_int_div_zero 0
	.end_amdhsa_kernel
	.section	.text._ZN7rocprim17ROCPRIM_400000_NS6detail17trampoline_kernelINS0_14default_configENS1_35radix_sort_onesweep_config_selectorIilEEZNS1_34radix_sort_onesweep_global_offsetsIS3_Lb0EPiN6thrust23THRUST_200600_302600_NS10device_ptrIlEEjNS0_19identity_decomposerEEE10hipError_tT1_T2_PT3_SG_jT4_jjP12ihipStream_tbEUlT_E0_NS1_11comp_targetILNS1_3genE3ELNS1_11target_archE908ELNS1_3gpuE7ELNS1_3repE0EEENS1_52radix_sort_onesweep_histogram_config_static_selectorELNS0_4arch9wavefront6targetE1EEEvSE_,"axG",@progbits,_ZN7rocprim17ROCPRIM_400000_NS6detail17trampoline_kernelINS0_14default_configENS1_35radix_sort_onesweep_config_selectorIilEEZNS1_34radix_sort_onesweep_global_offsetsIS3_Lb0EPiN6thrust23THRUST_200600_302600_NS10device_ptrIlEEjNS0_19identity_decomposerEEE10hipError_tT1_T2_PT3_SG_jT4_jjP12ihipStream_tbEUlT_E0_NS1_11comp_targetILNS1_3genE3ELNS1_11target_archE908ELNS1_3gpuE7ELNS1_3repE0EEENS1_52radix_sort_onesweep_histogram_config_static_selectorELNS0_4arch9wavefront6targetE1EEEvSE_,comdat
.Lfunc_end862:
	.size	_ZN7rocprim17ROCPRIM_400000_NS6detail17trampoline_kernelINS0_14default_configENS1_35radix_sort_onesweep_config_selectorIilEEZNS1_34radix_sort_onesweep_global_offsetsIS3_Lb0EPiN6thrust23THRUST_200600_302600_NS10device_ptrIlEEjNS0_19identity_decomposerEEE10hipError_tT1_T2_PT3_SG_jT4_jjP12ihipStream_tbEUlT_E0_NS1_11comp_targetILNS1_3genE3ELNS1_11target_archE908ELNS1_3gpuE7ELNS1_3repE0EEENS1_52radix_sort_onesweep_histogram_config_static_selectorELNS0_4arch9wavefront6targetE1EEEvSE_, .Lfunc_end862-_ZN7rocprim17ROCPRIM_400000_NS6detail17trampoline_kernelINS0_14default_configENS1_35radix_sort_onesweep_config_selectorIilEEZNS1_34radix_sort_onesweep_global_offsetsIS3_Lb0EPiN6thrust23THRUST_200600_302600_NS10device_ptrIlEEjNS0_19identity_decomposerEEE10hipError_tT1_T2_PT3_SG_jT4_jjP12ihipStream_tbEUlT_E0_NS1_11comp_targetILNS1_3genE3ELNS1_11target_archE908ELNS1_3gpuE7ELNS1_3repE0EEENS1_52radix_sort_onesweep_histogram_config_static_selectorELNS0_4arch9wavefront6targetE1EEEvSE_
                                        ; -- End function
	.set _ZN7rocprim17ROCPRIM_400000_NS6detail17trampoline_kernelINS0_14default_configENS1_35radix_sort_onesweep_config_selectorIilEEZNS1_34radix_sort_onesweep_global_offsetsIS3_Lb0EPiN6thrust23THRUST_200600_302600_NS10device_ptrIlEEjNS0_19identity_decomposerEEE10hipError_tT1_T2_PT3_SG_jT4_jjP12ihipStream_tbEUlT_E0_NS1_11comp_targetILNS1_3genE3ELNS1_11target_archE908ELNS1_3gpuE7ELNS1_3repE0EEENS1_52radix_sort_onesweep_histogram_config_static_selectorELNS0_4arch9wavefront6targetE1EEEvSE_.num_vgpr, 0
	.set _ZN7rocprim17ROCPRIM_400000_NS6detail17trampoline_kernelINS0_14default_configENS1_35radix_sort_onesweep_config_selectorIilEEZNS1_34radix_sort_onesweep_global_offsetsIS3_Lb0EPiN6thrust23THRUST_200600_302600_NS10device_ptrIlEEjNS0_19identity_decomposerEEE10hipError_tT1_T2_PT3_SG_jT4_jjP12ihipStream_tbEUlT_E0_NS1_11comp_targetILNS1_3genE3ELNS1_11target_archE908ELNS1_3gpuE7ELNS1_3repE0EEENS1_52radix_sort_onesweep_histogram_config_static_selectorELNS0_4arch9wavefront6targetE1EEEvSE_.num_agpr, 0
	.set _ZN7rocprim17ROCPRIM_400000_NS6detail17trampoline_kernelINS0_14default_configENS1_35radix_sort_onesweep_config_selectorIilEEZNS1_34radix_sort_onesweep_global_offsetsIS3_Lb0EPiN6thrust23THRUST_200600_302600_NS10device_ptrIlEEjNS0_19identity_decomposerEEE10hipError_tT1_T2_PT3_SG_jT4_jjP12ihipStream_tbEUlT_E0_NS1_11comp_targetILNS1_3genE3ELNS1_11target_archE908ELNS1_3gpuE7ELNS1_3repE0EEENS1_52radix_sort_onesweep_histogram_config_static_selectorELNS0_4arch9wavefront6targetE1EEEvSE_.numbered_sgpr, 0
	.set _ZN7rocprim17ROCPRIM_400000_NS6detail17trampoline_kernelINS0_14default_configENS1_35radix_sort_onesweep_config_selectorIilEEZNS1_34radix_sort_onesweep_global_offsetsIS3_Lb0EPiN6thrust23THRUST_200600_302600_NS10device_ptrIlEEjNS0_19identity_decomposerEEE10hipError_tT1_T2_PT3_SG_jT4_jjP12ihipStream_tbEUlT_E0_NS1_11comp_targetILNS1_3genE3ELNS1_11target_archE908ELNS1_3gpuE7ELNS1_3repE0EEENS1_52radix_sort_onesweep_histogram_config_static_selectorELNS0_4arch9wavefront6targetE1EEEvSE_.num_named_barrier, 0
	.set _ZN7rocprim17ROCPRIM_400000_NS6detail17trampoline_kernelINS0_14default_configENS1_35radix_sort_onesweep_config_selectorIilEEZNS1_34radix_sort_onesweep_global_offsetsIS3_Lb0EPiN6thrust23THRUST_200600_302600_NS10device_ptrIlEEjNS0_19identity_decomposerEEE10hipError_tT1_T2_PT3_SG_jT4_jjP12ihipStream_tbEUlT_E0_NS1_11comp_targetILNS1_3genE3ELNS1_11target_archE908ELNS1_3gpuE7ELNS1_3repE0EEENS1_52radix_sort_onesweep_histogram_config_static_selectorELNS0_4arch9wavefront6targetE1EEEvSE_.private_seg_size, 0
	.set _ZN7rocprim17ROCPRIM_400000_NS6detail17trampoline_kernelINS0_14default_configENS1_35radix_sort_onesweep_config_selectorIilEEZNS1_34radix_sort_onesweep_global_offsetsIS3_Lb0EPiN6thrust23THRUST_200600_302600_NS10device_ptrIlEEjNS0_19identity_decomposerEEE10hipError_tT1_T2_PT3_SG_jT4_jjP12ihipStream_tbEUlT_E0_NS1_11comp_targetILNS1_3genE3ELNS1_11target_archE908ELNS1_3gpuE7ELNS1_3repE0EEENS1_52radix_sort_onesweep_histogram_config_static_selectorELNS0_4arch9wavefront6targetE1EEEvSE_.uses_vcc, 0
	.set _ZN7rocprim17ROCPRIM_400000_NS6detail17trampoline_kernelINS0_14default_configENS1_35radix_sort_onesweep_config_selectorIilEEZNS1_34radix_sort_onesweep_global_offsetsIS3_Lb0EPiN6thrust23THRUST_200600_302600_NS10device_ptrIlEEjNS0_19identity_decomposerEEE10hipError_tT1_T2_PT3_SG_jT4_jjP12ihipStream_tbEUlT_E0_NS1_11comp_targetILNS1_3genE3ELNS1_11target_archE908ELNS1_3gpuE7ELNS1_3repE0EEENS1_52radix_sort_onesweep_histogram_config_static_selectorELNS0_4arch9wavefront6targetE1EEEvSE_.uses_flat_scratch, 0
	.set _ZN7rocprim17ROCPRIM_400000_NS6detail17trampoline_kernelINS0_14default_configENS1_35radix_sort_onesweep_config_selectorIilEEZNS1_34radix_sort_onesweep_global_offsetsIS3_Lb0EPiN6thrust23THRUST_200600_302600_NS10device_ptrIlEEjNS0_19identity_decomposerEEE10hipError_tT1_T2_PT3_SG_jT4_jjP12ihipStream_tbEUlT_E0_NS1_11comp_targetILNS1_3genE3ELNS1_11target_archE908ELNS1_3gpuE7ELNS1_3repE0EEENS1_52radix_sort_onesweep_histogram_config_static_selectorELNS0_4arch9wavefront6targetE1EEEvSE_.has_dyn_sized_stack, 0
	.set _ZN7rocprim17ROCPRIM_400000_NS6detail17trampoline_kernelINS0_14default_configENS1_35radix_sort_onesweep_config_selectorIilEEZNS1_34radix_sort_onesweep_global_offsetsIS3_Lb0EPiN6thrust23THRUST_200600_302600_NS10device_ptrIlEEjNS0_19identity_decomposerEEE10hipError_tT1_T2_PT3_SG_jT4_jjP12ihipStream_tbEUlT_E0_NS1_11comp_targetILNS1_3genE3ELNS1_11target_archE908ELNS1_3gpuE7ELNS1_3repE0EEENS1_52radix_sort_onesweep_histogram_config_static_selectorELNS0_4arch9wavefront6targetE1EEEvSE_.has_recursion, 0
	.set _ZN7rocprim17ROCPRIM_400000_NS6detail17trampoline_kernelINS0_14default_configENS1_35radix_sort_onesweep_config_selectorIilEEZNS1_34radix_sort_onesweep_global_offsetsIS3_Lb0EPiN6thrust23THRUST_200600_302600_NS10device_ptrIlEEjNS0_19identity_decomposerEEE10hipError_tT1_T2_PT3_SG_jT4_jjP12ihipStream_tbEUlT_E0_NS1_11comp_targetILNS1_3genE3ELNS1_11target_archE908ELNS1_3gpuE7ELNS1_3repE0EEENS1_52radix_sort_onesweep_histogram_config_static_selectorELNS0_4arch9wavefront6targetE1EEEvSE_.has_indirect_call, 0
	.section	.AMDGPU.csdata,"",@progbits
; Kernel info:
; codeLenInByte = 0
; TotalNumSgprs: 4
; NumVgprs: 0
; ScratchSize: 0
; MemoryBound: 0
; FloatMode: 240
; IeeeMode: 1
; LDSByteSize: 0 bytes/workgroup (compile time only)
; SGPRBlocks: 0
; VGPRBlocks: 0
; NumSGPRsForWavesPerEU: 4
; NumVGPRsForWavesPerEU: 1
; Occupancy: 10
; WaveLimiterHint : 0
; COMPUTE_PGM_RSRC2:SCRATCH_EN: 0
; COMPUTE_PGM_RSRC2:USER_SGPR: 6
; COMPUTE_PGM_RSRC2:TRAP_HANDLER: 0
; COMPUTE_PGM_RSRC2:TGID_X_EN: 1
; COMPUTE_PGM_RSRC2:TGID_Y_EN: 0
; COMPUTE_PGM_RSRC2:TGID_Z_EN: 0
; COMPUTE_PGM_RSRC2:TIDIG_COMP_CNT: 0
	.section	.text._ZN7rocprim17ROCPRIM_400000_NS6detail17trampoline_kernelINS0_14default_configENS1_35radix_sort_onesweep_config_selectorIilEEZNS1_34radix_sort_onesweep_global_offsetsIS3_Lb0EPiN6thrust23THRUST_200600_302600_NS10device_ptrIlEEjNS0_19identity_decomposerEEE10hipError_tT1_T2_PT3_SG_jT4_jjP12ihipStream_tbEUlT_E0_NS1_11comp_targetILNS1_3genE10ELNS1_11target_archE1201ELNS1_3gpuE5ELNS1_3repE0EEENS1_52radix_sort_onesweep_histogram_config_static_selectorELNS0_4arch9wavefront6targetE1EEEvSE_,"axG",@progbits,_ZN7rocprim17ROCPRIM_400000_NS6detail17trampoline_kernelINS0_14default_configENS1_35radix_sort_onesweep_config_selectorIilEEZNS1_34radix_sort_onesweep_global_offsetsIS3_Lb0EPiN6thrust23THRUST_200600_302600_NS10device_ptrIlEEjNS0_19identity_decomposerEEE10hipError_tT1_T2_PT3_SG_jT4_jjP12ihipStream_tbEUlT_E0_NS1_11comp_targetILNS1_3genE10ELNS1_11target_archE1201ELNS1_3gpuE5ELNS1_3repE0EEENS1_52radix_sort_onesweep_histogram_config_static_selectorELNS0_4arch9wavefront6targetE1EEEvSE_,comdat
	.protected	_ZN7rocprim17ROCPRIM_400000_NS6detail17trampoline_kernelINS0_14default_configENS1_35radix_sort_onesweep_config_selectorIilEEZNS1_34radix_sort_onesweep_global_offsetsIS3_Lb0EPiN6thrust23THRUST_200600_302600_NS10device_ptrIlEEjNS0_19identity_decomposerEEE10hipError_tT1_T2_PT3_SG_jT4_jjP12ihipStream_tbEUlT_E0_NS1_11comp_targetILNS1_3genE10ELNS1_11target_archE1201ELNS1_3gpuE5ELNS1_3repE0EEENS1_52radix_sort_onesweep_histogram_config_static_selectorELNS0_4arch9wavefront6targetE1EEEvSE_ ; -- Begin function _ZN7rocprim17ROCPRIM_400000_NS6detail17trampoline_kernelINS0_14default_configENS1_35radix_sort_onesweep_config_selectorIilEEZNS1_34radix_sort_onesweep_global_offsetsIS3_Lb0EPiN6thrust23THRUST_200600_302600_NS10device_ptrIlEEjNS0_19identity_decomposerEEE10hipError_tT1_T2_PT3_SG_jT4_jjP12ihipStream_tbEUlT_E0_NS1_11comp_targetILNS1_3genE10ELNS1_11target_archE1201ELNS1_3gpuE5ELNS1_3repE0EEENS1_52radix_sort_onesweep_histogram_config_static_selectorELNS0_4arch9wavefront6targetE1EEEvSE_
	.globl	_ZN7rocprim17ROCPRIM_400000_NS6detail17trampoline_kernelINS0_14default_configENS1_35radix_sort_onesweep_config_selectorIilEEZNS1_34radix_sort_onesweep_global_offsetsIS3_Lb0EPiN6thrust23THRUST_200600_302600_NS10device_ptrIlEEjNS0_19identity_decomposerEEE10hipError_tT1_T2_PT3_SG_jT4_jjP12ihipStream_tbEUlT_E0_NS1_11comp_targetILNS1_3genE10ELNS1_11target_archE1201ELNS1_3gpuE5ELNS1_3repE0EEENS1_52radix_sort_onesweep_histogram_config_static_selectorELNS0_4arch9wavefront6targetE1EEEvSE_
	.p2align	8
	.type	_ZN7rocprim17ROCPRIM_400000_NS6detail17trampoline_kernelINS0_14default_configENS1_35radix_sort_onesweep_config_selectorIilEEZNS1_34radix_sort_onesweep_global_offsetsIS3_Lb0EPiN6thrust23THRUST_200600_302600_NS10device_ptrIlEEjNS0_19identity_decomposerEEE10hipError_tT1_T2_PT3_SG_jT4_jjP12ihipStream_tbEUlT_E0_NS1_11comp_targetILNS1_3genE10ELNS1_11target_archE1201ELNS1_3gpuE5ELNS1_3repE0EEENS1_52radix_sort_onesweep_histogram_config_static_selectorELNS0_4arch9wavefront6targetE1EEEvSE_,@function
_ZN7rocprim17ROCPRIM_400000_NS6detail17trampoline_kernelINS0_14default_configENS1_35radix_sort_onesweep_config_selectorIilEEZNS1_34radix_sort_onesweep_global_offsetsIS3_Lb0EPiN6thrust23THRUST_200600_302600_NS10device_ptrIlEEjNS0_19identity_decomposerEEE10hipError_tT1_T2_PT3_SG_jT4_jjP12ihipStream_tbEUlT_E0_NS1_11comp_targetILNS1_3genE10ELNS1_11target_archE1201ELNS1_3gpuE5ELNS1_3repE0EEENS1_52radix_sort_onesweep_histogram_config_static_selectorELNS0_4arch9wavefront6targetE1EEEvSE_: ; @_ZN7rocprim17ROCPRIM_400000_NS6detail17trampoline_kernelINS0_14default_configENS1_35radix_sort_onesweep_config_selectorIilEEZNS1_34radix_sort_onesweep_global_offsetsIS3_Lb0EPiN6thrust23THRUST_200600_302600_NS10device_ptrIlEEjNS0_19identity_decomposerEEE10hipError_tT1_T2_PT3_SG_jT4_jjP12ihipStream_tbEUlT_E0_NS1_11comp_targetILNS1_3genE10ELNS1_11target_archE1201ELNS1_3gpuE5ELNS1_3repE0EEENS1_52radix_sort_onesweep_histogram_config_static_selectorELNS0_4arch9wavefront6targetE1EEEvSE_
; %bb.0:
	.section	.rodata,"a",@progbits
	.p2align	6, 0x0
	.amdhsa_kernel _ZN7rocprim17ROCPRIM_400000_NS6detail17trampoline_kernelINS0_14default_configENS1_35radix_sort_onesweep_config_selectorIilEEZNS1_34radix_sort_onesweep_global_offsetsIS3_Lb0EPiN6thrust23THRUST_200600_302600_NS10device_ptrIlEEjNS0_19identity_decomposerEEE10hipError_tT1_T2_PT3_SG_jT4_jjP12ihipStream_tbEUlT_E0_NS1_11comp_targetILNS1_3genE10ELNS1_11target_archE1201ELNS1_3gpuE5ELNS1_3repE0EEENS1_52radix_sort_onesweep_histogram_config_static_selectorELNS0_4arch9wavefront6targetE1EEEvSE_
		.amdhsa_group_segment_fixed_size 0
		.amdhsa_private_segment_fixed_size 0
		.amdhsa_kernarg_size 8
		.amdhsa_user_sgpr_count 6
		.amdhsa_user_sgpr_private_segment_buffer 1
		.amdhsa_user_sgpr_dispatch_ptr 0
		.amdhsa_user_sgpr_queue_ptr 0
		.amdhsa_user_sgpr_kernarg_segment_ptr 1
		.amdhsa_user_sgpr_dispatch_id 0
		.amdhsa_user_sgpr_flat_scratch_init 0
		.amdhsa_user_sgpr_private_segment_size 0
		.amdhsa_uses_dynamic_stack 0
		.amdhsa_system_sgpr_private_segment_wavefront_offset 0
		.amdhsa_system_sgpr_workgroup_id_x 1
		.amdhsa_system_sgpr_workgroup_id_y 0
		.amdhsa_system_sgpr_workgroup_id_z 0
		.amdhsa_system_sgpr_workgroup_info 0
		.amdhsa_system_vgpr_workitem_id 0
		.amdhsa_next_free_vgpr 1
		.amdhsa_next_free_sgpr 0
		.amdhsa_reserve_vcc 0
		.amdhsa_reserve_flat_scratch 0
		.amdhsa_float_round_mode_32 0
		.amdhsa_float_round_mode_16_64 0
		.amdhsa_float_denorm_mode_32 3
		.amdhsa_float_denorm_mode_16_64 3
		.amdhsa_dx10_clamp 1
		.amdhsa_ieee_mode 1
		.amdhsa_fp16_overflow 0
		.amdhsa_exception_fp_ieee_invalid_op 0
		.amdhsa_exception_fp_denorm_src 0
		.amdhsa_exception_fp_ieee_div_zero 0
		.amdhsa_exception_fp_ieee_overflow 0
		.amdhsa_exception_fp_ieee_underflow 0
		.amdhsa_exception_fp_ieee_inexact 0
		.amdhsa_exception_int_div_zero 0
	.end_amdhsa_kernel
	.section	.text._ZN7rocprim17ROCPRIM_400000_NS6detail17trampoline_kernelINS0_14default_configENS1_35radix_sort_onesweep_config_selectorIilEEZNS1_34radix_sort_onesweep_global_offsetsIS3_Lb0EPiN6thrust23THRUST_200600_302600_NS10device_ptrIlEEjNS0_19identity_decomposerEEE10hipError_tT1_T2_PT3_SG_jT4_jjP12ihipStream_tbEUlT_E0_NS1_11comp_targetILNS1_3genE10ELNS1_11target_archE1201ELNS1_3gpuE5ELNS1_3repE0EEENS1_52radix_sort_onesweep_histogram_config_static_selectorELNS0_4arch9wavefront6targetE1EEEvSE_,"axG",@progbits,_ZN7rocprim17ROCPRIM_400000_NS6detail17trampoline_kernelINS0_14default_configENS1_35radix_sort_onesweep_config_selectorIilEEZNS1_34radix_sort_onesweep_global_offsetsIS3_Lb0EPiN6thrust23THRUST_200600_302600_NS10device_ptrIlEEjNS0_19identity_decomposerEEE10hipError_tT1_T2_PT3_SG_jT4_jjP12ihipStream_tbEUlT_E0_NS1_11comp_targetILNS1_3genE10ELNS1_11target_archE1201ELNS1_3gpuE5ELNS1_3repE0EEENS1_52radix_sort_onesweep_histogram_config_static_selectorELNS0_4arch9wavefront6targetE1EEEvSE_,comdat
.Lfunc_end863:
	.size	_ZN7rocprim17ROCPRIM_400000_NS6detail17trampoline_kernelINS0_14default_configENS1_35radix_sort_onesweep_config_selectorIilEEZNS1_34radix_sort_onesweep_global_offsetsIS3_Lb0EPiN6thrust23THRUST_200600_302600_NS10device_ptrIlEEjNS0_19identity_decomposerEEE10hipError_tT1_T2_PT3_SG_jT4_jjP12ihipStream_tbEUlT_E0_NS1_11comp_targetILNS1_3genE10ELNS1_11target_archE1201ELNS1_3gpuE5ELNS1_3repE0EEENS1_52radix_sort_onesweep_histogram_config_static_selectorELNS0_4arch9wavefront6targetE1EEEvSE_, .Lfunc_end863-_ZN7rocprim17ROCPRIM_400000_NS6detail17trampoline_kernelINS0_14default_configENS1_35radix_sort_onesweep_config_selectorIilEEZNS1_34radix_sort_onesweep_global_offsetsIS3_Lb0EPiN6thrust23THRUST_200600_302600_NS10device_ptrIlEEjNS0_19identity_decomposerEEE10hipError_tT1_T2_PT3_SG_jT4_jjP12ihipStream_tbEUlT_E0_NS1_11comp_targetILNS1_3genE10ELNS1_11target_archE1201ELNS1_3gpuE5ELNS1_3repE0EEENS1_52radix_sort_onesweep_histogram_config_static_selectorELNS0_4arch9wavefront6targetE1EEEvSE_
                                        ; -- End function
	.set _ZN7rocprim17ROCPRIM_400000_NS6detail17trampoline_kernelINS0_14default_configENS1_35radix_sort_onesweep_config_selectorIilEEZNS1_34radix_sort_onesweep_global_offsetsIS3_Lb0EPiN6thrust23THRUST_200600_302600_NS10device_ptrIlEEjNS0_19identity_decomposerEEE10hipError_tT1_T2_PT3_SG_jT4_jjP12ihipStream_tbEUlT_E0_NS1_11comp_targetILNS1_3genE10ELNS1_11target_archE1201ELNS1_3gpuE5ELNS1_3repE0EEENS1_52radix_sort_onesweep_histogram_config_static_selectorELNS0_4arch9wavefront6targetE1EEEvSE_.num_vgpr, 0
	.set _ZN7rocprim17ROCPRIM_400000_NS6detail17trampoline_kernelINS0_14default_configENS1_35radix_sort_onesweep_config_selectorIilEEZNS1_34radix_sort_onesweep_global_offsetsIS3_Lb0EPiN6thrust23THRUST_200600_302600_NS10device_ptrIlEEjNS0_19identity_decomposerEEE10hipError_tT1_T2_PT3_SG_jT4_jjP12ihipStream_tbEUlT_E0_NS1_11comp_targetILNS1_3genE10ELNS1_11target_archE1201ELNS1_3gpuE5ELNS1_3repE0EEENS1_52radix_sort_onesweep_histogram_config_static_selectorELNS0_4arch9wavefront6targetE1EEEvSE_.num_agpr, 0
	.set _ZN7rocprim17ROCPRIM_400000_NS6detail17trampoline_kernelINS0_14default_configENS1_35radix_sort_onesweep_config_selectorIilEEZNS1_34radix_sort_onesweep_global_offsetsIS3_Lb0EPiN6thrust23THRUST_200600_302600_NS10device_ptrIlEEjNS0_19identity_decomposerEEE10hipError_tT1_T2_PT3_SG_jT4_jjP12ihipStream_tbEUlT_E0_NS1_11comp_targetILNS1_3genE10ELNS1_11target_archE1201ELNS1_3gpuE5ELNS1_3repE0EEENS1_52radix_sort_onesweep_histogram_config_static_selectorELNS0_4arch9wavefront6targetE1EEEvSE_.numbered_sgpr, 0
	.set _ZN7rocprim17ROCPRIM_400000_NS6detail17trampoline_kernelINS0_14default_configENS1_35radix_sort_onesweep_config_selectorIilEEZNS1_34radix_sort_onesweep_global_offsetsIS3_Lb0EPiN6thrust23THRUST_200600_302600_NS10device_ptrIlEEjNS0_19identity_decomposerEEE10hipError_tT1_T2_PT3_SG_jT4_jjP12ihipStream_tbEUlT_E0_NS1_11comp_targetILNS1_3genE10ELNS1_11target_archE1201ELNS1_3gpuE5ELNS1_3repE0EEENS1_52radix_sort_onesweep_histogram_config_static_selectorELNS0_4arch9wavefront6targetE1EEEvSE_.num_named_barrier, 0
	.set _ZN7rocprim17ROCPRIM_400000_NS6detail17trampoline_kernelINS0_14default_configENS1_35radix_sort_onesweep_config_selectorIilEEZNS1_34radix_sort_onesweep_global_offsetsIS3_Lb0EPiN6thrust23THRUST_200600_302600_NS10device_ptrIlEEjNS0_19identity_decomposerEEE10hipError_tT1_T2_PT3_SG_jT4_jjP12ihipStream_tbEUlT_E0_NS1_11comp_targetILNS1_3genE10ELNS1_11target_archE1201ELNS1_3gpuE5ELNS1_3repE0EEENS1_52radix_sort_onesweep_histogram_config_static_selectorELNS0_4arch9wavefront6targetE1EEEvSE_.private_seg_size, 0
	.set _ZN7rocprim17ROCPRIM_400000_NS6detail17trampoline_kernelINS0_14default_configENS1_35radix_sort_onesweep_config_selectorIilEEZNS1_34radix_sort_onesweep_global_offsetsIS3_Lb0EPiN6thrust23THRUST_200600_302600_NS10device_ptrIlEEjNS0_19identity_decomposerEEE10hipError_tT1_T2_PT3_SG_jT4_jjP12ihipStream_tbEUlT_E0_NS1_11comp_targetILNS1_3genE10ELNS1_11target_archE1201ELNS1_3gpuE5ELNS1_3repE0EEENS1_52radix_sort_onesweep_histogram_config_static_selectorELNS0_4arch9wavefront6targetE1EEEvSE_.uses_vcc, 0
	.set _ZN7rocprim17ROCPRIM_400000_NS6detail17trampoline_kernelINS0_14default_configENS1_35radix_sort_onesweep_config_selectorIilEEZNS1_34radix_sort_onesweep_global_offsetsIS3_Lb0EPiN6thrust23THRUST_200600_302600_NS10device_ptrIlEEjNS0_19identity_decomposerEEE10hipError_tT1_T2_PT3_SG_jT4_jjP12ihipStream_tbEUlT_E0_NS1_11comp_targetILNS1_3genE10ELNS1_11target_archE1201ELNS1_3gpuE5ELNS1_3repE0EEENS1_52radix_sort_onesweep_histogram_config_static_selectorELNS0_4arch9wavefront6targetE1EEEvSE_.uses_flat_scratch, 0
	.set _ZN7rocprim17ROCPRIM_400000_NS6detail17trampoline_kernelINS0_14default_configENS1_35radix_sort_onesweep_config_selectorIilEEZNS1_34radix_sort_onesweep_global_offsetsIS3_Lb0EPiN6thrust23THRUST_200600_302600_NS10device_ptrIlEEjNS0_19identity_decomposerEEE10hipError_tT1_T2_PT3_SG_jT4_jjP12ihipStream_tbEUlT_E0_NS1_11comp_targetILNS1_3genE10ELNS1_11target_archE1201ELNS1_3gpuE5ELNS1_3repE0EEENS1_52radix_sort_onesweep_histogram_config_static_selectorELNS0_4arch9wavefront6targetE1EEEvSE_.has_dyn_sized_stack, 0
	.set _ZN7rocprim17ROCPRIM_400000_NS6detail17trampoline_kernelINS0_14default_configENS1_35radix_sort_onesweep_config_selectorIilEEZNS1_34radix_sort_onesweep_global_offsetsIS3_Lb0EPiN6thrust23THRUST_200600_302600_NS10device_ptrIlEEjNS0_19identity_decomposerEEE10hipError_tT1_T2_PT3_SG_jT4_jjP12ihipStream_tbEUlT_E0_NS1_11comp_targetILNS1_3genE10ELNS1_11target_archE1201ELNS1_3gpuE5ELNS1_3repE0EEENS1_52radix_sort_onesweep_histogram_config_static_selectorELNS0_4arch9wavefront6targetE1EEEvSE_.has_recursion, 0
	.set _ZN7rocprim17ROCPRIM_400000_NS6detail17trampoline_kernelINS0_14default_configENS1_35radix_sort_onesweep_config_selectorIilEEZNS1_34radix_sort_onesweep_global_offsetsIS3_Lb0EPiN6thrust23THRUST_200600_302600_NS10device_ptrIlEEjNS0_19identity_decomposerEEE10hipError_tT1_T2_PT3_SG_jT4_jjP12ihipStream_tbEUlT_E0_NS1_11comp_targetILNS1_3genE10ELNS1_11target_archE1201ELNS1_3gpuE5ELNS1_3repE0EEENS1_52radix_sort_onesweep_histogram_config_static_selectorELNS0_4arch9wavefront6targetE1EEEvSE_.has_indirect_call, 0
	.section	.AMDGPU.csdata,"",@progbits
; Kernel info:
; codeLenInByte = 0
; TotalNumSgprs: 4
; NumVgprs: 0
; ScratchSize: 0
; MemoryBound: 0
; FloatMode: 240
; IeeeMode: 1
; LDSByteSize: 0 bytes/workgroup (compile time only)
; SGPRBlocks: 0
; VGPRBlocks: 0
; NumSGPRsForWavesPerEU: 4
; NumVGPRsForWavesPerEU: 1
; Occupancy: 10
; WaveLimiterHint : 0
; COMPUTE_PGM_RSRC2:SCRATCH_EN: 0
; COMPUTE_PGM_RSRC2:USER_SGPR: 6
; COMPUTE_PGM_RSRC2:TRAP_HANDLER: 0
; COMPUTE_PGM_RSRC2:TGID_X_EN: 1
; COMPUTE_PGM_RSRC2:TGID_Y_EN: 0
; COMPUTE_PGM_RSRC2:TGID_Z_EN: 0
; COMPUTE_PGM_RSRC2:TIDIG_COMP_CNT: 0
	.section	.text._ZN7rocprim17ROCPRIM_400000_NS6detail17trampoline_kernelINS0_14default_configENS1_35radix_sort_onesweep_config_selectorIilEEZNS1_34radix_sort_onesweep_global_offsetsIS3_Lb0EPiN6thrust23THRUST_200600_302600_NS10device_ptrIlEEjNS0_19identity_decomposerEEE10hipError_tT1_T2_PT3_SG_jT4_jjP12ihipStream_tbEUlT_E0_NS1_11comp_targetILNS1_3genE9ELNS1_11target_archE1100ELNS1_3gpuE3ELNS1_3repE0EEENS1_52radix_sort_onesweep_histogram_config_static_selectorELNS0_4arch9wavefront6targetE1EEEvSE_,"axG",@progbits,_ZN7rocprim17ROCPRIM_400000_NS6detail17trampoline_kernelINS0_14default_configENS1_35radix_sort_onesweep_config_selectorIilEEZNS1_34radix_sort_onesweep_global_offsetsIS3_Lb0EPiN6thrust23THRUST_200600_302600_NS10device_ptrIlEEjNS0_19identity_decomposerEEE10hipError_tT1_T2_PT3_SG_jT4_jjP12ihipStream_tbEUlT_E0_NS1_11comp_targetILNS1_3genE9ELNS1_11target_archE1100ELNS1_3gpuE3ELNS1_3repE0EEENS1_52radix_sort_onesweep_histogram_config_static_selectorELNS0_4arch9wavefront6targetE1EEEvSE_,comdat
	.protected	_ZN7rocprim17ROCPRIM_400000_NS6detail17trampoline_kernelINS0_14default_configENS1_35radix_sort_onesweep_config_selectorIilEEZNS1_34radix_sort_onesweep_global_offsetsIS3_Lb0EPiN6thrust23THRUST_200600_302600_NS10device_ptrIlEEjNS0_19identity_decomposerEEE10hipError_tT1_T2_PT3_SG_jT4_jjP12ihipStream_tbEUlT_E0_NS1_11comp_targetILNS1_3genE9ELNS1_11target_archE1100ELNS1_3gpuE3ELNS1_3repE0EEENS1_52radix_sort_onesweep_histogram_config_static_selectorELNS0_4arch9wavefront6targetE1EEEvSE_ ; -- Begin function _ZN7rocprim17ROCPRIM_400000_NS6detail17trampoline_kernelINS0_14default_configENS1_35radix_sort_onesweep_config_selectorIilEEZNS1_34radix_sort_onesweep_global_offsetsIS3_Lb0EPiN6thrust23THRUST_200600_302600_NS10device_ptrIlEEjNS0_19identity_decomposerEEE10hipError_tT1_T2_PT3_SG_jT4_jjP12ihipStream_tbEUlT_E0_NS1_11comp_targetILNS1_3genE9ELNS1_11target_archE1100ELNS1_3gpuE3ELNS1_3repE0EEENS1_52radix_sort_onesweep_histogram_config_static_selectorELNS0_4arch9wavefront6targetE1EEEvSE_
	.globl	_ZN7rocprim17ROCPRIM_400000_NS6detail17trampoline_kernelINS0_14default_configENS1_35radix_sort_onesweep_config_selectorIilEEZNS1_34radix_sort_onesweep_global_offsetsIS3_Lb0EPiN6thrust23THRUST_200600_302600_NS10device_ptrIlEEjNS0_19identity_decomposerEEE10hipError_tT1_T2_PT3_SG_jT4_jjP12ihipStream_tbEUlT_E0_NS1_11comp_targetILNS1_3genE9ELNS1_11target_archE1100ELNS1_3gpuE3ELNS1_3repE0EEENS1_52radix_sort_onesweep_histogram_config_static_selectorELNS0_4arch9wavefront6targetE1EEEvSE_
	.p2align	8
	.type	_ZN7rocprim17ROCPRIM_400000_NS6detail17trampoline_kernelINS0_14default_configENS1_35radix_sort_onesweep_config_selectorIilEEZNS1_34radix_sort_onesweep_global_offsetsIS3_Lb0EPiN6thrust23THRUST_200600_302600_NS10device_ptrIlEEjNS0_19identity_decomposerEEE10hipError_tT1_T2_PT3_SG_jT4_jjP12ihipStream_tbEUlT_E0_NS1_11comp_targetILNS1_3genE9ELNS1_11target_archE1100ELNS1_3gpuE3ELNS1_3repE0EEENS1_52radix_sort_onesweep_histogram_config_static_selectorELNS0_4arch9wavefront6targetE1EEEvSE_,@function
_ZN7rocprim17ROCPRIM_400000_NS6detail17trampoline_kernelINS0_14default_configENS1_35radix_sort_onesweep_config_selectorIilEEZNS1_34radix_sort_onesweep_global_offsetsIS3_Lb0EPiN6thrust23THRUST_200600_302600_NS10device_ptrIlEEjNS0_19identity_decomposerEEE10hipError_tT1_T2_PT3_SG_jT4_jjP12ihipStream_tbEUlT_E0_NS1_11comp_targetILNS1_3genE9ELNS1_11target_archE1100ELNS1_3gpuE3ELNS1_3repE0EEENS1_52radix_sort_onesweep_histogram_config_static_selectorELNS0_4arch9wavefront6targetE1EEEvSE_: ; @_ZN7rocprim17ROCPRIM_400000_NS6detail17trampoline_kernelINS0_14default_configENS1_35radix_sort_onesweep_config_selectorIilEEZNS1_34radix_sort_onesweep_global_offsetsIS3_Lb0EPiN6thrust23THRUST_200600_302600_NS10device_ptrIlEEjNS0_19identity_decomposerEEE10hipError_tT1_T2_PT3_SG_jT4_jjP12ihipStream_tbEUlT_E0_NS1_11comp_targetILNS1_3genE9ELNS1_11target_archE1100ELNS1_3gpuE3ELNS1_3repE0EEENS1_52radix_sort_onesweep_histogram_config_static_selectorELNS0_4arch9wavefront6targetE1EEEvSE_
; %bb.0:
	.section	.rodata,"a",@progbits
	.p2align	6, 0x0
	.amdhsa_kernel _ZN7rocprim17ROCPRIM_400000_NS6detail17trampoline_kernelINS0_14default_configENS1_35radix_sort_onesweep_config_selectorIilEEZNS1_34radix_sort_onesweep_global_offsetsIS3_Lb0EPiN6thrust23THRUST_200600_302600_NS10device_ptrIlEEjNS0_19identity_decomposerEEE10hipError_tT1_T2_PT3_SG_jT4_jjP12ihipStream_tbEUlT_E0_NS1_11comp_targetILNS1_3genE9ELNS1_11target_archE1100ELNS1_3gpuE3ELNS1_3repE0EEENS1_52radix_sort_onesweep_histogram_config_static_selectorELNS0_4arch9wavefront6targetE1EEEvSE_
		.amdhsa_group_segment_fixed_size 0
		.amdhsa_private_segment_fixed_size 0
		.amdhsa_kernarg_size 8
		.amdhsa_user_sgpr_count 6
		.amdhsa_user_sgpr_private_segment_buffer 1
		.amdhsa_user_sgpr_dispatch_ptr 0
		.amdhsa_user_sgpr_queue_ptr 0
		.amdhsa_user_sgpr_kernarg_segment_ptr 1
		.amdhsa_user_sgpr_dispatch_id 0
		.amdhsa_user_sgpr_flat_scratch_init 0
		.amdhsa_user_sgpr_private_segment_size 0
		.amdhsa_uses_dynamic_stack 0
		.amdhsa_system_sgpr_private_segment_wavefront_offset 0
		.amdhsa_system_sgpr_workgroup_id_x 1
		.amdhsa_system_sgpr_workgroup_id_y 0
		.amdhsa_system_sgpr_workgroup_id_z 0
		.amdhsa_system_sgpr_workgroup_info 0
		.amdhsa_system_vgpr_workitem_id 0
		.amdhsa_next_free_vgpr 1
		.amdhsa_next_free_sgpr 0
		.amdhsa_reserve_vcc 0
		.amdhsa_reserve_flat_scratch 0
		.amdhsa_float_round_mode_32 0
		.amdhsa_float_round_mode_16_64 0
		.amdhsa_float_denorm_mode_32 3
		.amdhsa_float_denorm_mode_16_64 3
		.amdhsa_dx10_clamp 1
		.amdhsa_ieee_mode 1
		.amdhsa_fp16_overflow 0
		.amdhsa_exception_fp_ieee_invalid_op 0
		.amdhsa_exception_fp_denorm_src 0
		.amdhsa_exception_fp_ieee_div_zero 0
		.amdhsa_exception_fp_ieee_overflow 0
		.amdhsa_exception_fp_ieee_underflow 0
		.amdhsa_exception_fp_ieee_inexact 0
		.amdhsa_exception_int_div_zero 0
	.end_amdhsa_kernel
	.section	.text._ZN7rocprim17ROCPRIM_400000_NS6detail17trampoline_kernelINS0_14default_configENS1_35radix_sort_onesweep_config_selectorIilEEZNS1_34radix_sort_onesweep_global_offsetsIS3_Lb0EPiN6thrust23THRUST_200600_302600_NS10device_ptrIlEEjNS0_19identity_decomposerEEE10hipError_tT1_T2_PT3_SG_jT4_jjP12ihipStream_tbEUlT_E0_NS1_11comp_targetILNS1_3genE9ELNS1_11target_archE1100ELNS1_3gpuE3ELNS1_3repE0EEENS1_52radix_sort_onesweep_histogram_config_static_selectorELNS0_4arch9wavefront6targetE1EEEvSE_,"axG",@progbits,_ZN7rocprim17ROCPRIM_400000_NS6detail17trampoline_kernelINS0_14default_configENS1_35radix_sort_onesweep_config_selectorIilEEZNS1_34radix_sort_onesweep_global_offsetsIS3_Lb0EPiN6thrust23THRUST_200600_302600_NS10device_ptrIlEEjNS0_19identity_decomposerEEE10hipError_tT1_T2_PT3_SG_jT4_jjP12ihipStream_tbEUlT_E0_NS1_11comp_targetILNS1_3genE9ELNS1_11target_archE1100ELNS1_3gpuE3ELNS1_3repE0EEENS1_52radix_sort_onesweep_histogram_config_static_selectorELNS0_4arch9wavefront6targetE1EEEvSE_,comdat
.Lfunc_end864:
	.size	_ZN7rocprim17ROCPRIM_400000_NS6detail17trampoline_kernelINS0_14default_configENS1_35radix_sort_onesweep_config_selectorIilEEZNS1_34radix_sort_onesweep_global_offsetsIS3_Lb0EPiN6thrust23THRUST_200600_302600_NS10device_ptrIlEEjNS0_19identity_decomposerEEE10hipError_tT1_T2_PT3_SG_jT4_jjP12ihipStream_tbEUlT_E0_NS1_11comp_targetILNS1_3genE9ELNS1_11target_archE1100ELNS1_3gpuE3ELNS1_3repE0EEENS1_52radix_sort_onesweep_histogram_config_static_selectorELNS0_4arch9wavefront6targetE1EEEvSE_, .Lfunc_end864-_ZN7rocprim17ROCPRIM_400000_NS6detail17trampoline_kernelINS0_14default_configENS1_35radix_sort_onesweep_config_selectorIilEEZNS1_34radix_sort_onesweep_global_offsetsIS3_Lb0EPiN6thrust23THRUST_200600_302600_NS10device_ptrIlEEjNS0_19identity_decomposerEEE10hipError_tT1_T2_PT3_SG_jT4_jjP12ihipStream_tbEUlT_E0_NS1_11comp_targetILNS1_3genE9ELNS1_11target_archE1100ELNS1_3gpuE3ELNS1_3repE0EEENS1_52radix_sort_onesweep_histogram_config_static_selectorELNS0_4arch9wavefront6targetE1EEEvSE_
                                        ; -- End function
	.set _ZN7rocprim17ROCPRIM_400000_NS6detail17trampoline_kernelINS0_14default_configENS1_35radix_sort_onesweep_config_selectorIilEEZNS1_34radix_sort_onesweep_global_offsetsIS3_Lb0EPiN6thrust23THRUST_200600_302600_NS10device_ptrIlEEjNS0_19identity_decomposerEEE10hipError_tT1_T2_PT3_SG_jT4_jjP12ihipStream_tbEUlT_E0_NS1_11comp_targetILNS1_3genE9ELNS1_11target_archE1100ELNS1_3gpuE3ELNS1_3repE0EEENS1_52radix_sort_onesweep_histogram_config_static_selectorELNS0_4arch9wavefront6targetE1EEEvSE_.num_vgpr, 0
	.set _ZN7rocprim17ROCPRIM_400000_NS6detail17trampoline_kernelINS0_14default_configENS1_35radix_sort_onesweep_config_selectorIilEEZNS1_34radix_sort_onesweep_global_offsetsIS3_Lb0EPiN6thrust23THRUST_200600_302600_NS10device_ptrIlEEjNS0_19identity_decomposerEEE10hipError_tT1_T2_PT3_SG_jT4_jjP12ihipStream_tbEUlT_E0_NS1_11comp_targetILNS1_3genE9ELNS1_11target_archE1100ELNS1_3gpuE3ELNS1_3repE0EEENS1_52radix_sort_onesweep_histogram_config_static_selectorELNS0_4arch9wavefront6targetE1EEEvSE_.num_agpr, 0
	.set _ZN7rocprim17ROCPRIM_400000_NS6detail17trampoline_kernelINS0_14default_configENS1_35radix_sort_onesweep_config_selectorIilEEZNS1_34radix_sort_onesweep_global_offsetsIS3_Lb0EPiN6thrust23THRUST_200600_302600_NS10device_ptrIlEEjNS0_19identity_decomposerEEE10hipError_tT1_T2_PT3_SG_jT4_jjP12ihipStream_tbEUlT_E0_NS1_11comp_targetILNS1_3genE9ELNS1_11target_archE1100ELNS1_3gpuE3ELNS1_3repE0EEENS1_52radix_sort_onesweep_histogram_config_static_selectorELNS0_4arch9wavefront6targetE1EEEvSE_.numbered_sgpr, 0
	.set _ZN7rocprim17ROCPRIM_400000_NS6detail17trampoline_kernelINS0_14default_configENS1_35radix_sort_onesweep_config_selectorIilEEZNS1_34radix_sort_onesweep_global_offsetsIS3_Lb0EPiN6thrust23THRUST_200600_302600_NS10device_ptrIlEEjNS0_19identity_decomposerEEE10hipError_tT1_T2_PT3_SG_jT4_jjP12ihipStream_tbEUlT_E0_NS1_11comp_targetILNS1_3genE9ELNS1_11target_archE1100ELNS1_3gpuE3ELNS1_3repE0EEENS1_52radix_sort_onesweep_histogram_config_static_selectorELNS0_4arch9wavefront6targetE1EEEvSE_.num_named_barrier, 0
	.set _ZN7rocprim17ROCPRIM_400000_NS6detail17trampoline_kernelINS0_14default_configENS1_35radix_sort_onesweep_config_selectorIilEEZNS1_34radix_sort_onesweep_global_offsetsIS3_Lb0EPiN6thrust23THRUST_200600_302600_NS10device_ptrIlEEjNS0_19identity_decomposerEEE10hipError_tT1_T2_PT3_SG_jT4_jjP12ihipStream_tbEUlT_E0_NS1_11comp_targetILNS1_3genE9ELNS1_11target_archE1100ELNS1_3gpuE3ELNS1_3repE0EEENS1_52radix_sort_onesweep_histogram_config_static_selectorELNS0_4arch9wavefront6targetE1EEEvSE_.private_seg_size, 0
	.set _ZN7rocprim17ROCPRIM_400000_NS6detail17trampoline_kernelINS0_14default_configENS1_35radix_sort_onesweep_config_selectorIilEEZNS1_34radix_sort_onesweep_global_offsetsIS3_Lb0EPiN6thrust23THRUST_200600_302600_NS10device_ptrIlEEjNS0_19identity_decomposerEEE10hipError_tT1_T2_PT3_SG_jT4_jjP12ihipStream_tbEUlT_E0_NS1_11comp_targetILNS1_3genE9ELNS1_11target_archE1100ELNS1_3gpuE3ELNS1_3repE0EEENS1_52radix_sort_onesweep_histogram_config_static_selectorELNS0_4arch9wavefront6targetE1EEEvSE_.uses_vcc, 0
	.set _ZN7rocprim17ROCPRIM_400000_NS6detail17trampoline_kernelINS0_14default_configENS1_35radix_sort_onesweep_config_selectorIilEEZNS1_34radix_sort_onesweep_global_offsetsIS3_Lb0EPiN6thrust23THRUST_200600_302600_NS10device_ptrIlEEjNS0_19identity_decomposerEEE10hipError_tT1_T2_PT3_SG_jT4_jjP12ihipStream_tbEUlT_E0_NS1_11comp_targetILNS1_3genE9ELNS1_11target_archE1100ELNS1_3gpuE3ELNS1_3repE0EEENS1_52radix_sort_onesweep_histogram_config_static_selectorELNS0_4arch9wavefront6targetE1EEEvSE_.uses_flat_scratch, 0
	.set _ZN7rocprim17ROCPRIM_400000_NS6detail17trampoline_kernelINS0_14default_configENS1_35radix_sort_onesweep_config_selectorIilEEZNS1_34radix_sort_onesweep_global_offsetsIS3_Lb0EPiN6thrust23THRUST_200600_302600_NS10device_ptrIlEEjNS0_19identity_decomposerEEE10hipError_tT1_T2_PT3_SG_jT4_jjP12ihipStream_tbEUlT_E0_NS1_11comp_targetILNS1_3genE9ELNS1_11target_archE1100ELNS1_3gpuE3ELNS1_3repE0EEENS1_52radix_sort_onesweep_histogram_config_static_selectorELNS0_4arch9wavefront6targetE1EEEvSE_.has_dyn_sized_stack, 0
	.set _ZN7rocprim17ROCPRIM_400000_NS6detail17trampoline_kernelINS0_14default_configENS1_35radix_sort_onesweep_config_selectorIilEEZNS1_34radix_sort_onesweep_global_offsetsIS3_Lb0EPiN6thrust23THRUST_200600_302600_NS10device_ptrIlEEjNS0_19identity_decomposerEEE10hipError_tT1_T2_PT3_SG_jT4_jjP12ihipStream_tbEUlT_E0_NS1_11comp_targetILNS1_3genE9ELNS1_11target_archE1100ELNS1_3gpuE3ELNS1_3repE0EEENS1_52radix_sort_onesweep_histogram_config_static_selectorELNS0_4arch9wavefront6targetE1EEEvSE_.has_recursion, 0
	.set _ZN7rocprim17ROCPRIM_400000_NS6detail17trampoline_kernelINS0_14default_configENS1_35radix_sort_onesweep_config_selectorIilEEZNS1_34radix_sort_onesweep_global_offsetsIS3_Lb0EPiN6thrust23THRUST_200600_302600_NS10device_ptrIlEEjNS0_19identity_decomposerEEE10hipError_tT1_T2_PT3_SG_jT4_jjP12ihipStream_tbEUlT_E0_NS1_11comp_targetILNS1_3genE9ELNS1_11target_archE1100ELNS1_3gpuE3ELNS1_3repE0EEENS1_52radix_sort_onesweep_histogram_config_static_selectorELNS0_4arch9wavefront6targetE1EEEvSE_.has_indirect_call, 0
	.section	.AMDGPU.csdata,"",@progbits
; Kernel info:
; codeLenInByte = 0
; TotalNumSgprs: 4
; NumVgprs: 0
; ScratchSize: 0
; MemoryBound: 0
; FloatMode: 240
; IeeeMode: 1
; LDSByteSize: 0 bytes/workgroup (compile time only)
; SGPRBlocks: 0
; VGPRBlocks: 0
; NumSGPRsForWavesPerEU: 4
; NumVGPRsForWavesPerEU: 1
; Occupancy: 10
; WaveLimiterHint : 0
; COMPUTE_PGM_RSRC2:SCRATCH_EN: 0
; COMPUTE_PGM_RSRC2:USER_SGPR: 6
; COMPUTE_PGM_RSRC2:TRAP_HANDLER: 0
; COMPUTE_PGM_RSRC2:TGID_X_EN: 1
; COMPUTE_PGM_RSRC2:TGID_Y_EN: 0
; COMPUTE_PGM_RSRC2:TGID_Z_EN: 0
; COMPUTE_PGM_RSRC2:TIDIG_COMP_CNT: 0
	.section	.text._ZN7rocprim17ROCPRIM_400000_NS6detail17trampoline_kernelINS0_14default_configENS1_35radix_sort_onesweep_config_selectorIilEEZNS1_34radix_sort_onesweep_global_offsetsIS3_Lb0EPiN6thrust23THRUST_200600_302600_NS10device_ptrIlEEjNS0_19identity_decomposerEEE10hipError_tT1_T2_PT3_SG_jT4_jjP12ihipStream_tbEUlT_E0_NS1_11comp_targetILNS1_3genE8ELNS1_11target_archE1030ELNS1_3gpuE2ELNS1_3repE0EEENS1_52radix_sort_onesweep_histogram_config_static_selectorELNS0_4arch9wavefront6targetE1EEEvSE_,"axG",@progbits,_ZN7rocprim17ROCPRIM_400000_NS6detail17trampoline_kernelINS0_14default_configENS1_35radix_sort_onesweep_config_selectorIilEEZNS1_34radix_sort_onesweep_global_offsetsIS3_Lb0EPiN6thrust23THRUST_200600_302600_NS10device_ptrIlEEjNS0_19identity_decomposerEEE10hipError_tT1_T2_PT3_SG_jT4_jjP12ihipStream_tbEUlT_E0_NS1_11comp_targetILNS1_3genE8ELNS1_11target_archE1030ELNS1_3gpuE2ELNS1_3repE0EEENS1_52radix_sort_onesweep_histogram_config_static_selectorELNS0_4arch9wavefront6targetE1EEEvSE_,comdat
	.protected	_ZN7rocprim17ROCPRIM_400000_NS6detail17trampoline_kernelINS0_14default_configENS1_35radix_sort_onesweep_config_selectorIilEEZNS1_34radix_sort_onesweep_global_offsetsIS3_Lb0EPiN6thrust23THRUST_200600_302600_NS10device_ptrIlEEjNS0_19identity_decomposerEEE10hipError_tT1_T2_PT3_SG_jT4_jjP12ihipStream_tbEUlT_E0_NS1_11comp_targetILNS1_3genE8ELNS1_11target_archE1030ELNS1_3gpuE2ELNS1_3repE0EEENS1_52radix_sort_onesweep_histogram_config_static_selectorELNS0_4arch9wavefront6targetE1EEEvSE_ ; -- Begin function _ZN7rocprim17ROCPRIM_400000_NS6detail17trampoline_kernelINS0_14default_configENS1_35radix_sort_onesweep_config_selectorIilEEZNS1_34radix_sort_onesweep_global_offsetsIS3_Lb0EPiN6thrust23THRUST_200600_302600_NS10device_ptrIlEEjNS0_19identity_decomposerEEE10hipError_tT1_T2_PT3_SG_jT4_jjP12ihipStream_tbEUlT_E0_NS1_11comp_targetILNS1_3genE8ELNS1_11target_archE1030ELNS1_3gpuE2ELNS1_3repE0EEENS1_52radix_sort_onesweep_histogram_config_static_selectorELNS0_4arch9wavefront6targetE1EEEvSE_
	.globl	_ZN7rocprim17ROCPRIM_400000_NS6detail17trampoline_kernelINS0_14default_configENS1_35radix_sort_onesweep_config_selectorIilEEZNS1_34radix_sort_onesweep_global_offsetsIS3_Lb0EPiN6thrust23THRUST_200600_302600_NS10device_ptrIlEEjNS0_19identity_decomposerEEE10hipError_tT1_T2_PT3_SG_jT4_jjP12ihipStream_tbEUlT_E0_NS1_11comp_targetILNS1_3genE8ELNS1_11target_archE1030ELNS1_3gpuE2ELNS1_3repE0EEENS1_52radix_sort_onesweep_histogram_config_static_selectorELNS0_4arch9wavefront6targetE1EEEvSE_
	.p2align	8
	.type	_ZN7rocprim17ROCPRIM_400000_NS6detail17trampoline_kernelINS0_14default_configENS1_35radix_sort_onesweep_config_selectorIilEEZNS1_34radix_sort_onesweep_global_offsetsIS3_Lb0EPiN6thrust23THRUST_200600_302600_NS10device_ptrIlEEjNS0_19identity_decomposerEEE10hipError_tT1_T2_PT3_SG_jT4_jjP12ihipStream_tbEUlT_E0_NS1_11comp_targetILNS1_3genE8ELNS1_11target_archE1030ELNS1_3gpuE2ELNS1_3repE0EEENS1_52radix_sort_onesweep_histogram_config_static_selectorELNS0_4arch9wavefront6targetE1EEEvSE_,@function
_ZN7rocprim17ROCPRIM_400000_NS6detail17trampoline_kernelINS0_14default_configENS1_35radix_sort_onesweep_config_selectorIilEEZNS1_34radix_sort_onesweep_global_offsetsIS3_Lb0EPiN6thrust23THRUST_200600_302600_NS10device_ptrIlEEjNS0_19identity_decomposerEEE10hipError_tT1_T2_PT3_SG_jT4_jjP12ihipStream_tbEUlT_E0_NS1_11comp_targetILNS1_3genE8ELNS1_11target_archE1030ELNS1_3gpuE2ELNS1_3repE0EEENS1_52radix_sort_onesweep_histogram_config_static_selectorELNS0_4arch9wavefront6targetE1EEEvSE_: ; @_ZN7rocprim17ROCPRIM_400000_NS6detail17trampoline_kernelINS0_14default_configENS1_35radix_sort_onesweep_config_selectorIilEEZNS1_34radix_sort_onesweep_global_offsetsIS3_Lb0EPiN6thrust23THRUST_200600_302600_NS10device_ptrIlEEjNS0_19identity_decomposerEEE10hipError_tT1_T2_PT3_SG_jT4_jjP12ihipStream_tbEUlT_E0_NS1_11comp_targetILNS1_3genE8ELNS1_11target_archE1030ELNS1_3gpuE2ELNS1_3repE0EEENS1_52radix_sort_onesweep_histogram_config_static_selectorELNS0_4arch9wavefront6targetE1EEEvSE_
; %bb.0:
	.section	.rodata,"a",@progbits
	.p2align	6, 0x0
	.amdhsa_kernel _ZN7rocprim17ROCPRIM_400000_NS6detail17trampoline_kernelINS0_14default_configENS1_35radix_sort_onesweep_config_selectorIilEEZNS1_34radix_sort_onesweep_global_offsetsIS3_Lb0EPiN6thrust23THRUST_200600_302600_NS10device_ptrIlEEjNS0_19identity_decomposerEEE10hipError_tT1_T2_PT3_SG_jT4_jjP12ihipStream_tbEUlT_E0_NS1_11comp_targetILNS1_3genE8ELNS1_11target_archE1030ELNS1_3gpuE2ELNS1_3repE0EEENS1_52radix_sort_onesweep_histogram_config_static_selectorELNS0_4arch9wavefront6targetE1EEEvSE_
		.amdhsa_group_segment_fixed_size 0
		.amdhsa_private_segment_fixed_size 0
		.amdhsa_kernarg_size 8
		.amdhsa_user_sgpr_count 6
		.amdhsa_user_sgpr_private_segment_buffer 1
		.amdhsa_user_sgpr_dispatch_ptr 0
		.amdhsa_user_sgpr_queue_ptr 0
		.amdhsa_user_sgpr_kernarg_segment_ptr 1
		.amdhsa_user_sgpr_dispatch_id 0
		.amdhsa_user_sgpr_flat_scratch_init 0
		.amdhsa_user_sgpr_private_segment_size 0
		.amdhsa_uses_dynamic_stack 0
		.amdhsa_system_sgpr_private_segment_wavefront_offset 0
		.amdhsa_system_sgpr_workgroup_id_x 1
		.amdhsa_system_sgpr_workgroup_id_y 0
		.amdhsa_system_sgpr_workgroup_id_z 0
		.amdhsa_system_sgpr_workgroup_info 0
		.amdhsa_system_vgpr_workitem_id 0
		.amdhsa_next_free_vgpr 1
		.amdhsa_next_free_sgpr 0
		.amdhsa_reserve_vcc 0
		.amdhsa_reserve_flat_scratch 0
		.amdhsa_float_round_mode_32 0
		.amdhsa_float_round_mode_16_64 0
		.amdhsa_float_denorm_mode_32 3
		.amdhsa_float_denorm_mode_16_64 3
		.amdhsa_dx10_clamp 1
		.amdhsa_ieee_mode 1
		.amdhsa_fp16_overflow 0
		.amdhsa_exception_fp_ieee_invalid_op 0
		.amdhsa_exception_fp_denorm_src 0
		.amdhsa_exception_fp_ieee_div_zero 0
		.amdhsa_exception_fp_ieee_overflow 0
		.amdhsa_exception_fp_ieee_underflow 0
		.amdhsa_exception_fp_ieee_inexact 0
		.amdhsa_exception_int_div_zero 0
	.end_amdhsa_kernel
	.section	.text._ZN7rocprim17ROCPRIM_400000_NS6detail17trampoline_kernelINS0_14default_configENS1_35radix_sort_onesweep_config_selectorIilEEZNS1_34radix_sort_onesweep_global_offsetsIS3_Lb0EPiN6thrust23THRUST_200600_302600_NS10device_ptrIlEEjNS0_19identity_decomposerEEE10hipError_tT1_T2_PT3_SG_jT4_jjP12ihipStream_tbEUlT_E0_NS1_11comp_targetILNS1_3genE8ELNS1_11target_archE1030ELNS1_3gpuE2ELNS1_3repE0EEENS1_52radix_sort_onesweep_histogram_config_static_selectorELNS0_4arch9wavefront6targetE1EEEvSE_,"axG",@progbits,_ZN7rocprim17ROCPRIM_400000_NS6detail17trampoline_kernelINS0_14default_configENS1_35radix_sort_onesweep_config_selectorIilEEZNS1_34radix_sort_onesweep_global_offsetsIS3_Lb0EPiN6thrust23THRUST_200600_302600_NS10device_ptrIlEEjNS0_19identity_decomposerEEE10hipError_tT1_T2_PT3_SG_jT4_jjP12ihipStream_tbEUlT_E0_NS1_11comp_targetILNS1_3genE8ELNS1_11target_archE1030ELNS1_3gpuE2ELNS1_3repE0EEENS1_52radix_sort_onesweep_histogram_config_static_selectorELNS0_4arch9wavefront6targetE1EEEvSE_,comdat
.Lfunc_end865:
	.size	_ZN7rocprim17ROCPRIM_400000_NS6detail17trampoline_kernelINS0_14default_configENS1_35radix_sort_onesweep_config_selectorIilEEZNS1_34radix_sort_onesweep_global_offsetsIS3_Lb0EPiN6thrust23THRUST_200600_302600_NS10device_ptrIlEEjNS0_19identity_decomposerEEE10hipError_tT1_T2_PT3_SG_jT4_jjP12ihipStream_tbEUlT_E0_NS1_11comp_targetILNS1_3genE8ELNS1_11target_archE1030ELNS1_3gpuE2ELNS1_3repE0EEENS1_52radix_sort_onesweep_histogram_config_static_selectorELNS0_4arch9wavefront6targetE1EEEvSE_, .Lfunc_end865-_ZN7rocprim17ROCPRIM_400000_NS6detail17trampoline_kernelINS0_14default_configENS1_35radix_sort_onesweep_config_selectorIilEEZNS1_34radix_sort_onesweep_global_offsetsIS3_Lb0EPiN6thrust23THRUST_200600_302600_NS10device_ptrIlEEjNS0_19identity_decomposerEEE10hipError_tT1_T2_PT3_SG_jT4_jjP12ihipStream_tbEUlT_E0_NS1_11comp_targetILNS1_3genE8ELNS1_11target_archE1030ELNS1_3gpuE2ELNS1_3repE0EEENS1_52radix_sort_onesweep_histogram_config_static_selectorELNS0_4arch9wavefront6targetE1EEEvSE_
                                        ; -- End function
	.set _ZN7rocprim17ROCPRIM_400000_NS6detail17trampoline_kernelINS0_14default_configENS1_35radix_sort_onesweep_config_selectorIilEEZNS1_34radix_sort_onesweep_global_offsetsIS3_Lb0EPiN6thrust23THRUST_200600_302600_NS10device_ptrIlEEjNS0_19identity_decomposerEEE10hipError_tT1_T2_PT3_SG_jT4_jjP12ihipStream_tbEUlT_E0_NS1_11comp_targetILNS1_3genE8ELNS1_11target_archE1030ELNS1_3gpuE2ELNS1_3repE0EEENS1_52radix_sort_onesweep_histogram_config_static_selectorELNS0_4arch9wavefront6targetE1EEEvSE_.num_vgpr, 0
	.set _ZN7rocprim17ROCPRIM_400000_NS6detail17trampoline_kernelINS0_14default_configENS1_35radix_sort_onesweep_config_selectorIilEEZNS1_34radix_sort_onesweep_global_offsetsIS3_Lb0EPiN6thrust23THRUST_200600_302600_NS10device_ptrIlEEjNS0_19identity_decomposerEEE10hipError_tT1_T2_PT3_SG_jT4_jjP12ihipStream_tbEUlT_E0_NS1_11comp_targetILNS1_3genE8ELNS1_11target_archE1030ELNS1_3gpuE2ELNS1_3repE0EEENS1_52radix_sort_onesweep_histogram_config_static_selectorELNS0_4arch9wavefront6targetE1EEEvSE_.num_agpr, 0
	.set _ZN7rocprim17ROCPRIM_400000_NS6detail17trampoline_kernelINS0_14default_configENS1_35radix_sort_onesweep_config_selectorIilEEZNS1_34radix_sort_onesweep_global_offsetsIS3_Lb0EPiN6thrust23THRUST_200600_302600_NS10device_ptrIlEEjNS0_19identity_decomposerEEE10hipError_tT1_T2_PT3_SG_jT4_jjP12ihipStream_tbEUlT_E0_NS1_11comp_targetILNS1_3genE8ELNS1_11target_archE1030ELNS1_3gpuE2ELNS1_3repE0EEENS1_52radix_sort_onesweep_histogram_config_static_selectorELNS0_4arch9wavefront6targetE1EEEvSE_.numbered_sgpr, 0
	.set _ZN7rocprim17ROCPRIM_400000_NS6detail17trampoline_kernelINS0_14default_configENS1_35radix_sort_onesweep_config_selectorIilEEZNS1_34radix_sort_onesweep_global_offsetsIS3_Lb0EPiN6thrust23THRUST_200600_302600_NS10device_ptrIlEEjNS0_19identity_decomposerEEE10hipError_tT1_T2_PT3_SG_jT4_jjP12ihipStream_tbEUlT_E0_NS1_11comp_targetILNS1_3genE8ELNS1_11target_archE1030ELNS1_3gpuE2ELNS1_3repE0EEENS1_52radix_sort_onesweep_histogram_config_static_selectorELNS0_4arch9wavefront6targetE1EEEvSE_.num_named_barrier, 0
	.set _ZN7rocprim17ROCPRIM_400000_NS6detail17trampoline_kernelINS0_14default_configENS1_35radix_sort_onesweep_config_selectorIilEEZNS1_34radix_sort_onesweep_global_offsetsIS3_Lb0EPiN6thrust23THRUST_200600_302600_NS10device_ptrIlEEjNS0_19identity_decomposerEEE10hipError_tT1_T2_PT3_SG_jT4_jjP12ihipStream_tbEUlT_E0_NS1_11comp_targetILNS1_3genE8ELNS1_11target_archE1030ELNS1_3gpuE2ELNS1_3repE0EEENS1_52radix_sort_onesweep_histogram_config_static_selectorELNS0_4arch9wavefront6targetE1EEEvSE_.private_seg_size, 0
	.set _ZN7rocprim17ROCPRIM_400000_NS6detail17trampoline_kernelINS0_14default_configENS1_35radix_sort_onesweep_config_selectorIilEEZNS1_34radix_sort_onesweep_global_offsetsIS3_Lb0EPiN6thrust23THRUST_200600_302600_NS10device_ptrIlEEjNS0_19identity_decomposerEEE10hipError_tT1_T2_PT3_SG_jT4_jjP12ihipStream_tbEUlT_E0_NS1_11comp_targetILNS1_3genE8ELNS1_11target_archE1030ELNS1_3gpuE2ELNS1_3repE0EEENS1_52radix_sort_onesweep_histogram_config_static_selectorELNS0_4arch9wavefront6targetE1EEEvSE_.uses_vcc, 0
	.set _ZN7rocprim17ROCPRIM_400000_NS6detail17trampoline_kernelINS0_14default_configENS1_35radix_sort_onesweep_config_selectorIilEEZNS1_34radix_sort_onesweep_global_offsetsIS3_Lb0EPiN6thrust23THRUST_200600_302600_NS10device_ptrIlEEjNS0_19identity_decomposerEEE10hipError_tT1_T2_PT3_SG_jT4_jjP12ihipStream_tbEUlT_E0_NS1_11comp_targetILNS1_3genE8ELNS1_11target_archE1030ELNS1_3gpuE2ELNS1_3repE0EEENS1_52radix_sort_onesweep_histogram_config_static_selectorELNS0_4arch9wavefront6targetE1EEEvSE_.uses_flat_scratch, 0
	.set _ZN7rocprim17ROCPRIM_400000_NS6detail17trampoline_kernelINS0_14default_configENS1_35radix_sort_onesweep_config_selectorIilEEZNS1_34radix_sort_onesweep_global_offsetsIS3_Lb0EPiN6thrust23THRUST_200600_302600_NS10device_ptrIlEEjNS0_19identity_decomposerEEE10hipError_tT1_T2_PT3_SG_jT4_jjP12ihipStream_tbEUlT_E0_NS1_11comp_targetILNS1_3genE8ELNS1_11target_archE1030ELNS1_3gpuE2ELNS1_3repE0EEENS1_52radix_sort_onesweep_histogram_config_static_selectorELNS0_4arch9wavefront6targetE1EEEvSE_.has_dyn_sized_stack, 0
	.set _ZN7rocprim17ROCPRIM_400000_NS6detail17trampoline_kernelINS0_14default_configENS1_35radix_sort_onesweep_config_selectorIilEEZNS1_34radix_sort_onesweep_global_offsetsIS3_Lb0EPiN6thrust23THRUST_200600_302600_NS10device_ptrIlEEjNS0_19identity_decomposerEEE10hipError_tT1_T2_PT3_SG_jT4_jjP12ihipStream_tbEUlT_E0_NS1_11comp_targetILNS1_3genE8ELNS1_11target_archE1030ELNS1_3gpuE2ELNS1_3repE0EEENS1_52radix_sort_onesweep_histogram_config_static_selectorELNS0_4arch9wavefront6targetE1EEEvSE_.has_recursion, 0
	.set _ZN7rocprim17ROCPRIM_400000_NS6detail17trampoline_kernelINS0_14default_configENS1_35radix_sort_onesweep_config_selectorIilEEZNS1_34radix_sort_onesweep_global_offsetsIS3_Lb0EPiN6thrust23THRUST_200600_302600_NS10device_ptrIlEEjNS0_19identity_decomposerEEE10hipError_tT1_T2_PT3_SG_jT4_jjP12ihipStream_tbEUlT_E0_NS1_11comp_targetILNS1_3genE8ELNS1_11target_archE1030ELNS1_3gpuE2ELNS1_3repE0EEENS1_52radix_sort_onesweep_histogram_config_static_selectorELNS0_4arch9wavefront6targetE1EEEvSE_.has_indirect_call, 0
	.section	.AMDGPU.csdata,"",@progbits
; Kernel info:
; codeLenInByte = 0
; TotalNumSgprs: 4
; NumVgprs: 0
; ScratchSize: 0
; MemoryBound: 0
; FloatMode: 240
; IeeeMode: 1
; LDSByteSize: 0 bytes/workgroup (compile time only)
; SGPRBlocks: 0
; VGPRBlocks: 0
; NumSGPRsForWavesPerEU: 4
; NumVGPRsForWavesPerEU: 1
; Occupancy: 10
; WaveLimiterHint : 0
; COMPUTE_PGM_RSRC2:SCRATCH_EN: 0
; COMPUTE_PGM_RSRC2:USER_SGPR: 6
; COMPUTE_PGM_RSRC2:TRAP_HANDLER: 0
; COMPUTE_PGM_RSRC2:TGID_X_EN: 1
; COMPUTE_PGM_RSRC2:TGID_Y_EN: 0
; COMPUTE_PGM_RSRC2:TGID_Z_EN: 0
; COMPUTE_PGM_RSRC2:TIDIG_COMP_CNT: 0
	.section	.text._ZN7rocprim17ROCPRIM_400000_NS6detail17trampoline_kernelINS0_14default_configENS1_35radix_sort_onesweep_config_selectorIilEEZZNS1_29radix_sort_onesweep_iterationIS3_Lb0EPiS7_N6thrust23THRUST_200600_302600_NS10device_ptrIlEESB_jNS0_19identity_decomposerENS1_16block_id_wrapperIjLb1EEEEE10hipError_tT1_PNSt15iterator_traitsISG_E10value_typeET2_T3_PNSH_ISM_E10value_typeET4_T5_PSR_SS_PNS1_23onesweep_lookback_stateEbbT6_jjT7_P12ihipStream_tbENKUlT_T0_SG_SL_E_clIS7_S7_SB_SB_EEDaSZ_S10_SG_SL_EUlSZ_E_NS1_11comp_targetILNS1_3genE0ELNS1_11target_archE4294967295ELNS1_3gpuE0ELNS1_3repE0EEENS1_47radix_sort_onesweep_sort_config_static_selectorELNS0_4arch9wavefront6targetE1EEEvSG_,"axG",@progbits,_ZN7rocprim17ROCPRIM_400000_NS6detail17trampoline_kernelINS0_14default_configENS1_35radix_sort_onesweep_config_selectorIilEEZZNS1_29radix_sort_onesweep_iterationIS3_Lb0EPiS7_N6thrust23THRUST_200600_302600_NS10device_ptrIlEESB_jNS0_19identity_decomposerENS1_16block_id_wrapperIjLb1EEEEE10hipError_tT1_PNSt15iterator_traitsISG_E10value_typeET2_T3_PNSH_ISM_E10value_typeET4_T5_PSR_SS_PNS1_23onesweep_lookback_stateEbbT6_jjT7_P12ihipStream_tbENKUlT_T0_SG_SL_E_clIS7_S7_SB_SB_EEDaSZ_S10_SG_SL_EUlSZ_E_NS1_11comp_targetILNS1_3genE0ELNS1_11target_archE4294967295ELNS1_3gpuE0ELNS1_3repE0EEENS1_47radix_sort_onesweep_sort_config_static_selectorELNS0_4arch9wavefront6targetE1EEEvSG_,comdat
	.protected	_ZN7rocprim17ROCPRIM_400000_NS6detail17trampoline_kernelINS0_14default_configENS1_35radix_sort_onesweep_config_selectorIilEEZZNS1_29radix_sort_onesweep_iterationIS3_Lb0EPiS7_N6thrust23THRUST_200600_302600_NS10device_ptrIlEESB_jNS0_19identity_decomposerENS1_16block_id_wrapperIjLb1EEEEE10hipError_tT1_PNSt15iterator_traitsISG_E10value_typeET2_T3_PNSH_ISM_E10value_typeET4_T5_PSR_SS_PNS1_23onesweep_lookback_stateEbbT6_jjT7_P12ihipStream_tbENKUlT_T0_SG_SL_E_clIS7_S7_SB_SB_EEDaSZ_S10_SG_SL_EUlSZ_E_NS1_11comp_targetILNS1_3genE0ELNS1_11target_archE4294967295ELNS1_3gpuE0ELNS1_3repE0EEENS1_47radix_sort_onesweep_sort_config_static_selectorELNS0_4arch9wavefront6targetE1EEEvSG_ ; -- Begin function _ZN7rocprim17ROCPRIM_400000_NS6detail17trampoline_kernelINS0_14default_configENS1_35radix_sort_onesweep_config_selectorIilEEZZNS1_29radix_sort_onesweep_iterationIS3_Lb0EPiS7_N6thrust23THRUST_200600_302600_NS10device_ptrIlEESB_jNS0_19identity_decomposerENS1_16block_id_wrapperIjLb1EEEEE10hipError_tT1_PNSt15iterator_traitsISG_E10value_typeET2_T3_PNSH_ISM_E10value_typeET4_T5_PSR_SS_PNS1_23onesweep_lookback_stateEbbT6_jjT7_P12ihipStream_tbENKUlT_T0_SG_SL_E_clIS7_S7_SB_SB_EEDaSZ_S10_SG_SL_EUlSZ_E_NS1_11comp_targetILNS1_3genE0ELNS1_11target_archE4294967295ELNS1_3gpuE0ELNS1_3repE0EEENS1_47radix_sort_onesweep_sort_config_static_selectorELNS0_4arch9wavefront6targetE1EEEvSG_
	.globl	_ZN7rocprim17ROCPRIM_400000_NS6detail17trampoline_kernelINS0_14default_configENS1_35radix_sort_onesweep_config_selectorIilEEZZNS1_29radix_sort_onesweep_iterationIS3_Lb0EPiS7_N6thrust23THRUST_200600_302600_NS10device_ptrIlEESB_jNS0_19identity_decomposerENS1_16block_id_wrapperIjLb1EEEEE10hipError_tT1_PNSt15iterator_traitsISG_E10value_typeET2_T3_PNSH_ISM_E10value_typeET4_T5_PSR_SS_PNS1_23onesweep_lookback_stateEbbT6_jjT7_P12ihipStream_tbENKUlT_T0_SG_SL_E_clIS7_S7_SB_SB_EEDaSZ_S10_SG_SL_EUlSZ_E_NS1_11comp_targetILNS1_3genE0ELNS1_11target_archE4294967295ELNS1_3gpuE0ELNS1_3repE0EEENS1_47radix_sort_onesweep_sort_config_static_selectorELNS0_4arch9wavefront6targetE1EEEvSG_
	.p2align	8
	.type	_ZN7rocprim17ROCPRIM_400000_NS6detail17trampoline_kernelINS0_14default_configENS1_35radix_sort_onesweep_config_selectorIilEEZZNS1_29radix_sort_onesweep_iterationIS3_Lb0EPiS7_N6thrust23THRUST_200600_302600_NS10device_ptrIlEESB_jNS0_19identity_decomposerENS1_16block_id_wrapperIjLb1EEEEE10hipError_tT1_PNSt15iterator_traitsISG_E10value_typeET2_T3_PNSH_ISM_E10value_typeET4_T5_PSR_SS_PNS1_23onesweep_lookback_stateEbbT6_jjT7_P12ihipStream_tbENKUlT_T0_SG_SL_E_clIS7_S7_SB_SB_EEDaSZ_S10_SG_SL_EUlSZ_E_NS1_11comp_targetILNS1_3genE0ELNS1_11target_archE4294967295ELNS1_3gpuE0ELNS1_3repE0EEENS1_47radix_sort_onesweep_sort_config_static_selectorELNS0_4arch9wavefront6targetE1EEEvSG_,@function
_ZN7rocprim17ROCPRIM_400000_NS6detail17trampoline_kernelINS0_14default_configENS1_35radix_sort_onesweep_config_selectorIilEEZZNS1_29radix_sort_onesweep_iterationIS3_Lb0EPiS7_N6thrust23THRUST_200600_302600_NS10device_ptrIlEESB_jNS0_19identity_decomposerENS1_16block_id_wrapperIjLb1EEEEE10hipError_tT1_PNSt15iterator_traitsISG_E10value_typeET2_T3_PNSH_ISM_E10value_typeET4_T5_PSR_SS_PNS1_23onesweep_lookback_stateEbbT6_jjT7_P12ihipStream_tbENKUlT_T0_SG_SL_E_clIS7_S7_SB_SB_EEDaSZ_S10_SG_SL_EUlSZ_E_NS1_11comp_targetILNS1_3genE0ELNS1_11target_archE4294967295ELNS1_3gpuE0ELNS1_3repE0EEENS1_47radix_sort_onesweep_sort_config_static_selectorELNS0_4arch9wavefront6targetE1EEEvSG_: ; @_ZN7rocprim17ROCPRIM_400000_NS6detail17trampoline_kernelINS0_14default_configENS1_35radix_sort_onesweep_config_selectorIilEEZZNS1_29radix_sort_onesweep_iterationIS3_Lb0EPiS7_N6thrust23THRUST_200600_302600_NS10device_ptrIlEESB_jNS0_19identity_decomposerENS1_16block_id_wrapperIjLb1EEEEE10hipError_tT1_PNSt15iterator_traitsISG_E10value_typeET2_T3_PNSH_ISM_E10value_typeET4_T5_PSR_SS_PNS1_23onesweep_lookback_stateEbbT6_jjT7_P12ihipStream_tbENKUlT_T0_SG_SL_E_clIS7_S7_SB_SB_EEDaSZ_S10_SG_SL_EUlSZ_E_NS1_11comp_targetILNS1_3genE0ELNS1_11target_archE4294967295ELNS1_3gpuE0ELNS1_3repE0EEENS1_47radix_sort_onesweep_sort_config_static_selectorELNS0_4arch9wavefront6targetE1EEEvSG_
; %bb.0:
	.section	.rodata,"a",@progbits
	.p2align	6, 0x0
	.amdhsa_kernel _ZN7rocprim17ROCPRIM_400000_NS6detail17trampoline_kernelINS0_14default_configENS1_35radix_sort_onesweep_config_selectorIilEEZZNS1_29radix_sort_onesweep_iterationIS3_Lb0EPiS7_N6thrust23THRUST_200600_302600_NS10device_ptrIlEESB_jNS0_19identity_decomposerENS1_16block_id_wrapperIjLb1EEEEE10hipError_tT1_PNSt15iterator_traitsISG_E10value_typeET2_T3_PNSH_ISM_E10value_typeET4_T5_PSR_SS_PNS1_23onesweep_lookback_stateEbbT6_jjT7_P12ihipStream_tbENKUlT_T0_SG_SL_E_clIS7_S7_SB_SB_EEDaSZ_S10_SG_SL_EUlSZ_E_NS1_11comp_targetILNS1_3genE0ELNS1_11target_archE4294967295ELNS1_3gpuE0ELNS1_3repE0EEENS1_47radix_sort_onesweep_sort_config_static_selectorELNS0_4arch9wavefront6targetE1EEEvSG_
		.amdhsa_group_segment_fixed_size 0
		.amdhsa_private_segment_fixed_size 0
		.amdhsa_kernarg_size 88
		.amdhsa_user_sgpr_count 6
		.amdhsa_user_sgpr_private_segment_buffer 1
		.amdhsa_user_sgpr_dispatch_ptr 0
		.amdhsa_user_sgpr_queue_ptr 0
		.amdhsa_user_sgpr_kernarg_segment_ptr 1
		.amdhsa_user_sgpr_dispatch_id 0
		.amdhsa_user_sgpr_flat_scratch_init 0
		.amdhsa_user_sgpr_private_segment_size 0
		.amdhsa_uses_dynamic_stack 0
		.amdhsa_system_sgpr_private_segment_wavefront_offset 0
		.amdhsa_system_sgpr_workgroup_id_x 1
		.amdhsa_system_sgpr_workgroup_id_y 0
		.amdhsa_system_sgpr_workgroup_id_z 0
		.amdhsa_system_sgpr_workgroup_info 0
		.amdhsa_system_vgpr_workitem_id 0
		.amdhsa_next_free_vgpr 1
		.amdhsa_next_free_sgpr 0
		.amdhsa_reserve_vcc 0
		.amdhsa_reserve_flat_scratch 0
		.amdhsa_float_round_mode_32 0
		.amdhsa_float_round_mode_16_64 0
		.amdhsa_float_denorm_mode_32 3
		.amdhsa_float_denorm_mode_16_64 3
		.amdhsa_dx10_clamp 1
		.amdhsa_ieee_mode 1
		.amdhsa_fp16_overflow 0
		.amdhsa_exception_fp_ieee_invalid_op 0
		.amdhsa_exception_fp_denorm_src 0
		.amdhsa_exception_fp_ieee_div_zero 0
		.amdhsa_exception_fp_ieee_overflow 0
		.amdhsa_exception_fp_ieee_underflow 0
		.amdhsa_exception_fp_ieee_inexact 0
		.amdhsa_exception_int_div_zero 0
	.end_amdhsa_kernel
	.section	.text._ZN7rocprim17ROCPRIM_400000_NS6detail17trampoline_kernelINS0_14default_configENS1_35radix_sort_onesweep_config_selectorIilEEZZNS1_29radix_sort_onesweep_iterationIS3_Lb0EPiS7_N6thrust23THRUST_200600_302600_NS10device_ptrIlEESB_jNS0_19identity_decomposerENS1_16block_id_wrapperIjLb1EEEEE10hipError_tT1_PNSt15iterator_traitsISG_E10value_typeET2_T3_PNSH_ISM_E10value_typeET4_T5_PSR_SS_PNS1_23onesweep_lookback_stateEbbT6_jjT7_P12ihipStream_tbENKUlT_T0_SG_SL_E_clIS7_S7_SB_SB_EEDaSZ_S10_SG_SL_EUlSZ_E_NS1_11comp_targetILNS1_3genE0ELNS1_11target_archE4294967295ELNS1_3gpuE0ELNS1_3repE0EEENS1_47radix_sort_onesweep_sort_config_static_selectorELNS0_4arch9wavefront6targetE1EEEvSG_,"axG",@progbits,_ZN7rocprim17ROCPRIM_400000_NS6detail17trampoline_kernelINS0_14default_configENS1_35radix_sort_onesweep_config_selectorIilEEZZNS1_29radix_sort_onesweep_iterationIS3_Lb0EPiS7_N6thrust23THRUST_200600_302600_NS10device_ptrIlEESB_jNS0_19identity_decomposerENS1_16block_id_wrapperIjLb1EEEEE10hipError_tT1_PNSt15iterator_traitsISG_E10value_typeET2_T3_PNSH_ISM_E10value_typeET4_T5_PSR_SS_PNS1_23onesweep_lookback_stateEbbT6_jjT7_P12ihipStream_tbENKUlT_T0_SG_SL_E_clIS7_S7_SB_SB_EEDaSZ_S10_SG_SL_EUlSZ_E_NS1_11comp_targetILNS1_3genE0ELNS1_11target_archE4294967295ELNS1_3gpuE0ELNS1_3repE0EEENS1_47radix_sort_onesweep_sort_config_static_selectorELNS0_4arch9wavefront6targetE1EEEvSG_,comdat
.Lfunc_end866:
	.size	_ZN7rocprim17ROCPRIM_400000_NS6detail17trampoline_kernelINS0_14default_configENS1_35radix_sort_onesweep_config_selectorIilEEZZNS1_29radix_sort_onesweep_iterationIS3_Lb0EPiS7_N6thrust23THRUST_200600_302600_NS10device_ptrIlEESB_jNS0_19identity_decomposerENS1_16block_id_wrapperIjLb1EEEEE10hipError_tT1_PNSt15iterator_traitsISG_E10value_typeET2_T3_PNSH_ISM_E10value_typeET4_T5_PSR_SS_PNS1_23onesweep_lookback_stateEbbT6_jjT7_P12ihipStream_tbENKUlT_T0_SG_SL_E_clIS7_S7_SB_SB_EEDaSZ_S10_SG_SL_EUlSZ_E_NS1_11comp_targetILNS1_3genE0ELNS1_11target_archE4294967295ELNS1_3gpuE0ELNS1_3repE0EEENS1_47radix_sort_onesweep_sort_config_static_selectorELNS0_4arch9wavefront6targetE1EEEvSG_, .Lfunc_end866-_ZN7rocprim17ROCPRIM_400000_NS6detail17trampoline_kernelINS0_14default_configENS1_35radix_sort_onesweep_config_selectorIilEEZZNS1_29radix_sort_onesweep_iterationIS3_Lb0EPiS7_N6thrust23THRUST_200600_302600_NS10device_ptrIlEESB_jNS0_19identity_decomposerENS1_16block_id_wrapperIjLb1EEEEE10hipError_tT1_PNSt15iterator_traitsISG_E10value_typeET2_T3_PNSH_ISM_E10value_typeET4_T5_PSR_SS_PNS1_23onesweep_lookback_stateEbbT6_jjT7_P12ihipStream_tbENKUlT_T0_SG_SL_E_clIS7_S7_SB_SB_EEDaSZ_S10_SG_SL_EUlSZ_E_NS1_11comp_targetILNS1_3genE0ELNS1_11target_archE4294967295ELNS1_3gpuE0ELNS1_3repE0EEENS1_47radix_sort_onesweep_sort_config_static_selectorELNS0_4arch9wavefront6targetE1EEEvSG_
                                        ; -- End function
	.set _ZN7rocprim17ROCPRIM_400000_NS6detail17trampoline_kernelINS0_14default_configENS1_35radix_sort_onesweep_config_selectorIilEEZZNS1_29radix_sort_onesweep_iterationIS3_Lb0EPiS7_N6thrust23THRUST_200600_302600_NS10device_ptrIlEESB_jNS0_19identity_decomposerENS1_16block_id_wrapperIjLb1EEEEE10hipError_tT1_PNSt15iterator_traitsISG_E10value_typeET2_T3_PNSH_ISM_E10value_typeET4_T5_PSR_SS_PNS1_23onesweep_lookback_stateEbbT6_jjT7_P12ihipStream_tbENKUlT_T0_SG_SL_E_clIS7_S7_SB_SB_EEDaSZ_S10_SG_SL_EUlSZ_E_NS1_11comp_targetILNS1_3genE0ELNS1_11target_archE4294967295ELNS1_3gpuE0ELNS1_3repE0EEENS1_47radix_sort_onesweep_sort_config_static_selectorELNS0_4arch9wavefront6targetE1EEEvSG_.num_vgpr, 0
	.set _ZN7rocprim17ROCPRIM_400000_NS6detail17trampoline_kernelINS0_14default_configENS1_35radix_sort_onesweep_config_selectorIilEEZZNS1_29radix_sort_onesweep_iterationIS3_Lb0EPiS7_N6thrust23THRUST_200600_302600_NS10device_ptrIlEESB_jNS0_19identity_decomposerENS1_16block_id_wrapperIjLb1EEEEE10hipError_tT1_PNSt15iterator_traitsISG_E10value_typeET2_T3_PNSH_ISM_E10value_typeET4_T5_PSR_SS_PNS1_23onesweep_lookback_stateEbbT6_jjT7_P12ihipStream_tbENKUlT_T0_SG_SL_E_clIS7_S7_SB_SB_EEDaSZ_S10_SG_SL_EUlSZ_E_NS1_11comp_targetILNS1_3genE0ELNS1_11target_archE4294967295ELNS1_3gpuE0ELNS1_3repE0EEENS1_47radix_sort_onesweep_sort_config_static_selectorELNS0_4arch9wavefront6targetE1EEEvSG_.num_agpr, 0
	.set _ZN7rocprim17ROCPRIM_400000_NS6detail17trampoline_kernelINS0_14default_configENS1_35radix_sort_onesweep_config_selectorIilEEZZNS1_29radix_sort_onesweep_iterationIS3_Lb0EPiS7_N6thrust23THRUST_200600_302600_NS10device_ptrIlEESB_jNS0_19identity_decomposerENS1_16block_id_wrapperIjLb1EEEEE10hipError_tT1_PNSt15iterator_traitsISG_E10value_typeET2_T3_PNSH_ISM_E10value_typeET4_T5_PSR_SS_PNS1_23onesweep_lookback_stateEbbT6_jjT7_P12ihipStream_tbENKUlT_T0_SG_SL_E_clIS7_S7_SB_SB_EEDaSZ_S10_SG_SL_EUlSZ_E_NS1_11comp_targetILNS1_3genE0ELNS1_11target_archE4294967295ELNS1_3gpuE0ELNS1_3repE0EEENS1_47radix_sort_onesweep_sort_config_static_selectorELNS0_4arch9wavefront6targetE1EEEvSG_.numbered_sgpr, 0
	.set _ZN7rocprim17ROCPRIM_400000_NS6detail17trampoline_kernelINS0_14default_configENS1_35radix_sort_onesweep_config_selectorIilEEZZNS1_29radix_sort_onesweep_iterationIS3_Lb0EPiS7_N6thrust23THRUST_200600_302600_NS10device_ptrIlEESB_jNS0_19identity_decomposerENS1_16block_id_wrapperIjLb1EEEEE10hipError_tT1_PNSt15iterator_traitsISG_E10value_typeET2_T3_PNSH_ISM_E10value_typeET4_T5_PSR_SS_PNS1_23onesweep_lookback_stateEbbT6_jjT7_P12ihipStream_tbENKUlT_T0_SG_SL_E_clIS7_S7_SB_SB_EEDaSZ_S10_SG_SL_EUlSZ_E_NS1_11comp_targetILNS1_3genE0ELNS1_11target_archE4294967295ELNS1_3gpuE0ELNS1_3repE0EEENS1_47radix_sort_onesweep_sort_config_static_selectorELNS0_4arch9wavefront6targetE1EEEvSG_.num_named_barrier, 0
	.set _ZN7rocprim17ROCPRIM_400000_NS6detail17trampoline_kernelINS0_14default_configENS1_35radix_sort_onesweep_config_selectorIilEEZZNS1_29radix_sort_onesweep_iterationIS3_Lb0EPiS7_N6thrust23THRUST_200600_302600_NS10device_ptrIlEESB_jNS0_19identity_decomposerENS1_16block_id_wrapperIjLb1EEEEE10hipError_tT1_PNSt15iterator_traitsISG_E10value_typeET2_T3_PNSH_ISM_E10value_typeET4_T5_PSR_SS_PNS1_23onesweep_lookback_stateEbbT6_jjT7_P12ihipStream_tbENKUlT_T0_SG_SL_E_clIS7_S7_SB_SB_EEDaSZ_S10_SG_SL_EUlSZ_E_NS1_11comp_targetILNS1_3genE0ELNS1_11target_archE4294967295ELNS1_3gpuE0ELNS1_3repE0EEENS1_47radix_sort_onesweep_sort_config_static_selectorELNS0_4arch9wavefront6targetE1EEEvSG_.private_seg_size, 0
	.set _ZN7rocprim17ROCPRIM_400000_NS6detail17trampoline_kernelINS0_14default_configENS1_35radix_sort_onesweep_config_selectorIilEEZZNS1_29radix_sort_onesweep_iterationIS3_Lb0EPiS7_N6thrust23THRUST_200600_302600_NS10device_ptrIlEESB_jNS0_19identity_decomposerENS1_16block_id_wrapperIjLb1EEEEE10hipError_tT1_PNSt15iterator_traitsISG_E10value_typeET2_T3_PNSH_ISM_E10value_typeET4_T5_PSR_SS_PNS1_23onesweep_lookback_stateEbbT6_jjT7_P12ihipStream_tbENKUlT_T0_SG_SL_E_clIS7_S7_SB_SB_EEDaSZ_S10_SG_SL_EUlSZ_E_NS1_11comp_targetILNS1_3genE0ELNS1_11target_archE4294967295ELNS1_3gpuE0ELNS1_3repE0EEENS1_47radix_sort_onesweep_sort_config_static_selectorELNS0_4arch9wavefront6targetE1EEEvSG_.uses_vcc, 0
	.set _ZN7rocprim17ROCPRIM_400000_NS6detail17trampoline_kernelINS0_14default_configENS1_35radix_sort_onesweep_config_selectorIilEEZZNS1_29radix_sort_onesweep_iterationIS3_Lb0EPiS7_N6thrust23THRUST_200600_302600_NS10device_ptrIlEESB_jNS0_19identity_decomposerENS1_16block_id_wrapperIjLb1EEEEE10hipError_tT1_PNSt15iterator_traitsISG_E10value_typeET2_T3_PNSH_ISM_E10value_typeET4_T5_PSR_SS_PNS1_23onesweep_lookback_stateEbbT6_jjT7_P12ihipStream_tbENKUlT_T0_SG_SL_E_clIS7_S7_SB_SB_EEDaSZ_S10_SG_SL_EUlSZ_E_NS1_11comp_targetILNS1_3genE0ELNS1_11target_archE4294967295ELNS1_3gpuE0ELNS1_3repE0EEENS1_47radix_sort_onesweep_sort_config_static_selectorELNS0_4arch9wavefront6targetE1EEEvSG_.uses_flat_scratch, 0
	.set _ZN7rocprim17ROCPRIM_400000_NS6detail17trampoline_kernelINS0_14default_configENS1_35radix_sort_onesweep_config_selectorIilEEZZNS1_29radix_sort_onesweep_iterationIS3_Lb0EPiS7_N6thrust23THRUST_200600_302600_NS10device_ptrIlEESB_jNS0_19identity_decomposerENS1_16block_id_wrapperIjLb1EEEEE10hipError_tT1_PNSt15iterator_traitsISG_E10value_typeET2_T3_PNSH_ISM_E10value_typeET4_T5_PSR_SS_PNS1_23onesweep_lookback_stateEbbT6_jjT7_P12ihipStream_tbENKUlT_T0_SG_SL_E_clIS7_S7_SB_SB_EEDaSZ_S10_SG_SL_EUlSZ_E_NS1_11comp_targetILNS1_3genE0ELNS1_11target_archE4294967295ELNS1_3gpuE0ELNS1_3repE0EEENS1_47radix_sort_onesweep_sort_config_static_selectorELNS0_4arch9wavefront6targetE1EEEvSG_.has_dyn_sized_stack, 0
	.set _ZN7rocprim17ROCPRIM_400000_NS6detail17trampoline_kernelINS0_14default_configENS1_35radix_sort_onesweep_config_selectorIilEEZZNS1_29radix_sort_onesweep_iterationIS3_Lb0EPiS7_N6thrust23THRUST_200600_302600_NS10device_ptrIlEESB_jNS0_19identity_decomposerENS1_16block_id_wrapperIjLb1EEEEE10hipError_tT1_PNSt15iterator_traitsISG_E10value_typeET2_T3_PNSH_ISM_E10value_typeET4_T5_PSR_SS_PNS1_23onesweep_lookback_stateEbbT6_jjT7_P12ihipStream_tbENKUlT_T0_SG_SL_E_clIS7_S7_SB_SB_EEDaSZ_S10_SG_SL_EUlSZ_E_NS1_11comp_targetILNS1_3genE0ELNS1_11target_archE4294967295ELNS1_3gpuE0ELNS1_3repE0EEENS1_47radix_sort_onesweep_sort_config_static_selectorELNS0_4arch9wavefront6targetE1EEEvSG_.has_recursion, 0
	.set _ZN7rocprim17ROCPRIM_400000_NS6detail17trampoline_kernelINS0_14default_configENS1_35radix_sort_onesweep_config_selectorIilEEZZNS1_29radix_sort_onesweep_iterationIS3_Lb0EPiS7_N6thrust23THRUST_200600_302600_NS10device_ptrIlEESB_jNS0_19identity_decomposerENS1_16block_id_wrapperIjLb1EEEEE10hipError_tT1_PNSt15iterator_traitsISG_E10value_typeET2_T3_PNSH_ISM_E10value_typeET4_T5_PSR_SS_PNS1_23onesweep_lookback_stateEbbT6_jjT7_P12ihipStream_tbENKUlT_T0_SG_SL_E_clIS7_S7_SB_SB_EEDaSZ_S10_SG_SL_EUlSZ_E_NS1_11comp_targetILNS1_3genE0ELNS1_11target_archE4294967295ELNS1_3gpuE0ELNS1_3repE0EEENS1_47radix_sort_onesweep_sort_config_static_selectorELNS0_4arch9wavefront6targetE1EEEvSG_.has_indirect_call, 0
	.section	.AMDGPU.csdata,"",@progbits
; Kernel info:
; codeLenInByte = 0
; TotalNumSgprs: 4
; NumVgprs: 0
; ScratchSize: 0
; MemoryBound: 0
; FloatMode: 240
; IeeeMode: 1
; LDSByteSize: 0 bytes/workgroup (compile time only)
; SGPRBlocks: 0
; VGPRBlocks: 0
; NumSGPRsForWavesPerEU: 4
; NumVGPRsForWavesPerEU: 1
; Occupancy: 10
; WaveLimiterHint : 0
; COMPUTE_PGM_RSRC2:SCRATCH_EN: 0
; COMPUTE_PGM_RSRC2:USER_SGPR: 6
; COMPUTE_PGM_RSRC2:TRAP_HANDLER: 0
; COMPUTE_PGM_RSRC2:TGID_X_EN: 1
; COMPUTE_PGM_RSRC2:TGID_Y_EN: 0
; COMPUTE_PGM_RSRC2:TGID_Z_EN: 0
; COMPUTE_PGM_RSRC2:TIDIG_COMP_CNT: 0
	.section	.text._ZN7rocprim17ROCPRIM_400000_NS6detail17trampoline_kernelINS0_14default_configENS1_35radix_sort_onesweep_config_selectorIilEEZZNS1_29radix_sort_onesweep_iterationIS3_Lb0EPiS7_N6thrust23THRUST_200600_302600_NS10device_ptrIlEESB_jNS0_19identity_decomposerENS1_16block_id_wrapperIjLb1EEEEE10hipError_tT1_PNSt15iterator_traitsISG_E10value_typeET2_T3_PNSH_ISM_E10value_typeET4_T5_PSR_SS_PNS1_23onesweep_lookback_stateEbbT6_jjT7_P12ihipStream_tbENKUlT_T0_SG_SL_E_clIS7_S7_SB_SB_EEDaSZ_S10_SG_SL_EUlSZ_E_NS1_11comp_targetILNS1_3genE6ELNS1_11target_archE950ELNS1_3gpuE13ELNS1_3repE0EEENS1_47radix_sort_onesweep_sort_config_static_selectorELNS0_4arch9wavefront6targetE1EEEvSG_,"axG",@progbits,_ZN7rocprim17ROCPRIM_400000_NS6detail17trampoline_kernelINS0_14default_configENS1_35radix_sort_onesweep_config_selectorIilEEZZNS1_29radix_sort_onesweep_iterationIS3_Lb0EPiS7_N6thrust23THRUST_200600_302600_NS10device_ptrIlEESB_jNS0_19identity_decomposerENS1_16block_id_wrapperIjLb1EEEEE10hipError_tT1_PNSt15iterator_traitsISG_E10value_typeET2_T3_PNSH_ISM_E10value_typeET4_T5_PSR_SS_PNS1_23onesweep_lookback_stateEbbT6_jjT7_P12ihipStream_tbENKUlT_T0_SG_SL_E_clIS7_S7_SB_SB_EEDaSZ_S10_SG_SL_EUlSZ_E_NS1_11comp_targetILNS1_3genE6ELNS1_11target_archE950ELNS1_3gpuE13ELNS1_3repE0EEENS1_47radix_sort_onesweep_sort_config_static_selectorELNS0_4arch9wavefront6targetE1EEEvSG_,comdat
	.protected	_ZN7rocprim17ROCPRIM_400000_NS6detail17trampoline_kernelINS0_14default_configENS1_35radix_sort_onesweep_config_selectorIilEEZZNS1_29radix_sort_onesweep_iterationIS3_Lb0EPiS7_N6thrust23THRUST_200600_302600_NS10device_ptrIlEESB_jNS0_19identity_decomposerENS1_16block_id_wrapperIjLb1EEEEE10hipError_tT1_PNSt15iterator_traitsISG_E10value_typeET2_T3_PNSH_ISM_E10value_typeET4_T5_PSR_SS_PNS1_23onesweep_lookback_stateEbbT6_jjT7_P12ihipStream_tbENKUlT_T0_SG_SL_E_clIS7_S7_SB_SB_EEDaSZ_S10_SG_SL_EUlSZ_E_NS1_11comp_targetILNS1_3genE6ELNS1_11target_archE950ELNS1_3gpuE13ELNS1_3repE0EEENS1_47radix_sort_onesweep_sort_config_static_selectorELNS0_4arch9wavefront6targetE1EEEvSG_ ; -- Begin function _ZN7rocprim17ROCPRIM_400000_NS6detail17trampoline_kernelINS0_14default_configENS1_35radix_sort_onesweep_config_selectorIilEEZZNS1_29radix_sort_onesweep_iterationIS3_Lb0EPiS7_N6thrust23THRUST_200600_302600_NS10device_ptrIlEESB_jNS0_19identity_decomposerENS1_16block_id_wrapperIjLb1EEEEE10hipError_tT1_PNSt15iterator_traitsISG_E10value_typeET2_T3_PNSH_ISM_E10value_typeET4_T5_PSR_SS_PNS1_23onesweep_lookback_stateEbbT6_jjT7_P12ihipStream_tbENKUlT_T0_SG_SL_E_clIS7_S7_SB_SB_EEDaSZ_S10_SG_SL_EUlSZ_E_NS1_11comp_targetILNS1_3genE6ELNS1_11target_archE950ELNS1_3gpuE13ELNS1_3repE0EEENS1_47radix_sort_onesweep_sort_config_static_selectorELNS0_4arch9wavefront6targetE1EEEvSG_
	.globl	_ZN7rocprim17ROCPRIM_400000_NS6detail17trampoline_kernelINS0_14default_configENS1_35radix_sort_onesweep_config_selectorIilEEZZNS1_29radix_sort_onesweep_iterationIS3_Lb0EPiS7_N6thrust23THRUST_200600_302600_NS10device_ptrIlEESB_jNS0_19identity_decomposerENS1_16block_id_wrapperIjLb1EEEEE10hipError_tT1_PNSt15iterator_traitsISG_E10value_typeET2_T3_PNSH_ISM_E10value_typeET4_T5_PSR_SS_PNS1_23onesweep_lookback_stateEbbT6_jjT7_P12ihipStream_tbENKUlT_T0_SG_SL_E_clIS7_S7_SB_SB_EEDaSZ_S10_SG_SL_EUlSZ_E_NS1_11comp_targetILNS1_3genE6ELNS1_11target_archE950ELNS1_3gpuE13ELNS1_3repE0EEENS1_47radix_sort_onesweep_sort_config_static_selectorELNS0_4arch9wavefront6targetE1EEEvSG_
	.p2align	8
	.type	_ZN7rocprim17ROCPRIM_400000_NS6detail17trampoline_kernelINS0_14default_configENS1_35radix_sort_onesweep_config_selectorIilEEZZNS1_29radix_sort_onesweep_iterationIS3_Lb0EPiS7_N6thrust23THRUST_200600_302600_NS10device_ptrIlEESB_jNS0_19identity_decomposerENS1_16block_id_wrapperIjLb1EEEEE10hipError_tT1_PNSt15iterator_traitsISG_E10value_typeET2_T3_PNSH_ISM_E10value_typeET4_T5_PSR_SS_PNS1_23onesweep_lookback_stateEbbT6_jjT7_P12ihipStream_tbENKUlT_T0_SG_SL_E_clIS7_S7_SB_SB_EEDaSZ_S10_SG_SL_EUlSZ_E_NS1_11comp_targetILNS1_3genE6ELNS1_11target_archE950ELNS1_3gpuE13ELNS1_3repE0EEENS1_47radix_sort_onesweep_sort_config_static_selectorELNS0_4arch9wavefront6targetE1EEEvSG_,@function
_ZN7rocprim17ROCPRIM_400000_NS6detail17trampoline_kernelINS0_14default_configENS1_35radix_sort_onesweep_config_selectorIilEEZZNS1_29radix_sort_onesweep_iterationIS3_Lb0EPiS7_N6thrust23THRUST_200600_302600_NS10device_ptrIlEESB_jNS0_19identity_decomposerENS1_16block_id_wrapperIjLb1EEEEE10hipError_tT1_PNSt15iterator_traitsISG_E10value_typeET2_T3_PNSH_ISM_E10value_typeET4_T5_PSR_SS_PNS1_23onesweep_lookback_stateEbbT6_jjT7_P12ihipStream_tbENKUlT_T0_SG_SL_E_clIS7_S7_SB_SB_EEDaSZ_S10_SG_SL_EUlSZ_E_NS1_11comp_targetILNS1_3genE6ELNS1_11target_archE950ELNS1_3gpuE13ELNS1_3repE0EEENS1_47radix_sort_onesweep_sort_config_static_selectorELNS0_4arch9wavefront6targetE1EEEvSG_: ; @_ZN7rocprim17ROCPRIM_400000_NS6detail17trampoline_kernelINS0_14default_configENS1_35radix_sort_onesweep_config_selectorIilEEZZNS1_29radix_sort_onesweep_iterationIS3_Lb0EPiS7_N6thrust23THRUST_200600_302600_NS10device_ptrIlEESB_jNS0_19identity_decomposerENS1_16block_id_wrapperIjLb1EEEEE10hipError_tT1_PNSt15iterator_traitsISG_E10value_typeET2_T3_PNSH_ISM_E10value_typeET4_T5_PSR_SS_PNS1_23onesweep_lookback_stateEbbT6_jjT7_P12ihipStream_tbENKUlT_T0_SG_SL_E_clIS7_S7_SB_SB_EEDaSZ_S10_SG_SL_EUlSZ_E_NS1_11comp_targetILNS1_3genE6ELNS1_11target_archE950ELNS1_3gpuE13ELNS1_3repE0EEENS1_47radix_sort_onesweep_sort_config_static_selectorELNS0_4arch9wavefront6targetE1EEEvSG_
; %bb.0:
	.section	.rodata,"a",@progbits
	.p2align	6, 0x0
	.amdhsa_kernel _ZN7rocprim17ROCPRIM_400000_NS6detail17trampoline_kernelINS0_14default_configENS1_35radix_sort_onesweep_config_selectorIilEEZZNS1_29radix_sort_onesweep_iterationIS3_Lb0EPiS7_N6thrust23THRUST_200600_302600_NS10device_ptrIlEESB_jNS0_19identity_decomposerENS1_16block_id_wrapperIjLb1EEEEE10hipError_tT1_PNSt15iterator_traitsISG_E10value_typeET2_T3_PNSH_ISM_E10value_typeET4_T5_PSR_SS_PNS1_23onesweep_lookback_stateEbbT6_jjT7_P12ihipStream_tbENKUlT_T0_SG_SL_E_clIS7_S7_SB_SB_EEDaSZ_S10_SG_SL_EUlSZ_E_NS1_11comp_targetILNS1_3genE6ELNS1_11target_archE950ELNS1_3gpuE13ELNS1_3repE0EEENS1_47radix_sort_onesweep_sort_config_static_selectorELNS0_4arch9wavefront6targetE1EEEvSG_
		.amdhsa_group_segment_fixed_size 0
		.amdhsa_private_segment_fixed_size 0
		.amdhsa_kernarg_size 88
		.amdhsa_user_sgpr_count 6
		.amdhsa_user_sgpr_private_segment_buffer 1
		.amdhsa_user_sgpr_dispatch_ptr 0
		.amdhsa_user_sgpr_queue_ptr 0
		.amdhsa_user_sgpr_kernarg_segment_ptr 1
		.amdhsa_user_sgpr_dispatch_id 0
		.amdhsa_user_sgpr_flat_scratch_init 0
		.amdhsa_user_sgpr_private_segment_size 0
		.amdhsa_uses_dynamic_stack 0
		.amdhsa_system_sgpr_private_segment_wavefront_offset 0
		.amdhsa_system_sgpr_workgroup_id_x 1
		.amdhsa_system_sgpr_workgroup_id_y 0
		.amdhsa_system_sgpr_workgroup_id_z 0
		.amdhsa_system_sgpr_workgroup_info 0
		.amdhsa_system_vgpr_workitem_id 0
		.amdhsa_next_free_vgpr 1
		.amdhsa_next_free_sgpr 0
		.amdhsa_reserve_vcc 0
		.amdhsa_reserve_flat_scratch 0
		.amdhsa_float_round_mode_32 0
		.amdhsa_float_round_mode_16_64 0
		.amdhsa_float_denorm_mode_32 3
		.amdhsa_float_denorm_mode_16_64 3
		.amdhsa_dx10_clamp 1
		.amdhsa_ieee_mode 1
		.amdhsa_fp16_overflow 0
		.amdhsa_exception_fp_ieee_invalid_op 0
		.amdhsa_exception_fp_denorm_src 0
		.amdhsa_exception_fp_ieee_div_zero 0
		.amdhsa_exception_fp_ieee_overflow 0
		.amdhsa_exception_fp_ieee_underflow 0
		.amdhsa_exception_fp_ieee_inexact 0
		.amdhsa_exception_int_div_zero 0
	.end_amdhsa_kernel
	.section	.text._ZN7rocprim17ROCPRIM_400000_NS6detail17trampoline_kernelINS0_14default_configENS1_35radix_sort_onesweep_config_selectorIilEEZZNS1_29radix_sort_onesweep_iterationIS3_Lb0EPiS7_N6thrust23THRUST_200600_302600_NS10device_ptrIlEESB_jNS0_19identity_decomposerENS1_16block_id_wrapperIjLb1EEEEE10hipError_tT1_PNSt15iterator_traitsISG_E10value_typeET2_T3_PNSH_ISM_E10value_typeET4_T5_PSR_SS_PNS1_23onesweep_lookback_stateEbbT6_jjT7_P12ihipStream_tbENKUlT_T0_SG_SL_E_clIS7_S7_SB_SB_EEDaSZ_S10_SG_SL_EUlSZ_E_NS1_11comp_targetILNS1_3genE6ELNS1_11target_archE950ELNS1_3gpuE13ELNS1_3repE0EEENS1_47radix_sort_onesweep_sort_config_static_selectorELNS0_4arch9wavefront6targetE1EEEvSG_,"axG",@progbits,_ZN7rocprim17ROCPRIM_400000_NS6detail17trampoline_kernelINS0_14default_configENS1_35radix_sort_onesweep_config_selectorIilEEZZNS1_29radix_sort_onesweep_iterationIS3_Lb0EPiS7_N6thrust23THRUST_200600_302600_NS10device_ptrIlEESB_jNS0_19identity_decomposerENS1_16block_id_wrapperIjLb1EEEEE10hipError_tT1_PNSt15iterator_traitsISG_E10value_typeET2_T3_PNSH_ISM_E10value_typeET4_T5_PSR_SS_PNS1_23onesweep_lookback_stateEbbT6_jjT7_P12ihipStream_tbENKUlT_T0_SG_SL_E_clIS7_S7_SB_SB_EEDaSZ_S10_SG_SL_EUlSZ_E_NS1_11comp_targetILNS1_3genE6ELNS1_11target_archE950ELNS1_3gpuE13ELNS1_3repE0EEENS1_47radix_sort_onesweep_sort_config_static_selectorELNS0_4arch9wavefront6targetE1EEEvSG_,comdat
.Lfunc_end867:
	.size	_ZN7rocprim17ROCPRIM_400000_NS6detail17trampoline_kernelINS0_14default_configENS1_35radix_sort_onesweep_config_selectorIilEEZZNS1_29radix_sort_onesweep_iterationIS3_Lb0EPiS7_N6thrust23THRUST_200600_302600_NS10device_ptrIlEESB_jNS0_19identity_decomposerENS1_16block_id_wrapperIjLb1EEEEE10hipError_tT1_PNSt15iterator_traitsISG_E10value_typeET2_T3_PNSH_ISM_E10value_typeET4_T5_PSR_SS_PNS1_23onesweep_lookback_stateEbbT6_jjT7_P12ihipStream_tbENKUlT_T0_SG_SL_E_clIS7_S7_SB_SB_EEDaSZ_S10_SG_SL_EUlSZ_E_NS1_11comp_targetILNS1_3genE6ELNS1_11target_archE950ELNS1_3gpuE13ELNS1_3repE0EEENS1_47radix_sort_onesweep_sort_config_static_selectorELNS0_4arch9wavefront6targetE1EEEvSG_, .Lfunc_end867-_ZN7rocprim17ROCPRIM_400000_NS6detail17trampoline_kernelINS0_14default_configENS1_35radix_sort_onesweep_config_selectorIilEEZZNS1_29radix_sort_onesweep_iterationIS3_Lb0EPiS7_N6thrust23THRUST_200600_302600_NS10device_ptrIlEESB_jNS0_19identity_decomposerENS1_16block_id_wrapperIjLb1EEEEE10hipError_tT1_PNSt15iterator_traitsISG_E10value_typeET2_T3_PNSH_ISM_E10value_typeET4_T5_PSR_SS_PNS1_23onesweep_lookback_stateEbbT6_jjT7_P12ihipStream_tbENKUlT_T0_SG_SL_E_clIS7_S7_SB_SB_EEDaSZ_S10_SG_SL_EUlSZ_E_NS1_11comp_targetILNS1_3genE6ELNS1_11target_archE950ELNS1_3gpuE13ELNS1_3repE0EEENS1_47radix_sort_onesweep_sort_config_static_selectorELNS0_4arch9wavefront6targetE1EEEvSG_
                                        ; -- End function
	.set _ZN7rocprim17ROCPRIM_400000_NS6detail17trampoline_kernelINS0_14default_configENS1_35radix_sort_onesweep_config_selectorIilEEZZNS1_29radix_sort_onesweep_iterationIS3_Lb0EPiS7_N6thrust23THRUST_200600_302600_NS10device_ptrIlEESB_jNS0_19identity_decomposerENS1_16block_id_wrapperIjLb1EEEEE10hipError_tT1_PNSt15iterator_traitsISG_E10value_typeET2_T3_PNSH_ISM_E10value_typeET4_T5_PSR_SS_PNS1_23onesweep_lookback_stateEbbT6_jjT7_P12ihipStream_tbENKUlT_T0_SG_SL_E_clIS7_S7_SB_SB_EEDaSZ_S10_SG_SL_EUlSZ_E_NS1_11comp_targetILNS1_3genE6ELNS1_11target_archE950ELNS1_3gpuE13ELNS1_3repE0EEENS1_47radix_sort_onesweep_sort_config_static_selectorELNS0_4arch9wavefront6targetE1EEEvSG_.num_vgpr, 0
	.set _ZN7rocprim17ROCPRIM_400000_NS6detail17trampoline_kernelINS0_14default_configENS1_35radix_sort_onesweep_config_selectorIilEEZZNS1_29radix_sort_onesweep_iterationIS3_Lb0EPiS7_N6thrust23THRUST_200600_302600_NS10device_ptrIlEESB_jNS0_19identity_decomposerENS1_16block_id_wrapperIjLb1EEEEE10hipError_tT1_PNSt15iterator_traitsISG_E10value_typeET2_T3_PNSH_ISM_E10value_typeET4_T5_PSR_SS_PNS1_23onesweep_lookback_stateEbbT6_jjT7_P12ihipStream_tbENKUlT_T0_SG_SL_E_clIS7_S7_SB_SB_EEDaSZ_S10_SG_SL_EUlSZ_E_NS1_11comp_targetILNS1_3genE6ELNS1_11target_archE950ELNS1_3gpuE13ELNS1_3repE0EEENS1_47radix_sort_onesweep_sort_config_static_selectorELNS0_4arch9wavefront6targetE1EEEvSG_.num_agpr, 0
	.set _ZN7rocprim17ROCPRIM_400000_NS6detail17trampoline_kernelINS0_14default_configENS1_35radix_sort_onesweep_config_selectorIilEEZZNS1_29radix_sort_onesweep_iterationIS3_Lb0EPiS7_N6thrust23THRUST_200600_302600_NS10device_ptrIlEESB_jNS0_19identity_decomposerENS1_16block_id_wrapperIjLb1EEEEE10hipError_tT1_PNSt15iterator_traitsISG_E10value_typeET2_T3_PNSH_ISM_E10value_typeET4_T5_PSR_SS_PNS1_23onesweep_lookback_stateEbbT6_jjT7_P12ihipStream_tbENKUlT_T0_SG_SL_E_clIS7_S7_SB_SB_EEDaSZ_S10_SG_SL_EUlSZ_E_NS1_11comp_targetILNS1_3genE6ELNS1_11target_archE950ELNS1_3gpuE13ELNS1_3repE0EEENS1_47radix_sort_onesweep_sort_config_static_selectorELNS0_4arch9wavefront6targetE1EEEvSG_.numbered_sgpr, 0
	.set _ZN7rocprim17ROCPRIM_400000_NS6detail17trampoline_kernelINS0_14default_configENS1_35radix_sort_onesweep_config_selectorIilEEZZNS1_29radix_sort_onesweep_iterationIS3_Lb0EPiS7_N6thrust23THRUST_200600_302600_NS10device_ptrIlEESB_jNS0_19identity_decomposerENS1_16block_id_wrapperIjLb1EEEEE10hipError_tT1_PNSt15iterator_traitsISG_E10value_typeET2_T3_PNSH_ISM_E10value_typeET4_T5_PSR_SS_PNS1_23onesweep_lookback_stateEbbT6_jjT7_P12ihipStream_tbENKUlT_T0_SG_SL_E_clIS7_S7_SB_SB_EEDaSZ_S10_SG_SL_EUlSZ_E_NS1_11comp_targetILNS1_3genE6ELNS1_11target_archE950ELNS1_3gpuE13ELNS1_3repE0EEENS1_47radix_sort_onesweep_sort_config_static_selectorELNS0_4arch9wavefront6targetE1EEEvSG_.num_named_barrier, 0
	.set _ZN7rocprim17ROCPRIM_400000_NS6detail17trampoline_kernelINS0_14default_configENS1_35radix_sort_onesweep_config_selectorIilEEZZNS1_29radix_sort_onesweep_iterationIS3_Lb0EPiS7_N6thrust23THRUST_200600_302600_NS10device_ptrIlEESB_jNS0_19identity_decomposerENS1_16block_id_wrapperIjLb1EEEEE10hipError_tT1_PNSt15iterator_traitsISG_E10value_typeET2_T3_PNSH_ISM_E10value_typeET4_T5_PSR_SS_PNS1_23onesweep_lookback_stateEbbT6_jjT7_P12ihipStream_tbENKUlT_T0_SG_SL_E_clIS7_S7_SB_SB_EEDaSZ_S10_SG_SL_EUlSZ_E_NS1_11comp_targetILNS1_3genE6ELNS1_11target_archE950ELNS1_3gpuE13ELNS1_3repE0EEENS1_47radix_sort_onesweep_sort_config_static_selectorELNS0_4arch9wavefront6targetE1EEEvSG_.private_seg_size, 0
	.set _ZN7rocprim17ROCPRIM_400000_NS6detail17trampoline_kernelINS0_14default_configENS1_35radix_sort_onesweep_config_selectorIilEEZZNS1_29radix_sort_onesweep_iterationIS3_Lb0EPiS7_N6thrust23THRUST_200600_302600_NS10device_ptrIlEESB_jNS0_19identity_decomposerENS1_16block_id_wrapperIjLb1EEEEE10hipError_tT1_PNSt15iterator_traitsISG_E10value_typeET2_T3_PNSH_ISM_E10value_typeET4_T5_PSR_SS_PNS1_23onesweep_lookback_stateEbbT6_jjT7_P12ihipStream_tbENKUlT_T0_SG_SL_E_clIS7_S7_SB_SB_EEDaSZ_S10_SG_SL_EUlSZ_E_NS1_11comp_targetILNS1_3genE6ELNS1_11target_archE950ELNS1_3gpuE13ELNS1_3repE0EEENS1_47radix_sort_onesweep_sort_config_static_selectorELNS0_4arch9wavefront6targetE1EEEvSG_.uses_vcc, 0
	.set _ZN7rocprim17ROCPRIM_400000_NS6detail17trampoline_kernelINS0_14default_configENS1_35radix_sort_onesweep_config_selectorIilEEZZNS1_29radix_sort_onesweep_iterationIS3_Lb0EPiS7_N6thrust23THRUST_200600_302600_NS10device_ptrIlEESB_jNS0_19identity_decomposerENS1_16block_id_wrapperIjLb1EEEEE10hipError_tT1_PNSt15iterator_traitsISG_E10value_typeET2_T3_PNSH_ISM_E10value_typeET4_T5_PSR_SS_PNS1_23onesweep_lookback_stateEbbT6_jjT7_P12ihipStream_tbENKUlT_T0_SG_SL_E_clIS7_S7_SB_SB_EEDaSZ_S10_SG_SL_EUlSZ_E_NS1_11comp_targetILNS1_3genE6ELNS1_11target_archE950ELNS1_3gpuE13ELNS1_3repE0EEENS1_47radix_sort_onesweep_sort_config_static_selectorELNS0_4arch9wavefront6targetE1EEEvSG_.uses_flat_scratch, 0
	.set _ZN7rocprim17ROCPRIM_400000_NS6detail17trampoline_kernelINS0_14default_configENS1_35radix_sort_onesweep_config_selectorIilEEZZNS1_29radix_sort_onesweep_iterationIS3_Lb0EPiS7_N6thrust23THRUST_200600_302600_NS10device_ptrIlEESB_jNS0_19identity_decomposerENS1_16block_id_wrapperIjLb1EEEEE10hipError_tT1_PNSt15iterator_traitsISG_E10value_typeET2_T3_PNSH_ISM_E10value_typeET4_T5_PSR_SS_PNS1_23onesweep_lookback_stateEbbT6_jjT7_P12ihipStream_tbENKUlT_T0_SG_SL_E_clIS7_S7_SB_SB_EEDaSZ_S10_SG_SL_EUlSZ_E_NS1_11comp_targetILNS1_3genE6ELNS1_11target_archE950ELNS1_3gpuE13ELNS1_3repE0EEENS1_47radix_sort_onesweep_sort_config_static_selectorELNS0_4arch9wavefront6targetE1EEEvSG_.has_dyn_sized_stack, 0
	.set _ZN7rocprim17ROCPRIM_400000_NS6detail17trampoline_kernelINS0_14default_configENS1_35radix_sort_onesweep_config_selectorIilEEZZNS1_29radix_sort_onesweep_iterationIS3_Lb0EPiS7_N6thrust23THRUST_200600_302600_NS10device_ptrIlEESB_jNS0_19identity_decomposerENS1_16block_id_wrapperIjLb1EEEEE10hipError_tT1_PNSt15iterator_traitsISG_E10value_typeET2_T3_PNSH_ISM_E10value_typeET4_T5_PSR_SS_PNS1_23onesweep_lookback_stateEbbT6_jjT7_P12ihipStream_tbENKUlT_T0_SG_SL_E_clIS7_S7_SB_SB_EEDaSZ_S10_SG_SL_EUlSZ_E_NS1_11comp_targetILNS1_3genE6ELNS1_11target_archE950ELNS1_3gpuE13ELNS1_3repE0EEENS1_47radix_sort_onesweep_sort_config_static_selectorELNS0_4arch9wavefront6targetE1EEEvSG_.has_recursion, 0
	.set _ZN7rocprim17ROCPRIM_400000_NS6detail17trampoline_kernelINS0_14default_configENS1_35radix_sort_onesweep_config_selectorIilEEZZNS1_29radix_sort_onesweep_iterationIS3_Lb0EPiS7_N6thrust23THRUST_200600_302600_NS10device_ptrIlEESB_jNS0_19identity_decomposerENS1_16block_id_wrapperIjLb1EEEEE10hipError_tT1_PNSt15iterator_traitsISG_E10value_typeET2_T3_PNSH_ISM_E10value_typeET4_T5_PSR_SS_PNS1_23onesweep_lookback_stateEbbT6_jjT7_P12ihipStream_tbENKUlT_T0_SG_SL_E_clIS7_S7_SB_SB_EEDaSZ_S10_SG_SL_EUlSZ_E_NS1_11comp_targetILNS1_3genE6ELNS1_11target_archE950ELNS1_3gpuE13ELNS1_3repE0EEENS1_47radix_sort_onesweep_sort_config_static_selectorELNS0_4arch9wavefront6targetE1EEEvSG_.has_indirect_call, 0
	.section	.AMDGPU.csdata,"",@progbits
; Kernel info:
; codeLenInByte = 0
; TotalNumSgprs: 4
; NumVgprs: 0
; ScratchSize: 0
; MemoryBound: 0
; FloatMode: 240
; IeeeMode: 1
; LDSByteSize: 0 bytes/workgroup (compile time only)
; SGPRBlocks: 0
; VGPRBlocks: 0
; NumSGPRsForWavesPerEU: 4
; NumVGPRsForWavesPerEU: 1
; Occupancy: 10
; WaveLimiterHint : 0
; COMPUTE_PGM_RSRC2:SCRATCH_EN: 0
; COMPUTE_PGM_RSRC2:USER_SGPR: 6
; COMPUTE_PGM_RSRC2:TRAP_HANDLER: 0
; COMPUTE_PGM_RSRC2:TGID_X_EN: 1
; COMPUTE_PGM_RSRC2:TGID_Y_EN: 0
; COMPUTE_PGM_RSRC2:TGID_Z_EN: 0
; COMPUTE_PGM_RSRC2:TIDIG_COMP_CNT: 0
	.section	.text._ZN7rocprim17ROCPRIM_400000_NS6detail17trampoline_kernelINS0_14default_configENS1_35radix_sort_onesweep_config_selectorIilEEZZNS1_29radix_sort_onesweep_iterationIS3_Lb0EPiS7_N6thrust23THRUST_200600_302600_NS10device_ptrIlEESB_jNS0_19identity_decomposerENS1_16block_id_wrapperIjLb1EEEEE10hipError_tT1_PNSt15iterator_traitsISG_E10value_typeET2_T3_PNSH_ISM_E10value_typeET4_T5_PSR_SS_PNS1_23onesweep_lookback_stateEbbT6_jjT7_P12ihipStream_tbENKUlT_T0_SG_SL_E_clIS7_S7_SB_SB_EEDaSZ_S10_SG_SL_EUlSZ_E_NS1_11comp_targetILNS1_3genE5ELNS1_11target_archE942ELNS1_3gpuE9ELNS1_3repE0EEENS1_47radix_sort_onesweep_sort_config_static_selectorELNS0_4arch9wavefront6targetE1EEEvSG_,"axG",@progbits,_ZN7rocprim17ROCPRIM_400000_NS6detail17trampoline_kernelINS0_14default_configENS1_35radix_sort_onesweep_config_selectorIilEEZZNS1_29radix_sort_onesweep_iterationIS3_Lb0EPiS7_N6thrust23THRUST_200600_302600_NS10device_ptrIlEESB_jNS0_19identity_decomposerENS1_16block_id_wrapperIjLb1EEEEE10hipError_tT1_PNSt15iterator_traitsISG_E10value_typeET2_T3_PNSH_ISM_E10value_typeET4_T5_PSR_SS_PNS1_23onesweep_lookback_stateEbbT6_jjT7_P12ihipStream_tbENKUlT_T0_SG_SL_E_clIS7_S7_SB_SB_EEDaSZ_S10_SG_SL_EUlSZ_E_NS1_11comp_targetILNS1_3genE5ELNS1_11target_archE942ELNS1_3gpuE9ELNS1_3repE0EEENS1_47radix_sort_onesweep_sort_config_static_selectorELNS0_4arch9wavefront6targetE1EEEvSG_,comdat
	.protected	_ZN7rocprim17ROCPRIM_400000_NS6detail17trampoline_kernelINS0_14default_configENS1_35radix_sort_onesweep_config_selectorIilEEZZNS1_29radix_sort_onesweep_iterationIS3_Lb0EPiS7_N6thrust23THRUST_200600_302600_NS10device_ptrIlEESB_jNS0_19identity_decomposerENS1_16block_id_wrapperIjLb1EEEEE10hipError_tT1_PNSt15iterator_traitsISG_E10value_typeET2_T3_PNSH_ISM_E10value_typeET4_T5_PSR_SS_PNS1_23onesweep_lookback_stateEbbT6_jjT7_P12ihipStream_tbENKUlT_T0_SG_SL_E_clIS7_S7_SB_SB_EEDaSZ_S10_SG_SL_EUlSZ_E_NS1_11comp_targetILNS1_3genE5ELNS1_11target_archE942ELNS1_3gpuE9ELNS1_3repE0EEENS1_47radix_sort_onesweep_sort_config_static_selectorELNS0_4arch9wavefront6targetE1EEEvSG_ ; -- Begin function _ZN7rocprim17ROCPRIM_400000_NS6detail17trampoline_kernelINS0_14default_configENS1_35radix_sort_onesweep_config_selectorIilEEZZNS1_29radix_sort_onesweep_iterationIS3_Lb0EPiS7_N6thrust23THRUST_200600_302600_NS10device_ptrIlEESB_jNS0_19identity_decomposerENS1_16block_id_wrapperIjLb1EEEEE10hipError_tT1_PNSt15iterator_traitsISG_E10value_typeET2_T3_PNSH_ISM_E10value_typeET4_T5_PSR_SS_PNS1_23onesweep_lookback_stateEbbT6_jjT7_P12ihipStream_tbENKUlT_T0_SG_SL_E_clIS7_S7_SB_SB_EEDaSZ_S10_SG_SL_EUlSZ_E_NS1_11comp_targetILNS1_3genE5ELNS1_11target_archE942ELNS1_3gpuE9ELNS1_3repE0EEENS1_47radix_sort_onesweep_sort_config_static_selectorELNS0_4arch9wavefront6targetE1EEEvSG_
	.globl	_ZN7rocprim17ROCPRIM_400000_NS6detail17trampoline_kernelINS0_14default_configENS1_35radix_sort_onesweep_config_selectorIilEEZZNS1_29radix_sort_onesweep_iterationIS3_Lb0EPiS7_N6thrust23THRUST_200600_302600_NS10device_ptrIlEESB_jNS0_19identity_decomposerENS1_16block_id_wrapperIjLb1EEEEE10hipError_tT1_PNSt15iterator_traitsISG_E10value_typeET2_T3_PNSH_ISM_E10value_typeET4_T5_PSR_SS_PNS1_23onesweep_lookback_stateEbbT6_jjT7_P12ihipStream_tbENKUlT_T0_SG_SL_E_clIS7_S7_SB_SB_EEDaSZ_S10_SG_SL_EUlSZ_E_NS1_11comp_targetILNS1_3genE5ELNS1_11target_archE942ELNS1_3gpuE9ELNS1_3repE0EEENS1_47radix_sort_onesweep_sort_config_static_selectorELNS0_4arch9wavefront6targetE1EEEvSG_
	.p2align	8
	.type	_ZN7rocprim17ROCPRIM_400000_NS6detail17trampoline_kernelINS0_14default_configENS1_35radix_sort_onesweep_config_selectorIilEEZZNS1_29radix_sort_onesweep_iterationIS3_Lb0EPiS7_N6thrust23THRUST_200600_302600_NS10device_ptrIlEESB_jNS0_19identity_decomposerENS1_16block_id_wrapperIjLb1EEEEE10hipError_tT1_PNSt15iterator_traitsISG_E10value_typeET2_T3_PNSH_ISM_E10value_typeET4_T5_PSR_SS_PNS1_23onesweep_lookback_stateEbbT6_jjT7_P12ihipStream_tbENKUlT_T0_SG_SL_E_clIS7_S7_SB_SB_EEDaSZ_S10_SG_SL_EUlSZ_E_NS1_11comp_targetILNS1_3genE5ELNS1_11target_archE942ELNS1_3gpuE9ELNS1_3repE0EEENS1_47radix_sort_onesweep_sort_config_static_selectorELNS0_4arch9wavefront6targetE1EEEvSG_,@function
_ZN7rocprim17ROCPRIM_400000_NS6detail17trampoline_kernelINS0_14default_configENS1_35radix_sort_onesweep_config_selectorIilEEZZNS1_29radix_sort_onesweep_iterationIS3_Lb0EPiS7_N6thrust23THRUST_200600_302600_NS10device_ptrIlEESB_jNS0_19identity_decomposerENS1_16block_id_wrapperIjLb1EEEEE10hipError_tT1_PNSt15iterator_traitsISG_E10value_typeET2_T3_PNSH_ISM_E10value_typeET4_T5_PSR_SS_PNS1_23onesweep_lookback_stateEbbT6_jjT7_P12ihipStream_tbENKUlT_T0_SG_SL_E_clIS7_S7_SB_SB_EEDaSZ_S10_SG_SL_EUlSZ_E_NS1_11comp_targetILNS1_3genE5ELNS1_11target_archE942ELNS1_3gpuE9ELNS1_3repE0EEENS1_47radix_sort_onesweep_sort_config_static_selectorELNS0_4arch9wavefront6targetE1EEEvSG_: ; @_ZN7rocprim17ROCPRIM_400000_NS6detail17trampoline_kernelINS0_14default_configENS1_35radix_sort_onesweep_config_selectorIilEEZZNS1_29radix_sort_onesweep_iterationIS3_Lb0EPiS7_N6thrust23THRUST_200600_302600_NS10device_ptrIlEESB_jNS0_19identity_decomposerENS1_16block_id_wrapperIjLb1EEEEE10hipError_tT1_PNSt15iterator_traitsISG_E10value_typeET2_T3_PNSH_ISM_E10value_typeET4_T5_PSR_SS_PNS1_23onesweep_lookback_stateEbbT6_jjT7_P12ihipStream_tbENKUlT_T0_SG_SL_E_clIS7_S7_SB_SB_EEDaSZ_S10_SG_SL_EUlSZ_E_NS1_11comp_targetILNS1_3genE5ELNS1_11target_archE942ELNS1_3gpuE9ELNS1_3repE0EEENS1_47radix_sort_onesweep_sort_config_static_selectorELNS0_4arch9wavefront6targetE1EEEvSG_
; %bb.0:
	.section	.rodata,"a",@progbits
	.p2align	6, 0x0
	.amdhsa_kernel _ZN7rocprim17ROCPRIM_400000_NS6detail17trampoline_kernelINS0_14default_configENS1_35radix_sort_onesweep_config_selectorIilEEZZNS1_29radix_sort_onesweep_iterationIS3_Lb0EPiS7_N6thrust23THRUST_200600_302600_NS10device_ptrIlEESB_jNS0_19identity_decomposerENS1_16block_id_wrapperIjLb1EEEEE10hipError_tT1_PNSt15iterator_traitsISG_E10value_typeET2_T3_PNSH_ISM_E10value_typeET4_T5_PSR_SS_PNS1_23onesweep_lookback_stateEbbT6_jjT7_P12ihipStream_tbENKUlT_T0_SG_SL_E_clIS7_S7_SB_SB_EEDaSZ_S10_SG_SL_EUlSZ_E_NS1_11comp_targetILNS1_3genE5ELNS1_11target_archE942ELNS1_3gpuE9ELNS1_3repE0EEENS1_47radix_sort_onesweep_sort_config_static_selectorELNS0_4arch9wavefront6targetE1EEEvSG_
		.amdhsa_group_segment_fixed_size 0
		.amdhsa_private_segment_fixed_size 0
		.amdhsa_kernarg_size 88
		.amdhsa_user_sgpr_count 6
		.amdhsa_user_sgpr_private_segment_buffer 1
		.amdhsa_user_sgpr_dispatch_ptr 0
		.amdhsa_user_sgpr_queue_ptr 0
		.amdhsa_user_sgpr_kernarg_segment_ptr 1
		.amdhsa_user_sgpr_dispatch_id 0
		.amdhsa_user_sgpr_flat_scratch_init 0
		.amdhsa_user_sgpr_private_segment_size 0
		.amdhsa_uses_dynamic_stack 0
		.amdhsa_system_sgpr_private_segment_wavefront_offset 0
		.amdhsa_system_sgpr_workgroup_id_x 1
		.amdhsa_system_sgpr_workgroup_id_y 0
		.amdhsa_system_sgpr_workgroup_id_z 0
		.amdhsa_system_sgpr_workgroup_info 0
		.amdhsa_system_vgpr_workitem_id 0
		.amdhsa_next_free_vgpr 1
		.amdhsa_next_free_sgpr 0
		.amdhsa_reserve_vcc 0
		.amdhsa_reserve_flat_scratch 0
		.amdhsa_float_round_mode_32 0
		.amdhsa_float_round_mode_16_64 0
		.amdhsa_float_denorm_mode_32 3
		.amdhsa_float_denorm_mode_16_64 3
		.amdhsa_dx10_clamp 1
		.amdhsa_ieee_mode 1
		.amdhsa_fp16_overflow 0
		.amdhsa_exception_fp_ieee_invalid_op 0
		.amdhsa_exception_fp_denorm_src 0
		.amdhsa_exception_fp_ieee_div_zero 0
		.amdhsa_exception_fp_ieee_overflow 0
		.amdhsa_exception_fp_ieee_underflow 0
		.amdhsa_exception_fp_ieee_inexact 0
		.amdhsa_exception_int_div_zero 0
	.end_amdhsa_kernel
	.section	.text._ZN7rocprim17ROCPRIM_400000_NS6detail17trampoline_kernelINS0_14default_configENS1_35radix_sort_onesweep_config_selectorIilEEZZNS1_29radix_sort_onesweep_iterationIS3_Lb0EPiS7_N6thrust23THRUST_200600_302600_NS10device_ptrIlEESB_jNS0_19identity_decomposerENS1_16block_id_wrapperIjLb1EEEEE10hipError_tT1_PNSt15iterator_traitsISG_E10value_typeET2_T3_PNSH_ISM_E10value_typeET4_T5_PSR_SS_PNS1_23onesweep_lookback_stateEbbT6_jjT7_P12ihipStream_tbENKUlT_T0_SG_SL_E_clIS7_S7_SB_SB_EEDaSZ_S10_SG_SL_EUlSZ_E_NS1_11comp_targetILNS1_3genE5ELNS1_11target_archE942ELNS1_3gpuE9ELNS1_3repE0EEENS1_47radix_sort_onesweep_sort_config_static_selectorELNS0_4arch9wavefront6targetE1EEEvSG_,"axG",@progbits,_ZN7rocprim17ROCPRIM_400000_NS6detail17trampoline_kernelINS0_14default_configENS1_35radix_sort_onesweep_config_selectorIilEEZZNS1_29radix_sort_onesweep_iterationIS3_Lb0EPiS7_N6thrust23THRUST_200600_302600_NS10device_ptrIlEESB_jNS0_19identity_decomposerENS1_16block_id_wrapperIjLb1EEEEE10hipError_tT1_PNSt15iterator_traitsISG_E10value_typeET2_T3_PNSH_ISM_E10value_typeET4_T5_PSR_SS_PNS1_23onesweep_lookback_stateEbbT6_jjT7_P12ihipStream_tbENKUlT_T0_SG_SL_E_clIS7_S7_SB_SB_EEDaSZ_S10_SG_SL_EUlSZ_E_NS1_11comp_targetILNS1_3genE5ELNS1_11target_archE942ELNS1_3gpuE9ELNS1_3repE0EEENS1_47radix_sort_onesweep_sort_config_static_selectorELNS0_4arch9wavefront6targetE1EEEvSG_,comdat
.Lfunc_end868:
	.size	_ZN7rocprim17ROCPRIM_400000_NS6detail17trampoline_kernelINS0_14default_configENS1_35radix_sort_onesweep_config_selectorIilEEZZNS1_29radix_sort_onesweep_iterationIS3_Lb0EPiS7_N6thrust23THRUST_200600_302600_NS10device_ptrIlEESB_jNS0_19identity_decomposerENS1_16block_id_wrapperIjLb1EEEEE10hipError_tT1_PNSt15iterator_traitsISG_E10value_typeET2_T3_PNSH_ISM_E10value_typeET4_T5_PSR_SS_PNS1_23onesweep_lookback_stateEbbT6_jjT7_P12ihipStream_tbENKUlT_T0_SG_SL_E_clIS7_S7_SB_SB_EEDaSZ_S10_SG_SL_EUlSZ_E_NS1_11comp_targetILNS1_3genE5ELNS1_11target_archE942ELNS1_3gpuE9ELNS1_3repE0EEENS1_47radix_sort_onesweep_sort_config_static_selectorELNS0_4arch9wavefront6targetE1EEEvSG_, .Lfunc_end868-_ZN7rocprim17ROCPRIM_400000_NS6detail17trampoline_kernelINS0_14default_configENS1_35radix_sort_onesweep_config_selectorIilEEZZNS1_29radix_sort_onesweep_iterationIS3_Lb0EPiS7_N6thrust23THRUST_200600_302600_NS10device_ptrIlEESB_jNS0_19identity_decomposerENS1_16block_id_wrapperIjLb1EEEEE10hipError_tT1_PNSt15iterator_traitsISG_E10value_typeET2_T3_PNSH_ISM_E10value_typeET4_T5_PSR_SS_PNS1_23onesweep_lookback_stateEbbT6_jjT7_P12ihipStream_tbENKUlT_T0_SG_SL_E_clIS7_S7_SB_SB_EEDaSZ_S10_SG_SL_EUlSZ_E_NS1_11comp_targetILNS1_3genE5ELNS1_11target_archE942ELNS1_3gpuE9ELNS1_3repE0EEENS1_47radix_sort_onesweep_sort_config_static_selectorELNS0_4arch9wavefront6targetE1EEEvSG_
                                        ; -- End function
	.set _ZN7rocprim17ROCPRIM_400000_NS6detail17trampoline_kernelINS0_14default_configENS1_35radix_sort_onesweep_config_selectorIilEEZZNS1_29radix_sort_onesweep_iterationIS3_Lb0EPiS7_N6thrust23THRUST_200600_302600_NS10device_ptrIlEESB_jNS0_19identity_decomposerENS1_16block_id_wrapperIjLb1EEEEE10hipError_tT1_PNSt15iterator_traitsISG_E10value_typeET2_T3_PNSH_ISM_E10value_typeET4_T5_PSR_SS_PNS1_23onesweep_lookback_stateEbbT6_jjT7_P12ihipStream_tbENKUlT_T0_SG_SL_E_clIS7_S7_SB_SB_EEDaSZ_S10_SG_SL_EUlSZ_E_NS1_11comp_targetILNS1_3genE5ELNS1_11target_archE942ELNS1_3gpuE9ELNS1_3repE0EEENS1_47radix_sort_onesweep_sort_config_static_selectorELNS0_4arch9wavefront6targetE1EEEvSG_.num_vgpr, 0
	.set _ZN7rocprim17ROCPRIM_400000_NS6detail17trampoline_kernelINS0_14default_configENS1_35radix_sort_onesweep_config_selectorIilEEZZNS1_29radix_sort_onesweep_iterationIS3_Lb0EPiS7_N6thrust23THRUST_200600_302600_NS10device_ptrIlEESB_jNS0_19identity_decomposerENS1_16block_id_wrapperIjLb1EEEEE10hipError_tT1_PNSt15iterator_traitsISG_E10value_typeET2_T3_PNSH_ISM_E10value_typeET4_T5_PSR_SS_PNS1_23onesweep_lookback_stateEbbT6_jjT7_P12ihipStream_tbENKUlT_T0_SG_SL_E_clIS7_S7_SB_SB_EEDaSZ_S10_SG_SL_EUlSZ_E_NS1_11comp_targetILNS1_3genE5ELNS1_11target_archE942ELNS1_3gpuE9ELNS1_3repE0EEENS1_47radix_sort_onesweep_sort_config_static_selectorELNS0_4arch9wavefront6targetE1EEEvSG_.num_agpr, 0
	.set _ZN7rocprim17ROCPRIM_400000_NS6detail17trampoline_kernelINS0_14default_configENS1_35radix_sort_onesweep_config_selectorIilEEZZNS1_29radix_sort_onesweep_iterationIS3_Lb0EPiS7_N6thrust23THRUST_200600_302600_NS10device_ptrIlEESB_jNS0_19identity_decomposerENS1_16block_id_wrapperIjLb1EEEEE10hipError_tT1_PNSt15iterator_traitsISG_E10value_typeET2_T3_PNSH_ISM_E10value_typeET4_T5_PSR_SS_PNS1_23onesweep_lookback_stateEbbT6_jjT7_P12ihipStream_tbENKUlT_T0_SG_SL_E_clIS7_S7_SB_SB_EEDaSZ_S10_SG_SL_EUlSZ_E_NS1_11comp_targetILNS1_3genE5ELNS1_11target_archE942ELNS1_3gpuE9ELNS1_3repE0EEENS1_47radix_sort_onesweep_sort_config_static_selectorELNS0_4arch9wavefront6targetE1EEEvSG_.numbered_sgpr, 0
	.set _ZN7rocprim17ROCPRIM_400000_NS6detail17trampoline_kernelINS0_14default_configENS1_35radix_sort_onesweep_config_selectorIilEEZZNS1_29radix_sort_onesweep_iterationIS3_Lb0EPiS7_N6thrust23THRUST_200600_302600_NS10device_ptrIlEESB_jNS0_19identity_decomposerENS1_16block_id_wrapperIjLb1EEEEE10hipError_tT1_PNSt15iterator_traitsISG_E10value_typeET2_T3_PNSH_ISM_E10value_typeET4_T5_PSR_SS_PNS1_23onesweep_lookback_stateEbbT6_jjT7_P12ihipStream_tbENKUlT_T0_SG_SL_E_clIS7_S7_SB_SB_EEDaSZ_S10_SG_SL_EUlSZ_E_NS1_11comp_targetILNS1_3genE5ELNS1_11target_archE942ELNS1_3gpuE9ELNS1_3repE0EEENS1_47radix_sort_onesweep_sort_config_static_selectorELNS0_4arch9wavefront6targetE1EEEvSG_.num_named_barrier, 0
	.set _ZN7rocprim17ROCPRIM_400000_NS6detail17trampoline_kernelINS0_14default_configENS1_35radix_sort_onesweep_config_selectorIilEEZZNS1_29radix_sort_onesweep_iterationIS3_Lb0EPiS7_N6thrust23THRUST_200600_302600_NS10device_ptrIlEESB_jNS0_19identity_decomposerENS1_16block_id_wrapperIjLb1EEEEE10hipError_tT1_PNSt15iterator_traitsISG_E10value_typeET2_T3_PNSH_ISM_E10value_typeET4_T5_PSR_SS_PNS1_23onesweep_lookback_stateEbbT6_jjT7_P12ihipStream_tbENKUlT_T0_SG_SL_E_clIS7_S7_SB_SB_EEDaSZ_S10_SG_SL_EUlSZ_E_NS1_11comp_targetILNS1_3genE5ELNS1_11target_archE942ELNS1_3gpuE9ELNS1_3repE0EEENS1_47radix_sort_onesweep_sort_config_static_selectorELNS0_4arch9wavefront6targetE1EEEvSG_.private_seg_size, 0
	.set _ZN7rocprim17ROCPRIM_400000_NS6detail17trampoline_kernelINS0_14default_configENS1_35radix_sort_onesweep_config_selectorIilEEZZNS1_29radix_sort_onesweep_iterationIS3_Lb0EPiS7_N6thrust23THRUST_200600_302600_NS10device_ptrIlEESB_jNS0_19identity_decomposerENS1_16block_id_wrapperIjLb1EEEEE10hipError_tT1_PNSt15iterator_traitsISG_E10value_typeET2_T3_PNSH_ISM_E10value_typeET4_T5_PSR_SS_PNS1_23onesweep_lookback_stateEbbT6_jjT7_P12ihipStream_tbENKUlT_T0_SG_SL_E_clIS7_S7_SB_SB_EEDaSZ_S10_SG_SL_EUlSZ_E_NS1_11comp_targetILNS1_3genE5ELNS1_11target_archE942ELNS1_3gpuE9ELNS1_3repE0EEENS1_47radix_sort_onesweep_sort_config_static_selectorELNS0_4arch9wavefront6targetE1EEEvSG_.uses_vcc, 0
	.set _ZN7rocprim17ROCPRIM_400000_NS6detail17trampoline_kernelINS0_14default_configENS1_35radix_sort_onesweep_config_selectorIilEEZZNS1_29radix_sort_onesweep_iterationIS3_Lb0EPiS7_N6thrust23THRUST_200600_302600_NS10device_ptrIlEESB_jNS0_19identity_decomposerENS1_16block_id_wrapperIjLb1EEEEE10hipError_tT1_PNSt15iterator_traitsISG_E10value_typeET2_T3_PNSH_ISM_E10value_typeET4_T5_PSR_SS_PNS1_23onesweep_lookback_stateEbbT6_jjT7_P12ihipStream_tbENKUlT_T0_SG_SL_E_clIS7_S7_SB_SB_EEDaSZ_S10_SG_SL_EUlSZ_E_NS1_11comp_targetILNS1_3genE5ELNS1_11target_archE942ELNS1_3gpuE9ELNS1_3repE0EEENS1_47radix_sort_onesweep_sort_config_static_selectorELNS0_4arch9wavefront6targetE1EEEvSG_.uses_flat_scratch, 0
	.set _ZN7rocprim17ROCPRIM_400000_NS6detail17trampoline_kernelINS0_14default_configENS1_35radix_sort_onesweep_config_selectorIilEEZZNS1_29radix_sort_onesweep_iterationIS3_Lb0EPiS7_N6thrust23THRUST_200600_302600_NS10device_ptrIlEESB_jNS0_19identity_decomposerENS1_16block_id_wrapperIjLb1EEEEE10hipError_tT1_PNSt15iterator_traitsISG_E10value_typeET2_T3_PNSH_ISM_E10value_typeET4_T5_PSR_SS_PNS1_23onesweep_lookback_stateEbbT6_jjT7_P12ihipStream_tbENKUlT_T0_SG_SL_E_clIS7_S7_SB_SB_EEDaSZ_S10_SG_SL_EUlSZ_E_NS1_11comp_targetILNS1_3genE5ELNS1_11target_archE942ELNS1_3gpuE9ELNS1_3repE0EEENS1_47radix_sort_onesweep_sort_config_static_selectorELNS0_4arch9wavefront6targetE1EEEvSG_.has_dyn_sized_stack, 0
	.set _ZN7rocprim17ROCPRIM_400000_NS6detail17trampoline_kernelINS0_14default_configENS1_35radix_sort_onesweep_config_selectorIilEEZZNS1_29radix_sort_onesweep_iterationIS3_Lb0EPiS7_N6thrust23THRUST_200600_302600_NS10device_ptrIlEESB_jNS0_19identity_decomposerENS1_16block_id_wrapperIjLb1EEEEE10hipError_tT1_PNSt15iterator_traitsISG_E10value_typeET2_T3_PNSH_ISM_E10value_typeET4_T5_PSR_SS_PNS1_23onesweep_lookback_stateEbbT6_jjT7_P12ihipStream_tbENKUlT_T0_SG_SL_E_clIS7_S7_SB_SB_EEDaSZ_S10_SG_SL_EUlSZ_E_NS1_11comp_targetILNS1_3genE5ELNS1_11target_archE942ELNS1_3gpuE9ELNS1_3repE0EEENS1_47radix_sort_onesweep_sort_config_static_selectorELNS0_4arch9wavefront6targetE1EEEvSG_.has_recursion, 0
	.set _ZN7rocprim17ROCPRIM_400000_NS6detail17trampoline_kernelINS0_14default_configENS1_35radix_sort_onesweep_config_selectorIilEEZZNS1_29radix_sort_onesweep_iterationIS3_Lb0EPiS7_N6thrust23THRUST_200600_302600_NS10device_ptrIlEESB_jNS0_19identity_decomposerENS1_16block_id_wrapperIjLb1EEEEE10hipError_tT1_PNSt15iterator_traitsISG_E10value_typeET2_T3_PNSH_ISM_E10value_typeET4_T5_PSR_SS_PNS1_23onesweep_lookback_stateEbbT6_jjT7_P12ihipStream_tbENKUlT_T0_SG_SL_E_clIS7_S7_SB_SB_EEDaSZ_S10_SG_SL_EUlSZ_E_NS1_11comp_targetILNS1_3genE5ELNS1_11target_archE942ELNS1_3gpuE9ELNS1_3repE0EEENS1_47radix_sort_onesweep_sort_config_static_selectorELNS0_4arch9wavefront6targetE1EEEvSG_.has_indirect_call, 0
	.section	.AMDGPU.csdata,"",@progbits
; Kernel info:
; codeLenInByte = 0
; TotalNumSgprs: 4
; NumVgprs: 0
; ScratchSize: 0
; MemoryBound: 0
; FloatMode: 240
; IeeeMode: 1
; LDSByteSize: 0 bytes/workgroup (compile time only)
; SGPRBlocks: 0
; VGPRBlocks: 0
; NumSGPRsForWavesPerEU: 4
; NumVGPRsForWavesPerEU: 1
; Occupancy: 10
; WaveLimiterHint : 0
; COMPUTE_PGM_RSRC2:SCRATCH_EN: 0
; COMPUTE_PGM_RSRC2:USER_SGPR: 6
; COMPUTE_PGM_RSRC2:TRAP_HANDLER: 0
; COMPUTE_PGM_RSRC2:TGID_X_EN: 1
; COMPUTE_PGM_RSRC2:TGID_Y_EN: 0
; COMPUTE_PGM_RSRC2:TGID_Z_EN: 0
; COMPUTE_PGM_RSRC2:TIDIG_COMP_CNT: 0
	.section	.text._ZN7rocprim17ROCPRIM_400000_NS6detail17trampoline_kernelINS0_14default_configENS1_35radix_sort_onesweep_config_selectorIilEEZZNS1_29radix_sort_onesweep_iterationIS3_Lb0EPiS7_N6thrust23THRUST_200600_302600_NS10device_ptrIlEESB_jNS0_19identity_decomposerENS1_16block_id_wrapperIjLb1EEEEE10hipError_tT1_PNSt15iterator_traitsISG_E10value_typeET2_T3_PNSH_ISM_E10value_typeET4_T5_PSR_SS_PNS1_23onesweep_lookback_stateEbbT6_jjT7_P12ihipStream_tbENKUlT_T0_SG_SL_E_clIS7_S7_SB_SB_EEDaSZ_S10_SG_SL_EUlSZ_E_NS1_11comp_targetILNS1_3genE2ELNS1_11target_archE906ELNS1_3gpuE6ELNS1_3repE0EEENS1_47radix_sort_onesweep_sort_config_static_selectorELNS0_4arch9wavefront6targetE1EEEvSG_,"axG",@progbits,_ZN7rocprim17ROCPRIM_400000_NS6detail17trampoline_kernelINS0_14default_configENS1_35radix_sort_onesweep_config_selectorIilEEZZNS1_29radix_sort_onesweep_iterationIS3_Lb0EPiS7_N6thrust23THRUST_200600_302600_NS10device_ptrIlEESB_jNS0_19identity_decomposerENS1_16block_id_wrapperIjLb1EEEEE10hipError_tT1_PNSt15iterator_traitsISG_E10value_typeET2_T3_PNSH_ISM_E10value_typeET4_T5_PSR_SS_PNS1_23onesweep_lookback_stateEbbT6_jjT7_P12ihipStream_tbENKUlT_T0_SG_SL_E_clIS7_S7_SB_SB_EEDaSZ_S10_SG_SL_EUlSZ_E_NS1_11comp_targetILNS1_3genE2ELNS1_11target_archE906ELNS1_3gpuE6ELNS1_3repE0EEENS1_47radix_sort_onesweep_sort_config_static_selectorELNS0_4arch9wavefront6targetE1EEEvSG_,comdat
	.protected	_ZN7rocprim17ROCPRIM_400000_NS6detail17trampoline_kernelINS0_14default_configENS1_35radix_sort_onesweep_config_selectorIilEEZZNS1_29radix_sort_onesweep_iterationIS3_Lb0EPiS7_N6thrust23THRUST_200600_302600_NS10device_ptrIlEESB_jNS0_19identity_decomposerENS1_16block_id_wrapperIjLb1EEEEE10hipError_tT1_PNSt15iterator_traitsISG_E10value_typeET2_T3_PNSH_ISM_E10value_typeET4_T5_PSR_SS_PNS1_23onesweep_lookback_stateEbbT6_jjT7_P12ihipStream_tbENKUlT_T0_SG_SL_E_clIS7_S7_SB_SB_EEDaSZ_S10_SG_SL_EUlSZ_E_NS1_11comp_targetILNS1_3genE2ELNS1_11target_archE906ELNS1_3gpuE6ELNS1_3repE0EEENS1_47radix_sort_onesweep_sort_config_static_selectorELNS0_4arch9wavefront6targetE1EEEvSG_ ; -- Begin function _ZN7rocprim17ROCPRIM_400000_NS6detail17trampoline_kernelINS0_14default_configENS1_35radix_sort_onesweep_config_selectorIilEEZZNS1_29radix_sort_onesweep_iterationIS3_Lb0EPiS7_N6thrust23THRUST_200600_302600_NS10device_ptrIlEESB_jNS0_19identity_decomposerENS1_16block_id_wrapperIjLb1EEEEE10hipError_tT1_PNSt15iterator_traitsISG_E10value_typeET2_T3_PNSH_ISM_E10value_typeET4_T5_PSR_SS_PNS1_23onesweep_lookback_stateEbbT6_jjT7_P12ihipStream_tbENKUlT_T0_SG_SL_E_clIS7_S7_SB_SB_EEDaSZ_S10_SG_SL_EUlSZ_E_NS1_11comp_targetILNS1_3genE2ELNS1_11target_archE906ELNS1_3gpuE6ELNS1_3repE0EEENS1_47radix_sort_onesweep_sort_config_static_selectorELNS0_4arch9wavefront6targetE1EEEvSG_
	.globl	_ZN7rocprim17ROCPRIM_400000_NS6detail17trampoline_kernelINS0_14default_configENS1_35radix_sort_onesweep_config_selectorIilEEZZNS1_29radix_sort_onesweep_iterationIS3_Lb0EPiS7_N6thrust23THRUST_200600_302600_NS10device_ptrIlEESB_jNS0_19identity_decomposerENS1_16block_id_wrapperIjLb1EEEEE10hipError_tT1_PNSt15iterator_traitsISG_E10value_typeET2_T3_PNSH_ISM_E10value_typeET4_T5_PSR_SS_PNS1_23onesweep_lookback_stateEbbT6_jjT7_P12ihipStream_tbENKUlT_T0_SG_SL_E_clIS7_S7_SB_SB_EEDaSZ_S10_SG_SL_EUlSZ_E_NS1_11comp_targetILNS1_3genE2ELNS1_11target_archE906ELNS1_3gpuE6ELNS1_3repE0EEENS1_47radix_sort_onesweep_sort_config_static_selectorELNS0_4arch9wavefront6targetE1EEEvSG_
	.p2align	8
	.type	_ZN7rocprim17ROCPRIM_400000_NS6detail17trampoline_kernelINS0_14default_configENS1_35radix_sort_onesweep_config_selectorIilEEZZNS1_29radix_sort_onesweep_iterationIS3_Lb0EPiS7_N6thrust23THRUST_200600_302600_NS10device_ptrIlEESB_jNS0_19identity_decomposerENS1_16block_id_wrapperIjLb1EEEEE10hipError_tT1_PNSt15iterator_traitsISG_E10value_typeET2_T3_PNSH_ISM_E10value_typeET4_T5_PSR_SS_PNS1_23onesweep_lookback_stateEbbT6_jjT7_P12ihipStream_tbENKUlT_T0_SG_SL_E_clIS7_S7_SB_SB_EEDaSZ_S10_SG_SL_EUlSZ_E_NS1_11comp_targetILNS1_3genE2ELNS1_11target_archE906ELNS1_3gpuE6ELNS1_3repE0EEENS1_47radix_sort_onesweep_sort_config_static_selectorELNS0_4arch9wavefront6targetE1EEEvSG_,@function
_ZN7rocprim17ROCPRIM_400000_NS6detail17trampoline_kernelINS0_14default_configENS1_35radix_sort_onesweep_config_selectorIilEEZZNS1_29radix_sort_onesweep_iterationIS3_Lb0EPiS7_N6thrust23THRUST_200600_302600_NS10device_ptrIlEESB_jNS0_19identity_decomposerENS1_16block_id_wrapperIjLb1EEEEE10hipError_tT1_PNSt15iterator_traitsISG_E10value_typeET2_T3_PNSH_ISM_E10value_typeET4_T5_PSR_SS_PNS1_23onesweep_lookback_stateEbbT6_jjT7_P12ihipStream_tbENKUlT_T0_SG_SL_E_clIS7_S7_SB_SB_EEDaSZ_S10_SG_SL_EUlSZ_E_NS1_11comp_targetILNS1_3genE2ELNS1_11target_archE906ELNS1_3gpuE6ELNS1_3repE0EEENS1_47radix_sort_onesweep_sort_config_static_selectorELNS0_4arch9wavefront6targetE1EEEvSG_: ; @_ZN7rocprim17ROCPRIM_400000_NS6detail17trampoline_kernelINS0_14default_configENS1_35radix_sort_onesweep_config_selectorIilEEZZNS1_29radix_sort_onesweep_iterationIS3_Lb0EPiS7_N6thrust23THRUST_200600_302600_NS10device_ptrIlEESB_jNS0_19identity_decomposerENS1_16block_id_wrapperIjLb1EEEEE10hipError_tT1_PNSt15iterator_traitsISG_E10value_typeET2_T3_PNSH_ISM_E10value_typeET4_T5_PSR_SS_PNS1_23onesweep_lookback_stateEbbT6_jjT7_P12ihipStream_tbENKUlT_T0_SG_SL_E_clIS7_S7_SB_SB_EEDaSZ_S10_SG_SL_EUlSZ_E_NS1_11comp_targetILNS1_3genE2ELNS1_11target_archE906ELNS1_3gpuE6ELNS1_3repE0EEENS1_47radix_sort_onesweep_sort_config_static_selectorELNS0_4arch9wavefront6targetE1EEEvSG_
; %bb.0:
	s_load_dwordx4 s[44:47], s[4:5], 0x28
	s_load_dwordx2 s[30:31], s[4:5], 0x38
	s_load_dwordx4 s[48:51], s[4:5], 0x44
	s_add_u32 s0, s0, s7
	s_addc_u32 s1, s1, 0
	v_cmp_eq_u32_e64 s[26:27], 0, v0
	s_and_saveexec_b64 s[8:9], s[26:27]
	s_cbranch_execz .LBB869_4
; %bb.1:
	s_mov_b64 s[12:13], exec
	v_mbcnt_lo_u32_b32 v3, s12, 0
	v_mbcnt_hi_u32_b32 v3, s13, v3
	v_cmp_eq_u32_e32 vcc, 0, v3
                                        ; implicit-def: $vgpr4
	s_and_saveexec_b64 s[10:11], vcc
	s_cbranch_execz .LBB869_3
; %bb.2:
	s_load_dwordx2 s[14:15], s[4:5], 0x50
	s_bcnt1_i32_b64 s7, s[12:13]
	v_mov_b32_e32 v4, 0
	v_mov_b32_e32 v5, s7
	s_waitcnt lgkmcnt(0)
	global_atomic_add v4, v4, v5, s[14:15] glc
.LBB869_3:
	s_or_b64 exec, exec, s[10:11]
	s_waitcnt vmcnt(0)
	v_readfirstlane_b32 s7, v4
	v_add_u32_e32 v3, s7, v3
	v_mov_b32_e32 v4, 0
	ds_write_b32 v4, v3 offset:10272
.LBB869_4:
	s_or_b64 exec, exec, s[8:9]
	v_mov_b32_e32 v3, 0
	s_load_dwordx8 s[36:43], s[4:5], 0x0
	s_load_dword s7, s[4:5], 0x20
	s_waitcnt lgkmcnt(0)
	s_barrier
	ds_read_b32 v3, v3 offset:10272
	s_mov_b64 s[8:9], -1
	v_mbcnt_lo_u32_b32 v22, -1, 0
	v_lshlrev_b32_e32 v21, 3, v0
	s_waitcnt lgkmcnt(0)
	v_cmp_le_u32_e32 vcc, s50, v3
	v_readfirstlane_b32 s33, v3
	s_barrier
	s_cbranch_vccz .LBB869_92
; %bb.5:
	s_lshl_b32 s8, s50, 12
	s_lshl_b32 s34, s33, 12
	s_mov_b32 s35, 0
	s_sub_i32 s7, s7, s8
	s_lshl_b64 s[8:9], s[34:35], 2
	v_mbcnt_hi_u32_b32 v17, -1, v22
	s_add_u32 s8, s36, s8
	v_and_b32_e32 v15, 63, v17
	s_addc_u32 s9, s37, s9
	v_lshlrev_b32_e32 v3, 2, v15
	v_and_b32_e32 v14, 0xe00, v21
	v_mov_b32_e32 v4, s9
	v_add_co_u32_e32 v3, vcc, s8, v3
	v_addc_co_u32_e32 v4, vcc, 0, v4, vcc
	v_lshlrev_b32_e32 v5, 2, v14
	v_add_co_u32_e32 v11, vcc, v3, v5
	v_or_b32_e32 v13, v15, v14
	v_bfrev_b32_e32 v3, -2
	v_addc_co_u32_e32 v12, vcc, 0, v4, vcc
	v_cmp_gt_u32_e64 s[8:9], s7, v13
	v_mov_b32_e32 v4, v3
	v_mov_b32_e32 v5, v3
	;; [unrolled: 1-line block ×7, first 2 shown]
	s_and_saveexec_b64 s[10:11], s[8:9]
	s_cbranch_execz .LBB869_7
; %bb.6:
	global_load_dword v23, v[11:12], off
	v_mov_b32_e32 v24, v3
	v_mov_b32_e32 v25, v3
	;; [unrolled: 1-line block ×7, first 2 shown]
	s_waitcnt vmcnt(0)
	v_mov_b32_e32 v3, v23
	v_mov_b32_e32 v4, v24
	;; [unrolled: 1-line block ×8, first 2 shown]
.LBB869_7:
	s_or_b64 exec, exec, s[10:11]
	v_or_b32_e32 v16, 64, v13
	v_cmp_gt_u32_e64 s[10:11], s7, v16
	s_and_saveexec_b64 s[12:13], s[10:11]
	s_cbranch_execz .LBB869_9
; %bb.8:
	global_load_dword v4, v[11:12], off offset:256
.LBB869_9:
	s_or_b64 exec, exec, s[12:13]
	v_or_b32_e32 v16, 0x80, v13
	v_cmp_gt_u32_e64 s[12:13], s7, v16
	s_and_saveexec_b64 s[14:15], s[12:13]
	s_cbranch_execz .LBB869_11
; %bb.10:
	global_load_dword v5, v[11:12], off offset:512
.LBB869_11:
	;; [unrolled: 8-line block ×7, first 2 shown]
	s_or_b64 exec, exec, s[24:25]
	s_load_dword s24, s[4:5], 0x64
	s_load_dword s56, s[4:5], 0x58
	s_add_u32 s25, s4, 0x58
	s_addc_u32 s28, s5, 0
	v_mov_b32_e32 v11, 0
	s_waitcnt lgkmcnt(0)
	s_lshr_b32 s29, s24, 16
	s_cmp_lt_u32 s6, s56
	s_cselect_b32 s24, 12, 18
	s_add_u32 s24, s25, s24
	s_addc_u32 s25, s28, 0
	global_load_ushort v13, v11, s[24:25]
	v_xor_b32_e32 v16, 0x80000000, v3
	s_lshl_b32 s24, -1, s49
	v_lshrrev_b32_e32 v3, s48, v16
	s_not_b32 s57, s24
	v_and_b32_e32 v3, s57, v3
	v_and_b32_e32 v20, 1, v3
	v_add_co_u32_e32 v24, vcc, -1, v20
	v_lshlrev_b32_e32 v12, 30, v3
	v_addc_co_u32_e64 v25, s[24:25], 0, -1, vcc
	v_cmp_ne_u32_e32 vcc, 0, v20
	v_cmp_gt_i64_e64 s[24:25], 0, v[11:12]
	v_not_b32_e32 v20, v12
	v_lshlrev_b32_e32 v12, 29, v3
	v_xor_b32_e32 v25, vcc_hi, v25
	v_xor_b32_e32 v24, vcc_lo, v24
	v_ashrrev_i32_e32 v20, 31, v20
	v_cmp_gt_i64_e32 vcc, 0, v[11:12]
	v_not_b32_e32 v26, v12
	v_lshlrev_b32_e32 v12, 28, v3
	v_and_b32_e32 v25, exec_hi, v25
	v_and_b32_e32 v24, exec_lo, v24
	v_xor_b32_e32 v27, s25, v20
	v_xor_b32_e32 v20, s24, v20
	v_ashrrev_i32_e32 v26, 31, v26
	v_cmp_gt_i64_e64 s[24:25], 0, v[11:12]
	v_not_b32_e32 v28, v12
	v_lshlrev_b32_e32 v12, 27, v3
	v_and_b32_e32 v25, v25, v27
	v_and_b32_e32 v20, v24, v20
	v_xor_b32_e32 v24, vcc_hi, v26
	v_xor_b32_e32 v26, vcc_lo, v26
	v_ashrrev_i32_e32 v27, 31, v28
	v_cmp_gt_i64_e32 vcc, 0, v[11:12]
	v_not_b32_e32 v28, v12
	v_lshlrev_b32_e32 v12, 26, v3
	v_and_b32_e32 v24, v25, v24
	v_and_b32_e32 v20, v20, v26
	v_xor_b32_e32 v25, s25, v27
	v_xor_b32_e32 v26, s24, v27
	v_ashrrev_i32_e32 v27, 31, v28
	v_cmp_gt_i64_e64 s[24:25], 0, v[11:12]
	v_not_b32_e32 v28, v12
	v_lshlrev_b32_e32 v12, 25, v3
	v_and_b32_e32 v24, v24, v25
	v_and_b32_e32 v20, v20, v26
	v_xor_b32_e32 v25, vcc_hi, v27
	v_xor_b32_e32 v26, vcc_lo, v27
	v_ashrrev_i32_e32 v27, 31, v28
	v_cmp_gt_i64_e32 vcc, 0, v[11:12]
	v_not_b32_e32 v28, v12
	v_mul_lo_u32 v23, v3, 36
	v_lshlrev_b32_e32 v12, 24, v3
	v_and_b32_e32 v3, v24, v25
	v_and_b32_e32 v20, v20, v26
	v_xor_b32_e32 v24, s25, v27
	v_xor_b32_e32 v25, s24, v27
	v_ashrrev_i32_e32 v26, 31, v28
	v_mad_u32_u24 v19, v2, s29, v1
	v_and_b32_e32 v3, v3, v24
	v_and_b32_e32 v20, v20, v25
	v_xor_b32_e32 v24, vcc_hi, v26
	v_xor_b32_e32 v25, vcc_lo, v26
	v_and_b32_e32 v3, v3, v24
	v_and_b32_e32 v24, v20, v25
	v_cmp_gt_i64_e64 s[24:25], 0, v[11:12]
	v_not_b32_e32 v12, v12
	v_ashrrev_i32_e32 v12, 31, v12
	v_xor_b32_e32 v25, s25, v12
	v_xor_b32_e32 v12, s24, v12
	v_and_b32_e32 v12, v24, v12
	v_mul_u32_u24_e32 v18, 20, v0
	ds_write2_b32 v18, v11, v11 offset0:8 offset1:9
	ds_write2_b32 v18, v11, v11 offset0:10 offset1:11
	ds_write_b32 v18, v11 offset:48
	s_waitcnt vmcnt(0) lgkmcnt(0)
	s_barrier
	; wave barrier
	v_mad_u64_u32 v[19:20], s[28:29], v19, v13, v[0:1]
	v_and_b32_e32 v13, v3, v25
	v_cmp_ne_u64_e32 vcc, 0, v[12:13]
	v_lshrrev_b32_e32 v3, 4, v19
	v_and_b32_e32 v39, 0xffffffc, v3
	v_mbcnt_lo_u32_b32 v3, v12, 0
	v_mbcnt_hi_u32_b32 v19, v13, v3
	v_cmp_eq_u32_e64 s[24:25], 0, v19
	s_and_b64 s[28:29], vcc, s[24:25]
	v_add_u32_e32 v32, v39, v23
	s_and_saveexec_b64 s[24:25], s[28:29]
; %bb.22:
	v_bcnt_u32_b32 v3, v12, 0
	v_bcnt_u32_b32 v3, v13, v3
	ds_write_b32 v32, v3 offset:32
; %bb.23:
	s_or_b64 exec, exec, s[24:25]
	v_xor_b32_e32 v13, 0x80000000, v4
	v_lshrrev_b32_e32 v3, s48, v13
	v_and_b32_e32 v3, s57, v3
	v_mul_lo_u32 v4, v3, 36
	v_and_b32_e32 v12, 1, v3
	; wave barrier
	v_add_u32_e32 v33, v39, v4
	v_add_co_u32_e32 v4, vcc, -1, v12
	v_addc_co_u32_e64 v20, s[24:25], 0, -1, vcc
	v_cmp_ne_u32_e32 vcc, 0, v12
	v_xor_b32_e32 v12, vcc_hi, v20
	v_and_b32_e32 v20, exec_hi, v12
	v_lshlrev_b32_e32 v12, 30, v3
	v_xor_b32_e32 v4, vcc_lo, v4
	v_cmp_gt_i64_e32 vcc, 0, v[11:12]
	v_not_b32_e32 v12, v12
	v_ashrrev_i32_e32 v12, 31, v12
	v_and_b32_e32 v4, exec_lo, v4
	v_xor_b32_e32 v24, vcc_hi, v12
	v_xor_b32_e32 v12, vcc_lo, v12
	v_and_b32_e32 v4, v4, v12
	v_lshlrev_b32_e32 v12, 29, v3
	v_cmp_gt_i64_e32 vcc, 0, v[11:12]
	v_not_b32_e32 v12, v12
	v_ashrrev_i32_e32 v12, 31, v12
	v_and_b32_e32 v20, v20, v24
	v_xor_b32_e32 v24, vcc_hi, v12
	v_xor_b32_e32 v12, vcc_lo, v12
	v_and_b32_e32 v4, v4, v12
	v_lshlrev_b32_e32 v12, 28, v3
	v_cmp_gt_i64_e32 vcc, 0, v[11:12]
	v_not_b32_e32 v12, v12
	v_ashrrev_i32_e32 v12, 31, v12
	v_and_b32_e32 v20, v20, v24
	;; [unrolled: 8-line block ×5, first 2 shown]
	v_xor_b32_e32 v24, vcc_hi, v12
	v_xor_b32_e32 v12, vcc_lo, v12
	v_and_b32_e32 v20, v20, v24
	v_and_b32_e32 v24, v4, v12
	v_lshlrev_b32_e32 v12, 24, v3
	v_cmp_gt_i64_e32 vcc, 0, v[11:12]
	v_not_b32_e32 v3, v12
	v_ashrrev_i32_e32 v3, 31, v3
	v_xor_b32_e32 v4, vcc_hi, v3
	v_xor_b32_e32 v3, vcc_lo, v3
	ds_read_b32 v23, v33 offset:32
	v_and_b32_e32 v3, v24, v3
	v_and_b32_e32 v4, v20, v4
	v_mbcnt_lo_u32_b32 v11, v3, 0
	v_mbcnt_hi_u32_b32 v24, v4, v11
	v_cmp_ne_u64_e32 vcc, 0, v[3:4]
	v_cmp_eq_u32_e64 s[24:25], 0, v24
	s_and_b64 s[28:29], vcc, s[24:25]
	; wave barrier
	s_and_saveexec_b64 s[24:25], s[28:29]
	s_cbranch_execz .LBB869_25
; %bb.24:
	v_bcnt_u32_b32 v3, v3, 0
	v_bcnt_u32_b32 v3, v4, v3
	s_waitcnt lgkmcnt(0)
	v_add_u32_e32 v3, v23, v3
	ds_write_b32 v33, v3 offset:32
.LBB869_25:
	s_or_b64 exec, exec, s[24:25]
	v_xor_b32_e32 v11, 0x80000000, v5
	v_lshrrev_b32_e32 v3, s48, v11
	v_and_b32_e32 v5, s57, v3
	v_mul_lo_u32 v3, v5, 36
	v_and_b32_e32 v4, 1, v5
	v_add_co_u32_e32 v12, vcc, -1, v4
	v_addc_co_u32_e64 v20, s[24:25], 0, -1, vcc
	v_cmp_ne_u32_e32 vcc, 0, v4
	v_xor_b32_e32 v4, vcc_hi, v20
	v_add_u32_e32 v37, v39, v3
	v_mov_b32_e32 v3, 0
	v_and_b32_e32 v20, exec_hi, v4
	v_lshlrev_b32_e32 v4, 30, v5
	v_xor_b32_e32 v12, vcc_lo, v12
	v_cmp_gt_i64_e32 vcc, 0, v[3:4]
	v_not_b32_e32 v4, v4
	v_ashrrev_i32_e32 v4, 31, v4
	v_and_b32_e32 v12, exec_lo, v12
	v_xor_b32_e32 v26, vcc_hi, v4
	v_xor_b32_e32 v4, vcc_lo, v4
	v_and_b32_e32 v12, v12, v4
	v_lshlrev_b32_e32 v4, 29, v5
	v_cmp_gt_i64_e32 vcc, 0, v[3:4]
	v_not_b32_e32 v4, v4
	v_ashrrev_i32_e32 v4, 31, v4
	v_and_b32_e32 v20, v20, v26
	v_xor_b32_e32 v26, vcc_hi, v4
	v_xor_b32_e32 v4, vcc_lo, v4
	v_and_b32_e32 v12, v12, v4
	v_lshlrev_b32_e32 v4, 28, v5
	v_cmp_gt_i64_e32 vcc, 0, v[3:4]
	v_not_b32_e32 v4, v4
	v_ashrrev_i32_e32 v4, 31, v4
	v_and_b32_e32 v20, v20, v26
	;; [unrolled: 8-line block ×5, first 2 shown]
	v_xor_b32_e32 v26, vcc_hi, v4
	v_xor_b32_e32 v4, vcc_lo, v4
	v_and_b32_e32 v12, v12, v4
	v_lshlrev_b32_e32 v4, 24, v5
	v_cmp_gt_i64_e32 vcc, 0, v[3:4]
	v_not_b32_e32 v4, v4
	v_ashrrev_i32_e32 v4, 31, v4
	v_xor_b32_e32 v5, vcc_hi, v4
	v_xor_b32_e32 v4, vcc_lo, v4
	; wave barrier
	ds_read_b32 v25, v37 offset:32
	v_and_b32_e32 v20, v20, v26
	v_and_b32_e32 v4, v12, v4
	;; [unrolled: 1-line block ×3, first 2 shown]
	v_mbcnt_lo_u32_b32 v12, v4, 0
	v_mbcnt_hi_u32_b32 v26, v5, v12
	v_cmp_ne_u64_e32 vcc, 0, v[4:5]
	v_cmp_eq_u32_e64 s[24:25], 0, v26
	s_and_b64 s[28:29], vcc, s[24:25]
	; wave barrier
	s_and_saveexec_b64 s[24:25], s[28:29]
	s_cbranch_execz .LBB869_27
; %bb.26:
	v_bcnt_u32_b32 v4, v4, 0
	v_bcnt_u32_b32 v4, v5, v4
	s_waitcnt lgkmcnt(0)
	v_add_u32_e32 v4, v25, v4
	ds_write_b32 v37, v4 offset:32
.LBB869_27:
	s_or_b64 exec, exec, s[24:25]
	v_xor_b32_e32 v12, 0x80000000, v6
	v_lshrrev_b32_e32 v4, s48, v12
	v_and_b32_e32 v5, s57, v4
	v_mul_lo_u32 v4, v5, 36
	v_and_b32_e32 v6, 1, v5
	; wave barrier
	v_add_u32_e32 v40, v39, v4
	v_add_co_u32_e32 v4, vcc, -1, v6
	v_addc_co_u32_e64 v20, s[24:25], 0, -1, vcc
	v_cmp_ne_u32_e32 vcc, 0, v6
	v_xor_b32_e32 v4, vcc_lo, v4
	v_xor_b32_e32 v6, vcc_hi, v20
	v_and_b32_e32 v20, exec_lo, v4
	v_lshlrev_b32_e32 v4, 30, v5
	v_cmp_gt_i64_e32 vcc, 0, v[3:4]
	v_not_b32_e32 v4, v4
	v_ashrrev_i32_e32 v4, 31, v4
	v_xor_b32_e32 v28, vcc_hi, v4
	v_xor_b32_e32 v4, vcc_lo, v4
	v_and_b32_e32 v20, v20, v4
	v_lshlrev_b32_e32 v4, 29, v5
	v_cmp_gt_i64_e32 vcc, 0, v[3:4]
	v_not_b32_e32 v4, v4
	v_and_b32_e32 v6, exec_hi, v6
	v_ashrrev_i32_e32 v4, 31, v4
	v_and_b32_e32 v6, v6, v28
	v_xor_b32_e32 v28, vcc_hi, v4
	v_xor_b32_e32 v4, vcc_lo, v4
	v_and_b32_e32 v20, v20, v4
	v_lshlrev_b32_e32 v4, 28, v5
	v_cmp_gt_i64_e32 vcc, 0, v[3:4]
	v_not_b32_e32 v4, v4
	v_ashrrev_i32_e32 v4, 31, v4
	v_and_b32_e32 v6, v6, v28
	v_xor_b32_e32 v28, vcc_hi, v4
	v_xor_b32_e32 v4, vcc_lo, v4
	v_and_b32_e32 v20, v20, v4
	v_lshlrev_b32_e32 v4, 27, v5
	v_cmp_gt_i64_e32 vcc, 0, v[3:4]
	v_not_b32_e32 v4, v4
	;; [unrolled: 8-line block ×5, first 2 shown]
	v_ashrrev_i32_e32 v3, 31, v3
	v_xor_b32_e32 v4, vcc_hi, v3
	v_xor_b32_e32 v3, vcc_lo, v3
	ds_read_b32 v27, v40 offset:32
	v_and_b32_e32 v6, v6, v28
	v_and_b32_e32 v3, v20, v3
	;; [unrolled: 1-line block ×3, first 2 shown]
	v_mbcnt_lo_u32_b32 v5, v3, 0
	v_mbcnt_hi_u32_b32 v28, v4, v5
	v_cmp_ne_u64_e32 vcc, 0, v[3:4]
	v_cmp_eq_u32_e64 s[24:25], 0, v28
	s_and_b64 s[28:29], vcc, s[24:25]
	; wave barrier
	s_and_saveexec_b64 s[24:25], s[28:29]
	s_cbranch_execz .LBB869_29
; %bb.28:
	v_bcnt_u32_b32 v3, v3, 0
	v_bcnt_u32_b32 v3, v4, v3
	s_waitcnt lgkmcnt(0)
	v_add_u32_e32 v3, v27, v3
	ds_write_b32 v40, v3 offset:32
.LBB869_29:
	s_or_b64 exec, exec, s[24:25]
	v_xor_b32_e32 v20, 0x80000000, v7
	v_lshrrev_b32_e32 v3, s48, v20
	v_and_b32_e32 v5, s57, v3
	v_mul_lo_u32 v3, v5, 36
	v_and_b32_e32 v4, 1, v5
	v_add_co_u32_e32 v6, vcc, -1, v4
	v_addc_co_u32_e64 v30, s[24:25], 0, -1, vcc
	v_cmp_ne_u32_e32 vcc, 0, v4
	v_xor_b32_e32 v4, vcc_hi, v30
	v_add_u32_e32 v7, v39, v3
	v_mov_b32_e32 v3, 0
	v_and_b32_e32 v30, exec_hi, v4
	v_lshlrev_b32_e32 v4, 30, v5
	v_xor_b32_e32 v6, vcc_lo, v6
	v_cmp_gt_i64_e32 vcc, 0, v[3:4]
	v_not_b32_e32 v4, v4
	v_ashrrev_i32_e32 v4, 31, v4
	v_and_b32_e32 v6, exec_lo, v6
	v_xor_b32_e32 v31, vcc_hi, v4
	v_xor_b32_e32 v4, vcc_lo, v4
	v_and_b32_e32 v6, v6, v4
	v_lshlrev_b32_e32 v4, 29, v5
	v_cmp_gt_i64_e32 vcc, 0, v[3:4]
	v_not_b32_e32 v4, v4
	v_ashrrev_i32_e32 v4, 31, v4
	v_and_b32_e32 v30, v30, v31
	v_xor_b32_e32 v31, vcc_hi, v4
	v_xor_b32_e32 v4, vcc_lo, v4
	v_and_b32_e32 v6, v6, v4
	v_lshlrev_b32_e32 v4, 28, v5
	v_cmp_gt_i64_e32 vcc, 0, v[3:4]
	v_not_b32_e32 v4, v4
	v_ashrrev_i32_e32 v4, 31, v4
	v_and_b32_e32 v30, v30, v31
	;; [unrolled: 8-line block ×5, first 2 shown]
	v_xor_b32_e32 v31, vcc_hi, v4
	v_xor_b32_e32 v4, vcc_lo, v4
	v_and_b32_e32 v6, v6, v4
	v_lshlrev_b32_e32 v4, 24, v5
	v_cmp_gt_i64_e32 vcc, 0, v[3:4]
	v_not_b32_e32 v4, v4
	v_ashrrev_i32_e32 v4, 31, v4
	v_xor_b32_e32 v5, vcc_hi, v4
	v_xor_b32_e32 v4, vcc_lo, v4
	; wave barrier
	ds_read_b32 v29, v7 offset:32
	v_and_b32_e32 v30, v30, v31
	v_and_b32_e32 v4, v6, v4
	;; [unrolled: 1-line block ×3, first 2 shown]
	v_mbcnt_lo_u32_b32 v6, v4, 0
	v_mbcnt_hi_u32_b32 v30, v5, v6
	v_cmp_ne_u64_e32 vcc, 0, v[4:5]
	v_cmp_eq_u32_e64 s[24:25], 0, v30
	s_and_b64 s[28:29], vcc, s[24:25]
	; wave barrier
	s_and_saveexec_b64 s[24:25], s[28:29]
	s_cbranch_execz .LBB869_31
; %bb.30:
	v_bcnt_u32_b32 v4, v4, 0
	v_bcnt_u32_b32 v4, v5, v4
	s_waitcnt lgkmcnt(0)
	v_add_u32_e32 v4, v29, v4
	ds_write_b32 v7, v4 offset:32
.LBB869_31:
	s_or_b64 exec, exec, s[24:25]
	v_xor_b32_e32 v35, 0x80000000, v8
	v_lshrrev_b32_e32 v4, s48, v35
	v_and_b32_e32 v5, s57, v4
	v_mul_lo_u32 v4, v5, 36
	v_and_b32_e32 v6, 1, v5
	; wave barrier
	v_add_u32_e32 v8, v39, v4
	v_add_co_u32_e32 v4, vcc, -1, v6
	v_addc_co_u32_e64 v34, s[24:25], 0, -1, vcc
	v_cmp_ne_u32_e32 vcc, 0, v6
	v_xor_b32_e32 v4, vcc_lo, v4
	v_xor_b32_e32 v6, vcc_hi, v34
	v_and_b32_e32 v34, exec_lo, v4
	v_lshlrev_b32_e32 v4, 30, v5
	v_cmp_gt_i64_e32 vcc, 0, v[3:4]
	v_not_b32_e32 v4, v4
	v_ashrrev_i32_e32 v4, 31, v4
	v_xor_b32_e32 v36, vcc_hi, v4
	v_xor_b32_e32 v4, vcc_lo, v4
	v_and_b32_e32 v34, v34, v4
	v_lshlrev_b32_e32 v4, 29, v5
	v_cmp_gt_i64_e32 vcc, 0, v[3:4]
	v_not_b32_e32 v4, v4
	v_and_b32_e32 v6, exec_hi, v6
	v_ashrrev_i32_e32 v4, 31, v4
	v_and_b32_e32 v6, v6, v36
	v_xor_b32_e32 v36, vcc_hi, v4
	v_xor_b32_e32 v4, vcc_lo, v4
	v_and_b32_e32 v34, v34, v4
	v_lshlrev_b32_e32 v4, 28, v5
	v_cmp_gt_i64_e32 vcc, 0, v[3:4]
	v_not_b32_e32 v4, v4
	v_ashrrev_i32_e32 v4, 31, v4
	v_and_b32_e32 v6, v6, v36
	v_xor_b32_e32 v36, vcc_hi, v4
	v_xor_b32_e32 v4, vcc_lo, v4
	v_and_b32_e32 v34, v34, v4
	v_lshlrev_b32_e32 v4, 27, v5
	v_cmp_gt_i64_e32 vcc, 0, v[3:4]
	v_not_b32_e32 v4, v4
	;; [unrolled: 8-line block ×5, first 2 shown]
	v_ashrrev_i32_e32 v3, 31, v3
	v_xor_b32_e32 v4, vcc_hi, v3
	v_xor_b32_e32 v3, vcc_lo, v3
	ds_read_b32 v31, v8 offset:32
	v_and_b32_e32 v6, v6, v36
	v_and_b32_e32 v3, v34, v3
	v_and_b32_e32 v4, v6, v4
	v_mbcnt_lo_u32_b32 v5, v3, 0
	v_mbcnt_hi_u32_b32 v34, v4, v5
	v_cmp_ne_u64_e32 vcc, 0, v[3:4]
	v_cmp_eq_u32_e64 s[24:25], 0, v34
	s_and_b64 s[28:29], vcc, s[24:25]
	; wave barrier
	s_and_saveexec_b64 s[24:25], s[28:29]
	s_cbranch_execz .LBB869_33
; %bb.32:
	v_bcnt_u32_b32 v3, v3, 0
	v_bcnt_u32_b32 v3, v4, v3
	s_waitcnt lgkmcnt(0)
	v_add_u32_e32 v3, v31, v3
	ds_write_b32 v8, v3 offset:32
.LBB869_33:
	s_or_b64 exec, exec, s[24:25]
	v_xor_b32_e32 v9, 0x80000000, v9
	v_lshrrev_b32_e32 v3, s48, v9
	v_and_b32_e32 v5, s57, v3
	v_mul_lo_u32 v3, v5, 36
	v_and_b32_e32 v4, 1, v5
	v_add_co_u32_e32 v6, vcc, -1, v4
	v_addc_co_u32_e64 v38, s[24:25], 0, -1, vcc
	v_cmp_ne_u32_e32 vcc, 0, v4
	v_xor_b32_e32 v4, vcc_hi, v38
	v_add_u32_e32 v46, v39, v3
	v_mov_b32_e32 v3, 0
	v_and_b32_e32 v38, exec_hi, v4
	v_lshlrev_b32_e32 v4, 30, v5
	v_xor_b32_e32 v6, vcc_lo, v6
	v_cmp_gt_i64_e32 vcc, 0, v[3:4]
	v_not_b32_e32 v4, v4
	v_ashrrev_i32_e32 v4, 31, v4
	v_and_b32_e32 v6, exec_lo, v6
	v_xor_b32_e32 v41, vcc_hi, v4
	v_xor_b32_e32 v4, vcc_lo, v4
	v_and_b32_e32 v6, v6, v4
	v_lshlrev_b32_e32 v4, 29, v5
	v_cmp_gt_i64_e32 vcc, 0, v[3:4]
	v_not_b32_e32 v4, v4
	v_ashrrev_i32_e32 v4, 31, v4
	v_and_b32_e32 v38, v38, v41
	v_xor_b32_e32 v41, vcc_hi, v4
	v_xor_b32_e32 v4, vcc_lo, v4
	v_and_b32_e32 v6, v6, v4
	v_lshlrev_b32_e32 v4, 28, v5
	v_cmp_gt_i64_e32 vcc, 0, v[3:4]
	v_not_b32_e32 v4, v4
	v_ashrrev_i32_e32 v4, 31, v4
	v_and_b32_e32 v38, v38, v41
	;; [unrolled: 8-line block ×5, first 2 shown]
	v_xor_b32_e32 v41, vcc_hi, v4
	v_xor_b32_e32 v4, vcc_lo, v4
	v_and_b32_e32 v6, v6, v4
	v_lshlrev_b32_e32 v4, 24, v5
	v_cmp_gt_i64_e32 vcc, 0, v[3:4]
	v_not_b32_e32 v4, v4
	v_ashrrev_i32_e32 v4, 31, v4
	v_xor_b32_e32 v5, vcc_hi, v4
	v_xor_b32_e32 v4, vcc_lo, v4
	; wave barrier
	ds_read_b32 v36, v46 offset:32
	v_and_b32_e32 v38, v38, v41
	v_and_b32_e32 v4, v6, v4
	;; [unrolled: 1-line block ×3, first 2 shown]
	v_mbcnt_lo_u32_b32 v6, v4, 0
	v_mbcnt_hi_u32_b32 v38, v5, v6
	v_cmp_ne_u64_e32 vcc, 0, v[4:5]
	v_cmp_eq_u32_e64 s[24:25], 0, v38
	s_and_b64 s[28:29], vcc, s[24:25]
	; wave barrier
	s_and_saveexec_b64 s[24:25], s[28:29]
	s_cbranch_execz .LBB869_35
; %bb.34:
	v_bcnt_u32_b32 v4, v4, 0
	v_bcnt_u32_b32 v4, v5, v4
	s_waitcnt lgkmcnt(0)
	v_add_u32_e32 v4, v36, v4
	ds_write_b32 v46, v4 offset:32
.LBB869_35:
	s_or_b64 exec, exec, s[24:25]
	v_xor_b32_e32 v10, 0x80000000, v10
	v_lshrrev_b32_e32 v4, s48, v10
	v_and_b32_e32 v5, s57, v4
	v_mul_lo_u32 v4, v5, 36
	v_and_b32_e32 v6, 1, v5
	; wave barrier
	v_add_u32_e32 v47, v39, v4
	v_add_co_u32_e32 v4, vcc, -1, v6
	v_addc_co_u32_e64 v41, s[24:25], 0, -1, vcc
	v_cmp_ne_u32_e32 vcc, 0, v6
	v_xor_b32_e32 v4, vcc_lo, v4
	v_xor_b32_e32 v6, vcc_hi, v41
	v_and_b32_e32 v41, exec_lo, v4
	v_lshlrev_b32_e32 v4, 30, v5
	v_cmp_gt_i64_e32 vcc, 0, v[3:4]
	v_not_b32_e32 v4, v4
	v_ashrrev_i32_e32 v4, 31, v4
	v_xor_b32_e32 v42, vcc_hi, v4
	v_xor_b32_e32 v4, vcc_lo, v4
	v_and_b32_e32 v41, v41, v4
	v_lshlrev_b32_e32 v4, 29, v5
	v_cmp_gt_i64_e32 vcc, 0, v[3:4]
	v_not_b32_e32 v4, v4
	v_and_b32_e32 v6, exec_hi, v6
	v_ashrrev_i32_e32 v4, 31, v4
	v_and_b32_e32 v6, v6, v42
	v_xor_b32_e32 v42, vcc_hi, v4
	v_xor_b32_e32 v4, vcc_lo, v4
	v_and_b32_e32 v41, v41, v4
	v_lshlrev_b32_e32 v4, 28, v5
	v_cmp_gt_i64_e32 vcc, 0, v[3:4]
	v_not_b32_e32 v4, v4
	v_ashrrev_i32_e32 v4, 31, v4
	v_and_b32_e32 v6, v6, v42
	v_xor_b32_e32 v42, vcc_hi, v4
	v_xor_b32_e32 v4, vcc_lo, v4
	v_and_b32_e32 v41, v41, v4
	v_lshlrev_b32_e32 v4, 27, v5
	v_cmp_gt_i64_e32 vcc, 0, v[3:4]
	v_not_b32_e32 v4, v4
	;; [unrolled: 8-line block ×5, first 2 shown]
	v_ashrrev_i32_e32 v3, 31, v3
	v_xor_b32_e32 v4, vcc_hi, v3
	v_xor_b32_e32 v3, vcc_lo, v3
	ds_read_b32 v39, v47 offset:32
	v_and_b32_e32 v6, v6, v42
	v_and_b32_e32 v3, v41, v3
	v_and_b32_e32 v4, v6, v4
	v_mbcnt_lo_u32_b32 v5, v3, 0
	v_mbcnt_hi_u32_b32 v41, v4, v5
	v_cmp_ne_u64_e32 vcc, 0, v[3:4]
	v_cmp_eq_u32_e64 s[24:25], 0, v41
	s_and_b64 s[28:29], vcc, s[24:25]
	; wave barrier
	s_and_saveexec_b64 s[24:25], s[28:29]
	s_cbranch_execz .LBB869_37
; %bb.36:
	v_bcnt_u32_b32 v3, v3, 0
	v_bcnt_u32_b32 v3, v4, v3
	s_waitcnt lgkmcnt(0)
	v_add_u32_e32 v3, v39, v3
	ds_write_b32 v47, v3 offset:32
.LBB869_37:
	s_or_b64 exec, exec, s[24:25]
	; wave barrier
	s_waitcnt lgkmcnt(0)
	s_barrier
	ds_read2_b32 v[5:6], v18 offset0:8 offset1:9
	ds_read2_b32 v[3:4], v18 offset0:10 offset1:11
	ds_read_b32 v42, v18 offset:48
	s_waitcnt lgkmcnt(1)
	v_add3_u32 v43, v6, v5, v3
	s_waitcnt lgkmcnt(0)
	v_add3_u32 v42, v43, v4, v42
	v_and_b32_e32 v43, 15, v17
	v_cmp_ne_u32_e32 vcc, 0, v43
	v_mov_b32_dpp v44, v42 row_shr:1 row_mask:0xf bank_mask:0xf
	v_cndmask_b32_e32 v44, 0, v44, vcc
	v_add_u32_e32 v42, v44, v42
	v_cmp_lt_u32_e32 vcc, 1, v43
	s_nop 0
	v_mov_b32_dpp v44, v42 row_shr:2 row_mask:0xf bank_mask:0xf
	v_cndmask_b32_e32 v44, 0, v44, vcc
	v_add_u32_e32 v42, v42, v44
	v_cmp_lt_u32_e32 vcc, 3, v43
	s_nop 0
	;; [unrolled: 5-line block ×3, first 2 shown]
	v_mov_b32_dpp v44, v42 row_shr:8 row_mask:0xf bank_mask:0xf
	v_cndmask_b32_e32 v43, 0, v44, vcc
	v_add_u32_e32 v42, v42, v43
	v_bfe_i32 v44, v17, 4, 1
	v_cmp_lt_u32_e32 vcc, 31, v17
	v_mov_b32_dpp v43, v42 row_bcast:15 row_mask:0xf bank_mask:0xf
	v_and_b32_e32 v43, v44, v43
	v_add_u32_e32 v42, v42, v43
	v_or_b32_e32 v44, 63, v0
	s_nop 0
	v_mov_b32_dpp v43, v42 row_bcast:31 row_mask:0xf bank_mask:0xf
	v_cndmask_b32_e32 v43, 0, v43, vcc
	v_add_u32_e32 v42, v42, v43
	v_lshrrev_b32_e32 v43, 6, v0
	v_cmp_eq_u32_e32 vcc, v0, v44
	s_and_saveexec_b64 s[24:25], vcc
; %bb.38:
	v_lshlrev_b32_e32 v44, 2, v43
	ds_write_b32 v44, v42
; %bb.39:
	s_or_b64 exec, exec, s[24:25]
	v_cmp_gt_u32_e32 vcc, 8, v0
	s_waitcnt lgkmcnt(0)
	s_barrier
	s_and_saveexec_b64 s[28:29], vcc
	s_cbranch_execz .LBB869_41
; %bb.40:
	v_lshlrev_b32_e32 v44, 2, v0
	ds_read_b32 v45, v44
	v_and_b32_e32 v48, 7, v17
	v_cmp_ne_u32_e32 vcc, 0, v48
	v_cmp_lt_u32_e64 s[24:25], 1, v48
	s_waitcnt lgkmcnt(0)
	v_mov_b32_dpp v49, v45 row_shr:1 row_mask:0xf bank_mask:0xf
	v_cndmask_b32_e32 v49, 0, v49, vcc
	v_add_u32_e32 v45, v49, v45
	v_cmp_lt_u32_e32 vcc, 3, v48
	s_nop 0
	v_mov_b32_dpp v49, v45 row_shr:2 row_mask:0xf bank_mask:0xf
	v_cndmask_b32_e64 v49, 0, v49, s[24:25]
	v_add_u32_e32 v45, v45, v49
	s_nop 1
	v_mov_b32_dpp v49, v45 row_shr:4 row_mask:0xf bank_mask:0xf
	v_cndmask_b32_e32 v48, 0, v49, vcc
	v_add_u32_e32 v45, v45, v48
	ds_write_b32 v44, v45
.LBB869_41:
	s_or_b64 exec, exec, s[28:29]
	v_cmp_lt_u32_e32 vcc, 63, v0
	v_mov_b32_e32 v44, 0
	s_waitcnt lgkmcnt(0)
	s_barrier
	s_and_saveexec_b64 s[24:25], vcc
; %bb.42:
	v_lshl_add_u32 v43, v43, 2, -4
	ds_read_b32 v44, v43
; %bb.43:
	s_or_b64 exec, exec, s[24:25]
	v_subrev_co_u32_e32 v43, vcc, 1, v17
	v_and_b32_e32 v45, 64, v17
	v_cmp_lt_i32_e64 s[24:25], v43, v45
	v_cndmask_b32_e64 v17, v43, v17, s[24:25]
	s_waitcnt lgkmcnt(0)
	v_add_u32_e32 v42, v44, v42
	v_lshlrev_b32_e32 v17, 2, v17
	ds_bpermute_b32 v17, v17, v42
	s_movk_i32 s24, 0xff
	s_movk_i32 s28, 0x100
	v_cmp_lt_u32_e64 s[24:25], s24, v0
	s_waitcnt lgkmcnt(0)
	v_cndmask_b32_e32 v17, v17, v44, vcc
	v_cndmask_b32_e64 v17, v17, 0, s[26:27]
	v_add_u32_e32 v5, v17, v5
	v_add_u32_e32 v6, v5, v6
	;; [unrolled: 1-line block ×4, first 2 shown]
	ds_write2_b32 v18, v17, v5 offset0:8 offset1:9
	ds_write2_b32 v18, v6, v3 offset0:10 offset1:11
	ds_write_b32 v18, v4 offset:48
	s_waitcnt lgkmcnt(0)
	s_barrier
	ds_read_b32 v17, v32 offset:32
	ds_read_b32 v42, v33 offset:32
	;; [unrolled: 1-line block ×8, first 2 shown]
	v_cmp_gt_u32_e32 vcc, s28, v0
                                        ; implicit-def: $vgpr32
                                        ; implicit-def: $vgpr33
	s_and_saveexec_b64 s[50:51], vcc
	s_cbranch_execz .LBB869_47
; %bb.44:
	v_mul_u32_u24_e32 v3, 36, v0
	ds_read_b32 v32, v3 offset:32
	v_add_u32_e32 v4, 1, v0
	v_cmp_ne_u32_e64 s[28:29], s28, v4
	v_mov_b32_e32 v3, 0x1000
	s_and_saveexec_b64 s[52:53], s[28:29]
; %bb.45:
	v_mul_u32_u24_e32 v3, 36, v4
	ds_read_b32 v3, v3 offset:32
; %bb.46:
	s_or_b64 exec, exec, s[52:53]
	s_waitcnt lgkmcnt(0)
	v_sub_u32_e32 v33, v3, v32
.LBB869_47:
	s_or_b64 exec, exec, s[50:51]
	v_mov_b32_e32 v4, 0
	v_lshlrev_b32_e32 v37, 2, v0
	s_waitcnt lgkmcnt(0)
	s_barrier
	s_and_saveexec_b64 s[28:29], vcc
	s_cbranch_execz .LBB869_57
; %bb.48:
	v_lshl_add_u32 v3, s33, 8, v0
	v_lshlrev_b64 v[5:6], 2, v[3:4]
	v_mov_b32_e32 v18, s31
	v_add_co_u32_e32 v5, vcc, s30, v5
	v_addc_co_u32_e32 v6, vcc, v18, v6, vcc
	v_or_b32_e32 v3, 2.0, v33
	s_mov_b64 s[50:51], 0
	s_brev_b32 s58, -4
	s_mov_b32 s59, s33
	v_mov_b32_e32 v48, 0
	global_store_dword v[5:6], v3, off
                                        ; implicit-def: $sgpr52_sgpr53
	s_branch .LBB869_51
.LBB869_49:                             ;   in Loop: Header=BB869_51 Depth=1
	s_or_b64 exec, exec, s[54:55]
.LBB869_50:                             ;   in Loop: Header=BB869_51 Depth=1
	s_or_b64 exec, exec, s[52:53]
	v_and_b32_e32 v7, 0x3fffffff, v3
	v_add_u32_e32 v48, v7, v48
	v_cmp_gt_i32_e64 s[52:53], -2.0, v3
	s_and_b64 s[54:55], exec, s[52:53]
	s_or_b64 s[50:51], s[54:55], s[50:51]
	s_andn2_b64 exec, exec, s[50:51]
	s_cbranch_execz .LBB869_56
.LBB869_51:                             ; =>This Loop Header: Depth=1
                                        ;     Child Loop BB869_54 Depth 2
	s_or_b64 s[52:53], s[52:53], exec
	s_cmp_eq_u32 s59, 0
	s_cbranch_scc1 .LBB869_55
; %bb.52:                               ;   in Loop: Header=BB869_51 Depth=1
	s_add_i32 s59, s59, -1
	v_lshl_or_b32 v3, s59, 8, v0
	v_lshlrev_b64 v[7:8], 2, v[3:4]
	v_add_co_u32_e32 v7, vcc, s30, v7
	v_addc_co_u32_e32 v8, vcc, v18, v8, vcc
	global_load_dword v3, v[7:8], off glc
	s_waitcnt vmcnt(0)
	v_cmp_gt_u32_e32 vcc, 2.0, v3
	s_and_saveexec_b64 s[52:53], vcc
	s_cbranch_execz .LBB869_50
; %bb.53:                               ;   in Loop: Header=BB869_51 Depth=1
	s_mov_b64 s[54:55], 0
.LBB869_54:                             ;   Parent Loop BB869_51 Depth=1
                                        ; =>  This Inner Loop Header: Depth=2
	global_load_dword v3, v[7:8], off glc
	s_waitcnt vmcnt(0)
	v_cmp_lt_u32_e32 vcc, s58, v3
	s_or_b64 s[54:55], vcc, s[54:55]
	s_andn2_b64 exec, exec, s[54:55]
	s_cbranch_execnz .LBB869_54
	s_branch .LBB869_49
.LBB869_55:                             ;   in Loop: Header=BB869_51 Depth=1
                                        ; implicit-def: $sgpr59
	s_and_b64 s[54:55], exec, s[52:53]
	s_or_b64 s[50:51], s[54:55], s[50:51]
	s_andn2_b64 exec, exec, s[50:51]
	s_cbranch_execnz .LBB869_51
.LBB869_56:
	s_or_b64 exec, exec, s[50:51]
	v_add_u32_e32 v3, v48, v33
	v_or_b32_e32 v3, 0x80000000, v3
	global_store_dword v[5:6], v3, off
	global_load_dword v3, v37, s[44:45]
	v_sub_u32_e32 v4, v48, v32
	s_waitcnt vmcnt(0)
	v_add_u32_e32 v3, v4, v3
	ds_write_b32 v37, v3
.LBB869_57:
	s_or_b64 exec, exec, s[28:29]
	v_add_u32_e32 v48, v17, v19
	v_add3_u32 v5, v24, v23, v42
	v_add3_u32 v6, v26, v25, v43
	;; [unrolled: 1-line block ×7, first 2 shown]
	s_mov_b32 s52, 16
	s_mov_b32 s58, 0
	s_mov_b64 s[28:29], -1
	v_mov_b32_e32 v4, 0
	s_movk_i32 s53, 0x200
	s_movk_i32 s54, 0x400
	;; [unrolled: 1-line block ×3, first 2 shown]
	v_mov_b32_e32 v49, v48
	v_mov_b32_e32 v50, v0
	s_branch .LBB869_59
.LBB869_58:                             ;   in Loop: Header=BB869_59 Depth=1
	s_or_b64 exec, exec, s[50:51]
	s_xor_b64 s[50:51], s[28:29], -1
	v_add_u32_e32 v50, 0x800, v50
	v_add_u32_e32 v19, 0xfffff800, v19
	;; [unrolled: 1-line block ×9, first 2 shown]
	s_mov_b64 s[28:29], 0
	s_and_b64 vcc, exec, s[50:51]
	s_mov_b32 s58, s52
	s_waitcnt vmcnt(0)
	s_barrier
	s_cbranch_vccnz .LBB869_67
.LBB869_59:                             ; =>This Inner Loop Header: Depth=1
	v_min_u32_e32 v3, 0x800, v49
	v_lshlrev_b32_e32 v3, 2, v3
	ds_write_b32 v3, v16 offset:1024
	v_min_u32_e32 v3, 0x800, v5
	v_lshlrev_b32_e32 v3, 2, v3
	ds_write_b32 v3, v13 offset:1024
	;; [unrolled: 3-line block ×7, first 2 shown]
	v_min_u32_e32 v3, 0x800, v19
	v_lshlrev_b32_e32 v3, 2, v3
	v_cmp_gt_u32_e32 vcc, s7, v50
	ds_write_b32 v3, v10 offset:1024
	s_waitcnt lgkmcnt(0)
	s_barrier
	s_and_saveexec_b64 s[50:51], vcc
	s_cbranch_execz .LBB869_61
; %bb.60:                               ;   in Loop: Header=BB869_59 Depth=1
	ds_read_b32 v3, v37 offset:1024
	v_mov_b32_e32 v54, s39
	v_mov_b32_e32 v55, s58
	s_waitcnt lgkmcnt(0)
	v_lshrrev_b32_e32 v51, s48, v3
	v_and_b32_e32 v53, s57, v51
	v_lshlrev_b32_e32 v51, 2, v53
	ds_read_b32 v51, v51
	v_xor_b32_e32 v56, 0x80000000, v3
	buffer_store_dword v53, v55, s[0:3], 0 offen
	s_waitcnt lgkmcnt(0)
	v_add_u32_e32 v3, v50, v51
	v_lshlrev_b64 v[51:52], 2, v[3:4]
	v_add_co_u32_e32 v51, vcc, s38, v51
	v_addc_co_u32_e32 v52, vcc, v54, v52, vcc
	global_store_dword v[51:52], v56, off
.LBB869_61:                             ;   in Loop: Header=BB869_59 Depth=1
	s_or_b64 exec, exec, s[50:51]
	v_add_u32_e32 v3, 0x200, v50
	v_cmp_gt_u32_e32 vcc, s7, v3
	s_and_saveexec_b64 s[50:51], vcc
	s_cbranch_execz .LBB869_63
; %bb.62:                               ;   in Loop: Header=BB869_59 Depth=1
	ds_read_b32 v3, v37 offset:3072
	v_mov_b32_e32 v54, s39
	v_mov_b32_e32 v55, s58
	s_waitcnt lgkmcnt(0)
	v_lshrrev_b32_e32 v51, s48, v3
	v_and_b32_e32 v53, s57, v51
	v_lshlrev_b32_e32 v51, 2, v53
	ds_read_b32 v51, v51
	v_xor_b32_e32 v56, 0x80000000, v3
	buffer_store_dword v53, v55, s[0:3], 0 offen offset:4
	s_waitcnt lgkmcnt(0)
	v_add3_u32 v3, v50, v51, s53
	v_lshlrev_b64 v[51:52], 2, v[3:4]
	v_add_co_u32_e32 v51, vcc, s38, v51
	v_addc_co_u32_e32 v52, vcc, v54, v52, vcc
	global_store_dword v[51:52], v56, off
.LBB869_63:                             ;   in Loop: Header=BB869_59 Depth=1
	s_or_b64 exec, exec, s[50:51]
	v_add_u32_e32 v3, 0x400, v50
	v_cmp_gt_u32_e32 vcc, s7, v3
	s_and_saveexec_b64 s[50:51], vcc
	s_cbranch_execz .LBB869_65
; %bb.64:                               ;   in Loop: Header=BB869_59 Depth=1
	ds_read_b32 v3, v37 offset:5120
	v_mov_b32_e32 v54, s39
	v_mov_b32_e32 v55, s58
	s_waitcnt lgkmcnt(0)
	v_lshrrev_b32_e32 v51, s48, v3
	v_and_b32_e32 v53, s57, v51
	v_lshlrev_b32_e32 v51, 2, v53
	ds_read_b32 v51, v51
	v_xor_b32_e32 v56, 0x80000000, v3
	buffer_store_dword v53, v55, s[0:3], 0 offen offset:8
	s_waitcnt lgkmcnt(0)
	v_add3_u32 v3, v50, v51, s54
	v_lshlrev_b64 v[51:52], 2, v[3:4]
	v_add_co_u32_e32 v51, vcc, s38, v51
	v_addc_co_u32_e32 v52, vcc, v54, v52, vcc
	global_store_dword v[51:52], v56, off
.LBB869_65:                             ;   in Loop: Header=BB869_59 Depth=1
	s_or_b64 exec, exec, s[50:51]
	v_add_u32_e32 v3, 0x600, v50
	v_cmp_gt_u32_e32 vcc, s7, v3
	s_and_saveexec_b64 s[50:51], vcc
	s_cbranch_execz .LBB869_58
; %bb.66:                               ;   in Loop: Header=BB869_59 Depth=1
	ds_read_b32 v3, v37 offset:7168
	v_mov_b32_e32 v54, s39
	v_mov_b32_e32 v55, s58
	s_waitcnt lgkmcnt(0)
	v_lshrrev_b32_e32 v51, s48, v3
	v_and_b32_e32 v53, s57, v51
	v_lshlrev_b32_e32 v51, 2, v53
	ds_read_b32 v51, v51
	v_xor_b32_e32 v56, 0x80000000, v3
	buffer_store_dword v53, v55, s[0:3], 0 offen offset:12
	s_waitcnt lgkmcnt(0)
	v_add3_u32 v3, v50, v51, s55
	v_lshlrev_b64 v[51:52], 2, v[3:4]
	v_add_co_u32_e32 v51, vcc, s38, v51
	v_addc_co_u32_e32 v52, vcc, v54, v52, vcc
	global_store_dword v[51:52], v56, off
	s_branch .LBB869_58
.LBB869_67:
	s_lshl_b64 s[28:29], s[34:35], 3
	s_add_u32 s28, s40, s28
	s_addc_u32 s29, s41, s29
	v_lshlrev_b32_e32 v3, 3, v15
	v_mov_b32_e32 v4, s29
	v_add_co_u32_e32 v3, vcc, s28, v3
	v_addc_co_u32_e32 v4, vcc, 0, v4, vcc
	v_lshlrev_b32_e32 v5, 3, v14
	v_add_co_u32_e32 v19, vcc, v3, v5
	v_addc_co_u32_e32 v20, vcc, 0, v4, vcc
                                        ; implicit-def: $vgpr3_vgpr4
	s_and_saveexec_b64 s[28:29], s[8:9]
	s_cbranch_execz .LBB869_75
; %bb.68:
	global_load_dwordx2 v[3:4], v[19:20], off
	s_or_b64 exec, exec, s[28:29]
                                        ; implicit-def: $vgpr5_vgpr6
	s_and_saveexec_b64 s[8:9], s[10:11]
	s_cbranch_execnz .LBB869_76
.LBB869_69:
	s_or_b64 exec, exec, s[8:9]
                                        ; implicit-def: $vgpr7_vgpr8
	s_and_saveexec_b64 s[8:9], s[12:13]
	s_cbranch_execz .LBB869_77
.LBB869_70:
	global_load_dwordx2 v[7:8], v[19:20], off offset:1024
	s_or_b64 exec, exec, s[8:9]
                                        ; implicit-def: $vgpr9_vgpr10
	s_and_saveexec_b64 s[8:9], s[14:15]
	s_cbranch_execnz .LBB869_78
.LBB869_71:
	s_or_b64 exec, exec, s[8:9]
                                        ; implicit-def: $vgpr11_vgpr12
	s_and_saveexec_b64 s[8:9], s[16:17]
	s_cbranch_execz .LBB869_79
.LBB869_72:
	global_load_dwordx2 v[11:12], v[19:20], off offset:2048
	s_or_b64 exec, exec, s[8:9]
                                        ; implicit-def: $vgpr13_vgpr14
	s_and_saveexec_b64 s[8:9], s[18:19]
	s_cbranch_execnz .LBB869_80
.LBB869_73:
	s_or_b64 exec, exec, s[8:9]
                                        ; implicit-def: $vgpr15_vgpr16
	s_and_saveexec_b64 s[8:9], s[20:21]
	s_cbranch_execz .LBB869_81
.LBB869_74:
	global_load_dwordx2 v[15:16], v[19:20], off offset:3072
	s_or_b64 exec, exec, s[8:9]
                                        ; implicit-def: $vgpr17_vgpr18
	s_and_saveexec_b64 s[8:9], s[22:23]
	s_cbranch_execnz .LBB869_82
	s_branch .LBB869_83
.LBB869_75:
	s_or_b64 exec, exec, s[28:29]
                                        ; implicit-def: $vgpr5_vgpr6
	s_and_saveexec_b64 s[8:9], s[10:11]
	s_cbranch_execz .LBB869_69
.LBB869_76:
	global_load_dwordx2 v[5:6], v[19:20], off offset:512
	s_or_b64 exec, exec, s[8:9]
                                        ; implicit-def: $vgpr7_vgpr8
	s_and_saveexec_b64 s[8:9], s[12:13]
	s_cbranch_execnz .LBB869_70
.LBB869_77:
	s_or_b64 exec, exec, s[8:9]
                                        ; implicit-def: $vgpr9_vgpr10
	s_and_saveexec_b64 s[8:9], s[14:15]
	s_cbranch_execz .LBB869_71
.LBB869_78:
	global_load_dwordx2 v[9:10], v[19:20], off offset:1536
	s_or_b64 exec, exec, s[8:9]
                                        ; implicit-def: $vgpr11_vgpr12
	s_and_saveexec_b64 s[8:9], s[16:17]
	s_cbranch_execnz .LBB869_72
.LBB869_79:
	s_or_b64 exec, exec, s[8:9]
                                        ; implicit-def: $vgpr13_vgpr14
	s_and_saveexec_b64 s[8:9], s[18:19]
	s_cbranch_execz .LBB869_73
.LBB869_80:
	global_load_dwordx2 v[13:14], v[19:20], off offset:2560
	s_or_b64 exec, exec, s[8:9]
                                        ; implicit-def: $vgpr15_vgpr16
	s_and_saveexec_b64 s[8:9], s[20:21]
	s_cbranch_execnz .LBB869_74
.LBB869_81:
	s_or_b64 exec, exec, s[8:9]
                                        ; implicit-def: $vgpr17_vgpr18
	s_and_saveexec_b64 s[8:9], s[22:23]
	s_cbranch_execz .LBB869_83
.LBB869_82:
	global_load_dwordx2 v[17:18], v[19:20], off offset:3584
.LBB869_83:
	s_or_b64 exec, exec, s[8:9]
	v_add3_u32 v35, v41, v47, v39
	v_add3_u32 v36, v38, v46, v36
	;; [unrolled: 1-line block ×7, first 2 shown]
	s_mov_b32 s10, 0
	s_mov_b32 s11, 0
	v_mov_b32_e32 v20, 0
	s_movk_i32 s12, 0x200
	v_mov_b32_e32 v24, v0
	s_branch .LBB869_85
.LBB869_84:                             ;   in Loop: Header=BB869_85 Depth=1
	s_or_b64 exec, exec, s[8:9]
	s_addk_i32 s11, 0xfc00
	s_add_i32 s10, s10, 8
	s_cmpk_eq_i32 s11, 0xf000
	v_add_u32_e32 v24, 0x400, v24
	s_waitcnt vmcnt(0)
	s_barrier
	s_cbranch_scc1 .LBB869_89
.LBB869_85:                             ; =>This Inner Loop Header: Depth=1
	v_add_u32_e32 v19, s11, v48
	v_min_u32_e32 v19, 0x400, v19
	v_lshlrev_b32_e32 v19, 3, v19
	s_waitcnt vmcnt(0)
	ds_write_b64 v19, v[3:4] offset:1024
	v_add_u32_e32 v19, s11, v23
	v_min_u32_e32 v19, 0x400, v19
	v_lshlrev_b32_e32 v19, 3, v19
	ds_write_b64 v19, v[5:6] offset:1024
	v_add_u32_e32 v19, s11, v25
	v_min_u32_e32 v19, 0x400, v19
	v_lshlrev_b32_e32 v19, 3, v19
	;; [unrolled: 4-line block ×7, first 2 shown]
	v_cmp_gt_u32_e32 vcc, s7, v24
	ds_write_b64 v19, v[17:18] offset:1024
	s_waitcnt lgkmcnt(0)
	s_barrier
	s_and_saveexec_b64 s[8:9], vcc
	s_cbranch_execz .LBB869_87
; %bb.86:                               ;   in Loop: Header=BB869_85 Depth=1
	v_mov_b32_e32 v19, s10
	buffer_load_dword v19, v19, s[0:3], 0 offen
	v_mov_b32_e32 v26, s43
	s_waitcnt vmcnt(0)
	v_lshlrev_b32_e32 v19, 2, v19
	ds_read_b32 v19, v19
	ds_read_b64 v[38:39], v21 offset:1024
	s_waitcnt lgkmcnt(1)
	v_add_u32_e32 v19, v24, v19
	v_lshlrev_b64 v[40:41], 3, v[19:20]
	v_add_co_u32_e32 v40, vcc, s42, v40
	v_addc_co_u32_e32 v41, vcc, v26, v41, vcc
	s_waitcnt lgkmcnt(0)
	global_store_dwordx2 v[40:41], v[38:39], off
.LBB869_87:                             ;   in Loop: Header=BB869_85 Depth=1
	s_or_b64 exec, exec, s[8:9]
	v_add_u32_e32 v19, 0x200, v24
	v_cmp_gt_u32_e32 vcc, s7, v19
	s_and_saveexec_b64 s[8:9], vcc
	s_cbranch_execz .LBB869_84
; %bb.88:                               ;   in Loop: Header=BB869_85 Depth=1
	v_mov_b32_e32 v19, s10
	buffer_load_dword v19, v19, s[0:3], 0 offen offset:4
	v_mov_b32_e32 v26, s43
	s_waitcnt vmcnt(0)
	v_lshlrev_b32_e32 v19, 2, v19
	ds_read_b32 v19, v19
	ds_read_b64 v[38:39], v21 offset:5120
	s_waitcnt lgkmcnt(1)
	v_add3_u32 v19, v24, v19, s12
	v_lshlrev_b64 v[40:41], 3, v[19:20]
	v_add_co_u32_e32 v40, vcc, s42, v40
	v_addc_co_u32_e32 v41, vcc, v26, v41, vcc
	s_waitcnt lgkmcnt(0)
	global_store_dwordx2 v[40:41], v[38:39], off
	s_branch .LBB869_84
.LBB869_89:
	s_add_i32 s56, s56, -1
	s_cmp_eq_u32 s33, s56
	s_cselect_b64 s[8:9], -1, 0
	s_xor_b64 s[10:11], s[24:25], -1
	s_and_b64 s[10:11], s[10:11], s[8:9]
	s_and_saveexec_b64 s[8:9], s[10:11]
	s_cbranch_execz .LBB869_91
; %bb.90:
	ds_read_b32 v3, v37
	s_waitcnt lgkmcnt(0)
	v_add3_u32 v3, v32, v33, v3
	global_store_dword v37, v3, s[46:47]
.LBB869_91:
	s_or_b64 exec, exec, s[8:9]
	s_mov_b64 s[8:9], 0
.LBB869_92:
	s_and_b64 vcc, exec, s[8:9]
	s_cbranch_vccz .LBB869_135
; %bb.93:
	s_lshl_b32 s8, s33, 12
	s_mov_b32 s9, 0
	s_lshl_b64 s[10:11], s[8:9], 2
	v_mbcnt_hi_u32_b32 v5, -1, v22
	s_add_u32 s7, s36, s10
	v_and_b32_e32 v8, 63, v5
	s_addc_u32 s10, s37, s11
	v_lshlrev_b32_e32 v3, 2, v8
	v_and_b32_e32 v7, 0xe00, v21
	v_mov_b32_e32 v4, s10
	v_add_co_u32_e32 v3, vcc, s7, v3
	v_addc_co_u32_e32 v4, vcc, 0, v4, vcc
	v_lshlrev_b32_e32 v6, 2, v7
	v_add_co_u32_e32 v12, vcc, v3, v6
	v_addc_co_u32_e32 v13, vcc, 0, v4, vcc
	global_load_dword v4, v[12:13], off
	s_load_dword s7, s[4:5], 0x64
	s_load_dword s16, s[4:5], 0x58
	s_add_u32 s4, s4, 0x58
	s_addc_u32 s5, s5, 0
	v_mov_b32_e32 v3, 0
	s_waitcnt lgkmcnt(0)
	s_lshr_b32 s10, s7, 16
	s_cmp_lt_u32 s6, s16
	s_cselect_b32 s6, 12, 18
	s_add_u32 s4, s4, s6
	s_addc_u32 s5, s5, 0
	global_load_ushort v6, v3, s[4:5]
	global_load_dword v10, v[12:13], off offset:256
	global_load_dword v11, v[12:13], off offset:512
	;; [unrolled: 1-line block ×7, first 2 shown]
	s_lshl_b32 s4, -1, s49
	s_not_b32 s17, s4
	v_mad_u32_u24 v1, v2, s10, v1
	s_waitcnt vmcnt(8)
	v_xor_b32_e32 v9, 0x80000000, v4
	v_lshrrev_b32_e32 v4, s48, v9
	v_and_b32_e32 v15, s17, v4
	v_and_b32_e32 v12, 1, v15
	v_lshlrev_b32_e32 v4, 30, v15
	v_cmp_ne_u32_e32 vcc, 0, v12
	v_add_co_u32_e64 v12, s[6:7], -1, v12
	v_cmp_gt_i64_e64 s[4:5], 0, v[3:4]
	v_addc_co_u32_e64 v13, s[6:7], 0, -1, s[6:7]
	v_not_b32_e32 v16, v4
	v_lshlrev_b32_e32 v4, 29, v15
	v_xor_b32_e32 v13, vcc_hi, v13
	v_ashrrev_i32_e32 v16, 31, v16
	v_xor_b32_e32 v12, vcc_lo, v12
	v_cmp_gt_i64_e32 vcc, 0, v[3:4]
	v_not_b32_e32 v18, v4
	v_lshlrev_b32_e32 v4, 28, v15
	v_and_b32_e32 v13, exec_hi, v13
	v_xor_b32_e32 v19, s5, v16
	v_and_b32_e32 v12, exec_lo, v12
	v_xor_b32_e32 v16, s4, v16
	v_ashrrev_i32_e32 v18, 31, v18
	v_cmp_gt_i64_e64 s[4:5], 0, v[3:4]
	v_not_b32_e32 v20, v4
	v_lshlrev_b32_e32 v4, 27, v15
	v_and_b32_e32 v13, v13, v19
	v_and_b32_e32 v12, v12, v16
	v_xor_b32_e32 v16, vcc_hi, v18
	v_xor_b32_e32 v18, vcc_lo, v18
	v_ashrrev_i32_e32 v19, 31, v20
	v_cmp_gt_i64_e32 vcc, 0, v[3:4]
	v_not_b32_e32 v20, v4
	v_lshlrev_b32_e32 v4, 26, v15
	v_and_b32_e32 v13, v13, v16
	v_and_b32_e32 v12, v12, v18
	v_xor_b32_e32 v16, s5, v19
	v_xor_b32_e32 v18, s4, v19
	v_ashrrev_i32_e32 v19, 31, v20
	v_cmp_gt_i64_e64 s[4:5], 0, v[3:4]
	v_not_b32_e32 v20, v4
	v_lshlrev_b32_e32 v4, 25, v15
	v_and_b32_e32 v13, v13, v16
	v_and_b32_e32 v12, v12, v18
	v_xor_b32_e32 v16, vcc_hi, v19
	v_xor_b32_e32 v18, vcc_lo, v19
	v_ashrrev_i32_e32 v19, 31, v20
	v_cmp_gt_i64_e32 vcc, 0, v[3:4]
	v_not_b32_e32 v4, v4
	v_and_b32_e32 v13, v13, v16
	v_and_b32_e32 v12, v12, v18
	v_xor_b32_e32 v16, s5, v19
	v_xor_b32_e32 v18, s4, v19
	v_ashrrev_i32_e32 v4, 31, v4
	v_and_b32_e32 v13, v13, v16
	v_and_b32_e32 v12, v12, v18
	v_xor_b32_e32 v16, vcc_hi, v4
	v_xor_b32_e32 v4, vcc_lo, v4
	v_and_b32_e32 v18, v12, v4
	v_lshlrev_b32_e32 v4, 24, v15
	v_cmp_gt_i64_e32 vcc, 0, v[3:4]
	v_not_b32_e32 v4, v4
	v_and_b32_e32 v16, v13, v16
	v_ashrrev_i32_e32 v4, 31, v4
	s_waitcnt vmcnt(7)
	v_mad_u64_u32 v[12:13], s[4:5], v1, v6, v[0:1]
	v_xor_b32_e32 v19, vcc_hi, v4
	v_xor_b32_e32 v1, vcc_lo, v4
	v_mul_lo_u32 v4, v15, 36
	v_and_b32_e32 v1, v18, v1
	v_lshrrev_b32_e32 v27, 6, v12
	v_and_b32_e32 v2, v16, v19
	v_lshl_add_u32 v18, v27, 2, v4
	v_mbcnt_lo_u32_b32 v4, v1, 0
	v_mbcnt_hi_u32_b32 v12, v2, v4
	v_cmp_ne_u64_e32 vcc, 0, v[1:2]
	v_cmp_eq_u32_e64 s[4:5], 0, v12
	v_mul_u32_u24_e32 v6, 20, v0
	s_and_b64 s[6:7], vcc, s[4:5]
	ds_write2_b32 v6, v3, v3 offset0:8 offset1:9
	ds_write2_b32 v6, v3, v3 offset0:10 offset1:11
	ds_write_b32 v6, v3 offset:48
	s_waitcnt vmcnt(0) lgkmcnt(0)
	s_barrier
	; wave barrier
	s_and_saveexec_b64 s[4:5], s[6:7]
; %bb.94:
	v_bcnt_u32_b32 v1, v1, 0
	v_bcnt_u32_b32 v1, v2, v1
	ds_write_b32 v18, v1 offset:32
; %bb.95:
	s_or_b64 exec, exec, s[4:5]
	v_xor_b32_e32 v10, 0x80000000, v10
	v_lshrrev_b32_e32 v1, s48, v10
	v_and_b32_e32 v1, s17, v1
	v_mul_lo_u32 v2, v1, 36
	v_and_b32_e32 v4, 1, v1
	; wave barrier
	v_lshl_add_u32 v19, v27, 2, v2
	v_add_co_u32_e32 v2, vcc, -1, v4
	v_addc_co_u32_e64 v15, s[4:5], 0, -1, vcc
	v_cmp_ne_u32_e32 vcc, 0, v4
	v_xor_b32_e32 v4, vcc_hi, v15
	v_and_b32_e32 v15, exec_hi, v4
	v_lshlrev_b32_e32 v4, 30, v1
	v_xor_b32_e32 v2, vcc_lo, v2
	v_cmp_gt_i64_e32 vcc, 0, v[3:4]
	v_not_b32_e32 v4, v4
	v_ashrrev_i32_e32 v4, 31, v4
	v_and_b32_e32 v2, exec_lo, v2
	v_xor_b32_e32 v16, vcc_hi, v4
	v_xor_b32_e32 v4, vcc_lo, v4
	v_and_b32_e32 v2, v2, v4
	v_lshlrev_b32_e32 v4, 29, v1
	v_cmp_gt_i64_e32 vcc, 0, v[3:4]
	v_not_b32_e32 v4, v4
	v_ashrrev_i32_e32 v4, 31, v4
	v_and_b32_e32 v15, v15, v16
	v_xor_b32_e32 v16, vcc_hi, v4
	v_xor_b32_e32 v4, vcc_lo, v4
	v_and_b32_e32 v2, v2, v4
	v_lshlrev_b32_e32 v4, 28, v1
	v_cmp_gt_i64_e32 vcc, 0, v[3:4]
	v_not_b32_e32 v4, v4
	v_ashrrev_i32_e32 v4, 31, v4
	v_and_b32_e32 v15, v15, v16
	;; [unrolled: 8-line block ×5, first 2 shown]
	v_xor_b32_e32 v16, vcc_hi, v4
	v_xor_b32_e32 v4, vcc_lo, v4
	v_and_b32_e32 v15, v15, v16
	v_and_b32_e32 v16, v2, v4
	v_lshlrev_b32_e32 v4, 24, v1
	v_cmp_gt_i64_e32 vcc, 0, v[3:4]
	v_not_b32_e32 v1, v4
	v_ashrrev_i32_e32 v1, 31, v1
	v_xor_b32_e32 v2, vcc_hi, v1
	v_xor_b32_e32 v1, vcc_lo, v1
	ds_read_b32 v13, v19 offset:32
	v_and_b32_e32 v1, v16, v1
	v_and_b32_e32 v2, v15, v2
	v_mbcnt_lo_u32_b32 v3, v1, 0
	v_mbcnt_hi_u32_b32 v15, v2, v3
	v_cmp_ne_u64_e32 vcc, 0, v[1:2]
	v_cmp_eq_u32_e64 s[4:5], 0, v15
	s_and_b64 s[6:7], vcc, s[4:5]
	; wave barrier
	s_and_saveexec_b64 s[4:5], s[6:7]
	s_cbranch_execz .LBB869_97
; %bb.96:
	v_bcnt_u32_b32 v1, v1, 0
	v_bcnt_u32_b32 v1, v2, v1
	s_waitcnt lgkmcnt(0)
	v_add_u32_e32 v1, v13, v1
	ds_write_b32 v19, v1 offset:32
.LBB869_97:
	s_or_b64 exec, exec, s[4:5]
	v_xor_b32_e32 v11, 0x80000000, v11
	v_lshrrev_b32_e32 v1, s48, v11
	v_and_b32_e32 v3, s17, v1
	v_mul_lo_u32 v1, v3, 36
	v_and_b32_e32 v2, 1, v3
	v_add_co_u32_e32 v4, vcc, -1, v2
	v_addc_co_u32_e64 v20, s[4:5], 0, -1, vcc
	v_cmp_ne_u32_e32 vcc, 0, v2
	v_xor_b32_e32 v2, vcc_hi, v20
	v_lshl_add_u32 v25, v27, 2, v1
	v_mov_b32_e32 v1, 0
	v_and_b32_e32 v20, exec_hi, v2
	v_lshlrev_b32_e32 v2, 30, v3
	v_xor_b32_e32 v4, vcc_lo, v4
	v_cmp_gt_i64_e32 vcc, 0, v[1:2]
	v_not_b32_e32 v2, v2
	v_ashrrev_i32_e32 v2, 31, v2
	v_and_b32_e32 v4, exec_lo, v4
	v_xor_b32_e32 v22, vcc_hi, v2
	v_xor_b32_e32 v2, vcc_lo, v2
	v_and_b32_e32 v4, v4, v2
	v_lshlrev_b32_e32 v2, 29, v3
	v_cmp_gt_i64_e32 vcc, 0, v[1:2]
	v_not_b32_e32 v2, v2
	v_ashrrev_i32_e32 v2, 31, v2
	v_and_b32_e32 v20, v20, v22
	v_xor_b32_e32 v22, vcc_hi, v2
	v_xor_b32_e32 v2, vcc_lo, v2
	v_and_b32_e32 v4, v4, v2
	v_lshlrev_b32_e32 v2, 28, v3
	v_cmp_gt_i64_e32 vcc, 0, v[1:2]
	v_not_b32_e32 v2, v2
	v_ashrrev_i32_e32 v2, 31, v2
	v_and_b32_e32 v20, v20, v22
	;; [unrolled: 8-line block ×5, first 2 shown]
	v_xor_b32_e32 v22, vcc_hi, v2
	v_xor_b32_e32 v2, vcc_lo, v2
	v_and_b32_e32 v4, v4, v2
	v_lshlrev_b32_e32 v2, 24, v3
	v_cmp_gt_i64_e32 vcc, 0, v[1:2]
	v_not_b32_e32 v2, v2
	v_ashrrev_i32_e32 v2, 31, v2
	v_xor_b32_e32 v3, vcc_hi, v2
	v_xor_b32_e32 v2, vcc_lo, v2
	; wave barrier
	ds_read_b32 v16, v25 offset:32
	v_and_b32_e32 v20, v20, v22
	v_and_b32_e32 v2, v4, v2
	;; [unrolled: 1-line block ×3, first 2 shown]
	v_mbcnt_lo_u32_b32 v4, v2, 0
	v_mbcnt_hi_u32_b32 v20, v3, v4
	v_cmp_ne_u64_e32 vcc, 0, v[2:3]
	v_cmp_eq_u32_e64 s[4:5], 0, v20
	s_and_b64 s[6:7], vcc, s[4:5]
	; wave barrier
	s_and_saveexec_b64 s[4:5], s[6:7]
	s_cbranch_execz .LBB869_99
; %bb.98:
	v_bcnt_u32_b32 v2, v2, 0
	v_bcnt_u32_b32 v2, v3, v2
	s_waitcnt lgkmcnt(0)
	v_add_u32_e32 v2, v16, v2
	ds_write_b32 v25, v2 offset:32
.LBB869_99:
	s_or_b64 exec, exec, s[4:5]
	v_xor_b32_e32 v14, 0x80000000, v14
	v_lshrrev_b32_e32 v2, s48, v14
	v_and_b32_e32 v3, s17, v2
	v_mul_lo_u32 v2, v3, 36
	v_and_b32_e32 v4, 1, v3
	; wave barrier
	v_lshl_add_u32 v30, v27, 2, v2
	v_add_co_u32_e32 v2, vcc, -1, v4
	v_addc_co_u32_e64 v26, s[4:5], 0, -1, vcc
	v_cmp_ne_u32_e32 vcc, 0, v4
	v_xor_b32_e32 v2, vcc_lo, v2
	v_xor_b32_e32 v4, vcc_hi, v26
	v_and_b32_e32 v26, exec_lo, v2
	v_lshlrev_b32_e32 v2, 30, v3
	v_cmp_gt_i64_e32 vcc, 0, v[1:2]
	v_not_b32_e32 v2, v2
	v_ashrrev_i32_e32 v2, 31, v2
	v_xor_b32_e32 v28, vcc_hi, v2
	v_xor_b32_e32 v2, vcc_lo, v2
	v_and_b32_e32 v26, v26, v2
	v_lshlrev_b32_e32 v2, 29, v3
	v_cmp_gt_i64_e32 vcc, 0, v[1:2]
	v_not_b32_e32 v2, v2
	v_and_b32_e32 v4, exec_hi, v4
	v_ashrrev_i32_e32 v2, 31, v2
	v_and_b32_e32 v4, v4, v28
	v_xor_b32_e32 v28, vcc_hi, v2
	v_xor_b32_e32 v2, vcc_lo, v2
	v_and_b32_e32 v26, v26, v2
	v_lshlrev_b32_e32 v2, 28, v3
	v_cmp_gt_i64_e32 vcc, 0, v[1:2]
	v_not_b32_e32 v2, v2
	v_ashrrev_i32_e32 v2, 31, v2
	v_and_b32_e32 v4, v4, v28
	v_xor_b32_e32 v28, vcc_hi, v2
	v_xor_b32_e32 v2, vcc_lo, v2
	v_and_b32_e32 v26, v26, v2
	v_lshlrev_b32_e32 v2, 27, v3
	v_cmp_gt_i64_e32 vcc, 0, v[1:2]
	v_not_b32_e32 v2, v2
	v_ashrrev_i32_e32 v2, 31, v2
	v_and_b32_e32 v4, v4, v28
	v_xor_b32_e32 v28, vcc_hi, v2
	v_xor_b32_e32 v2, vcc_lo, v2
	v_and_b32_e32 v26, v26, v2
	v_lshlrev_b32_e32 v2, 26, v3
	v_cmp_gt_i64_e32 vcc, 0, v[1:2]
	v_not_b32_e32 v2, v2
	v_ashrrev_i32_e32 v2, 31, v2
	v_and_b32_e32 v4, v4, v28
	v_xor_b32_e32 v28, vcc_hi, v2
	v_xor_b32_e32 v2, vcc_lo, v2
	v_and_b32_e32 v26, v26, v2
	v_lshlrev_b32_e32 v2, 25, v3
	v_cmp_gt_i64_e32 vcc, 0, v[1:2]
	v_not_b32_e32 v2, v2
	v_ashrrev_i32_e32 v2, 31, v2
	v_and_b32_e32 v4, v4, v28
	v_xor_b32_e32 v28, vcc_hi, v2
	v_xor_b32_e32 v2, vcc_lo, v2
	v_and_b32_e32 v26, v26, v2
	v_lshlrev_b32_e32 v2, 24, v3
	v_cmp_gt_i64_e32 vcc, 0, v[1:2]
	v_not_b32_e32 v1, v2
	v_ashrrev_i32_e32 v1, 31, v1
	v_xor_b32_e32 v2, vcc_hi, v1
	v_xor_b32_e32 v1, vcc_lo, v1
	ds_read_b32 v22, v30 offset:32
	v_and_b32_e32 v4, v4, v28
	v_and_b32_e32 v1, v26, v1
	v_and_b32_e32 v2, v4, v2
	v_mbcnt_lo_u32_b32 v3, v1, 0
	v_mbcnt_hi_u32_b32 v26, v2, v3
	v_cmp_ne_u64_e32 vcc, 0, v[1:2]
	v_cmp_eq_u32_e64 s[4:5], 0, v26
	s_and_b64 s[6:7], vcc, s[4:5]
	; wave barrier
	s_and_saveexec_b64 s[4:5], s[6:7]
	s_cbranch_execz .LBB869_101
; %bb.100:
	v_bcnt_u32_b32 v1, v1, 0
	v_bcnt_u32_b32 v1, v2, v1
	s_waitcnt lgkmcnt(0)
	v_add_u32_e32 v1, v22, v1
	ds_write_b32 v30, v1 offset:32
.LBB869_101:
	s_or_b64 exec, exec, s[4:5]
	v_xor_b32_e32 v17, 0x80000000, v17
	v_lshrrev_b32_e32 v1, s48, v17
	v_and_b32_e32 v3, s17, v1
	v_mul_lo_u32 v1, v3, 36
	v_and_b32_e32 v2, 1, v3
	v_add_co_u32_e32 v4, vcc, -1, v2
	v_addc_co_u32_e64 v31, s[4:5], 0, -1, vcc
	v_cmp_ne_u32_e32 vcc, 0, v2
	v_xor_b32_e32 v2, vcc_hi, v31
	v_lshl_add_u32 v34, v27, 2, v1
	v_mov_b32_e32 v1, 0
	v_and_b32_e32 v31, exec_hi, v2
	v_lshlrev_b32_e32 v2, 30, v3
	v_xor_b32_e32 v4, vcc_lo, v4
	v_cmp_gt_i64_e32 vcc, 0, v[1:2]
	v_not_b32_e32 v2, v2
	v_ashrrev_i32_e32 v2, 31, v2
	v_and_b32_e32 v4, exec_lo, v4
	v_xor_b32_e32 v32, vcc_hi, v2
	v_xor_b32_e32 v2, vcc_lo, v2
	v_and_b32_e32 v4, v4, v2
	v_lshlrev_b32_e32 v2, 29, v3
	v_cmp_gt_i64_e32 vcc, 0, v[1:2]
	v_not_b32_e32 v2, v2
	v_ashrrev_i32_e32 v2, 31, v2
	v_and_b32_e32 v31, v31, v32
	v_xor_b32_e32 v32, vcc_hi, v2
	v_xor_b32_e32 v2, vcc_lo, v2
	v_and_b32_e32 v4, v4, v2
	v_lshlrev_b32_e32 v2, 28, v3
	v_cmp_gt_i64_e32 vcc, 0, v[1:2]
	v_not_b32_e32 v2, v2
	v_ashrrev_i32_e32 v2, 31, v2
	v_and_b32_e32 v31, v31, v32
	;; [unrolled: 8-line block ×5, first 2 shown]
	v_xor_b32_e32 v32, vcc_hi, v2
	v_xor_b32_e32 v2, vcc_lo, v2
	v_and_b32_e32 v4, v4, v2
	v_lshlrev_b32_e32 v2, 24, v3
	v_cmp_gt_i64_e32 vcc, 0, v[1:2]
	v_not_b32_e32 v2, v2
	v_ashrrev_i32_e32 v2, 31, v2
	v_xor_b32_e32 v3, vcc_hi, v2
	v_xor_b32_e32 v2, vcc_lo, v2
	; wave barrier
	ds_read_b32 v28, v34 offset:32
	v_and_b32_e32 v31, v31, v32
	v_and_b32_e32 v2, v4, v2
	;; [unrolled: 1-line block ×3, first 2 shown]
	v_mbcnt_lo_u32_b32 v4, v2, 0
	v_mbcnt_hi_u32_b32 v31, v3, v4
	v_cmp_ne_u64_e32 vcc, 0, v[2:3]
	v_cmp_eq_u32_e64 s[4:5], 0, v31
	s_and_b64 s[6:7], vcc, s[4:5]
	; wave barrier
	s_and_saveexec_b64 s[4:5], s[6:7]
	s_cbranch_execz .LBB869_103
; %bb.102:
	v_bcnt_u32_b32 v2, v2, 0
	v_bcnt_u32_b32 v2, v3, v2
	s_waitcnt lgkmcnt(0)
	v_add_u32_e32 v2, v28, v2
	ds_write_b32 v34, v2 offset:32
.LBB869_103:
	s_or_b64 exec, exec, s[4:5]
	v_xor_b32_e32 v23, 0x80000000, v23
	v_lshrrev_b32_e32 v2, s48, v23
	v_and_b32_e32 v3, s17, v2
	v_mul_lo_u32 v2, v3, 36
	v_and_b32_e32 v4, 1, v3
	; wave barrier
	v_lshl_add_u32 v37, v27, 2, v2
	v_add_co_u32_e32 v2, vcc, -1, v4
	v_addc_co_u32_e64 v33, s[4:5], 0, -1, vcc
	v_cmp_ne_u32_e32 vcc, 0, v4
	v_xor_b32_e32 v2, vcc_lo, v2
	v_xor_b32_e32 v4, vcc_hi, v33
	v_and_b32_e32 v33, exec_lo, v2
	v_lshlrev_b32_e32 v2, 30, v3
	v_cmp_gt_i64_e32 vcc, 0, v[1:2]
	v_not_b32_e32 v2, v2
	v_ashrrev_i32_e32 v2, 31, v2
	v_xor_b32_e32 v35, vcc_hi, v2
	v_xor_b32_e32 v2, vcc_lo, v2
	v_and_b32_e32 v33, v33, v2
	v_lshlrev_b32_e32 v2, 29, v3
	v_cmp_gt_i64_e32 vcc, 0, v[1:2]
	v_not_b32_e32 v2, v2
	v_and_b32_e32 v4, exec_hi, v4
	v_ashrrev_i32_e32 v2, 31, v2
	v_and_b32_e32 v4, v4, v35
	v_xor_b32_e32 v35, vcc_hi, v2
	v_xor_b32_e32 v2, vcc_lo, v2
	v_and_b32_e32 v33, v33, v2
	v_lshlrev_b32_e32 v2, 28, v3
	v_cmp_gt_i64_e32 vcc, 0, v[1:2]
	v_not_b32_e32 v2, v2
	v_ashrrev_i32_e32 v2, 31, v2
	v_and_b32_e32 v4, v4, v35
	v_xor_b32_e32 v35, vcc_hi, v2
	v_xor_b32_e32 v2, vcc_lo, v2
	v_and_b32_e32 v33, v33, v2
	v_lshlrev_b32_e32 v2, 27, v3
	v_cmp_gt_i64_e32 vcc, 0, v[1:2]
	v_not_b32_e32 v2, v2
	;; [unrolled: 8-line block ×5, first 2 shown]
	v_ashrrev_i32_e32 v1, 31, v1
	v_xor_b32_e32 v2, vcc_hi, v1
	v_xor_b32_e32 v1, vcc_lo, v1
	ds_read_b32 v32, v37 offset:32
	v_and_b32_e32 v4, v4, v35
	v_and_b32_e32 v1, v33, v1
	;; [unrolled: 1-line block ×3, first 2 shown]
	v_mbcnt_lo_u32_b32 v3, v1, 0
	v_mbcnt_hi_u32_b32 v35, v2, v3
	v_cmp_ne_u64_e32 vcc, 0, v[1:2]
	v_cmp_eq_u32_e64 s[4:5], 0, v35
	s_and_b64 s[6:7], vcc, s[4:5]
	; wave barrier
	s_and_saveexec_b64 s[4:5], s[6:7]
	s_cbranch_execz .LBB869_105
; %bb.104:
	v_bcnt_u32_b32 v1, v1, 0
	v_bcnt_u32_b32 v1, v2, v1
	s_waitcnt lgkmcnt(0)
	v_add_u32_e32 v1, v32, v1
	ds_write_b32 v37, v1 offset:32
.LBB869_105:
	s_or_b64 exec, exec, s[4:5]
	v_xor_b32_e32 v29, 0x80000000, v29
	v_lshrrev_b32_e32 v1, s48, v29
	v_and_b32_e32 v3, s17, v1
	v_mul_lo_u32 v1, v3, 36
	v_and_b32_e32 v2, 1, v3
	v_add_co_u32_e32 v4, vcc, -1, v2
	v_addc_co_u32_e64 v33, s[4:5], 0, -1, vcc
	v_cmp_ne_u32_e32 vcc, 0, v2
	v_xor_b32_e32 v2, vcc_hi, v33
	v_lshl_add_u32 v39, v27, 2, v1
	v_mov_b32_e32 v1, 0
	v_and_b32_e32 v33, exec_hi, v2
	v_lshlrev_b32_e32 v2, 30, v3
	v_xor_b32_e32 v4, vcc_lo, v4
	v_cmp_gt_i64_e32 vcc, 0, v[1:2]
	v_not_b32_e32 v2, v2
	v_ashrrev_i32_e32 v2, 31, v2
	v_and_b32_e32 v4, exec_lo, v4
	v_xor_b32_e32 v38, vcc_hi, v2
	v_xor_b32_e32 v2, vcc_lo, v2
	v_and_b32_e32 v4, v4, v2
	v_lshlrev_b32_e32 v2, 29, v3
	v_cmp_gt_i64_e32 vcc, 0, v[1:2]
	v_not_b32_e32 v2, v2
	v_ashrrev_i32_e32 v2, 31, v2
	v_and_b32_e32 v33, v33, v38
	v_xor_b32_e32 v38, vcc_hi, v2
	v_xor_b32_e32 v2, vcc_lo, v2
	v_and_b32_e32 v4, v4, v2
	v_lshlrev_b32_e32 v2, 28, v3
	v_cmp_gt_i64_e32 vcc, 0, v[1:2]
	v_not_b32_e32 v2, v2
	v_ashrrev_i32_e32 v2, 31, v2
	v_and_b32_e32 v33, v33, v38
	;; [unrolled: 8-line block ×5, first 2 shown]
	v_xor_b32_e32 v38, vcc_hi, v2
	v_xor_b32_e32 v2, vcc_lo, v2
	v_and_b32_e32 v4, v4, v2
	v_lshlrev_b32_e32 v2, 24, v3
	v_cmp_gt_i64_e32 vcc, 0, v[1:2]
	v_not_b32_e32 v2, v2
	v_ashrrev_i32_e32 v2, 31, v2
	v_xor_b32_e32 v3, vcc_hi, v2
	v_xor_b32_e32 v2, vcc_lo, v2
	; wave barrier
	ds_read_b32 v36, v39 offset:32
	v_and_b32_e32 v33, v33, v38
	v_and_b32_e32 v2, v4, v2
	;; [unrolled: 1-line block ×3, first 2 shown]
	v_mbcnt_lo_u32_b32 v4, v2, 0
	v_mbcnt_hi_u32_b32 v38, v3, v4
	v_cmp_ne_u64_e32 vcc, 0, v[2:3]
	v_cmp_eq_u32_e64 s[4:5], 0, v38
	s_and_b64 s[6:7], vcc, s[4:5]
	; wave barrier
	s_and_saveexec_b64 s[4:5], s[6:7]
	s_cbranch_execz .LBB869_107
; %bb.106:
	v_bcnt_u32_b32 v2, v2, 0
	v_bcnt_u32_b32 v2, v3, v2
	s_waitcnt lgkmcnt(0)
	v_add_u32_e32 v2, v36, v2
	ds_write_b32 v39, v2 offset:32
.LBB869_107:
	s_or_b64 exec, exec, s[4:5]
	v_xor_b32_e32 v33, 0x80000000, v24
	v_lshrrev_b32_e32 v2, s48, v33
	v_and_b32_e32 v3, s17, v2
	v_mul_lo_u32 v2, v3, 36
	v_and_b32_e32 v4, 1, v3
	; wave barrier
	v_lshl_add_u32 v41, v27, 2, v2
	v_add_co_u32_e32 v2, vcc, -1, v4
	v_addc_co_u32_e64 v24, s[4:5], 0, -1, vcc
	v_cmp_ne_u32_e32 vcc, 0, v4
	v_xor_b32_e32 v2, vcc_lo, v2
	v_xor_b32_e32 v4, vcc_hi, v24
	v_and_b32_e32 v24, exec_lo, v2
	v_lshlrev_b32_e32 v2, 30, v3
	v_cmp_gt_i64_e32 vcc, 0, v[1:2]
	v_not_b32_e32 v2, v2
	v_ashrrev_i32_e32 v2, 31, v2
	v_xor_b32_e32 v40, vcc_hi, v2
	v_xor_b32_e32 v2, vcc_lo, v2
	v_and_b32_e32 v24, v24, v2
	v_lshlrev_b32_e32 v2, 29, v3
	v_cmp_gt_i64_e32 vcc, 0, v[1:2]
	v_not_b32_e32 v2, v2
	v_and_b32_e32 v4, exec_hi, v4
	v_ashrrev_i32_e32 v2, 31, v2
	v_and_b32_e32 v4, v4, v40
	v_xor_b32_e32 v40, vcc_hi, v2
	v_xor_b32_e32 v2, vcc_lo, v2
	v_and_b32_e32 v24, v24, v2
	v_lshlrev_b32_e32 v2, 28, v3
	v_cmp_gt_i64_e32 vcc, 0, v[1:2]
	v_not_b32_e32 v2, v2
	v_ashrrev_i32_e32 v2, 31, v2
	v_and_b32_e32 v4, v4, v40
	v_xor_b32_e32 v40, vcc_hi, v2
	v_xor_b32_e32 v2, vcc_lo, v2
	v_and_b32_e32 v24, v24, v2
	v_lshlrev_b32_e32 v2, 27, v3
	v_cmp_gt_i64_e32 vcc, 0, v[1:2]
	v_not_b32_e32 v2, v2
	;; [unrolled: 8-line block ×5, first 2 shown]
	v_ashrrev_i32_e32 v1, 31, v1
	v_xor_b32_e32 v2, vcc_hi, v1
	v_xor_b32_e32 v1, vcc_lo, v1
	ds_read_b32 v27, v41 offset:32
	v_and_b32_e32 v4, v4, v40
	v_and_b32_e32 v1, v24, v1
	;; [unrolled: 1-line block ×3, first 2 shown]
	v_mbcnt_lo_u32_b32 v3, v1, 0
	v_mbcnt_hi_u32_b32 v40, v2, v3
	v_cmp_ne_u64_e32 vcc, 0, v[1:2]
	v_cmp_eq_u32_e64 s[4:5], 0, v40
	s_and_b64 s[6:7], vcc, s[4:5]
	; wave barrier
	s_and_saveexec_b64 s[4:5], s[6:7]
	s_cbranch_execz .LBB869_109
; %bb.108:
	v_bcnt_u32_b32 v1, v1, 0
	v_bcnt_u32_b32 v1, v2, v1
	s_waitcnt lgkmcnt(0)
	v_add_u32_e32 v1, v27, v1
	ds_write_b32 v41, v1 offset:32
.LBB869_109:
	s_or_b64 exec, exec, s[4:5]
	; wave barrier
	s_waitcnt lgkmcnt(0)
	s_barrier
	ds_read2_b32 v[3:4], v6 offset0:8 offset1:9
	ds_read2_b32 v[1:2], v6 offset0:10 offset1:11
	ds_read_b32 v24, v6 offset:48
	s_waitcnt lgkmcnt(1)
	v_add3_u32 v42, v4, v3, v1
	s_waitcnt lgkmcnt(0)
	v_add3_u32 v24, v42, v2, v24
	v_and_b32_e32 v42, 15, v5
	v_cmp_ne_u32_e32 vcc, 0, v42
	v_mov_b32_dpp v43, v24 row_shr:1 row_mask:0xf bank_mask:0xf
	v_cndmask_b32_e32 v43, 0, v43, vcc
	v_add_u32_e32 v24, v43, v24
	v_cmp_lt_u32_e32 vcc, 1, v42
	s_nop 0
	v_mov_b32_dpp v43, v24 row_shr:2 row_mask:0xf bank_mask:0xf
	v_cndmask_b32_e32 v43, 0, v43, vcc
	v_add_u32_e32 v24, v24, v43
	v_cmp_lt_u32_e32 vcc, 3, v42
	s_nop 0
	;; [unrolled: 5-line block ×3, first 2 shown]
	v_mov_b32_dpp v43, v24 row_shr:8 row_mask:0xf bank_mask:0xf
	v_cndmask_b32_e32 v42, 0, v43, vcc
	v_add_u32_e32 v24, v24, v42
	v_bfe_i32 v43, v5, 4, 1
	v_cmp_lt_u32_e32 vcc, 31, v5
	v_mov_b32_dpp v42, v24 row_bcast:15 row_mask:0xf bank_mask:0xf
	v_and_b32_e32 v42, v43, v42
	v_add_u32_e32 v24, v24, v42
	v_lshrrev_b32_e32 v43, 6, v0
	s_nop 0
	v_mov_b32_dpp v42, v24 row_bcast:31 row_mask:0xf bank_mask:0xf
	v_cndmask_b32_e32 v42, 0, v42, vcc
	v_add_u32_e32 v42, v24, v42
	v_or_b32_e32 v24, 63, v0
	v_cmp_eq_u32_e32 vcc, v0, v24
	s_and_saveexec_b64 s[4:5], vcc
; %bb.110:
	v_lshlrev_b32_e32 v24, 2, v43
	ds_write_b32 v24, v42
; %bb.111:
	s_or_b64 exec, exec, s[4:5]
	v_cmp_gt_u32_e32 vcc, 8, v0
	v_lshlrev_b32_e32 v24, 2, v0
	s_waitcnt lgkmcnt(0)
	s_barrier
	s_and_saveexec_b64 s[4:5], vcc
	s_cbranch_execz .LBB869_113
; %bb.112:
	ds_read_b32 v44, v24
	v_and_b32_e32 v45, 7, v5
	v_cmp_ne_u32_e32 vcc, 0, v45
	s_waitcnt lgkmcnt(0)
	v_mov_b32_dpp v46, v44 row_shr:1 row_mask:0xf bank_mask:0xf
	v_cndmask_b32_e32 v46, 0, v46, vcc
	v_add_u32_e32 v44, v46, v44
	v_cmp_lt_u32_e32 vcc, 1, v45
	s_nop 0
	v_mov_b32_dpp v46, v44 row_shr:2 row_mask:0xf bank_mask:0xf
	v_cndmask_b32_e32 v46, 0, v46, vcc
	v_add_u32_e32 v44, v44, v46
	v_cmp_lt_u32_e32 vcc, 3, v45
	s_nop 0
	v_mov_b32_dpp v46, v44 row_shr:4 row_mask:0xf bank_mask:0xf
	v_cndmask_b32_e32 v45, 0, v46, vcc
	v_add_u32_e32 v44, v44, v45
	ds_write_b32 v24, v44
.LBB869_113:
	s_or_b64 exec, exec, s[4:5]
	v_cmp_lt_u32_e32 vcc, 63, v0
	v_mov_b32_e32 v44, 0
	s_waitcnt lgkmcnt(0)
	s_barrier
	s_and_saveexec_b64 s[4:5], vcc
; %bb.114:
	v_lshl_add_u32 v43, v43, 2, -4
	ds_read_b32 v44, v43
; %bb.115:
	s_or_b64 exec, exec, s[4:5]
	v_subrev_co_u32_e32 v43, vcc, 1, v5
	v_and_b32_e32 v45, 64, v5
	v_cmp_lt_i32_e64 s[4:5], v43, v45
	v_cndmask_b32_e64 v5, v43, v5, s[4:5]
	s_waitcnt lgkmcnt(0)
	v_add_u32_e32 v42, v44, v42
	v_lshlrev_b32_e32 v5, 2, v5
	ds_bpermute_b32 v5, v5, v42
	s_movk_i32 s4, 0xff
	s_movk_i32 s6, 0x100
	v_cmp_lt_u32_e64 s[4:5], s4, v0
	s_waitcnt lgkmcnt(0)
	v_cndmask_b32_e32 v5, v5, v44, vcc
	v_cndmask_b32_e64 v5, v5, 0, s[26:27]
	v_add_u32_e32 v3, v5, v3
	v_add_u32_e32 v4, v3, v4
	;; [unrolled: 1-line block ×4, first 2 shown]
	ds_write2_b32 v6, v5, v3 offset0:8 offset1:9
	ds_write2_b32 v6, v4, v1 offset0:10 offset1:11
	ds_write_b32 v6, v2 offset:48
	s_waitcnt lgkmcnt(0)
	s_barrier
	ds_read_b32 v45, v18 offset:32
	ds_read_b32 v18, v19 offset:32
	;; [unrolled: 1-line block ×8, first 2 shown]
	v_cmp_gt_u32_e32 vcc, s6, v0
                                        ; implicit-def: $vgpr19
                                        ; implicit-def: $vgpr25
	s_and_saveexec_b64 s[10:11], vcc
	s_cbranch_execz .LBB869_119
; %bb.116:
	v_mul_u32_u24_e32 v1, 36, v0
	ds_read_b32 v19, v1 offset:32
	v_add_u32_e32 v2, 1, v0
	v_cmp_ne_u32_e64 s[6:7], s6, v2
	v_mov_b32_e32 v1, 0x1000
	s_and_saveexec_b64 s[12:13], s[6:7]
; %bb.117:
	v_mul_u32_u24_e32 v1, 36, v2
	ds_read_b32 v1, v1 offset:32
; %bb.118:
	s_or_b64 exec, exec, s[12:13]
	s_waitcnt lgkmcnt(0)
	v_sub_u32_e32 v25, v1, v19
.LBB869_119:
	s_or_b64 exec, exec, s[10:11]
	v_mov_b32_e32 v2, 0
	s_waitcnt lgkmcnt(0)
	s_barrier
	s_and_saveexec_b64 s[6:7], vcc
	s_cbranch_execz .LBB869_129
; %bb.120:
	v_lshl_add_u32 v1, s33, 8, v0
	v_lshlrev_b64 v[3:4], 2, v[1:2]
	v_mov_b32_e32 v30, s31
	v_add_co_u32_e32 v3, vcc, s30, v3
	v_addc_co_u32_e32 v4, vcc, v30, v4, vcc
	v_or_b32_e32 v1, 2.0, v25
	s_mov_b64 s[10:11], 0
	s_brev_b32 s18, -4
	s_mov_b32 s19, s33
	v_mov_b32_e32 v41, 0
	global_store_dword v[3:4], v1, off
                                        ; implicit-def: $sgpr12_sgpr13
	s_branch .LBB869_123
.LBB869_121:                            ;   in Loop: Header=BB869_123 Depth=1
	s_or_b64 exec, exec, s[14:15]
.LBB869_122:                            ;   in Loop: Header=BB869_123 Depth=1
	s_or_b64 exec, exec, s[12:13]
	v_and_b32_e32 v5, 0x3fffffff, v1
	v_add_u32_e32 v41, v5, v41
	v_cmp_gt_i32_e64 s[12:13], -2.0, v1
	s_and_b64 s[14:15], exec, s[12:13]
	s_or_b64 s[10:11], s[14:15], s[10:11]
	s_andn2_b64 exec, exec, s[10:11]
	s_cbranch_execz .LBB869_128
.LBB869_123:                            ; =>This Loop Header: Depth=1
                                        ;     Child Loop BB869_126 Depth 2
	s_or_b64 s[12:13], s[12:13], exec
	s_cmp_eq_u32 s19, 0
	s_cbranch_scc1 .LBB869_127
; %bb.124:                              ;   in Loop: Header=BB869_123 Depth=1
	s_add_i32 s19, s19, -1
	v_lshl_or_b32 v1, s19, 8, v0
	v_lshlrev_b64 v[5:6], 2, v[1:2]
	v_add_co_u32_e32 v5, vcc, s30, v5
	v_addc_co_u32_e32 v6, vcc, v30, v6, vcc
	global_load_dword v1, v[5:6], off glc
	s_waitcnt vmcnt(0)
	v_cmp_gt_u32_e32 vcc, 2.0, v1
	s_and_saveexec_b64 s[12:13], vcc
	s_cbranch_execz .LBB869_122
; %bb.125:                              ;   in Loop: Header=BB869_123 Depth=1
	s_mov_b64 s[14:15], 0
.LBB869_126:                            ;   Parent Loop BB869_123 Depth=1
                                        ; =>  This Inner Loop Header: Depth=2
	global_load_dword v1, v[5:6], off glc
	s_waitcnt vmcnt(0)
	v_cmp_lt_u32_e32 vcc, s18, v1
	s_or_b64 s[14:15], vcc, s[14:15]
	s_andn2_b64 exec, exec, s[14:15]
	s_cbranch_execnz .LBB869_126
	s_branch .LBB869_121
.LBB869_127:                            ;   in Loop: Header=BB869_123 Depth=1
                                        ; implicit-def: $sgpr19
	s_and_b64 s[14:15], exec, s[12:13]
	s_or_b64 s[10:11], s[14:15], s[10:11]
	s_andn2_b64 exec, exec, s[10:11]
	s_cbranch_execnz .LBB869_123
.LBB869_128:
	s_or_b64 exec, exec, s[10:11]
	v_add_u32_e32 v1, v41, v25
	v_or_b32_e32 v1, 0x80000000, v1
	global_store_dword v[3:4], v1, off
	global_load_dword v1, v24, s[44:45]
	v_sub_u32_e32 v2, v41, v19
	s_waitcnt vmcnt(0)
	v_add_u32_e32 v1, v2, v1
	ds_write_b32 v24, v1
.LBB869_129:
	s_or_b64 exec, exec, s[6:7]
	v_add_u32_e32 v30, v45, v12
	s_mov_b32 s12, 16
	v_add3_u32 v27, v40, v39, v27
	v_add3_u32 v34, v38, v34, v36
	v_add3_u32 v32, v35, v37, v32
	v_add3_u32 v28, v31, v44, v28
	v_add3_u32 v22, v26, v43, v22
	v_add3_u32 v20, v20, v42, v16
	v_add3_u32 v26, v15, v18, v13
	s_mov_b32 s19, 0
	s_mov_b64 s[10:11], -1
	s_mov_b32 s13, 0
	v_mov_b32_e32 v2, 0
	v_mov_b32_e32 v3, s39
	s_movk_i32 s14, 0x200
	s_movk_i32 s15, 0x400
	;; [unrolled: 1-line block ×3, first 2 shown]
	v_mov_b32_e32 v4, v0
.LBB869_130:                            ; =>This Inner Loop Header: Depth=1
	v_add_u32_e32 v1, s13, v30
	v_add_u32_e32 v5, s13, v26
	;; [unrolled: 1-line block ×8, first 2 shown]
	v_min_u32_e32 v1, 0x800, v1
	v_min_u32_e32 v5, 0x800, v5
	v_min_u32_e32 v6, 0x800, v6
	v_min_u32_e32 v12, 0x800, v12
	v_min_u32_e32 v13, 0x800, v13
	v_min_u32_e32 v15, 0x800, v15
	v_min_u32_e32 v16, 0x800, v16
	v_min_u32_e32 v18, 0x800, v18
	v_lshlrev_b32_e32 v1, 2, v1
	v_lshlrev_b32_e32 v5, 2, v5
	;; [unrolled: 1-line block ×8, first 2 shown]
	ds_write_b32 v1, v9 offset:1024
	ds_write_b32 v5, v10 offset:1024
	;; [unrolled: 1-line block ×8, first 2 shown]
	s_waitcnt lgkmcnt(0)
	s_barrier
	ds_read2st64_b32 v[5:6], v24 offset0:4 offset1:12
	ds_read2st64_b32 v[12:13], v24 offset0:20 offset1:28
	v_mov_b32_e32 v31, s19
	s_addk_i32 s13, 0xf800
	s_and_b64 vcc, exec, s[10:11]
	s_waitcnt lgkmcnt(1)
	v_lshrrev_b32_e32 v1, s48, v5
	v_xor_b32_e32 v18, 0x80000000, v5
	v_lshrrev_b32_e32 v5, s48, v6
	v_xor_b32_e32 v35, 0x80000000, v6
	s_waitcnt lgkmcnt(0)
	v_lshrrev_b32_e32 v6, s48, v12
	v_xor_b32_e32 v36, 0x80000000, v12
	v_lshrrev_b32_e32 v12, s48, v13
	v_and_b32_e32 v1, s17, v1
	v_and_b32_e32 v5, s17, v5
	;; [unrolled: 1-line block ×4, first 2 shown]
	v_xor_b32_e32 v37, 0x80000000, v13
	v_lshlrev_b32_e32 v13, 2, v1
	buffer_store_dword v1, v31, s[0:3], 0 offen
	buffer_store_dword v5, v31, s[0:3], 0 offen offset:4
	buffer_store_dword v6, v31, s[0:3], 0 offen offset:8
	;; [unrolled: 1-line block ×3, first 2 shown]
	v_lshlrev_b32_e32 v1, 2, v5
	v_lshlrev_b32_e32 v5, 2, v6
	;; [unrolled: 1-line block ×3, first 2 shown]
	ds_read_b32 v12, v13
	ds_read_b32 v13, v1
	;; [unrolled: 1-line block ×4, first 2 shown]
	s_mov_b64 s[10:11], 0
	s_waitcnt lgkmcnt(3)
	v_add_u32_e32 v1, v4, v12
	v_lshlrev_b64 v[5:6], 2, v[1:2]
	s_waitcnt lgkmcnt(2)
	v_add3_u32 v1, v4, v13, s14
	v_lshlrev_b64 v[12:13], 2, v[1:2]
	v_add_co_u32_e64 v5, s[6:7], s38, v5
	s_waitcnt lgkmcnt(1)
	v_add3_u32 v1, v4, v15, s15
	v_addc_co_u32_e64 v6, s[6:7], v3, v6, s[6:7]
	v_lshlrev_b64 v[15:16], 2, v[1:2]
	global_store_dword v[5:6], v18, off
	v_add_co_u32_e64 v5, s[6:7], s38, v12
	s_waitcnt lgkmcnt(0)
	v_add3_u32 v1, v4, v31, s18
	v_addc_co_u32_e64 v6, s[6:7], v3, v13, s[6:7]
	v_lshlrev_b64 v[12:13], 2, v[1:2]
	global_store_dword v[5:6], v35, off
	v_add_co_u32_e64 v5, s[6:7], s38, v15
	v_addc_co_u32_e64 v6, s[6:7], v3, v16, s[6:7]
	global_store_dword v[5:6], v36, off
	v_add_co_u32_e64 v5, s[6:7], s38, v12
	s_mov_b32 s19, s12
	v_add_u32_e32 v4, 0x800, v4
	v_addc_co_u32_e64 v6, s[6:7], v3, v13, s[6:7]
	global_store_dword v[5:6], v37, off
	s_waitcnt vmcnt(0)
	s_barrier
	s_cbranch_vccnz .LBB869_130
; %bb.131:
	s_lshl_b64 s[6:7], s[8:9], 3
	s_add_u32 s6, s40, s6
	s_addc_u32 s7, s41, s7
	v_lshlrev_b32_e32 v1, 3, v8
	v_mov_b32_e32 v2, s7
	v_add_co_u32_e32 v1, vcc, s6, v1
	v_addc_co_u32_e32 v2, vcc, 0, v2, vcc
	v_lshlrev_b32_e32 v3, 3, v7
	v_add_co_u32_e32 v17, vcc, v1, v3
	v_addc_co_u32_e32 v18, vcc, 0, v2, vcc
	global_load_dwordx2 v[1:2], v[17:18], off
	global_load_dwordx2 v[3:4], v[17:18], off offset:512
	global_load_dwordx2 v[5:6], v[17:18], off offset:1024
	;; [unrolled: 1-line block ×7, first 2 shown]
	v_mov_b32_e32 v18, 0
	s_mov_b32 s6, 0
	s_mov_b32 s7, 0
	v_mov_b32_e32 v23, s43
	s_movk_i32 s8, 0x200
.LBB869_132:                            ; =>This Inner Loop Header: Depth=1
	v_add_u32_e32 v17, s7, v30
	v_add_u32_e32 v29, s7, v26
	;; [unrolled: 1-line block ×8, first 2 shown]
	v_min_u32_e32 v17, 0x400, v17
	v_min_u32_e32 v29, 0x400, v29
	v_mov_b32_e32 v39, s6
	v_min_u32_e32 v31, 0x400, v31
	v_min_u32_e32 v33, 0x400, v33
	;; [unrolled: 1-line block ×6, first 2 shown]
	v_lshlrev_b32_e32 v17, 3, v17
	v_lshlrev_b32_e32 v29, 3, v29
	;; [unrolled: 1-line block ×8, first 2 shown]
	s_waitcnt vmcnt(7)
	ds_write_b64 v17, v[1:2] offset:1024
	s_waitcnt vmcnt(6)
	ds_write_b64 v29, v[3:4] offset:1024
	;; [unrolled: 2-line block ×8, first 2 shown]
	s_waitcnt lgkmcnt(0)
	s_barrier
	buffer_load_dword v17, v39, s[0:3], 0 offen
	buffer_load_dword v29, v39, s[0:3], 0 offen offset:4
	ds_read2st64_b64 v[35:38], v21 offset0:2 offset1:10
	s_addk_i32 s7, 0xfc00
	s_add_i32 s6, s6, 8
	s_cmpk_lg_i32 s7, 0xf000
	s_waitcnt vmcnt(1)
	v_lshlrev_b32_e32 v17, 2, v17
	s_waitcnt vmcnt(0)
	v_lshlrev_b32_e32 v29, 2, v29
	ds_read_b32 v17, v17
	ds_read_b32 v29, v29
	s_waitcnt lgkmcnt(1)
	v_add_u32_e32 v17, v0, v17
	v_lshlrev_b64 v[39:40], 3, v[17:18]
	s_waitcnt lgkmcnt(0)
	v_add3_u32 v17, v0, v29, s8
	v_lshlrev_b64 v[41:42], 3, v[17:18]
	v_add_co_u32_e32 v39, vcc, s42, v39
	v_addc_co_u32_e32 v40, vcc, v23, v40, vcc
	global_store_dwordx2 v[39:40], v[35:36], off
	v_add_co_u32_e32 v35, vcc, s42, v41
	v_add_u32_e32 v0, 0x400, v0
	v_addc_co_u32_e32 v36, vcc, v23, v42, vcc
	global_store_dwordx2 v[35:36], v[37:38], off
	s_waitcnt vmcnt(0)
	s_barrier
	s_cbranch_scc1 .LBB869_132
; %bb.133:
	s_add_i32 s16, s16, -1
	s_cmp_eq_u32 s33, s16
	s_cselect_b64 s[6:7], -1, 0
	s_xor_b64 s[4:5], s[4:5], -1
	s_and_b64 s[4:5], s[4:5], s[6:7]
	s_and_saveexec_b64 s[6:7], s[4:5]
	s_cbranch_execz .LBB869_135
; %bb.134:
	ds_read_b32 v0, v24
	s_waitcnt lgkmcnt(0)
	v_add3_u32 v0, v19, v25, v0
	global_store_dword v24, v0, s[46:47]
.LBB869_135:
	s_endpgm
	.section	.rodata,"a",@progbits
	.p2align	6, 0x0
	.amdhsa_kernel _ZN7rocprim17ROCPRIM_400000_NS6detail17trampoline_kernelINS0_14default_configENS1_35radix_sort_onesweep_config_selectorIilEEZZNS1_29radix_sort_onesweep_iterationIS3_Lb0EPiS7_N6thrust23THRUST_200600_302600_NS10device_ptrIlEESB_jNS0_19identity_decomposerENS1_16block_id_wrapperIjLb1EEEEE10hipError_tT1_PNSt15iterator_traitsISG_E10value_typeET2_T3_PNSH_ISM_E10value_typeET4_T5_PSR_SS_PNS1_23onesweep_lookback_stateEbbT6_jjT7_P12ihipStream_tbENKUlT_T0_SG_SL_E_clIS7_S7_SB_SB_EEDaSZ_S10_SG_SL_EUlSZ_E_NS1_11comp_targetILNS1_3genE2ELNS1_11target_archE906ELNS1_3gpuE6ELNS1_3repE0EEENS1_47radix_sort_onesweep_sort_config_static_selectorELNS0_4arch9wavefront6targetE1EEEvSG_
		.amdhsa_group_segment_fixed_size 10280
		.amdhsa_private_segment_fixed_size 48
		.amdhsa_kernarg_size 344
		.amdhsa_user_sgpr_count 6
		.amdhsa_user_sgpr_private_segment_buffer 1
		.amdhsa_user_sgpr_dispatch_ptr 0
		.amdhsa_user_sgpr_queue_ptr 0
		.amdhsa_user_sgpr_kernarg_segment_ptr 1
		.amdhsa_user_sgpr_dispatch_id 0
		.amdhsa_user_sgpr_flat_scratch_init 0
		.amdhsa_user_sgpr_private_segment_size 0
		.amdhsa_uses_dynamic_stack 0
		.amdhsa_system_sgpr_private_segment_wavefront_offset 1
		.amdhsa_system_sgpr_workgroup_id_x 1
		.amdhsa_system_sgpr_workgroup_id_y 0
		.amdhsa_system_sgpr_workgroup_id_z 0
		.amdhsa_system_sgpr_workgroup_info 0
		.amdhsa_system_vgpr_workitem_id 2
		.amdhsa_next_free_vgpr 57
		.amdhsa_next_free_sgpr 60
		.amdhsa_reserve_vcc 1
		.amdhsa_reserve_flat_scratch 0
		.amdhsa_float_round_mode_32 0
		.amdhsa_float_round_mode_16_64 0
		.amdhsa_float_denorm_mode_32 3
		.amdhsa_float_denorm_mode_16_64 3
		.amdhsa_dx10_clamp 1
		.amdhsa_ieee_mode 1
		.amdhsa_fp16_overflow 0
		.amdhsa_exception_fp_ieee_invalid_op 0
		.amdhsa_exception_fp_denorm_src 0
		.amdhsa_exception_fp_ieee_div_zero 0
		.amdhsa_exception_fp_ieee_overflow 0
		.amdhsa_exception_fp_ieee_underflow 0
		.amdhsa_exception_fp_ieee_inexact 0
		.amdhsa_exception_int_div_zero 0
	.end_amdhsa_kernel
	.section	.text._ZN7rocprim17ROCPRIM_400000_NS6detail17trampoline_kernelINS0_14default_configENS1_35radix_sort_onesweep_config_selectorIilEEZZNS1_29radix_sort_onesweep_iterationIS3_Lb0EPiS7_N6thrust23THRUST_200600_302600_NS10device_ptrIlEESB_jNS0_19identity_decomposerENS1_16block_id_wrapperIjLb1EEEEE10hipError_tT1_PNSt15iterator_traitsISG_E10value_typeET2_T3_PNSH_ISM_E10value_typeET4_T5_PSR_SS_PNS1_23onesweep_lookback_stateEbbT6_jjT7_P12ihipStream_tbENKUlT_T0_SG_SL_E_clIS7_S7_SB_SB_EEDaSZ_S10_SG_SL_EUlSZ_E_NS1_11comp_targetILNS1_3genE2ELNS1_11target_archE906ELNS1_3gpuE6ELNS1_3repE0EEENS1_47radix_sort_onesweep_sort_config_static_selectorELNS0_4arch9wavefront6targetE1EEEvSG_,"axG",@progbits,_ZN7rocprim17ROCPRIM_400000_NS6detail17trampoline_kernelINS0_14default_configENS1_35radix_sort_onesweep_config_selectorIilEEZZNS1_29radix_sort_onesweep_iterationIS3_Lb0EPiS7_N6thrust23THRUST_200600_302600_NS10device_ptrIlEESB_jNS0_19identity_decomposerENS1_16block_id_wrapperIjLb1EEEEE10hipError_tT1_PNSt15iterator_traitsISG_E10value_typeET2_T3_PNSH_ISM_E10value_typeET4_T5_PSR_SS_PNS1_23onesweep_lookback_stateEbbT6_jjT7_P12ihipStream_tbENKUlT_T0_SG_SL_E_clIS7_S7_SB_SB_EEDaSZ_S10_SG_SL_EUlSZ_E_NS1_11comp_targetILNS1_3genE2ELNS1_11target_archE906ELNS1_3gpuE6ELNS1_3repE0EEENS1_47radix_sort_onesweep_sort_config_static_selectorELNS0_4arch9wavefront6targetE1EEEvSG_,comdat
.Lfunc_end869:
	.size	_ZN7rocprim17ROCPRIM_400000_NS6detail17trampoline_kernelINS0_14default_configENS1_35radix_sort_onesweep_config_selectorIilEEZZNS1_29radix_sort_onesweep_iterationIS3_Lb0EPiS7_N6thrust23THRUST_200600_302600_NS10device_ptrIlEESB_jNS0_19identity_decomposerENS1_16block_id_wrapperIjLb1EEEEE10hipError_tT1_PNSt15iterator_traitsISG_E10value_typeET2_T3_PNSH_ISM_E10value_typeET4_T5_PSR_SS_PNS1_23onesweep_lookback_stateEbbT6_jjT7_P12ihipStream_tbENKUlT_T0_SG_SL_E_clIS7_S7_SB_SB_EEDaSZ_S10_SG_SL_EUlSZ_E_NS1_11comp_targetILNS1_3genE2ELNS1_11target_archE906ELNS1_3gpuE6ELNS1_3repE0EEENS1_47radix_sort_onesweep_sort_config_static_selectorELNS0_4arch9wavefront6targetE1EEEvSG_, .Lfunc_end869-_ZN7rocprim17ROCPRIM_400000_NS6detail17trampoline_kernelINS0_14default_configENS1_35radix_sort_onesweep_config_selectorIilEEZZNS1_29radix_sort_onesweep_iterationIS3_Lb0EPiS7_N6thrust23THRUST_200600_302600_NS10device_ptrIlEESB_jNS0_19identity_decomposerENS1_16block_id_wrapperIjLb1EEEEE10hipError_tT1_PNSt15iterator_traitsISG_E10value_typeET2_T3_PNSH_ISM_E10value_typeET4_T5_PSR_SS_PNS1_23onesweep_lookback_stateEbbT6_jjT7_P12ihipStream_tbENKUlT_T0_SG_SL_E_clIS7_S7_SB_SB_EEDaSZ_S10_SG_SL_EUlSZ_E_NS1_11comp_targetILNS1_3genE2ELNS1_11target_archE906ELNS1_3gpuE6ELNS1_3repE0EEENS1_47radix_sort_onesweep_sort_config_static_selectorELNS0_4arch9wavefront6targetE1EEEvSG_
                                        ; -- End function
	.set _ZN7rocprim17ROCPRIM_400000_NS6detail17trampoline_kernelINS0_14default_configENS1_35radix_sort_onesweep_config_selectorIilEEZZNS1_29radix_sort_onesweep_iterationIS3_Lb0EPiS7_N6thrust23THRUST_200600_302600_NS10device_ptrIlEESB_jNS0_19identity_decomposerENS1_16block_id_wrapperIjLb1EEEEE10hipError_tT1_PNSt15iterator_traitsISG_E10value_typeET2_T3_PNSH_ISM_E10value_typeET4_T5_PSR_SS_PNS1_23onesweep_lookback_stateEbbT6_jjT7_P12ihipStream_tbENKUlT_T0_SG_SL_E_clIS7_S7_SB_SB_EEDaSZ_S10_SG_SL_EUlSZ_E_NS1_11comp_targetILNS1_3genE2ELNS1_11target_archE906ELNS1_3gpuE6ELNS1_3repE0EEENS1_47radix_sort_onesweep_sort_config_static_selectorELNS0_4arch9wavefront6targetE1EEEvSG_.num_vgpr, 57
	.set _ZN7rocprim17ROCPRIM_400000_NS6detail17trampoline_kernelINS0_14default_configENS1_35radix_sort_onesweep_config_selectorIilEEZZNS1_29radix_sort_onesweep_iterationIS3_Lb0EPiS7_N6thrust23THRUST_200600_302600_NS10device_ptrIlEESB_jNS0_19identity_decomposerENS1_16block_id_wrapperIjLb1EEEEE10hipError_tT1_PNSt15iterator_traitsISG_E10value_typeET2_T3_PNSH_ISM_E10value_typeET4_T5_PSR_SS_PNS1_23onesweep_lookback_stateEbbT6_jjT7_P12ihipStream_tbENKUlT_T0_SG_SL_E_clIS7_S7_SB_SB_EEDaSZ_S10_SG_SL_EUlSZ_E_NS1_11comp_targetILNS1_3genE2ELNS1_11target_archE906ELNS1_3gpuE6ELNS1_3repE0EEENS1_47radix_sort_onesweep_sort_config_static_selectorELNS0_4arch9wavefront6targetE1EEEvSG_.num_agpr, 0
	.set _ZN7rocprim17ROCPRIM_400000_NS6detail17trampoline_kernelINS0_14default_configENS1_35radix_sort_onesweep_config_selectorIilEEZZNS1_29radix_sort_onesweep_iterationIS3_Lb0EPiS7_N6thrust23THRUST_200600_302600_NS10device_ptrIlEESB_jNS0_19identity_decomposerENS1_16block_id_wrapperIjLb1EEEEE10hipError_tT1_PNSt15iterator_traitsISG_E10value_typeET2_T3_PNSH_ISM_E10value_typeET4_T5_PSR_SS_PNS1_23onesweep_lookback_stateEbbT6_jjT7_P12ihipStream_tbENKUlT_T0_SG_SL_E_clIS7_S7_SB_SB_EEDaSZ_S10_SG_SL_EUlSZ_E_NS1_11comp_targetILNS1_3genE2ELNS1_11target_archE906ELNS1_3gpuE6ELNS1_3repE0EEENS1_47radix_sort_onesweep_sort_config_static_selectorELNS0_4arch9wavefront6targetE1EEEvSG_.numbered_sgpr, 60
	.set _ZN7rocprim17ROCPRIM_400000_NS6detail17trampoline_kernelINS0_14default_configENS1_35radix_sort_onesweep_config_selectorIilEEZZNS1_29radix_sort_onesweep_iterationIS3_Lb0EPiS7_N6thrust23THRUST_200600_302600_NS10device_ptrIlEESB_jNS0_19identity_decomposerENS1_16block_id_wrapperIjLb1EEEEE10hipError_tT1_PNSt15iterator_traitsISG_E10value_typeET2_T3_PNSH_ISM_E10value_typeET4_T5_PSR_SS_PNS1_23onesweep_lookback_stateEbbT6_jjT7_P12ihipStream_tbENKUlT_T0_SG_SL_E_clIS7_S7_SB_SB_EEDaSZ_S10_SG_SL_EUlSZ_E_NS1_11comp_targetILNS1_3genE2ELNS1_11target_archE906ELNS1_3gpuE6ELNS1_3repE0EEENS1_47radix_sort_onesweep_sort_config_static_selectorELNS0_4arch9wavefront6targetE1EEEvSG_.num_named_barrier, 0
	.set _ZN7rocprim17ROCPRIM_400000_NS6detail17trampoline_kernelINS0_14default_configENS1_35radix_sort_onesweep_config_selectorIilEEZZNS1_29radix_sort_onesweep_iterationIS3_Lb0EPiS7_N6thrust23THRUST_200600_302600_NS10device_ptrIlEESB_jNS0_19identity_decomposerENS1_16block_id_wrapperIjLb1EEEEE10hipError_tT1_PNSt15iterator_traitsISG_E10value_typeET2_T3_PNSH_ISM_E10value_typeET4_T5_PSR_SS_PNS1_23onesweep_lookback_stateEbbT6_jjT7_P12ihipStream_tbENKUlT_T0_SG_SL_E_clIS7_S7_SB_SB_EEDaSZ_S10_SG_SL_EUlSZ_E_NS1_11comp_targetILNS1_3genE2ELNS1_11target_archE906ELNS1_3gpuE6ELNS1_3repE0EEENS1_47radix_sort_onesweep_sort_config_static_selectorELNS0_4arch9wavefront6targetE1EEEvSG_.private_seg_size, 48
	.set _ZN7rocprim17ROCPRIM_400000_NS6detail17trampoline_kernelINS0_14default_configENS1_35radix_sort_onesweep_config_selectorIilEEZZNS1_29radix_sort_onesweep_iterationIS3_Lb0EPiS7_N6thrust23THRUST_200600_302600_NS10device_ptrIlEESB_jNS0_19identity_decomposerENS1_16block_id_wrapperIjLb1EEEEE10hipError_tT1_PNSt15iterator_traitsISG_E10value_typeET2_T3_PNSH_ISM_E10value_typeET4_T5_PSR_SS_PNS1_23onesweep_lookback_stateEbbT6_jjT7_P12ihipStream_tbENKUlT_T0_SG_SL_E_clIS7_S7_SB_SB_EEDaSZ_S10_SG_SL_EUlSZ_E_NS1_11comp_targetILNS1_3genE2ELNS1_11target_archE906ELNS1_3gpuE6ELNS1_3repE0EEENS1_47radix_sort_onesweep_sort_config_static_selectorELNS0_4arch9wavefront6targetE1EEEvSG_.uses_vcc, 1
	.set _ZN7rocprim17ROCPRIM_400000_NS6detail17trampoline_kernelINS0_14default_configENS1_35radix_sort_onesweep_config_selectorIilEEZZNS1_29radix_sort_onesweep_iterationIS3_Lb0EPiS7_N6thrust23THRUST_200600_302600_NS10device_ptrIlEESB_jNS0_19identity_decomposerENS1_16block_id_wrapperIjLb1EEEEE10hipError_tT1_PNSt15iterator_traitsISG_E10value_typeET2_T3_PNSH_ISM_E10value_typeET4_T5_PSR_SS_PNS1_23onesweep_lookback_stateEbbT6_jjT7_P12ihipStream_tbENKUlT_T0_SG_SL_E_clIS7_S7_SB_SB_EEDaSZ_S10_SG_SL_EUlSZ_E_NS1_11comp_targetILNS1_3genE2ELNS1_11target_archE906ELNS1_3gpuE6ELNS1_3repE0EEENS1_47radix_sort_onesweep_sort_config_static_selectorELNS0_4arch9wavefront6targetE1EEEvSG_.uses_flat_scratch, 0
	.set _ZN7rocprim17ROCPRIM_400000_NS6detail17trampoline_kernelINS0_14default_configENS1_35radix_sort_onesweep_config_selectorIilEEZZNS1_29radix_sort_onesweep_iterationIS3_Lb0EPiS7_N6thrust23THRUST_200600_302600_NS10device_ptrIlEESB_jNS0_19identity_decomposerENS1_16block_id_wrapperIjLb1EEEEE10hipError_tT1_PNSt15iterator_traitsISG_E10value_typeET2_T3_PNSH_ISM_E10value_typeET4_T5_PSR_SS_PNS1_23onesweep_lookback_stateEbbT6_jjT7_P12ihipStream_tbENKUlT_T0_SG_SL_E_clIS7_S7_SB_SB_EEDaSZ_S10_SG_SL_EUlSZ_E_NS1_11comp_targetILNS1_3genE2ELNS1_11target_archE906ELNS1_3gpuE6ELNS1_3repE0EEENS1_47radix_sort_onesweep_sort_config_static_selectorELNS0_4arch9wavefront6targetE1EEEvSG_.has_dyn_sized_stack, 0
	.set _ZN7rocprim17ROCPRIM_400000_NS6detail17trampoline_kernelINS0_14default_configENS1_35radix_sort_onesweep_config_selectorIilEEZZNS1_29radix_sort_onesweep_iterationIS3_Lb0EPiS7_N6thrust23THRUST_200600_302600_NS10device_ptrIlEESB_jNS0_19identity_decomposerENS1_16block_id_wrapperIjLb1EEEEE10hipError_tT1_PNSt15iterator_traitsISG_E10value_typeET2_T3_PNSH_ISM_E10value_typeET4_T5_PSR_SS_PNS1_23onesweep_lookback_stateEbbT6_jjT7_P12ihipStream_tbENKUlT_T0_SG_SL_E_clIS7_S7_SB_SB_EEDaSZ_S10_SG_SL_EUlSZ_E_NS1_11comp_targetILNS1_3genE2ELNS1_11target_archE906ELNS1_3gpuE6ELNS1_3repE0EEENS1_47radix_sort_onesweep_sort_config_static_selectorELNS0_4arch9wavefront6targetE1EEEvSG_.has_recursion, 0
	.set _ZN7rocprim17ROCPRIM_400000_NS6detail17trampoline_kernelINS0_14default_configENS1_35radix_sort_onesweep_config_selectorIilEEZZNS1_29radix_sort_onesweep_iterationIS3_Lb0EPiS7_N6thrust23THRUST_200600_302600_NS10device_ptrIlEESB_jNS0_19identity_decomposerENS1_16block_id_wrapperIjLb1EEEEE10hipError_tT1_PNSt15iterator_traitsISG_E10value_typeET2_T3_PNSH_ISM_E10value_typeET4_T5_PSR_SS_PNS1_23onesweep_lookback_stateEbbT6_jjT7_P12ihipStream_tbENKUlT_T0_SG_SL_E_clIS7_S7_SB_SB_EEDaSZ_S10_SG_SL_EUlSZ_E_NS1_11comp_targetILNS1_3genE2ELNS1_11target_archE906ELNS1_3gpuE6ELNS1_3repE0EEENS1_47radix_sort_onesweep_sort_config_static_selectorELNS0_4arch9wavefront6targetE1EEEvSG_.has_indirect_call, 0
	.section	.AMDGPU.csdata,"",@progbits
; Kernel info:
; codeLenInByte = 11944
; TotalNumSgprs: 64
; NumVgprs: 57
; ScratchSize: 48
; MemoryBound: 0
; FloatMode: 240
; IeeeMode: 1
; LDSByteSize: 10280 bytes/workgroup (compile time only)
; SGPRBlocks: 7
; VGPRBlocks: 14
; NumSGPRsForWavesPerEU: 64
; NumVGPRsForWavesPerEU: 57
; Occupancy: 4
; WaveLimiterHint : 1
; COMPUTE_PGM_RSRC2:SCRATCH_EN: 1
; COMPUTE_PGM_RSRC2:USER_SGPR: 6
; COMPUTE_PGM_RSRC2:TRAP_HANDLER: 0
; COMPUTE_PGM_RSRC2:TGID_X_EN: 1
; COMPUTE_PGM_RSRC2:TGID_Y_EN: 0
; COMPUTE_PGM_RSRC2:TGID_Z_EN: 0
; COMPUTE_PGM_RSRC2:TIDIG_COMP_CNT: 2
	.section	.text._ZN7rocprim17ROCPRIM_400000_NS6detail17trampoline_kernelINS0_14default_configENS1_35radix_sort_onesweep_config_selectorIilEEZZNS1_29radix_sort_onesweep_iterationIS3_Lb0EPiS7_N6thrust23THRUST_200600_302600_NS10device_ptrIlEESB_jNS0_19identity_decomposerENS1_16block_id_wrapperIjLb1EEEEE10hipError_tT1_PNSt15iterator_traitsISG_E10value_typeET2_T3_PNSH_ISM_E10value_typeET4_T5_PSR_SS_PNS1_23onesweep_lookback_stateEbbT6_jjT7_P12ihipStream_tbENKUlT_T0_SG_SL_E_clIS7_S7_SB_SB_EEDaSZ_S10_SG_SL_EUlSZ_E_NS1_11comp_targetILNS1_3genE4ELNS1_11target_archE910ELNS1_3gpuE8ELNS1_3repE0EEENS1_47radix_sort_onesweep_sort_config_static_selectorELNS0_4arch9wavefront6targetE1EEEvSG_,"axG",@progbits,_ZN7rocprim17ROCPRIM_400000_NS6detail17trampoline_kernelINS0_14default_configENS1_35radix_sort_onesweep_config_selectorIilEEZZNS1_29radix_sort_onesweep_iterationIS3_Lb0EPiS7_N6thrust23THRUST_200600_302600_NS10device_ptrIlEESB_jNS0_19identity_decomposerENS1_16block_id_wrapperIjLb1EEEEE10hipError_tT1_PNSt15iterator_traitsISG_E10value_typeET2_T3_PNSH_ISM_E10value_typeET4_T5_PSR_SS_PNS1_23onesweep_lookback_stateEbbT6_jjT7_P12ihipStream_tbENKUlT_T0_SG_SL_E_clIS7_S7_SB_SB_EEDaSZ_S10_SG_SL_EUlSZ_E_NS1_11comp_targetILNS1_3genE4ELNS1_11target_archE910ELNS1_3gpuE8ELNS1_3repE0EEENS1_47radix_sort_onesweep_sort_config_static_selectorELNS0_4arch9wavefront6targetE1EEEvSG_,comdat
	.protected	_ZN7rocprim17ROCPRIM_400000_NS6detail17trampoline_kernelINS0_14default_configENS1_35radix_sort_onesweep_config_selectorIilEEZZNS1_29radix_sort_onesweep_iterationIS3_Lb0EPiS7_N6thrust23THRUST_200600_302600_NS10device_ptrIlEESB_jNS0_19identity_decomposerENS1_16block_id_wrapperIjLb1EEEEE10hipError_tT1_PNSt15iterator_traitsISG_E10value_typeET2_T3_PNSH_ISM_E10value_typeET4_T5_PSR_SS_PNS1_23onesweep_lookback_stateEbbT6_jjT7_P12ihipStream_tbENKUlT_T0_SG_SL_E_clIS7_S7_SB_SB_EEDaSZ_S10_SG_SL_EUlSZ_E_NS1_11comp_targetILNS1_3genE4ELNS1_11target_archE910ELNS1_3gpuE8ELNS1_3repE0EEENS1_47radix_sort_onesweep_sort_config_static_selectorELNS0_4arch9wavefront6targetE1EEEvSG_ ; -- Begin function _ZN7rocprim17ROCPRIM_400000_NS6detail17trampoline_kernelINS0_14default_configENS1_35radix_sort_onesweep_config_selectorIilEEZZNS1_29radix_sort_onesweep_iterationIS3_Lb0EPiS7_N6thrust23THRUST_200600_302600_NS10device_ptrIlEESB_jNS0_19identity_decomposerENS1_16block_id_wrapperIjLb1EEEEE10hipError_tT1_PNSt15iterator_traitsISG_E10value_typeET2_T3_PNSH_ISM_E10value_typeET4_T5_PSR_SS_PNS1_23onesweep_lookback_stateEbbT6_jjT7_P12ihipStream_tbENKUlT_T0_SG_SL_E_clIS7_S7_SB_SB_EEDaSZ_S10_SG_SL_EUlSZ_E_NS1_11comp_targetILNS1_3genE4ELNS1_11target_archE910ELNS1_3gpuE8ELNS1_3repE0EEENS1_47radix_sort_onesweep_sort_config_static_selectorELNS0_4arch9wavefront6targetE1EEEvSG_
	.globl	_ZN7rocprim17ROCPRIM_400000_NS6detail17trampoline_kernelINS0_14default_configENS1_35radix_sort_onesweep_config_selectorIilEEZZNS1_29radix_sort_onesweep_iterationIS3_Lb0EPiS7_N6thrust23THRUST_200600_302600_NS10device_ptrIlEESB_jNS0_19identity_decomposerENS1_16block_id_wrapperIjLb1EEEEE10hipError_tT1_PNSt15iterator_traitsISG_E10value_typeET2_T3_PNSH_ISM_E10value_typeET4_T5_PSR_SS_PNS1_23onesweep_lookback_stateEbbT6_jjT7_P12ihipStream_tbENKUlT_T0_SG_SL_E_clIS7_S7_SB_SB_EEDaSZ_S10_SG_SL_EUlSZ_E_NS1_11comp_targetILNS1_3genE4ELNS1_11target_archE910ELNS1_3gpuE8ELNS1_3repE0EEENS1_47radix_sort_onesweep_sort_config_static_selectorELNS0_4arch9wavefront6targetE1EEEvSG_
	.p2align	8
	.type	_ZN7rocprim17ROCPRIM_400000_NS6detail17trampoline_kernelINS0_14default_configENS1_35radix_sort_onesweep_config_selectorIilEEZZNS1_29radix_sort_onesweep_iterationIS3_Lb0EPiS7_N6thrust23THRUST_200600_302600_NS10device_ptrIlEESB_jNS0_19identity_decomposerENS1_16block_id_wrapperIjLb1EEEEE10hipError_tT1_PNSt15iterator_traitsISG_E10value_typeET2_T3_PNSH_ISM_E10value_typeET4_T5_PSR_SS_PNS1_23onesweep_lookback_stateEbbT6_jjT7_P12ihipStream_tbENKUlT_T0_SG_SL_E_clIS7_S7_SB_SB_EEDaSZ_S10_SG_SL_EUlSZ_E_NS1_11comp_targetILNS1_3genE4ELNS1_11target_archE910ELNS1_3gpuE8ELNS1_3repE0EEENS1_47radix_sort_onesweep_sort_config_static_selectorELNS0_4arch9wavefront6targetE1EEEvSG_,@function
_ZN7rocprim17ROCPRIM_400000_NS6detail17trampoline_kernelINS0_14default_configENS1_35radix_sort_onesweep_config_selectorIilEEZZNS1_29radix_sort_onesweep_iterationIS3_Lb0EPiS7_N6thrust23THRUST_200600_302600_NS10device_ptrIlEESB_jNS0_19identity_decomposerENS1_16block_id_wrapperIjLb1EEEEE10hipError_tT1_PNSt15iterator_traitsISG_E10value_typeET2_T3_PNSH_ISM_E10value_typeET4_T5_PSR_SS_PNS1_23onesweep_lookback_stateEbbT6_jjT7_P12ihipStream_tbENKUlT_T0_SG_SL_E_clIS7_S7_SB_SB_EEDaSZ_S10_SG_SL_EUlSZ_E_NS1_11comp_targetILNS1_3genE4ELNS1_11target_archE910ELNS1_3gpuE8ELNS1_3repE0EEENS1_47radix_sort_onesweep_sort_config_static_selectorELNS0_4arch9wavefront6targetE1EEEvSG_: ; @_ZN7rocprim17ROCPRIM_400000_NS6detail17trampoline_kernelINS0_14default_configENS1_35radix_sort_onesweep_config_selectorIilEEZZNS1_29radix_sort_onesweep_iterationIS3_Lb0EPiS7_N6thrust23THRUST_200600_302600_NS10device_ptrIlEESB_jNS0_19identity_decomposerENS1_16block_id_wrapperIjLb1EEEEE10hipError_tT1_PNSt15iterator_traitsISG_E10value_typeET2_T3_PNSH_ISM_E10value_typeET4_T5_PSR_SS_PNS1_23onesweep_lookback_stateEbbT6_jjT7_P12ihipStream_tbENKUlT_T0_SG_SL_E_clIS7_S7_SB_SB_EEDaSZ_S10_SG_SL_EUlSZ_E_NS1_11comp_targetILNS1_3genE4ELNS1_11target_archE910ELNS1_3gpuE8ELNS1_3repE0EEENS1_47radix_sort_onesweep_sort_config_static_selectorELNS0_4arch9wavefront6targetE1EEEvSG_
; %bb.0:
	.section	.rodata,"a",@progbits
	.p2align	6, 0x0
	.amdhsa_kernel _ZN7rocprim17ROCPRIM_400000_NS6detail17trampoline_kernelINS0_14default_configENS1_35radix_sort_onesweep_config_selectorIilEEZZNS1_29radix_sort_onesweep_iterationIS3_Lb0EPiS7_N6thrust23THRUST_200600_302600_NS10device_ptrIlEESB_jNS0_19identity_decomposerENS1_16block_id_wrapperIjLb1EEEEE10hipError_tT1_PNSt15iterator_traitsISG_E10value_typeET2_T3_PNSH_ISM_E10value_typeET4_T5_PSR_SS_PNS1_23onesweep_lookback_stateEbbT6_jjT7_P12ihipStream_tbENKUlT_T0_SG_SL_E_clIS7_S7_SB_SB_EEDaSZ_S10_SG_SL_EUlSZ_E_NS1_11comp_targetILNS1_3genE4ELNS1_11target_archE910ELNS1_3gpuE8ELNS1_3repE0EEENS1_47radix_sort_onesweep_sort_config_static_selectorELNS0_4arch9wavefront6targetE1EEEvSG_
		.amdhsa_group_segment_fixed_size 0
		.amdhsa_private_segment_fixed_size 0
		.amdhsa_kernarg_size 88
		.amdhsa_user_sgpr_count 6
		.amdhsa_user_sgpr_private_segment_buffer 1
		.amdhsa_user_sgpr_dispatch_ptr 0
		.amdhsa_user_sgpr_queue_ptr 0
		.amdhsa_user_sgpr_kernarg_segment_ptr 1
		.amdhsa_user_sgpr_dispatch_id 0
		.amdhsa_user_sgpr_flat_scratch_init 0
		.amdhsa_user_sgpr_private_segment_size 0
		.amdhsa_uses_dynamic_stack 0
		.amdhsa_system_sgpr_private_segment_wavefront_offset 0
		.amdhsa_system_sgpr_workgroup_id_x 1
		.amdhsa_system_sgpr_workgroup_id_y 0
		.amdhsa_system_sgpr_workgroup_id_z 0
		.amdhsa_system_sgpr_workgroup_info 0
		.amdhsa_system_vgpr_workitem_id 0
		.amdhsa_next_free_vgpr 1
		.amdhsa_next_free_sgpr 0
		.amdhsa_reserve_vcc 0
		.amdhsa_reserve_flat_scratch 0
		.amdhsa_float_round_mode_32 0
		.amdhsa_float_round_mode_16_64 0
		.amdhsa_float_denorm_mode_32 3
		.amdhsa_float_denorm_mode_16_64 3
		.amdhsa_dx10_clamp 1
		.amdhsa_ieee_mode 1
		.amdhsa_fp16_overflow 0
		.amdhsa_exception_fp_ieee_invalid_op 0
		.amdhsa_exception_fp_denorm_src 0
		.amdhsa_exception_fp_ieee_div_zero 0
		.amdhsa_exception_fp_ieee_overflow 0
		.amdhsa_exception_fp_ieee_underflow 0
		.amdhsa_exception_fp_ieee_inexact 0
		.amdhsa_exception_int_div_zero 0
	.end_amdhsa_kernel
	.section	.text._ZN7rocprim17ROCPRIM_400000_NS6detail17trampoline_kernelINS0_14default_configENS1_35radix_sort_onesweep_config_selectorIilEEZZNS1_29radix_sort_onesweep_iterationIS3_Lb0EPiS7_N6thrust23THRUST_200600_302600_NS10device_ptrIlEESB_jNS0_19identity_decomposerENS1_16block_id_wrapperIjLb1EEEEE10hipError_tT1_PNSt15iterator_traitsISG_E10value_typeET2_T3_PNSH_ISM_E10value_typeET4_T5_PSR_SS_PNS1_23onesweep_lookback_stateEbbT6_jjT7_P12ihipStream_tbENKUlT_T0_SG_SL_E_clIS7_S7_SB_SB_EEDaSZ_S10_SG_SL_EUlSZ_E_NS1_11comp_targetILNS1_3genE4ELNS1_11target_archE910ELNS1_3gpuE8ELNS1_3repE0EEENS1_47radix_sort_onesweep_sort_config_static_selectorELNS0_4arch9wavefront6targetE1EEEvSG_,"axG",@progbits,_ZN7rocprim17ROCPRIM_400000_NS6detail17trampoline_kernelINS0_14default_configENS1_35radix_sort_onesweep_config_selectorIilEEZZNS1_29radix_sort_onesweep_iterationIS3_Lb0EPiS7_N6thrust23THRUST_200600_302600_NS10device_ptrIlEESB_jNS0_19identity_decomposerENS1_16block_id_wrapperIjLb1EEEEE10hipError_tT1_PNSt15iterator_traitsISG_E10value_typeET2_T3_PNSH_ISM_E10value_typeET4_T5_PSR_SS_PNS1_23onesweep_lookback_stateEbbT6_jjT7_P12ihipStream_tbENKUlT_T0_SG_SL_E_clIS7_S7_SB_SB_EEDaSZ_S10_SG_SL_EUlSZ_E_NS1_11comp_targetILNS1_3genE4ELNS1_11target_archE910ELNS1_3gpuE8ELNS1_3repE0EEENS1_47radix_sort_onesweep_sort_config_static_selectorELNS0_4arch9wavefront6targetE1EEEvSG_,comdat
.Lfunc_end870:
	.size	_ZN7rocprim17ROCPRIM_400000_NS6detail17trampoline_kernelINS0_14default_configENS1_35radix_sort_onesweep_config_selectorIilEEZZNS1_29radix_sort_onesweep_iterationIS3_Lb0EPiS7_N6thrust23THRUST_200600_302600_NS10device_ptrIlEESB_jNS0_19identity_decomposerENS1_16block_id_wrapperIjLb1EEEEE10hipError_tT1_PNSt15iterator_traitsISG_E10value_typeET2_T3_PNSH_ISM_E10value_typeET4_T5_PSR_SS_PNS1_23onesweep_lookback_stateEbbT6_jjT7_P12ihipStream_tbENKUlT_T0_SG_SL_E_clIS7_S7_SB_SB_EEDaSZ_S10_SG_SL_EUlSZ_E_NS1_11comp_targetILNS1_3genE4ELNS1_11target_archE910ELNS1_3gpuE8ELNS1_3repE0EEENS1_47radix_sort_onesweep_sort_config_static_selectorELNS0_4arch9wavefront6targetE1EEEvSG_, .Lfunc_end870-_ZN7rocprim17ROCPRIM_400000_NS6detail17trampoline_kernelINS0_14default_configENS1_35radix_sort_onesweep_config_selectorIilEEZZNS1_29radix_sort_onesweep_iterationIS3_Lb0EPiS7_N6thrust23THRUST_200600_302600_NS10device_ptrIlEESB_jNS0_19identity_decomposerENS1_16block_id_wrapperIjLb1EEEEE10hipError_tT1_PNSt15iterator_traitsISG_E10value_typeET2_T3_PNSH_ISM_E10value_typeET4_T5_PSR_SS_PNS1_23onesweep_lookback_stateEbbT6_jjT7_P12ihipStream_tbENKUlT_T0_SG_SL_E_clIS7_S7_SB_SB_EEDaSZ_S10_SG_SL_EUlSZ_E_NS1_11comp_targetILNS1_3genE4ELNS1_11target_archE910ELNS1_3gpuE8ELNS1_3repE0EEENS1_47radix_sort_onesweep_sort_config_static_selectorELNS0_4arch9wavefront6targetE1EEEvSG_
                                        ; -- End function
	.set _ZN7rocprim17ROCPRIM_400000_NS6detail17trampoline_kernelINS0_14default_configENS1_35radix_sort_onesweep_config_selectorIilEEZZNS1_29radix_sort_onesweep_iterationIS3_Lb0EPiS7_N6thrust23THRUST_200600_302600_NS10device_ptrIlEESB_jNS0_19identity_decomposerENS1_16block_id_wrapperIjLb1EEEEE10hipError_tT1_PNSt15iterator_traitsISG_E10value_typeET2_T3_PNSH_ISM_E10value_typeET4_T5_PSR_SS_PNS1_23onesweep_lookback_stateEbbT6_jjT7_P12ihipStream_tbENKUlT_T0_SG_SL_E_clIS7_S7_SB_SB_EEDaSZ_S10_SG_SL_EUlSZ_E_NS1_11comp_targetILNS1_3genE4ELNS1_11target_archE910ELNS1_3gpuE8ELNS1_3repE0EEENS1_47radix_sort_onesweep_sort_config_static_selectorELNS0_4arch9wavefront6targetE1EEEvSG_.num_vgpr, 0
	.set _ZN7rocprim17ROCPRIM_400000_NS6detail17trampoline_kernelINS0_14default_configENS1_35radix_sort_onesweep_config_selectorIilEEZZNS1_29radix_sort_onesweep_iterationIS3_Lb0EPiS7_N6thrust23THRUST_200600_302600_NS10device_ptrIlEESB_jNS0_19identity_decomposerENS1_16block_id_wrapperIjLb1EEEEE10hipError_tT1_PNSt15iterator_traitsISG_E10value_typeET2_T3_PNSH_ISM_E10value_typeET4_T5_PSR_SS_PNS1_23onesweep_lookback_stateEbbT6_jjT7_P12ihipStream_tbENKUlT_T0_SG_SL_E_clIS7_S7_SB_SB_EEDaSZ_S10_SG_SL_EUlSZ_E_NS1_11comp_targetILNS1_3genE4ELNS1_11target_archE910ELNS1_3gpuE8ELNS1_3repE0EEENS1_47radix_sort_onesweep_sort_config_static_selectorELNS0_4arch9wavefront6targetE1EEEvSG_.num_agpr, 0
	.set _ZN7rocprim17ROCPRIM_400000_NS6detail17trampoline_kernelINS0_14default_configENS1_35radix_sort_onesweep_config_selectorIilEEZZNS1_29radix_sort_onesweep_iterationIS3_Lb0EPiS7_N6thrust23THRUST_200600_302600_NS10device_ptrIlEESB_jNS0_19identity_decomposerENS1_16block_id_wrapperIjLb1EEEEE10hipError_tT1_PNSt15iterator_traitsISG_E10value_typeET2_T3_PNSH_ISM_E10value_typeET4_T5_PSR_SS_PNS1_23onesweep_lookback_stateEbbT6_jjT7_P12ihipStream_tbENKUlT_T0_SG_SL_E_clIS7_S7_SB_SB_EEDaSZ_S10_SG_SL_EUlSZ_E_NS1_11comp_targetILNS1_3genE4ELNS1_11target_archE910ELNS1_3gpuE8ELNS1_3repE0EEENS1_47radix_sort_onesweep_sort_config_static_selectorELNS0_4arch9wavefront6targetE1EEEvSG_.numbered_sgpr, 0
	.set _ZN7rocprim17ROCPRIM_400000_NS6detail17trampoline_kernelINS0_14default_configENS1_35radix_sort_onesweep_config_selectorIilEEZZNS1_29radix_sort_onesweep_iterationIS3_Lb0EPiS7_N6thrust23THRUST_200600_302600_NS10device_ptrIlEESB_jNS0_19identity_decomposerENS1_16block_id_wrapperIjLb1EEEEE10hipError_tT1_PNSt15iterator_traitsISG_E10value_typeET2_T3_PNSH_ISM_E10value_typeET4_T5_PSR_SS_PNS1_23onesweep_lookback_stateEbbT6_jjT7_P12ihipStream_tbENKUlT_T0_SG_SL_E_clIS7_S7_SB_SB_EEDaSZ_S10_SG_SL_EUlSZ_E_NS1_11comp_targetILNS1_3genE4ELNS1_11target_archE910ELNS1_3gpuE8ELNS1_3repE0EEENS1_47radix_sort_onesweep_sort_config_static_selectorELNS0_4arch9wavefront6targetE1EEEvSG_.num_named_barrier, 0
	.set _ZN7rocprim17ROCPRIM_400000_NS6detail17trampoline_kernelINS0_14default_configENS1_35radix_sort_onesweep_config_selectorIilEEZZNS1_29radix_sort_onesweep_iterationIS3_Lb0EPiS7_N6thrust23THRUST_200600_302600_NS10device_ptrIlEESB_jNS0_19identity_decomposerENS1_16block_id_wrapperIjLb1EEEEE10hipError_tT1_PNSt15iterator_traitsISG_E10value_typeET2_T3_PNSH_ISM_E10value_typeET4_T5_PSR_SS_PNS1_23onesweep_lookback_stateEbbT6_jjT7_P12ihipStream_tbENKUlT_T0_SG_SL_E_clIS7_S7_SB_SB_EEDaSZ_S10_SG_SL_EUlSZ_E_NS1_11comp_targetILNS1_3genE4ELNS1_11target_archE910ELNS1_3gpuE8ELNS1_3repE0EEENS1_47radix_sort_onesweep_sort_config_static_selectorELNS0_4arch9wavefront6targetE1EEEvSG_.private_seg_size, 0
	.set _ZN7rocprim17ROCPRIM_400000_NS6detail17trampoline_kernelINS0_14default_configENS1_35radix_sort_onesweep_config_selectorIilEEZZNS1_29radix_sort_onesweep_iterationIS3_Lb0EPiS7_N6thrust23THRUST_200600_302600_NS10device_ptrIlEESB_jNS0_19identity_decomposerENS1_16block_id_wrapperIjLb1EEEEE10hipError_tT1_PNSt15iterator_traitsISG_E10value_typeET2_T3_PNSH_ISM_E10value_typeET4_T5_PSR_SS_PNS1_23onesweep_lookback_stateEbbT6_jjT7_P12ihipStream_tbENKUlT_T0_SG_SL_E_clIS7_S7_SB_SB_EEDaSZ_S10_SG_SL_EUlSZ_E_NS1_11comp_targetILNS1_3genE4ELNS1_11target_archE910ELNS1_3gpuE8ELNS1_3repE0EEENS1_47radix_sort_onesweep_sort_config_static_selectorELNS0_4arch9wavefront6targetE1EEEvSG_.uses_vcc, 0
	.set _ZN7rocprim17ROCPRIM_400000_NS6detail17trampoline_kernelINS0_14default_configENS1_35radix_sort_onesweep_config_selectorIilEEZZNS1_29radix_sort_onesweep_iterationIS3_Lb0EPiS7_N6thrust23THRUST_200600_302600_NS10device_ptrIlEESB_jNS0_19identity_decomposerENS1_16block_id_wrapperIjLb1EEEEE10hipError_tT1_PNSt15iterator_traitsISG_E10value_typeET2_T3_PNSH_ISM_E10value_typeET4_T5_PSR_SS_PNS1_23onesweep_lookback_stateEbbT6_jjT7_P12ihipStream_tbENKUlT_T0_SG_SL_E_clIS7_S7_SB_SB_EEDaSZ_S10_SG_SL_EUlSZ_E_NS1_11comp_targetILNS1_3genE4ELNS1_11target_archE910ELNS1_3gpuE8ELNS1_3repE0EEENS1_47radix_sort_onesweep_sort_config_static_selectorELNS0_4arch9wavefront6targetE1EEEvSG_.uses_flat_scratch, 0
	.set _ZN7rocprim17ROCPRIM_400000_NS6detail17trampoline_kernelINS0_14default_configENS1_35radix_sort_onesweep_config_selectorIilEEZZNS1_29radix_sort_onesweep_iterationIS3_Lb0EPiS7_N6thrust23THRUST_200600_302600_NS10device_ptrIlEESB_jNS0_19identity_decomposerENS1_16block_id_wrapperIjLb1EEEEE10hipError_tT1_PNSt15iterator_traitsISG_E10value_typeET2_T3_PNSH_ISM_E10value_typeET4_T5_PSR_SS_PNS1_23onesweep_lookback_stateEbbT6_jjT7_P12ihipStream_tbENKUlT_T0_SG_SL_E_clIS7_S7_SB_SB_EEDaSZ_S10_SG_SL_EUlSZ_E_NS1_11comp_targetILNS1_3genE4ELNS1_11target_archE910ELNS1_3gpuE8ELNS1_3repE0EEENS1_47radix_sort_onesweep_sort_config_static_selectorELNS0_4arch9wavefront6targetE1EEEvSG_.has_dyn_sized_stack, 0
	.set _ZN7rocprim17ROCPRIM_400000_NS6detail17trampoline_kernelINS0_14default_configENS1_35radix_sort_onesweep_config_selectorIilEEZZNS1_29radix_sort_onesweep_iterationIS3_Lb0EPiS7_N6thrust23THRUST_200600_302600_NS10device_ptrIlEESB_jNS0_19identity_decomposerENS1_16block_id_wrapperIjLb1EEEEE10hipError_tT1_PNSt15iterator_traitsISG_E10value_typeET2_T3_PNSH_ISM_E10value_typeET4_T5_PSR_SS_PNS1_23onesweep_lookback_stateEbbT6_jjT7_P12ihipStream_tbENKUlT_T0_SG_SL_E_clIS7_S7_SB_SB_EEDaSZ_S10_SG_SL_EUlSZ_E_NS1_11comp_targetILNS1_3genE4ELNS1_11target_archE910ELNS1_3gpuE8ELNS1_3repE0EEENS1_47radix_sort_onesweep_sort_config_static_selectorELNS0_4arch9wavefront6targetE1EEEvSG_.has_recursion, 0
	.set _ZN7rocprim17ROCPRIM_400000_NS6detail17trampoline_kernelINS0_14default_configENS1_35radix_sort_onesweep_config_selectorIilEEZZNS1_29radix_sort_onesweep_iterationIS3_Lb0EPiS7_N6thrust23THRUST_200600_302600_NS10device_ptrIlEESB_jNS0_19identity_decomposerENS1_16block_id_wrapperIjLb1EEEEE10hipError_tT1_PNSt15iterator_traitsISG_E10value_typeET2_T3_PNSH_ISM_E10value_typeET4_T5_PSR_SS_PNS1_23onesweep_lookback_stateEbbT6_jjT7_P12ihipStream_tbENKUlT_T0_SG_SL_E_clIS7_S7_SB_SB_EEDaSZ_S10_SG_SL_EUlSZ_E_NS1_11comp_targetILNS1_3genE4ELNS1_11target_archE910ELNS1_3gpuE8ELNS1_3repE0EEENS1_47radix_sort_onesweep_sort_config_static_selectorELNS0_4arch9wavefront6targetE1EEEvSG_.has_indirect_call, 0
	.section	.AMDGPU.csdata,"",@progbits
; Kernel info:
; codeLenInByte = 0
; TotalNumSgprs: 4
; NumVgprs: 0
; ScratchSize: 0
; MemoryBound: 0
; FloatMode: 240
; IeeeMode: 1
; LDSByteSize: 0 bytes/workgroup (compile time only)
; SGPRBlocks: 0
; VGPRBlocks: 0
; NumSGPRsForWavesPerEU: 4
; NumVGPRsForWavesPerEU: 1
; Occupancy: 10
; WaveLimiterHint : 0
; COMPUTE_PGM_RSRC2:SCRATCH_EN: 0
; COMPUTE_PGM_RSRC2:USER_SGPR: 6
; COMPUTE_PGM_RSRC2:TRAP_HANDLER: 0
; COMPUTE_PGM_RSRC2:TGID_X_EN: 1
; COMPUTE_PGM_RSRC2:TGID_Y_EN: 0
; COMPUTE_PGM_RSRC2:TGID_Z_EN: 0
; COMPUTE_PGM_RSRC2:TIDIG_COMP_CNT: 0
	.section	.text._ZN7rocprim17ROCPRIM_400000_NS6detail17trampoline_kernelINS0_14default_configENS1_35radix_sort_onesweep_config_selectorIilEEZZNS1_29radix_sort_onesweep_iterationIS3_Lb0EPiS7_N6thrust23THRUST_200600_302600_NS10device_ptrIlEESB_jNS0_19identity_decomposerENS1_16block_id_wrapperIjLb1EEEEE10hipError_tT1_PNSt15iterator_traitsISG_E10value_typeET2_T3_PNSH_ISM_E10value_typeET4_T5_PSR_SS_PNS1_23onesweep_lookback_stateEbbT6_jjT7_P12ihipStream_tbENKUlT_T0_SG_SL_E_clIS7_S7_SB_SB_EEDaSZ_S10_SG_SL_EUlSZ_E_NS1_11comp_targetILNS1_3genE3ELNS1_11target_archE908ELNS1_3gpuE7ELNS1_3repE0EEENS1_47radix_sort_onesweep_sort_config_static_selectorELNS0_4arch9wavefront6targetE1EEEvSG_,"axG",@progbits,_ZN7rocprim17ROCPRIM_400000_NS6detail17trampoline_kernelINS0_14default_configENS1_35radix_sort_onesweep_config_selectorIilEEZZNS1_29radix_sort_onesweep_iterationIS3_Lb0EPiS7_N6thrust23THRUST_200600_302600_NS10device_ptrIlEESB_jNS0_19identity_decomposerENS1_16block_id_wrapperIjLb1EEEEE10hipError_tT1_PNSt15iterator_traitsISG_E10value_typeET2_T3_PNSH_ISM_E10value_typeET4_T5_PSR_SS_PNS1_23onesweep_lookback_stateEbbT6_jjT7_P12ihipStream_tbENKUlT_T0_SG_SL_E_clIS7_S7_SB_SB_EEDaSZ_S10_SG_SL_EUlSZ_E_NS1_11comp_targetILNS1_3genE3ELNS1_11target_archE908ELNS1_3gpuE7ELNS1_3repE0EEENS1_47radix_sort_onesweep_sort_config_static_selectorELNS0_4arch9wavefront6targetE1EEEvSG_,comdat
	.protected	_ZN7rocprim17ROCPRIM_400000_NS6detail17trampoline_kernelINS0_14default_configENS1_35radix_sort_onesweep_config_selectorIilEEZZNS1_29radix_sort_onesweep_iterationIS3_Lb0EPiS7_N6thrust23THRUST_200600_302600_NS10device_ptrIlEESB_jNS0_19identity_decomposerENS1_16block_id_wrapperIjLb1EEEEE10hipError_tT1_PNSt15iterator_traitsISG_E10value_typeET2_T3_PNSH_ISM_E10value_typeET4_T5_PSR_SS_PNS1_23onesweep_lookback_stateEbbT6_jjT7_P12ihipStream_tbENKUlT_T0_SG_SL_E_clIS7_S7_SB_SB_EEDaSZ_S10_SG_SL_EUlSZ_E_NS1_11comp_targetILNS1_3genE3ELNS1_11target_archE908ELNS1_3gpuE7ELNS1_3repE0EEENS1_47radix_sort_onesweep_sort_config_static_selectorELNS0_4arch9wavefront6targetE1EEEvSG_ ; -- Begin function _ZN7rocprim17ROCPRIM_400000_NS6detail17trampoline_kernelINS0_14default_configENS1_35radix_sort_onesweep_config_selectorIilEEZZNS1_29radix_sort_onesweep_iterationIS3_Lb0EPiS7_N6thrust23THRUST_200600_302600_NS10device_ptrIlEESB_jNS0_19identity_decomposerENS1_16block_id_wrapperIjLb1EEEEE10hipError_tT1_PNSt15iterator_traitsISG_E10value_typeET2_T3_PNSH_ISM_E10value_typeET4_T5_PSR_SS_PNS1_23onesweep_lookback_stateEbbT6_jjT7_P12ihipStream_tbENKUlT_T0_SG_SL_E_clIS7_S7_SB_SB_EEDaSZ_S10_SG_SL_EUlSZ_E_NS1_11comp_targetILNS1_3genE3ELNS1_11target_archE908ELNS1_3gpuE7ELNS1_3repE0EEENS1_47radix_sort_onesweep_sort_config_static_selectorELNS0_4arch9wavefront6targetE1EEEvSG_
	.globl	_ZN7rocprim17ROCPRIM_400000_NS6detail17trampoline_kernelINS0_14default_configENS1_35radix_sort_onesweep_config_selectorIilEEZZNS1_29radix_sort_onesweep_iterationIS3_Lb0EPiS7_N6thrust23THRUST_200600_302600_NS10device_ptrIlEESB_jNS0_19identity_decomposerENS1_16block_id_wrapperIjLb1EEEEE10hipError_tT1_PNSt15iterator_traitsISG_E10value_typeET2_T3_PNSH_ISM_E10value_typeET4_T5_PSR_SS_PNS1_23onesweep_lookback_stateEbbT6_jjT7_P12ihipStream_tbENKUlT_T0_SG_SL_E_clIS7_S7_SB_SB_EEDaSZ_S10_SG_SL_EUlSZ_E_NS1_11comp_targetILNS1_3genE3ELNS1_11target_archE908ELNS1_3gpuE7ELNS1_3repE0EEENS1_47radix_sort_onesweep_sort_config_static_selectorELNS0_4arch9wavefront6targetE1EEEvSG_
	.p2align	8
	.type	_ZN7rocprim17ROCPRIM_400000_NS6detail17trampoline_kernelINS0_14default_configENS1_35radix_sort_onesweep_config_selectorIilEEZZNS1_29radix_sort_onesweep_iterationIS3_Lb0EPiS7_N6thrust23THRUST_200600_302600_NS10device_ptrIlEESB_jNS0_19identity_decomposerENS1_16block_id_wrapperIjLb1EEEEE10hipError_tT1_PNSt15iterator_traitsISG_E10value_typeET2_T3_PNSH_ISM_E10value_typeET4_T5_PSR_SS_PNS1_23onesweep_lookback_stateEbbT6_jjT7_P12ihipStream_tbENKUlT_T0_SG_SL_E_clIS7_S7_SB_SB_EEDaSZ_S10_SG_SL_EUlSZ_E_NS1_11comp_targetILNS1_3genE3ELNS1_11target_archE908ELNS1_3gpuE7ELNS1_3repE0EEENS1_47radix_sort_onesweep_sort_config_static_selectorELNS0_4arch9wavefront6targetE1EEEvSG_,@function
_ZN7rocprim17ROCPRIM_400000_NS6detail17trampoline_kernelINS0_14default_configENS1_35radix_sort_onesweep_config_selectorIilEEZZNS1_29radix_sort_onesweep_iterationIS3_Lb0EPiS7_N6thrust23THRUST_200600_302600_NS10device_ptrIlEESB_jNS0_19identity_decomposerENS1_16block_id_wrapperIjLb1EEEEE10hipError_tT1_PNSt15iterator_traitsISG_E10value_typeET2_T3_PNSH_ISM_E10value_typeET4_T5_PSR_SS_PNS1_23onesweep_lookback_stateEbbT6_jjT7_P12ihipStream_tbENKUlT_T0_SG_SL_E_clIS7_S7_SB_SB_EEDaSZ_S10_SG_SL_EUlSZ_E_NS1_11comp_targetILNS1_3genE3ELNS1_11target_archE908ELNS1_3gpuE7ELNS1_3repE0EEENS1_47radix_sort_onesweep_sort_config_static_selectorELNS0_4arch9wavefront6targetE1EEEvSG_: ; @_ZN7rocprim17ROCPRIM_400000_NS6detail17trampoline_kernelINS0_14default_configENS1_35radix_sort_onesweep_config_selectorIilEEZZNS1_29radix_sort_onesweep_iterationIS3_Lb0EPiS7_N6thrust23THRUST_200600_302600_NS10device_ptrIlEESB_jNS0_19identity_decomposerENS1_16block_id_wrapperIjLb1EEEEE10hipError_tT1_PNSt15iterator_traitsISG_E10value_typeET2_T3_PNSH_ISM_E10value_typeET4_T5_PSR_SS_PNS1_23onesweep_lookback_stateEbbT6_jjT7_P12ihipStream_tbENKUlT_T0_SG_SL_E_clIS7_S7_SB_SB_EEDaSZ_S10_SG_SL_EUlSZ_E_NS1_11comp_targetILNS1_3genE3ELNS1_11target_archE908ELNS1_3gpuE7ELNS1_3repE0EEENS1_47radix_sort_onesweep_sort_config_static_selectorELNS0_4arch9wavefront6targetE1EEEvSG_
; %bb.0:
	.section	.rodata,"a",@progbits
	.p2align	6, 0x0
	.amdhsa_kernel _ZN7rocprim17ROCPRIM_400000_NS6detail17trampoline_kernelINS0_14default_configENS1_35radix_sort_onesweep_config_selectorIilEEZZNS1_29radix_sort_onesweep_iterationIS3_Lb0EPiS7_N6thrust23THRUST_200600_302600_NS10device_ptrIlEESB_jNS0_19identity_decomposerENS1_16block_id_wrapperIjLb1EEEEE10hipError_tT1_PNSt15iterator_traitsISG_E10value_typeET2_T3_PNSH_ISM_E10value_typeET4_T5_PSR_SS_PNS1_23onesweep_lookback_stateEbbT6_jjT7_P12ihipStream_tbENKUlT_T0_SG_SL_E_clIS7_S7_SB_SB_EEDaSZ_S10_SG_SL_EUlSZ_E_NS1_11comp_targetILNS1_3genE3ELNS1_11target_archE908ELNS1_3gpuE7ELNS1_3repE0EEENS1_47radix_sort_onesweep_sort_config_static_selectorELNS0_4arch9wavefront6targetE1EEEvSG_
		.amdhsa_group_segment_fixed_size 0
		.amdhsa_private_segment_fixed_size 0
		.amdhsa_kernarg_size 88
		.amdhsa_user_sgpr_count 6
		.amdhsa_user_sgpr_private_segment_buffer 1
		.amdhsa_user_sgpr_dispatch_ptr 0
		.amdhsa_user_sgpr_queue_ptr 0
		.amdhsa_user_sgpr_kernarg_segment_ptr 1
		.amdhsa_user_sgpr_dispatch_id 0
		.amdhsa_user_sgpr_flat_scratch_init 0
		.amdhsa_user_sgpr_private_segment_size 0
		.amdhsa_uses_dynamic_stack 0
		.amdhsa_system_sgpr_private_segment_wavefront_offset 0
		.amdhsa_system_sgpr_workgroup_id_x 1
		.amdhsa_system_sgpr_workgroup_id_y 0
		.amdhsa_system_sgpr_workgroup_id_z 0
		.amdhsa_system_sgpr_workgroup_info 0
		.amdhsa_system_vgpr_workitem_id 0
		.amdhsa_next_free_vgpr 1
		.amdhsa_next_free_sgpr 0
		.amdhsa_reserve_vcc 0
		.amdhsa_reserve_flat_scratch 0
		.amdhsa_float_round_mode_32 0
		.amdhsa_float_round_mode_16_64 0
		.amdhsa_float_denorm_mode_32 3
		.amdhsa_float_denorm_mode_16_64 3
		.amdhsa_dx10_clamp 1
		.amdhsa_ieee_mode 1
		.amdhsa_fp16_overflow 0
		.amdhsa_exception_fp_ieee_invalid_op 0
		.amdhsa_exception_fp_denorm_src 0
		.amdhsa_exception_fp_ieee_div_zero 0
		.amdhsa_exception_fp_ieee_overflow 0
		.amdhsa_exception_fp_ieee_underflow 0
		.amdhsa_exception_fp_ieee_inexact 0
		.amdhsa_exception_int_div_zero 0
	.end_amdhsa_kernel
	.section	.text._ZN7rocprim17ROCPRIM_400000_NS6detail17trampoline_kernelINS0_14default_configENS1_35radix_sort_onesweep_config_selectorIilEEZZNS1_29radix_sort_onesweep_iterationIS3_Lb0EPiS7_N6thrust23THRUST_200600_302600_NS10device_ptrIlEESB_jNS0_19identity_decomposerENS1_16block_id_wrapperIjLb1EEEEE10hipError_tT1_PNSt15iterator_traitsISG_E10value_typeET2_T3_PNSH_ISM_E10value_typeET4_T5_PSR_SS_PNS1_23onesweep_lookback_stateEbbT6_jjT7_P12ihipStream_tbENKUlT_T0_SG_SL_E_clIS7_S7_SB_SB_EEDaSZ_S10_SG_SL_EUlSZ_E_NS1_11comp_targetILNS1_3genE3ELNS1_11target_archE908ELNS1_3gpuE7ELNS1_3repE0EEENS1_47radix_sort_onesweep_sort_config_static_selectorELNS0_4arch9wavefront6targetE1EEEvSG_,"axG",@progbits,_ZN7rocprim17ROCPRIM_400000_NS6detail17trampoline_kernelINS0_14default_configENS1_35radix_sort_onesweep_config_selectorIilEEZZNS1_29radix_sort_onesweep_iterationIS3_Lb0EPiS7_N6thrust23THRUST_200600_302600_NS10device_ptrIlEESB_jNS0_19identity_decomposerENS1_16block_id_wrapperIjLb1EEEEE10hipError_tT1_PNSt15iterator_traitsISG_E10value_typeET2_T3_PNSH_ISM_E10value_typeET4_T5_PSR_SS_PNS1_23onesweep_lookback_stateEbbT6_jjT7_P12ihipStream_tbENKUlT_T0_SG_SL_E_clIS7_S7_SB_SB_EEDaSZ_S10_SG_SL_EUlSZ_E_NS1_11comp_targetILNS1_3genE3ELNS1_11target_archE908ELNS1_3gpuE7ELNS1_3repE0EEENS1_47radix_sort_onesweep_sort_config_static_selectorELNS0_4arch9wavefront6targetE1EEEvSG_,comdat
.Lfunc_end871:
	.size	_ZN7rocprim17ROCPRIM_400000_NS6detail17trampoline_kernelINS0_14default_configENS1_35radix_sort_onesweep_config_selectorIilEEZZNS1_29radix_sort_onesweep_iterationIS3_Lb0EPiS7_N6thrust23THRUST_200600_302600_NS10device_ptrIlEESB_jNS0_19identity_decomposerENS1_16block_id_wrapperIjLb1EEEEE10hipError_tT1_PNSt15iterator_traitsISG_E10value_typeET2_T3_PNSH_ISM_E10value_typeET4_T5_PSR_SS_PNS1_23onesweep_lookback_stateEbbT6_jjT7_P12ihipStream_tbENKUlT_T0_SG_SL_E_clIS7_S7_SB_SB_EEDaSZ_S10_SG_SL_EUlSZ_E_NS1_11comp_targetILNS1_3genE3ELNS1_11target_archE908ELNS1_3gpuE7ELNS1_3repE0EEENS1_47radix_sort_onesweep_sort_config_static_selectorELNS0_4arch9wavefront6targetE1EEEvSG_, .Lfunc_end871-_ZN7rocprim17ROCPRIM_400000_NS6detail17trampoline_kernelINS0_14default_configENS1_35radix_sort_onesweep_config_selectorIilEEZZNS1_29radix_sort_onesweep_iterationIS3_Lb0EPiS7_N6thrust23THRUST_200600_302600_NS10device_ptrIlEESB_jNS0_19identity_decomposerENS1_16block_id_wrapperIjLb1EEEEE10hipError_tT1_PNSt15iterator_traitsISG_E10value_typeET2_T3_PNSH_ISM_E10value_typeET4_T5_PSR_SS_PNS1_23onesweep_lookback_stateEbbT6_jjT7_P12ihipStream_tbENKUlT_T0_SG_SL_E_clIS7_S7_SB_SB_EEDaSZ_S10_SG_SL_EUlSZ_E_NS1_11comp_targetILNS1_3genE3ELNS1_11target_archE908ELNS1_3gpuE7ELNS1_3repE0EEENS1_47radix_sort_onesweep_sort_config_static_selectorELNS0_4arch9wavefront6targetE1EEEvSG_
                                        ; -- End function
	.set _ZN7rocprim17ROCPRIM_400000_NS6detail17trampoline_kernelINS0_14default_configENS1_35radix_sort_onesweep_config_selectorIilEEZZNS1_29radix_sort_onesweep_iterationIS3_Lb0EPiS7_N6thrust23THRUST_200600_302600_NS10device_ptrIlEESB_jNS0_19identity_decomposerENS1_16block_id_wrapperIjLb1EEEEE10hipError_tT1_PNSt15iterator_traitsISG_E10value_typeET2_T3_PNSH_ISM_E10value_typeET4_T5_PSR_SS_PNS1_23onesweep_lookback_stateEbbT6_jjT7_P12ihipStream_tbENKUlT_T0_SG_SL_E_clIS7_S7_SB_SB_EEDaSZ_S10_SG_SL_EUlSZ_E_NS1_11comp_targetILNS1_3genE3ELNS1_11target_archE908ELNS1_3gpuE7ELNS1_3repE0EEENS1_47radix_sort_onesweep_sort_config_static_selectorELNS0_4arch9wavefront6targetE1EEEvSG_.num_vgpr, 0
	.set _ZN7rocprim17ROCPRIM_400000_NS6detail17trampoline_kernelINS0_14default_configENS1_35radix_sort_onesweep_config_selectorIilEEZZNS1_29radix_sort_onesweep_iterationIS3_Lb0EPiS7_N6thrust23THRUST_200600_302600_NS10device_ptrIlEESB_jNS0_19identity_decomposerENS1_16block_id_wrapperIjLb1EEEEE10hipError_tT1_PNSt15iterator_traitsISG_E10value_typeET2_T3_PNSH_ISM_E10value_typeET4_T5_PSR_SS_PNS1_23onesweep_lookback_stateEbbT6_jjT7_P12ihipStream_tbENKUlT_T0_SG_SL_E_clIS7_S7_SB_SB_EEDaSZ_S10_SG_SL_EUlSZ_E_NS1_11comp_targetILNS1_3genE3ELNS1_11target_archE908ELNS1_3gpuE7ELNS1_3repE0EEENS1_47radix_sort_onesweep_sort_config_static_selectorELNS0_4arch9wavefront6targetE1EEEvSG_.num_agpr, 0
	.set _ZN7rocprim17ROCPRIM_400000_NS6detail17trampoline_kernelINS0_14default_configENS1_35radix_sort_onesweep_config_selectorIilEEZZNS1_29radix_sort_onesweep_iterationIS3_Lb0EPiS7_N6thrust23THRUST_200600_302600_NS10device_ptrIlEESB_jNS0_19identity_decomposerENS1_16block_id_wrapperIjLb1EEEEE10hipError_tT1_PNSt15iterator_traitsISG_E10value_typeET2_T3_PNSH_ISM_E10value_typeET4_T5_PSR_SS_PNS1_23onesweep_lookback_stateEbbT6_jjT7_P12ihipStream_tbENKUlT_T0_SG_SL_E_clIS7_S7_SB_SB_EEDaSZ_S10_SG_SL_EUlSZ_E_NS1_11comp_targetILNS1_3genE3ELNS1_11target_archE908ELNS1_3gpuE7ELNS1_3repE0EEENS1_47radix_sort_onesweep_sort_config_static_selectorELNS0_4arch9wavefront6targetE1EEEvSG_.numbered_sgpr, 0
	.set _ZN7rocprim17ROCPRIM_400000_NS6detail17trampoline_kernelINS0_14default_configENS1_35radix_sort_onesweep_config_selectorIilEEZZNS1_29radix_sort_onesweep_iterationIS3_Lb0EPiS7_N6thrust23THRUST_200600_302600_NS10device_ptrIlEESB_jNS0_19identity_decomposerENS1_16block_id_wrapperIjLb1EEEEE10hipError_tT1_PNSt15iterator_traitsISG_E10value_typeET2_T3_PNSH_ISM_E10value_typeET4_T5_PSR_SS_PNS1_23onesweep_lookback_stateEbbT6_jjT7_P12ihipStream_tbENKUlT_T0_SG_SL_E_clIS7_S7_SB_SB_EEDaSZ_S10_SG_SL_EUlSZ_E_NS1_11comp_targetILNS1_3genE3ELNS1_11target_archE908ELNS1_3gpuE7ELNS1_3repE0EEENS1_47radix_sort_onesweep_sort_config_static_selectorELNS0_4arch9wavefront6targetE1EEEvSG_.num_named_barrier, 0
	.set _ZN7rocprim17ROCPRIM_400000_NS6detail17trampoline_kernelINS0_14default_configENS1_35radix_sort_onesweep_config_selectorIilEEZZNS1_29radix_sort_onesweep_iterationIS3_Lb0EPiS7_N6thrust23THRUST_200600_302600_NS10device_ptrIlEESB_jNS0_19identity_decomposerENS1_16block_id_wrapperIjLb1EEEEE10hipError_tT1_PNSt15iterator_traitsISG_E10value_typeET2_T3_PNSH_ISM_E10value_typeET4_T5_PSR_SS_PNS1_23onesweep_lookback_stateEbbT6_jjT7_P12ihipStream_tbENKUlT_T0_SG_SL_E_clIS7_S7_SB_SB_EEDaSZ_S10_SG_SL_EUlSZ_E_NS1_11comp_targetILNS1_3genE3ELNS1_11target_archE908ELNS1_3gpuE7ELNS1_3repE0EEENS1_47radix_sort_onesweep_sort_config_static_selectorELNS0_4arch9wavefront6targetE1EEEvSG_.private_seg_size, 0
	.set _ZN7rocprim17ROCPRIM_400000_NS6detail17trampoline_kernelINS0_14default_configENS1_35radix_sort_onesweep_config_selectorIilEEZZNS1_29radix_sort_onesweep_iterationIS3_Lb0EPiS7_N6thrust23THRUST_200600_302600_NS10device_ptrIlEESB_jNS0_19identity_decomposerENS1_16block_id_wrapperIjLb1EEEEE10hipError_tT1_PNSt15iterator_traitsISG_E10value_typeET2_T3_PNSH_ISM_E10value_typeET4_T5_PSR_SS_PNS1_23onesweep_lookback_stateEbbT6_jjT7_P12ihipStream_tbENKUlT_T0_SG_SL_E_clIS7_S7_SB_SB_EEDaSZ_S10_SG_SL_EUlSZ_E_NS1_11comp_targetILNS1_3genE3ELNS1_11target_archE908ELNS1_3gpuE7ELNS1_3repE0EEENS1_47radix_sort_onesweep_sort_config_static_selectorELNS0_4arch9wavefront6targetE1EEEvSG_.uses_vcc, 0
	.set _ZN7rocprim17ROCPRIM_400000_NS6detail17trampoline_kernelINS0_14default_configENS1_35radix_sort_onesweep_config_selectorIilEEZZNS1_29radix_sort_onesweep_iterationIS3_Lb0EPiS7_N6thrust23THRUST_200600_302600_NS10device_ptrIlEESB_jNS0_19identity_decomposerENS1_16block_id_wrapperIjLb1EEEEE10hipError_tT1_PNSt15iterator_traitsISG_E10value_typeET2_T3_PNSH_ISM_E10value_typeET4_T5_PSR_SS_PNS1_23onesweep_lookback_stateEbbT6_jjT7_P12ihipStream_tbENKUlT_T0_SG_SL_E_clIS7_S7_SB_SB_EEDaSZ_S10_SG_SL_EUlSZ_E_NS1_11comp_targetILNS1_3genE3ELNS1_11target_archE908ELNS1_3gpuE7ELNS1_3repE0EEENS1_47radix_sort_onesweep_sort_config_static_selectorELNS0_4arch9wavefront6targetE1EEEvSG_.uses_flat_scratch, 0
	.set _ZN7rocprim17ROCPRIM_400000_NS6detail17trampoline_kernelINS0_14default_configENS1_35radix_sort_onesweep_config_selectorIilEEZZNS1_29radix_sort_onesweep_iterationIS3_Lb0EPiS7_N6thrust23THRUST_200600_302600_NS10device_ptrIlEESB_jNS0_19identity_decomposerENS1_16block_id_wrapperIjLb1EEEEE10hipError_tT1_PNSt15iterator_traitsISG_E10value_typeET2_T3_PNSH_ISM_E10value_typeET4_T5_PSR_SS_PNS1_23onesweep_lookback_stateEbbT6_jjT7_P12ihipStream_tbENKUlT_T0_SG_SL_E_clIS7_S7_SB_SB_EEDaSZ_S10_SG_SL_EUlSZ_E_NS1_11comp_targetILNS1_3genE3ELNS1_11target_archE908ELNS1_3gpuE7ELNS1_3repE0EEENS1_47radix_sort_onesweep_sort_config_static_selectorELNS0_4arch9wavefront6targetE1EEEvSG_.has_dyn_sized_stack, 0
	.set _ZN7rocprim17ROCPRIM_400000_NS6detail17trampoline_kernelINS0_14default_configENS1_35radix_sort_onesweep_config_selectorIilEEZZNS1_29radix_sort_onesweep_iterationIS3_Lb0EPiS7_N6thrust23THRUST_200600_302600_NS10device_ptrIlEESB_jNS0_19identity_decomposerENS1_16block_id_wrapperIjLb1EEEEE10hipError_tT1_PNSt15iterator_traitsISG_E10value_typeET2_T3_PNSH_ISM_E10value_typeET4_T5_PSR_SS_PNS1_23onesweep_lookback_stateEbbT6_jjT7_P12ihipStream_tbENKUlT_T0_SG_SL_E_clIS7_S7_SB_SB_EEDaSZ_S10_SG_SL_EUlSZ_E_NS1_11comp_targetILNS1_3genE3ELNS1_11target_archE908ELNS1_3gpuE7ELNS1_3repE0EEENS1_47radix_sort_onesweep_sort_config_static_selectorELNS0_4arch9wavefront6targetE1EEEvSG_.has_recursion, 0
	.set _ZN7rocprim17ROCPRIM_400000_NS6detail17trampoline_kernelINS0_14default_configENS1_35radix_sort_onesweep_config_selectorIilEEZZNS1_29radix_sort_onesweep_iterationIS3_Lb0EPiS7_N6thrust23THRUST_200600_302600_NS10device_ptrIlEESB_jNS0_19identity_decomposerENS1_16block_id_wrapperIjLb1EEEEE10hipError_tT1_PNSt15iterator_traitsISG_E10value_typeET2_T3_PNSH_ISM_E10value_typeET4_T5_PSR_SS_PNS1_23onesweep_lookback_stateEbbT6_jjT7_P12ihipStream_tbENKUlT_T0_SG_SL_E_clIS7_S7_SB_SB_EEDaSZ_S10_SG_SL_EUlSZ_E_NS1_11comp_targetILNS1_3genE3ELNS1_11target_archE908ELNS1_3gpuE7ELNS1_3repE0EEENS1_47radix_sort_onesweep_sort_config_static_selectorELNS0_4arch9wavefront6targetE1EEEvSG_.has_indirect_call, 0
	.section	.AMDGPU.csdata,"",@progbits
; Kernel info:
; codeLenInByte = 0
; TotalNumSgprs: 4
; NumVgprs: 0
; ScratchSize: 0
; MemoryBound: 0
; FloatMode: 240
; IeeeMode: 1
; LDSByteSize: 0 bytes/workgroup (compile time only)
; SGPRBlocks: 0
; VGPRBlocks: 0
; NumSGPRsForWavesPerEU: 4
; NumVGPRsForWavesPerEU: 1
; Occupancy: 10
; WaveLimiterHint : 0
; COMPUTE_PGM_RSRC2:SCRATCH_EN: 0
; COMPUTE_PGM_RSRC2:USER_SGPR: 6
; COMPUTE_PGM_RSRC2:TRAP_HANDLER: 0
; COMPUTE_PGM_RSRC2:TGID_X_EN: 1
; COMPUTE_PGM_RSRC2:TGID_Y_EN: 0
; COMPUTE_PGM_RSRC2:TGID_Z_EN: 0
; COMPUTE_PGM_RSRC2:TIDIG_COMP_CNT: 0
	.section	.text._ZN7rocprim17ROCPRIM_400000_NS6detail17trampoline_kernelINS0_14default_configENS1_35radix_sort_onesweep_config_selectorIilEEZZNS1_29radix_sort_onesweep_iterationIS3_Lb0EPiS7_N6thrust23THRUST_200600_302600_NS10device_ptrIlEESB_jNS0_19identity_decomposerENS1_16block_id_wrapperIjLb1EEEEE10hipError_tT1_PNSt15iterator_traitsISG_E10value_typeET2_T3_PNSH_ISM_E10value_typeET4_T5_PSR_SS_PNS1_23onesweep_lookback_stateEbbT6_jjT7_P12ihipStream_tbENKUlT_T0_SG_SL_E_clIS7_S7_SB_SB_EEDaSZ_S10_SG_SL_EUlSZ_E_NS1_11comp_targetILNS1_3genE10ELNS1_11target_archE1201ELNS1_3gpuE5ELNS1_3repE0EEENS1_47radix_sort_onesweep_sort_config_static_selectorELNS0_4arch9wavefront6targetE1EEEvSG_,"axG",@progbits,_ZN7rocprim17ROCPRIM_400000_NS6detail17trampoline_kernelINS0_14default_configENS1_35radix_sort_onesweep_config_selectorIilEEZZNS1_29radix_sort_onesweep_iterationIS3_Lb0EPiS7_N6thrust23THRUST_200600_302600_NS10device_ptrIlEESB_jNS0_19identity_decomposerENS1_16block_id_wrapperIjLb1EEEEE10hipError_tT1_PNSt15iterator_traitsISG_E10value_typeET2_T3_PNSH_ISM_E10value_typeET4_T5_PSR_SS_PNS1_23onesweep_lookback_stateEbbT6_jjT7_P12ihipStream_tbENKUlT_T0_SG_SL_E_clIS7_S7_SB_SB_EEDaSZ_S10_SG_SL_EUlSZ_E_NS1_11comp_targetILNS1_3genE10ELNS1_11target_archE1201ELNS1_3gpuE5ELNS1_3repE0EEENS1_47radix_sort_onesweep_sort_config_static_selectorELNS0_4arch9wavefront6targetE1EEEvSG_,comdat
	.protected	_ZN7rocprim17ROCPRIM_400000_NS6detail17trampoline_kernelINS0_14default_configENS1_35radix_sort_onesweep_config_selectorIilEEZZNS1_29radix_sort_onesweep_iterationIS3_Lb0EPiS7_N6thrust23THRUST_200600_302600_NS10device_ptrIlEESB_jNS0_19identity_decomposerENS1_16block_id_wrapperIjLb1EEEEE10hipError_tT1_PNSt15iterator_traitsISG_E10value_typeET2_T3_PNSH_ISM_E10value_typeET4_T5_PSR_SS_PNS1_23onesweep_lookback_stateEbbT6_jjT7_P12ihipStream_tbENKUlT_T0_SG_SL_E_clIS7_S7_SB_SB_EEDaSZ_S10_SG_SL_EUlSZ_E_NS1_11comp_targetILNS1_3genE10ELNS1_11target_archE1201ELNS1_3gpuE5ELNS1_3repE0EEENS1_47radix_sort_onesweep_sort_config_static_selectorELNS0_4arch9wavefront6targetE1EEEvSG_ ; -- Begin function _ZN7rocprim17ROCPRIM_400000_NS6detail17trampoline_kernelINS0_14default_configENS1_35radix_sort_onesweep_config_selectorIilEEZZNS1_29radix_sort_onesweep_iterationIS3_Lb0EPiS7_N6thrust23THRUST_200600_302600_NS10device_ptrIlEESB_jNS0_19identity_decomposerENS1_16block_id_wrapperIjLb1EEEEE10hipError_tT1_PNSt15iterator_traitsISG_E10value_typeET2_T3_PNSH_ISM_E10value_typeET4_T5_PSR_SS_PNS1_23onesweep_lookback_stateEbbT6_jjT7_P12ihipStream_tbENKUlT_T0_SG_SL_E_clIS7_S7_SB_SB_EEDaSZ_S10_SG_SL_EUlSZ_E_NS1_11comp_targetILNS1_3genE10ELNS1_11target_archE1201ELNS1_3gpuE5ELNS1_3repE0EEENS1_47radix_sort_onesweep_sort_config_static_selectorELNS0_4arch9wavefront6targetE1EEEvSG_
	.globl	_ZN7rocprim17ROCPRIM_400000_NS6detail17trampoline_kernelINS0_14default_configENS1_35radix_sort_onesweep_config_selectorIilEEZZNS1_29radix_sort_onesweep_iterationIS3_Lb0EPiS7_N6thrust23THRUST_200600_302600_NS10device_ptrIlEESB_jNS0_19identity_decomposerENS1_16block_id_wrapperIjLb1EEEEE10hipError_tT1_PNSt15iterator_traitsISG_E10value_typeET2_T3_PNSH_ISM_E10value_typeET4_T5_PSR_SS_PNS1_23onesweep_lookback_stateEbbT6_jjT7_P12ihipStream_tbENKUlT_T0_SG_SL_E_clIS7_S7_SB_SB_EEDaSZ_S10_SG_SL_EUlSZ_E_NS1_11comp_targetILNS1_3genE10ELNS1_11target_archE1201ELNS1_3gpuE5ELNS1_3repE0EEENS1_47radix_sort_onesweep_sort_config_static_selectorELNS0_4arch9wavefront6targetE1EEEvSG_
	.p2align	8
	.type	_ZN7rocprim17ROCPRIM_400000_NS6detail17trampoline_kernelINS0_14default_configENS1_35radix_sort_onesweep_config_selectorIilEEZZNS1_29radix_sort_onesweep_iterationIS3_Lb0EPiS7_N6thrust23THRUST_200600_302600_NS10device_ptrIlEESB_jNS0_19identity_decomposerENS1_16block_id_wrapperIjLb1EEEEE10hipError_tT1_PNSt15iterator_traitsISG_E10value_typeET2_T3_PNSH_ISM_E10value_typeET4_T5_PSR_SS_PNS1_23onesweep_lookback_stateEbbT6_jjT7_P12ihipStream_tbENKUlT_T0_SG_SL_E_clIS7_S7_SB_SB_EEDaSZ_S10_SG_SL_EUlSZ_E_NS1_11comp_targetILNS1_3genE10ELNS1_11target_archE1201ELNS1_3gpuE5ELNS1_3repE0EEENS1_47radix_sort_onesweep_sort_config_static_selectorELNS0_4arch9wavefront6targetE1EEEvSG_,@function
_ZN7rocprim17ROCPRIM_400000_NS6detail17trampoline_kernelINS0_14default_configENS1_35radix_sort_onesweep_config_selectorIilEEZZNS1_29radix_sort_onesweep_iterationIS3_Lb0EPiS7_N6thrust23THRUST_200600_302600_NS10device_ptrIlEESB_jNS0_19identity_decomposerENS1_16block_id_wrapperIjLb1EEEEE10hipError_tT1_PNSt15iterator_traitsISG_E10value_typeET2_T3_PNSH_ISM_E10value_typeET4_T5_PSR_SS_PNS1_23onesweep_lookback_stateEbbT6_jjT7_P12ihipStream_tbENKUlT_T0_SG_SL_E_clIS7_S7_SB_SB_EEDaSZ_S10_SG_SL_EUlSZ_E_NS1_11comp_targetILNS1_3genE10ELNS1_11target_archE1201ELNS1_3gpuE5ELNS1_3repE0EEENS1_47radix_sort_onesweep_sort_config_static_selectorELNS0_4arch9wavefront6targetE1EEEvSG_: ; @_ZN7rocprim17ROCPRIM_400000_NS6detail17trampoline_kernelINS0_14default_configENS1_35radix_sort_onesweep_config_selectorIilEEZZNS1_29radix_sort_onesweep_iterationIS3_Lb0EPiS7_N6thrust23THRUST_200600_302600_NS10device_ptrIlEESB_jNS0_19identity_decomposerENS1_16block_id_wrapperIjLb1EEEEE10hipError_tT1_PNSt15iterator_traitsISG_E10value_typeET2_T3_PNSH_ISM_E10value_typeET4_T5_PSR_SS_PNS1_23onesweep_lookback_stateEbbT6_jjT7_P12ihipStream_tbENKUlT_T0_SG_SL_E_clIS7_S7_SB_SB_EEDaSZ_S10_SG_SL_EUlSZ_E_NS1_11comp_targetILNS1_3genE10ELNS1_11target_archE1201ELNS1_3gpuE5ELNS1_3repE0EEENS1_47radix_sort_onesweep_sort_config_static_selectorELNS0_4arch9wavefront6targetE1EEEvSG_
; %bb.0:
	.section	.rodata,"a",@progbits
	.p2align	6, 0x0
	.amdhsa_kernel _ZN7rocprim17ROCPRIM_400000_NS6detail17trampoline_kernelINS0_14default_configENS1_35radix_sort_onesweep_config_selectorIilEEZZNS1_29radix_sort_onesweep_iterationIS3_Lb0EPiS7_N6thrust23THRUST_200600_302600_NS10device_ptrIlEESB_jNS0_19identity_decomposerENS1_16block_id_wrapperIjLb1EEEEE10hipError_tT1_PNSt15iterator_traitsISG_E10value_typeET2_T3_PNSH_ISM_E10value_typeET4_T5_PSR_SS_PNS1_23onesweep_lookback_stateEbbT6_jjT7_P12ihipStream_tbENKUlT_T0_SG_SL_E_clIS7_S7_SB_SB_EEDaSZ_S10_SG_SL_EUlSZ_E_NS1_11comp_targetILNS1_3genE10ELNS1_11target_archE1201ELNS1_3gpuE5ELNS1_3repE0EEENS1_47radix_sort_onesweep_sort_config_static_selectorELNS0_4arch9wavefront6targetE1EEEvSG_
		.amdhsa_group_segment_fixed_size 0
		.amdhsa_private_segment_fixed_size 0
		.amdhsa_kernarg_size 88
		.amdhsa_user_sgpr_count 6
		.amdhsa_user_sgpr_private_segment_buffer 1
		.amdhsa_user_sgpr_dispatch_ptr 0
		.amdhsa_user_sgpr_queue_ptr 0
		.amdhsa_user_sgpr_kernarg_segment_ptr 1
		.amdhsa_user_sgpr_dispatch_id 0
		.amdhsa_user_sgpr_flat_scratch_init 0
		.amdhsa_user_sgpr_private_segment_size 0
		.amdhsa_uses_dynamic_stack 0
		.amdhsa_system_sgpr_private_segment_wavefront_offset 0
		.amdhsa_system_sgpr_workgroup_id_x 1
		.amdhsa_system_sgpr_workgroup_id_y 0
		.amdhsa_system_sgpr_workgroup_id_z 0
		.amdhsa_system_sgpr_workgroup_info 0
		.amdhsa_system_vgpr_workitem_id 0
		.amdhsa_next_free_vgpr 1
		.amdhsa_next_free_sgpr 0
		.amdhsa_reserve_vcc 0
		.amdhsa_reserve_flat_scratch 0
		.amdhsa_float_round_mode_32 0
		.amdhsa_float_round_mode_16_64 0
		.amdhsa_float_denorm_mode_32 3
		.amdhsa_float_denorm_mode_16_64 3
		.amdhsa_dx10_clamp 1
		.amdhsa_ieee_mode 1
		.amdhsa_fp16_overflow 0
		.amdhsa_exception_fp_ieee_invalid_op 0
		.amdhsa_exception_fp_denorm_src 0
		.amdhsa_exception_fp_ieee_div_zero 0
		.amdhsa_exception_fp_ieee_overflow 0
		.amdhsa_exception_fp_ieee_underflow 0
		.amdhsa_exception_fp_ieee_inexact 0
		.amdhsa_exception_int_div_zero 0
	.end_amdhsa_kernel
	.section	.text._ZN7rocprim17ROCPRIM_400000_NS6detail17trampoline_kernelINS0_14default_configENS1_35radix_sort_onesweep_config_selectorIilEEZZNS1_29radix_sort_onesweep_iterationIS3_Lb0EPiS7_N6thrust23THRUST_200600_302600_NS10device_ptrIlEESB_jNS0_19identity_decomposerENS1_16block_id_wrapperIjLb1EEEEE10hipError_tT1_PNSt15iterator_traitsISG_E10value_typeET2_T3_PNSH_ISM_E10value_typeET4_T5_PSR_SS_PNS1_23onesweep_lookback_stateEbbT6_jjT7_P12ihipStream_tbENKUlT_T0_SG_SL_E_clIS7_S7_SB_SB_EEDaSZ_S10_SG_SL_EUlSZ_E_NS1_11comp_targetILNS1_3genE10ELNS1_11target_archE1201ELNS1_3gpuE5ELNS1_3repE0EEENS1_47radix_sort_onesweep_sort_config_static_selectorELNS0_4arch9wavefront6targetE1EEEvSG_,"axG",@progbits,_ZN7rocprim17ROCPRIM_400000_NS6detail17trampoline_kernelINS0_14default_configENS1_35radix_sort_onesweep_config_selectorIilEEZZNS1_29radix_sort_onesweep_iterationIS3_Lb0EPiS7_N6thrust23THRUST_200600_302600_NS10device_ptrIlEESB_jNS0_19identity_decomposerENS1_16block_id_wrapperIjLb1EEEEE10hipError_tT1_PNSt15iterator_traitsISG_E10value_typeET2_T3_PNSH_ISM_E10value_typeET4_T5_PSR_SS_PNS1_23onesweep_lookback_stateEbbT6_jjT7_P12ihipStream_tbENKUlT_T0_SG_SL_E_clIS7_S7_SB_SB_EEDaSZ_S10_SG_SL_EUlSZ_E_NS1_11comp_targetILNS1_3genE10ELNS1_11target_archE1201ELNS1_3gpuE5ELNS1_3repE0EEENS1_47radix_sort_onesweep_sort_config_static_selectorELNS0_4arch9wavefront6targetE1EEEvSG_,comdat
.Lfunc_end872:
	.size	_ZN7rocprim17ROCPRIM_400000_NS6detail17trampoline_kernelINS0_14default_configENS1_35radix_sort_onesweep_config_selectorIilEEZZNS1_29radix_sort_onesweep_iterationIS3_Lb0EPiS7_N6thrust23THRUST_200600_302600_NS10device_ptrIlEESB_jNS0_19identity_decomposerENS1_16block_id_wrapperIjLb1EEEEE10hipError_tT1_PNSt15iterator_traitsISG_E10value_typeET2_T3_PNSH_ISM_E10value_typeET4_T5_PSR_SS_PNS1_23onesweep_lookback_stateEbbT6_jjT7_P12ihipStream_tbENKUlT_T0_SG_SL_E_clIS7_S7_SB_SB_EEDaSZ_S10_SG_SL_EUlSZ_E_NS1_11comp_targetILNS1_3genE10ELNS1_11target_archE1201ELNS1_3gpuE5ELNS1_3repE0EEENS1_47radix_sort_onesweep_sort_config_static_selectorELNS0_4arch9wavefront6targetE1EEEvSG_, .Lfunc_end872-_ZN7rocprim17ROCPRIM_400000_NS6detail17trampoline_kernelINS0_14default_configENS1_35radix_sort_onesweep_config_selectorIilEEZZNS1_29radix_sort_onesweep_iterationIS3_Lb0EPiS7_N6thrust23THRUST_200600_302600_NS10device_ptrIlEESB_jNS0_19identity_decomposerENS1_16block_id_wrapperIjLb1EEEEE10hipError_tT1_PNSt15iterator_traitsISG_E10value_typeET2_T3_PNSH_ISM_E10value_typeET4_T5_PSR_SS_PNS1_23onesweep_lookback_stateEbbT6_jjT7_P12ihipStream_tbENKUlT_T0_SG_SL_E_clIS7_S7_SB_SB_EEDaSZ_S10_SG_SL_EUlSZ_E_NS1_11comp_targetILNS1_3genE10ELNS1_11target_archE1201ELNS1_3gpuE5ELNS1_3repE0EEENS1_47radix_sort_onesweep_sort_config_static_selectorELNS0_4arch9wavefront6targetE1EEEvSG_
                                        ; -- End function
	.set _ZN7rocprim17ROCPRIM_400000_NS6detail17trampoline_kernelINS0_14default_configENS1_35radix_sort_onesweep_config_selectorIilEEZZNS1_29radix_sort_onesweep_iterationIS3_Lb0EPiS7_N6thrust23THRUST_200600_302600_NS10device_ptrIlEESB_jNS0_19identity_decomposerENS1_16block_id_wrapperIjLb1EEEEE10hipError_tT1_PNSt15iterator_traitsISG_E10value_typeET2_T3_PNSH_ISM_E10value_typeET4_T5_PSR_SS_PNS1_23onesweep_lookback_stateEbbT6_jjT7_P12ihipStream_tbENKUlT_T0_SG_SL_E_clIS7_S7_SB_SB_EEDaSZ_S10_SG_SL_EUlSZ_E_NS1_11comp_targetILNS1_3genE10ELNS1_11target_archE1201ELNS1_3gpuE5ELNS1_3repE0EEENS1_47radix_sort_onesweep_sort_config_static_selectorELNS0_4arch9wavefront6targetE1EEEvSG_.num_vgpr, 0
	.set _ZN7rocprim17ROCPRIM_400000_NS6detail17trampoline_kernelINS0_14default_configENS1_35radix_sort_onesweep_config_selectorIilEEZZNS1_29radix_sort_onesweep_iterationIS3_Lb0EPiS7_N6thrust23THRUST_200600_302600_NS10device_ptrIlEESB_jNS0_19identity_decomposerENS1_16block_id_wrapperIjLb1EEEEE10hipError_tT1_PNSt15iterator_traitsISG_E10value_typeET2_T3_PNSH_ISM_E10value_typeET4_T5_PSR_SS_PNS1_23onesweep_lookback_stateEbbT6_jjT7_P12ihipStream_tbENKUlT_T0_SG_SL_E_clIS7_S7_SB_SB_EEDaSZ_S10_SG_SL_EUlSZ_E_NS1_11comp_targetILNS1_3genE10ELNS1_11target_archE1201ELNS1_3gpuE5ELNS1_3repE0EEENS1_47radix_sort_onesweep_sort_config_static_selectorELNS0_4arch9wavefront6targetE1EEEvSG_.num_agpr, 0
	.set _ZN7rocprim17ROCPRIM_400000_NS6detail17trampoline_kernelINS0_14default_configENS1_35radix_sort_onesweep_config_selectorIilEEZZNS1_29radix_sort_onesweep_iterationIS3_Lb0EPiS7_N6thrust23THRUST_200600_302600_NS10device_ptrIlEESB_jNS0_19identity_decomposerENS1_16block_id_wrapperIjLb1EEEEE10hipError_tT1_PNSt15iterator_traitsISG_E10value_typeET2_T3_PNSH_ISM_E10value_typeET4_T5_PSR_SS_PNS1_23onesweep_lookback_stateEbbT6_jjT7_P12ihipStream_tbENKUlT_T0_SG_SL_E_clIS7_S7_SB_SB_EEDaSZ_S10_SG_SL_EUlSZ_E_NS1_11comp_targetILNS1_3genE10ELNS1_11target_archE1201ELNS1_3gpuE5ELNS1_3repE0EEENS1_47radix_sort_onesweep_sort_config_static_selectorELNS0_4arch9wavefront6targetE1EEEvSG_.numbered_sgpr, 0
	.set _ZN7rocprim17ROCPRIM_400000_NS6detail17trampoline_kernelINS0_14default_configENS1_35radix_sort_onesweep_config_selectorIilEEZZNS1_29radix_sort_onesweep_iterationIS3_Lb0EPiS7_N6thrust23THRUST_200600_302600_NS10device_ptrIlEESB_jNS0_19identity_decomposerENS1_16block_id_wrapperIjLb1EEEEE10hipError_tT1_PNSt15iterator_traitsISG_E10value_typeET2_T3_PNSH_ISM_E10value_typeET4_T5_PSR_SS_PNS1_23onesweep_lookback_stateEbbT6_jjT7_P12ihipStream_tbENKUlT_T0_SG_SL_E_clIS7_S7_SB_SB_EEDaSZ_S10_SG_SL_EUlSZ_E_NS1_11comp_targetILNS1_3genE10ELNS1_11target_archE1201ELNS1_3gpuE5ELNS1_3repE0EEENS1_47radix_sort_onesweep_sort_config_static_selectorELNS0_4arch9wavefront6targetE1EEEvSG_.num_named_barrier, 0
	.set _ZN7rocprim17ROCPRIM_400000_NS6detail17trampoline_kernelINS0_14default_configENS1_35radix_sort_onesweep_config_selectorIilEEZZNS1_29radix_sort_onesweep_iterationIS3_Lb0EPiS7_N6thrust23THRUST_200600_302600_NS10device_ptrIlEESB_jNS0_19identity_decomposerENS1_16block_id_wrapperIjLb1EEEEE10hipError_tT1_PNSt15iterator_traitsISG_E10value_typeET2_T3_PNSH_ISM_E10value_typeET4_T5_PSR_SS_PNS1_23onesweep_lookback_stateEbbT6_jjT7_P12ihipStream_tbENKUlT_T0_SG_SL_E_clIS7_S7_SB_SB_EEDaSZ_S10_SG_SL_EUlSZ_E_NS1_11comp_targetILNS1_3genE10ELNS1_11target_archE1201ELNS1_3gpuE5ELNS1_3repE0EEENS1_47radix_sort_onesweep_sort_config_static_selectorELNS0_4arch9wavefront6targetE1EEEvSG_.private_seg_size, 0
	.set _ZN7rocprim17ROCPRIM_400000_NS6detail17trampoline_kernelINS0_14default_configENS1_35radix_sort_onesweep_config_selectorIilEEZZNS1_29radix_sort_onesweep_iterationIS3_Lb0EPiS7_N6thrust23THRUST_200600_302600_NS10device_ptrIlEESB_jNS0_19identity_decomposerENS1_16block_id_wrapperIjLb1EEEEE10hipError_tT1_PNSt15iterator_traitsISG_E10value_typeET2_T3_PNSH_ISM_E10value_typeET4_T5_PSR_SS_PNS1_23onesweep_lookback_stateEbbT6_jjT7_P12ihipStream_tbENKUlT_T0_SG_SL_E_clIS7_S7_SB_SB_EEDaSZ_S10_SG_SL_EUlSZ_E_NS1_11comp_targetILNS1_3genE10ELNS1_11target_archE1201ELNS1_3gpuE5ELNS1_3repE0EEENS1_47radix_sort_onesweep_sort_config_static_selectorELNS0_4arch9wavefront6targetE1EEEvSG_.uses_vcc, 0
	.set _ZN7rocprim17ROCPRIM_400000_NS6detail17trampoline_kernelINS0_14default_configENS1_35radix_sort_onesweep_config_selectorIilEEZZNS1_29radix_sort_onesweep_iterationIS3_Lb0EPiS7_N6thrust23THRUST_200600_302600_NS10device_ptrIlEESB_jNS0_19identity_decomposerENS1_16block_id_wrapperIjLb1EEEEE10hipError_tT1_PNSt15iterator_traitsISG_E10value_typeET2_T3_PNSH_ISM_E10value_typeET4_T5_PSR_SS_PNS1_23onesweep_lookback_stateEbbT6_jjT7_P12ihipStream_tbENKUlT_T0_SG_SL_E_clIS7_S7_SB_SB_EEDaSZ_S10_SG_SL_EUlSZ_E_NS1_11comp_targetILNS1_3genE10ELNS1_11target_archE1201ELNS1_3gpuE5ELNS1_3repE0EEENS1_47radix_sort_onesweep_sort_config_static_selectorELNS0_4arch9wavefront6targetE1EEEvSG_.uses_flat_scratch, 0
	.set _ZN7rocprim17ROCPRIM_400000_NS6detail17trampoline_kernelINS0_14default_configENS1_35radix_sort_onesweep_config_selectorIilEEZZNS1_29radix_sort_onesweep_iterationIS3_Lb0EPiS7_N6thrust23THRUST_200600_302600_NS10device_ptrIlEESB_jNS0_19identity_decomposerENS1_16block_id_wrapperIjLb1EEEEE10hipError_tT1_PNSt15iterator_traitsISG_E10value_typeET2_T3_PNSH_ISM_E10value_typeET4_T5_PSR_SS_PNS1_23onesweep_lookback_stateEbbT6_jjT7_P12ihipStream_tbENKUlT_T0_SG_SL_E_clIS7_S7_SB_SB_EEDaSZ_S10_SG_SL_EUlSZ_E_NS1_11comp_targetILNS1_3genE10ELNS1_11target_archE1201ELNS1_3gpuE5ELNS1_3repE0EEENS1_47radix_sort_onesweep_sort_config_static_selectorELNS0_4arch9wavefront6targetE1EEEvSG_.has_dyn_sized_stack, 0
	.set _ZN7rocprim17ROCPRIM_400000_NS6detail17trampoline_kernelINS0_14default_configENS1_35radix_sort_onesweep_config_selectorIilEEZZNS1_29radix_sort_onesweep_iterationIS3_Lb0EPiS7_N6thrust23THRUST_200600_302600_NS10device_ptrIlEESB_jNS0_19identity_decomposerENS1_16block_id_wrapperIjLb1EEEEE10hipError_tT1_PNSt15iterator_traitsISG_E10value_typeET2_T3_PNSH_ISM_E10value_typeET4_T5_PSR_SS_PNS1_23onesweep_lookback_stateEbbT6_jjT7_P12ihipStream_tbENKUlT_T0_SG_SL_E_clIS7_S7_SB_SB_EEDaSZ_S10_SG_SL_EUlSZ_E_NS1_11comp_targetILNS1_3genE10ELNS1_11target_archE1201ELNS1_3gpuE5ELNS1_3repE0EEENS1_47radix_sort_onesweep_sort_config_static_selectorELNS0_4arch9wavefront6targetE1EEEvSG_.has_recursion, 0
	.set _ZN7rocprim17ROCPRIM_400000_NS6detail17trampoline_kernelINS0_14default_configENS1_35radix_sort_onesweep_config_selectorIilEEZZNS1_29radix_sort_onesweep_iterationIS3_Lb0EPiS7_N6thrust23THRUST_200600_302600_NS10device_ptrIlEESB_jNS0_19identity_decomposerENS1_16block_id_wrapperIjLb1EEEEE10hipError_tT1_PNSt15iterator_traitsISG_E10value_typeET2_T3_PNSH_ISM_E10value_typeET4_T5_PSR_SS_PNS1_23onesweep_lookback_stateEbbT6_jjT7_P12ihipStream_tbENKUlT_T0_SG_SL_E_clIS7_S7_SB_SB_EEDaSZ_S10_SG_SL_EUlSZ_E_NS1_11comp_targetILNS1_3genE10ELNS1_11target_archE1201ELNS1_3gpuE5ELNS1_3repE0EEENS1_47radix_sort_onesweep_sort_config_static_selectorELNS0_4arch9wavefront6targetE1EEEvSG_.has_indirect_call, 0
	.section	.AMDGPU.csdata,"",@progbits
; Kernel info:
; codeLenInByte = 0
; TotalNumSgprs: 4
; NumVgprs: 0
; ScratchSize: 0
; MemoryBound: 0
; FloatMode: 240
; IeeeMode: 1
; LDSByteSize: 0 bytes/workgroup (compile time only)
; SGPRBlocks: 0
; VGPRBlocks: 0
; NumSGPRsForWavesPerEU: 4
; NumVGPRsForWavesPerEU: 1
; Occupancy: 10
; WaveLimiterHint : 0
; COMPUTE_PGM_RSRC2:SCRATCH_EN: 0
; COMPUTE_PGM_RSRC2:USER_SGPR: 6
; COMPUTE_PGM_RSRC2:TRAP_HANDLER: 0
; COMPUTE_PGM_RSRC2:TGID_X_EN: 1
; COMPUTE_PGM_RSRC2:TGID_Y_EN: 0
; COMPUTE_PGM_RSRC2:TGID_Z_EN: 0
; COMPUTE_PGM_RSRC2:TIDIG_COMP_CNT: 0
	.section	.text._ZN7rocprim17ROCPRIM_400000_NS6detail17trampoline_kernelINS0_14default_configENS1_35radix_sort_onesweep_config_selectorIilEEZZNS1_29radix_sort_onesweep_iterationIS3_Lb0EPiS7_N6thrust23THRUST_200600_302600_NS10device_ptrIlEESB_jNS0_19identity_decomposerENS1_16block_id_wrapperIjLb1EEEEE10hipError_tT1_PNSt15iterator_traitsISG_E10value_typeET2_T3_PNSH_ISM_E10value_typeET4_T5_PSR_SS_PNS1_23onesweep_lookback_stateEbbT6_jjT7_P12ihipStream_tbENKUlT_T0_SG_SL_E_clIS7_S7_SB_SB_EEDaSZ_S10_SG_SL_EUlSZ_E_NS1_11comp_targetILNS1_3genE9ELNS1_11target_archE1100ELNS1_3gpuE3ELNS1_3repE0EEENS1_47radix_sort_onesweep_sort_config_static_selectorELNS0_4arch9wavefront6targetE1EEEvSG_,"axG",@progbits,_ZN7rocprim17ROCPRIM_400000_NS6detail17trampoline_kernelINS0_14default_configENS1_35radix_sort_onesweep_config_selectorIilEEZZNS1_29radix_sort_onesweep_iterationIS3_Lb0EPiS7_N6thrust23THRUST_200600_302600_NS10device_ptrIlEESB_jNS0_19identity_decomposerENS1_16block_id_wrapperIjLb1EEEEE10hipError_tT1_PNSt15iterator_traitsISG_E10value_typeET2_T3_PNSH_ISM_E10value_typeET4_T5_PSR_SS_PNS1_23onesweep_lookback_stateEbbT6_jjT7_P12ihipStream_tbENKUlT_T0_SG_SL_E_clIS7_S7_SB_SB_EEDaSZ_S10_SG_SL_EUlSZ_E_NS1_11comp_targetILNS1_3genE9ELNS1_11target_archE1100ELNS1_3gpuE3ELNS1_3repE0EEENS1_47radix_sort_onesweep_sort_config_static_selectorELNS0_4arch9wavefront6targetE1EEEvSG_,comdat
	.protected	_ZN7rocprim17ROCPRIM_400000_NS6detail17trampoline_kernelINS0_14default_configENS1_35radix_sort_onesweep_config_selectorIilEEZZNS1_29radix_sort_onesweep_iterationIS3_Lb0EPiS7_N6thrust23THRUST_200600_302600_NS10device_ptrIlEESB_jNS0_19identity_decomposerENS1_16block_id_wrapperIjLb1EEEEE10hipError_tT1_PNSt15iterator_traitsISG_E10value_typeET2_T3_PNSH_ISM_E10value_typeET4_T5_PSR_SS_PNS1_23onesweep_lookback_stateEbbT6_jjT7_P12ihipStream_tbENKUlT_T0_SG_SL_E_clIS7_S7_SB_SB_EEDaSZ_S10_SG_SL_EUlSZ_E_NS1_11comp_targetILNS1_3genE9ELNS1_11target_archE1100ELNS1_3gpuE3ELNS1_3repE0EEENS1_47radix_sort_onesweep_sort_config_static_selectorELNS0_4arch9wavefront6targetE1EEEvSG_ ; -- Begin function _ZN7rocprim17ROCPRIM_400000_NS6detail17trampoline_kernelINS0_14default_configENS1_35radix_sort_onesweep_config_selectorIilEEZZNS1_29radix_sort_onesweep_iterationIS3_Lb0EPiS7_N6thrust23THRUST_200600_302600_NS10device_ptrIlEESB_jNS0_19identity_decomposerENS1_16block_id_wrapperIjLb1EEEEE10hipError_tT1_PNSt15iterator_traitsISG_E10value_typeET2_T3_PNSH_ISM_E10value_typeET4_T5_PSR_SS_PNS1_23onesweep_lookback_stateEbbT6_jjT7_P12ihipStream_tbENKUlT_T0_SG_SL_E_clIS7_S7_SB_SB_EEDaSZ_S10_SG_SL_EUlSZ_E_NS1_11comp_targetILNS1_3genE9ELNS1_11target_archE1100ELNS1_3gpuE3ELNS1_3repE0EEENS1_47radix_sort_onesweep_sort_config_static_selectorELNS0_4arch9wavefront6targetE1EEEvSG_
	.globl	_ZN7rocprim17ROCPRIM_400000_NS6detail17trampoline_kernelINS0_14default_configENS1_35radix_sort_onesweep_config_selectorIilEEZZNS1_29radix_sort_onesweep_iterationIS3_Lb0EPiS7_N6thrust23THRUST_200600_302600_NS10device_ptrIlEESB_jNS0_19identity_decomposerENS1_16block_id_wrapperIjLb1EEEEE10hipError_tT1_PNSt15iterator_traitsISG_E10value_typeET2_T3_PNSH_ISM_E10value_typeET4_T5_PSR_SS_PNS1_23onesweep_lookback_stateEbbT6_jjT7_P12ihipStream_tbENKUlT_T0_SG_SL_E_clIS7_S7_SB_SB_EEDaSZ_S10_SG_SL_EUlSZ_E_NS1_11comp_targetILNS1_3genE9ELNS1_11target_archE1100ELNS1_3gpuE3ELNS1_3repE0EEENS1_47radix_sort_onesweep_sort_config_static_selectorELNS0_4arch9wavefront6targetE1EEEvSG_
	.p2align	8
	.type	_ZN7rocprim17ROCPRIM_400000_NS6detail17trampoline_kernelINS0_14default_configENS1_35radix_sort_onesweep_config_selectorIilEEZZNS1_29radix_sort_onesweep_iterationIS3_Lb0EPiS7_N6thrust23THRUST_200600_302600_NS10device_ptrIlEESB_jNS0_19identity_decomposerENS1_16block_id_wrapperIjLb1EEEEE10hipError_tT1_PNSt15iterator_traitsISG_E10value_typeET2_T3_PNSH_ISM_E10value_typeET4_T5_PSR_SS_PNS1_23onesweep_lookback_stateEbbT6_jjT7_P12ihipStream_tbENKUlT_T0_SG_SL_E_clIS7_S7_SB_SB_EEDaSZ_S10_SG_SL_EUlSZ_E_NS1_11comp_targetILNS1_3genE9ELNS1_11target_archE1100ELNS1_3gpuE3ELNS1_3repE0EEENS1_47radix_sort_onesweep_sort_config_static_selectorELNS0_4arch9wavefront6targetE1EEEvSG_,@function
_ZN7rocprim17ROCPRIM_400000_NS6detail17trampoline_kernelINS0_14default_configENS1_35radix_sort_onesweep_config_selectorIilEEZZNS1_29radix_sort_onesweep_iterationIS3_Lb0EPiS7_N6thrust23THRUST_200600_302600_NS10device_ptrIlEESB_jNS0_19identity_decomposerENS1_16block_id_wrapperIjLb1EEEEE10hipError_tT1_PNSt15iterator_traitsISG_E10value_typeET2_T3_PNSH_ISM_E10value_typeET4_T5_PSR_SS_PNS1_23onesweep_lookback_stateEbbT6_jjT7_P12ihipStream_tbENKUlT_T0_SG_SL_E_clIS7_S7_SB_SB_EEDaSZ_S10_SG_SL_EUlSZ_E_NS1_11comp_targetILNS1_3genE9ELNS1_11target_archE1100ELNS1_3gpuE3ELNS1_3repE0EEENS1_47radix_sort_onesweep_sort_config_static_selectorELNS0_4arch9wavefront6targetE1EEEvSG_: ; @_ZN7rocprim17ROCPRIM_400000_NS6detail17trampoline_kernelINS0_14default_configENS1_35radix_sort_onesweep_config_selectorIilEEZZNS1_29radix_sort_onesweep_iterationIS3_Lb0EPiS7_N6thrust23THRUST_200600_302600_NS10device_ptrIlEESB_jNS0_19identity_decomposerENS1_16block_id_wrapperIjLb1EEEEE10hipError_tT1_PNSt15iterator_traitsISG_E10value_typeET2_T3_PNSH_ISM_E10value_typeET4_T5_PSR_SS_PNS1_23onesweep_lookback_stateEbbT6_jjT7_P12ihipStream_tbENKUlT_T0_SG_SL_E_clIS7_S7_SB_SB_EEDaSZ_S10_SG_SL_EUlSZ_E_NS1_11comp_targetILNS1_3genE9ELNS1_11target_archE1100ELNS1_3gpuE3ELNS1_3repE0EEENS1_47radix_sort_onesweep_sort_config_static_selectorELNS0_4arch9wavefront6targetE1EEEvSG_
; %bb.0:
	.section	.rodata,"a",@progbits
	.p2align	6, 0x0
	.amdhsa_kernel _ZN7rocprim17ROCPRIM_400000_NS6detail17trampoline_kernelINS0_14default_configENS1_35radix_sort_onesweep_config_selectorIilEEZZNS1_29radix_sort_onesweep_iterationIS3_Lb0EPiS7_N6thrust23THRUST_200600_302600_NS10device_ptrIlEESB_jNS0_19identity_decomposerENS1_16block_id_wrapperIjLb1EEEEE10hipError_tT1_PNSt15iterator_traitsISG_E10value_typeET2_T3_PNSH_ISM_E10value_typeET4_T5_PSR_SS_PNS1_23onesweep_lookback_stateEbbT6_jjT7_P12ihipStream_tbENKUlT_T0_SG_SL_E_clIS7_S7_SB_SB_EEDaSZ_S10_SG_SL_EUlSZ_E_NS1_11comp_targetILNS1_3genE9ELNS1_11target_archE1100ELNS1_3gpuE3ELNS1_3repE0EEENS1_47radix_sort_onesweep_sort_config_static_selectorELNS0_4arch9wavefront6targetE1EEEvSG_
		.amdhsa_group_segment_fixed_size 0
		.amdhsa_private_segment_fixed_size 0
		.amdhsa_kernarg_size 88
		.amdhsa_user_sgpr_count 6
		.amdhsa_user_sgpr_private_segment_buffer 1
		.amdhsa_user_sgpr_dispatch_ptr 0
		.amdhsa_user_sgpr_queue_ptr 0
		.amdhsa_user_sgpr_kernarg_segment_ptr 1
		.amdhsa_user_sgpr_dispatch_id 0
		.amdhsa_user_sgpr_flat_scratch_init 0
		.amdhsa_user_sgpr_private_segment_size 0
		.amdhsa_uses_dynamic_stack 0
		.amdhsa_system_sgpr_private_segment_wavefront_offset 0
		.amdhsa_system_sgpr_workgroup_id_x 1
		.amdhsa_system_sgpr_workgroup_id_y 0
		.amdhsa_system_sgpr_workgroup_id_z 0
		.amdhsa_system_sgpr_workgroup_info 0
		.amdhsa_system_vgpr_workitem_id 0
		.amdhsa_next_free_vgpr 1
		.amdhsa_next_free_sgpr 0
		.amdhsa_reserve_vcc 0
		.amdhsa_reserve_flat_scratch 0
		.amdhsa_float_round_mode_32 0
		.amdhsa_float_round_mode_16_64 0
		.amdhsa_float_denorm_mode_32 3
		.amdhsa_float_denorm_mode_16_64 3
		.amdhsa_dx10_clamp 1
		.amdhsa_ieee_mode 1
		.amdhsa_fp16_overflow 0
		.amdhsa_exception_fp_ieee_invalid_op 0
		.amdhsa_exception_fp_denorm_src 0
		.amdhsa_exception_fp_ieee_div_zero 0
		.amdhsa_exception_fp_ieee_overflow 0
		.amdhsa_exception_fp_ieee_underflow 0
		.amdhsa_exception_fp_ieee_inexact 0
		.amdhsa_exception_int_div_zero 0
	.end_amdhsa_kernel
	.section	.text._ZN7rocprim17ROCPRIM_400000_NS6detail17trampoline_kernelINS0_14default_configENS1_35radix_sort_onesweep_config_selectorIilEEZZNS1_29radix_sort_onesweep_iterationIS3_Lb0EPiS7_N6thrust23THRUST_200600_302600_NS10device_ptrIlEESB_jNS0_19identity_decomposerENS1_16block_id_wrapperIjLb1EEEEE10hipError_tT1_PNSt15iterator_traitsISG_E10value_typeET2_T3_PNSH_ISM_E10value_typeET4_T5_PSR_SS_PNS1_23onesweep_lookback_stateEbbT6_jjT7_P12ihipStream_tbENKUlT_T0_SG_SL_E_clIS7_S7_SB_SB_EEDaSZ_S10_SG_SL_EUlSZ_E_NS1_11comp_targetILNS1_3genE9ELNS1_11target_archE1100ELNS1_3gpuE3ELNS1_3repE0EEENS1_47radix_sort_onesweep_sort_config_static_selectorELNS0_4arch9wavefront6targetE1EEEvSG_,"axG",@progbits,_ZN7rocprim17ROCPRIM_400000_NS6detail17trampoline_kernelINS0_14default_configENS1_35radix_sort_onesweep_config_selectorIilEEZZNS1_29radix_sort_onesweep_iterationIS3_Lb0EPiS7_N6thrust23THRUST_200600_302600_NS10device_ptrIlEESB_jNS0_19identity_decomposerENS1_16block_id_wrapperIjLb1EEEEE10hipError_tT1_PNSt15iterator_traitsISG_E10value_typeET2_T3_PNSH_ISM_E10value_typeET4_T5_PSR_SS_PNS1_23onesweep_lookback_stateEbbT6_jjT7_P12ihipStream_tbENKUlT_T0_SG_SL_E_clIS7_S7_SB_SB_EEDaSZ_S10_SG_SL_EUlSZ_E_NS1_11comp_targetILNS1_3genE9ELNS1_11target_archE1100ELNS1_3gpuE3ELNS1_3repE0EEENS1_47radix_sort_onesweep_sort_config_static_selectorELNS0_4arch9wavefront6targetE1EEEvSG_,comdat
.Lfunc_end873:
	.size	_ZN7rocprim17ROCPRIM_400000_NS6detail17trampoline_kernelINS0_14default_configENS1_35radix_sort_onesweep_config_selectorIilEEZZNS1_29radix_sort_onesweep_iterationIS3_Lb0EPiS7_N6thrust23THRUST_200600_302600_NS10device_ptrIlEESB_jNS0_19identity_decomposerENS1_16block_id_wrapperIjLb1EEEEE10hipError_tT1_PNSt15iterator_traitsISG_E10value_typeET2_T3_PNSH_ISM_E10value_typeET4_T5_PSR_SS_PNS1_23onesweep_lookback_stateEbbT6_jjT7_P12ihipStream_tbENKUlT_T0_SG_SL_E_clIS7_S7_SB_SB_EEDaSZ_S10_SG_SL_EUlSZ_E_NS1_11comp_targetILNS1_3genE9ELNS1_11target_archE1100ELNS1_3gpuE3ELNS1_3repE0EEENS1_47radix_sort_onesweep_sort_config_static_selectorELNS0_4arch9wavefront6targetE1EEEvSG_, .Lfunc_end873-_ZN7rocprim17ROCPRIM_400000_NS6detail17trampoline_kernelINS0_14default_configENS1_35radix_sort_onesweep_config_selectorIilEEZZNS1_29radix_sort_onesweep_iterationIS3_Lb0EPiS7_N6thrust23THRUST_200600_302600_NS10device_ptrIlEESB_jNS0_19identity_decomposerENS1_16block_id_wrapperIjLb1EEEEE10hipError_tT1_PNSt15iterator_traitsISG_E10value_typeET2_T3_PNSH_ISM_E10value_typeET4_T5_PSR_SS_PNS1_23onesweep_lookback_stateEbbT6_jjT7_P12ihipStream_tbENKUlT_T0_SG_SL_E_clIS7_S7_SB_SB_EEDaSZ_S10_SG_SL_EUlSZ_E_NS1_11comp_targetILNS1_3genE9ELNS1_11target_archE1100ELNS1_3gpuE3ELNS1_3repE0EEENS1_47radix_sort_onesweep_sort_config_static_selectorELNS0_4arch9wavefront6targetE1EEEvSG_
                                        ; -- End function
	.set _ZN7rocprim17ROCPRIM_400000_NS6detail17trampoline_kernelINS0_14default_configENS1_35radix_sort_onesweep_config_selectorIilEEZZNS1_29radix_sort_onesweep_iterationIS3_Lb0EPiS7_N6thrust23THRUST_200600_302600_NS10device_ptrIlEESB_jNS0_19identity_decomposerENS1_16block_id_wrapperIjLb1EEEEE10hipError_tT1_PNSt15iterator_traitsISG_E10value_typeET2_T3_PNSH_ISM_E10value_typeET4_T5_PSR_SS_PNS1_23onesweep_lookback_stateEbbT6_jjT7_P12ihipStream_tbENKUlT_T0_SG_SL_E_clIS7_S7_SB_SB_EEDaSZ_S10_SG_SL_EUlSZ_E_NS1_11comp_targetILNS1_3genE9ELNS1_11target_archE1100ELNS1_3gpuE3ELNS1_3repE0EEENS1_47radix_sort_onesweep_sort_config_static_selectorELNS0_4arch9wavefront6targetE1EEEvSG_.num_vgpr, 0
	.set _ZN7rocprim17ROCPRIM_400000_NS6detail17trampoline_kernelINS0_14default_configENS1_35radix_sort_onesweep_config_selectorIilEEZZNS1_29radix_sort_onesweep_iterationIS3_Lb0EPiS7_N6thrust23THRUST_200600_302600_NS10device_ptrIlEESB_jNS0_19identity_decomposerENS1_16block_id_wrapperIjLb1EEEEE10hipError_tT1_PNSt15iterator_traitsISG_E10value_typeET2_T3_PNSH_ISM_E10value_typeET4_T5_PSR_SS_PNS1_23onesweep_lookback_stateEbbT6_jjT7_P12ihipStream_tbENKUlT_T0_SG_SL_E_clIS7_S7_SB_SB_EEDaSZ_S10_SG_SL_EUlSZ_E_NS1_11comp_targetILNS1_3genE9ELNS1_11target_archE1100ELNS1_3gpuE3ELNS1_3repE0EEENS1_47radix_sort_onesweep_sort_config_static_selectorELNS0_4arch9wavefront6targetE1EEEvSG_.num_agpr, 0
	.set _ZN7rocprim17ROCPRIM_400000_NS6detail17trampoline_kernelINS0_14default_configENS1_35radix_sort_onesweep_config_selectorIilEEZZNS1_29radix_sort_onesweep_iterationIS3_Lb0EPiS7_N6thrust23THRUST_200600_302600_NS10device_ptrIlEESB_jNS0_19identity_decomposerENS1_16block_id_wrapperIjLb1EEEEE10hipError_tT1_PNSt15iterator_traitsISG_E10value_typeET2_T3_PNSH_ISM_E10value_typeET4_T5_PSR_SS_PNS1_23onesweep_lookback_stateEbbT6_jjT7_P12ihipStream_tbENKUlT_T0_SG_SL_E_clIS7_S7_SB_SB_EEDaSZ_S10_SG_SL_EUlSZ_E_NS1_11comp_targetILNS1_3genE9ELNS1_11target_archE1100ELNS1_3gpuE3ELNS1_3repE0EEENS1_47radix_sort_onesweep_sort_config_static_selectorELNS0_4arch9wavefront6targetE1EEEvSG_.numbered_sgpr, 0
	.set _ZN7rocprim17ROCPRIM_400000_NS6detail17trampoline_kernelINS0_14default_configENS1_35radix_sort_onesweep_config_selectorIilEEZZNS1_29radix_sort_onesweep_iterationIS3_Lb0EPiS7_N6thrust23THRUST_200600_302600_NS10device_ptrIlEESB_jNS0_19identity_decomposerENS1_16block_id_wrapperIjLb1EEEEE10hipError_tT1_PNSt15iterator_traitsISG_E10value_typeET2_T3_PNSH_ISM_E10value_typeET4_T5_PSR_SS_PNS1_23onesweep_lookback_stateEbbT6_jjT7_P12ihipStream_tbENKUlT_T0_SG_SL_E_clIS7_S7_SB_SB_EEDaSZ_S10_SG_SL_EUlSZ_E_NS1_11comp_targetILNS1_3genE9ELNS1_11target_archE1100ELNS1_3gpuE3ELNS1_3repE0EEENS1_47radix_sort_onesweep_sort_config_static_selectorELNS0_4arch9wavefront6targetE1EEEvSG_.num_named_barrier, 0
	.set _ZN7rocprim17ROCPRIM_400000_NS6detail17trampoline_kernelINS0_14default_configENS1_35radix_sort_onesweep_config_selectorIilEEZZNS1_29radix_sort_onesweep_iterationIS3_Lb0EPiS7_N6thrust23THRUST_200600_302600_NS10device_ptrIlEESB_jNS0_19identity_decomposerENS1_16block_id_wrapperIjLb1EEEEE10hipError_tT1_PNSt15iterator_traitsISG_E10value_typeET2_T3_PNSH_ISM_E10value_typeET4_T5_PSR_SS_PNS1_23onesweep_lookback_stateEbbT6_jjT7_P12ihipStream_tbENKUlT_T0_SG_SL_E_clIS7_S7_SB_SB_EEDaSZ_S10_SG_SL_EUlSZ_E_NS1_11comp_targetILNS1_3genE9ELNS1_11target_archE1100ELNS1_3gpuE3ELNS1_3repE0EEENS1_47radix_sort_onesweep_sort_config_static_selectorELNS0_4arch9wavefront6targetE1EEEvSG_.private_seg_size, 0
	.set _ZN7rocprim17ROCPRIM_400000_NS6detail17trampoline_kernelINS0_14default_configENS1_35radix_sort_onesweep_config_selectorIilEEZZNS1_29radix_sort_onesweep_iterationIS3_Lb0EPiS7_N6thrust23THRUST_200600_302600_NS10device_ptrIlEESB_jNS0_19identity_decomposerENS1_16block_id_wrapperIjLb1EEEEE10hipError_tT1_PNSt15iterator_traitsISG_E10value_typeET2_T3_PNSH_ISM_E10value_typeET4_T5_PSR_SS_PNS1_23onesweep_lookback_stateEbbT6_jjT7_P12ihipStream_tbENKUlT_T0_SG_SL_E_clIS7_S7_SB_SB_EEDaSZ_S10_SG_SL_EUlSZ_E_NS1_11comp_targetILNS1_3genE9ELNS1_11target_archE1100ELNS1_3gpuE3ELNS1_3repE0EEENS1_47radix_sort_onesweep_sort_config_static_selectorELNS0_4arch9wavefront6targetE1EEEvSG_.uses_vcc, 0
	.set _ZN7rocprim17ROCPRIM_400000_NS6detail17trampoline_kernelINS0_14default_configENS1_35radix_sort_onesweep_config_selectorIilEEZZNS1_29radix_sort_onesweep_iterationIS3_Lb0EPiS7_N6thrust23THRUST_200600_302600_NS10device_ptrIlEESB_jNS0_19identity_decomposerENS1_16block_id_wrapperIjLb1EEEEE10hipError_tT1_PNSt15iterator_traitsISG_E10value_typeET2_T3_PNSH_ISM_E10value_typeET4_T5_PSR_SS_PNS1_23onesweep_lookback_stateEbbT6_jjT7_P12ihipStream_tbENKUlT_T0_SG_SL_E_clIS7_S7_SB_SB_EEDaSZ_S10_SG_SL_EUlSZ_E_NS1_11comp_targetILNS1_3genE9ELNS1_11target_archE1100ELNS1_3gpuE3ELNS1_3repE0EEENS1_47radix_sort_onesweep_sort_config_static_selectorELNS0_4arch9wavefront6targetE1EEEvSG_.uses_flat_scratch, 0
	.set _ZN7rocprim17ROCPRIM_400000_NS6detail17trampoline_kernelINS0_14default_configENS1_35radix_sort_onesweep_config_selectorIilEEZZNS1_29radix_sort_onesweep_iterationIS3_Lb0EPiS7_N6thrust23THRUST_200600_302600_NS10device_ptrIlEESB_jNS0_19identity_decomposerENS1_16block_id_wrapperIjLb1EEEEE10hipError_tT1_PNSt15iterator_traitsISG_E10value_typeET2_T3_PNSH_ISM_E10value_typeET4_T5_PSR_SS_PNS1_23onesweep_lookback_stateEbbT6_jjT7_P12ihipStream_tbENKUlT_T0_SG_SL_E_clIS7_S7_SB_SB_EEDaSZ_S10_SG_SL_EUlSZ_E_NS1_11comp_targetILNS1_3genE9ELNS1_11target_archE1100ELNS1_3gpuE3ELNS1_3repE0EEENS1_47radix_sort_onesweep_sort_config_static_selectorELNS0_4arch9wavefront6targetE1EEEvSG_.has_dyn_sized_stack, 0
	.set _ZN7rocprim17ROCPRIM_400000_NS6detail17trampoline_kernelINS0_14default_configENS1_35radix_sort_onesweep_config_selectorIilEEZZNS1_29radix_sort_onesweep_iterationIS3_Lb0EPiS7_N6thrust23THRUST_200600_302600_NS10device_ptrIlEESB_jNS0_19identity_decomposerENS1_16block_id_wrapperIjLb1EEEEE10hipError_tT1_PNSt15iterator_traitsISG_E10value_typeET2_T3_PNSH_ISM_E10value_typeET4_T5_PSR_SS_PNS1_23onesweep_lookback_stateEbbT6_jjT7_P12ihipStream_tbENKUlT_T0_SG_SL_E_clIS7_S7_SB_SB_EEDaSZ_S10_SG_SL_EUlSZ_E_NS1_11comp_targetILNS1_3genE9ELNS1_11target_archE1100ELNS1_3gpuE3ELNS1_3repE0EEENS1_47radix_sort_onesweep_sort_config_static_selectorELNS0_4arch9wavefront6targetE1EEEvSG_.has_recursion, 0
	.set _ZN7rocprim17ROCPRIM_400000_NS6detail17trampoline_kernelINS0_14default_configENS1_35radix_sort_onesweep_config_selectorIilEEZZNS1_29radix_sort_onesweep_iterationIS3_Lb0EPiS7_N6thrust23THRUST_200600_302600_NS10device_ptrIlEESB_jNS0_19identity_decomposerENS1_16block_id_wrapperIjLb1EEEEE10hipError_tT1_PNSt15iterator_traitsISG_E10value_typeET2_T3_PNSH_ISM_E10value_typeET4_T5_PSR_SS_PNS1_23onesweep_lookback_stateEbbT6_jjT7_P12ihipStream_tbENKUlT_T0_SG_SL_E_clIS7_S7_SB_SB_EEDaSZ_S10_SG_SL_EUlSZ_E_NS1_11comp_targetILNS1_3genE9ELNS1_11target_archE1100ELNS1_3gpuE3ELNS1_3repE0EEENS1_47radix_sort_onesweep_sort_config_static_selectorELNS0_4arch9wavefront6targetE1EEEvSG_.has_indirect_call, 0
	.section	.AMDGPU.csdata,"",@progbits
; Kernel info:
; codeLenInByte = 0
; TotalNumSgprs: 4
; NumVgprs: 0
; ScratchSize: 0
; MemoryBound: 0
; FloatMode: 240
; IeeeMode: 1
; LDSByteSize: 0 bytes/workgroup (compile time only)
; SGPRBlocks: 0
; VGPRBlocks: 0
; NumSGPRsForWavesPerEU: 4
; NumVGPRsForWavesPerEU: 1
; Occupancy: 10
; WaveLimiterHint : 0
; COMPUTE_PGM_RSRC2:SCRATCH_EN: 0
; COMPUTE_PGM_RSRC2:USER_SGPR: 6
; COMPUTE_PGM_RSRC2:TRAP_HANDLER: 0
; COMPUTE_PGM_RSRC2:TGID_X_EN: 1
; COMPUTE_PGM_RSRC2:TGID_Y_EN: 0
; COMPUTE_PGM_RSRC2:TGID_Z_EN: 0
; COMPUTE_PGM_RSRC2:TIDIG_COMP_CNT: 0
	.section	.text._ZN7rocprim17ROCPRIM_400000_NS6detail17trampoline_kernelINS0_14default_configENS1_35radix_sort_onesweep_config_selectorIilEEZZNS1_29radix_sort_onesweep_iterationIS3_Lb0EPiS7_N6thrust23THRUST_200600_302600_NS10device_ptrIlEESB_jNS0_19identity_decomposerENS1_16block_id_wrapperIjLb1EEEEE10hipError_tT1_PNSt15iterator_traitsISG_E10value_typeET2_T3_PNSH_ISM_E10value_typeET4_T5_PSR_SS_PNS1_23onesweep_lookback_stateEbbT6_jjT7_P12ihipStream_tbENKUlT_T0_SG_SL_E_clIS7_S7_SB_SB_EEDaSZ_S10_SG_SL_EUlSZ_E_NS1_11comp_targetILNS1_3genE8ELNS1_11target_archE1030ELNS1_3gpuE2ELNS1_3repE0EEENS1_47radix_sort_onesweep_sort_config_static_selectorELNS0_4arch9wavefront6targetE1EEEvSG_,"axG",@progbits,_ZN7rocprim17ROCPRIM_400000_NS6detail17trampoline_kernelINS0_14default_configENS1_35radix_sort_onesweep_config_selectorIilEEZZNS1_29radix_sort_onesweep_iterationIS3_Lb0EPiS7_N6thrust23THRUST_200600_302600_NS10device_ptrIlEESB_jNS0_19identity_decomposerENS1_16block_id_wrapperIjLb1EEEEE10hipError_tT1_PNSt15iterator_traitsISG_E10value_typeET2_T3_PNSH_ISM_E10value_typeET4_T5_PSR_SS_PNS1_23onesweep_lookback_stateEbbT6_jjT7_P12ihipStream_tbENKUlT_T0_SG_SL_E_clIS7_S7_SB_SB_EEDaSZ_S10_SG_SL_EUlSZ_E_NS1_11comp_targetILNS1_3genE8ELNS1_11target_archE1030ELNS1_3gpuE2ELNS1_3repE0EEENS1_47radix_sort_onesweep_sort_config_static_selectorELNS0_4arch9wavefront6targetE1EEEvSG_,comdat
	.protected	_ZN7rocprim17ROCPRIM_400000_NS6detail17trampoline_kernelINS0_14default_configENS1_35radix_sort_onesweep_config_selectorIilEEZZNS1_29radix_sort_onesweep_iterationIS3_Lb0EPiS7_N6thrust23THRUST_200600_302600_NS10device_ptrIlEESB_jNS0_19identity_decomposerENS1_16block_id_wrapperIjLb1EEEEE10hipError_tT1_PNSt15iterator_traitsISG_E10value_typeET2_T3_PNSH_ISM_E10value_typeET4_T5_PSR_SS_PNS1_23onesweep_lookback_stateEbbT6_jjT7_P12ihipStream_tbENKUlT_T0_SG_SL_E_clIS7_S7_SB_SB_EEDaSZ_S10_SG_SL_EUlSZ_E_NS1_11comp_targetILNS1_3genE8ELNS1_11target_archE1030ELNS1_3gpuE2ELNS1_3repE0EEENS1_47radix_sort_onesweep_sort_config_static_selectorELNS0_4arch9wavefront6targetE1EEEvSG_ ; -- Begin function _ZN7rocprim17ROCPRIM_400000_NS6detail17trampoline_kernelINS0_14default_configENS1_35radix_sort_onesweep_config_selectorIilEEZZNS1_29radix_sort_onesweep_iterationIS3_Lb0EPiS7_N6thrust23THRUST_200600_302600_NS10device_ptrIlEESB_jNS0_19identity_decomposerENS1_16block_id_wrapperIjLb1EEEEE10hipError_tT1_PNSt15iterator_traitsISG_E10value_typeET2_T3_PNSH_ISM_E10value_typeET4_T5_PSR_SS_PNS1_23onesweep_lookback_stateEbbT6_jjT7_P12ihipStream_tbENKUlT_T0_SG_SL_E_clIS7_S7_SB_SB_EEDaSZ_S10_SG_SL_EUlSZ_E_NS1_11comp_targetILNS1_3genE8ELNS1_11target_archE1030ELNS1_3gpuE2ELNS1_3repE0EEENS1_47radix_sort_onesweep_sort_config_static_selectorELNS0_4arch9wavefront6targetE1EEEvSG_
	.globl	_ZN7rocprim17ROCPRIM_400000_NS6detail17trampoline_kernelINS0_14default_configENS1_35radix_sort_onesweep_config_selectorIilEEZZNS1_29radix_sort_onesweep_iterationIS3_Lb0EPiS7_N6thrust23THRUST_200600_302600_NS10device_ptrIlEESB_jNS0_19identity_decomposerENS1_16block_id_wrapperIjLb1EEEEE10hipError_tT1_PNSt15iterator_traitsISG_E10value_typeET2_T3_PNSH_ISM_E10value_typeET4_T5_PSR_SS_PNS1_23onesweep_lookback_stateEbbT6_jjT7_P12ihipStream_tbENKUlT_T0_SG_SL_E_clIS7_S7_SB_SB_EEDaSZ_S10_SG_SL_EUlSZ_E_NS1_11comp_targetILNS1_3genE8ELNS1_11target_archE1030ELNS1_3gpuE2ELNS1_3repE0EEENS1_47radix_sort_onesweep_sort_config_static_selectorELNS0_4arch9wavefront6targetE1EEEvSG_
	.p2align	8
	.type	_ZN7rocprim17ROCPRIM_400000_NS6detail17trampoline_kernelINS0_14default_configENS1_35radix_sort_onesweep_config_selectorIilEEZZNS1_29radix_sort_onesweep_iterationIS3_Lb0EPiS7_N6thrust23THRUST_200600_302600_NS10device_ptrIlEESB_jNS0_19identity_decomposerENS1_16block_id_wrapperIjLb1EEEEE10hipError_tT1_PNSt15iterator_traitsISG_E10value_typeET2_T3_PNSH_ISM_E10value_typeET4_T5_PSR_SS_PNS1_23onesweep_lookback_stateEbbT6_jjT7_P12ihipStream_tbENKUlT_T0_SG_SL_E_clIS7_S7_SB_SB_EEDaSZ_S10_SG_SL_EUlSZ_E_NS1_11comp_targetILNS1_3genE8ELNS1_11target_archE1030ELNS1_3gpuE2ELNS1_3repE0EEENS1_47radix_sort_onesweep_sort_config_static_selectorELNS0_4arch9wavefront6targetE1EEEvSG_,@function
_ZN7rocprim17ROCPRIM_400000_NS6detail17trampoline_kernelINS0_14default_configENS1_35radix_sort_onesweep_config_selectorIilEEZZNS1_29radix_sort_onesweep_iterationIS3_Lb0EPiS7_N6thrust23THRUST_200600_302600_NS10device_ptrIlEESB_jNS0_19identity_decomposerENS1_16block_id_wrapperIjLb1EEEEE10hipError_tT1_PNSt15iterator_traitsISG_E10value_typeET2_T3_PNSH_ISM_E10value_typeET4_T5_PSR_SS_PNS1_23onesweep_lookback_stateEbbT6_jjT7_P12ihipStream_tbENKUlT_T0_SG_SL_E_clIS7_S7_SB_SB_EEDaSZ_S10_SG_SL_EUlSZ_E_NS1_11comp_targetILNS1_3genE8ELNS1_11target_archE1030ELNS1_3gpuE2ELNS1_3repE0EEENS1_47radix_sort_onesweep_sort_config_static_selectorELNS0_4arch9wavefront6targetE1EEEvSG_: ; @_ZN7rocprim17ROCPRIM_400000_NS6detail17trampoline_kernelINS0_14default_configENS1_35radix_sort_onesweep_config_selectorIilEEZZNS1_29radix_sort_onesweep_iterationIS3_Lb0EPiS7_N6thrust23THRUST_200600_302600_NS10device_ptrIlEESB_jNS0_19identity_decomposerENS1_16block_id_wrapperIjLb1EEEEE10hipError_tT1_PNSt15iterator_traitsISG_E10value_typeET2_T3_PNSH_ISM_E10value_typeET4_T5_PSR_SS_PNS1_23onesweep_lookback_stateEbbT6_jjT7_P12ihipStream_tbENKUlT_T0_SG_SL_E_clIS7_S7_SB_SB_EEDaSZ_S10_SG_SL_EUlSZ_E_NS1_11comp_targetILNS1_3genE8ELNS1_11target_archE1030ELNS1_3gpuE2ELNS1_3repE0EEENS1_47radix_sort_onesweep_sort_config_static_selectorELNS0_4arch9wavefront6targetE1EEEvSG_
; %bb.0:
	.section	.rodata,"a",@progbits
	.p2align	6, 0x0
	.amdhsa_kernel _ZN7rocprim17ROCPRIM_400000_NS6detail17trampoline_kernelINS0_14default_configENS1_35radix_sort_onesweep_config_selectorIilEEZZNS1_29radix_sort_onesweep_iterationIS3_Lb0EPiS7_N6thrust23THRUST_200600_302600_NS10device_ptrIlEESB_jNS0_19identity_decomposerENS1_16block_id_wrapperIjLb1EEEEE10hipError_tT1_PNSt15iterator_traitsISG_E10value_typeET2_T3_PNSH_ISM_E10value_typeET4_T5_PSR_SS_PNS1_23onesweep_lookback_stateEbbT6_jjT7_P12ihipStream_tbENKUlT_T0_SG_SL_E_clIS7_S7_SB_SB_EEDaSZ_S10_SG_SL_EUlSZ_E_NS1_11comp_targetILNS1_3genE8ELNS1_11target_archE1030ELNS1_3gpuE2ELNS1_3repE0EEENS1_47radix_sort_onesweep_sort_config_static_selectorELNS0_4arch9wavefront6targetE1EEEvSG_
		.amdhsa_group_segment_fixed_size 0
		.amdhsa_private_segment_fixed_size 0
		.amdhsa_kernarg_size 88
		.amdhsa_user_sgpr_count 6
		.amdhsa_user_sgpr_private_segment_buffer 1
		.amdhsa_user_sgpr_dispatch_ptr 0
		.amdhsa_user_sgpr_queue_ptr 0
		.amdhsa_user_sgpr_kernarg_segment_ptr 1
		.amdhsa_user_sgpr_dispatch_id 0
		.amdhsa_user_sgpr_flat_scratch_init 0
		.amdhsa_user_sgpr_private_segment_size 0
		.amdhsa_uses_dynamic_stack 0
		.amdhsa_system_sgpr_private_segment_wavefront_offset 0
		.amdhsa_system_sgpr_workgroup_id_x 1
		.amdhsa_system_sgpr_workgroup_id_y 0
		.amdhsa_system_sgpr_workgroup_id_z 0
		.amdhsa_system_sgpr_workgroup_info 0
		.amdhsa_system_vgpr_workitem_id 0
		.amdhsa_next_free_vgpr 1
		.amdhsa_next_free_sgpr 0
		.amdhsa_reserve_vcc 0
		.amdhsa_reserve_flat_scratch 0
		.amdhsa_float_round_mode_32 0
		.amdhsa_float_round_mode_16_64 0
		.amdhsa_float_denorm_mode_32 3
		.amdhsa_float_denorm_mode_16_64 3
		.amdhsa_dx10_clamp 1
		.amdhsa_ieee_mode 1
		.amdhsa_fp16_overflow 0
		.amdhsa_exception_fp_ieee_invalid_op 0
		.amdhsa_exception_fp_denorm_src 0
		.amdhsa_exception_fp_ieee_div_zero 0
		.amdhsa_exception_fp_ieee_overflow 0
		.amdhsa_exception_fp_ieee_underflow 0
		.amdhsa_exception_fp_ieee_inexact 0
		.amdhsa_exception_int_div_zero 0
	.end_amdhsa_kernel
	.section	.text._ZN7rocprim17ROCPRIM_400000_NS6detail17trampoline_kernelINS0_14default_configENS1_35radix_sort_onesweep_config_selectorIilEEZZNS1_29radix_sort_onesweep_iterationIS3_Lb0EPiS7_N6thrust23THRUST_200600_302600_NS10device_ptrIlEESB_jNS0_19identity_decomposerENS1_16block_id_wrapperIjLb1EEEEE10hipError_tT1_PNSt15iterator_traitsISG_E10value_typeET2_T3_PNSH_ISM_E10value_typeET4_T5_PSR_SS_PNS1_23onesweep_lookback_stateEbbT6_jjT7_P12ihipStream_tbENKUlT_T0_SG_SL_E_clIS7_S7_SB_SB_EEDaSZ_S10_SG_SL_EUlSZ_E_NS1_11comp_targetILNS1_3genE8ELNS1_11target_archE1030ELNS1_3gpuE2ELNS1_3repE0EEENS1_47radix_sort_onesweep_sort_config_static_selectorELNS0_4arch9wavefront6targetE1EEEvSG_,"axG",@progbits,_ZN7rocprim17ROCPRIM_400000_NS6detail17trampoline_kernelINS0_14default_configENS1_35radix_sort_onesweep_config_selectorIilEEZZNS1_29radix_sort_onesweep_iterationIS3_Lb0EPiS7_N6thrust23THRUST_200600_302600_NS10device_ptrIlEESB_jNS0_19identity_decomposerENS1_16block_id_wrapperIjLb1EEEEE10hipError_tT1_PNSt15iterator_traitsISG_E10value_typeET2_T3_PNSH_ISM_E10value_typeET4_T5_PSR_SS_PNS1_23onesweep_lookback_stateEbbT6_jjT7_P12ihipStream_tbENKUlT_T0_SG_SL_E_clIS7_S7_SB_SB_EEDaSZ_S10_SG_SL_EUlSZ_E_NS1_11comp_targetILNS1_3genE8ELNS1_11target_archE1030ELNS1_3gpuE2ELNS1_3repE0EEENS1_47radix_sort_onesweep_sort_config_static_selectorELNS0_4arch9wavefront6targetE1EEEvSG_,comdat
.Lfunc_end874:
	.size	_ZN7rocprim17ROCPRIM_400000_NS6detail17trampoline_kernelINS0_14default_configENS1_35radix_sort_onesweep_config_selectorIilEEZZNS1_29radix_sort_onesweep_iterationIS3_Lb0EPiS7_N6thrust23THRUST_200600_302600_NS10device_ptrIlEESB_jNS0_19identity_decomposerENS1_16block_id_wrapperIjLb1EEEEE10hipError_tT1_PNSt15iterator_traitsISG_E10value_typeET2_T3_PNSH_ISM_E10value_typeET4_T5_PSR_SS_PNS1_23onesweep_lookback_stateEbbT6_jjT7_P12ihipStream_tbENKUlT_T0_SG_SL_E_clIS7_S7_SB_SB_EEDaSZ_S10_SG_SL_EUlSZ_E_NS1_11comp_targetILNS1_3genE8ELNS1_11target_archE1030ELNS1_3gpuE2ELNS1_3repE0EEENS1_47radix_sort_onesweep_sort_config_static_selectorELNS0_4arch9wavefront6targetE1EEEvSG_, .Lfunc_end874-_ZN7rocprim17ROCPRIM_400000_NS6detail17trampoline_kernelINS0_14default_configENS1_35radix_sort_onesweep_config_selectorIilEEZZNS1_29radix_sort_onesweep_iterationIS3_Lb0EPiS7_N6thrust23THRUST_200600_302600_NS10device_ptrIlEESB_jNS0_19identity_decomposerENS1_16block_id_wrapperIjLb1EEEEE10hipError_tT1_PNSt15iterator_traitsISG_E10value_typeET2_T3_PNSH_ISM_E10value_typeET4_T5_PSR_SS_PNS1_23onesweep_lookback_stateEbbT6_jjT7_P12ihipStream_tbENKUlT_T0_SG_SL_E_clIS7_S7_SB_SB_EEDaSZ_S10_SG_SL_EUlSZ_E_NS1_11comp_targetILNS1_3genE8ELNS1_11target_archE1030ELNS1_3gpuE2ELNS1_3repE0EEENS1_47radix_sort_onesweep_sort_config_static_selectorELNS0_4arch9wavefront6targetE1EEEvSG_
                                        ; -- End function
	.set _ZN7rocprim17ROCPRIM_400000_NS6detail17trampoline_kernelINS0_14default_configENS1_35radix_sort_onesweep_config_selectorIilEEZZNS1_29radix_sort_onesweep_iterationIS3_Lb0EPiS7_N6thrust23THRUST_200600_302600_NS10device_ptrIlEESB_jNS0_19identity_decomposerENS1_16block_id_wrapperIjLb1EEEEE10hipError_tT1_PNSt15iterator_traitsISG_E10value_typeET2_T3_PNSH_ISM_E10value_typeET4_T5_PSR_SS_PNS1_23onesweep_lookback_stateEbbT6_jjT7_P12ihipStream_tbENKUlT_T0_SG_SL_E_clIS7_S7_SB_SB_EEDaSZ_S10_SG_SL_EUlSZ_E_NS1_11comp_targetILNS1_3genE8ELNS1_11target_archE1030ELNS1_3gpuE2ELNS1_3repE0EEENS1_47radix_sort_onesweep_sort_config_static_selectorELNS0_4arch9wavefront6targetE1EEEvSG_.num_vgpr, 0
	.set _ZN7rocprim17ROCPRIM_400000_NS6detail17trampoline_kernelINS0_14default_configENS1_35radix_sort_onesweep_config_selectorIilEEZZNS1_29radix_sort_onesweep_iterationIS3_Lb0EPiS7_N6thrust23THRUST_200600_302600_NS10device_ptrIlEESB_jNS0_19identity_decomposerENS1_16block_id_wrapperIjLb1EEEEE10hipError_tT1_PNSt15iterator_traitsISG_E10value_typeET2_T3_PNSH_ISM_E10value_typeET4_T5_PSR_SS_PNS1_23onesweep_lookback_stateEbbT6_jjT7_P12ihipStream_tbENKUlT_T0_SG_SL_E_clIS7_S7_SB_SB_EEDaSZ_S10_SG_SL_EUlSZ_E_NS1_11comp_targetILNS1_3genE8ELNS1_11target_archE1030ELNS1_3gpuE2ELNS1_3repE0EEENS1_47radix_sort_onesweep_sort_config_static_selectorELNS0_4arch9wavefront6targetE1EEEvSG_.num_agpr, 0
	.set _ZN7rocprim17ROCPRIM_400000_NS6detail17trampoline_kernelINS0_14default_configENS1_35radix_sort_onesweep_config_selectorIilEEZZNS1_29radix_sort_onesweep_iterationIS3_Lb0EPiS7_N6thrust23THRUST_200600_302600_NS10device_ptrIlEESB_jNS0_19identity_decomposerENS1_16block_id_wrapperIjLb1EEEEE10hipError_tT1_PNSt15iterator_traitsISG_E10value_typeET2_T3_PNSH_ISM_E10value_typeET4_T5_PSR_SS_PNS1_23onesweep_lookback_stateEbbT6_jjT7_P12ihipStream_tbENKUlT_T0_SG_SL_E_clIS7_S7_SB_SB_EEDaSZ_S10_SG_SL_EUlSZ_E_NS1_11comp_targetILNS1_3genE8ELNS1_11target_archE1030ELNS1_3gpuE2ELNS1_3repE0EEENS1_47radix_sort_onesweep_sort_config_static_selectorELNS0_4arch9wavefront6targetE1EEEvSG_.numbered_sgpr, 0
	.set _ZN7rocprim17ROCPRIM_400000_NS6detail17trampoline_kernelINS0_14default_configENS1_35radix_sort_onesweep_config_selectorIilEEZZNS1_29radix_sort_onesweep_iterationIS3_Lb0EPiS7_N6thrust23THRUST_200600_302600_NS10device_ptrIlEESB_jNS0_19identity_decomposerENS1_16block_id_wrapperIjLb1EEEEE10hipError_tT1_PNSt15iterator_traitsISG_E10value_typeET2_T3_PNSH_ISM_E10value_typeET4_T5_PSR_SS_PNS1_23onesweep_lookback_stateEbbT6_jjT7_P12ihipStream_tbENKUlT_T0_SG_SL_E_clIS7_S7_SB_SB_EEDaSZ_S10_SG_SL_EUlSZ_E_NS1_11comp_targetILNS1_3genE8ELNS1_11target_archE1030ELNS1_3gpuE2ELNS1_3repE0EEENS1_47radix_sort_onesweep_sort_config_static_selectorELNS0_4arch9wavefront6targetE1EEEvSG_.num_named_barrier, 0
	.set _ZN7rocprim17ROCPRIM_400000_NS6detail17trampoline_kernelINS0_14default_configENS1_35radix_sort_onesweep_config_selectorIilEEZZNS1_29radix_sort_onesweep_iterationIS3_Lb0EPiS7_N6thrust23THRUST_200600_302600_NS10device_ptrIlEESB_jNS0_19identity_decomposerENS1_16block_id_wrapperIjLb1EEEEE10hipError_tT1_PNSt15iterator_traitsISG_E10value_typeET2_T3_PNSH_ISM_E10value_typeET4_T5_PSR_SS_PNS1_23onesweep_lookback_stateEbbT6_jjT7_P12ihipStream_tbENKUlT_T0_SG_SL_E_clIS7_S7_SB_SB_EEDaSZ_S10_SG_SL_EUlSZ_E_NS1_11comp_targetILNS1_3genE8ELNS1_11target_archE1030ELNS1_3gpuE2ELNS1_3repE0EEENS1_47radix_sort_onesweep_sort_config_static_selectorELNS0_4arch9wavefront6targetE1EEEvSG_.private_seg_size, 0
	.set _ZN7rocprim17ROCPRIM_400000_NS6detail17trampoline_kernelINS0_14default_configENS1_35radix_sort_onesweep_config_selectorIilEEZZNS1_29radix_sort_onesweep_iterationIS3_Lb0EPiS7_N6thrust23THRUST_200600_302600_NS10device_ptrIlEESB_jNS0_19identity_decomposerENS1_16block_id_wrapperIjLb1EEEEE10hipError_tT1_PNSt15iterator_traitsISG_E10value_typeET2_T3_PNSH_ISM_E10value_typeET4_T5_PSR_SS_PNS1_23onesweep_lookback_stateEbbT6_jjT7_P12ihipStream_tbENKUlT_T0_SG_SL_E_clIS7_S7_SB_SB_EEDaSZ_S10_SG_SL_EUlSZ_E_NS1_11comp_targetILNS1_3genE8ELNS1_11target_archE1030ELNS1_3gpuE2ELNS1_3repE0EEENS1_47radix_sort_onesweep_sort_config_static_selectorELNS0_4arch9wavefront6targetE1EEEvSG_.uses_vcc, 0
	.set _ZN7rocprim17ROCPRIM_400000_NS6detail17trampoline_kernelINS0_14default_configENS1_35radix_sort_onesweep_config_selectorIilEEZZNS1_29radix_sort_onesweep_iterationIS3_Lb0EPiS7_N6thrust23THRUST_200600_302600_NS10device_ptrIlEESB_jNS0_19identity_decomposerENS1_16block_id_wrapperIjLb1EEEEE10hipError_tT1_PNSt15iterator_traitsISG_E10value_typeET2_T3_PNSH_ISM_E10value_typeET4_T5_PSR_SS_PNS1_23onesweep_lookback_stateEbbT6_jjT7_P12ihipStream_tbENKUlT_T0_SG_SL_E_clIS7_S7_SB_SB_EEDaSZ_S10_SG_SL_EUlSZ_E_NS1_11comp_targetILNS1_3genE8ELNS1_11target_archE1030ELNS1_3gpuE2ELNS1_3repE0EEENS1_47radix_sort_onesweep_sort_config_static_selectorELNS0_4arch9wavefront6targetE1EEEvSG_.uses_flat_scratch, 0
	.set _ZN7rocprim17ROCPRIM_400000_NS6detail17trampoline_kernelINS0_14default_configENS1_35radix_sort_onesweep_config_selectorIilEEZZNS1_29radix_sort_onesweep_iterationIS3_Lb0EPiS7_N6thrust23THRUST_200600_302600_NS10device_ptrIlEESB_jNS0_19identity_decomposerENS1_16block_id_wrapperIjLb1EEEEE10hipError_tT1_PNSt15iterator_traitsISG_E10value_typeET2_T3_PNSH_ISM_E10value_typeET4_T5_PSR_SS_PNS1_23onesweep_lookback_stateEbbT6_jjT7_P12ihipStream_tbENKUlT_T0_SG_SL_E_clIS7_S7_SB_SB_EEDaSZ_S10_SG_SL_EUlSZ_E_NS1_11comp_targetILNS1_3genE8ELNS1_11target_archE1030ELNS1_3gpuE2ELNS1_3repE0EEENS1_47radix_sort_onesweep_sort_config_static_selectorELNS0_4arch9wavefront6targetE1EEEvSG_.has_dyn_sized_stack, 0
	.set _ZN7rocprim17ROCPRIM_400000_NS6detail17trampoline_kernelINS0_14default_configENS1_35radix_sort_onesweep_config_selectorIilEEZZNS1_29radix_sort_onesweep_iterationIS3_Lb0EPiS7_N6thrust23THRUST_200600_302600_NS10device_ptrIlEESB_jNS0_19identity_decomposerENS1_16block_id_wrapperIjLb1EEEEE10hipError_tT1_PNSt15iterator_traitsISG_E10value_typeET2_T3_PNSH_ISM_E10value_typeET4_T5_PSR_SS_PNS1_23onesweep_lookback_stateEbbT6_jjT7_P12ihipStream_tbENKUlT_T0_SG_SL_E_clIS7_S7_SB_SB_EEDaSZ_S10_SG_SL_EUlSZ_E_NS1_11comp_targetILNS1_3genE8ELNS1_11target_archE1030ELNS1_3gpuE2ELNS1_3repE0EEENS1_47radix_sort_onesweep_sort_config_static_selectorELNS0_4arch9wavefront6targetE1EEEvSG_.has_recursion, 0
	.set _ZN7rocprim17ROCPRIM_400000_NS6detail17trampoline_kernelINS0_14default_configENS1_35radix_sort_onesweep_config_selectorIilEEZZNS1_29radix_sort_onesweep_iterationIS3_Lb0EPiS7_N6thrust23THRUST_200600_302600_NS10device_ptrIlEESB_jNS0_19identity_decomposerENS1_16block_id_wrapperIjLb1EEEEE10hipError_tT1_PNSt15iterator_traitsISG_E10value_typeET2_T3_PNSH_ISM_E10value_typeET4_T5_PSR_SS_PNS1_23onesweep_lookback_stateEbbT6_jjT7_P12ihipStream_tbENKUlT_T0_SG_SL_E_clIS7_S7_SB_SB_EEDaSZ_S10_SG_SL_EUlSZ_E_NS1_11comp_targetILNS1_3genE8ELNS1_11target_archE1030ELNS1_3gpuE2ELNS1_3repE0EEENS1_47radix_sort_onesweep_sort_config_static_selectorELNS0_4arch9wavefront6targetE1EEEvSG_.has_indirect_call, 0
	.section	.AMDGPU.csdata,"",@progbits
; Kernel info:
; codeLenInByte = 0
; TotalNumSgprs: 4
; NumVgprs: 0
; ScratchSize: 0
; MemoryBound: 0
; FloatMode: 240
; IeeeMode: 1
; LDSByteSize: 0 bytes/workgroup (compile time only)
; SGPRBlocks: 0
; VGPRBlocks: 0
; NumSGPRsForWavesPerEU: 4
; NumVGPRsForWavesPerEU: 1
; Occupancy: 10
; WaveLimiterHint : 0
; COMPUTE_PGM_RSRC2:SCRATCH_EN: 0
; COMPUTE_PGM_RSRC2:USER_SGPR: 6
; COMPUTE_PGM_RSRC2:TRAP_HANDLER: 0
; COMPUTE_PGM_RSRC2:TGID_X_EN: 1
; COMPUTE_PGM_RSRC2:TGID_Y_EN: 0
; COMPUTE_PGM_RSRC2:TGID_Z_EN: 0
; COMPUTE_PGM_RSRC2:TIDIG_COMP_CNT: 0
	.section	.text._ZN7rocprim17ROCPRIM_400000_NS6detail17trampoline_kernelINS0_14default_configENS1_35radix_sort_onesweep_config_selectorIilEEZZNS1_29radix_sort_onesweep_iterationIS3_Lb0EPiS7_N6thrust23THRUST_200600_302600_NS10device_ptrIlEESB_jNS0_19identity_decomposerENS1_16block_id_wrapperIjLb1EEEEE10hipError_tT1_PNSt15iterator_traitsISG_E10value_typeET2_T3_PNSH_ISM_E10value_typeET4_T5_PSR_SS_PNS1_23onesweep_lookback_stateEbbT6_jjT7_P12ihipStream_tbENKUlT_T0_SG_SL_E_clIS7_S7_SB_PlEEDaSZ_S10_SG_SL_EUlSZ_E_NS1_11comp_targetILNS1_3genE0ELNS1_11target_archE4294967295ELNS1_3gpuE0ELNS1_3repE0EEENS1_47radix_sort_onesweep_sort_config_static_selectorELNS0_4arch9wavefront6targetE1EEEvSG_,"axG",@progbits,_ZN7rocprim17ROCPRIM_400000_NS6detail17trampoline_kernelINS0_14default_configENS1_35radix_sort_onesweep_config_selectorIilEEZZNS1_29radix_sort_onesweep_iterationIS3_Lb0EPiS7_N6thrust23THRUST_200600_302600_NS10device_ptrIlEESB_jNS0_19identity_decomposerENS1_16block_id_wrapperIjLb1EEEEE10hipError_tT1_PNSt15iterator_traitsISG_E10value_typeET2_T3_PNSH_ISM_E10value_typeET4_T5_PSR_SS_PNS1_23onesweep_lookback_stateEbbT6_jjT7_P12ihipStream_tbENKUlT_T0_SG_SL_E_clIS7_S7_SB_PlEEDaSZ_S10_SG_SL_EUlSZ_E_NS1_11comp_targetILNS1_3genE0ELNS1_11target_archE4294967295ELNS1_3gpuE0ELNS1_3repE0EEENS1_47radix_sort_onesweep_sort_config_static_selectorELNS0_4arch9wavefront6targetE1EEEvSG_,comdat
	.protected	_ZN7rocprim17ROCPRIM_400000_NS6detail17trampoline_kernelINS0_14default_configENS1_35radix_sort_onesweep_config_selectorIilEEZZNS1_29radix_sort_onesweep_iterationIS3_Lb0EPiS7_N6thrust23THRUST_200600_302600_NS10device_ptrIlEESB_jNS0_19identity_decomposerENS1_16block_id_wrapperIjLb1EEEEE10hipError_tT1_PNSt15iterator_traitsISG_E10value_typeET2_T3_PNSH_ISM_E10value_typeET4_T5_PSR_SS_PNS1_23onesweep_lookback_stateEbbT6_jjT7_P12ihipStream_tbENKUlT_T0_SG_SL_E_clIS7_S7_SB_PlEEDaSZ_S10_SG_SL_EUlSZ_E_NS1_11comp_targetILNS1_3genE0ELNS1_11target_archE4294967295ELNS1_3gpuE0ELNS1_3repE0EEENS1_47radix_sort_onesweep_sort_config_static_selectorELNS0_4arch9wavefront6targetE1EEEvSG_ ; -- Begin function _ZN7rocprim17ROCPRIM_400000_NS6detail17trampoline_kernelINS0_14default_configENS1_35radix_sort_onesweep_config_selectorIilEEZZNS1_29radix_sort_onesweep_iterationIS3_Lb0EPiS7_N6thrust23THRUST_200600_302600_NS10device_ptrIlEESB_jNS0_19identity_decomposerENS1_16block_id_wrapperIjLb1EEEEE10hipError_tT1_PNSt15iterator_traitsISG_E10value_typeET2_T3_PNSH_ISM_E10value_typeET4_T5_PSR_SS_PNS1_23onesweep_lookback_stateEbbT6_jjT7_P12ihipStream_tbENKUlT_T0_SG_SL_E_clIS7_S7_SB_PlEEDaSZ_S10_SG_SL_EUlSZ_E_NS1_11comp_targetILNS1_3genE0ELNS1_11target_archE4294967295ELNS1_3gpuE0ELNS1_3repE0EEENS1_47radix_sort_onesweep_sort_config_static_selectorELNS0_4arch9wavefront6targetE1EEEvSG_
	.globl	_ZN7rocprim17ROCPRIM_400000_NS6detail17trampoline_kernelINS0_14default_configENS1_35radix_sort_onesweep_config_selectorIilEEZZNS1_29radix_sort_onesweep_iterationIS3_Lb0EPiS7_N6thrust23THRUST_200600_302600_NS10device_ptrIlEESB_jNS0_19identity_decomposerENS1_16block_id_wrapperIjLb1EEEEE10hipError_tT1_PNSt15iterator_traitsISG_E10value_typeET2_T3_PNSH_ISM_E10value_typeET4_T5_PSR_SS_PNS1_23onesweep_lookback_stateEbbT6_jjT7_P12ihipStream_tbENKUlT_T0_SG_SL_E_clIS7_S7_SB_PlEEDaSZ_S10_SG_SL_EUlSZ_E_NS1_11comp_targetILNS1_3genE0ELNS1_11target_archE4294967295ELNS1_3gpuE0ELNS1_3repE0EEENS1_47radix_sort_onesweep_sort_config_static_selectorELNS0_4arch9wavefront6targetE1EEEvSG_
	.p2align	8
	.type	_ZN7rocprim17ROCPRIM_400000_NS6detail17trampoline_kernelINS0_14default_configENS1_35radix_sort_onesweep_config_selectorIilEEZZNS1_29radix_sort_onesweep_iterationIS3_Lb0EPiS7_N6thrust23THRUST_200600_302600_NS10device_ptrIlEESB_jNS0_19identity_decomposerENS1_16block_id_wrapperIjLb1EEEEE10hipError_tT1_PNSt15iterator_traitsISG_E10value_typeET2_T3_PNSH_ISM_E10value_typeET4_T5_PSR_SS_PNS1_23onesweep_lookback_stateEbbT6_jjT7_P12ihipStream_tbENKUlT_T0_SG_SL_E_clIS7_S7_SB_PlEEDaSZ_S10_SG_SL_EUlSZ_E_NS1_11comp_targetILNS1_3genE0ELNS1_11target_archE4294967295ELNS1_3gpuE0ELNS1_3repE0EEENS1_47radix_sort_onesweep_sort_config_static_selectorELNS0_4arch9wavefront6targetE1EEEvSG_,@function
_ZN7rocprim17ROCPRIM_400000_NS6detail17trampoline_kernelINS0_14default_configENS1_35radix_sort_onesweep_config_selectorIilEEZZNS1_29radix_sort_onesweep_iterationIS3_Lb0EPiS7_N6thrust23THRUST_200600_302600_NS10device_ptrIlEESB_jNS0_19identity_decomposerENS1_16block_id_wrapperIjLb1EEEEE10hipError_tT1_PNSt15iterator_traitsISG_E10value_typeET2_T3_PNSH_ISM_E10value_typeET4_T5_PSR_SS_PNS1_23onesweep_lookback_stateEbbT6_jjT7_P12ihipStream_tbENKUlT_T0_SG_SL_E_clIS7_S7_SB_PlEEDaSZ_S10_SG_SL_EUlSZ_E_NS1_11comp_targetILNS1_3genE0ELNS1_11target_archE4294967295ELNS1_3gpuE0ELNS1_3repE0EEENS1_47radix_sort_onesweep_sort_config_static_selectorELNS0_4arch9wavefront6targetE1EEEvSG_: ; @_ZN7rocprim17ROCPRIM_400000_NS6detail17trampoline_kernelINS0_14default_configENS1_35radix_sort_onesweep_config_selectorIilEEZZNS1_29radix_sort_onesweep_iterationIS3_Lb0EPiS7_N6thrust23THRUST_200600_302600_NS10device_ptrIlEESB_jNS0_19identity_decomposerENS1_16block_id_wrapperIjLb1EEEEE10hipError_tT1_PNSt15iterator_traitsISG_E10value_typeET2_T3_PNSH_ISM_E10value_typeET4_T5_PSR_SS_PNS1_23onesweep_lookback_stateEbbT6_jjT7_P12ihipStream_tbENKUlT_T0_SG_SL_E_clIS7_S7_SB_PlEEDaSZ_S10_SG_SL_EUlSZ_E_NS1_11comp_targetILNS1_3genE0ELNS1_11target_archE4294967295ELNS1_3gpuE0ELNS1_3repE0EEENS1_47radix_sort_onesweep_sort_config_static_selectorELNS0_4arch9wavefront6targetE1EEEvSG_
; %bb.0:
	.section	.rodata,"a",@progbits
	.p2align	6, 0x0
	.amdhsa_kernel _ZN7rocprim17ROCPRIM_400000_NS6detail17trampoline_kernelINS0_14default_configENS1_35radix_sort_onesweep_config_selectorIilEEZZNS1_29radix_sort_onesweep_iterationIS3_Lb0EPiS7_N6thrust23THRUST_200600_302600_NS10device_ptrIlEESB_jNS0_19identity_decomposerENS1_16block_id_wrapperIjLb1EEEEE10hipError_tT1_PNSt15iterator_traitsISG_E10value_typeET2_T3_PNSH_ISM_E10value_typeET4_T5_PSR_SS_PNS1_23onesweep_lookback_stateEbbT6_jjT7_P12ihipStream_tbENKUlT_T0_SG_SL_E_clIS7_S7_SB_PlEEDaSZ_S10_SG_SL_EUlSZ_E_NS1_11comp_targetILNS1_3genE0ELNS1_11target_archE4294967295ELNS1_3gpuE0ELNS1_3repE0EEENS1_47radix_sort_onesweep_sort_config_static_selectorELNS0_4arch9wavefront6targetE1EEEvSG_
		.amdhsa_group_segment_fixed_size 0
		.amdhsa_private_segment_fixed_size 0
		.amdhsa_kernarg_size 88
		.amdhsa_user_sgpr_count 6
		.amdhsa_user_sgpr_private_segment_buffer 1
		.amdhsa_user_sgpr_dispatch_ptr 0
		.amdhsa_user_sgpr_queue_ptr 0
		.amdhsa_user_sgpr_kernarg_segment_ptr 1
		.amdhsa_user_sgpr_dispatch_id 0
		.amdhsa_user_sgpr_flat_scratch_init 0
		.amdhsa_user_sgpr_private_segment_size 0
		.amdhsa_uses_dynamic_stack 0
		.amdhsa_system_sgpr_private_segment_wavefront_offset 0
		.amdhsa_system_sgpr_workgroup_id_x 1
		.amdhsa_system_sgpr_workgroup_id_y 0
		.amdhsa_system_sgpr_workgroup_id_z 0
		.amdhsa_system_sgpr_workgroup_info 0
		.amdhsa_system_vgpr_workitem_id 0
		.amdhsa_next_free_vgpr 1
		.amdhsa_next_free_sgpr 0
		.amdhsa_reserve_vcc 0
		.amdhsa_reserve_flat_scratch 0
		.amdhsa_float_round_mode_32 0
		.amdhsa_float_round_mode_16_64 0
		.amdhsa_float_denorm_mode_32 3
		.amdhsa_float_denorm_mode_16_64 3
		.amdhsa_dx10_clamp 1
		.amdhsa_ieee_mode 1
		.amdhsa_fp16_overflow 0
		.amdhsa_exception_fp_ieee_invalid_op 0
		.amdhsa_exception_fp_denorm_src 0
		.amdhsa_exception_fp_ieee_div_zero 0
		.amdhsa_exception_fp_ieee_overflow 0
		.amdhsa_exception_fp_ieee_underflow 0
		.amdhsa_exception_fp_ieee_inexact 0
		.amdhsa_exception_int_div_zero 0
	.end_amdhsa_kernel
	.section	.text._ZN7rocprim17ROCPRIM_400000_NS6detail17trampoline_kernelINS0_14default_configENS1_35radix_sort_onesweep_config_selectorIilEEZZNS1_29radix_sort_onesweep_iterationIS3_Lb0EPiS7_N6thrust23THRUST_200600_302600_NS10device_ptrIlEESB_jNS0_19identity_decomposerENS1_16block_id_wrapperIjLb1EEEEE10hipError_tT1_PNSt15iterator_traitsISG_E10value_typeET2_T3_PNSH_ISM_E10value_typeET4_T5_PSR_SS_PNS1_23onesweep_lookback_stateEbbT6_jjT7_P12ihipStream_tbENKUlT_T0_SG_SL_E_clIS7_S7_SB_PlEEDaSZ_S10_SG_SL_EUlSZ_E_NS1_11comp_targetILNS1_3genE0ELNS1_11target_archE4294967295ELNS1_3gpuE0ELNS1_3repE0EEENS1_47radix_sort_onesweep_sort_config_static_selectorELNS0_4arch9wavefront6targetE1EEEvSG_,"axG",@progbits,_ZN7rocprim17ROCPRIM_400000_NS6detail17trampoline_kernelINS0_14default_configENS1_35radix_sort_onesweep_config_selectorIilEEZZNS1_29radix_sort_onesweep_iterationIS3_Lb0EPiS7_N6thrust23THRUST_200600_302600_NS10device_ptrIlEESB_jNS0_19identity_decomposerENS1_16block_id_wrapperIjLb1EEEEE10hipError_tT1_PNSt15iterator_traitsISG_E10value_typeET2_T3_PNSH_ISM_E10value_typeET4_T5_PSR_SS_PNS1_23onesweep_lookback_stateEbbT6_jjT7_P12ihipStream_tbENKUlT_T0_SG_SL_E_clIS7_S7_SB_PlEEDaSZ_S10_SG_SL_EUlSZ_E_NS1_11comp_targetILNS1_3genE0ELNS1_11target_archE4294967295ELNS1_3gpuE0ELNS1_3repE0EEENS1_47radix_sort_onesweep_sort_config_static_selectorELNS0_4arch9wavefront6targetE1EEEvSG_,comdat
.Lfunc_end875:
	.size	_ZN7rocprim17ROCPRIM_400000_NS6detail17trampoline_kernelINS0_14default_configENS1_35radix_sort_onesweep_config_selectorIilEEZZNS1_29radix_sort_onesweep_iterationIS3_Lb0EPiS7_N6thrust23THRUST_200600_302600_NS10device_ptrIlEESB_jNS0_19identity_decomposerENS1_16block_id_wrapperIjLb1EEEEE10hipError_tT1_PNSt15iterator_traitsISG_E10value_typeET2_T3_PNSH_ISM_E10value_typeET4_T5_PSR_SS_PNS1_23onesweep_lookback_stateEbbT6_jjT7_P12ihipStream_tbENKUlT_T0_SG_SL_E_clIS7_S7_SB_PlEEDaSZ_S10_SG_SL_EUlSZ_E_NS1_11comp_targetILNS1_3genE0ELNS1_11target_archE4294967295ELNS1_3gpuE0ELNS1_3repE0EEENS1_47radix_sort_onesweep_sort_config_static_selectorELNS0_4arch9wavefront6targetE1EEEvSG_, .Lfunc_end875-_ZN7rocprim17ROCPRIM_400000_NS6detail17trampoline_kernelINS0_14default_configENS1_35radix_sort_onesweep_config_selectorIilEEZZNS1_29radix_sort_onesweep_iterationIS3_Lb0EPiS7_N6thrust23THRUST_200600_302600_NS10device_ptrIlEESB_jNS0_19identity_decomposerENS1_16block_id_wrapperIjLb1EEEEE10hipError_tT1_PNSt15iterator_traitsISG_E10value_typeET2_T3_PNSH_ISM_E10value_typeET4_T5_PSR_SS_PNS1_23onesweep_lookback_stateEbbT6_jjT7_P12ihipStream_tbENKUlT_T0_SG_SL_E_clIS7_S7_SB_PlEEDaSZ_S10_SG_SL_EUlSZ_E_NS1_11comp_targetILNS1_3genE0ELNS1_11target_archE4294967295ELNS1_3gpuE0ELNS1_3repE0EEENS1_47radix_sort_onesweep_sort_config_static_selectorELNS0_4arch9wavefront6targetE1EEEvSG_
                                        ; -- End function
	.set _ZN7rocprim17ROCPRIM_400000_NS6detail17trampoline_kernelINS0_14default_configENS1_35radix_sort_onesweep_config_selectorIilEEZZNS1_29radix_sort_onesweep_iterationIS3_Lb0EPiS7_N6thrust23THRUST_200600_302600_NS10device_ptrIlEESB_jNS0_19identity_decomposerENS1_16block_id_wrapperIjLb1EEEEE10hipError_tT1_PNSt15iterator_traitsISG_E10value_typeET2_T3_PNSH_ISM_E10value_typeET4_T5_PSR_SS_PNS1_23onesweep_lookback_stateEbbT6_jjT7_P12ihipStream_tbENKUlT_T0_SG_SL_E_clIS7_S7_SB_PlEEDaSZ_S10_SG_SL_EUlSZ_E_NS1_11comp_targetILNS1_3genE0ELNS1_11target_archE4294967295ELNS1_3gpuE0ELNS1_3repE0EEENS1_47radix_sort_onesweep_sort_config_static_selectorELNS0_4arch9wavefront6targetE1EEEvSG_.num_vgpr, 0
	.set _ZN7rocprim17ROCPRIM_400000_NS6detail17trampoline_kernelINS0_14default_configENS1_35radix_sort_onesweep_config_selectorIilEEZZNS1_29radix_sort_onesweep_iterationIS3_Lb0EPiS7_N6thrust23THRUST_200600_302600_NS10device_ptrIlEESB_jNS0_19identity_decomposerENS1_16block_id_wrapperIjLb1EEEEE10hipError_tT1_PNSt15iterator_traitsISG_E10value_typeET2_T3_PNSH_ISM_E10value_typeET4_T5_PSR_SS_PNS1_23onesweep_lookback_stateEbbT6_jjT7_P12ihipStream_tbENKUlT_T0_SG_SL_E_clIS7_S7_SB_PlEEDaSZ_S10_SG_SL_EUlSZ_E_NS1_11comp_targetILNS1_3genE0ELNS1_11target_archE4294967295ELNS1_3gpuE0ELNS1_3repE0EEENS1_47radix_sort_onesweep_sort_config_static_selectorELNS0_4arch9wavefront6targetE1EEEvSG_.num_agpr, 0
	.set _ZN7rocprim17ROCPRIM_400000_NS6detail17trampoline_kernelINS0_14default_configENS1_35radix_sort_onesweep_config_selectorIilEEZZNS1_29radix_sort_onesweep_iterationIS3_Lb0EPiS7_N6thrust23THRUST_200600_302600_NS10device_ptrIlEESB_jNS0_19identity_decomposerENS1_16block_id_wrapperIjLb1EEEEE10hipError_tT1_PNSt15iterator_traitsISG_E10value_typeET2_T3_PNSH_ISM_E10value_typeET4_T5_PSR_SS_PNS1_23onesweep_lookback_stateEbbT6_jjT7_P12ihipStream_tbENKUlT_T0_SG_SL_E_clIS7_S7_SB_PlEEDaSZ_S10_SG_SL_EUlSZ_E_NS1_11comp_targetILNS1_3genE0ELNS1_11target_archE4294967295ELNS1_3gpuE0ELNS1_3repE0EEENS1_47radix_sort_onesweep_sort_config_static_selectorELNS0_4arch9wavefront6targetE1EEEvSG_.numbered_sgpr, 0
	.set _ZN7rocprim17ROCPRIM_400000_NS6detail17trampoline_kernelINS0_14default_configENS1_35radix_sort_onesweep_config_selectorIilEEZZNS1_29radix_sort_onesweep_iterationIS3_Lb0EPiS7_N6thrust23THRUST_200600_302600_NS10device_ptrIlEESB_jNS0_19identity_decomposerENS1_16block_id_wrapperIjLb1EEEEE10hipError_tT1_PNSt15iterator_traitsISG_E10value_typeET2_T3_PNSH_ISM_E10value_typeET4_T5_PSR_SS_PNS1_23onesweep_lookback_stateEbbT6_jjT7_P12ihipStream_tbENKUlT_T0_SG_SL_E_clIS7_S7_SB_PlEEDaSZ_S10_SG_SL_EUlSZ_E_NS1_11comp_targetILNS1_3genE0ELNS1_11target_archE4294967295ELNS1_3gpuE0ELNS1_3repE0EEENS1_47radix_sort_onesweep_sort_config_static_selectorELNS0_4arch9wavefront6targetE1EEEvSG_.num_named_barrier, 0
	.set _ZN7rocprim17ROCPRIM_400000_NS6detail17trampoline_kernelINS0_14default_configENS1_35radix_sort_onesweep_config_selectorIilEEZZNS1_29radix_sort_onesweep_iterationIS3_Lb0EPiS7_N6thrust23THRUST_200600_302600_NS10device_ptrIlEESB_jNS0_19identity_decomposerENS1_16block_id_wrapperIjLb1EEEEE10hipError_tT1_PNSt15iterator_traitsISG_E10value_typeET2_T3_PNSH_ISM_E10value_typeET4_T5_PSR_SS_PNS1_23onesweep_lookback_stateEbbT6_jjT7_P12ihipStream_tbENKUlT_T0_SG_SL_E_clIS7_S7_SB_PlEEDaSZ_S10_SG_SL_EUlSZ_E_NS1_11comp_targetILNS1_3genE0ELNS1_11target_archE4294967295ELNS1_3gpuE0ELNS1_3repE0EEENS1_47radix_sort_onesweep_sort_config_static_selectorELNS0_4arch9wavefront6targetE1EEEvSG_.private_seg_size, 0
	.set _ZN7rocprim17ROCPRIM_400000_NS6detail17trampoline_kernelINS0_14default_configENS1_35radix_sort_onesweep_config_selectorIilEEZZNS1_29radix_sort_onesweep_iterationIS3_Lb0EPiS7_N6thrust23THRUST_200600_302600_NS10device_ptrIlEESB_jNS0_19identity_decomposerENS1_16block_id_wrapperIjLb1EEEEE10hipError_tT1_PNSt15iterator_traitsISG_E10value_typeET2_T3_PNSH_ISM_E10value_typeET4_T5_PSR_SS_PNS1_23onesweep_lookback_stateEbbT6_jjT7_P12ihipStream_tbENKUlT_T0_SG_SL_E_clIS7_S7_SB_PlEEDaSZ_S10_SG_SL_EUlSZ_E_NS1_11comp_targetILNS1_3genE0ELNS1_11target_archE4294967295ELNS1_3gpuE0ELNS1_3repE0EEENS1_47radix_sort_onesweep_sort_config_static_selectorELNS0_4arch9wavefront6targetE1EEEvSG_.uses_vcc, 0
	.set _ZN7rocprim17ROCPRIM_400000_NS6detail17trampoline_kernelINS0_14default_configENS1_35radix_sort_onesweep_config_selectorIilEEZZNS1_29radix_sort_onesweep_iterationIS3_Lb0EPiS7_N6thrust23THRUST_200600_302600_NS10device_ptrIlEESB_jNS0_19identity_decomposerENS1_16block_id_wrapperIjLb1EEEEE10hipError_tT1_PNSt15iterator_traitsISG_E10value_typeET2_T3_PNSH_ISM_E10value_typeET4_T5_PSR_SS_PNS1_23onesweep_lookback_stateEbbT6_jjT7_P12ihipStream_tbENKUlT_T0_SG_SL_E_clIS7_S7_SB_PlEEDaSZ_S10_SG_SL_EUlSZ_E_NS1_11comp_targetILNS1_3genE0ELNS1_11target_archE4294967295ELNS1_3gpuE0ELNS1_3repE0EEENS1_47radix_sort_onesweep_sort_config_static_selectorELNS0_4arch9wavefront6targetE1EEEvSG_.uses_flat_scratch, 0
	.set _ZN7rocprim17ROCPRIM_400000_NS6detail17trampoline_kernelINS0_14default_configENS1_35radix_sort_onesweep_config_selectorIilEEZZNS1_29radix_sort_onesweep_iterationIS3_Lb0EPiS7_N6thrust23THRUST_200600_302600_NS10device_ptrIlEESB_jNS0_19identity_decomposerENS1_16block_id_wrapperIjLb1EEEEE10hipError_tT1_PNSt15iterator_traitsISG_E10value_typeET2_T3_PNSH_ISM_E10value_typeET4_T5_PSR_SS_PNS1_23onesweep_lookback_stateEbbT6_jjT7_P12ihipStream_tbENKUlT_T0_SG_SL_E_clIS7_S7_SB_PlEEDaSZ_S10_SG_SL_EUlSZ_E_NS1_11comp_targetILNS1_3genE0ELNS1_11target_archE4294967295ELNS1_3gpuE0ELNS1_3repE0EEENS1_47radix_sort_onesweep_sort_config_static_selectorELNS0_4arch9wavefront6targetE1EEEvSG_.has_dyn_sized_stack, 0
	.set _ZN7rocprim17ROCPRIM_400000_NS6detail17trampoline_kernelINS0_14default_configENS1_35radix_sort_onesweep_config_selectorIilEEZZNS1_29radix_sort_onesweep_iterationIS3_Lb0EPiS7_N6thrust23THRUST_200600_302600_NS10device_ptrIlEESB_jNS0_19identity_decomposerENS1_16block_id_wrapperIjLb1EEEEE10hipError_tT1_PNSt15iterator_traitsISG_E10value_typeET2_T3_PNSH_ISM_E10value_typeET4_T5_PSR_SS_PNS1_23onesweep_lookback_stateEbbT6_jjT7_P12ihipStream_tbENKUlT_T0_SG_SL_E_clIS7_S7_SB_PlEEDaSZ_S10_SG_SL_EUlSZ_E_NS1_11comp_targetILNS1_3genE0ELNS1_11target_archE4294967295ELNS1_3gpuE0ELNS1_3repE0EEENS1_47radix_sort_onesweep_sort_config_static_selectorELNS0_4arch9wavefront6targetE1EEEvSG_.has_recursion, 0
	.set _ZN7rocprim17ROCPRIM_400000_NS6detail17trampoline_kernelINS0_14default_configENS1_35radix_sort_onesweep_config_selectorIilEEZZNS1_29radix_sort_onesweep_iterationIS3_Lb0EPiS7_N6thrust23THRUST_200600_302600_NS10device_ptrIlEESB_jNS0_19identity_decomposerENS1_16block_id_wrapperIjLb1EEEEE10hipError_tT1_PNSt15iterator_traitsISG_E10value_typeET2_T3_PNSH_ISM_E10value_typeET4_T5_PSR_SS_PNS1_23onesweep_lookback_stateEbbT6_jjT7_P12ihipStream_tbENKUlT_T0_SG_SL_E_clIS7_S7_SB_PlEEDaSZ_S10_SG_SL_EUlSZ_E_NS1_11comp_targetILNS1_3genE0ELNS1_11target_archE4294967295ELNS1_3gpuE0ELNS1_3repE0EEENS1_47radix_sort_onesweep_sort_config_static_selectorELNS0_4arch9wavefront6targetE1EEEvSG_.has_indirect_call, 0
	.section	.AMDGPU.csdata,"",@progbits
; Kernel info:
; codeLenInByte = 0
; TotalNumSgprs: 4
; NumVgprs: 0
; ScratchSize: 0
; MemoryBound: 0
; FloatMode: 240
; IeeeMode: 1
; LDSByteSize: 0 bytes/workgroup (compile time only)
; SGPRBlocks: 0
; VGPRBlocks: 0
; NumSGPRsForWavesPerEU: 4
; NumVGPRsForWavesPerEU: 1
; Occupancy: 10
; WaveLimiterHint : 0
; COMPUTE_PGM_RSRC2:SCRATCH_EN: 0
; COMPUTE_PGM_RSRC2:USER_SGPR: 6
; COMPUTE_PGM_RSRC2:TRAP_HANDLER: 0
; COMPUTE_PGM_RSRC2:TGID_X_EN: 1
; COMPUTE_PGM_RSRC2:TGID_Y_EN: 0
; COMPUTE_PGM_RSRC2:TGID_Z_EN: 0
; COMPUTE_PGM_RSRC2:TIDIG_COMP_CNT: 0
	.section	.text._ZN7rocprim17ROCPRIM_400000_NS6detail17trampoline_kernelINS0_14default_configENS1_35radix_sort_onesweep_config_selectorIilEEZZNS1_29radix_sort_onesweep_iterationIS3_Lb0EPiS7_N6thrust23THRUST_200600_302600_NS10device_ptrIlEESB_jNS0_19identity_decomposerENS1_16block_id_wrapperIjLb1EEEEE10hipError_tT1_PNSt15iterator_traitsISG_E10value_typeET2_T3_PNSH_ISM_E10value_typeET4_T5_PSR_SS_PNS1_23onesweep_lookback_stateEbbT6_jjT7_P12ihipStream_tbENKUlT_T0_SG_SL_E_clIS7_S7_SB_PlEEDaSZ_S10_SG_SL_EUlSZ_E_NS1_11comp_targetILNS1_3genE6ELNS1_11target_archE950ELNS1_3gpuE13ELNS1_3repE0EEENS1_47radix_sort_onesweep_sort_config_static_selectorELNS0_4arch9wavefront6targetE1EEEvSG_,"axG",@progbits,_ZN7rocprim17ROCPRIM_400000_NS6detail17trampoline_kernelINS0_14default_configENS1_35radix_sort_onesweep_config_selectorIilEEZZNS1_29radix_sort_onesweep_iterationIS3_Lb0EPiS7_N6thrust23THRUST_200600_302600_NS10device_ptrIlEESB_jNS0_19identity_decomposerENS1_16block_id_wrapperIjLb1EEEEE10hipError_tT1_PNSt15iterator_traitsISG_E10value_typeET2_T3_PNSH_ISM_E10value_typeET4_T5_PSR_SS_PNS1_23onesweep_lookback_stateEbbT6_jjT7_P12ihipStream_tbENKUlT_T0_SG_SL_E_clIS7_S7_SB_PlEEDaSZ_S10_SG_SL_EUlSZ_E_NS1_11comp_targetILNS1_3genE6ELNS1_11target_archE950ELNS1_3gpuE13ELNS1_3repE0EEENS1_47radix_sort_onesweep_sort_config_static_selectorELNS0_4arch9wavefront6targetE1EEEvSG_,comdat
	.protected	_ZN7rocprim17ROCPRIM_400000_NS6detail17trampoline_kernelINS0_14default_configENS1_35radix_sort_onesweep_config_selectorIilEEZZNS1_29radix_sort_onesweep_iterationIS3_Lb0EPiS7_N6thrust23THRUST_200600_302600_NS10device_ptrIlEESB_jNS0_19identity_decomposerENS1_16block_id_wrapperIjLb1EEEEE10hipError_tT1_PNSt15iterator_traitsISG_E10value_typeET2_T3_PNSH_ISM_E10value_typeET4_T5_PSR_SS_PNS1_23onesweep_lookback_stateEbbT6_jjT7_P12ihipStream_tbENKUlT_T0_SG_SL_E_clIS7_S7_SB_PlEEDaSZ_S10_SG_SL_EUlSZ_E_NS1_11comp_targetILNS1_3genE6ELNS1_11target_archE950ELNS1_3gpuE13ELNS1_3repE0EEENS1_47radix_sort_onesweep_sort_config_static_selectorELNS0_4arch9wavefront6targetE1EEEvSG_ ; -- Begin function _ZN7rocprim17ROCPRIM_400000_NS6detail17trampoline_kernelINS0_14default_configENS1_35radix_sort_onesweep_config_selectorIilEEZZNS1_29radix_sort_onesweep_iterationIS3_Lb0EPiS7_N6thrust23THRUST_200600_302600_NS10device_ptrIlEESB_jNS0_19identity_decomposerENS1_16block_id_wrapperIjLb1EEEEE10hipError_tT1_PNSt15iterator_traitsISG_E10value_typeET2_T3_PNSH_ISM_E10value_typeET4_T5_PSR_SS_PNS1_23onesweep_lookback_stateEbbT6_jjT7_P12ihipStream_tbENKUlT_T0_SG_SL_E_clIS7_S7_SB_PlEEDaSZ_S10_SG_SL_EUlSZ_E_NS1_11comp_targetILNS1_3genE6ELNS1_11target_archE950ELNS1_3gpuE13ELNS1_3repE0EEENS1_47radix_sort_onesweep_sort_config_static_selectorELNS0_4arch9wavefront6targetE1EEEvSG_
	.globl	_ZN7rocprim17ROCPRIM_400000_NS6detail17trampoline_kernelINS0_14default_configENS1_35radix_sort_onesweep_config_selectorIilEEZZNS1_29radix_sort_onesweep_iterationIS3_Lb0EPiS7_N6thrust23THRUST_200600_302600_NS10device_ptrIlEESB_jNS0_19identity_decomposerENS1_16block_id_wrapperIjLb1EEEEE10hipError_tT1_PNSt15iterator_traitsISG_E10value_typeET2_T3_PNSH_ISM_E10value_typeET4_T5_PSR_SS_PNS1_23onesweep_lookback_stateEbbT6_jjT7_P12ihipStream_tbENKUlT_T0_SG_SL_E_clIS7_S7_SB_PlEEDaSZ_S10_SG_SL_EUlSZ_E_NS1_11comp_targetILNS1_3genE6ELNS1_11target_archE950ELNS1_3gpuE13ELNS1_3repE0EEENS1_47radix_sort_onesweep_sort_config_static_selectorELNS0_4arch9wavefront6targetE1EEEvSG_
	.p2align	8
	.type	_ZN7rocprim17ROCPRIM_400000_NS6detail17trampoline_kernelINS0_14default_configENS1_35radix_sort_onesweep_config_selectorIilEEZZNS1_29radix_sort_onesweep_iterationIS3_Lb0EPiS7_N6thrust23THRUST_200600_302600_NS10device_ptrIlEESB_jNS0_19identity_decomposerENS1_16block_id_wrapperIjLb1EEEEE10hipError_tT1_PNSt15iterator_traitsISG_E10value_typeET2_T3_PNSH_ISM_E10value_typeET4_T5_PSR_SS_PNS1_23onesweep_lookback_stateEbbT6_jjT7_P12ihipStream_tbENKUlT_T0_SG_SL_E_clIS7_S7_SB_PlEEDaSZ_S10_SG_SL_EUlSZ_E_NS1_11comp_targetILNS1_3genE6ELNS1_11target_archE950ELNS1_3gpuE13ELNS1_3repE0EEENS1_47radix_sort_onesweep_sort_config_static_selectorELNS0_4arch9wavefront6targetE1EEEvSG_,@function
_ZN7rocprim17ROCPRIM_400000_NS6detail17trampoline_kernelINS0_14default_configENS1_35radix_sort_onesweep_config_selectorIilEEZZNS1_29radix_sort_onesweep_iterationIS3_Lb0EPiS7_N6thrust23THRUST_200600_302600_NS10device_ptrIlEESB_jNS0_19identity_decomposerENS1_16block_id_wrapperIjLb1EEEEE10hipError_tT1_PNSt15iterator_traitsISG_E10value_typeET2_T3_PNSH_ISM_E10value_typeET4_T5_PSR_SS_PNS1_23onesweep_lookback_stateEbbT6_jjT7_P12ihipStream_tbENKUlT_T0_SG_SL_E_clIS7_S7_SB_PlEEDaSZ_S10_SG_SL_EUlSZ_E_NS1_11comp_targetILNS1_3genE6ELNS1_11target_archE950ELNS1_3gpuE13ELNS1_3repE0EEENS1_47radix_sort_onesweep_sort_config_static_selectorELNS0_4arch9wavefront6targetE1EEEvSG_: ; @_ZN7rocprim17ROCPRIM_400000_NS6detail17trampoline_kernelINS0_14default_configENS1_35radix_sort_onesweep_config_selectorIilEEZZNS1_29radix_sort_onesweep_iterationIS3_Lb0EPiS7_N6thrust23THRUST_200600_302600_NS10device_ptrIlEESB_jNS0_19identity_decomposerENS1_16block_id_wrapperIjLb1EEEEE10hipError_tT1_PNSt15iterator_traitsISG_E10value_typeET2_T3_PNSH_ISM_E10value_typeET4_T5_PSR_SS_PNS1_23onesweep_lookback_stateEbbT6_jjT7_P12ihipStream_tbENKUlT_T0_SG_SL_E_clIS7_S7_SB_PlEEDaSZ_S10_SG_SL_EUlSZ_E_NS1_11comp_targetILNS1_3genE6ELNS1_11target_archE950ELNS1_3gpuE13ELNS1_3repE0EEENS1_47radix_sort_onesweep_sort_config_static_selectorELNS0_4arch9wavefront6targetE1EEEvSG_
; %bb.0:
	.section	.rodata,"a",@progbits
	.p2align	6, 0x0
	.amdhsa_kernel _ZN7rocprim17ROCPRIM_400000_NS6detail17trampoline_kernelINS0_14default_configENS1_35radix_sort_onesweep_config_selectorIilEEZZNS1_29radix_sort_onesweep_iterationIS3_Lb0EPiS7_N6thrust23THRUST_200600_302600_NS10device_ptrIlEESB_jNS0_19identity_decomposerENS1_16block_id_wrapperIjLb1EEEEE10hipError_tT1_PNSt15iterator_traitsISG_E10value_typeET2_T3_PNSH_ISM_E10value_typeET4_T5_PSR_SS_PNS1_23onesweep_lookback_stateEbbT6_jjT7_P12ihipStream_tbENKUlT_T0_SG_SL_E_clIS7_S7_SB_PlEEDaSZ_S10_SG_SL_EUlSZ_E_NS1_11comp_targetILNS1_3genE6ELNS1_11target_archE950ELNS1_3gpuE13ELNS1_3repE0EEENS1_47radix_sort_onesweep_sort_config_static_selectorELNS0_4arch9wavefront6targetE1EEEvSG_
		.amdhsa_group_segment_fixed_size 0
		.amdhsa_private_segment_fixed_size 0
		.amdhsa_kernarg_size 88
		.amdhsa_user_sgpr_count 6
		.amdhsa_user_sgpr_private_segment_buffer 1
		.amdhsa_user_sgpr_dispatch_ptr 0
		.amdhsa_user_sgpr_queue_ptr 0
		.amdhsa_user_sgpr_kernarg_segment_ptr 1
		.amdhsa_user_sgpr_dispatch_id 0
		.amdhsa_user_sgpr_flat_scratch_init 0
		.amdhsa_user_sgpr_private_segment_size 0
		.amdhsa_uses_dynamic_stack 0
		.amdhsa_system_sgpr_private_segment_wavefront_offset 0
		.amdhsa_system_sgpr_workgroup_id_x 1
		.amdhsa_system_sgpr_workgroup_id_y 0
		.amdhsa_system_sgpr_workgroup_id_z 0
		.amdhsa_system_sgpr_workgroup_info 0
		.amdhsa_system_vgpr_workitem_id 0
		.amdhsa_next_free_vgpr 1
		.amdhsa_next_free_sgpr 0
		.amdhsa_reserve_vcc 0
		.amdhsa_reserve_flat_scratch 0
		.amdhsa_float_round_mode_32 0
		.amdhsa_float_round_mode_16_64 0
		.amdhsa_float_denorm_mode_32 3
		.amdhsa_float_denorm_mode_16_64 3
		.amdhsa_dx10_clamp 1
		.amdhsa_ieee_mode 1
		.amdhsa_fp16_overflow 0
		.amdhsa_exception_fp_ieee_invalid_op 0
		.amdhsa_exception_fp_denorm_src 0
		.amdhsa_exception_fp_ieee_div_zero 0
		.amdhsa_exception_fp_ieee_overflow 0
		.amdhsa_exception_fp_ieee_underflow 0
		.amdhsa_exception_fp_ieee_inexact 0
		.amdhsa_exception_int_div_zero 0
	.end_amdhsa_kernel
	.section	.text._ZN7rocprim17ROCPRIM_400000_NS6detail17trampoline_kernelINS0_14default_configENS1_35radix_sort_onesweep_config_selectorIilEEZZNS1_29radix_sort_onesweep_iterationIS3_Lb0EPiS7_N6thrust23THRUST_200600_302600_NS10device_ptrIlEESB_jNS0_19identity_decomposerENS1_16block_id_wrapperIjLb1EEEEE10hipError_tT1_PNSt15iterator_traitsISG_E10value_typeET2_T3_PNSH_ISM_E10value_typeET4_T5_PSR_SS_PNS1_23onesweep_lookback_stateEbbT6_jjT7_P12ihipStream_tbENKUlT_T0_SG_SL_E_clIS7_S7_SB_PlEEDaSZ_S10_SG_SL_EUlSZ_E_NS1_11comp_targetILNS1_3genE6ELNS1_11target_archE950ELNS1_3gpuE13ELNS1_3repE0EEENS1_47radix_sort_onesweep_sort_config_static_selectorELNS0_4arch9wavefront6targetE1EEEvSG_,"axG",@progbits,_ZN7rocprim17ROCPRIM_400000_NS6detail17trampoline_kernelINS0_14default_configENS1_35radix_sort_onesweep_config_selectorIilEEZZNS1_29radix_sort_onesweep_iterationIS3_Lb0EPiS7_N6thrust23THRUST_200600_302600_NS10device_ptrIlEESB_jNS0_19identity_decomposerENS1_16block_id_wrapperIjLb1EEEEE10hipError_tT1_PNSt15iterator_traitsISG_E10value_typeET2_T3_PNSH_ISM_E10value_typeET4_T5_PSR_SS_PNS1_23onesweep_lookback_stateEbbT6_jjT7_P12ihipStream_tbENKUlT_T0_SG_SL_E_clIS7_S7_SB_PlEEDaSZ_S10_SG_SL_EUlSZ_E_NS1_11comp_targetILNS1_3genE6ELNS1_11target_archE950ELNS1_3gpuE13ELNS1_3repE0EEENS1_47radix_sort_onesweep_sort_config_static_selectorELNS0_4arch9wavefront6targetE1EEEvSG_,comdat
.Lfunc_end876:
	.size	_ZN7rocprim17ROCPRIM_400000_NS6detail17trampoline_kernelINS0_14default_configENS1_35radix_sort_onesweep_config_selectorIilEEZZNS1_29radix_sort_onesweep_iterationIS3_Lb0EPiS7_N6thrust23THRUST_200600_302600_NS10device_ptrIlEESB_jNS0_19identity_decomposerENS1_16block_id_wrapperIjLb1EEEEE10hipError_tT1_PNSt15iterator_traitsISG_E10value_typeET2_T3_PNSH_ISM_E10value_typeET4_T5_PSR_SS_PNS1_23onesweep_lookback_stateEbbT6_jjT7_P12ihipStream_tbENKUlT_T0_SG_SL_E_clIS7_S7_SB_PlEEDaSZ_S10_SG_SL_EUlSZ_E_NS1_11comp_targetILNS1_3genE6ELNS1_11target_archE950ELNS1_3gpuE13ELNS1_3repE0EEENS1_47radix_sort_onesweep_sort_config_static_selectorELNS0_4arch9wavefront6targetE1EEEvSG_, .Lfunc_end876-_ZN7rocprim17ROCPRIM_400000_NS6detail17trampoline_kernelINS0_14default_configENS1_35radix_sort_onesweep_config_selectorIilEEZZNS1_29radix_sort_onesweep_iterationIS3_Lb0EPiS7_N6thrust23THRUST_200600_302600_NS10device_ptrIlEESB_jNS0_19identity_decomposerENS1_16block_id_wrapperIjLb1EEEEE10hipError_tT1_PNSt15iterator_traitsISG_E10value_typeET2_T3_PNSH_ISM_E10value_typeET4_T5_PSR_SS_PNS1_23onesweep_lookback_stateEbbT6_jjT7_P12ihipStream_tbENKUlT_T0_SG_SL_E_clIS7_S7_SB_PlEEDaSZ_S10_SG_SL_EUlSZ_E_NS1_11comp_targetILNS1_3genE6ELNS1_11target_archE950ELNS1_3gpuE13ELNS1_3repE0EEENS1_47radix_sort_onesweep_sort_config_static_selectorELNS0_4arch9wavefront6targetE1EEEvSG_
                                        ; -- End function
	.set _ZN7rocprim17ROCPRIM_400000_NS6detail17trampoline_kernelINS0_14default_configENS1_35radix_sort_onesweep_config_selectorIilEEZZNS1_29radix_sort_onesweep_iterationIS3_Lb0EPiS7_N6thrust23THRUST_200600_302600_NS10device_ptrIlEESB_jNS0_19identity_decomposerENS1_16block_id_wrapperIjLb1EEEEE10hipError_tT1_PNSt15iterator_traitsISG_E10value_typeET2_T3_PNSH_ISM_E10value_typeET4_T5_PSR_SS_PNS1_23onesweep_lookback_stateEbbT6_jjT7_P12ihipStream_tbENKUlT_T0_SG_SL_E_clIS7_S7_SB_PlEEDaSZ_S10_SG_SL_EUlSZ_E_NS1_11comp_targetILNS1_3genE6ELNS1_11target_archE950ELNS1_3gpuE13ELNS1_3repE0EEENS1_47radix_sort_onesweep_sort_config_static_selectorELNS0_4arch9wavefront6targetE1EEEvSG_.num_vgpr, 0
	.set _ZN7rocprim17ROCPRIM_400000_NS6detail17trampoline_kernelINS0_14default_configENS1_35radix_sort_onesweep_config_selectorIilEEZZNS1_29radix_sort_onesweep_iterationIS3_Lb0EPiS7_N6thrust23THRUST_200600_302600_NS10device_ptrIlEESB_jNS0_19identity_decomposerENS1_16block_id_wrapperIjLb1EEEEE10hipError_tT1_PNSt15iterator_traitsISG_E10value_typeET2_T3_PNSH_ISM_E10value_typeET4_T5_PSR_SS_PNS1_23onesweep_lookback_stateEbbT6_jjT7_P12ihipStream_tbENKUlT_T0_SG_SL_E_clIS7_S7_SB_PlEEDaSZ_S10_SG_SL_EUlSZ_E_NS1_11comp_targetILNS1_3genE6ELNS1_11target_archE950ELNS1_3gpuE13ELNS1_3repE0EEENS1_47radix_sort_onesweep_sort_config_static_selectorELNS0_4arch9wavefront6targetE1EEEvSG_.num_agpr, 0
	.set _ZN7rocprim17ROCPRIM_400000_NS6detail17trampoline_kernelINS0_14default_configENS1_35radix_sort_onesweep_config_selectorIilEEZZNS1_29radix_sort_onesweep_iterationIS3_Lb0EPiS7_N6thrust23THRUST_200600_302600_NS10device_ptrIlEESB_jNS0_19identity_decomposerENS1_16block_id_wrapperIjLb1EEEEE10hipError_tT1_PNSt15iterator_traitsISG_E10value_typeET2_T3_PNSH_ISM_E10value_typeET4_T5_PSR_SS_PNS1_23onesweep_lookback_stateEbbT6_jjT7_P12ihipStream_tbENKUlT_T0_SG_SL_E_clIS7_S7_SB_PlEEDaSZ_S10_SG_SL_EUlSZ_E_NS1_11comp_targetILNS1_3genE6ELNS1_11target_archE950ELNS1_3gpuE13ELNS1_3repE0EEENS1_47radix_sort_onesweep_sort_config_static_selectorELNS0_4arch9wavefront6targetE1EEEvSG_.numbered_sgpr, 0
	.set _ZN7rocprim17ROCPRIM_400000_NS6detail17trampoline_kernelINS0_14default_configENS1_35radix_sort_onesweep_config_selectorIilEEZZNS1_29radix_sort_onesweep_iterationIS3_Lb0EPiS7_N6thrust23THRUST_200600_302600_NS10device_ptrIlEESB_jNS0_19identity_decomposerENS1_16block_id_wrapperIjLb1EEEEE10hipError_tT1_PNSt15iterator_traitsISG_E10value_typeET2_T3_PNSH_ISM_E10value_typeET4_T5_PSR_SS_PNS1_23onesweep_lookback_stateEbbT6_jjT7_P12ihipStream_tbENKUlT_T0_SG_SL_E_clIS7_S7_SB_PlEEDaSZ_S10_SG_SL_EUlSZ_E_NS1_11comp_targetILNS1_3genE6ELNS1_11target_archE950ELNS1_3gpuE13ELNS1_3repE0EEENS1_47radix_sort_onesweep_sort_config_static_selectorELNS0_4arch9wavefront6targetE1EEEvSG_.num_named_barrier, 0
	.set _ZN7rocprim17ROCPRIM_400000_NS6detail17trampoline_kernelINS0_14default_configENS1_35radix_sort_onesweep_config_selectorIilEEZZNS1_29radix_sort_onesweep_iterationIS3_Lb0EPiS7_N6thrust23THRUST_200600_302600_NS10device_ptrIlEESB_jNS0_19identity_decomposerENS1_16block_id_wrapperIjLb1EEEEE10hipError_tT1_PNSt15iterator_traitsISG_E10value_typeET2_T3_PNSH_ISM_E10value_typeET4_T5_PSR_SS_PNS1_23onesweep_lookback_stateEbbT6_jjT7_P12ihipStream_tbENKUlT_T0_SG_SL_E_clIS7_S7_SB_PlEEDaSZ_S10_SG_SL_EUlSZ_E_NS1_11comp_targetILNS1_3genE6ELNS1_11target_archE950ELNS1_3gpuE13ELNS1_3repE0EEENS1_47radix_sort_onesweep_sort_config_static_selectorELNS0_4arch9wavefront6targetE1EEEvSG_.private_seg_size, 0
	.set _ZN7rocprim17ROCPRIM_400000_NS6detail17trampoline_kernelINS0_14default_configENS1_35radix_sort_onesweep_config_selectorIilEEZZNS1_29radix_sort_onesweep_iterationIS3_Lb0EPiS7_N6thrust23THRUST_200600_302600_NS10device_ptrIlEESB_jNS0_19identity_decomposerENS1_16block_id_wrapperIjLb1EEEEE10hipError_tT1_PNSt15iterator_traitsISG_E10value_typeET2_T3_PNSH_ISM_E10value_typeET4_T5_PSR_SS_PNS1_23onesweep_lookback_stateEbbT6_jjT7_P12ihipStream_tbENKUlT_T0_SG_SL_E_clIS7_S7_SB_PlEEDaSZ_S10_SG_SL_EUlSZ_E_NS1_11comp_targetILNS1_3genE6ELNS1_11target_archE950ELNS1_3gpuE13ELNS1_3repE0EEENS1_47radix_sort_onesweep_sort_config_static_selectorELNS0_4arch9wavefront6targetE1EEEvSG_.uses_vcc, 0
	.set _ZN7rocprim17ROCPRIM_400000_NS6detail17trampoline_kernelINS0_14default_configENS1_35radix_sort_onesweep_config_selectorIilEEZZNS1_29radix_sort_onesweep_iterationIS3_Lb0EPiS7_N6thrust23THRUST_200600_302600_NS10device_ptrIlEESB_jNS0_19identity_decomposerENS1_16block_id_wrapperIjLb1EEEEE10hipError_tT1_PNSt15iterator_traitsISG_E10value_typeET2_T3_PNSH_ISM_E10value_typeET4_T5_PSR_SS_PNS1_23onesweep_lookback_stateEbbT6_jjT7_P12ihipStream_tbENKUlT_T0_SG_SL_E_clIS7_S7_SB_PlEEDaSZ_S10_SG_SL_EUlSZ_E_NS1_11comp_targetILNS1_3genE6ELNS1_11target_archE950ELNS1_3gpuE13ELNS1_3repE0EEENS1_47radix_sort_onesweep_sort_config_static_selectorELNS0_4arch9wavefront6targetE1EEEvSG_.uses_flat_scratch, 0
	.set _ZN7rocprim17ROCPRIM_400000_NS6detail17trampoline_kernelINS0_14default_configENS1_35radix_sort_onesweep_config_selectorIilEEZZNS1_29radix_sort_onesweep_iterationIS3_Lb0EPiS7_N6thrust23THRUST_200600_302600_NS10device_ptrIlEESB_jNS0_19identity_decomposerENS1_16block_id_wrapperIjLb1EEEEE10hipError_tT1_PNSt15iterator_traitsISG_E10value_typeET2_T3_PNSH_ISM_E10value_typeET4_T5_PSR_SS_PNS1_23onesweep_lookback_stateEbbT6_jjT7_P12ihipStream_tbENKUlT_T0_SG_SL_E_clIS7_S7_SB_PlEEDaSZ_S10_SG_SL_EUlSZ_E_NS1_11comp_targetILNS1_3genE6ELNS1_11target_archE950ELNS1_3gpuE13ELNS1_3repE0EEENS1_47radix_sort_onesweep_sort_config_static_selectorELNS0_4arch9wavefront6targetE1EEEvSG_.has_dyn_sized_stack, 0
	.set _ZN7rocprim17ROCPRIM_400000_NS6detail17trampoline_kernelINS0_14default_configENS1_35radix_sort_onesweep_config_selectorIilEEZZNS1_29radix_sort_onesweep_iterationIS3_Lb0EPiS7_N6thrust23THRUST_200600_302600_NS10device_ptrIlEESB_jNS0_19identity_decomposerENS1_16block_id_wrapperIjLb1EEEEE10hipError_tT1_PNSt15iterator_traitsISG_E10value_typeET2_T3_PNSH_ISM_E10value_typeET4_T5_PSR_SS_PNS1_23onesweep_lookback_stateEbbT6_jjT7_P12ihipStream_tbENKUlT_T0_SG_SL_E_clIS7_S7_SB_PlEEDaSZ_S10_SG_SL_EUlSZ_E_NS1_11comp_targetILNS1_3genE6ELNS1_11target_archE950ELNS1_3gpuE13ELNS1_3repE0EEENS1_47radix_sort_onesweep_sort_config_static_selectorELNS0_4arch9wavefront6targetE1EEEvSG_.has_recursion, 0
	.set _ZN7rocprim17ROCPRIM_400000_NS6detail17trampoline_kernelINS0_14default_configENS1_35radix_sort_onesweep_config_selectorIilEEZZNS1_29radix_sort_onesweep_iterationIS3_Lb0EPiS7_N6thrust23THRUST_200600_302600_NS10device_ptrIlEESB_jNS0_19identity_decomposerENS1_16block_id_wrapperIjLb1EEEEE10hipError_tT1_PNSt15iterator_traitsISG_E10value_typeET2_T3_PNSH_ISM_E10value_typeET4_T5_PSR_SS_PNS1_23onesweep_lookback_stateEbbT6_jjT7_P12ihipStream_tbENKUlT_T0_SG_SL_E_clIS7_S7_SB_PlEEDaSZ_S10_SG_SL_EUlSZ_E_NS1_11comp_targetILNS1_3genE6ELNS1_11target_archE950ELNS1_3gpuE13ELNS1_3repE0EEENS1_47radix_sort_onesweep_sort_config_static_selectorELNS0_4arch9wavefront6targetE1EEEvSG_.has_indirect_call, 0
	.section	.AMDGPU.csdata,"",@progbits
; Kernel info:
; codeLenInByte = 0
; TotalNumSgprs: 4
; NumVgprs: 0
; ScratchSize: 0
; MemoryBound: 0
; FloatMode: 240
; IeeeMode: 1
; LDSByteSize: 0 bytes/workgroup (compile time only)
; SGPRBlocks: 0
; VGPRBlocks: 0
; NumSGPRsForWavesPerEU: 4
; NumVGPRsForWavesPerEU: 1
; Occupancy: 10
; WaveLimiterHint : 0
; COMPUTE_PGM_RSRC2:SCRATCH_EN: 0
; COMPUTE_PGM_RSRC2:USER_SGPR: 6
; COMPUTE_PGM_RSRC2:TRAP_HANDLER: 0
; COMPUTE_PGM_RSRC2:TGID_X_EN: 1
; COMPUTE_PGM_RSRC2:TGID_Y_EN: 0
; COMPUTE_PGM_RSRC2:TGID_Z_EN: 0
; COMPUTE_PGM_RSRC2:TIDIG_COMP_CNT: 0
	.section	.text._ZN7rocprim17ROCPRIM_400000_NS6detail17trampoline_kernelINS0_14default_configENS1_35radix_sort_onesweep_config_selectorIilEEZZNS1_29radix_sort_onesweep_iterationIS3_Lb0EPiS7_N6thrust23THRUST_200600_302600_NS10device_ptrIlEESB_jNS0_19identity_decomposerENS1_16block_id_wrapperIjLb1EEEEE10hipError_tT1_PNSt15iterator_traitsISG_E10value_typeET2_T3_PNSH_ISM_E10value_typeET4_T5_PSR_SS_PNS1_23onesweep_lookback_stateEbbT6_jjT7_P12ihipStream_tbENKUlT_T0_SG_SL_E_clIS7_S7_SB_PlEEDaSZ_S10_SG_SL_EUlSZ_E_NS1_11comp_targetILNS1_3genE5ELNS1_11target_archE942ELNS1_3gpuE9ELNS1_3repE0EEENS1_47radix_sort_onesweep_sort_config_static_selectorELNS0_4arch9wavefront6targetE1EEEvSG_,"axG",@progbits,_ZN7rocprim17ROCPRIM_400000_NS6detail17trampoline_kernelINS0_14default_configENS1_35radix_sort_onesweep_config_selectorIilEEZZNS1_29radix_sort_onesweep_iterationIS3_Lb0EPiS7_N6thrust23THRUST_200600_302600_NS10device_ptrIlEESB_jNS0_19identity_decomposerENS1_16block_id_wrapperIjLb1EEEEE10hipError_tT1_PNSt15iterator_traitsISG_E10value_typeET2_T3_PNSH_ISM_E10value_typeET4_T5_PSR_SS_PNS1_23onesweep_lookback_stateEbbT6_jjT7_P12ihipStream_tbENKUlT_T0_SG_SL_E_clIS7_S7_SB_PlEEDaSZ_S10_SG_SL_EUlSZ_E_NS1_11comp_targetILNS1_3genE5ELNS1_11target_archE942ELNS1_3gpuE9ELNS1_3repE0EEENS1_47radix_sort_onesweep_sort_config_static_selectorELNS0_4arch9wavefront6targetE1EEEvSG_,comdat
	.protected	_ZN7rocprim17ROCPRIM_400000_NS6detail17trampoline_kernelINS0_14default_configENS1_35radix_sort_onesweep_config_selectorIilEEZZNS1_29radix_sort_onesweep_iterationIS3_Lb0EPiS7_N6thrust23THRUST_200600_302600_NS10device_ptrIlEESB_jNS0_19identity_decomposerENS1_16block_id_wrapperIjLb1EEEEE10hipError_tT1_PNSt15iterator_traitsISG_E10value_typeET2_T3_PNSH_ISM_E10value_typeET4_T5_PSR_SS_PNS1_23onesweep_lookback_stateEbbT6_jjT7_P12ihipStream_tbENKUlT_T0_SG_SL_E_clIS7_S7_SB_PlEEDaSZ_S10_SG_SL_EUlSZ_E_NS1_11comp_targetILNS1_3genE5ELNS1_11target_archE942ELNS1_3gpuE9ELNS1_3repE0EEENS1_47radix_sort_onesweep_sort_config_static_selectorELNS0_4arch9wavefront6targetE1EEEvSG_ ; -- Begin function _ZN7rocprim17ROCPRIM_400000_NS6detail17trampoline_kernelINS0_14default_configENS1_35radix_sort_onesweep_config_selectorIilEEZZNS1_29radix_sort_onesweep_iterationIS3_Lb0EPiS7_N6thrust23THRUST_200600_302600_NS10device_ptrIlEESB_jNS0_19identity_decomposerENS1_16block_id_wrapperIjLb1EEEEE10hipError_tT1_PNSt15iterator_traitsISG_E10value_typeET2_T3_PNSH_ISM_E10value_typeET4_T5_PSR_SS_PNS1_23onesweep_lookback_stateEbbT6_jjT7_P12ihipStream_tbENKUlT_T0_SG_SL_E_clIS7_S7_SB_PlEEDaSZ_S10_SG_SL_EUlSZ_E_NS1_11comp_targetILNS1_3genE5ELNS1_11target_archE942ELNS1_3gpuE9ELNS1_3repE0EEENS1_47radix_sort_onesweep_sort_config_static_selectorELNS0_4arch9wavefront6targetE1EEEvSG_
	.globl	_ZN7rocprim17ROCPRIM_400000_NS6detail17trampoline_kernelINS0_14default_configENS1_35radix_sort_onesweep_config_selectorIilEEZZNS1_29radix_sort_onesweep_iterationIS3_Lb0EPiS7_N6thrust23THRUST_200600_302600_NS10device_ptrIlEESB_jNS0_19identity_decomposerENS1_16block_id_wrapperIjLb1EEEEE10hipError_tT1_PNSt15iterator_traitsISG_E10value_typeET2_T3_PNSH_ISM_E10value_typeET4_T5_PSR_SS_PNS1_23onesweep_lookback_stateEbbT6_jjT7_P12ihipStream_tbENKUlT_T0_SG_SL_E_clIS7_S7_SB_PlEEDaSZ_S10_SG_SL_EUlSZ_E_NS1_11comp_targetILNS1_3genE5ELNS1_11target_archE942ELNS1_3gpuE9ELNS1_3repE0EEENS1_47radix_sort_onesweep_sort_config_static_selectorELNS0_4arch9wavefront6targetE1EEEvSG_
	.p2align	8
	.type	_ZN7rocprim17ROCPRIM_400000_NS6detail17trampoline_kernelINS0_14default_configENS1_35radix_sort_onesweep_config_selectorIilEEZZNS1_29radix_sort_onesweep_iterationIS3_Lb0EPiS7_N6thrust23THRUST_200600_302600_NS10device_ptrIlEESB_jNS0_19identity_decomposerENS1_16block_id_wrapperIjLb1EEEEE10hipError_tT1_PNSt15iterator_traitsISG_E10value_typeET2_T3_PNSH_ISM_E10value_typeET4_T5_PSR_SS_PNS1_23onesweep_lookback_stateEbbT6_jjT7_P12ihipStream_tbENKUlT_T0_SG_SL_E_clIS7_S7_SB_PlEEDaSZ_S10_SG_SL_EUlSZ_E_NS1_11comp_targetILNS1_3genE5ELNS1_11target_archE942ELNS1_3gpuE9ELNS1_3repE0EEENS1_47radix_sort_onesweep_sort_config_static_selectorELNS0_4arch9wavefront6targetE1EEEvSG_,@function
_ZN7rocprim17ROCPRIM_400000_NS6detail17trampoline_kernelINS0_14default_configENS1_35radix_sort_onesweep_config_selectorIilEEZZNS1_29radix_sort_onesweep_iterationIS3_Lb0EPiS7_N6thrust23THRUST_200600_302600_NS10device_ptrIlEESB_jNS0_19identity_decomposerENS1_16block_id_wrapperIjLb1EEEEE10hipError_tT1_PNSt15iterator_traitsISG_E10value_typeET2_T3_PNSH_ISM_E10value_typeET4_T5_PSR_SS_PNS1_23onesweep_lookback_stateEbbT6_jjT7_P12ihipStream_tbENKUlT_T0_SG_SL_E_clIS7_S7_SB_PlEEDaSZ_S10_SG_SL_EUlSZ_E_NS1_11comp_targetILNS1_3genE5ELNS1_11target_archE942ELNS1_3gpuE9ELNS1_3repE0EEENS1_47radix_sort_onesweep_sort_config_static_selectorELNS0_4arch9wavefront6targetE1EEEvSG_: ; @_ZN7rocprim17ROCPRIM_400000_NS6detail17trampoline_kernelINS0_14default_configENS1_35radix_sort_onesweep_config_selectorIilEEZZNS1_29radix_sort_onesweep_iterationIS3_Lb0EPiS7_N6thrust23THRUST_200600_302600_NS10device_ptrIlEESB_jNS0_19identity_decomposerENS1_16block_id_wrapperIjLb1EEEEE10hipError_tT1_PNSt15iterator_traitsISG_E10value_typeET2_T3_PNSH_ISM_E10value_typeET4_T5_PSR_SS_PNS1_23onesweep_lookback_stateEbbT6_jjT7_P12ihipStream_tbENKUlT_T0_SG_SL_E_clIS7_S7_SB_PlEEDaSZ_S10_SG_SL_EUlSZ_E_NS1_11comp_targetILNS1_3genE5ELNS1_11target_archE942ELNS1_3gpuE9ELNS1_3repE0EEENS1_47radix_sort_onesweep_sort_config_static_selectorELNS0_4arch9wavefront6targetE1EEEvSG_
; %bb.0:
	.section	.rodata,"a",@progbits
	.p2align	6, 0x0
	.amdhsa_kernel _ZN7rocprim17ROCPRIM_400000_NS6detail17trampoline_kernelINS0_14default_configENS1_35radix_sort_onesweep_config_selectorIilEEZZNS1_29radix_sort_onesweep_iterationIS3_Lb0EPiS7_N6thrust23THRUST_200600_302600_NS10device_ptrIlEESB_jNS0_19identity_decomposerENS1_16block_id_wrapperIjLb1EEEEE10hipError_tT1_PNSt15iterator_traitsISG_E10value_typeET2_T3_PNSH_ISM_E10value_typeET4_T5_PSR_SS_PNS1_23onesweep_lookback_stateEbbT6_jjT7_P12ihipStream_tbENKUlT_T0_SG_SL_E_clIS7_S7_SB_PlEEDaSZ_S10_SG_SL_EUlSZ_E_NS1_11comp_targetILNS1_3genE5ELNS1_11target_archE942ELNS1_3gpuE9ELNS1_3repE0EEENS1_47radix_sort_onesweep_sort_config_static_selectorELNS0_4arch9wavefront6targetE1EEEvSG_
		.amdhsa_group_segment_fixed_size 0
		.amdhsa_private_segment_fixed_size 0
		.amdhsa_kernarg_size 88
		.amdhsa_user_sgpr_count 6
		.amdhsa_user_sgpr_private_segment_buffer 1
		.amdhsa_user_sgpr_dispatch_ptr 0
		.amdhsa_user_sgpr_queue_ptr 0
		.amdhsa_user_sgpr_kernarg_segment_ptr 1
		.amdhsa_user_sgpr_dispatch_id 0
		.amdhsa_user_sgpr_flat_scratch_init 0
		.amdhsa_user_sgpr_private_segment_size 0
		.amdhsa_uses_dynamic_stack 0
		.amdhsa_system_sgpr_private_segment_wavefront_offset 0
		.amdhsa_system_sgpr_workgroup_id_x 1
		.amdhsa_system_sgpr_workgroup_id_y 0
		.amdhsa_system_sgpr_workgroup_id_z 0
		.amdhsa_system_sgpr_workgroup_info 0
		.amdhsa_system_vgpr_workitem_id 0
		.amdhsa_next_free_vgpr 1
		.amdhsa_next_free_sgpr 0
		.amdhsa_reserve_vcc 0
		.amdhsa_reserve_flat_scratch 0
		.amdhsa_float_round_mode_32 0
		.amdhsa_float_round_mode_16_64 0
		.amdhsa_float_denorm_mode_32 3
		.amdhsa_float_denorm_mode_16_64 3
		.amdhsa_dx10_clamp 1
		.amdhsa_ieee_mode 1
		.amdhsa_fp16_overflow 0
		.amdhsa_exception_fp_ieee_invalid_op 0
		.amdhsa_exception_fp_denorm_src 0
		.amdhsa_exception_fp_ieee_div_zero 0
		.amdhsa_exception_fp_ieee_overflow 0
		.amdhsa_exception_fp_ieee_underflow 0
		.amdhsa_exception_fp_ieee_inexact 0
		.amdhsa_exception_int_div_zero 0
	.end_amdhsa_kernel
	.section	.text._ZN7rocprim17ROCPRIM_400000_NS6detail17trampoline_kernelINS0_14default_configENS1_35radix_sort_onesweep_config_selectorIilEEZZNS1_29radix_sort_onesweep_iterationIS3_Lb0EPiS7_N6thrust23THRUST_200600_302600_NS10device_ptrIlEESB_jNS0_19identity_decomposerENS1_16block_id_wrapperIjLb1EEEEE10hipError_tT1_PNSt15iterator_traitsISG_E10value_typeET2_T3_PNSH_ISM_E10value_typeET4_T5_PSR_SS_PNS1_23onesweep_lookback_stateEbbT6_jjT7_P12ihipStream_tbENKUlT_T0_SG_SL_E_clIS7_S7_SB_PlEEDaSZ_S10_SG_SL_EUlSZ_E_NS1_11comp_targetILNS1_3genE5ELNS1_11target_archE942ELNS1_3gpuE9ELNS1_3repE0EEENS1_47radix_sort_onesweep_sort_config_static_selectorELNS0_4arch9wavefront6targetE1EEEvSG_,"axG",@progbits,_ZN7rocprim17ROCPRIM_400000_NS6detail17trampoline_kernelINS0_14default_configENS1_35radix_sort_onesweep_config_selectorIilEEZZNS1_29radix_sort_onesweep_iterationIS3_Lb0EPiS7_N6thrust23THRUST_200600_302600_NS10device_ptrIlEESB_jNS0_19identity_decomposerENS1_16block_id_wrapperIjLb1EEEEE10hipError_tT1_PNSt15iterator_traitsISG_E10value_typeET2_T3_PNSH_ISM_E10value_typeET4_T5_PSR_SS_PNS1_23onesweep_lookback_stateEbbT6_jjT7_P12ihipStream_tbENKUlT_T0_SG_SL_E_clIS7_S7_SB_PlEEDaSZ_S10_SG_SL_EUlSZ_E_NS1_11comp_targetILNS1_3genE5ELNS1_11target_archE942ELNS1_3gpuE9ELNS1_3repE0EEENS1_47radix_sort_onesweep_sort_config_static_selectorELNS0_4arch9wavefront6targetE1EEEvSG_,comdat
.Lfunc_end877:
	.size	_ZN7rocprim17ROCPRIM_400000_NS6detail17trampoline_kernelINS0_14default_configENS1_35radix_sort_onesweep_config_selectorIilEEZZNS1_29radix_sort_onesweep_iterationIS3_Lb0EPiS7_N6thrust23THRUST_200600_302600_NS10device_ptrIlEESB_jNS0_19identity_decomposerENS1_16block_id_wrapperIjLb1EEEEE10hipError_tT1_PNSt15iterator_traitsISG_E10value_typeET2_T3_PNSH_ISM_E10value_typeET4_T5_PSR_SS_PNS1_23onesweep_lookback_stateEbbT6_jjT7_P12ihipStream_tbENKUlT_T0_SG_SL_E_clIS7_S7_SB_PlEEDaSZ_S10_SG_SL_EUlSZ_E_NS1_11comp_targetILNS1_3genE5ELNS1_11target_archE942ELNS1_3gpuE9ELNS1_3repE0EEENS1_47radix_sort_onesweep_sort_config_static_selectorELNS0_4arch9wavefront6targetE1EEEvSG_, .Lfunc_end877-_ZN7rocprim17ROCPRIM_400000_NS6detail17trampoline_kernelINS0_14default_configENS1_35radix_sort_onesweep_config_selectorIilEEZZNS1_29radix_sort_onesweep_iterationIS3_Lb0EPiS7_N6thrust23THRUST_200600_302600_NS10device_ptrIlEESB_jNS0_19identity_decomposerENS1_16block_id_wrapperIjLb1EEEEE10hipError_tT1_PNSt15iterator_traitsISG_E10value_typeET2_T3_PNSH_ISM_E10value_typeET4_T5_PSR_SS_PNS1_23onesweep_lookback_stateEbbT6_jjT7_P12ihipStream_tbENKUlT_T0_SG_SL_E_clIS7_S7_SB_PlEEDaSZ_S10_SG_SL_EUlSZ_E_NS1_11comp_targetILNS1_3genE5ELNS1_11target_archE942ELNS1_3gpuE9ELNS1_3repE0EEENS1_47radix_sort_onesweep_sort_config_static_selectorELNS0_4arch9wavefront6targetE1EEEvSG_
                                        ; -- End function
	.set _ZN7rocprim17ROCPRIM_400000_NS6detail17trampoline_kernelINS0_14default_configENS1_35radix_sort_onesweep_config_selectorIilEEZZNS1_29radix_sort_onesweep_iterationIS3_Lb0EPiS7_N6thrust23THRUST_200600_302600_NS10device_ptrIlEESB_jNS0_19identity_decomposerENS1_16block_id_wrapperIjLb1EEEEE10hipError_tT1_PNSt15iterator_traitsISG_E10value_typeET2_T3_PNSH_ISM_E10value_typeET4_T5_PSR_SS_PNS1_23onesweep_lookback_stateEbbT6_jjT7_P12ihipStream_tbENKUlT_T0_SG_SL_E_clIS7_S7_SB_PlEEDaSZ_S10_SG_SL_EUlSZ_E_NS1_11comp_targetILNS1_3genE5ELNS1_11target_archE942ELNS1_3gpuE9ELNS1_3repE0EEENS1_47radix_sort_onesweep_sort_config_static_selectorELNS0_4arch9wavefront6targetE1EEEvSG_.num_vgpr, 0
	.set _ZN7rocprim17ROCPRIM_400000_NS6detail17trampoline_kernelINS0_14default_configENS1_35radix_sort_onesweep_config_selectorIilEEZZNS1_29radix_sort_onesweep_iterationIS3_Lb0EPiS7_N6thrust23THRUST_200600_302600_NS10device_ptrIlEESB_jNS0_19identity_decomposerENS1_16block_id_wrapperIjLb1EEEEE10hipError_tT1_PNSt15iterator_traitsISG_E10value_typeET2_T3_PNSH_ISM_E10value_typeET4_T5_PSR_SS_PNS1_23onesweep_lookback_stateEbbT6_jjT7_P12ihipStream_tbENKUlT_T0_SG_SL_E_clIS7_S7_SB_PlEEDaSZ_S10_SG_SL_EUlSZ_E_NS1_11comp_targetILNS1_3genE5ELNS1_11target_archE942ELNS1_3gpuE9ELNS1_3repE0EEENS1_47radix_sort_onesweep_sort_config_static_selectorELNS0_4arch9wavefront6targetE1EEEvSG_.num_agpr, 0
	.set _ZN7rocprim17ROCPRIM_400000_NS6detail17trampoline_kernelINS0_14default_configENS1_35radix_sort_onesweep_config_selectorIilEEZZNS1_29radix_sort_onesweep_iterationIS3_Lb0EPiS7_N6thrust23THRUST_200600_302600_NS10device_ptrIlEESB_jNS0_19identity_decomposerENS1_16block_id_wrapperIjLb1EEEEE10hipError_tT1_PNSt15iterator_traitsISG_E10value_typeET2_T3_PNSH_ISM_E10value_typeET4_T5_PSR_SS_PNS1_23onesweep_lookback_stateEbbT6_jjT7_P12ihipStream_tbENKUlT_T0_SG_SL_E_clIS7_S7_SB_PlEEDaSZ_S10_SG_SL_EUlSZ_E_NS1_11comp_targetILNS1_3genE5ELNS1_11target_archE942ELNS1_3gpuE9ELNS1_3repE0EEENS1_47radix_sort_onesweep_sort_config_static_selectorELNS0_4arch9wavefront6targetE1EEEvSG_.numbered_sgpr, 0
	.set _ZN7rocprim17ROCPRIM_400000_NS6detail17trampoline_kernelINS0_14default_configENS1_35radix_sort_onesweep_config_selectorIilEEZZNS1_29radix_sort_onesweep_iterationIS3_Lb0EPiS7_N6thrust23THRUST_200600_302600_NS10device_ptrIlEESB_jNS0_19identity_decomposerENS1_16block_id_wrapperIjLb1EEEEE10hipError_tT1_PNSt15iterator_traitsISG_E10value_typeET2_T3_PNSH_ISM_E10value_typeET4_T5_PSR_SS_PNS1_23onesweep_lookback_stateEbbT6_jjT7_P12ihipStream_tbENKUlT_T0_SG_SL_E_clIS7_S7_SB_PlEEDaSZ_S10_SG_SL_EUlSZ_E_NS1_11comp_targetILNS1_3genE5ELNS1_11target_archE942ELNS1_3gpuE9ELNS1_3repE0EEENS1_47radix_sort_onesweep_sort_config_static_selectorELNS0_4arch9wavefront6targetE1EEEvSG_.num_named_barrier, 0
	.set _ZN7rocprim17ROCPRIM_400000_NS6detail17trampoline_kernelINS0_14default_configENS1_35radix_sort_onesweep_config_selectorIilEEZZNS1_29radix_sort_onesweep_iterationIS3_Lb0EPiS7_N6thrust23THRUST_200600_302600_NS10device_ptrIlEESB_jNS0_19identity_decomposerENS1_16block_id_wrapperIjLb1EEEEE10hipError_tT1_PNSt15iterator_traitsISG_E10value_typeET2_T3_PNSH_ISM_E10value_typeET4_T5_PSR_SS_PNS1_23onesweep_lookback_stateEbbT6_jjT7_P12ihipStream_tbENKUlT_T0_SG_SL_E_clIS7_S7_SB_PlEEDaSZ_S10_SG_SL_EUlSZ_E_NS1_11comp_targetILNS1_3genE5ELNS1_11target_archE942ELNS1_3gpuE9ELNS1_3repE0EEENS1_47radix_sort_onesweep_sort_config_static_selectorELNS0_4arch9wavefront6targetE1EEEvSG_.private_seg_size, 0
	.set _ZN7rocprim17ROCPRIM_400000_NS6detail17trampoline_kernelINS0_14default_configENS1_35radix_sort_onesweep_config_selectorIilEEZZNS1_29radix_sort_onesweep_iterationIS3_Lb0EPiS7_N6thrust23THRUST_200600_302600_NS10device_ptrIlEESB_jNS0_19identity_decomposerENS1_16block_id_wrapperIjLb1EEEEE10hipError_tT1_PNSt15iterator_traitsISG_E10value_typeET2_T3_PNSH_ISM_E10value_typeET4_T5_PSR_SS_PNS1_23onesweep_lookback_stateEbbT6_jjT7_P12ihipStream_tbENKUlT_T0_SG_SL_E_clIS7_S7_SB_PlEEDaSZ_S10_SG_SL_EUlSZ_E_NS1_11comp_targetILNS1_3genE5ELNS1_11target_archE942ELNS1_3gpuE9ELNS1_3repE0EEENS1_47radix_sort_onesweep_sort_config_static_selectorELNS0_4arch9wavefront6targetE1EEEvSG_.uses_vcc, 0
	.set _ZN7rocprim17ROCPRIM_400000_NS6detail17trampoline_kernelINS0_14default_configENS1_35radix_sort_onesweep_config_selectorIilEEZZNS1_29radix_sort_onesweep_iterationIS3_Lb0EPiS7_N6thrust23THRUST_200600_302600_NS10device_ptrIlEESB_jNS0_19identity_decomposerENS1_16block_id_wrapperIjLb1EEEEE10hipError_tT1_PNSt15iterator_traitsISG_E10value_typeET2_T3_PNSH_ISM_E10value_typeET4_T5_PSR_SS_PNS1_23onesweep_lookback_stateEbbT6_jjT7_P12ihipStream_tbENKUlT_T0_SG_SL_E_clIS7_S7_SB_PlEEDaSZ_S10_SG_SL_EUlSZ_E_NS1_11comp_targetILNS1_3genE5ELNS1_11target_archE942ELNS1_3gpuE9ELNS1_3repE0EEENS1_47radix_sort_onesweep_sort_config_static_selectorELNS0_4arch9wavefront6targetE1EEEvSG_.uses_flat_scratch, 0
	.set _ZN7rocprim17ROCPRIM_400000_NS6detail17trampoline_kernelINS0_14default_configENS1_35radix_sort_onesweep_config_selectorIilEEZZNS1_29radix_sort_onesweep_iterationIS3_Lb0EPiS7_N6thrust23THRUST_200600_302600_NS10device_ptrIlEESB_jNS0_19identity_decomposerENS1_16block_id_wrapperIjLb1EEEEE10hipError_tT1_PNSt15iterator_traitsISG_E10value_typeET2_T3_PNSH_ISM_E10value_typeET4_T5_PSR_SS_PNS1_23onesweep_lookback_stateEbbT6_jjT7_P12ihipStream_tbENKUlT_T0_SG_SL_E_clIS7_S7_SB_PlEEDaSZ_S10_SG_SL_EUlSZ_E_NS1_11comp_targetILNS1_3genE5ELNS1_11target_archE942ELNS1_3gpuE9ELNS1_3repE0EEENS1_47radix_sort_onesweep_sort_config_static_selectorELNS0_4arch9wavefront6targetE1EEEvSG_.has_dyn_sized_stack, 0
	.set _ZN7rocprim17ROCPRIM_400000_NS6detail17trampoline_kernelINS0_14default_configENS1_35radix_sort_onesweep_config_selectorIilEEZZNS1_29radix_sort_onesweep_iterationIS3_Lb0EPiS7_N6thrust23THRUST_200600_302600_NS10device_ptrIlEESB_jNS0_19identity_decomposerENS1_16block_id_wrapperIjLb1EEEEE10hipError_tT1_PNSt15iterator_traitsISG_E10value_typeET2_T3_PNSH_ISM_E10value_typeET4_T5_PSR_SS_PNS1_23onesweep_lookback_stateEbbT6_jjT7_P12ihipStream_tbENKUlT_T0_SG_SL_E_clIS7_S7_SB_PlEEDaSZ_S10_SG_SL_EUlSZ_E_NS1_11comp_targetILNS1_3genE5ELNS1_11target_archE942ELNS1_3gpuE9ELNS1_3repE0EEENS1_47radix_sort_onesweep_sort_config_static_selectorELNS0_4arch9wavefront6targetE1EEEvSG_.has_recursion, 0
	.set _ZN7rocprim17ROCPRIM_400000_NS6detail17trampoline_kernelINS0_14default_configENS1_35radix_sort_onesweep_config_selectorIilEEZZNS1_29radix_sort_onesweep_iterationIS3_Lb0EPiS7_N6thrust23THRUST_200600_302600_NS10device_ptrIlEESB_jNS0_19identity_decomposerENS1_16block_id_wrapperIjLb1EEEEE10hipError_tT1_PNSt15iterator_traitsISG_E10value_typeET2_T3_PNSH_ISM_E10value_typeET4_T5_PSR_SS_PNS1_23onesweep_lookback_stateEbbT6_jjT7_P12ihipStream_tbENKUlT_T0_SG_SL_E_clIS7_S7_SB_PlEEDaSZ_S10_SG_SL_EUlSZ_E_NS1_11comp_targetILNS1_3genE5ELNS1_11target_archE942ELNS1_3gpuE9ELNS1_3repE0EEENS1_47radix_sort_onesweep_sort_config_static_selectorELNS0_4arch9wavefront6targetE1EEEvSG_.has_indirect_call, 0
	.section	.AMDGPU.csdata,"",@progbits
; Kernel info:
; codeLenInByte = 0
; TotalNumSgprs: 4
; NumVgprs: 0
; ScratchSize: 0
; MemoryBound: 0
; FloatMode: 240
; IeeeMode: 1
; LDSByteSize: 0 bytes/workgroup (compile time only)
; SGPRBlocks: 0
; VGPRBlocks: 0
; NumSGPRsForWavesPerEU: 4
; NumVGPRsForWavesPerEU: 1
; Occupancy: 10
; WaveLimiterHint : 0
; COMPUTE_PGM_RSRC2:SCRATCH_EN: 0
; COMPUTE_PGM_RSRC2:USER_SGPR: 6
; COMPUTE_PGM_RSRC2:TRAP_HANDLER: 0
; COMPUTE_PGM_RSRC2:TGID_X_EN: 1
; COMPUTE_PGM_RSRC2:TGID_Y_EN: 0
; COMPUTE_PGM_RSRC2:TGID_Z_EN: 0
; COMPUTE_PGM_RSRC2:TIDIG_COMP_CNT: 0
	.section	.text._ZN7rocprim17ROCPRIM_400000_NS6detail17trampoline_kernelINS0_14default_configENS1_35radix_sort_onesweep_config_selectorIilEEZZNS1_29radix_sort_onesweep_iterationIS3_Lb0EPiS7_N6thrust23THRUST_200600_302600_NS10device_ptrIlEESB_jNS0_19identity_decomposerENS1_16block_id_wrapperIjLb1EEEEE10hipError_tT1_PNSt15iterator_traitsISG_E10value_typeET2_T3_PNSH_ISM_E10value_typeET4_T5_PSR_SS_PNS1_23onesweep_lookback_stateEbbT6_jjT7_P12ihipStream_tbENKUlT_T0_SG_SL_E_clIS7_S7_SB_PlEEDaSZ_S10_SG_SL_EUlSZ_E_NS1_11comp_targetILNS1_3genE2ELNS1_11target_archE906ELNS1_3gpuE6ELNS1_3repE0EEENS1_47radix_sort_onesweep_sort_config_static_selectorELNS0_4arch9wavefront6targetE1EEEvSG_,"axG",@progbits,_ZN7rocprim17ROCPRIM_400000_NS6detail17trampoline_kernelINS0_14default_configENS1_35radix_sort_onesweep_config_selectorIilEEZZNS1_29radix_sort_onesweep_iterationIS3_Lb0EPiS7_N6thrust23THRUST_200600_302600_NS10device_ptrIlEESB_jNS0_19identity_decomposerENS1_16block_id_wrapperIjLb1EEEEE10hipError_tT1_PNSt15iterator_traitsISG_E10value_typeET2_T3_PNSH_ISM_E10value_typeET4_T5_PSR_SS_PNS1_23onesweep_lookback_stateEbbT6_jjT7_P12ihipStream_tbENKUlT_T0_SG_SL_E_clIS7_S7_SB_PlEEDaSZ_S10_SG_SL_EUlSZ_E_NS1_11comp_targetILNS1_3genE2ELNS1_11target_archE906ELNS1_3gpuE6ELNS1_3repE0EEENS1_47radix_sort_onesweep_sort_config_static_selectorELNS0_4arch9wavefront6targetE1EEEvSG_,comdat
	.protected	_ZN7rocprim17ROCPRIM_400000_NS6detail17trampoline_kernelINS0_14default_configENS1_35radix_sort_onesweep_config_selectorIilEEZZNS1_29radix_sort_onesweep_iterationIS3_Lb0EPiS7_N6thrust23THRUST_200600_302600_NS10device_ptrIlEESB_jNS0_19identity_decomposerENS1_16block_id_wrapperIjLb1EEEEE10hipError_tT1_PNSt15iterator_traitsISG_E10value_typeET2_T3_PNSH_ISM_E10value_typeET4_T5_PSR_SS_PNS1_23onesweep_lookback_stateEbbT6_jjT7_P12ihipStream_tbENKUlT_T0_SG_SL_E_clIS7_S7_SB_PlEEDaSZ_S10_SG_SL_EUlSZ_E_NS1_11comp_targetILNS1_3genE2ELNS1_11target_archE906ELNS1_3gpuE6ELNS1_3repE0EEENS1_47radix_sort_onesweep_sort_config_static_selectorELNS0_4arch9wavefront6targetE1EEEvSG_ ; -- Begin function _ZN7rocprim17ROCPRIM_400000_NS6detail17trampoline_kernelINS0_14default_configENS1_35radix_sort_onesweep_config_selectorIilEEZZNS1_29radix_sort_onesweep_iterationIS3_Lb0EPiS7_N6thrust23THRUST_200600_302600_NS10device_ptrIlEESB_jNS0_19identity_decomposerENS1_16block_id_wrapperIjLb1EEEEE10hipError_tT1_PNSt15iterator_traitsISG_E10value_typeET2_T3_PNSH_ISM_E10value_typeET4_T5_PSR_SS_PNS1_23onesweep_lookback_stateEbbT6_jjT7_P12ihipStream_tbENKUlT_T0_SG_SL_E_clIS7_S7_SB_PlEEDaSZ_S10_SG_SL_EUlSZ_E_NS1_11comp_targetILNS1_3genE2ELNS1_11target_archE906ELNS1_3gpuE6ELNS1_3repE0EEENS1_47radix_sort_onesweep_sort_config_static_selectorELNS0_4arch9wavefront6targetE1EEEvSG_
	.globl	_ZN7rocprim17ROCPRIM_400000_NS6detail17trampoline_kernelINS0_14default_configENS1_35radix_sort_onesweep_config_selectorIilEEZZNS1_29radix_sort_onesweep_iterationIS3_Lb0EPiS7_N6thrust23THRUST_200600_302600_NS10device_ptrIlEESB_jNS0_19identity_decomposerENS1_16block_id_wrapperIjLb1EEEEE10hipError_tT1_PNSt15iterator_traitsISG_E10value_typeET2_T3_PNSH_ISM_E10value_typeET4_T5_PSR_SS_PNS1_23onesweep_lookback_stateEbbT6_jjT7_P12ihipStream_tbENKUlT_T0_SG_SL_E_clIS7_S7_SB_PlEEDaSZ_S10_SG_SL_EUlSZ_E_NS1_11comp_targetILNS1_3genE2ELNS1_11target_archE906ELNS1_3gpuE6ELNS1_3repE0EEENS1_47radix_sort_onesweep_sort_config_static_selectorELNS0_4arch9wavefront6targetE1EEEvSG_
	.p2align	8
	.type	_ZN7rocprim17ROCPRIM_400000_NS6detail17trampoline_kernelINS0_14default_configENS1_35radix_sort_onesweep_config_selectorIilEEZZNS1_29radix_sort_onesweep_iterationIS3_Lb0EPiS7_N6thrust23THRUST_200600_302600_NS10device_ptrIlEESB_jNS0_19identity_decomposerENS1_16block_id_wrapperIjLb1EEEEE10hipError_tT1_PNSt15iterator_traitsISG_E10value_typeET2_T3_PNSH_ISM_E10value_typeET4_T5_PSR_SS_PNS1_23onesweep_lookback_stateEbbT6_jjT7_P12ihipStream_tbENKUlT_T0_SG_SL_E_clIS7_S7_SB_PlEEDaSZ_S10_SG_SL_EUlSZ_E_NS1_11comp_targetILNS1_3genE2ELNS1_11target_archE906ELNS1_3gpuE6ELNS1_3repE0EEENS1_47radix_sort_onesweep_sort_config_static_selectorELNS0_4arch9wavefront6targetE1EEEvSG_,@function
_ZN7rocprim17ROCPRIM_400000_NS6detail17trampoline_kernelINS0_14default_configENS1_35radix_sort_onesweep_config_selectorIilEEZZNS1_29radix_sort_onesweep_iterationIS3_Lb0EPiS7_N6thrust23THRUST_200600_302600_NS10device_ptrIlEESB_jNS0_19identity_decomposerENS1_16block_id_wrapperIjLb1EEEEE10hipError_tT1_PNSt15iterator_traitsISG_E10value_typeET2_T3_PNSH_ISM_E10value_typeET4_T5_PSR_SS_PNS1_23onesweep_lookback_stateEbbT6_jjT7_P12ihipStream_tbENKUlT_T0_SG_SL_E_clIS7_S7_SB_PlEEDaSZ_S10_SG_SL_EUlSZ_E_NS1_11comp_targetILNS1_3genE2ELNS1_11target_archE906ELNS1_3gpuE6ELNS1_3repE0EEENS1_47radix_sort_onesweep_sort_config_static_selectorELNS0_4arch9wavefront6targetE1EEEvSG_: ; @_ZN7rocprim17ROCPRIM_400000_NS6detail17trampoline_kernelINS0_14default_configENS1_35radix_sort_onesweep_config_selectorIilEEZZNS1_29radix_sort_onesweep_iterationIS3_Lb0EPiS7_N6thrust23THRUST_200600_302600_NS10device_ptrIlEESB_jNS0_19identity_decomposerENS1_16block_id_wrapperIjLb1EEEEE10hipError_tT1_PNSt15iterator_traitsISG_E10value_typeET2_T3_PNSH_ISM_E10value_typeET4_T5_PSR_SS_PNS1_23onesweep_lookback_stateEbbT6_jjT7_P12ihipStream_tbENKUlT_T0_SG_SL_E_clIS7_S7_SB_PlEEDaSZ_S10_SG_SL_EUlSZ_E_NS1_11comp_targetILNS1_3genE2ELNS1_11target_archE906ELNS1_3gpuE6ELNS1_3repE0EEENS1_47radix_sort_onesweep_sort_config_static_selectorELNS0_4arch9wavefront6targetE1EEEvSG_
; %bb.0:
	s_load_dwordx4 s[44:47], s[4:5], 0x28
	s_load_dwordx2 s[30:31], s[4:5], 0x38
	s_load_dwordx4 s[48:51], s[4:5], 0x44
	s_add_u32 s0, s0, s7
	s_addc_u32 s1, s1, 0
	v_cmp_eq_u32_e64 s[26:27], 0, v0
	s_and_saveexec_b64 s[8:9], s[26:27]
	s_cbranch_execz .LBB878_4
; %bb.1:
	s_mov_b64 s[12:13], exec
	v_mbcnt_lo_u32_b32 v3, s12, 0
	v_mbcnt_hi_u32_b32 v3, s13, v3
	v_cmp_eq_u32_e32 vcc, 0, v3
                                        ; implicit-def: $vgpr4
	s_and_saveexec_b64 s[10:11], vcc
	s_cbranch_execz .LBB878_3
; %bb.2:
	s_load_dwordx2 s[14:15], s[4:5], 0x50
	s_bcnt1_i32_b64 s7, s[12:13]
	v_mov_b32_e32 v4, 0
	v_mov_b32_e32 v5, s7
	s_waitcnt lgkmcnt(0)
	global_atomic_add v4, v4, v5, s[14:15] glc
.LBB878_3:
	s_or_b64 exec, exec, s[10:11]
	s_waitcnt vmcnt(0)
	v_readfirstlane_b32 s7, v4
	v_add_u32_e32 v3, s7, v3
	v_mov_b32_e32 v4, 0
	ds_write_b32 v4, v3 offset:10272
.LBB878_4:
	s_or_b64 exec, exec, s[8:9]
	v_mov_b32_e32 v3, 0
	s_load_dwordx8 s[36:43], s[4:5], 0x0
	s_load_dword s7, s[4:5], 0x20
	s_waitcnt lgkmcnt(0)
	s_barrier
	ds_read_b32 v3, v3 offset:10272
	s_mov_b64 s[8:9], -1
	v_mbcnt_lo_u32_b32 v22, -1, 0
	v_lshlrev_b32_e32 v21, 3, v0
	s_waitcnt lgkmcnt(0)
	v_cmp_le_u32_e32 vcc, s50, v3
	v_readfirstlane_b32 s33, v3
	s_barrier
	s_cbranch_vccz .LBB878_92
; %bb.5:
	s_lshl_b32 s8, s50, 12
	s_lshl_b32 s34, s33, 12
	s_mov_b32 s35, 0
	s_sub_i32 s7, s7, s8
	s_lshl_b64 s[8:9], s[34:35], 2
	v_mbcnt_hi_u32_b32 v17, -1, v22
	s_add_u32 s8, s36, s8
	v_and_b32_e32 v15, 63, v17
	s_addc_u32 s9, s37, s9
	v_lshlrev_b32_e32 v3, 2, v15
	v_and_b32_e32 v14, 0xe00, v21
	v_mov_b32_e32 v4, s9
	v_add_co_u32_e32 v3, vcc, s8, v3
	v_addc_co_u32_e32 v4, vcc, 0, v4, vcc
	v_lshlrev_b32_e32 v5, 2, v14
	v_add_co_u32_e32 v11, vcc, v3, v5
	v_or_b32_e32 v13, v15, v14
	v_bfrev_b32_e32 v3, -2
	v_addc_co_u32_e32 v12, vcc, 0, v4, vcc
	v_cmp_gt_u32_e64 s[8:9], s7, v13
	v_mov_b32_e32 v4, v3
	v_mov_b32_e32 v5, v3
	;; [unrolled: 1-line block ×7, first 2 shown]
	s_and_saveexec_b64 s[10:11], s[8:9]
	s_cbranch_execz .LBB878_7
; %bb.6:
	global_load_dword v23, v[11:12], off
	v_mov_b32_e32 v24, v3
	v_mov_b32_e32 v25, v3
	;; [unrolled: 1-line block ×7, first 2 shown]
	s_waitcnt vmcnt(0)
	v_mov_b32_e32 v3, v23
	v_mov_b32_e32 v4, v24
	;; [unrolled: 1-line block ×8, first 2 shown]
.LBB878_7:
	s_or_b64 exec, exec, s[10:11]
	v_or_b32_e32 v16, 64, v13
	v_cmp_gt_u32_e64 s[10:11], s7, v16
	s_and_saveexec_b64 s[12:13], s[10:11]
	s_cbranch_execz .LBB878_9
; %bb.8:
	global_load_dword v4, v[11:12], off offset:256
.LBB878_9:
	s_or_b64 exec, exec, s[12:13]
	v_or_b32_e32 v16, 0x80, v13
	v_cmp_gt_u32_e64 s[12:13], s7, v16
	s_and_saveexec_b64 s[14:15], s[12:13]
	s_cbranch_execz .LBB878_11
; %bb.10:
	global_load_dword v5, v[11:12], off offset:512
.LBB878_11:
	;; [unrolled: 8-line block ×7, first 2 shown]
	s_or_b64 exec, exec, s[24:25]
	s_load_dword s24, s[4:5], 0x64
	s_load_dword s56, s[4:5], 0x58
	s_add_u32 s25, s4, 0x58
	s_addc_u32 s28, s5, 0
	v_mov_b32_e32 v11, 0
	s_waitcnt lgkmcnt(0)
	s_lshr_b32 s29, s24, 16
	s_cmp_lt_u32 s6, s56
	s_cselect_b32 s24, 12, 18
	s_add_u32 s24, s25, s24
	s_addc_u32 s25, s28, 0
	global_load_ushort v13, v11, s[24:25]
	v_xor_b32_e32 v16, 0x80000000, v3
	s_lshl_b32 s24, -1, s49
	v_lshrrev_b32_e32 v3, s48, v16
	s_not_b32 s57, s24
	v_and_b32_e32 v3, s57, v3
	v_and_b32_e32 v20, 1, v3
	v_add_co_u32_e32 v24, vcc, -1, v20
	v_lshlrev_b32_e32 v12, 30, v3
	v_addc_co_u32_e64 v25, s[24:25], 0, -1, vcc
	v_cmp_ne_u32_e32 vcc, 0, v20
	v_cmp_gt_i64_e64 s[24:25], 0, v[11:12]
	v_not_b32_e32 v20, v12
	v_lshlrev_b32_e32 v12, 29, v3
	v_xor_b32_e32 v25, vcc_hi, v25
	v_xor_b32_e32 v24, vcc_lo, v24
	v_ashrrev_i32_e32 v20, 31, v20
	v_cmp_gt_i64_e32 vcc, 0, v[11:12]
	v_not_b32_e32 v26, v12
	v_lshlrev_b32_e32 v12, 28, v3
	v_and_b32_e32 v25, exec_hi, v25
	v_and_b32_e32 v24, exec_lo, v24
	v_xor_b32_e32 v27, s25, v20
	v_xor_b32_e32 v20, s24, v20
	v_ashrrev_i32_e32 v26, 31, v26
	v_cmp_gt_i64_e64 s[24:25], 0, v[11:12]
	v_not_b32_e32 v28, v12
	v_lshlrev_b32_e32 v12, 27, v3
	v_and_b32_e32 v25, v25, v27
	v_and_b32_e32 v20, v24, v20
	v_xor_b32_e32 v24, vcc_hi, v26
	v_xor_b32_e32 v26, vcc_lo, v26
	v_ashrrev_i32_e32 v27, 31, v28
	v_cmp_gt_i64_e32 vcc, 0, v[11:12]
	v_not_b32_e32 v28, v12
	v_lshlrev_b32_e32 v12, 26, v3
	v_and_b32_e32 v24, v25, v24
	v_and_b32_e32 v20, v20, v26
	v_xor_b32_e32 v25, s25, v27
	v_xor_b32_e32 v26, s24, v27
	v_ashrrev_i32_e32 v27, 31, v28
	v_cmp_gt_i64_e64 s[24:25], 0, v[11:12]
	v_not_b32_e32 v28, v12
	v_lshlrev_b32_e32 v12, 25, v3
	v_and_b32_e32 v24, v24, v25
	v_and_b32_e32 v20, v20, v26
	v_xor_b32_e32 v25, vcc_hi, v27
	v_xor_b32_e32 v26, vcc_lo, v27
	v_ashrrev_i32_e32 v27, 31, v28
	v_cmp_gt_i64_e32 vcc, 0, v[11:12]
	v_not_b32_e32 v28, v12
	v_mul_lo_u32 v23, v3, 36
	v_lshlrev_b32_e32 v12, 24, v3
	v_and_b32_e32 v3, v24, v25
	v_and_b32_e32 v20, v20, v26
	v_xor_b32_e32 v24, s25, v27
	v_xor_b32_e32 v25, s24, v27
	v_ashrrev_i32_e32 v26, 31, v28
	v_mad_u32_u24 v19, v2, s29, v1
	v_and_b32_e32 v3, v3, v24
	v_and_b32_e32 v20, v20, v25
	v_xor_b32_e32 v24, vcc_hi, v26
	v_xor_b32_e32 v25, vcc_lo, v26
	v_and_b32_e32 v3, v3, v24
	v_and_b32_e32 v24, v20, v25
	v_cmp_gt_i64_e64 s[24:25], 0, v[11:12]
	v_not_b32_e32 v12, v12
	v_ashrrev_i32_e32 v12, 31, v12
	v_xor_b32_e32 v25, s25, v12
	v_xor_b32_e32 v12, s24, v12
	v_and_b32_e32 v12, v24, v12
	v_mul_u32_u24_e32 v18, 20, v0
	ds_write2_b32 v18, v11, v11 offset0:8 offset1:9
	ds_write2_b32 v18, v11, v11 offset0:10 offset1:11
	ds_write_b32 v18, v11 offset:48
	s_waitcnt vmcnt(0) lgkmcnt(0)
	s_barrier
	; wave barrier
	v_mad_u64_u32 v[19:20], s[28:29], v19, v13, v[0:1]
	v_and_b32_e32 v13, v3, v25
	v_cmp_ne_u64_e32 vcc, 0, v[12:13]
	v_lshrrev_b32_e32 v3, 4, v19
	v_and_b32_e32 v39, 0xffffffc, v3
	v_mbcnt_lo_u32_b32 v3, v12, 0
	v_mbcnt_hi_u32_b32 v19, v13, v3
	v_cmp_eq_u32_e64 s[24:25], 0, v19
	s_and_b64 s[28:29], vcc, s[24:25]
	v_add_u32_e32 v32, v39, v23
	s_and_saveexec_b64 s[24:25], s[28:29]
; %bb.22:
	v_bcnt_u32_b32 v3, v12, 0
	v_bcnt_u32_b32 v3, v13, v3
	ds_write_b32 v32, v3 offset:32
; %bb.23:
	s_or_b64 exec, exec, s[24:25]
	v_xor_b32_e32 v13, 0x80000000, v4
	v_lshrrev_b32_e32 v3, s48, v13
	v_and_b32_e32 v3, s57, v3
	v_mul_lo_u32 v4, v3, 36
	v_and_b32_e32 v12, 1, v3
	; wave barrier
	v_add_u32_e32 v33, v39, v4
	v_add_co_u32_e32 v4, vcc, -1, v12
	v_addc_co_u32_e64 v20, s[24:25], 0, -1, vcc
	v_cmp_ne_u32_e32 vcc, 0, v12
	v_xor_b32_e32 v12, vcc_hi, v20
	v_and_b32_e32 v20, exec_hi, v12
	v_lshlrev_b32_e32 v12, 30, v3
	v_xor_b32_e32 v4, vcc_lo, v4
	v_cmp_gt_i64_e32 vcc, 0, v[11:12]
	v_not_b32_e32 v12, v12
	v_ashrrev_i32_e32 v12, 31, v12
	v_and_b32_e32 v4, exec_lo, v4
	v_xor_b32_e32 v24, vcc_hi, v12
	v_xor_b32_e32 v12, vcc_lo, v12
	v_and_b32_e32 v4, v4, v12
	v_lshlrev_b32_e32 v12, 29, v3
	v_cmp_gt_i64_e32 vcc, 0, v[11:12]
	v_not_b32_e32 v12, v12
	v_ashrrev_i32_e32 v12, 31, v12
	v_and_b32_e32 v20, v20, v24
	v_xor_b32_e32 v24, vcc_hi, v12
	v_xor_b32_e32 v12, vcc_lo, v12
	v_and_b32_e32 v4, v4, v12
	v_lshlrev_b32_e32 v12, 28, v3
	v_cmp_gt_i64_e32 vcc, 0, v[11:12]
	v_not_b32_e32 v12, v12
	v_ashrrev_i32_e32 v12, 31, v12
	v_and_b32_e32 v20, v20, v24
	v_xor_b32_e32 v24, vcc_hi, v12
	v_xor_b32_e32 v12, vcc_lo, v12
	v_and_b32_e32 v4, v4, v12
	v_lshlrev_b32_e32 v12, 27, v3
	v_cmp_gt_i64_e32 vcc, 0, v[11:12]
	v_not_b32_e32 v12, v12
	v_ashrrev_i32_e32 v12, 31, v12
	v_and_b32_e32 v20, v20, v24
	v_xor_b32_e32 v24, vcc_hi, v12
	v_xor_b32_e32 v12, vcc_lo, v12
	v_and_b32_e32 v4, v4, v12
	v_lshlrev_b32_e32 v12, 26, v3
	v_cmp_gt_i64_e32 vcc, 0, v[11:12]
	v_not_b32_e32 v12, v12
	v_ashrrev_i32_e32 v12, 31, v12
	v_and_b32_e32 v20, v20, v24
	v_xor_b32_e32 v24, vcc_hi, v12
	v_xor_b32_e32 v12, vcc_lo, v12
	v_and_b32_e32 v4, v4, v12
	v_lshlrev_b32_e32 v12, 25, v3
	v_cmp_gt_i64_e32 vcc, 0, v[11:12]
	v_not_b32_e32 v12, v12
	v_ashrrev_i32_e32 v12, 31, v12
	v_and_b32_e32 v20, v20, v24
	v_xor_b32_e32 v24, vcc_hi, v12
	v_xor_b32_e32 v12, vcc_lo, v12
	v_and_b32_e32 v20, v20, v24
	v_and_b32_e32 v24, v4, v12
	v_lshlrev_b32_e32 v12, 24, v3
	v_cmp_gt_i64_e32 vcc, 0, v[11:12]
	v_not_b32_e32 v3, v12
	v_ashrrev_i32_e32 v3, 31, v3
	v_xor_b32_e32 v4, vcc_hi, v3
	v_xor_b32_e32 v3, vcc_lo, v3
	ds_read_b32 v23, v33 offset:32
	v_and_b32_e32 v3, v24, v3
	v_and_b32_e32 v4, v20, v4
	v_mbcnt_lo_u32_b32 v11, v3, 0
	v_mbcnt_hi_u32_b32 v24, v4, v11
	v_cmp_ne_u64_e32 vcc, 0, v[3:4]
	v_cmp_eq_u32_e64 s[24:25], 0, v24
	s_and_b64 s[28:29], vcc, s[24:25]
	; wave barrier
	s_and_saveexec_b64 s[24:25], s[28:29]
	s_cbranch_execz .LBB878_25
; %bb.24:
	v_bcnt_u32_b32 v3, v3, 0
	v_bcnt_u32_b32 v3, v4, v3
	s_waitcnt lgkmcnt(0)
	v_add_u32_e32 v3, v23, v3
	ds_write_b32 v33, v3 offset:32
.LBB878_25:
	s_or_b64 exec, exec, s[24:25]
	v_xor_b32_e32 v11, 0x80000000, v5
	v_lshrrev_b32_e32 v3, s48, v11
	v_and_b32_e32 v5, s57, v3
	v_mul_lo_u32 v3, v5, 36
	v_and_b32_e32 v4, 1, v5
	v_add_co_u32_e32 v12, vcc, -1, v4
	v_addc_co_u32_e64 v20, s[24:25], 0, -1, vcc
	v_cmp_ne_u32_e32 vcc, 0, v4
	v_xor_b32_e32 v4, vcc_hi, v20
	v_add_u32_e32 v37, v39, v3
	v_mov_b32_e32 v3, 0
	v_and_b32_e32 v20, exec_hi, v4
	v_lshlrev_b32_e32 v4, 30, v5
	v_xor_b32_e32 v12, vcc_lo, v12
	v_cmp_gt_i64_e32 vcc, 0, v[3:4]
	v_not_b32_e32 v4, v4
	v_ashrrev_i32_e32 v4, 31, v4
	v_and_b32_e32 v12, exec_lo, v12
	v_xor_b32_e32 v26, vcc_hi, v4
	v_xor_b32_e32 v4, vcc_lo, v4
	v_and_b32_e32 v12, v12, v4
	v_lshlrev_b32_e32 v4, 29, v5
	v_cmp_gt_i64_e32 vcc, 0, v[3:4]
	v_not_b32_e32 v4, v4
	v_ashrrev_i32_e32 v4, 31, v4
	v_and_b32_e32 v20, v20, v26
	v_xor_b32_e32 v26, vcc_hi, v4
	v_xor_b32_e32 v4, vcc_lo, v4
	v_and_b32_e32 v12, v12, v4
	v_lshlrev_b32_e32 v4, 28, v5
	v_cmp_gt_i64_e32 vcc, 0, v[3:4]
	v_not_b32_e32 v4, v4
	v_ashrrev_i32_e32 v4, 31, v4
	v_and_b32_e32 v20, v20, v26
	;; [unrolled: 8-line block ×5, first 2 shown]
	v_xor_b32_e32 v26, vcc_hi, v4
	v_xor_b32_e32 v4, vcc_lo, v4
	v_and_b32_e32 v12, v12, v4
	v_lshlrev_b32_e32 v4, 24, v5
	v_cmp_gt_i64_e32 vcc, 0, v[3:4]
	v_not_b32_e32 v4, v4
	v_ashrrev_i32_e32 v4, 31, v4
	v_xor_b32_e32 v5, vcc_hi, v4
	v_xor_b32_e32 v4, vcc_lo, v4
	; wave barrier
	ds_read_b32 v25, v37 offset:32
	v_and_b32_e32 v20, v20, v26
	v_and_b32_e32 v4, v12, v4
	;; [unrolled: 1-line block ×3, first 2 shown]
	v_mbcnt_lo_u32_b32 v12, v4, 0
	v_mbcnt_hi_u32_b32 v26, v5, v12
	v_cmp_ne_u64_e32 vcc, 0, v[4:5]
	v_cmp_eq_u32_e64 s[24:25], 0, v26
	s_and_b64 s[28:29], vcc, s[24:25]
	; wave barrier
	s_and_saveexec_b64 s[24:25], s[28:29]
	s_cbranch_execz .LBB878_27
; %bb.26:
	v_bcnt_u32_b32 v4, v4, 0
	v_bcnt_u32_b32 v4, v5, v4
	s_waitcnt lgkmcnt(0)
	v_add_u32_e32 v4, v25, v4
	ds_write_b32 v37, v4 offset:32
.LBB878_27:
	s_or_b64 exec, exec, s[24:25]
	v_xor_b32_e32 v12, 0x80000000, v6
	v_lshrrev_b32_e32 v4, s48, v12
	v_and_b32_e32 v5, s57, v4
	v_mul_lo_u32 v4, v5, 36
	v_and_b32_e32 v6, 1, v5
	; wave barrier
	v_add_u32_e32 v40, v39, v4
	v_add_co_u32_e32 v4, vcc, -1, v6
	v_addc_co_u32_e64 v20, s[24:25], 0, -1, vcc
	v_cmp_ne_u32_e32 vcc, 0, v6
	v_xor_b32_e32 v4, vcc_lo, v4
	v_xor_b32_e32 v6, vcc_hi, v20
	v_and_b32_e32 v20, exec_lo, v4
	v_lshlrev_b32_e32 v4, 30, v5
	v_cmp_gt_i64_e32 vcc, 0, v[3:4]
	v_not_b32_e32 v4, v4
	v_ashrrev_i32_e32 v4, 31, v4
	v_xor_b32_e32 v28, vcc_hi, v4
	v_xor_b32_e32 v4, vcc_lo, v4
	v_and_b32_e32 v20, v20, v4
	v_lshlrev_b32_e32 v4, 29, v5
	v_cmp_gt_i64_e32 vcc, 0, v[3:4]
	v_not_b32_e32 v4, v4
	v_and_b32_e32 v6, exec_hi, v6
	v_ashrrev_i32_e32 v4, 31, v4
	v_and_b32_e32 v6, v6, v28
	v_xor_b32_e32 v28, vcc_hi, v4
	v_xor_b32_e32 v4, vcc_lo, v4
	v_and_b32_e32 v20, v20, v4
	v_lshlrev_b32_e32 v4, 28, v5
	v_cmp_gt_i64_e32 vcc, 0, v[3:4]
	v_not_b32_e32 v4, v4
	v_ashrrev_i32_e32 v4, 31, v4
	v_and_b32_e32 v6, v6, v28
	v_xor_b32_e32 v28, vcc_hi, v4
	v_xor_b32_e32 v4, vcc_lo, v4
	v_and_b32_e32 v20, v20, v4
	v_lshlrev_b32_e32 v4, 27, v5
	v_cmp_gt_i64_e32 vcc, 0, v[3:4]
	v_not_b32_e32 v4, v4
	;; [unrolled: 8-line block ×5, first 2 shown]
	v_ashrrev_i32_e32 v3, 31, v3
	v_xor_b32_e32 v4, vcc_hi, v3
	v_xor_b32_e32 v3, vcc_lo, v3
	ds_read_b32 v27, v40 offset:32
	v_and_b32_e32 v6, v6, v28
	v_and_b32_e32 v3, v20, v3
	v_and_b32_e32 v4, v6, v4
	v_mbcnt_lo_u32_b32 v5, v3, 0
	v_mbcnt_hi_u32_b32 v28, v4, v5
	v_cmp_ne_u64_e32 vcc, 0, v[3:4]
	v_cmp_eq_u32_e64 s[24:25], 0, v28
	s_and_b64 s[28:29], vcc, s[24:25]
	; wave barrier
	s_and_saveexec_b64 s[24:25], s[28:29]
	s_cbranch_execz .LBB878_29
; %bb.28:
	v_bcnt_u32_b32 v3, v3, 0
	v_bcnt_u32_b32 v3, v4, v3
	s_waitcnt lgkmcnt(0)
	v_add_u32_e32 v3, v27, v3
	ds_write_b32 v40, v3 offset:32
.LBB878_29:
	s_or_b64 exec, exec, s[24:25]
	v_xor_b32_e32 v20, 0x80000000, v7
	v_lshrrev_b32_e32 v3, s48, v20
	v_and_b32_e32 v5, s57, v3
	v_mul_lo_u32 v3, v5, 36
	v_and_b32_e32 v4, 1, v5
	v_add_co_u32_e32 v6, vcc, -1, v4
	v_addc_co_u32_e64 v30, s[24:25], 0, -1, vcc
	v_cmp_ne_u32_e32 vcc, 0, v4
	v_xor_b32_e32 v4, vcc_hi, v30
	v_add_u32_e32 v7, v39, v3
	v_mov_b32_e32 v3, 0
	v_and_b32_e32 v30, exec_hi, v4
	v_lshlrev_b32_e32 v4, 30, v5
	v_xor_b32_e32 v6, vcc_lo, v6
	v_cmp_gt_i64_e32 vcc, 0, v[3:4]
	v_not_b32_e32 v4, v4
	v_ashrrev_i32_e32 v4, 31, v4
	v_and_b32_e32 v6, exec_lo, v6
	v_xor_b32_e32 v31, vcc_hi, v4
	v_xor_b32_e32 v4, vcc_lo, v4
	v_and_b32_e32 v6, v6, v4
	v_lshlrev_b32_e32 v4, 29, v5
	v_cmp_gt_i64_e32 vcc, 0, v[3:4]
	v_not_b32_e32 v4, v4
	v_ashrrev_i32_e32 v4, 31, v4
	v_and_b32_e32 v30, v30, v31
	v_xor_b32_e32 v31, vcc_hi, v4
	v_xor_b32_e32 v4, vcc_lo, v4
	v_and_b32_e32 v6, v6, v4
	v_lshlrev_b32_e32 v4, 28, v5
	v_cmp_gt_i64_e32 vcc, 0, v[3:4]
	v_not_b32_e32 v4, v4
	v_ashrrev_i32_e32 v4, 31, v4
	v_and_b32_e32 v30, v30, v31
	;; [unrolled: 8-line block ×5, first 2 shown]
	v_xor_b32_e32 v31, vcc_hi, v4
	v_xor_b32_e32 v4, vcc_lo, v4
	v_and_b32_e32 v6, v6, v4
	v_lshlrev_b32_e32 v4, 24, v5
	v_cmp_gt_i64_e32 vcc, 0, v[3:4]
	v_not_b32_e32 v4, v4
	v_ashrrev_i32_e32 v4, 31, v4
	v_xor_b32_e32 v5, vcc_hi, v4
	v_xor_b32_e32 v4, vcc_lo, v4
	; wave barrier
	ds_read_b32 v29, v7 offset:32
	v_and_b32_e32 v30, v30, v31
	v_and_b32_e32 v4, v6, v4
	;; [unrolled: 1-line block ×3, first 2 shown]
	v_mbcnt_lo_u32_b32 v6, v4, 0
	v_mbcnt_hi_u32_b32 v30, v5, v6
	v_cmp_ne_u64_e32 vcc, 0, v[4:5]
	v_cmp_eq_u32_e64 s[24:25], 0, v30
	s_and_b64 s[28:29], vcc, s[24:25]
	; wave barrier
	s_and_saveexec_b64 s[24:25], s[28:29]
	s_cbranch_execz .LBB878_31
; %bb.30:
	v_bcnt_u32_b32 v4, v4, 0
	v_bcnt_u32_b32 v4, v5, v4
	s_waitcnt lgkmcnt(0)
	v_add_u32_e32 v4, v29, v4
	ds_write_b32 v7, v4 offset:32
.LBB878_31:
	s_or_b64 exec, exec, s[24:25]
	v_xor_b32_e32 v35, 0x80000000, v8
	v_lshrrev_b32_e32 v4, s48, v35
	v_and_b32_e32 v5, s57, v4
	v_mul_lo_u32 v4, v5, 36
	v_and_b32_e32 v6, 1, v5
	; wave barrier
	v_add_u32_e32 v8, v39, v4
	v_add_co_u32_e32 v4, vcc, -1, v6
	v_addc_co_u32_e64 v34, s[24:25], 0, -1, vcc
	v_cmp_ne_u32_e32 vcc, 0, v6
	v_xor_b32_e32 v4, vcc_lo, v4
	v_xor_b32_e32 v6, vcc_hi, v34
	v_and_b32_e32 v34, exec_lo, v4
	v_lshlrev_b32_e32 v4, 30, v5
	v_cmp_gt_i64_e32 vcc, 0, v[3:4]
	v_not_b32_e32 v4, v4
	v_ashrrev_i32_e32 v4, 31, v4
	v_xor_b32_e32 v36, vcc_hi, v4
	v_xor_b32_e32 v4, vcc_lo, v4
	v_and_b32_e32 v34, v34, v4
	v_lshlrev_b32_e32 v4, 29, v5
	v_cmp_gt_i64_e32 vcc, 0, v[3:4]
	v_not_b32_e32 v4, v4
	v_and_b32_e32 v6, exec_hi, v6
	v_ashrrev_i32_e32 v4, 31, v4
	v_and_b32_e32 v6, v6, v36
	v_xor_b32_e32 v36, vcc_hi, v4
	v_xor_b32_e32 v4, vcc_lo, v4
	v_and_b32_e32 v34, v34, v4
	v_lshlrev_b32_e32 v4, 28, v5
	v_cmp_gt_i64_e32 vcc, 0, v[3:4]
	v_not_b32_e32 v4, v4
	v_ashrrev_i32_e32 v4, 31, v4
	v_and_b32_e32 v6, v6, v36
	v_xor_b32_e32 v36, vcc_hi, v4
	v_xor_b32_e32 v4, vcc_lo, v4
	v_and_b32_e32 v34, v34, v4
	v_lshlrev_b32_e32 v4, 27, v5
	v_cmp_gt_i64_e32 vcc, 0, v[3:4]
	v_not_b32_e32 v4, v4
	;; [unrolled: 8-line block ×5, first 2 shown]
	v_ashrrev_i32_e32 v3, 31, v3
	v_xor_b32_e32 v4, vcc_hi, v3
	v_xor_b32_e32 v3, vcc_lo, v3
	ds_read_b32 v31, v8 offset:32
	v_and_b32_e32 v6, v6, v36
	v_and_b32_e32 v3, v34, v3
	;; [unrolled: 1-line block ×3, first 2 shown]
	v_mbcnt_lo_u32_b32 v5, v3, 0
	v_mbcnt_hi_u32_b32 v34, v4, v5
	v_cmp_ne_u64_e32 vcc, 0, v[3:4]
	v_cmp_eq_u32_e64 s[24:25], 0, v34
	s_and_b64 s[28:29], vcc, s[24:25]
	; wave barrier
	s_and_saveexec_b64 s[24:25], s[28:29]
	s_cbranch_execz .LBB878_33
; %bb.32:
	v_bcnt_u32_b32 v3, v3, 0
	v_bcnt_u32_b32 v3, v4, v3
	s_waitcnt lgkmcnt(0)
	v_add_u32_e32 v3, v31, v3
	ds_write_b32 v8, v3 offset:32
.LBB878_33:
	s_or_b64 exec, exec, s[24:25]
	v_xor_b32_e32 v9, 0x80000000, v9
	v_lshrrev_b32_e32 v3, s48, v9
	v_and_b32_e32 v5, s57, v3
	v_mul_lo_u32 v3, v5, 36
	v_and_b32_e32 v4, 1, v5
	v_add_co_u32_e32 v6, vcc, -1, v4
	v_addc_co_u32_e64 v38, s[24:25], 0, -1, vcc
	v_cmp_ne_u32_e32 vcc, 0, v4
	v_xor_b32_e32 v4, vcc_hi, v38
	v_add_u32_e32 v46, v39, v3
	v_mov_b32_e32 v3, 0
	v_and_b32_e32 v38, exec_hi, v4
	v_lshlrev_b32_e32 v4, 30, v5
	v_xor_b32_e32 v6, vcc_lo, v6
	v_cmp_gt_i64_e32 vcc, 0, v[3:4]
	v_not_b32_e32 v4, v4
	v_ashrrev_i32_e32 v4, 31, v4
	v_and_b32_e32 v6, exec_lo, v6
	v_xor_b32_e32 v41, vcc_hi, v4
	v_xor_b32_e32 v4, vcc_lo, v4
	v_and_b32_e32 v6, v6, v4
	v_lshlrev_b32_e32 v4, 29, v5
	v_cmp_gt_i64_e32 vcc, 0, v[3:4]
	v_not_b32_e32 v4, v4
	v_ashrrev_i32_e32 v4, 31, v4
	v_and_b32_e32 v38, v38, v41
	v_xor_b32_e32 v41, vcc_hi, v4
	v_xor_b32_e32 v4, vcc_lo, v4
	v_and_b32_e32 v6, v6, v4
	v_lshlrev_b32_e32 v4, 28, v5
	v_cmp_gt_i64_e32 vcc, 0, v[3:4]
	v_not_b32_e32 v4, v4
	v_ashrrev_i32_e32 v4, 31, v4
	v_and_b32_e32 v38, v38, v41
	;; [unrolled: 8-line block ×5, first 2 shown]
	v_xor_b32_e32 v41, vcc_hi, v4
	v_xor_b32_e32 v4, vcc_lo, v4
	v_and_b32_e32 v6, v6, v4
	v_lshlrev_b32_e32 v4, 24, v5
	v_cmp_gt_i64_e32 vcc, 0, v[3:4]
	v_not_b32_e32 v4, v4
	v_ashrrev_i32_e32 v4, 31, v4
	v_xor_b32_e32 v5, vcc_hi, v4
	v_xor_b32_e32 v4, vcc_lo, v4
	; wave barrier
	ds_read_b32 v36, v46 offset:32
	v_and_b32_e32 v38, v38, v41
	v_and_b32_e32 v4, v6, v4
	;; [unrolled: 1-line block ×3, first 2 shown]
	v_mbcnt_lo_u32_b32 v6, v4, 0
	v_mbcnt_hi_u32_b32 v38, v5, v6
	v_cmp_ne_u64_e32 vcc, 0, v[4:5]
	v_cmp_eq_u32_e64 s[24:25], 0, v38
	s_and_b64 s[28:29], vcc, s[24:25]
	; wave barrier
	s_and_saveexec_b64 s[24:25], s[28:29]
	s_cbranch_execz .LBB878_35
; %bb.34:
	v_bcnt_u32_b32 v4, v4, 0
	v_bcnt_u32_b32 v4, v5, v4
	s_waitcnt lgkmcnt(0)
	v_add_u32_e32 v4, v36, v4
	ds_write_b32 v46, v4 offset:32
.LBB878_35:
	s_or_b64 exec, exec, s[24:25]
	v_xor_b32_e32 v10, 0x80000000, v10
	v_lshrrev_b32_e32 v4, s48, v10
	v_and_b32_e32 v5, s57, v4
	v_mul_lo_u32 v4, v5, 36
	v_and_b32_e32 v6, 1, v5
	; wave barrier
	v_add_u32_e32 v47, v39, v4
	v_add_co_u32_e32 v4, vcc, -1, v6
	v_addc_co_u32_e64 v41, s[24:25], 0, -1, vcc
	v_cmp_ne_u32_e32 vcc, 0, v6
	v_xor_b32_e32 v4, vcc_lo, v4
	v_xor_b32_e32 v6, vcc_hi, v41
	v_and_b32_e32 v41, exec_lo, v4
	v_lshlrev_b32_e32 v4, 30, v5
	v_cmp_gt_i64_e32 vcc, 0, v[3:4]
	v_not_b32_e32 v4, v4
	v_ashrrev_i32_e32 v4, 31, v4
	v_xor_b32_e32 v42, vcc_hi, v4
	v_xor_b32_e32 v4, vcc_lo, v4
	v_and_b32_e32 v41, v41, v4
	v_lshlrev_b32_e32 v4, 29, v5
	v_cmp_gt_i64_e32 vcc, 0, v[3:4]
	v_not_b32_e32 v4, v4
	v_and_b32_e32 v6, exec_hi, v6
	v_ashrrev_i32_e32 v4, 31, v4
	v_and_b32_e32 v6, v6, v42
	v_xor_b32_e32 v42, vcc_hi, v4
	v_xor_b32_e32 v4, vcc_lo, v4
	v_and_b32_e32 v41, v41, v4
	v_lshlrev_b32_e32 v4, 28, v5
	v_cmp_gt_i64_e32 vcc, 0, v[3:4]
	v_not_b32_e32 v4, v4
	v_ashrrev_i32_e32 v4, 31, v4
	v_and_b32_e32 v6, v6, v42
	v_xor_b32_e32 v42, vcc_hi, v4
	v_xor_b32_e32 v4, vcc_lo, v4
	v_and_b32_e32 v41, v41, v4
	v_lshlrev_b32_e32 v4, 27, v5
	v_cmp_gt_i64_e32 vcc, 0, v[3:4]
	v_not_b32_e32 v4, v4
	;; [unrolled: 8-line block ×5, first 2 shown]
	v_ashrrev_i32_e32 v3, 31, v3
	v_xor_b32_e32 v4, vcc_hi, v3
	v_xor_b32_e32 v3, vcc_lo, v3
	ds_read_b32 v39, v47 offset:32
	v_and_b32_e32 v6, v6, v42
	v_and_b32_e32 v3, v41, v3
	;; [unrolled: 1-line block ×3, first 2 shown]
	v_mbcnt_lo_u32_b32 v5, v3, 0
	v_mbcnt_hi_u32_b32 v41, v4, v5
	v_cmp_ne_u64_e32 vcc, 0, v[3:4]
	v_cmp_eq_u32_e64 s[24:25], 0, v41
	s_and_b64 s[28:29], vcc, s[24:25]
	; wave barrier
	s_and_saveexec_b64 s[24:25], s[28:29]
	s_cbranch_execz .LBB878_37
; %bb.36:
	v_bcnt_u32_b32 v3, v3, 0
	v_bcnt_u32_b32 v3, v4, v3
	s_waitcnt lgkmcnt(0)
	v_add_u32_e32 v3, v39, v3
	ds_write_b32 v47, v3 offset:32
.LBB878_37:
	s_or_b64 exec, exec, s[24:25]
	; wave barrier
	s_waitcnt lgkmcnt(0)
	s_barrier
	ds_read2_b32 v[5:6], v18 offset0:8 offset1:9
	ds_read2_b32 v[3:4], v18 offset0:10 offset1:11
	ds_read_b32 v42, v18 offset:48
	s_waitcnt lgkmcnt(1)
	v_add3_u32 v43, v6, v5, v3
	s_waitcnt lgkmcnt(0)
	v_add3_u32 v42, v43, v4, v42
	v_and_b32_e32 v43, 15, v17
	v_cmp_ne_u32_e32 vcc, 0, v43
	v_mov_b32_dpp v44, v42 row_shr:1 row_mask:0xf bank_mask:0xf
	v_cndmask_b32_e32 v44, 0, v44, vcc
	v_add_u32_e32 v42, v44, v42
	v_cmp_lt_u32_e32 vcc, 1, v43
	s_nop 0
	v_mov_b32_dpp v44, v42 row_shr:2 row_mask:0xf bank_mask:0xf
	v_cndmask_b32_e32 v44, 0, v44, vcc
	v_add_u32_e32 v42, v42, v44
	v_cmp_lt_u32_e32 vcc, 3, v43
	s_nop 0
	;; [unrolled: 5-line block ×3, first 2 shown]
	v_mov_b32_dpp v44, v42 row_shr:8 row_mask:0xf bank_mask:0xf
	v_cndmask_b32_e32 v43, 0, v44, vcc
	v_add_u32_e32 v42, v42, v43
	v_bfe_i32 v44, v17, 4, 1
	v_cmp_lt_u32_e32 vcc, 31, v17
	v_mov_b32_dpp v43, v42 row_bcast:15 row_mask:0xf bank_mask:0xf
	v_and_b32_e32 v43, v44, v43
	v_add_u32_e32 v42, v42, v43
	v_or_b32_e32 v44, 63, v0
	s_nop 0
	v_mov_b32_dpp v43, v42 row_bcast:31 row_mask:0xf bank_mask:0xf
	v_cndmask_b32_e32 v43, 0, v43, vcc
	v_add_u32_e32 v42, v42, v43
	v_lshrrev_b32_e32 v43, 6, v0
	v_cmp_eq_u32_e32 vcc, v0, v44
	s_and_saveexec_b64 s[24:25], vcc
; %bb.38:
	v_lshlrev_b32_e32 v44, 2, v43
	ds_write_b32 v44, v42
; %bb.39:
	s_or_b64 exec, exec, s[24:25]
	v_cmp_gt_u32_e32 vcc, 8, v0
	s_waitcnt lgkmcnt(0)
	s_barrier
	s_and_saveexec_b64 s[28:29], vcc
	s_cbranch_execz .LBB878_41
; %bb.40:
	v_lshlrev_b32_e32 v44, 2, v0
	ds_read_b32 v45, v44
	v_and_b32_e32 v48, 7, v17
	v_cmp_ne_u32_e32 vcc, 0, v48
	v_cmp_lt_u32_e64 s[24:25], 1, v48
	s_waitcnt lgkmcnt(0)
	v_mov_b32_dpp v49, v45 row_shr:1 row_mask:0xf bank_mask:0xf
	v_cndmask_b32_e32 v49, 0, v49, vcc
	v_add_u32_e32 v45, v49, v45
	v_cmp_lt_u32_e32 vcc, 3, v48
	s_nop 0
	v_mov_b32_dpp v49, v45 row_shr:2 row_mask:0xf bank_mask:0xf
	v_cndmask_b32_e64 v49, 0, v49, s[24:25]
	v_add_u32_e32 v45, v45, v49
	s_nop 1
	v_mov_b32_dpp v49, v45 row_shr:4 row_mask:0xf bank_mask:0xf
	v_cndmask_b32_e32 v48, 0, v49, vcc
	v_add_u32_e32 v45, v45, v48
	ds_write_b32 v44, v45
.LBB878_41:
	s_or_b64 exec, exec, s[28:29]
	v_cmp_lt_u32_e32 vcc, 63, v0
	v_mov_b32_e32 v44, 0
	s_waitcnt lgkmcnt(0)
	s_barrier
	s_and_saveexec_b64 s[24:25], vcc
; %bb.42:
	v_lshl_add_u32 v43, v43, 2, -4
	ds_read_b32 v44, v43
; %bb.43:
	s_or_b64 exec, exec, s[24:25]
	v_subrev_co_u32_e32 v43, vcc, 1, v17
	v_and_b32_e32 v45, 64, v17
	v_cmp_lt_i32_e64 s[24:25], v43, v45
	v_cndmask_b32_e64 v17, v43, v17, s[24:25]
	s_waitcnt lgkmcnt(0)
	v_add_u32_e32 v42, v44, v42
	v_lshlrev_b32_e32 v17, 2, v17
	ds_bpermute_b32 v17, v17, v42
	s_movk_i32 s24, 0xff
	s_movk_i32 s28, 0x100
	v_cmp_lt_u32_e64 s[24:25], s24, v0
	s_waitcnt lgkmcnt(0)
	v_cndmask_b32_e32 v17, v17, v44, vcc
	v_cndmask_b32_e64 v17, v17, 0, s[26:27]
	v_add_u32_e32 v5, v17, v5
	v_add_u32_e32 v6, v5, v6
	v_add_u32_e32 v3, v6, v3
	v_add_u32_e32 v4, v3, v4
	ds_write2_b32 v18, v17, v5 offset0:8 offset1:9
	ds_write2_b32 v18, v6, v3 offset0:10 offset1:11
	ds_write_b32 v18, v4 offset:48
	s_waitcnt lgkmcnt(0)
	s_barrier
	ds_read_b32 v17, v32 offset:32
	ds_read_b32 v42, v33 offset:32
	;; [unrolled: 1-line block ×8, first 2 shown]
	v_cmp_gt_u32_e32 vcc, s28, v0
                                        ; implicit-def: $vgpr32
                                        ; implicit-def: $vgpr33
	s_and_saveexec_b64 s[50:51], vcc
	s_cbranch_execz .LBB878_47
; %bb.44:
	v_mul_u32_u24_e32 v3, 36, v0
	ds_read_b32 v32, v3 offset:32
	v_add_u32_e32 v4, 1, v0
	v_cmp_ne_u32_e64 s[28:29], s28, v4
	v_mov_b32_e32 v3, 0x1000
	s_and_saveexec_b64 s[52:53], s[28:29]
; %bb.45:
	v_mul_u32_u24_e32 v3, 36, v4
	ds_read_b32 v3, v3 offset:32
; %bb.46:
	s_or_b64 exec, exec, s[52:53]
	s_waitcnt lgkmcnt(0)
	v_sub_u32_e32 v33, v3, v32
.LBB878_47:
	s_or_b64 exec, exec, s[50:51]
	v_mov_b32_e32 v4, 0
	v_lshlrev_b32_e32 v37, 2, v0
	s_waitcnt lgkmcnt(0)
	s_barrier
	s_and_saveexec_b64 s[28:29], vcc
	s_cbranch_execz .LBB878_57
; %bb.48:
	v_lshl_add_u32 v3, s33, 8, v0
	v_lshlrev_b64 v[5:6], 2, v[3:4]
	v_mov_b32_e32 v18, s31
	v_add_co_u32_e32 v5, vcc, s30, v5
	v_addc_co_u32_e32 v6, vcc, v18, v6, vcc
	v_or_b32_e32 v3, 2.0, v33
	s_mov_b64 s[50:51], 0
	s_brev_b32 s58, -4
	s_mov_b32 s59, s33
	v_mov_b32_e32 v48, 0
	global_store_dword v[5:6], v3, off
                                        ; implicit-def: $sgpr52_sgpr53
	s_branch .LBB878_51
.LBB878_49:                             ;   in Loop: Header=BB878_51 Depth=1
	s_or_b64 exec, exec, s[54:55]
.LBB878_50:                             ;   in Loop: Header=BB878_51 Depth=1
	s_or_b64 exec, exec, s[52:53]
	v_and_b32_e32 v7, 0x3fffffff, v3
	v_add_u32_e32 v48, v7, v48
	v_cmp_gt_i32_e64 s[52:53], -2.0, v3
	s_and_b64 s[54:55], exec, s[52:53]
	s_or_b64 s[50:51], s[54:55], s[50:51]
	s_andn2_b64 exec, exec, s[50:51]
	s_cbranch_execz .LBB878_56
.LBB878_51:                             ; =>This Loop Header: Depth=1
                                        ;     Child Loop BB878_54 Depth 2
	s_or_b64 s[52:53], s[52:53], exec
	s_cmp_eq_u32 s59, 0
	s_cbranch_scc1 .LBB878_55
; %bb.52:                               ;   in Loop: Header=BB878_51 Depth=1
	s_add_i32 s59, s59, -1
	v_lshl_or_b32 v3, s59, 8, v0
	v_lshlrev_b64 v[7:8], 2, v[3:4]
	v_add_co_u32_e32 v7, vcc, s30, v7
	v_addc_co_u32_e32 v8, vcc, v18, v8, vcc
	global_load_dword v3, v[7:8], off glc
	s_waitcnt vmcnt(0)
	v_cmp_gt_u32_e32 vcc, 2.0, v3
	s_and_saveexec_b64 s[52:53], vcc
	s_cbranch_execz .LBB878_50
; %bb.53:                               ;   in Loop: Header=BB878_51 Depth=1
	s_mov_b64 s[54:55], 0
.LBB878_54:                             ;   Parent Loop BB878_51 Depth=1
                                        ; =>  This Inner Loop Header: Depth=2
	global_load_dword v3, v[7:8], off glc
	s_waitcnt vmcnt(0)
	v_cmp_lt_u32_e32 vcc, s58, v3
	s_or_b64 s[54:55], vcc, s[54:55]
	s_andn2_b64 exec, exec, s[54:55]
	s_cbranch_execnz .LBB878_54
	s_branch .LBB878_49
.LBB878_55:                             ;   in Loop: Header=BB878_51 Depth=1
                                        ; implicit-def: $sgpr59
	s_and_b64 s[54:55], exec, s[52:53]
	s_or_b64 s[50:51], s[54:55], s[50:51]
	s_andn2_b64 exec, exec, s[50:51]
	s_cbranch_execnz .LBB878_51
.LBB878_56:
	s_or_b64 exec, exec, s[50:51]
	v_add_u32_e32 v3, v48, v33
	v_or_b32_e32 v3, 0x80000000, v3
	global_store_dword v[5:6], v3, off
	global_load_dword v3, v37, s[44:45]
	v_sub_u32_e32 v4, v48, v32
	s_waitcnt vmcnt(0)
	v_add_u32_e32 v3, v4, v3
	ds_write_b32 v37, v3
.LBB878_57:
	s_or_b64 exec, exec, s[28:29]
	v_add_u32_e32 v48, v17, v19
	v_add3_u32 v5, v24, v23, v42
	v_add3_u32 v6, v26, v25, v43
	;; [unrolled: 1-line block ×7, first 2 shown]
	s_mov_b32 s52, 16
	s_mov_b32 s58, 0
	s_mov_b64 s[28:29], -1
	v_mov_b32_e32 v4, 0
	s_movk_i32 s53, 0x200
	s_movk_i32 s54, 0x400
	;; [unrolled: 1-line block ×3, first 2 shown]
	v_mov_b32_e32 v49, v48
	v_mov_b32_e32 v50, v0
	s_branch .LBB878_59
.LBB878_58:                             ;   in Loop: Header=BB878_59 Depth=1
	s_or_b64 exec, exec, s[50:51]
	s_xor_b64 s[50:51], s[28:29], -1
	v_add_u32_e32 v50, 0x800, v50
	v_add_u32_e32 v19, 0xfffff800, v19
	;; [unrolled: 1-line block ×9, first 2 shown]
	s_mov_b64 s[28:29], 0
	s_and_b64 vcc, exec, s[50:51]
	s_mov_b32 s58, s52
	s_waitcnt vmcnt(0)
	s_barrier
	s_cbranch_vccnz .LBB878_67
.LBB878_59:                             ; =>This Inner Loop Header: Depth=1
	v_min_u32_e32 v3, 0x800, v49
	v_lshlrev_b32_e32 v3, 2, v3
	ds_write_b32 v3, v16 offset:1024
	v_min_u32_e32 v3, 0x800, v5
	v_lshlrev_b32_e32 v3, 2, v3
	ds_write_b32 v3, v13 offset:1024
	;; [unrolled: 3-line block ×7, first 2 shown]
	v_min_u32_e32 v3, 0x800, v19
	v_lshlrev_b32_e32 v3, 2, v3
	v_cmp_gt_u32_e32 vcc, s7, v50
	ds_write_b32 v3, v10 offset:1024
	s_waitcnt lgkmcnt(0)
	s_barrier
	s_and_saveexec_b64 s[50:51], vcc
	s_cbranch_execz .LBB878_61
; %bb.60:                               ;   in Loop: Header=BB878_59 Depth=1
	ds_read_b32 v3, v37 offset:1024
	v_mov_b32_e32 v54, s39
	v_mov_b32_e32 v55, s58
	s_waitcnt lgkmcnt(0)
	v_lshrrev_b32_e32 v51, s48, v3
	v_and_b32_e32 v53, s57, v51
	v_lshlrev_b32_e32 v51, 2, v53
	ds_read_b32 v51, v51
	v_xor_b32_e32 v56, 0x80000000, v3
	buffer_store_dword v53, v55, s[0:3], 0 offen
	s_waitcnt lgkmcnt(0)
	v_add_u32_e32 v3, v50, v51
	v_lshlrev_b64 v[51:52], 2, v[3:4]
	v_add_co_u32_e32 v51, vcc, s38, v51
	v_addc_co_u32_e32 v52, vcc, v54, v52, vcc
	global_store_dword v[51:52], v56, off
.LBB878_61:                             ;   in Loop: Header=BB878_59 Depth=1
	s_or_b64 exec, exec, s[50:51]
	v_add_u32_e32 v3, 0x200, v50
	v_cmp_gt_u32_e32 vcc, s7, v3
	s_and_saveexec_b64 s[50:51], vcc
	s_cbranch_execz .LBB878_63
; %bb.62:                               ;   in Loop: Header=BB878_59 Depth=1
	ds_read_b32 v3, v37 offset:3072
	v_mov_b32_e32 v54, s39
	v_mov_b32_e32 v55, s58
	s_waitcnt lgkmcnt(0)
	v_lshrrev_b32_e32 v51, s48, v3
	v_and_b32_e32 v53, s57, v51
	v_lshlrev_b32_e32 v51, 2, v53
	ds_read_b32 v51, v51
	v_xor_b32_e32 v56, 0x80000000, v3
	buffer_store_dword v53, v55, s[0:3], 0 offen offset:4
	s_waitcnt lgkmcnt(0)
	v_add3_u32 v3, v50, v51, s53
	v_lshlrev_b64 v[51:52], 2, v[3:4]
	v_add_co_u32_e32 v51, vcc, s38, v51
	v_addc_co_u32_e32 v52, vcc, v54, v52, vcc
	global_store_dword v[51:52], v56, off
.LBB878_63:                             ;   in Loop: Header=BB878_59 Depth=1
	s_or_b64 exec, exec, s[50:51]
	v_add_u32_e32 v3, 0x400, v50
	v_cmp_gt_u32_e32 vcc, s7, v3
	s_and_saveexec_b64 s[50:51], vcc
	s_cbranch_execz .LBB878_65
; %bb.64:                               ;   in Loop: Header=BB878_59 Depth=1
	ds_read_b32 v3, v37 offset:5120
	v_mov_b32_e32 v54, s39
	v_mov_b32_e32 v55, s58
	s_waitcnt lgkmcnt(0)
	v_lshrrev_b32_e32 v51, s48, v3
	v_and_b32_e32 v53, s57, v51
	v_lshlrev_b32_e32 v51, 2, v53
	ds_read_b32 v51, v51
	v_xor_b32_e32 v56, 0x80000000, v3
	buffer_store_dword v53, v55, s[0:3], 0 offen offset:8
	s_waitcnt lgkmcnt(0)
	v_add3_u32 v3, v50, v51, s54
	v_lshlrev_b64 v[51:52], 2, v[3:4]
	v_add_co_u32_e32 v51, vcc, s38, v51
	v_addc_co_u32_e32 v52, vcc, v54, v52, vcc
	global_store_dword v[51:52], v56, off
.LBB878_65:                             ;   in Loop: Header=BB878_59 Depth=1
	s_or_b64 exec, exec, s[50:51]
	v_add_u32_e32 v3, 0x600, v50
	v_cmp_gt_u32_e32 vcc, s7, v3
	s_and_saveexec_b64 s[50:51], vcc
	s_cbranch_execz .LBB878_58
; %bb.66:                               ;   in Loop: Header=BB878_59 Depth=1
	ds_read_b32 v3, v37 offset:7168
	v_mov_b32_e32 v54, s39
	v_mov_b32_e32 v55, s58
	s_waitcnt lgkmcnt(0)
	v_lshrrev_b32_e32 v51, s48, v3
	v_and_b32_e32 v53, s57, v51
	v_lshlrev_b32_e32 v51, 2, v53
	ds_read_b32 v51, v51
	v_xor_b32_e32 v56, 0x80000000, v3
	buffer_store_dword v53, v55, s[0:3], 0 offen offset:12
	s_waitcnt lgkmcnt(0)
	v_add3_u32 v3, v50, v51, s55
	v_lshlrev_b64 v[51:52], 2, v[3:4]
	v_add_co_u32_e32 v51, vcc, s38, v51
	v_addc_co_u32_e32 v52, vcc, v54, v52, vcc
	global_store_dword v[51:52], v56, off
	s_branch .LBB878_58
.LBB878_67:
	s_lshl_b64 s[28:29], s[34:35], 3
	s_add_u32 s28, s40, s28
	s_addc_u32 s29, s41, s29
	v_lshlrev_b32_e32 v3, 3, v15
	v_mov_b32_e32 v4, s29
	v_add_co_u32_e32 v3, vcc, s28, v3
	v_addc_co_u32_e32 v4, vcc, 0, v4, vcc
	v_lshlrev_b32_e32 v5, 3, v14
	v_add_co_u32_e32 v19, vcc, v3, v5
	v_addc_co_u32_e32 v20, vcc, 0, v4, vcc
                                        ; implicit-def: $vgpr3_vgpr4
	s_and_saveexec_b64 s[28:29], s[8:9]
	s_cbranch_execz .LBB878_75
; %bb.68:
	global_load_dwordx2 v[3:4], v[19:20], off
	s_or_b64 exec, exec, s[28:29]
                                        ; implicit-def: $vgpr5_vgpr6
	s_and_saveexec_b64 s[8:9], s[10:11]
	s_cbranch_execnz .LBB878_76
.LBB878_69:
	s_or_b64 exec, exec, s[8:9]
                                        ; implicit-def: $vgpr7_vgpr8
	s_and_saveexec_b64 s[8:9], s[12:13]
	s_cbranch_execz .LBB878_77
.LBB878_70:
	global_load_dwordx2 v[7:8], v[19:20], off offset:1024
	s_or_b64 exec, exec, s[8:9]
                                        ; implicit-def: $vgpr9_vgpr10
	s_and_saveexec_b64 s[8:9], s[14:15]
	s_cbranch_execnz .LBB878_78
.LBB878_71:
	s_or_b64 exec, exec, s[8:9]
                                        ; implicit-def: $vgpr11_vgpr12
	s_and_saveexec_b64 s[8:9], s[16:17]
	s_cbranch_execz .LBB878_79
.LBB878_72:
	global_load_dwordx2 v[11:12], v[19:20], off offset:2048
	s_or_b64 exec, exec, s[8:9]
                                        ; implicit-def: $vgpr13_vgpr14
	s_and_saveexec_b64 s[8:9], s[18:19]
	s_cbranch_execnz .LBB878_80
.LBB878_73:
	s_or_b64 exec, exec, s[8:9]
                                        ; implicit-def: $vgpr15_vgpr16
	s_and_saveexec_b64 s[8:9], s[20:21]
	s_cbranch_execz .LBB878_81
.LBB878_74:
	global_load_dwordx2 v[15:16], v[19:20], off offset:3072
	s_or_b64 exec, exec, s[8:9]
                                        ; implicit-def: $vgpr17_vgpr18
	s_and_saveexec_b64 s[8:9], s[22:23]
	s_cbranch_execnz .LBB878_82
	s_branch .LBB878_83
.LBB878_75:
	s_or_b64 exec, exec, s[28:29]
                                        ; implicit-def: $vgpr5_vgpr6
	s_and_saveexec_b64 s[8:9], s[10:11]
	s_cbranch_execz .LBB878_69
.LBB878_76:
	global_load_dwordx2 v[5:6], v[19:20], off offset:512
	s_or_b64 exec, exec, s[8:9]
                                        ; implicit-def: $vgpr7_vgpr8
	s_and_saveexec_b64 s[8:9], s[12:13]
	s_cbranch_execnz .LBB878_70
.LBB878_77:
	s_or_b64 exec, exec, s[8:9]
                                        ; implicit-def: $vgpr9_vgpr10
	s_and_saveexec_b64 s[8:9], s[14:15]
	s_cbranch_execz .LBB878_71
.LBB878_78:
	global_load_dwordx2 v[9:10], v[19:20], off offset:1536
	s_or_b64 exec, exec, s[8:9]
                                        ; implicit-def: $vgpr11_vgpr12
	s_and_saveexec_b64 s[8:9], s[16:17]
	s_cbranch_execnz .LBB878_72
.LBB878_79:
	s_or_b64 exec, exec, s[8:9]
                                        ; implicit-def: $vgpr13_vgpr14
	s_and_saveexec_b64 s[8:9], s[18:19]
	s_cbranch_execz .LBB878_73
.LBB878_80:
	global_load_dwordx2 v[13:14], v[19:20], off offset:2560
	s_or_b64 exec, exec, s[8:9]
                                        ; implicit-def: $vgpr15_vgpr16
	s_and_saveexec_b64 s[8:9], s[20:21]
	s_cbranch_execnz .LBB878_74
.LBB878_81:
	s_or_b64 exec, exec, s[8:9]
                                        ; implicit-def: $vgpr17_vgpr18
	s_and_saveexec_b64 s[8:9], s[22:23]
	s_cbranch_execz .LBB878_83
.LBB878_82:
	global_load_dwordx2 v[17:18], v[19:20], off offset:3584
.LBB878_83:
	s_or_b64 exec, exec, s[8:9]
	v_add3_u32 v35, v41, v47, v39
	v_add3_u32 v36, v38, v46, v36
	;; [unrolled: 1-line block ×7, first 2 shown]
	s_mov_b32 s10, 0
	s_mov_b32 s11, 0
	v_mov_b32_e32 v20, 0
	s_movk_i32 s12, 0x200
	v_mov_b32_e32 v24, v0
	s_branch .LBB878_85
.LBB878_84:                             ;   in Loop: Header=BB878_85 Depth=1
	s_or_b64 exec, exec, s[8:9]
	s_addk_i32 s11, 0xfc00
	s_add_i32 s10, s10, 8
	s_cmpk_eq_i32 s11, 0xf000
	v_add_u32_e32 v24, 0x400, v24
	s_waitcnt vmcnt(0)
	s_barrier
	s_cbranch_scc1 .LBB878_89
.LBB878_85:                             ; =>This Inner Loop Header: Depth=1
	v_add_u32_e32 v19, s11, v48
	v_min_u32_e32 v19, 0x400, v19
	v_lshlrev_b32_e32 v19, 3, v19
	s_waitcnt vmcnt(0)
	ds_write_b64 v19, v[3:4] offset:1024
	v_add_u32_e32 v19, s11, v23
	v_min_u32_e32 v19, 0x400, v19
	v_lshlrev_b32_e32 v19, 3, v19
	ds_write_b64 v19, v[5:6] offset:1024
	v_add_u32_e32 v19, s11, v25
	v_min_u32_e32 v19, 0x400, v19
	v_lshlrev_b32_e32 v19, 3, v19
	;; [unrolled: 4-line block ×7, first 2 shown]
	v_cmp_gt_u32_e32 vcc, s7, v24
	ds_write_b64 v19, v[17:18] offset:1024
	s_waitcnt lgkmcnt(0)
	s_barrier
	s_and_saveexec_b64 s[8:9], vcc
	s_cbranch_execz .LBB878_87
; %bb.86:                               ;   in Loop: Header=BB878_85 Depth=1
	v_mov_b32_e32 v19, s10
	buffer_load_dword v19, v19, s[0:3], 0 offen
	v_mov_b32_e32 v26, s43
	s_waitcnt vmcnt(0)
	v_lshlrev_b32_e32 v19, 2, v19
	ds_read_b32 v19, v19
	ds_read_b64 v[38:39], v21 offset:1024
	s_waitcnt lgkmcnt(1)
	v_add_u32_e32 v19, v24, v19
	v_lshlrev_b64 v[40:41], 3, v[19:20]
	v_add_co_u32_e32 v40, vcc, s42, v40
	v_addc_co_u32_e32 v41, vcc, v26, v41, vcc
	s_waitcnt lgkmcnt(0)
	global_store_dwordx2 v[40:41], v[38:39], off
.LBB878_87:                             ;   in Loop: Header=BB878_85 Depth=1
	s_or_b64 exec, exec, s[8:9]
	v_add_u32_e32 v19, 0x200, v24
	v_cmp_gt_u32_e32 vcc, s7, v19
	s_and_saveexec_b64 s[8:9], vcc
	s_cbranch_execz .LBB878_84
; %bb.88:                               ;   in Loop: Header=BB878_85 Depth=1
	v_mov_b32_e32 v19, s10
	buffer_load_dword v19, v19, s[0:3], 0 offen offset:4
	v_mov_b32_e32 v26, s43
	s_waitcnt vmcnt(0)
	v_lshlrev_b32_e32 v19, 2, v19
	ds_read_b32 v19, v19
	ds_read_b64 v[38:39], v21 offset:5120
	s_waitcnt lgkmcnt(1)
	v_add3_u32 v19, v24, v19, s12
	v_lshlrev_b64 v[40:41], 3, v[19:20]
	v_add_co_u32_e32 v40, vcc, s42, v40
	v_addc_co_u32_e32 v41, vcc, v26, v41, vcc
	s_waitcnt lgkmcnt(0)
	global_store_dwordx2 v[40:41], v[38:39], off
	s_branch .LBB878_84
.LBB878_89:
	s_add_i32 s56, s56, -1
	s_cmp_eq_u32 s33, s56
	s_cselect_b64 s[8:9], -1, 0
	s_xor_b64 s[10:11], s[24:25], -1
	s_and_b64 s[10:11], s[10:11], s[8:9]
	s_and_saveexec_b64 s[8:9], s[10:11]
	s_cbranch_execz .LBB878_91
; %bb.90:
	ds_read_b32 v3, v37
	s_waitcnt lgkmcnt(0)
	v_add3_u32 v3, v32, v33, v3
	global_store_dword v37, v3, s[46:47]
.LBB878_91:
	s_or_b64 exec, exec, s[8:9]
	s_mov_b64 s[8:9], 0
.LBB878_92:
	s_and_b64 vcc, exec, s[8:9]
	s_cbranch_vccz .LBB878_135
; %bb.93:
	s_lshl_b32 s8, s33, 12
	s_mov_b32 s9, 0
	s_lshl_b64 s[10:11], s[8:9], 2
	v_mbcnt_hi_u32_b32 v5, -1, v22
	s_add_u32 s7, s36, s10
	v_and_b32_e32 v8, 63, v5
	s_addc_u32 s10, s37, s11
	v_lshlrev_b32_e32 v3, 2, v8
	v_and_b32_e32 v7, 0xe00, v21
	v_mov_b32_e32 v4, s10
	v_add_co_u32_e32 v3, vcc, s7, v3
	v_addc_co_u32_e32 v4, vcc, 0, v4, vcc
	v_lshlrev_b32_e32 v6, 2, v7
	v_add_co_u32_e32 v12, vcc, v3, v6
	v_addc_co_u32_e32 v13, vcc, 0, v4, vcc
	global_load_dword v4, v[12:13], off
	s_load_dword s7, s[4:5], 0x64
	s_load_dword s16, s[4:5], 0x58
	s_add_u32 s4, s4, 0x58
	s_addc_u32 s5, s5, 0
	v_mov_b32_e32 v3, 0
	s_waitcnt lgkmcnt(0)
	s_lshr_b32 s10, s7, 16
	s_cmp_lt_u32 s6, s16
	s_cselect_b32 s6, 12, 18
	s_add_u32 s4, s4, s6
	s_addc_u32 s5, s5, 0
	global_load_ushort v6, v3, s[4:5]
	global_load_dword v10, v[12:13], off offset:256
	global_load_dword v11, v[12:13], off offset:512
	;; [unrolled: 1-line block ×7, first 2 shown]
	s_lshl_b32 s4, -1, s49
	s_not_b32 s17, s4
	v_mad_u32_u24 v1, v2, s10, v1
	s_waitcnt vmcnt(8)
	v_xor_b32_e32 v9, 0x80000000, v4
	v_lshrrev_b32_e32 v4, s48, v9
	v_and_b32_e32 v15, s17, v4
	v_and_b32_e32 v12, 1, v15
	v_lshlrev_b32_e32 v4, 30, v15
	v_cmp_ne_u32_e32 vcc, 0, v12
	v_add_co_u32_e64 v12, s[6:7], -1, v12
	v_cmp_gt_i64_e64 s[4:5], 0, v[3:4]
	v_addc_co_u32_e64 v13, s[6:7], 0, -1, s[6:7]
	v_not_b32_e32 v16, v4
	v_lshlrev_b32_e32 v4, 29, v15
	v_xor_b32_e32 v13, vcc_hi, v13
	v_ashrrev_i32_e32 v16, 31, v16
	v_xor_b32_e32 v12, vcc_lo, v12
	v_cmp_gt_i64_e32 vcc, 0, v[3:4]
	v_not_b32_e32 v18, v4
	v_lshlrev_b32_e32 v4, 28, v15
	v_and_b32_e32 v13, exec_hi, v13
	v_xor_b32_e32 v19, s5, v16
	v_and_b32_e32 v12, exec_lo, v12
	v_xor_b32_e32 v16, s4, v16
	v_ashrrev_i32_e32 v18, 31, v18
	v_cmp_gt_i64_e64 s[4:5], 0, v[3:4]
	v_not_b32_e32 v20, v4
	v_lshlrev_b32_e32 v4, 27, v15
	v_and_b32_e32 v13, v13, v19
	v_and_b32_e32 v12, v12, v16
	v_xor_b32_e32 v16, vcc_hi, v18
	v_xor_b32_e32 v18, vcc_lo, v18
	v_ashrrev_i32_e32 v19, 31, v20
	v_cmp_gt_i64_e32 vcc, 0, v[3:4]
	v_not_b32_e32 v20, v4
	v_lshlrev_b32_e32 v4, 26, v15
	v_and_b32_e32 v13, v13, v16
	v_and_b32_e32 v12, v12, v18
	v_xor_b32_e32 v16, s5, v19
	v_xor_b32_e32 v18, s4, v19
	v_ashrrev_i32_e32 v19, 31, v20
	v_cmp_gt_i64_e64 s[4:5], 0, v[3:4]
	v_not_b32_e32 v20, v4
	v_lshlrev_b32_e32 v4, 25, v15
	v_and_b32_e32 v13, v13, v16
	v_and_b32_e32 v12, v12, v18
	v_xor_b32_e32 v16, vcc_hi, v19
	v_xor_b32_e32 v18, vcc_lo, v19
	v_ashrrev_i32_e32 v19, 31, v20
	v_cmp_gt_i64_e32 vcc, 0, v[3:4]
	v_not_b32_e32 v4, v4
	v_and_b32_e32 v13, v13, v16
	v_and_b32_e32 v12, v12, v18
	v_xor_b32_e32 v16, s5, v19
	v_xor_b32_e32 v18, s4, v19
	v_ashrrev_i32_e32 v4, 31, v4
	v_and_b32_e32 v13, v13, v16
	v_and_b32_e32 v12, v12, v18
	v_xor_b32_e32 v16, vcc_hi, v4
	v_xor_b32_e32 v4, vcc_lo, v4
	v_and_b32_e32 v18, v12, v4
	v_lshlrev_b32_e32 v4, 24, v15
	v_cmp_gt_i64_e32 vcc, 0, v[3:4]
	v_not_b32_e32 v4, v4
	v_and_b32_e32 v16, v13, v16
	v_ashrrev_i32_e32 v4, 31, v4
	s_waitcnt vmcnt(7)
	v_mad_u64_u32 v[12:13], s[4:5], v1, v6, v[0:1]
	v_xor_b32_e32 v19, vcc_hi, v4
	v_xor_b32_e32 v1, vcc_lo, v4
	v_mul_lo_u32 v4, v15, 36
	v_and_b32_e32 v1, v18, v1
	v_lshrrev_b32_e32 v27, 6, v12
	v_and_b32_e32 v2, v16, v19
	v_lshl_add_u32 v18, v27, 2, v4
	v_mbcnt_lo_u32_b32 v4, v1, 0
	v_mbcnt_hi_u32_b32 v12, v2, v4
	v_cmp_ne_u64_e32 vcc, 0, v[1:2]
	v_cmp_eq_u32_e64 s[4:5], 0, v12
	v_mul_u32_u24_e32 v6, 20, v0
	s_and_b64 s[6:7], vcc, s[4:5]
	ds_write2_b32 v6, v3, v3 offset0:8 offset1:9
	ds_write2_b32 v6, v3, v3 offset0:10 offset1:11
	ds_write_b32 v6, v3 offset:48
	s_waitcnt vmcnt(0) lgkmcnt(0)
	s_barrier
	; wave barrier
	s_and_saveexec_b64 s[4:5], s[6:7]
; %bb.94:
	v_bcnt_u32_b32 v1, v1, 0
	v_bcnt_u32_b32 v1, v2, v1
	ds_write_b32 v18, v1 offset:32
; %bb.95:
	s_or_b64 exec, exec, s[4:5]
	v_xor_b32_e32 v10, 0x80000000, v10
	v_lshrrev_b32_e32 v1, s48, v10
	v_and_b32_e32 v1, s17, v1
	v_mul_lo_u32 v2, v1, 36
	v_and_b32_e32 v4, 1, v1
	; wave barrier
	v_lshl_add_u32 v19, v27, 2, v2
	v_add_co_u32_e32 v2, vcc, -1, v4
	v_addc_co_u32_e64 v15, s[4:5], 0, -1, vcc
	v_cmp_ne_u32_e32 vcc, 0, v4
	v_xor_b32_e32 v4, vcc_hi, v15
	v_and_b32_e32 v15, exec_hi, v4
	v_lshlrev_b32_e32 v4, 30, v1
	v_xor_b32_e32 v2, vcc_lo, v2
	v_cmp_gt_i64_e32 vcc, 0, v[3:4]
	v_not_b32_e32 v4, v4
	v_ashrrev_i32_e32 v4, 31, v4
	v_and_b32_e32 v2, exec_lo, v2
	v_xor_b32_e32 v16, vcc_hi, v4
	v_xor_b32_e32 v4, vcc_lo, v4
	v_and_b32_e32 v2, v2, v4
	v_lshlrev_b32_e32 v4, 29, v1
	v_cmp_gt_i64_e32 vcc, 0, v[3:4]
	v_not_b32_e32 v4, v4
	v_ashrrev_i32_e32 v4, 31, v4
	v_and_b32_e32 v15, v15, v16
	v_xor_b32_e32 v16, vcc_hi, v4
	v_xor_b32_e32 v4, vcc_lo, v4
	v_and_b32_e32 v2, v2, v4
	v_lshlrev_b32_e32 v4, 28, v1
	v_cmp_gt_i64_e32 vcc, 0, v[3:4]
	v_not_b32_e32 v4, v4
	v_ashrrev_i32_e32 v4, 31, v4
	v_and_b32_e32 v15, v15, v16
	;; [unrolled: 8-line block ×5, first 2 shown]
	v_xor_b32_e32 v16, vcc_hi, v4
	v_xor_b32_e32 v4, vcc_lo, v4
	v_and_b32_e32 v15, v15, v16
	v_and_b32_e32 v16, v2, v4
	v_lshlrev_b32_e32 v4, 24, v1
	v_cmp_gt_i64_e32 vcc, 0, v[3:4]
	v_not_b32_e32 v1, v4
	v_ashrrev_i32_e32 v1, 31, v1
	v_xor_b32_e32 v2, vcc_hi, v1
	v_xor_b32_e32 v1, vcc_lo, v1
	ds_read_b32 v13, v19 offset:32
	v_and_b32_e32 v1, v16, v1
	v_and_b32_e32 v2, v15, v2
	v_mbcnt_lo_u32_b32 v3, v1, 0
	v_mbcnt_hi_u32_b32 v15, v2, v3
	v_cmp_ne_u64_e32 vcc, 0, v[1:2]
	v_cmp_eq_u32_e64 s[4:5], 0, v15
	s_and_b64 s[6:7], vcc, s[4:5]
	; wave barrier
	s_and_saveexec_b64 s[4:5], s[6:7]
	s_cbranch_execz .LBB878_97
; %bb.96:
	v_bcnt_u32_b32 v1, v1, 0
	v_bcnt_u32_b32 v1, v2, v1
	s_waitcnt lgkmcnt(0)
	v_add_u32_e32 v1, v13, v1
	ds_write_b32 v19, v1 offset:32
.LBB878_97:
	s_or_b64 exec, exec, s[4:5]
	v_xor_b32_e32 v11, 0x80000000, v11
	v_lshrrev_b32_e32 v1, s48, v11
	v_and_b32_e32 v3, s17, v1
	v_mul_lo_u32 v1, v3, 36
	v_and_b32_e32 v2, 1, v3
	v_add_co_u32_e32 v4, vcc, -1, v2
	v_addc_co_u32_e64 v20, s[4:5], 0, -1, vcc
	v_cmp_ne_u32_e32 vcc, 0, v2
	v_xor_b32_e32 v2, vcc_hi, v20
	v_lshl_add_u32 v25, v27, 2, v1
	v_mov_b32_e32 v1, 0
	v_and_b32_e32 v20, exec_hi, v2
	v_lshlrev_b32_e32 v2, 30, v3
	v_xor_b32_e32 v4, vcc_lo, v4
	v_cmp_gt_i64_e32 vcc, 0, v[1:2]
	v_not_b32_e32 v2, v2
	v_ashrrev_i32_e32 v2, 31, v2
	v_and_b32_e32 v4, exec_lo, v4
	v_xor_b32_e32 v22, vcc_hi, v2
	v_xor_b32_e32 v2, vcc_lo, v2
	v_and_b32_e32 v4, v4, v2
	v_lshlrev_b32_e32 v2, 29, v3
	v_cmp_gt_i64_e32 vcc, 0, v[1:2]
	v_not_b32_e32 v2, v2
	v_ashrrev_i32_e32 v2, 31, v2
	v_and_b32_e32 v20, v20, v22
	v_xor_b32_e32 v22, vcc_hi, v2
	v_xor_b32_e32 v2, vcc_lo, v2
	v_and_b32_e32 v4, v4, v2
	v_lshlrev_b32_e32 v2, 28, v3
	v_cmp_gt_i64_e32 vcc, 0, v[1:2]
	v_not_b32_e32 v2, v2
	v_ashrrev_i32_e32 v2, 31, v2
	v_and_b32_e32 v20, v20, v22
	;; [unrolled: 8-line block ×5, first 2 shown]
	v_xor_b32_e32 v22, vcc_hi, v2
	v_xor_b32_e32 v2, vcc_lo, v2
	v_and_b32_e32 v4, v4, v2
	v_lshlrev_b32_e32 v2, 24, v3
	v_cmp_gt_i64_e32 vcc, 0, v[1:2]
	v_not_b32_e32 v2, v2
	v_ashrrev_i32_e32 v2, 31, v2
	v_xor_b32_e32 v3, vcc_hi, v2
	v_xor_b32_e32 v2, vcc_lo, v2
	; wave barrier
	ds_read_b32 v16, v25 offset:32
	v_and_b32_e32 v20, v20, v22
	v_and_b32_e32 v2, v4, v2
	;; [unrolled: 1-line block ×3, first 2 shown]
	v_mbcnt_lo_u32_b32 v4, v2, 0
	v_mbcnt_hi_u32_b32 v20, v3, v4
	v_cmp_ne_u64_e32 vcc, 0, v[2:3]
	v_cmp_eq_u32_e64 s[4:5], 0, v20
	s_and_b64 s[6:7], vcc, s[4:5]
	; wave barrier
	s_and_saveexec_b64 s[4:5], s[6:7]
	s_cbranch_execz .LBB878_99
; %bb.98:
	v_bcnt_u32_b32 v2, v2, 0
	v_bcnt_u32_b32 v2, v3, v2
	s_waitcnt lgkmcnt(0)
	v_add_u32_e32 v2, v16, v2
	ds_write_b32 v25, v2 offset:32
.LBB878_99:
	s_or_b64 exec, exec, s[4:5]
	v_xor_b32_e32 v14, 0x80000000, v14
	v_lshrrev_b32_e32 v2, s48, v14
	v_and_b32_e32 v3, s17, v2
	v_mul_lo_u32 v2, v3, 36
	v_and_b32_e32 v4, 1, v3
	; wave barrier
	v_lshl_add_u32 v30, v27, 2, v2
	v_add_co_u32_e32 v2, vcc, -1, v4
	v_addc_co_u32_e64 v26, s[4:5], 0, -1, vcc
	v_cmp_ne_u32_e32 vcc, 0, v4
	v_xor_b32_e32 v2, vcc_lo, v2
	v_xor_b32_e32 v4, vcc_hi, v26
	v_and_b32_e32 v26, exec_lo, v2
	v_lshlrev_b32_e32 v2, 30, v3
	v_cmp_gt_i64_e32 vcc, 0, v[1:2]
	v_not_b32_e32 v2, v2
	v_ashrrev_i32_e32 v2, 31, v2
	v_xor_b32_e32 v28, vcc_hi, v2
	v_xor_b32_e32 v2, vcc_lo, v2
	v_and_b32_e32 v26, v26, v2
	v_lshlrev_b32_e32 v2, 29, v3
	v_cmp_gt_i64_e32 vcc, 0, v[1:2]
	v_not_b32_e32 v2, v2
	v_and_b32_e32 v4, exec_hi, v4
	v_ashrrev_i32_e32 v2, 31, v2
	v_and_b32_e32 v4, v4, v28
	v_xor_b32_e32 v28, vcc_hi, v2
	v_xor_b32_e32 v2, vcc_lo, v2
	v_and_b32_e32 v26, v26, v2
	v_lshlrev_b32_e32 v2, 28, v3
	v_cmp_gt_i64_e32 vcc, 0, v[1:2]
	v_not_b32_e32 v2, v2
	v_ashrrev_i32_e32 v2, 31, v2
	v_and_b32_e32 v4, v4, v28
	v_xor_b32_e32 v28, vcc_hi, v2
	v_xor_b32_e32 v2, vcc_lo, v2
	v_and_b32_e32 v26, v26, v2
	v_lshlrev_b32_e32 v2, 27, v3
	v_cmp_gt_i64_e32 vcc, 0, v[1:2]
	v_not_b32_e32 v2, v2
	;; [unrolled: 8-line block ×5, first 2 shown]
	v_ashrrev_i32_e32 v1, 31, v1
	v_xor_b32_e32 v2, vcc_hi, v1
	v_xor_b32_e32 v1, vcc_lo, v1
	ds_read_b32 v22, v30 offset:32
	v_and_b32_e32 v4, v4, v28
	v_and_b32_e32 v1, v26, v1
	;; [unrolled: 1-line block ×3, first 2 shown]
	v_mbcnt_lo_u32_b32 v3, v1, 0
	v_mbcnt_hi_u32_b32 v26, v2, v3
	v_cmp_ne_u64_e32 vcc, 0, v[1:2]
	v_cmp_eq_u32_e64 s[4:5], 0, v26
	s_and_b64 s[6:7], vcc, s[4:5]
	; wave barrier
	s_and_saveexec_b64 s[4:5], s[6:7]
	s_cbranch_execz .LBB878_101
; %bb.100:
	v_bcnt_u32_b32 v1, v1, 0
	v_bcnt_u32_b32 v1, v2, v1
	s_waitcnt lgkmcnt(0)
	v_add_u32_e32 v1, v22, v1
	ds_write_b32 v30, v1 offset:32
.LBB878_101:
	s_or_b64 exec, exec, s[4:5]
	v_xor_b32_e32 v17, 0x80000000, v17
	v_lshrrev_b32_e32 v1, s48, v17
	v_and_b32_e32 v3, s17, v1
	v_mul_lo_u32 v1, v3, 36
	v_and_b32_e32 v2, 1, v3
	v_add_co_u32_e32 v4, vcc, -1, v2
	v_addc_co_u32_e64 v31, s[4:5], 0, -1, vcc
	v_cmp_ne_u32_e32 vcc, 0, v2
	v_xor_b32_e32 v2, vcc_hi, v31
	v_lshl_add_u32 v34, v27, 2, v1
	v_mov_b32_e32 v1, 0
	v_and_b32_e32 v31, exec_hi, v2
	v_lshlrev_b32_e32 v2, 30, v3
	v_xor_b32_e32 v4, vcc_lo, v4
	v_cmp_gt_i64_e32 vcc, 0, v[1:2]
	v_not_b32_e32 v2, v2
	v_ashrrev_i32_e32 v2, 31, v2
	v_and_b32_e32 v4, exec_lo, v4
	v_xor_b32_e32 v32, vcc_hi, v2
	v_xor_b32_e32 v2, vcc_lo, v2
	v_and_b32_e32 v4, v4, v2
	v_lshlrev_b32_e32 v2, 29, v3
	v_cmp_gt_i64_e32 vcc, 0, v[1:2]
	v_not_b32_e32 v2, v2
	v_ashrrev_i32_e32 v2, 31, v2
	v_and_b32_e32 v31, v31, v32
	v_xor_b32_e32 v32, vcc_hi, v2
	v_xor_b32_e32 v2, vcc_lo, v2
	v_and_b32_e32 v4, v4, v2
	v_lshlrev_b32_e32 v2, 28, v3
	v_cmp_gt_i64_e32 vcc, 0, v[1:2]
	v_not_b32_e32 v2, v2
	v_ashrrev_i32_e32 v2, 31, v2
	v_and_b32_e32 v31, v31, v32
	;; [unrolled: 8-line block ×5, first 2 shown]
	v_xor_b32_e32 v32, vcc_hi, v2
	v_xor_b32_e32 v2, vcc_lo, v2
	v_and_b32_e32 v4, v4, v2
	v_lshlrev_b32_e32 v2, 24, v3
	v_cmp_gt_i64_e32 vcc, 0, v[1:2]
	v_not_b32_e32 v2, v2
	v_ashrrev_i32_e32 v2, 31, v2
	v_xor_b32_e32 v3, vcc_hi, v2
	v_xor_b32_e32 v2, vcc_lo, v2
	; wave barrier
	ds_read_b32 v28, v34 offset:32
	v_and_b32_e32 v31, v31, v32
	v_and_b32_e32 v2, v4, v2
	;; [unrolled: 1-line block ×3, first 2 shown]
	v_mbcnt_lo_u32_b32 v4, v2, 0
	v_mbcnt_hi_u32_b32 v31, v3, v4
	v_cmp_ne_u64_e32 vcc, 0, v[2:3]
	v_cmp_eq_u32_e64 s[4:5], 0, v31
	s_and_b64 s[6:7], vcc, s[4:5]
	; wave barrier
	s_and_saveexec_b64 s[4:5], s[6:7]
	s_cbranch_execz .LBB878_103
; %bb.102:
	v_bcnt_u32_b32 v2, v2, 0
	v_bcnt_u32_b32 v2, v3, v2
	s_waitcnt lgkmcnt(0)
	v_add_u32_e32 v2, v28, v2
	ds_write_b32 v34, v2 offset:32
.LBB878_103:
	s_or_b64 exec, exec, s[4:5]
	v_xor_b32_e32 v23, 0x80000000, v23
	v_lshrrev_b32_e32 v2, s48, v23
	v_and_b32_e32 v3, s17, v2
	v_mul_lo_u32 v2, v3, 36
	v_and_b32_e32 v4, 1, v3
	; wave barrier
	v_lshl_add_u32 v37, v27, 2, v2
	v_add_co_u32_e32 v2, vcc, -1, v4
	v_addc_co_u32_e64 v33, s[4:5], 0, -1, vcc
	v_cmp_ne_u32_e32 vcc, 0, v4
	v_xor_b32_e32 v2, vcc_lo, v2
	v_xor_b32_e32 v4, vcc_hi, v33
	v_and_b32_e32 v33, exec_lo, v2
	v_lshlrev_b32_e32 v2, 30, v3
	v_cmp_gt_i64_e32 vcc, 0, v[1:2]
	v_not_b32_e32 v2, v2
	v_ashrrev_i32_e32 v2, 31, v2
	v_xor_b32_e32 v35, vcc_hi, v2
	v_xor_b32_e32 v2, vcc_lo, v2
	v_and_b32_e32 v33, v33, v2
	v_lshlrev_b32_e32 v2, 29, v3
	v_cmp_gt_i64_e32 vcc, 0, v[1:2]
	v_not_b32_e32 v2, v2
	v_and_b32_e32 v4, exec_hi, v4
	v_ashrrev_i32_e32 v2, 31, v2
	v_and_b32_e32 v4, v4, v35
	v_xor_b32_e32 v35, vcc_hi, v2
	v_xor_b32_e32 v2, vcc_lo, v2
	v_and_b32_e32 v33, v33, v2
	v_lshlrev_b32_e32 v2, 28, v3
	v_cmp_gt_i64_e32 vcc, 0, v[1:2]
	v_not_b32_e32 v2, v2
	v_ashrrev_i32_e32 v2, 31, v2
	v_and_b32_e32 v4, v4, v35
	v_xor_b32_e32 v35, vcc_hi, v2
	v_xor_b32_e32 v2, vcc_lo, v2
	v_and_b32_e32 v33, v33, v2
	v_lshlrev_b32_e32 v2, 27, v3
	v_cmp_gt_i64_e32 vcc, 0, v[1:2]
	v_not_b32_e32 v2, v2
	v_ashrrev_i32_e32 v2, 31, v2
	v_and_b32_e32 v4, v4, v35
	v_xor_b32_e32 v35, vcc_hi, v2
	v_xor_b32_e32 v2, vcc_lo, v2
	v_and_b32_e32 v33, v33, v2
	v_lshlrev_b32_e32 v2, 26, v3
	v_cmp_gt_i64_e32 vcc, 0, v[1:2]
	v_not_b32_e32 v2, v2
	v_ashrrev_i32_e32 v2, 31, v2
	v_and_b32_e32 v4, v4, v35
	v_xor_b32_e32 v35, vcc_hi, v2
	v_xor_b32_e32 v2, vcc_lo, v2
	v_and_b32_e32 v33, v33, v2
	v_lshlrev_b32_e32 v2, 25, v3
	v_cmp_gt_i64_e32 vcc, 0, v[1:2]
	v_not_b32_e32 v2, v2
	v_ashrrev_i32_e32 v2, 31, v2
	v_and_b32_e32 v4, v4, v35
	v_xor_b32_e32 v35, vcc_hi, v2
	v_xor_b32_e32 v2, vcc_lo, v2
	v_and_b32_e32 v33, v33, v2
	v_lshlrev_b32_e32 v2, 24, v3
	v_cmp_gt_i64_e32 vcc, 0, v[1:2]
	v_not_b32_e32 v1, v2
	v_ashrrev_i32_e32 v1, 31, v1
	v_xor_b32_e32 v2, vcc_hi, v1
	v_xor_b32_e32 v1, vcc_lo, v1
	ds_read_b32 v32, v37 offset:32
	v_and_b32_e32 v4, v4, v35
	v_and_b32_e32 v1, v33, v1
	v_and_b32_e32 v2, v4, v2
	v_mbcnt_lo_u32_b32 v3, v1, 0
	v_mbcnt_hi_u32_b32 v35, v2, v3
	v_cmp_ne_u64_e32 vcc, 0, v[1:2]
	v_cmp_eq_u32_e64 s[4:5], 0, v35
	s_and_b64 s[6:7], vcc, s[4:5]
	; wave barrier
	s_and_saveexec_b64 s[4:5], s[6:7]
	s_cbranch_execz .LBB878_105
; %bb.104:
	v_bcnt_u32_b32 v1, v1, 0
	v_bcnt_u32_b32 v1, v2, v1
	s_waitcnt lgkmcnt(0)
	v_add_u32_e32 v1, v32, v1
	ds_write_b32 v37, v1 offset:32
.LBB878_105:
	s_or_b64 exec, exec, s[4:5]
	v_xor_b32_e32 v29, 0x80000000, v29
	v_lshrrev_b32_e32 v1, s48, v29
	v_and_b32_e32 v3, s17, v1
	v_mul_lo_u32 v1, v3, 36
	v_and_b32_e32 v2, 1, v3
	v_add_co_u32_e32 v4, vcc, -1, v2
	v_addc_co_u32_e64 v33, s[4:5], 0, -1, vcc
	v_cmp_ne_u32_e32 vcc, 0, v2
	v_xor_b32_e32 v2, vcc_hi, v33
	v_lshl_add_u32 v39, v27, 2, v1
	v_mov_b32_e32 v1, 0
	v_and_b32_e32 v33, exec_hi, v2
	v_lshlrev_b32_e32 v2, 30, v3
	v_xor_b32_e32 v4, vcc_lo, v4
	v_cmp_gt_i64_e32 vcc, 0, v[1:2]
	v_not_b32_e32 v2, v2
	v_ashrrev_i32_e32 v2, 31, v2
	v_and_b32_e32 v4, exec_lo, v4
	v_xor_b32_e32 v38, vcc_hi, v2
	v_xor_b32_e32 v2, vcc_lo, v2
	v_and_b32_e32 v4, v4, v2
	v_lshlrev_b32_e32 v2, 29, v3
	v_cmp_gt_i64_e32 vcc, 0, v[1:2]
	v_not_b32_e32 v2, v2
	v_ashrrev_i32_e32 v2, 31, v2
	v_and_b32_e32 v33, v33, v38
	v_xor_b32_e32 v38, vcc_hi, v2
	v_xor_b32_e32 v2, vcc_lo, v2
	v_and_b32_e32 v4, v4, v2
	v_lshlrev_b32_e32 v2, 28, v3
	v_cmp_gt_i64_e32 vcc, 0, v[1:2]
	v_not_b32_e32 v2, v2
	v_ashrrev_i32_e32 v2, 31, v2
	v_and_b32_e32 v33, v33, v38
	;; [unrolled: 8-line block ×5, first 2 shown]
	v_xor_b32_e32 v38, vcc_hi, v2
	v_xor_b32_e32 v2, vcc_lo, v2
	v_and_b32_e32 v4, v4, v2
	v_lshlrev_b32_e32 v2, 24, v3
	v_cmp_gt_i64_e32 vcc, 0, v[1:2]
	v_not_b32_e32 v2, v2
	v_ashrrev_i32_e32 v2, 31, v2
	v_xor_b32_e32 v3, vcc_hi, v2
	v_xor_b32_e32 v2, vcc_lo, v2
	; wave barrier
	ds_read_b32 v36, v39 offset:32
	v_and_b32_e32 v33, v33, v38
	v_and_b32_e32 v2, v4, v2
	;; [unrolled: 1-line block ×3, first 2 shown]
	v_mbcnt_lo_u32_b32 v4, v2, 0
	v_mbcnt_hi_u32_b32 v38, v3, v4
	v_cmp_ne_u64_e32 vcc, 0, v[2:3]
	v_cmp_eq_u32_e64 s[4:5], 0, v38
	s_and_b64 s[6:7], vcc, s[4:5]
	; wave barrier
	s_and_saveexec_b64 s[4:5], s[6:7]
	s_cbranch_execz .LBB878_107
; %bb.106:
	v_bcnt_u32_b32 v2, v2, 0
	v_bcnt_u32_b32 v2, v3, v2
	s_waitcnt lgkmcnt(0)
	v_add_u32_e32 v2, v36, v2
	ds_write_b32 v39, v2 offset:32
.LBB878_107:
	s_or_b64 exec, exec, s[4:5]
	v_xor_b32_e32 v33, 0x80000000, v24
	v_lshrrev_b32_e32 v2, s48, v33
	v_and_b32_e32 v3, s17, v2
	v_mul_lo_u32 v2, v3, 36
	v_and_b32_e32 v4, 1, v3
	; wave barrier
	v_lshl_add_u32 v41, v27, 2, v2
	v_add_co_u32_e32 v2, vcc, -1, v4
	v_addc_co_u32_e64 v24, s[4:5], 0, -1, vcc
	v_cmp_ne_u32_e32 vcc, 0, v4
	v_xor_b32_e32 v2, vcc_lo, v2
	v_xor_b32_e32 v4, vcc_hi, v24
	v_and_b32_e32 v24, exec_lo, v2
	v_lshlrev_b32_e32 v2, 30, v3
	v_cmp_gt_i64_e32 vcc, 0, v[1:2]
	v_not_b32_e32 v2, v2
	v_ashrrev_i32_e32 v2, 31, v2
	v_xor_b32_e32 v40, vcc_hi, v2
	v_xor_b32_e32 v2, vcc_lo, v2
	v_and_b32_e32 v24, v24, v2
	v_lshlrev_b32_e32 v2, 29, v3
	v_cmp_gt_i64_e32 vcc, 0, v[1:2]
	v_not_b32_e32 v2, v2
	v_and_b32_e32 v4, exec_hi, v4
	v_ashrrev_i32_e32 v2, 31, v2
	v_and_b32_e32 v4, v4, v40
	v_xor_b32_e32 v40, vcc_hi, v2
	v_xor_b32_e32 v2, vcc_lo, v2
	v_and_b32_e32 v24, v24, v2
	v_lshlrev_b32_e32 v2, 28, v3
	v_cmp_gt_i64_e32 vcc, 0, v[1:2]
	v_not_b32_e32 v2, v2
	v_ashrrev_i32_e32 v2, 31, v2
	v_and_b32_e32 v4, v4, v40
	v_xor_b32_e32 v40, vcc_hi, v2
	v_xor_b32_e32 v2, vcc_lo, v2
	v_and_b32_e32 v24, v24, v2
	v_lshlrev_b32_e32 v2, 27, v3
	v_cmp_gt_i64_e32 vcc, 0, v[1:2]
	v_not_b32_e32 v2, v2
	;; [unrolled: 8-line block ×5, first 2 shown]
	v_ashrrev_i32_e32 v1, 31, v1
	v_xor_b32_e32 v2, vcc_hi, v1
	v_xor_b32_e32 v1, vcc_lo, v1
	ds_read_b32 v27, v41 offset:32
	v_and_b32_e32 v4, v4, v40
	v_and_b32_e32 v1, v24, v1
	v_and_b32_e32 v2, v4, v2
	v_mbcnt_lo_u32_b32 v3, v1, 0
	v_mbcnt_hi_u32_b32 v40, v2, v3
	v_cmp_ne_u64_e32 vcc, 0, v[1:2]
	v_cmp_eq_u32_e64 s[4:5], 0, v40
	s_and_b64 s[6:7], vcc, s[4:5]
	; wave barrier
	s_and_saveexec_b64 s[4:5], s[6:7]
	s_cbranch_execz .LBB878_109
; %bb.108:
	v_bcnt_u32_b32 v1, v1, 0
	v_bcnt_u32_b32 v1, v2, v1
	s_waitcnt lgkmcnt(0)
	v_add_u32_e32 v1, v27, v1
	ds_write_b32 v41, v1 offset:32
.LBB878_109:
	s_or_b64 exec, exec, s[4:5]
	; wave barrier
	s_waitcnt lgkmcnt(0)
	s_barrier
	ds_read2_b32 v[3:4], v6 offset0:8 offset1:9
	ds_read2_b32 v[1:2], v6 offset0:10 offset1:11
	ds_read_b32 v24, v6 offset:48
	s_waitcnt lgkmcnt(1)
	v_add3_u32 v42, v4, v3, v1
	s_waitcnt lgkmcnt(0)
	v_add3_u32 v24, v42, v2, v24
	v_and_b32_e32 v42, 15, v5
	v_cmp_ne_u32_e32 vcc, 0, v42
	v_mov_b32_dpp v43, v24 row_shr:1 row_mask:0xf bank_mask:0xf
	v_cndmask_b32_e32 v43, 0, v43, vcc
	v_add_u32_e32 v24, v43, v24
	v_cmp_lt_u32_e32 vcc, 1, v42
	s_nop 0
	v_mov_b32_dpp v43, v24 row_shr:2 row_mask:0xf bank_mask:0xf
	v_cndmask_b32_e32 v43, 0, v43, vcc
	v_add_u32_e32 v24, v24, v43
	v_cmp_lt_u32_e32 vcc, 3, v42
	s_nop 0
	;; [unrolled: 5-line block ×3, first 2 shown]
	v_mov_b32_dpp v43, v24 row_shr:8 row_mask:0xf bank_mask:0xf
	v_cndmask_b32_e32 v42, 0, v43, vcc
	v_add_u32_e32 v24, v24, v42
	v_bfe_i32 v43, v5, 4, 1
	v_cmp_lt_u32_e32 vcc, 31, v5
	v_mov_b32_dpp v42, v24 row_bcast:15 row_mask:0xf bank_mask:0xf
	v_and_b32_e32 v42, v43, v42
	v_add_u32_e32 v24, v24, v42
	v_lshrrev_b32_e32 v43, 6, v0
	s_nop 0
	v_mov_b32_dpp v42, v24 row_bcast:31 row_mask:0xf bank_mask:0xf
	v_cndmask_b32_e32 v42, 0, v42, vcc
	v_add_u32_e32 v42, v24, v42
	v_or_b32_e32 v24, 63, v0
	v_cmp_eq_u32_e32 vcc, v0, v24
	s_and_saveexec_b64 s[4:5], vcc
; %bb.110:
	v_lshlrev_b32_e32 v24, 2, v43
	ds_write_b32 v24, v42
; %bb.111:
	s_or_b64 exec, exec, s[4:5]
	v_cmp_gt_u32_e32 vcc, 8, v0
	v_lshlrev_b32_e32 v24, 2, v0
	s_waitcnt lgkmcnt(0)
	s_barrier
	s_and_saveexec_b64 s[4:5], vcc
	s_cbranch_execz .LBB878_113
; %bb.112:
	ds_read_b32 v44, v24
	v_and_b32_e32 v45, 7, v5
	v_cmp_ne_u32_e32 vcc, 0, v45
	s_waitcnt lgkmcnt(0)
	v_mov_b32_dpp v46, v44 row_shr:1 row_mask:0xf bank_mask:0xf
	v_cndmask_b32_e32 v46, 0, v46, vcc
	v_add_u32_e32 v44, v46, v44
	v_cmp_lt_u32_e32 vcc, 1, v45
	s_nop 0
	v_mov_b32_dpp v46, v44 row_shr:2 row_mask:0xf bank_mask:0xf
	v_cndmask_b32_e32 v46, 0, v46, vcc
	v_add_u32_e32 v44, v44, v46
	v_cmp_lt_u32_e32 vcc, 3, v45
	s_nop 0
	v_mov_b32_dpp v46, v44 row_shr:4 row_mask:0xf bank_mask:0xf
	v_cndmask_b32_e32 v45, 0, v46, vcc
	v_add_u32_e32 v44, v44, v45
	ds_write_b32 v24, v44
.LBB878_113:
	s_or_b64 exec, exec, s[4:5]
	v_cmp_lt_u32_e32 vcc, 63, v0
	v_mov_b32_e32 v44, 0
	s_waitcnt lgkmcnt(0)
	s_barrier
	s_and_saveexec_b64 s[4:5], vcc
; %bb.114:
	v_lshl_add_u32 v43, v43, 2, -4
	ds_read_b32 v44, v43
; %bb.115:
	s_or_b64 exec, exec, s[4:5]
	v_subrev_co_u32_e32 v43, vcc, 1, v5
	v_and_b32_e32 v45, 64, v5
	v_cmp_lt_i32_e64 s[4:5], v43, v45
	v_cndmask_b32_e64 v5, v43, v5, s[4:5]
	s_waitcnt lgkmcnt(0)
	v_add_u32_e32 v42, v44, v42
	v_lshlrev_b32_e32 v5, 2, v5
	ds_bpermute_b32 v5, v5, v42
	s_movk_i32 s4, 0xff
	s_movk_i32 s6, 0x100
	v_cmp_lt_u32_e64 s[4:5], s4, v0
	s_waitcnt lgkmcnt(0)
	v_cndmask_b32_e32 v5, v5, v44, vcc
	v_cndmask_b32_e64 v5, v5, 0, s[26:27]
	v_add_u32_e32 v3, v5, v3
	v_add_u32_e32 v4, v3, v4
	;; [unrolled: 1-line block ×4, first 2 shown]
	ds_write2_b32 v6, v5, v3 offset0:8 offset1:9
	ds_write2_b32 v6, v4, v1 offset0:10 offset1:11
	ds_write_b32 v6, v2 offset:48
	s_waitcnt lgkmcnt(0)
	s_barrier
	ds_read_b32 v45, v18 offset:32
	ds_read_b32 v18, v19 offset:32
	ds_read_b32 v42, v25 offset:32
	ds_read_b32 v43, v30 offset:32
	ds_read_b32 v44, v34 offset:32
	ds_read_b32 v37, v37 offset:32
	ds_read_b32 v34, v39 offset:32
	ds_read_b32 v39, v41 offset:32
	v_cmp_gt_u32_e32 vcc, s6, v0
                                        ; implicit-def: $vgpr19
                                        ; implicit-def: $vgpr25
	s_and_saveexec_b64 s[10:11], vcc
	s_cbranch_execz .LBB878_119
; %bb.116:
	v_mul_u32_u24_e32 v1, 36, v0
	ds_read_b32 v19, v1 offset:32
	v_add_u32_e32 v2, 1, v0
	v_cmp_ne_u32_e64 s[6:7], s6, v2
	v_mov_b32_e32 v1, 0x1000
	s_and_saveexec_b64 s[12:13], s[6:7]
; %bb.117:
	v_mul_u32_u24_e32 v1, 36, v2
	ds_read_b32 v1, v1 offset:32
; %bb.118:
	s_or_b64 exec, exec, s[12:13]
	s_waitcnt lgkmcnt(0)
	v_sub_u32_e32 v25, v1, v19
.LBB878_119:
	s_or_b64 exec, exec, s[10:11]
	v_mov_b32_e32 v2, 0
	s_waitcnt lgkmcnt(0)
	s_barrier
	s_and_saveexec_b64 s[6:7], vcc
	s_cbranch_execz .LBB878_129
; %bb.120:
	v_lshl_add_u32 v1, s33, 8, v0
	v_lshlrev_b64 v[3:4], 2, v[1:2]
	v_mov_b32_e32 v30, s31
	v_add_co_u32_e32 v3, vcc, s30, v3
	v_addc_co_u32_e32 v4, vcc, v30, v4, vcc
	v_or_b32_e32 v1, 2.0, v25
	s_mov_b64 s[10:11], 0
	s_brev_b32 s18, -4
	s_mov_b32 s19, s33
	v_mov_b32_e32 v41, 0
	global_store_dword v[3:4], v1, off
                                        ; implicit-def: $sgpr12_sgpr13
	s_branch .LBB878_123
.LBB878_121:                            ;   in Loop: Header=BB878_123 Depth=1
	s_or_b64 exec, exec, s[14:15]
.LBB878_122:                            ;   in Loop: Header=BB878_123 Depth=1
	s_or_b64 exec, exec, s[12:13]
	v_and_b32_e32 v5, 0x3fffffff, v1
	v_add_u32_e32 v41, v5, v41
	v_cmp_gt_i32_e64 s[12:13], -2.0, v1
	s_and_b64 s[14:15], exec, s[12:13]
	s_or_b64 s[10:11], s[14:15], s[10:11]
	s_andn2_b64 exec, exec, s[10:11]
	s_cbranch_execz .LBB878_128
.LBB878_123:                            ; =>This Loop Header: Depth=1
                                        ;     Child Loop BB878_126 Depth 2
	s_or_b64 s[12:13], s[12:13], exec
	s_cmp_eq_u32 s19, 0
	s_cbranch_scc1 .LBB878_127
; %bb.124:                              ;   in Loop: Header=BB878_123 Depth=1
	s_add_i32 s19, s19, -1
	v_lshl_or_b32 v1, s19, 8, v0
	v_lshlrev_b64 v[5:6], 2, v[1:2]
	v_add_co_u32_e32 v5, vcc, s30, v5
	v_addc_co_u32_e32 v6, vcc, v30, v6, vcc
	global_load_dword v1, v[5:6], off glc
	s_waitcnt vmcnt(0)
	v_cmp_gt_u32_e32 vcc, 2.0, v1
	s_and_saveexec_b64 s[12:13], vcc
	s_cbranch_execz .LBB878_122
; %bb.125:                              ;   in Loop: Header=BB878_123 Depth=1
	s_mov_b64 s[14:15], 0
.LBB878_126:                            ;   Parent Loop BB878_123 Depth=1
                                        ; =>  This Inner Loop Header: Depth=2
	global_load_dword v1, v[5:6], off glc
	s_waitcnt vmcnt(0)
	v_cmp_lt_u32_e32 vcc, s18, v1
	s_or_b64 s[14:15], vcc, s[14:15]
	s_andn2_b64 exec, exec, s[14:15]
	s_cbranch_execnz .LBB878_126
	s_branch .LBB878_121
.LBB878_127:                            ;   in Loop: Header=BB878_123 Depth=1
                                        ; implicit-def: $sgpr19
	s_and_b64 s[14:15], exec, s[12:13]
	s_or_b64 s[10:11], s[14:15], s[10:11]
	s_andn2_b64 exec, exec, s[10:11]
	s_cbranch_execnz .LBB878_123
.LBB878_128:
	s_or_b64 exec, exec, s[10:11]
	v_add_u32_e32 v1, v41, v25
	v_or_b32_e32 v1, 0x80000000, v1
	global_store_dword v[3:4], v1, off
	global_load_dword v1, v24, s[44:45]
	v_sub_u32_e32 v2, v41, v19
	s_waitcnt vmcnt(0)
	v_add_u32_e32 v1, v2, v1
	ds_write_b32 v24, v1
.LBB878_129:
	s_or_b64 exec, exec, s[6:7]
	v_add_u32_e32 v30, v45, v12
	s_mov_b32 s12, 16
	v_add3_u32 v27, v40, v39, v27
	v_add3_u32 v34, v38, v34, v36
	;; [unrolled: 1-line block ×7, first 2 shown]
	s_mov_b32 s19, 0
	s_mov_b64 s[10:11], -1
	s_mov_b32 s13, 0
	v_mov_b32_e32 v2, 0
	v_mov_b32_e32 v3, s39
	s_movk_i32 s14, 0x200
	s_movk_i32 s15, 0x400
	;; [unrolled: 1-line block ×3, first 2 shown]
	v_mov_b32_e32 v4, v0
.LBB878_130:                            ; =>This Inner Loop Header: Depth=1
	v_add_u32_e32 v1, s13, v30
	v_add_u32_e32 v5, s13, v26
	;; [unrolled: 1-line block ×8, first 2 shown]
	v_min_u32_e32 v1, 0x800, v1
	v_min_u32_e32 v5, 0x800, v5
	;; [unrolled: 1-line block ×8, first 2 shown]
	v_lshlrev_b32_e32 v1, 2, v1
	v_lshlrev_b32_e32 v5, 2, v5
	;; [unrolled: 1-line block ×8, first 2 shown]
	ds_write_b32 v1, v9 offset:1024
	ds_write_b32 v5, v10 offset:1024
	;; [unrolled: 1-line block ×8, first 2 shown]
	s_waitcnt lgkmcnt(0)
	s_barrier
	ds_read2st64_b32 v[5:6], v24 offset0:4 offset1:12
	ds_read2st64_b32 v[12:13], v24 offset0:20 offset1:28
	v_mov_b32_e32 v31, s19
	s_addk_i32 s13, 0xf800
	s_and_b64 vcc, exec, s[10:11]
	s_waitcnt lgkmcnt(1)
	v_lshrrev_b32_e32 v1, s48, v5
	v_xor_b32_e32 v18, 0x80000000, v5
	v_lshrrev_b32_e32 v5, s48, v6
	v_xor_b32_e32 v35, 0x80000000, v6
	s_waitcnt lgkmcnt(0)
	v_lshrrev_b32_e32 v6, s48, v12
	v_xor_b32_e32 v36, 0x80000000, v12
	v_lshrrev_b32_e32 v12, s48, v13
	v_and_b32_e32 v1, s17, v1
	v_and_b32_e32 v5, s17, v5
	;; [unrolled: 1-line block ×4, first 2 shown]
	v_xor_b32_e32 v37, 0x80000000, v13
	v_lshlrev_b32_e32 v13, 2, v1
	buffer_store_dword v1, v31, s[0:3], 0 offen
	buffer_store_dword v5, v31, s[0:3], 0 offen offset:4
	buffer_store_dword v6, v31, s[0:3], 0 offen offset:8
	;; [unrolled: 1-line block ×3, first 2 shown]
	v_lshlrev_b32_e32 v1, 2, v5
	v_lshlrev_b32_e32 v5, 2, v6
	;; [unrolled: 1-line block ×3, first 2 shown]
	ds_read_b32 v12, v13
	ds_read_b32 v13, v1
	;; [unrolled: 1-line block ×4, first 2 shown]
	s_mov_b64 s[10:11], 0
	s_waitcnt lgkmcnt(3)
	v_add_u32_e32 v1, v4, v12
	v_lshlrev_b64 v[5:6], 2, v[1:2]
	s_waitcnt lgkmcnt(2)
	v_add3_u32 v1, v4, v13, s14
	v_lshlrev_b64 v[12:13], 2, v[1:2]
	v_add_co_u32_e64 v5, s[6:7], s38, v5
	s_waitcnt lgkmcnt(1)
	v_add3_u32 v1, v4, v15, s15
	v_addc_co_u32_e64 v6, s[6:7], v3, v6, s[6:7]
	v_lshlrev_b64 v[15:16], 2, v[1:2]
	global_store_dword v[5:6], v18, off
	v_add_co_u32_e64 v5, s[6:7], s38, v12
	s_waitcnt lgkmcnt(0)
	v_add3_u32 v1, v4, v31, s18
	v_addc_co_u32_e64 v6, s[6:7], v3, v13, s[6:7]
	v_lshlrev_b64 v[12:13], 2, v[1:2]
	global_store_dword v[5:6], v35, off
	v_add_co_u32_e64 v5, s[6:7], s38, v15
	v_addc_co_u32_e64 v6, s[6:7], v3, v16, s[6:7]
	global_store_dword v[5:6], v36, off
	v_add_co_u32_e64 v5, s[6:7], s38, v12
	s_mov_b32 s19, s12
	v_add_u32_e32 v4, 0x800, v4
	v_addc_co_u32_e64 v6, s[6:7], v3, v13, s[6:7]
	global_store_dword v[5:6], v37, off
	s_waitcnt vmcnt(0)
	s_barrier
	s_cbranch_vccnz .LBB878_130
; %bb.131:
	s_lshl_b64 s[6:7], s[8:9], 3
	s_add_u32 s6, s40, s6
	s_addc_u32 s7, s41, s7
	v_lshlrev_b32_e32 v1, 3, v8
	v_mov_b32_e32 v2, s7
	v_add_co_u32_e32 v1, vcc, s6, v1
	v_addc_co_u32_e32 v2, vcc, 0, v2, vcc
	v_lshlrev_b32_e32 v3, 3, v7
	v_add_co_u32_e32 v17, vcc, v1, v3
	v_addc_co_u32_e32 v18, vcc, 0, v2, vcc
	global_load_dwordx2 v[1:2], v[17:18], off
	global_load_dwordx2 v[3:4], v[17:18], off offset:512
	global_load_dwordx2 v[5:6], v[17:18], off offset:1024
	;; [unrolled: 1-line block ×7, first 2 shown]
	v_mov_b32_e32 v18, 0
	s_mov_b32 s6, 0
	s_mov_b32 s7, 0
	v_mov_b32_e32 v23, s43
	s_movk_i32 s8, 0x200
.LBB878_132:                            ; =>This Inner Loop Header: Depth=1
	v_add_u32_e32 v17, s7, v30
	v_add_u32_e32 v29, s7, v26
	;; [unrolled: 1-line block ×8, first 2 shown]
	v_min_u32_e32 v17, 0x400, v17
	v_min_u32_e32 v29, 0x400, v29
	v_mov_b32_e32 v39, s6
	v_min_u32_e32 v31, 0x400, v31
	v_min_u32_e32 v33, 0x400, v33
	;; [unrolled: 1-line block ×6, first 2 shown]
	v_lshlrev_b32_e32 v17, 3, v17
	v_lshlrev_b32_e32 v29, 3, v29
	;; [unrolled: 1-line block ×8, first 2 shown]
	s_waitcnt vmcnt(7)
	ds_write_b64 v17, v[1:2] offset:1024
	s_waitcnt vmcnt(6)
	ds_write_b64 v29, v[3:4] offset:1024
	;; [unrolled: 2-line block ×8, first 2 shown]
	s_waitcnt lgkmcnt(0)
	s_barrier
	buffer_load_dword v17, v39, s[0:3], 0 offen
	buffer_load_dword v29, v39, s[0:3], 0 offen offset:4
	ds_read2st64_b64 v[35:38], v21 offset0:2 offset1:10
	s_addk_i32 s7, 0xfc00
	s_add_i32 s6, s6, 8
	s_cmpk_lg_i32 s7, 0xf000
	s_waitcnt vmcnt(1)
	v_lshlrev_b32_e32 v17, 2, v17
	s_waitcnt vmcnt(0)
	v_lshlrev_b32_e32 v29, 2, v29
	ds_read_b32 v17, v17
	ds_read_b32 v29, v29
	s_waitcnt lgkmcnt(1)
	v_add_u32_e32 v17, v0, v17
	v_lshlrev_b64 v[39:40], 3, v[17:18]
	s_waitcnt lgkmcnt(0)
	v_add3_u32 v17, v0, v29, s8
	v_lshlrev_b64 v[41:42], 3, v[17:18]
	v_add_co_u32_e32 v39, vcc, s42, v39
	v_addc_co_u32_e32 v40, vcc, v23, v40, vcc
	global_store_dwordx2 v[39:40], v[35:36], off
	v_add_co_u32_e32 v35, vcc, s42, v41
	v_add_u32_e32 v0, 0x400, v0
	v_addc_co_u32_e32 v36, vcc, v23, v42, vcc
	global_store_dwordx2 v[35:36], v[37:38], off
	s_waitcnt vmcnt(0)
	s_barrier
	s_cbranch_scc1 .LBB878_132
; %bb.133:
	s_add_i32 s16, s16, -1
	s_cmp_eq_u32 s33, s16
	s_cselect_b64 s[6:7], -1, 0
	s_xor_b64 s[4:5], s[4:5], -1
	s_and_b64 s[4:5], s[4:5], s[6:7]
	s_and_saveexec_b64 s[6:7], s[4:5]
	s_cbranch_execz .LBB878_135
; %bb.134:
	ds_read_b32 v0, v24
	s_waitcnt lgkmcnt(0)
	v_add3_u32 v0, v19, v25, v0
	global_store_dword v24, v0, s[46:47]
.LBB878_135:
	s_endpgm
	.section	.rodata,"a",@progbits
	.p2align	6, 0x0
	.amdhsa_kernel _ZN7rocprim17ROCPRIM_400000_NS6detail17trampoline_kernelINS0_14default_configENS1_35radix_sort_onesweep_config_selectorIilEEZZNS1_29radix_sort_onesweep_iterationIS3_Lb0EPiS7_N6thrust23THRUST_200600_302600_NS10device_ptrIlEESB_jNS0_19identity_decomposerENS1_16block_id_wrapperIjLb1EEEEE10hipError_tT1_PNSt15iterator_traitsISG_E10value_typeET2_T3_PNSH_ISM_E10value_typeET4_T5_PSR_SS_PNS1_23onesweep_lookback_stateEbbT6_jjT7_P12ihipStream_tbENKUlT_T0_SG_SL_E_clIS7_S7_SB_PlEEDaSZ_S10_SG_SL_EUlSZ_E_NS1_11comp_targetILNS1_3genE2ELNS1_11target_archE906ELNS1_3gpuE6ELNS1_3repE0EEENS1_47radix_sort_onesweep_sort_config_static_selectorELNS0_4arch9wavefront6targetE1EEEvSG_
		.amdhsa_group_segment_fixed_size 10280
		.amdhsa_private_segment_fixed_size 48
		.amdhsa_kernarg_size 344
		.amdhsa_user_sgpr_count 6
		.amdhsa_user_sgpr_private_segment_buffer 1
		.amdhsa_user_sgpr_dispatch_ptr 0
		.amdhsa_user_sgpr_queue_ptr 0
		.amdhsa_user_sgpr_kernarg_segment_ptr 1
		.amdhsa_user_sgpr_dispatch_id 0
		.amdhsa_user_sgpr_flat_scratch_init 0
		.amdhsa_user_sgpr_private_segment_size 0
		.amdhsa_uses_dynamic_stack 0
		.amdhsa_system_sgpr_private_segment_wavefront_offset 1
		.amdhsa_system_sgpr_workgroup_id_x 1
		.amdhsa_system_sgpr_workgroup_id_y 0
		.amdhsa_system_sgpr_workgroup_id_z 0
		.amdhsa_system_sgpr_workgroup_info 0
		.amdhsa_system_vgpr_workitem_id 2
		.amdhsa_next_free_vgpr 57
		.amdhsa_next_free_sgpr 60
		.amdhsa_reserve_vcc 1
		.amdhsa_reserve_flat_scratch 0
		.amdhsa_float_round_mode_32 0
		.amdhsa_float_round_mode_16_64 0
		.amdhsa_float_denorm_mode_32 3
		.amdhsa_float_denorm_mode_16_64 3
		.amdhsa_dx10_clamp 1
		.amdhsa_ieee_mode 1
		.amdhsa_fp16_overflow 0
		.amdhsa_exception_fp_ieee_invalid_op 0
		.amdhsa_exception_fp_denorm_src 0
		.amdhsa_exception_fp_ieee_div_zero 0
		.amdhsa_exception_fp_ieee_overflow 0
		.amdhsa_exception_fp_ieee_underflow 0
		.amdhsa_exception_fp_ieee_inexact 0
		.amdhsa_exception_int_div_zero 0
	.end_amdhsa_kernel
	.section	.text._ZN7rocprim17ROCPRIM_400000_NS6detail17trampoline_kernelINS0_14default_configENS1_35radix_sort_onesweep_config_selectorIilEEZZNS1_29radix_sort_onesweep_iterationIS3_Lb0EPiS7_N6thrust23THRUST_200600_302600_NS10device_ptrIlEESB_jNS0_19identity_decomposerENS1_16block_id_wrapperIjLb1EEEEE10hipError_tT1_PNSt15iterator_traitsISG_E10value_typeET2_T3_PNSH_ISM_E10value_typeET4_T5_PSR_SS_PNS1_23onesweep_lookback_stateEbbT6_jjT7_P12ihipStream_tbENKUlT_T0_SG_SL_E_clIS7_S7_SB_PlEEDaSZ_S10_SG_SL_EUlSZ_E_NS1_11comp_targetILNS1_3genE2ELNS1_11target_archE906ELNS1_3gpuE6ELNS1_3repE0EEENS1_47radix_sort_onesweep_sort_config_static_selectorELNS0_4arch9wavefront6targetE1EEEvSG_,"axG",@progbits,_ZN7rocprim17ROCPRIM_400000_NS6detail17trampoline_kernelINS0_14default_configENS1_35radix_sort_onesweep_config_selectorIilEEZZNS1_29radix_sort_onesweep_iterationIS3_Lb0EPiS7_N6thrust23THRUST_200600_302600_NS10device_ptrIlEESB_jNS0_19identity_decomposerENS1_16block_id_wrapperIjLb1EEEEE10hipError_tT1_PNSt15iterator_traitsISG_E10value_typeET2_T3_PNSH_ISM_E10value_typeET4_T5_PSR_SS_PNS1_23onesweep_lookback_stateEbbT6_jjT7_P12ihipStream_tbENKUlT_T0_SG_SL_E_clIS7_S7_SB_PlEEDaSZ_S10_SG_SL_EUlSZ_E_NS1_11comp_targetILNS1_3genE2ELNS1_11target_archE906ELNS1_3gpuE6ELNS1_3repE0EEENS1_47radix_sort_onesweep_sort_config_static_selectorELNS0_4arch9wavefront6targetE1EEEvSG_,comdat
.Lfunc_end878:
	.size	_ZN7rocprim17ROCPRIM_400000_NS6detail17trampoline_kernelINS0_14default_configENS1_35radix_sort_onesweep_config_selectorIilEEZZNS1_29radix_sort_onesweep_iterationIS3_Lb0EPiS7_N6thrust23THRUST_200600_302600_NS10device_ptrIlEESB_jNS0_19identity_decomposerENS1_16block_id_wrapperIjLb1EEEEE10hipError_tT1_PNSt15iterator_traitsISG_E10value_typeET2_T3_PNSH_ISM_E10value_typeET4_T5_PSR_SS_PNS1_23onesweep_lookback_stateEbbT6_jjT7_P12ihipStream_tbENKUlT_T0_SG_SL_E_clIS7_S7_SB_PlEEDaSZ_S10_SG_SL_EUlSZ_E_NS1_11comp_targetILNS1_3genE2ELNS1_11target_archE906ELNS1_3gpuE6ELNS1_3repE0EEENS1_47radix_sort_onesweep_sort_config_static_selectorELNS0_4arch9wavefront6targetE1EEEvSG_, .Lfunc_end878-_ZN7rocprim17ROCPRIM_400000_NS6detail17trampoline_kernelINS0_14default_configENS1_35radix_sort_onesweep_config_selectorIilEEZZNS1_29radix_sort_onesweep_iterationIS3_Lb0EPiS7_N6thrust23THRUST_200600_302600_NS10device_ptrIlEESB_jNS0_19identity_decomposerENS1_16block_id_wrapperIjLb1EEEEE10hipError_tT1_PNSt15iterator_traitsISG_E10value_typeET2_T3_PNSH_ISM_E10value_typeET4_T5_PSR_SS_PNS1_23onesweep_lookback_stateEbbT6_jjT7_P12ihipStream_tbENKUlT_T0_SG_SL_E_clIS7_S7_SB_PlEEDaSZ_S10_SG_SL_EUlSZ_E_NS1_11comp_targetILNS1_3genE2ELNS1_11target_archE906ELNS1_3gpuE6ELNS1_3repE0EEENS1_47radix_sort_onesweep_sort_config_static_selectorELNS0_4arch9wavefront6targetE1EEEvSG_
                                        ; -- End function
	.set _ZN7rocprim17ROCPRIM_400000_NS6detail17trampoline_kernelINS0_14default_configENS1_35radix_sort_onesweep_config_selectorIilEEZZNS1_29radix_sort_onesweep_iterationIS3_Lb0EPiS7_N6thrust23THRUST_200600_302600_NS10device_ptrIlEESB_jNS0_19identity_decomposerENS1_16block_id_wrapperIjLb1EEEEE10hipError_tT1_PNSt15iterator_traitsISG_E10value_typeET2_T3_PNSH_ISM_E10value_typeET4_T5_PSR_SS_PNS1_23onesweep_lookback_stateEbbT6_jjT7_P12ihipStream_tbENKUlT_T0_SG_SL_E_clIS7_S7_SB_PlEEDaSZ_S10_SG_SL_EUlSZ_E_NS1_11comp_targetILNS1_3genE2ELNS1_11target_archE906ELNS1_3gpuE6ELNS1_3repE0EEENS1_47radix_sort_onesweep_sort_config_static_selectorELNS0_4arch9wavefront6targetE1EEEvSG_.num_vgpr, 57
	.set _ZN7rocprim17ROCPRIM_400000_NS6detail17trampoline_kernelINS0_14default_configENS1_35radix_sort_onesweep_config_selectorIilEEZZNS1_29radix_sort_onesweep_iterationIS3_Lb0EPiS7_N6thrust23THRUST_200600_302600_NS10device_ptrIlEESB_jNS0_19identity_decomposerENS1_16block_id_wrapperIjLb1EEEEE10hipError_tT1_PNSt15iterator_traitsISG_E10value_typeET2_T3_PNSH_ISM_E10value_typeET4_T5_PSR_SS_PNS1_23onesweep_lookback_stateEbbT6_jjT7_P12ihipStream_tbENKUlT_T0_SG_SL_E_clIS7_S7_SB_PlEEDaSZ_S10_SG_SL_EUlSZ_E_NS1_11comp_targetILNS1_3genE2ELNS1_11target_archE906ELNS1_3gpuE6ELNS1_3repE0EEENS1_47radix_sort_onesweep_sort_config_static_selectorELNS0_4arch9wavefront6targetE1EEEvSG_.num_agpr, 0
	.set _ZN7rocprim17ROCPRIM_400000_NS6detail17trampoline_kernelINS0_14default_configENS1_35radix_sort_onesweep_config_selectorIilEEZZNS1_29radix_sort_onesweep_iterationIS3_Lb0EPiS7_N6thrust23THRUST_200600_302600_NS10device_ptrIlEESB_jNS0_19identity_decomposerENS1_16block_id_wrapperIjLb1EEEEE10hipError_tT1_PNSt15iterator_traitsISG_E10value_typeET2_T3_PNSH_ISM_E10value_typeET4_T5_PSR_SS_PNS1_23onesweep_lookback_stateEbbT6_jjT7_P12ihipStream_tbENKUlT_T0_SG_SL_E_clIS7_S7_SB_PlEEDaSZ_S10_SG_SL_EUlSZ_E_NS1_11comp_targetILNS1_3genE2ELNS1_11target_archE906ELNS1_3gpuE6ELNS1_3repE0EEENS1_47radix_sort_onesweep_sort_config_static_selectorELNS0_4arch9wavefront6targetE1EEEvSG_.numbered_sgpr, 60
	.set _ZN7rocprim17ROCPRIM_400000_NS6detail17trampoline_kernelINS0_14default_configENS1_35radix_sort_onesweep_config_selectorIilEEZZNS1_29radix_sort_onesweep_iterationIS3_Lb0EPiS7_N6thrust23THRUST_200600_302600_NS10device_ptrIlEESB_jNS0_19identity_decomposerENS1_16block_id_wrapperIjLb1EEEEE10hipError_tT1_PNSt15iterator_traitsISG_E10value_typeET2_T3_PNSH_ISM_E10value_typeET4_T5_PSR_SS_PNS1_23onesweep_lookback_stateEbbT6_jjT7_P12ihipStream_tbENKUlT_T0_SG_SL_E_clIS7_S7_SB_PlEEDaSZ_S10_SG_SL_EUlSZ_E_NS1_11comp_targetILNS1_3genE2ELNS1_11target_archE906ELNS1_3gpuE6ELNS1_3repE0EEENS1_47radix_sort_onesweep_sort_config_static_selectorELNS0_4arch9wavefront6targetE1EEEvSG_.num_named_barrier, 0
	.set _ZN7rocprim17ROCPRIM_400000_NS6detail17trampoline_kernelINS0_14default_configENS1_35radix_sort_onesweep_config_selectorIilEEZZNS1_29radix_sort_onesweep_iterationIS3_Lb0EPiS7_N6thrust23THRUST_200600_302600_NS10device_ptrIlEESB_jNS0_19identity_decomposerENS1_16block_id_wrapperIjLb1EEEEE10hipError_tT1_PNSt15iterator_traitsISG_E10value_typeET2_T3_PNSH_ISM_E10value_typeET4_T5_PSR_SS_PNS1_23onesweep_lookback_stateEbbT6_jjT7_P12ihipStream_tbENKUlT_T0_SG_SL_E_clIS7_S7_SB_PlEEDaSZ_S10_SG_SL_EUlSZ_E_NS1_11comp_targetILNS1_3genE2ELNS1_11target_archE906ELNS1_3gpuE6ELNS1_3repE0EEENS1_47radix_sort_onesweep_sort_config_static_selectorELNS0_4arch9wavefront6targetE1EEEvSG_.private_seg_size, 48
	.set _ZN7rocprim17ROCPRIM_400000_NS6detail17trampoline_kernelINS0_14default_configENS1_35radix_sort_onesweep_config_selectorIilEEZZNS1_29radix_sort_onesweep_iterationIS3_Lb0EPiS7_N6thrust23THRUST_200600_302600_NS10device_ptrIlEESB_jNS0_19identity_decomposerENS1_16block_id_wrapperIjLb1EEEEE10hipError_tT1_PNSt15iterator_traitsISG_E10value_typeET2_T3_PNSH_ISM_E10value_typeET4_T5_PSR_SS_PNS1_23onesweep_lookback_stateEbbT6_jjT7_P12ihipStream_tbENKUlT_T0_SG_SL_E_clIS7_S7_SB_PlEEDaSZ_S10_SG_SL_EUlSZ_E_NS1_11comp_targetILNS1_3genE2ELNS1_11target_archE906ELNS1_3gpuE6ELNS1_3repE0EEENS1_47radix_sort_onesweep_sort_config_static_selectorELNS0_4arch9wavefront6targetE1EEEvSG_.uses_vcc, 1
	.set _ZN7rocprim17ROCPRIM_400000_NS6detail17trampoline_kernelINS0_14default_configENS1_35radix_sort_onesweep_config_selectorIilEEZZNS1_29radix_sort_onesweep_iterationIS3_Lb0EPiS7_N6thrust23THRUST_200600_302600_NS10device_ptrIlEESB_jNS0_19identity_decomposerENS1_16block_id_wrapperIjLb1EEEEE10hipError_tT1_PNSt15iterator_traitsISG_E10value_typeET2_T3_PNSH_ISM_E10value_typeET4_T5_PSR_SS_PNS1_23onesweep_lookback_stateEbbT6_jjT7_P12ihipStream_tbENKUlT_T0_SG_SL_E_clIS7_S7_SB_PlEEDaSZ_S10_SG_SL_EUlSZ_E_NS1_11comp_targetILNS1_3genE2ELNS1_11target_archE906ELNS1_3gpuE6ELNS1_3repE0EEENS1_47radix_sort_onesweep_sort_config_static_selectorELNS0_4arch9wavefront6targetE1EEEvSG_.uses_flat_scratch, 0
	.set _ZN7rocprim17ROCPRIM_400000_NS6detail17trampoline_kernelINS0_14default_configENS1_35radix_sort_onesweep_config_selectorIilEEZZNS1_29radix_sort_onesweep_iterationIS3_Lb0EPiS7_N6thrust23THRUST_200600_302600_NS10device_ptrIlEESB_jNS0_19identity_decomposerENS1_16block_id_wrapperIjLb1EEEEE10hipError_tT1_PNSt15iterator_traitsISG_E10value_typeET2_T3_PNSH_ISM_E10value_typeET4_T5_PSR_SS_PNS1_23onesweep_lookback_stateEbbT6_jjT7_P12ihipStream_tbENKUlT_T0_SG_SL_E_clIS7_S7_SB_PlEEDaSZ_S10_SG_SL_EUlSZ_E_NS1_11comp_targetILNS1_3genE2ELNS1_11target_archE906ELNS1_3gpuE6ELNS1_3repE0EEENS1_47radix_sort_onesweep_sort_config_static_selectorELNS0_4arch9wavefront6targetE1EEEvSG_.has_dyn_sized_stack, 0
	.set _ZN7rocprim17ROCPRIM_400000_NS6detail17trampoline_kernelINS0_14default_configENS1_35radix_sort_onesweep_config_selectorIilEEZZNS1_29radix_sort_onesweep_iterationIS3_Lb0EPiS7_N6thrust23THRUST_200600_302600_NS10device_ptrIlEESB_jNS0_19identity_decomposerENS1_16block_id_wrapperIjLb1EEEEE10hipError_tT1_PNSt15iterator_traitsISG_E10value_typeET2_T3_PNSH_ISM_E10value_typeET4_T5_PSR_SS_PNS1_23onesweep_lookback_stateEbbT6_jjT7_P12ihipStream_tbENKUlT_T0_SG_SL_E_clIS7_S7_SB_PlEEDaSZ_S10_SG_SL_EUlSZ_E_NS1_11comp_targetILNS1_3genE2ELNS1_11target_archE906ELNS1_3gpuE6ELNS1_3repE0EEENS1_47radix_sort_onesweep_sort_config_static_selectorELNS0_4arch9wavefront6targetE1EEEvSG_.has_recursion, 0
	.set _ZN7rocprim17ROCPRIM_400000_NS6detail17trampoline_kernelINS0_14default_configENS1_35radix_sort_onesweep_config_selectorIilEEZZNS1_29radix_sort_onesweep_iterationIS3_Lb0EPiS7_N6thrust23THRUST_200600_302600_NS10device_ptrIlEESB_jNS0_19identity_decomposerENS1_16block_id_wrapperIjLb1EEEEE10hipError_tT1_PNSt15iterator_traitsISG_E10value_typeET2_T3_PNSH_ISM_E10value_typeET4_T5_PSR_SS_PNS1_23onesweep_lookback_stateEbbT6_jjT7_P12ihipStream_tbENKUlT_T0_SG_SL_E_clIS7_S7_SB_PlEEDaSZ_S10_SG_SL_EUlSZ_E_NS1_11comp_targetILNS1_3genE2ELNS1_11target_archE906ELNS1_3gpuE6ELNS1_3repE0EEENS1_47radix_sort_onesweep_sort_config_static_selectorELNS0_4arch9wavefront6targetE1EEEvSG_.has_indirect_call, 0
	.section	.AMDGPU.csdata,"",@progbits
; Kernel info:
; codeLenInByte = 11944
; TotalNumSgprs: 64
; NumVgprs: 57
; ScratchSize: 48
; MemoryBound: 0
; FloatMode: 240
; IeeeMode: 1
; LDSByteSize: 10280 bytes/workgroup (compile time only)
; SGPRBlocks: 7
; VGPRBlocks: 14
; NumSGPRsForWavesPerEU: 64
; NumVGPRsForWavesPerEU: 57
; Occupancy: 4
; WaveLimiterHint : 1
; COMPUTE_PGM_RSRC2:SCRATCH_EN: 1
; COMPUTE_PGM_RSRC2:USER_SGPR: 6
; COMPUTE_PGM_RSRC2:TRAP_HANDLER: 0
; COMPUTE_PGM_RSRC2:TGID_X_EN: 1
; COMPUTE_PGM_RSRC2:TGID_Y_EN: 0
; COMPUTE_PGM_RSRC2:TGID_Z_EN: 0
; COMPUTE_PGM_RSRC2:TIDIG_COMP_CNT: 2
	.section	.text._ZN7rocprim17ROCPRIM_400000_NS6detail17trampoline_kernelINS0_14default_configENS1_35radix_sort_onesweep_config_selectorIilEEZZNS1_29radix_sort_onesweep_iterationIS3_Lb0EPiS7_N6thrust23THRUST_200600_302600_NS10device_ptrIlEESB_jNS0_19identity_decomposerENS1_16block_id_wrapperIjLb1EEEEE10hipError_tT1_PNSt15iterator_traitsISG_E10value_typeET2_T3_PNSH_ISM_E10value_typeET4_T5_PSR_SS_PNS1_23onesweep_lookback_stateEbbT6_jjT7_P12ihipStream_tbENKUlT_T0_SG_SL_E_clIS7_S7_SB_PlEEDaSZ_S10_SG_SL_EUlSZ_E_NS1_11comp_targetILNS1_3genE4ELNS1_11target_archE910ELNS1_3gpuE8ELNS1_3repE0EEENS1_47radix_sort_onesweep_sort_config_static_selectorELNS0_4arch9wavefront6targetE1EEEvSG_,"axG",@progbits,_ZN7rocprim17ROCPRIM_400000_NS6detail17trampoline_kernelINS0_14default_configENS1_35radix_sort_onesweep_config_selectorIilEEZZNS1_29radix_sort_onesweep_iterationIS3_Lb0EPiS7_N6thrust23THRUST_200600_302600_NS10device_ptrIlEESB_jNS0_19identity_decomposerENS1_16block_id_wrapperIjLb1EEEEE10hipError_tT1_PNSt15iterator_traitsISG_E10value_typeET2_T3_PNSH_ISM_E10value_typeET4_T5_PSR_SS_PNS1_23onesweep_lookback_stateEbbT6_jjT7_P12ihipStream_tbENKUlT_T0_SG_SL_E_clIS7_S7_SB_PlEEDaSZ_S10_SG_SL_EUlSZ_E_NS1_11comp_targetILNS1_3genE4ELNS1_11target_archE910ELNS1_3gpuE8ELNS1_3repE0EEENS1_47radix_sort_onesweep_sort_config_static_selectorELNS0_4arch9wavefront6targetE1EEEvSG_,comdat
	.protected	_ZN7rocprim17ROCPRIM_400000_NS6detail17trampoline_kernelINS0_14default_configENS1_35radix_sort_onesweep_config_selectorIilEEZZNS1_29radix_sort_onesweep_iterationIS3_Lb0EPiS7_N6thrust23THRUST_200600_302600_NS10device_ptrIlEESB_jNS0_19identity_decomposerENS1_16block_id_wrapperIjLb1EEEEE10hipError_tT1_PNSt15iterator_traitsISG_E10value_typeET2_T3_PNSH_ISM_E10value_typeET4_T5_PSR_SS_PNS1_23onesweep_lookback_stateEbbT6_jjT7_P12ihipStream_tbENKUlT_T0_SG_SL_E_clIS7_S7_SB_PlEEDaSZ_S10_SG_SL_EUlSZ_E_NS1_11comp_targetILNS1_3genE4ELNS1_11target_archE910ELNS1_3gpuE8ELNS1_3repE0EEENS1_47radix_sort_onesweep_sort_config_static_selectorELNS0_4arch9wavefront6targetE1EEEvSG_ ; -- Begin function _ZN7rocprim17ROCPRIM_400000_NS6detail17trampoline_kernelINS0_14default_configENS1_35radix_sort_onesweep_config_selectorIilEEZZNS1_29radix_sort_onesweep_iterationIS3_Lb0EPiS7_N6thrust23THRUST_200600_302600_NS10device_ptrIlEESB_jNS0_19identity_decomposerENS1_16block_id_wrapperIjLb1EEEEE10hipError_tT1_PNSt15iterator_traitsISG_E10value_typeET2_T3_PNSH_ISM_E10value_typeET4_T5_PSR_SS_PNS1_23onesweep_lookback_stateEbbT6_jjT7_P12ihipStream_tbENKUlT_T0_SG_SL_E_clIS7_S7_SB_PlEEDaSZ_S10_SG_SL_EUlSZ_E_NS1_11comp_targetILNS1_3genE4ELNS1_11target_archE910ELNS1_3gpuE8ELNS1_3repE0EEENS1_47radix_sort_onesweep_sort_config_static_selectorELNS0_4arch9wavefront6targetE1EEEvSG_
	.globl	_ZN7rocprim17ROCPRIM_400000_NS6detail17trampoline_kernelINS0_14default_configENS1_35radix_sort_onesweep_config_selectorIilEEZZNS1_29radix_sort_onesweep_iterationIS3_Lb0EPiS7_N6thrust23THRUST_200600_302600_NS10device_ptrIlEESB_jNS0_19identity_decomposerENS1_16block_id_wrapperIjLb1EEEEE10hipError_tT1_PNSt15iterator_traitsISG_E10value_typeET2_T3_PNSH_ISM_E10value_typeET4_T5_PSR_SS_PNS1_23onesweep_lookback_stateEbbT6_jjT7_P12ihipStream_tbENKUlT_T0_SG_SL_E_clIS7_S7_SB_PlEEDaSZ_S10_SG_SL_EUlSZ_E_NS1_11comp_targetILNS1_3genE4ELNS1_11target_archE910ELNS1_3gpuE8ELNS1_3repE0EEENS1_47radix_sort_onesweep_sort_config_static_selectorELNS0_4arch9wavefront6targetE1EEEvSG_
	.p2align	8
	.type	_ZN7rocprim17ROCPRIM_400000_NS6detail17trampoline_kernelINS0_14default_configENS1_35radix_sort_onesweep_config_selectorIilEEZZNS1_29radix_sort_onesweep_iterationIS3_Lb0EPiS7_N6thrust23THRUST_200600_302600_NS10device_ptrIlEESB_jNS0_19identity_decomposerENS1_16block_id_wrapperIjLb1EEEEE10hipError_tT1_PNSt15iterator_traitsISG_E10value_typeET2_T3_PNSH_ISM_E10value_typeET4_T5_PSR_SS_PNS1_23onesweep_lookback_stateEbbT6_jjT7_P12ihipStream_tbENKUlT_T0_SG_SL_E_clIS7_S7_SB_PlEEDaSZ_S10_SG_SL_EUlSZ_E_NS1_11comp_targetILNS1_3genE4ELNS1_11target_archE910ELNS1_3gpuE8ELNS1_3repE0EEENS1_47radix_sort_onesweep_sort_config_static_selectorELNS0_4arch9wavefront6targetE1EEEvSG_,@function
_ZN7rocprim17ROCPRIM_400000_NS6detail17trampoline_kernelINS0_14default_configENS1_35radix_sort_onesweep_config_selectorIilEEZZNS1_29radix_sort_onesweep_iterationIS3_Lb0EPiS7_N6thrust23THRUST_200600_302600_NS10device_ptrIlEESB_jNS0_19identity_decomposerENS1_16block_id_wrapperIjLb1EEEEE10hipError_tT1_PNSt15iterator_traitsISG_E10value_typeET2_T3_PNSH_ISM_E10value_typeET4_T5_PSR_SS_PNS1_23onesweep_lookback_stateEbbT6_jjT7_P12ihipStream_tbENKUlT_T0_SG_SL_E_clIS7_S7_SB_PlEEDaSZ_S10_SG_SL_EUlSZ_E_NS1_11comp_targetILNS1_3genE4ELNS1_11target_archE910ELNS1_3gpuE8ELNS1_3repE0EEENS1_47radix_sort_onesweep_sort_config_static_selectorELNS0_4arch9wavefront6targetE1EEEvSG_: ; @_ZN7rocprim17ROCPRIM_400000_NS6detail17trampoline_kernelINS0_14default_configENS1_35radix_sort_onesweep_config_selectorIilEEZZNS1_29radix_sort_onesweep_iterationIS3_Lb0EPiS7_N6thrust23THRUST_200600_302600_NS10device_ptrIlEESB_jNS0_19identity_decomposerENS1_16block_id_wrapperIjLb1EEEEE10hipError_tT1_PNSt15iterator_traitsISG_E10value_typeET2_T3_PNSH_ISM_E10value_typeET4_T5_PSR_SS_PNS1_23onesweep_lookback_stateEbbT6_jjT7_P12ihipStream_tbENKUlT_T0_SG_SL_E_clIS7_S7_SB_PlEEDaSZ_S10_SG_SL_EUlSZ_E_NS1_11comp_targetILNS1_3genE4ELNS1_11target_archE910ELNS1_3gpuE8ELNS1_3repE0EEENS1_47radix_sort_onesweep_sort_config_static_selectorELNS0_4arch9wavefront6targetE1EEEvSG_
; %bb.0:
	.section	.rodata,"a",@progbits
	.p2align	6, 0x0
	.amdhsa_kernel _ZN7rocprim17ROCPRIM_400000_NS6detail17trampoline_kernelINS0_14default_configENS1_35radix_sort_onesweep_config_selectorIilEEZZNS1_29radix_sort_onesweep_iterationIS3_Lb0EPiS7_N6thrust23THRUST_200600_302600_NS10device_ptrIlEESB_jNS0_19identity_decomposerENS1_16block_id_wrapperIjLb1EEEEE10hipError_tT1_PNSt15iterator_traitsISG_E10value_typeET2_T3_PNSH_ISM_E10value_typeET4_T5_PSR_SS_PNS1_23onesweep_lookback_stateEbbT6_jjT7_P12ihipStream_tbENKUlT_T0_SG_SL_E_clIS7_S7_SB_PlEEDaSZ_S10_SG_SL_EUlSZ_E_NS1_11comp_targetILNS1_3genE4ELNS1_11target_archE910ELNS1_3gpuE8ELNS1_3repE0EEENS1_47radix_sort_onesweep_sort_config_static_selectorELNS0_4arch9wavefront6targetE1EEEvSG_
		.amdhsa_group_segment_fixed_size 0
		.amdhsa_private_segment_fixed_size 0
		.amdhsa_kernarg_size 88
		.amdhsa_user_sgpr_count 6
		.amdhsa_user_sgpr_private_segment_buffer 1
		.amdhsa_user_sgpr_dispatch_ptr 0
		.amdhsa_user_sgpr_queue_ptr 0
		.amdhsa_user_sgpr_kernarg_segment_ptr 1
		.amdhsa_user_sgpr_dispatch_id 0
		.amdhsa_user_sgpr_flat_scratch_init 0
		.amdhsa_user_sgpr_private_segment_size 0
		.amdhsa_uses_dynamic_stack 0
		.amdhsa_system_sgpr_private_segment_wavefront_offset 0
		.amdhsa_system_sgpr_workgroup_id_x 1
		.amdhsa_system_sgpr_workgroup_id_y 0
		.amdhsa_system_sgpr_workgroup_id_z 0
		.amdhsa_system_sgpr_workgroup_info 0
		.amdhsa_system_vgpr_workitem_id 0
		.amdhsa_next_free_vgpr 1
		.amdhsa_next_free_sgpr 0
		.amdhsa_reserve_vcc 0
		.amdhsa_reserve_flat_scratch 0
		.amdhsa_float_round_mode_32 0
		.amdhsa_float_round_mode_16_64 0
		.amdhsa_float_denorm_mode_32 3
		.amdhsa_float_denorm_mode_16_64 3
		.amdhsa_dx10_clamp 1
		.amdhsa_ieee_mode 1
		.amdhsa_fp16_overflow 0
		.amdhsa_exception_fp_ieee_invalid_op 0
		.amdhsa_exception_fp_denorm_src 0
		.amdhsa_exception_fp_ieee_div_zero 0
		.amdhsa_exception_fp_ieee_overflow 0
		.amdhsa_exception_fp_ieee_underflow 0
		.amdhsa_exception_fp_ieee_inexact 0
		.amdhsa_exception_int_div_zero 0
	.end_amdhsa_kernel
	.section	.text._ZN7rocprim17ROCPRIM_400000_NS6detail17trampoline_kernelINS0_14default_configENS1_35radix_sort_onesweep_config_selectorIilEEZZNS1_29radix_sort_onesweep_iterationIS3_Lb0EPiS7_N6thrust23THRUST_200600_302600_NS10device_ptrIlEESB_jNS0_19identity_decomposerENS1_16block_id_wrapperIjLb1EEEEE10hipError_tT1_PNSt15iterator_traitsISG_E10value_typeET2_T3_PNSH_ISM_E10value_typeET4_T5_PSR_SS_PNS1_23onesweep_lookback_stateEbbT6_jjT7_P12ihipStream_tbENKUlT_T0_SG_SL_E_clIS7_S7_SB_PlEEDaSZ_S10_SG_SL_EUlSZ_E_NS1_11comp_targetILNS1_3genE4ELNS1_11target_archE910ELNS1_3gpuE8ELNS1_3repE0EEENS1_47radix_sort_onesweep_sort_config_static_selectorELNS0_4arch9wavefront6targetE1EEEvSG_,"axG",@progbits,_ZN7rocprim17ROCPRIM_400000_NS6detail17trampoline_kernelINS0_14default_configENS1_35radix_sort_onesweep_config_selectorIilEEZZNS1_29radix_sort_onesweep_iterationIS3_Lb0EPiS7_N6thrust23THRUST_200600_302600_NS10device_ptrIlEESB_jNS0_19identity_decomposerENS1_16block_id_wrapperIjLb1EEEEE10hipError_tT1_PNSt15iterator_traitsISG_E10value_typeET2_T3_PNSH_ISM_E10value_typeET4_T5_PSR_SS_PNS1_23onesweep_lookback_stateEbbT6_jjT7_P12ihipStream_tbENKUlT_T0_SG_SL_E_clIS7_S7_SB_PlEEDaSZ_S10_SG_SL_EUlSZ_E_NS1_11comp_targetILNS1_3genE4ELNS1_11target_archE910ELNS1_3gpuE8ELNS1_3repE0EEENS1_47radix_sort_onesweep_sort_config_static_selectorELNS0_4arch9wavefront6targetE1EEEvSG_,comdat
.Lfunc_end879:
	.size	_ZN7rocprim17ROCPRIM_400000_NS6detail17trampoline_kernelINS0_14default_configENS1_35radix_sort_onesweep_config_selectorIilEEZZNS1_29radix_sort_onesweep_iterationIS3_Lb0EPiS7_N6thrust23THRUST_200600_302600_NS10device_ptrIlEESB_jNS0_19identity_decomposerENS1_16block_id_wrapperIjLb1EEEEE10hipError_tT1_PNSt15iterator_traitsISG_E10value_typeET2_T3_PNSH_ISM_E10value_typeET4_T5_PSR_SS_PNS1_23onesweep_lookback_stateEbbT6_jjT7_P12ihipStream_tbENKUlT_T0_SG_SL_E_clIS7_S7_SB_PlEEDaSZ_S10_SG_SL_EUlSZ_E_NS1_11comp_targetILNS1_3genE4ELNS1_11target_archE910ELNS1_3gpuE8ELNS1_3repE0EEENS1_47radix_sort_onesweep_sort_config_static_selectorELNS0_4arch9wavefront6targetE1EEEvSG_, .Lfunc_end879-_ZN7rocprim17ROCPRIM_400000_NS6detail17trampoline_kernelINS0_14default_configENS1_35radix_sort_onesweep_config_selectorIilEEZZNS1_29radix_sort_onesweep_iterationIS3_Lb0EPiS7_N6thrust23THRUST_200600_302600_NS10device_ptrIlEESB_jNS0_19identity_decomposerENS1_16block_id_wrapperIjLb1EEEEE10hipError_tT1_PNSt15iterator_traitsISG_E10value_typeET2_T3_PNSH_ISM_E10value_typeET4_T5_PSR_SS_PNS1_23onesweep_lookback_stateEbbT6_jjT7_P12ihipStream_tbENKUlT_T0_SG_SL_E_clIS7_S7_SB_PlEEDaSZ_S10_SG_SL_EUlSZ_E_NS1_11comp_targetILNS1_3genE4ELNS1_11target_archE910ELNS1_3gpuE8ELNS1_3repE0EEENS1_47radix_sort_onesweep_sort_config_static_selectorELNS0_4arch9wavefront6targetE1EEEvSG_
                                        ; -- End function
	.set _ZN7rocprim17ROCPRIM_400000_NS6detail17trampoline_kernelINS0_14default_configENS1_35radix_sort_onesweep_config_selectorIilEEZZNS1_29radix_sort_onesweep_iterationIS3_Lb0EPiS7_N6thrust23THRUST_200600_302600_NS10device_ptrIlEESB_jNS0_19identity_decomposerENS1_16block_id_wrapperIjLb1EEEEE10hipError_tT1_PNSt15iterator_traitsISG_E10value_typeET2_T3_PNSH_ISM_E10value_typeET4_T5_PSR_SS_PNS1_23onesweep_lookback_stateEbbT6_jjT7_P12ihipStream_tbENKUlT_T0_SG_SL_E_clIS7_S7_SB_PlEEDaSZ_S10_SG_SL_EUlSZ_E_NS1_11comp_targetILNS1_3genE4ELNS1_11target_archE910ELNS1_3gpuE8ELNS1_3repE0EEENS1_47radix_sort_onesweep_sort_config_static_selectorELNS0_4arch9wavefront6targetE1EEEvSG_.num_vgpr, 0
	.set _ZN7rocprim17ROCPRIM_400000_NS6detail17trampoline_kernelINS0_14default_configENS1_35radix_sort_onesweep_config_selectorIilEEZZNS1_29radix_sort_onesweep_iterationIS3_Lb0EPiS7_N6thrust23THRUST_200600_302600_NS10device_ptrIlEESB_jNS0_19identity_decomposerENS1_16block_id_wrapperIjLb1EEEEE10hipError_tT1_PNSt15iterator_traitsISG_E10value_typeET2_T3_PNSH_ISM_E10value_typeET4_T5_PSR_SS_PNS1_23onesweep_lookback_stateEbbT6_jjT7_P12ihipStream_tbENKUlT_T0_SG_SL_E_clIS7_S7_SB_PlEEDaSZ_S10_SG_SL_EUlSZ_E_NS1_11comp_targetILNS1_3genE4ELNS1_11target_archE910ELNS1_3gpuE8ELNS1_3repE0EEENS1_47radix_sort_onesweep_sort_config_static_selectorELNS0_4arch9wavefront6targetE1EEEvSG_.num_agpr, 0
	.set _ZN7rocprim17ROCPRIM_400000_NS6detail17trampoline_kernelINS0_14default_configENS1_35radix_sort_onesweep_config_selectorIilEEZZNS1_29radix_sort_onesweep_iterationIS3_Lb0EPiS7_N6thrust23THRUST_200600_302600_NS10device_ptrIlEESB_jNS0_19identity_decomposerENS1_16block_id_wrapperIjLb1EEEEE10hipError_tT1_PNSt15iterator_traitsISG_E10value_typeET2_T3_PNSH_ISM_E10value_typeET4_T5_PSR_SS_PNS1_23onesweep_lookback_stateEbbT6_jjT7_P12ihipStream_tbENKUlT_T0_SG_SL_E_clIS7_S7_SB_PlEEDaSZ_S10_SG_SL_EUlSZ_E_NS1_11comp_targetILNS1_3genE4ELNS1_11target_archE910ELNS1_3gpuE8ELNS1_3repE0EEENS1_47radix_sort_onesweep_sort_config_static_selectorELNS0_4arch9wavefront6targetE1EEEvSG_.numbered_sgpr, 0
	.set _ZN7rocprim17ROCPRIM_400000_NS6detail17trampoline_kernelINS0_14default_configENS1_35radix_sort_onesweep_config_selectorIilEEZZNS1_29radix_sort_onesweep_iterationIS3_Lb0EPiS7_N6thrust23THRUST_200600_302600_NS10device_ptrIlEESB_jNS0_19identity_decomposerENS1_16block_id_wrapperIjLb1EEEEE10hipError_tT1_PNSt15iterator_traitsISG_E10value_typeET2_T3_PNSH_ISM_E10value_typeET4_T5_PSR_SS_PNS1_23onesweep_lookback_stateEbbT6_jjT7_P12ihipStream_tbENKUlT_T0_SG_SL_E_clIS7_S7_SB_PlEEDaSZ_S10_SG_SL_EUlSZ_E_NS1_11comp_targetILNS1_3genE4ELNS1_11target_archE910ELNS1_3gpuE8ELNS1_3repE0EEENS1_47radix_sort_onesweep_sort_config_static_selectorELNS0_4arch9wavefront6targetE1EEEvSG_.num_named_barrier, 0
	.set _ZN7rocprim17ROCPRIM_400000_NS6detail17trampoline_kernelINS0_14default_configENS1_35radix_sort_onesweep_config_selectorIilEEZZNS1_29radix_sort_onesweep_iterationIS3_Lb0EPiS7_N6thrust23THRUST_200600_302600_NS10device_ptrIlEESB_jNS0_19identity_decomposerENS1_16block_id_wrapperIjLb1EEEEE10hipError_tT1_PNSt15iterator_traitsISG_E10value_typeET2_T3_PNSH_ISM_E10value_typeET4_T5_PSR_SS_PNS1_23onesweep_lookback_stateEbbT6_jjT7_P12ihipStream_tbENKUlT_T0_SG_SL_E_clIS7_S7_SB_PlEEDaSZ_S10_SG_SL_EUlSZ_E_NS1_11comp_targetILNS1_3genE4ELNS1_11target_archE910ELNS1_3gpuE8ELNS1_3repE0EEENS1_47radix_sort_onesweep_sort_config_static_selectorELNS0_4arch9wavefront6targetE1EEEvSG_.private_seg_size, 0
	.set _ZN7rocprim17ROCPRIM_400000_NS6detail17trampoline_kernelINS0_14default_configENS1_35radix_sort_onesweep_config_selectorIilEEZZNS1_29radix_sort_onesweep_iterationIS3_Lb0EPiS7_N6thrust23THRUST_200600_302600_NS10device_ptrIlEESB_jNS0_19identity_decomposerENS1_16block_id_wrapperIjLb1EEEEE10hipError_tT1_PNSt15iterator_traitsISG_E10value_typeET2_T3_PNSH_ISM_E10value_typeET4_T5_PSR_SS_PNS1_23onesweep_lookback_stateEbbT6_jjT7_P12ihipStream_tbENKUlT_T0_SG_SL_E_clIS7_S7_SB_PlEEDaSZ_S10_SG_SL_EUlSZ_E_NS1_11comp_targetILNS1_3genE4ELNS1_11target_archE910ELNS1_3gpuE8ELNS1_3repE0EEENS1_47radix_sort_onesweep_sort_config_static_selectorELNS0_4arch9wavefront6targetE1EEEvSG_.uses_vcc, 0
	.set _ZN7rocprim17ROCPRIM_400000_NS6detail17trampoline_kernelINS0_14default_configENS1_35radix_sort_onesweep_config_selectorIilEEZZNS1_29radix_sort_onesweep_iterationIS3_Lb0EPiS7_N6thrust23THRUST_200600_302600_NS10device_ptrIlEESB_jNS0_19identity_decomposerENS1_16block_id_wrapperIjLb1EEEEE10hipError_tT1_PNSt15iterator_traitsISG_E10value_typeET2_T3_PNSH_ISM_E10value_typeET4_T5_PSR_SS_PNS1_23onesweep_lookback_stateEbbT6_jjT7_P12ihipStream_tbENKUlT_T0_SG_SL_E_clIS7_S7_SB_PlEEDaSZ_S10_SG_SL_EUlSZ_E_NS1_11comp_targetILNS1_3genE4ELNS1_11target_archE910ELNS1_3gpuE8ELNS1_3repE0EEENS1_47radix_sort_onesweep_sort_config_static_selectorELNS0_4arch9wavefront6targetE1EEEvSG_.uses_flat_scratch, 0
	.set _ZN7rocprim17ROCPRIM_400000_NS6detail17trampoline_kernelINS0_14default_configENS1_35radix_sort_onesweep_config_selectorIilEEZZNS1_29radix_sort_onesweep_iterationIS3_Lb0EPiS7_N6thrust23THRUST_200600_302600_NS10device_ptrIlEESB_jNS0_19identity_decomposerENS1_16block_id_wrapperIjLb1EEEEE10hipError_tT1_PNSt15iterator_traitsISG_E10value_typeET2_T3_PNSH_ISM_E10value_typeET4_T5_PSR_SS_PNS1_23onesweep_lookback_stateEbbT6_jjT7_P12ihipStream_tbENKUlT_T0_SG_SL_E_clIS7_S7_SB_PlEEDaSZ_S10_SG_SL_EUlSZ_E_NS1_11comp_targetILNS1_3genE4ELNS1_11target_archE910ELNS1_3gpuE8ELNS1_3repE0EEENS1_47radix_sort_onesweep_sort_config_static_selectorELNS0_4arch9wavefront6targetE1EEEvSG_.has_dyn_sized_stack, 0
	.set _ZN7rocprim17ROCPRIM_400000_NS6detail17trampoline_kernelINS0_14default_configENS1_35radix_sort_onesweep_config_selectorIilEEZZNS1_29radix_sort_onesweep_iterationIS3_Lb0EPiS7_N6thrust23THRUST_200600_302600_NS10device_ptrIlEESB_jNS0_19identity_decomposerENS1_16block_id_wrapperIjLb1EEEEE10hipError_tT1_PNSt15iterator_traitsISG_E10value_typeET2_T3_PNSH_ISM_E10value_typeET4_T5_PSR_SS_PNS1_23onesweep_lookback_stateEbbT6_jjT7_P12ihipStream_tbENKUlT_T0_SG_SL_E_clIS7_S7_SB_PlEEDaSZ_S10_SG_SL_EUlSZ_E_NS1_11comp_targetILNS1_3genE4ELNS1_11target_archE910ELNS1_3gpuE8ELNS1_3repE0EEENS1_47radix_sort_onesweep_sort_config_static_selectorELNS0_4arch9wavefront6targetE1EEEvSG_.has_recursion, 0
	.set _ZN7rocprim17ROCPRIM_400000_NS6detail17trampoline_kernelINS0_14default_configENS1_35radix_sort_onesweep_config_selectorIilEEZZNS1_29radix_sort_onesweep_iterationIS3_Lb0EPiS7_N6thrust23THRUST_200600_302600_NS10device_ptrIlEESB_jNS0_19identity_decomposerENS1_16block_id_wrapperIjLb1EEEEE10hipError_tT1_PNSt15iterator_traitsISG_E10value_typeET2_T3_PNSH_ISM_E10value_typeET4_T5_PSR_SS_PNS1_23onesweep_lookback_stateEbbT6_jjT7_P12ihipStream_tbENKUlT_T0_SG_SL_E_clIS7_S7_SB_PlEEDaSZ_S10_SG_SL_EUlSZ_E_NS1_11comp_targetILNS1_3genE4ELNS1_11target_archE910ELNS1_3gpuE8ELNS1_3repE0EEENS1_47radix_sort_onesweep_sort_config_static_selectorELNS0_4arch9wavefront6targetE1EEEvSG_.has_indirect_call, 0
	.section	.AMDGPU.csdata,"",@progbits
; Kernel info:
; codeLenInByte = 0
; TotalNumSgprs: 4
; NumVgprs: 0
; ScratchSize: 0
; MemoryBound: 0
; FloatMode: 240
; IeeeMode: 1
; LDSByteSize: 0 bytes/workgroup (compile time only)
; SGPRBlocks: 0
; VGPRBlocks: 0
; NumSGPRsForWavesPerEU: 4
; NumVGPRsForWavesPerEU: 1
; Occupancy: 10
; WaveLimiterHint : 0
; COMPUTE_PGM_RSRC2:SCRATCH_EN: 0
; COMPUTE_PGM_RSRC2:USER_SGPR: 6
; COMPUTE_PGM_RSRC2:TRAP_HANDLER: 0
; COMPUTE_PGM_RSRC2:TGID_X_EN: 1
; COMPUTE_PGM_RSRC2:TGID_Y_EN: 0
; COMPUTE_PGM_RSRC2:TGID_Z_EN: 0
; COMPUTE_PGM_RSRC2:TIDIG_COMP_CNT: 0
	.section	.text._ZN7rocprim17ROCPRIM_400000_NS6detail17trampoline_kernelINS0_14default_configENS1_35radix_sort_onesweep_config_selectorIilEEZZNS1_29radix_sort_onesweep_iterationIS3_Lb0EPiS7_N6thrust23THRUST_200600_302600_NS10device_ptrIlEESB_jNS0_19identity_decomposerENS1_16block_id_wrapperIjLb1EEEEE10hipError_tT1_PNSt15iterator_traitsISG_E10value_typeET2_T3_PNSH_ISM_E10value_typeET4_T5_PSR_SS_PNS1_23onesweep_lookback_stateEbbT6_jjT7_P12ihipStream_tbENKUlT_T0_SG_SL_E_clIS7_S7_SB_PlEEDaSZ_S10_SG_SL_EUlSZ_E_NS1_11comp_targetILNS1_3genE3ELNS1_11target_archE908ELNS1_3gpuE7ELNS1_3repE0EEENS1_47radix_sort_onesweep_sort_config_static_selectorELNS0_4arch9wavefront6targetE1EEEvSG_,"axG",@progbits,_ZN7rocprim17ROCPRIM_400000_NS6detail17trampoline_kernelINS0_14default_configENS1_35radix_sort_onesweep_config_selectorIilEEZZNS1_29radix_sort_onesweep_iterationIS3_Lb0EPiS7_N6thrust23THRUST_200600_302600_NS10device_ptrIlEESB_jNS0_19identity_decomposerENS1_16block_id_wrapperIjLb1EEEEE10hipError_tT1_PNSt15iterator_traitsISG_E10value_typeET2_T3_PNSH_ISM_E10value_typeET4_T5_PSR_SS_PNS1_23onesweep_lookback_stateEbbT6_jjT7_P12ihipStream_tbENKUlT_T0_SG_SL_E_clIS7_S7_SB_PlEEDaSZ_S10_SG_SL_EUlSZ_E_NS1_11comp_targetILNS1_3genE3ELNS1_11target_archE908ELNS1_3gpuE7ELNS1_3repE0EEENS1_47radix_sort_onesweep_sort_config_static_selectorELNS0_4arch9wavefront6targetE1EEEvSG_,comdat
	.protected	_ZN7rocprim17ROCPRIM_400000_NS6detail17trampoline_kernelINS0_14default_configENS1_35radix_sort_onesweep_config_selectorIilEEZZNS1_29radix_sort_onesweep_iterationIS3_Lb0EPiS7_N6thrust23THRUST_200600_302600_NS10device_ptrIlEESB_jNS0_19identity_decomposerENS1_16block_id_wrapperIjLb1EEEEE10hipError_tT1_PNSt15iterator_traitsISG_E10value_typeET2_T3_PNSH_ISM_E10value_typeET4_T5_PSR_SS_PNS1_23onesweep_lookback_stateEbbT6_jjT7_P12ihipStream_tbENKUlT_T0_SG_SL_E_clIS7_S7_SB_PlEEDaSZ_S10_SG_SL_EUlSZ_E_NS1_11comp_targetILNS1_3genE3ELNS1_11target_archE908ELNS1_3gpuE7ELNS1_3repE0EEENS1_47radix_sort_onesweep_sort_config_static_selectorELNS0_4arch9wavefront6targetE1EEEvSG_ ; -- Begin function _ZN7rocprim17ROCPRIM_400000_NS6detail17trampoline_kernelINS0_14default_configENS1_35radix_sort_onesweep_config_selectorIilEEZZNS1_29radix_sort_onesweep_iterationIS3_Lb0EPiS7_N6thrust23THRUST_200600_302600_NS10device_ptrIlEESB_jNS0_19identity_decomposerENS1_16block_id_wrapperIjLb1EEEEE10hipError_tT1_PNSt15iterator_traitsISG_E10value_typeET2_T3_PNSH_ISM_E10value_typeET4_T5_PSR_SS_PNS1_23onesweep_lookback_stateEbbT6_jjT7_P12ihipStream_tbENKUlT_T0_SG_SL_E_clIS7_S7_SB_PlEEDaSZ_S10_SG_SL_EUlSZ_E_NS1_11comp_targetILNS1_3genE3ELNS1_11target_archE908ELNS1_3gpuE7ELNS1_3repE0EEENS1_47radix_sort_onesweep_sort_config_static_selectorELNS0_4arch9wavefront6targetE1EEEvSG_
	.globl	_ZN7rocprim17ROCPRIM_400000_NS6detail17trampoline_kernelINS0_14default_configENS1_35radix_sort_onesweep_config_selectorIilEEZZNS1_29radix_sort_onesweep_iterationIS3_Lb0EPiS7_N6thrust23THRUST_200600_302600_NS10device_ptrIlEESB_jNS0_19identity_decomposerENS1_16block_id_wrapperIjLb1EEEEE10hipError_tT1_PNSt15iterator_traitsISG_E10value_typeET2_T3_PNSH_ISM_E10value_typeET4_T5_PSR_SS_PNS1_23onesweep_lookback_stateEbbT6_jjT7_P12ihipStream_tbENKUlT_T0_SG_SL_E_clIS7_S7_SB_PlEEDaSZ_S10_SG_SL_EUlSZ_E_NS1_11comp_targetILNS1_3genE3ELNS1_11target_archE908ELNS1_3gpuE7ELNS1_3repE0EEENS1_47radix_sort_onesweep_sort_config_static_selectorELNS0_4arch9wavefront6targetE1EEEvSG_
	.p2align	8
	.type	_ZN7rocprim17ROCPRIM_400000_NS6detail17trampoline_kernelINS0_14default_configENS1_35radix_sort_onesweep_config_selectorIilEEZZNS1_29radix_sort_onesweep_iterationIS3_Lb0EPiS7_N6thrust23THRUST_200600_302600_NS10device_ptrIlEESB_jNS0_19identity_decomposerENS1_16block_id_wrapperIjLb1EEEEE10hipError_tT1_PNSt15iterator_traitsISG_E10value_typeET2_T3_PNSH_ISM_E10value_typeET4_T5_PSR_SS_PNS1_23onesweep_lookback_stateEbbT6_jjT7_P12ihipStream_tbENKUlT_T0_SG_SL_E_clIS7_S7_SB_PlEEDaSZ_S10_SG_SL_EUlSZ_E_NS1_11comp_targetILNS1_3genE3ELNS1_11target_archE908ELNS1_3gpuE7ELNS1_3repE0EEENS1_47radix_sort_onesweep_sort_config_static_selectorELNS0_4arch9wavefront6targetE1EEEvSG_,@function
_ZN7rocprim17ROCPRIM_400000_NS6detail17trampoline_kernelINS0_14default_configENS1_35radix_sort_onesweep_config_selectorIilEEZZNS1_29radix_sort_onesweep_iterationIS3_Lb0EPiS7_N6thrust23THRUST_200600_302600_NS10device_ptrIlEESB_jNS0_19identity_decomposerENS1_16block_id_wrapperIjLb1EEEEE10hipError_tT1_PNSt15iterator_traitsISG_E10value_typeET2_T3_PNSH_ISM_E10value_typeET4_T5_PSR_SS_PNS1_23onesweep_lookback_stateEbbT6_jjT7_P12ihipStream_tbENKUlT_T0_SG_SL_E_clIS7_S7_SB_PlEEDaSZ_S10_SG_SL_EUlSZ_E_NS1_11comp_targetILNS1_3genE3ELNS1_11target_archE908ELNS1_3gpuE7ELNS1_3repE0EEENS1_47radix_sort_onesweep_sort_config_static_selectorELNS0_4arch9wavefront6targetE1EEEvSG_: ; @_ZN7rocprim17ROCPRIM_400000_NS6detail17trampoline_kernelINS0_14default_configENS1_35radix_sort_onesweep_config_selectorIilEEZZNS1_29radix_sort_onesweep_iterationIS3_Lb0EPiS7_N6thrust23THRUST_200600_302600_NS10device_ptrIlEESB_jNS0_19identity_decomposerENS1_16block_id_wrapperIjLb1EEEEE10hipError_tT1_PNSt15iterator_traitsISG_E10value_typeET2_T3_PNSH_ISM_E10value_typeET4_T5_PSR_SS_PNS1_23onesweep_lookback_stateEbbT6_jjT7_P12ihipStream_tbENKUlT_T0_SG_SL_E_clIS7_S7_SB_PlEEDaSZ_S10_SG_SL_EUlSZ_E_NS1_11comp_targetILNS1_3genE3ELNS1_11target_archE908ELNS1_3gpuE7ELNS1_3repE0EEENS1_47radix_sort_onesweep_sort_config_static_selectorELNS0_4arch9wavefront6targetE1EEEvSG_
; %bb.0:
	.section	.rodata,"a",@progbits
	.p2align	6, 0x0
	.amdhsa_kernel _ZN7rocprim17ROCPRIM_400000_NS6detail17trampoline_kernelINS0_14default_configENS1_35radix_sort_onesweep_config_selectorIilEEZZNS1_29radix_sort_onesweep_iterationIS3_Lb0EPiS7_N6thrust23THRUST_200600_302600_NS10device_ptrIlEESB_jNS0_19identity_decomposerENS1_16block_id_wrapperIjLb1EEEEE10hipError_tT1_PNSt15iterator_traitsISG_E10value_typeET2_T3_PNSH_ISM_E10value_typeET4_T5_PSR_SS_PNS1_23onesweep_lookback_stateEbbT6_jjT7_P12ihipStream_tbENKUlT_T0_SG_SL_E_clIS7_S7_SB_PlEEDaSZ_S10_SG_SL_EUlSZ_E_NS1_11comp_targetILNS1_3genE3ELNS1_11target_archE908ELNS1_3gpuE7ELNS1_3repE0EEENS1_47radix_sort_onesweep_sort_config_static_selectorELNS0_4arch9wavefront6targetE1EEEvSG_
		.amdhsa_group_segment_fixed_size 0
		.amdhsa_private_segment_fixed_size 0
		.amdhsa_kernarg_size 88
		.amdhsa_user_sgpr_count 6
		.amdhsa_user_sgpr_private_segment_buffer 1
		.amdhsa_user_sgpr_dispatch_ptr 0
		.amdhsa_user_sgpr_queue_ptr 0
		.amdhsa_user_sgpr_kernarg_segment_ptr 1
		.amdhsa_user_sgpr_dispatch_id 0
		.amdhsa_user_sgpr_flat_scratch_init 0
		.amdhsa_user_sgpr_private_segment_size 0
		.amdhsa_uses_dynamic_stack 0
		.amdhsa_system_sgpr_private_segment_wavefront_offset 0
		.amdhsa_system_sgpr_workgroup_id_x 1
		.amdhsa_system_sgpr_workgroup_id_y 0
		.amdhsa_system_sgpr_workgroup_id_z 0
		.amdhsa_system_sgpr_workgroup_info 0
		.amdhsa_system_vgpr_workitem_id 0
		.amdhsa_next_free_vgpr 1
		.amdhsa_next_free_sgpr 0
		.amdhsa_reserve_vcc 0
		.amdhsa_reserve_flat_scratch 0
		.amdhsa_float_round_mode_32 0
		.amdhsa_float_round_mode_16_64 0
		.amdhsa_float_denorm_mode_32 3
		.amdhsa_float_denorm_mode_16_64 3
		.amdhsa_dx10_clamp 1
		.amdhsa_ieee_mode 1
		.amdhsa_fp16_overflow 0
		.amdhsa_exception_fp_ieee_invalid_op 0
		.amdhsa_exception_fp_denorm_src 0
		.amdhsa_exception_fp_ieee_div_zero 0
		.amdhsa_exception_fp_ieee_overflow 0
		.amdhsa_exception_fp_ieee_underflow 0
		.amdhsa_exception_fp_ieee_inexact 0
		.amdhsa_exception_int_div_zero 0
	.end_amdhsa_kernel
	.section	.text._ZN7rocprim17ROCPRIM_400000_NS6detail17trampoline_kernelINS0_14default_configENS1_35radix_sort_onesweep_config_selectorIilEEZZNS1_29radix_sort_onesweep_iterationIS3_Lb0EPiS7_N6thrust23THRUST_200600_302600_NS10device_ptrIlEESB_jNS0_19identity_decomposerENS1_16block_id_wrapperIjLb1EEEEE10hipError_tT1_PNSt15iterator_traitsISG_E10value_typeET2_T3_PNSH_ISM_E10value_typeET4_T5_PSR_SS_PNS1_23onesweep_lookback_stateEbbT6_jjT7_P12ihipStream_tbENKUlT_T0_SG_SL_E_clIS7_S7_SB_PlEEDaSZ_S10_SG_SL_EUlSZ_E_NS1_11comp_targetILNS1_3genE3ELNS1_11target_archE908ELNS1_3gpuE7ELNS1_3repE0EEENS1_47radix_sort_onesweep_sort_config_static_selectorELNS0_4arch9wavefront6targetE1EEEvSG_,"axG",@progbits,_ZN7rocprim17ROCPRIM_400000_NS6detail17trampoline_kernelINS0_14default_configENS1_35radix_sort_onesweep_config_selectorIilEEZZNS1_29radix_sort_onesweep_iterationIS3_Lb0EPiS7_N6thrust23THRUST_200600_302600_NS10device_ptrIlEESB_jNS0_19identity_decomposerENS1_16block_id_wrapperIjLb1EEEEE10hipError_tT1_PNSt15iterator_traitsISG_E10value_typeET2_T3_PNSH_ISM_E10value_typeET4_T5_PSR_SS_PNS1_23onesweep_lookback_stateEbbT6_jjT7_P12ihipStream_tbENKUlT_T0_SG_SL_E_clIS7_S7_SB_PlEEDaSZ_S10_SG_SL_EUlSZ_E_NS1_11comp_targetILNS1_3genE3ELNS1_11target_archE908ELNS1_3gpuE7ELNS1_3repE0EEENS1_47radix_sort_onesweep_sort_config_static_selectorELNS0_4arch9wavefront6targetE1EEEvSG_,comdat
.Lfunc_end880:
	.size	_ZN7rocprim17ROCPRIM_400000_NS6detail17trampoline_kernelINS0_14default_configENS1_35radix_sort_onesweep_config_selectorIilEEZZNS1_29radix_sort_onesweep_iterationIS3_Lb0EPiS7_N6thrust23THRUST_200600_302600_NS10device_ptrIlEESB_jNS0_19identity_decomposerENS1_16block_id_wrapperIjLb1EEEEE10hipError_tT1_PNSt15iterator_traitsISG_E10value_typeET2_T3_PNSH_ISM_E10value_typeET4_T5_PSR_SS_PNS1_23onesweep_lookback_stateEbbT6_jjT7_P12ihipStream_tbENKUlT_T0_SG_SL_E_clIS7_S7_SB_PlEEDaSZ_S10_SG_SL_EUlSZ_E_NS1_11comp_targetILNS1_3genE3ELNS1_11target_archE908ELNS1_3gpuE7ELNS1_3repE0EEENS1_47radix_sort_onesweep_sort_config_static_selectorELNS0_4arch9wavefront6targetE1EEEvSG_, .Lfunc_end880-_ZN7rocprim17ROCPRIM_400000_NS6detail17trampoline_kernelINS0_14default_configENS1_35radix_sort_onesweep_config_selectorIilEEZZNS1_29radix_sort_onesweep_iterationIS3_Lb0EPiS7_N6thrust23THRUST_200600_302600_NS10device_ptrIlEESB_jNS0_19identity_decomposerENS1_16block_id_wrapperIjLb1EEEEE10hipError_tT1_PNSt15iterator_traitsISG_E10value_typeET2_T3_PNSH_ISM_E10value_typeET4_T5_PSR_SS_PNS1_23onesweep_lookback_stateEbbT6_jjT7_P12ihipStream_tbENKUlT_T0_SG_SL_E_clIS7_S7_SB_PlEEDaSZ_S10_SG_SL_EUlSZ_E_NS1_11comp_targetILNS1_3genE3ELNS1_11target_archE908ELNS1_3gpuE7ELNS1_3repE0EEENS1_47radix_sort_onesweep_sort_config_static_selectorELNS0_4arch9wavefront6targetE1EEEvSG_
                                        ; -- End function
	.set _ZN7rocprim17ROCPRIM_400000_NS6detail17trampoline_kernelINS0_14default_configENS1_35radix_sort_onesweep_config_selectorIilEEZZNS1_29radix_sort_onesweep_iterationIS3_Lb0EPiS7_N6thrust23THRUST_200600_302600_NS10device_ptrIlEESB_jNS0_19identity_decomposerENS1_16block_id_wrapperIjLb1EEEEE10hipError_tT1_PNSt15iterator_traitsISG_E10value_typeET2_T3_PNSH_ISM_E10value_typeET4_T5_PSR_SS_PNS1_23onesweep_lookback_stateEbbT6_jjT7_P12ihipStream_tbENKUlT_T0_SG_SL_E_clIS7_S7_SB_PlEEDaSZ_S10_SG_SL_EUlSZ_E_NS1_11comp_targetILNS1_3genE3ELNS1_11target_archE908ELNS1_3gpuE7ELNS1_3repE0EEENS1_47radix_sort_onesweep_sort_config_static_selectorELNS0_4arch9wavefront6targetE1EEEvSG_.num_vgpr, 0
	.set _ZN7rocprim17ROCPRIM_400000_NS6detail17trampoline_kernelINS0_14default_configENS1_35radix_sort_onesweep_config_selectorIilEEZZNS1_29radix_sort_onesweep_iterationIS3_Lb0EPiS7_N6thrust23THRUST_200600_302600_NS10device_ptrIlEESB_jNS0_19identity_decomposerENS1_16block_id_wrapperIjLb1EEEEE10hipError_tT1_PNSt15iterator_traitsISG_E10value_typeET2_T3_PNSH_ISM_E10value_typeET4_T5_PSR_SS_PNS1_23onesweep_lookback_stateEbbT6_jjT7_P12ihipStream_tbENKUlT_T0_SG_SL_E_clIS7_S7_SB_PlEEDaSZ_S10_SG_SL_EUlSZ_E_NS1_11comp_targetILNS1_3genE3ELNS1_11target_archE908ELNS1_3gpuE7ELNS1_3repE0EEENS1_47radix_sort_onesweep_sort_config_static_selectorELNS0_4arch9wavefront6targetE1EEEvSG_.num_agpr, 0
	.set _ZN7rocprim17ROCPRIM_400000_NS6detail17trampoline_kernelINS0_14default_configENS1_35radix_sort_onesweep_config_selectorIilEEZZNS1_29radix_sort_onesweep_iterationIS3_Lb0EPiS7_N6thrust23THRUST_200600_302600_NS10device_ptrIlEESB_jNS0_19identity_decomposerENS1_16block_id_wrapperIjLb1EEEEE10hipError_tT1_PNSt15iterator_traitsISG_E10value_typeET2_T3_PNSH_ISM_E10value_typeET4_T5_PSR_SS_PNS1_23onesweep_lookback_stateEbbT6_jjT7_P12ihipStream_tbENKUlT_T0_SG_SL_E_clIS7_S7_SB_PlEEDaSZ_S10_SG_SL_EUlSZ_E_NS1_11comp_targetILNS1_3genE3ELNS1_11target_archE908ELNS1_3gpuE7ELNS1_3repE0EEENS1_47radix_sort_onesweep_sort_config_static_selectorELNS0_4arch9wavefront6targetE1EEEvSG_.numbered_sgpr, 0
	.set _ZN7rocprim17ROCPRIM_400000_NS6detail17trampoline_kernelINS0_14default_configENS1_35radix_sort_onesweep_config_selectorIilEEZZNS1_29radix_sort_onesweep_iterationIS3_Lb0EPiS7_N6thrust23THRUST_200600_302600_NS10device_ptrIlEESB_jNS0_19identity_decomposerENS1_16block_id_wrapperIjLb1EEEEE10hipError_tT1_PNSt15iterator_traitsISG_E10value_typeET2_T3_PNSH_ISM_E10value_typeET4_T5_PSR_SS_PNS1_23onesweep_lookback_stateEbbT6_jjT7_P12ihipStream_tbENKUlT_T0_SG_SL_E_clIS7_S7_SB_PlEEDaSZ_S10_SG_SL_EUlSZ_E_NS1_11comp_targetILNS1_3genE3ELNS1_11target_archE908ELNS1_3gpuE7ELNS1_3repE0EEENS1_47radix_sort_onesweep_sort_config_static_selectorELNS0_4arch9wavefront6targetE1EEEvSG_.num_named_barrier, 0
	.set _ZN7rocprim17ROCPRIM_400000_NS6detail17trampoline_kernelINS0_14default_configENS1_35radix_sort_onesweep_config_selectorIilEEZZNS1_29radix_sort_onesweep_iterationIS3_Lb0EPiS7_N6thrust23THRUST_200600_302600_NS10device_ptrIlEESB_jNS0_19identity_decomposerENS1_16block_id_wrapperIjLb1EEEEE10hipError_tT1_PNSt15iterator_traitsISG_E10value_typeET2_T3_PNSH_ISM_E10value_typeET4_T5_PSR_SS_PNS1_23onesweep_lookback_stateEbbT6_jjT7_P12ihipStream_tbENKUlT_T0_SG_SL_E_clIS7_S7_SB_PlEEDaSZ_S10_SG_SL_EUlSZ_E_NS1_11comp_targetILNS1_3genE3ELNS1_11target_archE908ELNS1_3gpuE7ELNS1_3repE0EEENS1_47radix_sort_onesweep_sort_config_static_selectorELNS0_4arch9wavefront6targetE1EEEvSG_.private_seg_size, 0
	.set _ZN7rocprim17ROCPRIM_400000_NS6detail17trampoline_kernelINS0_14default_configENS1_35radix_sort_onesweep_config_selectorIilEEZZNS1_29radix_sort_onesweep_iterationIS3_Lb0EPiS7_N6thrust23THRUST_200600_302600_NS10device_ptrIlEESB_jNS0_19identity_decomposerENS1_16block_id_wrapperIjLb1EEEEE10hipError_tT1_PNSt15iterator_traitsISG_E10value_typeET2_T3_PNSH_ISM_E10value_typeET4_T5_PSR_SS_PNS1_23onesweep_lookback_stateEbbT6_jjT7_P12ihipStream_tbENKUlT_T0_SG_SL_E_clIS7_S7_SB_PlEEDaSZ_S10_SG_SL_EUlSZ_E_NS1_11comp_targetILNS1_3genE3ELNS1_11target_archE908ELNS1_3gpuE7ELNS1_3repE0EEENS1_47radix_sort_onesweep_sort_config_static_selectorELNS0_4arch9wavefront6targetE1EEEvSG_.uses_vcc, 0
	.set _ZN7rocprim17ROCPRIM_400000_NS6detail17trampoline_kernelINS0_14default_configENS1_35radix_sort_onesweep_config_selectorIilEEZZNS1_29radix_sort_onesweep_iterationIS3_Lb0EPiS7_N6thrust23THRUST_200600_302600_NS10device_ptrIlEESB_jNS0_19identity_decomposerENS1_16block_id_wrapperIjLb1EEEEE10hipError_tT1_PNSt15iterator_traitsISG_E10value_typeET2_T3_PNSH_ISM_E10value_typeET4_T5_PSR_SS_PNS1_23onesweep_lookback_stateEbbT6_jjT7_P12ihipStream_tbENKUlT_T0_SG_SL_E_clIS7_S7_SB_PlEEDaSZ_S10_SG_SL_EUlSZ_E_NS1_11comp_targetILNS1_3genE3ELNS1_11target_archE908ELNS1_3gpuE7ELNS1_3repE0EEENS1_47radix_sort_onesweep_sort_config_static_selectorELNS0_4arch9wavefront6targetE1EEEvSG_.uses_flat_scratch, 0
	.set _ZN7rocprim17ROCPRIM_400000_NS6detail17trampoline_kernelINS0_14default_configENS1_35radix_sort_onesweep_config_selectorIilEEZZNS1_29radix_sort_onesweep_iterationIS3_Lb0EPiS7_N6thrust23THRUST_200600_302600_NS10device_ptrIlEESB_jNS0_19identity_decomposerENS1_16block_id_wrapperIjLb1EEEEE10hipError_tT1_PNSt15iterator_traitsISG_E10value_typeET2_T3_PNSH_ISM_E10value_typeET4_T5_PSR_SS_PNS1_23onesweep_lookback_stateEbbT6_jjT7_P12ihipStream_tbENKUlT_T0_SG_SL_E_clIS7_S7_SB_PlEEDaSZ_S10_SG_SL_EUlSZ_E_NS1_11comp_targetILNS1_3genE3ELNS1_11target_archE908ELNS1_3gpuE7ELNS1_3repE0EEENS1_47radix_sort_onesweep_sort_config_static_selectorELNS0_4arch9wavefront6targetE1EEEvSG_.has_dyn_sized_stack, 0
	.set _ZN7rocprim17ROCPRIM_400000_NS6detail17trampoline_kernelINS0_14default_configENS1_35radix_sort_onesweep_config_selectorIilEEZZNS1_29radix_sort_onesweep_iterationIS3_Lb0EPiS7_N6thrust23THRUST_200600_302600_NS10device_ptrIlEESB_jNS0_19identity_decomposerENS1_16block_id_wrapperIjLb1EEEEE10hipError_tT1_PNSt15iterator_traitsISG_E10value_typeET2_T3_PNSH_ISM_E10value_typeET4_T5_PSR_SS_PNS1_23onesweep_lookback_stateEbbT6_jjT7_P12ihipStream_tbENKUlT_T0_SG_SL_E_clIS7_S7_SB_PlEEDaSZ_S10_SG_SL_EUlSZ_E_NS1_11comp_targetILNS1_3genE3ELNS1_11target_archE908ELNS1_3gpuE7ELNS1_3repE0EEENS1_47radix_sort_onesweep_sort_config_static_selectorELNS0_4arch9wavefront6targetE1EEEvSG_.has_recursion, 0
	.set _ZN7rocprim17ROCPRIM_400000_NS6detail17trampoline_kernelINS0_14default_configENS1_35radix_sort_onesweep_config_selectorIilEEZZNS1_29radix_sort_onesweep_iterationIS3_Lb0EPiS7_N6thrust23THRUST_200600_302600_NS10device_ptrIlEESB_jNS0_19identity_decomposerENS1_16block_id_wrapperIjLb1EEEEE10hipError_tT1_PNSt15iterator_traitsISG_E10value_typeET2_T3_PNSH_ISM_E10value_typeET4_T5_PSR_SS_PNS1_23onesweep_lookback_stateEbbT6_jjT7_P12ihipStream_tbENKUlT_T0_SG_SL_E_clIS7_S7_SB_PlEEDaSZ_S10_SG_SL_EUlSZ_E_NS1_11comp_targetILNS1_3genE3ELNS1_11target_archE908ELNS1_3gpuE7ELNS1_3repE0EEENS1_47radix_sort_onesweep_sort_config_static_selectorELNS0_4arch9wavefront6targetE1EEEvSG_.has_indirect_call, 0
	.section	.AMDGPU.csdata,"",@progbits
; Kernel info:
; codeLenInByte = 0
; TotalNumSgprs: 4
; NumVgprs: 0
; ScratchSize: 0
; MemoryBound: 0
; FloatMode: 240
; IeeeMode: 1
; LDSByteSize: 0 bytes/workgroup (compile time only)
; SGPRBlocks: 0
; VGPRBlocks: 0
; NumSGPRsForWavesPerEU: 4
; NumVGPRsForWavesPerEU: 1
; Occupancy: 10
; WaveLimiterHint : 0
; COMPUTE_PGM_RSRC2:SCRATCH_EN: 0
; COMPUTE_PGM_RSRC2:USER_SGPR: 6
; COMPUTE_PGM_RSRC2:TRAP_HANDLER: 0
; COMPUTE_PGM_RSRC2:TGID_X_EN: 1
; COMPUTE_PGM_RSRC2:TGID_Y_EN: 0
; COMPUTE_PGM_RSRC2:TGID_Z_EN: 0
; COMPUTE_PGM_RSRC2:TIDIG_COMP_CNT: 0
	.section	.text._ZN7rocprim17ROCPRIM_400000_NS6detail17trampoline_kernelINS0_14default_configENS1_35radix_sort_onesweep_config_selectorIilEEZZNS1_29radix_sort_onesweep_iterationIS3_Lb0EPiS7_N6thrust23THRUST_200600_302600_NS10device_ptrIlEESB_jNS0_19identity_decomposerENS1_16block_id_wrapperIjLb1EEEEE10hipError_tT1_PNSt15iterator_traitsISG_E10value_typeET2_T3_PNSH_ISM_E10value_typeET4_T5_PSR_SS_PNS1_23onesweep_lookback_stateEbbT6_jjT7_P12ihipStream_tbENKUlT_T0_SG_SL_E_clIS7_S7_SB_PlEEDaSZ_S10_SG_SL_EUlSZ_E_NS1_11comp_targetILNS1_3genE10ELNS1_11target_archE1201ELNS1_3gpuE5ELNS1_3repE0EEENS1_47radix_sort_onesweep_sort_config_static_selectorELNS0_4arch9wavefront6targetE1EEEvSG_,"axG",@progbits,_ZN7rocprim17ROCPRIM_400000_NS6detail17trampoline_kernelINS0_14default_configENS1_35radix_sort_onesweep_config_selectorIilEEZZNS1_29radix_sort_onesweep_iterationIS3_Lb0EPiS7_N6thrust23THRUST_200600_302600_NS10device_ptrIlEESB_jNS0_19identity_decomposerENS1_16block_id_wrapperIjLb1EEEEE10hipError_tT1_PNSt15iterator_traitsISG_E10value_typeET2_T3_PNSH_ISM_E10value_typeET4_T5_PSR_SS_PNS1_23onesweep_lookback_stateEbbT6_jjT7_P12ihipStream_tbENKUlT_T0_SG_SL_E_clIS7_S7_SB_PlEEDaSZ_S10_SG_SL_EUlSZ_E_NS1_11comp_targetILNS1_3genE10ELNS1_11target_archE1201ELNS1_3gpuE5ELNS1_3repE0EEENS1_47radix_sort_onesweep_sort_config_static_selectorELNS0_4arch9wavefront6targetE1EEEvSG_,comdat
	.protected	_ZN7rocprim17ROCPRIM_400000_NS6detail17trampoline_kernelINS0_14default_configENS1_35radix_sort_onesweep_config_selectorIilEEZZNS1_29radix_sort_onesweep_iterationIS3_Lb0EPiS7_N6thrust23THRUST_200600_302600_NS10device_ptrIlEESB_jNS0_19identity_decomposerENS1_16block_id_wrapperIjLb1EEEEE10hipError_tT1_PNSt15iterator_traitsISG_E10value_typeET2_T3_PNSH_ISM_E10value_typeET4_T5_PSR_SS_PNS1_23onesweep_lookback_stateEbbT6_jjT7_P12ihipStream_tbENKUlT_T0_SG_SL_E_clIS7_S7_SB_PlEEDaSZ_S10_SG_SL_EUlSZ_E_NS1_11comp_targetILNS1_3genE10ELNS1_11target_archE1201ELNS1_3gpuE5ELNS1_3repE0EEENS1_47radix_sort_onesweep_sort_config_static_selectorELNS0_4arch9wavefront6targetE1EEEvSG_ ; -- Begin function _ZN7rocprim17ROCPRIM_400000_NS6detail17trampoline_kernelINS0_14default_configENS1_35radix_sort_onesweep_config_selectorIilEEZZNS1_29radix_sort_onesweep_iterationIS3_Lb0EPiS7_N6thrust23THRUST_200600_302600_NS10device_ptrIlEESB_jNS0_19identity_decomposerENS1_16block_id_wrapperIjLb1EEEEE10hipError_tT1_PNSt15iterator_traitsISG_E10value_typeET2_T3_PNSH_ISM_E10value_typeET4_T5_PSR_SS_PNS1_23onesweep_lookback_stateEbbT6_jjT7_P12ihipStream_tbENKUlT_T0_SG_SL_E_clIS7_S7_SB_PlEEDaSZ_S10_SG_SL_EUlSZ_E_NS1_11comp_targetILNS1_3genE10ELNS1_11target_archE1201ELNS1_3gpuE5ELNS1_3repE0EEENS1_47radix_sort_onesweep_sort_config_static_selectorELNS0_4arch9wavefront6targetE1EEEvSG_
	.globl	_ZN7rocprim17ROCPRIM_400000_NS6detail17trampoline_kernelINS0_14default_configENS1_35radix_sort_onesweep_config_selectorIilEEZZNS1_29radix_sort_onesweep_iterationIS3_Lb0EPiS7_N6thrust23THRUST_200600_302600_NS10device_ptrIlEESB_jNS0_19identity_decomposerENS1_16block_id_wrapperIjLb1EEEEE10hipError_tT1_PNSt15iterator_traitsISG_E10value_typeET2_T3_PNSH_ISM_E10value_typeET4_T5_PSR_SS_PNS1_23onesweep_lookback_stateEbbT6_jjT7_P12ihipStream_tbENKUlT_T0_SG_SL_E_clIS7_S7_SB_PlEEDaSZ_S10_SG_SL_EUlSZ_E_NS1_11comp_targetILNS1_3genE10ELNS1_11target_archE1201ELNS1_3gpuE5ELNS1_3repE0EEENS1_47radix_sort_onesweep_sort_config_static_selectorELNS0_4arch9wavefront6targetE1EEEvSG_
	.p2align	8
	.type	_ZN7rocprim17ROCPRIM_400000_NS6detail17trampoline_kernelINS0_14default_configENS1_35radix_sort_onesweep_config_selectorIilEEZZNS1_29radix_sort_onesweep_iterationIS3_Lb0EPiS7_N6thrust23THRUST_200600_302600_NS10device_ptrIlEESB_jNS0_19identity_decomposerENS1_16block_id_wrapperIjLb1EEEEE10hipError_tT1_PNSt15iterator_traitsISG_E10value_typeET2_T3_PNSH_ISM_E10value_typeET4_T5_PSR_SS_PNS1_23onesweep_lookback_stateEbbT6_jjT7_P12ihipStream_tbENKUlT_T0_SG_SL_E_clIS7_S7_SB_PlEEDaSZ_S10_SG_SL_EUlSZ_E_NS1_11comp_targetILNS1_3genE10ELNS1_11target_archE1201ELNS1_3gpuE5ELNS1_3repE0EEENS1_47radix_sort_onesweep_sort_config_static_selectorELNS0_4arch9wavefront6targetE1EEEvSG_,@function
_ZN7rocprim17ROCPRIM_400000_NS6detail17trampoline_kernelINS0_14default_configENS1_35radix_sort_onesweep_config_selectorIilEEZZNS1_29radix_sort_onesweep_iterationIS3_Lb0EPiS7_N6thrust23THRUST_200600_302600_NS10device_ptrIlEESB_jNS0_19identity_decomposerENS1_16block_id_wrapperIjLb1EEEEE10hipError_tT1_PNSt15iterator_traitsISG_E10value_typeET2_T3_PNSH_ISM_E10value_typeET4_T5_PSR_SS_PNS1_23onesweep_lookback_stateEbbT6_jjT7_P12ihipStream_tbENKUlT_T0_SG_SL_E_clIS7_S7_SB_PlEEDaSZ_S10_SG_SL_EUlSZ_E_NS1_11comp_targetILNS1_3genE10ELNS1_11target_archE1201ELNS1_3gpuE5ELNS1_3repE0EEENS1_47radix_sort_onesweep_sort_config_static_selectorELNS0_4arch9wavefront6targetE1EEEvSG_: ; @_ZN7rocprim17ROCPRIM_400000_NS6detail17trampoline_kernelINS0_14default_configENS1_35radix_sort_onesweep_config_selectorIilEEZZNS1_29radix_sort_onesweep_iterationIS3_Lb0EPiS7_N6thrust23THRUST_200600_302600_NS10device_ptrIlEESB_jNS0_19identity_decomposerENS1_16block_id_wrapperIjLb1EEEEE10hipError_tT1_PNSt15iterator_traitsISG_E10value_typeET2_T3_PNSH_ISM_E10value_typeET4_T5_PSR_SS_PNS1_23onesweep_lookback_stateEbbT6_jjT7_P12ihipStream_tbENKUlT_T0_SG_SL_E_clIS7_S7_SB_PlEEDaSZ_S10_SG_SL_EUlSZ_E_NS1_11comp_targetILNS1_3genE10ELNS1_11target_archE1201ELNS1_3gpuE5ELNS1_3repE0EEENS1_47radix_sort_onesweep_sort_config_static_selectorELNS0_4arch9wavefront6targetE1EEEvSG_
; %bb.0:
	.section	.rodata,"a",@progbits
	.p2align	6, 0x0
	.amdhsa_kernel _ZN7rocprim17ROCPRIM_400000_NS6detail17trampoline_kernelINS0_14default_configENS1_35radix_sort_onesweep_config_selectorIilEEZZNS1_29radix_sort_onesweep_iterationIS3_Lb0EPiS7_N6thrust23THRUST_200600_302600_NS10device_ptrIlEESB_jNS0_19identity_decomposerENS1_16block_id_wrapperIjLb1EEEEE10hipError_tT1_PNSt15iterator_traitsISG_E10value_typeET2_T3_PNSH_ISM_E10value_typeET4_T5_PSR_SS_PNS1_23onesweep_lookback_stateEbbT6_jjT7_P12ihipStream_tbENKUlT_T0_SG_SL_E_clIS7_S7_SB_PlEEDaSZ_S10_SG_SL_EUlSZ_E_NS1_11comp_targetILNS1_3genE10ELNS1_11target_archE1201ELNS1_3gpuE5ELNS1_3repE0EEENS1_47radix_sort_onesweep_sort_config_static_selectorELNS0_4arch9wavefront6targetE1EEEvSG_
		.amdhsa_group_segment_fixed_size 0
		.amdhsa_private_segment_fixed_size 0
		.amdhsa_kernarg_size 88
		.amdhsa_user_sgpr_count 6
		.amdhsa_user_sgpr_private_segment_buffer 1
		.amdhsa_user_sgpr_dispatch_ptr 0
		.amdhsa_user_sgpr_queue_ptr 0
		.amdhsa_user_sgpr_kernarg_segment_ptr 1
		.amdhsa_user_sgpr_dispatch_id 0
		.amdhsa_user_sgpr_flat_scratch_init 0
		.amdhsa_user_sgpr_private_segment_size 0
		.amdhsa_uses_dynamic_stack 0
		.amdhsa_system_sgpr_private_segment_wavefront_offset 0
		.amdhsa_system_sgpr_workgroup_id_x 1
		.amdhsa_system_sgpr_workgroup_id_y 0
		.amdhsa_system_sgpr_workgroup_id_z 0
		.amdhsa_system_sgpr_workgroup_info 0
		.amdhsa_system_vgpr_workitem_id 0
		.amdhsa_next_free_vgpr 1
		.amdhsa_next_free_sgpr 0
		.amdhsa_reserve_vcc 0
		.amdhsa_reserve_flat_scratch 0
		.amdhsa_float_round_mode_32 0
		.amdhsa_float_round_mode_16_64 0
		.amdhsa_float_denorm_mode_32 3
		.amdhsa_float_denorm_mode_16_64 3
		.amdhsa_dx10_clamp 1
		.amdhsa_ieee_mode 1
		.amdhsa_fp16_overflow 0
		.amdhsa_exception_fp_ieee_invalid_op 0
		.amdhsa_exception_fp_denorm_src 0
		.amdhsa_exception_fp_ieee_div_zero 0
		.amdhsa_exception_fp_ieee_overflow 0
		.amdhsa_exception_fp_ieee_underflow 0
		.amdhsa_exception_fp_ieee_inexact 0
		.amdhsa_exception_int_div_zero 0
	.end_amdhsa_kernel
	.section	.text._ZN7rocprim17ROCPRIM_400000_NS6detail17trampoline_kernelINS0_14default_configENS1_35radix_sort_onesweep_config_selectorIilEEZZNS1_29radix_sort_onesweep_iterationIS3_Lb0EPiS7_N6thrust23THRUST_200600_302600_NS10device_ptrIlEESB_jNS0_19identity_decomposerENS1_16block_id_wrapperIjLb1EEEEE10hipError_tT1_PNSt15iterator_traitsISG_E10value_typeET2_T3_PNSH_ISM_E10value_typeET4_T5_PSR_SS_PNS1_23onesweep_lookback_stateEbbT6_jjT7_P12ihipStream_tbENKUlT_T0_SG_SL_E_clIS7_S7_SB_PlEEDaSZ_S10_SG_SL_EUlSZ_E_NS1_11comp_targetILNS1_3genE10ELNS1_11target_archE1201ELNS1_3gpuE5ELNS1_3repE0EEENS1_47radix_sort_onesweep_sort_config_static_selectorELNS0_4arch9wavefront6targetE1EEEvSG_,"axG",@progbits,_ZN7rocprim17ROCPRIM_400000_NS6detail17trampoline_kernelINS0_14default_configENS1_35radix_sort_onesweep_config_selectorIilEEZZNS1_29radix_sort_onesweep_iterationIS3_Lb0EPiS7_N6thrust23THRUST_200600_302600_NS10device_ptrIlEESB_jNS0_19identity_decomposerENS1_16block_id_wrapperIjLb1EEEEE10hipError_tT1_PNSt15iterator_traitsISG_E10value_typeET2_T3_PNSH_ISM_E10value_typeET4_T5_PSR_SS_PNS1_23onesweep_lookback_stateEbbT6_jjT7_P12ihipStream_tbENKUlT_T0_SG_SL_E_clIS7_S7_SB_PlEEDaSZ_S10_SG_SL_EUlSZ_E_NS1_11comp_targetILNS1_3genE10ELNS1_11target_archE1201ELNS1_3gpuE5ELNS1_3repE0EEENS1_47radix_sort_onesweep_sort_config_static_selectorELNS0_4arch9wavefront6targetE1EEEvSG_,comdat
.Lfunc_end881:
	.size	_ZN7rocprim17ROCPRIM_400000_NS6detail17trampoline_kernelINS0_14default_configENS1_35radix_sort_onesweep_config_selectorIilEEZZNS1_29radix_sort_onesweep_iterationIS3_Lb0EPiS7_N6thrust23THRUST_200600_302600_NS10device_ptrIlEESB_jNS0_19identity_decomposerENS1_16block_id_wrapperIjLb1EEEEE10hipError_tT1_PNSt15iterator_traitsISG_E10value_typeET2_T3_PNSH_ISM_E10value_typeET4_T5_PSR_SS_PNS1_23onesweep_lookback_stateEbbT6_jjT7_P12ihipStream_tbENKUlT_T0_SG_SL_E_clIS7_S7_SB_PlEEDaSZ_S10_SG_SL_EUlSZ_E_NS1_11comp_targetILNS1_3genE10ELNS1_11target_archE1201ELNS1_3gpuE5ELNS1_3repE0EEENS1_47radix_sort_onesweep_sort_config_static_selectorELNS0_4arch9wavefront6targetE1EEEvSG_, .Lfunc_end881-_ZN7rocprim17ROCPRIM_400000_NS6detail17trampoline_kernelINS0_14default_configENS1_35radix_sort_onesweep_config_selectorIilEEZZNS1_29radix_sort_onesweep_iterationIS3_Lb0EPiS7_N6thrust23THRUST_200600_302600_NS10device_ptrIlEESB_jNS0_19identity_decomposerENS1_16block_id_wrapperIjLb1EEEEE10hipError_tT1_PNSt15iterator_traitsISG_E10value_typeET2_T3_PNSH_ISM_E10value_typeET4_T5_PSR_SS_PNS1_23onesweep_lookback_stateEbbT6_jjT7_P12ihipStream_tbENKUlT_T0_SG_SL_E_clIS7_S7_SB_PlEEDaSZ_S10_SG_SL_EUlSZ_E_NS1_11comp_targetILNS1_3genE10ELNS1_11target_archE1201ELNS1_3gpuE5ELNS1_3repE0EEENS1_47radix_sort_onesweep_sort_config_static_selectorELNS0_4arch9wavefront6targetE1EEEvSG_
                                        ; -- End function
	.set _ZN7rocprim17ROCPRIM_400000_NS6detail17trampoline_kernelINS0_14default_configENS1_35radix_sort_onesweep_config_selectorIilEEZZNS1_29radix_sort_onesweep_iterationIS3_Lb0EPiS7_N6thrust23THRUST_200600_302600_NS10device_ptrIlEESB_jNS0_19identity_decomposerENS1_16block_id_wrapperIjLb1EEEEE10hipError_tT1_PNSt15iterator_traitsISG_E10value_typeET2_T3_PNSH_ISM_E10value_typeET4_T5_PSR_SS_PNS1_23onesweep_lookback_stateEbbT6_jjT7_P12ihipStream_tbENKUlT_T0_SG_SL_E_clIS7_S7_SB_PlEEDaSZ_S10_SG_SL_EUlSZ_E_NS1_11comp_targetILNS1_3genE10ELNS1_11target_archE1201ELNS1_3gpuE5ELNS1_3repE0EEENS1_47radix_sort_onesweep_sort_config_static_selectorELNS0_4arch9wavefront6targetE1EEEvSG_.num_vgpr, 0
	.set _ZN7rocprim17ROCPRIM_400000_NS6detail17trampoline_kernelINS0_14default_configENS1_35radix_sort_onesweep_config_selectorIilEEZZNS1_29radix_sort_onesweep_iterationIS3_Lb0EPiS7_N6thrust23THRUST_200600_302600_NS10device_ptrIlEESB_jNS0_19identity_decomposerENS1_16block_id_wrapperIjLb1EEEEE10hipError_tT1_PNSt15iterator_traitsISG_E10value_typeET2_T3_PNSH_ISM_E10value_typeET4_T5_PSR_SS_PNS1_23onesweep_lookback_stateEbbT6_jjT7_P12ihipStream_tbENKUlT_T0_SG_SL_E_clIS7_S7_SB_PlEEDaSZ_S10_SG_SL_EUlSZ_E_NS1_11comp_targetILNS1_3genE10ELNS1_11target_archE1201ELNS1_3gpuE5ELNS1_3repE0EEENS1_47radix_sort_onesweep_sort_config_static_selectorELNS0_4arch9wavefront6targetE1EEEvSG_.num_agpr, 0
	.set _ZN7rocprim17ROCPRIM_400000_NS6detail17trampoline_kernelINS0_14default_configENS1_35radix_sort_onesweep_config_selectorIilEEZZNS1_29radix_sort_onesweep_iterationIS3_Lb0EPiS7_N6thrust23THRUST_200600_302600_NS10device_ptrIlEESB_jNS0_19identity_decomposerENS1_16block_id_wrapperIjLb1EEEEE10hipError_tT1_PNSt15iterator_traitsISG_E10value_typeET2_T3_PNSH_ISM_E10value_typeET4_T5_PSR_SS_PNS1_23onesweep_lookback_stateEbbT6_jjT7_P12ihipStream_tbENKUlT_T0_SG_SL_E_clIS7_S7_SB_PlEEDaSZ_S10_SG_SL_EUlSZ_E_NS1_11comp_targetILNS1_3genE10ELNS1_11target_archE1201ELNS1_3gpuE5ELNS1_3repE0EEENS1_47radix_sort_onesweep_sort_config_static_selectorELNS0_4arch9wavefront6targetE1EEEvSG_.numbered_sgpr, 0
	.set _ZN7rocprim17ROCPRIM_400000_NS6detail17trampoline_kernelINS0_14default_configENS1_35radix_sort_onesweep_config_selectorIilEEZZNS1_29radix_sort_onesweep_iterationIS3_Lb0EPiS7_N6thrust23THRUST_200600_302600_NS10device_ptrIlEESB_jNS0_19identity_decomposerENS1_16block_id_wrapperIjLb1EEEEE10hipError_tT1_PNSt15iterator_traitsISG_E10value_typeET2_T3_PNSH_ISM_E10value_typeET4_T5_PSR_SS_PNS1_23onesweep_lookback_stateEbbT6_jjT7_P12ihipStream_tbENKUlT_T0_SG_SL_E_clIS7_S7_SB_PlEEDaSZ_S10_SG_SL_EUlSZ_E_NS1_11comp_targetILNS1_3genE10ELNS1_11target_archE1201ELNS1_3gpuE5ELNS1_3repE0EEENS1_47radix_sort_onesweep_sort_config_static_selectorELNS0_4arch9wavefront6targetE1EEEvSG_.num_named_barrier, 0
	.set _ZN7rocprim17ROCPRIM_400000_NS6detail17trampoline_kernelINS0_14default_configENS1_35radix_sort_onesweep_config_selectorIilEEZZNS1_29radix_sort_onesweep_iterationIS3_Lb0EPiS7_N6thrust23THRUST_200600_302600_NS10device_ptrIlEESB_jNS0_19identity_decomposerENS1_16block_id_wrapperIjLb1EEEEE10hipError_tT1_PNSt15iterator_traitsISG_E10value_typeET2_T3_PNSH_ISM_E10value_typeET4_T5_PSR_SS_PNS1_23onesweep_lookback_stateEbbT6_jjT7_P12ihipStream_tbENKUlT_T0_SG_SL_E_clIS7_S7_SB_PlEEDaSZ_S10_SG_SL_EUlSZ_E_NS1_11comp_targetILNS1_3genE10ELNS1_11target_archE1201ELNS1_3gpuE5ELNS1_3repE0EEENS1_47radix_sort_onesweep_sort_config_static_selectorELNS0_4arch9wavefront6targetE1EEEvSG_.private_seg_size, 0
	.set _ZN7rocprim17ROCPRIM_400000_NS6detail17trampoline_kernelINS0_14default_configENS1_35radix_sort_onesweep_config_selectorIilEEZZNS1_29radix_sort_onesweep_iterationIS3_Lb0EPiS7_N6thrust23THRUST_200600_302600_NS10device_ptrIlEESB_jNS0_19identity_decomposerENS1_16block_id_wrapperIjLb1EEEEE10hipError_tT1_PNSt15iterator_traitsISG_E10value_typeET2_T3_PNSH_ISM_E10value_typeET4_T5_PSR_SS_PNS1_23onesweep_lookback_stateEbbT6_jjT7_P12ihipStream_tbENKUlT_T0_SG_SL_E_clIS7_S7_SB_PlEEDaSZ_S10_SG_SL_EUlSZ_E_NS1_11comp_targetILNS1_3genE10ELNS1_11target_archE1201ELNS1_3gpuE5ELNS1_3repE0EEENS1_47radix_sort_onesweep_sort_config_static_selectorELNS0_4arch9wavefront6targetE1EEEvSG_.uses_vcc, 0
	.set _ZN7rocprim17ROCPRIM_400000_NS6detail17trampoline_kernelINS0_14default_configENS1_35radix_sort_onesweep_config_selectorIilEEZZNS1_29radix_sort_onesweep_iterationIS3_Lb0EPiS7_N6thrust23THRUST_200600_302600_NS10device_ptrIlEESB_jNS0_19identity_decomposerENS1_16block_id_wrapperIjLb1EEEEE10hipError_tT1_PNSt15iterator_traitsISG_E10value_typeET2_T3_PNSH_ISM_E10value_typeET4_T5_PSR_SS_PNS1_23onesweep_lookback_stateEbbT6_jjT7_P12ihipStream_tbENKUlT_T0_SG_SL_E_clIS7_S7_SB_PlEEDaSZ_S10_SG_SL_EUlSZ_E_NS1_11comp_targetILNS1_3genE10ELNS1_11target_archE1201ELNS1_3gpuE5ELNS1_3repE0EEENS1_47radix_sort_onesweep_sort_config_static_selectorELNS0_4arch9wavefront6targetE1EEEvSG_.uses_flat_scratch, 0
	.set _ZN7rocprim17ROCPRIM_400000_NS6detail17trampoline_kernelINS0_14default_configENS1_35radix_sort_onesweep_config_selectorIilEEZZNS1_29radix_sort_onesweep_iterationIS3_Lb0EPiS7_N6thrust23THRUST_200600_302600_NS10device_ptrIlEESB_jNS0_19identity_decomposerENS1_16block_id_wrapperIjLb1EEEEE10hipError_tT1_PNSt15iterator_traitsISG_E10value_typeET2_T3_PNSH_ISM_E10value_typeET4_T5_PSR_SS_PNS1_23onesweep_lookback_stateEbbT6_jjT7_P12ihipStream_tbENKUlT_T0_SG_SL_E_clIS7_S7_SB_PlEEDaSZ_S10_SG_SL_EUlSZ_E_NS1_11comp_targetILNS1_3genE10ELNS1_11target_archE1201ELNS1_3gpuE5ELNS1_3repE0EEENS1_47radix_sort_onesweep_sort_config_static_selectorELNS0_4arch9wavefront6targetE1EEEvSG_.has_dyn_sized_stack, 0
	.set _ZN7rocprim17ROCPRIM_400000_NS6detail17trampoline_kernelINS0_14default_configENS1_35radix_sort_onesweep_config_selectorIilEEZZNS1_29radix_sort_onesweep_iterationIS3_Lb0EPiS7_N6thrust23THRUST_200600_302600_NS10device_ptrIlEESB_jNS0_19identity_decomposerENS1_16block_id_wrapperIjLb1EEEEE10hipError_tT1_PNSt15iterator_traitsISG_E10value_typeET2_T3_PNSH_ISM_E10value_typeET4_T5_PSR_SS_PNS1_23onesweep_lookback_stateEbbT6_jjT7_P12ihipStream_tbENKUlT_T0_SG_SL_E_clIS7_S7_SB_PlEEDaSZ_S10_SG_SL_EUlSZ_E_NS1_11comp_targetILNS1_3genE10ELNS1_11target_archE1201ELNS1_3gpuE5ELNS1_3repE0EEENS1_47radix_sort_onesweep_sort_config_static_selectorELNS0_4arch9wavefront6targetE1EEEvSG_.has_recursion, 0
	.set _ZN7rocprim17ROCPRIM_400000_NS6detail17trampoline_kernelINS0_14default_configENS1_35radix_sort_onesweep_config_selectorIilEEZZNS1_29radix_sort_onesweep_iterationIS3_Lb0EPiS7_N6thrust23THRUST_200600_302600_NS10device_ptrIlEESB_jNS0_19identity_decomposerENS1_16block_id_wrapperIjLb1EEEEE10hipError_tT1_PNSt15iterator_traitsISG_E10value_typeET2_T3_PNSH_ISM_E10value_typeET4_T5_PSR_SS_PNS1_23onesweep_lookback_stateEbbT6_jjT7_P12ihipStream_tbENKUlT_T0_SG_SL_E_clIS7_S7_SB_PlEEDaSZ_S10_SG_SL_EUlSZ_E_NS1_11comp_targetILNS1_3genE10ELNS1_11target_archE1201ELNS1_3gpuE5ELNS1_3repE0EEENS1_47radix_sort_onesweep_sort_config_static_selectorELNS0_4arch9wavefront6targetE1EEEvSG_.has_indirect_call, 0
	.section	.AMDGPU.csdata,"",@progbits
; Kernel info:
; codeLenInByte = 0
; TotalNumSgprs: 4
; NumVgprs: 0
; ScratchSize: 0
; MemoryBound: 0
; FloatMode: 240
; IeeeMode: 1
; LDSByteSize: 0 bytes/workgroup (compile time only)
; SGPRBlocks: 0
; VGPRBlocks: 0
; NumSGPRsForWavesPerEU: 4
; NumVGPRsForWavesPerEU: 1
; Occupancy: 10
; WaveLimiterHint : 0
; COMPUTE_PGM_RSRC2:SCRATCH_EN: 0
; COMPUTE_PGM_RSRC2:USER_SGPR: 6
; COMPUTE_PGM_RSRC2:TRAP_HANDLER: 0
; COMPUTE_PGM_RSRC2:TGID_X_EN: 1
; COMPUTE_PGM_RSRC2:TGID_Y_EN: 0
; COMPUTE_PGM_RSRC2:TGID_Z_EN: 0
; COMPUTE_PGM_RSRC2:TIDIG_COMP_CNT: 0
	.section	.text._ZN7rocprim17ROCPRIM_400000_NS6detail17trampoline_kernelINS0_14default_configENS1_35radix_sort_onesweep_config_selectorIilEEZZNS1_29radix_sort_onesweep_iterationIS3_Lb0EPiS7_N6thrust23THRUST_200600_302600_NS10device_ptrIlEESB_jNS0_19identity_decomposerENS1_16block_id_wrapperIjLb1EEEEE10hipError_tT1_PNSt15iterator_traitsISG_E10value_typeET2_T3_PNSH_ISM_E10value_typeET4_T5_PSR_SS_PNS1_23onesweep_lookback_stateEbbT6_jjT7_P12ihipStream_tbENKUlT_T0_SG_SL_E_clIS7_S7_SB_PlEEDaSZ_S10_SG_SL_EUlSZ_E_NS1_11comp_targetILNS1_3genE9ELNS1_11target_archE1100ELNS1_3gpuE3ELNS1_3repE0EEENS1_47radix_sort_onesweep_sort_config_static_selectorELNS0_4arch9wavefront6targetE1EEEvSG_,"axG",@progbits,_ZN7rocprim17ROCPRIM_400000_NS6detail17trampoline_kernelINS0_14default_configENS1_35radix_sort_onesweep_config_selectorIilEEZZNS1_29radix_sort_onesweep_iterationIS3_Lb0EPiS7_N6thrust23THRUST_200600_302600_NS10device_ptrIlEESB_jNS0_19identity_decomposerENS1_16block_id_wrapperIjLb1EEEEE10hipError_tT1_PNSt15iterator_traitsISG_E10value_typeET2_T3_PNSH_ISM_E10value_typeET4_T5_PSR_SS_PNS1_23onesweep_lookback_stateEbbT6_jjT7_P12ihipStream_tbENKUlT_T0_SG_SL_E_clIS7_S7_SB_PlEEDaSZ_S10_SG_SL_EUlSZ_E_NS1_11comp_targetILNS1_3genE9ELNS1_11target_archE1100ELNS1_3gpuE3ELNS1_3repE0EEENS1_47radix_sort_onesweep_sort_config_static_selectorELNS0_4arch9wavefront6targetE1EEEvSG_,comdat
	.protected	_ZN7rocprim17ROCPRIM_400000_NS6detail17trampoline_kernelINS0_14default_configENS1_35radix_sort_onesweep_config_selectorIilEEZZNS1_29radix_sort_onesweep_iterationIS3_Lb0EPiS7_N6thrust23THRUST_200600_302600_NS10device_ptrIlEESB_jNS0_19identity_decomposerENS1_16block_id_wrapperIjLb1EEEEE10hipError_tT1_PNSt15iterator_traitsISG_E10value_typeET2_T3_PNSH_ISM_E10value_typeET4_T5_PSR_SS_PNS1_23onesweep_lookback_stateEbbT6_jjT7_P12ihipStream_tbENKUlT_T0_SG_SL_E_clIS7_S7_SB_PlEEDaSZ_S10_SG_SL_EUlSZ_E_NS1_11comp_targetILNS1_3genE9ELNS1_11target_archE1100ELNS1_3gpuE3ELNS1_3repE0EEENS1_47radix_sort_onesweep_sort_config_static_selectorELNS0_4arch9wavefront6targetE1EEEvSG_ ; -- Begin function _ZN7rocprim17ROCPRIM_400000_NS6detail17trampoline_kernelINS0_14default_configENS1_35radix_sort_onesweep_config_selectorIilEEZZNS1_29radix_sort_onesweep_iterationIS3_Lb0EPiS7_N6thrust23THRUST_200600_302600_NS10device_ptrIlEESB_jNS0_19identity_decomposerENS1_16block_id_wrapperIjLb1EEEEE10hipError_tT1_PNSt15iterator_traitsISG_E10value_typeET2_T3_PNSH_ISM_E10value_typeET4_T5_PSR_SS_PNS1_23onesweep_lookback_stateEbbT6_jjT7_P12ihipStream_tbENKUlT_T0_SG_SL_E_clIS7_S7_SB_PlEEDaSZ_S10_SG_SL_EUlSZ_E_NS1_11comp_targetILNS1_3genE9ELNS1_11target_archE1100ELNS1_3gpuE3ELNS1_3repE0EEENS1_47radix_sort_onesweep_sort_config_static_selectorELNS0_4arch9wavefront6targetE1EEEvSG_
	.globl	_ZN7rocprim17ROCPRIM_400000_NS6detail17trampoline_kernelINS0_14default_configENS1_35radix_sort_onesweep_config_selectorIilEEZZNS1_29radix_sort_onesweep_iterationIS3_Lb0EPiS7_N6thrust23THRUST_200600_302600_NS10device_ptrIlEESB_jNS0_19identity_decomposerENS1_16block_id_wrapperIjLb1EEEEE10hipError_tT1_PNSt15iterator_traitsISG_E10value_typeET2_T3_PNSH_ISM_E10value_typeET4_T5_PSR_SS_PNS1_23onesweep_lookback_stateEbbT6_jjT7_P12ihipStream_tbENKUlT_T0_SG_SL_E_clIS7_S7_SB_PlEEDaSZ_S10_SG_SL_EUlSZ_E_NS1_11comp_targetILNS1_3genE9ELNS1_11target_archE1100ELNS1_3gpuE3ELNS1_3repE0EEENS1_47radix_sort_onesweep_sort_config_static_selectorELNS0_4arch9wavefront6targetE1EEEvSG_
	.p2align	8
	.type	_ZN7rocprim17ROCPRIM_400000_NS6detail17trampoline_kernelINS0_14default_configENS1_35radix_sort_onesweep_config_selectorIilEEZZNS1_29radix_sort_onesweep_iterationIS3_Lb0EPiS7_N6thrust23THRUST_200600_302600_NS10device_ptrIlEESB_jNS0_19identity_decomposerENS1_16block_id_wrapperIjLb1EEEEE10hipError_tT1_PNSt15iterator_traitsISG_E10value_typeET2_T3_PNSH_ISM_E10value_typeET4_T5_PSR_SS_PNS1_23onesweep_lookback_stateEbbT6_jjT7_P12ihipStream_tbENKUlT_T0_SG_SL_E_clIS7_S7_SB_PlEEDaSZ_S10_SG_SL_EUlSZ_E_NS1_11comp_targetILNS1_3genE9ELNS1_11target_archE1100ELNS1_3gpuE3ELNS1_3repE0EEENS1_47radix_sort_onesweep_sort_config_static_selectorELNS0_4arch9wavefront6targetE1EEEvSG_,@function
_ZN7rocprim17ROCPRIM_400000_NS6detail17trampoline_kernelINS0_14default_configENS1_35radix_sort_onesweep_config_selectorIilEEZZNS1_29radix_sort_onesweep_iterationIS3_Lb0EPiS7_N6thrust23THRUST_200600_302600_NS10device_ptrIlEESB_jNS0_19identity_decomposerENS1_16block_id_wrapperIjLb1EEEEE10hipError_tT1_PNSt15iterator_traitsISG_E10value_typeET2_T3_PNSH_ISM_E10value_typeET4_T5_PSR_SS_PNS1_23onesweep_lookback_stateEbbT6_jjT7_P12ihipStream_tbENKUlT_T0_SG_SL_E_clIS7_S7_SB_PlEEDaSZ_S10_SG_SL_EUlSZ_E_NS1_11comp_targetILNS1_3genE9ELNS1_11target_archE1100ELNS1_3gpuE3ELNS1_3repE0EEENS1_47radix_sort_onesweep_sort_config_static_selectorELNS0_4arch9wavefront6targetE1EEEvSG_: ; @_ZN7rocprim17ROCPRIM_400000_NS6detail17trampoline_kernelINS0_14default_configENS1_35radix_sort_onesweep_config_selectorIilEEZZNS1_29radix_sort_onesweep_iterationIS3_Lb0EPiS7_N6thrust23THRUST_200600_302600_NS10device_ptrIlEESB_jNS0_19identity_decomposerENS1_16block_id_wrapperIjLb1EEEEE10hipError_tT1_PNSt15iterator_traitsISG_E10value_typeET2_T3_PNSH_ISM_E10value_typeET4_T5_PSR_SS_PNS1_23onesweep_lookback_stateEbbT6_jjT7_P12ihipStream_tbENKUlT_T0_SG_SL_E_clIS7_S7_SB_PlEEDaSZ_S10_SG_SL_EUlSZ_E_NS1_11comp_targetILNS1_3genE9ELNS1_11target_archE1100ELNS1_3gpuE3ELNS1_3repE0EEENS1_47radix_sort_onesweep_sort_config_static_selectorELNS0_4arch9wavefront6targetE1EEEvSG_
; %bb.0:
	.section	.rodata,"a",@progbits
	.p2align	6, 0x0
	.amdhsa_kernel _ZN7rocprim17ROCPRIM_400000_NS6detail17trampoline_kernelINS0_14default_configENS1_35radix_sort_onesweep_config_selectorIilEEZZNS1_29radix_sort_onesweep_iterationIS3_Lb0EPiS7_N6thrust23THRUST_200600_302600_NS10device_ptrIlEESB_jNS0_19identity_decomposerENS1_16block_id_wrapperIjLb1EEEEE10hipError_tT1_PNSt15iterator_traitsISG_E10value_typeET2_T3_PNSH_ISM_E10value_typeET4_T5_PSR_SS_PNS1_23onesweep_lookback_stateEbbT6_jjT7_P12ihipStream_tbENKUlT_T0_SG_SL_E_clIS7_S7_SB_PlEEDaSZ_S10_SG_SL_EUlSZ_E_NS1_11comp_targetILNS1_3genE9ELNS1_11target_archE1100ELNS1_3gpuE3ELNS1_3repE0EEENS1_47radix_sort_onesweep_sort_config_static_selectorELNS0_4arch9wavefront6targetE1EEEvSG_
		.amdhsa_group_segment_fixed_size 0
		.amdhsa_private_segment_fixed_size 0
		.amdhsa_kernarg_size 88
		.amdhsa_user_sgpr_count 6
		.amdhsa_user_sgpr_private_segment_buffer 1
		.amdhsa_user_sgpr_dispatch_ptr 0
		.amdhsa_user_sgpr_queue_ptr 0
		.amdhsa_user_sgpr_kernarg_segment_ptr 1
		.amdhsa_user_sgpr_dispatch_id 0
		.amdhsa_user_sgpr_flat_scratch_init 0
		.amdhsa_user_sgpr_private_segment_size 0
		.amdhsa_uses_dynamic_stack 0
		.amdhsa_system_sgpr_private_segment_wavefront_offset 0
		.amdhsa_system_sgpr_workgroup_id_x 1
		.amdhsa_system_sgpr_workgroup_id_y 0
		.amdhsa_system_sgpr_workgroup_id_z 0
		.amdhsa_system_sgpr_workgroup_info 0
		.amdhsa_system_vgpr_workitem_id 0
		.amdhsa_next_free_vgpr 1
		.amdhsa_next_free_sgpr 0
		.amdhsa_reserve_vcc 0
		.amdhsa_reserve_flat_scratch 0
		.amdhsa_float_round_mode_32 0
		.amdhsa_float_round_mode_16_64 0
		.amdhsa_float_denorm_mode_32 3
		.amdhsa_float_denorm_mode_16_64 3
		.amdhsa_dx10_clamp 1
		.amdhsa_ieee_mode 1
		.amdhsa_fp16_overflow 0
		.amdhsa_exception_fp_ieee_invalid_op 0
		.amdhsa_exception_fp_denorm_src 0
		.amdhsa_exception_fp_ieee_div_zero 0
		.amdhsa_exception_fp_ieee_overflow 0
		.amdhsa_exception_fp_ieee_underflow 0
		.amdhsa_exception_fp_ieee_inexact 0
		.amdhsa_exception_int_div_zero 0
	.end_amdhsa_kernel
	.section	.text._ZN7rocprim17ROCPRIM_400000_NS6detail17trampoline_kernelINS0_14default_configENS1_35radix_sort_onesweep_config_selectorIilEEZZNS1_29radix_sort_onesweep_iterationIS3_Lb0EPiS7_N6thrust23THRUST_200600_302600_NS10device_ptrIlEESB_jNS0_19identity_decomposerENS1_16block_id_wrapperIjLb1EEEEE10hipError_tT1_PNSt15iterator_traitsISG_E10value_typeET2_T3_PNSH_ISM_E10value_typeET4_T5_PSR_SS_PNS1_23onesweep_lookback_stateEbbT6_jjT7_P12ihipStream_tbENKUlT_T0_SG_SL_E_clIS7_S7_SB_PlEEDaSZ_S10_SG_SL_EUlSZ_E_NS1_11comp_targetILNS1_3genE9ELNS1_11target_archE1100ELNS1_3gpuE3ELNS1_3repE0EEENS1_47radix_sort_onesweep_sort_config_static_selectorELNS0_4arch9wavefront6targetE1EEEvSG_,"axG",@progbits,_ZN7rocprim17ROCPRIM_400000_NS6detail17trampoline_kernelINS0_14default_configENS1_35radix_sort_onesweep_config_selectorIilEEZZNS1_29radix_sort_onesweep_iterationIS3_Lb0EPiS7_N6thrust23THRUST_200600_302600_NS10device_ptrIlEESB_jNS0_19identity_decomposerENS1_16block_id_wrapperIjLb1EEEEE10hipError_tT1_PNSt15iterator_traitsISG_E10value_typeET2_T3_PNSH_ISM_E10value_typeET4_T5_PSR_SS_PNS1_23onesweep_lookback_stateEbbT6_jjT7_P12ihipStream_tbENKUlT_T0_SG_SL_E_clIS7_S7_SB_PlEEDaSZ_S10_SG_SL_EUlSZ_E_NS1_11comp_targetILNS1_3genE9ELNS1_11target_archE1100ELNS1_3gpuE3ELNS1_3repE0EEENS1_47radix_sort_onesweep_sort_config_static_selectorELNS0_4arch9wavefront6targetE1EEEvSG_,comdat
.Lfunc_end882:
	.size	_ZN7rocprim17ROCPRIM_400000_NS6detail17trampoline_kernelINS0_14default_configENS1_35radix_sort_onesweep_config_selectorIilEEZZNS1_29radix_sort_onesweep_iterationIS3_Lb0EPiS7_N6thrust23THRUST_200600_302600_NS10device_ptrIlEESB_jNS0_19identity_decomposerENS1_16block_id_wrapperIjLb1EEEEE10hipError_tT1_PNSt15iterator_traitsISG_E10value_typeET2_T3_PNSH_ISM_E10value_typeET4_T5_PSR_SS_PNS1_23onesweep_lookback_stateEbbT6_jjT7_P12ihipStream_tbENKUlT_T0_SG_SL_E_clIS7_S7_SB_PlEEDaSZ_S10_SG_SL_EUlSZ_E_NS1_11comp_targetILNS1_3genE9ELNS1_11target_archE1100ELNS1_3gpuE3ELNS1_3repE0EEENS1_47radix_sort_onesweep_sort_config_static_selectorELNS0_4arch9wavefront6targetE1EEEvSG_, .Lfunc_end882-_ZN7rocprim17ROCPRIM_400000_NS6detail17trampoline_kernelINS0_14default_configENS1_35radix_sort_onesweep_config_selectorIilEEZZNS1_29radix_sort_onesweep_iterationIS3_Lb0EPiS7_N6thrust23THRUST_200600_302600_NS10device_ptrIlEESB_jNS0_19identity_decomposerENS1_16block_id_wrapperIjLb1EEEEE10hipError_tT1_PNSt15iterator_traitsISG_E10value_typeET2_T3_PNSH_ISM_E10value_typeET4_T5_PSR_SS_PNS1_23onesweep_lookback_stateEbbT6_jjT7_P12ihipStream_tbENKUlT_T0_SG_SL_E_clIS7_S7_SB_PlEEDaSZ_S10_SG_SL_EUlSZ_E_NS1_11comp_targetILNS1_3genE9ELNS1_11target_archE1100ELNS1_3gpuE3ELNS1_3repE0EEENS1_47radix_sort_onesweep_sort_config_static_selectorELNS0_4arch9wavefront6targetE1EEEvSG_
                                        ; -- End function
	.set _ZN7rocprim17ROCPRIM_400000_NS6detail17trampoline_kernelINS0_14default_configENS1_35radix_sort_onesweep_config_selectorIilEEZZNS1_29radix_sort_onesweep_iterationIS3_Lb0EPiS7_N6thrust23THRUST_200600_302600_NS10device_ptrIlEESB_jNS0_19identity_decomposerENS1_16block_id_wrapperIjLb1EEEEE10hipError_tT1_PNSt15iterator_traitsISG_E10value_typeET2_T3_PNSH_ISM_E10value_typeET4_T5_PSR_SS_PNS1_23onesweep_lookback_stateEbbT6_jjT7_P12ihipStream_tbENKUlT_T0_SG_SL_E_clIS7_S7_SB_PlEEDaSZ_S10_SG_SL_EUlSZ_E_NS1_11comp_targetILNS1_3genE9ELNS1_11target_archE1100ELNS1_3gpuE3ELNS1_3repE0EEENS1_47radix_sort_onesweep_sort_config_static_selectorELNS0_4arch9wavefront6targetE1EEEvSG_.num_vgpr, 0
	.set _ZN7rocprim17ROCPRIM_400000_NS6detail17trampoline_kernelINS0_14default_configENS1_35radix_sort_onesweep_config_selectorIilEEZZNS1_29radix_sort_onesweep_iterationIS3_Lb0EPiS7_N6thrust23THRUST_200600_302600_NS10device_ptrIlEESB_jNS0_19identity_decomposerENS1_16block_id_wrapperIjLb1EEEEE10hipError_tT1_PNSt15iterator_traitsISG_E10value_typeET2_T3_PNSH_ISM_E10value_typeET4_T5_PSR_SS_PNS1_23onesweep_lookback_stateEbbT6_jjT7_P12ihipStream_tbENKUlT_T0_SG_SL_E_clIS7_S7_SB_PlEEDaSZ_S10_SG_SL_EUlSZ_E_NS1_11comp_targetILNS1_3genE9ELNS1_11target_archE1100ELNS1_3gpuE3ELNS1_3repE0EEENS1_47radix_sort_onesweep_sort_config_static_selectorELNS0_4arch9wavefront6targetE1EEEvSG_.num_agpr, 0
	.set _ZN7rocprim17ROCPRIM_400000_NS6detail17trampoline_kernelINS0_14default_configENS1_35radix_sort_onesweep_config_selectorIilEEZZNS1_29radix_sort_onesweep_iterationIS3_Lb0EPiS7_N6thrust23THRUST_200600_302600_NS10device_ptrIlEESB_jNS0_19identity_decomposerENS1_16block_id_wrapperIjLb1EEEEE10hipError_tT1_PNSt15iterator_traitsISG_E10value_typeET2_T3_PNSH_ISM_E10value_typeET4_T5_PSR_SS_PNS1_23onesweep_lookback_stateEbbT6_jjT7_P12ihipStream_tbENKUlT_T0_SG_SL_E_clIS7_S7_SB_PlEEDaSZ_S10_SG_SL_EUlSZ_E_NS1_11comp_targetILNS1_3genE9ELNS1_11target_archE1100ELNS1_3gpuE3ELNS1_3repE0EEENS1_47radix_sort_onesweep_sort_config_static_selectorELNS0_4arch9wavefront6targetE1EEEvSG_.numbered_sgpr, 0
	.set _ZN7rocprim17ROCPRIM_400000_NS6detail17trampoline_kernelINS0_14default_configENS1_35radix_sort_onesweep_config_selectorIilEEZZNS1_29radix_sort_onesweep_iterationIS3_Lb0EPiS7_N6thrust23THRUST_200600_302600_NS10device_ptrIlEESB_jNS0_19identity_decomposerENS1_16block_id_wrapperIjLb1EEEEE10hipError_tT1_PNSt15iterator_traitsISG_E10value_typeET2_T3_PNSH_ISM_E10value_typeET4_T5_PSR_SS_PNS1_23onesweep_lookback_stateEbbT6_jjT7_P12ihipStream_tbENKUlT_T0_SG_SL_E_clIS7_S7_SB_PlEEDaSZ_S10_SG_SL_EUlSZ_E_NS1_11comp_targetILNS1_3genE9ELNS1_11target_archE1100ELNS1_3gpuE3ELNS1_3repE0EEENS1_47radix_sort_onesweep_sort_config_static_selectorELNS0_4arch9wavefront6targetE1EEEvSG_.num_named_barrier, 0
	.set _ZN7rocprim17ROCPRIM_400000_NS6detail17trampoline_kernelINS0_14default_configENS1_35radix_sort_onesweep_config_selectorIilEEZZNS1_29radix_sort_onesweep_iterationIS3_Lb0EPiS7_N6thrust23THRUST_200600_302600_NS10device_ptrIlEESB_jNS0_19identity_decomposerENS1_16block_id_wrapperIjLb1EEEEE10hipError_tT1_PNSt15iterator_traitsISG_E10value_typeET2_T3_PNSH_ISM_E10value_typeET4_T5_PSR_SS_PNS1_23onesweep_lookback_stateEbbT6_jjT7_P12ihipStream_tbENKUlT_T0_SG_SL_E_clIS7_S7_SB_PlEEDaSZ_S10_SG_SL_EUlSZ_E_NS1_11comp_targetILNS1_3genE9ELNS1_11target_archE1100ELNS1_3gpuE3ELNS1_3repE0EEENS1_47radix_sort_onesweep_sort_config_static_selectorELNS0_4arch9wavefront6targetE1EEEvSG_.private_seg_size, 0
	.set _ZN7rocprim17ROCPRIM_400000_NS6detail17trampoline_kernelINS0_14default_configENS1_35radix_sort_onesweep_config_selectorIilEEZZNS1_29radix_sort_onesweep_iterationIS3_Lb0EPiS7_N6thrust23THRUST_200600_302600_NS10device_ptrIlEESB_jNS0_19identity_decomposerENS1_16block_id_wrapperIjLb1EEEEE10hipError_tT1_PNSt15iterator_traitsISG_E10value_typeET2_T3_PNSH_ISM_E10value_typeET4_T5_PSR_SS_PNS1_23onesweep_lookback_stateEbbT6_jjT7_P12ihipStream_tbENKUlT_T0_SG_SL_E_clIS7_S7_SB_PlEEDaSZ_S10_SG_SL_EUlSZ_E_NS1_11comp_targetILNS1_3genE9ELNS1_11target_archE1100ELNS1_3gpuE3ELNS1_3repE0EEENS1_47radix_sort_onesweep_sort_config_static_selectorELNS0_4arch9wavefront6targetE1EEEvSG_.uses_vcc, 0
	.set _ZN7rocprim17ROCPRIM_400000_NS6detail17trampoline_kernelINS0_14default_configENS1_35radix_sort_onesweep_config_selectorIilEEZZNS1_29radix_sort_onesweep_iterationIS3_Lb0EPiS7_N6thrust23THRUST_200600_302600_NS10device_ptrIlEESB_jNS0_19identity_decomposerENS1_16block_id_wrapperIjLb1EEEEE10hipError_tT1_PNSt15iterator_traitsISG_E10value_typeET2_T3_PNSH_ISM_E10value_typeET4_T5_PSR_SS_PNS1_23onesweep_lookback_stateEbbT6_jjT7_P12ihipStream_tbENKUlT_T0_SG_SL_E_clIS7_S7_SB_PlEEDaSZ_S10_SG_SL_EUlSZ_E_NS1_11comp_targetILNS1_3genE9ELNS1_11target_archE1100ELNS1_3gpuE3ELNS1_3repE0EEENS1_47radix_sort_onesweep_sort_config_static_selectorELNS0_4arch9wavefront6targetE1EEEvSG_.uses_flat_scratch, 0
	.set _ZN7rocprim17ROCPRIM_400000_NS6detail17trampoline_kernelINS0_14default_configENS1_35radix_sort_onesweep_config_selectorIilEEZZNS1_29radix_sort_onesweep_iterationIS3_Lb0EPiS7_N6thrust23THRUST_200600_302600_NS10device_ptrIlEESB_jNS0_19identity_decomposerENS1_16block_id_wrapperIjLb1EEEEE10hipError_tT1_PNSt15iterator_traitsISG_E10value_typeET2_T3_PNSH_ISM_E10value_typeET4_T5_PSR_SS_PNS1_23onesweep_lookback_stateEbbT6_jjT7_P12ihipStream_tbENKUlT_T0_SG_SL_E_clIS7_S7_SB_PlEEDaSZ_S10_SG_SL_EUlSZ_E_NS1_11comp_targetILNS1_3genE9ELNS1_11target_archE1100ELNS1_3gpuE3ELNS1_3repE0EEENS1_47radix_sort_onesweep_sort_config_static_selectorELNS0_4arch9wavefront6targetE1EEEvSG_.has_dyn_sized_stack, 0
	.set _ZN7rocprim17ROCPRIM_400000_NS6detail17trampoline_kernelINS0_14default_configENS1_35radix_sort_onesweep_config_selectorIilEEZZNS1_29radix_sort_onesweep_iterationIS3_Lb0EPiS7_N6thrust23THRUST_200600_302600_NS10device_ptrIlEESB_jNS0_19identity_decomposerENS1_16block_id_wrapperIjLb1EEEEE10hipError_tT1_PNSt15iterator_traitsISG_E10value_typeET2_T3_PNSH_ISM_E10value_typeET4_T5_PSR_SS_PNS1_23onesweep_lookback_stateEbbT6_jjT7_P12ihipStream_tbENKUlT_T0_SG_SL_E_clIS7_S7_SB_PlEEDaSZ_S10_SG_SL_EUlSZ_E_NS1_11comp_targetILNS1_3genE9ELNS1_11target_archE1100ELNS1_3gpuE3ELNS1_3repE0EEENS1_47radix_sort_onesweep_sort_config_static_selectorELNS0_4arch9wavefront6targetE1EEEvSG_.has_recursion, 0
	.set _ZN7rocprim17ROCPRIM_400000_NS6detail17trampoline_kernelINS0_14default_configENS1_35radix_sort_onesweep_config_selectorIilEEZZNS1_29radix_sort_onesweep_iterationIS3_Lb0EPiS7_N6thrust23THRUST_200600_302600_NS10device_ptrIlEESB_jNS0_19identity_decomposerENS1_16block_id_wrapperIjLb1EEEEE10hipError_tT1_PNSt15iterator_traitsISG_E10value_typeET2_T3_PNSH_ISM_E10value_typeET4_T5_PSR_SS_PNS1_23onesweep_lookback_stateEbbT6_jjT7_P12ihipStream_tbENKUlT_T0_SG_SL_E_clIS7_S7_SB_PlEEDaSZ_S10_SG_SL_EUlSZ_E_NS1_11comp_targetILNS1_3genE9ELNS1_11target_archE1100ELNS1_3gpuE3ELNS1_3repE0EEENS1_47radix_sort_onesweep_sort_config_static_selectorELNS0_4arch9wavefront6targetE1EEEvSG_.has_indirect_call, 0
	.section	.AMDGPU.csdata,"",@progbits
; Kernel info:
; codeLenInByte = 0
; TotalNumSgprs: 4
; NumVgprs: 0
; ScratchSize: 0
; MemoryBound: 0
; FloatMode: 240
; IeeeMode: 1
; LDSByteSize: 0 bytes/workgroup (compile time only)
; SGPRBlocks: 0
; VGPRBlocks: 0
; NumSGPRsForWavesPerEU: 4
; NumVGPRsForWavesPerEU: 1
; Occupancy: 10
; WaveLimiterHint : 0
; COMPUTE_PGM_RSRC2:SCRATCH_EN: 0
; COMPUTE_PGM_RSRC2:USER_SGPR: 6
; COMPUTE_PGM_RSRC2:TRAP_HANDLER: 0
; COMPUTE_PGM_RSRC2:TGID_X_EN: 1
; COMPUTE_PGM_RSRC2:TGID_Y_EN: 0
; COMPUTE_PGM_RSRC2:TGID_Z_EN: 0
; COMPUTE_PGM_RSRC2:TIDIG_COMP_CNT: 0
	.section	.text._ZN7rocprim17ROCPRIM_400000_NS6detail17trampoline_kernelINS0_14default_configENS1_35radix_sort_onesweep_config_selectorIilEEZZNS1_29radix_sort_onesweep_iterationIS3_Lb0EPiS7_N6thrust23THRUST_200600_302600_NS10device_ptrIlEESB_jNS0_19identity_decomposerENS1_16block_id_wrapperIjLb1EEEEE10hipError_tT1_PNSt15iterator_traitsISG_E10value_typeET2_T3_PNSH_ISM_E10value_typeET4_T5_PSR_SS_PNS1_23onesweep_lookback_stateEbbT6_jjT7_P12ihipStream_tbENKUlT_T0_SG_SL_E_clIS7_S7_SB_PlEEDaSZ_S10_SG_SL_EUlSZ_E_NS1_11comp_targetILNS1_3genE8ELNS1_11target_archE1030ELNS1_3gpuE2ELNS1_3repE0EEENS1_47radix_sort_onesweep_sort_config_static_selectorELNS0_4arch9wavefront6targetE1EEEvSG_,"axG",@progbits,_ZN7rocprim17ROCPRIM_400000_NS6detail17trampoline_kernelINS0_14default_configENS1_35radix_sort_onesweep_config_selectorIilEEZZNS1_29radix_sort_onesweep_iterationIS3_Lb0EPiS7_N6thrust23THRUST_200600_302600_NS10device_ptrIlEESB_jNS0_19identity_decomposerENS1_16block_id_wrapperIjLb1EEEEE10hipError_tT1_PNSt15iterator_traitsISG_E10value_typeET2_T3_PNSH_ISM_E10value_typeET4_T5_PSR_SS_PNS1_23onesweep_lookback_stateEbbT6_jjT7_P12ihipStream_tbENKUlT_T0_SG_SL_E_clIS7_S7_SB_PlEEDaSZ_S10_SG_SL_EUlSZ_E_NS1_11comp_targetILNS1_3genE8ELNS1_11target_archE1030ELNS1_3gpuE2ELNS1_3repE0EEENS1_47radix_sort_onesweep_sort_config_static_selectorELNS0_4arch9wavefront6targetE1EEEvSG_,comdat
	.protected	_ZN7rocprim17ROCPRIM_400000_NS6detail17trampoline_kernelINS0_14default_configENS1_35radix_sort_onesweep_config_selectorIilEEZZNS1_29radix_sort_onesweep_iterationIS3_Lb0EPiS7_N6thrust23THRUST_200600_302600_NS10device_ptrIlEESB_jNS0_19identity_decomposerENS1_16block_id_wrapperIjLb1EEEEE10hipError_tT1_PNSt15iterator_traitsISG_E10value_typeET2_T3_PNSH_ISM_E10value_typeET4_T5_PSR_SS_PNS1_23onesweep_lookback_stateEbbT6_jjT7_P12ihipStream_tbENKUlT_T0_SG_SL_E_clIS7_S7_SB_PlEEDaSZ_S10_SG_SL_EUlSZ_E_NS1_11comp_targetILNS1_3genE8ELNS1_11target_archE1030ELNS1_3gpuE2ELNS1_3repE0EEENS1_47radix_sort_onesweep_sort_config_static_selectorELNS0_4arch9wavefront6targetE1EEEvSG_ ; -- Begin function _ZN7rocprim17ROCPRIM_400000_NS6detail17trampoline_kernelINS0_14default_configENS1_35radix_sort_onesweep_config_selectorIilEEZZNS1_29radix_sort_onesweep_iterationIS3_Lb0EPiS7_N6thrust23THRUST_200600_302600_NS10device_ptrIlEESB_jNS0_19identity_decomposerENS1_16block_id_wrapperIjLb1EEEEE10hipError_tT1_PNSt15iterator_traitsISG_E10value_typeET2_T3_PNSH_ISM_E10value_typeET4_T5_PSR_SS_PNS1_23onesweep_lookback_stateEbbT6_jjT7_P12ihipStream_tbENKUlT_T0_SG_SL_E_clIS7_S7_SB_PlEEDaSZ_S10_SG_SL_EUlSZ_E_NS1_11comp_targetILNS1_3genE8ELNS1_11target_archE1030ELNS1_3gpuE2ELNS1_3repE0EEENS1_47radix_sort_onesweep_sort_config_static_selectorELNS0_4arch9wavefront6targetE1EEEvSG_
	.globl	_ZN7rocprim17ROCPRIM_400000_NS6detail17trampoline_kernelINS0_14default_configENS1_35radix_sort_onesweep_config_selectorIilEEZZNS1_29radix_sort_onesweep_iterationIS3_Lb0EPiS7_N6thrust23THRUST_200600_302600_NS10device_ptrIlEESB_jNS0_19identity_decomposerENS1_16block_id_wrapperIjLb1EEEEE10hipError_tT1_PNSt15iterator_traitsISG_E10value_typeET2_T3_PNSH_ISM_E10value_typeET4_T5_PSR_SS_PNS1_23onesweep_lookback_stateEbbT6_jjT7_P12ihipStream_tbENKUlT_T0_SG_SL_E_clIS7_S7_SB_PlEEDaSZ_S10_SG_SL_EUlSZ_E_NS1_11comp_targetILNS1_3genE8ELNS1_11target_archE1030ELNS1_3gpuE2ELNS1_3repE0EEENS1_47radix_sort_onesweep_sort_config_static_selectorELNS0_4arch9wavefront6targetE1EEEvSG_
	.p2align	8
	.type	_ZN7rocprim17ROCPRIM_400000_NS6detail17trampoline_kernelINS0_14default_configENS1_35radix_sort_onesweep_config_selectorIilEEZZNS1_29radix_sort_onesweep_iterationIS3_Lb0EPiS7_N6thrust23THRUST_200600_302600_NS10device_ptrIlEESB_jNS0_19identity_decomposerENS1_16block_id_wrapperIjLb1EEEEE10hipError_tT1_PNSt15iterator_traitsISG_E10value_typeET2_T3_PNSH_ISM_E10value_typeET4_T5_PSR_SS_PNS1_23onesweep_lookback_stateEbbT6_jjT7_P12ihipStream_tbENKUlT_T0_SG_SL_E_clIS7_S7_SB_PlEEDaSZ_S10_SG_SL_EUlSZ_E_NS1_11comp_targetILNS1_3genE8ELNS1_11target_archE1030ELNS1_3gpuE2ELNS1_3repE0EEENS1_47radix_sort_onesweep_sort_config_static_selectorELNS0_4arch9wavefront6targetE1EEEvSG_,@function
_ZN7rocprim17ROCPRIM_400000_NS6detail17trampoline_kernelINS0_14default_configENS1_35radix_sort_onesweep_config_selectorIilEEZZNS1_29radix_sort_onesweep_iterationIS3_Lb0EPiS7_N6thrust23THRUST_200600_302600_NS10device_ptrIlEESB_jNS0_19identity_decomposerENS1_16block_id_wrapperIjLb1EEEEE10hipError_tT1_PNSt15iterator_traitsISG_E10value_typeET2_T3_PNSH_ISM_E10value_typeET4_T5_PSR_SS_PNS1_23onesweep_lookback_stateEbbT6_jjT7_P12ihipStream_tbENKUlT_T0_SG_SL_E_clIS7_S7_SB_PlEEDaSZ_S10_SG_SL_EUlSZ_E_NS1_11comp_targetILNS1_3genE8ELNS1_11target_archE1030ELNS1_3gpuE2ELNS1_3repE0EEENS1_47radix_sort_onesweep_sort_config_static_selectorELNS0_4arch9wavefront6targetE1EEEvSG_: ; @_ZN7rocprim17ROCPRIM_400000_NS6detail17trampoline_kernelINS0_14default_configENS1_35radix_sort_onesweep_config_selectorIilEEZZNS1_29radix_sort_onesweep_iterationIS3_Lb0EPiS7_N6thrust23THRUST_200600_302600_NS10device_ptrIlEESB_jNS0_19identity_decomposerENS1_16block_id_wrapperIjLb1EEEEE10hipError_tT1_PNSt15iterator_traitsISG_E10value_typeET2_T3_PNSH_ISM_E10value_typeET4_T5_PSR_SS_PNS1_23onesweep_lookback_stateEbbT6_jjT7_P12ihipStream_tbENKUlT_T0_SG_SL_E_clIS7_S7_SB_PlEEDaSZ_S10_SG_SL_EUlSZ_E_NS1_11comp_targetILNS1_3genE8ELNS1_11target_archE1030ELNS1_3gpuE2ELNS1_3repE0EEENS1_47radix_sort_onesweep_sort_config_static_selectorELNS0_4arch9wavefront6targetE1EEEvSG_
; %bb.0:
	.section	.rodata,"a",@progbits
	.p2align	6, 0x0
	.amdhsa_kernel _ZN7rocprim17ROCPRIM_400000_NS6detail17trampoline_kernelINS0_14default_configENS1_35radix_sort_onesweep_config_selectorIilEEZZNS1_29radix_sort_onesweep_iterationIS3_Lb0EPiS7_N6thrust23THRUST_200600_302600_NS10device_ptrIlEESB_jNS0_19identity_decomposerENS1_16block_id_wrapperIjLb1EEEEE10hipError_tT1_PNSt15iterator_traitsISG_E10value_typeET2_T3_PNSH_ISM_E10value_typeET4_T5_PSR_SS_PNS1_23onesweep_lookback_stateEbbT6_jjT7_P12ihipStream_tbENKUlT_T0_SG_SL_E_clIS7_S7_SB_PlEEDaSZ_S10_SG_SL_EUlSZ_E_NS1_11comp_targetILNS1_3genE8ELNS1_11target_archE1030ELNS1_3gpuE2ELNS1_3repE0EEENS1_47radix_sort_onesweep_sort_config_static_selectorELNS0_4arch9wavefront6targetE1EEEvSG_
		.amdhsa_group_segment_fixed_size 0
		.amdhsa_private_segment_fixed_size 0
		.amdhsa_kernarg_size 88
		.amdhsa_user_sgpr_count 6
		.amdhsa_user_sgpr_private_segment_buffer 1
		.amdhsa_user_sgpr_dispatch_ptr 0
		.amdhsa_user_sgpr_queue_ptr 0
		.amdhsa_user_sgpr_kernarg_segment_ptr 1
		.amdhsa_user_sgpr_dispatch_id 0
		.amdhsa_user_sgpr_flat_scratch_init 0
		.amdhsa_user_sgpr_private_segment_size 0
		.amdhsa_uses_dynamic_stack 0
		.amdhsa_system_sgpr_private_segment_wavefront_offset 0
		.amdhsa_system_sgpr_workgroup_id_x 1
		.amdhsa_system_sgpr_workgroup_id_y 0
		.amdhsa_system_sgpr_workgroup_id_z 0
		.amdhsa_system_sgpr_workgroup_info 0
		.amdhsa_system_vgpr_workitem_id 0
		.amdhsa_next_free_vgpr 1
		.amdhsa_next_free_sgpr 0
		.amdhsa_reserve_vcc 0
		.amdhsa_reserve_flat_scratch 0
		.amdhsa_float_round_mode_32 0
		.amdhsa_float_round_mode_16_64 0
		.amdhsa_float_denorm_mode_32 3
		.amdhsa_float_denorm_mode_16_64 3
		.amdhsa_dx10_clamp 1
		.amdhsa_ieee_mode 1
		.amdhsa_fp16_overflow 0
		.amdhsa_exception_fp_ieee_invalid_op 0
		.amdhsa_exception_fp_denorm_src 0
		.amdhsa_exception_fp_ieee_div_zero 0
		.amdhsa_exception_fp_ieee_overflow 0
		.amdhsa_exception_fp_ieee_underflow 0
		.amdhsa_exception_fp_ieee_inexact 0
		.amdhsa_exception_int_div_zero 0
	.end_amdhsa_kernel
	.section	.text._ZN7rocprim17ROCPRIM_400000_NS6detail17trampoline_kernelINS0_14default_configENS1_35radix_sort_onesweep_config_selectorIilEEZZNS1_29radix_sort_onesweep_iterationIS3_Lb0EPiS7_N6thrust23THRUST_200600_302600_NS10device_ptrIlEESB_jNS0_19identity_decomposerENS1_16block_id_wrapperIjLb1EEEEE10hipError_tT1_PNSt15iterator_traitsISG_E10value_typeET2_T3_PNSH_ISM_E10value_typeET4_T5_PSR_SS_PNS1_23onesweep_lookback_stateEbbT6_jjT7_P12ihipStream_tbENKUlT_T0_SG_SL_E_clIS7_S7_SB_PlEEDaSZ_S10_SG_SL_EUlSZ_E_NS1_11comp_targetILNS1_3genE8ELNS1_11target_archE1030ELNS1_3gpuE2ELNS1_3repE0EEENS1_47radix_sort_onesweep_sort_config_static_selectorELNS0_4arch9wavefront6targetE1EEEvSG_,"axG",@progbits,_ZN7rocprim17ROCPRIM_400000_NS6detail17trampoline_kernelINS0_14default_configENS1_35radix_sort_onesweep_config_selectorIilEEZZNS1_29radix_sort_onesweep_iterationIS3_Lb0EPiS7_N6thrust23THRUST_200600_302600_NS10device_ptrIlEESB_jNS0_19identity_decomposerENS1_16block_id_wrapperIjLb1EEEEE10hipError_tT1_PNSt15iterator_traitsISG_E10value_typeET2_T3_PNSH_ISM_E10value_typeET4_T5_PSR_SS_PNS1_23onesweep_lookback_stateEbbT6_jjT7_P12ihipStream_tbENKUlT_T0_SG_SL_E_clIS7_S7_SB_PlEEDaSZ_S10_SG_SL_EUlSZ_E_NS1_11comp_targetILNS1_3genE8ELNS1_11target_archE1030ELNS1_3gpuE2ELNS1_3repE0EEENS1_47radix_sort_onesweep_sort_config_static_selectorELNS0_4arch9wavefront6targetE1EEEvSG_,comdat
.Lfunc_end883:
	.size	_ZN7rocprim17ROCPRIM_400000_NS6detail17trampoline_kernelINS0_14default_configENS1_35radix_sort_onesweep_config_selectorIilEEZZNS1_29radix_sort_onesweep_iterationIS3_Lb0EPiS7_N6thrust23THRUST_200600_302600_NS10device_ptrIlEESB_jNS0_19identity_decomposerENS1_16block_id_wrapperIjLb1EEEEE10hipError_tT1_PNSt15iterator_traitsISG_E10value_typeET2_T3_PNSH_ISM_E10value_typeET4_T5_PSR_SS_PNS1_23onesweep_lookback_stateEbbT6_jjT7_P12ihipStream_tbENKUlT_T0_SG_SL_E_clIS7_S7_SB_PlEEDaSZ_S10_SG_SL_EUlSZ_E_NS1_11comp_targetILNS1_3genE8ELNS1_11target_archE1030ELNS1_3gpuE2ELNS1_3repE0EEENS1_47radix_sort_onesweep_sort_config_static_selectorELNS0_4arch9wavefront6targetE1EEEvSG_, .Lfunc_end883-_ZN7rocprim17ROCPRIM_400000_NS6detail17trampoline_kernelINS0_14default_configENS1_35radix_sort_onesweep_config_selectorIilEEZZNS1_29radix_sort_onesweep_iterationIS3_Lb0EPiS7_N6thrust23THRUST_200600_302600_NS10device_ptrIlEESB_jNS0_19identity_decomposerENS1_16block_id_wrapperIjLb1EEEEE10hipError_tT1_PNSt15iterator_traitsISG_E10value_typeET2_T3_PNSH_ISM_E10value_typeET4_T5_PSR_SS_PNS1_23onesweep_lookback_stateEbbT6_jjT7_P12ihipStream_tbENKUlT_T0_SG_SL_E_clIS7_S7_SB_PlEEDaSZ_S10_SG_SL_EUlSZ_E_NS1_11comp_targetILNS1_3genE8ELNS1_11target_archE1030ELNS1_3gpuE2ELNS1_3repE0EEENS1_47radix_sort_onesweep_sort_config_static_selectorELNS0_4arch9wavefront6targetE1EEEvSG_
                                        ; -- End function
	.set _ZN7rocprim17ROCPRIM_400000_NS6detail17trampoline_kernelINS0_14default_configENS1_35radix_sort_onesweep_config_selectorIilEEZZNS1_29radix_sort_onesweep_iterationIS3_Lb0EPiS7_N6thrust23THRUST_200600_302600_NS10device_ptrIlEESB_jNS0_19identity_decomposerENS1_16block_id_wrapperIjLb1EEEEE10hipError_tT1_PNSt15iterator_traitsISG_E10value_typeET2_T3_PNSH_ISM_E10value_typeET4_T5_PSR_SS_PNS1_23onesweep_lookback_stateEbbT6_jjT7_P12ihipStream_tbENKUlT_T0_SG_SL_E_clIS7_S7_SB_PlEEDaSZ_S10_SG_SL_EUlSZ_E_NS1_11comp_targetILNS1_3genE8ELNS1_11target_archE1030ELNS1_3gpuE2ELNS1_3repE0EEENS1_47radix_sort_onesweep_sort_config_static_selectorELNS0_4arch9wavefront6targetE1EEEvSG_.num_vgpr, 0
	.set _ZN7rocprim17ROCPRIM_400000_NS6detail17trampoline_kernelINS0_14default_configENS1_35radix_sort_onesweep_config_selectorIilEEZZNS1_29radix_sort_onesweep_iterationIS3_Lb0EPiS7_N6thrust23THRUST_200600_302600_NS10device_ptrIlEESB_jNS0_19identity_decomposerENS1_16block_id_wrapperIjLb1EEEEE10hipError_tT1_PNSt15iterator_traitsISG_E10value_typeET2_T3_PNSH_ISM_E10value_typeET4_T5_PSR_SS_PNS1_23onesweep_lookback_stateEbbT6_jjT7_P12ihipStream_tbENKUlT_T0_SG_SL_E_clIS7_S7_SB_PlEEDaSZ_S10_SG_SL_EUlSZ_E_NS1_11comp_targetILNS1_3genE8ELNS1_11target_archE1030ELNS1_3gpuE2ELNS1_3repE0EEENS1_47radix_sort_onesweep_sort_config_static_selectorELNS0_4arch9wavefront6targetE1EEEvSG_.num_agpr, 0
	.set _ZN7rocprim17ROCPRIM_400000_NS6detail17trampoline_kernelINS0_14default_configENS1_35radix_sort_onesweep_config_selectorIilEEZZNS1_29radix_sort_onesweep_iterationIS3_Lb0EPiS7_N6thrust23THRUST_200600_302600_NS10device_ptrIlEESB_jNS0_19identity_decomposerENS1_16block_id_wrapperIjLb1EEEEE10hipError_tT1_PNSt15iterator_traitsISG_E10value_typeET2_T3_PNSH_ISM_E10value_typeET4_T5_PSR_SS_PNS1_23onesweep_lookback_stateEbbT6_jjT7_P12ihipStream_tbENKUlT_T0_SG_SL_E_clIS7_S7_SB_PlEEDaSZ_S10_SG_SL_EUlSZ_E_NS1_11comp_targetILNS1_3genE8ELNS1_11target_archE1030ELNS1_3gpuE2ELNS1_3repE0EEENS1_47radix_sort_onesweep_sort_config_static_selectorELNS0_4arch9wavefront6targetE1EEEvSG_.numbered_sgpr, 0
	.set _ZN7rocprim17ROCPRIM_400000_NS6detail17trampoline_kernelINS0_14default_configENS1_35radix_sort_onesweep_config_selectorIilEEZZNS1_29radix_sort_onesweep_iterationIS3_Lb0EPiS7_N6thrust23THRUST_200600_302600_NS10device_ptrIlEESB_jNS0_19identity_decomposerENS1_16block_id_wrapperIjLb1EEEEE10hipError_tT1_PNSt15iterator_traitsISG_E10value_typeET2_T3_PNSH_ISM_E10value_typeET4_T5_PSR_SS_PNS1_23onesweep_lookback_stateEbbT6_jjT7_P12ihipStream_tbENKUlT_T0_SG_SL_E_clIS7_S7_SB_PlEEDaSZ_S10_SG_SL_EUlSZ_E_NS1_11comp_targetILNS1_3genE8ELNS1_11target_archE1030ELNS1_3gpuE2ELNS1_3repE0EEENS1_47radix_sort_onesweep_sort_config_static_selectorELNS0_4arch9wavefront6targetE1EEEvSG_.num_named_barrier, 0
	.set _ZN7rocprim17ROCPRIM_400000_NS6detail17trampoline_kernelINS0_14default_configENS1_35radix_sort_onesweep_config_selectorIilEEZZNS1_29radix_sort_onesweep_iterationIS3_Lb0EPiS7_N6thrust23THRUST_200600_302600_NS10device_ptrIlEESB_jNS0_19identity_decomposerENS1_16block_id_wrapperIjLb1EEEEE10hipError_tT1_PNSt15iterator_traitsISG_E10value_typeET2_T3_PNSH_ISM_E10value_typeET4_T5_PSR_SS_PNS1_23onesweep_lookback_stateEbbT6_jjT7_P12ihipStream_tbENKUlT_T0_SG_SL_E_clIS7_S7_SB_PlEEDaSZ_S10_SG_SL_EUlSZ_E_NS1_11comp_targetILNS1_3genE8ELNS1_11target_archE1030ELNS1_3gpuE2ELNS1_3repE0EEENS1_47radix_sort_onesweep_sort_config_static_selectorELNS0_4arch9wavefront6targetE1EEEvSG_.private_seg_size, 0
	.set _ZN7rocprim17ROCPRIM_400000_NS6detail17trampoline_kernelINS0_14default_configENS1_35radix_sort_onesweep_config_selectorIilEEZZNS1_29radix_sort_onesweep_iterationIS3_Lb0EPiS7_N6thrust23THRUST_200600_302600_NS10device_ptrIlEESB_jNS0_19identity_decomposerENS1_16block_id_wrapperIjLb1EEEEE10hipError_tT1_PNSt15iterator_traitsISG_E10value_typeET2_T3_PNSH_ISM_E10value_typeET4_T5_PSR_SS_PNS1_23onesweep_lookback_stateEbbT6_jjT7_P12ihipStream_tbENKUlT_T0_SG_SL_E_clIS7_S7_SB_PlEEDaSZ_S10_SG_SL_EUlSZ_E_NS1_11comp_targetILNS1_3genE8ELNS1_11target_archE1030ELNS1_3gpuE2ELNS1_3repE0EEENS1_47radix_sort_onesweep_sort_config_static_selectorELNS0_4arch9wavefront6targetE1EEEvSG_.uses_vcc, 0
	.set _ZN7rocprim17ROCPRIM_400000_NS6detail17trampoline_kernelINS0_14default_configENS1_35radix_sort_onesweep_config_selectorIilEEZZNS1_29radix_sort_onesweep_iterationIS3_Lb0EPiS7_N6thrust23THRUST_200600_302600_NS10device_ptrIlEESB_jNS0_19identity_decomposerENS1_16block_id_wrapperIjLb1EEEEE10hipError_tT1_PNSt15iterator_traitsISG_E10value_typeET2_T3_PNSH_ISM_E10value_typeET4_T5_PSR_SS_PNS1_23onesweep_lookback_stateEbbT6_jjT7_P12ihipStream_tbENKUlT_T0_SG_SL_E_clIS7_S7_SB_PlEEDaSZ_S10_SG_SL_EUlSZ_E_NS1_11comp_targetILNS1_3genE8ELNS1_11target_archE1030ELNS1_3gpuE2ELNS1_3repE0EEENS1_47radix_sort_onesweep_sort_config_static_selectorELNS0_4arch9wavefront6targetE1EEEvSG_.uses_flat_scratch, 0
	.set _ZN7rocprim17ROCPRIM_400000_NS6detail17trampoline_kernelINS0_14default_configENS1_35radix_sort_onesweep_config_selectorIilEEZZNS1_29radix_sort_onesweep_iterationIS3_Lb0EPiS7_N6thrust23THRUST_200600_302600_NS10device_ptrIlEESB_jNS0_19identity_decomposerENS1_16block_id_wrapperIjLb1EEEEE10hipError_tT1_PNSt15iterator_traitsISG_E10value_typeET2_T3_PNSH_ISM_E10value_typeET4_T5_PSR_SS_PNS1_23onesweep_lookback_stateEbbT6_jjT7_P12ihipStream_tbENKUlT_T0_SG_SL_E_clIS7_S7_SB_PlEEDaSZ_S10_SG_SL_EUlSZ_E_NS1_11comp_targetILNS1_3genE8ELNS1_11target_archE1030ELNS1_3gpuE2ELNS1_3repE0EEENS1_47radix_sort_onesweep_sort_config_static_selectorELNS0_4arch9wavefront6targetE1EEEvSG_.has_dyn_sized_stack, 0
	.set _ZN7rocprim17ROCPRIM_400000_NS6detail17trampoline_kernelINS0_14default_configENS1_35radix_sort_onesweep_config_selectorIilEEZZNS1_29radix_sort_onesweep_iterationIS3_Lb0EPiS7_N6thrust23THRUST_200600_302600_NS10device_ptrIlEESB_jNS0_19identity_decomposerENS1_16block_id_wrapperIjLb1EEEEE10hipError_tT1_PNSt15iterator_traitsISG_E10value_typeET2_T3_PNSH_ISM_E10value_typeET4_T5_PSR_SS_PNS1_23onesweep_lookback_stateEbbT6_jjT7_P12ihipStream_tbENKUlT_T0_SG_SL_E_clIS7_S7_SB_PlEEDaSZ_S10_SG_SL_EUlSZ_E_NS1_11comp_targetILNS1_3genE8ELNS1_11target_archE1030ELNS1_3gpuE2ELNS1_3repE0EEENS1_47radix_sort_onesweep_sort_config_static_selectorELNS0_4arch9wavefront6targetE1EEEvSG_.has_recursion, 0
	.set _ZN7rocprim17ROCPRIM_400000_NS6detail17trampoline_kernelINS0_14default_configENS1_35radix_sort_onesweep_config_selectorIilEEZZNS1_29radix_sort_onesweep_iterationIS3_Lb0EPiS7_N6thrust23THRUST_200600_302600_NS10device_ptrIlEESB_jNS0_19identity_decomposerENS1_16block_id_wrapperIjLb1EEEEE10hipError_tT1_PNSt15iterator_traitsISG_E10value_typeET2_T3_PNSH_ISM_E10value_typeET4_T5_PSR_SS_PNS1_23onesweep_lookback_stateEbbT6_jjT7_P12ihipStream_tbENKUlT_T0_SG_SL_E_clIS7_S7_SB_PlEEDaSZ_S10_SG_SL_EUlSZ_E_NS1_11comp_targetILNS1_3genE8ELNS1_11target_archE1030ELNS1_3gpuE2ELNS1_3repE0EEENS1_47radix_sort_onesweep_sort_config_static_selectorELNS0_4arch9wavefront6targetE1EEEvSG_.has_indirect_call, 0
	.section	.AMDGPU.csdata,"",@progbits
; Kernel info:
; codeLenInByte = 0
; TotalNumSgprs: 4
; NumVgprs: 0
; ScratchSize: 0
; MemoryBound: 0
; FloatMode: 240
; IeeeMode: 1
; LDSByteSize: 0 bytes/workgroup (compile time only)
; SGPRBlocks: 0
; VGPRBlocks: 0
; NumSGPRsForWavesPerEU: 4
; NumVGPRsForWavesPerEU: 1
; Occupancy: 10
; WaveLimiterHint : 0
; COMPUTE_PGM_RSRC2:SCRATCH_EN: 0
; COMPUTE_PGM_RSRC2:USER_SGPR: 6
; COMPUTE_PGM_RSRC2:TRAP_HANDLER: 0
; COMPUTE_PGM_RSRC2:TGID_X_EN: 1
; COMPUTE_PGM_RSRC2:TGID_Y_EN: 0
; COMPUTE_PGM_RSRC2:TGID_Z_EN: 0
; COMPUTE_PGM_RSRC2:TIDIG_COMP_CNT: 0
	.section	.text._ZN7rocprim17ROCPRIM_400000_NS6detail17trampoline_kernelINS0_14default_configENS1_35radix_sort_onesweep_config_selectorIilEEZZNS1_29radix_sort_onesweep_iterationIS3_Lb0EPiS7_N6thrust23THRUST_200600_302600_NS10device_ptrIlEESB_jNS0_19identity_decomposerENS1_16block_id_wrapperIjLb1EEEEE10hipError_tT1_PNSt15iterator_traitsISG_E10value_typeET2_T3_PNSH_ISM_E10value_typeET4_T5_PSR_SS_PNS1_23onesweep_lookback_stateEbbT6_jjT7_P12ihipStream_tbENKUlT_T0_SG_SL_E_clIS7_S7_PlSB_EEDaSZ_S10_SG_SL_EUlSZ_E_NS1_11comp_targetILNS1_3genE0ELNS1_11target_archE4294967295ELNS1_3gpuE0ELNS1_3repE0EEENS1_47radix_sort_onesweep_sort_config_static_selectorELNS0_4arch9wavefront6targetE1EEEvSG_,"axG",@progbits,_ZN7rocprim17ROCPRIM_400000_NS6detail17trampoline_kernelINS0_14default_configENS1_35radix_sort_onesweep_config_selectorIilEEZZNS1_29radix_sort_onesweep_iterationIS3_Lb0EPiS7_N6thrust23THRUST_200600_302600_NS10device_ptrIlEESB_jNS0_19identity_decomposerENS1_16block_id_wrapperIjLb1EEEEE10hipError_tT1_PNSt15iterator_traitsISG_E10value_typeET2_T3_PNSH_ISM_E10value_typeET4_T5_PSR_SS_PNS1_23onesweep_lookback_stateEbbT6_jjT7_P12ihipStream_tbENKUlT_T0_SG_SL_E_clIS7_S7_PlSB_EEDaSZ_S10_SG_SL_EUlSZ_E_NS1_11comp_targetILNS1_3genE0ELNS1_11target_archE4294967295ELNS1_3gpuE0ELNS1_3repE0EEENS1_47radix_sort_onesweep_sort_config_static_selectorELNS0_4arch9wavefront6targetE1EEEvSG_,comdat
	.protected	_ZN7rocprim17ROCPRIM_400000_NS6detail17trampoline_kernelINS0_14default_configENS1_35radix_sort_onesweep_config_selectorIilEEZZNS1_29radix_sort_onesweep_iterationIS3_Lb0EPiS7_N6thrust23THRUST_200600_302600_NS10device_ptrIlEESB_jNS0_19identity_decomposerENS1_16block_id_wrapperIjLb1EEEEE10hipError_tT1_PNSt15iterator_traitsISG_E10value_typeET2_T3_PNSH_ISM_E10value_typeET4_T5_PSR_SS_PNS1_23onesweep_lookback_stateEbbT6_jjT7_P12ihipStream_tbENKUlT_T0_SG_SL_E_clIS7_S7_PlSB_EEDaSZ_S10_SG_SL_EUlSZ_E_NS1_11comp_targetILNS1_3genE0ELNS1_11target_archE4294967295ELNS1_3gpuE0ELNS1_3repE0EEENS1_47radix_sort_onesweep_sort_config_static_selectorELNS0_4arch9wavefront6targetE1EEEvSG_ ; -- Begin function _ZN7rocprim17ROCPRIM_400000_NS6detail17trampoline_kernelINS0_14default_configENS1_35radix_sort_onesweep_config_selectorIilEEZZNS1_29radix_sort_onesweep_iterationIS3_Lb0EPiS7_N6thrust23THRUST_200600_302600_NS10device_ptrIlEESB_jNS0_19identity_decomposerENS1_16block_id_wrapperIjLb1EEEEE10hipError_tT1_PNSt15iterator_traitsISG_E10value_typeET2_T3_PNSH_ISM_E10value_typeET4_T5_PSR_SS_PNS1_23onesweep_lookback_stateEbbT6_jjT7_P12ihipStream_tbENKUlT_T0_SG_SL_E_clIS7_S7_PlSB_EEDaSZ_S10_SG_SL_EUlSZ_E_NS1_11comp_targetILNS1_3genE0ELNS1_11target_archE4294967295ELNS1_3gpuE0ELNS1_3repE0EEENS1_47radix_sort_onesweep_sort_config_static_selectorELNS0_4arch9wavefront6targetE1EEEvSG_
	.globl	_ZN7rocprim17ROCPRIM_400000_NS6detail17trampoline_kernelINS0_14default_configENS1_35radix_sort_onesweep_config_selectorIilEEZZNS1_29radix_sort_onesweep_iterationIS3_Lb0EPiS7_N6thrust23THRUST_200600_302600_NS10device_ptrIlEESB_jNS0_19identity_decomposerENS1_16block_id_wrapperIjLb1EEEEE10hipError_tT1_PNSt15iterator_traitsISG_E10value_typeET2_T3_PNSH_ISM_E10value_typeET4_T5_PSR_SS_PNS1_23onesweep_lookback_stateEbbT6_jjT7_P12ihipStream_tbENKUlT_T0_SG_SL_E_clIS7_S7_PlSB_EEDaSZ_S10_SG_SL_EUlSZ_E_NS1_11comp_targetILNS1_3genE0ELNS1_11target_archE4294967295ELNS1_3gpuE0ELNS1_3repE0EEENS1_47radix_sort_onesweep_sort_config_static_selectorELNS0_4arch9wavefront6targetE1EEEvSG_
	.p2align	8
	.type	_ZN7rocprim17ROCPRIM_400000_NS6detail17trampoline_kernelINS0_14default_configENS1_35radix_sort_onesweep_config_selectorIilEEZZNS1_29radix_sort_onesweep_iterationIS3_Lb0EPiS7_N6thrust23THRUST_200600_302600_NS10device_ptrIlEESB_jNS0_19identity_decomposerENS1_16block_id_wrapperIjLb1EEEEE10hipError_tT1_PNSt15iterator_traitsISG_E10value_typeET2_T3_PNSH_ISM_E10value_typeET4_T5_PSR_SS_PNS1_23onesweep_lookback_stateEbbT6_jjT7_P12ihipStream_tbENKUlT_T0_SG_SL_E_clIS7_S7_PlSB_EEDaSZ_S10_SG_SL_EUlSZ_E_NS1_11comp_targetILNS1_3genE0ELNS1_11target_archE4294967295ELNS1_3gpuE0ELNS1_3repE0EEENS1_47radix_sort_onesweep_sort_config_static_selectorELNS0_4arch9wavefront6targetE1EEEvSG_,@function
_ZN7rocprim17ROCPRIM_400000_NS6detail17trampoline_kernelINS0_14default_configENS1_35radix_sort_onesweep_config_selectorIilEEZZNS1_29radix_sort_onesweep_iterationIS3_Lb0EPiS7_N6thrust23THRUST_200600_302600_NS10device_ptrIlEESB_jNS0_19identity_decomposerENS1_16block_id_wrapperIjLb1EEEEE10hipError_tT1_PNSt15iterator_traitsISG_E10value_typeET2_T3_PNSH_ISM_E10value_typeET4_T5_PSR_SS_PNS1_23onesweep_lookback_stateEbbT6_jjT7_P12ihipStream_tbENKUlT_T0_SG_SL_E_clIS7_S7_PlSB_EEDaSZ_S10_SG_SL_EUlSZ_E_NS1_11comp_targetILNS1_3genE0ELNS1_11target_archE4294967295ELNS1_3gpuE0ELNS1_3repE0EEENS1_47radix_sort_onesweep_sort_config_static_selectorELNS0_4arch9wavefront6targetE1EEEvSG_: ; @_ZN7rocprim17ROCPRIM_400000_NS6detail17trampoline_kernelINS0_14default_configENS1_35radix_sort_onesweep_config_selectorIilEEZZNS1_29radix_sort_onesweep_iterationIS3_Lb0EPiS7_N6thrust23THRUST_200600_302600_NS10device_ptrIlEESB_jNS0_19identity_decomposerENS1_16block_id_wrapperIjLb1EEEEE10hipError_tT1_PNSt15iterator_traitsISG_E10value_typeET2_T3_PNSH_ISM_E10value_typeET4_T5_PSR_SS_PNS1_23onesweep_lookback_stateEbbT6_jjT7_P12ihipStream_tbENKUlT_T0_SG_SL_E_clIS7_S7_PlSB_EEDaSZ_S10_SG_SL_EUlSZ_E_NS1_11comp_targetILNS1_3genE0ELNS1_11target_archE4294967295ELNS1_3gpuE0ELNS1_3repE0EEENS1_47radix_sort_onesweep_sort_config_static_selectorELNS0_4arch9wavefront6targetE1EEEvSG_
; %bb.0:
	.section	.rodata,"a",@progbits
	.p2align	6, 0x0
	.amdhsa_kernel _ZN7rocprim17ROCPRIM_400000_NS6detail17trampoline_kernelINS0_14default_configENS1_35radix_sort_onesweep_config_selectorIilEEZZNS1_29radix_sort_onesweep_iterationIS3_Lb0EPiS7_N6thrust23THRUST_200600_302600_NS10device_ptrIlEESB_jNS0_19identity_decomposerENS1_16block_id_wrapperIjLb1EEEEE10hipError_tT1_PNSt15iterator_traitsISG_E10value_typeET2_T3_PNSH_ISM_E10value_typeET4_T5_PSR_SS_PNS1_23onesweep_lookback_stateEbbT6_jjT7_P12ihipStream_tbENKUlT_T0_SG_SL_E_clIS7_S7_PlSB_EEDaSZ_S10_SG_SL_EUlSZ_E_NS1_11comp_targetILNS1_3genE0ELNS1_11target_archE4294967295ELNS1_3gpuE0ELNS1_3repE0EEENS1_47radix_sort_onesweep_sort_config_static_selectorELNS0_4arch9wavefront6targetE1EEEvSG_
		.amdhsa_group_segment_fixed_size 0
		.amdhsa_private_segment_fixed_size 0
		.amdhsa_kernarg_size 88
		.amdhsa_user_sgpr_count 6
		.amdhsa_user_sgpr_private_segment_buffer 1
		.amdhsa_user_sgpr_dispatch_ptr 0
		.amdhsa_user_sgpr_queue_ptr 0
		.amdhsa_user_sgpr_kernarg_segment_ptr 1
		.amdhsa_user_sgpr_dispatch_id 0
		.amdhsa_user_sgpr_flat_scratch_init 0
		.amdhsa_user_sgpr_private_segment_size 0
		.amdhsa_uses_dynamic_stack 0
		.amdhsa_system_sgpr_private_segment_wavefront_offset 0
		.amdhsa_system_sgpr_workgroup_id_x 1
		.amdhsa_system_sgpr_workgroup_id_y 0
		.amdhsa_system_sgpr_workgroup_id_z 0
		.amdhsa_system_sgpr_workgroup_info 0
		.amdhsa_system_vgpr_workitem_id 0
		.amdhsa_next_free_vgpr 1
		.amdhsa_next_free_sgpr 0
		.amdhsa_reserve_vcc 0
		.amdhsa_reserve_flat_scratch 0
		.amdhsa_float_round_mode_32 0
		.amdhsa_float_round_mode_16_64 0
		.amdhsa_float_denorm_mode_32 3
		.amdhsa_float_denorm_mode_16_64 3
		.amdhsa_dx10_clamp 1
		.amdhsa_ieee_mode 1
		.amdhsa_fp16_overflow 0
		.amdhsa_exception_fp_ieee_invalid_op 0
		.amdhsa_exception_fp_denorm_src 0
		.amdhsa_exception_fp_ieee_div_zero 0
		.amdhsa_exception_fp_ieee_overflow 0
		.amdhsa_exception_fp_ieee_underflow 0
		.amdhsa_exception_fp_ieee_inexact 0
		.amdhsa_exception_int_div_zero 0
	.end_amdhsa_kernel
	.section	.text._ZN7rocprim17ROCPRIM_400000_NS6detail17trampoline_kernelINS0_14default_configENS1_35radix_sort_onesweep_config_selectorIilEEZZNS1_29radix_sort_onesweep_iterationIS3_Lb0EPiS7_N6thrust23THRUST_200600_302600_NS10device_ptrIlEESB_jNS0_19identity_decomposerENS1_16block_id_wrapperIjLb1EEEEE10hipError_tT1_PNSt15iterator_traitsISG_E10value_typeET2_T3_PNSH_ISM_E10value_typeET4_T5_PSR_SS_PNS1_23onesweep_lookback_stateEbbT6_jjT7_P12ihipStream_tbENKUlT_T0_SG_SL_E_clIS7_S7_PlSB_EEDaSZ_S10_SG_SL_EUlSZ_E_NS1_11comp_targetILNS1_3genE0ELNS1_11target_archE4294967295ELNS1_3gpuE0ELNS1_3repE0EEENS1_47radix_sort_onesweep_sort_config_static_selectorELNS0_4arch9wavefront6targetE1EEEvSG_,"axG",@progbits,_ZN7rocprim17ROCPRIM_400000_NS6detail17trampoline_kernelINS0_14default_configENS1_35radix_sort_onesweep_config_selectorIilEEZZNS1_29radix_sort_onesweep_iterationIS3_Lb0EPiS7_N6thrust23THRUST_200600_302600_NS10device_ptrIlEESB_jNS0_19identity_decomposerENS1_16block_id_wrapperIjLb1EEEEE10hipError_tT1_PNSt15iterator_traitsISG_E10value_typeET2_T3_PNSH_ISM_E10value_typeET4_T5_PSR_SS_PNS1_23onesweep_lookback_stateEbbT6_jjT7_P12ihipStream_tbENKUlT_T0_SG_SL_E_clIS7_S7_PlSB_EEDaSZ_S10_SG_SL_EUlSZ_E_NS1_11comp_targetILNS1_3genE0ELNS1_11target_archE4294967295ELNS1_3gpuE0ELNS1_3repE0EEENS1_47radix_sort_onesweep_sort_config_static_selectorELNS0_4arch9wavefront6targetE1EEEvSG_,comdat
.Lfunc_end884:
	.size	_ZN7rocprim17ROCPRIM_400000_NS6detail17trampoline_kernelINS0_14default_configENS1_35radix_sort_onesweep_config_selectorIilEEZZNS1_29radix_sort_onesweep_iterationIS3_Lb0EPiS7_N6thrust23THRUST_200600_302600_NS10device_ptrIlEESB_jNS0_19identity_decomposerENS1_16block_id_wrapperIjLb1EEEEE10hipError_tT1_PNSt15iterator_traitsISG_E10value_typeET2_T3_PNSH_ISM_E10value_typeET4_T5_PSR_SS_PNS1_23onesweep_lookback_stateEbbT6_jjT7_P12ihipStream_tbENKUlT_T0_SG_SL_E_clIS7_S7_PlSB_EEDaSZ_S10_SG_SL_EUlSZ_E_NS1_11comp_targetILNS1_3genE0ELNS1_11target_archE4294967295ELNS1_3gpuE0ELNS1_3repE0EEENS1_47radix_sort_onesweep_sort_config_static_selectorELNS0_4arch9wavefront6targetE1EEEvSG_, .Lfunc_end884-_ZN7rocprim17ROCPRIM_400000_NS6detail17trampoline_kernelINS0_14default_configENS1_35radix_sort_onesweep_config_selectorIilEEZZNS1_29radix_sort_onesweep_iterationIS3_Lb0EPiS7_N6thrust23THRUST_200600_302600_NS10device_ptrIlEESB_jNS0_19identity_decomposerENS1_16block_id_wrapperIjLb1EEEEE10hipError_tT1_PNSt15iterator_traitsISG_E10value_typeET2_T3_PNSH_ISM_E10value_typeET4_T5_PSR_SS_PNS1_23onesweep_lookback_stateEbbT6_jjT7_P12ihipStream_tbENKUlT_T0_SG_SL_E_clIS7_S7_PlSB_EEDaSZ_S10_SG_SL_EUlSZ_E_NS1_11comp_targetILNS1_3genE0ELNS1_11target_archE4294967295ELNS1_3gpuE0ELNS1_3repE0EEENS1_47radix_sort_onesweep_sort_config_static_selectorELNS0_4arch9wavefront6targetE1EEEvSG_
                                        ; -- End function
	.set _ZN7rocprim17ROCPRIM_400000_NS6detail17trampoline_kernelINS0_14default_configENS1_35radix_sort_onesweep_config_selectorIilEEZZNS1_29radix_sort_onesweep_iterationIS3_Lb0EPiS7_N6thrust23THRUST_200600_302600_NS10device_ptrIlEESB_jNS0_19identity_decomposerENS1_16block_id_wrapperIjLb1EEEEE10hipError_tT1_PNSt15iterator_traitsISG_E10value_typeET2_T3_PNSH_ISM_E10value_typeET4_T5_PSR_SS_PNS1_23onesweep_lookback_stateEbbT6_jjT7_P12ihipStream_tbENKUlT_T0_SG_SL_E_clIS7_S7_PlSB_EEDaSZ_S10_SG_SL_EUlSZ_E_NS1_11comp_targetILNS1_3genE0ELNS1_11target_archE4294967295ELNS1_3gpuE0ELNS1_3repE0EEENS1_47radix_sort_onesweep_sort_config_static_selectorELNS0_4arch9wavefront6targetE1EEEvSG_.num_vgpr, 0
	.set _ZN7rocprim17ROCPRIM_400000_NS6detail17trampoline_kernelINS0_14default_configENS1_35radix_sort_onesweep_config_selectorIilEEZZNS1_29radix_sort_onesweep_iterationIS3_Lb0EPiS7_N6thrust23THRUST_200600_302600_NS10device_ptrIlEESB_jNS0_19identity_decomposerENS1_16block_id_wrapperIjLb1EEEEE10hipError_tT1_PNSt15iterator_traitsISG_E10value_typeET2_T3_PNSH_ISM_E10value_typeET4_T5_PSR_SS_PNS1_23onesweep_lookback_stateEbbT6_jjT7_P12ihipStream_tbENKUlT_T0_SG_SL_E_clIS7_S7_PlSB_EEDaSZ_S10_SG_SL_EUlSZ_E_NS1_11comp_targetILNS1_3genE0ELNS1_11target_archE4294967295ELNS1_3gpuE0ELNS1_3repE0EEENS1_47radix_sort_onesweep_sort_config_static_selectorELNS0_4arch9wavefront6targetE1EEEvSG_.num_agpr, 0
	.set _ZN7rocprim17ROCPRIM_400000_NS6detail17trampoline_kernelINS0_14default_configENS1_35radix_sort_onesweep_config_selectorIilEEZZNS1_29radix_sort_onesweep_iterationIS3_Lb0EPiS7_N6thrust23THRUST_200600_302600_NS10device_ptrIlEESB_jNS0_19identity_decomposerENS1_16block_id_wrapperIjLb1EEEEE10hipError_tT1_PNSt15iterator_traitsISG_E10value_typeET2_T3_PNSH_ISM_E10value_typeET4_T5_PSR_SS_PNS1_23onesweep_lookback_stateEbbT6_jjT7_P12ihipStream_tbENKUlT_T0_SG_SL_E_clIS7_S7_PlSB_EEDaSZ_S10_SG_SL_EUlSZ_E_NS1_11comp_targetILNS1_3genE0ELNS1_11target_archE4294967295ELNS1_3gpuE0ELNS1_3repE0EEENS1_47radix_sort_onesweep_sort_config_static_selectorELNS0_4arch9wavefront6targetE1EEEvSG_.numbered_sgpr, 0
	.set _ZN7rocprim17ROCPRIM_400000_NS6detail17trampoline_kernelINS0_14default_configENS1_35radix_sort_onesweep_config_selectorIilEEZZNS1_29radix_sort_onesweep_iterationIS3_Lb0EPiS7_N6thrust23THRUST_200600_302600_NS10device_ptrIlEESB_jNS0_19identity_decomposerENS1_16block_id_wrapperIjLb1EEEEE10hipError_tT1_PNSt15iterator_traitsISG_E10value_typeET2_T3_PNSH_ISM_E10value_typeET4_T5_PSR_SS_PNS1_23onesweep_lookback_stateEbbT6_jjT7_P12ihipStream_tbENKUlT_T0_SG_SL_E_clIS7_S7_PlSB_EEDaSZ_S10_SG_SL_EUlSZ_E_NS1_11comp_targetILNS1_3genE0ELNS1_11target_archE4294967295ELNS1_3gpuE0ELNS1_3repE0EEENS1_47radix_sort_onesweep_sort_config_static_selectorELNS0_4arch9wavefront6targetE1EEEvSG_.num_named_barrier, 0
	.set _ZN7rocprim17ROCPRIM_400000_NS6detail17trampoline_kernelINS0_14default_configENS1_35radix_sort_onesweep_config_selectorIilEEZZNS1_29radix_sort_onesweep_iterationIS3_Lb0EPiS7_N6thrust23THRUST_200600_302600_NS10device_ptrIlEESB_jNS0_19identity_decomposerENS1_16block_id_wrapperIjLb1EEEEE10hipError_tT1_PNSt15iterator_traitsISG_E10value_typeET2_T3_PNSH_ISM_E10value_typeET4_T5_PSR_SS_PNS1_23onesweep_lookback_stateEbbT6_jjT7_P12ihipStream_tbENKUlT_T0_SG_SL_E_clIS7_S7_PlSB_EEDaSZ_S10_SG_SL_EUlSZ_E_NS1_11comp_targetILNS1_3genE0ELNS1_11target_archE4294967295ELNS1_3gpuE0ELNS1_3repE0EEENS1_47radix_sort_onesweep_sort_config_static_selectorELNS0_4arch9wavefront6targetE1EEEvSG_.private_seg_size, 0
	.set _ZN7rocprim17ROCPRIM_400000_NS6detail17trampoline_kernelINS0_14default_configENS1_35radix_sort_onesweep_config_selectorIilEEZZNS1_29radix_sort_onesweep_iterationIS3_Lb0EPiS7_N6thrust23THRUST_200600_302600_NS10device_ptrIlEESB_jNS0_19identity_decomposerENS1_16block_id_wrapperIjLb1EEEEE10hipError_tT1_PNSt15iterator_traitsISG_E10value_typeET2_T3_PNSH_ISM_E10value_typeET4_T5_PSR_SS_PNS1_23onesweep_lookback_stateEbbT6_jjT7_P12ihipStream_tbENKUlT_T0_SG_SL_E_clIS7_S7_PlSB_EEDaSZ_S10_SG_SL_EUlSZ_E_NS1_11comp_targetILNS1_3genE0ELNS1_11target_archE4294967295ELNS1_3gpuE0ELNS1_3repE0EEENS1_47radix_sort_onesweep_sort_config_static_selectorELNS0_4arch9wavefront6targetE1EEEvSG_.uses_vcc, 0
	.set _ZN7rocprim17ROCPRIM_400000_NS6detail17trampoline_kernelINS0_14default_configENS1_35radix_sort_onesweep_config_selectorIilEEZZNS1_29radix_sort_onesweep_iterationIS3_Lb0EPiS7_N6thrust23THRUST_200600_302600_NS10device_ptrIlEESB_jNS0_19identity_decomposerENS1_16block_id_wrapperIjLb1EEEEE10hipError_tT1_PNSt15iterator_traitsISG_E10value_typeET2_T3_PNSH_ISM_E10value_typeET4_T5_PSR_SS_PNS1_23onesweep_lookback_stateEbbT6_jjT7_P12ihipStream_tbENKUlT_T0_SG_SL_E_clIS7_S7_PlSB_EEDaSZ_S10_SG_SL_EUlSZ_E_NS1_11comp_targetILNS1_3genE0ELNS1_11target_archE4294967295ELNS1_3gpuE0ELNS1_3repE0EEENS1_47radix_sort_onesweep_sort_config_static_selectorELNS0_4arch9wavefront6targetE1EEEvSG_.uses_flat_scratch, 0
	.set _ZN7rocprim17ROCPRIM_400000_NS6detail17trampoline_kernelINS0_14default_configENS1_35radix_sort_onesweep_config_selectorIilEEZZNS1_29radix_sort_onesweep_iterationIS3_Lb0EPiS7_N6thrust23THRUST_200600_302600_NS10device_ptrIlEESB_jNS0_19identity_decomposerENS1_16block_id_wrapperIjLb1EEEEE10hipError_tT1_PNSt15iterator_traitsISG_E10value_typeET2_T3_PNSH_ISM_E10value_typeET4_T5_PSR_SS_PNS1_23onesweep_lookback_stateEbbT6_jjT7_P12ihipStream_tbENKUlT_T0_SG_SL_E_clIS7_S7_PlSB_EEDaSZ_S10_SG_SL_EUlSZ_E_NS1_11comp_targetILNS1_3genE0ELNS1_11target_archE4294967295ELNS1_3gpuE0ELNS1_3repE0EEENS1_47radix_sort_onesweep_sort_config_static_selectorELNS0_4arch9wavefront6targetE1EEEvSG_.has_dyn_sized_stack, 0
	.set _ZN7rocprim17ROCPRIM_400000_NS6detail17trampoline_kernelINS0_14default_configENS1_35radix_sort_onesweep_config_selectorIilEEZZNS1_29radix_sort_onesweep_iterationIS3_Lb0EPiS7_N6thrust23THRUST_200600_302600_NS10device_ptrIlEESB_jNS0_19identity_decomposerENS1_16block_id_wrapperIjLb1EEEEE10hipError_tT1_PNSt15iterator_traitsISG_E10value_typeET2_T3_PNSH_ISM_E10value_typeET4_T5_PSR_SS_PNS1_23onesweep_lookback_stateEbbT6_jjT7_P12ihipStream_tbENKUlT_T0_SG_SL_E_clIS7_S7_PlSB_EEDaSZ_S10_SG_SL_EUlSZ_E_NS1_11comp_targetILNS1_3genE0ELNS1_11target_archE4294967295ELNS1_3gpuE0ELNS1_3repE0EEENS1_47radix_sort_onesweep_sort_config_static_selectorELNS0_4arch9wavefront6targetE1EEEvSG_.has_recursion, 0
	.set _ZN7rocprim17ROCPRIM_400000_NS6detail17trampoline_kernelINS0_14default_configENS1_35radix_sort_onesweep_config_selectorIilEEZZNS1_29radix_sort_onesweep_iterationIS3_Lb0EPiS7_N6thrust23THRUST_200600_302600_NS10device_ptrIlEESB_jNS0_19identity_decomposerENS1_16block_id_wrapperIjLb1EEEEE10hipError_tT1_PNSt15iterator_traitsISG_E10value_typeET2_T3_PNSH_ISM_E10value_typeET4_T5_PSR_SS_PNS1_23onesweep_lookback_stateEbbT6_jjT7_P12ihipStream_tbENKUlT_T0_SG_SL_E_clIS7_S7_PlSB_EEDaSZ_S10_SG_SL_EUlSZ_E_NS1_11comp_targetILNS1_3genE0ELNS1_11target_archE4294967295ELNS1_3gpuE0ELNS1_3repE0EEENS1_47radix_sort_onesweep_sort_config_static_selectorELNS0_4arch9wavefront6targetE1EEEvSG_.has_indirect_call, 0
	.section	.AMDGPU.csdata,"",@progbits
; Kernel info:
; codeLenInByte = 0
; TotalNumSgprs: 4
; NumVgprs: 0
; ScratchSize: 0
; MemoryBound: 0
; FloatMode: 240
; IeeeMode: 1
; LDSByteSize: 0 bytes/workgroup (compile time only)
; SGPRBlocks: 0
; VGPRBlocks: 0
; NumSGPRsForWavesPerEU: 4
; NumVGPRsForWavesPerEU: 1
; Occupancy: 10
; WaveLimiterHint : 0
; COMPUTE_PGM_RSRC2:SCRATCH_EN: 0
; COMPUTE_PGM_RSRC2:USER_SGPR: 6
; COMPUTE_PGM_RSRC2:TRAP_HANDLER: 0
; COMPUTE_PGM_RSRC2:TGID_X_EN: 1
; COMPUTE_PGM_RSRC2:TGID_Y_EN: 0
; COMPUTE_PGM_RSRC2:TGID_Z_EN: 0
; COMPUTE_PGM_RSRC2:TIDIG_COMP_CNT: 0
	.section	.text._ZN7rocprim17ROCPRIM_400000_NS6detail17trampoline_kernelINS0_14default_configENS1_35radix_sort_onesweep_config_selectorIilEEZZNS1_29radix_sort_onesweep_iterationIS3_Lb0EPiS7_N6thrust23THRUST_200600_302600_NS10device_ptrIlEESB_jNS0_19identity_decomposerENS1_16block_id_wrapperIjLb1EEEEE10hipError_tT1_PNSt15iterator_traitsISG_E10value_typeET2_T3_PNSH_ISM_E10value_typeET4_T5_PSR_SS_PNS1_23onesweep_lookback_stateEbbT6_jjT7_P12ihipStream_tbENKUlT_T0_SG_SL_E_clIS7_S7_PlSB_EEDaSZ_S10_SG_SL_EUlSZ_E_NS1_11comp_targetILNS1_3genE6ELNS1_11target_archE950ELNS1_3gpuE13ELNS1_3repE0EEENS1_47radix_sort_onesweep_sort_config_static_selectorELNS0_4arch9wavefront6targetE1EEEvSG_,"axG",@progbits,_ZN7rocprim17ROCPRIM_400000_NS6detail17trampoline_kernelINS0_14default_configENS1_35radix_sort_onesweep_config_selectorIilEEZZNS1_29radix_sort_onesweep_iterationIS3_Lb0EPiS7_N6thrust23THRUST_200600_302600_NS10device_ptrIlEESB_jNS0_19identity_decomposerENS1_16block_id_wrapperIjLb1EEEEE10hipError_tT1_PNSt15iterator_traitsISG_E10value_typeET2_T3_PNSH_ISM_E10value_typeET4_T5_PSR_SS_PNS1_23onesweep_lookback_stateEbbT6_jjT7_P12ihipStream_tbENKUlT_T0_SG_SL_E_clIS7_S7_PlSB_EEDaSZ_S10_SG_SL_EUlSZ_E_NS1_11comp_targetILNS1_3genE6ELNS1_11target_archE950ELNS1_3gpuE13ELNS1_3repE0EEENS1_47radix_sort_onesweep_sort_config_static_selectorELNS0_4arch9wavefront6targetE1EEEvSG_,comdat
	.protected	_ZN7rocprim17ROCPRIM_400000_NS6detail17trampoline_kernelINS0_14default_configENS1_35radix_sort_onesweep_config_selectorIilEEZZNS1_29radix_sort_onesweep_iterationIS3_Lb0EPiS7_N6thrust23THRUST_200600_302600_NS10device_ptrIlEESB_jNS0_19identity_decomposerENS1_16block_id_wrapperIjLb1EEEEE10hipError_tT1_PNSt15iterator_traitsISG_E10value_typeET2_T3_PNSH_ISM_E10value_typeET4_T5_PSR_SS_PNS1_23onesweep_lookback_stateEbbT6_jjT7_P12ihipStream_tbENKUlT_T0_SG_SL_E_clIS7_S7_PlSB_EEDaSZ_S10_SG_SL_EUlSZ_E_NS1_11comp_targetILNS1_3genE6ELNS1_11target_archE950ELNS1_3gpuE13ELNS1_3repE0EEENS1_47radix_sort_onesweep_sort_config_static_selectorELNS0_4arch9wavefront6targetE1EEEvSG_ ; -- Begin function _ZN7rocprim17ROCPRIM_400000_NS6detail17trampoline_kernelINS0_14default_configENS1_35radix_sort_onesweep_config_selectorIilEEZZNS1_29radix_sort_onesweep_iterationIS3_Lb0EPiS7_N6thrust23THRUST_200600_302600_NS10device_ptrIlEESB_jNS0_19identity_decomposerENS1_16block_id_wrapperIjLb1EEEEE10hipError_tT1_PNSt15iterator_traitsISG_E10value_typeET2_T3_PNSH_ISM_E10value_typeET4_T5_PSR_SS_PNS1_23onesweep_lookback_stateEbbT6_jjT7_P12ihipStream_tbENKUlT_T0_SG_SL_E_clIS7_S7_PlSB_EEDaSZ_S10_SG_SL_EUlSZ_E_NS1_11comp_targetILNS1_3genE6ELNS1_11target_archE950ELNS1_3gpuE13ELNS1_3repE0EEENS1_47radix_sort_onesweep_sort_config_static_selectorELNS0_4arch9wavefront6targetE1EEEvSG_
	.globl	_ZN7rocprim17ROCPRIM_400000_NS6detail17trampoline_kernelINS0_14default_configENS1_35radix_sort_onesweep_config_selectorIilEEZZNS1_29radix_sort_onesweep_iterationIS3_Lb0EPiS7_N6thrust23THRUST_200600_302600_NS10device_ptrIlEESB_jNS0_19identity_decomposerENS1_16block_id_wrapperIjLb1EEEEE10hipError_tT1_PNSt15iterator_traitsISG_E10value_typeET2_T3_PNSH_ISM_E10value_typeET4_T5_PSR_SS_PNS1_23onesweep_lookback_stateEbbT6_jjT7_P12ihipStream_tbENKUlT_T0_SG_SL_E_clIS7_S7_PlSB_EEDaSZ_S10_SG_SL_EUlSZ_E_NS1_11comp_targetILNS1_3genE6ELNS1_11target_archE950ELNS1_3gpuE13ELNS1_3repE0EEENS1_47radix_sort_onesweep_sort_config_static_selectorELNS0_4arch9wavefront6targetE1EEEvSG_
	.p2align	8
	.type	_ZN7rocprim17ROCPRIM_400000_NS6detail17trampoline_kernelINS0_14default_configENS1_35radix_sort_onesweep_config_selectorIilEEZZNS1_29radix_sort_onesweep_iterationIS3_Lb0EPiS7_N6thrust23THRUST_200600_302600_NS10device_ptrIlEESB_jNS0_19identity_decomposerENS1_16block_id_wrapperIjLb1EEEEE10hipError_tT1_PNSt15iterator_traitsISG_E10value_typeET2_T3_PNSH_ISM_E10value_typeET4_T5_PSR_SS_PNS1_23onesweep_lookback_stateEbbT6_jjT7_P12ihipStream_tbENKUlT_T0_SG_SL_E_clIS7_S7_PlSB_EEDaSZ_S10_SG_SL_EUlSZ_E_NS1_11comp_targetILNS1_3genE6ELNS1_11target_archE950ELNS1_3gpuE13ELNS1_3repE0EEENS1_47radix_sort_onesweep_sort_config_static_selectorELNS0_4arch9wavefront6targetE1EEEvSG_,@function
_ZN7rocprim17ROCPRIM_400000_NS6detail17trampoline_kernelINS0_14default_configENS1_35radix_sort_onesweep_config_selectorIilEEZZNS1_29radix_sort_onesweep_iterationIS3_Lb0EPiS7_N6thrust23THRUST_200600_302600_NS10device_ptrIlEESB_jNS0_19identity_decomposerENS1_16block_id_wrapperIjLb1EEEEE10hipError_tT1_PNSt15iterator_traitsISG_E10value_typeET2_T3_PNSH_ISM_E10value_typeET4_T5_PSR_SS_PNS1_23onesweep_lookback_stateEbbT6_jjT7_P12ihipStream_tbENKUlT_T0_SG_SL_E_clIS7_S7_PlSB_EEDaSZ_S10_SG_SL_EUlSZ_E_NS1_11comp_targetILNS1_3genE6ELNS1_11target_archE950ELNS1_3gpuE13ELNS1_3repE0EEENS1_47radix_sort_onesweep_sort_config_static_selectorELNS0_4arch9wavefront6targetE1EEEvSG_: ; @_ZN7rocprim17ROCPRIM_400000_NS6detail17trampoline_kernelINS0_14default_configENS1_35radix_sort_onesweep_config_selectorIilEEZZNS1_29radix_sort_onesweep_iterationIS3_Lb0EPiS7_N6thrust23THRUST_200600_302600_NS10device_ptrIlEESB_jNS0_19identity_decomposerENS1_16block_id_wrapperIjLb1EEEEE10hipError_tT1_PNSt15iterator_traitsISG_E10value_typeET2_T3_PNSH_ISM_E10value_typeET4_T5_PSR_SS_PNS1_23onesweep_lookback_stateEbbT6_jjT7_P12ihipStream_tbENKUlT_T0_SG_SL_E_clIS7_S7_PlSB_EEDaSZ_S10_SG_SL_EUlSZ_E_NS1_11comp_targetILNS1_3genE6ELNS1_11target_archE950ELNS1_3gpuE13ELNS1_3repE0EEENS1_47radix_sort_onesweep_sort_config_static_selectorELNS0_4arch9wavefront6targetE1EEEvSG_
; %bb.0:
	.section	.rodata,"a",@progbits
	.p2align	6, 0x0
	.amdhsa_kernel _ZN7rocprim17ROCPRIM_400000_NS6detail17trampoline_kernelINS0_14default_configENS1_35radix_sort_onesweep_config_selectorIilEEZZNS1_29radix_sort_onesweep_iterationIS3_Lb0EPiS7_N6thrust23THRUST_200600_302600_NS10device_ptrIlEESB_jNS0_19identity_decomposerENS1_16block_id_wrapperIjLb1EEEEE10hipError_tT1_PNSt15iterator_traitsISG_E10value_typeET2_T3_PNSH_ISM_E10value_typeET4_T5_PSR_SS_PNS1_23onesweep_lookback_stateEbbT6_jjT7_P12ihipStream_tbENKUlT_T0_SG_SL_E_clIS7_S7_PlSB_EEDaSZ_S10_SG_SL_EUlSZ_E_NS1_11comp_targetILNS1_3genE6ELNS1_11target_archE950ELNS1_3gpuE13ELNS1_3repE0EEENS1_47radix_sort_onesweep_sort_config_static_selectorELNS0_4arch9wavefront6targetE1EEEvSG_
		.amdhsa_group_segment_fixed_size 0
		.amdhsa_private_segment_fixed_size 0
		.amdhsa_kernarg_size 88
		.amdhsa_user_sgpr_count 6
		.amdhsa_user_sgpr_private_segment_buffer 1
		.amdhsa_user_sgpr_dispatch_ptr 0
		.amdhsa_user_sgpr_queue_ptr 0
		.amdhsa_user_sgpr_kernarg_segment_ptr 1
		.amdhsa_user_sgpr_dispatch_id 0
		.amdhsa_user_sgpr_flat_scratch_init 0
		.amdhsa_user_sgpr_private_segment_size 0
		.amdhsa_uses_dynamic_stack 0
		.amdhsa_system_sgpr_private_segment_wavefront_offset 0
		.amdhsa_system_sgpr_workgroup_id_x 1
		.amdhsa_system_sgpr_workgroup_id_y 0
		.amdhsa_system_sgpr_workgroup_id_z 0
		.amdhsa_system_sgpr_workgroup_info 0
		.amdhsa_system_vgpr_workitem_id 0
		.amdhsa_next_free_vgpr 1
		.amdhsa_next_free_sgpr 0
		.amdhsa_reserve_vcc 0
		.amdhsa_reserve_flat_scratch 0
		.amdhsa_float_round_mode_32 0
		.amdhsa_float_round_mode_16_64 0
		.amdhsa_float_denorm_mode_32 3
		.amdhsa_float_denorm_mode_16_64 3
		.amdhsa_dx10_clamp 1
		.amdhsa_ieee_mode 1
		.amdhsa_fp16_overflow 0
		.amdhsa_exception_fp_ieee_invalid_op 0
		.amdhsa_exception_fp_denorm_src 0
		.amdhsa_exception_fp_ieee_div_zero 0
		.amdhsa_exception_fp_ieee_overflow 0
		.amdhsa_exception_fp_ieee_underflow 0
		.amdhsa_exception_fp_ieee_inexact 0
		.amdhsa_exception_int_div_zero 0
	.end_amdhsa_kernel
	.section	.text._ZN7rocprim17ROCPRIM_400000_NS6detail17trampoline_kernelINS0_14default_configENS1_35radix_sort_onesweep_config_selectorIilEEZZNS1_29radix_sort_onesweep_iterationIS3_Lb0EPiS7_N6thrust23THRUST_200600_302600_NS10device_ptrIlEESB_jNS0_19identity_decomposerENS1_16block_id_wrapperIjLb1EEEEE10hipError_tT1_PNSt15iterator_traitsISG_E10value_typeET2_T3_PNSH_ISM_E10value_typeET4_T5_PSR_SS_PNS1_23onesweep_lookback_stateEbbT6_jjT7_P12ihipStream_tbENKUlT_T0_SG_SL_E_clIS7_S7_PlSB_EEDaSZ_S10_SG_SL_EUlSZ_E_NS1_11comp_targetILNS1_3genE6ELNS1_11target_archE950ELNS1_3gpuE13ELNS1_3repE0EEENS1_47radix_sort_onesweep_sort_config_static_selectorELNS0_4arch9wavefront6targetE1EEEvSG_,"axG",@progbits,_ZN7rocprim17ROCPRIM_400000_NS6detail17trampoline_kernelINS0_14default_configENS1_35radix_sort_onesweep_config_selectorIilEEZZNS1_29radix_sort_onesweep_iterationIS3_Lb0EPiS7_N6thrust23THRUST_200600_302600_NS10device_ptrIlEESB_jNS0_19identity_decomposerENS1_16block_id_wrapperIjLb1EEEEE10hipError_tT1_PNSt15iterator_traitsISG_E10value_typeET2_T3_PNSH_ISM_E10value_typeET4_T5_PSR_SS_PNS1_23onesweep_lookback_stateEbbT6_jjT7_P12ihipStream_tbENKUlT_T0_SG_SL_E_clIS7_S7_PlSB_EEDaSZ_S10_SG_SL_EUlSZ_E_NS1_11comp_targetILNS1_3genE6ELNS1_11target_archE950ELNS1_3gpuE13ELNS1_3repE0EEENS1_47radix_sort_onesweep_sort_config_static_selectorELNS0_4arch9wavefront6targetE1EEEvSG_,comdat
.Lfunc_end885:
	.size	_ZN7rocprim17ROCPRIM_400000_NS6detail17trampoline_kernelINS0_14default_configENS1_35radix_sort_onesweep_config_selectorIilEEZZNS1_29radix_sort_onesweep_iterationIS3_Lb0EPiS7_N6thrust23THRUST_200600_302600_NS10device_ptrIlEESB_jNS0_19identity_decomposerENS1_16block_id_wrapperIjLb1EEEEE10hipError_tT1_PNSt15iterator_traitsISG_E10value_typeET2_T3_PNSH_ISM_E10value_typeET4_T5_PSR_SS_PNS1_23onesweep_lookback_stateEbbT6_jjT7_P12ihipStream_tbENKUlT_T0_SG_SL_E_clIS7_S7_PlSB_EEDaSZ_S10_SG_SL_EUlSZ_E_NS1_11comp_targetILNS1_3genE6ELNS1_11target_archE950ELNS1_3gpuE13ELNS1_3repE0EEENS1_47radix_sort_onesweep_sort_config_static_selectorELNS0_4arch9wavefront6targetE1EEEvSG_, .Lfunc_end885-_ZN7rocprim17ROCPRIM_400000_NS6detail17trampoline_kernelINS0_14default_configENS1_35radix_sort_onesweep_config_selectorIilEEZZNS1_29radix_sort_onesweep_iterationIS3_Lb0EPiS7_N6thrust23THRUST_200600_302600_NS10device_ptrIlEESB_jNS0_19identity_decomposerENS1_16block_id_wrapperIjLb1EEEEE10hipError_tT1_PNSt15iterator_traitsISG_E10value_typeET2_T3_PNSH_ISM_E10value_typeET4_T5_PSR_SS_PNS1_23onesweep_lookback_stateEbbT6_jjT7_P12ihipStream_tbENKUlT_T0_SG_SL_E_clIS7_S7_PlSB_EEDaSZ_S10_SG_SL_EUlSZ_E_NS1_11comp_targetILNS1_3genE6ELNS1_11target_archE950ELNS1_3gpuE13ELNS1_3repE0EEENS1_47radix_sort_onesweep_sort_config_static_selectorELNS0_4arch9wavefront6targetE1EEEvSG_
                                        ; -- End function
	.set _ZN7rocprim17ROCPRIM_400000_NS6detail17trampoline_kernelINS0_14default_configENS1_35radix_sort_onesweep_config_selectorIilEEZZNS1_29radix_sort_onesweep_iterationIS3_Lb0EPiS7_N6thrust23THRUST_200600_302600_NS10device_ptrIlEESB_jNS0_19identity_decomposerENS1_16block_id_wrapperIjLb1EEEEE10hipError_tT1_PNSt15iterator_traitsISG_E10value_typeET2_T3_PNSH_ISM_E10value_typeET4_T5_PSR_SS_PNS1_23onesweep_lookback_stateEbbT6_jjT7_P12ihipStream_tbENKUlT_T0_SG_SL_E_clIS7_S7_PlSB_EEDaSZ_S10_SG_SL_EUlSZ_E_NS1_11comp_targetILNS1_3genE6ELNS1_11target_archE950ELNS1_3gpuE13ELNS1_3repE0EEENS1_47radix_sort_onesweep_sort_config_static_selectorELNS0_4arch9wavefront6targetE1EEEvSG_.num_vgpr, 0
	.set _ZN7rocprim17ROCPRIM_400000_NS6detail17trampoline_kernelINS0_14default_configENS1_35radix_sort_onesweep_config_selectorIilEEZZNS1_29radix_sort_onesweep_iterationIS3_Lb0EPiS7_N6thrust23THRUST_200600_302600_NS10device_ptrIlEESB_jNS0_19identity_decomposerENS1_16block_id_wrapperIjLb1EEEEE10hipError_tT1_PNSt15iterator_traitsISG_E10value_typeET2_T3_PNSH_ISM_E10value_typeET4_T5_PSR_SS_PNS1_23onesweep_lookback_stateEbbT6_jjT7_P12ihipStream_tbENKUlT_T0_SG_SL_E_clIS7_S7_PlSB_EEDaSZ_S10_SG_SL_EUlSZ_E_NS1_11comp_targetILNS1_3genE6ELNS1_11target_archE950ELNS1_3gpuE13ELNS1_3repE0EEENS1_47radix_sort_onesweep_sort_config_static_selectorELNS0_4arch9wavefront6targetE1EEEvSG_.num_agpr, 0
	.set _ZN7rocprim17ROCPRIM_400000_NS6detail17trampoline_kernelINS0_14default_configENS1_35radix_sort_onesweep_config_selectorIilEEZZNS1_29radix_sort_onesweep_iterationIS3_Lb0EPiS7_N6thrust23THRUST_200600_302600_NS10device_ptrIlEESB_jNS0_19identity_decomposerENS1_16block_id_wrapperIjLb1EEEEE10hipError_tT1_PNSt15iterator_traitsISG_E10value_typeET2_T3_PNSH_ISM_E10value_typeET4_T5_PSR_SS_PNS1_23onesweep_lookback_stateEbbT6_jjT7_P12ihipStream_tbENKUlT_T0_SG_SL_E_clIS7_S7_PlSB_EEDaSZ_S10_SG_SL_EUlSZ_E_NS1_11comp_targetILNS1_3genE6ELNS1_11target_archE950ELNS1_3gpuE13ELNS1_3repE0EEENS1_47radix_sort_onesweep_sort_config_static_selectorELNS0_4arch9wavefront6targetE1EEEvSG_.numbered_sgpr, 0
	.set _ZN7rocprim17ROCPRIM_400000_NS6detail17trampoline_kernelINS0_14default_configENS1_35radix_sort_onesweep_config_selectorIilEEZZNS1_29radix_sort_onesweep_iterationIS3_Lb0EPiS7_N6thrust23THRUST_200600_302600_NS10device_ptrIlEESB_jNS0_19identity_decomposerENS1_16block_id_wrapperIjLb1EEEEE10hipError_tT1_PNSt15iterator_traitsISG_E10value_typeET2_T3_PNSH_ISM_E10value_typeET4_T5_PSR_SS_PNS1_23onesweep_lookback_stateEbbT6_jjT7_P12ihipStream_tbENKUlT_T0_SG_SL_E_clIS7_S7_PlSB_EEDaSZ_S10_SG_SL_EUlSZ_E_NS1_11comp_targetILNS1_3genE6ELNS1_11target_archE950ELNS1_3gpuE13ELNS1_3repE0EEENS1_47radix_sort_onesweep_sort_config_static_selectorELNS0_4arch9wavefront6targetE1EEEvSG_.num_named_barrier, 0
	.set _ZN7rocprim17ROCPRIM_400000_NS6detail17trampoline_kernelINS0_14default_configENS1_35radix_sort_onesweep_config_selectorIilEEZZNS1_29radix_sort_onesweep_iterationIS3_Lb0EPiS7_N6thrust23THRUST_200600_302600_NS10device_ptrIlEESB_jNS0_19identity_decomposerENS1_16block_id_wrapperIjLb1EEEEE10hipError_tT1_PNSt15iterator_traitsISG_E10value_typeET2_T3_PNSH_ISM_E10value_typeET4_T5_PSR_SS_PNS1_23onesweep_lookback_stateEbbT6_jjT7_P12ihipStream_tbENKUlT_T0_SG_SL_E_clIS7_S7_PlSB_EEDaSZ_S10_SG_SL_EUlSZ_E_NS1_11comp_targetILNS1_3genE6ELNS1_11target_archE950ELNS1_3gpuE13ELNS1_3repE0EEENS1_47radix_sort_onesweep_sort_config_static_selectorELNS0_4arch9wavefront6targetE1EEEvSG_.private_seg_size, 0
	.set _ZN7rocprim17ROCPRIM_400000_NS6detail17trampoline_kernelINS0_14default_configENS1_35radix_sort_onesweep_config_selectorIilEEZZNS1_29radix_sort_onesweep_iterationIS3_Lb0EPiS7_N6thrust23THRUST_200600_302600_NS10device_ptrIlEESB_jNS0_19identity_decomposerENS1_16block_id_wrapperIjLb1EEEEE10hipError_tT1_PNSt15iterator_traitsISG_E10value_typeET2_T3_PNSH_ISM_E10value_typeET4_T5_PSR_SS_PNS1_23onesweep_lookback_stateEbbT6_jjT7_P12ihipStream_tbENKUlT_T0_SG_SL_E_clIS7_S7_PlSB_EEDaSZ_S10_SG_SL_EUlSZ_E_NS1_11comp_targetILNS1_3genE6ELNS1_11target_archE950ELNS1_3gpuE13ELNS1_3repE0EEENS1_47radix_sort_onesweep_sort_config_static_selectorELNS0_4arch9wavefront6targetE1EEEvSG_.uses_vcc, 0
	.set _ZN7rocprim17ROCPRIM_400000_NS6detail17trampoline_kernelINS0_14default_configENS1_35radix_sort_onesweep_config_selectorIilEEZZNS1_29radix_sort_onesweep_iterationIS3_Lb0EPiS7_N6thrust23THRUST_200600_302600_NS10device_ptrIlEESB_jNS0_19identity_decomposerENS1_16block_id_wrapperIjLb1EEEEE10hipError_tT1_PNSt15iterator_traitsISG_E10value_typeET2_T3_PNSH_ISM_E10value_typeET4_T5_PSR_SS_PNS1_23onesweep_lookback_stateEbbT6_jjT7_P12ihipStream_tbENKUlT_T0_SG_SL_E_clIS7_S7_PlSB_EEDaSZ_S10_SG_SL_EUlSZ_E_NS1_11comp_targetILNS1_3genE6ELNS1_11target_archE950ELNS1_3gpuE13ELNS1_3repE0EEENS1_47radix_sort_onesweep_sort_config_static_selectorELNS0_4arch9wavefront6targetE1EEEvSG_.uses_flat_scratch, 0
	.set _ZN7rocprim17ROCPRIM_400000_NS6detail17trampoline_kernelINS0_14default_configENS1_35radix_sort_onesweep_config_selectorIilEEZZNS1_29radix_sort_onesweep_iterationIS3_Lb0EPiS7_N6thrust23THRUST_200600_302600_NS10device_ptrIlEESB_jNS0_19identity_decomposerENS1_16block_id_wrapperIjLb1EEEEE10hipError_tT1_PNSt15iterator_traitsISG_E10value_typeET2_T3_PNSH_ISM_E10value_typeET4_T5_PSR_SS_PNS1_23onesweep_lookback_stateEbbT6_jjT7_P12ihipStream_tbENKUlT_T0_SG_SL_E_clIS7_S7_PlSB_EEDaSZ_S10_SG_SL_EUlSZ_E_NS1_11comp_targetILNS1_3genE6ELNS1_11target_archE950ELNS1_3gpuE13ELNS1_3repE0EEENS1_47radix_sort_onesweep_sort_config_static_selectorELNS0_4arch9wavefront6targetE1EEEvSG_.has_dyn_sized_stack, 0
	.set _ZN7rocprim17ROCPRIM_400000_NS6detail17trampoline_kernelINS0_14default_configENS1_35radix_sort_onesweep_config_selectorIilEEZZNS1_29radix_sort_onesweep_iterationIS3_Lb0EPiS7_N6thrust23THRUST_200600_302600_NS10device_ptrIlEESB_jNS0_19identity_decomposerENS1_16block_id_wrapperIjLb1EEEEE10hipError_tT1_PNSt15iterator_traitsISG_E10value_typeET2_T3_PNSH_ISM_E10value_typeET4_T5_PSR_SS_PNS1_23onesweep_lookback_stateEbbT6_jjT7_P12ihipStream_tbENKUlT_T0_SG_SL_E_clIS7_S7_PlSB_EEDaSZ_S10_SG_SL_EUlSZ_E_NS1_11comp_targetILNS1_3genE6ELNS1_11target_archE950ELNS1_3gpuE13ELNS1_3repE0EEENS1_47radix_sort_onesweep_sort_config_static_selectorELNS0_4arch9wavefront6targetE1EEEvSG_.has_recursion, 0
	.set _ZN7rocprim17ROCPRIM_400000_NS6detail17trampoline_kernelINS0_14default_configENS1_35radix_sort_onesweep_config_selectorIilEEZZNS1_29radix_sort_onesweep_iterationIS3_Lb0EPiS7_N6thrust23THRUST_200600_302600_NS10device_ptrIlEESB_jNS0_19identity_decomposerENS1_16block_id_wrapperIjLb1EEEEE10hipError_tT1_PNSt15iterator_traitsISG_E10value_typeET2_T3_PNSH_ISM_E10value_typeET4_T5_PSR_SS_PNS1_23onesweep_lookback_stateEbbT6_jjT7_P12ihipStream_tbENKUlT_T0_SG_SL_E_clIS7_S7_PlSB_EEDaSZ_S10_SG_SL_EUlSZ_E_NS1_11comp_targetILNS1_3genE6ELNS1_11target_archE950ELNS1_3gpuE13ELNS1_3repE0EEENS1_47radix_sort_onesweep_sort_config_static_selectorELNS0_4arch9wavefront6targetE1EEEvSG_.has_indirect_call, 0
	.section	.AMDGPU.csdata,"",@progbits
; Kernel info:
; codeLenInByte = 0
; TotalNumSgprs: 4
; NumVgprs: 0
; ScratchSize: 0
; MemoryBound: 0
; FloatMode: 240
; IeeeMode: 1
; LDSByteSize: 0 bytes/workgroup (compile time only)
; SGPRBlocks: 0
; VGPRBlocks: 0
; NumSGPRsForWavesPerEU: 4
; NumVGPRsForWavesPerEU: 1
; Occupancy: 10
; WaveLimiterHint : 0
; COMPUTE_PGM_RSRC2:SCRATCH_EN: 0
; COMPUTE_PGM_RSRC2:USER_SGPR: 6
; COMPUTE_PGM_RSRC2:TRAP_HANDLER: 0
; COMPUTE_PGM_RSRC2:TGID_X_EN: 1
; COMPUTE_PGM_RSRC2:TGID_Y_EN: 0
; COMPUTE_PGM_RSRC2:TGID_Z_EN: 0
; COMPUTE_PGM_RSRC2:TIDIG_COMP_CNT: 0
	.section	.text._ZN7rocprim17ROCPRIM_400000_NS6detail17trampoline_kernelINS0_14default_configENS1_35radix_sort_onesweep_config_selectorIilEEZZNS1_29radix_sort_onesweep_iterationIS3_Lb0EPiS7_N6thrust23THRUST_200600_302600_NS10device_ptrIlEESB_jNS0_19identity_decomposerENS1_16block_id_wrapperIjLb1EEEEE10hipError_tT1_PNSt15iterator_traitsISG_E10value_typeET2_T3_PNSH_ISM_E10value_typeET4_T5_PSR_SS_PNS1_23onesweep_lookback_stateEbbT6_jjT7_P12ihipStream_tbENKUlT_T0_SG_SL_E_clIS7_S7_PlSB_EEDaSZ_S10_SG_SL_EUlSZ_E_NS1_11comp_targetILNS1_3genE5ELNS1_11target_archE942ELNS1_3gpuE9ELNS1_3repE0EEENS1_47radix_sort_onesweep_sort_config_static_selectorELNS0_4arch9wavefront6targetE1EEEvSG_,"axG",@progbits,_ZN7rocprim17ROCPRIM_400000_NS6detail17trampoline_kernelINS0_14default_configENS1_35radix_sort_onesweep_config_selectorIilEEZZNS1_29radix_sort_onesweep_iterationIS3_Lb0EPiS7_N6thrust23THRUST_200600_302600_NS10device_ptrIlEESB_jNS0_19identity_decomposerENS1_16block_id_wrapperIjLb1EEEEE10hipError_tT1_PNSt15iterator_traitsISG_E10value_typeET2_T3_PNSH_ISM_E10value_typeET4_T5_PSR_SS_PNS1_23onesweep_lookback_stateEbbT6_jjT7_P12ihipStream_tbENKUlT_T0_SG_SL_E_clIS7_S7_PlSB_EEDaSZ_S10_SG_SL_EUlSZ_E_NS1_11comp_targetILNS1_3genE5ELNS1_11target_archE942ELNS1_3gpuE9ELNS1_3repE0EEENS1_47radix_sort_onesweep_sort_config_static_selectorELNS0_4arch9wavefront6targetE1EEEvSG_,comdat
	.protected	_ZN7rocprim17ROCPRIM_400000_NS6detail17trampoline_kernelINS0_14default_configENS1_35radix_sort_onesweep_config_selectorIilEEZZNS1_29radix_sort_onesweep_iterationIS3_Lb0EPiS7_N6thrust23THRUST_200600_302600_NS10device_ptrIlEESB_jNS0_19identity_decomposerENS1_16block_id_wrapperIjLb1EEEEE10hipError_tT1_PNSt15iterator_traitsISG_E10value_typeET2_T3_PNSH_ISM_E10value_typeET4_T5_PSR_SS_PNS1_23onesweep_lookback_stateEbbT6_jjT7_P12ihipStream_tbENKUlT_T0_SG_SL_E_clIS7_S7_PlSB_EEDaSZ_S10_SG_SL_EUlSZ_E_NS1_11comp_targetILNS1_3genE5ELNS1_11target_archE942ELNS1_3gpuE9ELNS1_3repE0EEENS1_47radix_sort_onesweep_sort_config_static_selectorELNS0_4arch9wavefront6targetE1EEEvSG_ ; -- Begin function _ZN7rocprim17ROCPRIM_400000_NS6detail17trampoline_kernelINS0_14default_configENS1_35radix_sort_onesweep_config_selectorIilEEZZNS1_29radix_sort_onesweep_iterationIS3_Lb0EPiS7_N6thrust23THRUST_200600_302600_NS10device_ptrIlEESB_jNS0_19identity_decomposerENS1_16block_id_wrapperIjLb1EEEEE10hipError_tT1_PNSt15iterator_traitsISG_E10value_typeET2_T3_PNSH_ISM_E10value_typeET4_T5_PSR_SS_PNS1_23onesweep_lookback_stateEbbT6_jjT7_P12ihipStream_tbENKUlT_T0_SG_SL_E_clIS7_S7_PlSB_EEDaSZ_S10_SG_SL_EUlSZ_E_NS1_11comp_targetILNS1_3genE5ELNS1_11target_archE942ELNS1_3gpuE9ELNS1_3repE0EEENS1_47radix_sort_onesweep_sort_config_static_selectorELNS0_4arch9wavefront6targetE1EEEvSG_
	.globl	_ZN7rocprim17ROCPRIM_400000_NS6detail17trampoline_kernelINS0_14default_configENS1_35radix_sort_onesweep_config_selectorIilEEZZNS1_29radix_sort_onesweep_iterationIS3_Lb0EPiS7_N6thrust23THRUST_200600_302600_NS10device_ptrIlEESB_jNS0_19identity_decomposerENS1_16block_id_wrapperIjLb1EEEEE10hipError_tT1_PNSt15iterator_traitsISG_E10value_typeET2_T3_PNSH_ISM_E10value_typeET4_T5_PSR_SS_PNS1_23onesweep_lookback_stateEbbT6_jjT7_P12ihipStream_tbENKUlT_T0_SG_SL_E_clIS7_S7_PlSB_EEDaSZ_S10_SG_SL_EUlSZ_E_NS1_11comp_targetILNS1_3genE5ELNS1_11target_archE942ELNS1_3gpuE9ELNS1_3repE0EEENS1_47radix_sort_onesweep_sort_config_static_selectorELNS0_4arch9wavefront6targetE1EEEvSG_
	.p2align	8
	.type	_ZN7rocprim17ROCPRIM_400000_NS6detail17trampoline_kernelINS0_14default_configENS1_35radix_sort_onesweep_config_selectorIilEEZZNS1_29radix_sort_onesweep_iterationIS3_Lb0EPiS7_N6thrust23THRUST_200600_302600_NS10device_ptrIlEESB_jNS0_19identity_decomposerENS1_16block_id_wrapperIjLb1EEEEE10hipError_tT1_PNSt15iterator_traitsISG_E10value_typeET2_T3_PNSH_ISM_E10value_typeET4_T5_PSR_SS_PNS1_23onesweep_lookback_stateEbbT6_jjT7_P12ihipStream_tbENKUlT_T0_SG_SL_E_clIS7_S7_PlSB_EEDaSZ_S10_SG_SL_EUlSZ_E_NS1_11comp_targetILNS1_3genE5ELNS1_11target_archE942ELNS1_3gpuE9ELNS1_3repE0EEENS1_47radix_sort_onesweep_sort_config_static_selectorELNS0_4arch9wavefront6targetE1EEEvSG_,@function
_ZN7rocprim17ROCPRIM_400000_NS6detail17trampoline_kernelINS0_14default_configENS1_35radix_sort_onesweep_config_selectorIilEEZZNS1_29radix_sort_onesweep_iterationIS3_Lb0EPiS7_N6thrust23THRUST_200600_302600_NS10device_ptrIlEESB_jNS0_19identity_decomposerENS1_16block_id_wrapperIjLb1EEEEE10hipError_tT1_PNSt15iterator_traitsISG_E10value_typeET2_T3_PNSH_ISM_E10value_typeET4_T5_PSR_SS_PNS1_23onesweep_lookback_stateEbbT6_jjT7_P12ihipStream_tbENKUlT_T0_SG_SL_E_clIS7_S7_PlSB_EEDaSZ_S10_SG_SL_EUlSZ_E_NS1_11comp_targetILNS1_3genE5ELNS1_11target_archE942ELNS1_3gpuE9ELNS1_3repE0EEENS1_47radix_sort_onesweep_sort_config_static_selectorELNS0_4arch9wavefront6targetE1EEEvSG_: ; @_ZN7rocprim17ROCPRIM_400000_NS6detail17trampoline_kernelINS0_14default_configENS1_35radix_sort_onesweep_config_selectorIilEEZZNS1_29radix_sort_onesweep_iterationIS3_Lb0EPiS7_N6thrust23THRUST_200600_302600_NS10device_ptrIlEESB_jNS0_19identity_decomposerENS1_16block_id_wrapperIjLb1EEEEE10hipError_tT1_PNSt15iterator_traitsISG_E10value_typeET2_T3_PNSH_ISM_E10value_typeET4_T5_PSR_SS_PNS1_23onesweep_lookback_stateEbbT6_jjT7_P12ihipStream_tbENKUlT_T0_SG_SL_E_clIS7_S7_PlSB_EEDaSZ_S10_SG_SL_EUlSZ_E_NS1_11comp_targetILNS1_3genE5ELNS1_11target_archE942ELNS1_3gpuE9ELNS1_3repE0EEENS1_47radix_sort_onesweep_sort_config_static_selectorELNS0_4arch9wavefront6targetE1EEEvSG_
; %bb.0:
	.section	.rodata,"a",@progbits
	.p2align	6, 0x0
	.amdhsa_kernel _ZN7rocprim17ROCPRIM_400000_NS6detail17trampoline_kernelINS0_14default_configENS1_35radix_sort_onesweep_config_selectorIilEEZZNS1_29radix_sort_onesweep_iterationIS3_Lb0EPiS7_N6thrust23THRUST_200600_302600_NS10device_ptrIlEESB_jNS0_19identity_decomposerENS1_16block_id_wrapperIjLb1EEEEE10hipError_tT1_PNSt15iterator_traitsISG_E10value_typeET2_T3_PNSH_ISM_E10value_typeET4_T5_PSR_SS_PNS1_23onesweep_lookback_stateEbbT6_jjT7_P12ihipStream_tbENKUlT_T0_SG_SL_E_clIS7_S7_PlSB_EEDaSZ_S10_SG_SL_EUlSZ_E_NS1_11comp_targetILNS1_3genE5ELNS1_11target_archE942ELNS1_3gpuE9ELNS1_3repE0EEENS1_47radix_sort_onesweep_sort_config_static_selectorELNS0_4arch9wavefront6targetE1EEEvSG_
		.amdhsa_group_segment_fixed_size 0
		.amdhsa_private_segment_fixed_size 0
		.amdhsa_kernarg_size 88
		.amdhsa_user_sgpr_count 6
		.amdhsa_user_sgpr_private_segment_buffer 1
		.amdhsa_user_sgpr_dispatch_ptr 0
		.amdhsa_user_sgpr_queue_ptr 0
		.amdhsa_user_sgpr_kernarg_segment_ptr 1
		.amdhsa_user_sgpr_dispatch_id 0
		.amdhsa_user_sgpr_flat_scratch_init 0
		.amdhsa_user_sgpr_private_segment_size 0
		.amdhsa_uses_dynamic_stack 0
		.amdhsa_system_sgpr_private_segment_wavefront_offset 0
		.amdhsa_system_sgpr_workgroup_id_x 1
		.amdhsa_system_sgpr_workgroup_id_y 0
		.amdhsa_system_sgpr_workgroup_id_z 0
		.amdhsa_system_sgpr_workgroup_info 0
		.amdhsa_system_vgpr_workitem_id 0
		.amdhsa_next_free_vgpr 1
		.amdhsa_next_free_sgpr 0
		.amdhsa_reserve_vcc 0
		.amdhsa_reserve_flat_scratch 0
		.amdhsa_float_round_mode_32 0
		.amdhsa_float_round_mode_16_64 0
		.amdhsa_float_denorm_mode_32 3
		.amdhsa_float_denorm_mode_16_64 3
		.amdhsa_dx10_clamp 1
		.amdhsa_ieee_mode 1
		.amdhsa_fp16_overflow 0
		.amdhsa_exception_fp_ieee_invalid_op 0
		.amdhsa_exception_fp_denorm_src 0
		.amdhsa_exception_fp_ieee_div_zero 0
		.amdhsa_exception_fp_ieee_overflow 0
		.amdhsa_exception_fp_ieee_underflow 0
		.amdhsa_exception_fp_ieee_inexact 0
		.amdhsa_exception_int_div_zero 0
	.end_amdhsa_kernel
	.section	.text._ZN7rocprim17ROCPRIM_400000_NS6detail17trampoline_kernelINS0_14default_configENS1_35radix_sort_onesweep_config_selectorIilEEZZNS1_29radix_sort_onesweep_iterationIS3_Lb0EPiS7_N6thrust23THRUST_200600_302600_NS10device_ptrIlEESB_jNS0_19identity_decomposerENS1_16block_id_wrapperIjLb1EEEEE10hipError_tT1_PNSt15iterator_traitsISG_E10value_typeET2_T3_PNSH_ISM_E10value_typeET4_T5_PSR_SS_PNS1_23onesweep_lookback_stateEbbT6_jjT7_P12ihipStream_tbENKUlT_T0_SG_SL_E_clIS7_S7_PlSB_EEDaSZ_S10_SG_SL_EUlSZ_E_NS1_11comp_targetILNS1_3genE5ELNS1_11target_archE942ELNS1_3gpuE9ELNS1_3repE0EEENS1_47radix_sort_onesweep_sort_config_static_selectorELNS0_4arch9wavefront6targetE1EEEvSG_,"axG",@progbits,_ZN7rocprim17ROCPRIM_400000_NS6detail17trampoline_kernelINS0_14default_configENS1_35radix_sort_onesweep_config_selectorIilEEZZNS1_29radix_sort_onesweep_iterationIS3_Lb0EPiS7_N6thrust23THRUST_200600_302600_NS10device_ptrIlEESB_jNS0_19identity_decomposerENS1_16block_id_wrapperIjLb1EEEEE10hipError_tT1_PNSt15iterator_traitsISG_E10value_typeET2_T3_PNSH_ISM_E10value_typeET4_T5_PSR_SS_PNS1_23onesweep_lookback_stateEbbT6_jjT7_P12ihipStream_tbENKUlT_T0_SG_SL_E_clIS7_S7_PlSB_EEDaSZ_S10_SG_SL_EUlSZ_E_NS1_11comp_targetILNS1_3genE5ELNS1_11target_archE942ELNS1_3gpuE9ELNS1_3repE0EEENS1_47radix_sort_onesweep_sort_config_static_selectorELNS0_4arch9wavefront6targetE1EEEvSG_,comdat
.Lfunc_end886:
	.size	_ZN7rocprim17ROCPRIM_400000_NS6detail17trampoline_kernelINS0_14default_configENS1_35radix_sort_onesweep_config_selectorIilEEZZNS1_29radix_sort_onesweep_iterationIS3_Lb0EPiS7_N6thrust23THRUST_200600_302600_NS10device_ptrIlEESB_jNS0_19identity_decomposerENS1_16block_id_wrapperIjLb1EEEEE10hipError_tT1_PNSt15iterator_traitsISG_E10value_typeET2_T3_PNSH_ISM_E10value_typeET4_T5_PSR_SS_PNS1_23onesweep_lookback_stateEbbT6_jjT7_P12ihipStream_tbENKUlT_T0_SG_SL_E_clIS7_S7_PlSB_EEDaSZ_S10_SG_SL_EUlSZ_E_NS1_11comp_targetILNS1_3genE5ELNS1_11target_archE942ELNS1_3gpuE9ELNS1_3repE0EEENS1_47radix_sort_onesweep_sort_config_static_selectorELNS0_4arch9wavefront6targetE1EEEvSG_, .Lfunc_end886-_ZN7rocprim17ROCPRIM_400000_NS6detail17trampoline_kernelINS0_14default_configENS1_35radix_sort_onesweep_config_selectorIilEEZZNS1_29radix_sort_onesweep_iterationIS3_Lb0EPiS7_N6thrust23THRUST_200600_302600_NS10device_ptrIlEESB_jNS0_19identity_decomposerENS1_16block_id_wrapperIjLb1EEEEE10hipError_tT1_PNSt15iterator_traitsISG_E10value_typeET2_T3_PNSH_ISM_E10value_typeET4_T5_PSR_SS_PNS1_23onesweep_lookback_stateEbbT6_jjT7_P12ihipStream_tbENKUlT_T0_SG_SL_E_clIS7_S7_PlSB_EEDaSZ_S10_SG_SL_EUlSZ_E_NS1_11comp_targetILNS1_3genE5ELNS1_11target_archE942ELNS1_3gpuE9ELNS1_3repE0EEENS1_47radix_sort_onesweep_sort_config_static_selectorELNS0_4arch9wavefront6targetE1EEEvSG_
                                        ; -- End function
	.set _ZN7rocprim17ROCPRIM_400000_NS6detail17trampoline_kernelINS0_14default_configENS1_35radix_sort_onesweep_config_selectorIilEEZZNS1_29radix_sort_onesweep_iterationIS3_Lb0EPiS7_N6thrust23THRUST_200600_302600_NS10device_ptrIlEESB_jNS0_19identity_decomposerENS1_16block_id_wrapperIjLb1EEEEE10hipError_tT1_PNSt15iterator_traitsISG_E10value_typeET2_T3_PNSH_ISM_E10value_typeET4_T5_PSR_SS_PNS1_23onesweep_lookback_stateEbbT6_jjT7_P12ihipStream_tbENKUlT_T0_SG_SL_E_clIS7_S7_PlSB_EEDaSZ_S10_SG_SL_EUlSZ_E_NS1_11comp_targetILNS1_3genE5ELNS1_11target_archE942ELNS1_3gpuE9ELNS1_3repE0EEENS1_47radix_sort_onesweep_sort_config_static_selectorELNS0_4arch9wavefront6targetE1EEEvSG_.num_vgpr, 0
	.set _ZN7rocprim17ROCPRIM_400000_NS6detail17trampoline_kernelINS0_14default_configENS1_35radix_sort_onesweep_config_selectorIilEEZZNS1_29radix_sort_onesweep_iterationIS3_Lb0EPiS7_N6thrust23THRUST_200600_302600_NS10device_ptrIlEESB_jNS0_19identity_decomposerENS1_16block_id_wrapperIjLb1EEEEE10hipError_tT1_PNSt15iterator_traitsISG_E10value_typeET2_T3_PNSH_ISM_E10value_typeET4_T5_PSR_SS_PNS1_23onesweep_lookback_stateEbbT6_jjT7_P12ihipStream_tbENKUlT_T0_SG_SL_E_clIS7_S7_PlSB_EEDaSZ_S10_SG_SL_EUlSZ_E_NS1_11comp_targetILNS1_3genE5ELNS1_11target_archE942ELNS1_3gpuE9ELNS1_3repE0EEENS1_47radix_sort_onesweep_sort_config_static_selectorELNS0_4arch9wavefront6targetE1EEEvSG_.num_agpr, 0
	.set _ZN7rocprim17ROCPRIM_400000_NS6detail17trampoline_kernelINS0_14default_configENS1_35radix_sort_onesweep_config_selectorIilEEZZNS1_29radix_sort_onesweep_iterationIS3_Lb0EPiS7_N6thrust23THRUST_200600_302600_NS10device_ptrIlEESB_jNS0_19identity_decomposerENS1_16block_id_wrapperIjLb1EEEEE10hipError_tT1_PNSt15iterator_traitsISG_E10value_typeET2_T3_PNSH_ISM_E10value_typeET4_T5_PSR_SS_PNS1_23onesweep_lookback_stateEbbT6_jjT7_P12ihipStream_tbENKUlT_T0_SG_SL_E_clIS7_S7_PlSB_EEDaSZ_S10_SG_SL_EUlSZ_E_NS1_11comp_targetILNS1_3genE5ELNS1_11target_archE942ELNS1_3gpuE9ELNS1_3repE0EEENS1_47radix_sort_onesweep_sort_config_static_selectorELNS0_4arch9wavefront6targetE1EEEvSG_.numbered_sgpr, 0
	.set _ZN7rocprim17ROCPRIM_400000_NS6detail17trampoline_kernelINS0_14default_configENS1_35radix_sort_onesweep_config_selectorIilEEZZNS1_29radix_sort_onesweep_iterationIS3_Lb0EPiS7_N6thrust23THRUST_200600_302600_NS10device_ptrIlEESB_jNS0_19identity_decomposerENS1_16block_id_wrapperIjLb1EEEEE10hipError_tT1_PNSt15iterator_traitsISG_E10value_typeET2_T3_PNSH_ISM_E10value_typeET4_T5_PSR_SS_PNS1_23onesweep_lookback_stateEbbT6_jjT7_P12ihipStream_tbENKUlT_T0_SG_SL_E_clIS7_S7_PlSB_EEDaSZ_S10_SG_SL_EUlSZ_E_NS1_11comp_targetILNS1_3genE5ELNS1_11target_archE942ELNS1_3gpuE9ELNS1_3repE0EEENS1_47radix_sort_onesweep_sort_config_static_selectorELNS0_4arch9wavefront6targetE1EEEvSG_.num_named_barrier, 0
	.set _ZN7rocprim17ROCPRIM_400000_NS6detail17trampoline_kernelINS0_14default_configENS1_35radix_sort_onesweep_config_selectorIilEEZZNS1_29radix_sort_onesweep_iterationIS3_Lb0EPiS7_N6thrust23THRUST_200600_302600_NS10device_ptrIlEESB_jNS0_19identity_decomposerENS1_16block_id_wrapperIjLb1EEEEE10hipError_tT1_PNSt15iterator_traitsISG_E10value_typeET2_T3_PNSH_ISM_E10value_typeET4_T5_PSR_SS_PNS1_23onesweep_lookback_stateEbbT6_jjT7_P12ihipStream_tbENKUlT_T0_SG_SL_E_clIS7_S7_PlSB_EEDaSZ_S10_SG_SL_EUlSZ_E_NS1_11comp_targetILNS1_3genE5ELNS1_11target_archE942ELNS1_3gpuE9ELNS1_3repE0EEENS1_47radix_sort_onesweep_sort_config_static_selectorELNS0_4arch9wavefront6targetE1EEEvSG_.private_seg_size, 0
	.set _ZN7rocprim17ROCPRIM_400000_NS6detail17trampoline_kernelINS0_14default_configENS1_35radix_sort_onesweep_config_selectorIilEEZZNS1_29radix_sort_onesweep_iterationIS3_Lb0EPiS7_N6thrust23THRUST_200600_302600_NS10device_ptrIlEESB_jNS0_19identity_decomposerENS1_16block_id_wrapperIjLb1EEEEE10hipError_tT1_PNSt15iterator_traitsISG_E10value_typeET2_T3_PNSH_ISM_E10value_typeET4_T5_PSR_SS_PNS1_23onesweep_lookback_stateEbbT6_jjT7_P12ihipStream_tbENKUlT_T0_SG_SL_E_clIS7_S7_PlSB_EEDaSZ_S10_SG_SL_EUlSZ_E_NS1_11comp_targetILNS1_3genE5ELNS1_11target_archE942ELNS1_3gpuE9ELNS1_3repE0EEENS1_47radix_sort_onesweep_sort_config_static_selectorELNS0_4arch9wavefront6targetE1EEEvSG_.uses_vcc, 0
	.set _ZN7rocprim17ROCPRIM_400000_NS6detail17trampoline_kernelINS0_14default_configENS1_35radix_sort_onesweep_config_selectorIilEEZZNS1_29radix_sort_onesweep_iterationIS3_Lb0EPiS7_N6thrust23THRUST_200600_302600_NS10device_ptrIlEESB_jNS0_19identity_decomposerENS1_16block_id_wrapperIjLb1EEEEE10hipError_tT1_PNSt15iterator_traitsISG_E10value_typeET2_T3_PNSH_ISM_E10value_typeET4_T5_PSR_SS_PNS1_23onesweep_lookback_stateEbbT6_jjT7_P12ihipStream_tbENKUlT_T0_SG_SL_E_clIS7_S7_PlSB_EEDaSZ_S10_SG_SL_EUlSZ_E_NS1_11comp_targetILNS1_3genE5ELNS1_11target_archE942ELNS1_3gpuE9ELNS1_3repE0EEENS1_47radix_sort_onesweep_sort_config_static_selectorELNS0_4arch9wavefront6targetE1EEEvSG_.uses_flat_scratch, 0
	.set _ZN7rocprim17ROCPRIM_400000_NS6detail17trampoline_kernelINS0_14default_configENS1_35radix_sort_onesweep_config_selectorIilEEZZNS1_29radix_sort_onesweep_iterationIS3_Lb0EPiS7_N6thrust23THRUST_200600_302600_NS10device_ptrIlEESB_jNS0_19identity_decomposerENS1_16block_id_wrapperIjLb1EEEEE10hipError_tT1_PNSt15iterator_traitsISG_E10value_typeET2_T3_PNSH_ISM_E10value_typeET4_T5_PSR_SS_PNS1_23onesweep_lookback_stateEbbT6_jjT7_P12ihipStream_tbENKUlT_T0_SG_SL_E_clIS7_S7_PlSB_EEDaSZ_S10_SG_SL_EUlSZ_E_NS1_11comp_targetILNS1_3genE5ELNS1_11target_archE942ELNS1_3gpuE9ELNS1_3repE0EEENS1_47radix_sort_onesweep_sort_config_static_selectorELNS0_4arch9wavefront6targetE1EEEvSG_.has_dyn_sized_stack, 0
	.set _ZN7rocprim17ROCPRIM_400000_NS6detail17trampoline_kernelINS0_14default_configENS1_35radix_sort_onesweep_config_selectorIilEEZZNS1_29radix_sort_onesweep_iterationIS3_Lb0EPiS7_N6thrust23THRUST_200600_302600_NS10device_ptrIlEESB_jNS0_19identity_decomposerENS1_16block_id_wrapperIjLb1EEEEE10hipError_tT1_PNSt15iterator_traitsISG_E10value_typeET2_T3_PNSH_ISM_E10value_typeET4_T5_PSR_SS_PNS1_23onesweep_lookback_stateEbbT6_jjT7_P12ihipStream_tbENKUlT_T0_SG_SL_E_clIS7_S7_PlSB_EEDaSZ_S10_SG_SL_EUlSZ_E_NS1_11comp_targetILNS1_3genE5ELNS1_11target_archE942ELNS1_3gpuE9ELNS1_3repE0EEENS1_47radix_sort_onesweep_sort_config_static_selectorELNS0_4arch9wavefront6targetE1EEEvSG_.has_recursion, 0
	.set _ZN7rocprim17ROCPRIM_400000_NS6detail17trampoline_kernelINS0_14default_configENS1_35radix_sort_onesweep_config_selectorIilEEZZNS1_29radix_sort_onesweep_iterationIS3_Lb0EPiS7_N6thrust23THRUST_200600_302600_NS10device_ptrIlEESB_jNS0_19identity_decomposerENS1_16block_id_wrapperIjLb1EEEEE10hipError_tT1_PNSt15iterator_traitsISG_E10value_typeET2_T3_PNSH_ISM_E10value_typeET4_T5_PSR_SS_PNS1_23onesweep_lookback_stateEbbT6_jjT7_P12ihipStream_tbENKUlT_T0_SG_SL_E_clIS7_S7_PlSB_EEDaSZ_S10_SG_SL_EUlSZ_E_NS1_11comp_targetILNS1_3genE5ELNS1_11target_archE942ELNS1_3gpuE9ELNS1_3repE0EEENS1_47radix_sort_onesweep_sort_config_static_selectorELNS0_4arch9wavefront6targetE1EEEvSG_.has_indirect_call, 0
	.section	.AMDGPU.csdata,"",@progbits
; Kernel info:
; codeLenInByte = 0
; TotalNumSgprs: 4
; NumVgprs: 0
; ScratchSize: 0
; MemoryBound: 0
; FloatMode: 240
; IeeeMode: 1
; LDSByteSize: 0 bytes/workgroup (compile time only)
; SGPRBlocks: 0
; VGPRBlocks: 0
; NumSGPRsForWavesPerEU: 4
; NumVGPRsForWavesPerEU: 1
; Occupancy: 10
; WaveLimiterHint : 0
; COMPUTE_PGM_RSRC2:SCRATCH_EN: 0
; COMPUTE_PGM_RSRC2:USER_SGPR: 6
; COMPUTE_PGM_RSRC2:TRAP_HANDLER: 0
; COMPUTE_PGM_RSRC2:TGID_X_EN: 1
; COMPUTE_PGM_RSRC2:TGID_Y_EN: 0
; COMPUTE_PGM_RSRC2:TGID_Z_EN: 0
; COMPUTE_PGM_RSRC2:TIDIG_COMP_CNT: 0
	.section	.text._ZN7rocprim17ROCPRIM_400000_NS6detail17trampoline_kernelINS0_14default_configENS1_35radix_sort_onesweep_config_selectorIilEEZZNS1_29radix_sort_onesweep_iterationIS3_Lb0EPiS7_N6thrust23THRUST_200600_302600_NS10device_ptrIlEESB_jNS0_19identity_decomposerENS1_16block_id_wrapperIjLb1EEEEE10hipError_tT1_PNSt15iterator_traitsISG_E10value_typeET2_T3_PNSH_ISM_E10value_typeET4_T5_PSR_SS_PNS1_23onesweep_lookback_stateEbbT6_jjT7_P12ihipStream_tbENKUlT_T0_SG_SL_E_clIS7_S7_PlSB_EEDaSZ_S10_SG_SL_EUlSZ_E_NS1_11comp_targetILNS1_3genE2ELNS1_11target_archE906ELNS1_3gpuE6ELNS1_3repE0EEENS1_47radix_sort_onesweep_sort_config_static_selectorELNS0_4arch9wavefront6targetE1EEEvSG_,"axG",@progbits,_ZN7rocprim17ROCPRIM_400000_NS6detail17trampoline_kernelINS0_14default_configENS1_35radix_sort_onesweep_config_selectorIilEEZZNS1_29radix_sort_onesweep_iterationIS3_Lb0EPiS7_N6thrust23THRUST_200600_302600_NS10device_ptrIlEESB_jNS0_19identity_decomposerENS1_16block_id_wrapperIjLb1EEEEE10hipError_tT1_PNSt15iterator_traitsISG_E10value_typeET2_T3_PNSH_ISM_E10value_typeET4_T5_PSR_SS_PNS1_23onesweep_lookback_stateEbbT6_jjT7_P12ihipStream_tbENKUlT_T0_SG_SL_E_clIS7_S7_PlSB_EEDaSZ_S10_SG_SL_EUlSZ_E_NS1_11comp_targetILNS1_3genE2ELNS1_11target_archE906ELNS1_3gpuE6ELNS1_3repE0EEENS1_47radix_sort_onesweep_sort_config_static_selectorELNS0_4arch9wavefront6targetE1EEEvSG_,comdat
	.protected	_ZN7rocprim17ROCPRIM_400000_NS6detail17trampoline_kernelINS0_14default_configENS1_35radix_sort_onesweep_config_selectorIilEEZZNS1_29radix_sort_onesweep_iterationIS3_Lb0EPiS7_N6thrust23THRUST_200600_302600_NS10device_ptrIlEESB_jNS0_19identity_decomposerENS1_16block_id_wrapperIjLb1EEEEE10hipError_tT1_PNSt15iterator_traitsISG_E10value_typeET2_T3_PNSH_ISM_E10value_typeET4_T5_PSR_SS_PNS1_23onesweep_lookback_stateEbbT6_jjT7_P12ihipStream_tbENKUlT_T0_SG_SL_E_clIS7_S7_PlSB_EEDaSZ_S10_SG_SL_EUlSZ_E_NS1_11comp_targetILNS1_3genE2ELNS1_11target_archE906ELNS1_3gpuE6ELNS1_3repE0EEENS1_47radix_sort_onesweep_sort_config_static_selectorELNS0_4arch9wavefront6targetE1EEEvSG_ ; -- Begin function _ZN7rocprim17ROCPRIM_400000_NS6detail17trampoline_kernelINS0_14default_configENS1_35radix_sort_onesweep_config_selectorIilEEZZNS1_29radix_sort_onesweep_iterationIS3_Lb0EPiS7_N6thrust23THRUST_200600_302600_NS10device_ptrIlEESB_jNS0_19identity_decomposerENS1_16block_id_wrapperIjLb1EEEEE10hipError_tT1_PNSt15iterator_traitsISG_E10value_typeET2_T3_PNSH_ISM_E10value_typeET4_T5_PSR_SS_PNS1_23onesweep_lookback_stateEbbT6_jjT7_P12ihipStream_tbENKUlT_T0_SG_SL_E_clIS7_S7_PlSB_EEDaSZ_S10_SG_SL_EUlSZ_E_NS1_11comp_targetILNS1_3genE2ELNS1_11target_archE906ELNS1_3gpuE6ELNS1_3repE0EEENS1_47radix_sort_onesweep_sort_config_static_selectorELNS0_4arch9wavefront6targetE1EEEvSG_
	.globl	_ZN7rocprim17ROCPRIM_400000_NS6detail17trampoline_kernelINS0_14default_configENS1_35radix_sort_onesweep_config_selectorIilEEZZNS1_29radix_sort_onesweep_iterationIS3_Lb0EPiS7_N6thrust23THRUST_200600_302600_NS10device_ptrIlEESB_jNS0_19identity_decomposerENS1_16block_id_wrapperIjLb1EEEEE10hipError_tT1_PNSt15iterator_traitsISG_E10value_typeET2_T3_PNSH_ISM_E10value_typeET4_T5_PSR_SS_PNS1_23onesweep_lookback_stateEbbT6_jjT7_P12ihipStream_tbENKUlT_T0_SG_SL_E_clIS7_S7_PlSB_EEDaSZ_S10_SG_SL_EUlSZ_E_NS1_11comp_targetILNS1_3genE2ELNS1_11target_archE906ELNS1_3gpuE6ELNS1_3repE0EEENS1_47radix_sort_onesweep_sort_config_static_selectorELNS0_4arch9wavefront6targetE1EEEvSG_
	.p2align	8
	.type	_ZN7rocprim17ROCPRIM_400000_NS6detail17trampoline_kernelINS0_14default_configENS1_35radix_sort_onesweep_config_selectorIilEEZZNS1_29radix_sort_onesweep_iterationIS3_Lb0EPiS7_N6thrust23THRUST_200600_302600_NS10device_ptrIlEESB_jNS0_19identity_decomposerENS1_16block_id_wrapperIjLb1EEEEE10hipError_tT1_PNSt15iterator_traitsISG_E10value_typeET2_T3_PNSH_ISM_E10value_typeET4_T5_PSR_SS_PNS1_23onesweep_lookback_stateEbbT6_jjT7_P12ihipStream_tbENKUlT_T0_SG_SL_E_clIS7_S7_PlSB_EEDaSZ_S10_SG_SL_EUlSZ_E_NS1_11comp_targetILNS1_3genE2ELNS1_11target_archE906ELNS1_3gpuE6ELNS1_3repE0EEENS1_47radix_sort_onesweep_sort_config_static_selectorELNS0_4arch9wavefront6targetE1EEEvSG_,@function
_ZN7rocprim17ROCPRIM_400000_NS6detail17trampoline_kernelINS0_14default_configENS1_35radix_sort_onesweep_config_selectorIilEEZZNS1_29radix_sort_onesweep_iterationIS3_Lb0EPiS7_N6thrust23THRUST_200600_302600_NS10device_ptrIlEESB_jNS0_19identity_decomposerENS1_16block_id_wrapperIjLb1EEEEE10hipError_tT1_PNSt15iterator_traitsISG_E10value_typeET2_T3_PNSH_ISM_E10value_typeET4_T5_PSR_SS_PNS1_23onesweep_lookback_stateEbbT6_jjT7_P12ihipStream_tbENKUlT_T0_SG_SL_E_clIS7_S7_PlSB_EEDaSZ_S10_SG_SL_EUlSZ_E_NS1_11comp_targetILNS1_3genE2ELNS1_11target_archE906ELNS1_3gpuE6ELNS1_3repE0EEENS1_47radix_sort_onesweep_sort_config_static_selectorELNS0_4arch9wavefront6targetE1EEEvSG_: ; @_ZN7rocprim17ROCPRIM_400000_NS6detail17trampoline_kernelINS0_14default_configENS1_35radix_sort_onesweep_config_selectorIilEEZZNS1_29radix_sort_onesweep_iterationIS3_Lb0EPiS7_N6thrust23THRUST_200600_302600_NS10device_ptrIlEESB_jNS0_19identity_decomposerENS1_16block_id_wrapperIjLb1EEEEE10hipError_tT1_PNSt15iterator_traitsISG_E10value_typeET2_T3_PNSH_ISM_E10value_typeET4_T5_PSR_SS_PNS1_23onesweep_lookback_stateEbbT6_jjT7_P12ihipStream_tbENKUlT_T0_SG_SL_E_clIS7_S7_PlSB_EEDaSZ_S10_SG_SL_EUlSZ_E_NS1_11comp_targetILNS1_3genE2ELNS1_11target_archE906ELNS1_3gpuE6ELNS1_3repE0EEENS1_47radix_sort_onesweep_sort_config_static_selectorELNS0_4arch9wavefront6targetE1EEEvSG_
; %bb.0:
	s_load_dwordx4 s[44:47], s[4:5], 0x28
	s_load_dwordx2 s[30:31], s[4:5], 0x38
	s_load_dwordx4 s[48:51], s[4:5], 0x44
	s_add_u32 s0, s0, s7
	s_addc_u32 s1, s1, 0
	v_cmp_eq_u32_e64 s[26:27], 0, v0
	s_and_saveexec_b64 s[8:9], s[26:27]
	s_cbranch_execz .LBB887_4
; %bb.1:
	s_mov_b64 s[12:13], exec
	v_mbcnt_lo_u32_b32 v3, s12, 0
	v_mbcnt_hi_u32_b32 v3, s13, v3
	v_cmp_eq_u32_e32 vcc, 0, v3
                                        ; implicit-def: $vgpr4
	s_and_saveexec_b64 s[10:11], vcc
	s_cbranch_execz .LBB887_3
; %bb.2:
	s_load_dwordx2 s[14:15], s[4:5], 0x50
	s_bcnt1_i32_b64 s7, s[12:13]
	v_mov_b32_e32 v4, 0
	v_mov_b32_e32 v5, s7
	s_waitcnt lgkmcnt(0)
	global_atomic_add v4, v4, v5, s[14:15] glc
.LBB887_3:
	s_or_b64 exec, exec, s[10:11]
	s_waitcnt vmcnt(0)
	v_readfirstlane_b32 s7, v4
	v_add_u32_e32 v3, s7, v3
	v_mov_b32_e32 v4, 0
	ds_write_b32 v4, v3 offset:10272
.LBB887_4:
	s_or_b64 exec, exec, s[8:9]
	v_mov_b32_e32 v3, 0
	s_load_dwordx8 s[36:43], s[4:5], 0x0
	s_load_dword s7, s[4:5], 0x20
	s_waitcnt lgkmcnt(0)
	s_barrier
	ds_read_b32 v3, v3 offset:10272
	s_mov_b64 s[8:9], -1
	v_mbcnt_lo_u32_b32 v22, -1, 0
	v_lshlrev_b32_e32 v21, 3, v0
	s_waitcnt lgkmcnt(0)
	v_cmp_le_u32_e32 vcc, s50, v3
	v_readfirstlane_b32 s33, v3
	s_barrier
	s_cbranch_vccz .LBB887_92
; %bb.5:
	s_lshl_b32 s8, s50, 12
	s_lshl_b32 s34, s33, 12
	s_mov_b32 s35, 0
	s_sub_i32 s7, s7, s8
	s_lshl_b64 s[8:9], s[34:35], 2
	v_mbcnt_hi_u32_b32 v17, -1, v22
	s_add_u32 s8, s36, s8
	v_and_b32_e32 v15, 63, v17
	s_addc_u32 s9, s37, s9
	v_lshlrev_b32_e32 v3, 2, v15
	v_and_b32_e32 v14, 0xe00, v21
	v_mov_b32_e32 v4, s9
	v_add_co_u32_e32 v3, vcc, s8, v3
	v_addc_co_u32_e32 v4, vcc, 0, v4, vcc
	v_lshlrev_b32_e32 v5, 2, v14
	v_add_co_u32_e32 v11, vcc, v3, v5
	v_or_b32_e32 v13, v15, v14
	v_bfrev_b32_e32 v3, -2
	v_addc_co_u32_e32 v12, vcc, 0, v4, vcc
	v_cmp_gt_u32_e64 s[8:9], s7, v13
	v_mov_b32_e32 v4, v3
	v_mov_b32_e32 v5, v3
	;; [unrolled: 1-line block ×7, first 2 shown]
	s_and_saveexec_b64 s[10:11], s[8:9]
	s_cbranch_execz .LBB887_7
; %bb.6:
	global_load_dword v23, v[11:12], off
	v_mov_b32_e32 v24, v3
	v_mov_b32_e32 v25, v3
	;; [unrolled: 1-line block ×7, first 2 shown]
	s_waitcnt vmcnt(0)
	v_mov_b32_e32 v3, v23
	v_mov_b32_e32 v4, v24
	;; [unrolled: 1-line block ×8, first 2 shown]
.LBB887_7:
	s_or_b64 exec, exec, s[10:11]
	v_or_b32_e32 v16, 64, v13
	v_cmp_gt_u32_e64 s[10:11], s7, v16
	s_and_saveexec_b64 s[12:13], s[10:11]
	s_cbranch_execz .LBB887_9
; %bb.8:
	global_load_dword v4, v[11:12], off offset:256
.LBB887_9:
	s_or_b64 exec, exec, s[12:13]
	v_or_b32_e32 v16, 0x80, v13
	v_cmp_gt_u32_e64 s[12:13], s7, v16
	s_and_saveexec_b64 s[14:15], s[12:13]
	s_cbranch_execz .LBB887_11
; %bb.10:
	global_load_dword v5, v[11:12], off offset:512
.LBB887_11:
	;; [unrolled: 8-line block ×7, first 2 shown]
	s_or_b64 exec, exec, s[24:25]
	s_load_dword s24, s[4:5], 0x64
	s_load_dword s56, s[4:5], 0x58
	s_add_u32 s25, s4, 0x58
	s_addc_u32 s28, s5, 0
	v_mov_b32_e32 v11, 0
	s_waitcnt lgkmcnt(0)
	s_lshr_b32 s29, s24, 16
	s_cmp_lt_u32 s6, s56
	s_cselect_b32 s24, 12, 18
	s_add_u32 s24, s25, s24
	s_addc_u32 s25, s28, 0
	global_load_ushort v13, v11, s[24:25]
	v_xor_b32_e32 v16, 0x80000000, v3
	s_lshl_b32 s24, -1, s49
	v_lshrrev_b32_e32 v3, s48, v16
	s_not_b32 s57, s24
	v_and_b32_e32 v3, s57, v3
	v_and_b32_e32 v20, 1, v3
	v_add_co_u32_e32 v24, vcc, -1, v20
	v_lshlrev_b32_e32 v12, 30, v3
	v_addc_co_u32_e64 v25, s[24:25], 0, -1, vcc
	v_cmp_ne_u32_e32 vcc, 0, v20
	v_cmp_gt_i64_e64 s[24:25], 0, v[11:12]
	v_not_b32_e32 v20, v12
	v_lshlrev_b32_e32 v12, 29, v3
	v_xor_b32_e32 v25, vcc_hi, v25
	v_xor_b32_e32 v24, vcc_lo, v24
	v_ashrrev_i32_e32 v20, 31, v20
	v_cmp_gt_i64_e32 vcc, 0, v[11:12]
	v_not_b32_e32 v26, v12
	v_lshlrev_b32_e32 v12, 28, v3
	v_and_b32_e32 v25, exec_hi, v25
	v_and_b32_e32 v24, exec_lo, v24
	v_xor_b32_e32 v27, s25, v20
	v_xor_b32_e32 v20, s24, v20
	v_ashrrev_i32_e32 v26, 31, v26
	v_cmp_gt_i64_e64 s[24:25], 0, v[11:12]
	v_not_b32_e32 v28, v12
	v_lshlrev_b32_e32 v12, 27, v3
	v_and_b32_e32 v25, v25, v27
	v_and_b32_e32 v20, v24, v20
	v_xor_b32_e32 v24, vcc_hi, v26
	v_xor_b32_e32 v26, vcc_lo, v26
	v_ashrrev_i32_e32 v27, 31, v28
	v_cmp_gt_i64_e32 vcc, 0, v[11:12]
	v_not_b32_e32 v28, v12
	v_lshlrev_b32_e32 v12, 26, v3
	v_and_b32_e32 v24, v25, v24
	v_and_b32_e32 v20, v20, v26
	v_xor_b32_e32 v25, s25, v27
	v_xor_b32_e32 v26, s24, v27
	v_ashrrev_i32_e32 v27, 31, v28
	v_cmp_gt_i64_e64 s[24:25], 0, v[11:12]
	v_not_b32_e32 v28, v12
	v_lshlrev_b32_e32 v12, 25, v3
	v_and_b32_e32 v24, v24, v25
	v_and_b32_e32 v20, v20, v26
	v_xor_b32_e32 v25, vcc_hi, v27
	v_xor_b32_e32 v26, vcc_lo, v27
	v_ashrrev_i32_e32 v27, 31, v28
	v_cmp_gt_i64_e32 vcc, 0, v[11:12]
	v_not_b32_e32 v28, v12
	v_mul_lo_u32 v23, v3, 36
	v_lshlrev_b32_e32 v12, 24, v3
	v_and_b32_e32 v3, v24, v25
	v_and_b32_e32 v20, v20, v26
	v_xor_b32_e32 v24, s25, v27
	v_xor_b32_e32 v25, s24, v27
	v_ashrrev_i32_e32 v26, 31, v28
	v_mad_u32_u24 v19, v2, s29, v1
	v_and_b32_e32 v3, v3, v24
	v_and_b32_e32 v20, v20, v25
	v_xor_b32_e32 v24, vcc_hi, v26
	v_xor_b32_e32 v25, vcc_lo, v26
	v_and_b32_e32 v3, v3, v24
	v_and_b32_e32 v24, v20, v25
	v_cmp_gt_i64_e64 s[24:25], 0, v[11:12]
	v_not_b32_e32 v12, v12
	v_ashrrev_i32_e32 v12, 31, v12
	v_xor_b32_e32 v25, s25, v12
	v_xor_b32_e32 v12, s24, v12
	v_and_b32_e32 v12, v24, v12
	v_mul_u32_u24_e32 v18, 20, v0
	ds_write2_b32 v18, v11, v11 offset0:8 offset1:9
	ds_write2_b32 v18, v11, v11 offset0:10 offset1:11
	ds_write_b32 v18, v11 offset:48
	s_waitcnt vmcnt(0) lgkmcnt(0)
	s_barrier
	; wave barrier
	v_mad_u64_u32 v[19:20], s[28:29], v19, v13, v[0:1]
	v_and_b32_e32 v13, v3, v25
	v_cmp_ne_u64_e32 vcc, 0, v[12:13]
	v_lshrrev_b32_e32 v3, 4, v19
	v_and_b32_e32 v39, 0xffffffc, v3
	v_mbcnt_lo_u32_b32 v3, v12, 0
	v_mbcnt_hi_u32_b32 v19, v13, v3
	v_cmp_eq_u32_e64 s[24:25], 0, v19
	s_and_b64 s[28:29], vcc, s[24:25]
	v_add_u32_e32 v32, v39, v23
	s_and_saveexec_b64 s[24:25], s[28:29]
; %bb.22:
	v_bcnt_u32_b32 v3, v12, 0
	v_bcnt_u32_b32 v3, v13, v3
	ds_write_b32 v32, v3 offset:32
; %bb.23:
	s_or_b64 exec, exec, s[24:25]
	v_xor_b32_e32 v13, 0x80000000, v4
	v_lshrrev_b32_e32 v3, s48, v13
	v_and_b32_e32 v3, s57, v3
	v_mul_lo_u32 v4, v3, 36
	v_and_b32_e32 v12, 1, v3
	; wave barrier
	v_add_u32_e32 v33, v39, v4
	v_add_co_u32_e32 v4, vcc, -1, v12
	v_addc_co_u32_e64 v20, s[24:25], 0, -1, vcc
	v_cmp_ne_u32_e32 vcc, 0, v12
	v_xor_b32_e32 v12, vcc_hi, v20
	v_and_b32_e32 v20, exec_hi, v12
	v_lshlrev_b32_e32 v12, 30, v3
	v_xor_b32_e32 v4, vcc_lo, v4
	v_cmp_gt_i64_e32 vcc, 0, v[11:12]
	v_not_b32_e32 v12, v12
	v_ashrrev_i32_e32 v12, 31, v12
	v_and_b32_e32 v4, exec_lo, v4
	v_xor_b32_e32 v24, vcc_hi, v12
	v_xor_b32_e32 v12, vcc_lo, v12
	v_and_b32_e32 v4, v4, v12
	v_lshlrev_b32_e32 v12, 29, v3
	v_cmp_gt_i64_e32 vcc, 0, v[11:12]
	v_not_b32_e32 v12, v12
	v_ashrrev_i32_e32 v12, 31, v12
	v_and_b32_e32 v20, v20, v24
	v_xor_b32_e32 v24, vcc_hi, v12
	v_xor_b32_e32 v12, vcc_lo, v12
	v_and_b32_e32 v4, v4, v12
	v_lshlrev_b32_e32 v12, 28, v3
	v_cmp_gt_i64_e32 vcc, 0, v[11:12]
	v_not_b32_e32 v12, v12
	v_ashrrev_i32_e32 v12, 31, v12
	v_and_b32_e32 v20, v20, v24
	;; [unrolled: 8-line block ×5, first 2 shown]
	v_xor_b32_e32 v24, vcc_hi, v12
	v_xor_b32_e32 v12, vcc_lo, v12
	v_and_b32_e32 v20, v20, v24
	v_and_b32_e32 v24, v4, v12
	v_lshlrev_b32_e32 v12, 24, v3
	v_cmp_gt_i64_e32 vcc, 0, v[11:12]
	v_not_b32_e32 v3, v12
	v_ashrrev_i32_e32 v3, 31, v3
	v_xor_b32_e32 v4, vcc_hi, v3
	v_xor_b32_e32 v3, vcc_lo, v3
	ds_read_b32 v23, v33 offset:32
	v_and_b32_e32 v3, v24, v3
	v_and_b32_e32 v4, v20, v4
	v_mbcnt_lo_u32_b32 v11, v3, 0
	v_mbcnt_hi_u32_b32 v24, v4, v11
	v_cmp_ne_u64_e32 vcc, 0, v[3:4]
	v_cmp_eq_u32_e64 s[24:25], 0, v24
	s_and_b64 s[28:29], vcc, s[24:25]
	; wave barrier
	s_and_saveexec_b64 s[24:25], s[28:29]
	s_cbranch_execz .LBB887_25
; %bb.24:
	v_bcnt_u32_b32 v3, v3, 0
	v_bcnt_u32_b32 v3, v4, v3
	s_waitcnt lgkmcnt(0)
	v_add_u32_e32 v3, v23, v3
	ds_write_b32 v33, v3 offset:32
.LBB887_25:
	s_or_b64 exec, exec, s[24:25]
	v_xor_b32_e32 v11, 0x80000000, v5
	v_lshrrev_b32_e32 v3, s48, v11
	v_and_b32_e32 v5, s57, v3
	v_mul_lo_u32 v3, v5, 36
	v_and_b32_e32 v4, 1, v5
	v_add_co_u32_e32 v12, vcc, -1, v4
	v_addc_co_u32_e64 v20, s[24:25], 0, -1, vcc
	v_cmp_ne_u32_e32 vcc, 0, v4
	v_xor_b32_e32 v4, vcc_hi, v20
	v_add_u32_e32 v37, v39, v3
	v_mov_b32_e32 v3, 0
	v_and_b32_e32 v20, exec_hi, v4
	v_lshlrev_b32_e32 v4, 30, v5
	v_xor_b32_e32 v12, vcc_lo, v12
	v_cmp_gt_i64_e32 vcc, 0, v[3:4]
	v_not_b32_e32 v4, v4
	v_ashrrev_i32_e32 v4, 31, v4
	v_and_b32_e32 v12, exec_lo, v12
	v_xor_b32_e32 v26, vcc_hi, v4
	v_xor_b32_e32 v4, vcc_lo, v4
	v_and_b32_e32 v12, v12, v4
	v_lshlrev_b32_e32 v4, 29, v5
	v_cmp_gt_i64_e32 vcc, 0, v[3:4]
	v_not_b32_e32 v4, v4
	v_ashrrev_i32_e32 v4, 31, v4
	v_and_b32_e32 v20, v20, v26
	v_xor_b32_e32 v26, vcc_hi, v4
	v_xor_b32_e32 v4, vcc_lo, v4
	v_and_b32_e32 v12, v12, v4
	v_lshlrev_b32_e32 v4, 28, v5
	v_cmp_gt_i64_e32 vcc, 0, v[3:4]
	v_not_b32_e32 v4, v4
	v_ashrrev_i32_e32 v4, 31, v4
	v_and_b32_e32 v20, v20, v26
	;; [unrolled: 8-line block ×5, first 2 shown]
	v_xor_b32_e32 v26, vcc_hi, v4
	v_xor_b32_e32 v4, vcc_lo, v4
	v_and_b32_e32 v12, v12, v4
	v_lshlrev_b32_e32 v4, 24, v5
	v_cmp_gt_i64_e32 vcc, 0, v[3:4]
	v_not_b32_e32 v4, v4
	v_ashrrev_i32_e32 v4, 31, v4
	v_xor_b32_e32 v5, vcc_hi, v4
	v_xor_b32_e32 v4, vcc_lo, v4
	; wave barrier
	ds_read_b32 v25, v37 offset:32
	v_and_b32_e32 v20, v20, v26
	v_and_b32_e32 v4, v12, v4
	;; [unrolled: 1-line block ×3, first 2 shown]
	v_mbcnt_lo_u32_b32 v12, v4, 0
	v_mbcnt_hi_u32_b32 v26, v5, v12
	v_cmp_ne_u64_e32 vcc, 0, v[4:5]
	v_cmp_eq_u32_e64 s[24:25], 0, v26
	s_and_b64 s[28:29], vcc, s[24:25]
	; wave barrier
	s_and_saveexec_b64 s[24:25], s[28:29]
	s_cbranch_execz .LBB887_27
; %bb.26:
	v_bcnt_u32_b32 v4, v4, 0
	v_bcnt_u32_b32 v4, v5, v4
	s_waitcnt lgkmcnt(0)
	v_add_u32_e32 v4, v25, v4
	ds_write_b32 v37, v4 offset:32
.LBB887_27:
	s_or_b64 exec, exec, s[24:25]
	v_xor_b32_e32 v12, 0x80000000, v6
	v_lshrrev_b32_e32 v4, s48, v12
	v_and_b32_e32 v5, s57, v4
	v_mul_lo_u32 v4, v5, 36
	v_and_b32_e32 v6, 1, v5
	; wave barrier
	v_add_u32_e32 v40, v39, v4
	v_add_co_u32_e32 v4, vcc, -1, v6
	v_addc_co_u32_e64 v20, s[24:25], 0, -1, vcc
	v_cmp_ne_u32_e32 vcc, 0, v6
	v_xor_b32_e32 v4, vcc_lo, v4
	v_xor_b32_e32 v6, vcc_hi, v20
	v_and_b32_e32 v20, exec_lo, v4
	v_lshlrev_b32_e32 v4, 30, v5
	v_cmp_gt_i64_e32 vcc, 0, v[3:4]
	v_not_b32_e32 v4, v4
	v_ashrrev_i32_e32 v4, 31, v4
	v_xor_b32_e32 v28, vcc_hi, v4
	v_xor_b32_e32 v4, vcc_lo, v4
	v_and_b32_e32 v20, v20, v4
	v_lshlrev_b32_e32 v4, 29, v5
	v_cmp_gt_i64_e32 vcc, 0, v[3:4]
	v_not_b32_e32 v4, v4
	v_and_b32_e32 v6, exec_hi, v6
	v_ashrrev_i32_e32 v4, 31, v4
	v_and_b32_e32 v6, v6, v28
	v_xor_b32_e32 v28, vcc_hi, v4
	v_xor_b32_e32 v4, vcc_lo, v4
	v_and_b32_e32 v20, v20, v4
	v_lshlrev_b32_e32 v4, 28, v5
	v_cmp_gt_i64_e32 vcc, 0, v[3:4]
	v_not_b32_e32 v4, v4
	v_ashrrev_i32_e32 v4, 31, v4
	v_and_b32_e32 v6, v6, v28
	v_xor_b32_e32 v28, vcc_hi, v4
	v_xor_b32_e32 v4, vcc_lo, v4
	v_and_b32_e32 v20, v20, v4
	v_lshlrev_b32_e32 v4, 27, v5
	v_cmp_gt_i64_e32 vcc, 0, v[3:4]
	v_not_b32_e32 v4, v4
	;; [unrolled: 8-line block ×5, first 2 shown]
	v_ashrrev_i32_e32 v3, 31, v3
	v_xor_b32_e32 v4, vcc_hi, v3
	v_xor_b32_e32 v3, vcc_lo, v3
	ds_read_b32 v27, v40 offset:32
	v_and_b32_e32 v6, v6, v28
	v_and_b32_e32 v3, v20, v3
	;; [unrolled: 1-line block ×3, first 2 shown]
	v_mbcnt_lo_u32_b32 v5, v3, 0
	v_mbcnt_hi_u32_b32 v28, v4, v5
	v_cmp_ne_u64_e32 vcc, 0, v[3:4]
	v_cmp_eq_u32_e64 s[24:25], 0, v28
	s_and_b64 s[28:29], vcc, s[24:25]
	; wave barrier
	s_and_saveexec_b64 s[24:25], s[28:29]
	s_cbranch_execz .LBB887_29
; %bb.28:
	v_bcnt_u32_b32 v3, v3, 0
	v_bcnt_u32_b32 v3, v4, v3
	s_waitcnt lgkmcnt(0)
	v_add_u32_e32 v3, v27, v3
	ds_write_b32 v40, v3 offset:32
.LBB887_29:
	s_or_b64 exec, exec, s[24:25]
	v_xor_b32_e32 v20, 0x80000000, v7
	v_lshrrev_b32_e32 v3, s48, v20
	v_and_b32_e32 v5, s57, v3
	v_mul_lo_u32 v3, v5, 36
	v_and_b32_e32 v4, 1, v5
	v_add_co_u32_e32 v6, vcc, -1, v4
	v_addc_co_u32_e64 v30, s[24:25], 0, -1, vcc
	v_cmp_ne_u32_e32 vcc, 0, v4
	v_xor_b32_e32 v4, vcc_hi, v30
	v_add_u32_e32 v7, v39, v3
	v_mov_b32_e32 v3, 0
	v_and_b32_e32 v30, exec_hi, v4
	v_lshlrev_b32_e32 v4, 30, v5
	v_xor_b32_e32 v6, vcc_lo, v6
	v_cmp_gt_i64_e32 vcc, 0, v[3:4]
	v_not_b32_e32 v4, v4
	v_ashrrev_i32_e32 v4, 31, v4
	v_and_b32_e32 v6, exec_lo, v6
	v_xor_b32_e32 v31, vcc_hi, v4
	v_xor_b32_e32 v4, vcc_lo, v4
	v_and_b32_e32 v6, v6, v4
	v_lshlrev_b32_e32 v4, 29, v5
	v_cmp_gt_i64_e32 vcc, 0, v[3:4]
	v_not_b32_e32 v4, v4
	v_ashrrev_i32_e32 v4, 31, v4
	v_and_b32_e32 v30, v30, v31
	v_xor_b32_e32 v31, vcc_hi, v4
	v_xor_b32_e32 v4, vcc_lo, v4
	v_and_b32_e32 v6, v6, v4
	v_lshlrev_b32_e32 v4, 28, v5
	v_cmp_gt_i64_e32 vcc, 0, v[3:4]
	v_not_b32_e32 v4, v4
	v_ashrrev_i32_e32 v4, 31, v4
	v_and_b32_e32 v30, v30, v31
	;; [unrolled: 8-line block ×5, first 2 shown]
	v_xor_b32_e32 v31, vcc_hi, v4
	v_xor_b32_e32 v4, vcc_lo, v4
	v_and_b32_e32 v6, v6, v4
	v_lshlrev_b32_e32 v4, 24, v5
	v_cmp_gt_i64_e32 vcc, 0, v[3:4]
	v_not_b32_e32 v4, v4
	v_ashrrev_i32_e32 v4, 31, v4
	v_xor_b32_e32 v5, vcc_hi, v4
	v_xor_b32_e32 v4, vcc_lo, v4
	; wave barrier
	ds_read_b32 v29, v7 offset:32
	v_and_b32_e32 v30, v30, v31
	v_and_b32_e32 v4, v6, v4
	;; [unrolled: 1-line block ×3, first 2 shown]
	v_mbcnt_lo_u32_b32 v6, v4, 0
	v_mbcnt_hi_u32_b32 v30, v5, v6
	v_cmp_ne_u64_e32 vcc, 0, v[4:5]
	v_cmp_eq_u32_e64 s[24:25], 0, v30
	s_and_b64 s[28:29], vcc, s[24:25]
	; wave barrier
	s_and_saveexec_b64 s[24:25], s[28:29]
	s_cbranch_execz .LBB887_31
; %bb.30:
	v_bcnt_u32_b32 v4, v4, 0
	v_bcnt_u32_b32 v4, v5, v4
	s_waitcnt lgkmcnt(0)
	v_add_u32_e32 v4, v29, v4
	ds_write_b32 v7, v4 offset:32
.LBB887_31:
	s_or_b64 exec, exec, s[24:25]
	v_xor_b32_e32 v35, 0x80000000, v8
	v_lshrrev_b32_e32 v4, s48, v35
	v_and_b32_e32 v5, s57, v4
	v_mul_lo_u32 v4, v5, 36
	v_and_b32_e32 v6, 1, v5
	; wave barrier
	v_add_u32_e32 v8, v39, v4
	v_add_co_u32_e32 v4, vcc, -1, v6
	v_addc_co_u32_e64 v34, s[24:25], 0, -1, vcc
	v_cmp_ne_u32_e32 vcc, 0, v6
	v_xor_b32_e32 v4, vcc_lo, v4
	v_xor_b32_e32 v6, vcc_hi, v34
	v_and_b32_e32 v34, exec_lo, v4
	v_lshlrev_b32_e32 v4, 30, v5
	v_cmp_gt_i64_e32 vcc, 0, v[3:4]
	v_not_b32_e32 v4, v4
	v_ashrrev_i32_e32 v4, 31, v4
	v_xor_b32_e32 v36, vcc_hi, v4
	v_xor_b32_e32 v4, vcc_lo, v4
	v_and_b32_e32 v34, v34, v4
	v_lshlrev_b32_e32 v4, 29, v5
	v_cmp_gt_i64_e32 vcc, 0, v[3:4]
	v_not_b32_e32 v4, v4
	v_and_b32_e32 v6, exec_hi, v6
	v_ashrrev_i32_e32 v4, 31, v4
	v_and_b32_e32 v6, v6, v36
	v_xor_b32_e32 v36, vcc_hi, v4
	v_xor_b32_e32 v4, vcc_lo, v4
	v_and_b32_e32 v34, v34, v4
	v_lshlrev_b32_e32 v4, 28, v5
	v_cmp_gt_i64_e32 vcc, 0, v[3:4]
	v_not_b32_e32 v4, v4
	v_ashrrev_i32_e32 v4, 31, v4
	v_and_b32_e32 v6, v6, v36
	v_xor_b32_e32 v36, vcc_hi, v4
	v_xor_b32_e32 v4, vcc_lo, v4
	v_and_b32_e32 v34, v34, v4
	v_lshlrev_b32_e32 v4, 27, v5
	v_cmp_gt_i64_e32 vcc, 0, v[3:4]
	v_not_b32_e32 v4, v4
	;; [unrolled: 8-line block ×5, first 2 shown]
	v_ashrrev_i32_e32 v3, 31, v3
	v_xor_b32_e32 v4, vcc_hi, v3
	v_xor_b32_e32 v3, vcc_lo, v3
	ds_read_b32 v31, v8 offset:32
	v_and_b32_e32 v6, v6, v36
	v_and_b32_e32 v3, v34, v3
	;; [unrolled: 1-line block ×3, first 2 shown]
	v_mbcnt_lo_u32_b32 v5, v3, 0
	v_mbcnt_hi_u32_b32 v34, v4, v5
	v_cmp_ne_u64_e32 vcc, 0, v[3:4]
	v_cmp_eq_u32_e64 s[24:25], 0, v34
	s_and_b64 s[28:29], vcc, s[24:25]
	; wave barrier
	s_and_saveexec_b64 s[24:25], s[28:29]
	s_cbranch_execz .LBB887_33
; %bb.32:
	v_bcnt_u32_b32 v3, v3, 0
	v_bcnt_u32_b32 v3, v4, v3
	s_waitcnt lgkmcnt(0)
	v_add_u32_e32 v3, v31, v3
	ds_write_b32 v8, v3 offset:32
.LBB887_33:
	s_or_b64 exec, exec, s[24:25]
	v_xor_b32_e32 v9, 0x80000000, v9
	v_lshrrev_b32_e32 v3, s48, v9
	v_and_b32_e32 v5, s57, v3
	v_mul_lo_u32 v3, v5, 36
	v_and_b32_e32 v4, 1, v5
	v_add_co_u32_e32 v6, vcc, -1, v4
	v_addc_co_u32_e64 v38, s[24:25], 0, -1, vcc
	v_cmp_ne_u32_e32 vcc, 0, v4
	v_xor_b32_e32 v4, vcc_hi, v38
	v_add_u32_e32 v46, v39, v3
	v_mov_b32_e32 v3, 0
	v_and_b32_e32 v38, exec_hi, v4
	v_lshlrev_b32_e32 v4, 30, v5
	v_xor_b32_e32 v6, vcc_lo, v6
	v_cmp_gt_i64_e32 vcc, 0, v[3:4]
	v_not_b32_e32 v4, v4
	v_ashrrev_i32_e32 v4, 31, v4
	v_and_b32_e32 v6, exec_lo, v6
	v_xor_b32_e32 v41, vcc_hi, v4
	v_xor_b32_e32 v4, vcc_lo, v4
	v_and_b32_e32 v6, v6, v4
	v_lshlrev_b32_e32 v4, 29, v5
	v_cmp_gt_i64_e32 vcc, 0, v[3:4]
	v_not_b32_e32 v4, v4
	v_ashrrev_i32_e32 v4, 31, v4
	v_and_b32_e32 v38, v38, v41
	v_xor_b32_e32 v41, vcc_hi, v4
	v_xor_b32_e32 v4, vcc_lo, v4
	v_and_b32_e32 v6, v6, v4
	v_lshlrev_b32_e32 v4, 28, v5
	v_cmp_gt_i64_e32 vcc, 0, v[3:4]
	v_not_b32_e32 v4, v4
	v_ashrrev_i32_e32 v4, 31, v4
	v_and_b32_e32 v38, v38, v41
	;; [unrolled: 8-line block ×5, first 2 shown]
	v_xor_b32_e32 v41, vcc_hi, v4
	v_xor_b32_e32 v4, vcc_lo, v4
	v_and_b32_e32 v6, v6, v4
	v_lshlrev_b32_e32 v4, 24, v5
	v_cmp_gt_i64_e32 vcc, 0, v[3:4]
	v_not_b32_e32 v4, v4
	v_ashrrev_i32_e32 v4, 31, v4
	v_xor_b32_e32 v5, vcc_hi, v4
	v_xor_b32_e32 v4, vcc_lo, v4
	; wave barrier
	ds_read_b32 v36, v46 offset:32
	v_and_b32_e32 v38, v38, v41
	v_and_b32_e32 v4, v6, v4
	;; [unrolled: 1-line block ×3, first 2 shown]
	v_mbcnt_lo_u32_b32 v6, v4, 0
	v_mbcnt_hi_u32_b32 v38, v5, v6
	v_cmp_ne_u64_e32 vcc, 0, v[4:5]
	v_cmp_eq_u32_e64 s[24:25], 0, v38
	s_and_b64 s[28:29], vcc, s[24:25]
	; wave barrier
	s_and_saveexec_b64 s[24:25], s[28:29]
	s_cbranch_execz .LBB887_35
; %bb.34:
	v_bcnt_u32_b32 v4, v4, 0
	v_bcnt_u32_b32 v4, v5, v4
	s_waitcnt lgkmcnt(0)
	v_add_u32_e32 v4, v36, v4
	ds_write_b32 v46, v4 offset:32
.LBB887_35:
	s_or_b64 exec, exec, s[24:25]
	v_xor_b32_e32 v10, 0x80000000, v10
	v_lshrrev_b32_e32 v4, s48, v10
	v_and_b32_e32 v5, s57, v4
	v_mul_lo_u32 v4, v5, 36
	v_and_b32_e32 v6, 1, v5
	; wave barrier
	v_add_u32_e32 v47, v39, v4
	v_add_co_u32_e32 v4, vcc, -1, v6
	v_addc_co_u32_e64 v41, s[24:25], 0, -1, vcc
	v_cmp_ne_u32_e32 vcc, 0, v6
	v_xor_b32_e32 v4, vcc_lo, v4
	v_xor_b32_e32 v6, vcc_hi, v41
	v_and_b32_e32 v41, exec_lo, v4
	v_lshlrev_b32_e32 v4, 30, v5
	v_cmp_gt_i64_e32 vcc, 0, v[3:4]
	v_not_b32_e32 v4, v4
	v_ashrrev_i32_e32 v4, 31, v4
	v_xor_b32_e32 v42, vcc_hi, v4
	v_xor_b32_e32 v4, vcc_lo, v4
	v_and_b32_e32 v41, v41, v4
	v_lshlrev_b32_e32 v4, 29, v5
	v_cmp_gt_i64_e32 vcc, 0, v[3:4]
	v_not_b32_e32 v4, v4
	v_and_b32_e32 v6, exec_hi, v6
	v_ashrrev_i32_e32 v4, 31, v4
	v_and_b32_e32 v6, v6, v42
	v_xor_b32_e32 v42, vcc_hi, v4
	v_xor_b32_e32 v4, vcc_lo, v4
	v_and_b32_e32 v41, v41, v4
	v_lshlrev_b32_e32 v4, 28, v5
	v_cmp_gt_i64_e32 vcc, 0, v[3:4]
	v_not_b32_e32 v4, v4
	v_ashrrev_i32_e32 v4, 31, v4
	v_and_b32_e32 v6, v6, v42
	v_xor_b32_e32 v42, vcc_hi, v4
	v_xor_b32_e32 v4, vcc_lo, v4
	v_and_b32_e32 v41, v41, v4
	v_lshlrev_b32_e32 v4, 27, v5
	v_cmp_gt_i64_e32 vcc, 0, v[3:4]
	v_not_b32_e32 v4, v4
	;; [unrolled: 8-line block ×5, first 2 shown]
	v_ashrrev_i32_e32 v3, 31, v3
	v_xor_b32_e32 v4, vcc_hi, v3
	v_xor_b32_e32 v3, vcc_lo, v3
	ds_read_b32 v39, v47 offset:32
	v_and_b32_e32 v6, v6, v42
	v_and_b32_e32 v3, v41, v3
	;; [unrolled: 1-line block ×3, first 2 shown]
	v_mbcnt_lo_u32_b32 v5, v3, 0
	v_mbcnt_hi_u32_b32 v41, v4, v5
	v_cmp_ne_u64_e32 vcc, 0, v[3:4]
	v_cmp_eq_u32_e64 s[24:25], 0, v41
	s_and_b64 s[28:29], vcc, s[24:25]
	; wave barrier
	s_and_saveexec_b64 s[24:25], s[28:29]
	s_cbranch_execz .LBB887_37
; %bb.36:
	v_bcnt_u32_b32 v3, v3, 0
	v_bcnt_u32_b32 v3, v4, v3
	s_waitcnt lgkmcnt(0)
	v_add_u32_e32 v3, v39, v3
	ds_write_b32 v47, v3 offset:32
.LBB887_37:
	s_or_b64 exec, exec, s[24:25]
	; wave barrier
	s_waitcnt lgkmcnt(0)
	s_barrier
	ds_read2_b32 v[5:6], v18 offset0:8 offset1:9
	ds_read2_b32 v[3:4], v18 offset0:10 offset1:11
	ds_read_b32 v42, v18 offset:48
	s_waitcnt lgkmcnt(1)
	v_add3_u32 v43, v6, v5, v3
	s_waitcnt lgkmcnt(0)
	v_add3_u32 v42, v43, v4, v42
	v_and_b32_e32 v43, 15, v17
	v_cmp_ne_u32_e32 vcc, 0, v43
	v_mov_b32_dpp v44, v42 row_shr:1 row_mask:0xf bank_mask:0xf
	v_cndmask_b32_e32 v44, 0, v44, vcc
	v_add_u32_e32 v42, v44, v42
	v_cmp_lt_u32_e32 vcc, 1, v43
	s_nop 0
	v_mov_b32_dpp v44, v42 row_shr:2 row_mask:0xf bank_mask:0xf
	v_cndmask_b32_e32 v44, 0, v44, vcc
	v_add_u32_e32 v42, v42, v44
	v_cmp_lt_u32_e32 vcc, 3, v43
	s_nop 0
	;; [unrolled: 5-line block ×3, first 2 shown]
	v_mov_b32_dpp v44, v42 row_shr:8 row_mask:0xf bank_mask:0xf
	v_cndmask_b32_e32 v43, 0, v44, vcc
	v_add_u32_e32 v42, v42, v43
	v_bfe_i32 v44, v17, 4, 1
	v_cmp_lt_u32_e32 vcc, 31, v17
	v_mov_b32_dpp v43, v42 row_bcast:15 row_mask:0xf bank_mask:0xf
	v_and_b32_e32 v43, v44, v43
	v_add_u32_e32 v42, v42, v43
	v_or_b32_e32 v44, 63, v0
	s_nop 0
	v_mov_b32_dpp v43, v42 row_bcast:31 row_mask:0xf bank_mask:0xf
	v_cndmask_b32_e32 v43, 0, v43, vcc
	v_add_u32_e32 v42, v42, v43
	v_lshrrev_b32_e32 v43, 6, v0
	v_cmp_eq_u32_e32 vcc, v0, v44
	s_and_saveexec_b64 s[24:25], vcc
; %bb.38:
	v_lshlrev_b32_e32 v44, 2, v43
	ds_write_b32 v44, v42
; %bb.39:
	s_or_b64 exec, exec, s[24:25]
	v_cmp_gt_u32_e32 vcc, 8, v0
	s_waitcnt lgkmcnt(0)
	s_barrier
	s_and_saveexec_b64 s[28:29], vcc
	s_cbranch_execz .LBB887_41
; %bb.40:
	v_lshlrev_b32_e32 v44, 2, v0
	ds_read_b32 v45, v44
	v_and_b32_e32 v48, 7, v17
	v_cmp_ne_u32_e32 vcc, 0, v48
	v_cmp_lt_u32_e64 s[24:25], 1, v48
	s_waitcnt lgkmcnt(0)
	v_mov_b32_dpp v49, v45 row_shr:1 row_mask:0xf bank_mask:0xf
	v_cndmask_b32_e32 v49, 0, v49, vcc
	v_add_u32_e32 v45, v49, v45
	v_cmp_lt_u32_e32 vcc, 3, v48
	s_nop 0
	v_mov_b32_dpp v49, v45 row_shr:2 row_mask:0xf bank_mask:0xf
	v_cndmask_b32_e64 v49, 0, v49, s[24:25]
	v_add_u32_e32 v45, v45, v49
	s_nop 1
	v_mov_b32_dpp v49, v45 row_shr:4 row_mask:0xf bank_mask:0xf
	v_cndmask_b32_e32 v48, 0, v49, vcc
	v_add_u32_e32 v45, v45, v48
	ds_write_b32 v44, v45
.LBB887_41:
	s_or_b64 exec, exec, s[28:29]
	v_cmp_lt_u32_e32 vcc, 63, v0
	v_mov_b32_e32 v44, 0
	s_waitcnt lgkmcnt(0)
	s_barrier
	s_and_saveexec_b64 s[24:25], vcc
; %bb.42:
	v_lshl_add_u32 v43, v43, 2, -4
	ds_read_b32 v44, v43
; %bb.43:
	s_or_b64 exec, exec, s[24:25]
	v_subrev_co_u32_e32 v43, vcc, 1, v17
	v_and_b32_e32 v45, 64, v17
	v_cmp_lt_i32_e64 s[24:25], v43, v45
	v_cndmask_b32_e64 v17, v43, v17, s[24:25]
	s_waitcnt lgkmcnt(0)
	v_add_u32_e32 v42, v44, v42
	v_lshlrev_b32_e32 v17, 2, v17
	ds_bpermute_b32 v17, v17, v42
	s_movk_i32 s24, 0xff
	s_movk_i32 s28, 0x100
	v_cmp_lt_u32_e64 s[24:25], s24, v0
	s_waitcnt lgkmcnt(0)
	v_cndmask_b32_e32 v17, v17, v44, vcc
	v_cndmask_b32_e64 v17, v17, 0, s[26:27]
	v_add_u32_e32 v5, v17, v5
	v_add_u32_e32 v6, v5, v6
	;; [unrolled: 1-line block ×4, first 2 shown]
	ds_write2_b32 v18, v17, v5 offset0:8 offset1:9
	ds_write2_b32 v18, v6, v3 offset0:10 offset1:11
	ds_write_b32 v18, v4 offset:48
	s_waitcnt lgkmcnt(0)
	s_barrier
	ds_read_b32 v17, v32 offset:32
	ds_read_b32 v42, v33 offset:32
	;; [unrolled: 1-line block ×8, first 2 shown]
	v_cmp_gt_u32_e32 vcc, s28, v0
                                        ; implicit-def: $vgpr32
                                        ; implicit-def: $vgpr33
	s_and_saveexec_b64 s[50:51], vcc
	s_cbranch_execz .LBB887_47
; %bb.44:
	v_mul_u32_u24_e32 v3, 36, v0
	ds_read_b32 v32, v3 offset:32
	v_add_u32_e32 v4, 1, v0
	v_cmp_ne_u32_e64 s[28:29], s28, v4
	v_mov_b32_e32 v3, 0x1000
	s_and_saveexec_b64 s[52:53], s[28:29]
; %bb.45:
	v_mul_u32_u24_e32 v3, 36, v4
	ds_read_b32 v3, v3 offset:32
; %bb.46:
	s_or_b64 exec, exec, s[52:53]
	s_waitcnt lgkmcnt(0)
	v_sub_u32_e32 v33, v3, v32
.LBB887_47:
	s_or_b64 exec, exec, s[50:51]
	v_mov_b32_e32 v4, 0
	v_lshlrev_b32_e32 v37, 2, v0
	s_waitcnt lgkmcnt(0)
	s_barrier
	s_and_saveexec_b64 s[28:29], vcc
	s_cbranch_execz .LBB887_57
; %bb.48:
	v_lshl_add_u32 v3, s33, 8, v0
	v_lshlrev_b64 v[5:6], 2, v[3:4]
	v_mov_b32_e32 v18, s31
	v_add_co_u32_e32 v5, vcc, s30, v5
	v_addc_co_u32_e32 v6, vcc, v18, v6, vcc
	v_or_b32_e32 v3, 2.0, v33
	s_mov_b64 s[50:51], 0
	s_brev_b32 s58, -4
	s_mov_b32 s59, s33
	v_mov_b32_e32 v48, 0
	global_store_dword v[5:6], v3, off
                                        ; implicit-def: $sgpr52_sgpr53
	s_branch .LBB887_51
.LBB887_49:                             ;   in Loop: Header=BB887_51 Depth=1
	s_or_b64 exec, exec, s[54:55]
.LBB887_50:                             ;   in Loop: Header=BB887_51 Depth=1
	s_or_b64 exec, exec, s[52:53]
	v_and_b32_e32 v7, 0x3fffffff, v3
	v_add_u32_e32 v48, v7, v48
	v_cmp_gt_i32_e64 s[52:53], -2.0, v3
	s_and_b64 s[54:55], exec, s[52:53]
	s_or_b64 s[50:51], s[54:55], s[50:51]
	s_andn2_b64 exec, exec, s[50:51]
	s_cbranch_execz .LBB887_56
.LBB887_51:                             ; =>This Loop Header: Depth=1
                                        ;     Child Loop BB887_54 Depth 2
	s_or_b64 s[52:53], s[52:53], exec
	s_cmp_eq_u32 s59, 0
	s_cbranch_scc1 .LBB887_55
; %bb.52:                               ;   in Loop: Header=BB887_51 Depth=1
	s_add_i32 s59, s59, -1
	v_lshl_or_b32 v3, s59, 8, v0
	v_lshlrev_b64 v[7:8], 2, v[3:4]
	v_add_co_u32_e32 v7, vcc, s30, v7
	v_addc_co_u32_e32 v8, vcc, v18, v8, vcc
	global_load_dword v3, v[7:8], off glc
	s_waitcnt vmcnt(0)
	v_cmp_gt_u32_e32 vcc, 2.0, v3
	s_and_saveexec_b64 s[52:53], vcc
	s_cbranch_execz .LBB887_50
; %bb.53:                               ;   in Loop: Header=BB887_51 Depth=1
	s_mov_b64 s[54:55], 0
.LBB887_54:                             ;   Parent Loop BB887_51 Depth=1
                                        ; =>  This Inner Loop Header: Depth=2
	global_load_dword v3, v[7:8], off glc
	s_waitcnt vmcnt(0)
	v_cmp_lt_u32_e32 vcc, s58, v3
	s_or_b64 s[54:55], vcc, s[54:55]
	s_andn2_b64 exec, exec, s[54:55]
	s_cbranch_execnz .LBB887_54
	s_branch .LBB887_49
.LBB887_55:                             ;   in Loop: Header=BB887_51 Depth=1
                                        ; implicit-def: $sgpr59
	s_and_b64 s[54:55], exec, s[52:53]
	s_or_b64 s[50:51], s[54:55], s[50:51]
	s_andn2_b64 exec, exec, s[50:51]
	s_cbranch_execnz .LBB887_51
.LBB887_56:
	s_or_b64 exec, exec, s[50:51]
	v_add_u32_e32 v3, v48, v33
	v_or_b32_e32 v3, 0x80000000, v3
	global_store_dword v[5:6], v3, off
	global_load_dword v3, v37, s[44:45]
	v_sub_u32_e32 v4, v48, v32
	s_waitcnt vmcnt(0)
	v_add_u32_e32 v3, v4, v3
	ds_write_b32 v37, v3
.LBB887_57:
	s_or_b64 exec, exec, s[28:29]
	v_add_u32_e32 v48, v17, v19
	v_add3_u32 v5, v24, v23, v42
	v_add3_u32 v6, v26, v25, v43
	;; [unrolled: 1-line block ×7, first 2 shown]
	s_mov_b32 s52, 16
	s_mov_b32 s58, 0
	s_mov_b64 s[28:29], -1
	v_mov_b32_e32 v4, 0
	s_movk_i32 s53, 0x200
	s_movk_i32 s54, 0x400
	;; [unrolled: 1-line block ×3, first 2 shown]
	v_mov_b32_e32 v49, v48
	v_mov_b32_e32 v50, v0
	s_branch .LBB887_59
.LBB887_58:                             ;   in Loop: Header=BB887_59 Depth=1
	s_or_b64 exec, exec, s[50:51]
	s_xor_b64 s[50:51], s[28:29], -1
	v_add_u32_e32 v50, 0x800, v50
	v_add_u32_e32 v19, 0xfffff800, v19
	;; [unrolled: 1-line block ×9, first 2 shown]
	s_mov_b64 s[28:29], 0
	s_and_b64 vcc, exec, s[50:51]
	s_mov_b32 s58, s52
	s_waitcnt vmcnt(0)
	s_barrier
	s_cbranch_vccnz .LBB887_67
.LBB887_59:                             ; =>This Inner Loop Header: Depth=1
	v_min_u32_e32 v3, 0x800, v49
	v_lshlrev_b32_e32 v3, 2, v3
	ds_write_b32 v3, v16 offset:1024
	v_min_u32_e32 v3, 0x800, v5
	v_lshlrev_b32_e32 v3, 2, v3
	ds_write_b32 v3, v13 offset:1024
	v_min_u32_e32 v3, 0x800, v6
	v_lshlrev_b32_e32 v3, 2, v3
	ds_write_b32 v3, v11 offset:1024
	v_min_u32_e32 v3, 0x800, v7
	v_lshlrev_b32_e32 v3, 2, v3
	ds_write_b32 v3, v12 offset:1024
	v_min_u32_e32 v3, 0x800, v8
	v_lshlrev_b32_e32 v3, 2, v3
	ds_write_b32 v3, v20 offset:1024
	v_min_u32_e32 v3, 0x800, v17
	v_lshlrev_b32_e32 v3, 2, v3
	ds_write_b32 v3, v35 offset:1024
	v_min_u32_e32 v3, 0x800, v18
	v_lshlrev_b32_e32 v3, 2, v3
	ds_write_b32 v3, v9 offset:1024
	v_min_u32_e32 v3, 0x800, v19
	v_lshlrev_b32_e32 v3, 2, v3
	v_cmp_gt_u32_e32 vcc, s7, v50
	ds_write_b32 v3, v10 offset:1024
	s_waitcnt lgkmcnt(0)
	s_barrier
	s_and_saveexec_b64 s[50:51], vcc
	s_cbranch_execz .LBB887_61
; %bb.60:                               ;   in Loop: Header=BB887_59 Depth=1
	ds_read_b32 v3, v37 offset:1024
	v_mov_b32_e32 v54, s39
	v_mov_b32_e32 v55, s58
	s_waitcnt lgkmcnt(0)
	v_lshrrev_b32_e32 v51, s48, v3
	v_and_b32_e32 v53, s57, v51
	v_lshlrev_b32_e32 v51, 2, v53
	ds_read_b32 v51, v51
	v_xor_b32_e32 v56, 0x80000000, v3
	buffer_store_dword v53, v55, s[0:3], 0 offen
	s_waitcnt lgkmcnt(0)
	v_add_u32_e32 v3, v50, v51
	v_lshlrev_b64 v[51:52], 2, v[3:4]
	v_add_co_u32_e32 v51, vcc, s38, v51
	v_addc_co_u32_e32 v52, vcc, v54, v52, vcc
	global_store_dword v[51:52], v56, off
.LBB887_61:                             ;   in Loop: Header=BB887_59 Depth=1
	s_or_b64 exec, exec, s[50:51]
	v_add_u32_e32 v3, 0x200, v50
	v_cmp_gt_u32_e32 vcc, s7, v3
	s_and_saveexec_b64 s[50:51], vcc
	s_cbranch_execz .LBB887_63
; %bb.62:                               ;   in Loop: Header=BB887_59 Depth=1
	ds_read_b32 v3, v37 offset:3072
	v_mov_b32_e32 v54, s39
	v_mov_b32_e32 v55, s58
	s_waitcnt lgkmcnt(0)
	v_lshrrev_b32_e32 v51, s48, v3
	v_and_b32_e32 v53, s57, v51
	v_lshlrev_b32_e32 v51, 2, v53
	ds_read_b32 v51, v51
	v_xor_b32_e32 v56, 0x80000000, v3
	buffer_store_dword v53, v55, s[0:3], 0 offen offset:4
	s_waitcnt lgkmcnt(0)
	v_add3_u32 v3, v50, v51, s53
	v_lshlrev_b64 v[51:52], 2, v[3:4]
	v_add_co_u32_e32 v51, vcc, s38, v51
	v_addc_co_u32_e32 v52, vcc, v54, v52, vcc
	global_store_dword v[51:52], v56, off
.LBB887_63:                             ;   in Loop: Header=BB887_59 Depth=1
	s_or_b64 exec, exec, s[50:51]
	v_add_u32_e32 v3, 0x400, v50
	v_cmp_gt_u32_e32 vcc, s7, v3
	s_and_saveexec_b64 s[50:51], vcc
	s_cbranch_execz .LBB887_65
; %bb.64:                               ;   in Loop: Header=BB887_59 Depth=1
	ds_read_b32 v3, v37 offset:5120
	v_mov_b32_e32 v54, s39
	v_mov_b32_e32 v55, s58
	s_waitcnt lgkmcnt(0)
	v_lshrrev_b32_e32 v51, s48, v3
	v_and_b32_e32 v53, s57, v51
	v_lshlrev_b32_e32 v51, 2, v53
	ds_read_b32 v51, v51
	v_xor_b32_e32 v56, 0x80000000, v3
	buffer_store_dword v53, v55, s[0:3], 0 offen offset:8
	s_waitcnt lgkmcnt(0)
	v_add3_u32 v3, v50, v51, s54
	v_lshlrev_b64 v[51:52], 2, v[3:4]
	v_add_co_u32_e32 v51, vcc, s38, v51
	v_addc_co_u32_e32 v52, vcc, v54, v52, vcc
	global_store_dword v[51:52], v56, off
.LBB887_65:                             ;   in Loop: Header=BB887_59 Depth=1
	s_or_b64 exec, exec, s[50:51]
	v_add_u32_e32 v3, 0x600, v50
	v_cmp_gt_u32_e32 vcc, s7, v3
	s_and_saveexec_b64 s[50:51], vcc
	s_cbranch_execz .LBB887_58
; %bb.66:                               ;   in Loop: Header=BB887_59 Depth=1
	ds_read_b32 v3, v37 offset:7168
	v_mov_b32_e32 v54, s39
	v_mov_b32_e32 v55, s58
	s_waitcnt lgkmcnt(0)
	v_lshrrev_b32_e32 v51, s48, v3
	v_and_b32_e32 v53, s57, v51
	v_lshlrev_b32_e32 v51, 2, v53
	ds_read_b32 v51, v51
	v_xor_b32_e32 v56, 0x80000000, v3
	buffer_store_dword v53, v55, s[0:3], 0 offen offset:12
	s_waitcnt lgkmcnt(0)
	v_add3_u32 v3, v50, v51, s55
	v_lshlrev_b64 v[51:52], 2, v[3:4]
	v_add_co_u32_e32 v51, vcc, s38, v51
	v_addc_co_u32_e32 v52, vcc, v54, v52, vcc
	global_store_dword v[51:52], v56, off
	s_branch .LBB887_58
.LBB887_67:
	s_lshl_b64 s[28:29], s[34:35], 3
	s_add_u32 s28, s40, s28
	s_addc_u32 s29, s41, s29
	v_lshlrev_b32_e32 v3, 3, v15
	v_mov_b32_e32 v4, s29
	v_add_co_u32_e32 v3, vcc, s28, v3
	v_addc_co_u32_e32 v4, vcc, 0, v4, vcc
	v_lshlrev_b32_e32 v5, 3, v14
	v_add_co_u32_e32 v19, vcc, v3, v5
	v_addc_co_u32_e32 v20, vcc, 0, v4, vcc
                                        ; implicit-def: $vgpr3_vgpr4
	s_and_saveexec_b64 s[28:29], s[8:9]
	s_cbranch_execz .LBB887_75
; %bb.68:
	global_load_dwordx2 v[3:4], v[19:20], off
	s_or_b64 exec, exec, s[28:29]
                                        ; implicit-def: $vgpr5_vgpr6
	s_and_saveexec_b64 s[8:9], s[10:11]
	s_cbranch_execnz .LBB887_76
.LBB887_69:
	s_or_b64 exec, exec, s[8:9]
                                        ; implicit-def: $vgpr7_vgpr8
	s_and_saveexec_b64 s[8:9], s[12:13]
	s_cbranch_execz .LBB887_77
.LBB887_70:
	global_load_dwordx2 v[7:8], v[19:20], off offset:1024
	s_or_b64 exec, exec, s[8:9]
                                        ; implicit-def: $vgpr9_vgpr10
	s_and_saveexec_b64 s[8:9], s[14:15]
	s_cbranch_execnz .LBB887_78
.LBB887_71:
	s_or_b64 exec, exec, s[8:9]
                                        ; implicit-def: $vgpr11_vgpr12
	s_and_saveexec_b64 s[8:9], s[16:17]
	s_cbranch_execz .LBB887_79
.LBB887_72:
	global_load_dwordx2 v[11:12], v[19:20], off offset:2048
	s_or_b64 exec, exec, s[8:9]
                                        ; implicit-def: $vgpr13_vgpr14
	s_and_saveexec_b64 s[8:9], s[18:19]
	s_cbranch_execnz .LBB887_80
.LBB887_73:
	s_or_b64 exec, exec, s[8:9]
                                        ; implicit-def: $vgpr15_vgpr16
	s_and_saveexec_b64 s[8:9], s[20:21]
	s_cbranch_execz .LBB887_81
.LBB887_74:
	global_load_dwordx2 v[15:16], v[19:20], off offset:3072
	s_or_b64 exec, exec, s[8:9]
                                        ; implicit-def: $vgpr17_vgpr18
	s_and_saveexec_b64 s[8:9], s[22:23]
	s_cbranch_execnz .LBB887_82
	s_branch .LBB887_83
.LBB887_75:
	s_or_b64 exec, exec, s[28:29]
                                        ; implicit-def: $vgpr5_vgpr6
	s_and_saveexec_b64 s[8:9], s[10:11]
	s_cbranch_execz .LBB887_69
.LBB887_76:
	global_load_dwordx2 v[5:6], v[19:20], off offset:512
	s_or_b64 exec, exec, s[8:9]
                                        ; implicit-def: $vgpr7_vgpr8
	s_and_saveexec_b64 s[8:9], s[12:13]
	s_cbranch_execnz .LBB887_70
.LBB887_77:
	s_or_b64 exec, exec, s[8:9]
                                        ; implicit-def: $vgpr9_vgpr10
	s_and_saveexec_b64 s[8:9], s[14:15]
	s_cbranch_execz .LBB887_71
.LBB887_78:
	global_load_dwordx2 v[9:10], v[19:20], off offset:1536
	s_or_b64 exec, exec, s[8:9]
                                        ; implicit-def: $vgpr11_vgpr12
	s_and_saveexec_b64 s[8:9], s[16:17]
	s_cbranch_execnz .LBB887_72
.LBB887_79:
	s_or_b64 exec, exec, s[8:9]
                                        ; implicit-def: $vgpr13_vgpr14
	s_and_saveexec_b64 s[8:9], s[18:19]
	s_cbranch_execz .LBB887_73
.LBB887_80:
	global_load_dwordx2 v[13:14], v[19:20], off offset:2560
	s_or_b64 exec, exec, s[8:9]
                                        ; implicit-def: $vgpr15_vgpr16
	s_and_saveexec_b64 s[8:9], s[20:21]
	s_cbranch_execnz .LBB887_74
.LBB887_81:
	s_or_b64 exec, exec, s[8:9]
                                        ; implicit-def: $vgpr17_vgpr18
	s_and_saveexec_b64 s[8:9], s[22:23]
	s_cbranch_execz .LBB887_83
.LBB887_82:
	global_load_dwordx2 v[17:18], v[19:20], off offset:3584
.LBB887_83:
	s_or_b64 exec, exec, s[8:9]
	v_add3_u32 v35, v41, v47, v39
	v_add3_u32 v36, v38, v46, v36
	;; [unrolled: 1-line block ×7, first 2 shown]
	s_mov_b32 s10, 0
	s_mov_b32 s11, 0
	v_mov_b32_e32 v20, 0
	s_movk_i32 s12, 0x200
	v_mov_b32_e32 v24, v0
	s_branch .LBB887_85
.LBB887_84:                             ;   in Loop: Header=BB887_85 Depth=1
	s_or_b64 exec, exec, s[8:9]
	s_addk_i32 s11, 0xfc00
	s_add_i32 s10, s10, 8
	s_cmpk_eq_i32 s11, 0xf000
	v_add_u32_e32 v24, 0x400, v24
	s_waitcnt vmcnt(0)
	s_barrier
	s_cbranch_scc1 .LBB887_89
.LBB887_85:                             ; =>This Inner Loop Header: Depth=1
	v_add_u32_e32 v19, s11, v48
	v_min_u32_e32 v19, 0x400, v19
	v_lshlrev_b32_e32 v19, 3, v19
	s_waitcnt vmcnt(0)
	ds_write_b64 v19, v[3:4] offset:1024
	v_add_u32_e32 v19, s11, v23
	v_min_u32_e32 v19, 0x400, v19
	v_lshlrev_b32_e32 v19, 3, v19
	ds_write_b64 v19, v[5:6] offset:1024
	v_add_u32_e32 v19, s11, v25
	v_min_u32_e32 v19, 0x400, v19
	v_lshlrev_b32_e32 v19, 3, v19
	;; [unrolled: 4-line block ×7, first 2 shown]
	v_cmp_gt_u32_e32 vcc, s7, v24
	ds_write_b64 v19, v[17:18] offset:1024
	s_waitcnt lgkmcnt(0)
	s_barrier
	s_and_saveexec_b64 s[8:9], vcc
	s_cbranch_execz .LBB887_87
; %bb.86:                               ;   in Loop: Header=BB887_85 Depth=1
	v_mov_b32_e32 v19, s10
	buffer_load_dword v19, v19, s[0:3], 0 offen
	v_mov_b32_e32 v26, s43
	s_waitcnt vmcnt(0)
	v_lshlrev_b32_e32 v19, 2, v19
	ds_read_b32 v19, v19
	ds_read_b64 v[38:39], v21 offset:1024
	s_waitcnt lgkmcnt(1)
	v_add_u32_e32 v19, v24, v19
	v_lshlrev_b64 v[40:41], 3, v[19:20]
	v_add_co_u32_e32 v40, vcc, s42, v40
	v_addc_co_u32_e32 v41, vcc, v26, v41, vcc
	s_waitcnt lgkmcnt(0)
	global_store_dwordx2 v[40:41], v[38:39], off
.LBB887_87:                             ;   in Loop: Header=BB887_85 Depth=1
	s_or_b64 exec, exec, s[8:9]
	v_add_u32_e32 v19, 0x200, v24
	v_cmp_gt_u32_e32 vcc, s7, v19
	s_and_saveexec_b64 s[8:9], vcc
	s_cbranch_execz .LBB887_84
; %bb.88:                               ;   in Loop: Header=BB887_85 Depth=1
	v_mov_b32_e32 v19, s10
	buffer_load_dword v19, v19, s[0:3], 0 offen offset:4
	v_mov_b32_e32 v26, s43
	s_waitcnt vmcnt(0)
	v_lshlrev_b32_e32 v19, 2, v19
	ds_read_b32 v19, v19
	ds_read_b64 v[38:39], v21 offset:5120
	s_waitcnt lgkmcnt(1)
	v_add3_u32 v19, v24, v19, s12
	v_lshlrev_b64 v[40:41], 3, v[19:20]
	v_add_co_u32_e32 v40, vcc, s42, v40
	v_addc_co_u32_e32 v41, vcc, v26, v41, vcc
	s_waitcnt lgkmcnt(0)
	global_store_dwordx2 v[40:41], v[38:39], off
	s_branch .LBB887_84
.LBB887_89:
	s_add_i32 s56, s56, -1
	s_cmp_eq_u32 s33, s56
	s_cselect_b64 s[8:9], -1, 0
	s_xor_b64 s[10:11], s[24:25], -1
	s_and_b64 s[10:11], s[10:11], s[8:9]
	s_and_saveexec_b64 s[8:9], s[10:11]
	s_cbranch_execz .LBB887_91
; %bb.90:
	ds_read_b32 v3, v37
	s_waitcnt lgkmcnt(0)
	v_add3_u32 v3, v32, v33, v3
	global_store_dword v37, v3, s[46:47]
.LBB887_91:
	s_or_b64 exec, exec, s[8:9]
	s_mov_b64 s[8:9], 0
.LBB887_92:
	s_and_b64 vcc, exec, s[8:9]
	s_cbranch_vccz .LBB887_135
; %bb.93:
	s_lshl_b32 s8, s33, 12
	s_mov_b32 s9, 0
	s_lshl_b64 s[10:11], s[8:9], 2
	v_mbcnt_hi_u32_b32 v5, -1, v22
	s_add_u32 s7, s36, s10
	v_and_b32_e32 v8, 63, v5
	s_addc_u32 s10, s37, s11
	v_lshlrev_b32_e32 v3, 2, v8
	v_and_b32_e32 v7, 0xe00, v21
	v_mov_b32_e32 v4, s10
	v_add_co_u32_e32 v3, vcc, s7, v3
	v_addc_co_u32_e32 v4, vcc, 0, v4, vcc
	v_lshlrev_b32_e32 v6, 2, v7
	v_add_co_u32_e32 v12, vcc, v3, v6
	v_addc_co_u32_e32 v13, vcc, 0, v4, vcc
	global_load_dword v4, v[12:13], off
	s_load_dword s7, s[4:5], 0x64
	s_load_dword s16, s[4:5], 0x58
	s_add_u32 s4, s4, 0x58
	s_addc_u32 s5, s5, 0
	v_mov_b32_e32 v3, 0
	s_waitcnt lgkmcnt(0)
	s_lshr_b32 s10, s7, 16
	s_cmp_lt_u32 s6, s16
	s_cselect_b32 s6, 12, 18
	s_add_u32 s4, s4, s6
	s_addc_u32 s5, s5, 0
	global_load_ushort v6, v3, s[4:5]
	global_load_dword v10, v[12:13], off offset:256
	global_load_dword v11, v[12:13], off offset:512
	;; [unrolled: 1-line block ×7, first 2 shown]
	s_lshl_b32 s4, -1, s49
	s_not_b32 s17, s4
	v_mad_u32_u24 v1, v2, s10, v1
	s_waitcnt vmcnt(8)
	v_xor_b32_e32 v9, 0x80000000, v4
	v_lshrrev_b32_e32 v4, s48, v9
	v_and_b32_e32 v15, s17, v4
	v_and_b32_e32 v12, 1, v15
	v_lshlrev_b32_e32 v4, 30, v15
	v_cmp_ne_u32_e32 vcc, 0, v12
	v_add_co_u32_e64 v12, s[6:7], -1, v12
	v_cmp_gt_i64_e64 s[4:5], 0, v[3:4]
	v_addc_co_u32_e64 v13, s[6:7], 0, -1, s[6:7]
	v_not_b32_e32 v16, v4
	v_lshlrev_b32_e32 v4, 29, v15
	v_xor_b32_e32 v13, vcc_hi, v13
	v_ashrrev_i32_e32 v16, 31, v16
	v_xor_b32_e32 v12, vcc_lo, v12
	v_cmp_gt_i64_e32 vcc, 0, v[3:4]
	v_not_b32_e32 v18, v4
	v_lshlrev_b32_e32 v4, 28, v15
	v_and_b32_e32 v13, exec_hi, v13
	v_xor_b32_e32 v19, s5, v16
	v_and_b32_e32 v12, exec_lo, v12
	v_xor_b32_e32 v16, s4, v16
	v_ashrrev_i32_e32 v18, 31, v18
	v_cmp_gt_i64_e64 s[4:5], 0, v[3:4]
	v_not_b32_e32 v20, v4
	v_lshlrev_b32_e32 v4, 27, v15
	v_and_b32_e32 v13, v13, v19
	v_and_b32_e32 v12, v12, v16
	v_xor_b32_e32 v16, vcc_hi, v18
	v_xor_b32_e32 v18, vcc_lo, v18
	v_ashrrev_i32_e32 v19, 31, v20
	v_cmp_gt_i64_e32 vcc, 0, v[3:4]
	v_not_b32_e32 v20, v4
	v_lshlrev_b32_e32 v4, 26, v15
	v_and_b32_e32 v13, v13, v16
	v_and_b32_e32 v12, v12, v18
	v_xor_b32_e32 v16, s5, v19
	v_xor_b32_e32 v18, s4, v19
	v_ashrrev_i32_e32 v19, 31, v20
	v_cmp_gt_i64_e64 s[4:5], 0, v[3:4]
	v_not_b32_e32 v20, v4
	v_lshlrev_b32_e32 v4, 25, v15
	v_and_b32_e32 v13, v13, v16
	v_and_b32_e32 v12, v12, v18
	v_xor_b32_e32 v16, vcc_hi, v19
	v_xor_b32_e32 v18, vcc_lo, v19
	v_ashrrev_i32_e32 v19, 31, v20
	v_cmp_gt_i64_e32 vcc, 0, v[3:4]
	v_not_b32_e32 v4, v4
	v_and_b32_e32 v13, v13, v16
	v_and_b32_e32 v12, v12, v18
	v_xor_b32_e32 v16, s5, v19
	v_xor_b32_e32 v18, s4, v19
	v_ashrrev_i32_e32 v4, 31, v4
	v_and_b32_e32 v13, v13, v16
	v_and_b32_e32 v12, v12, v18
	v_xor_b32_e32 v16, vcc_hi, v4
	v_xor_b32_e32 v4, vcc_lo, v4
	v_and_b32_e32 v18, v12, v4
	v_lshlrev_b32_e32 v4, 24, v15
	v_cmp_gt_i64_e32 vcc, 0, v[3:4]
	v_not_b32_e32 v4, v4
	v_and_b32_e32 v16, v13, v16
	v_ashrrev_i32_e32 v4, 31, v4
	s_waitcnt vmcnt(7)
	v_mad_u64_u32 v[12:13], s[4:5], v1, v6, v[0:1]
	v_xor_b32_e32 v19, vcc_hi, v4
	v_xor_b32_e32 v1, vcc_lo, v4
	v_mul_lo_u32 v4, v15, 36
	v_and_b32_e32 v1, v18, v1
	v_lshrrev_b32_e32 v27, 6, v12
	v_and_b32_e32 v2, v16, v19
	v_lshl_add_u32 v18, v27, 2, v4
	v_mbcnt_lo_u32_b32 v4, v1, 0
	v_mbcnt_hi_u32_b32 v12, v2, v4
	v_cmp_ne_u64_e32 vcc, 0, v[1:2]
	v_cmp_eq_u32_e64 s[4:5], 0, v12
	v_mul_u32_u24_e32 v6, 20, v0
	s_and_b64 s[6:7], vcc, s[4:5]
	ds_write2_b32 v6, v3, v3 offset0:8 offset1:9
	ds_write2_b32 v6, v3, v3 offset0:10 offset1:11
	ds_write_b32 v6, v3 offset:48
	s_waitcnt vmcnt(0) lgkmcnt(0)
	s_barrier
	; wave barrier
	s_and_saveexec_b64 s[4:5], s[6:7]
; %bb.94:
	v_bcnt_u32_b32 v1, v1, 0
	v_bcnt_u32_b32 v1, v2, v1
	ds_write_b32 v18, v1 offset:32
; %bb.95:
	s_or_b64 exec, exec, s[4:5]
	v_xor_b32_e32 v10, 0x80000000, v10
	v_lshrrev_b32_e32 v1, s48, v10
	v_and_b32_e32 v1, s17, v1
	v_mul_lo_u32 v2, v1, 36
	v_and_b32_e32 v4, 1, v1
	; wave barrier
	v_lshl_add_u32 v19, v27, 2, v2
	v_add_co_u32_e32 v2, vcc, -1, v4
	v_addc_co_u32_e64 v15, s[4:5], 0, -1, vcc
	v_cmp_ne_u32_e32 vcc, 0, v4
	v_xor_b32_e32 v4, vcc_hi, v15
	v_and_b32_e32 v15, exec_hi, v4
	v_lshlrev_b32_e32 v4, 30, v1
	v_xor_b32_e32 v2, vcc_lo, v2
	v_cmp_gt_i64_e32 vcc, 0, v[3:4]
	v_not_b32_e32 v4, v4
	v_ashrrev_i32_e32 v4, 31, v4
	v_and_b32_e32 v2, exec_lo, v2
	v_xor_b32_e32 v16, vcc_hi, v4
	v_xor_b32_e32 v4, vcc_lo, v4
	v_and_b32_e32 v2, v2, v4
	v_lshlrev_b32_e32 v4, 29, v1
	v_cmp_gt_i64_e32 vcc, 0, v[3:4]
	v_not_b32_e32 v4, v4
	v_ashrrev_i32_e32 v4, 31, v4
	v_and_b32_e32 v15, v15, v16
	v_xor_b32_e32 v16, vcc_hi, v4
	v_xor_b32_e32 v4, vcc_lo, v4
	v_and_b32_e32 v2, v2, v4
	v_lshlrev_b32_e32 v4, 28, v1
	v_cmp_gt_i64_e32 vcc, 0, v[3:4]
	v_not_b32_e32 v4, v4
	v_ashrrev_i32_e32 v4, 31, v4
	v_and_b32_e32 v15, v15, v16
	;; [unrolled: 8-line block ×5, first 2 shown]
	v_xor_b32_e32 v16, vcc_hi, v4
	v_xor_b32_e32 v4, vcc_lo, v4
	v_and_b32_e32 v15, v15, v16
	v_and_b32_e32 v16, v2, v4
	v_lshlrev_b32_e32 v4, 24, v1
	v_cmp_gt_i64_e32 vcc, 0, v[3:4]
	v_not_b32_e32 v1, v4
	v_ashrrev_i32_e32 v1, 31, v1
	v_xor_b32_e32 v2, vcc_hi, v1
	v_xor_b32_e32 v1, vcc_lo, v1
	ds_read_b32 v13, v19 offset:32
	v_and_b32_e32 v1, v16, v1
	v_and_b32_e32 v2, v15, v2
	v_mbcnt_lo_u32_b32 v3, v1, 0
	v_mbcnt_hi_u32_b32 v15, v2, v3
	v_cmp_ne_u64_e32 vcc, 0, v[1:2]
	v_cmp_eq_u32_e64 s[4:5], 0, v15
	s_and_b64 s[6:7], vcc, s[4:5]
	; wave barrier
	s_and_saveexec_b64 s[4:5], s[6:7]
	s_cbranch_execz .LBB887_97
; %bb.96:
	v_bcnt_u32_b32 v1, v1, 0
	v_bcnt_u32_b32 v1, v2, v1
	s_waitcnt lgkmcnt(0)
	v_add_u32_e32 v1, v13, v1
	ds_write_b32 v19, v1 offset:32
.LBB887_97:
	s_or_b64 exec, exec, s[4:5]
	v_xor_b32_e32 v11, 0x80000000, v11
	v_lshrrev_b32_e32 v1, s48, v11
	v_and_b32_e32 v3, s17, v1
	v_mul_lo_u32 v1, v3, 36
	v_and_b32_e32 v2, 1, v3
	v_add_co_u32_e32 v4, vcc, -1, v2
	v_addc_co_u32_e64 v20, s[4:5], 0, -1, vcc
	v_cmp_ne_u32_e32 vcc, 0, v2
	v_xor_b32_e32 v2, vcc_hi, v20
	v_lshl_add_u32 v25, v27, 2, v1
	v_mov_b32_e32 v1, 0
	v_and_b32_e32 v20, exec_hi, v2
	v_lshlrev_b32_e32 v2, 30, v3
	v_xor_b32_e32 v4, vcc_lo, v4
	v_cmp_gt_i64_e32 vcc, 0, v[1:2]
	v_not_b32_e32 v2, v2
	v_ashrrev_i32_e32 v2, 31, v2
	v_and_b32_e32 v4, exec_lo, v4
	v_xor_b32_e32 v22, vcc_hi, v2
	v_xor_b32_e32 v2, vcc_lo, v2
	v_and_b32_e32 v4, v4, v2
	v_lshlrev_b32_e32 v2, 29, v3
	v_cmp_gt_i64_e32 vcc, 0, v[1:2]
	v_not_b32_e32 v2, v2
	v_ashrrev_i32_e32 v2, 31, v2
	v_and_b32_e32 v20, v20, v22
	v_xor_b32_e32 v22, vcc_hi, v2
	v_xor_b32_e32 v2, vcc_lo, v2
	v_and_b32_e32 v4, v4, v2
	v_lshlrev_b32_e32 v2, 28, v3
	v_cmp_gt_i64_e32 vcc, 0, v[1:2]
	v_not_b32_e32 v2, v2
	v_ashrrev_i32_e32 v2, 31, v2
	v_and_b32_e32 v20, v20, v22
	;; [unrolled: 8-line block ×5, first 2 shown]
	v_xor_b32_e32 v22, vcc_hi, v2
	v_xor_b32_e32 v2, vcc_lo, v2
	v_and_b32_e32 v4, v4, v2
	v_lshlrev_b32_e32 v2, 24, v3
	v_cmp_gt_i64_e32 vcc, 0, v[1:2]
	v_not_b32_e32 v2, v2
	v_ashrrev_i32_e32 v2, 31, v2
	v_xor_b32_e32 v3, vcc_hi, v2
	v_xor_b32_e32 v2, vcc_lo, v2
	; wave barrier
	ds_read_b32 v16, v25 offset:32
	v_and_b32_e32 v20, v20, v22
	v_and_b32_e32 v2, v4, v2
	v_and_b32_e32 v3, v20, v3
	v_mbcnt_lo_u32_b32 v4, v2, 0
	v_mbcnt_hi_u32_b32 v20, v3, v4
	v_cmp_ne_u64_e32 vcc, 0, v[2:3]
	v_cmp_eq_u32_e64 s[4:5], 0, v20
	s_and_b64 s[6:7], vcc, s[4:5]
	; wave barrier
	s_and_saveexec_b64 s[4:5], s[6:7]
	s_cbranch_execz .LBB887_99
; %bb.98:
	v_bcnt_u32_b32 v2, v2, 0
	v_bcnt_u32_b32 v2, v3, v2
	s_waitcnt lgkmcnt(0)
	v_add_u32_e32 v2, v16, v2
	ds_write_b32 v25, v2 offset:32
.LBB887_99:
	s_or_b64 exec, exec, s[4:5]
	v_xor_b32_e32 v14, 0x80000000, v14
	v_lshrrev_b32_e32 v2, s48, v14
	v_and_b32_e32 v3, s17, v2
	v_mul_lo_u32 v2, v3, 36
	v_and_b32_e32 v4, 1, v3
	; wave barrier
	v_lshl_add_u32 v30, v27, 2, v2
	v_add_co_u32_e32 v2, vcc, -1, v4
	v_addc_co_u32_e64 v26, s[4:5], 0, -1, vcc
	v_cmp_ne_u32_e32 vcc, 0, v4
	v_xor_b32_e32 v2, vcc_lo, v2
	v_xor_b32_e32 v4, vcc_hi, v26
	v_and_b32_e32 v26, exec_lo, v2
	v_lshlrev_b32_e32 v2, 30, v3
	v_cmp_gt_i64_e32 vcc, 0, v[1:2]
	v_not_b32_e32 v2, v2
	v_ashrrev_i32_e32 v2, 31, v2
	v_xor_b32_e32 v28, vcc_hi, v2
	v_xor_b32_e32 v2, vcc_lo, v2
	v_and_b32_e32 v26, v26, v2
	v_lshlrev_b32_e32 v2, 29, v3
	v_cmp_gt_i64_e32 vcc, 0, v[1:2]
	v_not_b32_e32 v2, v2
	v_and_b32_e32 v4, exec_hi, v4
	v_ashrrev_i32_e32 v2, 31, v2
	v_and_b32_e32 v4, v4, v28
	v_xor_b32_e32 v28, vcc_hi, v2
	v_xor_b32_e32 v2, vcc_lo, v2
	v_and_b32_e32 v26, v26, v2
	v_lshlrev_b32_e32 v2, 28, v3
	v_cmp_gt_i64_e32 vcc, 0, v[1:2]
	v_not_b32_e32 v2, v2
	v_ashrrev_i32_e32 v2, 31, v2
	v_and_b32_e32 v4, v4, v28
	v_xor_b32_e32 v28, vcc_hi, v2
	v_xor_b32_e32 v2, vcc_lo, v2
	v_and_b32_e32 v26, v26, v2
	v_lshlrev_b32_e32 v2, 27, v3
	v_cmp_gt_i64_e32 vcc, 0, v[1:2]
	v_not_b32_e32 v2, v2
	;; [unrolled: 8-line block ×5, first 2 shown]
	v_ashrrev_i32_e32 v1, 31, v1
	v_xor_b32_e32 v2, vcc_hi, v1
	v_xor_b32_e32 v1, vcc_lo, v1
	ds_read_b32 v22, v30 offset:32
	v_and_b32_e32 v4, v4, v28
	v_and_b32_e32 v1, v26, v1
	;; [unrolled: 1-line block ×3, first 2 shown]
	v_mbcnt_lo_u32_b32 v3, v1, 0
	v_mbcnt_hi_u32_b32 v26, v2, v3
	v_cmp_ne_u64_e32 vcc, 0, v[1:2]
	v_cmp_eq_u32_e64 s[4:5], 0, v26
	s_and_b64 s[6:7], vcc, s[4:5]
	; wave barrier
	s_and_saveexec_b64 s[4:5], s[6:7]
	s_cbranch_execz .LBB887_101
; %bb.100:
	v_bcnt_u32_b32 v1, v1, 0
	v_bcnt_u32_b32 v1, v2, v1
	s_waitcnt lgkmcnt(0)
	v_add_u32_e32 v1, v22, v1
	ds_write_b32 v30, v1 offset:32
.LBB887_101:
	s_or_b64 exec, exec, s[4:5]
	v_xor_b32_e32 v17, 0x80000000, v17
	v_lshrrev_b32_e32 v1, s48, v17
	v_and_b32_e32 v3, s17, v1
	v_mul_lo_u32 v1, v3, 36
	v_and_b32_e32 v2, 1, v3
	v_add_co_u32_e32 v4, vcc, -1, v2
	v_addc_co_u32_e64 v31, s[4:5], 0, -1, vcc
	v_cmp_ne_u32_e32 vcc, 0, v2
	v_xor_b32_e32 v2, vcc_hi, v31
	v_lshl_add_u32 v34, v27, 2, v1
	v_mov_b32_e32 v1, 0
	v_and_b32_e32 v31, exec_hi, v2
	v_lshlrev_b32_e32 v2, 30, v3
	v_xor_b32_e32 v4, vcc_lo, v4
	v_cmp_gt_i64_e32 vcc, 0, v[1:2]
	v_not_b32_e32 v2, v2
	v_ashrrev_i32_e32 v2, 31, v2
	v_and_b32_e32 v4, exec_lo, v4
	v_xor_b32_e32 v32, vcc_hi, v2
	v_xor_b32_e32 v2, vcc_lo, v2
	v_and_b32_e32 v4, v4, v2
	v_lshlrev_b32_e32 v2, 29, v3
	v_cmp_gt_i64_e32 vcc, 0, v[1:2]
	v_not_b32_e32 v2, v2
	v_ashrrev_i32_e32 v2, 31, v2
	v_and_b32_e32 v31, v31, v32
	v_xor_b32_e32 v32, vcc_hi, v2
	v_xor_b32_e32 v2, vcc_lo, v2
	v_and_b32_e32 v4, v4, v2
	v_lshlrev_b32_e32 v2, 28, v3
	v_cmp_gt_i64_e32 vcc, 0, v[1:2]
	v_not_b32_e32 v2, v2
	v_ashrrev_i32_e32 v2, 31, v2
	v_and_b32_e32 v31, v31, v32
	;; [unrolled: 8-line block ×5, first 2 shown]
	v_xor_b32_e32 v32, vcc_hi, v2
	v_xor_b32_e32 v2, vcc_lo, v2
	v_and_b32_e32 v4, v4, v2
	v_lshlrev_b32_e32 v2, 24, v3
	v_cmp_gt_i64_e32 vcc, 0, v[1:2]
	v_not_b32_e32 v2, v2
	v_ashrrev_i32_e32 v2, 31, v2
	v_xor_b32_e32 v3, vcc_hi, v2
	v_xor_b32_e32 v2, vcc_lo, v2
	; wave barrier
	ds_read_b32 v28, v34 offset:32
	v_and_b32_e32 v31, v31, v32
	v_and_b32_e32 v2, v4, v2
	;; [unrolled: 1-line block ×3, first 2 shown]
	v_mbcnt_lo_u32_b32 v4, v2, 0
	v_mbcnt_hi_u32_b32 v31, v3, v4
	v_cmp_ne_u64_e32 vcc, 0, v[2:3]
	v_cmp_eq_u32_e64 s[4:5], 0, v31
	s_and_b64 s[6:7], vcc, s[4:5]
	; wave barrier
	s_and_saveexec_b64 s[4:5], s[6:7]
	s_cbranch_execz .LBB887_103
; %bb.102:
	v_bcnt_u32_b32 v2, v2, 0
	v_bcnt_u32_b32 v2, v3, v2
	s_waitcnt lgkmcnt(0)
	v_add_u32_e32 v2, v28, v2
	ds_write_b32 v34, v2 offset:32
.LBB887_103:
	s_or_b64 exec, exec, s[4:5]
	v_xor_b32_e32 v23, 0x80000000, v23
	v_lshrrev_b32_e32 v2, s48, v23
	v_and_b32_e32 v3, s17, v2
	v_mul_lo_u32 v2, v3, 36
	v_and_b32_e32 v4, 1, v3
	; wave barrier
	v_lshl_add_u32 v37, v27, 2, v2
	v_add_co_u32_e32 v2, vcc, -1, v4
	v_addc_co_u32_e64 v33, s[4:5], 0, -1, vcc
	v_cmp_ne_u32_e32 vcc, 0, v4
	v_xor_b32_e32 v2, vcc_lo, v2
	v_xor_b32_e32 v4, vcc_hi, v33
	v_and_b32_e32 v33, exec_lo, v2
	v_lshlrev_b32_e32 v2, 30, v3
	v_cmp_gt_i64_e32 vcc, 0, v[1:2]
	v_not_b32_e32 v2, v2
	v_ashrrev_i32_e32 v2, 31, v2
	v_xor_b32_e32 v35, vcc_hi, v2
	v_xor_b32_e32 v2, vcc_lo, v2
	v_and_b32_e32 v33, v33, v2
	v_lshlrev_b32_e32 v2, 29, v3
	v_cmp_gt_i64_e32 vcc, 0, v[1:2]
	v_not_b32_e32 v2, v2
	v_and_b32_e32 v4, exec_hi, v4
	v_ashrrev_i32_e32 v2, 31, v2
	v_and_b32_e32 v4, v4, v35
	v_xor_b32_e32 v35, vcc_hi, v2
	v_xor_b32_e32 v2, vcc_lo, v2
	v_and_b32_e32 v33, v33, v2
	v_lshlrev_b32_e32 v2, 28, v3
	v_cmp_gt_i64_e32 vcc, 0, v[1:2]
	v_not_b32_e32 v2, v2
	v_ashrrev_i32_e32 v2, 31, v2
	v_and_b32_e32 v4, v4, v35
	v_xor_b32_e32 v35, vcc_hi, v2
	v_xor_b32_e32 v2, vcc_lo, v2
	v_and_b32_e32 v33, v33, v2
	v_lshlrev_b32_e32 v2, 27, v3
	v_cmp_gt_i64_e32 vcc, 0, v[1:2]
	v_not_b32_e32 v2, v2
	;; [unrolled: 8-line block ×5, first 2 shown]
	v_ashrrev_i32_e32 v1, 31, v1
	v_xor_b32_e32 v2, vcc_hi, v1
	v_xor_b32_e32 v1, vcc_lo, v1
	ds_read_b32 v32, v37 offset:32
	v_and_b32_e32 v4, v4, v35
	v_and_b32_e32 v1, v33, v1
	;; [unrolled: 1-line block ×3, first 2 shown]
	v_mbcnt_lo_u32_b32 v3, v1, 0
	v_mbcnt_hi_u32_b32 v35, v2, v3
	v_cmp_ne_u64_e32 vcc, 0, v[1:2]
	v_cmp_eq_u32_e64 s[4:5], 0, v35
	s_and_b64 s[6:7], vcc, s[4:5]
	; wave barrier
	s_and_saveexec_b64 s[4:5], s[6:7]
	s_cbranch_execz .LBB887_105
; %bb.104:
	v_bcnt_u32_b32 v1, v1, 0
	v_bcnt_u32_b32 v1, v2, v1
	s_waitcnt lgkmcnt(0)
	v_add_u32_e32 v1, v32, v1
	ds_write_b32 v37, v1 offset:32
.LBB887_105:
	s_or_b64 exec, exec, s[4:5]
	v_xor_b32_e32 v29, 0x80000000, v29
	v_lshrrev_b32_e32 v1, s48, v29
	v_and_b32_e32 v3, s17, v1
	v_mul_lo_u32 v1, v3, 36
	v_and_b32_e32 v2, 1, v3
	v_add_co_u32_e32 v4, vcc, -1, v2
	v_addc_co_u32_e64 v33, s[4:5], 0, -1, vcc
	v_cmp_ne_u32_e32 vcc, 0, v2
	v_xor_b32_e32 v2, vcc_hi, v33
	v_lshl_add_u32 v39, v27, 2, v1
	v_mov_b32_e32 v1, 0
	v_and_b32_e32 v33, exec_hi, v2
	v_lshlrev_b32_e32 v2, 30, v3
	v_xor_b32_e32 v4, vcc_lo, v4
	v_cmp_gt_i64_e32 vcc, 0, v[1:2]
	v_not_b32_e32 v2, v2
	v_ashrrev_i32_e32 v2, 31, v2
	v_and_b32_e32 v4, exec_lo, v4
	v_xor_b32_e32 v38, vcc_hi, v2
	v_xor_b32_e32 v2, vcc_lo, v2
	v_and_b32_e32 v4, v4, v2
	v_lshlrev_b32_e32 v2, 29, v3
	v_cmp_gt_i64_e32 vcc, 0, v[1:2]
	v_not_b32_e32 v2, v2
	v_ashrrev_i32_e32 v2, 31, v2
	v_and_b32_e32 v33, v33, v38
	v_xor_b32_e32 v38, vcc_hi, v2
	v_xor_b32_e32 v2, vcc_lo, v2
	v_and_b32_e32 v4, v4, v2
	v_lshlrev_b32_e32 v2, 28, v3
	v_cmp_gt_i64_e32 vcc, 0, v[1:2]
	v_not_b32_e32 v2, v2
	v_ashrrev_i32_e32 v2, 31, v2
	v_and_b32_e32 v33, v33, v38
	;; [unrolled: 8-line block ×5, first 2 shown]
	v_xor_b32_e32 v38, vcc_hi, v2
	v_xor_b32_e32 v2, vcc_lo, v2
	v_and_b32_e32 v4, v4, v2
	v_lshlrev_b32_e32 v2, 24, v3
	v_cmp_gt_i64_e32 vcc, 0, v[1:2]
	v_not_b32_e32 v2, v2
	v_ashrrev_i32_e32 v2, 31, v2
	v_xor_b32_e32 v3, vcc_hi, v2
	v_xor_b32_e32 v2, vcc_lo, v2
	; wave barrier
	ds_read_b32 v36, v39 offset:32
	v_and_b32_e32 v33, v33, v38
	v_and_b32_e32 v2, v4, v2
	;; [unrolled: 1-line block ×3, first 2 shown]
	v_mbcnt_lo_u32_b32 v4, v2, 0
	v_mbcnt_hi_u32_b32 v38, v3, v4
	v_cmp_ne_u64_e32 vcc, 0, v[2:3]
	v_cmp_eq_u32_e64 s[4:5], 0, v38
	s_and_b64 s[6:7], vcc, s[4:5]
	; wave barrier
	s_and_saveexec_b64 s[4:5], s[6:7]
	s_cbranch_execz .LBB887_107
; %bb.106:
	v_bcnt_u32_b32 v2, v2, 0
	v_bcnt_u32_b32 v2, v3, v2
	s_waitcnt lgkmcnt(0)
	v_add_u32_e32 v2, v36, v2
	ds_write_b32 v39, v2 offset:32
.LBB887_107:
	s_or_b64 exec, exec, s[4:5]
	v_xor_b32_e32 v33, 0x80000000, v24
	v_lshrrev_b32_e32 v2, s48, v33
	v_and_b32_e32 v3, s17, v2
	v_mul_lo_u32 v2, v3, 36
	v_and_b32_e32 v4, 1, v3
	; wave barrier
	v_lshl_add_u32 v41, v27, 2, v2
	v_add_co_u32_e32 v2, vcc, -1, v4
	v_addc_co_u32_e64 v24, s[4:5], 0, -1, vcc
	v_cmp_ne_u32_e32 vcc, 0, v4
	v_xor_b32_e32 v2, vcc_lo, v2
	v_xor_b32_e32 v4, vcc_hi, v24
	v_and_b32_e32 v24, exec_lo, v2
	v_lshlrev_b32_e32 v2, 30, v3
	v_cmp_gt_i64_e32 vcc, 0, v[1:2]
	v_not_b32_e32 v2, v2
	v_ashrrev_i32_e32 v2, 31, v2
	v_xor_b32_e32 v40, vcc_hi, v2
	v_xor_b32_e32 v2, vcc_lo, v2
	v_and_b32_e32 v24, v24, v2
	v_lshlrev_b32_e32 v2, 29, v3
	v_cmp_gt_i64_e32 vcc, 0, v[1:2]
	v_not_b32_e32 v2, v2
	v_and_b32_e32 v4, exec_hi, v4
	v_ashrrev_i32_e32 v2, 31, v2
	v_and_b32_e32 v4, v4, v40
	v_xor_b32_e32 v40, vcc_hi, v2
	v_xor_b32_e32 v2, vcc_lo, v2
	v_and_b32_e32 v24, v24, v2
	v_lshlrev_b32_e32 v2, 28, v3
	v_cmp_gt_i64_e32 vcc, 0, v[1:2]
	v_not_b32_e32 v2, v2
	v_ashrrev_i32_e32 v2, 31, v2
	v_and_b32_e32 v4, v4, v40
	v_xor_b32_e32 v40, vcc_hi, v2
	v_xor_b32_e32 v2, vcc_lo, v2
	v_and_b32_e32 v24, v24, v2
	v_lshlrev_b32_e32 v2, 27, v3
	v_cmp_gt_i64_e32 vcc, 0, v[1:2]
	v_not_b32_e32 v2, v2
	;; [unrolled: 8-line block ×5, first 2 shown]
	v_ashrrev_i32_e32 v1, 31, v1
	v_xor_b32_e32 v2, vcc_hi, v1
	v_xor_b32_e32 v1, vcc_lo, v1
	ds_read_b32 v27, v41 offset:32
	v_and_b32_e32 v4, v4, v40
	v_and_b32_e32 v1, v24, v1
	;; [unrolled: 1-line block ×3, first 2 shown]
	v_mbcnt_lo_u32_b32 v3, v1, 0
	v_mbcnt_hi_u32_b32 v40, v2, v3
	v_cmp_ne_u64_e32 vcc, 0, v[1:2]
	v_cmp_eq_u32_e64 s[4:5], 0, v40
	s_and_b64 s[6:7], vcc, s[4:5]
	; wave barrier
	s_and_saveexec_b64 s[4:5], s[6:7]
	s_cbranch_execz .LBB887_109
; %bb.108:
	v_bcnt_u32_b32 v1, v1, 0
	v_bcnt_u32_b32 v1, v2, v1
	s_waitcnt lgkmcnt(0)
	v_add_u32_e32 v1, v27, v1
	ds_write_b32 v41, v1 offset:32
.LBB887_109:
	s_or_b64 exec, exec, s[4:5]
	; wave barrier
	s_waitcnt lgkmcnt(0)
	s_barrier
	ds_read2_b32 v[3:4], v6 offset0:8 offset1:9
	ds_read2_b32 v[1:2], v6 offset0:10 offset1:11
	ds_read_b32 v24, v6 offset:48
	s_waitcnt lgkmcnt(1)
	v_add3_u32 v42, v4, v3, v1
	s_waitcnt lgkmcnt(0)
	v_add3_u32 v24, v42, v2, v24
	v_and_b32_e32 v42, 15, v5
	v_cmp_ne_u32_e32 vcc, 0, v42
	v_mov_b32_dpp v43, v24 row_shr:1 row_mask:0xf bank_mask:0xf
	v_cndmask_b32_e32 v43, 0, v43, vcc
	v_add_u32_e32 v24, v43, v24
	v_cmp_lt_u32_e32 vcc, 1, v42
	s_nop 0
	v_mov_b32_dpp v43, v24 row_shr:2 row_mask:0xf bank_mask:0xf
	v_cndmask_b32_e32 v43, 0, v43, vcc
	v_add_u32_e32 v24, v24, v43
	v_cmp_lt_u32_e32 vcc, 3, v42
	s_nop 0
	v_mov_b32_dpp v43, v24 row_shr:4 row_mask:0xf bank_mask:0xf
	v_cndmask_b32_e32 v43, 0, v43, vcc
	v_add_u32_e32 v24, v24, v43
	v_cmp_lt_u32_e32 vcc, 7, v42
	s_nop 0
	v_mov_b32_dpp v43, v24 row_shr:8 row_mask:0xf bank_mask:0xf
	v_cndmask_b32_e32 v42, 0, v43, vcc
	v_add_u32_e32 v24, v24, v42
	v_bfe_i32 v43, v5, 4, 1
	v_cmp_lt_u32_e32 vcc, 31, v5
	v_mov_b32_dpp v42, v24 row_bcast:15 row_mask:0xf bank_mask:0xf
	v_and_b32_e32 v42, v43, v42
	v_add_u32_e32 v24, v24, v42
	v_lshrrev_b32_e32 v43, 6, v0
	s_nop 0
	v_mov_b32_dpp v42, v24 row_bcast:31 row_mask:0xf bank_mask:0xf
	v_cndmask_b32_e32 v42, 0, v42, vcc
	v_add_u32_e32 v42, v24, v42
	v_or_b32_e32 v24, 63, v0
	v_cmp_eq_u32_e32 vcc, v0, v24
	s_and_saveexec_b64 s[4:5], vcc
; %bb.110:
	v_lshlrev_b32_e32 v24, 2, v43
	ds_write_b32 v24, v42
; %bb.111:
	s_or_b64 exec, exec, s[4:5]
	v_cmp_gt_u32_e32 vcc, 8, v0
	v_lshlrev_b32_e32 v24, 2, v0
	s_waitcnt lgkmcnt(0)
	s_barrier
	s_and_saveexec_b64 s[4:5], vcc
	s_cbranch_execz .LBB887_113
; %bb.112:
	ds_read_b32 v44, v24
	v_and_b32_e32 v45, 7, v5
	v_cmp_ne_u32_e32 vcc, 0, v45
	s_waitcnt lgkmcnt(0)
	v_mov_b32_dpp v46, v44 row_shr:1 row_mask:0xf bank_mask:0xf
	v_cndmask_b32_e32 v46, 0, v46, vcc
	v_add_u32_e32 v44, v46, v44
	v_cmp_lt_u32_e32 vcc, 1, v45
	s_nop 0
	v_mov_b32_dpp v46, v44 row_shr:2 row_mask:0xf bank_mask:0xf
	v_cndmask_b32_e32 v46, 0, v46, vcc
	v_add_u32_e32 v44, v44, v46
	v_cmp_lt_u32_e32 vcc, 3, v45
	s_nop 0
	v_mov_b32_dpp v46, v44 row_shr:4 row_mask:0xf bank_mask:0xf
	v_cndmask_b32_e32 v45, 0, v46, vcc
	v_add_u32_e32 v44, v44, v45
	ds_write_b32 v24, v44
.LBB887_113:
	s_or_b64 exec, exec, s[4:5]
	v_cmp_lt_u32_e32 vcc, 63, v0
	v_mov_b32_e32 v44, 0
	s_waitcnt lgkmcnt(0)
	s_barrier
	s_and_saveexec_b64 s[4:5], vcc
; %bb.114:
	v_lshl_add_u32 v43, v43, 2, -4
	ds_read_b32 v44, v43
; %bb.115:
	s_or_b64 exec, exec, s[4:5]
	v_subrev_co_u32_e32 v43, vcc, 1, v5
	v_and_b32_e32 v45, 64, v5
	v_cmp_lt_i32_e64 s[4:5], v43, v45
	v_cndmask_b32_e64 v5, v43, v5, s[4:5]
	s_waitcnt lgkmcnt(0)
	v_add_u32_e32 v42, v44, v42
	v_lshlrev_b32_e32 v5, 2, v5
	ds_bpermute_b32 v5, v5, v42
	s_movk_i32 s4, 0xff
	s_movk_i32 s6, 0x100
	v_cmp_lt_u32_e64 s[4:5], s4, v0
	s_waitcnt lgkmcnt(0)
	v_cndmask_b32_e32 v5, v5, v44, vcc
	v_cndmask_b32_e64 v5, v5, 0, s[26:27]
	v_add_u32_e32 v3, v5, v3
	v_add_u32_e32 v4, v3, v4
	;; [unrolled: 1-line block ×4, first 2 shown]
	ds_write2_b32 v6, v5, v3 offset0:8 offset1:9
	ds_write2_b32 v6, v4, v1 offset0:10 offset1:11
	ds_write_b32 v6, v2 offset:48
	s_waitcnt lgkmcnt(0)
	s_barrier
	ds_read_b32 v45, v18 offset:32
	ds_read_b32 v18, v19 offset:32
	;; [unrolled: 1-line block ×8, first 2 shown]
	v_cmp_gt_u32_e32 vcc, s6, v0
                                        ; implicit-def: $vgpr19
                                        ; implicit-def: $vgpr25
	s_and_saveexec_b64 s[10:11], vcc
	s_cbranch_execz .LBB887_119
; %bb.116:
	v_mul_u32_u24_e32 v1, 36, v0
	ds_read_b32 v19, v1 offset:32
	v_add_u32_e32 v2, 1, v0
	v_cmp_ne_u32_e64 s[6:7], s6, v2
	v_mov_b32_e32 v1, 0x1000
	s_and_saveexec_b64 s[12:13], s[6:7]
; %bb.117:
	v_mul_u32_u24_e32 v1, 36, v2
	ds_read_b32 v1, v1 offset:32
; %bb.118:
	s_or_b64 exec, exec, s[12:13]
	s_waitcnt lgkmcnt(0)
	v_sub_u32_e32 v25, v1, v19
.LBB887_119:
	s_or_b64 exec, exec, s[10:11]
	v_mov_b32_e32 v2, 0
	s_waitcnt lgkmcnt(0)
	s_barrier
	s_and_saveexec_b64 s[6:7], vcc
	s_cbranch_execz .LBB887_129
; %bb.120:
	v_lshl_add_u32 v1, s33, 8, v0
	v_lshlrev_b64 v[3:4], 2, v[1:2]
	v_mov_b32_e32 v30, s31
	v_add_co_u32_e32 v3, vcc, s30, v3
	v_addc_co_u32_e32 v4, vcc, v30, v4, vcc
	v_or_b32_e32 v1, 2.0, v25
	s_mov_b64 s[10:11], 0
	s_brev_b32 s18, -4
	s_mov_b32 s19, s33
	v_mov_b32_e32 v41, 0
	global_store_dword v[3:4], v1, off
                                        ; implicit-def: $sgpr12_sgpr13
	s_branch .LBB887_123
.LBB887_121:                            ;   in Loop: Header=BB887_123 Depth=1
	s_or_b64 exec, exec, s[14:15]
.LBB887_122:                            ;   in Loop: Header=BB887_123 Depth=1
	s_or_b64 exec, exec, s[12:13]
	v_and_b32_e32 v5, 0x3fffffff, v1
	v_add_u32_e32 v41, v5, v41
	v_cmp_gt_i32_e64 s[12:13], -2.0, v1
	s_and_b64 s[14:15], exec, s[12:13]
	s_or_b64 s[10:11], s[14:15], s[10:11]
	s_andn2_b64 exec, exec, s[10:11]
	s_cbranch_execz .LBB887_128
.LBB887_123:                            ; =>This Loop Header: Depth=1
                                        ;     Child Loop BB887_126 Depth 2
	s_or_b64 s[12:13], s[12:13], exec
	s_cmp_eq_u32 s19, 0
	s_cbranch_scc1 .LBB887_127
; %bb.124:                              ;   in Loop: Header=BB887_123 Depth=1
	s_add_i32 s19, s19, -1
	v_lshl_or_b32 v1, s19, 8, v0
	v_lshlrev_b64 v[5:6], 2, v[1:2]
	v_add_co_u32_e32 v5, vcc, s30, v5
	v_addc_co_u32_e32 v6, vcc, v30, v6, vcc
	global_load_dword v1, v[5:6], off glc
	s_waitcnt vmcnt(0)
	v_cmp_gt_u32_e32 vcc, 2.0, v1
	s_and_saveexec_b64 s[12:13], vcc
	s_cbranch_execz .LBB887_122
; %bb.125:                              ;   in Loop: Header=BB887_123 Depth=1
	s_mov_b64 s[14:15], 0
.LBB887_126:                            ;   Parent Loop BB887_123 Depth=1
                                        ; =>  This Inner Loop Header: Depth=2
	global_load_dword v1, v[5:6], off glc
	s_waitcnt vmcnt(0)
	v_cmp_lt_u32_e32 vcc, s18, v1
	s_or_b64 s[14:15], vcc, s[14:15]
	s_andn2_b64 exec, exec, s[14:15]
	s_cbranch_execnz .LBB887_126
	s_branch .LBB887_121
.LBB887_127:                            ;   in Loop: Header=BB887_123 Depth=1
                                        ; implicit-def: $sgpr19
	s_and_b64 s[14:15], exec, s[12:13]
	s_or_b64 s[10:11], s[14:15], s[10:11]
	s_andn2_b64 exec, exec, s[10:11]
	s_cbranch_execnz .LBB887_123
.LBB887_128:
	s_or_b64 exec, exec, s[10:11]
	v_add_u32_e32 v1, v41, v25
	v_or_b32_e32 v1, 0x80000000, v1
	global_store_dword v[3:4], v1, off
	global_load_dword v1, v24, s[44:45]
	v_sub_u32_e32 v2, v41, v19
	s_waitcnt vmcnt(0)
	v_add_u32_e32 v1, v2, v1
	ds_write_b32 v24, v1
.LBB887_129:
	s_or_b64 exec, exec, s[6:7]
	v_add_u32_e32 v30, v45, v12
	s_mov_b32 s12, 16
	v_add3_u32 v27, v40, v39, v27
	v_add3_u32 v34, v38, v34, v36
	;; [unrolled: 1-line block ×7, first 2 shown]
	s_mov_b32 s19, 0
	s_mov_b64 s[10:11], -1
	s_mov_b32 s13, 0
	v_mov_b32_e32 v2, 0
	v_mov_b32_e32 v3, s39
	s_movk_i32 s14, 0x200
	s_movk_i32 s15, 0x400
	;; [unrolled: 1-line block ×3, first 2 shown]
	v_mov_b32_e32 v4, v0
.LBB887_130:                            ; =>This Inner Loop Header: Depth=1
	v_add_u32_e32 v1, s13, v30
	v_add_u32_e32 v5, s13, v26
	;; [unrolled: 1-line block ×8, first 2 shown]
	v_min_u32_e32 v1, 0x800, v1
	v_min_u32_e32 v5, 0x800, v5
	;; [unrolled: 1-line block ×8, first 2 shown]
	v_lshlrev_b32_e32 v1, 2, v1
	v_lshlrev_b32_e32 v5, 2, v5
	;; [unrolled: 1-line block ×8, first 2 shown]
	ds_write_b32 v1, v9 offset:1024
	ds_write_b32 v5, v10 offset:1024
	;; [unrolled: 1-line block ×8, first 2 shown]
	s_waitcnt lgkmcnt(0)
	s_barrier
	ds_read2st64_b32 v[5:6], v24 offset0:4 offset1:12
	ds_read2st64_b32 v[12:13], v24 offset0:20 offset1:28
	v_mov_b32_e32 v31, s19
	s_addk_i32 s13, 0xf800
	s_and_b64 vcc, exec, s[10:11]
	s_waitcnt lgkmcnt(1)
	v_lshrrev_b32_e32 v1, s48, v5
	v_xor_b32_e32 v18, 0x80000000, v5
	v_lshrrev_b32_e32 v5, s48, v6
	v_xor_b32_e32 v35, 0x80000000, v6
	s_waitcnt lgkmcnt(0)
	v_lshrrev_b32_e32 v6, s48, v12
	v_xor_b32_e32 v36, 0x80000000, v12
	v_lshrrev_b32_e32 v12, s48, v13
	v_and_b32_e32 v1, s17, v1
	v_and_b32_e32 v5, s17, v5
	;; [unrolled: 1-line block ×4, first 2 shown]
	v_xor_b32_e32 v37, 0x80000000, v13
	v_lshlrev_b32_e32 v13, 2, v1
	buffer_store_dword v1, v31, s[0:3], 0 offen
	buffer_store_dword v5, v31, s[0:3], 0 offen offset:4
	buffer_store_dword v6, v31, s[0:3], 0 offen offset:8
	;; [unrolled: 1-line block ×3, first 2 shown]
	v_lshlrev_b32_e32 v1, 2, v5
	v_lshlrev_b32_e32 v5, 2, v6
	;; [unrolled: 1-line block ×3, first 2 shown]
	ds_read_b32 v12, v13
	ds_read_b32 v13, v1
	;; [unrolled: 1-line block ×4, first 2 shown]
	s_mov_b64 s[10:11], 0
	s_waitcnt lgkmcnt(3)
	v_add_u32_e32 v1, v4, v12
	v_lshlrev_b64 v[5:6], 2, v[1:2]
	s_waitcnt lgkmcnt(2)
	v_add3_u32 v1, v4, v13, s14
	v_lshlrev_b64 v[12:13], 2, v[1:2]
	v_add_co_u32_e64 v5, s[6:7], s38, v5
	s_waitcnt lgkmcnt(1)
	v_add3_u32 v1, v4, v15, s15
	v_addc_co_u32_e64 v6, s[6:7], v3, v6, s[6:7]
	v_lshlrev_b64 v[15:16], 2, v[1:2]
	global_store_dword v[5:6], v18, off
	v_add_co_u32_e64 v5, s[6:7], s38, v12
	s_waitcnt lgkmcnt(0)
	v_add3_u32 v1, v4, v31, s18
	v_addc_co_u32_e64 v6, s[6:7], v3, v13, s[6:7]
	v_lshlrev_b64 v[12:13], 2, v[1:2]
	global_store_dword v[5:6], v35, off
	v_add_co_u32_e64 v5, s[6:7], s38, v15
	v_addc_co_u32_e64 v6, s[6:7], v3, v16, s[6:7]
	global_store_dword v[5:6], v36, off
	v_add_co_u32_e64 v5, s[6:7], s38, v12
	s_mov_b32 s19, s12
	v_add_u32_e32 v4, 0x800, v4
	v_addc_co_u32_e64 v6, s[6:7], v3, v13, s[6:7]
	global_store_dword v[5:6], v37, off
	s_waitcnt vmcnt(0)
	s_barrier
	s_cbranch_vccnz .LBB887_130
; %bb.131:
	s_lshl_b64 s[6:7], s[8:9], 3
	s_add_u32 s6, s40, s6
	s_addc_u32 s7, s41, s7
	v_lshlrev_b32_e32 v1, 3, v8
	v_mov_b32_e32 v2, s7
	v_add_co_u32_e32 v1, vcc, s6, v1
	v_addc_co_u32_e32 v2, vcc, 0, v2, vcc
	v_lshlrev_b32_e32 v3, 3, v7
	v_add_co_u32_e32 v17, vcc, v1, v3
	v_addc_co_u32_e32 v18, vcc, 0, v2, vcc
	global_load_dwordx2 v[1:2], v[17:18], off
	global_load_dwordx2 v[3:4], v[17:18], off offset:512
	global_load_dwordx2 v[5:6], v[17:18], off offset:1024
	;; [unrolled: 1-line block ×7, first 2 shown]
	v_mov_b32_e32 v18, 0
	s_mov_b32 s6, 0
	s_mov_b32 s7, 0
	v_mov_b32_e32 v23, s43
	s_movk_i32 s8, 0x200
.LBB887_132:                            ; =>This Inner Loop Header: Depth=1
	v_add_u32_e32 v17, s7, v30
	v_add_u32_e32 v29, s7, v26
	;; [unrolled: 1-line block ×8, first 2 shown]
	v_min_u32_e32 v17, 0x400, v17
	v_min_u32_e32 v29, 0x400, v29
	v_mov_b32_e32 v39, s6
	v_min_u32_e32 v31, 0x400, v31
	v_min_u32_e32 v33, 0x400, v33
	;; [unrolled: 1-line block ×6, first 2 shown]
	v_lshlrev_b32_e32 v17, 3, v17
	v_lshlrev_b32_e32 v29, 3, v29
	;; [unrolled: 1-line block ×8, first 2 shown]
	s_waitcnt vmcnt(7)
	ds_write_b64 v17, v[1:2] offset:1024
	s_waitcnt vmcnt(6)
	ds_write_b64 v29, v[3:4] offset:1024
	;; [unrolled: 2-line block ×8, first 2 shown]
	s_waitcnt lgkmcnt(0)
	s_barrier
	buffer_load_dword v17, v39, s[0:3], 0 offen
	buffer_load_dword v29, v39, s[0:3], 0 offen offset:4
	ds_read2st64_b64 v[35:38], v21 offset0:2 offset1:10
	s_addk_i32 s7, 0xfc00
	s_add_i32 s6, s6, 8
	s_cmpk_lg_i32 s7, 0xf000
	s_waitcnt vmcnt(1)
	v_lshlrev_b32_e32 v17, 2, v17
	s_waitcnt vmcnt(0)
	v_lshlrev_b32_e32 v29, 2, v29
	ds_read_b32 v17, v17
	ds_read_b32 v29, v29
	s_waitcnt lgkmcnt(1)
	v_add_u32_e32 v17, v0, v17
	v_lshlrev_b64 v[39:40], 3, v[17:18]
	s_waitcnt lgkmcnt(0)
	v_add3_u32 v17, v0, v29, s8
	v_lshlrev_b64 v[41:42], 3, v[17:18]
	v_add_co_u32_e32 v39, vcc, s42, v39
	v_addc_co_u32_e32 v40, vcc, v23, v40, vcc
	global_store_dwordx2 v[39:40], v[35:36], off
	v_add_co_u32_e32 v35, vcc, s42, v41
	v_add_u32_e32 v0, 0x400, v0
	v_addc_co_u32_e32 v36, vcc, v23, v42, vcc
	global_store_dwordx2 v[35:36], v[37:38], off
	s_waitcnt vmcnt(0)
	s_barrier
	s_cbranch_scc1 .LBB887_132
; %bb.133:
	s_add_i32 s16, s16, -1
	s_cmp_eq_u32 s33, s16
	s_cselect_b64 s[6:7], -1, 0
	s_xor_b64 s[4:5], s[4:5], -1
	s_and_b64 s[4:5], s[4:5], s[6:7]
	s_and_saveexec_b64 s[6:7], s[4:5]
	s_cbranch_execz .LBB887_135
; %bb.134:
	ds_read_b32 v0, v24
	s_waitcnt lgkmcnt(0)
	v_add3_u32 v0, v19, v25, v0
	global_store_dword v24, v0, s[46:47]
.LBB887_135:
	s_endpgm
	.section	.rodata,"a",@progbits
	.p2align	6, 0x0
	.amdhsa_kernel _ZN7rocprim17ROCPRIM_400000_NS6detail17trampoline_kernelINS0_14default_configENS1_35radix_sort_onesweep_config_selectorIilEEZZNS1_29radix_sort_onesweep_iterationIS3_Lb0EPiS7_N6thrust23THRUST_200600_302600_NS10device_ptrIlEESB_jNS0_19identity_decomposerENS1_16block_id_wrapperIjLb1EEEEE10hipError_tT1_PNSt15iterator_traitsISG_E10value_typeET2_T3_PNSH_ISM_E10value_typeET4_T5_PSR_SS_PNS1_23onesweep_lookback_stateEbbT6_jjT7_P12ihipStream_tbENKUlT_T0_SG_SL_E_clIS7_S7_PlSB_EEDaSZ_S10_SG_SL_EUlSZ_E_NS1_11comp_targetILNS1_3genE2ELNS1_11target_archE906ELNS1_3gpuE6ELNS1_3repE0EEENS1_47radix_sort_onesweep_sort_config_static_selectorELNS0_4arch9wavefront6targetE1EEEvSG_
		.amdhsa_group_segment_fixed_size 10280
		.amdhsa_private_segment_fixed_size 48
		.amdhsa_kernarg_size 344
		.amdhsa_user_sgpr_count 6
		.amdhsa_user_sgpr_private_segment_buffer 1
		.amdhsa_user_sgpr_dispatch_ptr 0
		.amdhsa_user_sgpr_queue_ptr 0
		.amdhsa_user_sgpr_kernarg_segment_ptr 1
		.amdhsa_user_sgpr_dispatch_id 0
		.amdhsa_user_sgpr_flat_scratch_init 0
		.amdhsa_user_sgpr_private_segment_size 0
		.amdhsa_uses_dynamic_stack 0
		.amdhsa_system_sgpr_private_segment_wavefront_offset 1
		.amdhsa_system_sgpr_workgroup_id_x 1
		.amdhsa_system_sgpr_workgroup_id_y 0
		.amdhsa_system_sgpr_workgroup_id_z 0
		.amdhsa_system_sgpr_workgroup_info 0
		.amdhsa_system_vgpr_workitem_id 2
		.amdhsa_next_free_vgpr 57
		.amdhsa_next_free_sgpr 60
		.amdhsa_reserve_vcc 1
		.amdhsa_reserve_flat_scratch 0
		.amdhsa_float_round_mode_32 0
		.amdhsa_float_round_mode_16_64 0
		.amdhsa_float_denorm_mode_32 3
		.amdhsa_float_denorm_mode_16_64 3
		.amdhsa_dx10_clamp 1
		.amdhsa_ieee_mode 1
		.amdhsa_fp16_overflow 0
		.amdhsa_exception_fp_ieee_invalid_op 0
		.amdhsa_exception_fp_denorm_src 0
		.amdhsa_exception_fp_ieee_div_zero 0
		.amdhsa_exception_fp_ieee_overflow 0
		.amdhsa_exception_fp_ieee_underflow 0
		.amdhsa_exception_fp_ieee_inexact 0
		.amdhsa_exception_int_div_zero 0
	.end_amdhsa_kernel
	.section	.text._ZN7rocprim17ROCPRIM_400000_NS6detail17trampoline_kernelINS0_14default_configENS1_35radix_sort_onesweep_config_selectorIilEEZZNS1_29radix_sort_onesweep_iterationIS3_Lb0EPiS7_N6thrust23THRUST_200600_302600_NS10device_ptrIlEESB_jNS0_19identity_decomposerENS1_16block_id_wrapperIjLb1EEEEE10hipError_tT1_PNSt15iterator_traitsISG_E10value_typeET2_T3_PNSH_ISM_E10value_typeET4_T5_PSR_SS_PNS1_23onesweep_lookback_stateEbbT6_jjT7_P12ihipStream_tbENKUlT_T0_SG_SL_E_clIS7_S7_PlSB_EEDaSZ_S10_SG_SL_EUlSZ_E_NS1_11comp_targetILNS1_3genE2ELNS1_11target_archE906ELNS1_3gpuE6ELNS1_3repE0EEENS1_47radix_sort_onesweep_sort_config_static_selectorELNS0_4arch9wavefront6targetE1EEEvSG_,"axG",@progbits,_ZN7rocprim17ROCPRIM_400000_NS6detail17trampoline_kernelINS0_14default_configENS1_35radix_sort_onesweep_config_selectorIilEEZZNS1_29radix_sort_onesweep_iterationIS3_Lb0EPiS7_N6thrust23THRUST_200600_302600_NS10device_ptrIlEESB_jNS0_19identity_decomposerENS1_16block_id_wrapperIjLb1EEEEE10hipError_tT1_PNSt15iterator_traitsISG_E10value_typeET2_T3_PNSH_ISM_E10value_typeET4_T5_PSR_SS_PNS1_23onesweep_lookback_stateEbbT6_jjT7_P12ihipStream_tbENKUlT_T0_SG_SL_E_clIS7_S7_PlSB_EEDaSZ_S10_SG_SL_EUlSZ_E_NS1_11comp_targetILNS1_3genE2ELNS1_11target_archE906ELNS1_3gpuE6ELNS1_3repE0EEENS1_47radix_sort_onesweep_sort_config_static_selectorELNS0_4arch9wavefront6targetE1EEEvSG_,comdat
.Lfunc_end887:
	.size	_ZN7rocprim17ROCPRIM_400000_NS6detail17trampoline_kernelINS0_14default_configENS1_35radix_sort_onesweep_config_selectorIilEEZZNS1_29radix_sort_onesweep_iterationIS3_Lb0EPiS7_N6thrust23THRUST_200600_302600_NS10device_ptrIlEESB_jNS0_19identity_decomposerENS1_16block_id_wrapperIjLb1EEEEE10hipError_tT1_PNSt15iterator_traitsISG_E10value_typeET2_T3_PNSH_ISM_E10value_typeET4_T5_PSR_SS_PNS1_23onesweep_lookback_stateEbbT6_jjT7_P12ihipStream_tbENKUlT_T0_SG_SL_E_clIS7_S7_PlSB_EEDaSZ_S10_SG_SL_EUlSZ_E_NS1_11comp_targetILNS1_3genE2ELNS1_11target_archE906ELNS1_3gpuE6ELNS1_3repE0EEENS1_47radix_sort_onesweep_sort_config_static_selectorELNS0_4arch9wavefront6targetE1EEEvSG_, .Lfunc_end887-_ZN7rocprim17ROCPRIM_400000_NS6detail17trampoline_kernelINS0_14default_configENS1_35radix_sort_onesweep_config_selectorIilEEZZNS1_29radix_sort_onesweep_iterationIS3_Lb0EPiS7_N6thrust23THRUST_200600_302600_NS10device_ptrIlEESB_jNS0_19identity_decomposerENS1_16block_id_wrapperIjLb1EEEEE10hipError_tT1_PNSt15iterator_traitsISG_E10value_typeET2_T3_PNSH_ISM_E10value_typeET4_T5_PSR_SS_PNS1_23onesweep_lookback_stateEbbT6_jjT7_P12ihipStream_tbENKUlT_T0_SG_SL_E_clIS7_S7_PlSB_EEDaSZ_S10_SG_SL_EUlSZ_E_NS1_11comp_targetILNS1_3genE2ELNS1_11target_archE906ELNS1_3gpuE6ELNS1_3repE0EEENS1_47radix_sort_onesweep_sort_config_static_selectorELNS0_4arch9wavefront6targetE1EEEvSG_
                                        ; -- End function
	.set _ZN7rocprim17ROCPRIM_400000_NS6detail17trampoline_kernelINS0_14default_configENS1_35radix_sort_onesweep_config_selectorIilEEZZNS1_29radix_sort_onesweep_iterationIS3_Lb0EPiS7_N6thrust23THRUST_200600_302600_NS10device_ptrIlEESB_jNS0_19identity_decomposerENS1_16block_id_wrapperIjLb1EEEEE10hipError_tT1_PNSt15iterator_traitsISG_E10value_typeET2_T3_PNSH_ISM_E10value_typeET4_T5_PSR_SS_PNS1_23onesweep_lookback_stateEbbT6_jjT7_P12ihipStream_tbENKUlT_T0_SG_SL_E_clIS7_S7_PlSB_EEDaSZ_S10_SG_SL_EUlSZ_E_NS1_11comp_targetILNS1_3genE2ELNS1_11target_archE906ELNS1_3gpuE6ELNS1_3repE0EEENS1_47radix_sort_onesweep_sort_config_static_selectorELNS0_4arch9wavefront6targetE1EEEvSG_.num_vgpr, 57
	.set _ZN7rocprim17ROCPRIM_400000_NS6detail17trampoline_kernelINS0_14default_configENS1_35radix_sort_onesweep_config_selectorIilEEZZNS1_29radix_sort_onesweep_iterationIS3_Lb0EPiS7_N6thrust23THRUST_200600_302600_NS10device_ptrIlEESB_jNS0_19identity_decomposerENS1_16block_id_wrapperIjLb1EEEEE10hipError_tT1_PNSt15iterator_traitsISG_E10value_typeET2_T3_PNSH_ISM_E10value_typeET4_T5_PSR_SS_PNS1_23onesweep_lookback_stateEbbT6_jjT7_P12ihipStream_tbENKUlT_T0_SG_SL_E_clIS7_S7_PlSB_EEDaSZ_S10_SG_SL_EUlSZ_E_NS1_11comp_targetILNS1_3genE2ELNS1_11target_archE906ELNS1_3gpuE6ELNS1_3repE0EEENS1_47radix_sort_onesweep_sort_config_static_selectorELNS0_4arch9wavefront6targetE1EEEvSG_.num_agpr, 0
	.set _ZN7rocprim17ROCPRIM_400000_NS6detail17trampoline_kernelINS0_14default_configENS1_35radix_sort_onesweep_config_selectorIilEEZZNS1_29radix_sort_onesweep_iterationIS3_Lb0EPiS7_N6thrust23THRUST_200600_302600_NS10device_ptrIlEESB_jNS0_19identity_decomposerENS1_16block_id_wrapperIjLb1EEEEE10hipError_tT1_PNSt15iterator_traitsISG_E10value_typeET2_T3_PNSH_ISM_E10value_typeET4_T5_PSR_SS_PNS1_23onesweep_lookback_stateEbbT6_jjT7_P12ihipStream_tbENKUlT_T0_SG_SL_E_clIS7_S7_PlSB_EEDaSZ_S10_SG_SL_EUlSZ_E_NS1_11comp_targetILNS1_3genE2ELNS1_11target_archE906ELNS1_3gpuE6ELNS1_3repE0EEENS1_47radix_sort_onesweep_sort_config_static_selectorELNS0_4arch9wavefront6targetE1EEEvSG_.numbered_sgpr, 60
	.set _ZN7rocprim17ROCPRIM_400000_NS6detail17trampoline_kernelINS0_14default_configENS1_35radix_sort_onesweep_config_selectorIilEEZZNS1_29radix_sort_onesweep_iterationIS3_Lb0EPiS7_N6thrust23THRUST_200600_302600_NS10device_ptrIlEESB_jNS0_19identity_decomposerENS1_16block_id_wrapperIjLb1EEEEE10hipError_tT1_PNSt15iterator_traitsISG_E10value_typeET2_T3_PNSH_ISM_E10value_typeET4_T5_PSR_SS_PNS1_23onesweep_lookback_stateEbbT6_jjT7_P12ihipStream_tbENKUlT_T0_SG_SL_E_clIS7_S7_PlSB_EEDaSZ_S10_SG_SL_EUlSZ_E_NS1_11comp_targetILNS1_3genE2ELNS1_11target_archE906ELNS1_3gpuE6ELNS1_3repE0EEENS1_47radix_sort_onesweep_sort_config_static_selectorELNS0_4arch9wavefront6targetE1EEEvSG_.num_named_barrier, 0
	.set _ZN7rocprim17ROCPRIM_400000_NS6detail17trampoline_kernelINS0_14default_configENS1_35radix_sort_onesweep_config_selectorIilEEZZNS1_29radix_sort_onesweep_iterationIS3_Lb0EPiS7_N6thrust23THRUST_200600_302600_NS10device_ptrIlEESB_jNS0_19identity_decomposerENS1_16block_id_wrapperIjLb1EEEEE10hipError_tT1_PNSt15iterator_traitsISG_E10value_typeET2_T3_PNSH_ISM_E10value_typeET4_T5_PSR_SS_PNS1_23onesweep_lookback_stateEbbT6_jjT7_P12ihipStream_tbENKUlT_T0_SG_SL_E_clIS7_S7_PlSB_EEDaSZ_S10_SG_SL_EUlSZ_E_NS1_11comp_targetILNS1_3genE2ELNS1_11target_archE906ELNS1_3gpuE6ELNS1_3repE0EEENS1_47radix_sort_onesweep_sort_config_static_selectorELNS0_4arch9wavefront6targetE1EEEvSG_.private_seg_size, 48
	.set _ZN7rocprim17ROCPRIM_400000_NS6detail17trampoline_kernelINS0_14default_configENS1_35radix_sort_onesweep_config_selectorIilEEZZNS1_29radix_sort_onesweep_iterationIS3_Lb0EPiS7_N6thrust23THRUST_200600_302600_NS10device_ptrIlEESB_jNS0_19identity_decomposerENS1_16block_id_wrapperIjLb1EEEEE10hipError_tT1_PNSt15iterator_traitsISG_E10value_typeET2_T3_PNSH_ISM_E10value_typeET4_T5_PSR_SS_PNS1_23onesweep_lookback_stateEbbT6_jjT7_P12ihipStream_tbENKUlT_T0_SG_SL_E_clIS7_S7_PlSB_EEDaSZ_S10_SG_SL_EUlSZ_E_NS1_11comp_targetILNS1_3genE2ELNS1_11target_archE906ELNS1_3gpuE6ELNS1_3repE0EEENS1_47radix_sort_onesweep_sort_config_static_selectorELNS0_4arch9wavefront6targetE1EEEvSG_.uses_vcc, 1
	.set _ZN7rocprim17ROCPRIM_400000_NS6detail17trampoline_kernelINS0_14default_configENS1_35radix_sort_onesweep_config_selectorIilEEZZNS1_29radix_sort_onesweep_iterationIS3_Lb0EPiS7_N6thrust23THRUST_200600_302600_NS10device_ptrIlEESB_jNS0_19identity_decomposerENS1_16block_id_wrapperIjLb1EEEEE10hipError_tT1_PNSt15iterator_traitsISG_E10value_typeET2_T3_PNSH_ISM_E10value_typeET4_T5_PSR_SS_PNS1_23onesweep_lookback_stateEbbT6_jjT7_P12ihipStream_tbENKUlT_T0_SG_SL_E_clIS7_S7_PlSB_EEDaSZ_S10_SG_SL_EUlSZ_E_NS1_11comp_targetILNS1_3genE2ELNS1_11target_archE906ELNS1_3gpuE6ELNS1_3repE0EEENS1_47radix_sort_onesweep_sort_config_static_selectorELNS0_4arch9wavefront6targetE1EEEvSG_.uses_flat_scratch, 0
	.set _ZN7rocprim17ROCPRIM_400000_NS6detail17trampoline_kernelINS0_14default_configENS1_35radix_sort_onesweep_config_selectorIilEEZZNS1_29radix_sort_onesweep_iterationIS3_Lb0EPiS7_N6thrust23THRUST_200600_302600_NS10device_ptrIlEESB_jNS0_19identity_decomposerENS1_16block_id_wrapperIjLb1EEEEE10hipError_tT1_PNSt15iterator_traitsISG_E10value_typeET2_T3_PNSH_ISM_E10value_typeET4_T5_PSR_SS_PNS1_23onesweep_lookback_stateEbbT6_jjT7_P12ihipStream_tbENKUlT_T0_SG_SL_E_clIS7_S7_PlSB_EEDaSZ_S10_SG_SL_EUlSZ_E_NS1_11comp_targetILNS1_3genE2ELNS1_11target_archE906ELNS1_3gpuE6ELNS1_3repE0EEENS1_47radix_sort_onesweep_sort_config_static_selectorELNS0_4arch9wavefront6targetE1EEEvSG_.has_dyn_sized_stack, 0
	.set _ZN7rocprim17ROCPRIM_400000_NS6detail17trampoline_kernelINS0_14default_configENS1_35radix_sort_onesweep_config_selectorIilEEZZNS1_29radix_sort_onesweep_iterationIS3_Lb0EPiS7_N6thrust23THRUST_200600_302600_NS10device_ptrIlEESB_jNS0_19identity_decomposerENS1_16block_id_wrapperIjLb1EEEEE10hipError_tT1_PNSt15iterator_traitsISG_E10value_typeET2_T3_PNSH_ISM_E10value_typeET4_T5_PSR_SS_PNS1_23onesweep_lookback_stateEbbT6_jjT7_P12ihipStream_tbENKUlT_T0_SG_SL_E_clIS7_S7_PlSB_EEDaSZ_S10_SG_SL_EUlSZ_E_NS1_11comp_targetILNS1_3genE2ELNS1_11target_archE906ELNS1_3gpuE6ELNS1_3repE0EEENS1_47radix_sort_onesweep_sort_config_static_selectorELNS0_4arch9wavefront6targetE1EEEvSG_.has_recursion, 0
	.set _ZN7rocprim17ROCPRIM_400000_NS6detail17trampoline_kernelINS0_14default_configENS1_35radix_sort_onesweep_config_selectorIilEEZZNS1_29radix_sort_onesweep_iterationIS3_Lb0EPiS7_N6thrust23THRUST_200600_302600_NS10device_ptrIlEESB_jNS0_19identity_decomposerENS1_16block_id_wrapperIjLb1EEEEE10hipError_tT1_PNSt15iterator_traitsISG_E10value_typeET2_T3_PNSH_ISM_E10value_typeET4_T5_PSR_SS_PNS1_23onesweep_lookback_stateEbbT6_jjT7_P12ihipStream_tbENKUlT_T0_SG_SL_E_clIS7_S7_PlSB_EEDaSZ_S10_SG_SL_EUlSZ_E_NS1_11comp_targetILNS1_3genE2ELNS1_11target_archE906ELNS1_3gpuE6ELNS1_3repE0EEENS1_47radix_sort_onesweep_sort_config_static_selectorELNS0_4arch9wavefront6targetE1EEEvSG_.has_indirect_call, 0
	.section	.AMDGPU.csdata,"",@progbits
; Kernel info:
; codeLenInByte = 11944
; TotalNumSgprs: 64
; NumVgprs: 57
; ScratchSize: 48
; MemoryBound: 0
; FloatMode: 240
; IeeeMode: 1
; LDSByteSize: 10280 bytes/workgroup (compile time only)
; SGPRBlocks: 7
; VGPRBlocks: 14
; NumSGPRsForWavesPerEU: 64
; NumVGPRsForWavesPerEU: 57
; Occupancy: 4
; WaveLimiterHint : 1
; COMPUTE_PGM_RSRC2:SCRATCH_EN: 1
; COMPUTE_PGM_RSRC2:USER_SGPR: 6
; COMPUTE_PGM_RSRC2:TRAP_HANDLER: 0
; COMPUTE_PGM_RSRC2:TGID_X_EN: 1
; COMPUTE_PGM_RSRC2:TGID_Y_EN: 0
; COMPUTE_PGM_RSRC2:TGID_Z_EN: 0
; COMPUTE_PGM_RSRC2:TIDIG_COMP_CNT: 2
	.section	.text._ZN7rocprim17ROCPRIM_400000_NS6detail17trampoline_kernelINS0_14default_configENS1_35radix_sort_onesweep_config_selectorIilEEZZNS1_29radix_sort_onesweep_iterationIS3_Lb0EPiS7_N6thrust23THRUST_200600_302600_NS10device_ptrIlEESB_jNS0_19identity_decomposerENS1_16block_id_wrapperIjLb1EEEEE10hipError_tT1_PNSt15iterator_traitsISG_E10value_typeET2_T3_PNSH_ISM_E10value_typeET4_T5_PSR_SS_PNS1_23onesweep_lookback_stateEbbT6_jjT7_P12ihipStream_tbENKUlT_T0_SG_SL_E_clIS7_S7_PlSB_EEDaSZ_S10_SG_SL_EUlSZ_E_NS1_11comp_targetILNS1_3genE4ELNS1_11target_archE910ELNS1_3gpuE8ELNS1_3repE0EEENS1_47radix_sort_onesweep_sort_config_static_selectorELNS0_4arch9wavefront6targetE1EEEvSG_,"axG",@progbits,_ZN7rocprim17ROCPRIM_400000_NS6detail17trampoline_kernelINS0_14default_configENS1_35radix_sort_onesweep_config_selectorIilEEZZNS1_29radix_sort_onesweep_iterationIS3_Lb0EPiS7_N6thrust23THRUST_200600_302600_NS10device_ptrIlEESB_jNS0_19identity_decomposerENS1_16block_id_wrapperIjLb1EEEEE10hipError_tT1_PNSt15iterator_traitsISG_E10value_typeET2_T3_PNSH_ISM_E10value_typeET4_T5_PSR_SS_PNS1_23onesweep_lookback_stateEbbT6_jjT7_P12ihipStream_tbENKUlT_T0_SG_SL_E_clIS7_S7_PlSB_EEDaSZ_S10_SG_SL_EUlSZ_E_NS1_11comp_targetILNS1_3genE4ELNS1_11target_archE910ELNS1_3gpuE8ELNS1_3repE0EEENS1_47radix_sort_onesweep_sort_config_static_selectorELNS0_4arch9wavefront6targetE1EEEvSG_,comdat
	.protected	_ZN7rocprim17ROCPRIM_400000_NS6detail17trampoline_kernelINS0_14default_configENS1_35radix_sort_onesweep_config_selectorIilEEZZNS1_29radix_sort_onesweep_iterationIS3_Lb0EPiS7_N6thrust23THRUST_200600_302600_NS10device_ptrIlEESB_jNS0_19identity_decomposerENS1_16block_id_wrapperIjLb1EEEEE10hipError_tT1_PNSt15iterator_traitsISG_E10value_typeET2_T3_PNSH_ISM_E10value_typeET4_T5_PSR_SS_PNS1_23onesweep_lookback_stateEbbT6_jjT7_P12ihipStream_tbENKUlT_T0_SG_SL_E_clIS7_S7_PlSB_EEDaSZ_S10_SG_SL_EUlSZ_E_NS1_11comp_targetILNS1_3genE4ELNS1_11target_archE910ELNS1_3gpuE8ELNS1_3repE0EEENS1_47radix_sort_onesweep_sort_config_static_selectorELNS0_4arch9wavefront6targetE1EEEvSG_ ; -- Begin function _ZN7rocprim17ROCPRIM_400000_NS6detail17trampoline_kernelINS0_14default_configENS1_35radix_sort_onesweep_config_selectorIilEEZZNS1_29radix_sort_onesweep_iterationIS3_Lb0EPiS7_N6thrust23THRUST_200600_302600_NS10device_ptrIlEESB_jNS0_19identity_decomposerENS1_16block_id_wrapperIjLb1EEEEE10hipError_tT1_PNSt15iterator_traitsISG_E10value_typeET2_T3_PNSH_ISM_E10value_typeET4_T5_PSR_SS_PNS1_23onesweep_lookback_stateEbbT6_jjT7_P12ihipStream_tbENKUlT_T0_SG_SL_E_clIS7_S7_PlSB_EEDaSZ_S10_SG_SL_EUlSZ_E_NS1_11comp_targetILNS1_3genE4ELNS1_11target_archE910ELNS1_3gpuE8ELNS1_3repE0EEENS1_47radix_sort_onesweep_sort_config_static_selectorELNS0_4arch9wavefront6targetE1EEEvSG_
	.globl	_ZN7rocprim17ROCPRIM_400000_NS6detail17trampoline_kernelINS0_14default_configENS1_35radix_sort_onesweep_config_selectorIilEEZZNS1_29radix_sort_onesweep_iterationIS3_Lb0EPiS7_N6thrust23THRUST_200600_302600_NS10device_ptrIlEESB_jNS0_19identity_decomposerENS1_16block_id_wrapperIjLb1EEEEE10hipError_tT1_PNSt15iterator_traitsISG_E10value_typeET2_T3_PNSH_ISM_E10value_typeET4_T5_PSR_SS_PNS1_23onesweep_lookback_stateEbbT6_jjT7_P12ihipStream_tbENKUlT_T0_SG_SL_E_clIS7_S7_PlSB_EEDaSZ_S10_SG_SL_EUlSZ_E_NS1_11comp_targetILNS1_3genE4ELNS1_11target_archE910ELNS1_3gpuE8ELNS1_3repE0EEENS1_47radix_sort_onesweep_sort_config_static_selectorELNS0_4arch9wavefront6targetE1EEEvSG_
	.p2align	8
	.type	_ZN7rocprim17ROCPRIM_400000_NS6detail17trampoline_kernelINS0_14default_configENS1_35radix_sort_onesweep_config_selectorIilEEZZNS1_29radix_sort_onesweep_iterationIS3_Lb0EPiS7_N6thrust23THRUST_200600_302600_NS10device_ptrIlEESB_jNS0_19identity_decomposerENS1_16block_id_wrapperIjLb1EEEEE10hipError_tT1_PNSt15iterator_traitsISG_E10value_typeET2_T3_PNSH_ISM_E10value_typeET4_T5_PSR_SS_PNS1_23onesweep_lookback_stateEbbT6_jjT7_P12ihipStream_tbENKUlT_T0_SG_SL_E_clIS7_S7_PlSB_EEDaSZ_S10_SG_SL_EUlSZ_E_NS1_11comp_targetILNS1_3genE4ELNS1_11target_archE910ELNS1_3gpuE8ELNS1_3repE0EEENS1_47radix_sort_onesweep_sort_config_static_selectorELNS0_4arch9wavefront6targetE1EEEvSG_,@function
_ZN7rocprim17ROCPRIM_400000_NS6detail17trampoline_kernelINS0_14default_configENS1_35radix_sort_onesweep_config_selectorIilEEZZNS1_29radix_sort_onesweep_iterationIS3_Lb0EPiS7_N6thrust23THRUST_200600_302600_NS10device_ptrIlEESB_jNS0_19identity_decomposerENS1_16block_id_wrapperIjLb1EEEEE10hipError_tT1_PNSt15iterator_traitsISG_E10value_typeET2_T3_PNSH_ISM_E10value_typeET4_T5_PSR_SS_PNS1_23onesweep_lookback_stateEbbT6_jjT7_P12ihipStream_tbENKUlT_T0_SG_SL_E_clIS7_S7_PlSB_EEDaSZ_S10_SG_SL_EUlSZ_E_NS1_11comp_targetILNS1_3genE4ELNS1_11target_archE910ELNS1_3gpuE8ELNS1_3repE0EEENS1_47radix_sort_onesweep_sort_config_static_selectorELNS0_4arch9wavefront6targetE1EEEvSG_: ; @_ZN7rocprim17ROCPRIM_400000_NS6detail17trampoline_kernelINS0_14default_configENS1_35radix_sort_onesweep_config_selectorIilEEZZNS1_29radix_sort_onesweep_iterationIS3_Lb0EPiS7_N6thrust23THRUST_200600_302600_NS10device_ptrIlEESB_jNS0_19identity_decomposerENS1_16block_id_wrapperIjLb1EEEEE10hipError_tT1_PNSt15iterator_traitsISG_E10value_typeET2_T3_PNSH_ISM_E10value_typeET4_T5_PSR_SS_PNS1_23onesweep_lookback_stateEbbT6_jjT7_P12ihipStream_tbENKUlT_T0_SG_SL_E_clIS7_S7_PlSB_EEDaSZ_S10_SG_SL_EUlSZ_E_NS1_11comp_targetILNS1_3genE4ELNS1_11target_archE910ELNS1_3gpuE8ELNS1_3repE0EEENS1_47radix_sort_onesweep_sort_config_static_selectorELNS0_4arch9wavefront6targetE1EEEvSG_
; %bb.0:
	.section	.rodata,"a",@progbits
	.p2align	6, 0x0
	.amdhsa_kernel _ZN7rocprim17ROCPRIM_400000_NS6detail17trampoline_kernelINS0_14default_configENS1_35radix_sort_onesweep_config_selectorIilEEZZNS1_29radix_sort_onesweep_iterationIS3_Lb0EPiS7_N6thrust23THRUST_200600_302600_NS10device_ptrIlEESB_jNS0_19identity_decomposerENS1_16block_id_wrapperIjLb1EEEEE10hipError_tT1_PNSt15iterator_traitsISG_E10value_typeET2_T3_PNSH_ISM_E10value_typeET4_T5_PSR_SS_PNS1_23onesweep_lookback_stateEbbT6_jjT7_P12ihipStream_tbENKUlT_T0_SG_SL_E_clIS7_S7_PlSB_EEDaSZ_S10_SG_SL_EUlSZ_E_NS1_11comp_targetILNS1_3genE4ELNS1_11target_archE910ELNS1_3gpuE8ELNS1_3repE0EEENS1_47radix_sort_onesweep_sort_config_static_selectorELNS0_4arch9wavefront6targetE1EEEvSG_
		.amdhsa_group_segment_fixed_size 0
		.amdhsa_private_segment_fixed_size 0
		.amdhsa_kernarg_size 88
		.amdhsa_user_sgpr_count 6
		.amdhsa_user_sgpr_private_segment_buffer 1
		.amdhsa_user_sgpr_dispatch_ptr 0
		.amdhsa_user_sgpr_queue_ptr 0
		.amdhsa_user_sgpr_kernarg_segment_ptr 1
		.amdhsa_user_sgpr_dispatch_id 0
		.amdhsa_user_sgpr_flat_scratch_init 0
		.amdhsa_user_sgpr_private_segment_size 0
		.amdhsa_uses_dynamic_stack 0
		.amdhsa_system_sgpr_private_segment_wavefront_offset 0
		.amdhsa_system_sgpr_workgroup_id_x 1
		.amdhsa_system_sgpr_workgroup_id_y 0
		.amdhsa_system_sgpr_workgroup_id_z 0
		.amdhsa_system_sgpr_workgroup_info 0
		.amdhsa_system_vgpr_workitem_id 0
		.amdhsa_next_free_vgpr 1
		.amdhsa_next_free_sgpr 0
		.amdhsa_reserve_vcc 0
		.amdhsa_reserve_flat_scratch 0
		.amdhsa_float_round_mode_32 0
		.amdhsa_float_round_mode_16_64 0
		.amdhsa_float_denorm_mode_32 3
		.amdhsa_float_denorm_mode_16_64 3
		.amdhsa_dx10_clamp 1
		.amdhsa_ieee_mode 1
		.amdhsa_fp16_overflow 0
		.amdhsa_exception_fp_ieee_invalid_op 0
		.amdhsa_exception_fp_denorm_src 0
		.amdhsa_exception_fp_ieee_div_zero 0
		.amdhsa_exception_fp_ieee_overflow 0
		.amdhsa_exception_fp_ieee_underflow 0
		.amdhsa_exception_fp_ieee_inexact 0
		.amdhsa_exception_int_div_zero 0
	.end_amdhsa_kernel
	.section	.text._ZN7rocprim17ROCPRIM_400000_NS6detail17trampoline_kernelINS0_14default_configENS1_35radix_sort_onesweep_config_selectorIilEEZZNS1_29radix_sort_onesweep_iterationIS3_Lb0EPiS7_N6thrust23THRUST_200600_302600_NS10device_ptrIlEESB_jNS0_19identity_decomposerENS1_16block_id_wrapperIjLb1EEEEE10hipError_tT1_PNSt15iterator_traitsISG_E10value_typeET2_T3_PNSH_ISM_E10value_typeET4_T5_PSR_SS_PNS1_23onesweep_lookback_stateEbbT6_jjT7_P12ihipStream_tbENKUlT_T0_SG_SL_E_clIS7_S7_PlSB_EEDaSZ_S10_SG_SL_EUlSZ_E_NS1_11comp_targetILNS1_3genE4ELNS1_11target_archE910ELNS1_3gpuE8ELNS1_3repE0EEENS1_47radix_sort_onesweep_sort_config_static_selectorELNS0_4arch9wavefront6targetE1EEEvSG_,"axG",@progbits,_ZN7rocprim17ROCPRIM_400000_NS6detail17trampoline_kernelINS0_14default_configENS1_35radix_sort_onesweep_config_selectorIilEEZZNS1_29radix_sort_onesweep_iterationIS3_Lb0EPiS7_N6thrust23THRUST_200600_302600_NS10device_ptrIlEESB_jNS0_19identity_decomposerENS1_16block_id_wrapperIjLb1EEEEE10hipError_tT1_PNSt15iterator_traitsISG_E10value_typeET2_T3_PNSH_ISM_E10value_typeET4_T5_PSR_SS_PNS1_23onesweep_lookback_stateEbbT6_jjT7_P12ihipStream_tbENKUlT_T0_SG_SL_E_clIS7_S7_PlSB_EEDaSZ_S10_SG_SL_EUlSZ_E_NS1_11comp_targetILNS1_3genE4ELNS1_11target_archE910ELNS1_3gpuE8ELNS1_3repE0EEENS1_47radix_sort_onesweep_sort_config_static_selectorELNS0_4arch9wavefront6targetE1EEEvSG_,comdat
.Lfunc_end888:
	.size	_ZN7rocprim17ROCPRIM_400000_NS6detail17trampoline_kernelINS0_14default_configENS1_35radix_sort_onesweep_config_selectorIilEEZZNS1_29radix_sort_onesweep_iterationIS3_Lb0EPiS7_N6thrust23THRUST_200600_302600_NS10device_ptrIlEESB_jNS0_19identity_decomposerENS1_16block_id_wrapperIjLb1EEEEE10hipError_tT1_PNSt15iterator_traitsISG_E10value_typeET2_T3_PNSH_ISM_E10value_typeET4_T5_PSR_SS_PNS1_23onesweep_lookback_stateEbbT6_jjT7_P12ihipStream_tbENKUlT_T0_SG_SL_E_clIS7_S7_PlSB_EEDaSZ_S10_SG_SL_EUlSZ_E_NS1_11comp_targetILNS1_3genE4ELNS1_11target_archE910ELNS1_3gpuE8ELNS1_3repE0EEENS1_47radix_sort_onesweep_sort_config_static_selectorELNS0_4arch9wavefront6targetE1EEEvSG_, .Lfunc_end888-_ZN7rocprim17ROCPRIM_400000_NS6detail17trampoline_kernelINS0_14default_configENS1_35radix_sort_onesweep_config_selectorIilEEZZNS1_29radix_sort_onesweep_iterationIS3_Lb0EPiS7_N6thrust23THRUST_200600_302600_NS10device_ptrIlEESB_jNS0_19identity_decomposerENS1_16block_id_wrapperIjLb1EEEEE10hipError_tT1_PNSt15iterator_traitsISG_E10value_typeET2_T3_PNSH_ISM_E10value_typeET4_T5_PSR_SS_PNS1_23onesweep_lookback_stateEbbT6_jjT7_P12ihipStream_tbENKUlT_T0_SG_SL_E_clIS7_S7_PlSB_EEDaSZ_S10_SG_SL_EUlSZ_E_NS1_11comp_targetILNS1_3genE4ELNS1_11target_archE910ELNS1_3gpuE8ELNS1_3repE0EEENS1_47radix_sort_onesweep_sort_config_static_selectorELNS0_4arch9wavefront6targetE1EEEvSG_
                                        ; -- End function
	.set _ZN7rocprim17ROCPRIM_400000_NS6detail17trampoline_kernelINS0_14default_configENS1_35radix_sort_onesweep_config_selectorIilEEZZNS1_29radix_sort_onesweep_iterationIS3_Lb0EPiS7_N6thrust23THRUST_200600_302600_NS10device_ptrIlEESB_jNS0_19identity_decomposerENS1_16block_id_wrapperIjLb1EEEEE10hipError_tT1_PNSt15iterator_traitsISG_E10value_typeET2_T3_PNSH_ISM_E10value_typeET4_T5_PSR_SS_PNS1_23onesweep_lookback_stateEbbT6_jjT7_P12ihipStream_tbENKUlT_T0_SG_SL_E_clIS7_S7_PlSB_EEDaSZ_S10_SG_SL_EUlSZ_E_NS1_11comp_targetILNS1_3genE4ELNS1_11target_archE910ELNS1_3gpuE8ELNS1_3repE0EEENS1_47radix_sort_onesweep_sort_config_static_selectorELNS0_4arch9wavefront6targetE1EEEvSG_.num_vgpr, 0
	.set _ZN7rocprim17ROCPRIM_400000_NS6detail17trampoline_kernelINS0_14default_configENS1_35radix_sort_onesweep_config_selectorIilEEZZNS1_29radix_sort_onesweep_iterationIS3_Lb0EPiS7_N6thrust23THRUST_200600_302600_NS10device_ptrIlEESB_jNS0_19identity_decomposerENS1_16block_id_wrapperIjLb1EEEEE10hipError_tT1_PNSt15iterator_traitsISG_E10value_typeET2_T3_PNSH_ISM_E10value_typeET4_T5_PSR_SS_PNS1_23onesweep_lookback_stateEbbT6_jjT7_P12ihipStream_tbENKUlT_T0_SG_SL_E_clIS7_S7_PlSB_EEDaSZ_S10_SG_SL_EUlSZ_E_NS1_11comp_targetILNS1_3genE4ELNS1_11target_archE910ELNS1_3gpuE8ELNS1_3repE0EEENS1_47radix_sort_onesweep_sort_config_static_selectorELNS0_4arch9wavefront6targetE1EEEvSG_.num_agpr, 0
	.set _ZN7rocprim17ROCPRIM_400000_NS6detail17trampoline_kernelINS0_14default_configENS1_35radix_sort_onesweep_config_selectorIilEEZZNS1_29radix_sort_onesweep_iterationIS3_Lb0EPiS7_N6thrust23THRUST_200600_302600_NS10device_ptrIlEESB_jNS0_19identity_decomposerENS1_16block_id_wrapperIjLb1EEEEE10hipError_tT1_PNSt15iterator_traitsISG_E10value_typeET2_T3_PNSH_ISM_E10value_typeET4_T5_PSR_SS_PNS1_23onesweep_lookback_stateEbbT6_jjT7_P12ihipStream_tbENKUlT_T0_SG_SL_E_clIS7_S7_PlSB_EEDaSZ_S10_SG_SL_EUlSZ_E_NS1_11comp_targetILNS1_3genE4ELNS1_11target_archE910ELNS1_3gpuE8ELNS1_3repE0EEENS1_47radix_sort_onesweep_sort_config_static_selectorELNS0_4arch9wavefront6targetE1EEEvSG_.numbered_sgpr, 0
	.set _ZN7rocprim17ROCPRIM_400000_NS6detail17trampoline_kernelINS0_14default_configENS1_35radix_sort_onesweep_config_selectorIilEEZZNS1_29radix_sort_onesweep_iterationIS3_Lb0EPiS7_N6thrust23THRUST_200600_302600_NS10device_ptrIlEESB_jNS0_19identity_decomposerENS1_16block_id_wrapperIjLb1EEEEE10hipError_tT1_PNSt15iterator_traitsISG_E10value_typeET2_T3_PNSH_ISM_E10value_typeET4_T5_PSR_SS_PNS1_23onesweep_lookback_stateEbbT6_jjT7_P12ihipStream_tbENKUlT_T0_SG_SL_E_clIS7_S7_PlSB_EEDaSZ_S10_SG_SL_EUlSZ_E_NS1_11comp_targetILNS1_3genE4ELNS1_11target_archE910ELNS1_3gpuE8ELNS1_3repE0EEENS1_47radix_sort_onesweep_sort_config_static_selectorELNS0_4arch9wavefront6targetE1EEEvSG_.num_named_barrier, 0
	.set _ZN7rocprim17ROCPRIM_400000_NS6detail17trampoline_kernelINS0_14default_configENS1_35radix_sort_onesweep_config_selectorIilEEZZNS1_29radix_sort_onesweep_iterationIS3_Lb0EPiS7_N6thrust23THRUST_200600_302600_NS10device_ptrIlEESB_jNS0_19identity_decomposerENS1_16block_id_wrapperIjLb1EEEEE10hipError_tT1_PNSt15iterator_traitsISG_E10value_typeET2_T3_PNSH_ISM_E10value_typeET4_T5_PSR_SS_PNS1_23onesweep_lookback_stateEbbT6_jjT7_P12ihipStream_tbENKUlT_T0_SG_SL_E_clIS7_S7_PlSB_EEDaSZ_S10_SG_SL_EUlSZ_E_NS1_11comp_targetILNS1_3genE4ELNS1_11target_archE910ELNS1_3gpuE8ELNS1_3repE0EEENS1_47radix_sort_onesweep_sort_config_static_selectorELNS0_4arch9wavefront6targetE1EEEvSG_.private_seg_size, 0
	.set _ZN7rocprim17ROCPRIM_400000_NS6detail17trampoline_kernelINS0_14default_configENS1_35radix_sort_onesweep_config_selectorIilEEZZNS1_29radix_sort_onesweep_iterationIS3_Lb0EPiS7_N6thrust23THRUST_200600_302600_NS10device_ptrIlEESB_jNS0_19identity_decomposerENS1_16block_id_wrapperIjLb1EEEEE10hipError_tT1_PNSt15iterator_traitsISG_E10value_typeET2_T3_PNSH_ISM_E10value_typeET4_T5_PSR_SS_PNS1_23onesweep_lookback_stateEbbT6_jjT7_P12ihipStream_tbENKUlT_T0_SG_SL_E_clIS7_S7_PlSB_EEDaSZ_S10_SG_SL_EUlSZ_E_NS1_11comp_targetILNS1_3genE4ELNS1_11target_archE910ELNS1_3gpuE8ELNS1_3repE0EEENS1_47radix_sort_onesweep_sort_config_static_selectorELNS0_4arch9wavefront6targetE1EEEvSG_.uses_vcc, 0
	.set _ZN7rocprim17ROCPRIM_400000_NS6detail17trampoline_kernelINS0_14default_configENS1_35radix_sort_onesweep_config_selectorIilEEZZNS1_29radix_sort_onesweep_iterationIS3_Lb0EPiS7_N6thrust23THRUST_200600_302600_NS10device_ptrIlEESB_jNS0_19identity_decomposerENS1_16block_id_wrapperIjLb1EEEEE10hipError_tT1_PNSt15iterator_traitsISG_E10value_typeET2_T3_PNSH_ISM_E10value_typeET4_T5_PSR_SS_PNS1_23onesweep_lookback_stateEbbT6_jjT7_P12ihipStream_tbENKUlT_T0_SG_SL_E_clIS7_S7_PlSB_EEDaSZ_S10_SG_SL_EUlSZ_E_NS1_11comp_targetILNS1_3genE4ELNS1_11target_archE910ELNS1_3gpuE8ELNS1_3repE0EEENS1_47radix_sort_onesweep_sort_config_static_selectorELNS0_4arch9wavefront6targetE1EEEvSG_.uses_flat_scratch, 0
	.set _ZN7rocprim17ROCPRIM_400000_NS6detail17trampoline_kernelINS0_14default_configENS1_35radix_sort_onesweep_config_selectorIilEEZZNS1_29radix_sort_onesweep_iterationIS3_Lb0EPiS7_N6thrust23THRUST_200600_302600_NS10device_ptrIlEESB_jNS0_19identity_decomposerENS1_16block_id_wrapperIjLb1EEEEE10hipError_tT1_PNSt15iterator_traitsISG_E10value_typeET2_T3_PNSH_ISM_E10value_typeET4_T5_PSR_SS_PNS1_23onesweep_lookback_stateEbbT6_jjT7_P12ihipStream_tbENKUlT_T0_SG_SL_E_clIS7_S7_PlSB_EEDaSZ_S10_SG_SL_EUlSZ_E_NS1_11comp_targetILNS1_3genE4ELNS1_11target_archE910ELNS1_3gpuE8ELNS1_3repE0EEENS1_47radix_sort_onesweep_sort_config_static_selectorELNS0_4arch9wavefront6targetE1EEEvSG_.has_dyn_sized_stack, 0
	.set _ZN7rocprim17ROCPRIM_400000_NS6detail17trampoline_kernelINS0_14default_configENS1_35radix_sort_onesweep_config_selectorIilEEZZNS1_29radix_sort_onesweep_iterationIS3_Lb0EPiS7_N6thrust23THRUST_200600_302600_NS10device_ptrIlEESB_jNS0_19identity_decomposerENS1_16block_id_wrapperIjLb1EEEEE10hipError_tT1_PNSt15iterator_traitsISG_E10value_typeET2_T3_PNSH_ISM_E10value_typeET4_T5_PSR_SS_PNS1_23onesweep_lookback_stateEbbT6_jjT7_P12ihipStream_tbENKUlT_T0_SG_SL_E_clIS7_S7_PlSB_EEDaSZ_S10_SG_SL_EUlSZ_E_NS1_11comp_targetILNS1_3genE4ELNS1_11target_archE910ELNS1_3gpuE8ELNS1_3repE0EEENS1_47radix_sort_onesweep_sort_config_static_selectorELNS0_4arch9wavefront6targetE1EEEvSG_.has_recursion, 0
	.set _ZN7rocprim17ROCPRIM_400000_NS6detail17trampoline_kernelINS0_14default_configENS1_35radix_sort_onesweep_config_selectorIilEEZZNS1_29radix_sort_onesweep_iterationIS3_Lb0EPiS7_N6thrust23THRUST_200600_302600_NS10device_ptrIlEESB_jNS0_19identity_decomposerENS1_16block_id_wrapperIjLb1EEEEE10hipError_tT1_PNSt15iterator_traitsISG_E10value_typeET2_T3_PNSH_ISM_E10value_typeET4_T5_PSR_SS_PNS1_23onesweep_lookback_stateEbbT6_jjT7_P12ihipStream_tbENKUlT_T0_SG_SL_E_clIS7_S7_PlSB_EEDaSZ_S10_SG_SL_EUlSZ_E_NS1_11comp_targetILNS1_3genE4ELNS1_11target_archE910ELNS1_3gpuE8ELNS1_3repE0EEENS1_47radix_sort_onesweep_sort_config_static_selectorELNS0_4arch9wavefront6targetE1EEEvSG_.has_indirect_call, 0
	.section	.AMDGPU.csdata,"",@progbits
; Kernel info:
; codeLenInByte = 0
; TotalNumSgprs: 4
; NumVgprs: 0
; ScratchSize: 0
; MemoryBound: 0
; FloatMode: 240
; IeeeMode: 1
; LDSByteSize: 0 bytes/workgroup (compile time only)
; SGPRBlocks: 0
; VGPRBlocks: 0
; NumSGPRsForWavesPerEU: 4
; NumVGPRsForWavesPerEU: 1
; Occupancy: 10
; WaveLimiterHint : 0
; COMPUTE_PGM_RSRC2:SCRATCH_EN: 0
; COMPUTE_PGM_RSRC2:USER_SGPR: 6
; COMPUTE_PGM_RSRC2:TRAP_HANDLER: 0
; COMPUTE_PGM_RSRC2:TGID_X_EN: 1
; COMPUTE_PGM_RSRC2:TGID_Y_EN: 0
; COMPUTE_PGM_RSRC2:TGID_Z_EN: 0
; COMPUTE_PGM_RSRC2:TIDIG_COMP_CNT: 0
	.section	.text._ZN7rocprim17ROCPRIM_400000_NS6detail17trampoline_kernelINS0_14default_configENS1_35radix_sort_onesweep_config_selectorIilEEZZNS1_29radix_sort_onesweep_iterationIS3_Lb0EPiS7_N6thrust23THRUST_200600_302600_NS10device_ptrIlEESB_jNS0_19identity_decomposerENS1_16block_id_wrapperIjLb1EEEEE10hipError_tT1_PNSt15iterator_traitsISG_E10value_typeET2_T3_PNSH_ISM_E10value_typeET4_T5_PSR_SS_PNS1_23onesweep_lookback_stateEbbT6_jjT7_P12ihipStream_tbENKUlT_T0_SG_SL_E_clIS7_S7_PlSB_EEDaSZ_S10_SG_SL_EUlSZ_E_NS1_11comp_targetILNS1_3genE3ELNS1_11target_archE908ELNS1_3gpuE7ELNS1_3repE0EEENS1_47radix_sort_onesweep_sort_config_static_selectorELNS0_4arch9wavefront6targetE1EEEvSG_,"axG",@progbits,_ZN7rocprim17ROCPRIM_400000_NS6detail17trampoline_kernelINS0_14default_configENS1_35radix_sort_onesweep_config_selectorIilEEZZNS1_29radix_sort_onesweep_iterationIS3_Lb0EPiS7_N6thrust23THRUST_200600_302600_NS10device_ptrIlEESB_jNS0_19identity_decomposerENS1_16block_id_wrapperIjLb1EEEEE10hipError_tT1_PNSt15iterator_traitsISG_E10value_typeET2_T3_PNSH_ISM_E10value_typeET4_T5_PSR_SS_PNS1_23onesweep_lookback_stateEbbT6_jjT7_P12ihipStream_tbENKUlT_T0_SG_SL_E_clIS7_S7_PlSB_EEDaSZ_S10_SG_SL_EUlSZ_E_NS1_11comp_targetILNS1_3genE3ELNS1_11target_archE908ELNS1_3gpuE7ELNS1_3repE0EEENS1_47radix_sort_onesweep_sort_config_static_selectorELNS0_4arch9wavefront6targetE1EEEvSG_,comdat
	.protected	_ZN7rocprim17ROCPRIM_400000_NS6detail17trampoline_kernelINS0_14default_configENS1_35radix_sort_onesweep_config_selectorIilEEZZNS1_29radix_sort_onesweep_iterationIS3_Lb0EPiS7_N6thrust23THRUST_200600_302600_NS10device_ptrIlEESB_jNS0_19identity_decomposerENS1_16block_id_wrapperIjLb1EEEEE10hipError_tT1_PNSt15iterator_traitsISG_E10value_typeET2_T3_PNSH_ISM_E10value_typeET4_T5_PSR_SS_PNS1_23onesweep_lookback_stateEbbT6_jjT7_P12ihipStream_tbENKUlT_T0_SG_SL_E_clIS7_S7_PlSB_EEDaSZ_S10_SG_SL_EUlSZ_E_NS1_11comp_targetILNS1_3genE3ELNS1_11target_archE908ELNS1_3gpuE7ELNS1_3repE0EEENS1_47radix_sort_onesweep_sort_config_static_selectorELNS0_4arch9wavefront6targetE1EEEvSG_ ; -- Begin function _ZN7rocprim17ROCPRIM_400000_NS6detail17trampoline_kernelINS0_14default_configENS1_35radix_sort_onesweep_config_selectorIilEEZZNS1_29radix_sort_onesweep_iterationIS3_Lb0EPiS7_N6thrust23THRUST_200600_302600_NS10device_ptrIlEESB_jNS0_19identity_decomposerENS1_16block_id_wrapperIjLb1EEEEE10hipError_tT1_PNSt15iterator_traitsISG_E10value_typeET2_T3_PNSH_ISM_E10value_typeET4_T5_PSR_SS_PNS1_23onesweep_lookback_stateEbbT6_jjT7_P12ihipStream_tbENKUlT_T0_SG_SL_E_clIS7_S7_PlSB_EEDaSZ_S10_SG_SL_EUlSZ_E_NS1_11comp_targetILNS1_3genE3ELNS1_11target_archE908ELNS1_3gpuE7ELNS1_3repE0EEENS1_47radix_sort_onesweep_sort_config_static_selectorELNS0_4arch9wavefront6targetE1EEEvSG_
	.globl	_ZN7rocprim17ROCPRIM_400000_NS6detail17trampoline_kernelINS0_14default_configENS1_35radix_sort_onesweep_config_selectorIilEEZZNS1_29radix_sort_onesweep_iterationIS3_Lb0EPiS7_N6thrust23THRUST_200600_302600_NS10device_ptrIlEESB_jNS0_19identity_decomposerENS1_16block_id_wrapperIjLb1EEEEE10hipError_tT1_PNSt15iterator_traitsISG_E10value_typeET2_T3_PNSH_ISM_E10value_typeET4_T5_PSR_SS_PNS1_23onesweep_lookback_stateEbbT6_jjT7_P12ihipStream_tbENKUlT_T0_SG_SL_E_clIS7_S7_PlSB_EEDaSZ_S10_SG_SL_EUlSZ_E_NS1_11comp_targetILNS1_3genE3ELNS1_11target_archE908ELNS1_3gpuE7ELNS1_3repE0EEENS1_47radix_sort_onesweep_sort_config_static_selectorELNS0_4arch9wavefront6targetE1EEEvSG_
	.p2align	8
	.type	_ZN7rocprim17ROCPRIM_400000_NS6detail17trampoline_kernelINS0_14default_configENS1_35radix_sort_onesweep_config_selectorIilEEZZNS1_29radix_sort_onesweep_iterationIS3_Lb0EPiS7_N6thrust23THRUST_200600_302600_NS10device_ptrIlEESB_jNS0_19identity_decomposerENS1_16block_id_wrapperIjLb1EEEEE10hipError_tT1_PNSt15iterator_traitsISG_E10value_typeET2_T3_PNSH_ISM_E10value_typeET4_T5_PSR_SS_PNS1_23onesweep_lookback_stateEbbT6_jjT7_P12ihipStream_tbENKUlT_T0_SG_SL_E_clIS7_S7_PlSB_EEDaSZ_S10_SG_SL_EUlSZ_E_NS1_11comp_targetILNS1_3genE3ELNS1_11target_archE908ELNS1_3gpuE7ELNS1_3repE0EEENS1_47radix_sort_onesweep_sort_config_static_selectorELNS0_4arch9wavefront6targetE1EEEvSG_,@function
_ZN7rocprim17ROCPRIM_400000_NS6detail17trampoline_kernelINS0_14default_configENS1_35radix_sort_onesweep_config_selectorIilEEZZNS1_29radix_sort_onesweep_iterationIS3_Lb0EPiS7_N6thrust23THRUST_200600_302600_NS10device_ptrIlEESB_jNS0_19identity_decomposerENS1_16block_id_wrapperIjLb1EEEEE10hipError_tT1_PNSt15iterator_traitsISG_E10value_typeET2_T3_PNSH_ISM_E10value_typeET4_T5_PSR_SS_PNS1_23onesweep_lookback_stateEbbT6_jjT7_P12ihipStream_tbENKUlT_T0_SG_SL_E_clIS7_S7_PlSB_EEDaSZ_S10_SG_SL_EUlSZ_E_NS1_11comp_targetILNS1_3genE3ELNS1_11target_archE908ELNS1_3gpuE7ELNS1_3repE0EEENS1_47radix_sort_onesweep_sort_config_static_selectorELNS0_4arch9wavefront6targetE1EEEvSG_: ; @_ZN7rocprim17ROCPRIM_400000_NS6detail17trampoline_kernelINS0_14default_configENS1_35radix_sort_onesweep_config_selectorIilEEZZNS1_29radix_sort_onesweep_iterationIS3_Lb0EPiS7_N6thrust23THRUST_200600_302600_NS10device_ptrIlEESB_jNS0_19identity_decomposerENS1_16block_id_wrapperIjLb1EEEEE10hipError_tT1_PNSt15iterator_traitsISG_E10value_typeET2_T3_PNSH_ISM_E10value_typeET4_T5_PSR_SS_PNS1_23onesweep_lookback_stateEbbT6_jjT7_P12ihipStream_tbENKUlT_T0_SG_SL_E_clIS7_S7_PlSB_EEDaSZ_S10_SG_SL_EUlSZ_E_NS1_11comp_targetILNS1_3genE3ELNS1_11target_archE908ELNS1_3gpuE7ELNS1_3repE0EEENS1_47radix_sort_onesweep_sort_config_static_selectorELNS0_4arch9wavefront6targetE1EEEvSG_
; %bb.0:
	.section	.rodata,"a",@progbits
	.p2align	6, 0x0
	.amdhsa_kernel _ZN7rocprim17ROCPRIM_400000_NS6detail17trampoline_kernelINS0_14default_configENS1_35radix_sort_onesweep_config_selectorIilEEZZNS1_29radix_sort_onesweep_iterationIS3_Lb0EPiS7_N6thrust23THRUST_200600_302600_NS10device_ptrIlEESB_jNS0_19identity_decomposerENS1_16block_id_wrapperIjLb1EEEEE10hipError_tT1_PNSt15iterator_traitsISG_E10value_typeET2_T3_PNSH_ISM_E10value_typeET4_T5_PSR_SS_PNS1_23onesweep_lookback_stateEbbT6_jjT7_P12ihipStream_tbENKUlT_T0_SG_SL_E_clIS7_S7_PlSB_EEDaSZ_S10_SG_SL_EUlSZ_E_NS1_11comp_targetILNS1_3genE3ELNS1_11target_archE908ELNS1_3gpuE7ELNS1_3repE0EEENS1_47radix_sort_onesweep_sort_config_static_selectorELNS0_4arch9wavefront6targetE1EEEvSG_
		.amdhsa_group_segment_fixed_size 0
		.amdhsa_private_segment_fixed_size 0
		.amdhsa_kernarg_size 88
		.amdhsa_user_sgpr_count 6
		.amdhsa_user_sgpr_private_segment_buffer 1
		.amdhsa_user_sgpr_dispatch_ptr 0
		.amdhsa_user_sgpr_queue_ptr 0
		.amdhsa_user_sgpr_kernarg_segment_ptr 1
		.amdhsa_user_sgpr_dispatch_id 0
		.amdhsa_user_sgpr_flat_scratch_init 0
		.amdhsa_user_sgpr_private_segment_size 0
		.amdhsa_uses_dynamic_stack 0
		.amdhsa_system_sgpr_private_segment_wavefront_offset 0
		.amdhsa_system_sgpr_workgroup_id_x 1
		.amdhsa_system_sgpr_workgroup_id_y 0
		.amdhsa_system_sgpr_workgroup_id_z 0
		.amdhsa_system_sgpr_workgroup_info 0
		.amdhsa_system_vgpr_workitem_id 0
		.amdhsa_next_free_vgpr 1
		.amdhsa_next_free_sgpr 0
		.amdhsa_reserve_vcc 0
		.amdhsa_reserve_flat_scratch 0
		.amdhsa_float_round_mode_32 0
		.amdhsa_float_round_mode_16_64 0
		.amdhsa_float_denorm_mode_32 3
		.amdhsa_float_denorm_mode_16_64 3
		.amdhsa_dx10_clamp 1
		.amdhsa_ieee_mode 1
		.amdhsa_fp16_overflow 0
		.amdhsa_exception_fp_ieee_invalid_op 0
		.amdhsa_exception_fp_denorm_src 0
		.amdhsa_exception_fp_ieee_div_zero 0
		.amdhsa_exception_fp_ieee_overflow 0
		.amdhsa_exception_fp_ieee_underflow 0
		.amdhsa_exception_fp_ieee_inexact 0
		.amdhsa_exception_int_div_zero 0
	.end_amdhsa_kernel
	.section	.text._ZN7rocprim17ROCPRIM_400000_NS6detail17trampoline_kernelINS0_14default_configENS1_35radix_sort_onesweep_config_selectorIilEEZZNS1_29radix_sort_onesweep_iterationIS3_Lb0EPiS7_N6thrust23THRUST_200600_302600_NS10device_ptrIlEESB_jNS0_19identity_decomposerENS1_16block_id_wrapperIjLb1EEEEE10hipError_tT1_PNSt15iterator_traitsISG_E10value_typeET2_T3_PNSH_ISM_E10value_typeET4_T5_PSR_SS_PNS1_23onesweep_lookback_stateEbbT6_jjT7_P12ihipStream_tbENKUlT_T0_SG_SL_E_clIS7_S7_PlSB_EEDaSZ_S10_SG_SL_EUlSZ_E_NS1_11comp_targetILNS1_3genE3ELNS1_11target_archE908ELNS1_3gpuE7ELNS1_3repE0EEENS1_47radix_sort_onesweep_sort_config_static_selectorELNS0_4arch9wavefront6targetE1EEEvSG_,"axG",@progbits,_ZN7rocprim17ROCPRIM_400000_NS6detail17trampoline_kernelINS0_14default_configENS1_35radix_sort_onesweep_config_selectorIilEEZZNS1_29radix_sort_onesweep_iterationIS3_Lb0EPiS7_N6thrust23THRUST_200600_302600_NS10device_ptrIlEESB_jNS0_19identity_decomposerENS1_16block_id_wrapperIjLb1EEEEE10hipError_tT1_PNSt15iterator_traitsISG_E10value_typeET2_T3_PNSH_ISM_E10value_typeET4_T5_PSR_SS_PNS1_23onesweep_lookback_stateEbbT6_jjT7_P12ihipStream_tbENKUlT_T0_SG_SL_E_clIS7_S7_PlSB_EEDaSZ_S10_SG_SL_EUlSZ_E_NS1_11comp_targetILNS1_3genE3ELNS1_11target_archE908ELNS1_3gpuE7ELNS1_3repE0EEENS1_47radix_sort_onesweep_sort_config_static_selectorELNS0_4arch9wavefront6targetE1EEEvSG_,comdat
.Lfunc_end889:
	.size	_ZN7rocprim17ROCPRIM_400000_NS6detail17trampoline_kernelINS0_14default_configENS1_35radix_sort_onesweep_config_selectorIilEEZZNS1_29radix_sort_onesweep_iterationIS3_Lb0EPiS7_N6thrust23THRUST_200600_302600_NS10device_ptrIlEESB_jNS0_19identity_decomposerENS1_16block_id_wrapperIjLb1EEEEE10hipError_tT1_PNSt15iterator_traitsISG_E10value_typeET2_T3_PNSH_ISM_E10value_typeET4_T5_PSR_SS_PNS1_23onesweep_lookback_stateEbbT6_jjT7_P12ihipStream_tbENKUlT_T0_SG_SL_E_clIS7_S7_PlSB_EEDaSZ_S10_SG_SL_EUlSZ_E_NS1_11comp_targetILNS1_3genE3ELNS1_11target_archE908ELNS1_3gpuE7ELNS1_3repE0EEENS1_47radix_sort_onesweep_sort_config_static_selectorELNS0_4arch9wavefront6targetE1EEEvSG_, .Lfunc_end889-_ZN7rocprim17ROCPRIM_400000_NS6detail17trampoline_kernelINS0_14default_configENS1_35radix_sort_onesweep_config_selectorIilEEZZNS1_29radix_sort_onesweep_iterationIS3_Lb0EPiS7_N6thrust23THRUST_200600_302600_NS10device_ptrIlEESB_jNS0_19identity_decomposerENS1_16block_id_wrapperIjLb1EEEEE10hipError_tT1_PNSt15iterator_traitsISG_E10value_typeET2_T3_PNSH_ISM_E10value_typeET4_T5_PSR_SS_PNS1_23onesweep_lookback_stateEbbT6_jjT7_P12ihipStream_tbENKUlT_T0_SG_SL_E_clIS7_S7_PlSB_EEDaSZ_S10_SG_SL_EUlSZ_E_NS1_11comp_targetILNS1_3genE3ELNS1_11target_archE908ELNS1_3gpuE7ELNS1_3repE0EEENS1_47radix_sort_onesweep_sort_config_static_selectorELNS0_4arch9wavefront6targetE1EEEvSG_
                                        ; -- End function
	.set _ZN7rocprim17ROCPRIM_400000_NS6detail17trampoline_kernelINS0_14default_configENS1_35radix_sort_onesweep_config_selectorIilEEZZNS1_29radix_sort_onesweep_iterationIS3_Lb0EPiS7_N6thrust23THRUST_200600_302600_NS10device_ptrIlEESB_jNS0_19identity_decomposerENS1_16block_id_wrapperIjLb1EEEEE10hipError_tT1_PNSt15iterator_traitsISG_E10value_typeET2_T3_PNSH_ISM_E10value_typeET4_T5_PSR_SS_PNS1_23onesweep_lookback_stateEbbT6_jjT7_P12ihipStream_tbENKUlT_T0_SG_SL_E_clIS7_S7_PlSB_EEDaSZ_S10_SG_SL_EUlSZ_E_NS1_11comp_targetILNS1_3genE3ELNS1_11target_archE908ELNS1_3gpuE7ELNS1_3repE0EEENS1_47radix_sort_onesweep_sort_config_static_selectorELNS0_4arch9wavefront6targetE1EEEvSG_.num_vgpr, 0
	.set _ZN7rocprim17ROCPRIM_400000_NS6detail17trampoline_kernelINS0_14default_configENS1_35radix_sort_onesweep_config_selectorIilEEZZNS1_29radix_sort_onesweep_iterationIS3_Lb0EPiS7_N6thrust23THRUST_200600_302600_NS10device_ptrIlEESB_jNS0_19identity_decomposerENS1_16block_id_wrapperIjLb1EEEEE10hipError_tT1_PNSt15iterator_traitsISG_E10value_typeET2_T3_PNSH_ISM_E10value_typeET4_T5_PSR_SS_PNS1_23onesweep_lookback_stateEbbT6_jjT7_P12ihipStream_tbENKUlT_T0_SG_SL_E_clIS7_S7_PlSB_EEDaSZ_S10_SG_SL_EUlSZ_E_NS1_11comp_targetILNS1_3genE3ELNS1_11target_archE908ELNS1_3gpuE7ELNS1_3repE0EEENS1_47radix_sort_onesweep_sort_config_static_selectorELNS0_4arch9wavefront6targetE1EEEvSG_.num_agpr, 0
	.set _ZN7rocprim17ROCPRIM_400000_NS6detail17trampoline_kernelINS0_14default_configENS1_35radix_sort_onesweep_config_selectorIilEEZZNS1_29radix_sort_onesweep_iterationIS3_Lb0EPiS7_N6thrust23THRUST_200600_302600_NS10device_ptrIlEESB_jNS0_19identity_decomposerENS1_16block_id_wrapperIjLb1EEEEE10hipError_tT1_PNSt15iterator_traitsISG_E10value_typeET2_T3_PNSH_ISM_E10value_typeET4_T5_PSR_SS_PNS1_23onesweep_lookback_stateEbbT6_jjT7_P12ihipStream_tbENKUlT_T0_SG_SL_E_clIS7_S7_PlSB_EEDaSZ_S10_SG_SL_EUlSZ_E_NS1_11comp_targetILNS1_3genE3ELNS1_11target_archE908ELNS1_3gpuE7ELNS1_3repE0EEENS1_47radix_sort_onesweep_sort_config_static_selectorELNS0_4arch9wavefront6targetE1EEEvSG_.numbered_sgpr, 0
	.set _ZN7rocprim17ROCPRIM_400000_NS6detail17trampoline_kernelINS0_14default_configENS1_35radix_sort_onesweep_config_selectorIilEEZZNS1_29radix_sort_onesweep_iterationIS3_Lb0EPiS7_N6thrust23THRUST_200600_302600_NS10device_ptrIlEESB_jNS0_19identity_decomposerENS1_16block_id_wrapperIjLb1EEEEE10hipError_tT1_PNSt15iterator_traitsISG_E10value_typeET2_T3_PNSH_ISM_E10value_typeET4_T5_PSR_SS_PNS1_23onesweep_lookback_stateEbbT6_jjT7_P12ihipStream_tbENKUlT_T0_SG_SL_E_clIS7_S7_PlSB_EEDaSZ_S10_SG_SL_EUlSZ_E_NS1_11comp_targetILNS1_3genE3ELNS1_11target_archE908ELNS1_3gpuE7ELNS1_3repE0EEENS1_47radix_sort_onesweep_sort_config_static_selectorELNS0_4arch9wavefront6targetE1EEEvSG_.num_named_barrier, 0
	.set _ZN7rocprim17ROCPRIM_400000_NS6detail17trampoline_kernelINS0_14default_configENS1_35radix_sort_onesweep_config_selectorIilEEZZNS1_29radix_sort_onesweep_iterationIS3_Lb0EPiS7_N6thrust23THRUST_200600_302600_NS10device_ptrIlEESB_jNS0_19identity_decomposerENS1_16block_id_wrapperIjLb1EEEEE10hipError_tT1_PNSt15iterator_traitsISG_E10value_typeET2_T3_PNSH_ISM_E10value_typeET4_T5_PSR_SS_PNS1_23onesweep_lookback_stateEbbT6_jjT7_P12ihipStream_tbENKUlT_T0_SG_SL_E_clIS7_S7_PlSB_EEDaSZ_S10_SG_SL_EUlSZ_E_NS1_11comp_targetILNS1_3genE3ELNS1_11target_archE908ELNS1_3gpuE7ELNS1_3repE0EEENS1_47radix_sort_onesweep_sort_config_static_selectorELNS0_4arch9wavefront6targetE1EEEvSG_.private_seg_size, 0
	.set _ZN7rocprim17ROCPRIM_400000_NS6detail17trampoline_kernelINS0_14default_configENS1_35radix_sort_onesweep_config_selectorIilEEZZNS1_29radix_sort_onesweep_iterationIS3_Lb0EPiS7_N6thrust23THRUST_200600_302600_NS10device_ptrIlEESB_jNS0_19identity_decomposerENS1_16block_id_wrapperIjLb1EEEEE10hipError_tT1_PNSt15iterator_traitsISG_E10value_typeET2_T3_PNSH_ISM_E10value_typeET4_T5_PSR_SS_PNS1_23onesweep_lookback_stateEbbT6_jjT7_P12ihipStream_tbENKUlT_T0_SG_SL_E_clIS7_S7_PlSB_EEDaSZ_S10_SG_SL_EUlSZ_E_NS1_11comp_targetILNS1_3genE3ELNS1_11target_archE908ELNS1_3gpuE7ELNS1_3repE0EEENS1_47radix_sort_onesweep_sort_config_static_selectorELNS0_4arch9wavefront6targetE1EEEvSG_.uses_vcc, 0
	.set _ZN7rocprim17ROCPRIM_400000_NS6detail17trampoline_kernelINS0_14default_configENS1_35radix_sort_onesweep_config_selectorIilEEZZNS1_29radix_sort_onesweep_iterationIS3_Lb0EPiS7_N6thrust23THRUST_200600_302600_NS10device_ptrIlEESB_jNS0_19identity_decomposerENS1_16block_id_wrapperIjLb1EEEEE10hipError_tT1_PNSt15iterator_traitsISG_E10value_typeET2_T3_PNSH_ISM_E10value_typeET4_T5_PSR_SS_PNS1_23onesweep_lookback_stateEbbT6_jjT7_P12ihipStream_tbENKUlT_T0_SG_SL_E_clIS7_S7_PlSB_EEDaSZ_S10_SG_SL_EUlSZ_E_NS1_11comp_targetILNS1_3genE3ELNS1_11target_archE908ELNS1_3gpuE7ELNS1_3repE0EEENS1_47radix_sort_onesweep_sort_config_static_selectorELNS0_4arch9wavefront6targetE1EEEvSG_.uses_flat_scratch, 0
	.set _ZN7rocprim17ROCPRIM_400000_NS6detail17trampoline_kernelINS0_14default_configENS1_35radix_sort_onesweep_config_selectorIilEEZZNS1_29radix_sort_onesweep_iterationIS3_Lb0EPiS7_N6thrust23THRUST_200600_302600_NS10device_ptrIlEESB_jNS0_19identity_decomposerENS1_16block_id_wrapperIjLb1EEEEE10hipError_tT1_PNSt15iterator_traitsISG_E10value_typeET2_T3_PNSH_ISM_E10value_typeET4_T5_PSR_SS_PNS1_23onesweep_lookback_stateEbbT6_jjT7_P12ihipStream_tbENKUlT_T0_SG_SL_E_clIS7_S7_PlSB_EEDaSZ_S10_SG_SL_EUlSZ_E_NS1_11comp_targetILNS1_3genE3ELNS1_11target_archE908ELNS1_3gpuE7ELNS1_3repE0EEENS1_47radix_sort_onesweep_sort_config_static_selectorELNS0_4arch9wavefront6targetE1EEEvSG_.has_dyn_sized_stack, 0
	.set _ZN7rocprim17ROCPRIM_400000_NS6detail17trampoline_kernelINS0_14default_configENS1_35radix_sort_onesweep_config_selectorIilEEZZNS1_29radix_sort_onesweep_iterationIS3_Lb0EPiS7_N6thrust23THRUST_200600_302600_NS10device_ptrIlEESB_jNS0_19identity_decomposerENS1_16block_id_wrapperIjLb1EEEEE10hipError_tT1_PNSt15iterator_traitsISG_E10value_typeET2_T3_PNSH_ISM_E10value_typeET4_T5_PSR_SS_PNS1_23onesweep_lookback_stateEbbT6_jjT7_P12ihipStream_tbENKUlT_T0_SG_SL_E_clIS7_S7_PlSB_EEDaSZ_S10_SG_SL_EUlSZ_E_NS1_11comp_targetILNS1_3genE3ELNS1_11target_archE908ELNS1_3gpuE7ELNS1_3repE0EEENS1_47radix_sort_onesweep_sort_config_static_selectorELNS0_4arch9wavefront6targetE1EEEvSG_.has_recursion, 0
	.set _ZN7rocprim17ROCPRIM_400000_NS6detail17trampoline_kernelINS0_14default_configENS1_35radix_sort_onesweep_config_selectorIilEEZZNS1_29radix_sort_onesweep_iterationIS3_Lb0EPiS7_N6thrust23THRUST_200600_302600_NS10device_ptrIlEESB_jNS0_19identity_decomposerENS1_16block_id_wrapperIjLb1EEEEE10hipError_tT1_PNSt15iterator_traitsISG_E10value_typeET2_T3_PNSH_ISM_E10value_typeET4_T5_PSR_SS_PNS1_23onesweep_lookback_stateEbbT6_jjT7_P12ihipStream_tbENKUlT_T0_SG_SL_E_clIS7_S7_PlSB_EEDaSZ_S10_SG_SL_EUlSZ_E_NS1_11comp_targetILNS1_3genE3ELNS1_11target_archE908ELNS1_3gpuE7ELNS1_3repE0EEENS1_47radix_sort_onesweep_sort_config_static_selectorELNS0_4arch9wavefront6targetE1EEEvSG_.has_indirect_call, 0
	.section	.AMDGPU.csdata,"",@progbits
; Kernel info:
; codeLenInByte = 0
; TotalNumSgprs: 4
; NumVgprs: 0
; ScratchSize: 0
; MemoryBound: 0
; FloatMode: 240
; IeeeMode: 1
; LDSByteSize: 0 bytes/workgroup (compile time only)
; SGPRBlocks: 0
; VGPRBlocks: 0
; NumSGPRsForWavesPerEU: 4
; NumVGPRsForWavesPerEU: 1
; Occupancy: 10
; WaveLimiterHint : 0
; COMPUTE_PGM_RSRC2:SCRATCH_EN: 0
; COMPUTE_PGM_RSRC2:USER_SGPR: 6
; COMPUTE_PGM_RSRC2:TRAP_HANDLER: 0
; COMPUTE_PGM_RSRC2:TGID_X_EN: 1
; COMPUTE_PGM_RSRC2:TGID_Y_EN: 0
; COMPUTE_PGM_RSRC2:TGID_Z_EN: 0
; COMPUTE_PGM_RSRC2:TIDIG_COMP_CNT: 0
	.section	.text._ZN7rocprim17ROCPRIM_400000_NS6detail17trampoline_kernelINS0_14default_configENS1_35radix_sort_onesweep_config_selectorIilEEZZNS1_29radix_sort_onesweep_iterationIS3_Lb0EPiS7_N6thrust23THRUST_200600_302600_NS10device_ptrIlEESB_jNS0_19identity_decomposerENS1_16block_id_wrapperIjLb1EEEEE10hipError_tT1_PNSt15iterator_traitsISG_E10value_typeET2_T3_PNSH_ISM_E10value_typeET4_T5_PSR_SS_PNS1_23onesweep_lookback_stateEbbT6_jjT7_P12ihipStream_tbENKUlT_T0_SG_SL_E_clIS7_S7_PlSB_EEDaSZ_S10_SG_SL_EUlSZ_E_NS1_11comp_targetILNS1_3genE10ELNS1_11target_archE1201ELNS1_3gpuE5ELNS1_3repE0EEENS1_47radix_sort_onesweep_sort_config_static_selectorELNS0_4arch9wavefront6targetE1EEEvSG_,"axG",@progbits,_ZN7rocprim17ROCPRIM_400000_NS6detail17trampoline_kernelINS0_14default_configENS1_35radix_sort_onesweep_config_selectorIilEEZZNS1_29radix_sort_onesweep_iterationIS3_Lb0EPiS7_N6thrust23THRUST_200600_302600_NS10device_ptrIlEESB_jNS0_19identity_decomposerENS1_16block_id_wrapperIjLb1EEEEE10hipError_tT1_PNSt15iterator_traitsISG_E10value_typeET2_T3_PNSH_ISM_E10value_typeET4_T5_PSR_SS_PNS1_23onesweep_lookback_stateEbbT6_jjT7_P12ihipStream_tbENKUlT_T0_SG_SL_E_clIS7_S7_PlSB_EEDaSZ_S10_SG_SL_EUlSZ_E_NS1_11comp_targetILNS1_3genE10ELNS1_11target_archE1201ELNS1_3gpuE5ELNS1_3repE0EEENS1_47radix_sort_onesweep_sort_config_static_selectorELNS0_4arch9wavefront6targetE1EEEvSG_,comdat
	.protected	_ZN7rocprim17ROCPRIM_400000_NS6detail17trampoline_kernelINS0_14default_configENS1_35radix_sort_onesweep_config_selectorIilEEZZNS1_29radix_sort_onesweep_iterationIS3_Lb0EPiS7_N6thrust23THRUST_200600_302600_NS10device_ptrIlEESB_jNS0_19identity_decomposerENS1_16block_id_wrapperIjLb1EEEEE10hipError_tT1_PNSt15iterator_traitsISG_E10value_typeET2_T3_PNSH_ISM_E10value_typeET4_T5_PSR_SS_PNS1_23onesweep_lookback_stateEbbT6_jjT7_P12ihipStream_tbENKUlT_T0_SG_SL_E_clIS7_S7_PlSB_EEDaSZ_S10_SG_SL_EUlSZ_E_NS1_11comp_targetILNS1_3genE10ELNS1_11target_archE1201ELNS1_3gpuE5ELNS1_3repE0EEENS1_47radix_sort_onesweep_sort_config_static_selectorELNS0_4arch9wavefront6targetE1EEEvSG_ ; -- Begin function _ZN7rocprim17ROCPRIM_400000_NS6detail17trampoline_kernelINS0_14default_configENS1_35radix_sort_onesweep_config_selectorIilEEZZNS1_29radix_sort_onesweep_iterationIS3_Lb0EPiS7_N6thrust23THRUST_200600_302600_NS10device_ptrIlEESB_jNS0_19identity_decomposerENS1_16block_id_wrapperIjLb1EEEEE10hipError_tT1_PNSt15iterator_traitsISG_E10value_typeET2_T3_PNSH_ISM_E10value_typeET4_T5_PSR_SS_PNS1_23onesweep_lookback_stateEbbT6_jjT7_P12ihipStream_tbENKUlT_T0_SG_SL_E_clIS7_S7_PlSB_EEDaSZ_S10_SG_SL_EUlSZ_E_NS1_11comp_targetILNS1_3genE10ELNS1_11target_archE1201ELNS1_3gpuE5ELNS1_3repE0EEENS1_47radix_sort_onesweep_sort_config_static_selectorELNS0_4arch9wavefront6targetE1EEEvSG_
	.globl	_ZN7rocprim17ROCPRIM_400000_NS6detail17trampoline_kernelINS0_14default_configENS1_35radix_sort_onesweep_config_selectorIilEEZZNS1_29radix_sort_onesweep_iterationIS3_Lb0EPiS7_N6thrust23THRUST_200600_302600_NS10device_ptrIlEESB_jNS0_19identity_decomposerENS1_16block_id_wrapperIjLb1EEEEE10hipError_tT1_PNSt15iterator_traitsISG_E10value_typeET2_T3_PNSH_ISM_E10value_typeET4_T5_PSR_SS_PNS1_23onesweep_lookback_stateEbbT6_jjT7_P12ihipStream_tbENKUlT_T0_SG_SL_E_clIS7_S7_PlSB_EEDaSZ_S10_SG_SL_EUlSZ_E_NS1_11comp_targetILNS1_3genE10ELNS1_11target_archE1201ELNS1_3gpuE5ELNS1_3repE0EEENS1_47radix_sort_onesweep_sort_config_static_selectorELNS0_4arch9wavefront6targetE1EEEvSG_
	.p2align	8
	.type	_ZN7rocprim17ROCPRIM_400000_NS6detail17trampoline_kernelINS0_14default_configENS1_35radix_sort_onesweep_config_selectorIilEEZZNS1_29radix_sort_onesweep_iterationIS3_Lb0EPiS7_N6thrust23THRUST_200600_302600_NS10device_ptrIlEESB_jNS0_19identity_decomposerENS1_16block_id_wrapperIjLb1EEEEE10hipError_tT1_PNSt15iterator_traitsISG_E10value_typeET2_T3_PNSH_ISM_E10value_typeET4_T5_PSR_SS_PNS1_23onesweep_lookback_stateEbbT6_jjT7_P12ihipStream_tbENKUlT_T0_SG_SL_E_clIS7_S7_PlSB_EEDaSZ_S10_SG_SL_EUlSZ_E_NS1_11comp_targetILNS1_3genE10ELNS1_11target_archE1201ELNS1_3gpuE5ELNS1_3repE0EEENS1_47radix_sort_onesweep_sort_config_static_selectorELNS0_4arch9wavefront6targetE1EEEvSG_,@function
_ZN7rocprim17ROCPRIM_400000_NS6detail17trampoline_kernelINS0_14default_configENS1_35radix_sort_onesweep_config_selectorIilEEZZNS1_29radix_sort_onesweep_iterationIS3_Lb0EPiS7_N6thrust23THRUST_200600_302600_NS10device_ptrIlEESB_jNS0_19identity_decomposerENS1_16block_id_wrapperIjLb1EEEEE10hipError_tT1_PNSt15iterator_traitsISG_E10value_typeET2_T3_PNSH_ISM_E10value_typeET4_T5_PSR_SS_PNS1_23onesweep_lookback_stateEbbT6_jjT7_P12ihipStream_tbENKUlT_T0_SG_SL_E_clIS7_S7_PlSB_EEDaSZ_S10_SG_SL_EUlSZ_E_NS1_11comp_targetILNS1_3genE10ELNS1_11target_archE1201ELNS1_3gpuE5ELNS1_3repE0EEENS1_47radix_sort_onesweep_sort_config_static_selectorELNS0_4arch9wavefront6targetE1EEEvSG_: ; @_ZN7rocprim17ROCPRIM_400000_NS6detail17trampoline_kernelINS0_14default_configENS1_35radix_sort_onesweep_config_selectorIilEEZZNS1_29radix_sort_onesweep_iterationIS3_Lb0EPiS7_N6thrust23THRUST_200600_302600_NS10device_ptrIlEESB_jNS0_19identity_decomposerENS1_16block_id_wrapperIjLb1EEEEE10hipError_tT1_PNSt15iterator_traitsISG_E10value_typeET2_T3_PNSH_ISM_E10value_typeET4_T5_PSR_SS_PNS1_23onesweep_lookback_stateEbbT6_jjT7_P12ihipStream_tbENKUlT_T0_SG_SL_E_clIS7_S7_PlSB_EEDaSZ_S10_SG_SL_EUlSZ_E_NS1_11comp_targetILNS1_3genE10ELNS1_11target_archE1201ELNS1_3gpuE5ELNS1_3repE0EEENS1_47radix_sort_onesweep_sort_config_static_selectorELNS0_4arch9wavefront6targetE1EEEvSG_
; %bb.0:
	.section	.rodata,"a",@progbits
	.p2align	6, 0x0
	.amdhsa_kernel _ZN7rocprim17ROCPRIM_400000_NS6detail17trampoline_kernelINS0_14default_configENS1_35radix_sort_onesweep_config_selectorIilEEZZNS1_29radix_sort_onesweep_iterationIS3_Lb0EPiS7_N6thrust23THRUST_200600_302600_NS10device_ptrIlEESB_jNS0_19identity_decomposerENS1_16block_id_wrapperIjLb1EEEEE10hipError_tT1_PNSt15iterator_traitsISG_E10value_typeET2_T3_PNSH_ISM_E10value_typeET4_T5_PSR_SS_PNS1_23onesweep_lookback_stateEbbT6_jjT7_P12ihipStream_tbENKUlT_T0_SG_SL_E_clIS7_S7_PlSB_EEDaSZ_S10_SG_SL_EUlSZ_E_NS1_11comp_targetILNS1_3genE10ELNS1_11target_archE1201ELNS1_3gpuE5ELNS1_3repE0EEENS1_47radix_sort_onesweep_sort_config_static_selectorELNS0_4arch9wavefront6targetE1EEEvSG_
		.amdhsa_group_segment_fixed_size 0
		.amdhsa_private_segment_fixed_size 0
		.amdhsa_kernarg_size 88
		.amdhsa_user_sgpr_count 6
		.amdhsa_user_sgpr_private_segment_buffer 1
		.amdhsa_user_sgpr_dispatch_ptr 0
		.amdhsa_user_sgpr_queue_ptr 0
		.amdhsa_user_sgpr_kernarg_segment_ptr 1
		.amdhsa_user_sgpr_dispatch_id 0
		.amdhsa_user_sgpr_flat_scratch_init 0
		.amdhsa_user_sgpr_private_segment_size 0
		.amdhsa_uses_dynamic_stack 0
		.amdhsa_system_sgpr_private_segment_wavefront_offset 0
		.amdhsa_system_sgpr_workgroup_id_x 1
		.amdhsa_system_sgpr_workgroup_id_y 0
		.amdhsa_system_sgpr_workgroup_id_z 0
		.amdhsa_system_sgpr_workgroup_info 0
		.amdhsa_system_vgpr_workitem_id 0
		.amdhsa_next_free_vgpr 1
		.amdhsa_next_free_sgpr 0
		.amdhsa_reserve_vcc 0
		.amdhsa_reserve_flat_scratch 0
		.amdhsa_float_round_mode_32 0
		.amdhsa_float_round_mode_16_64 0
		.amdhsa_float_denorm_mode_32 3
		.amdhsa_float_denorm_mode_16_64 3
		.amdhsa_dx10_clamp 1
		.amdhsa_ieee_mode 1
		.amdhsa_fp16_overflow 0
		.amdhsa_exception_fp_ieee_invalid_op 0
		.amdhsa_exception_fp_denorm_src 0
		.amdhsa_exception_fp_ieee_div_zero 0
		.amdhsa_exception_fp_ieee_overflow 0
		.amdhsa_exception_fp_ieee_underflow 0
		.amdhsa_exception_fp_ieee_inexact 0
		.amdhsa_exception_int_div_zero 0
	.end_amdhsa_kernel
	.section	.text._ZN7rocprim17ROCPRIM_400000_NS6detail17trampoline_kernelINS0_14default_configENS1_35radix_sort_onesweep_config_selectorIilEEZZNS1_29radix_sort_onesweep_iterationIS3_Lb0EPiS7_N6thrust23THRUST_200600_302600_NS10device_ptrIlEESB_jNS0_19identity_decomposerENS1_16block_id_wrapperIjLb1EEEEE10hipError_tT1_PNSt15iterator_traitsISG_E10value_typeET2_T3_PNSH_ISM_E10value_typeET4_T5_PSR_SS_PNS1_23onesweep_lookback_stateEbbT6_jjT7_P12ihipStream_tbENKUlT_T0_SG_SL_E_clIS7_S7_PlSB_EEDaSZ_S10_SG_SL_EUlSZ_E_NS1_11comp_targetILNS1_3genE10ELNS1_11target_archE1201ELNS1_3gpuE5ELNS1_3repE0EEENS1_47radix_sort_onesweep_sort_config_static_selectorELNS0_4arch9wavefront6targetE1EEEvSG_,"axG",@progbits,_ZN7rocprim17ROCPRIM_400000_NS6detail17trampoline_kernelINS0_14default_configENS1_35radix_sort_onesweep_config_selectorIilEEZZNS1_29radix_sort_onesweep_iterationIS3_Lb0EPiS7_N6thrust23THRUST_200600_302600_NS10device_ptrIlEESB_jNS0_19identity_decomposerENS1_16block_id_wrapperIjLb1EEEEE10hipError_tT1_PNSt15iterator_traitsISG_E10value_typeET2_T3_PNSH_ISM_E10value_typeET4_T5_PSR_SS_PNS1_23onesweep_lookback_stateEbbT6_jjT7_P12ihipStream_tbENKUlT_T0_SG_SL_E_clIS7_S7_PlSB_EEDaSZ_S10_SG_SL_EUlSZ_E_NS1_11comp_targetILNS1_3genE10ELNS1_11target_archE1201ELNS1_3gpuE5ELNS1_3repE0EEENS1_47radix_sort_onesweep_sort_config_static_selectorELNS0_4arch9wavefront6targetE1EEEvSG_,comdat
.Lfunc_end890:
	.size	_ZN7rocprim17ROCPRIM_400000_NS6detail17trampoline_kernelINS0_14default_configENS1_35radix_sort_onesweep_config_selectorIilEEZZNS1_29radix_sort_onesweep_iterationIS3_Lb0EPiS7_N6thrust23THRUST_200600_302600_NS10device_ptrIlEESB_jNS0_19identity_decomposerENS1_16block_id_wrapperIjLb1EEEEE10hipError_tT1_PNSt15iterator_traitsISG_E10value_typeET2_T3_PNSH_ISM_E10value_typeET4_T5_PSR_SS_PNS1_23onesweep_lookback_stateEbbT6_jjT7_P12ihipStream_tbENKUlT_T0_SG_SL_E_clIS7_S7_PlSB_EEDaSZ_S10_SG_SL_EUlSZ_E_NS1_11comp_targetILNS1_3genE10ELNS1_11target_archE1201ELNS1_3gpuE5ELNS1_3repE0EEENS1_47radix_sort_onesweep_sort_config_static_selectorELNS0_4arch9wavefront6targetE1EEEvSG_, .Lfunc_end890-_ZN7rocprim17ROCPRIM_400000_NS6detail17trampoline_kernelINS0_14default_configENS1_35radix_sort_onesweep_config_selectorIilEEZZNS1_29radix_sort_onesweep_iterationIS3_Lb0EPiS7_N6thrust23THRUST_200600_302600_NS10device_ptrIlEESB_jNS0_19identity_decomposerENS1_16block_id_wrapperIjLb1EEEEE10hipError_tT1_PNSt15iterator_traitsISG_E10value_typeET2_T3_PNSH_ISM_E10value_typeET4_T5_PSR_SS_PNS1_23onesweep_lookback_stateEbbT6_jjT7_P12ihipStream_tbENKUlT_T0_SG_SL_E_clIS7_S7_PlSB_EEDaSZ_S10_SG_SL_EUlSZ_E_NS1_11comp_targetILNS1_3genE10ELNS1_11target_archE1201ELNS1_3gpuE5ELNS1_3repE0EEENS1_47radix_sort_onesweep_sort_config_static_selectorELNS0_4arch9wavefront6targetE1EEEvSG_
                                        ; -- End function
	.set _ZN7rocprim17ROCPRIM_400000_NS6detail17trampoline_kernelINS0_14default_configENS1_35radix_sort_onesweep_config_selectorIilEEZZNS1_29radix_sort_onesweep_iterationIS3_Lb0EPiS7_N6thrust23THRUST_200600_302600_NS10device_ptrIlEESB_jNS0_19identity_decomposerENS1_16block_id_wrapperIjLb1EEEEE10hipError_tT1_PNSt15iterator_traitsISG_E10value_typeET2_T3_PNSH_ISM_E10value_typeET4_T5_PSR_SS_PNS1_23onesweep_lookback_stateEbbT6_jjT7_P12ihipStream_tbENKUlT_T0_SG_SL_E_clIS7_S7_PlSB_EEDaSZ_S10_SG_SL_EUlSZ_E_NS1_11comp_targetILNS1_3genE10ELNS1_11target_archE1201ELNS1_3gpuE5ELNS1_3repE0EEENS1_47radix_sort_onesweep_sort_config_static_selectorELNS0_4arch9wavefront6targetE1EEEvSG_.num_vgpr, 0
	.set _ZN7rocprim17ROCPRIM_400000_NS6detail17trampoline_kernelINS0_14default_configENS1_35radix_sort_onesweep_config_selectorIilEEZZNS1_29radix_sort_onesweep_iterationIS3_Lb0EPiS7_N6thrust23THRUST_200600_302600_NS10device_ptrIlEESB_jNS0_19identity_decomposerENS1_16block_id_wrapperIjLb1EEEEE10hipError_tT1_PNSt15iterator_traitsISG_E10value_typeET2_T3_PNSH_ISM_E10value_typeET4_T5_PSR_SS_PNS1_23onesweep_lookback_stateEbbT6_jjT7_P12ihipStream_tbENKUlT_T0_SG_SL_E_clIS7_S7_PlSB_EEDaSZ_S10_SG_SL_EUlSZ_E_NS1_11comp_targetILNS1_3genE10ELNS1_11target_archE1201ELNS1_3gpuE5ELNS1_3repE0EEENS1_47radix_sort_onesweep_sort_config_static_selectorELNS0_4arch9wavefront6targetE1EEEvSG_.num_agpr, 0
	.set _ZN7rocprim17ROCPRIM_400000_NS6detail17trampoline_kernelINS0_14default_configENS1_35radix_sort_onesweep_config_selectorIilEEZZNS1_29radix_sort_onesweep_iterationIS3_Lb0EPiS7_N6thrust23THRUST_200600_302600_NS10device_ptrIlEESB_jNS0_19identity_decomposerENS1_16block_id_wrapperIjLb1EEEEE10hipError_tT1_PNSt15iterator_traitsISG_E10value_typeET2_T3_PNSH_ISM_E10value_typeET4_T5_PSR_SS_PNS1_23onesweep_lookback_stateEbbT6_jjT7_P12ihipStream_tbENKUlT_T0_SG_SL_E_clIS7_S7_PlSB_EEDaSZ_S10_SG_SL_EUlSZ_E_NS1_11comp_targetILNS1_3genE10ELNS1_11target_archE1201ELNS1_3gpuE5ELNS1_3repE0EEENS1_47radix_sort_onesweep_sort_config_static_selectorELNS0_4arch9wavefront6targetE1EEEvSG_.numbered_sgpr, 0
	.set _ZN7rocprim17ROCPRIM_400000_NS6detail17trampoline_kernelINS0_14default_configENS1_35radix_sort_onesweep_config_selectorIilEEZZNS1_29radix_sort_onesweep_iterationIS3_Lb0EPiS7_N6thrust23THRUST_200600_302600_NS10device_ptrIlEESB_jNS0_19identity_decomposerENS1_16block_id_wrapperIjLb1EEEEE10hipError_tT1_PNSt15iterator_traitsISG_E10value_typeET2_T3_PNSH_ISM_E10value_typeET4_T5_PSR_SS_PNS1_23onesweep_lookback_stateEbbT6_jjT7_P12ihipStream_tbENKUlT_T0_SG_SL_E_clIS7_S7_PlSB_EEDaSZ_S10_SG_SL_EUlSZ_E_NS1_11comp_targetILNS1_3genE10ELNS1_11target_archE1201ELNS1_3gpuE5ELNS1_3repE0EEENS1_47radix_sort_onesweep_sort_config_static_selectorELNS0_4arch9wavefront6targetE1EEEvSG_.num_named_barrier, 0
	.set _ZN7rocprim17ROCPRIM_400000_NS6detail17trampoline_kernelINS0_14default_configENS1_35radix_sort_onesweep_config_selectorIilEEZZNS1_29radix_sort_onesweep_iterationIS3_Lb0EPiS7_N6thrust23THRUST_200600_302600_NS10device_ptrIlEESB_jNS0_19identity_decomposerENS1_16block_id_wrapperIjLb1EEEEE10hipError_tT1_PNSt15iterator_traitsISG_E10value_typeET2_T3_PNSH_ISM_E10value_typeET4_T5_PSR_SS_PNS1_23onesweep_lookback_stateEbbT6_jjT7_P12ihipStream_tbENKUlT_T0_SG_SL_E_clIS7_S7_PlSB_EEDaSZ_S10_SG_SL_EUlSZ_E_NS1_11comp_targetILNS1_3genE10ELNS1_11target_archE1201ELNS1_3gpuE5ELNS1_3repE0EEENS1_47radix_sort_onesweep_sort_config_static_selectorELNS0_4arch9wavefront6targetE1EEEvSG_.private_seg_size, 0
	.set _ZN7rocprim17ROCPRIM_400000_NS6detail17trampoline_kernelINS0_14default_configENS1_35radix_sort_onesweep_config_selectorIilEEZZNS1_29radix_sort_onesweep_iterationIS3_Lb0EPiS7_N6thrust23THRUST_200600_302600_NS10device_ptrIlEESB_jNS0_19identity_decomposerENS1_16block_id_wrapperIjLb1EEEEE10hipError_tT1_PNSt15iterator_traitsISG_E10value_typeET2_T3_PNSH_ISM_E10value_typeET4_T5_PSR_SS_PNS1_23onesweep_lookback_stateEbbT6_jjT7_P12ihipStream_tbENKUlT_T0_SG_SL_E_clIS7_S7_PlSB_EEDaSZ_S10_SG_SL_EUlSZ_E_NS1_11comp_targetILNS1_3genE10ELNS1_11target_archE1201ELNS1_3gpuE5ELNS1_3repE0EEENS1_47radix_sort_onesweep_sort_config_static_selectorELNS0_4arch9wavefront6targetE1EEEvSG_.uses_vcc, 0
	.set _ZN7rocprim17ROCPRIM_400000_NS6detail17trampoline_kernelINS0_14default_configENS1_35radix_sort_onesweep_config_selectorIilEEZZNS1_29radix_sort_onesweep_iterationIS3_Lb0EPiS7_N6thrust23THRUST_200600_302600_NS10device_ptrIlEESB_jNS0_19identity_decomposerENS1_16block_id_wrapperIjLb1EEEEE10hipError_tT1_PNSt15iterator_traitsISG_E10value_typeET2_T3_PNSH_ISM_E10value_typeET4_T5_PSR_SS_PNS1_23onesweep_lookback_stateEbbT6_jjT7_P12ihipStream_tbENKUlT_T0_SG_SL_E_clIS7_S7_PlSB_EEDaSZ_S10_SG_SL_EUlSZ_E_NS1_11comp_targetILNS1_3genE10ELNS1_11target_archE1201ELNS1_3gpuE5ELNS1_3repE0EEENS1_47radix_sort_onesweep_sort_config_static_selectorELNS0_4arch9wavefront6targetE1EEEvSG_.uses_flat_scratch, 0
	.set _ZN7rocprim17ROCPRIM_400000_NS6detail17trampoline_kernelINS0_14default_configENS1_35radix_sort_onesweep_config_selectorIilEEZZNS1_29radix_sort_onesweep_iterationIS3_Lb0EPiS7_N6thrust23THRUST_200600_302600_NS10device_ptrIlEESB_jNS0_19identity_decomposerENS1_16block_id_wrapperIjLb1EEEEE10hipError_tT1_PNSt15iterator_traitsISG_E10value_typeET2_T3_PNSH_ISM_E10value_typeET4_T5_PSR_SS_PNS1_23onesweep_lookback_stateEbbT6_jjT7_P12ihipStream_tbENKUlT_T0_SG_SL_E_clIS7_S7_PlSB_EEDaSZ_S10_SG_SL_EUlSZ_E_NS1_11comp_targetILNS1_3genE10ELNS1_11target_archE1201ELNS1_3gpuE5ELNS1_3repE0EEENS1_47radix_sort_onesweep_sort_config_static_selectorELNS0_4arch9wavefront6targetE1EEEvSG_.has_dyn_sized_stack, 0
	.set _ZN7rocprim17ROCPRIM_400000_NS6detail17trampoline_kernelINS0_14default_configENS1_35radix_sort_onesweep_config_selectorIilEEZZNS1_29radix_sort_onesweep_iterationIS3_Lb0EPiS7_N6thrust23THRUST_200600_302600_NS10device_ptrIlEESB_jNS0_19identity_decomposerENS1_16block_id_wrapperIjLb1EEEEE10hipError_tT1_PNSt15iterator_traitsISG_E10value_typeET2_T3_PNSH_ISM_E10value_typeET4_T5_PSR_SS_PNS1_23onesweep_lookback_stateEbbT6_jjT7_P12ihipStream_tbENKUlT_T0_SG_SL_E_clIS7_S7_PlSB_EEDaSZ_S10_SG_SL_EUlSZ_E_NS1_11comp_targetILNS1_3genE10ELNS1_11target_archE1201ELNS1_3gpuE5ELNS1_3repE0EEENS1_47radix_sort_onesweep_sort_config_static_selectorELNS0_4arch9wavefront6targetE1EEEvSG_.has_recursion, 0
	.set _ZN7rocprim17ROCPRIM_400000_NS6detail17trampoline_kernelINS0_14default_configENS1_35radix_sort_onesweep_config_selectorIilEEZZNS1_29radix_sort_onesweep_iterationIS3_Lb0EPiS7_N6thrust23THRUST_200600_302600_NS10device_ptrIlEESB_jNS0_19identity_decomposerENS1_16block_id_wrapperIjLb1EEEEE10hipError_tT1_PNSt15iterator_traitsISG_E10value_typeET2_T3_PNSH_ISM_E10value_typeET4_T5_PSR_SS_PNS1_23onesweep_lookback_stateEbbT6_jjT7_P12ihipStream_tbENKUlT_T0_SG_SL_E_clIS7_S7_PlSB_EEDaSZ_S10_SG_SL_EUlSZ_E_NS1_11comp_targetILNS1_3genE10ELNS1_11target_archE1201ELNS1_3gpuE5ELNS1_3repE0EEENS1_47radix_sort_onesweep_sort_config_static_selectorELNS0_4arch9wavefront6targetE1EEEvSG_.has_indirect_call, 0
	.section	.AMDGPU.csdata,"",@progbits
; Kernel info:
; codeLenInByte = 0
; TotalNumSgprs: 4
; NumVgprs: 0
; ScratchSize: 0
; MemoryBound: 0
; FloatMode: 240
; IeeeMode: 1
; LDSByteSize: 0 bytes/workgroup (compile time only)
; SGPRBlocks: 0
; VGPRBlocks: 0
; NumSGPRsForWavesPerEU: 4
; NumVGPRsForWavesPerEU: 1
; Occupancy: 10
; WaveLimiterHint : 0
; COMPUTE_PGM_RSRC2:SCRATCH_EN: 0
; COMPUTE_PGM_RSRC2:USER_SGPR: 6
; COMPUTE_PGM_RSRC2:TRAP_HANDLER: 0
; COMPUTE_PGM_RSRC2:TGID_X_EN: 1
; COMPUTE_PGM_RSRC2:TGID_Y_EN: 0
; COMPUTE_PGM_RSRC2:TGID_Z_EN: 0
; COMPUTE_PGM_RSRC2:TIDIG_COMP_CNT: 0
	.section	.text._ZN7rocprim17ROCPRIM_400000_NS6detail17trampoline_kernelINS0_14default_configENS1_35radix_sort_onesweep_config_selectorIilEEZZNS1_29radix_sort_onesweep_iterationIS3_Lb0EPiS7_N6thrust23THRUST_200600_302600_NS10device_ptrIlEESB_jNS0_19identity_decomposerENS1_16block_id_wrapperIjLb1EEEEE10hipError_tT1_PNSt15iterator_traitsISG_E10value_typeET2_T3_PNSH_ISM_E10value_typeET4_T5_PSR_SS_PNS1_23onesweep_lookback_stateEbbT6_jjT7_P12ihipStream_tbENKUlT_T0_SG_SL_E_clIS7_S7_PlSB_EEDaSZ_S10_SG_SL_EUlSZ_E_NS1_11comp_targetILNS1_3genE9ELNS1_11target_archE1100ELNS1_3gpuE3ELNS1_3repE0EEENS1_47radix_sort_onesweep_sort_config_static_selectorELNS0_4arch9wavefront6targetE1EEEvSG_,"axG",@progbits,_ZN7rocprim17ROCPRIM_400000_NS6detail17trampoline_kernelINS0_14default_configENS1_35radix_sort_onesweep_config_selectorIilEEZZNS1_29radix_sort_onesweep_iterationIS3_Lb0EPiS7_N6thrust23THRUST_200600_302600_NS10device_ptrIlEESB_jNS0_19identity_decomposerENS1_16block_id_wrapperIjLb1EEEEE10hipError_tT1_PNSt15iterator_traitsISG_E10value_typeET2_T3_PNSH_ISM_E10value_typeET4_T5_PSR_SS_PNS1_23onesweep_lookback_stateEbbT6_jjT7_P12ihipStream_tbENKUlT_T0_SG_SL_E_clIS7_S7_PlSB_EEDaSZ_S10_SG_SL_EUlSZ_E_NS1_11comp_targetILNS1_3genE9ELNS1_11target_archE1100ELNS1_3gpuE3ELNS1_3repE0EEENS1_47radix_sort_onesweep_sort_config_static_selectorELNS0_4arch9wavefront6targetE1EEEvSG_,comdat
	.protected	_ZN7rocprim17ROCPRIM_400000_NS6detail17trampoline_kernelINS0_14default_configENS1_35radix_sort_onesweep_config_selectorIilEEZZNS1_29radix_sort_onesweep_iterationIS3_Lb0EPiS7_N6thrust23THRUST_200600_302600_NS10device_ptrIlEESB_jNS0_19identity_decomposerENS1_16block_id_wrapperIjLb1EEEEE10hipError_tT1_PNSt15iterator_traitsISG_E10value_typeET2_T3_PNSH_ISM_E10value_typeET4_T5_PSR_SS_PNS1_23onesweep_lookback_stateEbbT6_jjT7_P12ihipStream_tbENKUlT_T0_SG_SL_E_clIS7_S7_PlSB_EEDaSZ_S10_SG_SL_EUlSZ_E_NS1_11comp_targetILNS1_3genE9ELNS1_11target_archE1100ELNS1_3gpuE3ELNS1_3repE0EEENS1_47radix_sort_onesweep_sort_config_static_selectorELNS0_4arch9wavefront6targetE1EEEvSG_ ; -- Begin function _ZN7rocprim17ROCPRIM_400000_NS6detail17trampoline_kernelINS0_14default_configENS1_35radix_sort_onesweep_config_selectorIilEEZZNS1_29radix_sort_onesweep_iterationIS3_Lb0EPiS7_N6thrust23THRUST_200600_302600_NS10device_ptrIlEESB_jNS0_19identity_decomposerENS1_16block_id_wrapperIjLb1EEEEE10hipError_tT1_PNSt15iterator_traitsISG_E10value_typeET2_T3_PNSH_ISM_E10value_typeET4_T5_PSR_SS_PNS1_23onesweep_lookback_stateEbbT6_jjT7_P12ihipStream_tbENKUlT_T0_SG_SL_E_clIS7_S7_PlSB_EEDaSZ_S10_SG_SL_EUlSZ_E_NS1_11comp_targetILNS1_3genE9ELNS1_11target_archE1100ELNS1_3gpuE3ELNS1_3repE0EEENS1_47radix_sort_onesweep_sort_config_static_selectorELNS0_4arch9wavefront6targetE1EEEvSG_
	.globl	_ZN7rocprim17ROCPRIM_400000_NS6detail17trampoline_kernelINS0_14default_configENS1_35radix_sort_onesweep_config_selectorIilEEZZNS1_29radix_sort_onesweep_iterationIS3_Lb0EPiS7_N6thrust23THRUST_200600_302600_NS10device_ptrIlEESB_jNS0_19identity_decomposerENS1_16block_id_wrapperIjLb1EEEEE10hipError_tT1_PNSt15iterator_traitsISG_E10value_typeET2_T3_PNSH_ISM_E10value_typeET4_T5_PSR_SS_PNS1_23onesweep_lookback_stateEbbT6_jjT7_P12ihipStream_tbENKUlT_T0_SG_SL_E_clIS7_S7_PlSB_EEDaSZ_S10_SG_SL_EUlSZ_E_NS1_11comp_targetILNS1_3genE9ELNS1_11target_archE1100ELNS1_3gpuE3ELNS1_3repE0EEENS1_47radix_sort_onesweep_sort_config_static_selectorELNS0_4arch9wavefront6targetE1EEEvSG_
	.p2align	8
	.type	_ZN7rocprim17ROCPRIM_400000_NS6detail17trampoline_kernelINS0_14default_configENS1_35radix_sort_onesweep_config_selectorIilEEZZNS1_29radix_sort_onesweep_iterationIS3_Lb0EPiS7_N6thrust23THRUST_200600_302600_NS10device_ptrIlEESB_jNS0_19identity_decomposerENS1_16block_id_wrapperIjLb1EEEEE10hipError_tT1_PNSt15iterator_traitsISG_E10value_typeET2_T3_PNSH_ISM_E10value_typeET4_T5_PSR_SS_PNS1_23onesweep_lookback_stateEbbT6_jjT7_P12ihipStream_tbENKUlT_T0_SG_SL_E_clIS7_S7_PlSB_EEDaSZ_S10_SG_SL_EUlSZ_E_NS1_11comp_targetILNS1_3genE9ELNS1_11target_archE1100ELNS1_3gpuE3ELNS1_3repE0EEENS1_47radix_sort_onesweep_sort_config_static_selectorELNS0_4arch9wavefront6targetE1EEEvSG_,@function
_ZN7rocprim17ROCPRIM_400000_NS6detail17trampoline_kernelINS0_14default_configENS1_35radix_sort_onesweep_config_selectorIilEEZZNS1_29radix_sort_onesweep_iterationIS3_Lb0EPiS7_N6thrust23THRUST_200600_302600_NS10device_ptrIlEESB_jNS0_19identity_decomposerENS1_16block_id_wrapperIjLb1EEEEE10hipError_tT1_PNSt15iterator_traitsISG_E10value_typeET2_T3_PNSH_ISM_E10value_typeET4_T5_PSR_SS_PNS1_23onesweep_lookback_stateEbbT6_jjT7_P12ihipStream_tbENKUlT_T0_SG_SL_E_clIS7_S7_PlSB_EEDaSZ_S10_SG_SL_EUlSZ_E_NS1_11comp_targetILNS1_3genE9ELNS1_11target_archE1100ELNS1_3gpuE3ELNS1_3repE0EEENS1_47radix_sort_onesweep_sort_config_static_selectorELNS0_4arch9wavefront6targetE1EEEvSG_: ; @_ZN7rocprim17ROCPRIM_400000_NS6detail17trampoline_kernelINS0_14default_configENS1_35radix_sort_onesweep_config_selectorIilEEZZNS1_29radix_sort_onesweep_iterationIS3_Lb0EPiS7_N6thrust23THRUST_200600_302600_NS10device_ptrIlEESB_jNS0_19identity_decomposerENS1_16block_id_wrapperIjLb1EEEEE10hipError_tT1_PNSt15iterator_traitsISG_E10value_typeET2_T3_PNSH_ISM_E10value_typeET4_T5_PSR_SS_PNS1_23onesweep_lookback_stateEbbT6_jjT7_P12ihipStream_tbENKUlT_T0_SG_SL_E_clIS7_S7_PlSB_EEDaSZ_S10_SG_SL_EUlSZ_E_NS1_11comp_targetILNS1_3genE9ELNS1_11target_archE1100ELNS1_3gpuE3ELNS1_3repE0EEENS1_47radix_sort_onesweep_sort_config_static_selectorELNS0_4arch9wavefront6targetE1EEEvSG_
; %bb.0:
	.section	.rodata,"a",@progbits
	.p2align	6, 0x0
	.amdhsa_kernel _ZN7rocprim17ROCPRIM_400000_NS6detail17trampoline_kernelINS0_14default_configENS1_35radix_sort_onesweep_config_selectorIilEEZZNS1_29radix_sort_onesweep_iterationIS3_Lb0EPiS7_N6thrust23THRUST_200600_302600_NS10device_ptrIlEESB_jNS0_19identity_decomposerENS1_16block_id_wrapperIjLb1EEEEE10hipError_tT1_PNSt15iterator_traitsISG_E10value_typeET2_T3_PNSH_ISM_E10value_typeET4_T5_PSR_SS_PNS1_23onesweep_lookback_stateEbbT6_jjT7_P12ihipStream_tbENKUlT_T0_SG_SL_E_clIS7_S7_PlSB_EEDaSZ_S10_SG_SL_EUlSZ_E_NS1_11comp_targetILNS1_3genE9ELNS1_11target_archE1100ELNS1_3gpuE3ELNS1_3repE0EEENS1_47radix_sort_onesweep_sort_config_static_selectorELNS0_4arch9wavefront6targetE1EEEvSG_
		.amdhsa_group_segment_fixed_size 0
		.amdhsa_private_segment_fixed_size 0
		.amdhsa_kernarg_size 88
		.amdhsa_user_sgpr_count 6
		.amdhsa_user_sgpr_private_segment_buffer 1
		.amdhsa_user_sgpr_dispatch_ptr 0
		.amdhsa_user_sgpr_queue_ptr 0
		.amdhsa_user_sgpr_kernarg_segment_ptr 1
		.amdhsa_user_sgpr_dispatch_id 0
		.amdhsa_user_sgpr_flat_scratch_init 0
		.amdhsa_user_sgpr_private_segment_size 0
		.amdhsa_uses_dynamic_stack 0
		.amdhsa_system_sgpr_private_segment_wavefront_offset 0
		.amdhsa_system_sgpr_workgroup_id_x 1
		.amdhsa_system_sgpr_workgroup_id_y 0
		.amdhsa_system_sgpr_workgroup_id_z 0
		.amdhsa_system_sgpr_workgroup_info 0
		.amdhsa_system_vgpr_workitem_id 0
		.amdhsa_next_free_vgpr 1
		.amdhsa_next_free_sgpr 0
		.amdhsa_reserve_vcc 0
		.amdhsa_reserve_flat_scratch 0
		.amdhsa_float_round_mode_32 0
		.amdhsa_float_round_mode_16_64 0
		.amdhsa_float_denorm_mode_32 3
		.amdhsa_float_denorm_mode_16_64 3
		.amdhsa_dx10_clamp 1
		.amdhsa_ieee_mode 1
		.amdhsa_fp16_overflow 0
		.amdhsa_exception_fp_ieee_invalid_op 0
		.amdhsa_exception_fp_denorm_src 0
		.amdhsa_exception_fp_ieee_div_zero 0
		.amdhsa_exception_fp_ieee_overflow 0
		.amdhsa_exception_fp_ieee_underflow 0
		.amdhsa_exception_fp_ieee_inexact 0
		.amdhsa_exception_int_div_zero 0
	.end_amdhsa_kernel
	.section	.text._ZN7rocprim17ROCPRIM_400000_NS6detail17trampoline_kernelINS0_14default_configENS1_35radix_sort_onesweep_config_selectorIilEEZZNS1_29radix_sort_onesweep_iterationIS3_Lb0EPiS7_N6thrust23THRUST_200600_302600_NS10device_ptrIlEESB_jNS0_19identity_decomposerENS1_16block_id_wrapperIjLb1EEEEE10hipError_tT1_PNSt15iterator_traitsISG_E10value_typeET2_T3_PNSH_ISM_E10value_typeET4_T5_PSR_SS_PNS1_23onesweep_lookback_stateEbbT6_jjT7_P12ihipStream_tbENKUlT_T0_SG_SL_E_clIS7_S7_PlSB_EEDaSZ_S10_SG_SL_EUlSZ_E_NS1_11comp_targetILNS1_3genE9ELNS1_11target_archE1100ELNS1_3gpuE3ELNS1_3repE0EEENS1_47radix_sort_onesweep_sort_config_static_selectorELNS0_4arch9wavefront6targetE1EEEvSG_,"axG",@progbits,_ZN7rocprim17ROCPRIM_400000_NS6detail17trampoline_kernelINS0_14default_configENS1_35radix_sort_onesweep_config_selectorIilEEZZNS1_29radix_sort_onesweep_iterationIS3_Lb0EPiS7_N6thrust23THRUST_200600_302600_NS10device_ptrIlEESB_jNS0_19identity_decomposerENS1_16block_id_wrapperIjLb1EEEEE10hipError_tT1_PNSt15iterator_traitsISG_E10value_typeET2_T3_PNSH_ISM_E10value_typeET4_T5_PSR_SS_PNS1_23onesweep_lookback_stateEbbT6_jjT7_P12ihipStream_tbENKUlT_T0_SG_SL_E_clIS7_S7_PlSB_EEDaSZ_S10_SG_SL_EUlSZ_E_NS1_11comp_targetILNS1_3genE9ELNS1_11target_archE1100ELNS1_3gpuE3ELNS1_3repE0EEENS1_47radix_sort_onesweep_sort_config_static_selectorELNS0_4arch9wavefront6targetE1EEEvSG_,comdat
.Lfunc_end891:
	.size	_ZN7rocprim17ROCPRIM_400000_NS6detail17trampoline_kernelINS0_14default_configENS1_35radix_sort_onesweep_config_selectorIilEEZZNS1_29radix_sort_onesweep_iterationIS3_Lb0EPiS7_N6thrust23THRUST_200600_302600_NS10device_ptrIlEESB_jNS0_19identity_decomposerENS1_16block_id_wrapperIjLb1EEEEE10hipError_tT1_PNSt15iterator_traitsISG_E10value_typeET2_T3_PNSH_ISM_E10value_typeET4_T5_PSR_SS_PNS1_23onesweep_lookback_stateEbbT6_jjT7_P12ihipStream_tbENKUlT_T0_SG_SL_E_clIS7_S7_PlSB_EEDaSZ_S10_SG_SL_EUlSZ_E_NS1_11comp_targetILNS1_3genE9ELNS1_11target_archE1100ELNS1_3gpuE3ELNS1_3repE0EEENS1_47radix_sort_onesweep_sort_config_static_selectorELNS0_4arch9wavefront6targetE1EEEvSG_, .Lfunc_end891-_ZN7rocprim17ROCPRIM_400000_NS6detail17trampoline_kernelINS0_14default_configENS1_35radix_sort_onesweep_config_selectorIilEEZZNS1_29radix_sort_onesweep_iterationIS3_Lb0EPiS7_N6thrust23THRUST_200600_302600_NS10device_ptrIlEESB_jNS0_19identity_decomposerENS1_16block_id_wrapperIjLb1EEEEE10hipError_tT1_PNSt15iterator_traitsISG_E10value_typeET2_T3_PNSH_ISM_E10value_typeET4_T5_PSR_SS_PNS1_23onesweep_lookback_stateEbbT6_jjT7_P12ihipStream_tbENKUlT_T0_SG_SL_E_clIS7_S7_PlSB_EEDaSZ_S10_SG_SL_EUlSZ_E_NS1_11comp_targetILNS1_3genE9ELNS1_11target_archE1100ELNS1_3gpuE3ELNS1_3repE0EEENS1_47radix_sort_onesweep_sort_config_static_selectorELNS0_4arch9wavefront6targetE1EEEvSG_
                                        ; -- End function
	.set _ZN7rocprim17ROCPRIM_400000_NS6detail17trampoline_kernelINS0_14default_configENS1_35radix_sort_onesweep_config_selectorIilEEZZNS1_29radix_sort_onesweep_iterationIS3_Lb0EPiS7_N6thrust23THRUST_200600_302600_NS10device_ptrIlEESB_jNS0_19identity_decomposerENS1_16block_id_wrapperIjLb1EEEEE10hipError_tT1_PNSt15iterator_traitsISG_E10value_typeET2_T3_PNSH_ISM_E10value_typeET4_T5_PSR_SS_PNS1_23onesweep_lookback_stateEbbT6_jjT7_P12ihipStream_tbENKUlT_T0_SG_SL_E_clIS7_S7_PlSB_EEDaSZ_S10_SG_SL_EUlSZ_E_NS1_11comp_targetILNS1_3genE9ELNS1_11target_archE1100ELNS1_3gpuE3ELNS1_3repE0EEENS1_47radix_sort_onesweep_sort_config_static_selectorELNS0_4arch9wavefront6targetE1EEEvSG_.num_vgpr, 0
	.set _ZN7rocprim17ROCPRIM_400000_NS6detail17trampoline_kernelINS0_14default_configENS1_35radix_sort_onesweep_config_selectorIilEEZZNS1_29radix_sort_onesweep_iterationIS3_Lb0EPiS7_N6thrust23THRUST_200600_302600_NS10device_ptrIlEESB_jNS0_19identity_decomposerENS1_16block_id_wrapperIjLb1EEEEE10hipError_tT1_PNSt15iterator_traitsISG_E10value_typeET2_T3_PNSH_ISM_E10value_typeET4_T5_PSR_SS_PNS1_23onesweep_lookback_stateEbbT6_jjT7_P12ihipStream_tbENKUlT_T0_SG_SL_E_clIS7_S7_PlSB_EEDaSZ_S10_SG_SL_EUlSZ_E_NS1_11comp_targetILNS1_3genE9ELNS1_11target_archE1100ELNS1_3gpuE3ELNS1_3repE0EEENS1_47radix_sort_onesweep_sort_config_static_selectorELNS0_4arch9wavefront6targetE1EEEvSG_.num_agpr, 0
	.set _ZN7rocprim17ROCPRIM_400000_NS6detail17trampoline_kernelINS0_14default_configENS1_35radix_sort_onesweep_config_selectorIilEEZZNS1_29radix_sort_onesweep_iterationIS3_Lb0EPiS7_N6thrust23THRUST_200600_302600_NS10device_ptrIlEESB_jNS0_19identity_decomposerENS1_16block_id_wrapperIjLb1EEEEE10hipError_tT1_PNSt15iterator_traitsISG_E10value_typeET2_T3_PNSH_ISM_E10value_typeET4_T5_PSR_SS_PNS1_23onesweep_lookback_stateEbbT6_jjT7_P12ihipStream_tbENKUlT_T0_SG_SL_E_clIS7_S7_PlSB_EEDaSZ_S10_SG_SL_EUlSZ_E_NS1_11comp_targetILNS1_3genE9ELNS1_11target_archE1100ELNS1_3gpuE3ELNS1_3repE0EEENS1_47radix_sort_onesweep_sort_config_static_selectorELNS0_4arch9wavefront6targetE1EEEvSG_.numbered_sgpr, 0
	.set _ZN7rocprim17ROCPRIM_400000_NS6detail17trampoline_kernelINS0_14default_configENS1_35radix_sort_onesweep_config_selectorIilEEZZNS1_29radix_sort_onesweep_iterationIS3_Lb0EPiS7_N6thrust23THRUST_200600_302600_NS10device_ptrIlEESB_jNS0_19identity_decomposerENS1_16block_id_wrapperIjLb1EEEEE10hipError_tT1_PNSt15iterator_traitsISG_E10value_typeET2_T3_PNSH_ISM_E10value_typeET4_T5_PSR_SS_PNS1_23onesweep_lookback_stateEbbT6_jjT7_P12ihipStream_tbENKUlT_T0_SG_SL_E_clIS7_S7_PlSB_EEDaSZ_S10_SG_SL_EUlSZ_E_NS1_11comp_targetILNS1_3genE9ELNS1_11target_archE1100ELNS1_3gpuE3ELNS1_3repE0EEENS1_47radix_sort_onesweep_sort_config_static_selectorELNS0_4arch9wavefront6targetE1EEEvSG_.num_named_barrier, 0
	.set _ZN7rocprim17ROCPRIM_400000_NS6detail17trampoline_kernelINS0_14default_configENS1_35radix_sort_onesweep_config_selectorIilEEZZNS1_29radix_sort_onesweep_iterationIS3_Lb0EPiS7_N6thrust23THRUST_200600_302600_NS10device_ptrIlEESB_jNS0_19identity_decomposerENS1_16block_id_wrapperIjLb1EEEEE10hipError_tT1_PNSt15iterator_traitsISG_E10value_typeET2_T3_PNSH_ISM_E10value_typeET4_T5_PSR_SS_PNS1_23onesweep_lookback_stateEbbT6_jjT7_P12ihipStream_tbENKUlT_T0_SG_SL_E_clIS7_S7_PlSB_EEDaSZ_S10_SG_SL_EUlSZ_E_NS1_11comp_targetILNS1_3genE9ELNS1_11target_archE1100ELNS1_3gpuE3ELNS1_3repE0EEENS1_47radix_sort_onesweep_sort_config_static_selectorELNS0_4arch9wavefront6targetE1EEEvSG_.private_seg_size, 0
	.set _ZN7rocprim17ROCPRIM_400000_NS6detail17trampoline_kernelINS0_14default_configENS1_35radix_sort_onesweep_config_selectorIilEEZZNS1_29radix_sort_onesweep_iterationIS3_Lb0EPiS7_N6thrust23THRUST_200600_302600_NS10device_ptrIlEESB_jNS0_19identity_decomposerENS1_16block_id_wrapperIjLb1EEEEE10hipError_tT1_PNSt15iterator_traitsISG_E10value_typeET2_T3_PNSH_ISM_E10value_typeET4_T5_PSR_SS_PNS1_23onesweep_lookback_stateEbbT6_jjT7_P12ihipStream_tbENKUlT_T0_SG_SL_E_clIS7_S7_PlSB_EEDaSZ_S10_SG_SL_EUlSZ_E_NS1_11comp_targetILNS1_3genE9ELNS1_11target_archE1100ELNS1_3gpuE3ELNS1_3repE0EEENS1_47radix_sort_onesweep_sort_config_static_selectorELNS0_4arch9wavefront6targetE1EEEvSG_.uses_vcc, 0
	.set _ZN7rocprim17ROCPRIM_400000_NS6detail17trampoline_kernelINS0_14default_configENS1_35radix_sort_onesweep_config_selectorIilEEZZNS1_29radix_sort_onesweep_iterationIS3_Lb0EPiS7_N6thrust23THRUST_200600_302600_NS10device_ptrIlEESB_jNS0_19identity_decomposerENS1_16block_id_wrapperIjLb1EEEEE10hipError_tT1_PNSt15iterator_traitsISG_E10value_typeET2_T3_PNSH_ISM_E10value_typeET4_T5_PSR_SS_PNS1_23onesweep_lookback_stateEbbT6_jjT7_P12ihipStream_tbENKUlT_T0_SG_SL_E_clIS7_S7_PlSB_EEDaSZ_S10_SG_SL_EUlSZ_E_NS1_11comp_targetILNS1_3genE9ELNS1_11target_archE1100ELNS1_3gpuE3ELNS1_3repE0EEENS1_47radix_sort_onesweep_sort_config_static_selectorELNS0_4arch9wavefront6targetE1EEEvSG_.uses_flat_scratch, 0
	.set _ZN7rocprim17ROCPRIM_400000_NS6detail17trampoline_kernelINS0_14default_configENS1_35radix_sort_onesweep_config_selectorIilEEZZNS1_29radix_sort_onesweep_iterationIS3_Lb0EPiS7_N6thrust23THRUST_200600_302600_NS10device_ptrIlEESB_jNS0_19identity_decomposerENS1_16block_id_wrapperIjLb1EEEEE10hipError_tT1_PNSt15iterator_traitsISG_E10value_typeET2_T3_PNSH_ISM_E10value_typeET4_T5_PSR_SS_PNS1_23onesweep_lookback_stateEbbT6_jjT7_P12ihipStream_tbENKUlT_T0_SG_SL_E_clIS7_S7_PlSB_EEDaSZ_S10_SG_SL_EUlSZ_E_NS1_11comp_targetILNS1_3genE9ELNS1_11target_archE1100ELNS1_3gpuE3ELNS1_3repE0EEENS1_47radix_sort_onesweep_sort_config_static_selectorELNS0_4arch9wavefront6targetE1EEEvSG_.has_dyn_sized_stack, 0
	.set _ZN7rocprim17ROCPRIM_400000_NS6detail17trampoline_kernelINS0_14default_configENS1_35radix_sort_onesweep_config_selectorIilEEZZNS1_29radix_sort_onesweep_iterationIS3_Lb0EPiS7_N6thrust23THRUST_200600_302600_NS10device_ptrIlEESB_jNS0_19identity_decomposerENS1_16block_id_wrapperIjLb1EEEEE10hipError_tT1_PNSt15iterator_traitsISG_E10value_typeET2_T3_PNSH_ISM_E10value_typeET4_T5_PSR_SS_PNS1_23onesweep_lookback_stateEbbT6_jjT7_P12ihipStream_tbENKUlT_T0_SG_SL_E_clIS7_S7_PlSB_EEDaSZ_S10_SG_SL_EUlSZ_E_NS1_11comp_targetILNS1_3genE9ELNS1_11target_archE1100ELNS1_3gpuE3ELNS1_3repE0EEENS1_47radix_sort_onesweep_sort_config_static_selectorELNS0_4arch9wavefront6targetE1EEEvSG_.has_recursion, 0
	.set _ZN7rocprim17ROCPRIM_400000_NS6detail17trampoline_kernelINS0_14default_configENS1_35radix_sort_onesweep_config_selectorIilEEZZNS1_29radix_sort_onesweep_iterationIS3_Lb0EPiS7_N6thrust23THRUST_200600_302600_NS10device_ptrIlEESB_jNS0_19identity_decomposerENS1_16block_id_wrapperIjLb1EEEEE10hipError_tT1_PNSt15iterator_traitsISG_E10value_typeET2_T3_PNSH_ISM_E10value_typeET4_T5_PSR_SS_PNS1_23onesweep_lookback_stateEbbT6_jjT7_P12ihipStream_tbENKUlT_T0_SG_SL_E_clIS7_S7_PlSB_EEDaSZ_S10_SG_SL_EUlSZ_E_NS1_11comp_targetILNS1_3genE9ELNS1_11target_archE1100ELNS1_3gpuE3ELNS1_3repE0EEENS1_47radix_sort_onesweep_sort_config_static_selectorELNS0_4arch9wavefront6targetE1EEEvSG_.has_indirect_call, 0
	.section	.AMDGPU.csdata,"",@progbits
; Kernel info:
; codeLenInByte = 0
; TotalNumSgprs: 4
; NumVgprs: 0
; ScratchSize: 0
; MemoryBound: 0
; FloatMode: 240
; IeeeMode: 1
; LDSByteSize: 0 bytes/workgroup (compile time only)
; SGPRBlocks: 0
; VGPRBlocks: 0
; NumSGPRsForWavesPerEU: 4
; NumVGPRsForWavesPerEU: 1
; Occupancy: 10
; WaveLimiterHint : 0
; COMPUTE_PGM_RSRC2:SCRATCH_EN: 0
; COMPUTE_PGM_RSRC2:USER_SGPR: 6
; COMPUTE_PGM_RSRC2:TRAP_HANDLER: 0
; COMPUTE_PGM_RSRC2:TGID_X_EN: 1
; COMPUTE_PGM_RSRC2:TGID_Y_EN: 0
; COMPUTE_PGM_RSRC2:TGID_Z_EN: 0
; COMPUTE_PGM_RSRC2:TIDIG_COMP_CNT: 0
	.section	.text._ZN7rocprim17ROCPRIM_400000_NS6detail17trampoline_kernelINS0_14default_configENS1_35radix_sort_onesweep_config_selectorIilEEZZNS1_29radix_sort_onesweep_iterationIS3_Lb0EPiS7_N6thrust23THRUST_200600_302600_NS10device_ptrIlEESB_jNS0_19identity_decomposerENS1_16block_id_wrapperIjLb1EEEEE10hipError_tT1_PNSt15iterator_traitsISG_E10value_typeET2_T3_PNSH_ISM_E10value_typeET4_T5_PSR_SS_PNS1_23onesweep_lookback_stateEbbT6_jjT7_P12ihipStream_tbENKUlT_T0_SG_SL_E_clIS7_S7_PlSB_EEDaSZ_S10_SG_SL_EUlSZ_E_NS1_11comp_targetILNS1_3genE8ELNS1_11target_archE1030ELNS1_3gpuE2ELNS1_3repE0EEENS1_47radix_sort_onesweep_sort_config_static_selectorELNS0_4arch9wavefront6targetE1EEEvSG_,"axG",@progbits,_ZN7rocprim17ROCPRIM_400000_NS6detail17trampoline_kernelINS0_14default_configENS1_35radix_sort_onesweep_config_selectorIilEEZZNS1_29radix_sort_onesweep_iterationIS3_Lb0EPiS7_N6thrust23THRUST_200600_302600_NS10device_ptrIlEESB_jNS0_19identity_decomposerENS1_16block_id_wrapperIjLb1EEEEE10hipError_tT1_PNSt15iterator_traitsISG_E10value_typeET2_T3_PNSH_ISM_E10value_typeET4_T5_PSR_SS_PNS1_23onesweep_lookback_stateEbbT6_jjT7_P12ihipStream_tbENKUlT_T0_SG_SL_E_clIS7_S7_PlSB_EEDaSZ_S10_SG_SL_EUlSZ_E_NS1_11comp_targetILNS1_3genE8ELNS1_11target_archE1030ELNS1_3gpuE2ELNS1_3repE0EEENS1_47radix_sort_onesweep_sort_config_static_selectorELNS0_4arch9wavefront6targetE1EEEvSG_,comdat
	.protected	_ZN7rocprim17ROCPRIM_400000_NS6detail17trampoline_kernelINS0_14default_configENS1_35radix_sort_onesweep_config_selectorIilEEZZNS1_29radix_sort_onesweep_iterationIS3_Lb0EPiS7_N6thrust23THRUST_200600_302600_NS10device_ptrIlEESB_jNS0_19identity_decomposerENS1_16block_id_wrapperIjLb1EEEEE10hipError_tT1_PNSt15iterator_traitsISG_E10value_typeET2_T3_PNSH_ISM_E10value_typeET4_T5_PSR_SS_PNS1_23onesweep_lookback_stateEbbT6_jjT7_P12ihipStream_tbENKUlT_T0_SG_SL_E_clIS7_S7_PlSB_EEDaSZ_S10_SG_SL_EUlSZ_E_NS1_11comp_targetILNS1_3genE8ELNS1_11target_archE1030ELNS1_3gpuE2ELNS1_3repE0EEENS1_47radix_sort_onesweep_sort_config_static_selectorELNS0_4arch9wavefront6targetE1EEEvSG_ ; -- Begin function _ZN7rocprim17ROCPRIM_400000_NS6detail17trampoline_kernelINS0_14default_configENS1_35radix_sort_onesweep_config_selectorIilEEZZNS1_29radix_sort_onesweep_iterationIS3_Lb0EPiS7_N6thrust23THRUST_200600_302600_NS10device_ptrIlEESB_jNS0_19identity_decomposerENS1_16block_id_wrapperIjLb1EEEEE10hipError_tT1_PNSt15iterator_traitsISG_E10value_typeET2_T3_PNSH_ISM_E10value_typeET4_T5_PSR_SS_PNS1_23onesweep_lookback_stateEbbT6_jjT7_P12ihipStream_tbENKUlT_T0_SG_SL_E_clIS7_S7_PlSB_EEDaSZ_S10_SG_SL_EUlSZ_E_NS1_11comp_targetILNS1_3genE8ELNS1_11target_archE1030ELNS1_3gpuE2ELNS1_3repE0EEENS1_47radix_sort_onesweep_sort_config_static_selectorELNS0_4arch9wavefront6targetE1EEEvSG_
	.globl	_ZN7rocprim17ROCPRIM_400000_NS6detail17trampoline_kernelINS0_14default_configENS1_35radix_sort_onesweep_config_selectorIilEEZZNS1_29radix_sort_onesweep_iterationIS3_Lb0EPiS7_N6thrust23THRUST_200600_302600_NS10device_ptrIlEESB_jNS0_19identity_decomposerENS1_16block_id_wrapperIjLb1EEEEE10hipError_tT1_PNSt15iterator_traitsISG_E10value_typeET2_T3_PNSH_ISM_E10value_typeET4_T5_PSR_SS_PNS1_23onesweep_lookback_stateEbbT6_jjT7_P12ihipStream_tbENKUlT_T0_SG_SL_E_clIS7_S7_PlSB_EEDaSZ_S10_SG_SL_EUlSZ_E_NS1_11comp_targetILNS1_3genE8ELNS1_11target_archE1030ELNS1_3gpuE2ELNS1_3repE0EEENS1_47radix_sort_onesweep_sort_config_static_selectorELNS0_4arch9wavefront6targetE1EEEvSG_
	.p2align	8
	.type	_ZN7rocprim17ROCPRIM_400000_NS6detail17trampoline_kernelINS0_14default_configENS1_35radix_sort_onesweep_config_selectorIilEEZZNS1_29radix_sort_onesweep_iterationIS3_Lb0EPiS7_N6thrust23THRUST_200600_302600_NS10device_ptrIlEESB_jNS0_19identity_decomposerENS1_16block_id_wrapperIjLb1EEEEE10hipError_tT1_PNSt15iterator_traitsISG_E10value_typeET2_T3_PNSH_ISM_E10value_typeET4_T5_PSR_SS_PNS1_23onesweep_lookback_stateEbbT6_jjT7_P12ihipStream_tbENKUlT_T0_SG_SL_E_clIS7_S7_PlSB_EEDaSZ_S10_SG_SL_EUlSZ_E_NS1_11comp_targetILNS1_3genE8ELNS1_11target_archE1030ELNS1_3gpuE2ELNS1_3repE0EEENS1_47radix_sort_onesweep_sort_config_static_selectorELNS0_4arch9wavefront6targetE1EEEvSG_,@function
_ZN7rocprim17ROCPRIM_400000_NS6detail17trampoline_kernelINS0_14default_configENS1_35radix_sort_onesweep_config_selectorIilEEZZNS1_29radix_sort_onesweep_iterationIS3_Lb0EPiS7_N6thrust23THRUST_200600_302600_NS10device_ptrIlEESB_jNS0_19identity_decomposerENS1_16block_id_wrapperIjLb1EEEEE10hipError_tT1_PNSt15iterator_traitsISG_E10value_typeET2_T3_PNSH_ISM_E10value_typeET4_T5_PSR_SS_PNS1_23onesweep_lookback_stateEbbT6_jjT7_P12ihipStream_tbENKUlT_T0_SG_SL_E_clIS7_S7_PlSB_EEDaSZ_S10_SG_SL_EUlSZ_E_NS1_11comp_targetILNS1_3genE8ELNS1_11target_archE1030ELNS1_3gpuE2ELNS1_3repE0EEENS1_47radix_sort_onesweep_sort_config_static_selectorELNS0_4arch9wavefront6targetE1EEEvSG_: ; @_ZN7rocprim17ROCPRIM_400000_NS6detail17trampoline_kernelINS0_14default_configENS1_35radix_sort_onesweep_config_selectorIilEEZZNS1_29radix_sort_onesweep_iterationIS3_Lb0EPiS7_N6thrust23THRUST_200600_302600_NS10device_ptrIlEESB_jNS0_19identity_decomposerENS1_16block_id_wrapperIjLb1EEEEE10hipError_tT1_PNSt15iterator_traitsISG_E10value_typeET2_T3_PNSH_ISM_E10value_typeET4_T5_PSR_SS_PNS1_23onesweep_lookback_stateEbbT6_jjT7_P12ihipStream_tbENKUlT_T0_SG_SL_E_clIS7_S7_PlSB_EEDaSZ_S10_SG_SL_EUlSZ_E_NS1_11comp_targetILNS1_3genE8ELNS1_11target_archE1030ELNS1_3gpuE2ELNS1_3repE0EEENS1_47radix_sort_onesweep_sort_config_static_selectorELNS0_4arch9wavefront6targetE1EEEvSG_
; %bb.0:
	.section	.rodata,"a",@progbits
	.p2align	6, 0x0
	.amdhsa_kernel _ZN7rocprim17ROCPRIM_400000_NS6detail17trampoline_kernelINS0_14default_configENS1_35radix_sort_onesweep_config_selectorIilEEZZNS1_29radix_sort_onesweep_iterationIS3_Lb0EPiS7_N6thrust23THRUST_200600_302600_NS10device_ptrIlEESB_jNS0_19identity_decomposerENS1_16block_id_wrapperIjLb1EEEEE10hipError_tT1_PNSt15iterator_traitsISG_E10value_typeET2_T3_PNSH_ISM_E10value_typeET4_T5_PSR_SS_PNS1_23onesweep_lookback_stateEbbT6_jjT7_P12ihipStream_tbENKUlT_T0_SG_SL_E_clIS7_S7_PlSB_EEDaSZ_S10_SG_SL_EUlSZ_E_NS1_11comp_targetILNS1_3genE8ELNS1_11target_archE1030ELNS1_3gpuE2ELNS1_3repE0EEENS1_47radix_sort_onesweep_sort_config_static_selectorELNS0_4arch9wavefront6targetE1EEEvSG_
		.amdhsa_group_segment_fixed_size 0
		.amdhsa_private_segment_fixed_size 0
		.amdhsa_kernarg_size 88
		.amdhsa_user_sgpr_count 6
		.amdhsa_user_sgpr_private_segment_buffer 1
		.amdhsa_user_sgpr_dispatch_ptr 0
		.amdhsa_user_sgpr_queue_ptr 0
		.amdhsa_user_sgpr_kernarg_segment_ptr 1
		.amdhsa_user_sgpr_dispatch_id 0
		.amdhsa_user_sgpr_flat_scratch_init 0
		.amdhsa_user_sgpr_private_segment_size 0
		.amdhsa_uses_dynamic_stack 0
		.amdhsa_system_sgpr_private_segment_wavefront_offset 0
		.amdhsa_system_sgpr_workgroup_id_x 1
		.amdhsa_system_sgpr_workgroup_id_y 0
		.amdhsa_system_sgpr_workgroup_id_z 0
		.amdhsa_system_sgpr_workgroup_info 0
		.amdhsa_system_vgpr_workitem_id 0
		.amdhsa_next_free_vgpr 1
		.amdhsa_next_free_sgpr 0
		.amdhsa_reserve_vcc 0
		.amdhsa_reserve_flat_scratch 0
		.amdhsa_float_round_mode_32 0
		.amdhsa_float_round_mode_16_64 0
		.amdhsa_float_denorm_mode_32 3
		.amdhsa_float_denorm_mode_16_64 3
		.amdhsa_dx10_clamp 1
		.amdhsa_ieee_mode 1
		.amdhsa_fp16_overflow 0
		.amdhsa_exception_fp_ieee_invalid_op 0
		.amdhsa_exception_fp_denorm_src 0
		.amdhsa_exception_fp_ieee_div_zero 0
		.amdhsa_exception_fp_ieee_overflow 0
		.amdhsa_exception_fp_ieee_underflow 0
		.amdhsa_exception_fp_ieee_inexact 0
		.amdhsa_exception_int_div_zero 0
	.end_amdhsa_kernel
	.section	.text._ZN7rocprim17ROCPRIM_400000_NS6detail17trampoline_kernelINS0_14default_configENS1_35radix_sort_onesweep_config_selectorIilEEZZNS1_29radix_sort_onesweep_iterationIS3_Lb0EPiS7_N6thrust23THRUST_200600_302600_NS10device_ptrIlEESB_jNS0_19identity_decomposerENS1_16block_id_wrapperIjLb1EEEEE10hipError_tT1_PNSt15iterator_traitsISG_E10value_typeET2_T3_PNSH_ISM_E10value_typeET4_T5_PSR_SS_PNS1_23onesweep_lookback_stateEbbT6_jjT7_P12ihipStream_tbENKUlT_T0_SG_SL_E_clIS7_S7_PlSB_EEDaSZ_S10_SG_SL_EUlSZ_E_NS1_11comp_targetILNS1_3genE8ELNS1_11target_archE1030ELNS1_3gpuE2ELNS1_3repE0EEENS1_47radix_sort_onesweep_sort_config_static_selectorELNS0_4arch9wavefront6targetE1EEEvSG_,"axG",@progbits,_ZN7rocprim17ROCPRIM_400000_NS6detail17trampoline_kernelINS0_14default_configENS1_35radix_sort_onesweep_config_selectorIilEEZZNS1_29radix_sort_onesweep_iterationIS3_Lb0EPiS7_N6thrust23THRUST_200600_302600_NS10device_ptrIlEESB_jNS0_19identity_decomposerENS1_16block_id_wrapperIjLb1EEEEE10hipError_tT1_PNSt15iterator_traitsISG_E10value_typeET2_T3_PNSH_ISM_E10value_typeET4_T5_PSR_SS_PNS1_23onesweep_lookback_stateEbbT6_jjT7_P12ihipStream_tbENKUlT_T0_SG_SL_E_clIS7_S7_PlSB_EEDaSZ_S10_SG_SL_EUlSZ_E_NS1_11comp_targetILNS1_3genE8ELNS1_11target_archE1030ELNS1_3gpuE2ELNS1_3repE0EEENS1_47radix_sort_onesweep_sort_config_static_selectorELNS0_4arch9wavefront6targetE1EEEvSG_,comdat
.Lfunc_end892:
	.size	_ZN7rocprim17ROCPRIM_400000_NS6detail17trampoline_kernelINS0_14default_configENS1_35radix_sort_onesweep_config_selectorIilEEZZNS1_29radix_sort_onesweep_iterationIS3_Lb0EPiS7_N6thrust23THRUST_200600_302600_NS10device_ptrIlEESB_jNS0_19identity_decomposerENS1_16block_id_wrapperIjLb1EEEEE10hipError_tT1_PNSt15iterator_traitsISG_E10value_typeET2_T3_PNSH_ISM_E10value_typeET4_T5_PSR_SS_PNS1_23onesweep_lookback_stateEbbT6_jjT7_P12ihipStream_tbENKUlT_T0_SG_SL_E_clIS7_S7_PlSB_EEDaSZ_S10_SG_SL_EUlSZ_E_NS1_11comp_targetILNS1_3genE8ELNS1_11target_archE1030ELNS1_3gpuE2ELNS1_3repE0EEENS1_47radix_sort_onesweep_sort_config_static_selectorELNS0_4arch9wavefront6targetE1EEEvSG_, .Lfunc_end892-_ZN7rocprim17ROCPRIM_400000_NS6detail17trampoline_kernelINS0_14default_configENS1_35radix_sort_onesweep_config_selectorIilEEZZNS1_29radix_sort_onesweep_iterationIS3_Lb0EPiS7_N6thrust23THRUST_200600_302600_NS10device_ptrIlEESB_jNS0_19identity_decomposerENS1_16block_id_wrapperIjLb1EEEEE10hipError_tT1_PNSt15iterator_traitsISG_E10value_typeET2_T3_PNSH_ISM_E10value_typeET4_T5_PSR_SS_PNS1_23onesweep_lookback_stateEbbT6_jjT7_P12ihipStream_tbENKUlT_T0_SG_SL_E_clIS7_S7_PlSB_EEDaSZ_S10_SG_SL_EUlSZ_E_NS1_11comp_targetILNS1_3genE8ELNS1_11target_archE1030ELNS1_3gpuE2ELNS1_3repE0EEENS1_47radix_sort_onesweep_sort_config_static_selectorELNS0_4arch9wavefront6targetE1EEEvSG_
                                        ; -- End function
	.set _ZN7rocprim17ROCPRIM_400000_NS6detail17trampoline_kernelINS0_14default_configENS1_35radix_sort_onesweep_config_selectorIilEEZZNS1_29radix_sort_onesweep_iterationIS3_Lb0EPiS7_N6thrust23THRUST_200600_302600_NS10device_ptrIlEESB_jNS0_19identity_decomposerENS1_16block_id_wrapperIjLb1EEEEE10hipError_tT1_PNSt15iterator_traitsISG_E10value_typeET2_T3_PNSH_ISM_E10value_typeET4_T5_PSR_SS_PNS1_23onesweep_lookback_stateEbbT6_jjT7_P12ihipStream_tbENKUlT_T0_SG_SL_E_clIS7_S7_PlSB_EEDaSZ_S10_SG_SL_EUlSZ_E_NS1_11comp_targetILNS1_3genE8ELNS1_11target_archE1030ELNS1_3gpuE2ELNS1_3repE0EEENS1_47radix_sort_onesweep_sort_config_static_selectorELNS0_4arch9wavefront6targetE1EEEvSG_.num_vgpr, 0
	.set _ZN7rocprim17ROCPRIM_400000_NS6detail17trampoline_kernelINS0_14default_configENS1_35radix_sort_onesweep_config_selectorIilEEZZNS1_29radix_sort_onesweep_iterationIS3_Lb0EPiS7_N6thrust23THRUST_200600_302600_NS10device_ptrIlEESB_jNS0_19identity_decomposerENS1_16block_id_wrapperIjLb1EEEEE10hipError_tT1_PNSt15iterator_traitsISG_E10value_typeET2_T3_PNSH_ISM_E10value_typeET4_T5_PSR_SS_PNS1_23onesweep_lookback_stateEbbT6_jjT7_P12ihipStream_tbENKUlT_T0_SG_SL_E_clIS7_S7_PlSB_EEDaSZ_S10_SG_SL_EUlSZ_E_NS1_11comp_targetILNS1_3genE8ELNS1_11target_archE1030ELNS1_3gpuE2ELNS1_3repE0EEENS1_47radix_sort_onesweep_sort_config_static_selectorELNS0_4arch9wavefront6targetE1EEEvSG_.num_agpr, 0
	.set _ZN7rocprim17ROCPRIM_400000_NS6detail17trampoline_kernelINS0_14default_configENS1_35radix_sort_onesweep_config_selectorIilEEZZNS1_29radix_sort_onesweep_iterationIS3_Lb0EPiS7_N6thrust23THRUST_200600_302600_NS10device_ptrIlEESB_jNS0_19identity_decomposerENS1_16block_id_wrapperIjLb1EEEEE10hipError_tT1_PNSt15iterator_traitsISG_E10value_typeET2_T3_PNSH_ISM_E10value_typeET4_T5_PSR_SS_PNS1_23onesweep_lookback_stateEbbT6_jjT7_P12ihipStream_tbENKUlT_T0_SG_SL_E_clIS7_S7_PlSB_EEDaSZ_S10_SG_SL_EUlSZ_E_NS1_11comp_targetILNS1_3genE8ELNS1_11target_archE1030ELNS1_3gpuE2ELNS1_3repE0EEENS1_47radix_sort_onesweep_sort_config_static_selectorELNS0_4arch9wavefront6targetE1EEEvSG_.numbered_sgpr, 0
	.set _ZN7rocprim17ROCPRIM_400000_NS6detail17trampoline_kernelINS0_14default_configENS1_35radix_sort_onesweep_config_selectorIilEEZZNS1_29radix_sort_onesweep_iterationIS3_Lb0EPiS7_N6thrust23THRUST_200600_302600_NS10device_ptrIlEESB_jNS0_19identity_decomposerENS1_16block_id_wrapperIjLb1EEEEE10hipError_tT1_PNSt15iterator_traitsISG_E10value_typeET2_T3_PNSH_ISM_E10value_typeET4_T5_PSR_SS_PNS1_23onesweep_lookback_stateEbbT6_jjT7_P12ihipStream_tbENKUlT_T0_SG_SL_E_clIS7_S7_PlSB_EEDaSZ_S10_SG_SL_EUlSZ_E_NS1_11comp_targetILNS1_3genE8ELNS1_11target_archE1030ELNS1_3gpuE2ELNS1_3repE0EEENS1_47radix_sort_onesweep_sort_config_static_selectorELNS0_4arch9wavefront6targetE1EEEvSG_.num_named_barrier, 0
	.set _ZN7rocprim17ROCPRIM_400000_NS6detail17trampoline_kernelINS0_14default_configENS1_35radix_sort_onesweep_config_selectorIilEEZZNS1_29radix_sort_onesweep_iterationIS3_Lb0EPiS7_N6thrust23THRUST_200600_302600_NS10device_ptrIlEESB_jNS0_19identity_decomposerENS1_16block_id_wrapperIjLb1EEEEE10hipError_tT1_PNSt15iterator_traitsISG_E10value_typeET2_T3_PNSH_ISM_E10value_typeET4_T5_PSR_SS_PNS1_23onesweep_lookback_stateEbbT6_jjT7_P12ihipStream_tbENKUlT_T0_SG_SL_E_clIS7_S7_PlSB_EEDaSZ_S10_SG_SL_EUlSZ_E_NS1_11comp_targetILNS1_3genE8ELNS1_11target_archE1030ELNS1_3gpuE2ELNS1_3repE0EEENS1_47radix_sort_onesweep_sort_config_static_selectorELNS0_4arch9wavefront6targetE1EEEvSG_.private_seg_size, 0
	.set _ZN7rocprim17ROCPRIM_400000_NS6detail17trampoline_kernelINS0_14default_configENS1_35radix_sort_onesweep_config_selectorIilEEZZNS1_29radix_sort_onesweep_iterationIS3_Lb0EPiS7_N6thrust23THRUST_200600_302600_NS10device_ptrIlEESB_jNS0_19identity_decomposerENS1_16block_id_wrapperIjLb1EEEEE10hipError_tT1_PNSt15iterator_traitsISG_E10value_typeET2_T3_PNSH_ISM_E10value_typeET4_T5_PSR_SS_PNS1_23onesweep_lookback_stateEbbT6_jjT7_P12ihipStream_tbENKUlT_T0_SG_SL_E_clIS7_S7_PlSB_EEDaSZ_S10_SG_SL_EUlSZ_E_NS1_11comp_targetILNS1_3genE8ELNS1_11target_archE1030ELNS1_3gpuE2ELNS1_3repE0EEENS1_47radix_sort_onesweep_sort_config_static_selectorELNS0_4arch9wavefront6targetE1EEEvSG_.uses_vcc, 0
	.set _ZN7rocprim17ROCPRIM_400000_NS6detail17trampoline_kernelINS0_14default_configENS1_35radix_sort_onesweep_config_selectorIilEEZZNS1_29radix_sort_onesweep_iterationIS3_Lb0EPiS7_N6thrust23THRUST_200600_302600_NS10device_ptrIlEESB_jNS0_19identity_decomposerENS1_16block_id_wrapperIjLb1EEEEE10hipError_tT1_PNSt15iterator_traitsISG_E10value_typeET2_T3_PNSH_ISM_E10value_typeET4_T5_PSR_SS_PNS1_23onesweep_lookback_stateEbbT6_jjT7_P12ihipStream_tbENKUlT_T0_SG_SL_E_clIS7_S7_PlSB_EEDaSZ_S10_SG_SL_EUlSZ_E_NS1_11comp_targetILNS1_3genE8ELNS1_11target_archE1030ELNS1_3gpuE2ELNS1_3repE0EEENS1_47radix_sort_onesweep_sort_config_static_selectorELNS0_4arch9wavefront6targetE1EEEvSG_.uses_flat_scratch, 0
	.set _ZN7rocprim17ROCPRIM_400000_NS6detail17trampoline_kernelINS0_14default_configENS1_35radix_sort_onesweep_config_selectorIilEEZZNS1_29radix_sort_onesweep_iterationIS3_Lb0EPiS7_N6thrust23THRUST_200600_302600_NS10device_ptrIlEESB_jNS0_19identity_decomposerENS1_16block_id_wrapperIjLb1EEEEE10hipError_tT1_PNSt15iterator_traitsISG_E10value_typeET2_T3_PNSH_ISM_E10value_typeET4_T5_PSR_SS_PNS1_23onesweep_lookback_stateEbbT6_jjT7_P12ihipStream_tbENKUlT_T0_SG_SL_E_clIS7_S7_PlSB_EEDaSZ_S10_SG_SL_EUlSZ_E_NS1_11comp_targetILNS1_3genE8ELNS1_11target_archE1030ELNS1_3gpuE2ELNS1_3repE0EEENS1_47radix_sort_onesweep_sort_config_static_selectorELNS0_4arch9wavefront6targetE1EEEvSG_.has_dyn_sized_stack, 0
	.set _ZN7rocprim17ROCPRIM_400000_NS6detail17trampoline_kernelINS0_14default_configENS1_35radix_sort_onesweep_config_selectorIilEEZZNS1_29radix_sort_onesweep_iterationIS3_Lb0EPiS7_N6thrust23THRUST_200600_302600_NS10device_ptrIlEESB_jNS0_19identity_decomposerENS1_16block_id_wrapperIjLb1EEEEE10hipError_tT1_PNSt15iterator_traitsISG_E10value_typeET2_T3_PNSH_ISM_E10value_typeET4_T5_PSR_SS_PNS1_23onesweep_lookback_stateEbbT6_jjT7_P12ihipStream_tbENKUlT_T0_SG_SL_E_clIS7_S7_PlSB_EEDaSZ_S10_SG_SL_EUlSZ_E_NS1_11comp_targetILNS1_3genE8ELNS1_11target_archE1030ELNS1_3gpuE2ELNS1_3repE0EEENS1_47radix_sort_onesweep_sort_config_static_selectorELNS0_4arch9wavefront6targetE1EEEvSG_.has_recursion, 0
	.set _ZN7rocprim17ROCPRIM_400000_NS6detail17trampoline_kernelINS0_14default_configENS1_35radix_sort_onesweep_config_selectorIilEEZZNS1_29radix_sort_onesweep_iterationIS3_Lb0EPiS7_N6thrust23THRUST_200600_302600_NS10device_ptrIlEESB_jNS0_19identity_decomposerENS1_16block_id_wrapperIjLb1EEEEE10hipError_tT1_PNSt15iterator_traitsISG_E10value_typeET2_T3_PNSH_ISM_E10value_typeET4_T5_PSR_SS_PNS1_23onesweep_lookback_stateEbbT6_jjT7_P12ihipStream_tbENKUlT_T0_SG_SL_E_clIS7_S7_PlSB_EEDaSZ_S10_SG_SL_EUlSZ_E_NS1_11comp_targetILNS1_3genE8ELNS1_11target_archE1030ELNS1_3gpuE2ELNS1_3repE0EEENS1_47radix_sort_onesweep_sort_config_static_selectorELNS0_4arch9wavefront6targetE1EEEvSG_.has_indirect_call, 0
	.section	.AMDGPU.csdata,"",@progbits
; Kernel info:
; codeLenInByte = 0
; TotalNumSgprs: 4
; NumVgprs: 0
; ScratchSize: 0
; MemoryBound: 0
; FloatMode: 240
; IeeeMode: 1
; LDSByteSize: 0 bytes/workgroup (compile time only)
; SGPRBlocks: 0
; VGPRBlocks: 0
; NumSGPRsForWavesPerEU: 4
; NumVGPRsForWavesPerEU: 1
; Occupancy: 10
; WaveLimiterHint : 0
; COMPUTE_PGM_RSRC2:SCRATCH_EN: 0
; COMPUTE_PGM_RSRC2:USER_SGPR: 6
; COMPUTE_PGM_RSRC2:TRAP_HANDLER: 0
; COMPUTE_PGM_RSRC2:TGID_X_EN: 1
; COMPUTE_PGM_RSRC2:TGID_Y_EN: 0
; COMPUTE_PGM_RSRC2:TGID_Z_EN: 0
; COMPUTE_PGM_RSRC2:TIDIG_COMP_CNT: 0
	.section	.text._ZN7rocprim17ROCPRIM_400000_NS6detail17trampoline_kernelINS0_14default_configENS1_35radix_sort_onesweep_config_selectorIilEEZZNS1_29radix_sort_onesweep_iterationIS3_Lb0EPiS7_N6thrust23THRUST_200600_302600_NS10device_ptrIlEESB_jNS0_19identity_decomposerENS1_16block_id_wrapperIjLb0EEEEE10hipError_tT1_PNSt15iterator_traitsISG_E10value_typeET2_T3_PNSH_ISM_E10value_typeET4_T5_PSR_SS_PNS1_23onesweep_lookback_stateEbbT6_jjT7_P12ihipStream_tbENKUlT_T0_SG_SL_E_clIS7_S7_SB_SB_EEDaSZ_S10_SG_SL_EUlSZ_E_NS1_11comp_targetILNS1_3genE0ELNS1_11target_archE4294967295ELNS1_3gpuE0ELNS1_3repE0EEENS1_47radix_sort_onesweep_sort_config_static_selectorELNS0_4arch9wavefront6targetE1EEEvSG_,"axG",@progbits,_ZN7rocprim17ROCPRIM_400000_NS6detail17trampoline_kernelINS0_14default_configENS1_35radix_sort_onesweep_config_selectorIilEEZZNS1_29radix_sort_onesweep_iterationIS3_Lb0EPiS7_N6thrust23THRUST_200600_302600_NS10device_ptrIlEESB_jNS0_19identity_decomposerENS1_16block_id_wrapperIjLb0EEEEE10hipError_tT1_PNSt15iterator_traitsISG_E10value_typeET2_T3_PNSH_ISM_E10value_typeET4_T5_PSR_SS_PNS1_23onesweep_lookback_stateEbbT6_jjT7_P12ihipStream_tbENKUlT_T0_SG_SL_E_clIS7_S7_SB_SB_EEDaSZ_S10_SG_SL_EUlSZ_E_NS1_11comp_targetILNS1_3genE0ELNS1_11target_archE4294967295ELNS1_3gpuE0ELNS1_3repE0EEENS1_47radix_sort_onesweep_sort_config_static_selectorELNS0_4arch9wavefront6targetE1EEEvSG_,comdat
	.protected	_ZN7rocprim17ROCPRIM_400000_NS6detail17trampoline_kernelINS0_14default_configENS1_35radix_sort_onesweep_config_selectorIilEEZZNS1_29radix_sort_onesweep_iterationIS3_Lb0EPiS7_N6thrust23THRUST_200600_302600_NS10device_ptrIlEESB_jNS0_19identity_decomposerENS1_16block_id_wrapperIjLb0EEEEE10hipError_tT1_PNSt15iterator_traitsISG_E10value_typeET2_T3_PNSH_ISM_E10value_typeET4_T5_PSR_SS_PNS1_23onesweep_lookback_stateEbbT6_jjT7_P12ihipStream_tbENKUlT_T0_SG_SL_E_clIS7_S7_SB_SB_EEDaSZ_S10_SG_SL_EUlSZ_E_NS1_11comp_targetILNS1_3genE0ELNS1_11target_archE4294967295ELNS1_3gpuE0ELNS1_3repE0EEENS1_47radix_sort_onesweep_sort_config_static_selectorELNS0_4arch9wavefront6targetE1EEEvSG_ ; -- Begin function _ZN7rocprim17ROCPRIM_400000_NS6detail17trampoline_kernelINS0_14default_configENS1_35radix_sort_onesweep_config_selectorIilEEZZNS1_29radix_sort_onesweep_iterationIS3_Lb0EPiS7_N6thrust23THRUST_200600_302600_NS10device_ptrIlEESB_jNS0_19identity_decomposerENS1_16block_id_wrapperIjLb0EEEEE10hipError_tT1_PNSt15iterator_traitsISG_E10value_typeET2_T3_PNSH_ISM_E10value_typeET4_T5_PSR_SS_PNS1_23onesweep_lookback_stateEbbT6_jjT7_P12ihipStream_tbENKUlT_T0_SG_SL_E_clIS7_S7_SB_SB_EEDaSZ_S10_SG_SL_EUlSZ_E_NS1_11comp_targetILNS1_3genE0ELNS1_11target_archE4294967295ELNS1_3gpuE0ELNS1_3repE0EEENS1_47radix_sort_onesweep_sort_config_static_selectorELNS0_4arch9wavefront6targetE1EEEvSG_
	.globl	_ZN7rocprim17ROCPRIM_400000_NS6detail17trampoline_kernelINS0_14default_configENS1_35radix_sort_onesweep_config_selectorIilEEZZNS1_29radix_sort_onesweep_iterationIS3_Lb0EPiS7_N6thrust23THRUST_200600_302600_NS10device_ptrIlEESB_jNS0_19identity_decomposerENS1_16block_id_wrapperIjLb0EEEEE10hipError_tT1_PNSt15iterator_traitsISG_E10value_typeET2_T3_PNSH_ISM_E10value_typeET4_T5_PSR_SS_PNS1_23onesweep_lookback_stateEbbT6_jjT7_P12ihipStream_tbENKUlT_T0_SG_SL_E_clIS7_S7_SB_SB_EEDaSZ_S10_SG_SL_EUlSZ_E_NS1_11comp_targetILNS1_3genE0ELNS1_11target_archE4294967295ELNS1_3gpuE0ELNS1_3repE0EEENS1_47radix_sort_onesweep_sort_config_static_selectorELNS0_4arch9wavefront6targetE1EEEvSG_
	.p2align	8
	.type	_ZN7rocprim17ROCPRIM_400000_NS6detail17trampoline_kernelINS0_14default_configENS1_35radix_sort_onesweep_config_selectorIilEEZZNS1_29radix_sort_onesweep_iterationIS3_Lb0EPiS7_N6thrust23THRUST_200600_302600_NS10device_ptrIlEESB_jNS0_19identity_decomposerENS1_16block_id_wrapperIjLb0EEEEE10hipError_tT1_PNSt15iterator_traitsISG_E10value_typeET2_T3_PNSH_ISM_E10value_typeET4_T5_PSR_SS_PNS1_23onesweep_lookback_stateEbbT6_jjT7_P12ihipStream_tbENKUlT_T0_SG_SL_E_clIS7_S7_SB_SB_EEDaSZ_S10_SG_SL_EUlSZ_E_NS1_11comp_targetILNS1_3genE0ELNS1_11target_archE4294967295ELNS1_3gpuE0ELNS1_3repE0EEENS1_47radix_sort_onesweep_sort_config_static_selectorELNS0_4arch9wavefront6targetE1EEEvSG_,@function
_ZN7rocprim17ROCPRIM_400000_NS6detail17trampoline_kernelINS0_14default_configENS1_35radix_sort_onesweep_config_selectorIilEEZZNS1_29radix_sort_onesweep_iterationIS3_Lb0EPiS7_N6thrust23THRUST_200600_302600_NS10device_ptrIlEESB_jNS0_19identity_decomposerENS1_16block_id_wrapperIjLb0EEEEE10hipError_tT1_PNSt15iterator_traitsISG_E10value_typeET2_T3_PNSH_ISM_E10value_typeET4_T5_PSR_SS_PNS1_23onesweep_lookback_stateEbbT6_jjT7_P12ihipStream_tbENKUlT_T0_SG_SL_E_clIS7_S7_SB_SB_EEDaSZ_S10_SG_SL_EUlSZ_E_NS1_11comp_targetILNS1_3genE0ELNS1_11target_archE4294967295ELNS1_3gpuE0ELNS1_3repE0EEENS1_47radix_sort_onesweep_sort_config_static_selectorELNS0_4arch9wavefront6targetE1EEEvSG_: ; @_ZN7rocprim17ROCPRIM_400000_NS6detail17trampoline_kernelINS0_14default_configENS1_35radix_sort_onesweep_config_selectorIilEEZZNS1_29radix_sort_onesweep_iterationIS3_Lb0EPiS7_N6thrust23THRUST_200600_302600_NS10device_ptrIlEESB_jNS0_19identity_decomposerENS1_16block_id_wrapperIjLb0EEEEE10hipError_tT1_PNSt15iterator_traitsISG_E10value_typeET2_T3_PNSH_ISM_E10value_typeET4_T5_PSR_SS_PNS1_23onesweep_lookback_stateEbbT6_jjT7_P12ihipStream_tbENKUlT_T0_SG_SL_E_clIS7_S7_SB_SB_EEDaSZ_S10_SG_SL_EUlSZ_E_NS1_11comp_targetILNS1_3genE0ELNS1_11target_archE4294967295ELNS1_3gpuE0ELNS1_3repE0EEENS1_47radix_sort_onesweep_sort_config_static_selectorELNS0_4arch9wavefront6targetE1EEEvSG_
; %bb.0:
	.section	.rodata,"a",@progbits
	.p2align	6, 0x0
	.amdhsa_kernel _ZN7rocprim17ROCPRIM_400000_NS6detail17trampoline_kernelINS0_14default_configENS1_35radix_sort_onesweep_config_selectorIilEEZZNS1_29radix_sort_onesweep_iterationIS3_Lb0EPiS7_N6thrust23THRUST_200600_302600_NS10device_ptrIlEESB_jNS0_19identity_decomposerENS1_16block_id_wrapperIjLb0EEEEE10hipError_tT1_PNSt15iterator_traitsISG_E10value_typeET2_T3_PNSH_ISM_E10value_typeET4_T5_PSR_SS_PNS1_23onesweep_lookback_stateEbbT6_jjT7_P12ihipStream_tbENKUlT_T0_SG_SL_E_clIS7_S7_SB_SB_EEDaSZ_S10_SG_SL_EUlSZ_E_NS1_11comp_targetILNS1_3genE0ELNS1_11target_archE4294967295ELNS1_3gpuE0ELNS1_3repE0EEENS1_47radix_sort_onesweep_sort_config_static_selectorELNS0_4arch9wavefront6targetE1EEEvSG_
		.amdhsa_group_segment_fixed_size 0
		.amdhsa_private_segment_fixed_size 0
		.amdhsa_kernarg_size 88
		.amdhsa_user_sgpr_count 6
		.amdhsa_user_sgpr_private_segment_buffer 1
		.amdhsa_user_sgpr_dispatch_ptr 0
		.amdhsa_user_sgpr_queue_ptr 0
		.amdhsa_user_sgpr_kernarg_segment_ptr 1
		.amdhsa_user_sgpr_dispatch_id 0
		.amdhsa_user_sgpr_flat_scratch_init 0
		.amdhsa_user_sgpr_private_segment_size 0
		.amdhsa_uses_dynamic_stack 0
		.amdhsa_system_sgpr_private_segment_wavefront_offset 0
		.amdhsa_system_sgpr_workgroup_id_x 1
		.amdhsa_system_sgpr_workgroup_id_y 0
		.amdhsa_system_sgpr_workgroup_id_z 0
		.amdhsa_system_sgpr_workgroup_info 0
		.amdhsa_system_vgpr_workitem_id 0
		.amdhsa_next_free_vgpr 1
		.amdhsa_next_free_sgpr 0
		.amdhsa_reserve_vcc 0
		.amdhsa_reserve_flat_scratch 0
		.amdhsa_float_round_mode_32 0
		.amdhsa_float_round_mode_16_64 0
		.amdhsa_float_denorm_mode_32 3
		.amdhsa_float_denorm_mode_16_64 3
		.amdhsa_dx10_clamp 1
		.amdhsa_ieee_mode 1
		.amdhsa_fp16_overflow 0
		.amdhsa_exception_fp_ieee_invalid_op 0
		.amdhsa_exception_fp_denorm_src 0
		.amdhsa_exception_fp_ieee_div_zero 0
		.amdhsa_exception_fp_ieee_overflow 0
		.amdhsa_exception_fp_ieee_underflow 0
		.amdhsa_exception_fp_ieee_inexact 0
		.amdhsa_exception_int_div_zero 0
	.end_amdhsa_kernel
	.section	.text._ZN7rocprim17ROCPRIM_400000_NS6detail17trampoline_kernelINS0_14default_configENS1_35radix_sort_onesweep_config_selectorIilEEZZNS1_29radix_sort_onesweep_iterationIS3_Lb0EPiS7_N6thrust23THRUST_200600_302600_NS10device_ptrIlEESB_jNS0_19identity_decomposerENS1_16block_id_wrapperIjLb0EEEEE10hipError_tT1_PNSt15iterator_traitsISG_E10value_typeET2_T3_PNSH_ISM_E10value_typeET4_T5_PSR_SS_PNS1_23onesweep_lookback_stateEbbT6_jjT7_P12ihipStream_tbENKUlT_T0_SG_SL_E_clIS7_S7_SB_SB_EEDaSZ_S10_SG_SL_EUlSZ_E_NS1_11comp_targetILNS1_3genE0ELNS1_11target_archE4294967295ELNS1_3gpuE0ELNS1_3repE0EEENS1_47radix_sort_onesweep_sort_config_static_selectorELNS0_4arch9wavefront6targetE1EEEvSG_,"axG",@progbits,_ZN7rocprim17ROCPRIM_400000_NS6detail17trampoline_kernelINS0_14default_configENS1_35radix_sort_onesweep_config_selectorIilEEZZNS1_29radix_sort_onesweep_iterationIS3_Lb0EPiS7_N6thrust23THRUST_200600_302600_NS10device_ptrIlEESB_jNS0_19identity_decomposerENS1_16block_id_wrapperIjLb0EEEEE10hipError_tT1_PNSt15iterator_traitsISG_E10value_typeET2_T3_PNSH_ISM_E10value_typeET4_T5_PSR_SS_PNS1_23onesweep_lookback_stateEbbT6_jjT7_P12ihipStream_tbENKUlT_T0_SG_SL_E_clIS7_S7_SB_SB_EEDaSZ_S10_SG_SL_EUlSZ_E_NS1_11comp_targetILNS1_3genE0ELNS1_11target_archE4294967295ELNS1_3gpuE0ELNS1_3repE0EEENS1_47radix_sort_onesweep_sort_config_static_selectorELNS0_4arch9wavefront6targetE1EEEvSG_,comdat
.Lfunc_end893:
	.size	_ZN7rocprim17ROCPRIM_400000_NS6detail17trampoline_kernelINS0_14default_configENS1_35radix_sort_onesweep_config_selectorIilEEZZNS1_29radix_sort_onesweep_iterationIS3_Lb0EPiS7_N6thrust23THRUST_200600_302600_NS10device_ptrIlEESB_jNS0_19identity_decomposerENS1_16block_id_wrapperIjLb0EEEEE10hipError_tT1_PNSt15iterator_traitsISG_E10value_typeET2_T3_PNSH_ISM_E10value_typeET4_T5_PSR_SS_PNS1_23onesweep_lookback_stateEbbT6_jjT7_P12ihipStream_tbENKUlT_T0_SG_SL_E_clIS7_S7_SB_SB_EEDaSZ_S10_SG_SL_EUlSZ_E_NS1_11comp_targetILNS1_3genE0ELNS1_11target_archE4294967295ELNS1_3gpuE0ELNS1_3repE0EEENS1_47radix_sort_onesweep_sort_config_static_selectorELNS0_4arch9wavefront6targetE1EEEvSG_, .Lfunc_end893-_ZN7rocprim17ROCPRIM_400000_NS6detail17trampoline_kernelINS0_14default_configENS1_35radix_sort_onesweep_config_selectorIilEEZZNS1_29radix_sort_onesweep_iterationIS3_Lb0EPiS7_N6thrust23THRUST_200600_302600_NS10device_ptrIlEESB_jNS0_19identity_decomposerENS1_16block_id_wrapperIjLb0EEEEE10hipError_tT1_PNSt15iterator_traitsISG_E10value_typeET2_T3_PNSH_ISM_E10value_typeET4_T5_PSR_SS_PNS1_23onesweep_lookback_stateEbbT6_jjT7_P12ihipStream_tbENKUlT_T0_SG_SL_E_clIS7_S7_SB_SB_EEDaSZ_S10_SG_SL_EUlSZ_E_NS1_11comp_targetILNS1_3genE0ELNS1_11target_archE4294967295ELNS1_3gpuE0ELNS1_3repE0EEENS1_47radix_sort_onesweep_sort_config_static_selectorELNS0_4arch9wavefront6targetE1EEEvSG_
                                        ; -- End function
	.set _ZN7rocprim17ROCPRIM_400000_NS6detail17trampoline_kernelINS0_14default_configENS1_35radix_sort_onesweep_config_selectorIilEEZZNS1_29radix_sort_onesweep_iterationIS3_Lb0EPiS7_N6thrust23THRUST_200600_302600_NS10device_ptrIlEESB_jNS0_19identity_decomposerENS1_16block_id_wrapperIjLb0EEEEE10hipError_tT1_PNSt15iterator_traitsISG_E10value_typeET2_T3_PNSH_ISM_E10value_typeET4_T5_PSR_SS_PNS1_23onesweep_lookback_stateEbbT6_jjT7_P12ihipStream_tbENKUlT_T0_SG_SL_E_clIS7_S7_SB_SB_EEDaSZ_S10_SG_SL_EUlSZ_E_NS1_11comp_targetILNS1_3genE0ELNS1_11target_archE4294967295ELNS1_3gpuE0ELNS1_3repE0EEENS1_47radix_sort_onesweep_sort_config_static_selectorELNS0_4arch9wavefront6targetE1EEEvSG_.num_vgpr, 0
	.set _ZN7rocprim17ROCPRIM_400000_NS6detail17trampoline_kernelINS0_14default_configENS1_35radix_sort_onesweep_config_selectorIilEEZZNS1_29radix_sort_onesweep_iterationIS3_Lb0EPiS7_N6thrust23THRUST_200600_302600_NS10device_ptrIlEESB_jNS0_19identity_decomposerENS1_16block_id_wrapperIjLb0EEEEE10hipError_tT1_PNSt15iterator_traitsISG_E10value_typeET2_T3_PNSH_ISM_E10value_typeET4_T5_PSR_SS_PNS1_23onesweep_lookback_stateEbbT6_jjT7_P12ihipStream_tbENKUlT_T0_SG_SL_E_clIS7_S7_SB_SB_EEDaSZ_S10_SG_SL_EUlSZ_E_NS1_11comp_targetILNS1_3genE0ELNS1_11target_archE4294967295ELNS1_3gpuE0ELNS1_3repE0EEENS1_47radix_sort_onesweep_sort_config_static_selectorELNS0_4arch9wavefront6targetE1EEEvSG_.num_agpr, 0
	.set _ZN7rocprim17ROCPRIM_400000_NS6detail17trampoline_kernelINS0_14default_configENS1_35radix_sort_onesweep_config_selectorIilEEZZNS1_29radix_sort_onesweep_iterationIS3_Lb0EPiS7_N6thrust23THRUST_200600_302600_NS10device_ptrIlEESB_jNS0_19identity_decomposerENS1_16block_id_wrapperIjLb0EEEEE10hipError_tT1_PNSt15iterator_traitsISG_E10value_typeET2_T3_PNSH_ISM_E10value_typeET4_T5_PSR_SS_PNS1_23onesweep_lookback_stateEbbT6_jjT7_P12ihipStream_tbENKUlT_T0_SG_SL_E_clIS7_S7_SB_SB_EEDaSZ_S10_SG_SL_EUlSZ_E_NS1_11comp_targetILNS1_3genE0ELNS1_11target_archE4294967295ELNS1_3gpuE0ELNS1_3repE0EEENS1_47radix_sort_onesweep_sort_config_static_selectorELNS0_4arch9wavefront6targetE1EEEvSG_.numbered_sgpr, 0
	.set _ZN7rocprim17ROCPRIM_400000_NS6detail17trampoline_kernelINS0_14default_configENS1_35radix_sort_onesweep_config_selectorIilEEZZNS1_29radix_sort_onesweep_iterationIS3_Lb0EPiS7_N6thrust23THRUST_200600_302600_NS10device_ptrIlEESB_jNS0_19identity_decomposerENS1_16block_id_wrapperIjLb0EEEEE10hipError_tT1_PNSt15iterator_traitsISG_E10value_typeET2_T3_PNSH_ISM_E10value_typeET4_T5_PSR_SS_PNS1_23onesweep_lookback_stateEbbT6_jjT7_P12ihipStream_tbENKUlT_T0_SG_SL_E_clIS7_S7_SB_SB_EEDaSZ_S10_SG_SL_EUlSZ_E_NS1_11comp_targetILNS1_3genE0ELNS1_11target_archE4294967295ELNS1_3gpuE0ELNS1_3repE0EEENS1_47radix_sort_onesweep_sort_config_static_selectorELNS0_4arch9wavefront6targetE1EEEvSG_.num_named_barrier, 0
	.set _ZN7rocprim17ROCPRIM_400000_NS6detail17trampoline_kernelINS0_14default_configENS1_35radix_sort_onesweep_config_selectorIilEEZZNS1_29radix_sort_onesweep_iterationIS3_Lb0EPiS7_N6thrust23THRUST_200600_302600_NS10device_ptrIlEESB_jNS0_19identity_decomposerENS1_16block_id_wrapperIjLb0EEEEE10hipError_tT1_PNSt15iterator_traitsISG_E10value_typeET2_T3_PNSH_ISM_E10value_typeET4_T5_PSR_SS_PNS1_23onesweep_lookback_stateEbbT6_jjT7_P12ihipStream_tbENKUlT_T0_SG_SL_E_clIS7_S7_SB_SB_EEDaSZ_S10_SG_SL_EUlSZ_E_NS1_11comp_targetILNS1_3genE0ELNS1_11target_archE4294967295ELNS1_3gpuE0ELNS1_3repE0EEENS1_47radix_sort_onesweep_sort_config_static_selectorELNS0_4arch9wavefront6targetE1EEEvSG_.private_seg_size, 0
	.set _ZN7rocprim17ROCPRIM_400000_NS6detail17trampoline_kernelINS0_14default_configENS1_35radix_sort_onesweep_config_selectorIilEEZZNS1_29radix_sort_onesweep_iterationIS3_Lb0EPiS7_N6thrust23THRUST_200600_302600_NS10device_ptrIlEESB_jNS0_19identity_decomposerENS1_16block_id_wrapperIjLb0EEEEE10hipError_tT1_PNSt15iterator_traitsISG_E10value_typeET2_T3_PNSH_ISM_E10value_typeET4_T5_PSR_SS_PNS1_23onesweep_lookback_stateEbbT6_jjT7_P12ihipStream_tbENKUlT_T0_SG_SL_E_clIS7_S7_SB_SB_EEDaSZ_S10_SG_SL_EUlSZ_E_NS1_11comp_targetILNS1_3genE0ELNS1_11target_archE4294967295ELNS1_3gpuE0ELNS1_3repE0EEENS1_47radix_sort_onesweep_sort_config_static_selectorELNS0_4arch9wavefront6targetE1EEEvSG_.uses_vcc, 0
	.set _ZN7rocprim17ROCPRIM_400000_NS6detail17trampoline_kernelINS0_14default_configENS1_35radix_sort_onesweep_config_selectorIilEEZZNS1_29radix_sort_onesweep_iterationIS3_Lb0EPiS7_N6thrust23THRUST_200600_302600_NS10device_ptrIlEESB_jNS0_19identity_decomposerENS1_16block_id_wrapperIjLb0EEEEE10hipError_tT1_PNSt15iterator_traitsISG_E10value_typeET2_T3_PNSH_ISM_E10value_typeET4_T5_PSR_SS_PNS1_23onesweep_lookback_stateEbbT6_jjT7_P12ihipStream_tbENKUlT_T0_SG_SL_E_clIS7_S7_SB_SB_EEDaSZ_S10_SG_SL_EUlSZ_E_NS1_11comp_targetILNS1_3genE0ELNS1_11target_archE4294967295ELNS1_3gpuE0ELNS1_3repE0EEENS1_47radix_sort_onesweep_sort_config_static_selectorELNS0_4arch9wavefront6targetE1EEEvSG_.uses_flat_scratch, 0
	.set _ZN7rocprim17ROCPRIM_400000_NS6detail17trampoline_kernelINS0_14default_configENS1_35radix_sort_onesweep_config_selectorIilEEZZNS1_29radix_sort_onesweep_iterationIS3_Lb0EPiS7_N6thrust23THRUST_200600_302600_NS10device_ptrIlEESB_jNS0_19identity_decomposerENS1_16block_id_wrapperIjLb0EEEEE10hipError_tT1_PNSt15iterator_traitsISG_E10value_typeET2_T3_PNSH_ISM_E10value_typeET4_T5_PSR_SS_PNS1_23onesweep_lookback_stateEbbT6_jjT7_P12ihipStream_tbENKUlT_T0_SG_SL_E_clIS7_S7_SB_SB_EEDaSZ_S10_SG_SL_EUlSZ_E_NS1_11comp_targetILNS1_3genE0ELNS1_11target_archE4294967295ELNS1_3gpuE0ELNS1_3repE0EEENS1_47radix_sort_onesweep_sort_config_static_selectorELNS0_4arch9wavefront6targetE1EEEvSG_.has_dyn_sized_stack, 0
	.set _ZN7rocprim17ROCPRIM_400000_NS6detail17trampoline_kernelINS0_14default_configENS1_35radix_sort_onesweep_config_selectorIilEEZZNS1_29radix_sort_onesweep_iterationIS3_Lb0EPiS7_N6thrust23THRUST_200600_302600_NS10device_ptrIlEESB_jNS0_19identity_decomposerENS1_16block_id_wrapperIjLb0EEEEE10hipError_tT1_PNSt15iterator_traitsISG_E10value_typeET2_T3_PNSH_ISM_E10value_typeET4_T5_PSR_SS_PNS1_23onesweep_lookback_stateEbbT6_jjT7_P12ihipStream_tbENKUlT_T0_SG_SL_E_clIS7_S7_SB_SB_EEDaSZ_S10_SG_SL_EUlSZ_E_NS1_11comp_targetILNS1_3genE0ELNS1_11target_archE4294967295ELNS1_3gpuE0ELNS1_3repE0EEENS1_47radix_sort_onesweep_sort_config_static_selectorELNS0_4arch9wavefront6targetE1EEEvSG_.has_recursion, 0
	.set _ZN7rocprim17ROCPRIM_400000_NS6detail17trampoline_kernelINS0_14default_configENS1_35radix_sort_onesweep_config_selectorIilEEZZNS1_29radix_sort_onesweep_iterationIS3_Lb0EPiS7_N6thrust23THRUST_200600_302600_NS10device_ptrIlEESB_jNS0_19identity_decomposerENS1_16block_id_wrapperIjLb0EEEEE10hipError_tT1_PNSt15iterator_traitsISG_E10value_typeET2_T3_PNSH_ISM_E10value_typeET4_T5_PSR_SS_PNS1_23onesweep_lookback_stateEbbT6_jjT7_P12ihipStream_tbENKUlT_T0_SG_SL_E_clIS7_S7_SB_SB_EEDaSZ_S10_SG_SL_EUlSZ_E_NS1_11comp_targetILNS1_3genE0ELNS1_11target_archE4294967295ELNS1_3gpuE0ELNS1_3repE0EEENS1_47radix_sort_onesweep_sort_config_static_selectorELNS0_4arch9wavefront6targetE1EEEvSG_.has_indirect_call, 0
	.section	.AMDGPU.csdata,"",@progbits
; Kernel info:
; codeLenInByte = 0
; TotalNumSgprs: 4
; NumVgprs: 0
; ScratchSize: 0
; MemoryBound: 0
; FloatMode: 240
; IeeeMode: 1
; LDSByteSize: 0 bytes/workgroup (compile time only)
; SGPRBlocks: 0
; VGPRBlocks: 0
; NumSGPRsForWavesPerEU: 4
; NumVGPRsForWavesPerEU: 1
; Occupancy: 10
; WaveLimiterHint : 0
; COMPUTE_PGM_RSRC2:SCRATCH_EN: 0
; COMPUTE_PGM_RSRC2:USER_SGPR: 6
; COMPUTE_PGM_RSRC2:TRAP_HANDLER: 0
; COMPUTE_PGM_RSRC2:TGID_X_EN: 1
; COMPUTE_PGM_RSRC2:TGID_Y_EN: 0
; COMPUTE_PGM_RSRC2:TGID_Z_EN: 0
; COMPUTE_PGM_RSRC2:TIDIG_COMP_CNT: 0
	.section	.text._ZN7rocprim17ROCPRIM_400000_NS6detail17trampoline_kernelINS0_14default_configENS1_35radix_sort_onesweep_config_selectorIilEEZZNS1_29radix_sort_onesweep_iterationIS3_Lb0EPiS7_N6thrust23THRUST_200600_302600_NS10device_ptrIlEESB_jNS0_19identity_decomposerENS1_16block_id_wrapperIjLb0EEEEE10hipError_tT1_PNSt15iterator_traitsISG_E10value_typeET2_T3_PNSH_ISM_E10value_typeET4_T5_PSR_SS_PNS1_23onesweep_lookback_stateEbbT6_jjT7_P12ihipStream_tbENKUlT_T0_SG_SL_E_clIS7_S7_SB_SB_EEDaSZ_S10_SG_SL_EUlSZ_E_NS1_11comp_targetILNS1_3genE6ELNS1_11target_archE950ELNS1_3gpuE13ELNS1_3repE0EEENS1_47radix_sort_onesweep_sort_config_static_selectorELNS0_4arch9wavefront6targetE1EEEvSG_,"axG",@progbits,_ZN7rocprim17ROCPRIM_400000_NS6detail17trampoline_kernelINS0_14default_configENS1_35radix_sort_onesweep_config_selectorIilEEZZNS1_29radix_sort_onesweep_iterationIS3_Lb0EPiS7_N6thrust23THRUST_200600_302600_NS10device_ptrIlEESB_jNS0_19identity_decomposerENS1_16block_id_wrapperIjLb0EEEEE10hipError_tT1_PNSt15iterator_traitsISG_E10value_typeET2_T3_PNSH_ISM_E10value_typeET4_T5_PSR_SS_PNS1_23onesweep_lookback_stateEbbT6_jjT7_P12ihipStream_tbENKUlT_T0_SG_SL_E_clIS7_S7_SB_SB_EEDaSZ_S10_SG_SL_EUlSZ_E_NS1_11comp_targetILNS1_3genE6ELNS1_11target_archE950ELNS1_3gpuE13ELNS1_3repE0EEENS1_47radix_sort_onesweep_sort_config_static_selectorELNS0_4arch9wavefront6targetE1EEEvSG_,comdat
	.protected	_ZN7rocprim17ROCPRIM_400000_NS6detail17trampoline_kernelINS0_14default_configENS1_35radix_sort_onesweep_config_selectorIilEEZZNS1_29radix_sort_onesweep_iterationIS3_Lb0EPiS7_N6thrust23THRUST_200600_302600_NS10device_ptrIlEESB_jNS0_19identity_decomposerENS1_16block_id_wrapperIjLb0EEEEE10hipError_tT1_PNSt15iterator_traitsISG_E10value_typeET2_T3_PNSH_ISM_E10value_typeET4_T5_PSR_SS_PNS1_23onesweep_lookback_stateEbbT6_jjT7_P12ihipStream_tbENKUlT_T0_SG_SL_E_clIS7_S7_SB_SB_EEDaSZ_S10_SG_SL_EUlSZ_E_NS1_11comp_targetILNS1_3genE6ELNS1_11target_archE950ELNS1_3gpuE13ELNS1_3repE0EEENS1_47radix_sort_onesweep_sort_config_static_selectorELNS0_4arch9wavefront6targetE1EEEvSG_ ; -- Begin function _ZN7rocprim17ROCPRIM_400000_NS6detail17trampoline_kernelINS0_14default_configENS1_35radix_sort_onesweep_config_selectorIilEEZZNS1_29radix_sort_onesweep_iterationIS3_Lb0EPiS7_N6thrust23THRUST_200600_302600_NS10device_ptrIlEESB_jNS0_19identity_decomposerENS1_16block_id_wrapperIjLb0EEEEE10hipError_tT1_PNSt15iterator_traitsISG_E10value_typeET2_T3_PNSH_ISM_E10value_typeET4_T5_PSR_SS_PNS1_23onesweep_lookback_stateEbbT6_jjT7_P12ihipStream_tbENKUlT_T0_SG_SL_E_clIS7_S7_SB_SB_EEDaSZ_S10_SG_SL_EUlSZ_E_NS1_11comp_targetILNS1_3genE6ELNS1_11target_archE950ELNS1_3gpuE13ELNS1_3repE0EEENS1_47radix_sort_onesweep_sort_config_static_selectorELNS0_4arch9wavefront6targetE1EEEvSG_
	.globl	_ZN7rocprim17ROCPRIM_400000_NS6detail17trampoline_kernelINS0_14default_configENS1_35radix_sort_onesweep_config_selectorIilEEZZNS1_29radix_sort_onesweep_iterationIS3_Lb0EPiS7_N6thrust23THRUST_200600_302600_NS10device_ptrIlEESB_jNS0_19identity_decomposerENS1_16block_id_wrapperIjLb0EEEEE10hipError_tT1_PNSt15iterator_traitsISG_E10value_typeET2_T3_PNSH_ISM_E10value_typeET4_T5_PSR_SS_PNS1_23onesweep_lookback_stateEbbT6_jjT7_P12ihipStream_tbENKUlT_T0_SG_SL_E_clIS7_S7_SB_SB_EEDaSZ_S10_SG_SL_EUlSZ_E_NS1_11comp_targetILNS1_3genE6ELNS1_11target_archE950ELNS1_3gpuE13ELNS1_3repE0EEENS1_47radix_sort_onesweep_sort_config_static_selectorELNS0_4arch9wavefront6targetE1EEEvSG_
	.p2align	8
	.type	_ZN7rocprim17ROCPRIM_400000_NS6detail17trampoline_kernelINS0_14default_configENS1_35radix_sort_onesweep_config_selectorIilEEZZNS1_29radix_sort_onesweep_iterationIS3_Lb0EPiS7_N6thrust23THRUST_200600_302600_NS10device_ptrIlEESB_jNS0_19identity_decomposerENS1_16block_id_wrapperIjLb0EEEEE10hipError_tT1_PNSt15iterator_traitsISG_E10value_typeET2_T3_PNSH_ISM_E10value_typeET4_T5_PSR_SS_PNS1_23onesweep_lookback_stateEbbT6_jjT7_P12ihipStream_tbENKUlT_T0_SG_SL_E_clIS7_S7_SB_SB_EEDaSZ_S10_SG_SL_EUlSZ_E_NS1_11comp_targetILNS1_3genE6ELNS1_11target_archE950ELNS1_3gpuE13ELNS1_3repE0EEENS1_47radix_sort_onesweep_sort_config_static_selectorELNS0_4arch9wavefront6targetE1EEEvSG_,@function
_ZN7rocprim17ROCPRIM_400000_NS6detail17trampoline_kernelINS0_14default_configENS1_35radix_sort_onesweep_config_selectorIilEEZZNS1_29radix_sort_onesweep_iterationIS3_Lb0EPiS7_N6thrust23THRUST_200600_302600_NS10device_ptrIlEESB_jNS0_19identity_decomposerENS1_16block_id_wrapperIjLb0EEEEE10hipError_tT1_PNSt15iterator_traitsISG_E10value_typeET2_T3_PNSH_ISM_E10value_typeET4_T5_PSR_SS_PNS1_23onesweep_lookback_stateEbbT6_jjT7_P12ihipStream_tbENKUlT_T0_SG_SL_E_clIS7_S7_SB_SB_EEDaSZ_S10_SG_SL_EUlSZ_E_NS1_11comp_targetILNS1_3genE6ELNS1_11target_archE950ELNS1_3gpuE13ELNS1_3repE0EEENS1_47radix_sort_onesweep_sort_config_static_selectorELNS0_4arch9wavefront6targetE1EEEvSG_: ; @_ZN7rocprim17ROCPRIM_400000_NS6detail17trampoline_kernelINS0_14default_configENS1_35radix_sort_onesweep_config_selectorIilEEZZNS1_29radix_sort_onesweep_iterationIS3_Lb0EPiS7_N6thrust23THRUST_200600_302600_NS10device_ptrIlEESB_jNS0_19identity_decomposerENS1_16block_id_wrapperIjLb0EEEEE10hipError_tT1_PNSt15iterator_traitsISG_E10value_typeET2_T3_PNSH_ISM_E10value_typeET4_T5_PSR_SS_PNS1_23onesweep_lookback_stateEbbT6_jjT7_P12ihipStream_tbENKUlT_T0_SG_SL_E_clIS7_S7_SB_SB_EEDaSZ_S10_SG_SL_EUlSZ_E_NS1_11comp_targetILNS1_3genE6ELNS1_11target_archE950ELNS1_3gpuE13ELNS1_3repE0EEENS1_47radix_sort_onesweep_sort_config_static_selectorELNS0_4arch9wavefront6targetE1EEEvSG_
; %bb.0:
	.section	.rodata,"a",@progbits
	.p2align	6, 0x0
	.amdhsa_kernel _ZN7rocprim17ROCPRIM_400000_NS6detail17trampoline_kernelINS0_14default_configENS1_35radix_sort_onesweep_config_selectorIilEEZZNS1_29radix_sort_onesweep_iterationIS3_Lb0EPiS7_N6thrust23THRUST_200600_302600_NS10device_ptrIlEESB_jNS0_19identity_decomposerENS1_16block_id_wrapperIjLb0EEEEE10hipError_tT1_PNSt15iterator_traitsISG_E10value_typeET2_T3_PNSH_ISM_E10value_typeET4_T5_PSR_SS_PNS1_23onesweep_lookback_stateEbbT6_jjT7_P12ihipStream_tbENKUlT_T0_SG_SL_E_clIS7_S7_SB_SB_EEDaSZ_S10_SG_SL_EUlSZ_E_NS1_11comp_targetILNS1_3genE6ELNS1_11target_archE950ELNS1_3gpuE13ELNS1_3repE0EEENS1_47radix_sort_onesweep_sort_config_static_selectorELNS0_4arch9wavefront6targetE1EEEvSG_
		.amdhsa_group_segment_fixed_size 0
		.amdhsa_private_segment_fixed_size 0
		.amdhsa_kernarg_size 88
		.amdhsa_user_sgpr_count 6
		.amdhsa_user_sgpr_private_segment_buffer 1
		.amdhsa_user_sgpr_dispatch_ptr 0
		.amdhsa_user_sgpr_queue_ptr 0
		.amdhsa_user_sgpr_kernarg_segment_ptr 1
		.amdhsa_user_sgpr_dispatch_id 0
		.amdhsa_user_sgpr_flat_scratch_init 0
		.amdhsa_user_sgpr_private_segment_size 0
		.amdhsa_uses_dynamic_stack 0
		.amdhsa_system_sgpr_private_segment_wavefront_offset 0
		.amdhsa_system_sgpr_workgroup_id_x 1
		.amdhsa_system_sgpr_workgroup_id_y 0
		.amdhsa_system_sgpr_workgroup_id_z 0
		.amdhsa_system_sgpr_workgroup_info 0
		.amdhsa_system_vgpr_workitem_id 0
		.amdhsa_next_free_vgpr 1
		.amdhsa_next_free_sgpr 0
		.amdhsa_reserve_vcc 0
		.amdhsa_reserve_flat_scratch 0
		.amdhsa_float_round_mode_32 0
		.amdhsa_float_round_mode_16_64 0
		.amdhsa_float_denorm_mode_32 3
		.amdhsa_float_denorm_mode_16_64 3
		.amdhsa_dx10_clamp 1
		.amdhsa_ieee_mode 1
		.amdhsa_fp16_overflow 0
		.amdhsa_exception_fp_ieee_invalid_op 0
		.amdhsa_exception_fp_denorm_src 0
		.amdhsa_exception_fp_ieee_div_zero 0
		.amdhsa_exception_fp_ieee_overflow 0
		.amdhsa_exception_fp_ieee_underflow 0
		.amdhsa_exception_fp_ieee_inexact 0
		.amdhsa_exception_int_div_zero 0
	.end_amdhsa_kernel
	.section	.text._ZN7rocprim17ROCPRIM_400000_NS6detail17trampoline_kernelINS0_14default_configENS1_35radix_sort_onesweep_config_selectorIilEEZZNS1_29radix_sort_onesweep_iterationIS3_Lb0EPiS7_N6thrust23THRUST_200600_302600_NS10device_ptrIlEESB_jNS0_19identity_decomposerENS1_16block_id_wrapperIjLb0EEEEE10hipError_tT1_PNSt15iterator_traitsISG_E10value_typeET2_T3_PNSH_ISM_E10value_typeET4_T5_PSR_SS_PNS1_23onesweep_lookback_stateEbbT6_jjT7_P12ihipStream_tbENKUlT_T0_SG_SL_E_clIS7_S7_SB_SB_EEDaSZ_S10_SG_SL_EUlSZ_E_NS1_11comp_targetILNS1_3genE6ELNS1_11target_archE950ELNS1_3gpuE13ELNS1_3repE0EEENS1_47radix_sort_onesweep_sort_config_static_selectorELNS0_4arch9wavefront6targetE1EEEvSG_,"axG",@progbits,_ZN7rocprim17ROCPRIM_400000_NS6detail17trampoline_kernelINS0_14default_configENS1_35radix_sort_onesweep_config_selectorIilEEZZNS1_29radix_sort_onesweep_iterationIS3_Lb0EPiS7_N6thrust23THRUST_200600_302600_NS10device_ptrIlEESB_jNS0_19identity_decomposerENS1_16block_id_wrapperIjLb0EEEEE10hipError_tT1_PNSt15iterator_traitsISG_E10value_typeET2_T3_PNSH_ISM_E10value_typeET4_T5_PSR_SS_PNS1_23onesweep_lookback_stateEbbT6_jjT7_P12ihipStream_tbENKUlT_T0_SG_SL_E_clIS7_S7_SB_SB_EEDaSZ_S10_SG_SL_EUlSZ_E_NS1_11comp_targetILNS1_3genE6ELNS1_11target_archE950ELNS1_3gpuE13ELNS1_3repE0EEENS1_47radix_sort_onesweep_sort_config_static_selectorELNS0_4arch9wavefront6targetE1EEEvSG_,comdat
.Lfunc_end894:
	.size	_ZN7rocprim17ROCPRIM_400000_NS6detail17trampoline_kernelINS0_14default_configENS1_35radix_sort_onesweep_config_selectorIilEEZZNS1_29radix_sort_onesweep_iterationIS3_Lb0EPiS7_N6thrust23THRUST_200600_302600_NS10device_ptrIlEESB_jNS0_19identity_decomposerENS1_16block_id_wrapperIjLb0EEEEE10hipError_tT1_PNSt15iterator_traitsISG_E10value_typeET2_T3_PNSH_ISM_E10value_typeET4_T5_PSR_SS_PNS1_23onesweep_lookback_stateEbbT6_jjT7_P12ihipStream_tbENKUlT_T0_SG_SL_E_clIS7_S7_SB_SB_EEDaSZ_S10_SG_SL_EUlSZ_E_NS1_11comp_targetILNS1_3genE6ELNS1_11target_archE950ELNS1_3gpuE13ELNS1_3repE0EEENS1_47radix_sort_onesweep_sort_config_static_selectorELNS0_4arch9wavefront6targetE1EEEvSG_, .Lfunc_end894-_ZN7rocprim17ROCPRIM_400000_NS6detail17trampoline_kernelINS0_14default_configENS1_35radix_sort_onesweep_config_selectorIilEEZZNS1_29radix_sort_onesweep_iterationIS3_Lb0EPiS7_N6thrust23THRUST_200600_302600_NS10device_ptrIlEESB_jNS0_19identity_decomposerENS1_16block_id_wrapperIjLb0EEEEE10hipError_tT1_PNSt15iterator_traitsISG_E10value_typeET2_T3_PNSH_ISM_E10value_typeET4_T5_PSR_SS_PNS1_23onesweep_lookback_stateEbbT6_jjT7_P12ihipStream_tbENKUlT_T0_SG_SL_E_clIS7_S7_SB_SB_EEDaSZ_S10_SG_SL_EUlSZ_E_NS1_11comp_targetILNS1_3genE6ELNS1_11target_archE950ELNS1_3gpuE13ELNS1_3repE0EEENS1_47radix_sort_onesweep_sort_config_static_selectorELNS0_4arch9wavefront6targetE1EEEvSG_
                                        ; -- End function
	.set _ZN7rocprim17ROCPRIM_400000_NS6detail17trampoline_kernelINS0_14default_configENS1_35radix_sort_onesweep_config_selectorIilEEZZNS1_29radix_sort_onesweep_iterationIS3_Lb0EPiS7_N6thrust23THRUST_200600_302600_NS10device_ptrIlEESB_jNS0_19identity_decomposerENS1_16block_id_wrapperIjLb0EEEEE10hipError_tT1_PNSt15iterator_traitsISG_E10value_typeET2_T3_PNSH_ISM_E10value_typeET4_T5_PSR_SS_PNS1_23onesweep_lookback_stateEbbT6_jjT7_P12ihipStream_tbENKUlT_T0_SG_SL_E_clIS7_S7_SB_SB_EEDaSZ_S10_SG_SL_EUlSZ_E_NS1_11comp_targetILNS1_3genE6ELNS1_11target_archE950ELNS1_3gpuE13ELNS1_3repE0EEENS1_47radix_sort_onesweep_sort_config_static_selectorELNS0_4arch9wavefront6targetE1EEEvSG_.num_vgpr, 0
	.set _ZN7rocprim17ROCPRIM_400000_NS6detail17trampoline_kernelINS0_14default_configENS1_35radix_sort_onesweep_config_selectorIilEEZZNS1_29radix_sort_onesweep_iterationIS3_Lb0EPiS7_N6thrust23THRUST_200600_302600_NS10device_ptrIlEESB_jNS0_19identity_decomposerENS1_16block_id_wrapperIjLb0EEEEE10hipError_tT1_PNSt15iterator_traitsISG_E10value_typeET2_T3_PNSH_ISM_E10value_typeET4_T5_PSR_SS_PNS1_23onesweep_lookback_stateEbbT6_jjT7_P12ihipStream_tbENKUlT_T0_SG_SL_E_clIS7_S7_SB_SB_EEDaSZ_S10_SG_SL_EUlSZ_E_NS1_11comp_targetILNS1_3genE6ELNS1_11target_archE950ELNS1_3gpuE13ELNS1_3repE0EEENS1_47radix_sort_onesweep_sort_config_static_selectorELNS0_4arch9wavefront6targetE1EEEvSG_.num_agpr, 0
	.set _ZN7rocprim17ROCPRIM_400000_NS6detail17trampoline_kernelINS0_14default_configENS1_35radix_sort_onesweep_config_selectorIilEEZZNS1_29radix_sort_onesweep_iterationIS3_Lb0EPiS7_N6thrust23THRUST_200600_302600_NS10device_ptrIlEESB_jNS0_19identity_decomposerENS1_16block_id_wrapperIjLb0EEEEE10hipError_tT1_PNSt15iterator_traitsISG_E10value_typeET2_T3_PNSH_ISM_E10value_typeET4_T5_PSR_SS_PNS1_23onesweep_lookback_stateEbbT6_jjT7_P12ihipStream_tbENKUlT_T0_SG_SL_E_clIS7_S7_SB_SB_EEDaSZ_S10_SG_SL_EUlSZ_E_NS1_11comp_targetILNS1_3genE6ELNS1_11target_archE950ELNS1_3gpuE13ELNS1_3repE0EEENS1_47radix_sort_onesweep_sort_config_static_selectorELNS0_4arch9wavefront6targetE1EEEvSG_.numbered_sgpr, 0
	.set _ZN7rocprim17ROCPRIM_400000_NS6detail17trampoline_kernelINS0_14default_configENS1_35radix_sort_onesweep_config_selectorIilEEZZNS1_29radix_sort_onesweep_iterationIS3_Lb0EPiS7_N6thrust23THRUST_200600_302600_NS10device_ptrIlEESB_jNS0_19identity_decomposerENS1_16block_id_wrapperIjLb0EEEEE10hipError_tT1_PNSt15iterator_traitsISG_E10value_typeET2_T3_PNSH_ISM_E10value_typeET4_T5_PSR_SS_PNS1_23onesweep_lookback_stateEbbT6_jjT7_P12ihipStream_tbENKUlT_T0_SG_SL_E_clIS7_S7_SB_SB_EEDaSZ_S10_SG_SL_EUlSZ_E_NS1_11comp_targetILNS1_3genE6ELNS1_11target_archE950ELNS1_3gpuE13ELNS1_3repE0EEENS1_47radix_sort_onesweep_sort_config_static_selectorELNS0_4arch9wavefront6targetE1EEEvSG_.num_named_barrier, 0
	.set _ZN7rocprim17ROCPRIM_400000_NS6detail17trampoline_kernelINS0_14default_configENS1_35radix_sort_onesweep_config_selectorIilEEZZNS1_29radix_sort_onesweep_iterationIS3_Lb0EPiS7_N6thrust23THRUST_200600_302600_NS10device_ptrIlEESB_jNS0_19identity_decomposerENS1_16block_id_wrapperIjLb0EEEEE10hipError_tT1_PNSt15iterator_traitsISG_E10value_typeET2_T3_PNSH_ISM_E10value_typeET4_T5_PSR_SS_PNS1_23onesweep_lookback_stateEbbT6_jjT7_P12ihipStream_tbENKUlT_T0_SG_SL_E_clIS7_S7_SB_SB_EEDaSZ_S10_SG_SL_EUlSZ_E_NS1_11comp_targetILNS1_3genE6ELNS1_11target_archE950ELNS1_3gpuE13ELNS1_3repE0EEENS1_47radix_sort_onesweep_sort_config_static_selectorELNS0_4arch9wavefront6targetE1EEEvSG_.private_seg_size, 0
	.set _ZN7rocprim17ROCPRIM_400000_NS6detail17trampoline_kernelINS0_14default_configENS1_35radix_sort_onesweep_config_selectorIilEEZZNS1_29radix_sort_onesweep_iterationIS3_Lb0EPiS7_N6thrust23THRUST_200600_302600_NS10device_ptrIlEESB_jNS0_19identity_decomposerENS1_16block_id_wrapperIjLb0EEEEE10hipError_tT1_PNSt15iterator_traitsISG_E10value_typeET2_T3_PNSH_ISM_E10value_typeET4_T5_PSR_SS_PNS1_23onesweep_lookback_stateEbbT6_jjT7_P12ihipStream_tbENKUlT_T0_SG_SL_E_clIS7_S7_SB_SB_EEDaSZ_S10_SG_SL_EUlSZ_E_NS1_11comp_targetILNS1_3genE6ELNS1_11target_archE950ELNS1_3gpuE13ELNS1_3repE0EEENS1_47radix_sort_onesweep_sort_config_static_selectorELNS0_4arch9wavefront6targetE1EEEvSG_.uses_vcc, 0
	.set _ZN7rocprim17ROCPRIM_400000_NS6detail17trampoline_kernelINS0_14default_configENS1_35radix_sort_onesweep_config_selectorIilEEZZNS1_29radix_sort_onesweep_iterationIS3_Lb0EPiS7_N6thrust23THRUST_200600_302600_NS10device_ptrIlEESB_jNS0_19identity_decomposerENS1_16block_id_wrapperIjLb0EEEEE10hipError_tT1_PNSt15iterator_traitsISG_E10value_typeET2_T3_PNSH_ISM_E10value_typeET4_T5_PSR_SS_PNS1_23onesweep_lookback_stateEbbT6_jjT7_P12ihipStream_tbENKUlT_T0_SG_SL_E_clIS7_S7_SB_SB_EEDaSZ_S10_SG_SL_EUlSZ_E_NS1_11comp_targetILNS1_3genE6ELNS1_11target_archE950ELNS1_3gpuE13ELNS1_3repE0EEENS1_47radix_sort_onesweep_sort_config_static_selectorELNS0_4arch9wavefront6targetE1EEEvSG_.uses_flat_scratch, 0
	.set _ZN7rocprim17ROCPRIM_400000_NS6detail17trampoline_kernelINS0_14default_configENS1_35radix_sort_onesweep_config_selectorIilEEZZNS1_29radix_sort_onesweep_iterationIS3_Lb0EPiS7_N6thrust23THRUST_200600_302600_NS10device_ptrIlEESB_jNS0_19identity_decomposerENS1_16block_id_wrapperIjLb0EEEEE10hipError_tT1_PNSt15iterator_traitsISG_E10value_typeET2_T3_PNSH_ISM_E10value_typeET4_T5_PSR_SS_PNS1_23onesweep_lookback_stateEbbT6_jjT7_P12ihipStream_tbENKUlT_T0_SG_SL_E_clIS7_S7_SB_SB_EEDaSZ_S10_SG_SL_EUlSZ_E_NS1_11comp_targetILNS1_3genE6ELNS1_11target_archE950ELNS1_3gpuE13ELNS1_3repE0EEENS1_47radix_sort_onesweep_sort_config_static_selectorELNS0_4arch9wavefront6targetE1EEEvSG_.has_dyn_sized_stack, 0
	.set _ZN7rocprim17ROCPRIM_400000_NS6detail17trampoline_kernelINS0_14default_configENS1_35radix_sort_onesweep_config_selectorIilEEZZNS1_29radix_sort_onesweep_iterationIS3_Lb0EPiS7_N6thrust23THRUST_200600_302600_NS10device_ptrIlEESB_jNS0_19identity_decomposerENS1_16block_id_wrapperIjLb0EEEEE10hipError_tT1_PNSt15iterator_traitsISG_E10value_typeET2_T3_PNSH_ISM_E10value_typeET4_T5_PSR_SS_PNS1_23onesweep_lookback_stateEbbT6_jjT7_P12ihipStream_tbENKUlT_T0_SG_SL_E_clIS7_S7_SB_SB_EEDaSZ_S10_SG_SL_EUlSZ_E_NS1_11comp_targetILNS1_3genE6ELNS1_11target_archE950ELNS1_3gpuE13ELNS1_3repE0EEENS1_47radix_sort_onesweep_sort_config_static_selectorELNS0_4arch9wavefront6targetE1EEEvSG_.has_recursion, 0
	.set _ZN7rocprim17ROCPRIM_400000_NS6detail17trampoline_kernelINS0_14default_configENS1_35radix_sort_onesweep_config_selectorIilEEZZNS1_29radix_sort_onesweep_iterationIS3_Lb0EPiS7_N6thrust23THRUST_200600_302600_NS10device_ptrIlEESB_jNS0_19identity_decomposerENS1_16block_id_wrapperIjLb0EEEEE10hipError_tT1_PNSt15iterator_traitsISG_E10value_typeET2_T3_PNSH_ISM_E10value_typeET4_T5_PSR_SS_PNS1_23onesweep_lookback_stateEbbT6_jjT7_P12ihipStream_tbENKUlT_T0_SG_SL_E_clIS7_S7_SB_SB_EEDaSZ_S10_SG_SL_EUlSZ_E_NS1_11comp_targetILNS1_3genE6ELNS1_11target_archE950ELNS1_3gpuE13ELNS1_3repE0EEENS1_47radix_sort_onesweep_sort_config_static_selectorELNS0_4arch9wavefront6targetE1EEEvSG_.has_indirect_call, 0
	.section	.AMDGPU.csdata,"",@progbits
; Kernel info:
; codeLenInByte = 0
; TotalNumSgprs: 4
; NumVgprs: 0
; ScratchSize: 0
; MemoryBound: 0
; FloatMode: 240
; IeeeMode: 1
; LDSByteSize: 0 bytes/workgroup (compile time only)
; SGPRBlocks: 0
; VGPRBlocks: 0
; NumSGPRsForWavesPerEU: 4
; NumVGPRsForWavesPerEU: 1
; Occupancy: 10
; WaveLimiterHint : 0
; COMPUTE_PGM_RSRC2:SCRATCH_EN: 0
; COMPUTE_PGM_RSRC2:USER_SGPR: 6
; COMPUTE_PGM_RSRC2:TRAP_HANDLER: 0
; COMPUTE_PGM_RSRC2:TGID_X_EN: 1
; COMPUTE_PGM_RSRC2:TGID_Y_EN: 0
; COMPUTE_PGM_RSRC2:TGID_Z_EN: 0
; COMPUTE_PGM_RSRC2:TIDIG_COMP_CNT: 0
	.section	.text._ZN7rocprim17ROCPRIM_400000_NS6detail17trampoline_kernelINS0_14default_configENS1_35radix_sort_onesweep_config_selectorIilEEZZNS1_29radix_sort_onesweep_iterationIS3_Lb0EPiS7_N6thrust23THRUST_200600_302600_NS10device_ptrIlEESB_jNS0_19identity_decomposerENS1_16block_id_wrapperIjLb0EEEEE10hipError_tT1_PNSt15iterator_traitsISG_E10value_typeET2_T3_PNSH_ISM_E10value_typeET4_T5_PSR_SS_PNS1_23onesweep_lookback_stateEbbT6_jjT7_P12ihipStream_tbENKUlT_T0_SG_SL_E_clIS7_S7_SB_SB_EEDaSZ_S10_SG_SL_EUlSZ_E_NS1_11comp_targetILNS1_3genE5ELNS1_11target_archE942ELNS1_3gpuE9ELNS1_3repE0EEENS1_47radix_sort_onesweep_sort_config_static_selectorELNS0_4arch9wavefront6targetE1EEEvSG_,"axG",@progbits,_ZN7rocprim17ROCPRIM_400000_NS6detail17trampoline_kernelINS0_14default_configENS1_35radix_sort_onesweep_config_selectorIilEEZZNS1_29radix_sort_onesweep_iterationIS3_Lb0EPiS7_N6thrust23THRUST_200600_302600_NS10device_ptrIlEESB_jNS0_19identity_decomposerENS1_16block_id_wrapperIjLb0EEEEE10hipError_tT1_PNSt15iterator_traitsISG_E10value_typeET2_T3_PNSH_ISM_E10value_typeET4_T5_PSR_SS_PNS1_23onesweep_lookback_stateEbbT6_jjT7_P12ihipStream_tbENKUlT_T0_SG_SL_E_clIS7_S7_SB_SB_EEDaSZ_S10_SG_SL_EUlSZ_E_NS1_11comp_targetILNS1_3genE5ELNS1_11target_archE942ELNS1_3gpuE9ELNS1_3repE0EEENS1_47radix_sort_onesweep_sort_config_static_selectorELNS0_4arch9wavefront6targetE1EEEvSG_,comdat
	.protected	_ZN7rocprim17ROCPRIM_400000_NS6detail17trampoline_kernelINS0_14default_configENS1_35radix_sort_onesweep_config_selectorIilEEZZNS1_29radix_sort_onesweep_iterationIS3_Lb0EPiS7_N6thrust23THRUST_200600_302600_NS10device_ptrIlEESB_jNS0_19identity_decomposerENS1_16block_id_wrapperIjLb0EEEEE10hipError_tT1_PNSt15iterator_traitsISG_E10value_typeET2_T3_PNSH_ISM_E10value_typeET4_T5_PSR_SS_PNS1_23onesweep_lookback_stateEbbT6_jjT7_P12ihipStream_tbENKUlT_T0_SG_SL_E_clIS7_S7_SB_SB_EEDaSZ_S10_SG_SL_EUlSZ_E_NS1_11comp_targetILNS1_3genE5ELNS1_11target_archE942ELNS1_3gpuE9ELNS1_3repE0EEENS1_47radix_sort_onesweep_sort_config_static_selectorELNS0_4arch9wavefront6targetE1EEEvSG_ ; -- Begin function _ZN7rocprim17ROCPRIM_400000_NS6detail17trampoline_kernelINS0_14default_configENS1_35radix_sort_onesweep_config_selectorIilEEZZNS1_29radix_sort_onesweep_iterationIS3_Lb0EPiS7_N6thrust23THRUST_200600_302600_NS10device_ptrIlEESB_jNS0_19identity_decomposerENS1_16block_id_wrapperIjLb0EEEEE10hipError_tT1_PNSt15iterator_traitsISG_E10value_typeET2_T3_PNSH_ISM_E10value_typeET4_T5_PSR_SS_PNS1_23onesweep_lookback_stateEbbT6_jjT7_P12ihipStream_tbENKUlT_T0_SG_SL_E_clIS7_S7_SB_SB_EEDaSZ_S10_SG_SL_EUlSZ_E_NS1_11comp_targetILNS1_3genE5ELNS1_11target_archE942ELNS1_3gpuE9ELNS1_3repE0EEENS1_47radix_sort_onesweep_sort_config_static_selectorELNS0_4arch9wavefront6targetE1EEEvSG_
	.globl	_ZN7rocprim17ROCPRIM_400000_NS6detail17trampoline_kernelINS0_14default_configENS1_35radix_sort_onesweep_config_selectorIilEEZZNS1_29radix_sort_onesweep_iterationIS3_Lb0EPiS7_N6thrust23THRUST_200600_302600_NS10device_ptrIlEESB_jNS0_19identity_decomposerENS1_16block_id_wrapperIjLb0EEEEE10hipError_tT1_PNSt15iterator_traitsISG_E10value_typeET2_T3_PNSH_ISM_E10value_typeET4_T5_PSR_SS_PNS1_23onesweep_lookback_stateEbbT6_jjT7_P12ihipStream_tbENKUlT_T0_SG_SL_E_clIS7_S7_SB_SB_EEDaSZ_S10_SG_SL_EUlSZ_E_NS1_11comp_targetILNS1_3genE5ELNS1_11target_archE942ELNS1_3gpuE9ELNS1_3repE0EEENS1_47radix_sort_onesweep_sort_config_static_selectorELNS0_4arch9wavefront6targetE1EEEvSG_
	.p2align	8
	.type	_ZN7rocprim17ROCPRIM_400000_NS6detail17trampoline_kernelINS0_14default_configENS1_35radix_sort_onesweep_config_selectorIilEEZZNS1_29radix_sort_onesweep_iterationIS3_Lb0EPiS7_N6thrust23THRUST_200600_302600_NS10device_ptrIlEESB_jNS0_19identity_decomposerENS1_16block_id_wrapperIjLb0EEEEE10hipError_tT1_PNSt15iterator_traitsISG_E10value_typeET2_T3_PNSH_ISM_E10value_typeET4_T5_PSR_SS_PNS1_23onesweep_lookback_stateEbbT6_jjT7_P12ihipStream_tbENKUlT_T0_SG_SL_E_clIS7_S7_SB_SB_EEDaSZ_S10_SG_SL_EUlSZ_E_NS1_11comp_targetILNS1_3genE5ELNS1_11target_archE942ELNS1_3gpuE9ELNS1_3repE0EEENS1_47radix_sort_onesweep_sort_config_static_selectorELNS0_4arch9wavefront6targetE1EEEvSG_,@function
_ZN7rocprim17ROCPRIM_400000_NS6detail17trampoline_kernelINS0_14default_configENS1_35radix_sort_onesweep_config_selectorIilEEZZNS1_29radix_sort_onesweep_iterationIS3_Lb0EPiS7_N6thrust23THRUST_200600_302600_NS10device_ptrIlEESB_jNS0_19identity_decomposerENS1_16block_id_wrapperIjLb0EEEEE10hipError_tT1_PNSt15iterator_traitsISG_E10value_typeET2_T3_PNSH_ISM_E10value_typeET4_T5_PSR_SS_PNS1_23onesweep_lookback_stateEbbT6_jjT7_P12ihipStream_tbENKUlT_T0_SG_SL_E_clIS7_S7_SB_SB_EEDaSZ_S10_SG_SL_EUlSZ_E_NS1_11comp_targetILNS1_3genE5ELNS1_11target_archE942ELNS1_3gpuE9ELNS1_3repE0EEENS1_47radix_sort_onesweep_sort_config_static_selectorELNS0_4arch9wavefront6targetE1EEEvSG_: ; @_ZN7rocprim17ROCPRIM_400000_NS6detail17trampoline_kernelINS0_14default_configENS1_35radix_sort_onesweep_config_selectorIilEEZZNS1_29radix_sort_onesweep_iterationIS3_Lb0EPiS7_N6thrust23THRUST_200600_302600_NS10device_ptrIlEESB_jNS0_19identity_decomposerENS1_16block_id_wrapperIjLb0EEEEE10hipError_tT1_PNSt15iterator_traitsISG_E10value_typeET2_T3_PNSH_ISM_E10value_typeET4_T5_PSR_SS_PNS1_23onesweep_lookback_stateEbbT6_jjT7_P12ihipStream_tbENKUlT_T0_SG_SL_E_clIS7_S7_SB_SB_EEDaSZ_S10_SG_SL_EUlSZ_E_NS1_11comp_targetILNS1_3genE5ELNS1_11target_archE942ELNS1_3gpuE9ELNS1_3repE0EEENS1_47radix_sort_onesweep_sort_config_static_selectorELNS0_4arch9wavefront6targetE1EEEvSG_
; %bb.0:
	.section	.rodata,"a",@progbits
	.p2align	6, 0x0
	.amdhsa_kernel _ZN7rocprim17ROCPRIM_400000_NS6detail17trampoline_kernelINS0_14default_configENS1_35radix_sort_onesweep_config_selectorIilEEZZNS1_29radix_sort_onesweep_iterationIS3_Lb0EPiS7_N6thrust23THRUST_200600_302600_NS10device_ptrIlEESB_jNS0_19identity_decomposerENS1_16block_id_wrapperIjLb0EEEEE10hipError_tT1_PNSt15iterator_traitsISG_E10value_typeET2_T3_PNSH_ISM_E10value_typeET4_T5_PSR_SS_PNS1_23onesweep_lookback_stateEbbT6_jjT7_P12ihipStream_tbENKUlT_T0_SG_SL_E_clIS7_S7_SB_SB_EEDaSZ_S10_SG_SL_EUlSZ_E_NS1_11comp_targetILNS1_3genE5ELNS1_11target_archE942ELNS1_3gpuE9ELNS1_3repE0EEENS1_47radix_sort_onesweep_sort_config_static_selectorELNS0_4arch9wavefront6targetE1EEEvSG_
		.amdhsa_group_segment_fixed_size 0
		.amdhsa_private_segment_fixed_size 0
		.amdhsa_kernarg_size 88
		.amdhsa_user_sgpr_count 6
		.amdhsa_user_sgpr_private_segment_buffer 1
		.amdhsa_user_sgpr_dispatch_ptr 0
		.amdhsa_user_sgpr_queue_ptr 0
		.amdhsa_user_sgpr_kernarg_segment_ptr 1
		.amdhsa_user_sgpr_dispatch_id 0
		.amdhsa_user_sgpr_flat_scratch_init 0
		.amdhsa_user_sgpr_private_segment_size 0
		.amdhsa_uses_dynamic_stack 0
		.amdhsa_system_sgpr_private_segment_wavefront_offset 0
		.amdhsa_system_sgpr_workgroup_id_x 1
		.amdhsa_system_sgpr_workgroup_id_y 0
		.amdhsa_system_sgpr_workgroup_id_z 0
		.amdhsa_system_sgpr_workgroup_info 0
		.amdhsa_system_vgpr_workitem_id 0
		.amdhsa_next_free_vgpr 1
		.amdhsa_next_free_sgpr 0
		.amdhsa_reserve_vcc 0
		.amdhsa_reserve_flat_scratch 0
		.amdhsa_float_round_mode_32 0
		.amdhsa_float_round_mode_16_64 0
		.amdhsa_float_denorm_mode_32 3
		.amdhsa_float_denorm_mode_16_64 3
		.amdhsa_dx10_clamp 1
		.amdhsa_ieee_mode 1
		.amdhsa_fp16_overflow 0
		.amdhsa_exception_fp_ieee_invalid_op 0
		.amdhsa_exception_fp_denorm_src 0
		.amdhsa_exception_fp_ieee_div_zero 0
		.amdhsa_exception_fp_ieee_overflow 0
		.amdhsa_exception_fp_ieee_underflow 0
		.amdhsa_exception_fp_ieee_inexact 0
		.amdhsa_exception_int_div_zero 0
	.end_amdhsa_kernel
	.section	.text._ZN7rocprim17ROCPRIM_400000_NS6detail17trampoline_kernelINS0_14default_configENS1_35radix_sort_onesweep_config_selectorIilEEZZNS1_29radix_sort_onesweep_iterationIS3_Lb0EPiS7_N6thrust23THRUST_200600_302600_NS10device_ptrIlEESB_jNS0_19identity_decomposerENS1_16block_id_wrapperIjLb0EEEEE10hipError_tT1_PNSt15iterator_traitsISG_E10value_typeET2_T3_PNSH_ISM_E10value_typeET4_T5_PSR_SS_PNS1_23onesweep_lookback_stateEbbT6_jjT7_P12ihipStream_tbENKUlT_T0_SG_SL_E_clIS7_S7_SB_SB_EEDaSZ_S10_SG_SL_EUlSZ_E_NS1_11comp_targetILNS1_3genE5ELNS1_11target_archE942ELNS1_3gpuE9ELNS1_3repE0EEENS1_47radix_sort_onesweep_sort_config_static_selectorELNS0_4arch9wavefront6targetE1EEEvSG_,"axG",@progbits,_ZN7rocprim17ROCPRIM_400000_NS6detail17trampoline_kernelINS0_14default_configENS1_35radix_sort_onesweep_config_selectorIilEEZZNS1_29radix_sort_onesweep_iterationIS3_Lb0EPiS7_N6thrust23THRUST_200600_302600_NS10device_ptrIlEESB_jNS0_19identity_decomposerENS1_16block_id_wrapperIjLb0EEEEE10hipError_tT1_PNSt15iterator_traitsISG_E10value_typeET2_T3_PNSH_ISM_E10value_typeET4_T5_PSR_SS_PNS1_23onesweep_lookback_stateEbbT6_jjT7_P12ihipStream_tbENKUlT_T0_SG_SL_E_clIS7_S7_SB_SB_EEDaSZ_S10_SG_SL_EUlSZ_E_NS1_11comp_targetILNS1_3genE5ELNS1_11target_archE942ELNS1_3gpuE9ELNS1_3repE0EEENS1_47radix_sort_onesweep_sort_config_static_selectorELNS0_4arch9wavefront6targetE1EEEvSG_,comdat
.Lfunc_end895:
	.size	_ZN7rocprim17ROCPRIM_400000_NS6detail17trampoline_kernelINS0_14default_configENS1_35radix_sort_onesweep_config_selectorIilEEZZNS1_29radix_sort_onesweep_iterationIS3_Lb0EPiS7_N6thrust23THRUST_200600_302600_NS10device_ptrIlEESB_jNS0_19identity_decomposerENS1_16block_id_wrapperIjLb0EEEEE10hipError_tT1_PNSt15iterator_traitsISG_E10value_typeET2_T3_PNSH_ISM_E10value_typeET4_T5_PSR_SS_PNS1_23onesweep_lookback_stateEbbT6_jjT7_P12ihipStream_tbENKUlT_T0_SG_SL_E_clIS7_S7_SB_SB_EEDaSZ_S10_SG_SL_EUlSZ_E_NS1_11comp_targetILNS1_3genE5ELNS1_11target_archE942ELNS1_3gpuE9ELNS1_3repE0EEENS1_47radix_sort_onesweep_sort_config_static_selectorELNS0_4arch9wavefront6targetE1EEEvSG_, .Lfunc_end895-_ZN7rocprim17ROCPRIM_400000_NS6detail17trampoline_kernelINS0_14default_configENS1_35radix_sort_onesweep_config_selectorIilEEZZNS1_29radix_sort_onesweep_iterationIS3_Lb0EPiS7_N6thrust23THRUST_200600_302600_NS10device_ptrIlEESB_jNS0_19identity_decomposerENS1_16block_id_wrapperIjLb0EEEEE10hipError_tT1_PNSt15iterator_traitsISG_E10value_typeET2_T3_PNSH_ISM_E10value_typeET4_T5_PSR_SS_PNS1_23onesweep_lookback_stateEbbT6_jjT7_P12ihipStream_tbENKUlT_T0_SG_SL_E_clIS7_S7_SB_SB_EEDaSZ_S10_SG_SL_EUlSZ_E_NS1_11comp_targetILNS1_3genE5ELNS1_11target_archE942ELNS1_3gpuE9ELNS1_3repE0EEENS1_47radix_sort_onesweep_sort_config_static_selectorELNS0_4arch9wavefront6targetE1EEEvSG_
                                        ; -- End function
	.set _ZN7rocprim17ROCPRIM_400000_NS6detail17trampoline_kernelINS0_14default_configENS1_35radix_sort_onesweep_config_selectorIilEEZZNS1_29radix_sort_onesweep_iterationIS3_Lb0EPiS7_N6thrust23THRUST_200600_302600_NS10device_ptrIlEESB_jNS0_19identity_decomposerENS1_16block_id_wrapperIjLb0EEEEE10hipError_tT1_PNSt15iterator_traitsISG_E10value_typeET2_T3_PNSH_ISM_E10value_typeET4_T5_PSR_SS_PNS1_23onesweep_lookback_stateEbbT6_jjT7_P12ihipStream_tbENKUlT_T0_SG_SL_E_clIS7_S7_SB_SB_EEDaSZ_S10_SG_SL_EUlSZ_E_NS1_11comp_targetILNS1_3genE5ELNS1_11target_archE942ELNS1_3gpuE9ELNS1_3repE0EEENS1_47radix_sort_onesweep_sort_config_static_selectorELNS0_4arch9wavefront6targetE1EEEvSG_.num_vgpr, 0
	.set _ZN7rocprim17ROCPRIM_400000_NS6detail17trampoline_kernelINS0_14default_configENS1_35radix_sort_onesweep_config_selectorIilEEZZNS1_29radix_sort_onesweep_iterationIS3_Lb0EPiS7_N6thrust23THRUST_200600_302600_NS10device_ptrIlEESB_jNS0_19identity_decomposerENS1_16block_id_wrapperIjLb0EEEEE10hipError_tT1_PNSt15iterator_traitsISG_E10value_typeET2_T3_PNSH_ISM_E10value_typeET4_T5_PSR_SS_PNS1_23onesweep_lookback_stateEbbT6_jjT7_P12ihipStream_tbENKUlT_T0_SG_SL_E_clIS7_S7_SB_SB_EEDaSZ_S10_SG_SL_EUlSZ_E_NS1_11comp_targetILNS1_3genE5ELNS1_11target_archE942ELNS1_3gpuE9ELNS1_3repE0EEENS1_47radix_sort_onesweep_sort_config_static_selectorELNS0_4arch9wavefront6targetE1EEEvSG_.num_agpr, 0
	.set _ZN7rocprim17ROCPRIM_400000_NS6detail17trampoline_kernelINS0_14default_configENS1_35radix_sort_onesweep_config_selectorIilEEZZNS1_29radix_sort_onesweep_iterationIS3_Lb0EPiS7_N6thrust23THRUST_200600_302600_NS10device_ptrIlEESB_jNS0_19identity_decomposerENS1_16block_id_wrapperIjLb0EEEEE10hipError_tT1_PNSt15iterator_traitsISG_E10value_typeET2_T3_PNSH_ISM_E10value_typeET4_T5_PSR_SS_PNS1_23onesweep_lookback_stateEbbT6_jjT7_P12ihipStream_tbENKUlT_T0_SG_SL_E_clIS7_S7_SB_SB_EEDaSZ_S10_SG_SL_EUlSZ_E_NS1_11comp_targetILNS1_3genE5ELNS1_11target_archE942ELNS1_3gpuE9ELNS1_3repE0EEENS1_47radix_sort_onesweep_sort_config_static_selectorELNS0_4arch9wavefront6targetE1EEEvSG_.numbered_sgpr, 0
	.set _ZN7rocprim17ROCPRIM_400000_NS6detail17trampoline_kernelINS0_14default_configENS1_35radix_sort_onesweep_config_selectorIilEEZZNS1_29radix_sort_onesweep_iterationIS3_Lb0EPiS7_N6thrust23THRUST_200600_302600_NS10device_ptrIlEESB_jNS0_19identity_decomposerENS1_16block_id_wrapperIjLb0EEEEE10hipError_tT1_PNSt15iterator_traitsISG_E10value_typeET2_T3_PNSH_ISM_E10value_typeET4_T5_PSR_SS_PNS1_23onesweep_lookback_stateEbbT6_jjT7_P12ihipStream_tbENKUlT_T0_SG_SL_E_clIS7_S7_SB_SB_EEDaSZ_S10_SG_SL_EUlSZ_E_NS1_11comp_targetILNS1_3genE5ELNS1_11target_archE942ELNS1_3gpuE9ELNS1_3repE0EEENS1_47radix_sort_onesweep_sort_config_static_selectorELNS0_4arch9wavefront6targetE1EEEvSG_.num_named_barrier, 0
	.set _ZN7rocprim17ROCPRIM_400000_NS6detail17trampoline_kernelINS0_14default_configENS1_35radix_sort_onesweep_config_selectorIilEEZZNS1_29radix_sort_onesweep_iterationIS3_Lb0EPiS7_N6thrust23THRUST_200600_302600_NS10device_ptrIlEESB_jNS0_19identity_decomposerENS1_16block_id_wrapperIjLb0EEEEE10hipError_tT1_PNSt15iterator_traitsISG_E10value_typeET2_T3_PNSH_ISM_E10value_typeET4_T5_PSR_SS_PNS1_23onesweep_lookback_stateEbbT6_jjT7_P12ihipStream_tbENKUlT_T0_SG_SL_E_clIS7_S7_SB_SB_EEDaSZ_S10_SG_SL_EUlSZ_E_NS1_11comp_targetILNS1_3genE5ELNS1_11target_archE942ELNS1_3gpuE9ELNS1_3repE0EEENS1_47radix_sort_onesweep_sort_config_static_selectorELNS0_4arch9wavefront6targetE1EEEvSG_.private_seg_size, 0
	.set _ZN7rocprim17ROCPRIM_400000_NS6detail17trampoline_kernelINS0_14default_configENS1_35radix_sort_onesweep_config_selectorIilEEZZNS1_29radix_sort_onesweep_iterationIS3_Lb0EPiS7_N6thrust23THRUST_200600_302600_NS10device_ptrIlEESB_jNS0_19identity_decomposerENS1_16block_id_wrapperIjLb0EEEEE10hipError_tT1_PNSt15iterator_traitsISG_E10value_typeET2_T3_PNSH_ISM_E10value_typeET4_T5_PSR_SS_PNS1_23onesweep_lookback_stateEbbT6_jjT7_P12ihipStream_tbENKUlT_T0_SG_SL_E_clIS7_S7_SB_SB_EEDaSZ_S10_SG_SL_EUlSZ_E_NS1_11comp_targetILNS1_3genE5ELNS1_11target_archE942ELNS1_3gpuE9ELNS1_3repE0EEENS1_47radix_sort_onesweep_sort_config_static_selectorELNS0_4arch9wavefront6targetE1EEEvSG_.uses_vcc, 0
	.set _ZN7rocprim17ROCPRIM_400000_NS6detail17trampoline_kernelINS0_14default_configENS1_35radix_sort_onesweep_config_selectorIilEEZZNS1_29radix_sort_onesweep_iterationIS3_Lb0EPiS7_N6thrust23THRUST_200600_302600_NS10device_ptrIlEESB_jNS0_19identity_decomposerENS1_16block_id_wrapperIjLb0EEEEE10hipError_tT1_PNSt15iterator_traitsISG_E10value_typeET2_T3_PNSH_ISM_E10value_typeET4_T5_PSR_SS_PNS1_23onesweep_lookback_stateEbbT6_jjT7_P12ihipStream_tbENKUlT_T0_SG_SL_E_clIS7_S7_SB_SB_EEDaSZ_S10_SG_SL_EUlSZ_E_NS1_11comp_targetILNS1_3genE5ELNS1_11target_archE942ELNS1_3gpuE9ELNS1_3repE0EEENS1_47radix_sort_onesweep_sort_config_static_selectorELNS0_4arch9wavefront6targetE1EEEvSG_.uses_flat_scratch, 0
	.set _ZN7rocprim17ROCPRIM_400000_NS6detail17trampoline_kernelINS0_14default_configENS1_35radix_sort_onesweep_config_selectorIilEEZZNS1_29radix_sort_onesweep_iterationIS3_Lb0EPiS7_N6thrust23THRUST_200600_302600_NS10device_ptrIlEESB_jNS0_19identity_decomposerENS1_16block_id_wrapperIjLb0EEEEE10hipError_tT1_PNSt15iterator_traitsISG_E10value_typeET2_T3_PNSH_ISM_E10value_typeET4_T5_PSR_SS_PNS1_23onesweep_lookback_stateEbbT6_jjT7_P12ihipStream_tbENKUlT_T0_SG_SL_E_clIS7_S7_SB_SB_EEDaSZ_S10_SG_SL_EUlSZ_E_NS1_11comp_targetILNS1_3genE5ELNS1_11target_archE942ELNS1_3gpuE9ELNS1_3repE0EEENS1_47radix_sort_onesweep_sort_config_static_selectorELNS0_4arch9wavefront6targetE1EEEvSG_.has_dyn_sized_stack, 0
	.set _ZN7rocprim17ROCPRIM_400000_NS6detail17trampoline_kernelINS0_14default_configENS1_35radix_sort_onesweep_config_selectorIilEEZZNS1_29radix_sort_onesweep_iterationIS3_Lb0EPiS7_N6thrust23THRUST_200600_302600_NS10device_ptrIlEESB_jNS0_19identity_decomposerENS1_16block_id_wrapperIjLb0EEEEE10hipError_tT1_PNSt15iterator_traitsISG_E10value_typeET2_T3_PNSH_ISM_E10value_typeET4_T5_PSR_SS_PNS1_23onesweep_lookback_stateEbbT6_jjT7_P12ihipStream_tbENKUlT_T0_SG_SL_E_clIS7_S7_SB_SB_EEDaSZ_S10_SG_SL_EUlSZ_E_NS1_11comp_targetILNS1_3genE5ELNS1_11target_archE942ELNS1_3gpuE9ELNS1_3repE0EEENS1_47radix_sort_onesweep_sort_config_static_selectorELNS0_4arch9wavefront6targetE1EEEvSG_.has_recursion, 0
	.set _ZN7rocprim17ROCPRIM_400000_NS6detail17trampoline_kernelINS0_14default_configENS1_35radix_sort_onesweep_config_selectorIilEEZZNS1_29radix_sort_onesweep_iterationIS3_Lb0EPiS7_N6thrust23THRUST_200600_302600_NS10device_ptrIlEESB_jNS0_19identity_decomposerENS1_16block_id_wrapperIjLb0EEEEE10hipError_tT1_PNSt15iterator_traitsISG_E10value_typeET2_T3_PNSH_ISM_E10value_typeET4_T5_PSR_SS_PNS1_23onesweep_lookback_stateEbbT6_jjT7_P12ihipStream_tbENKUlT_T0_SG_SL_E_clIS7_S7_SB_SB_EEDaSZ_S10_SG_SL_EUlSZ_E_NS1_11comp_targetILNS1_3genE5ELNS1_11target_archE942ELNS1_3gpuE9ELNS1_3repE0EEENS1_47radix_sort_onesweep_sort_config_static_selectorELNS0_4arch9wavefront6targetE1EEEvSG_.has_indirect_call, 0
	.section	.AMDGPU.csdata,"",@progbits
; Kernel info:
; codeLenInByte = 0
; TotalNumSgprs: 4
; NumVgprs: 0
; ScratchSize: 0
; MemoryBound: 0
; FloatMode: 240
; IeeeMode: 1
; LDSByteSize: 0 bytes/workgroup (compile time only)
; SGPRBlocks: 0
; VGPRBlocks: 0
; NumSGPRsForWavesPerEU: 4
; NumVGPRsForWavesPerEU: 1
; Occupancy: 10
; WaveLimiterHint : 0
; COMPUTE_PGM_RSRC2:SCRATCH_EN: 0
; COMPUTE_PGM_RSRC2:USER_SGPR: 6
; COMPUTE_PGM_RSRC2:TRAP_HANDLER: 0
; COMPUTE_PGM_RSRC2:TGID_X_EN: 1
; COMPUTE_PGM_RSRC2:TGID_Y_EN: 0
; COMPUTE_PGM_RSRC2:TGID_Z_EN: 0
; COMPUTE_PGM_RSRC2:TIDIG_COMP_CNT: 0
	.section	.text._ZN7rocprim17ROCPRIM_400000_NS6detail17trampoline_kernelINS0_14default_configENS1_35radix_sort_onesweep_config_selectorIilEEZZNS1_29radix_sort_onesweep_iterationIS3_Lb0EPiS7_N6thrust23THRUST_200600_302600_NS10device_ptrIlEESB_jNS0_19identity_decomposerENS1_16block_id_wrapperIjLb0EEEEE10hipError_tT1_PNSt15iterator_traitsISG_E10value_typeET2_T3_PNSH_ISM_E10value_typeET4_T5_PSR_SS_PNS1_23onesweep_lookback_stateEbbT6_jjT7_P12ihipStream_tbENKUlT_T0_SG_SL_E_clIS7_S7_SB_SB_EEDaSZ_S10_SG_SL_EUlSZ_E_NS1_11comp_targetILNS1_3genE2ELNS1_11target_archE906ELNS1_3gpuE6ELNS1_3repE0EEENS1_47radix_sort_onesweep_sort_config_static_selectorELNS0_4arch9wavefront6targetE1EEEvSG_,"axG",@progbits,_ZN7rocprim17ROCPRIM_400000_NS6detail17trampoline_kernelINS0_14default_configENS1_35radix_sort_onesweep_config_selectorIilEEZZNS1_29radix_sort_onesweep_iterationIS3_Lb0EPiS7_N6thrust23THRUST_200600_302600_NS10device_ptrIlEESB_jNS0_19identity_decomposerENS1_16block_id_wrapperIjLb0EEEEE10hipError_tT1_PNSt15iterator_traitsISG_E10value_typeET2_T3_PNSH_ISM_E10value_typeET4_T5_PSR_SS_PNS1_23onesweep_lookback_stateEbbT6_jjT7_P12ihipStream_tbENKUlT_T0_SG_SL_E_clIS7_S7_SB_SB_EEDaSZ_S10_SG_SL_EUlSZ_E_NS1_11comp_targetILNS1_3genE2ELNS1_11target_archE906ELNS1_3gpuE6ELNS1_3repE0EEENS1_47radix_sort_onesweep_sort_config_static_selectorELNS0_4arch9wavefront6targetE1EEEvSG_,comdat
	.protected	_ZN7rocprim17ROCPRIM_400000_NS6detail17trampoline_kernelINS0_14default_configENS1_35radix_sort_onesweep_config_selectorIilEEZZNS1_29radix_sort_onesweep_iterationIS3_Lb0EPiS7_N6thrust23THRUST_200600_302600_NS10device_ptrIlEESB_jNS0_19identity_decomposerENS1_16block_id_wrapperIjLb0EEEEE10hipError_tT1_PNSt15iterator_traitsISG_E10value_typeET2_T3_PNSH_ISM_E10value_typeET4_T5_PSR_SS_PNS1_23onesweep_lookback_stateEbbT6_jjT7_P12ihipStream_tbENKUlT_T0_SG_SL_E_clIS7_S7_SB_SB_EEDaSZ_S10_SG_SL_EUlSZ_E_NS1_11comp_targetILNS1_3genE2ELNS1_11target_archE906ELNS1_3gpuE6ELNS1_3repE0EEENS1_47radix_sort_onesweep_sort_config_static_selectorELNS0_4arch9wavefront6targetE1EEEvSG_ ; -- Begin function _ZN7rocprim17ROCPRIM_400000_NS6detail17trampoline_kernelINS0_14default_configENS1_35radix_sort_onesweep_config_selectorIilEEZZNS1_29radix_sort_onesweep_iterationIS3_Lb0EPiS7_N6thrust23THRUST_200600_302600_NS10device_ptrIlEESB_jNS0_19identity_decomposerENS1_16block_id_wrapperIjLb0EEEEE10hipError_tT1_PNSt15iterator_traitsISG_E10value_typeET2_T3_PNSH_ISM_E10value_typeET4_T5_PSR_SS_PNS1_23onesweep_lookback_stateEbbT6_jjT7_P12ihipStream_tbENKUlT_T0_SG_SL_E_clIS7_S7_SB_SB_EEDaSZ_S10_SG_SL_EUlSZ_E_NS1_11comp_targetILNS1_3genE2ELNS1_11target_archE906ELNS1_3gpuE6ELNS1_3repE0EEENS1_47radix_sort_onesweep_sort_config_static_selectorELNS0_4arch9wavefront6targetE1EEEvSG_
	.globl	_ZN7rocprim17ROCPRIM_400000_NS6detail17trampoline_kernelINS0_14default_configENS1_35radix_sort_onesweep_config_selectorIilEEZZNS1_29radix_sort_onesweep_iterationIS3_Lb0EPiS7_N6thrust23THRUST_200600_302600_NS10device_ptrIlEESB_jNS0_19identity_decomposerENS1_16block_id_wrapperIjLb0EEEEE10hipError_tT1_PNSt15iterator_traitsISG_E10value_typeET2_T3_PNSH_ISM_E10value_typeET4_T5_PSR_SS_PNS1_23onesweep_lookback_stateEbbT6_jjT7_P12ihipStream_tbENKUlT_T0_SG_SL_E_clIS7_S7_SB_SB_EEDaSZ_S10_SG_SL_EUlSZ_E_NS1_11comp_targetILNS1_3genE2ELNS1_11target_archE906ELNS1_3gpuE6ELNS1_3repE0EEENS1_47radix_sort_onesweep_sort_config_static_selectorELNS0_4arch9wavefront6targetE1EEEvSG_
	.p2align	8
	.type	_ZN7rocprim17ROCPRIM_400000_NS6detail17trampoline_kernelINS0_14default_configENS1_35radix_sort_onesweep_config_selectorIilEEZZNS1_29radix_sort_onesweep_iterationIS3_Lb0EPiS7_N6thrust23THRUST_200600_302600_NS10device_ptrIlEESB_jNS0_19identity_decomposerENS1_16block_id_wrapperIjLb0EEEEE10hipError_tT1_PNSt15iterator_traitsISG_E10value_typeET2_T3_PNSH_ISM_E10value_typeET4_T5_PSR_SS_PNS1_23onesweep_lookback_stateEbbT6_jjT7_P12ihipStream_tbENKUlT_T0_SG_SL_E_clIS7_S7_SB_SB_EEDaSZ_S10_SG_SL_EUlSZ_E_NS1_11comp_targetILNS1_3genE2ELNS1_11target_archE906ELNS1_3gpuE6ELNS1_3repE0EEENS1_47radix_sort_onesweep_sort_config_static_selectorELNS0_4arch9wavefront6targetE1EEEvSG_,@function
_ZN7rocprim17ROCPRIM_400000_NS6detail17trampoline_kernelINS0_14default_configENS1_35radix_sort_onesweep_config_selectorIilEEZZNS1_29radix_sort_onesweep_iterationIS3_Lb0EPiS7_N6thrust23THRUST_200600_302600_NS10device_ptrIlEESB_jNS0_19identity_decomposerENS1_16block_id_wrapperIjLb0EEEEE10hipError_tT1_PNSt15iterator_traitsISG_E10value_typeET2_T3_PNSH_ISM_E10value_typeET4_T5_PSR_SS_PNS1_23onesweep_lookback_stateEbbT6_jjT7_P12ihipStream_tbENKUlT_T0_SG_SL_E_clIS7_S7_SB_SB_EEDaSZ_S10_SG_SL_EUlSZ_E_NS1_11comp_targetILNS1_3genE2ELNS1_11target_archE906ELNS1_3gpuE6ELNS1_3repE0EEENS1_47radix_sort_onesweep_sort_config_static_selectorELNS0_4arch9wavefront6targetE1EEEvSG_: ; @_ZN7rocprim17ROCPRIM_400000_NS6detail17trampoline_kernelINS0_14default_configENS1_35radix_sort_onesweep_config_selectorIilEEZZNS1_29radix_sort_onesweep_iterationIS3_Lb0EPiS7_N6thrust23THRUST_200600_302600_NS10device_ptrIlEESB_jNS0_19identity_decomposerENS1_16block_id_wrapperIjLb0EEEEE10hipError_tT1_PNSt15iterator_traitsISG_E10value_typeET2_T3_PNSH_ISM_E10value_typeET4_T5_PSR_SS_PNS1_23onesweep_lookback_stateEbbT6_jjT7_P12ihipStream_tbENKUlT_T0_SG_SL_E_clIS7_S7_SB_SB_EEDaSZ_S10_SG_SL_EUlSZ_E_NS1_11comp_targetILNS1_3genE2ELNS1_11target_archE906ELNS1_3gpuE6ELNS1_3repE0EEENS1_47radix_sort_onesweep_sort_config_static_selectorELNS0_4arch9wavefront6targetE1EEEvSG_
; %bb.0:
	s_add_u32 s0, s0, s7
	s_load_dwordx4 s[44:47], s[4:5], 0x44
	s_load_dwordx8 s[36:43], s[4:5], 0x0
	s_load_dwordx4 s[28:31], s[4:5], 0x28
	s_load_dwordx2 s[34:35], s[4:5], 0x38
	s_addc_u32 s1, s1, 0
	s_mov_b64 s[8:9], -1
	s_waitcnt lgkmcnt(0)
	s_cmp_ge_u32 s6, s46
	v_mbcnt_lo_u32_b32 v22, -1, 0
	v_lshlrev_b32_e32 v21, 3, v0
	s_cbranch_scc0 .LBB896_88
; %bb.1:
	s_load_dword s7, s[4:5], 0x20
	s_lshl_b32 s10, s46, 12
	s_lshl_b32 s46, s6, 12
	s_mov_b32 s47, 0
	s_lshl_b64 s[8:9], s[46:47], 2
	s_waitcnt lgkmcnt(0)
	s_sub_i32 s7, s7, s10
	v_mbcnt_hi_u32_b32 v17, -1, v22
	s_add_u32 s8, s36, s8
	v_and_b32_e32 v15, 63, v17
	s_addc_u32 s9, s37, s9
	v_lshlrev_b32_e32 v3, 2, v15
	v_and_b32_e32 v14, 0xe00, v21
	v_mov_b32_e32 v4, s9
	v_add_co_u32_e32 v3, vcc, s8, v3
	v_addc_co_u32_e32 v4, vcc, 0, v4, vcc
	v_lshlrev_b32_e32 v5, 2, v14
	v_add_co_u32_e32 v11, vcc, v3, v5
	v_or_b32_e32 v13, v15, v14
	v_bfrev_b32_e32 v3, -2
	v_addc_co_u32_e32 v12, vcc, 0, v4, vcc
	v_cmp_gt_u32_e64 s[24:25], s7, v13
	v_mov_b32_e32 v4, v3
	v_mov_b32_e32 v5, v3
	;; [unrolled: 1-line block ×7, first 2 shown]
	s_and_saveexec_b64 s[8:9], s[24:25]
	s_cbranch_execz .LBB896_3
; %bb.2:
	global_load_dword v23, v[11:12], off
	v_mov_b32_e32 v24, v3
	v_mov_b32_e32 v25, v3
	;; [unrolled: 1-line block ×7, first 2 shown]
	s_waitcnt vmcnt(0)
	v_mov_b32_e32 v3, v23
	v_mov_b32_e32 v4, v24
	;; [unrolled: 1-line block ×8, first 2 shown]
.LBB896_3:
	s_or_b64 exec, exec, s[8:9]
	v_or_b32_e32 v16, 64, v13
	v_cmp_gt_u32_e64 s[8:9], s7, v16
	s_and_saveexec_b64 s[10:11], s[8:9]
	s_cbranch_execz .LBB896_5
; %bb.4:
	global_load_dword v4, v[11:12], off offset:256
.LBB896_5:
	s_or_b64 exec, exec, s[10:11]
	v_or_b32_e32 v16, 0x80, v13
	v_cmp_gt_u32_e64 s[10:11], s7, v16
	s_and_saveexec_b64 s[12:13], s[10:11]
	s_cbranch_execz .LBB896_7
; %bb.6:
	global_load_dword v5, v[11:12], off offset:512
.LBB896_7:
	;; [unrolled: 8-line block ×7, first 2 shown]
	s_or_b64 exec, exec, s[22:23]
	s_load_dword s22, s[4:5], 0x64
	s_load_dword s33, s[4:5], 0x58
	s_add_u32 s23, s4, 0x58
	s_addc_u32 s26, s5, 0
	v_mov_b32_e32 v11, 0
	s_waitcnt lgkmcnt(0)
	s_lshr_b32 s27, s22, 16
	s_cmp_lt_u32 s6, s33
	s_cselect_b32 s22, 12, 18
	s_add_u32 s22, s23, s22
	s_addc_u32 s23, s26, 0
	global_load_ushort v13, v11, s[22:23]
	v_xor_b32_e32 v16, 0x80000000, v3
	s_lshl_b32 s22, -1, s45
	v_lshrrev_b32_e32 v3, s44, v16
	s_not_b32 s54, s22
	v_and_b32_e32 v3, s54, v3
	v_and_b32_e32 v20, 1, v3
	v_add_co_u32_e32 v24, vcc, -1, v20
	v_lshlrev_b32_e32 v12, 30, v3
	v_addc_co_u32_e64 v25, s[22:23], 0, -1, vcc
	v_cmp_ne_u32_e32 vcc, 0, v20
	v_cmp_gt_i64_e64 s[22:23], 0, v[11:12]
	v_not_b32_e32 v20, v12
	v_lshlrev_b32_e32 v12, 29, v3
	v_xor_b32_e32 v25, vcc_hi, v25
	v_xor_b32_e32 v24, vcc_lo, v24
	v_ashrrev_i32_e32 v20, 31, v20
	v_cmp_gt_i64_e32 vcc, 0, v[11:12]
	v_not_b32_e32 v26, v12
	v_lshlrev_b32_e32 v12, 28, v3
	v_and_b32_e32 v25, exec_hi, v25
	v_and_b32_e32 v24, exec_lo, v24
	v_xor_b32_e32 v27, s23, v20
	v_xor_b32_e32 v20, s22, v20
	v_ashrrev_i32_e32 v26, 31, v26
	v_cmp_gt_i64_e64 s[22:23], 0, v[11:12]
	v_not_b32_e32 v28, v12
	v_lshlrev_b32_e32 v12, 27, v3
	v_and_b32_e32 v25, v25, v27
	v_and_b32_e32 v20, v24, v20
	v_xor_b32_e32 v24, vcc_hi, v26
	v_xor_b32_e32 v26, vcc_lo, v26
	v_ashrrev_i32_e32 v27, 31, v28
	v_cmp_gt_i64_e32 vcc, 0, v[11:12]
	v_not_b32_e32 v28, v12
	v_lshlrev_b32_e32 v12, 26, v3
	v_and_b32_e32 v24, v25, v24
	v_and_b32_e32 v20, v20, v26
	v_xor_b32_e32 v25, s23, v27
	v_xor_b32_e32 v26, s22, v27
	v_ashrrev_i32_e32 v27, 31, v28
	v_cmp_gt_i64_e64 s[22:23], 0, v[11:12]
	v_not_b32_e32 v28, v12
	v_lshlrev_b32_e32 v12, 25, v3
	v_and_b32_e32 v24, v24, v25
	v_and_b32_e32 v20, v20, v26
	v_xor_b32_e32 v25, vcc_hi, v27
	v_xor_b32_e32 v26, vcc_lo, v27
	v_ashrrev_i32_e32 v27, 31, v28
	v_cmp_gt_i64_e32 vcc, 0, v[11:12]
	v_not_b32_e32 v28, v12
	v_mul_lo_u32 v23, v3, 36
	v_lshlrev_b32_e32 v12, 24, v3
	v_and_b32_e32 v3, v24, v25
	v_and_b32_e32 v20, v20, v26
	v_xor_b32_e32 v24, s23, v27
	v_xor_b32_e32 v25, s22, v27
	v_ashrrev_i32_e32 v26, 31, v28
	v_mad_u32_u24 v19, v2, s27, v1
	v_and_b32_e32 v3, v3, v24
	v_and_b32_e32 v20, v20, v25
	v_xor_b32_e32 v24, vcc_hi, v26
	v_xor_b32_e32 v25, vcc_lo, v26
	v_and_b32_e32 v3, v3, v24
	v_and_b32_e32 v24, v20, v25
	v_cmp_gt_i64_e64 s[22:23], 0, v[11:12]
	v_not_b32_e32 v12, v12
	v_ashrrev_i32_e32 v12, 31, v12
	v_xor_b32_e32 v25, s23, v12
	v_xor_b32_e32 v12, s22, v12
	v_and_b32_e32 v12, v24, v12
	v_mul_u32_u24_e32 v18, 20, v0
	ds_write2_b32 v18, v11, v11 offset0:8 offset1:9
	ds_write2_b32 v18, v11, v11 offset0:10 offset1:11
	ds_write_b32 v18, v11 offset:48
	s_waitcnt vmcnt(0) lgkmcnt(0)
	s_barrier
	; wave barrier
	v_mad_u64_u32 v[19:20], s[26:27], v19, v13, v[0:1]
	v_and_b32_e32 v13, v3, v25
	v_cmp_ne_u64_e32 vcc, 0, v[12:13]
	v_lshrrev_b32_e32 v3, 4, v19
	v_and_b32_e32 v39, 0xffffffc, v3
	v_mbcnt_lo_u32_b32 v3, v12, 0
	v_mbcnt_hi_u32_b32 v19, v13, v3
	v_cmp_eq_u32_e64 s[22:23], 0, v19
	s_and_b64 s[26:27], vcc, s[22:23]
	v_add_u32_e32 v32, v39, v23
	s_and_saveexec_b64 s[22:23], s[26:27]
; %bb.18:
	v_bcnt_u32_b32 v3, v12, 0
	v_bcnt_u32_b32 v3, v13, v3
	ds_write_b32 v32, v3 offset:32
; %bb.19:
	s_or_b64 exec, exec, s[22:23]
	v_xor_b32_e32 v13, 0x80000000, v4
	v_lshrrev_b32_e32 v3, s44, v13
	v_and_b32_e32 v3, s54, v3
	v_mul_lo_u32 v4, v3, 36
	v_and_b32_e32 v12, 1, v3
	; wave barrier
	v_add_u32_e32 v33, v39, v4
	v_add_co_u32_e32 v4, vcc, -1, v12
	v_addc_co_u32_e64 v20, s[22:23], 0, -1, vcc
	v_cmp_ne_u32_e32 vcc, 0, v12
	v_xor_b32_e32 v12, vcc_hi, v20
	v_and_b32_e32 v20, exec_hi, v12
	v_lshlrev_b32_e32 v12, 30, v3
	v_xor_b32_e32 v4, vcc_lo, v4
	v_cmp_gt_i64_e32 vcc, 0, v[11:12]
	v_not_b32_e32 v12, v12
	v_ashrrev_i32_e32 v12, 31, v12
	v_and_b32_e32 v4, exec_lo, v4
	v_xor_b32_e32 v24, vcc_hi, v12
	v_xor_b32_e32 v12, vcc_lo, v12
	v_and_b32_e32 v4, v4, v12
	v_lshlrev_b32_e32 v12, 29, v3
	v_cmp_gt_i64_e32 vcc, 0, v[11:12]
	v_not_b32_e32 v12, v12
	v_ashrrev_i32_e32 v12, 31, v12
	v_and_b32_e32 v20, v20, v24
	v_xor_b32_e32 v24, vcc_hi, v12
	v_xor_b32_e32 v12, vcc_lo, v12
	v_and_b32_e32 v4, v4, v12
	v_lshlrev_b32_e32 v12, 28, v3
	v_cmp_gt_i64_e32 vcc, 0, v[11:12]
	v_not_b32_e32 v12, v12
	v_ashrrev_i32_e32 v12, 31, v12
	v_and_b32_e32 v20, v20, v24
	;; [unrolled: 8-line block ×5, first 2 shown]
	v_xor_b32_e32 v24, vcc_hi, v12
	v_xor_b32_e32 v12, vcc_lo, v12
	v_and_b32_e32 v20, v20, v24
	v_and_b32_e32 v24, v4, v12
	v_lshlrev_b32_e32 v12, 24, v3
	v_cmp_gt_i64_e32 vcc, 0, v[11:12]
	v_not_b32_e32 v3, v12
	v_ashrrev_i32_e32 v3, 31, v3
	v_xor_b32_e32 v4, vcc_hi, v3
	v_xor_b32_e32 v3, vcc_lo, v3
	ds_read_b32 v23, v33 offset:32
	v_and_b32_e32 v3, v24, v3
	v_and_b32_e32 v4, v20, v4
	v_mbcnt_lo_u32_b32 v11, v3, 0
	v_mbcnt_hi_u32_b32 v24, v4, v11
	v_cmp_ne_u64_e32 vcc, 0, v[3:4]
	v_cmp_eq_u32_e64 s[22:23], 0, v24
	s_and_b64 s[26:27], vcc, s[22:23]
	; wave barrier
	s_and_saveexec_b64 s[22:23], s[26:27]
	s_cbranch_execz .LBB896_21
; %bb.20:
	v_bcnt_u32_b32 v3, v3, 0
	v_bcnt_u32_b32 v3, v4, v3
	s_waitcnt lgkmcnt(0)
	v_add_u32_e32 v3, v23, v3
	ds_write_b32 v33, v3 offset:32
.LBB896_21:
	s_or_b64 exec, exec, s[22:23]
	v_xor_b32_e32 v11, 0x80000000, v5
	v_lshrrev_b32_e32 v3, s44, v11
	v_and_b32_e32 v5, s54, v3
	v_mul_lo_u32 v3, v5, 36
	v_and_b32_e32 v4, 1, v5
	v_add_co_u32_e32 v12, vcc, -1, v4
	v_addc_co_u32_e64 v20, s[22:23], 0, -1, vcc
	v_cmp_ne_u32_e32 vcc, 0, v4
	v_xor_b32_e32 v4, vcc_hi, v20
	v_add_u32_e32 v37, v39, v3
	v_mov_b32_e32 v3, 0
	v_and_b32_e32 v20, exec_hi, v4
	v_lshlrev_b32_e32 v4, 30, v5
	v_xor_b32_e32 v12, vcc_lo, v12
	v_cmp_gt_i64_e32 vcc, 0, v[3:4]
	v_not_b32_e32 v4, v4
	v_ashrrev_i32_e32 v4, 31, v4
	v_and_b32_e32 v12, exec_lo, v12
	v_xor_b32_e32 v26, vcc_hi, v4
	v_xor_b32_e32 v4, vcc_lo, v4
	v_and_b32_e32 v12, v12, v4
	v_lshlrev_b32_e32 v4, 29, v5
	v_cmp_gt_i64_e32 vcc, 0, v[3:4]
	v_not_b32_e32 v4, v4
	v_ashrrev_i32_e32 v4, 31, v4
	v_and_b32_e32 v20, v20, v26
	v_xor_b32_e32 v26, vcc_hi, v4
	v_xor_b32_e32 v4, vcc_lo, v4
	v_and_b32_e32 v12, v12, v4
	v_lshlrev_b32_e32 v4, 28, v5
	v_cmp_gt_i64_e32 vcc, 0, v[3:4]
	v_not_b32_e32 v4, v4
	v_ashrrev_i32_e32 v4, 31, v4
	v_and_b32_e32 v20, v20, v26
	;; [unrolled: 8-line block ×5, first 2 shown]
	v_xor_b32_e32 v26, vcc_hi, v4
	v_xor_b32_e32 v4, vcc_lo, v4
	v_and_b32_e32 v12, v12, v4
	v_lshlrev_b32_e32 v4, 24, v5
	v_cmp_gt_i64_e32 vcc, 0, v[3:4]
	v_not_b32_e32 v4, v4
	v_ashrrev_i32_e32 v4, 31, v4
	v_xor_b32_e32 v5, vcc_hi, v4
	v_xor_b32_e32 v4, vcc_lo, v4
	; wave barrier
	ds_read_b32 v25, v37 offset:32
	v_and_b32_e32 v20, v20, v26
	v_and_b32_e32 v4, v12, v4
	;; [unrolled: 1-line block ×3, first 2 shown]
	v_mbcnt_lo_u32_b32 v12, v4, 0
	v_mbcnt_hi_u32_b32 v26, v5, v12
	v_cmp_ne_u64_e32 vcc, 0, v[4:5]
	v_cmp_eq_u32_e64 s[22:23], 0, v26
	s_and_b64 s[26:27], vcc, s[22:23]
	; wave barrier
	s_and_saveexec_b64 s[22:23], s[26:27]
	s_cbranch_execz .LBB896_23
; %bb.22:
	v_bcnt_u32_b32 v4, v4, 0
	v_bcnt_u32_b32 v4, v5, v4
	s_waitcnt lgkmcnt(0)
	v_add_u32_e32 v4, v25, v4
	ds_write_b32 v37, v4 offset:32
.LBB896_23:
	s_or_b64 exec, exec, s[22:23]
	v_xor_b32_e32 v12, 0x80000000, v6
	v_lshrrev_b32_e32 v4, s44, v12
	v_and_b32_e32 v5, s54, v4
	v_mul_lo_u32 v4, v5, 36
	v_and_b32_e32 v6, 1, v5
	; wave barrier
	v_add_u32_e32 v40, v39, v4
	v_add_co_u32_e32 v4, vcc, -1, v6
	v_addc_co_u32_e64 v20, s[22:23], 0, -1, vcc
	v_cmp_ne_u32_e32 vcc, 0, v6
	v_xor_b32_e32 v4, vcc_lo, v4
	v_xor_b32_e32 v6, vcc_hi, v20
	v_and_b32_e32 v20, exec_lo, v4
	v_lshlrev_b32_e32 v4, 30, v5
	v_cmp_gt_i64_e32 vcc, 0, v[3:4]
	v_not_b32_e32 v4, v4
	v_ashrrev_i32_e32 v4, 31, v4
	v_xor_b32_e32 v28, vcc_hi, v4
	v_xor_b32_e32 v4, vcc_lo, v4
	v_and_b32_e32 v20, v20, v4
	v_lshlrev_b32_e32 v4, 29, v5
	v_cmp_gt_i64_e32 vcc, 0, v[3:4]
	v_not_b32_e32 v4, v4
	v_and_b32_e32 v6, exec_hi, v6
	v_ashrrev_i32_e32 v4, 31, v4
	v_and_b32_e32 v6, v6, v28
	v_xor_b32_e32 v28, vcc_hi, v4
	v_xor_b32_e32 v4, vcc_lo, v4
	v_and_b32_e32 v20, v20, v4
	v_lshlrev_b32_e32 v4, 28, v5
	v_cmp_gt_i64_e32 vcc, 0, v[3:4]
	v_not_b32_e32 v4, v4
	v_ashrrev_i32_e32 v4, 31, v4
	v_and_b32_e32 v6, v6, v28
	v_xor_b32_e32 v28, vcc_hi, v4
	v_xor_b32_e32 v4, vcc_lo, v4
	v_and_b32_e32 v20, v20, v4
	v_lshlrev_b32_e32 v4, 27, v5
	v_cmp_gt_i64_e32 vcc, 0, v[3:4]
	v_not_b32_e32 v4, v4
	;; [unrolled: 8-line block ×5, first 2 shown]
	v_ashrrev_i32_e32 v3, 31, v3
	v_xor_b32_e32 v4, vcc_hi, v3
	v_xor_b32_e32 v3, vcc_lo, v3
	ds_read_b32 v27, v40 offset:32
	v_and_b32_e32 v6, v6, v28
	v_and_b32_e32 v3, v20, v3
	;; [unrolled: 1-line block ×3, first 2 shown]
	v_mbcnt_lo_u32_b32 v5, v3, 0
	v_mbcnt_hi_u32_b32 v28, v4, v5
	v_cmp_ne_u64_e32 vcc, 0, v[3:4]
	v_cmp_eq_u32_e64 s[22:23], 0, v28
	s_and_b64 s[26:27], vcc, s[22:23]
	; wave barrier
	s_and_saveexec_b64 s[22:23], s[26:27]
	s_cbranch_execz .LBB896_25
; %bb.24:
	v_bcnt_u32_b32 v3, v3, 0
	v_bcnt_u32_b32 v3, v4, v3
	s_waitcnt lgkmcnt(0)
	v_add_u32_e32 v3, v27, v3
	ds_write_b32 v40, v3 offset:32
.LBB896_25:
	s_or_b64 exec, exec, s[22:23]
	v_xor_b32_e32 v20, 0x80000000, v7
	v_lshrrev_b32_e32 v3, s44, v20
	v_and_b32_e32 v5, s54, v3
	v_mul_lo_u32 v3, v5, 36
	v_and_b32_e32 v4, 1, v5
	v_add_co_u32_e32 v6, vcc, -1, v4
	v_addc_co_u32_e64 v30, s[22:23], 0, -1, vcc
	v_cmp_ne_u32_e32 vcc, 0, v4
	v_xor_b32_e32 v4, vcc_hi, v30
	v_add_u32_e32 v7, v39, v3
	v_mov_b32_e32 v3, 0
	v_and_b32_e32 v30, exec_hi, v4
	v_lshlrev_b32_e32 v4, 30, v5
	v_xor_b32_e32 v6, vcc_lo, v6
	v_cmp_gt_i64_e32 vcc, 0, v[3:4]
	v_not_b32_e32 v4, v4
	v_ashrrev_i32_e32 v4, 31, v4
	v_and_b32_e32 v6, exec_lo, v6
	v_xor_b32_e32 v31, vcc_hi, v4
	v_xor_b32_e32 v4, vcc_lo, v4
	v_and_b32_e32 v6, v6, v4
	v_lshlrev_b32_e32 v4, 29, v5
	v_cmp_gt_i64_e32 vcc, 0, v[3:4]
	v_not_b32_e32 v4, v4
	v_ashrrev_i32_e32 v4, 31, v4
	v_and_b32_e32 v30, v30, v31
	v_xor_b32_e32 v31, vcc_hi, v4
	v_xor_b32_e32 v4, vcc_lo, v4
	v_and_b32_e32 v6, v6, v4
	v_lshlrev_b32_e32 v4, 28, v5
	v_cmp_gt_i64_e32 vcc, 0, v[3:4]
	v_not_b32_e32 v4, v4
	v_ashrrev_i32_e32 v4, 31, v4
	v_and_b32_e32 v30, v30, v31
	;; [unrolled: 8-line block ×5, first 2 shown]
	v_xor_b32_e32 v31, vcc_hi, v4
	v_xor_b32_e32 v4, vcc_lo, v4
	v_and_b32_e32 v6, v6, v4
	v_lshlrev_b32_e32 v4, 24, v5
	v_cmp_gt_i64_e32 vcc, 0, v[3:4]
	v_not_b32_e32 v4, v4
	v_ashrrev_i32_e32 v4, 31, v4
	v_xor_b32_e32 v5, vcc_hi, v4
	v_xor_b32_e32 v4, vcc_lo, v4
	; wave barrier
	ds_read_b32 v29, v7 offset:32
	v_and_b32_e32 v30, v30, v31
	v_and_b32_e32 v4, v6, v4
	;; [unrolled: 1-line block ×3, first 2 shown]
	v_mbcnt_lo_u32_b32 v6, v4, 0
	v_mbcnt_hi_u32_b32 v30, v5, v6
	v_cmp_ne_u64_e32 vcc, 0, v[4:5]
	v_cmp_eq_u32_e64 s[22:23], 0, v30
	s_and_b64 s[26:27], vcc, s[22:23]
	; wave barrier
	s_and_saveexec_b64 s[22:23], s[26:27]
	s_cbranch_execz .LBB896_27
; %bb.26:
	v_bcnt_u32_b32 v4, v4, 0
	v_bcnt_u32_b32 v4, v5, v4
	s_waitcnt lgkmcnt(0)
	v_add_u32_e32 v4, v29, v4
	ds_write_b32 v7, v4 offset:32
.LBB896_27:
	s_or_b64 exec, exec, s[22:23]
	v_xor_b32_e32 v35, 0x80000000, v8
	v_lshrrev_b32_e32 v4, s44, v35
	v_and_b32_e32 v5, s54, v4
	v_mul_lo_u32 v4, v5, 36
	v_and_b32_e32 v6, 1, v5
	; wave barrier
	v_add_u32_e32 v8, v39, v4
	v_add_co_u32_e32 v4, vcc, -1, v6
	v_addc_co_u32_e64 v34, s[22:23], 0, -1, vcc
	v_cmp_ne_u32_e32 vcc, 0, v6
	v_xor_b32_e32 v4, vcc_lo, v4
	v_xor_b32_e32 v6, vcc_hi, v34
	v_and_b32_e32 v34, exec_lo, v4
	v_lshlrev_b32_e32 v4, 30, v5
	v_cmp_gt_i64_e32 vcc, 0, v[3:4]
	v_not_b32_e32 v4, v4
	v_ashrrev_i32_e32 v4, 31, v4
	v_xor_b32_e32 v36, vcc_hi, v4
	v_xor_b32_e32 v4, vcc_lo, v4
	v_and_b32_e32 v34, v34, v4
	v_lshlrev_b32_e32 v4, 29, v5
	v_cmp_gt_i64_e32 vcc, 0, v[3:4]
	v_not_b32_e32 v4, v4
	v_and_b32_e32 v6, exec_hi, v6
	v_ashrrev_i32_e32 v4, 31, v4
	v_and_b32_e32 v6, v6, v36
	v_xor_b32_e32 v36, vcc_hi, v4
	v_xor_b32_e32 v4, vcc_lo, v4
	v_and_b32_e32 v34, v34, v4
	v_lshlrev_b32_e32 v4, 28, v5
	v_cmp_gt_i64_e32 vcc, 0, v[3:4]
	v_not_b32_e32 v4, v4
	v_ashrrev_i32_e32 v4, 31, v4
	v_and_b32_e32 v6, v6, v36
	v_xor_b32_e32 v36, vcc_hi, v4
	v_xor_b32_e32 v4, vcc_lo, v4
	v_and_b32_e32 v34, v34, v4
	v_lshlrev_b32_e32 v4, 27, v5
	v_cmp_gt_i64_e32 vcc, 0, v[3:4]
	v_not_b32_e32 v4, v4
	;; [unrolled: 8-line block ×5, first 2 shown]
	v_ashrrev_i32_e32 v3, 31, v3
	v_xor_b32_e32 v4, vcc_hi, v3
	v_xor_b32_e32 v3, vcc_lo, v3
	ds_read_b32 v31, v8 offset:32
	v_and_b32_e32 v6, v6, v36
	v_and_b32_e32 v3, v34, v3
	;; [unrolled: 1-line block ×3, first 2 shown]
	v_mbcnt_lo_u32_b32 v5, v3, 0
	v_mbcnt_hi_u32_b32 v34, v4, v5
	v_cmp_ne_u64_e32 vcc, 0, v[3:4]
	v_cmp_eq_u32_e64 s[22:23], 0, v34
	s_and_b64 s[26:27], vcc, s[22:23]
	; wave barrier
	s_and_saveexec_b64 s[22:23], s[26:27]
	s_cbranch_execz .LBB896_29
; %bb.28:
	v_bcnt_u32_b32 v3, v3, 0
	v_bcnt_u32_b32 v3, v4, v3
	s_waitcnt lgkmcnt(0)
	v_add_u32_e32 v3, v31, v3
	ds_write_b32 v8, v3 offset:32
.LBB896_29:
	s_or_b64 exec, exec, s[22:23]
	v_xor_b32_e32 v9, 0x80000000, v9
	v_lshrrev_b32_e32 v3, s44, v9
	v_and_b32_e32 v5, s54, v3
	v_mul_lo_u32 v3, v5, 36
	v_and_b32_e32 v4, 1, v5
	v_add_co_u32_e32 v6, vcc, -1, v4
	v_addc_co_u32_e64 v38, s[22:23], 0, -1, vcc
	v_cmp_ne_u32_e32 vcc, 0, v4
	v_xor_b32_e32 v4, vcc_hi, v38
	v_add_u32_e32 v46, v39, v3
	v_mov_b32_e32 v3, 0
	v_and_b32_e32 v38, exec_hi, v4
	v_lshlrev_b32_e32 v4, 30, v5
	v_xor_b32_e32 v6, vcc_lo, v6
	v_cmp_gt_i64_e32 vcc, 0, v[3:4]
	v_not_b32_e32 v4, v4
	v_ashrrev_i32_e32 v4, 31, v4
	v_and_b32_e32 v6, exec_lo, v6
	v_xor_b32_e32 v41, vcc_hi, v4
	v_xor_b32_e32 v4, vcc_lo, v4
	v_and_b32_e32 v6, v6, v4
	v_lshlrev_b32_e32 v4, 29, v5
	v_cmp_gt_i64_e32 vcc, 0, v[3:4]
	v_not_b32_e32 v4, v4
	v_ashrrev_i32_e32 v4, 31, v4
	v_and_b32_e32 v38, v38, v41
	v_xor_b32_e32 v41, vcc_hi, v4
	v_xor_b32_e32 v4, vcc_lo, v4
	v_and_b32_e32 v6, v6, v4
	v_lshlrev_b32_e32 v4, 28, v5
	v_cmp_gt_i64_e32 vcc, 0, v[3:4]
	v_not_b32_e32 v4, v4
	v_ashrrev_i32_e32 v4, 31, v4
	v_and_b32_e32 v38, v38, v41
	;; [unrolled: 8-line block ×5, first 2 shown]
	v_xor_b32_e32 v41, vcc_hi, v4
	v_xor_b32_e32 v4, vcc_lo, v4
	v_and_b32_e32 v6, v6, v4
	v_lshlrev_b32_e32 v4, 24, v5
	v_cmp_gt_i64_e32 vcc, 0, v[3:4]
	v_not_b32_e32 v4, v4
	v_ashrrev_i32_e32 v4, 31, v4
	v_xor_b32_e32 v5, vcc_hi, v4
	v_xor_b32_e32 v4, vcc_lo, v4
	; wave barrier
	ds_read_b32 v36, v46 offset:32
	v_and_b32_e32 v38, v38, v41
	v_and_b32_e32 v4, v6, v4
	;; [unrolled: 1-line block ×3, first 2 shown]
	v_mbcnt_lo_u32_b32 v6, v4, 0
	v_mbcnt_hi_u32_b32 v38, v5, v6
	v_cmp_ne_u64_e32 vcc, 0, v[4:5]
	v_cmp_eq_u32_e64 s[22:23], 0, v38
	s_and_b64 s[26:27], vcc, s[22:23]
	; wave barrier
	s_and_saveexec_b64 s[22:23], s[26:27]
	s_cbranch_execz .LBB896_31
; %bb.30:
	v_bcnt_u32_b32 v4, v4, 0
	v_bcnt_u32_b32 v4, v5, v4
	s_waitcnt lgkmcnt(0)
	v_add_u32_e32 v4, v36, v4
	ds_write_b32 v46, v4 offset:32
.LBB896_31:
	s_or_b64 exec, exec, s[22:23]
	v_xor_b32_e32 v10, 0x80000000, v10
	v_lshrrev_b32_e32 v4, s44, v10
	v_and_b32_e32 v5, s54, v4
	v_mul_lo_u32 v4, v5, 36
	v_and_b32_e32 v6, 1, v5
	; wave barrier
	v_add_u32_e32 v47, v39, v4
	v_add_co_u32_e32 v4, vcc, -1, v6
	v_addc_co_u32_e64 v41, s[22:23], 0, -1, vcc
	v_cmp_ne_u32_e32 vcc, 0, v6
	v_xor_b32_e32 v4, vcc_lo, v4
	v_xor_b32_e32 v6, vcc_hi, v41
	v_and_b32_e32 v41, exec_lo, v4
	v_lshlrev_b32_e32 v4, 30, v5
	v_cmp_gt_i64_e32 vcc, 0, v[3:4]
	v_not_b32_e32 v4, v4
	v_ashrrev_i32_e32 v4, 31, v4
	v_xor_b32_e32 v42, vcc_hi, v4
	v_xor_b32_e32 v4, vcc_lo, v4
	v_and_b32_e32 v41, v41, v4
	v_lshlrev_b32_e32 v4, 29, v5
	v_cmp_gt_i64_e32 vcc, 0, v[3:4]
	v_not_b32_e32 v4, v4
	v_and_b32_e32 v6, exec_hi, v6
	v_ashrrev_i32_e32 v4, 31, v4
	v_and_b32_e32 v6, v6, v42
	v_xor_b32_e32 v42, vcc_hi, v4
	v_xor_b32_e32 v4, vcc_lo, v4
	v_and_b32_e32 v41, v41, v4
	v_lshlrev_b32_e32 v4, 28, v5
	v_cmp_gt_i64_e32 vcc, 0, v[3:4]
	v_not_b32_e32 v4, v4
	v_ashrrev_i32_e32 v4, 31, v4
	v_and_b32_e32 v6, v6, v42
	v_xor_b32_e32 v42, vcc_hi, v4
	v_xor_b32_e32 v4, vcc_lo, v4
	v_and_b32_e32 v41, v41, v4
	v_lshlrev_b32_e32 v4, 27, v5
	v_cmp_gt_i64_e32 vcc, 0, v[3:4]
	v_not_b32_e32 v4, v4
	v_ashrrev_i32_e32 v4, 31, v4
	v_and_b32_e32 v6, v6, v42
	v_xor_b32_e32 v42, vcc_hi, v4
	v_xor_b32_e32 v4, vcc_lo, v4
	v_and_b32_e32 v41, v41, v4
	v_lshlrev_b32_e32 v4, 26, v5
	v_cmp_gt_i64_e32 vcc, 0, v[3:4]
	v_not_b32_e32 v4, v4
	v_ashrrev_i32_e32 v4, 31, v4
	v_and_b32_e32 v6, v6, v42
	v_xor_b32_e32 v42, vcc_hi, v4
	v_xor_b32_e32 v4, vcc_lo, v4
	v_and_b32_e32 v41, v41, v4
	v_lshlrev_b32_e32 v4, 25, v5
	v_cmp_gt_i64_e32 vcc, 0, v[3:4]
	v_not_b32_e32 v4, v4
	v_ashrrev_i32_e32 v4, 31, v4
	v_and_b32_e32 v6, v6, v42
	v_xor_b32_e32 v42, vcc_hi, v4
	v_xor_b32_e32 v4, vcc_lo, v4
	v_and_b32_e32 v41, v41, v4
	v_lshlrev_b32_e32 v4, 24, v5
	v_cmp_gt_i64_e32 vcc, 0, v[3:4]
	v_not_b32_e32 v3, v4
	v_ashrrev_i32_e32 v3, 31, v3
	v_xor_b32_e32 v4, vcc_hi, v3
	v_xor_b32_e32 v3, vcc_lo, v3
	ds_read_b32 v39, v47 offset:32
	v_and_b32_e32 v6, v6, v42
	v_and_b32_e32 v3, v41, v3
	;; [unrolled: 1-line block ×3, first 2 shown]
	v_mbcnt_lo_u32_b32 v5, v3, 0
	v_mbcnt_hi_u32_b32 v41, v4, v5
	v_cmp_ne_u64_e32 vcc, 0, v[3:4]
	v_cmp_eq_u32_e64 s[22:23], 0, v41
	s_and_b64 s[26:27], vcc, s[22:23]
	; wave barrier
	s_and_saveexec_b64 s[22:23], s[26:27]
	s_cbranch_execz .LBB896_33
; %bb.32:
	v_bcnt_u32_b32 v3, v3, 0
	v_bcnt_u32_b32 v3, v4, v3
	s_waitcnt lgkmcnt(0)
	v_add_u32_e32 v3, v39, v3
	ds_write_b32 v47, v3 offset:32
.LBB896_33:
	s_or_b64 exec, exec, s[22:23]
	; wave barrier
	s_waitcnt lgkmcnt(0)
	s_barrier
	ds_read2_b32 v[5:6], v18 offset0:8 offset1:9
	ds_read2_b32 v[3:4], v18 offset0:10 offset1:11
	ds_read_b32 v42, v18 offset:48
	s_waitcnt lgkmcnt(1)
	v_add3_u32 v43, v6, v5, v3
	s_waitcnt lgkmcnt(0)
	v_add3_u32 v42, v43, v4, v42
	v_and_b32_e32 v43, 15, v17
	v_cmp_ne_u32_e32 vcc, 0, v43
	v_mov_b32_dpp v44, v42 row_shr:1 row_mask:0xf bank_mask:0xf
	v_cndmask_b32_e32 v44, 0, v44, vcc
	v_add_u32_e32 v42, v44, v42
	v_cmp_lt_u32_e32 vcc, 1, v43
	s_nop 0
	v_mov_b32_dpp v44, v42 row_shr:2 row_mask:0xf bank_mask:0xf
	v_cndmask_b32_e32 v44, 0, v44, vcc
	v_add_u32_e32 v42, v42, v44
	v_cmp_lt_u32_e32 vcc, 3, v43
	s_nop 0
	;; [unrolled: 5-line block ×3, first 2 shown]
	v_mov_b32_dpp v44, v42 row_shr:8 row_mask:0xf bank_mask:0xf
	v_cndmask_b32_e32 v43, 0, v44, vcc
	v_add_u32_e32 v42, v42, v43
	v_bfe_i32 v44, v17, 4, 1
	v_cmp_lt_u32_e32 vcc, 31, v17
	v_mov_b32_dpp v43, v42 row_bcast:15 row_mask:0xf bank_mask:0xf
	v_and_b32_e32 v43, v44, v43
	v_add_u32_e32 v42, v42, v43
	v_or_b32_e32 v44, 63, v0
	s_nop 0
	v_mov_b32_dpp v43, v42 row_bcast:31 row_mask:0xf bank_mask:0xf
	v_cndmask_b32_e32 v43, 0, v43, vcc
	v_add_u32_e32 v42, v42, v43
	v_lshrrev_b32_e32 v43, 6, v0
	v_cmp_eq_u32_e32 vcc, v0, v44
	s_and_saveexec_b64 s[22:23], vcc
; %bb.34:
	v_lshlrev_b32_e32 v44, 2, v43
	ds_write_b32 v44, v42
; %bb.35:
	s_or_b64 exec, exec, s[22:23]
	v_cmp_gt_u32_e32 vcc, 8, v0
	s_waitcnt lgkmcnt(0)
	s_barrier
	s_and_saveexec_b64 s[26:27], vcc
	s_cbranch_execz .LBB896_37
; %bb.36:
	v_lshlrev_b32_e32 v44, 2, v0
	ds_read_b32 v45, v44
	v_and_b32_e32 v48, 7, v17
	v_cmp_ne_u32_e32 vcc, 0, v48
	v_cmp_lt_u32_e64 s[22:23], 1, v48
	s_waitcnt lgkmcnt(0)
	v_mov_b32_dpp v49, v45 row_shr:1 row_mask:0xf bank_mask:0xf
	v_cndmask_b32_e32 v49, 0, v49, vcc
	v_add_u32_e32 v45, v49, v45
	v_cmp_lt_u32_e32 vcc, 3, v48
	s_nop 0
	v_mov_b32_dpp v49, v45 row_shr:2 row_mask:0xf bank_mask:0xf
	v_cndmask_b32_e64 v49, 0, v49, s[22:23]
	v_add_u32_e32 v45, v45, v49
	s_nop 1
	v_mov_b32_dpp v49, v45 row_shr:4 row_mask:0xf bank_mask:0xf
	v_cndmask_b32_e32 v48, 0, v49, vcc
	v_add_u32_e32 v45, v45, v48
	ds_write_b32 v44, v45
.LBB896_37:
	s_or_b64 exec, exec, s[26:27]
	v_cmp_lt_u32_e32 vcc, 63, v0
	v_mov_b32_e32 v44, 0
	s_waitcnt lgkmcnt(0)
	s_barrier
	s_and_saveexec_b64 s[22:23], vcc
; %bb.38:
	v_lshl_add_u32 v43, v43, 2, -4
	ds_read_b32 v44, v43
; %bb.39:
	s_or_b64 exec, exec, s[22:23]
	v_subrev_co_u32_e32 v43, vcc, 1, v17
	v_and_b32_e32 v45, 64, v17
	v_cmp_lt_i32_e64 s[22:23], v43, v45
	v_cndmask_b32_e64 v17, v43, v17, s[22:23]
	s_waitcnt lgkmcnt(0)
	v_add_u32_e32 v42, v44, v42
	v_lshlrev_b32_e32 v17, 2, v17
	ds_bpermute_b32 v17, v17, v42
	s_movk_i32 s22, 0xff
	s_movk_i32 s26, 0x100
	v_cmp_lt_u32_e64 s[22:23], s22, v0
	s_waitcnt lgkmcnt(0)
	v_cndmask_b32_e32 v17, v17, v44, vcc
	v_cmp_ne_u32_e32 vcc, 0, v0
	v_cndmask_b32_e32 v17, 0, v17, vcc
	v_add_u32_e32 v5, v17, v5
	v_add_u32_e32 v6, v5, v6
	v_add_u32_e32 v3, v6, v3
	v_add_u32_e32 v4, v3, v4
	ds_write2_b32 v18, v17, v5 offset0:8 offset1:9
	ds_write2_b32 v18, v6, v3 offset0:10 offset1:11
	ds_write_b32 v18, v4 offset:48
	s_waitcnt lgkmcnt(0)
	s_barrier
	ds_read_b32 v17, v32 offset:32
	ds_read_b32 v42, v33 offset:32
	;; [unrolled: 1-line block ×8, first 2 shown]
	v_cmp_gt_u32_e32 vcc, s26, v0
                                        ; implicit-def: $vgpr32
                                        ; implicit-def: $vgpr33
	s_and_saveexec_b64 s[48:49], vcc
	s_cbranch_execz .LBB896_43
; %bb.40:
	v_mul_u32_u24_e32 v3, 36, v0
	ds_read_b32 v32, v3 offset:32
	v_add_u32_e32 v4, 1, v0
	v_cmp_ne_u32_e64 s[26:27], s26, v4
	v_mov_b32_e32 v3, 0x1000
	s_and_saveexec_b64 s[50:51], s[26:27]
; %bb.41:
	v_mul_u32_u24_e32 v3, 36, v4
	ds_read_b32 v3, v3 offset:32
; %bb.42:
	s_or_b64 exec, exec, s[50:51]
	s_waitcnt lgkmcnt(0)
	v_sub_u32_e32 v33, v3, v32
.LBB896_43:
	s_or_b64 exec, exec, s[48:49]
	v_mov_b32_e32 v4, 0
	v_lshlrev_b32_e32 v37, 2, v0
	s_waitcnt lgkmcnt(0)
	s_barrier
	s_and_saveexec_b64 s[26:27], vcc
	s_cbranch_execz .LBB896_53
; %bb.44:
	v_lshl_add_u32 v3, s6, 8, v0
	v_lshlrev_b64 v[5:6], 2, v[3:4]
	v_mov_b32_e32 v18, s35
	v_add_co_u32_e32 v5, vcc, s34, v5
	v_addc_co_u32_e32 v6, vcc, v18, v6, vcc
	v_or_b32_e32 v3, 2.0, v33
	s_mov_b64 s[48:49], 0
	s_brev_b32 s55, -4
	s_mov_b32 s56, s6
	v_mov_b32_e32 v48, 0
	global_store_dword v[5:6], v3, off
                                        ; implicit-def: $sgpr50_sgpr51
	s_branch .LBB896_47
.LBB896_45:                             ;   in Loop: Header=BB896_47 Depth=1
	s_or_b64 exec, exec, s[52:53]
.LBB896_46:                             ;   in Loop: Header=BB896_47 Depth=1
	s_or_b64 exec, exec, s[50:51]
	v_and_b32_e32 v7, 0x3fffffff, v3
	v_add_u32_e32 v48, v7, v48
	v_cmp_gt_i32_e64 s[50:51], -2.0, v3
	s_and_b64 s[52:53], exec, s[50:51]
	s_or_b64 s[48:49], s[52:53], s[48:49]
	s_andn2_b64 exec, exec, s[48:49]
	s_cbranch_execz .LBB896_52
.LBB896_47:                             ; =>This Loop Header: Depth=1
                                        ;     Child Loop BB896_50 Depth 2
	s_or_b64 s[50:51], s[50:51], exec
	s_cmp_eq_u32 s56, 0
	s_cbranch_scc1 .LBB896_51
; %bb.48:                               ;   in Loop: Header=BB896_47 Depth=1
	s_add_i32 s56, s56, -1
	v_lshl_or_b32 v3, s56, 8, v0
	v_lshlrev_b64 v[7:8], 2, v[3:4]
	v_add_co_u32_e32 v7, vcc, s34, v7
	v_addc_co_u32_e32 v8, vcc, v18, v8, vcc
	global_load_dword v3, v[7:8], off glc
	s_waitcnt vmcnt(0)
	v_cmp_gt_u32_e32 vcc, 2.0, v3
	s_and_saveexec_b64 s[50:51], vcc
	s_cbranch_execz .LBB896_46
; %bb.49:                               ;   in Loop: Header=BB896_47 Depth=1
	s_mov_b64 s[52:53], 0
.LBB896_50:                             ;   Parent Loop BB896_47 Depth=1
                                        ; =>  This Inner Loop Header: Depth=2
	global_load_dword v3, v[7:8], off glc
	s_waitcnt vmcnt(0)
	v_cmp_lt_u32_e32 vcc, s55, v3
	s_or_b64 s[52:53], vcc, s[52:53]
	s_andn2_b64 exec, exec, s[52:53]
	s_cbranch_execnz .LBB896_50
	s_branch .LBB896_45
.LBB896_51:                             ;   in Loop: Header=BB896_47 Depth=1
                                        ; implicit-def: $sgpr56
	s_and_b64 s[52:53], exec, s[50:51]
	s_or_b64 s[48:49], s[52:53], s[48:49]
	s_andn2_b64 exec, exec, s[48:49]
	s_cbranch_execnz .LBB896_47
.LBB896_52:
	s_or_b64 exec, exec, s[48:49]
	v_add_u32_e32 v3, v48, v33
	v_or_b32_e32 v3, 0x80000000, v3
	global_store_dword v[5:6], v3, off
	global_load_dword v3, v37, s[28:29]
	v_sub_u32_e32 v4, v48, v32
	s_waitcnt vmcnt(0)
	v_add_u32_e32 v3, v4, v3
	ds_write_b32 v37, v3
.LBB896_53:
	s_or_b64 exec, exec, s[26:27]
	v_add_u32_e32 v48, v17, v19
	v_add3_u32 v5, v24, v23, v42
	v_add3_u32 v6, v26, v25, v43
	;; [unrolled: 1-line block ×7, first 2 shown]
	s_mov_b32 s50, 16
	s_mov_b32 s55, 0
	s_mov_b64 s[26:27], -1
	v_mov_b32_e32 v4, 0
	s_movk_i32 s51, 0x200
	s_movk_i32 s52, 0x400
	s_movk_i32 s53, 0x600
	v_mov_b32_e32 v49, v48
	v_mov_b32_e32 v50, v0
	s_branch .LBB896_55
.LBB896_54:                             ;   in Loop: Header=BB896_55 Depth=1
	s_or_b64 exec, exec, s[48:49]
	s_xor_b64 s[48:49], s[26:27], -1
	v_add_u32_e32 v50, 0x800, v50
	v_add_u32_e32 v19, 0xfffff800, v19
	;; [unrolled: 1-line block ×9, first 2 shown]
	s_mov_b64 s[26:27], 0
	s_and_b64 vcc, exec, s[48:49]
	s_mov_b32 s55, s50
	s_waitcnt vmcnt(0)
	s_barrier
	s_cbranch_vccnz .LBB896_63
.LBB896_55:                             ; =>This Inner Loop Header: Depth=1
	v_min_u32_e32 v3, 0x800, v49
	v_lshlrev_b32_e32 v3, 2, v3
	ds_write_b32 v3, v16 offset:1024
	v_min_u32_e32 v3, 0x800, v5
	v_lshlrev_b32_e32 v3, 2, v3
	ds_write_b32 v3, v13 offset:1024
	;; [unrolled: 3-line block ×7, first 2 shown]
	v_min_u32_e32 v3, 0x800, v19
	v_lshlrev_b32_e32 v3, 2, v3
	v_cmp_gt_u32_e32 vcc, s7, v50
	ds_write_b32 v3, v10 offset:1024
	s_waitcnt lgkmcnt(0)
	s_barrier
	s_and_saveexec_b64 s[48:49], vcc
	s_cbranch_execz .LBB896_57
; %bb.56:                               ;   in Loop: Header=BB896_55 Depth=1
	ds_read_b32 v3, v37 offset:1024
	v_mov_b32_e32 v54, s39
	v_mov_b32_e32 v55, s55
	s_waitcnt lgkmcnt(0)
	v_lshrrev_b32_e32 v51, s44, v3
	v_and_b32_e32 v53, s54, v51
	v_lshlrev_b32_e32 v51, 2, v53
	ds_read_b32 v51, v51
	v_xor_b32_e32 v56, 0x80000000, v3
	buffer_store_dword v53, v55, s[0:3], 0 offen
	s_waitcnt lgkmcnt(0)
	v_add_u32_e32 v3, v50, v51
	v_lshlrev_b64 v[51:52], 2, v[3:4]
	v_add_co_u32_e32 v51, vcc, s38, v51
	v_addc_co_u32_e32 v52, vcc, v54, v52, vcc
	global_store_dword v[51:52], v56, off
.LBB896_57:                             ;   in Loop: Header=BB896_55 Depth=1
	s_or_b64 exec, exec, s[48:49]
	v_add_u32_e32 v3, 0x200, v50
	v_cmp_gt_u32_e32 vcc, s7, v3
	s_and_saveexec_b64 s[48:49], vcc
	s_cbranch_execz .LBB896_59
; %bb.58:                               ;   in Loop: Header=BB896_55 Depth=1
	ds_read_b32 v3, v37 offset:3072
	v_mov_b32_e32 v54, s39
	v_mov_b32_e32 v55, s55
	s_waitcnt lgkmcnt(0)
	v_lshrrev_b32_e32 v51, s44, v3
	v_and_b32_e32 v53, s54, v51
	v_lshlrev_b32_e32 v51, 2, v53
	ds_read_b32 v51, v51
	v_xor_b32_e32 v56, 0x80000000, v3
	buffer_store_dword v53, v55, s[0:3], 0 offen offset:4
	s_waitcnt lgkmcnt(0)
	v_add3_u32 v3, v50, v51, s51
	v_lshlrev_b64 v[51:52], 2, v[3:4]
	v_add_co_u32_e32 v51, vcc, s38, v51
	v_addc_co_u32_e32 v52, vcc, v54, v52, vcc
	global_store_dword v[51:52], v56, off
.LBB896_59:                             ;   in Loop: Header=BB896_55 Depth=1
	s_or_b64 exec, exec, s[48:49]
	v_add_u32_e32 v3, 0x400, v50
	v_cmp_gt_u32_e32 vcc, s7, v3
	s_and_saveexec_b64 s[48:49], vcc
	s_cbranch_execz .LBB896_61
; %bb.60:                               ;   in Loop: Header=BB896_55 Depth=1
	ds_read_b32 v3, v37 offset:5120
	v_mov_b32_e32 v54, s39
	v_mov_b32_e32 v55, s55
	s_waitcnt lgkmcnt(0)
	v_lshrrev_b32_e32 v51, s44, v3
	v_and_b32_e32 v53, s54, v51
	v_lshlrev_b32_e32 v51, 2, v53
	ds_read_b32 v51, v51
	v_xor_b32_e32 v56, 0x80000000, v3
	buffer_store_dword v53, v55, s[0:3], 0 offen offset:8
	s_waitcnt lgkmcnt(0)
	v_add3_u32 v3, v50, v51, s52
	v_lshlrev_b64 v[51:52], 2, v[3:4]
	v_add_co_u32_e32 v51, vcc, s38, v51
	v_addc_co_u32_e32 v52, vcc, v54, v52, vcc
	global_store_dword v[51:52], v56, off
.LBB896_61:                             ;   in Loop: Header=BB896_55 Depth=1
	s_or_b64 exec, exec, s[48:49]
	v_add_u32_e32 v3, 0x600, v50
	v_cmp_gt_u32_e32 vcc, s7, v3
	s_and_saveexec_b64 s[48:49], vcc
	s_cbranch_execz .LBB896_54
; %bb.62:                               ;   in Loop: Header=BB896_55 Depth=1
	ds_read_b32 v3, v37 offset:7168
	v_mov_b32_e32 v54, s39
	v_mov_b32_e32 v55, s55
	s_waitcnt lgkmcnt(0)
	v_lshrrev_b32_e32 v51, s44, v3
	v_and_b32_e32 v53, s54, v51
	v_lshlrev_b32_e32 v51, 2, v53
	ds_read_b32 v51, v51
	v_xor_b32_e32 v56, 0x80000000, v3
	buffer_store_dword v53, v55, s[0:3], 0 offen offset:12
	s_waitcnt lgkmcnt(0)
	v_add3_u32 v3, v50, v51, s53
	v_lshlrev_b64 v[51:52], 2, v[3:4]
	v_add_co_u32_e32 v51, vcc, s38, v51
	v_addc_co_u32_e32 v52, vcc, v54, v52, vcc
	global_store_dword v[51:52], v56, off
	s_branch .LBB896_54
.LBB896_63:
	s_lshl_b64 s[26:27], s[46:47], 3
	s_add_u32 s26, s40, s26
	s_addc_u32 s27, s41, s27
	v_lshlrev_b32_e32 v3, 3, v15
	v_mov_b32_e32 v4, s27
	v_add_co_u32_e32 v3, vcc, s26, v3
	v_addc_co_u32_e32 v4, vcc, 0, v4, vcc
	v_lshlrev_b32_e32 v5, 3, v14
	v_add_co_u32_e32 v19, vcc, v3, v5
	v_addc_co_u32_e32 v20, vcc, 0, v4, vcc
                                        ; implicit-def: $vgpr3_vgpr4
	s_and_saveexec_b64 s[26:27], s[24:25]
	s_cbranch_execz .LBB896_71
; %bb.64:
	global_load_dwordx2 v[3:4], v[19:20], off
	s_or_b64 exec, exec, s[26:27]
                                        ; implicit-def: $vgpr5_vgpr6
	s_and_saveexec_b64 s[24:25], s[8:9]
	s_cbranch_execnz .LBB896_72
.LBB896_65:
	s_or_b64 exec, exec, s[24:25]
                                        ; implicit-def: $vgpr7_vgpr8
	s_and_saveexec_b64 s[8:9], s[10:11]
	s_cbranch_execz .LBB896_73
.LBB896_66:
	global_load_dwordx2 v[7:8], v[19:20], off offset:1024
	s_or_b64 exec, exec, s[8:9]
                                        ; implicit-def: $vgpr9_vgpr10
	s_and_saveexec_b64 s[8:9], s[12:13]
	s_cbranch_execnz .LBB896_74
.LBB896_67:
	s_or_b64 exec, exec, s[8:9]
                                        ; implicit-def: $vgpr11_vgpr12
	s_and_saveexec_b64 s[8:9], s[14:15]
	s_cbranch_execz .LBB896_75
.LBB896_68:
	global_load_dwordx2 v[11:12], v[19:20], off offset:2048
	s_or_b64 exec, exec, s[8:9]
                                        ; implicit-def: $vgpr13_vgpr14
	s_and_saveexec_b64 s[8:9], s[16:17]
	s_cbranch_execnz .LBB896_76
.LBB896_69:
	s_or_b64 exec, exec, s[8:9]
                                        ; implicit-def: $vgpr15_vgpr16
	s_and_saveexec_b64 s[8:9], s[18:19]
	s_cbranch_execz .LBB896_77
.LBB896_70:
	global_load_dwordx2 v[15:16], v[19:20], off offset:3072
	s_or_b64 exec, exec, s[8:9]
                                        ; implicit-def: $vgpr17_vgpr18
	s_and_saveexec_b64 s[8:9], s[20:21]
	s_cbranch_execnz .LBB896_78
	s_branch .LBB896_79
.LBB896_71:
	s_or_b64 exec, exec, s[26:27]
                                        ; implicit-def: $vgpr5_vgpr6
	s_and_saveexec_b64 s[24:25], s[8:9]
	s_cbranch_execz .LBB896_65
.LBB896_72:
	global_load_dwordx2 v[5:6], v[19:20], off offset:512
	s_or_b64 exec, exec, s[24:25]
                                        ; implicit-def: $vgpr7_vgpr8
	s_and_saveexec_b64 s[8:9], s[10:11]
	s_cbranch_execnz .LBB896_66
.LBB896_73:
	s_or_b64 exec, exec, s[8:9]
                                        ; implicit-def: $vgpr9_vgpr10
	s_and_saveexec_b64 s[8:9], s[12:13]
	s_cbranch_execz .LBB896_67
.LBB896_74:
	global_load_dwordx2 v[9:10], v[19:20], off offset:1536
	s_or_b64 exec, exec, s[8:9]
                                        ; implicit-def: $vgpr11_vgpr12
	s_and_saveexec_b64 s[8:9], s[14:15]
	s_cbranch_execnz .LBB896_68
.LBB896_75:
	s_or_b64 exec, exec, s[8:9]
                                        ; implicit-def: $vgpr13_vgpr14
	s_and_saveexec_b64 s[8:9], s[16:17]
	s_cbranch_execz .LBB896_69
.LBB896_76:
	global_load_dwordx2 v[13:14], v[19:20], off offset:2560
	s_or_b64 exec, exec, s[8:9]
                                        ; implicit-def: $vgpr15_vgpr16
	s_and_saveexec_b64 s[8:9], s[18:19]
	s_cbranch_execnz .LBB896_70
.LBB896_77:
	s_or_b64 exec, exec, s[8:9]
                                        ; implicit-def: $vgpr17_vgpr18
	s_and_saveexec_b64 s[8:9], s[20:21]
	s_cbranch_execz .LBB896_79
.LBB896_78:
	global_load_dwordx2 v[17:18], v[19:20], off offset:3584
.LBB896_79:
	s_or_b64 exec, exec, s[8:9]
	v_add3_u32 v35, v41, v47, v39
	v_add3_u32 v36, v38, v46, v36
	;; [unrolled: 1-line block ×7, first 2 shown]
	s_mov_b32 s10, 0
	s_mov_b32 s11, 0
	v_mov_b32_e32 v20, 0
	s_movk_i32 s12, 0x200
	v_mov_b32_e32 v24, v0
	s_branch .LBB896_81
.LBB896_80:                             ;   in Loop: Header=BB896_81 Depth=1
	s_or_b64 exec, exec, s[8:9]
	s_addk_i32 s11, 0xfc00
	s_add_i32 s10, s10, 8
	s_cmpk_eq_i32 s11, 0xf000
	v_add_u32_e32 v24, 0x400, v24
	s_waitcnt vmcnt(0)
	s_barrier
	s_cbranch_scc1 .LBB896_85
.LBB896_81:                             ; =>This Inner Loop Header: Depth=1
	v_add_u32_e32 v19, s11, v48
	v_min_u32_e32 v19, 0x400, v19
	v_lshlrev_b32_e32 v19, 3, v19
	s_waitcnt vmcnt(0)
	ds_write_b64 v19, v[3:4] offset:1024
	v_add_u32_e32 v19, s11, v23
	v_min_u32_e32 v19, 0x400, v19
	v_lshlrev_b32_e32 v19, 3, v19
	ds_write_b64 v19, v[5:6] offset:1024
	v_add_u32_e32 v19, s11, v25
	v_min_u32_e32 v19, 0x400, v19
	v_lshlrev_b32_e32 v19, 3, v19
	;; [unrolled: 4-line block ×7, first 2 shown]
	v_cmp_gt_u32_e32 vcc, s7, v24
	ds_write_b64 v19, v[17:18] offset:1024
	s_waitcnt lgkmcnt(0)
	s_barrier
	s_and_saveexec_b64 s[8:9], vcc
	s_cbranch_execz .LBB896_83
; %bb.82:                               ;   in Loop: Header=BB896_81 Depth=1
	v_mov_b32_e32 v19, s10
	buffer_load_dword v19, v19, s[0:3], 0 offen
	v_mov_b32_e32 v26, s43
	s_waitcnt vmcnt(0)
	v_lshlrev_b32_e32 v19, 2, v19
	ds_read_b32 v19, v19
	ds_read_b64 v[38:39], v21 offset:1024
	s_waitcnt lgkmcnt(1)
	v_add_u32_e32 v19, v24, v19
	v_lshlrev_b64 v[40:41], 3, v[19:20]
	v_add_co_u32_e32 v40, vcc, s42, v40
	v_addc_co_u32_e32 v41, vcc, v26, v41, vcc
	s_waitcnt lgkmcnt(0)
	global_store_dwordx2 v[40:41], v[38:39], off
.LBB896_83:                             ;   in Loop: Header=BB896_81 Depth=1
	s_or_b64 exec, exec, s[8:9]
	v_add_u32_e32 v19, 0x200, v24
	v_cmp_gt_u32_e32 vcc, s7, v19
	s_and_saveexec_b64 s[8:9], vcc
	s_cbranch_execz .LBB896_80
; %bb.84:                               ;   in Loop: Header=BB896_81 Depth=1
	v_mov_b32_e32 v19, s10
	buffer_load_dword v19, v19, s[0:3], 0 offen offset:4
	v_mov_b32_e32 v26, s43
	s_waitcnt vmcnt(0)
	v_lshlrev_b32_e32 v19, 2, v19
	ds_read_b32 v19, v19
	ds_read_b64 v[38:39], v21 offset:5120
	s_waitcnt lgkmcnt(1)
	v_add3_u32 v19, v24, v19, s12
	v_lshlrev_b64 v[40:41], 3, v[19:20]
	v_add_co_u32_e32 v40, vcc, s42, v40
	v_addc_co_u32_e32 v41, vcc, v26, v41, vcc
	s_waitcnt lgkmcnt(0)
	global_store_dwordx2 v[40:41], v[38:39], off
	s_branch .LBB896_80
.LBB896_85:
	s_add_i32 s33, s33, -1
	s_cmp_eq_u32 s6, s33
	s_cselect_b64 s[8:9], -1, 0
	s_xor_b64 s[10:11], s[22:23], -1
	s_and_b64 s[10:11], s[10:11], s[8:9]
	s_and_saveexec_b64 s[8:9], s[10:11]
	s_cbranch_execz .LBB896_87
; %bb.86:
	ds_read_b32 v3, v37
	s_waitcnt lgkmcnt(0)
	v_add3_u32 v3, v32, v33, v3
	global_store_dword v37, v3, s[30:31]
.LBB896_87:
	s_or_b64 exec, exec, s[8:9]
	s_mov_b64 s[8:9], 0
.LBB896_88:
	s_and_b64 vcc, exec, s[8:9]
	s_cbranch_vccz .LBB896_131
; %bb.89:
	s_lshl_b32 s10, s6, 12
	s_mov_b32 s11, 0
	s_lshl_b64 s[8:9], s[10:11], 2
	v_mbcnt_hi_u32_b32 v5, -1, v22
	s_add_u32 s7, s36, s8
	v_and_b32_e32 v8, 63, v5
	s_addc_u32 s8, s37, s9
	v_lshlrev_b32_e32 v3, 2, v8
	v_and_b32_e32 v7, 0xe00, v21
	v_mov_b32_e32 v4, s8
	v_add_co_u32_e32 v3, vcc, s7, v3
	v_addc_co_u32_e32 v4, vcc, 0, v4, vcc
	v_lshlrev_b32_e32 v6, 2, v7
	v_add_co_u32_e32 v12, vcc, v3, v6
	v_addc_co_u32_e32 v13, vcc, 0, v4, vcc
	global_load_dword v4, v[12:13], off
	s_load_dword s8, s[4:5], 0x64
	s_load_dword s7, s[4:5], 0x58
	s_add_u32 s4, s4, 0x58
	s_addc_u32 s5, s5, 0
	v_mov_b32_e32 v3, 0
	s_waitcnt lgkmcnt(0)
	s_lshr_b32 s12, s8, 16
	s_cmp_lt_u32 s6, s7
	s_cselect_b32 s8, 12, 18
	s_add_u32 s4, s4, s8
	s_addc_u32 s5, s5, 0
	global_load_ushort v6, v3, s[4:5]
	global_load_dword v10, v[12:13], off offset:256
	global_load_dword v11, v[12:13], off offset:512
	;; [unrolled: 1-line block ×7, first 2 shown]
	s_lshl_b32 s4, -1, s45
	s_not_b32 s18, s4
	v_mad_u32_u24 v1, v2, s12, v1
	s_waitcnt vmcnt(8)
	v_xor_b32_e32 v9, 0x80000000, v4
	v_lshrrev_b32_e32 v4, s44, v9
	v_and_b32_e32 v15, s18, v4
	v_and_b32_e32 v12, 1, v15
	v_lshlrev_b32_e32 v4, 30, v15
	v_cmp_ne_u32_e32 vcc, 0, v12
	v_add_co_u32_e64 v12, s[8:9], -1, v12
	v_cmp_gt_i64_e64 s[4:5], 0, v[3:4]
	v_addc_co_u32_e64 v13, s[8:9], 0, -1, s[8:9]
	v_not_b32_e32 v16, v4
	v_lshlrev_b32_e32 v4, 29, v15
	v_xor_b32_e32 v13, vcc_hi, v13
	v_ashrrev_i32_e32 v16, 31, v16
	v_xor_b32_e32 v12, vcc_lo, v12
	v_cmp_gt_i64_e32 vcc, 0, v[3:4]
	v_not_b32_e32 v18, v4
	v_lshlrev_b32_e32 v4, 28, v15
	v_and_b32_e32 v13, exec_hi, v13
	v_xor_b32_e32 v19, s5, v16
	v_and_b32_e32 v12, exec_lo, v12
	v_xor_b32_e32 v16, s4, v16
	v_ashrrev_i32_e32 v18, 31, v18
	v_cmp_gt_i64_e64 s[4:5], 0, v[3:4]
	v_not_b32_e32 v20, v4
	v_lshlrev_b32_e32 v4, 27, v15
	v_and_b32_e32 v13, v13, v19
	v_and_b32_e32 v12, v12, v16
	v_xor_b32_e32 v16, vcc_hi, v18
	v_xor_b32_e32 v18, vcc_lo, v18
	v_ashrrev_i32_e32 v19, 31, v20
	v_cmp_gt_i64_e32 vcc, 0, v[3:4]
	v_not_b32_e32 v20, v4
	v_lshlrev_b32_e32 v4, 26, v15
	v_and_b32_e32 v13, v13, v16
	v_and_b32_e32 v12, v12, v18
	v_xor_b32_e32 v16, s5, v19
	v_xor_b32_e32 v18, s4, v19
	v_ashrrev_i32_e32 v19, 31, v20
	v_cmp_gt_i64_e64 s[4:5], 0, v[3:4]
	v_not_b32_e32 v20, v4
	v_lshlrev_b32_e32 v4, 25, v15
	v_and_b32_e32 v13, v13, v16
	v_and_b32_e32 v12, v12, v18
	v_xor_b32_e32 v16, vcc_hi, v19
	v_xor_b32_e32 v18, vcc_lo, v19
	v_ashrrev_i32_e32 v19, 31, v20
	v_cmp_gt_i64_e32 vcc, 0, v[3:4]
	v_not_b32_e32 v4, v4
	v_and_b32_e32 v13, v13, v16
	v_and_b32_e32 v12, v12, v18
	v_xor_b32_e32 v16, s5, v19
	v_xor_b32_e32 v18, s4, v19
	v_ashrrev_i32_e32 v4, 31, v4
	v_and_b32_e32 v13, v13, v16
	v_and_b32_e32 v12, v12, v18
	v_xor_b32_e32 v16, vcc_hi, v4
	v_xor_b32_e32 v4, vcc_lo, v4
	v_and_b32_e32 v18, v12, v4
	v_lshlrev_b32_e32 v4, 24, v15
	v_cmp_gt_i64_e32 vcc, 0, v[3:4]
	v_not_b32_e32 v4, v4
	v_and_b32_e32 v16, v13, v16
	v_ashrrev_i32_e32 v4, 31, v4
	s_waitcnt vmcnt(7)
	v_mad_u64_u32 v[12:13], s[4:5], v1, v6, v[0:1]
	v_xor_b32_e32 v19, vcc_hi, v4
	v_xor_b32_e32 v1, vcc_lo, v4
	v_mul_lo_u32 v4, v15, 36
	v_and_b32_e32 v1, v18, v1
	v_lshrrev_b32_e32 v27, 6, v12
	v_and_b32_e32 v2, v16, v19
	v_lshl_add_u32 v18, v27, 2, v4
	v_mbcnt_lo_u32_b32 v4, v1, 0
	v_mbcnt_hi_u32_b32 v12, v2, v4
	v_cmp_ne_u64_e32 vcc, 0, v[1:2]
	v_cmp_eq_u32_e64 s[4:5], 0, v12
	v_mul_u32_u24_e32 v6, 20, v0
	s_and_b64 s[8:9], vcc, s[4:5]
	ds_write2_b32 v6, v3, v3 offset0:8 offset1:9
	ds_write2_b32 v6, v3, v3 offset0:10 offset1:11
	ds_write_b32 v6, v3 offset:48
	s_waitcnt vmcnt(0) lgkmcnt(0)
	s_barrier
	; wave barrier
	s_and_saveexec_b64 s[4:5], s[8:9]
; %bb.90:
	v_bcnt_u32_b32 v1, v1, 0
	v_bcnt_u32_b32 v1, v2, v1
	ds_write_b32 v18, v1 offset:32
; %bb.91:
	s_or_b64 exec, exec, s[4:5]
	v_xor_b32_e32 v10, 0x80000000, v10
	v_lshrrev_b32_e32 v1, s44, v10
	v_and_b32_e32 v1, s18, v1
	v_mul_lo_u32 v2, v1, 36
	v_and_b32_e32 v4, 1, v1
	; wave barrier
	v_lshl_add_u32 v19, v27, 2, v2
	v_add_co_u32_e32 v2, vcc, -1, v4
	v_addc_co_u32_e64 v15, s[4:5], 0, -1, vcc
	v_cmp_ne_u32_e32 vcc, 0, v4
	v_xor_b32_e32 v4, vcc_hi, v15
	v_and_b32_e32 v15, exec_hi, v4
	v_lshlrev_b32_e32 v4, 30, v1
	v_xor_b32_e32 v2, vcc_lo, v2
	v_cmp_gt_i64_e32 vcc, 0, v[3:4]
	v_not_b32_e32 v4, v4
	v_ashrrev_i32_e32 v4, 31, v4
	v_and_b32_e32 v2, exec_lo, v2
	v_xor_b32_e32 v16, vcc_hi, v4
	v_xor_b32_e32 v4, vcc_lo, v4
	v_and_b32_e32 v2, v2, v4
	v_lshlrev_b32_e32 v4, 29, v1
	v_cmp_gt_i64_e32 vcc, 0, v[3:4]
	v_not_b32_e32 v4, v4
	v_ashrrev_i32_e32 v4, 31, v4
	v_and_b32_e32 v15, v15, v16
	v_xor_b32_e32 v16, vcc_hi, v4
	v_xor_b32_e32 v4, vcc_lo, v4
	v_and_b32_e32 v2, v2, v4
	v_lshlrev_b32_e32 v4, 28, v1
	v_cmp_gt_i64_e32 vcc, 0, v[3:4]
	v_not_b32_e32 v4, v4
	v_ashrrev_i32_e32 v4, 31, v4
	v_and_b32_e32 v15, v15, v16
	;; [unrolled: 8-line block ×5, first 2 shown]
	v_xor_b32_e32 v16, vcc_hi, v4
	v_xor_b32_e32 v4, vcc_lo, v4
	v_and_b32_e32 v15, v15, v16
	v_and_b32_e32 v16, v2, v4
	v_lshlrev_b32_e32 v4, 24, v1
	v_cmp_gt_i64_e32 vcc, 0, v[3:4]
	v_not_b32_e32 v1, v4
	v_ashrrev_i32_e32 v1, 31, v1
	v_xor_b32_e32 v2, vcc_hi, v1
	v_xor_b32_e32 v1, vcc_lo, v1
	ds_read_b32 v13, v19 offset:32
	v_and_b32_e32 v1, v16, v1
	v_and_b32_e32 v2, v15, v2
	v_mbcnt_lo_u32_b32 v3, v1, 0
	v_mbcnt_hi_u32_b32 v15, v2, v3
	v_cmp_ne_u64_e32 vcc, 0, v[1:2]
	v_cmp_eq_u32_e64 s[4:5], 0, v15
	s_and_b64 s[8:9], vcc, s[4:5]
	; wave barrier
	s_and_saveexec_b64 s[4:5], s[8:9]
	s_cbranch_execz .LBB896_93
; %bb.92:
	v_bcnt_u32_b32 v1, v1, 0
	v_bcnt_u32_b32 v1, v2, v1
	s_waitcnt lgkmcnt(0)
	v_add_u32_e32 v1, v13, v1
	ds_write_b32 v19, v1 offset:32
.LBB896_93:
	s_or_b64 exec, exec, s[4:5]
	v_xor_b32_e32 v11, 0x80000000, v11
	v_lshrrev_b32_e32 v1, s44, v11
	v_and_b32_e32 v3, s18, v1
	v_mul_lo_u32 v1, v3, 36
	v_and_b32_e32 v2, 1, v3
	v_add_co_u32_e32 v4, vcc, -1, v2
	v_addc_co_u32_e64 v20, s[4:5], 0, -1, vcc
	v_cmp_ne_u32_e32 vcc, 0, v2
	v_xor_b32_e32 v2, vcc_hi, v20
	v_lshl_add_u32 v25, v27, 2, v1
	v_mov_b32_e32 v1, 0
	v_and_b32_e32 v20, exec_hi, v2
	v_lshlrev_b32_e32 v2, 30, v3
	v_xor_b32_e32 v4, vcc_lo, v4
	v_cmp_gt_i64_e32 vcc, 0, v[1:2]
	v_not_b32_e32 v2, v2
	v_ashrrev_i32_e32 v2, 31, v2
	v_and_b32_e32 v4, exec_lo, v4
	v_xor_b32_e32 v22, vcc_hi, v2
	v_xor_b32_e32 v2, vcc_lo, v2
	v_and_b32_e32 v4, v4, v2
	v_lshlrev_b32_e32 v2, 29, v3
	v_cmp_gt_i64_e32 vcc, 0, v[1:2]
	v_not_b32_e32 v2, v2
	v_ashrrev_i32_e32 v2, 31, v2
	v_and_b32_e32 v20, v20, v22
	v_xor_b32_e32 v22, vcc_hi, v2
	v_xor_b32_e32 v2, vcc_lo, v2
	v_and_b32_e32 v4, v4, v2
	v_lshlrev_b32_e32 v2, 28, v3
	v_cmp_gt_i64_e32 vcc, 0, v[1:2]
	v_not_b32_e32 v2, v2
	v_ashrrev_i32_e32 v2, 31, v2
	v_and_b32_e32 v20, v20, v22
	;; [unrolled: 8-line block ×5, first 2 shown]
	v_xor_b32_e32 v22, vcc_hi, v2
	v_xor_b32_e32 v2, vcc_lo, v2
	v_and_b32_e32 v4, v4, v2
	v_lshlrev_b32_e32 v2, 24, v3
	v_cmp_gt_i64_e32 vcc, 0, v[1:2]
	v_not_b32_e32 v2, v2
	v_ashrrev_i32_e32 v2, 31, v2
	v_xor_b32_e32 v3, vcc_hi, v2
	v_xor_b32_e32 v2, vcc_lo, v2
	; wave barrier
	ds_read_b32 v16, v25 offset:32
	v_and_b32_e32 v20, v20, v22
	v_and_b32_e32 v2, v4, v2
	;; [unrolled: 1-line block ×3, first 2 shown]
	v_mbcnt_lo_u32_b32 v4, v2, 0
	v_mbcnt_hi_u32_b32 v20, v3, v4
	v_cmp_ne_u64_e32 vcc, 0, v[2:3]
	v_cmp_eq_u32_e64 s[4:5], 0, v20
	s_and_b64 s[8:9], vcc, s[4:5]
	; wave barrier
	s_and_saveexec_b64 s[4:5], s[8:9]
	s_cbranch_execz .LBB896_95
; %bb.94:
	v_bcnt_u32_b32 v2, v2, 0
	v_bcnt_u32_b32 v2, v3, v2
	s_waitcnt lgkmcnt(0)
	v_add_u32_e32 v2, v16, v2
	ds_write_b32 v25, v2 offset:32
.LBB896_95:
	s_or_b64 exec, exec, s[4:5]
	v_xor_b32_e32 v14, 0x80000000, v14
	v_lshrrev_b32_e32 v2, s44, v14
	v_and_b32_e32 v3, s18, v2
	v_mul_lo_u32 v2, v3, 36
	v_and_b32_e32 v4, 1, v3
	; wave barrier
	v_lshl_add_u32 v30, v27, 2, v2
	v_add_co_u32_e32 v2, vcc, -1, v4
	v_addc_co_u32_e64 v26, s[4:5], 0, -1, vcc
	v_cmp_ne_u32_e32 vcc, 0, v4
	v_xor_b32_e32 v2, vcc_lo, v2
	v_xor_b32_e32 v4, vcc_hi, v26
	v_and_b32_e32 v26, exec_lo, v2
	v_lshlrev_b32_e32 v2, 30, v3
	v_cmp_gt_i64_e32 vcc, 0, v[1:2]
	v_not_b32_e32 v2, v2
	v_ashrrev_i32_e32 v2, 31, v2
	v_xor_b32_e32 v28, vcc_hi, v2
	v_xor_b32_e32 v2, vcc_lo, v2
	v_and_b32_e32 v26, v26, v2
	v_lshlrev_b32_e32 v2, 29, v3
	v_cmp_gt_i64_e32 vcc, 0, v[1:2]
	v_not_b32_e32 v2, v2
	v_and_b32_e32 v4, exec_hi, v4
	v_ashrrev_i32_e32 v2, 31, v2
	v_and_b32_e32 v4, v4, v28
	v_xor_b32_e32 v28, vcc_hi, v2
	v_xor_b32_e32 v2, vcc_lo, v2
	v_and_b32_e32 v26, v26, v2
	v_lshlrev_b32_e32 v2, 28, v3
	v_cmp_gt_i64_e32 vcc, 0, v[1:2]
	v_not_b32_e32 v2, v2
	v_ashrrev_i32_e32 v2, 31, v2
	v_and_b32_e32 v4, v4, v28
	v_xor_b32_e32 v28, vcc_hi, v2
	v_xor_b32_e32 v2, vcc_lo, v2
	v_and_b32_e32 v26, v26, v2
	v_lshlrev_b32_e32 v2, 27, v3
	v_cmp_gt_i64_e32 vcc, 0, v[1:2]
	v_not_b32_e32 v2, v2
	;; [unrolled: 8-line block ×5, first 2 shown]
	v_ashrrev_i32_e32 v1, 31, v1
	v_xor_b32_e32 v2, vcc_hi, v1
	v_xor_b32_e32 v1, vcc_lo, v1
	ds_read_b32 v22, v30 offset:32
	v_and_b32_e32 v4, v4, v28
	v_and_b32_e32 v1, v26, v1
	;; [unrolled: 1-line block ×3, first 2 shown]
	v_mbcnt_lo_u32_b32 v3, v1, 0
	v_mbcnt_hi_u32_b32 v26, v2, v3
	v_cmp_ne_u64_e32 vcc, 0, v[1:2]
	v_cmp_eq_u32_e64 s[4:5], 0, v26
	s_and_b64 s[8:9], vcc, s[4:5]
	; wave barrier
	s_and_saveexec_b64 s[4:5], s[8:9]
	s_cbranch_execz .LBB896_97
; %bb.96:
	v_bcnt_u32_b32 v1, v1, 0
	v_bcnt_u32_b32 v1, v2, v1
	s_waitcnt lgkmcnt(0)
	v_add_u32_e32 v1, v22, v1
	ds_write_b32 v30, v1 offset:32
.LBB896_97:
	s_or_b64 exec, exec, s[4:5]
	v_xor_b32_e32 v17, 0x80000000, v17
	v_lshrrev_b32_e32 v1, s44, v17
	v_and_b32_e32 v3, s18, v1
	v_mul_lo_u32 v1, v3, 36
	v_and_b32_e32 v2, 1, v3
	v_add_co_u32_e32 v4, vcc, -1, v2
	v_addc_co_u32_e64 v31, s[4:5], 0, -1, vcc
	v_cmp_ne_u32_e32 vcc, 0, v2
	v_xor_b32_e32 v2, vcc_hi, v31
	v_lshl_add_u32 v34, v27, 2, v1
	v_mov_b32_e32 v1, 0
	v_and_b32_e32 v31, exec_hi, v2
	v_lshlrev_b32_e32 v2, 30, v3
	v_xor_b32_e32 v4, vcc_lo, v4
	v_cmp_gt_i64_e32 vcc, 0, v[1:2]
	v_not_b32_e32 v2, v2
	v_ashrrev_i32_e32 v2, 31, v2
	v_and_b32_e32 v4, exec_lo, v4
	v_xor_b32_e32 v32, vcc_hi, v2
	v_xor_b32_e32 v2, vcc_lo, v2
	v_and_b32_e32 v4, v4, v2
	v_lshlrev_b32_e32 v2, 29, v3
	v_cmp_gt_i64_e32 vcc, 0, v[1:2]
	v_not_b32_e32 v2, v2
	v_ashrrev_i32_e32 v2, 31, v2
	v_and_b32_e32 v31, v31, v32
	v_xor_b32_e32 v32, vcc_hi, v2
	v_xor_b32_e32 v2, vcc_lo, v2
	v_and_b32_e32 v4, v4, v2
	v_lshlrev_b32_e32 v2, 28, v3
	v_cmp_gt_i64_e32 vcc, 0, v[1:2]
	v_not_b32_e32 v2, v2
	v_ashrrev_i32_e32 v2, 31, v2
	v_and_b32_e32 v31, v31, v32
	;; [unrolled: 8-line block ×5, first 2 shown]
	v_xor_b32_e32 v32, vcc_hi, v2
	v_xor_b32_e32 v2, vcc_lo, v2
	v_and_b32_e32 v4, v4, v2
	v_lshlrev_b32_e32 v2, 24, v3
	v_cmp_gt_i64_e32 vcc, 0, v[1:2]
	v_not_b32_e32 v2, v2
	v_ashrrev_i32_e32 v2, 31, v2
	v_xor_b32_e32 v3, vcc_hi, v2
	v_xor_b32_e32 v2, vcc_lo, v2
	; wave barrier
	ds_read_b32 v28, v34 offset:32
	v_and_b32_e32 v31, v31, v32
	v_and_b32_e32 v2, v4, v2
	;; [unrolled: 1-line block ×3, first 2 shown]
	v_mbcnt_lo_u32_b32 v4, v2, 0
	v_mbcnt_hi_u32_b32 v31, v3, v4
	v_cmp_ne_u64_e32 vcc, 0, v[2:3]
	v_cmp_eq_u32_e64 s[4:5], 0, v31
	s_and_b64 s[8:9], vcc, s[4:5]
	; wave barrier
	s_and_saveexec_b64 s[4:5], s[8:9]
	s_cbranch_execz .LBB896_99
; %bb.98:
	v_bcnt_u32_b32 v2, v2, 0
	v_bcnt_u32_b32 v2, v3, v2
	s_waitcnt lgkmcnt(0)
	v_add_u32_e32 v2, v28, v2
	ds_write_b32 v34, v2 offset:32
.LBB896_99:
	s_or_b64 exec, exec, s[4:5]
	v_xor_b32_e32 v23, 0x80000000, v23
	v_lshrrev_b32_e32 v2, s44, v23
	v_and_b32_e32 v3, s18, v2
	v_mul_lo_u32 v2, v3, 36
	v_and_b32_e32 v4, 1, v3
	; wave barrier
	v_lshl_add_u32 v37, v27, 2, v2
	v_add_co_u32_e32 v2, vcc, -1, v4
	v_addc_co_u32_e64 v33, s[4:5], 0, -1, vcc
	v_cmp_ne_u32_e32 vcc, 0, v4
	v_xor_b32_e32 v2, vcc_lo, v2
	v_xor_b32_e32 v4, vcc_hi, v33
	v_and_b32_e32 v33, exec_lo, v2
	v_lshlrev_b32_e32 v2, 30, v3
	v_cmp_gt_i64_e32 vcc, 0, v[1:2]
	v_not_b32_e32 v2, v2
	v_ashrrev_i32_e32 v2, 31, v2
	v_xor_b32_e32 v35, vcc_hi, v2
	v_xor_b32_e32 v2, vcc_lo, v2
	v_and_b32_e32 v33, v33, v2
	v_lshlrev_b32_e32 v2, 29, v3
	v_cmp_gt_i64_e32 vcc, 0, v[1:2]
	v_not_b32_e32 v2, v2
	v_and_b32_e32 v4, exec_hi, v4
	v_ashrrev_i32_e32 v2, 31, v2
	v_and_b32_e32 v4, v4, v35
	v_xor_b32_e32 v35, vcc_hi, v2
	v_xor_b32_e32 v2, vcc_lo, v2
	v_and_b32_e32 v33, v33, v2
	v_lshlrev_b32_e32 v2, 28, v3
	v_cmp_gt_i64_e32 vcc, 0, v[1:2]
	v_not_b32_e32 v2, v2
	v_ashrrev_i32_e32 v2, 31, v2
	v_and_b32_e32 v4, v4, v35
	v_xor_b32_e32 v35, vcc_hi, v2
	v_xor_b32_e32 v2, vcc_lo, v2
	v_and_b32_e32 v33, v33, v2
	v_lshlrev_b32_e32 v2, 27, v3
	v_cmp_gt_i64_e32 vcc, 0, v[1:2]
	v_not_b32_e32 v2, v2
	;; [unrolled: 8-line block ×5, first 2 shown]
	v_ashrrev_i32_e32 v1, 31, v1
	v_xor_b32_e32 v2, vcc_hi, v1
	v_xor_b32_e32 v1, vcc_lo, v1
	ds_read_b32 v32, v37 offset:32
	v_and_b32_e32 v4, v4, v35
	v_and_b32_e32 v1, v33, v1
	;; [unrolled: 1-line block ×3, first 2 shown]
	v_mbcnt_lo_u32_b32 v3, v1, 0
	v_mbcnt_hi_u32_b32 v35, v2, v3
	v_cmp_ne_u64_e32 vcc, 0, v[1:2]
	v_cmp_eq_u32_e64 s[4:5], 0, v35
	s_and_b64 s[8:9], vcc, s[4:5]
	; wave barrier
	s_and_saveexec_b64 s[4:5], s[8:9]
	s_cbranch_execz .LBB896_101
; %bb.100:
	v_bcnt_u32_b32 v1, v1, 0
	v_bcnt_u32_b32 v1, v2, v1
	s_waitcnt lgkmcnt(0)
	v_add_u32_e32 v1, v32, v1
	ds_write_b32 v37, v1 offset:32
.LBB896_101:
	s_or_b64 exec, exec, s[4:5]
	v_xor_b32_e32 v29, 0x80000000, v29
	v_lshrrev_b32_e32 v1, s44, v29
	v_and_b32_e32 v3, s18, v1
	v_mul_lo_u32 v1, v3, 36
	v_and_b32_e32 v2, 1, v3
	v_add_co_u32_e32 v4, vcc, -1, v2
	v_addc_co_u32_e64 v33, s[4:5], 0, -1, vcc
	v_cmp_ne_u32_e32 vcc, 0, v2
	v_xor_b32_e32 v2, vcc_hi, v33
	v_lshl_add_u32 v39, v27, 2, v1
	v_mov_b32_e32 v1, 0
	v_and_b32_e32 v33, exec_hi, v2
	v_lshlrev_b32_e32 v2, 30, v3
	v_xor_b32_e32 v4, vcc_lo, v4
	v_cmp_gt_i64_e32 vcc, 0, v[1:2]
	v_not_b32_e32 v2, v2
	v_ashrrev_i32_e32 v2, 31, v2
	v_and_b32_e32 v4, exec_lo, v4
	v_xor_b32_e32 v38, vcc_hi, v2
	v_xor_b32_e32 v2, vcc_lo, v2
	v_and_b32_e32 v4, v4, v2
	v_lshlrev_b32_e32 v2, 29, v3
	v_cmp_gt_i64_e32 vcc, 0, v[1:2]
	v_not_b32_e32 v2, v2
	v_ashrrev_i32_e32 v2, 31, v2
	v_and_b32_e32 v33, v33, v38
	v_xor_b32_e32 v38, vcc_hi, v2
	v_xor_b32_e32 v2, vcc_lo, v2
	v_and_b32_e32 v4, v4, v2
	v_lshlrev_b32_e32 v2, 28, v3
	v_cmp_gt_i64_e32 vcc, 0, v[1:2]
	v_not_b32_e32 v2, v2
	v_ashrrev_i32_e32 v2, 31, v2
	v_and_b32_e32 v33, v33, v38
	;; [unrolled: 8-line block ×5, first 2 shown]
	v_xor_b32_e32 v38, vcc_hi, v2
	v_xor_b32_e32 v2, vcc_lo, v2
	v_and_b32_e32 v4, v4, v2
	v_lshlrev_b32_e32 v2, 24, v3
	v_cmp_gt_i64_e32 vcc, 0, v[1:2]
	v_not_b32_e32 v2, v2
	v_ashrrev_i32_e32 v2, 31, v2
	v_xor_b32_e32 v3, vcc_hi, v2
	v_xor_b32_e32 v2, vcc_lo, v2
	; wave barrier
	ds_read_b32 v36, v39 offset:32
	v_and_b32_e32 v33, v33, v38
	v_and_b32_e32 v2, v4, v2
	;; [unrolled: 1-line block ×3, first 2 shown]
	v_mbcnt_lo_u32_b32 v4, v2, 0
	v_mbcnt_hi_u32_b32 v38, v3, v4
	v_cmp_ne_u64_e32 vcc, 0, v[2:3]
	v_cmp_eq_u32_e64 s[4:5], 0, v38
	s_and_b64 s[8:9], vcc, s[4:5]
	; wave barrier
	s_and_saveexec_b64 s[4:5], s[8:9]
	s_cbranch_execz .LBB896_103
; %bb.102:
	v_bcnt_u32_b32 v2, v2, 0
	v_bcnt_u32_b32 v2, v3, v2
	s_waitcnt lgkmcnt(0)
	v_add_u32_e32 v2, v36, v2
	ds_write_b32 v39, v2 offset:32
.LBB896_103:
	s_or_b64 exec, exec, s[4:5]
	v_xor_b32_e32 v33, 0x80000000, v24
	v_lshrrev_b32_e32 v2, s44, v33
	v_and_b32_e32 v3, s18, v2
	v_mul_lo_u32 v2, v3, 36
	v_and_b32_e32 v4, 1, v3
	; wave barrier
	v_lshl_add_u32 v41, v27, 2, v2
	v_add_co_u32_e32 v2, vcc, -1, v4
	v_addc_co_u32_e64 v24, s[4:5], 0, -1, vcc
	v_cmp_ne_u32_e32 vcc, 0, v4
	v_xor_b32_e32 v2, vcc_lo, v2
	v_xor_b32_e32 v4, vcc_hi, v24
	v_and_b32_e32 v24, exec_lo, v2
	v_lshlrev_b32_e32 v2, 30, v3
	v_cmp_gt_i64_e32 vcc, 0, v[1:2]
	v_not_b32_e32 v2, v2
	v_ashrrev_i32_e32 v2, 31, v2
	v_xor_b32_e32 v40, vcc_hi, v2
	v_xor_b32_e32 v2, vcc_lo, v2
	v_and_b32_e32 v24, v24, v2
	v_lshlrev_b32_e32 v2, 29, v3
	v_cmp_gt_i64_e32 vcc, 0, v[1:2]
	v_not_b32_e32 v2, v2
	v_and_b32_e32 v4, exec_hi, v4
	v_ashrrev_i32_e32 v2, 31, v2
	v_and_b32_e32 v4, v4, v40
	v_xor_b32_e32 v40, vcc_hi, v2
	v_xor_b32_e32 v2, vcc_lo, v2
	v_and_b32_e32 v24, v24, v2
	v_lshlrev_b32_e32 v2, 28, v3
	v_cmp_gt_i64_e32 vcc, 0, v[1:2]
	v_not_b32_e32 v2, v2
	v_ashrrev_i32_e32 v2, 31, v2
	v_and_b32_e32 v4, v4, v40
	v_xor_b32_e32 v40, vcc_hi, v2
	v_xor_b32_e32 v2, vcc_lo, v2
	v_and_b32_e32 v24, v24, v2
	v_lshlrev_b32_e32 v2, 27, v3
	v_cmp_gt_i64_e32 vcc, 0, v[1:2]
	v_not_b32_e32 v2, v2
	;; [unrolled: 8-line block ×5, first 2 shown]
	v_ashrrev_i32_e32 v1, 31, v1
	v_xor_b32_e32 v2, vcc_hi, v1
	v_xor_b32_e32 v1, vcc_lo, v1
	ds_read_b32 v27, v41 offset:32
	v_and_b32_e32 v4, v4, v40
	v_and_b32_e32 v1, v24, v1
	;; [unrolled: 1-line block ×3, first 2 shown]
	v_mbcnt_lo_u32_b32 v3, v1, 0
	v_mbcnt_hi_u32_b32 v40, v2, v3
	v_cmp_ne_u64_e32 vcc, 0, v[1:2]
	v_cmp_eq_u32_e64 s[4:5], 0, v40
	s_and_b64 s[8:9], vcc, s[4:5]
	; wave barrier
	s_and_saveexec_b64 s[4:5], s[8:9]
	s_cbranch_execz .LBB896_105
; %bb.104:
	v_bcnt_u32_b32 v1, v1, 0
	v_bcnt_u32_b32 v1, v2, v1
	s_waitcnt lgkmcnt(0)
	v_add_u32_e32 v1, v27, v1
	ds_write_b32 v41, v1 offset:32
.LBB896_105:
	s_or_b64 exec, exec, s[4:5]
	; wave barrier
	s_waitcnt lgkmcnt(0)
	s_barrier
	ds_read2_b32 v[3:4], v6 offset0:8 offset1:9
	ds_read2_b32 v[1:2], v6 offset0:10 offset1:11
	ds_read_b32 v24, v6 offset:48
	s_waitcnt lgkmcnt(1)
	v_add3_u32 v42, v4, v3, v1
	s_waitcnt lgkmcnt(0)
	v_add3_u32 v24, v42, v2, v24
	v_and_b32_e32 v42, 15, v5
	v_cmp_ne_u32_e32 vcc, 0, v42
	v_mov_b32_dpp v43, v24 row_shr:1 row_mask:0xf bank_mask:0xf
	v_cndmask_b32_e32 v43, 0, v43, vcc
	v_add_u32_e32 v24, v43, v24
	v_cmp_lt_u32_e32 vcc, 1, v42
	s_nop 0
	v_mov_b32_dpp v43, v24 row_shr:2 row_mask:0xf bank_mask:0xf
	v_cndmask_b32_e32 v43, 0, v43, vcc
	v_add_u32_e32 v24, v24, v43
	v_cmp_lt_u32_e32 vcc, 3, v42
	s_nop 0
	;; [unrolled: 5-line block ×3, first 2 shown]
	v_mov_b32_dpp v43, v24 row_shr:8 row_mask:0xf bank_mask:0xf
	v_cndmask_b32_e32 v42, 0, v43, vcc
	v_add_u32_e32 v24, v24, v42
	v_bfe_i32 v43, v5, 4, 1
	v_cmp_lt_u32_e32 vcc, 31, v5
	v_mov_b32_dpp v42, v24 row_bcast:15 row_mask:0xf bank_mask:0xf
	v_and_b32_e32 v42, v43, v42
	v_add_u32_e32 v24, v24, v42
	v_lshrrev_b32_e32 v43, 6, v0
	s_nop 0
	v_mov_b32_dpp v42, v24 row_bcast:31 row_mask:0xf bank_mask:0xf
	v_cndmask_b32_e32 v42, 0, v42, vcc
	v_add_u32_e32 v42, v24, v42
	v_or_b32_e32 v24, 63, v0
	v_cmp_eq_u32_e32 vcc, v0, v24
	s_and_saveexec_b64 s[4:5], vcc
; %bb.106:
	v_lshlrev_b32_e32 v24, 2, v43
	ds_write_b32 v24, v42
; %bb.107:
	s_or_b64 exec, exec, s[4:5]
	v_cmp_gt_u32_e32 vcc, 8, v0
	v_lshlrev_b32_e32 v24, 2, v0
	s_waitcnt lgkmcnt(0)
	s_barrier
	s_and_saveexec_b64 s[4:5], vcc
	s_cbranch_execz .LBB896_109
; %bb.108:
	ds_read_b32 v44, v24
	v_and_b32_e32 v45, 7, v5
	v_cmp_ne_u32_e32 vcc, 0, v45
	s_waitcnt lgkmcnt(0)
	v_mov_b32_dpp v46, v44 row_shr:1 row_mask:0xf bank_mask:0xf
	v_cndmask_b32_e32 v46, 0, v46, vcc
	v_add_u32_e32 v44, v46, v44
	v_cmp_lt_u32_e32 vcc, 1, v45
	s_nop 0
	v_mov_b32_dpp v46, v44 row_shr:2 row_mask:0xf bank_mask:0xf
	v_cndmask_b32_e32 v46, 0, v46, vcc
	v_add_u32_e32 v44, v44, v46
	v_cmp_lt_u32_e32 vcc, 3, v45
	s_nop 0
	v_mov_b32_dpp v46, v44 row_shr:4 row_mask:0xf bank_mask:0xf
	v_cndmask_b32_e32 v45, 0, v46, vcc
	v_add_u32_e32 v44, v44, v45
	ds_write_b32 v24, v44
.LBB896_109:
	s_or_b64 exec, exec, s[4:5]
	v_cmp_lt_u32_e32 vcc, 63, v0
	v_mov_b32_e32 v44, 0
	s_waitcnt lgkmcnt(0)
	s_barrier
	s_and_saveexec_b64 s[4:5], vcc
; %bb.110:
	v_lshl_add_u32 v43, v43, 2, -4
	ds_read_b32 v44, v43
; %bb.111:
	s_or_b64 exec, exec, s[4:5]
	v_subrev_co_u32_e32 v43, vcc, 1, v5
	v_and_b32_e32 v45, 64, v5
	v_cmp_lt_i32_e64 s[4:5], v43, v45
	v_cndmask_b32_e64 v5, v43, v5, s[4:5]
	s_waitcnt lgkmcnt(0)
	v_add_u32_e32 v42, v44, v42
	v_lshlrev_b32_e32 v5, 2, v5
	ds_bpermute_b32 v5, v5, v42
	s_movk_i32 s4, 0xff
	s_movk_i32 s8, 0x100
	v_cmp_lt_u32_e64 s[4:5], s4, v0
	s_waitcnt lgkmcnt(0)
	v_cndmask_b32_e32 v5, v5, v44, vcc
	v_cmp_ne_u32_e32 vcc, 0, v0
	v_cndmask_b32_e32 v5, 0, v5, vcc
	v_add_u32_e32 v3, v5, v3
	v_add_u32_e32 v4, v3, v4
	;; [unrolled: 1-line block ×4, first 2 shown]
	ds_write2_b32 v6, v5, v3 offset0:8 offset1:9
	ds_write2_b32 v6, v4, v1 offset0:10 offset1:11
	ds_write_b32 v6, v2 offset:48
	s_waitcnt lgkmcnt(0)
	s_barrier
	ds_read_b32 v45, v18 offset:32
	ds_read_b32 v18, v19 offset:32
	;; [unrolled: 1-line block ×8, first 2 shown]
	v_cmp_gt_u32_e32 vcc, s8, v0
                                        ; implicit-def: $vgpr19
                                        ; implicit-def: $vgpr25
	s_and_saveexec_b64 s[12:13], vcc
	s_cbranch_execz .LBB896_115
; %bb.112:
	v_mul_u32_u24_e32 v1, 36, v0
	ds_read_b32 v19, v1 offset:32
	v_add_u32_e32 v2, 1, v0
	v_cmp_ne_u32_e64 s[8:9], s8, v2
	v_mov_b32_e32 v1, 0x1000
	s_and_saveexec_b64 s[14:15], s[8:9]
; %bb.113:
	v_mul_u32_u24_e32 v1, 36, v2
	ds_read_b32 v1, v1 offset:32
; %bb.114:
	s_or_b64 exec, exec, s[14:15]
	s_waitcnt lgkmcnt(0)
	v_sub_u32_e32 v25, v1, v19
.LBB896_115:
	s_or_b64 exec, exec, s[12:13]
	v_mov_b32_e32 v2, 0
	s_waitcnt lgkmcnt(0)
	s_barrier
	s_and_saveexec_b64 s[8:9], vcc
	s_cbranch_execz .LBB896_125
; %bb.116:
	v_lshl_add_u32 v1, s6, 8, v0
	v_lshlrev_b64 v[3:4], 2, v[1:2]
	v_mov_b32_e32 v30, s35
	v_add_co_u32_e32 v3, vcc, s34, v3
	v_addc_co_u32_e32 v4, vcc, v30, v4, vcc
	v_or_b32_e32 v1, 2.0, v25
	s_mov_b64 s[12:13], 0
	s_brev_b32 s19, -4
	s_mov_b32 s20, s6
	v_mov_b32_e32 v41, 0
	global_store_dword v[3:4], v1, off
                                        ; implicit-def: $sgpr14_sgpr15
	s_branch .LBB896_119
.LBB896_117:                            ;   in Loop: Header=BB896_119 Depth=1
	s_or_b64 exec, exec, s[16:17]
.LBB896_118:                            ;   in Loop: Header=BB896_119 Depth=1
	s_or_b64 exec, exec, s[14:15]
	v_and_b32_e32 v5, 0x3fffffff, v1
	v_add_u32_e32 v41, v5, v41
	v_cmp_gt_i32_e64 s[14:15], -2.0, v1
	s_and_b64 s[16:17], exec, s[14:15]
	s_or_b64 s[12:13], s[16:17], s[12:13]
	s_andn2_b64 exec, exec, s[12:13]
	s_cbranch_execz .LBB896_124
.LBB896_119:                            ; =>This Loop Header: Depth=1
                                        ;     Child Loop BB896_122 Depth 2
	s_or_b64 s[14:15], s[14:15], exec
	s_cmp_eq_u32 s20, 0
	s_cbranch_scc1 .LBB896_123
; %bb.120:                              ;   in Loop: Header=BB896_119 Depth=1
	s_add_i32 s20, s20, -1
	v_lshl_or_b32 v1, s20, 8, v0
	v_lshlrev_b64 v[5:6], 2, v[1:2]
	v_add_co_u32_e32 v5, vcc, s34, v5
	v_addc_co_u32_e32 v6, vcc, v30, v6, vcc
	global_load_dword v1, v[5:6], off glc
	s_waitcnt vmcnt(0)
	v_cmp_gt_u32_e32 vcc, 2.0, v1
	s_and_saveexec_b64 s[14:15], vcc
	s_cbranch_execz .LBB896_118
; %bb.121:                              ;   in Loop: Header=BB896_119 Depth=1
	s_mov_b64 s[16:17], 0
.LBB896_122:                            ;   Parent Loop BB896_119 Depth=1
                                        ; =>  This Inner Loop Header: Depth=2
	global_load_dword v1, v[5:6], off glc
	s_waitcnt vmcnt(0)
	v_cmp_lt_u32_e32 vcc, s19, v1
	s_or_b64 s[16:17], vcc, s[16:17]
	s_andn2_b64 exec, exec, s[16:17]
	s_cbranch_execnz .LBB896_122
	s_branch .LBB896_117
.LBB896_123:                            ;   in Loop: Header=BB896_119 Depth=1
                                        ; implicit-def: $sgpr20
	s_and_b64 s[16:17], exec, s[14:15]
	s_or_b64 s[12:13], s[16:17], s[12:13]
	s_andn2_b64 exec, exec, s[12:13]
	s_cbranch_execnz .LBB896_119
.LBB896_124:
	s_or_b64 exec, exec, s[12:13]
	v_add_u32_e32 v1, v41, v25
	v_or_b32_e32 v1, 0x80000000, v1
	global_store_dword v[3:4], v1, off
	global_load_dword v1, v24, s[28:29]
	v_sub_u32_e32 v2, v41, v19
	s_waitcnt vmcnt(0)
	v_add_u32_e32 v1, v2, v1
	ds_write_b32 v24, v1
.LBB896_125:
	s_or_b64 exec, exec, s[8:9]
	v_add_u32_e32 v30, v45, v12
	s_mov_b32 s14, 16
	v_add3_u32 v27, v40, v39, v27
	v_add3_u32 v34, v38, v34, v36
	;; [unrolled: 1-line block ×7, first 2 shown]
	s_mov_b32 s20, 0
	s_mov_b64 s[12:13], -1
	s_mov_b32 s15, 0
	v_mov_b32_e32 v2, 0
	v_mov_b32_e32 v3, s39
	s_movk_i32 s16, 0x200
	s_movk_i32 s17, 0x400
	;; [unrolled: 1-line block ×3, first 2 shown]
	v_mov_b32_e32 v4, v0
.LBB896_126:                            ; =>This Inner Loop Header: Depth=1
	v_add_u32_e32 v1, s15, v30
	v_add_u32_e32 v5, s15, v26
	;; [unrolled: 1-line block ×8, first 2 shown]
	v_min_u32_e32 v1, 0x800, v1
	v_min_u32_e32 v5, 0x800, v5
	;; [unrolled: 1-line block ×8, first 2 shown]
	v_lshlrev_b32_e32 v1, 2, v1
	v_lshlrev_b32_e32 v5, 2, v5
	;; [unrolled: 1-line block ×8, first 2 shown]
	ds_write_b32 v1, v9 offset:1024
	ds_write_b32 v5, v10 offset:1024
	;; [unrolled: 1-line block ×8, first 2 shown]
	s_waitcnt lgkmcnt(0)
	s_barrier
	ds_read2st64_b32 v[5:6], v24 offset0:4 offset1:12
	ds_read2st64_b32 v[12:13], v24 offset0:20 offset1:28
	v_mov_b32_e32 v31, s20
	s_addk_i32 s15, 0xf800
	s_and_b64 vcc, exec, s[12:13]
	s_waitcnt lgkmcnt(1)
	v_lshrrev_b32_e32 v1, s44, v5
	v_xor_b32_e32 v18, 0x80000000, v5
	v_lshrrev_b32_e32 v5, s44, v6
	v_xor_b32_e32 v35, 0x80000000, v6
	s_waitcnt lgkmcnt(0)
	v_lshrrev_b32_e32 v6, s44, v12
	v_xor_b32_e32 v36, 0x80000000, v12
	v_lshrrev_b32_e32 v12, s44, v13
	v_and_b32_e32 v1, s18, v1
	v_and_b32_e32 v5, s18, v5
	;; [unrolled: 1-line block ×4, first 2 shown]
	v_xor_b32_e32 v37, 0x80000000, v13
	v_lshlrev_b32_e32 v13, 2, v1
	buffer_store_dword v1, v31, s[0:3], 0 offen
	buffer_store_dword v5, v31, s[0:3], 0 offen offset:4
	buffer_store_dword v6, v31, s[0:3], 0 offen offset:8
	;; [unrolled: 1-line block ×3, first 2 shown]
	v_lshlrev_b32_e32 v1, 2, v5
	v_lshlrev_b32_e32 v5, 2, v6
	;; [unrolled: 1-line block ×3, first 2 shown]
	ds_read_b32 v12, v13
	ds_read_b32 v13, v1
	;; [unrolled: 1-line block ×4, first 2 shown]
	s_mov_b64 s[12:13], 0
	s_waitcnt lgkmcnt(3)
	v_add_u32_e32 v1, v4, v12
	v_lshlrev_b64 v[5:6], 2, v[1:2]
	s_waitcnt lgkmcnt(2)
	v_add3_u32 v1, v4, v13, s16
	v_lshlrev_b64 v[12:13], 2, v[1:2]
	v_add_co_u32_e64 v5, s[8:9], s38, v5
	s_waitcnt lgkmcnt(1)
	v_add3_u32 v1, v4, v15, s17
	v_addc_co_u32_e64 v6, s[8:9], v3, v6, s[8:9]
	v_lshlrev_b64 v[15:16], 2, v[1:2]
	global_store_dword v[5:6], v18, off
	v_add_co_u32_e64 v5, s[8:9], s38, v12
	s_waitcnt lgkmcnt(0)
	v_add3_u32 v1, v4, v31, s19
	v_addc_co_u32_e64 v6, s[8:9], v3, v13, s[8:9]
	v_lshlrev_b64 v[12:13], 2, v[1:2]
	global_store_dword v[5:6], v35, off
	v_add_co_u32_e64 v5, s[8:9], s38, v15
	v_addc_co_u32_e64 v6, s[8:9], v3, v16, s[8:9]
	global_store_dword v[5:6], v36, off
	v_add_co_u32_e64 v5, s[8:9], s38, v12
	s_mov_b32 s20, s14
	v_add_u32_e32 v4, 0x800, v4
	v_addc_co_u32_e64 v6, s[8:9], v3, v13, s[8:9]
	global_store_dword v[5:6], v37, off
	s_waitcnt vmcnt(0)
	s_barrier
	s_cbranch_vccnz .LBB896_126
; %bb.127:
	s_lshl_b64 s[8:9], s[10:11], 3
	s_add_u32 s8, s40, s8
	s_addc_u32 s9, s41, s9
	v_lshlrev_b32_e32 v1, 3, v8
	v_mov_b32_e32 v2, s9
	v_add_co_u32_e32 v1, vcc, s8, v1
	v_addc_co_u32_e32 v2, vcc, 0, v2, vcc
	v_lshlrev_b32_e32 v3, 3, v7
	v_add_co_u32_e32 v17, vcc, v1, v3
	v_addc_co_u32_e32 v18, vcc, 0, v2, vcc
	global_load_dwordx2 v[1:2], v[17:18], off
	global_load_dwordx2 v[3:4], v[17:18], off offset:512
	global_load_dwordx2 v[5:6], v[17:18], off offset:1024
	;; [unrolled: 1-line block ×7, first 2 shown]
	v_mov_b32_e32 v18, 0
	s_mov_b32 s8, 0
	s_mov_b32 s9, 0
	v_mov_b32_e32 v23, s43
	s_movk_i32 s10, 0x200
.LBB896_128:                            ; =>This Inner Loop Header: Depth=1
	v_add_u32_e32 v17, s9, v30
	v_add_u32_e32 v29, s9, v26
	;; [unrolled: 1-line block ×8, first 2 shown]
	v_min_u32_e32 v17, 0x400, v17
	v_min_u32_e32 v29, 0x400, v29
	v_mov_b32_e32 v39, s8
	v_min_u32_e32 v31, 0x400, v31
	v_min_u32_e32 v33, 0x400, v33
	;; [unrolled: 1-line block ×6, first 2 shown]
	v_lshlrev_b32_e32 v17, 3, v17
	v_lshlrev_b32_e32 v29, 3, v29
	;; [unrolled: 1-line block ×8, first 2 shown]
	s_waitcnt vmcnt(7)
	ds_write_b64 v17, v[1:2] offset:1024
	s_waitcnt vmcnt(6)
	ds_write_b64 v29, v[3:4] offset:1024
	;; [unrolled: 2-line block ×8, first 2 shown]
	s_waitcnt lgkmcnt(0)
	s_barrier
	buffer_load_dword v17, v39, s[0:3], 0 offen
	buffer_load_dword v29, v39, s[0:3], 0 offen offset:4
	ds_read2st64_b64 v[35:38], v21 offset0:2 offset1:10
	s_addk_i32 s9, 0xfc00
	s_add_i32 s8, s8, 8
	s_cmpk_lg_i32 s9, 0xf000
	s_waitcnt vmcnt(1)
	v_lshlrev_b32_e32 v17, 2, v17
	s_waitcnt vmcnt(0)
	v_lshlrev_b32_e32 v29, 2, v29
	ds_read_b32 v17, v17
	ds_read_b32 v29, v29
	s_waitcnt lgkmcnt(1)
	v_add_u32_e32 v17, v0, v17
	v_lshlrev_b64 v[39:40], 3, v[17:18]
	s_waitcnt lgkmcnt(0)
	v_add3_u32 v17, v0, v29, s10
	v_lshlrev_b64 v[41:42], 3, v[17:18]
	v_add_co_u32_e32 v39, vcc, s42, v39
	v_addc_co_u32_e32 v40, vcc, v23, v40, vcc
	global_store_dwordx2 v[39:40], v[35:36], off
	v_add_co_u32_e32 v35, vcc, s42, v41
	v_add_u32_e32 v0, 0x400, v0
	v_addc_co_u32_e32 v36, vcc, v23, v42, vcc
	global_store_dwordx2 v[35:36], v[37:38], off
	s_waitcnt vmcnt(0)
	s_barrier
	s_cbranch_scc1 .LBB896_128
; %bb.129:
	s_add_i32 s7, s7, -1
	s_cmp_eq_u32 s6, s7
	s_cselect_b64 s[6:7], -1, 0
	s_xor_b64 s[4:5], s[4:5], -1
	s_and_b64 s[4:5], s[4:5], s[6:7]
	s_and_saveexec_b64 s[6:7], s[4:5]
	s_cbranch_execz .LBB896_131
; %bb.130:
	ds_read_b32 v0, v24
	s_waitcnt lgkmcnt(0)
	v_add3_u32 v0, v19, v25, v0
	global_store_dword v24, v0, s[30:31]
.LBB896_131:
	s_endpgm
	.section	.rodata,"a",@progbits
	.p2align	6, 0x0
	.amdhsa_kernel _ZN7rocprim17ROCPRIM_400000_NS6detail17trampoline_kernelINS0_14default_configENS1_35radix_sort_onesweep_config_selectorIilEEZZNS1_29radix_sort_onesweep_iterationIS3_Lb0EPiS7_N6thrust23THRUST_200600_302600_NS10device_ptrIlEESB_jNS0_19identity_decomposerENS1_16block_id_wrapperIjLb0EEEEE10hipError_tT1_PNSt15iterator_traitsISG_E10value_typeET2_T3_PNSH_ISM_E10value_typeET4_T5_PSR_SS_PNS1_23onesweep_lookback_stateEbbT6_jjT7_P12ihipStream_tbENKUlT_T0_SG_SL_E_clIS7_S7_SB_SB_EEDaSZ_S10_SG_SL_EUlSZ_E_NS1_11comp_targetILNS1_3genE2ELNS1_11target_archE906ELNS1_3gpuE6ELNS1_3repE0EEENS1_47radix_sort_onesweep_sort_config_static_selectorELNS0_4arch9wavefront6targetE1EEEvSG_
		.amdhsa_group_segment_fixed_size 10280
		.amdhsa_private_segment_fixed_size 48
		.amdhsa_kernarg_size 344
		.amdhsa_user_sgpr_count 6
		.amdhsa_user_sgpr_private_segment_buffer 1
		.amdhsa_user_sgpr_dispatch_ptr 0
		.amdhsa_user_sgpr_queue_ptr 0
		.amdhsa_user_sgpr_kernarg_segment_ptr 1
		.amdhsa_user_sgpr_dispatch_id 0
		.amdhsa_user_sgpr_flat_scratch_init 0
		.amdhsa_user_sgpr_private_segment_size 0
		.amdhsa_uses_dynamic_stack 0
		.amdhsa_system_sgpr_private_segment_wavefront_offset 1
		.amdhsa_system_sgpr_workgroup_id_x 1
		.amdhsa_system_sgpr_workgroup_id_y 0
		.amdhsa_system_sgpr_workgroup_id_z 0
		.amdhsa_system_sgpr_workgroup_info 0
		.amdhsa_system_vgpr_workitem_id 2
		.amdhsa_next_free_vgpr 57
		.amdhsa_next_free_sgpr 57
		.amdhsa_reserve_vcc 1
		.amdhsa_reserve_flat_scratch 0
		.amdhsa_float_round_mode_32 0
		.amdhsa_float_round_mode_16_64 0
		.amdhsa_float_denorm_mode_32 3
		.amdhsa_float_denorm_mode_16_64 3
		.amdhsa_dx10_clamp 1
		.amdhsa_ieee_mode 1
		.amdhsa_fp16_overflow 0
		.amdhsa_exception_fp_ieee_invalid_op 0
		.amdhsa_exception_fp_denorm_src 0
		.amdhsa_exception_fp_ieee_div_zero 0
		.amdhsa_exception_fp_ieee_overflow 0
		.amdhsa_exception_fp_ieee_underflow 0
		.amdhsa_exception_fp_ieee_inexact 0
		.amdhsa_exception_int_div_zero 0
	.end_amdhsa_kernel
	.section	.text._ZN7rocprim17ROCPRIM_400000_NS6detail17trampoline_kernelINS0_14default_configENS1_35radix_sort_onesweep_config_selectorIilEEZZNS1_29radix_sort_onesweep_iterationIS3_Lb0EPiS7_N6thrust23THRUST_200600_302600_NS10device_ptrIlEESB_jNS0_19identity_decomposerENS1_16block_id_wrapperIjLb0EEEEE10hipError_tT1_PNSt15iterator_traitsISG_E10value_typeET2_T3_PNSH_ISM_E10value_typeET4_T5_PSR_SS_PNS1_23onesweep_lookback_stateEbbT6_jjT7_P12ihipStream_tbENKUlT_T0_SG_SL_E_clIS7_S7_SB_SB_EEDaSZ_S10_SG_SL_EUlSZ_E_NS1_11comp_targetILNS1_3genE2ELNS1_11target_archE906ELNS1_3gpuE6ELNS1_3repE0EEENS1_47radix_sort_onesweep_sort_config_static_selectorELNS0_4arch9wavefront6targetE1EEEvSG_,"axG",@progbits,_ZN7rocprim17ROCPRIM_400000_NS6detail17trampoline_kernelINS0_14default_configENS1_35radix_sort_onesweep_config_selectorIilEEZZNS1_29radix_sort_onesweep_iterationIS3_Lb0EPiS7_N6thrust23THRUST_200600_302600_NS10device_ptrIlEESB_jNS0_19identity_decomposerENS1_16block_id_wrapperIjLb0EEEEE10hipError_tT1_PNSt15iterator_traitsISG_E10value_typeET2_T3_PNSH_ISM_E10value_typeET4_T5_PSR_SS_PNS1_23onesweep_lookback_stateEbbT6_jjT7_P12ihipStream_tbENKUlT_T0_SG_SL_E_clIS7_S7_SB_SB_EEDaSZ_S10_SG_SL_EUlSZ_E_NS1_11comp_targetILNS1_3genE2ELNS1_11target_archE906ELNS1_3gpuE6ELNS1_3repE0EEENS1_47radix_sort_onesweep_sort_config_static_selectorELNS0_4arch9wavefront6targetE1EEEvSG_,comdat
.Lfunc_end896:
	.size	_ZN7rocprim17ROCPRIM_400000_NS6detail17trampoline_kernelINS0_14default_configENS1_35radix_sort_onesweep_config_selectorIilEEZZNS1_29radix_sort_onesweep_iterationIS3_Lb0EPiS7_N6thrust23THRUST_200600_302600_NS10device_ptrIlEESB_jNS0_19identity_decomposerENS1_16block_id_wrapperIjLb0EEEEE10hipError_tT1_PNSt15iterator_traitsISG_E10value_typeET2_T3_PNSH_ISM_E10value_typeET4_T5_PSR_SS_PNS1_23onesweep_lookback_stateEbbT6_jjT7_P12ihipStream_tbENKUlT_T0_SG_SL_E_clIS7_S7_SB_SB_EEDaSZ_S10_SG_SL_EUlSZ_E_NS1_11comp_targetILNS1_3genE2ELNS1_11target_archE906ELNS1_3gpuE6ELNS1_3repE0EEENS1_47radix_sort_onesweep_sort_config_static_selectorELNS0_4arch9wavefront6targetE1EEEvSG_, .Lfunc_end896-_ZN7rocprim17ROCPRIM_400000_NS6detail17trampoline_kernelINS0_14default_configENS1_35radix_sort_onesweep_config_selectorIilEEZZNS1_29radix_sort_onesweep_iterationIS3_Lb0EPiS7_N6thrust23THRUST_200600_302600_NS10device_ptrIlEESB_jNS0_19identity_decomposerENS1_16block_id_wrapperIjLb0EEEEE10hipError_tT1_PNSt15iterator_traitsISG_E10value_typeET2_T3_PNSH_ISM_E10value_typeET4_T5_PSR_SS_PNS1_23onesweep_lookback_stateEbbT6_jjT7_P12ihipStream_tbENKUlT_T0_SG_SL_E_clIS7_S7_SB_SB_EEDaSZ_S10_SG_SL_EUlSZ_E_NS1_11comp_targetILNS1_3genE2ELNS1_11target_archE906ELNS1_3gpuE6ELNS1_3repE0EEENS1_47radix_sort_onesweep_sort_config_static_selectorELNS0_4arch9wavefront6targetE1EEEvSG_
                                        ; -- End function
	.set _ZN7rocprim17ROCPRIM_400000_NS6detail17trampoline_kernelINS0_14default_configENS1_35radix_sort_onesweep_config_selectorIilEEZZNS1_29radix_sort_onesweep_iterationIS3_Lb0EPiS7_N6thrust23THRUST_200600_302600_NS10device_ptrIlEESB_jNS0_19identity_decomposerENS1_16block_id_wrapperIjLb0EEEEE10hipError_tT1_PNSt15iterator_traitsISG_E10value_typeET2_T3_PNSH_ISM_E10value_typeET4_T5_PSR_SS_PNS1_23onesweep_lookback_stateEbbT6_jjT7_P12ihipStream_tbENKUlT_T0_SG_SL_E_clIS7_S7_SB_SB_EEDaSZ_S10_SG_SL_EUlSZ_E_NS1_11comp_targetILNS1_3genE2ELNS1_11target_archE906ELNS1_3gpuE6ELNS1_3repE0EEENS1_47radix_sort_onesweep_sort_config_static_selectorELNS0_4arch9wavefront6targetE1EEEvSG_.num_vgpr, 57
	.set _ZN7rocprim17ROCPRIM_400000_NS6detail17trampoline_kernelINS0_14default_configENS1_35radix_sort_onesweep_config_selectorIilEEZZNS1_29radix_sort_onesweep_iterationIS3_Lb0EPiS7_N6thrust23THRUST_200600_302600_NS10device_ptrIlEESB_jNS0_19identity_decomposerENS1_16block_id_wrapperIjLb0EEEEE10hipError_tT1_PNSt15iterator_traitsISG_E10value_typeET2_T3_PNSH_ISM_E10value_typeET4_T5_PSR_SS_PNS1_23onesweep_lookback_stateEbbT6_jjT7_P12ihipStream_tbENKUlT_T0_SG_SL_E_clIS7_S7_SB_SB_EEDaSZ_S10_SG_SL_EUlSZ_E_NS1_11comp_targetILNS1_3genE2ELNS1_11target_archE906ELNS1_3gpuE6ELNS1_3repE0EEENS1_47radix_sort_onesweep_sort_config_static_selectorELNS0_4arch9wavefront6targetE1EEEvSG_.num_agpr, 0
	.set _ZN7rocprim17ROCPRIM_400000_NS6detail17trampoline_kernelINS0_14default_configENS1_35radix_sort_onesweep_config_selectorIilEEZZNS1_29radix_sort_onesweep_iterationIS3_Lb0EPiS7_N6thrust23THRUST_200600_302600_NS10device_ptrIlEESB_jNS0_19identity_decomposerENS1_16block_id_wrapperIjLb0EEEEE10hipError_tT1_PNSt15iterator_traitsISG_E10value_typeET2_T3_PNSH_ISM_E10value_typeET4_T5_PSR_SS_PNS1_23onesweep_lookback_stateEbbT6_jjT7_P12ihipStream_tbENKUlT_T0_SG_SL_E_clIS7_S7_SB_SB_EEDaSZ_S10_SG_SL_EUlSZ_E_NS1_11comp_targetILNS1_3genE2ELNS1_11target_archE906ELNS1_3gpuE6ELNS1_3repE0EEENS1_47radix_sort_onesweep_sort_config_static_selectorELNS0_4arch9wavefront6targetE1EEEvSG_.numbered_sgpr, 57
	.set _ZN7rocprim17ROCPRIM_400000_NS6detail17trampoline_kernelINS0_14default_configENS1_35radix_sort_onesweep_config_selectorIilEEZZNS1_29radix_sort_onesweep_iterationIS3_Lb0EPiS7_N6thrust23THRUST_200600_302600_NS10device_ptrIlEESB_jNS0_19identity_decomposerENS1_16block_id_wrapperIjLb0EEEEE10hipError_tT1_PNSt15iterator_traitsISG_E10value_typeET2_T3_PNSH_ISM_E10value_typeET4_T5_PSR_SS_PNS1_23onesweep_lookback_stateEbbT6_jjT7_P12ihipStream_tbENKUlT_T0_SG_SL_E_clIS7_S7_SB_SB_EEDaSZ_S10_SG_SL_EUlSZ_E_NS1_11comp_targetILNS1_3genE2ELNS1_11target_archE906ELNS1_3gpuE6ELNS1_3repE0EEENS1_47radix_sort_onesweep_sort_config_static_selectorELNS0_4arch9wavefront6targetE1EEEvSG_.num_named_barrier, 0
	.set _ZN7rocprim17ROCPRIM_400000_NS6detail17trampoline_kernelINS0_14default_configENS1_35radix_sort_onesweep_config_selectorIilEEZZNS1_29radix_sort_onesweep_iterationIS3_Lb0EPiS7_N6thrust23THRUST_200600_302600_NS10device_ptrIlEESB_jNS0_19identity_decomposerENS1_16block_id_wrapperIjLb0EEEEE10hipError_tT1_PNSt15iterator_traitsISG_E10value_typeET2_T3_PNSH_ISM_E10value_typeET4_T5_PSR_SS_PNS1_23onesweep_lookback_stateEbbT6_jjT7_P12ihipStream_tbENKUlT_T0_SG_SL_E_clIS7_S7_SB_SB_EEDaSZ_S10_SG_SL_EUlSZ_E_NS1_11comp_targetILNS1_3genE2ELNS1_11target_archE906ELNS1_3gpuE6ELNS1_3repE0EEENS1_47radix_sort_onesweep_sort_config_static_selectorELNS0_4arch9wavefront6targetE1EEEvSG_.private_seg_size, 48
	.set _ZN7rocprim17ROCPRIM_400000_NS6detail17trampoline_kernelINS0_14default_configENS1_35radix_sort_onesweep_config_selectorIilEEZZNS1_29radix_sort_onesweep_iterationIS3_Lb0EPiS7_N6thrust23THRUST_200600_302600_NS10device_ptrIlEESB_jNS0_19identity_decomposerENS1_16block_id_wrapperIjLb0EEEEE10hipError_tT1_PNSt15iterator_traitsISG_E10value_typeET2_T3_PNSH_ISM_E10value_typeET4_T5_PSR_SS_PNS1_23onesweep_lookback_stateEbbT6_jjT7_P12ihipStream_tbENKUlT_T0_SG_SL_E_clIS7_S7_SB_SB_EEDaSZ_S10_SG_SL_EUlSZ_E_NS1_11comp_targetILNS1_3genE2ELNS1_11target_archE906ELNS1_3gpuE6ELNS1_3repE0EEENS1_47radix_sort_onesweep_sort_config_static_selectorELNS0_4arch9wavefront6targetE1EEEvSG_.uses_vcc, 1
	.set _ZN7rocprim17ROCPRIM_400000_NS6detail17trampoline_kernelINS0_14default_configENS1_35radix_sort_onesweep_config_selectorIilEEZZNS1_29radix_sort_onesweep_iterationIS3_Lb0EPiS7_N6thrust23THRUST_200600_302600_NS10device_ptrIlEESB_jNS0_19identity_decomposerENS1_16block_id_wrapperIjLb0EEEEE10hipError_tT1_PNSt15iterator_traitsISG_E10value_typeET2_T3_PNSH_ISM_E10value_typeET4_T5_PSR_SS_PNS1_23onesweep_lookback_stateEbbT6_jjT7_P12ihipStream_tbENKUlT_T0_SG_SL_E_clIS7_S7_SB_SB_EEDaSZ_S10_SG_SL_EUlSZ_E_NS1_11comp_targetILNS1_3genE2ELNS1_11target_archE906ELNS1_3gpuE6ELNS1_3repE0EEENS1_47radix_sort_onesweep_sort_config_static_selectorELNS0_4arch9wavefront6targetE1EEEvSG_.uses_flat_scratch, 0
	.set _ZN7rocprim17ROCPRIM_400000_NS6detail17trampoline_kernelINS0_14default_configENS1_35radix_sort_onesweep_config_selectorIilEEZZNS1_29radix_sort_onesweep_iterationIS3_Lb0EPiS7_N6thrust23THRUST_200600_302600_NS10device_ptrIlEESB_jNS0_19identity_decomposerENS1_16block_id_wrapperIjLb0EEEEE10hipError_tT1_PNSt15iterator_traitsISG_E10value_typeET2_T3_PNSH_ISM_E10value_typeET4_T5_PSR_SS_PNS1_23onesweep_lookback_stateEbbT6_jjT7_P12ihipStream_tbENKUlT_T0_SG_SL_E_clIS7_S7_SB_SB_EEDaSZ_S10_SG_SL_EUlSZ_E_NS1_11comp_targetILNS1_3genE2ELNS1_11target_archE906ELNS1_3gpuE6ELNS1_3repE0EEENS1_47radix_sort_onesweep_sort_config_static_selectorELNS0_4arch9wavefront6targetE1EEEvSG_.has_dyn_sized_stack, 0
	.set _ZN7rocprim17ROCPRIM_400000_NS6detail17trampoline_kernelINS0_14default_configENS1_35radix_sort_onesweep_config_selectorIilEEZZNS1_29radix_sort_onesweep_iterationIS3_Lb0EPiS7_N6thrust23THRUST_200600_302600_NS10device_ptrIlEESB_jNS0_19identity_decomposerENS1_16block_id_wrapperIjLb0EEEEE10hipError_tT1_PNSt15iterator_traitsISG_E10value_typeET2_T3_PNSH_ISM_E10value_typeET4_T5_PSR_SS_PNS1_23onesweep_lookback_stateEbbT6_jjT7_P12ihipStream_tbENKUlT_T0_SG_SL_E_clIS7_S7_SB_SB_EEDaSZ_S10_SG_SL_EUlSZ_E_NS1_11comp_targetILNS1_3genE2ELNS1_11target_archE906ELNS1_3gpuE6ELNS1_3repE0EEENS1_47radix_sort_onesweep_sort_config_static_selectorELNS0_4arch9wavefront6targetE1EEEvSG_.has_recursion, 0
	.set _ZN7rocprim17ROCPRIM_400000_NS6detail17trampoline_kernelINS0_14default_configENS1_35radix_sort_onesweep_config_selectorIilEEZZNS1_29radix_sort_onesweep_iterationIS3_Lb0EPiS7_N6thrust23THRUST_200600_302600_NS10device_ptrIlEESB_jNS0_19identity_decomposerENS1_16block_id_wrapperIjLb0EEEEE10hipError_tT1_PNSt15iterator_traitsISG_E10value_typeET2_T3_PNSH_ISM_E10value_typeET4_T5_PSR_SS_PNS1_23onesweep_lookback_stateEbbT6_jjT7_P12ihipStream_tbENKUlT_T0_SG_SL_E_clIS7_S7_SB_SB_EEDaSZ_S10_SG_SL_EUlSZ_E_NS1_11comp_targetILNS1_3genE2ELNS1_11target_archE906ELNS1_3gpuE6ELNS1_3repE0EEENS1_47radix_sort_onesweep_sort_config_static_selectorELNS0_4arch9wavefront6targetE1EEEvSG_.has_indirect_call, 0
	.section	.AMDGPU.csdata,"",@progbits
; Kernel info:
; codeLenInByte = 11808
; TotalNumSgprs: 61
; NumVgprs: 57
; ScratchSize: 48
; MemoryBound: 0
; FloatMode: 240
; IeeeMode: 1
; LDSByteSize: 10280 bytes/workgroup (compile time only)
; SGPRBlocks: 7
; VGPRBlocks: 14
; NumSGPRsForWavesPerEU: 61
; NumVGPRsForWavesPerEU: 57
; Occupancy: 4
; WaveLimiterHint : 1
; COMPUTE_PGM_RSRC2:SCRATCH_EN: 1
; COMPUTE_PGM_RSRC2:USER_SGPR: 6
; COMPUTE_PGM_RSRC2:TRAP_HANDLER: 0
; COMPUTE_PGM_RSRC2:TGID_X_EN: 1
; COMPUTE_PGM_RSRC2:TGID_Y_EN: 0
; COMPUTE_PGM_RSRC2:TGID_Z_EN: 0
; COMPUTE_PGM_RSRC2:TIDIG_COMP_CNT: 2
	.section	.text._ZN7rocprim17ROCPRIM_400000_NS6detail17trampoline_kernelINS0_14default_configENS1_35radix_sort_onesweep_config_selectorIilEEZZNS1_29radix_sort_onesweep_iterationIS3_Lb0EPiS7_N6thrust23THRUST_200600_302600_NS10device_ptrIlEESB_jNS0_19identity_decomposerENS1_16block_id_wrapperIjLb0EEEEE10hipError_tT1_PNSt15iterator_traitsISG_E10value_typeET2_T3_PNSH_ISM_E10value_typeET4_T5_PSR_SS_PNS1_23onesweep_lookback_stateEbbT6_jjT7_P12ihipStream_tbENKUlT_T0_SG_SL_E_clIS7_S7_SB_SB_EEDaSZ_S10_SG_SL_EUlSZ_E_NS1_11comp_targetILNS1_3genE4ELNS1_11target_archE910ELNS1_3gpuE8ELNS1_3repE0EEENS1_47radix_sort_onesweep_sort_config_static_selectorELNS0_4arch9wavefront6targetE1EEEvSG_,"axG",@progbits,_ZN7rocprim17ROCPRIM_400000_NS6detail17trampoline_kernelINS0_14default_configENS1_35radix_sort_onesweep_config_selectorIilEEZZNS1_29radix_sort_onesweep_iterationIS3_Lb0EPiS7_N6thrust23THRUST_200600_302600_NS10device_ptrIlEESB_jNS0_19identity_decomposerENS1_16block_id_wrapperIjLb0EEEEE10hipError_tT1_PNSt15iterator_traitsISG_E10value_typeET2_T3_PNSH_ISM_E10value_typeET4_T5_PSR_SS_PNS1_23onesweep_lookback_stateEbbT6_jjT7_P12ihipStream_tbENKUlT_T0_SG_SL_E_clIS7_S7_SB_SB_EEDaSZ_S10_SG_SL_EUlSZ_E_NS1_11comp_targetILNS1_3genE4ELNS1_11target_archE910ELNS1_3gpuE8ELNS1_3repE0EEENS1_47radix_sort_onesweep_sort_config_static_selectorELNS0_4arch9wavefront6targetE1EEEvSG_,comdat
	.protected	_ZN7rocprim17ROCPRIM_400000_NS6detail17trampoline_kernelINS0_14default_configENS1_35radix_sort_onesweep_config_selectorIilEEZZNS1_29radix_sort_onesweep_iterationIS3_Lb0EPiS7_N6thrust23THRUST_200600_302600_NS10device_ptrIlEESB_jNS0_19identity_decomposerENS1_16block_id_wrapperIjLb0EEEEE10hipError_tT1_PNSt15iterator_traitsISG_E10value_typeET2_T3_PNSH_ISM_E10value_typeET4_T5_PSR_SS_PNS1_23onesweep_lookback_stateEbbT6_jjT7_P12ihipStream_tbENKUlT_T0_SG_SL_E_clIS7_S7_SB_SB_EEDaSZ_S10_SG_SL_EUlSZ_E_NS1_11comp_targetILNS1_3genE4ELNS1_11target_archE910ELNS1_3gpuE8ELNS1_3repE0EEENS1_47radix_sort_onesweep_sort_config_static_selectorELNS0_4arch9wavefront6targetE1EEEvSG_ ; -- Begin function _ZN7rocprim17ROCPRIM_400000_NS6detail17trampoline_kernelINS0_14default_configENS1_35radix_sort_onesweep_config_selectorIilEEZZNS1_29radix_sort_onesweep_iterationIS3_Lb0EPiS7_N6thrust23THRUST_200600_302600_NS10device_ptrIlEESB_jNS0_19identity_decomposerENS1_16block_id_wrapperIjLb0EEEEE10hipError_tT1_PNSt15iterator_traitsISG_E10value_typeET2_T3_PNSH_ISM_E10value_typeET4_T5_PSR_SS_PNS1_23onesweep_lookback_stateEbbT6_jjT7_P12ihipStream_tbENKUlT_T0_SG_SL_E_clIS7_S7_SB_SB_EEDaSZ_S10_SG_SL_EUlSZ_E_NS1_11comp_targetILNS1_3genE4ELNS1_11target_archE910ELNS1_3gpuE8ELNS1_3repE0EEENS1_47radix_sort_onesweep_sort_config_static_selectorELNS0_4arch9wavefront6targetE1EEEvSG_
	.globl	_ZN7rocprim17ROCPRIM_400000_NS6detail17trampoline_kernelINS0_14default_configENS1_35radix_sort_onesweep_config_selectorIilEEZZNS1_29radix_sort_onesweep_iterationIS3_Lb0EPiS7_N6thrust23THRUST_200600_302600_NS10device_ptrIlEESB_jNS0_19identity_decomposerENS1_16block_id_wrapperIjLb0EEEEE10hipError_tT1_PNSt15iterator_traitsISG_E10value_typeET2_T3_PNSH_ISM_E10value_typeET4_T5_PSR_SS_PNS1_23onesweep_lookback_stateEbbT6_jjT7_P12ihipStream_tbENKUlT_T0_SG_SL_E_clIS7_S7_SB_SB_EEDaSZ_S10_SG_SL_EUlSZ_E_NS1_11comp_targetILNS1_3genE4ELNS1_11target_archE910ELNS1_3gpuE8ELNS1_3repE0EEENS1_47radix_sort_onesweep_sort_config_static_selectorELNS0_4arch9wavefront6targetE1EEEvSG_
	.p2align	8
	.type	_ZN7rocprim17ROCPRIM_400000_NS6detail17trampoline_kernelINS0_14default_configENS1_35radix_sort_onesweep_config_selectorIilEEZZNS1_29radix_sort_onesweep_iterationIS3_Lb0EPiS7_N6thrust23THRUST_200600_302600_NS10device_ptrIlEESB_jNS0_19identity_decomposerENS1_16block_id_wrapperIjLb0EEEEE10hipError_tT1_PNSt15iterator_traitsISG_E10value_typeET2_T3_PNSH_ISM_E10value_typeET4_T5_PSR_SS_PNS1_23onesweep_lookback_stateEbbT6_jjT7_P12ihipStream_tbENKUlT_T0_SG_SL_E_clIS7_S7_SB_SB_EEDaSZ_S10_SG_SL_EUlSZ_E_NS1_11comp_targetILNS1_3genE4ELNS1_11target_archE910ELNS1_3gpuE8ELNS1_3repE0EEENS1_47radix_sort_onesweep_sort_config_static_selectorELNS0_4arch9wavefront6targetE1EEEvSG_,@function
_ZN7rocprim17ROCPRIM_400000_NS6detail17trampoline_kernelINS0_14default_configENS1_35radix_sort_onesweep_config_selectorIilEEZZNS1_29radix_sort_onesweep_iterationIS3_Lb0EPiS7_N6thrust23THRUST_200600_302600_NS10device_ptrIlEESB_jNS0_19identity_decomposerENS1_16block_id_wrapperIjLb0EEEEE10hipError_tT1_PNSt15iterator_traitsISG_E10value_typeET2_T3_PNSH_ISM_E10value_typeET4_T5_PSR_SS_PNS1_23onesweep_lookback_stateEbbT6_jjT7_P12ihipStream_tbENKUlT_T0_SG_SL_E_clIS7_S7_SB_SB_EEDaSZ_S10_SG_SL_EUlSZ_E_NS1_11comp_targetILNS1_3genE4ELNS1_11target_archE910ELNS1_3gpuE8ELNS1_3repE0EEENS1_47radix_sort_onesweep_sort_config_static_selectorELNS0_4arch9wavefront6targetE1EEEvSG_: ; @_ZN7rocprim17ROCPRIM_400000_NS6detail17trampoline_kernelINS0_14default_configENS1_35radix_sort_onesweep_config_selectorIilEEZZNS1_29radix_sort_onesweep_iterationIS3_Lb0EPiS7_N6thrust23THRUST_200600_302600_NS10device_ptrIlEESB_jNS0_19identity_decomposerENS1_16block_id_wrapperIjLb0EEEEE10hipError_tT1_PNSt15iterator_traitsISG_E10value_typeET2_T3_PNSH_ISM_E10value_typeET4_T5_PSR_SS_PNS1_23onesweep_lookback_stateEbbT6_jjT7_P12ihipStream_tbENKUlT_T0_SG_SL_E_clIS7_S7_SB_SB_EEDaSZ_S10_SG_SL_EUlSZ_E_NS1_11comp_targetILNS1_3genE4ELNS1_11target_archE910ELNS1_3gpuE8ELNS1_3repE0EEENS1_47radix_sort_onesweep_sort_config_static_selectorELNS0_4arch9wavefront6targetE1EEEvSG_
; %bb.0:
	.section	.rodata,"a",@progbits
	.p2align	6, 0x0
	.amdhsa_kernel _ZN7rocprim17ROCPRIM_400000_NS6detail17trampoline_kernelINS0_14default_configENS1_35radix_sort_onesweep_config_selectorIilEEZZNS1_29radix_sort_onesweep_iterationIS3_Lb0EPiS7_N6thrust23THRUST_200600_302600_NS10device_ptrIlEESB_jNS0_19identity_decomposerENS1_16block_id_wrapperIjLb0EEEEE10hipError_tT1_PNSt15iterator_traitsISG_E10value_typeET2_T3_PNSH_ISM_E10value_typeET4_T5_PSR_SS_PNS1_23onesweep_lookback_stateEbbT6_jjT7_P12ihipStream_tbENKUlT_T0_SG_SL_E_clIS7_S7_SB_SB_EEDaSZ_S10_SG_SL_EUlSZ_E_NS1_11comp_targetILNS1_3genE4ELNS1_11target_archE910ELNS1_3gpuE8ELNS1_3repE0EEENS1_47radix_sort_onesweep_sort_config_static_selectorELNS0_4arch9wavefront6targetE1EEEvSG_
		.amdhsa_group_segment_fixed_size 0
		.amdhsa_private_segment_fixed_size 0
		.amdhsa_kernarg_size 88
		.amdhsa_user_sgpr_count 6
		.amdhsa_user_sgpr_private_segment_buffer 1
		.amdhsa_user_sgpr_dispatch_ptr 0
		.amdhsa_user_sgpr_queue_ptr 0
		.amdhsa_user_sgpr_kernarg_segment_ptr 1
		.amdhsa_user_sgpr_dispatch_id 0
		.amdhsa_user_sgpr_flat_scratch_init 0
		.amdhsa_user_sgpr_private_segment_size 0
		.amdhsa_uses_dynamic_stack 0
		.amdhsa_system_sgpr_private_segment_wavefront_offset 0
		.amdhsa_system_sgpr_workgroup_id_x 1
		.amdhsa_system_sgpr_workgroup_id_y 0
		.amdhsa_system_sgpr_workgroup_id_z 0
		.amdhsa_system_sgpr_workgroup_info 0
		.amdhsa_system_vgpr_workitem_id 0
		.amdhsa_next_free_vgpr 1
		.amdhsa_next_free_sgpr 0
		.amdhsa_reserve_vcc 0
		.amdhsa_reserve_flat_scratch 0
		.amdhsa_float_round_mode_32 0
		.amdhsa_float_round_mode_16_64 0
		.amdhsa_float_denorm_mode_32 3
		.amdhsa_float_denorm_mode_16_64 3
		.amdhsa_dx10_clamp 1
		.amdhsa_ieee_mode 1
		.amdhsa_fp16_overflow 0
		.amdhsa_exception_fp_ieee_invalid_op 0
		.amdhsa_exception_fp_denorm_src 0
		.amdhsa_exception_fp_ieee_div_zero 0
		.amdhsa_exception_fp_ieee_overflow 0
		.amdhsa_exception_fp_ieee_underflow 0
		.amdhsa_exception_fp_ieee_inexact 0
		.amdhsa_exception_int_div_zero 0
	.end_amdhsa_kernel
	.section	.text._ZN7rocprim17ROCPRIM_400000_NS6detail17trampoline_kernelINS0_14default_configENS1_35radix_sort_onesweep_config_selectorIilEEZZNS1_29radix_sort_onesweep_iterationIS3_Lb0EPiS7_N6thrust23THRUST_200600_302600_NS10device_ptrIlEESB_jNS0_19identity_decomposerENS1_16block_id_wrapperIjLb0EEEEE10hipError_tT1_PNSt15iterator_traitsISG_E10value_typeET2_T3_PNSH_ISM_E10value_typeET4_T5_PSR_SS_PNS1_23onesweep_lookback_stateEbbT6_jjT7_P12ihipStream_tbENKUlT_T0_SG_SL_E_clIS7_S7_SB_SB_EEDaSZ_S10_SG_SL_EUlSZ_E_NS1_11comp_targetILNS1_3genE4ELNS1_11target_archE910ELNS1_3gpuE8ELNS1_3repE0EEENS1_47radix_sort_onesweep_sort_config_static_selectorELNS0_4arch9wavefront6targetE1EEEvSG_,"axG",@progbits,_ZN7rocprim17ROCPRIM_400000_NS6detail17trampoline_kernelINS0_14default_configENS1_35radix_sort_onesweep_config_selectorIilEEZZNS1_29radix_sort_onesweep_iterationIS3_Lb0EPiS7_N6thrust23THRUST_200600_302600_NS10device_ptrIlEESB_jNS0_19identity_decomposerENS1_16block_id_wrapperIjLb0EEEEE10hipError_tT1_PNSt15iterator_traitsISG_E10value_typeET2_T3_PNSH_ISM_E10value_typeET4_T5_PSR_SS_PNS1_23onesweep_lookback_stateEbbT6_jjT7_P12ihipStream_tbENKUlT_T0_SG_SL_E_clIS7_S7_SB_SB_EEDaSZ_S10_SG_SL_EUlSZ_E_NS1_11comp_targetILNS1_3genE4ELNS1_11target_archE910ELNS1_3gpuE8ELNS1_3repE0EEENS1_47radix_sort_onesweep_sort_config_static_selectorELNS0_4arch9wavefront6targetE1EEEvSG_,comdat
.Lfunc_end897:
	.size	_ZN7rocprim17ROCPRIM_400000_NS6detail17trampoline_kernelINS0_14default_configENS1_35radix_sort_onesweep_config_selectorIilEEZZNS1_29radix_sort_onesweep_iterationIS3_Lb0EPiS7_N6thrust23THRUST_200600_302600_NS10device_ptrIlEESB_jNS0_19identity_decomposerENS1_16block_id_wrapperIjLb0EEEEE10hipError_tT1_PNSt15iterator_traitsISG_E10value_typeET2_T3_PNSH_ISM_E10value_typeET4_T5_PSR_SS_PNS1_23onesweep_lookback_stateEbbT6_jjT7_P12ihipStream_tbENKUlT_T0_SG_SL_E_clIS7_S7_SB_SB_EEDaSZ_S10_SG_SL_EUlSZ_E_NS1_11comp_targetILNS1_3genE4ELNS1_11target_archE910ELNS1_3gpuE8ELNS1_3repE0EEENS1_47radix_sort_onesweep_sort_config_static_selectorELNS0_4arch9wavefront6targetE1EEEvSG_, .Lfunc_end897-_ZN7rocprim17ROCPRIM_400000_NS6detail17trampoline_kernelINS0_14default_configENS1_35radix_sort_onesweep_config_selectorIilEEZZNS1_29radix_sort_onesweep_iterationIS3_Lb0EPiS7_N6thrust23THRUST_200600_302600_NS10device_ptrIlEESB_jNS0_19identity_decomposerENS1_16block_id_wrapperIjLb0EEEEE10hipError_tT1_PNSt15iterator_traitsISG_E10value_typeET2_T3_PNSH_ISM_E10value_typeET4_T5_PSR_SS_PNS1_23onesweep_lookback_stateEbbT6_jjT7_P12ihipStream_tbENKUlT_T0_SG_SL_E_clIS7_S7_SB_SB_EEDaSZ_S10_SG_SL_EUlSZ_E_NS1_11comp_targetILNS1_3genE4ELNS1_11target_archE910ELNS1_3gpuE8ELNS1_3repE0EEENS1_47radix_sort_onesweep_sort_config_static_selectorELNS0_4arch9wavefront6targetE1EEEvSG_
                                        ; -- End function
	.set _ZN7rocprim17ROCPRIM_400000_NS6detail17trampoline_kernelINS0_14default_configENS1_35radix_sort_onesweep_config_selectorIilEEZZNS1_29radix_sort_onesweep_iterationIS3_Lb0EPiS7_N6thrust23THRUST_200600_302600_NS10device_ptrIlEESB_jNS0_19identity_decomposerENS1_16block_id_wrapperIjLb0EEEEE10hipError_tT1_PNSt15iterator_traitsISG_E10value_typeET2_T3_PNSH_ISM_E10value_typeET4_T5_PSR_SS_PNS1_23onesweep_lookback_stateEbbT6_jjT7_P12ihipStream_tbENKUlT_T0_SG_SL_E_clIS7_S7_SB_SB_EEDaSZ_S10_SG_SL_EUlSZ_E_NS1_11comp_targetILNS1_3genE4ELNS1_11target_archE910ELNS1_3gpuE8ELNS1_3repE0EEENS1_47radix_sort_onesweep_sort_config_static_selectorELNS0_4arch9wavefront6targetE1EEEvSG_.num_vgpr, 0
	.set _ZN7rocprim17ROCPRIM_400000_NS6detail17trampoline_kernelINS0_14default_configENS1_35radix_sort_onesweep_config_selectorIilEEZZNS1_29radix_sort_onesweep_iterationIS3_Lb0EPiS7_N6thrust23THRUST_200600_302600_NS10device_ptrIlEESB_jNS0_19identity_decomposerENS1_16block_id_wrapperIjLb0EEEEE10hipError_tT1_PNSt15iterator_traitsISG_E10value_typeET2_T3_PNSH_ISM_E10value_typeET4_T5_PSR_SS_PNS1_23onesweep_lookback_stateEbbT6_jjT7_P12ihipStream_tbENKUlT_T0_SG_SL_E_clIS7_S7_SB_SB_EEDaSZ_S10_SG_SL_EUlSZ_E_NS1_11comp_targetILNS1_3genE4ELNS1_11target_archE910ELNS1_3gpuE8ELNS1_3repE0EEENS1_47radix_sort_onesweep_sort_config_static_selectorELNS0_4arch9wavefront6targetE1EEEvSG_.num_agpr, 0
	.set _ZN7rocprim17ROCPRIM_400000_NS6detail17trampoline_kernelINS0_14default_configENS1_35radix_sort_onesweep_config_selectorIilEEZZNS1_29radix_sort_onesweep_iterationIS3_Lb0EPiS7_N6thrust23THRUST_200600_302600_NS10device_ptrIlEESB_jNS0_19identity_decomposerENS1_16block_id_wrapperIjLb0EEEEE10hipError_tT1_PNSt15iterator_traitsISG_E10value_typeET2_T3_PNSH_ISM_E10value_typeET4_T5_PSR_SS_PNS1_23onesweep_lookback_stateEbbT6_jjT7_P12ihipStream_tbENKUlT_T0_SG_SL_E_clIS7_S7_SB_SB_EEDaSZ_S10_SG_SL_EUlSZ_E_NS1_11comp_targetILNS1_3genE4ELNS1_11target_archE910ELNS1_3gpuE8ELNS1_3repE0EEENS1_47radix_sort_onesweep_sort_config_static_selectorELNS0_4arch9wavefront6targetE1EEEvSG_.numbered_sgpr, 0
	.set _ZN7rocprim17ROCPRIM_400000_NS6detail17trampoline_kernelINS0_14default_configENS1_35radix_sort_onesweep_config_selectorIilEEZZNS1_29radix_sort_onesweep_iterationIS3_Lb0EPiS7_N6thrust23THRUST_200600_302600_NS10device_ptrIlEESB_jNS0_19identity_decomposerENS1_16block_id_wrapperIjLb0EEEEE10hipError_tT1_PNSt15iterator_traitsISG_E10value_typeET2_T3_PNSH_ISM_E10value_typeET4_T5_PSR_SS_PNS1_23onesweep_lookback_stateEbbT6_jjT7_P12ihipStream_tbENKUlT_T0_SG_SL_E_clIS7_S7_SB_SB_EEDaSZ_S10_SG_SL_EUlSZ_E_NS1_11comp_targetILNS1_3genE4ELNS1_11target_archE910ELNS1_3gpuE8ELNS1_3repE0EEENS1_47radix_sort_onesweep_sort_config_static_selectorELNS0_4arch9wavefront6targetE1EEEvSG_.num_named_barrier, 0
	.set _ZN7rocprim17ROCPRIM_400000_NS6detail17trampoline_kernelINS0_14default_configENS1_35radix_sort_onesweep_config_selectorIilEEZZNS1_29radix_sort_onesweep_iterationIS3_Lb0EPiS7_N6thrust23THRUST_200600_302600_NS10device_ptrIlEESB_jNS0_19identity_decomposerENS1_16block_id_wrapperIjLb0EEEEE10hipError_tT1_PNSt15iterator_traitsISG_E10value_typeET2_T3_PNSH_ISM_E10value_typeET4_T5_PSR_SS_PNS1_23onesweep_lookback_stateEbbT6_jjT7_P12ihipStream_tbENKUlT_T0_SG_SL_E_clIS7_S7_SB_SB_EEDaSZ_S10_SG_SL_EUlSZ_E_NS1_11comp_targetILNS1_3genE4ELNS1_11target_archE910ELNS1_3gpuE8ELNS1_3repE0EEENS1_47radix_sort_onesweep_sort_config_static_selectorELNS0_4arch9wavefront6targetE1EEEvSG_.private_seg_size, 0
	.set _ZN7rocprim17ROCPRIM_400000_NS6detail17trampoline_kernelINS0_14default_configENS1_35radix_sort_onesweep_config_selectorIilEEZZNS1_29radix_sort_onesweep_iterationIS3_Lb0EPiS7_N6thrust23THRUST_200600_302600_NS10device_ptrIlEESB_jNS0_19identity_decomposerENS1_16block_id_wrapperIjLb0EEEEE10hipError_tT1_PNSt15iterator_traitsISG_E10value_typeET2_T3_PNSH_ISM_E10value_typeET4_T5_PSR_SS_PNS1_23onesweep_lookback_stateEbbT6_jjT7_P12ihipStream_tbENKUlT_T0_SG_SL_E_clIS7_S7_SB_SB_EEDaSZ_S10_SG_SL_EUlSZ_E_NS1_11comp_targetILNS1_3genE4ELNS1_11target_archE910ELNS1_3gpuE8ELNS1_3repE0EEENS1_47radix_sort_onesweep_sort_config_static_selectorELNS0_4arch9wavefront6targetE1EEEvSG_.uses_vcc, 0
	.set _ZN7rocprim17ROCPRIM_400000_NS6detail17trampoline_kernelINS0_14default_configENS1_35radix_sort_onesweep_config_selectorIilEEZZNS1_29radix_sort_onesweep_iterationIS3_Lb0EPiS7_N6thrust23THRUST_200600_302600_NS10device_ptrIlEESB_jNS0_19identity_decomposerENS1_16block_id_wrapperIjLb0EEEEE10hipError_tT1_PNSt15iterator_traitsISG_E10value_typeET2_T3_PNSH_ISM_E10value_typeET4_T5_PSR_SS_PNS1_23onesweep_lookback_stateEbbT6_jjT7_P12ihipStream_tbENKUlT_T0_SG_SL_E_clIS7_S7_SB_SB_EEDaSZ_S10_SG_SL_EUlSZ_E_NS1_11comp_targetILNS1_3genE4ELNS1_11target_archE910ELNS1_3gpuE8ELNS1_3repE0EEENS1_47radix_sort_onesweep_sort_config_static_selectorELNS0_4arch9wavefront6targetE1EEEvSG_.uses_flat_scratch, 0
	.set _ZN7rocprim17ROCPRIM_400000_NS6detail17trampoline_kernelINS0_14default_configENS1_35radix_sort_onesweep_config_selectorIilEEZZNS1_29radix_sort_onesweep_iterationIS3_Lb0EPiS7_N6thrust23THRUST_200600_302600_NS10device_ptrIlEESB_jNS0_19identity_decomposerENS1_16block_id_wrapperIjLb0EEEEE10hipError_tT1_PNSt15iterator_traitsISG_E10value_typeET2_T3_PNSH_ISM_E10value_typeET4_T5_PSR_SS_PNS1_23onesweep_lookback_stateEbbT6_jjT7_P12ihipStream_tbENKUlT_T0_SG_SL_E_clIS7_S7_SB_SB_EEDaSZ_S10_SG_SL_EUlSZ_E_NS1_11comp_targetILNS1_3genE4ELNS1_11target_archE910ELNS1_3gpuE8ELNS1_3repE0EEENS1_47radix_sort_onesweep_sort_config_static_selectorELNS0_4arch9wavefront6targetE1EEEvSG_.has_dyn_sized_stack, 0
	.set _ZN7rocprim17ROCPRIM_400000_NS6detail17trampoline_kernelINS0_14default_configENS1_35radix_sort_onesweep_config_selectorIilEEZZNS1_29radix_sort_onesweep_iterationIS3_Lb0EPiS7_N6thrust23THRUST_200600_302600_NS10device_ptrIlEESB_jNS0_19identity_decomposerENS1_16block_id_wrapperIjLb0EEEEE10hipError_tT1_PNSt15iterator_traitsISG_E10value_typeET2_T3_PNSH_ISM_E10value_typeET4_T5_PSR_SS_PNS1_23onesweep_lookback_stateEbbT6_jjT7_P12ihipStream_tbENKUlT_T0_SG_SL_E_clIS7_S7_SB_SB_EEDaSZ_S10_SG_SL_EUlSZ_E_NS1_11comp_targetILNS1_3genE4ELNS1_11target_archE910ELNS1_3gpuE8ELNS1_3repE0EEENS1_47radix_sort_onesweep_sort_config_static_selectorELNS0_4arch9wavefront6targetE1EEEvSG_.has_recursion, 0
	.set _ZN7rocprim17ROCPRIM_400000_NS6detail17trampoline_kernelINS0_14default_configENS1_35radix_sort_onesweep_config_selectorIilEEZZNS1_29radix_sort_onesweep_iterationIS3_Lb0EPiS7_N6thrust23THRUST_200600_302600_NS10device_ptrIlEESB_jNS0_19identity_decomposerENS1_16block_id_wrapperIjLb0EEEEE10hipError_tT1_PNSt15iterator_traitsISG_E10value_typeET2_T3_PNSH_ISM_E10value_typeET4_T5_PSR_SS_PNS1_23onesweep_lookback_stateEbbT6_jjT7_P12ihipStream_tbENKUlT_T0_SG_SL_E_clIS7_S7_SB_SB_EEDaSZ_S10_SG_SL_EUlSZ_E_NS1_11comp_targetILNS1_3genE4ELNS1_11target_archE910ELNS1_3gpuE8ELNS1_3repE0EEENS1_47radix_sort_onesweep_sort_config_static_selectorELNS0_4arch9wavefront6targetE1EEEvSG_.has_indirect_call, 0
	.section	.AMDGPU.csdata,"",@progbits
; Kernel info:
; codeLenInByte = 0
; TotalNumSgprs: 4
; NumVgprs: 0
; ScratchSize: 0
; MemoryBound: 0
; FloatMode: 240
; IeeeMode: 1
; LDSByteSize: 0 bytes/workgroup (compile time only)
; SGPRBlocks: 0
; VGPRBlocks: 0
; NumSGPRsForWavesPerEU: 4
; NumVGPRsForWavesPerEU: 1
; Occupancy: 10
; WaveLimiterHint : 0
; COMPUTE_PGM_RSRC2:SCRATCH_EN: 0
; COMPUTE_PGM_RSRC2:USER_SGPR: 6
; COMPUTE_PGM_RSRC2:TRAP_HANDLER: 0
; COMPUTE_PGM_RSRC2:TGID_X_EN: 1
; COMPUTE_PGM_RSRC2:TGID_Y_EN: 0
; COMPUTE_PGM_RSRC2:TGID_Z_EN: 0
; COMPUTE_PGM_RSRC2:TIDIG_COMP_CNT: 0
	.section	.text._ZN7rocprim17ROCPRIM_400000_NS6detail17trampoline_kernelINS0_14default_configENS1_35radix_sort_onesweep_config_selectorIilEEZZNS1_29radix_sort_onesweep_iterationIS3_Lb0EPiS7_N6thrust23THRUST_200600_302600_NS10device_ptrIlEESB_jNS0_19identity_decomposerENS1_16block_id_wrapperIjLb0EEEEE10hipError_tT1_PNSt15iterator_traitsISG_E10value_typeET2_T3_PNSH_ISM_E10value_typeET4_T5_PSR_SS_PNS1_23onesweep_lookback_stateEbbT6_jjT7_P12ihipStream_tbENKUlT_T0_SG_SL_E_clIS7_S7_SB_SB_EEDaSZ_S10_SG_SL_EUlSZ_E_NS1_11comp_targetILNS1_3genE3ELNS1_11target_archE908ELNS1_3gpuE7ELNS1_3repE0EEENS1_47radix_sort_onesweep_sort_config_static_selectorELNS0_4arch9wavefront6targetE1EEEvSG_,"axG",@progbits,_ZN7rocprim17ROCPRIM_400000_NS6detail17trampoline_kernelINS0_14default_configENS1_35radix_sort_onesweep_config_selectorIilEEZZNS1_29radix_sort_onesweep_iterationIS3_Lb0EPiS7_N6thrust23THRUST_200600_302600_NS10device_ptrIlEESB_jNS0_19identity_decomposerENS1_16block_id_wrapperIjLb0EEEEE10hipError_tT1_PNSt15iterator_traitsISG_E10value_typeET2_T3_PNSH_ISM_E10value_typeET4_T5_PSR_SS_PNS1_23onesweep_lookback_stateEbbT6_jjT7_P12ihipStream_tbENKUlT_T0_SG_SL_E_clIS7_S7_SB_SB_EEDaSZ_S10_SG_SL_EUlSZ_E_NS1_11comp_targetILNS1_3genE3ELNS1_11target_archE908ELNS1_3gpuE7ELNS1_3repE0EEENS1_47radix_sort_onesweep_sort_config_static_selectorELNS0_4arch9wavefront6targetE1EEEvSG_,comdat
	.protected	_ZN7rocprim17ROCPRIM_400000_NS6detail17trampoline_kernelINS0_14default_configENS1_35radix_sort_onesweep_config_selectorIilEEZZNS1_29radix_sort_onesweep_iterationIS3_Lb0EPiS7_N6thrust23THRUST_200600_302600_NS10device_ptrIlEESB_jNS0_19identity_decomposerENS1_16block_id_wrapperIjLb0EEEEE10hipError_tT1_PNSt15iterator_traitsISG_E10value_typeET2_T3_PNSH_ISM_E10value_typeET4_T5_PSR_SS_PNS1_23onesweep_lookback_stateEbbT6_jjT7_P12ihipStream_tbENKUlT_T0_SG_SL_E_clIS7_S7_SB_SB_EEDaSZ_S10_SG_SL_EUlSZ_E_NS1_11comp_targetILNS1_3genE3ELNS1_11target_archE908ELNS1_3gpuE7ELNS1_3repE0EEENS1_47radix_sort_onesweep_sort_config_static_selectorELNS0_4arch9wavefront6targetE1EEEvSG_ ; -- Begin function _ZN7rocprim17ROCPRIM_400000_NS6detail17trampoline_kernelINS0_14default_configENS1_35radix_sort_onesweep_config_selectorIilEEZZNS1_29radix_sort_onesweep_iterationIS3_Lb0EPiS7_N6thrust23THRUST_200600_302600_NS10device_ptrIlEESB_jNS0_19identity_decomposerENS1_16block_id_wrapperIjLb0EEEEE10hipError_tT1_PNSt15iterator_traitsISG_E10value_typeET2_T3_PNSH_ISM_E10value_typeET4_T5_PSR_SS_PNS1_23onesweep_lookback_stateEbbT6_jjT7_P12ihipStream_tbENKUlT_T0_SG_SL_E_clIS7_S7_SB_SB_EEDaSZ_S10_SG_SL_EUlSZ_E_NS1_11comp_targetILNS1_3genE3ELNS1_11target_archE908ELNS1_3gpuE7ELNS1_3repE0EEENS1_47radix_sort_onesweep_sort_config_static_selectorELNS0_4arch9wavefront6targetE1EEEvSG_
	.globl	_ZN7rocprim17ROCPRIM_400000_NS6detail17trampoline_kernelINS0_14default_configENS1_35radix_sort_onesweep_config_selectorIilEEZZNS1_29radix_sort_onesweep_iterationIS3_Lb0EPiS7_N6thrust23THRUST_200600_302600_NS10device_ptrIlEESB_jNS0_19identity_decomposerENS1_16block_id_wrapperIjLb0EEEEE10hipError_tT1_PNSt15iterator_traitsISG_E10value_typeET2_T3_PNSH_ISM_E10value_typeET4_T5_PSR_SS_PNS1_23onesweep_lookback_stateEbbT6_jjT7_P12ihipStream_tbENKUlT_T0_SG_SL_E_clIS7_S7_SB_SB_EEDaSZ_S10_SG_SL_EUlSZ_E_NS1_11comp_targetILNS1_3genE3ELNS1_11target_archE908ELNS1_3gpuE7ELNS1_3repE0EEENS1_47radix_sort_onesweep_sort_config_static_selectorELNS0_4arch9wavefront6targetE1EEEvSG_
	.p2align	8
	.type	_ZN7rocprim17ROCPRIM_400000_NS6detail17trampoline_kernelINS0_14default_configENS1_35radix_sort_onesweep_config_selectorIilEEZZNS1_29radix_sort_onesweep_iterationIS3_Lb0EPiS7_N6thrust23THRUST_200600_302600_NS10device_ptrIlEESB_jNS0_19identity_decomposerENS1_16block_id_wrapperIjLb0EEEEE10hipError_tT1_PNSt15iterator_traitsISG_E10value_typeET2_T3_PNSH_ISM_E10value_typeET4_T5_PSR_SS_PNS1_23onesweep_lookback_stateEbbT6_jjT7_P12ihipStream_tbENKUlT_T0_SG_SL_E_clIS7_S7_SB_SB_EEDaSZ_S10_SG_SL_EUlSZ_E_NS1_11comp_targetILNS1_3genE3ELNS1_11target_archE908ELNS1_3gpuE7ELNS1_3repE0EEENS1_47radix_sort_onesweep_sort_config_static_selectorELNS0_4arch9wavefront6targetE1EEEvSG_,@function
_ZN7rocprim17ROCPRIM_400000_NS6detail17trampoline_kernelINS0_14default_configENS1_35radix_sort_onesweep_config_selectorIilEEZZNS1_29radix_sort_onesweep_iterationIS3_Lb0EPiS7_N6thrust23THRUST_200600_302600_NS10device_ptrIlEESB_jNS0_19identity_decomposerENS1_16block_id_wrapperIjLb0EEEEE10hipError_tT1_PNSt15iterator_traitsISG_E10value_typeET2_T3_PNSH_ISM_E10value_typeET4_T5_PSR_SS_PNS1_23onesweep_lookback_stateEbbT6_jjT7_P12ihipStream_tbENKUlT_T0_SG_SL_E_clIS7_S7_SB_SB_EEDaSZ_S10_SG_SL_EUlSZ_E_NS1_11comp_targetILNS1_3genE3ELNS1_11target_archE908ELNS1_3gpuE7ELNS1_3repE0EEENS1_47radix_sort_onesweep_sort_config_static_selectorELNS0_4arch9wavefront6targetE1EEEvSG_: ; @_ZN7rocprim17ROCPRIM_400000_NS6detail17trampoline_kernelINS0_14default_configENS1_35radix_sort_onesweep_config_selectorIilEEZZNS1_29radix_sort_onesweep_iterationIS3_Lb0EPiS7_N6thrust23THRUST_200600_302600_NS10device_ptrIlEESB_jNS0_19identity_decomposerENS1_16block_id_wrapperIjLb0EEEEE10hipError_tT1_PNSt15iterator_traitsISG_E10value_typeET2_T3_PNSH_ISM_E10value_typeET4_T5_PSR_SS_PNS1_23onesweep_lookback_stateEbbT6_jjT7_P12ihipStream_tbENKUlT_T0_SG_SL_E_clIS7_S7_SB_SB_EEDaSZ_S10_SG_SL_EUlSZ_E_NS1_11comp_targetILNS1_3genE3ELNS1_11target_archE908ELNS1_3gpuE7ELNS1_3repE0EEENS1_47radix_sort_onesweep_sort_config_static_selectorELNS0_4arch9wavefront6targetE1EEEvSG_
; %bb.0:
	.section	.rodata,"a",@progbits
	.p2align	6, 0x0
	.amdhsa_kernel _ZN7rocprim17ROCPRIM_400000_NS6detail17trampoline_kernelINS0_14default_configENS1_35radix_sort_onesweep_config_selectorIilEEZZNS1_29radix_sort_onesweep_iterationIS3_Lb0EPiS7_N6thrust23THRUST_200600_302600_NS10device_ptrIlEESB_jNS0_19identity_decomposerENS1_16block_id_wrapperIjLb0EEEEE10hipError_tT1_PNSt15iterator_traitsISG_E10value_typeET2_T3_PNSH_ISM_E10value_typeET4_T5_PSR_SS_PNS1_23onesweep_lookback_stateEbbT6_jjT7_P12ihipStream_tbENKUlT_T0_SG_SL_E_clIS7_S7_SB_SB_EEDaSZ_S10_SG_SL_EUlSZ_E_NS1_11comp_targetILNS1_3genE3ELNS1_11target_archE908ELNS1_3gpuE7ELNS1_3repE0EEENS1_47radix_sort_onesweep_sort_config_static_selectorELNS0_4arch9wavefront6targetE1EEEvSG_
		.amdhsa_group_segment_fixed_size 0
		.amdhsa_private_segment_fixed_size 0
		.amdhsa_kernarg_size 88
		.amdhsa_user_sgpr_count 6
		.amdhsa_user_sgpr_private_segment_buffer 1
		.amdhsa_user_sgpr_dispatch_ptr 0
		.amdhsa_user_sgpr_queue_ptr 0
		.amdhsa_user_sgpr_kernarg_segment_ptr 1
		.amdhsa_user_sgpr_dispatch_id 0
		.amdhsa_user_sgpr_flat_scratch_init 0
		.amdhsa_user_sgpr_private_segment_size 0
		.amdhsa_uses_dynamic_stack 0
		.amdhsa_system_sgpr_private_segment_wavefront_offset 0
		.amdhsa_system_sgpr_workgroup_id_x 1
		.amdhsa_system_sgpr_workgroup_id_y 0
		.amdhsa_system_sgpr_workgroup_id_z 0
		.amdhsa_system_sgpr_workgroup_info 0
		.amdhsa_system_vgpr_workitem_id 0
		.amdhsa_next_free_vgpr 1
		.amdhsa_next_free_sgpr 0
		.amdhsa_reserve_vcc 0
		.amdhsa_reserve_flat_scratch 0
		.amdhsa_float_round_mode_32 0
		.amdhsa_float_round_mode_16_64 0
		.amdhsa_float_denorm_mode_32 3
		.amdhsa_float_denorm_mode_16_64 3
		.amdhsa_dx10_clamp 1
		.amdhsa_ieee_mode 1
		.amdhsa_fp16_overflow 0
		.amdhsa_exception_fp_ieee_invalid_op 0
		.amdhsa_exception_fp_denorm_src 0
		.amdhsa_exception_fp_ieee_div_zero 0
		.amdhsa_exception_fp_ieee_overflow 0
		.amdhsa_exception_fp_ieee_underflow 0
		.amdhsa_exception_fp_ieee_inexact 0
		.amdhsa_exception_int_div_zero 0
	.end_amdhsa_kernel
	.section	.text._ZN7rocprim17ROCPRIM_400000_NS6detail17trampoline_kernelINS0_14default_configENS1_35radix_sort_onesweep_config_selectorIilEEZZNS1_29radix_sort_onesweep_iterationIS3_Lb0EPiS7_N6thrust23THRUST_200600_302600_NS10device_ptrIlEESB_jNS0_19identity_decomposerENS1_16block_id_wrapperIjLb0EEEEE10hipError_tT1_PNSt15iterator_traitsISG_E10value_typeET2_T3_PNSH_ISM_E10value_typeET4_T5_PSR_SS_PNS1_23onesweep_lookback_stateEbbT6_jjT7_P12ihipStream_tbENKUlT_T0_SG_SL_E_clIS7_S7_SB_SB_EEDaSZ_S10_SG_SL_EUlSZ_E_NS1_11comp_targetILNS1_3genE3ELNS1_11target_archE908ELNS1_3gpuE7ELNS1_3repE0EEENS1_47radix_sort_onesweep_sort_config_static_selectorELNS0_4arch9wavefront6targetE1EEEvSG_,"axG",@progbits,_ZN7rocprim17ROCPRIM_400000_NS6detail17trampoline_kernelINS0_14default_configENS1_35radix_sort_onesweep_config_selectorIilEEZZNS1_29radix_sort_onesweep_iterationIS3_Lb0EPiS7_N6thrust23THRUST_200600_302600_NS10device_ptrIlEESB_jNS0_19identity_decomposerENS1_16block_id_wrapperIjLb0EEEEE10hipError_tT1_PNSt15iterator_traitsISG_E10value_typeET2_T3_PNSH_ISM_E10value_typeET4_T5_PSR_SS_PNS1_23onesweep_lookback_stateEbbT6_jjT7_P12ihipStream_tbENKUlT_T0_SG_SL_E_clIS7_S7_SB_SB_EEDaSZ_S10_SG_SL_EUlSZ_E_NS1_11comp_targetILNS1_3genE3ELNS1_11target_archE908ELNS1_3gpuE7ELNS1_3repE0EEENS1_47radix_sort_onesweep_sort_config_static_selectorELNS0_4arch9wavefront6targetE1EEEvSG_,comdat
.Lfunc_end898:
	.size	_ZN7rocprim17ROCPRIM_400000_NS6detail17trampoline_kernelINS0_14default_configENS1_35radix_sort_onesweep_config_selectorIilEEZZNS1_29radix_sort_onesweep_iterationIS3_Lb0EPiS7_N6thrust23THRUST_200600_302600_NS10device_ptrIlEESB_jNS0_19identity_decomposerENS1_16block_id_wrapperIjLb0EEEEE10hipError_tT1_PNSt15iterator_traitsISG_E10value_typeET2_T3_PNSH_ISM_E10value_typeET4_T5_PSR_SS_PNS1_23onesweep_lookback_stateEbbT6_jjT7_P12ihipStream_tbENKUlT_T0_SG_SL_E_clIS7_S7_SB_SB_EEDaSZ_S10_SG_SL_EUlSZ_E_NS1_11comp_targetILNS1_3genE3ELNS1_11target_archE908ELNS1_3gpuE7ELNS1_3repE0EEENS1_47radix_sort_onesweep_sort_config_static_selectorELNS0_4arch9wavefront6targetE1EEEvSG_, .Lfunc_end898-_ZN7rocprim17ROCPRIM_400000_NS6detail17trampoline_kernelINS0_14default_configENS1_35radix_sort_onesweep_config_selectorIilEEZZNS1_29radix_sort_onesweep_iterationIS3_Lb0EPiS7_N6thrust23THRUST_200600_302600_NS10device_ptrIlEESB_jNS0_19identity_decomposerENS1_16block_id_wrapperIjLb0EEEEE10hipError_tT1_PNSt15iterator_traitsISG_E10value_typeET2_T3_PNSH_ISM_E10value_typeET4_T5_PSR_SS_PNS1_23onesweep_lookback_stateEbbT6_jjT7_P12ihipStream_tbENKUlT_T0_SG_SL_E_clIS7_S7_SB_SB_EEDaSZ_S10_SG_SL_EUlSZ_E_NS1_11comp_targetILNS1_3genE3ELNS1_11target_archE908ELNS1_3gpuE7ELNS1_3repE0EEENS1_47radix_sort_onesweep_sort_config_static_selectorELNS0_4arch9wavefront6targetE1EEEvSG_
                                        ; -- End function
	.set _ZN7rocprim17ROCPRIM_400000_NS6detail17trampoline_kernelINS0_14default_configENS1_35radix_sort_onesweep_config_selectorIilEEZZNS1_29radix_sort_onesweep_iterationIS3_Lb0EPiS7_N6thrust23THRUST_200600_302600_NS10device_ptrIlEESB_jNS0_19identity_decomposerENS1_16block_id_wrapperIjLb0EEEEE10hipError_tT1_PNSt15iterator_traitsISG_E10value_typeET2_T3_PNSH_ISM_E10value_typeET4_T5_PSR_SS_PNS1_23onesweep_lookback_stateEbbT6_jjT7_P12ihipStream_tbENKUlT_T0_SG_SL_E_clIS7_S7_SB_SB_EEDaSZ_S10_SG_SL_EUlSZ_E_NS1_11comp_targetILNS1_3genE3ELNS1_11target_archE908ELNS1_3gpuE7ELNS1_3repE0EEENS1_47radix_sort_onesweep_sort_config_static_selectorELNS0_4arch9wavefront6targetE1EEEvSG_.num_vgpr, 0
	.set _ZN7rocprim17ROCPRIM_400000_NS6detail17trampoline_kernelINS0_14default_configENS1_35radix_sort_onesweep_config_selectorIilEEZZNS1_29radix_sort_onesweep_iterationIS3_Lb0EPiS7_N6thrust23THRUST_200600_302600_NS10device_ptrIlEESB_jNS0_19identity_decomposerENS1_16block_id_wrapperIjLb0EEEEE10hipError_tT1_PNSt15iterator_traitsISG_E10value_typeET2_T3_PNSH_ISM_E10value_typeET4_T5_PSR_SS_PNS1_23onesweep_lookback_stateEbbT6_jjT7_P12ihipStream_tbENKUlT_T0_SG_SL_E_clIS7_S7_SB_SB_EEDaSZ_S10_SG_SL_EUlSZ_E_NS1_11comp_targetILNS1_3genE3ELNS1_11target_archE908ELNS1_3gpuE7ELNS1_3repE0EEENS1_47radix_sort_onesweep_sort_config_static_selectorELNS0_4arch9wavefront6targetE1EEEvSG_.num_agpr, 0
	.set _ZN7rocprim17ROCPRIM_400000_NS6detail17trampoline_kernelINS0_14default_configENS1_35radix_sort_onesweep_config_selectorIilEEZZNS1_29radix_sort_onesweep_iterationIS3_Lb0EPiS7_N6thrust23THRUST_200600_302600_NS10device_ptrIlEESB_jNS0_19identity_decomposerENS1_16block_id_wrapperIjLb0EEEEE10hipError_tT1_PNSt15iterator_traitsISG_E10value_typeET2_T3_PNSH_ISM_E10value_typeET4_T5_PSR_SS_PNS1_23onesweep_lookback_stateEbbT6_jjT7_P12ihipStream_tbENKUlT_T0_SG_SL_E_clIS7_S7_SB_SB_EEDaSZ_S10_SG_SL_EUlSZ_E_NS1_11comp_targetILNS1_3genE3ELNS1_11target_archE908ELNS1_3gpuE7ELNS1_3repE0EEENS1_47radix_sort_onesweep_sort_config_static_selectorELNS0_4arch9wavefront6targetE1EEEvSG_.numbered_sgpr, 0
	.set _ZN7rocprim17ROCPRIM_400000_NS6detail17trampoline_kernelINS0_14default_configENS1_35radix_sort_onesweep_config_selectorIilEEZZNS1_29radix_sort_onesweep_iterationIS3_Lb0EPiS7_N6thrust23THRUST_200600_302600_NS10device_ptrIlEESB_jNS0_19identity_decomposerENS1_16block_id_wrapperIjLb0EEEEE10hipError_tT1_PNSt15iterator_traitsISG_E10value_typeET2_T3_PNSH_ISM_E10value_typeET4_T5_PSR_SS_PNS1_23onesweep_lookback_stateEbbT6_jjT7_P12ihipStream_tbENKUlT_T0_SG_SL_E_clIS7_S7_SB_SB_EEDaSZ_S10_SG_SL_EUlSZ_E_NS1_11comp_targetILNS1_3genE3ELNS1_11target_archE908ELNS1_3gpuE7ELNS1_3repE0EEENS1_47radix_sort_onesweep_sort_config_static_selectorELNS0_4arch9wavefront6targetE1EEEvSG_.num_named_barrier, 0
	.set _ZN7rocprim17ROCPRIM_400000_NS6detail17trampoline_kernelINS0_14default_configENS1_35radix_sort_onesweep_config_selectorIilEEZZNS1_29radix_sort_onesweep_iterationIS3_Lb0EPiS7_N6thrust23THRUST_200600_302600_NS10device_ptrIlEESB_jNS0_19identity_decomposerENS1_16block_id_wrapperIjLb0EEEEE10hipError_tT1_PNSt15iterator_traitsISG_E10value_typeET2_T3_PNSH_ISM_E10value_typeET4_T5_PSR_SS_PNS1_23onesweep_lookback_stateEbbT6_jjT7_P12ihipStream_tbENKUlT_T0_SG_SL_E_clIS7_S7_SB_SB_EEDaSZ_S10_SG_SL_EUlSZ_E_NS1_11comp_targetILNS1_3genE3ELNS1_11target_archE908ELNS1_3gpuE7ELNS1_3repE0EEENS1_47radix_sort_onesweep_sort_config_static_selectorELNS0_4arch9wavefront6targetE1EEEvSG_.private_seg_size, 0
	.set _ZN7rocprim17ROCPRIM_400000_NS6detail17trampoline_kernelINS0_14default_configENS1_35radix_sort_onesweep_config_selectorIilEEZZNS1_29radix_sort_onesweep_iterationIS3_Lb0EPiS7_N6thrust23THRUST_200600_302600_NS10device_ptrIlEESB_jNS0_19identity_decomposerENS1_16block_id_wrapperIjLb0EEEEE10hipError_tT1_PNSt15iterator_traitsISG_E10value_typeET2_T3_PNSH_ISM_E10value_typeET4_T5_PSR_SS_PNS1_23onesweep_lookback_stateEbbT6_jjT7_P12ihipStream_tbENKUlT_T0_SG_SL_E_clIS7_S7_SB_SB_EEDaSZ_S10_SG_SL_EUlSZ_E_NS1_11comp_targetILNS1_3genE3ELNS1_11target_archE908ELNS1_3gpuE7ELNS1_3repE0EEENS1_47radix_sort_onesweep_sort_config_static_selectorELNS0_4arch9wavefront6targetE1EEEvSG_.uses_vcc, 0
	.set _ZN7rocprim17ROCPRIM_400000_NS6detail17trampoline_kernelINS0_14default_configENS1_35radix_sort_onesweep_config_selectorIilEEZZNS1_29radix_sort_onesweep_iterationIS3_Lb0EPiS7_N6thrust23THRUST_200600_302600_NS10device_ptrIlEESB_jNS0_19identity_decomposerENS1_16block_id_wrapperIjLb0EEEEE10hipError_tT1_PNSt15iterator_traitsISG_E10value_typeET2_T3_PNSH_ISM_E10value_typeET4_T5_PSR_SS_PNS1_23onesweep_lookback_stateEbbT6_jjT7_P12ihipStream_tbENKUlT_T0_SG_SL_E_clIS7_S7_SB_SB_EEDaSZ_S10_SG_SL_EUlSZ_E_NS1_11comp_targetILNS1_3genE3ELNS1_11target_archE908ELNS1_3gpuE7ELNS1_3repE0EEENS1_47radix_sort_onesweep_sort_config_static_selectorELNS0_4arch9wavefront6targetE1EEEvSG_.uses_flat_scratch, 0
	.set _ZN7rocprim17ROCPRIM_400000_NS6detail17trampoline_kernelINS0_14default_configENS1_35radix_sort_onesweep_config_selectorIilEEZZNS1_29radix_sort_onesweep_iterationIS3_Lb0EPiS7_N6thrust23THRUST_200600_302600_NS10device_ptrIlEESB_jNS0_19identity_decomposerENS1_16block_id_wrapperIjLb0EEEEE10hipError_tT1_PNSt15iterator_traitsISG_E10value_typeET2_T3_PNSH_ISM_E10value_typeET4_T5_PSR_SS_PNS1_23onesweep_lookback_stateEbbT6_jjT7_P12ihipStream_tbENKUlT_T0_SG_SL_E_clIS7_S7_SB_SB_EEDaSZ_S10_SG_SL_EUlSZ_E_NS1_11comp_targetILNS1_3genE3ELNS1_11target_archE908ELNS1_3gpuE7ELNS1_3repE0EEENS1_47radix_sort_onesweep_sort_config_static_selectorELNS0_4arch9wavefront6targetE1EEEvSG_.has_dyn_sized_stack, 0
	.set _ZN7rocprim17ROCPRIM_400000_NS6detail17trampoline_kernelINS0_14default_configENS1_35radix_sort_onesweep_config_selectorIilEEZZNS1_29radix_sort_onesweep_iterationIS3_Lb0EPiS7_N6thrust23THRUST_200600_302600_NS10device_ptrIlEESB_jNS0_19identity_decomposerENS1_16block_id_wrapperIjLb0EEEEE10hipError_tT1_PNSt15iterator_traitsISG_E10value_typeET2_T3_PNSH_ISM_E10value_typeET4_T5_PSR_SS_PNS1_23onesweep_lookback_stateEbbT6_jjT7_P12ihipStream_tbENKUlT_T0_SG_SL_E_clIS7_S7_SB_SB_EEDaSZ_S10_SG_SL_EUlSZ_E_NS1_11comp_targetILNS1_3genE3ELNS1_11target_archE908ELNS1_3gpuE7ELNS1_3repE0EEENS1_47radix_sort_onesweep_sort_config_static_selectorELNS0_4arch9wavefront6targetE1EEEvSG_.has_recursion, 0
	.set _ZN7rocprim17ROCPRIM_400000_NS6detail17trampoline_kernelINS0_14default_configENS1_35radix_sort_onesweep_config_selectorIilEEZZNS1_29radix_sort_onesweep_iterationIS3_Lb0EPiS7_N6thrust23THRUST_200600_302600_NS10device_ptrIlEESB_jNS0_19identity_decomposerENS1_16block_id_wrapperIjLb0EEEEE10hipError_tT1_PNSt15iterator_traitsISG_E10value_typeET2_T3_PNSH_ISM_E10value_typeET4_T5_PSR_SS_PNS1_23onesweep_lookback_stateEbbT6_jjT7_P12ihipStream_tbENKUlT_T0_SG_SL_E_clIS7_S7_SB_SB_EEDaSZ_S10_SG_SL_EUlSZ_E_NS1_11comp_targetILNS1_3genE3ELNS1_11target_archE908ELNS1_3gpuE7ELNS1_3repE0EEENS1_47radix_sort_onesweep_sort_config_static_selectorELNS0_4arch9wavefront6targetE1EEEvSG_.has_indirect_call, 0
	.section	.AMDGPU.csdata,"",@progbits
; Kernel info:
; codeLenInByte = 0
; TotalNumSgprs: 4
; NumVgprs: 0
; ScratchSize: 0
; MemoryBound: 0
; FloatMode: 240
; IeeeMode: 1
; LDSByteSize: 0 bytes/workgroup (compile time only)
; SGPRBlocks: 0
; VGPRBlocks: 0
; NumSGPRsForWavesPerEU: 4
; NumVGPRsForWavesPerEU: 1
; Occupancy: 10
; WaveLimiterHint : 0
; COMPUTE_PGM_RSRC2:SCRATCH_EN: 0
; COMPUTE_PGM_RSRC2:USER_SGPR: 6
; COMPUTE_PGM_RSRC2:TRAP_HANDLER: 0
; COMPUTE_PGM_RSRC2:TGID_X_EN: 1
; COMPUTE_PGM_RSRC2:TGID_Y_EN: 0
; COMPUTE_PGM_RSRC2:TGID_Z_EN: 0
; COMPUTE_PGM_RSRC2:TIDIG_COMP_CNT: 0
	.section	.text._ZN7rocprim17ROCPRIM_400000_NS6detail17trampoline_kernelINS0_14default_configENS1_35radix_sort_onesweep_config_selectorIilEEZZNS1_29radix_sort_onesweep_iterationIS3_Lb0EPiS7_N6thrust23THRUST_200600_302600_NS10device_ptrIlEESB_jNS0_19identity_decomposerENS1_16block_id_wrapperIjLb0EEEEE10hipError_tT1_PNSt15iterator_traitsISG_E10value_typeET2_T3_PNSH_ISM_E10value_typeET4_T5_PSR_SS_PNS1_23onesweep_lookback_stateEbbT6_jjT7_P12ihipStream_tbENKUlT_T0_SG_SL_E_clIS7_S7_SB_SB_EEDaSZ_S10_SG_SL_EUlSZ_E_NS1_11comp_targetILNS1_3genE10ELNS1_11target_archE1201ELNS1_3gpuE5ELNS1_3repE0EEENS1_47radix_sort_onesweep_sort_config_static_selectorELNS0_4arch9wavefront6targetE1EEEvSG_,"axG",@progbits,_ZN7rocprim17ROCPRIM_400000_NS6detail17trampoline_kernelINS0_14default_configENS1_35radix_sort_onesweep_config_selectorIilEEZZNS1_29radix_sort_onesweep_iterationIS3_Lb0EPiS7_N6thrust23THRUST_200600_302600_NS10device_ptrIlEESB_jNS0_19identity_decomposerENS1_16block_id_wrapperIjLb0EEEEE10hipError_tT1_PNSt15iterator_traitsISG_E10value_typeET2_T3_PNSH_ISM_E10value_typeET4_T5_PSR_SS_PNS1_23onesweep_lookback_stateEbbT6_jjT7_P12ihipStream_tbENKUlT_T0_SG_SL_E_clIS7_S7_SB_SB_EEDaSZ_S10_SG_SL_EUlSZ_E_NS1_11comp_targetILNS1_3genE10ELNS1_11target_archE1201ELNS1_3gpuE5ELNS1_3repE0EEENS1_47radix_sort_onesweep_sort_config_static_selectorELNS0_4arch9wavefront6targetE1EEEvSG_,comdat
	.protected	_ZN7rocprim17ROCPRIM_400000_NS6detail17trampoline_kernelINS0_14default_configENS1_35radix_sort_onesweep_config_selectorIilEEZZNS1_29radix_sort_onesweep_iterationIS3_Lb0EPiS7_N6thrust23THRUST_200600_302600_NS10device_ptrIlEESB_jNS0_19identity_decomposerENS1_16block_id_wrapperIjLb0EEEEE10hipError_tT1_PNSt15iterator_traitsISG_E10value_typeET2_T3_PNSH_ISM_E10value_typeET4_T5_PSR_SS_PNS1_23onesweep_lookback_stateEbbT6_jjT7_P12ihipStream_tbENKUlT_T0_SG_SL_E_clIS7_S7_SB_SB_EEDaSZ_S10_SG_SL_EUlSZ_E_NS1_11comp_targetILNS1_3genE10ELNS1_11target_archE1201ELNS1_3gpuE5ELNS1_3repE0EEENS1_47radix_sort_onesweep_sort_config_static_selectorELNS0_4arch9wavefront6targetE1EEEvSG_ ; -- Begin function _ZN7rocprim17ROCPRIM_400000_NS6detail17trampoline_kernelINS0_14default_configENS1_35radix_sort_onesweep_config_selectorIilEEZZNS1_29radix_sort_onesweep_iterationIS3_Lb0EPiS7_N6thrust23THRUST_200600_302600_NS10device_ptrIlEESB_jNS0_19identity_decomposerENS1_16block_id_wrapperIjLb0EEEEE10hipError_tT1_PNSt15iterator_traitsISG_E10value_typeET2_T3_PNSH_ISM_E10value_typeET4_T5_PSR_SS_PNS1_23onesweep_lookback_stateEbbT6_jjT7_P12ihipStream_tbENKUlT_T0_SG_SL_E_clIS7_S7_SB_SB_EEDaSZ_S10_SG_SL_EUlSZ_E_NS1_11comp_targetILNS1_3genE10ELNS1_11target_archE1201ELNS1_3gpuE5ELNS1_3repE0EEENS1_47radix_sort_onesweep_sort_config_static_selectorELNS0_4arch9wavefront6targetE1EEEvSG_
	.globl	_ZN7rocprim17ROCPRIM_400000_NS6detail17trampoline_kernelINS0_14default_configENS1_35radix_sort_onesweep_config_selectorIilEEZZNS1_29radix_sort_onesweep_iterationIS3_Lb0EPiS7_N6thrust23THRUST_200600_302600_NS10device_ptrIlEESB_jNS0_19identity_decomposerENS1_16block_id_wrapperIjLb0EEEEE10hipError_tT1_PNSt15iterator_traitsISG_E10value_typeET2_T3_PNSH_ISM_E10value_typeET4_T5_PSR_SS_PNS1_23onesweep_lookback_stateEbbT6_jjT7_P12ihipStream_tbENKUlT_T0_SG_SL_E_clIS7_S7_SB_SB_EEDaSZ_S10_SG_SL_EUlSZ_E_NS1_11comp_targetILNS1_3genE10ELNS1_11target_archE1201ELNS1_3gpuE5ELNS1_3repE0EEENS1_47radix_sort_onesweep_sort_config_static_selectorELNS0_4arch9wavefront6targetE1EEEvSG_
	.p2align	8
	.type	_ZN7rocprim17ROCPRIM_400000_NS6detail17trampoline_kernelINS0_14default_configENS1_35radix_sort_onesweep_config_selectorIilEEZZNS1_29radix_sort_onesweep_iterationIS3_Lb0EPiS7_N6thrust23THRUST_200600_302600_NS10device_ptrIlEESB_jNS0_19identity_decomposerENS1_16block_id_wrapperIjLb0EEEEE10hipError_tT1_PNSt15iterator_traitsISG_E10value_typeET2_T3_PNSH_ISM_E10value_typeET4_T5_PSR_SS_PNS1_23onesweep_lookback_stateEbbT6_jjT7_P12ihipStream_tbENKUlT_T0_SG_SL_E_clIS7_S7_SB_SB_EEDaSZ_S10_SG_SL_EUlSZ_E_NS1_11comp_targetILNS1_3genE10ELNS1_11target_archE1201ELNS1_3gpuE5ELNS1_3repE0EEENS1_47radix_sort_onesweep_sort_config_static_selectorELNS0_4arch9wavefront6targetE1EEEvSG_,@function
_ZN7rocprim17ROCPRIM_400000_NS6detail17trampoline_kernelINS0_14default_configENS1_35radix_sort_onesweep_config_selectorIilEEZZNS1_29radix_sort_onesweep_iterationIS3_Lb0EPiS7_N6thrust23THRUST_200600_302600_NS10device_ptrIlEESB_jNS0_19identity_decomposerENS1_16block_id_wrapperIjLb0EEEEE10hipError_tT1_PNSt15iterator_traitsISG_E10value_typeET2_T3_PNSH_ISM_E10value_typeET4_T5_PSR_SS_PNS1_23onesweep_lookback_stateEbbT6_jjT7_P12ihipStream_tbENKUlT_T0_SG_SL_E_clIS7_S7_SB_SB_EEDaSZ_S10_SG_SL_EUlSZ_E_NS1_11comp_targetILNS1_3genE10ELNS1_11target_archE1201ELNS1_3gpuE5ELNS1_3repE0EEENS1_47radix_sort_onesweep_sort_config_static_selectorELNS0_4arch9wavefront6targetE1EEEvSG_: ; @_ZN7rocprim17ROCPRIM_400000_NS6detail17trampoline_kernelINS0_14default_configENS1_35radix_sort_onesweep_config_selectorIilEEZZNS1_29radix_sort_onesweep_iterationIS3_Lb0EPiS7_N6thrust23THRUST_200600_302600_NS10device_ptrIlEESB_jNS0_19identity_decomposerENS1_16block_id_wrapperIjLb0EEEEE10hipError_tT1_PNSt15iterator_traitsISG_E10value_typeET2_T3_PNSH_ISM_E10value_typeET4_T5_PSR_SS_PNS1_23onesweep_lookback_stateEbbT6_jjT7_P12ihipStream_tbENKUlT_T0_SG_SL_E_clIS7_S7_SB_SB_EEDaSZ_S10_SG_SL_EUlSZ_E_NS1_11comp_targetILNS1_3genE10ELNS1_11target_archE1201ELNS1_3gpuE5ELNS1_3repE0EEENS1_47radix_sort_onesweep_sort_config_static_selectorELNS0_4arch9wavefront6targetE1EEEvSG_
; %bb.0:
	.section	.rodata,"a",@progbits
	.p2align	6, 0x0
	.amdhsa_kernel _ZN7rocprim17ROCPRIM_400000_NS6detail17trampoline_kernelINS0_14default_configENS1_35radix_sort_onesweep_config_selectorIilEEZZNS1_29radix_sort_onesweep_iterationIS3_Lb0EPiS7_N6thrust23THRUST_200600_302600_NS10device_ptrIlEESB_jNS0_19identity_decomposerENS1_16block_id_wrapperIjLb0EEEEE10hipError_tT1_PNSt15iterator_traitsISG_E10value_typeET2_T3_PNSH_ISM_E10value_typeET4_T5_PSR_SS_PNS1_23onesweep_lookback_stateEbbT6_jjT7_P12ihipStream_tbENKUlT_T0_SG_SL_E_clIS7_S7_SB_SB_EEDaSZ_S10_SG_SL_EUlSZ_E_NS1_11comp_targetILNS1_3genE10ELNS1_11target_archE1201ELNS1_3gpuE5ELNS1_3repE0EEENS1_47radix_sort_onesweep_sort_config_static_selectorELNS0_4arch9wavefront6targetE1EEEvSG_
		.amdhsa_group_segment_fixed_size 0
		.amdhsa_private_segment_fixed_size 0
		.amdhsa_kernarg_size 88
		.amdhsa_user_sgpr_count 6
		.amdhsa_user_sgpr_private_segment_buffer 1
		.amdhsa_user_sgpr_dispatch_ptr 0
		.amdhsa_user_sgpr_queue_ptr 0
		.amdhsa_user_sgpr_kernarg_segment_ptr 1
		.amdhsa_user_sgpr_dispatch_id 0
		.amdhsa_user_sgpr_flat_scratch_init 0
		.amdhsa_user_sgpr_private_segment_size 0
		.amdhsa_uses_dynamic_stack 0
		.amdhsa_system_sgpr_private_segment_wavefront_offset 0
		.amdhsa_system_sgpr_workgroup_id_x 1
		.amdhsa_system_sgpr_workgroup_id_y 0
		.amdhsa_system_sgpr_workgroup_id_z 0
		.amdhsa_system_sgpr_workgroup_info 0
		.amdhsa_system_vgpr_workitem_id 0
		.amdhsa_next_free_vgpr 1
		.amdhsa_next_free_sgpr 0
		.amdhsa_reserve_vcc 0
		.amdhsa_reserve_flat_scratch 0
		.amdhsa_float_round_mode_32 0
		.amdhsa_float_round_mode_16_64 0
		.amdhsa_float_denorm_mode_32 3
		.amdhsa_float_denorm_mode_16_64 3
		.amdhsa_dx10_clamp 1
		.amdhsa_ieee_mode 1
		.amdhsa_fp16_overflow 0
		.amdhsa_exception_fp_ieee_invalid_op 0
		.amdhsa_exception_fp_denorm_src 0
		.amdhsa_exception_fp_ieee_div_zero 0
		.amdhsa_exception_fp_ieee_overflow 0
		.amdhsa_exception_fp_ieee_underflow 0
		.amdhsa_exception_fp_ieee_inexact 0
		.amdhsa_exception_int_div_zero 0
	.end_amdhsa_kernel
	.section	.text._ZN7rocprim17ROCPRIM_400000_NS6detail17trampoline_kernelINS0_14default_configENS1_35radix_sort_onesweep_config_selectorIilEEZZNS1_29radix_sort_onesweep_iterationIS3_Lb0EPiS7_N6thrust23THRUST_200600_302600_NS10device_ptrIlEESB_jNS0_19identity_decomposerENS1_16block_id_wrapperIjLb0EEEEE10hipError_tT1_PNSt15iterator_traitsISG_E10value_typeET2_T3_PNSH_ISM_E10value_typeET4_T5_PSR_SS_PNS1_23onesweep_lookback_stateEbbT6_jjT7_P12ihipStream_tbENKUlT_T0_SG_SL_E_clIS7_S7_SB_SB_EEDaSZ_S10_SG_SL_EUlSZ_E_NS1_11comp_targetILNS1_3genE10ELNS1_11target_archE1201ELNS1_3gpuE5ELNS1_3repE0EEENS1_47radix_sort_onesweep_sort_config_static_selectorELNS0_4arch9wavefront6targetE1EEEvSG_,"axG",@progbits,_ZN7rocprim17ROCPRIM_400000_NS6detail17trampoline_kernelINS0_14default_configENS1_35radix_sort_onesweep_config_selectorIilEEZZNS1_29radix_sort_onesweep_iterationIS3_Lb0EPiS7_N6thrust23THRUST_200600_302600_NS10device_ptrIlEESB_jNS0_19identity_decomposerENS1_16block_id_wrapperIjLb0EEEEE10hipError_tT1_PNSt15iterator_traitsISG_E10value_typeET2_T3_PNSH_ISM_E10value_typeET4_T5_PSR_SS_PNS1_23onesweep_lookback_stateEbbT6_jjT7_P12ihipStream_tbENKUlT_T0_SG_SL_E_clIS7_S7_SB_SB_EEDaSZ_S10_SG_SL_EUlSZ_E_NS1_11comp_targetILNS1_3genE10ELNS1_11target_archE1201ELNS1_3gpuE5ELNS1_3repE0EEENS1_47radix_sort_onesweep_sort_config_static_selectorELNS0_4arch9wavefront6targetE1EEEvSG_,comdat
.Lfunc_end899:
	.size	_ZN7rocprim17ROCPRIM_400000_NS6detail17trampoline_kernelINS0_14default_configENS1_35radix_sort_onesweep_config_selectorIilEEZZNS1_29radix_sort_onesweep_iterationIS3_Lb0EPiS7_N6thrust23THRUST_200600_302600_NS10device_ptrIlEESB_jNS0_19identity_decomposerENS1_16block_id_wrapperIjLb0EEEEE10hipError_tT1_PNSt15iterator_traitsISG_E10value_typeET2_T3_PNSH_ISM_E10value_typeET4_T5_PSR_SS_PNS1_23onesweep_lookback_stateEbbT6_jjT7_P12ihipStream_tbENKUlT_T0_SG_SL_E_clIS7_S7_SB_SB_EEDaSZ_S10_SG_SL_EUlSZ_E_NS1_11comp_targetILNS1_3genE10ELNS1_11target_archE1201ELNS1_3gpuE5ELNS1_3repE0EEENS1_47radix_sort_onesweep_sort_config_static_selectorELNS0_4arch9wavefront6targetE1EEEvSG_, .Lfunc_end899-_ZN7rocprim17ROCPRIM_400000_NS6detail17trampoline_kernelINS0_14default_configENS1_35radix_sort_onesweep_config_selectorIilEEZZNS1_29radix_sort_onesweep_iterationIS3_Lb0EPiS7_N6thrust23THRUST_200600_302600_NS10device_ptrIlEESB_jNS0_19identity_decomposerENS1_16block_id_wrapperIjLb0EEEEE10hipError_tT1_PNSt15iterator_traitsISG_E10value_typeET2_T3_PNSH_ISM_E10value_typeET4_T5_PSR_SS_PNS1_23onesweep_lookback_stateEbbT6_jjT7_P12ihipStream_tbENKUlT_T0_SG_SL_E_clIS7_S7_SB_SB_EEDaSZ_S10_SG_SL_EUlSZ_E_NS1_11comp_targetILNS1_3genE10ELNS1_11target_archE1201ELNS1_3gpuE5ELNS1_3repE0EEENS1_47radix_sort_onesweep_sort_config_static_selectorELNS0_4arch9wavefront6targetE1EEEvSG_
                                        ; -- End function
	.set _ZN7rocprim17ROCPRIM_400000_NS6detail17trampoline_kernelINS0_14default_configENS1_35radix_sort_onesweep_config_selectorIilEEZZNS1_29radix_sort_onesweep_iterationIS3_Lb0EPiS7_N6thrust23THRUST_200600_302600_NS10device_ptrIlEESB_jNS0_19identity_decomposerENS1_16block_id_wrapperIjLb0EEEEE10hipError_tT1_PNSt15iterator_traitsISG_E10value_typeET2_T3_PNSH_ISM_E10value_typeET4_T5_PSR_SS_PNS1_23onesweep_lookback_stateEbbT6_jjT7_P12ihipStream_tbENKUlT_T0_SG_SL_E_clIS7_S7_SB_SB_EEDaSZ_S10_SG_SL_EUlSZ_E_NS1_11comp_targetILNS1_3genE10ELNS1_11target_archE1201ELNS1_3gpuE5ELNS1_3repE0EEENS1_47radix_sort_onesweep_sort_config_static_selectorELNS0_4arch9wavefront6targetE1EEEvSG_.num_vgpr, 0
	.set _ZN7rocprim17ROCPRIM_400000_NS6detail17trampoline_kernelINS0_14default_configENS1_35radix_sort_onesweep_config_selectorIilEEZZNS1_29radix_sort_onesweep_iterationIS3_Lb0EPiS7_N6thrust23THRUST_200600_302600_NS10device_ptrIlEESB_jNS0_19identity_decomposerENS1_16block_id_wrapperIjLb0EEEEE10hipError_tT1_PNSt15iterator_traitsISG_E10value_typeET2_T3_PNSH_ISM_E10value_typeET4_T5_PSR_SS_PNS1_23onesweep_lookback_stateEbbT6_jjT7_P12ihipStream_tbENKUlT_T0_SG_SL_E_clIS7_S7_SB_SB_EEDaSZ_S10_SG_SL_EUlSZ_E_NS1_11comp_targetILNS1_3genE10ELNS1_11target_archE1201ELNS1_3gpuE5ELNS1_3repE0EEENS1_47radix_sort_onesweep_sort_config_static_selectorELNS0_4arch9wavefront6targetE1EEEvSG_.num_agpr, 0
	.set _ZN7rocprim17ROCPRIM_400000_NS6detail17trampoline_kernelINS0_14default_configENS1_35radix_sort_onesweep_config_selectorIilEEZZNS1_29radix_sort_onesweep_iterationIS3_Lb0EPiS7_N6thrust23THRUST_200600_302600_NS10device_ptrIlEESB_jNS0_19identity_decomposerENS1_16block_id_wrapperIjLb0EEEEE10hipError_tT1_PNSt15iterator_traitsISG_E10value_typeET2_T3_PNSH_ISM_E10value_typeET4_T5_PSR_SS_PNS1_23onesweep_lookback_stateEbbT6_jjT7_P12ihipStream_tbENKUlT_T0_SG_SL_E_clIS7_S7_SB_SB_EEDaSZ_S10_SG_SL_EUlSZ_E_NS1_11comp_targetILNS1_3genE10ELNS1_11target_archE1201ELNS1_3gpuE5ELNS1_3repE0EEENS1_47radix_sort_onesweep_sort_config_static_selectorELNS0_4arch9wavefront6targetE1EEEvSG_.numbered_sgpr, 0
	.set _ZN7rocprim17ROCPRIM_400000_NS6detail17trampoline_kernelINS0_14default_configENS1_35radix_sort_onesweep_config_selectorIilEEZZNS1_29radix_sort_onesweep_iterationIS3_Lb0EPiS7_N6thrust23THRUST_200600_302600_NS10device_ptrIlEESB_jNS0_19identity_decomposerENS1_16block_id_wrapperIjLb0EEEEE10hipError_tT1_PNSt15iterator_traitsISG_E10value_typeET2_T3_PNSH_ISM_E10value_typeET4_T5_PSR_SS_PNS1_23onesweep_lookback_stateEbbT6_jjT7_P12ihipStream_tbENKUlT_T0_SG_SL_E_clIS7_S7_SB_SB_EEDaSZ_S10_SG_SL_EUlSZ_E_NS1_11comp_targetILNS1_3genE10ELNS1_11target_archE1201ELNS1_3gpuE5ELNS1_3repE0EEENS1_47radix_sort_onesweep_sort_config_static_selectorELNS0_4arch9wavefront6targetE1EEEvSG_.num_named_barrier, 0
	.set _ZN7rocprim17ROCPRIM_400000_NS6detail17trampoline_kernelINS0_14default_configENS1_35radix_sort_onesweep_config_selectorIilEEZZNS1_29radix_sort_onesweep_iterationIS3_Lb0EPiS7_N6thrust23THRUST_200600_302600_NS10device_ptrIlEESB_jNS0_19identity_decomposerENS1_16block_id_wrapperIjLb0EEEEE10hipError_tT1_PNSt15iterator_traitsISG_E10value_typeET2_T3_PNSH_ISM_E10value_typeET4_T5_PSR_SS_PNS1_23onesweep_lookback_stateEbbT6_jjT7_P12ihipStream_tbENKUlT_T0_SG_SL_E_clIS7_S7_SB_SB_EEDaSZ_S10_SG_SL_EUlSZ_E_NS1_11comp_targetILNS1_3genE10ELNS1_11target_archE1201ELNS1_3gpuE5ELNS1_3repE0EEENS1_47radix_sort_onesweep_sort_config_static_selectorELNS0_4arch9wavefront6targetE1EEEvSG_.private_seg_size, 0
	.set _ZN7rocprim17ROCPRIM_400000_NS6detail17trampoline_kernelINS0_14default_configENS1_35radix_sort_onesweep_config_selectorIilEEZZNS1_29radix_sort_onesweep_iterationIS3_Lb0EPiS7_N6thrust23THRUST_200600_302600_NS10device_ptrIlEESB_jNS0_19identity_decomposerENS1_16block_id_wrapperIjLb0EEEEE10hipError_tT1_PNSt15iterator_traitsISG_E10value_typeET2_T3_PNSH_ISM_E10value_typeET4_T5_PSR_SS_PNS1_23onesweep_lookback_stateEbbT6_jjT7_P12ihipStream_tbENKUlT_T0_SG_SL_E_clIS7_S7_SB_SB_EEDaSZ_S10_SG_SL_EUlSZ_E_NS1_11comp_targetILNS1_3genE10ELNS1_11target_archE1201ELNS1_3gpuE5ELNS1_3repE0EEENS1_47radix_sort_onesweep_sort_config_static_selectorELNS0_4arch9wavefront6targetE1EEEvSG_.uses_vcc, 0
	.set _ZN7rocprim17ROCPRIM_400000_NS6detail17trampoline_kernelINS0_14default_configENS1_35radix_sort_onesweep_config_selectorIilEEZZNS1_29radix_sort_onesweep_iterationIS3_Lb0EPiS7_N6thrust23THRUST_200600_302600_NS10device_ptrIlEESB_jNS0_19identity_decomposerENS1_16block_id_wrapperIjLb0EEEEE10hipError_tT1_PNSt15iterator_traitsISG_E10value_typeET2_T3_PNSH_ISM_E10value_typeET4_T5_PSR_SS_PNS1_23onesweep_lookback_stateEbbT6_jjT7_P12ihipStream_tbENKUlT_T0_SG_SL_E_clIS7_S7_SB_SB_EEDaSZ_S10_SG_SL_EUlSZ_E_NS1_11comp_targetILNS1_3genE10ELNS1_11target_archE1201ELNS1_3gpuE5ELNS1_3repE0EEENS1_47radix_sort_onesweep_sort_config_static_selectorELNS0_4arch9wavefront6targetE1EEEvSG_.uses_flat_scratch, 0
	.set _ZN7rocprim17ROCPRIM_400000_NS6detail17trampoline_kernelINS0_14default_configENS1_35radix_sort_onesweep_config_selectorIilEEZZNS1_29radix_sort_onesweep_iterationIS3_Lb0EPiS7_N6thrust23THRUST_200600_302600_NS10device_ptrIlEESB_jNS0_19identity_decomposerENS1_16block_id_wrapperIjLb0EEEEE10hipError_tT1_PNSt15iterator_traitsISG_E10value_typeET2_T3_PNSH_ISM_E10value_typeET4_T5_PSR_SS_PNS1_23onesweep_lookback_stateEbbT6_jjT7_P12ihipStream_tbENKUlT_T0_SG_SL_E_clIS7_S7_SB_SB_EEDaSZ_S10_SG_SL_EUlSZ_E_NS1_11comp_targetILNS1_3genE10ELNS1_11target_archE1201ELNS1_3gpuE5ELNS1_3repE0EEENS1_47radix_sort_onesweep_sort_config_static_selectorELNS0_4arch9wavefront6targetE1EEEvSG_.has_dyn_sized_stack, 0
	.set _ZN7rocprim17ROCPRIM_400000_NS6detail17trampoline_kernelINS0_14default_configENS1_35radix_sort_onesweep_config_selectorIilEEZZNS1_29radix_sort_onesweep_iterationIS3_Lb0EPiS7_N6thrust23THRUST_200600_302600_NS10device_ptrIlEESB_jNS0_19identity_decomposerENS1_16block_id_wrapperIjLb0EEEEE10hipError_tT1_PNSt15iterator_traitsISG_E10value_typeET2_T3_PNSH_ISM_E10value_typeET4_T5_PSR_SS_PNS1_23onesweep_lookback_stateEbbT6_jjT7_P12ihipStream_tbENKUlT_T0_SG_SL_E_clIS7_S7_SB_SB_EEDaSZ_S10_SG_SL_EUlSZ_E_NS1_11comp_targetILNS1_3genE10ELNS1_11target_archE1201ELNS1_3gpuE5ELNS1_3repE0EEENS1_47radix_sort_onesweep_sort_config_static_selectorELNS0_4arch9wavefront6targetE1EEEvSG_.has_recursion, 0
	.set _ZN7rocprim17ROCPRIM_400000_NS6detail17trampoline_kernelINS0_14default_configENS1_35radix_sort_onesweep_config_selectorIilEEZZNS1_29radix_sort_onesweep_iterationIS3_Lb0EPiS7_N6thrust23THRUST_200600_302600_NS10device_ptrIlEESB_jNS0_19identity_decomposerENS1_16block_id_wrapperIjLb0EEEEE10hipError_tT1_PNSt15iterator_traitsISG_E10value_typeET2_T3_PNSH_ISM_E10value_typeET4_T5_PSR_SS_PNS1_23onesweep_lookback_stateEbbT6_jjT7_P12ihipStream_tbENKUlT_T0_SG_SL_E_clIS7_S7_SB_SB_EEDaSZ_S10_SG_SL_EUlSZ_E_NS1_11comp_targetILNS1_3genE10ELNS1_11target_archE1201ELNS1_3gpuE5ELNS1_3repE0EEENS1_47radix_sort_onesweep_sort_config_static_selectorELNS0_4arch9wavefront6targetE1EEEvSG_.has_indirect_call, 0
	.section	.AMDGPU.csdata,"",@progbits
; Kernel info:
; codeLenInByte = 0
; TotalNumSgprs: 4
; NumVgprs: 0
; ScratchSize: 0
; MemoryBound: 0
; FloatMode: 240
; IeeeMode: 1
; LDSByteSize: 0 bytes/workgroup (compile time only)
; SGPRBlocks: 0
; VGPRBlocks: 0
; NumSGPRsForWavesPerEU: 4
; NumVGPRsForWavesPerEU: 1
; Occupancy: 10
; WaveLimiterHint : 0
; COMPUTE_PGM_RSRC2:SCRATCH_EN: 0
; COMPUTE_PGM_RSRC2:USER_SGPR: 6
; COMPUTE_PGM_RSRC2:TRAP_HANDLER: 0
; COMPUTE_PGM_RSRC2:TGID_X_EN: 1
; COMPUTE_PGM_RSRC2:TGID_Y_EN: 0
; COMPUTE_PGM_RSRC2:TGID_Z_EN: 0
; COMPUTE_PGM_RSRC2:TIDIG_COMP_CNT: 0
	.section	.text._ZN7rocprim17ROCPRIM_400000_NS6detail17trampoline_kernelINS0_14default_configENS1_35radix_sort_onesweep_config_selectorIilEEZZNS1_29radix_sort_onesweep_iterationIS3_Lb0EPiS7_N6thrust23THRUST_200600_302600_NS10device_ptrIlEESB_jNS0_19identity_decomposerENS1_16block_id_wrapperIjLb0EEEEE10hipError_tT1_PNSt15iterator_traitsISG_E10value_typeET2_T3_PNSH_ISM_E10value_typeET4_T5_PSR_SS_PNS1_23onesweep_lookback_stateEbbT6_jjT7_P12ihipStream_tbENKUlT_T0_SG_SL_E_clIS7_S7_SB_SB_EEDaSZ_S10_SG_SL_EUlSZ_E_NS1_11comp_targetILNS1_3genE9ELNS1_11target_archE1100ELNS1_3gpuE3ELNS1_3repE0EEENS1_47radix_sort_onesweep_sort_config_static_selectorELNS0_4arch9wavefront6targetE1EEEvSG_,"axG",@progbits,_ZN7rocprim17ROCPRIM_400000_NS6detail17trampoline_kernelINS0_14default_configENS1_35radix_sort_onesweep_config_selectorIilEEZZNS1_29radix_sort_onesweep_iterationIS3_Lb0EPiS7_N6thrust23THRUST_200600_302600_NS10device_ptrIlEESB_jNS0_19identity_decomposerENS1_16block_id_wrapperIjLb0EEEEE10hipError_tT1_PNSt15iterator_traitsISG_E10value_typeET2_T3_PNSH_ISM_E10value_typeET4_T5_PSR_SS_PNS1_23onesweep_lookback_stateEbbT6_jjT7_P12ihipStream_tbENKUlT_T0_SG_SL_E_clIS7_S7_SB_SB_EEDaSZ_S10_SG_SL_EUlSZ_E_NS1_11comp_targetILNS1_3genE9ELNS1_11target_archE1100ELNS1_3gpuE3ELNS1_3repE0EEENS1_47radix_sort_onesweep_sort_config_static_selectorELNS0_4arch9wavefront6targetE1EEEvSG_,comdat
	.protected	_ZN7rocprim17ROCPRIM_400000_NS6detail17trampoline_kernelINS0_14default_configENS1_35radix_sort_onesweep_config_selectorIilEEZZNS1_29radix_sort_onesweep_iterationIS3_Lb0EPiS7_N6thrust23THRUST_200600_302600_NS10device_ptrIlEESB_jNS0_19identity_decomposerENS1_16block_id_wrapperIjLb0EEEEE10hipError_tT1_PNSt15iterator_traitsISG_E10value_typeET2_T3_PNSH_ISM_E10value_typeET4_T5_PSR_SS_PNS1_23onesweep_lookback_stateEbbT6_jjT7_P12ihipStream_tbENKUlT_T0_SG_SL_E_clIS7_S7_SB_SB_EEDaSZ_S10_SG_SL_EUlSZ_E_NS1_11comp_targetILNS1_3genE9ELNS1_11target_archE1100ELNS1_3gpuE3ELNS1_3repE0EEENS1_47radix_sort_onesweep_sort_config_static_selectorELNS0_4arch9wavefront6targetE1EEEvSG_ ; -- Begin function _ZN7rocprim17ROCPRIM_400000_NS6detail17trampoline_kernelINS0_14default_configENS1_35radix_sort_onesweep_config_selectorIilEEZZNS1_29radix_sort_onesweep_iterationIS3_Lb0EPiS7_N6thrust23THRUST_200600_302600_NS10device_ptrIlEESB_jNS0_19identity_decomposerENS1_16block_id_wrapperIjLb0EEEEE10hipError_tT1_PNSt15iterator_traitsISG_E10value_typeET2_T3_PNSH_ISM_E10value_typeET4_T5_PSR_SS_PNS1_23onesweep_lookback_stateEbbT6_jjT7_P12ihipStream_tbENKUlT_T0_SG_SL_E_clIS7_S7_SB_SB_EEDaSZ_S10_SG_SL_EUlSZ_E_NS1_11comp_targetILNS1_3genE9ELNS1_11target_archE1100ELNS1_3gpuE3ELNS1_3repE0EEENS1_47radix_sort_onesweep_sort_config_static_selectorELNS0_4arch9wavefront6targetE1EEEvSG_
	.globl	_ZN7rocprim17ROCPRIM_400000_NS6detail17trampoline_kernelINS0_14default_configENS1_35radix_sort_onesweep_config_selectorIilEEZZNS1_29radix_sort_onesweep_iterationIS3_Lb0EPiS7_N6thrust23THRUST_200600_302600_NS10device_ptrIlEESB_jNS0_19identity_decomposerENS1_16block_id_wrapperIjLb0EEEEE10hipError_tT1_PNSt15iterator_traitsISG_E10value_typeET2_T3_PNSH_ISM_E10value_typeET4_T5_PSR_SS_PNS1_23onesweep_lookback_stateEbbT6_jjT7_P12ihipStream_tbENKUlT_T0_SG_SL_E_clIS7_S7_SB_SB_EEDaSZ_S10_SG_SL_EUlSZ_E_NS1_11comp_targetILNS1_3genE9ELNS1_11target_archE1100ELNS1_3gpuE3ELNS1_3repE0EEENS1_47radix_sort_onesweep_sort_config_static_selectorELNS0_4arch9wavefront6targetE1EEEvSG_
	.p2align	8
	.type	_ZN7rocprim17ROCPRIM_400000_NS6detail17trampoline_kernelINS0_14default_configENS1_35radix_sort_onesweep_config_selectorIilEEZZNS1_29radix_sort_onesweep_iterationIS3_Lb0EPiS7_N6thrust23THRUST_200600_302600_NS10device_ptrIlEESB_jNS0_19identity_decomposerENS1_16block_id_wrapperIjLb0EEEEE10hipError_tT1_PNSt15iterator_traitsISG_E10value_typeET2_T3_PNSH_ISM_E10value_typeET4_T5_PSR_SS_PNS1_23onesweep_lookback_stateEbbT6_jjT7_P12ihipStream_tbENKUlT_T0_SG_SL_E_clIS7_S7_SB_SB_EEDaSZ_S10_SG_SL_EUlSZ_E_NS1_11comp_targetILNS1_3genE9ELNS1_11target_archE1100ELNS1_3gpuE3ELNS1_3repE0EEENS1_47radix_sort_onesweep_sort_config_static_selectorELNS0_4arch9wavefront6targetE1EEEvSG_,@function
_ZN7rocprim17ROCPRIM_400000_NS6detail17trampoline_kernelINS0_14default_configENS1_35radix_sort_onesweep_config_selectorIilEEZZNS1_29radix_sort_onesweep_iterationIS3_Lb0EPiS7_N6thrust23THRUST_200600_302600_NS10device_ptrIlEESB_jNS0_19identity_decomposerENS1_16block_id_wrapperIjLb0EEEEE10hipError_tT1_PNSt15iterator_traitsISG_E10value_typeET2_T3_PNSH_ISM_E10value_typeET4_T5_PSR_SS_PNS1_23onesweep_lookback_stateEbbT6_jjT7_P12ihipStream_tbENKUlT_T0_SG_SL_E_clIS7_S7_SB_SB_EEDaSZ_S10_SG_SL_EUlSZ_E_NS1_11comp_targetILNS1_3genE9ELNS1_11target_archE1100ELNS1_3gpuE3ELNS1_3repE0EEENS1_47radix_sort_onesweep_sort_config_static_selectorELNS0_4arch9wavefront6targetE1EEEvSG_: ; @_ZN7rocprim17ROCPRIM_400000_NS6detail17trampoline_kernelINS0_14default_configENS1_35radix_sort_onesweep_config_selectorIilEEZZNS1_29radix_sort_onesweep_iterationIS3_Lb0EPiS7_N6thrust23THRUST_200600_302600_NS10device_ptrIlEESB_jNS0_19identity_decomposerENS1_16block_id_wrapperIjLb0EEEEE10hipError_tT1_PNSt15iterator_traitsISG_E10value_typeET2_T3_PNSH_ISM_E10value_typeET4_T5_PSR_SS_PNS1_23onesweep_lookback_stateEbbT6_jjT7_P12ihipStream_tbENKUlT_T0_SG_SL_E_clIS7_S7_SB_SB_EEDaSZ_S10_SG_SL_EUlSZ_E_NS1_11comp_targetILNS1_3genE9ELNS1_11target_archE1100ELNS1_3gpuE3ELNS1_3repE0EEENS1_47radix_sort_onesweep_sort_config_static_selectorELNS0_4arch9wavefront6targetE1EEEvSG_
; %bb.0:
	.section	.rodata,"a",@progbits
	.p2align	6, 0x0
	.amdhsa_kernel _ZN7rocprim17ROCPRIM_400000_NS6detail17trampoline_kernelINS0_14default_configENS1_35radix_sort_onesweep_config_selectorIilEEZZNS1_29radix_sort_onesweep_iterationIS3_Lb0EPiS7_N6thrust23THRUST_200600_302600_NS10device_ptrIlEESB_jNS0_19identity_decomposerENS1_16block_id_wrapperIjLb0EEEEE10hipError_tT1_PNSt15iterator_traitsISG_E10value_typeET2_T3_PNSH_ISM_E10value_typeET4_T5_PSR_SS_PNS1_23onesweep_lookback_stateEbbT6_jjT7_P12ihipStream_tbENKUlT_T0_SG_SL_E_clIS7_S7_SB_SB_EEDaSZ_S10_SG_SL_EUlSZ_E_NS1_11comp_targetILNS1_3genE9ELNS1_11target_archE1100ELNS1_3gpuE3ELNS1_3repE0EEENS1_47radix_sort_onesweep_sort_config_static_selectorELNS0_4arch9wavefront6targetE1EEEvSG_
		.amdhsa_group_segment_fixed_size 0
		.amdhsa_private_segment_fixed_size 0
		.amdhsa_kernarg_size 88
		.amdhsa_user_sgpr_count 6
		.amdhsa_user_sgpr_private_segment_buffer 1
		.amdhsa_user_sgpr_dispatch_ptr 0
		.amdhsa_user_sgpr_queue_ptr 0
		.amdhsa_user_sgpr_kernarg_segment_ptr 1
		.amdhsa_user_sgpr_dispatch_id 0
		.amdhsa_user_sgpr_flat_scratch_init 0
		.amdhsa_user_sgpr_private_segment_size 0
		.amdhsa_uses_dynamic_stack 0
		.amdhsa_system_sgpr_private_segment_wavefront_offset 0
		.amdhsa_system_sgpr_workgroup_id_x 1
		.amdhsa_system_sgpr_workgroup_id_y 0
		.amdhsa_system_sgpr_workgroup_id_z 0
		.amdhsa_system_sgpr_workgroup_info 0
		.amdhsa_system_vgpr_workitem_id 0
		.amdhsa_next_free_vgpr 1
		.amdhsa_next_free_sgpr 0
		.amdhsa_reserve_vcc 0
		.amdhsa_reserve_flat_scratch 0
		.amdhsa_float_round_mode_32 0
		.amdhsa_float_round_mode_16_64 0
		.amdhsa_float_denorm_mode_32 3
		.amdhsa_float_denorm_mode_16_64 3
		.amdhsa_dx10_clamp 1
		.amdhsa_ieee_mode 1
		.amdhsa_fp16_overflow 0
		.amdhsa_exception_fp_ieee_invalid_op 0
		.amdhsa_exception_fp_denorm_src 0
		.amdhsa_exception_fp_ieee_div_zero 0
		.amdhsa_exception_fp_ieee_overflow 0
		.amdhsa_exception_fp_ieee_underflow 0
		.amdhsa_exception_fp_ieee_inexact 0
		.amdhsa_exception_int_div_zero 0
	.end_amdhsa_kernel
	.section	.text._ZN7rocprim17ROCPRIM_400000_NS6detail17trampoline_kernelINS0_14default_configENS1_35radix_sort_onesweep_config_selectorIilEEZZNS1_29radix_sort_onesweep_iterationIS3_Lb0EPiS7_N6thrust23THRUST_200600_302600_NS10device_ptrIlEESB_jNS0_19identity_decomposerENS1_16block_id_wrapperIjLb0EEEEE10hipError_tT1_PNSt15iterator_traitsISG_E10value_typeET2_T3_PNSH_ISM_E10value_typeET4_T5_PSR_SS_PNS1_23onesweep_lookback_stateEbbT6_jjT7_P12ihipStream_tbENKUlT_T0_SG_SL_E_clIS7_S7_SB_SB_EEDaSZ_S10_SG_SL_EUlSZ_E_NS1_11comp_targetILNS1_3genE9ELNS1_11target_archE1100ELNS1_3gpuE3ELNS1_3repE0EEENS1_47radix_sort_onesweep_sort_config_static_selectorELNS0_4arch9wavefront6targetE1EEEvSG_,"axG",@progbits,_ZN7rocprim17ROCPRIM_400000_NS6detail17trampoline_kernelINS0_14default_configENS1_35radix_sort_onesweep_config_selectorIilEEZZNS1_29radix_sort_onesweep_iterationIS3_Lb0EPiS7_N6thrust23THRUST_200600_302600_NS10device_ptrIlEESB_jNS0_19identity_decomposerENS1_16block_id_wrapperIjLb0EEEEE10hipError_tT1_PNSt15iterator_traitsISG_E10value_typeET2_T3_PNSH_ISM_E10value_typeET4_T5_PSR_SS_PNS1_23onesweep_lookback_stateEbbT6_jjT7_P12ihipStream_tbENKUlT_T0_SG_SL_E_clIS7_S7_SB_SB_EEDaSZ_S10_SG_SL_EUlSZ_E_NS1_11comp_targetILNS1_3genE9ELNS1_11target_archE1100ELNS1_3gpuE3ELNS1_3repE0EEENS1_47radix_sort_onesweep_sort_config_static_selectorELNS0_4arch9wavefront6targetE1EEEvSG_,comdat
.Lfunc_end900:
	.size	_ZN7rocprim17ROCPRIM_400000_NS6detail17trampoline_kernelINS0_14default_configENS1_35radix_sort_onesweep_config_selectorIilEEZZNS1_29radix_sort_onesweep_iterationIS3_Lb0EPiS7_N6thrust23THRUST_200600_302600_NS10device_ptrIlEESB_jNS0_19identity_decomposerENS1_16block_id_wrapperIjLb0EEEEE10hipError_tT1_PNSt15iterator_traitsISG_E10value_typeET2_T3_PNSH_ISM_E10value_typeET4_T5_PSR_SS_PNS1_23onesweep_lookback_stateEbbT6_jjT7_P12ihipStream_tbENKUlT_T0_SG_SL_E_clIS7_S7_SB_SB_EEDaSZ_S10_SG_SL_EUlSZ_E_NS1_11comp_targetILNS1_3genE9ELNS1_11target_archE1100ELNS1_3gpuE3ELNS1_3repE0EEENS1_47radix_sort_onesweep_sort_config_static_selectorELNS0_4arch9wavefront6targetE1EEEvSG_, .Lfunc_end900-_ZN7rocprim17ROCPRIM_400000_NS6detail17trampoline_kernelINS0_14default_configENS1_35radix_sort_onesweep_config_selectorIilEEZZNS1_29radix_sort_onesweep_iterationIS3_Lb0EPiS7_N6thrust23THRUST_200600_302600_NS10device_ptrIlEESB_jNS0_19identity_decomposerENS1_16block_id_wrapperIjLb0EEEEE10hipError_tT1_PNSt15iterator_traitsISG_E10value_typeET2_T3_PNSH_ISM_E10value_typeET4_T5_PSR_SS_PNS1_23onesweep_lookback_stateEbbT6_jjT7_P12ihipStream_tbENKUlT_T0_SG_SL_E_clIS7_S7_SB_SB_EEDaSZ_S10_SG_SL_EUlSZ_E_NS1_11comp_targetILNS1_3genE9ELNS1_11target_archE1100ELNS1_3gpuE3ELNS1_3repE0EEENS1_47radix_sort_onesweep_sort_config_static_selectorELNS0_4arch9wavefront6targetE1EEEvSG_
                                        ; -- End function
	.set _ZN7rocprim17ROCPRIM_400000_NS6detail17trampoline_kernelINS0_14default_configENS1_35radix_sort_onesweep_config_selectorIilEEZZNS1_29radix_sort_onesweep_iterationIS3_Lb0EPiS7_N6thrust23THRUST_200600_302600_NS10device_ptrIlEESB_jNS0_19identity_decomposerENS1_16block_id_wrapperIjLb0EEEEE10hipError_tT1_PNSt15iterator_traitsISG_E10value_typeET2_T3_PNSH_ISM_E10value_typeET4_T5_PSR_SS_PNS1_23onesweep_lookback_stateEbbT6_jjT7_P12ihipStream_tbENKUlT_T0_SG_SL_E_clIS7_S7_SB_SB_EEDaSZ_S10_SG_SL_EUlSZ_E_NS1_11comp_targetILNS1_3genE9ELNS1_11target_archE1100ELNS1_3gpuE3ELNS1_3repE0EEENS1_47radix_sort_onesweep_sort_config_static_selectorELNS0_4arch9wavefront6targetE1EEEvSG_.num_vgpr, 0
	.set _ZN7rocprim17ROCPRIM_400000_NS6detail17trampoline_kernelINS0_14default_configENS1_35radix_sort_onesweep_config_selectorIilEEZZNS1_29radix_sort_onesweep_iterationIS3_Lb0EPiS7_N6thrust23THRUST_200600_302600_NS10device_ptrIlEESB_jNS0_19identity_decomposerENS1_16block_id_wrapperIjLb0EEEEE10hipError_tT1_PNSt15iterator_traitsISG_E10value_typeET2_T3_PNSH_ISM_E10value_typeET4_T5_PSR_SS_PNS1_23onesweep_lookback_stateEbbT6_jjT7_P12ihipStream_tbENKUlT_T0_SG_SL_E_clIS7_S7_SB_SB_EEDaSZ_S10_SG_SL_EUlSZ_E_NS1_11comp_targetILNS1_3genE9ELNS1_11target_archE1100ELNS1_3gpuE3ELNS1_3repE0EEENS1_47radix_sort_onesweep_sort_config_static_selectorELNS0_4arch9wavefront6targetE1EEEvSG_.num_agpr, 0
	.set _ZN7rocprim17ROCPRIM_400000_NS6detail17trampoline_kernelINS0_14default_configENS1_35radix_sort_onesweep_config_selectorIilEEZZNS1_29radix_sort_onesweep_iterationIS3_Lb0EPiS7_N6thrust23THRUST_200600_302600_NS10device_ptrIlEESB_jNS0_19identity_decomposerENS1_16block_id_wrapperIjLb0EEEEE10hipError_tT1_PNSt15iterator_traitsISG_E10value_typeET2_T3_PNSH_ISM_E10value_typeET4_T5_PSR_SS_PNS1_23onesweep_lookback_stateEbbT6_jjT7_P12ihipStream_tbENKUlT_T0_SG_SL_E_clIS7_S7_SB_SB_EEDaSZ_S10_SG_SL_EUlSZ_E_NS1_11comp_targetILNS1_3genE9ELNS1_11target_archE1100ELNS1_3gpuE3ELNS1_3repE0EEENS1_47radix_sort_onesweep_sort_config_static_selectorELNS0_4arch9wavefront6targetE1EEEvSG_.numbered_sgpr, 0
	.set _ZN7rocprim17ROCPRIM_400000_NS6detail17trampoline_kernelINS0_14default_configENS1_35radix_sort_onesweep_config_selectorIilEEZZNS1_29radix_sort_onesweep_iterationIS3_Lb0EPiS7_N6thrust23THRUST_200600_302600_NS10device_ptrIlEESB_jNS0_19identity_decomposerENS1_16block_id_wrapperIjLb0EEEEE10hipError_tT1_PNSt15iterator_traitsISG_E10value_typeET2_T3_PNSH_ISM_E10value_typeET4_T5_PSR_SS_PNS1_23onesweep_lookback_stateEbbT6_jjT7_P12ihipStream_tbENKUlT_T0_SG_SL_E_clIS7_S7_SB_SB_EEDaSZ_S10_SG_SL_EUlSZ_E_NS1_11comp_targetILNS1_3genE9ELNS1_11target_archE1100ELNS1_3gpuE3ELNS1_3repE0EEENS1_47radix_sort_onesweep_sort_config_static_selectorELNS0_4arch9wavefront6targetE1EEEvSG_.num_named_barrier, 0
	.set _ZN7rocprim17ROCPRIM_400000_NS6detail17trampoline_kernelINS0_14default_configENS1_35radix_sort_onesweep_config_selectorIilEEZZNS1_29radix_sort_onesweep_iterationIS3_Lb0EPiS7_N6thrust23THRUST_200600_302600_NS10device_ptrIlEESB_jNS0_19identity_decomposerENS1_16block_id_wrapperIjLb0EEEEE10hipError_tT1_PNSt15iterator_traitsISG_E10value_typeET2_T3_PNSH_ISM_E10value_typeET4_T5_PSR_SS_PNS1_23onesweep_lookback_stateEbbT6_jjT7_P12ihipStream_tbENKUlT_T0_SG_SL_E_clIS7_S7_SB_SB_EEDaSZ_S10_SG_SL_EUlSZ_E_NS1_11comp_targetILNS1_3genE9ELNS1_11target_archE1100ELNS1_3gpuE3ELNS1_3repE0EEENS1_47radix_sort_onesweep_sort_config_static_selectorELNS0_4arch9wavefront6targetE1EEEvSG_.private_seg_size, 0
	.set _ZN7rocprim17ROCPRIM_400000_NS6detail17trampoline_kernelINS0_14default_configENS1_35radix_sort_onesweep_config_selectorIilEEZZNS1_29radix_sort_onesweep_iterationIS3_Lb0EPiS7_N6thrust23THRUST_200600_302600_NS10device_ptrIlEESB_jNS0_19identity_decomposerENS1_16block_id_wrapperIjLb0EEEEE10hipError_tT1_PNSt15iterator_traitsISG_E10value_typeET2_T3_PNSH_ISM_E10value_typeET4_T5_PSR_SS_PNS1_23onesweep_lookback_stateEbbT6_jjT7_P12ihipStream_tbENKUlT_T0_SG_SL_E_clIS7_S7_SB_SB_EEDaSZ_S10_SG_SL_EUlSZ_E_NS1_11comp_targetILNS1_3genE9ELNS1_11target_archE1100ELNS1_3gpuE3ELNS1_3repE0EEENS1_47radix_sort_onesweep_sort_config_static_selectorELNS0_4arch9wavefront6targetE1EEEvSG_.uses_vcc, 0
	.set _ZN7rocprim17ROCPRIM_400000_NS6detail17trampoline_kernelINS0_14default_configENS1_35radix_sort_onesweep_config_selectorIilEEZZNS1_29radix_sort_onesweep_iterationIS3_Lb0EPiS7_N6thrust23THRUST_200600_302600_NS10device_ptrIlEESB_jNS0_19identity_decomposerENS1_16block_id_wrapperIjLb0EEEEE10hipError_tT1_PNSt15iterator_traitsISG_E10value_typeET2_T3_PNSH_ISM_E10value_typeET4_T5_PSR_SS_PNS1_23onesweep_lookback_stateEbbT6_jjT7_P12ihipStream_tbENKUlT_T0_SG_SL_E_clIS7_S7_SB_SB_EEDaSZ_S10_SG_SL_EUlSZ_E_NS1_11comp_targetILNS1_3genE9ELNS1_11target_archE1100ELNS1_3gpuE3ELNS1_3repE0EEENS1_47radix_sort_onesweep_sort_config_static_selectorELNS0_4arch9wavefront6targetE1EEEvSG_.uses_flat_scratch, 0
	.set _ZN7rocprim17ROCPRIM_400000_NS6detail17trampoline_kernelINS0_14default_configENS1_35radix_sort_onesweep_config_selectorIilEEZZNS1_29radix_sort_onesweep_iterationIS3_Lb0EPiS7_N6thrust23THRUST_200600_302600_NS10device_ptrIlEESB_jNS0_19identity_decomposerENS1_16block_id_wrapperIjLb0EEEEE10hipError_tT1_PNSt15iterator_traitsISG_E10value_typeET2_T3_PNSH_ISM_E10value_typeET4_T5_PSR_SS_PNS1_23onesweep_lookback_stateEbbT6_jjT7_P12ihipStream_tbENKUlT_T0_SG_SL_E_clIS7_S7_SB_SB_EEDaSZ_S10_SG_SL_EUlSZ_E_NS1_11comp_targetILNS1_3genE9ELNS1_11target_archE1100ELNS1_3gpuE3ELNS1_3repE0EEENS1_47radix_sort_onesweep_sort_config_static_selectorELNS0_4arch9wavefront6targetE1EEEvSG_.has_dyn_sized_stack, 0
	.set _ZN7rocprim17ROCPRIM_400000_NS6detail17trampoline_kernelINS0_14default_configENS1_35radix_sort_onesweep_config_selectorIilEEZZNS1_29radix_sort_onesweep_iterationIS3_Lb0EPiS7_N6thrust23THRUST_200600_302600_NS10device_ptrIlEESB_jNS0_19identity_decomposerENS1_16block_id_wrapperIjLb0EEEEE10hipError_tT1_PNSt15iterator_traitsISG_E10value_typeET2_T3_PNSH_ISM_E10value_typeET4_T5_PSR_SS_PNS1_23onesweep_lookback_stateEbbT6_jjT7_P12ihipStream_tbENKUlT_T0_SG_SL_E_clIS7_S7_SB_SB_EEDaSZ_S10_SG_SL_EUlSZ_E_NS1_11comp_targetILNS1_3genE9ELNS1_11target_archE1100ELNS1_3gpuE3ELNS1_3repE0EEENS1_47radix_sort_onesweep_sort_config_static_selectorELNS0_4arch9wavefront6targetE1EEEvSG_.has_recursion, 0
	.set _ZN7rocprim17ROCPRIM_400000_NS6detail17trampoline_kernelINS0_14default_configENS1_35radix_sort_onesweep_config_selectorIilEEZZNS1_29radix_sort_onesweep_iterationIS3_Lb0EPiS7_N6thrust23THRUST_200600_302600_NS10device_ptrIlEESB_jNS0_19identity_decomposerENS1_16block_id_wrapperIjLb0EEEEE10hipError_tT1_PNSt15iterator_traitsISG_E10value_typeET2_T3_PNSH_ISM_E10value_typeET4_T5_PSR_SS_PNS1_23onesweep_lookback_stateEbbT6_jjT7_P12ihipStream_tbENKUlT_T0_SG_SL_E_clIS7_S7_SB_SB_EEDaSZ_S10_SG_SL_EUlSZ_E_NS1_11comp_targetILNS1_3genE9ELNS1_11target_archE1100ELNS1_3gpuE3ELNS1_3repE0EEENS1_47radix_sort_onesweep_sort_config_static_selectorELNS0_4arch9wavefront6targetE1EEEvSG_.has_indirect_call, 0
	.section	.AMDGPU.csdata,"",@progbits
; Kernel info:
; codeLenInByte = 0
; TotalNumSgprs: 4
; NumVgprs: 0
; ScratchSize: 0
; MemoryBound: 0
; FloatMode: 240
; IeeeMode: 1
; LDSByteSize: 0 bytes/workgroup (compile time only)
; SGPRBlocks: 0
; VGPRBlocks: 0
; NumSGPRsForWavesPerEU: 4
; NumVGPRsForWavesPerEU: 1
; Occupancy: 10
; WaveLimiterHint : 0
; COMPUTE_PGM_RSRC2:SCRATCH_EN: 0
; COMPUTE_PGM_RSRC2:USER_SGPR: 6
; COMPUTE_PGM_RSRC2:TRAP_HANDLER: 0
; COMPUTE_PGM_RSRC2:TGID_X_EN: 1
; COMPUTE_PGM_RSRC2:TGID_Y_EN: 0
; COMPUTE_PGM_RSRC2:TGID_Z_EN: 0
; COMPUTE_PGM_RSRC2:TIDIG_COMP_CNT: 0
	.section	.text._ZN7rocprim17ROCPRIM_400000_NS6detail17trampoline_kernelINS0_14default_configENS1_35radix_sort_onesweep_config_selectorIilEEZZNS1_29radix_sort_onesweep_iterationIS3_Lb0EPiS7_N6thrust23THRUST_200600_302600_NS10device_ptrIlEESB_jNS0_19identity_decomposerENS1_16block_id_wrapperIjLb0EEEEE10hipError_tT1_PNSt15iterator_traitsISG_E10value_typeET2_T3_PNSH_ISM_E10value_typeET4_T5_PSR_SS_PNS1_23onesweep_lookback_stateEbbT6_jjT7_P12ihipStream_tbENKUlT_T0_SG_SL_E_clIS7_S7_SB_SB_EEDaSZ_S10_SG_SL_EUlSZ_E_NS1_11comp_targetILNS1_3genE8ELNS1_11target_archE1030ELNS1_3gpuE2ELNS1_3repE0EEENS1_47radix_sort_onesweep_sort_config_static_selectorELNS0_4arch9wavefront6targetE1EEEvSG_,"axG",@progbits,_ZN7rocprim17ROCPRIM_400000_NS6detail17trampoline_kernelINS0_14default_configENS1_35radix_sort_onesweep_config_selectorIilEEZZNS1_29radix_sort_onesweep_iterationIS3_Lb0EPiS7_N6thrust23THRUST_200600_302600_NS10device_ptrIlEESB_jNS0_19identity_decomposerENS1_16block_id_wrapperIjLb0EEEEE10hipError_tT1_PNSt15iterator_traitsISG_E10value_typeET2_T3_PNSH_ISM_E10value_typeET4_T5_PSR_SS_PNS1_23onesweep_lookback_stateEbbT6_jjT7_P12ihipStream_tbENKUlT_T0_SG_SL_E_clIS7_S7_SB_SB_EEDaSZ_S10_SG_SL_EUlSZ_E_NS1_11comp_targetILNS1_3genE8ELNS1_11target_archE1030ELNS1_3gpuE2ELNS1_3repE0EEENS1_47radix_sort_onesweep_sort_config_static_selectorELNS0_4arch9wavefront6targetE1EEEvSG_,comdat
	.protected	_ZN7rocprim17ROCPRIM_400000_NS6detail17trampoline_kernelINS0_14default_configENS1_35radix_sort_onesweep_config_selectorIilEEZZNS1_29radix_sort_onesweep_iterationIS3_Lb0EPiS7_N6thrust23THRUST_200600_302600_NS10device_ptrIlEESB_jNS0_19identity_decomposerENS1_16block_id_wrapperIjLb0EEEEE10hipError_tT1_PNSt15iterator_traitsISG_E10value_typeET2_T3_PNSH_ISM_E10value_typeET4_T5_PSR_SS_PNS1_23onesweep_lookback_stateEbbT6_jjT7_P12ihipStream_tbENKUlT_T0_SG_SL_E_clIS7_S7_SB_SB_EEDaSZ_S10_SG_SL_EUlSZ_E_NS1_11comp_targetILNS1_3genE8ELNS1_11target_archE1030ELNS1_3gpuE2ELNS1_3repE0EEENS1_47radix_sort_onesweep_sort_config_static_selectorELNS0_4arch9wavefront6targetE1EEEvSG_ ; -- Begin function _ZN7rocprim17ROCPRIM_400000_NS6detail17trampoline_kernelINS0_14default_configENS1_35radix_sort_onesweep_config_selectorIilEEZZNS1_29radix_sort_onesweep_iterationIS3_Lb0EPiS7_N6thrust23THRUST_200600_302600_NS10device_ptrIlEESB_jNS0_19identity_decomposerENS1_16block_id_wrapperIjLb0EEEEE10hipError_tT1_PNSt15iterator_traitsISG_E10value_typeET2_T3_PNSH_ISM_E10value_typeET4_T5_PSR_SS_PNS1_23onesweep_lookback_stateEbbT6_jjT7_P12ihipStream_tbENKUlT_T0_SG_SL_E_clIS7_S7_SB_SB_EEDaSZ_S10_SG_SL_EUlSZ_E_NS1_11comp_targetILNS1_3genE8ELNS1_11target_archE1030ELNS1_3gpuE2ELNS1_3repE0EEENS1_47radix_sort_onesweep_sort_config_static_selectorELNS0_4arch9wavefront6targetE1EEEvSG_
	.globl	_ZN7rocprim17ROCPRIM_400000_NS6detail17trampoline_kernelINS0_14default_configENS1_35radix_sort_onesweep_config_selectorIilEEZZNS1_29radix_sort_onesweep_iterationIS3_Lb0EPiS7_N6thrust23THRUST_200600_302600_NS10device_ptrIlEESB_jNS0_19identity_decomposerENS1_16block_id_wrapperIjLb0EEEEE10hipError_tT1_PNSt15iterator_traitsISG_E10value_typeET2_T3_PNSH_ISM_E10value_typeET4_T5_PSR_SS_PNS1_23onesweep_lookback_stateEbbT6_jjT7_P12ihipStream_tbENKUlT_T0_SG_SL_E_clIS7_S7_SB_SB_EEDaSZ_S10_SG_SL_EUlSZ_E_NS1_11comp_targetILNS1_3genE8ELNS1_11target_archE1030ELNS1_3gpuE2ELNS1_3repE0EEENS1_47radix_sort_onesweep_sort_config_static_selectorELNS0_4arch9wavefront6targetE1EEEvSG_
	.p2align	8
	.type	_ZN7rocprim17ROCPRIM_400000_NS6detail17trampoline_kernelINS0_14default_configENS1_35radix_sort_onesweep_config_selectorIilEEZZNS1_29radix_sort_onesweep_iterationIS3_Lb0EPiS7_N6thrust23THRUST_200600_302600_NS10device_ptrIlEESB_jNS0_19identity_decomposerENS1_16block_id_wrapperIjLb0EEEEE10hipError_tT1_PNSt15iterator_traitsISG_E10value_typeET2_T3_PNSH_ISM_E10value_typeET4_T5_PSR_SS_PNS1_23onesweep_lookback_stateEbbT6_jjT7_P12ihipStream_tbENKUlT_T0_SG_SL_E_clIS7_S7_SB_SB_EEDaSZ_S10_SG_SL_EUlSZ_E_NS1_11comp_targetILNS1_3genE8ELNS1_11target_archE1030ELNS1_3gpuE2ELNS1_3repE0EEENS1_47radix_sort_onesweep_sort_config_static_selectorELNS0_4arch9wavefront6targetE1EEEvSG_,@function
_ZN7rocprim17ROCPRIM_400000_NS6detail17trampoline_kernelINS0_14default_configENS1_35radix_sort_onesweep_config_selectorIilEEZZNS1_29radix_sort_onesweep_iterationIS3_Lb0EPiS7_N6thrust23THRUST_200600_302600_NS10device_ptrIlEESB_jNS0_19identity_decomposerENS1_16block_id_wrapperIjLb0EEEEE10hipError_tT1_PNSt15iterator_traitsISG_E10value_typeET2_T3_PNSH_ISM_E10value_typeET4_T5_PSR_SS_PNS1_23onesweep_lookback_stateEbbT6_jjT7_P12ihipStream_tbENKUlT_T0_SG_SL_E_clIS7_S7_SB_SB_EEDaSZ_S10_SG_SL_EUlSZ_E_NS1_11comp_targetILNS1_3genE8ELNS1_11target_archE1030ELNS1_3gpuE2ELNS1_3repE0EEENS1_47radix_sort_onesweep_sort_config_static_selectorELNS0_4arch9wavefront6targetE1EEEvSG_: ; @_ZN7rocprim17ROCPRIM_400000_NS6detail17trampoline_kernelINS0_14default_configENS1_35radix_sort_onesweep_config_selectorIilEEZZNS1_29radix_sort_onesweep_iterationIS3_Lb0EPiS7_N6thrust23THRUST_200600_302600_NS10device_ptrIlEESB_jNS0_19identity_decomposerENS1_16block_id_wrapperIjLb0EEEEE10hipError_tT1_PNSt15iterator_traitsISG_E10value_typeET2_T3_PNSH_ISM_E10value_typeET4_T5_PSR_SS_PNS1_23onesweep_lookback_stateEbbT6_jjT7_P12ihipStream_tbENKUlT_T0_SG_SL_E_clIS7_S7_SB_SB_EEDaSZ_S10_SG_SL_EUlSZ_E_NS1_11comp_targetILNS1_3genE8ELNS1_11target_archE1030ELNS1_3gpuE2ELNS1_3repE0EEENS1_47radix_sort_onesweep_sort_config_static_selectorELNS0_4arch9wavefront6targetE1EEEvSG_
; %bb.0:
	.section	.rodata,"a",@progbits
	.p2align	6, 0x0
	.amdhsa_kernel _ZN7rocprim17ROCPRIM_400000_NS6detail17trampoline_kernelINS0_14default_configENS1_35radix_sort_onesweep_config_selectorIilEEZZNS1_29radix_sort_onesweep_iterationIS3_Lb0EPiS7_N6thrust23THRUST_200600_302600_NS10device_ptrIlEESB_jNS0_19identity_decomposerENS1_16block_id_wrapperIjLb0EEEEE10hipError_tT1_PNSt15iterator_traitsISG_E10value_typeET2_T3_PNSH_ISM_E10value_typeET4_T5_PSR_SS_PNS1_23onesweep_lookback_stateEbbT6_jjT7_P12ihipStream_tbENKUlT_T0_SG_SL_E_clIS7_S7_SB_SB_EEDaSZ_S10_SG_SL_EUlSZ_E_NS1_11comp_targetILNS1_3genE8ELNS1_11target_archE1030ELNS1_3gpuE2ELNS1_3repE0EEENS1_47radix_sort_onesweep_sort_config_static_selectorELNS0_4arch9wavefront6targetE1EEEvSG_
		.amdhsa_group_segment_fixed_size 0
		.amdhsa_private_segment_fixed_size 0
		.amdhsa_kernarg_size 88
		.amdhsa_user_sgpr_count 6
		.amdhsa_user_sgpr_private_segment_buffer 1
		.amdhsa_user_sgpr_dispatch_ptr 0
		.amdhsa_user_sgpr_queue_ptr 0
		.amdhsa_user_sgpr_kernarg_segment_ptr 1
		.amdhsa_user_sgpr_dispatch_id 0
		.amdhsa_user_sgpr_flat_scratch_init 0
		.amdhsa_user_sgpr_private_segment_size 0
		.amdhsa_uses_dynamic_stack 0
		.amdhsa_system_sgpr_private_segment_wavefront_offset 0
		.amdhsa_system_sgpr_workgroup_id_x 1
		.amdhsa_system_sgpr_workgroup_id_y 0
		.amdhsa_system_sgpr_workgroup_id_z 0
		.amdhsa_system_sgpr_workgroup_info 0
		.amdhsa_system_vgpr_workitem_id 0
		.amdhsa_next_free_vgpr 1
		.amdhsa_next_free_sgpr 0
		.amdhsa_reserve_vcc 0
		.amdhsa_reserve_flat_scratch 0
		.amdhsa_float_round_mode_32 0
		.amdhsa_float_round_mode_16_64 0
		.amdhsa_float_denorm_mode_32 3
		.amdhsa_float_denorm_mode_16_64 3
		.amdhsa_dx10_clamp 1
		.amdhsa_ieee_mode 1
		.amdhsa_fp16_overflow 0
		.amdhsa_exception_fp_ieee_invalid_op 0
		.amdhsa_exception_fp_denorm_src 0
		.amdhsa_exception_fp_ieee_div_zero 0
		.amdhsa_exception_fp_ieee_overflow 0
		.amdhsa_exception_fp_ieee_underflow 0
		.amdhsa_exception_fp_ieee_inexact 0
		.amdhsa_exception_int_div_zero 0
	.end_amdhsa_kernel
	.section	.text._ZN7rocprim17ROCPRIM_400000_NS6detail17trampoline_kernelINS0_14default_configENS1_35radix_sort_onesweep_config_selectorIilEEZZNS1_29radix_sort_onesweep_iterationIS3_Lb0EPiS7_N6thrust23THRUST_200600_302600_NS10device_ptrIlEESB_jNS0_19identity_decomposerENS1_16block_id_wrapperIjLb0EEEEE10hipError_tT1_PNSt15iterator_traitsISG_E10value_typeET2_T3_PNSH_ISM_E10value_typeET4_T5_PSR_SS_PNS1_23onesweep_lookback_stateEbbT6_jjT7_P12ihipStream_tbENKUlT_T0_SG_SL_E_clIS7_S7_SB_SB_EEDaSZ_S10_SG_SL_EUlSZ_E_NS1_11comp_targetILNS1_3genE8ELNS1_11target_archE1030ELNS1_3gpuE2ELNS1_3repE0EEENS1_47radix_sort_onesweep_sort_config_static_selectorELNS0_4arch9wavefront6targetE1EEEvSG_,"axG",@progbits,_ZN7rocprim17ROCPRIM_400000_NS6detail17trampoline_kernelINS0_14default_configENS1_35radix_sort_onesweep_config_selectorIilEEZZNS1_29radix_sort_onesweep_iterationIS3_Lb0EPiS7_N6thrust23THRUST_200600_302600_NS10device_ptrIlEESB_jNS0_19identity_decomposerENS1_16block_id_wrapperIjLb0EEEEE10hipError_tT1_PNSt15iterator_traitsISG_E10value_typeET2_T3_PNSH_ISM_E10value_typeET4_T5_PSR_SS_PNS1_23onesweep_lookback_stateEbbT6_jjT7_P12ihipStream_tbENKUlT_T0_SG_SL_E_clIS7_S7_SB_SB_EEDaSZ_S10_SG_SL_EUlSZ_E_NS1_11comp_targetILNS1_3genE8ELNS1_11target_archE1030ELNS1_3gpuE2ELNS1_3repE0EEENS1_47radix_sort_onesweep_sort_config_static_selectorELNS0_4arch9wavefront6targetE1EEEvSG_,comdat
.Lfunc_end901:
	.size	_ZN7rocprim17ROCPRIM_400000_NS6detail17trampoline_kernelINS0_14default_configENS1_35radix_sort_onesweep_config_selectorIilEEZZNS1_29radix_sort_onesweep_iterationIS3_Lb0EPiS7_N6thrust23THRUST_200600_302600_NS10device_ptrIlEESB_jNS0_19identity_decomposerENS1_16block_id_wrapperIjLb0EEEEE10hipError_tT1_PNSt15iterator_traitsISG_E10value_typeET2_T3_PNSH_ISM_E10value_typeET4_T5_PSR_SS_PNS1_23onesweep_lookback_stateEbbT6_jjT7_P12ihipStream_tbENKUlT_T0_SG_SL_E_clIS7_S7_SB_SB_EEDaSZ_S10_SG_SL_EUlSZ_E_NS1_11comp_targetILNS1_3genE8ELNS1_11target_archE1030ELNS1_3gpuE2ELNS1_3repE0EEENS1_47radix_sort_onesweep_sort_config_static_selectorELNS0_4arch9wavefront6targetE1EEEvSG_, .Lfunc_end901-_ZN7rocprim17ROCPRIM_400000_NS6detail17trampoline_kernelINS0_14default_configENS1_35radix_sort_onesweep_config_selectorIilEEZZNS1_29radix_sort_onesweep_iterationIS3_Lb0EPiS7_N6thrust23THRUST_200600_302600_NS10device_ptrIlEESB_jNS0_19identity_decomposerENS1_16block_id_wrapperIjLb0EEEEE10hipError_tT1_PNSt15iterator_traitsISG_E10value_typeET2_T3_PNSH_ISM_E10value_typeET4_T5_PSR_SS_PNS1_23onesweep_lookback_stateEbbT6_jjT7_P12ihipStream_tbENKUlT_T0_SG_SL_E_clIS7_S7_SB_SB_EEDaSZ_S10_SG_SL_EUlSZ_E_NS1_11comp_targetILNS1_3genE8ELNS1_11target_archE1030ELNS1_3gpuE2ELNS1_3repE0EEENS1_47radix_sort_onesweep_sort_config_static_selectorELNS0_4arch9wavefront6targetE1EEEvSG_
                                        ; -- End function
	.set _ZN7rocprim17ROCPRIM_400000_NS6detail17trampoline_kernelINS0_14default_configENS1_35radix_sort_onesweep_config_selectorIilEEZZNS1_29radix_sort_onesweep_iterationIS3_Lb0EPiS7_N6thrust23THRUST_200600_302600_NS10device_ptrIlEESB_jNS0_19identity_decomposerENS1_16block_id_wrapperIjLb0EEEEE10hipError_tT1_PNSt15iterator_traitsISG_E10value_typeET2_T3_PNSH_ISM_E10value_typeET4_T5_PSR_SS_PNS1_23onesweep_lookback_stateEbbT6_jjT7_P12ihipStream_tbENKUlT_T0_SG_SL_E_clIS7_S7_SB_SB_EEDaSZ_S10_SG_SL_EUlSZ_E_NS1_11comp_targetILNS1_3genE8ELNS1_11target_archE1030ELNS1_3gpuE2ELNS1_3repE0EEENS1_47radix_sort_onesweep_sort_config_static_selectorELNS0_4arch9wavefront6targetE1EEEvSG_.num_vgpr, 0
	.set _ZN7rocprim17ROCPRIM_400000_NS6detail17trampoline_kernelINS0_14default_configENS1_35radix_sort_onesweep_config_selectorIilEEZZNS1_29radix_sort_onesweep_iterationIS3_Lb0EPiS7_N6thrust23THRUST_200600_302600_NS10device_ptrIlEESB_jNS0_19identity_decomposerENS1_16block_id_wrapperIjLb0EEEEE10hipError_tT1_PNSt15iterator_traitsISG_E10value_typeET2_T3_PNSH_ISM_E10value_typeET4_T5_PSR_SS_PNS1_23onesweep_lookback_stateEbbT6_jjT7_P12ihipStream_tbENKUlT_T0_SG_SL_E_clIS7_S7_SB_SB_EEDaSZ_S10_SG_SL_EUlSZ_E_NS1_11comp_targetILNS1_3genE8ELNS1_11target_archE1030ELNS1_3gpuE2ELNS1_3repE0EEENS1_47radix_sort_onesweep_sort_config_static_selectorELNS0_4arch9wavefront6targetE1EEEvSG_.num_agpr, 0
	.set _ZN7rocprim17ROCPRIM_400000_NS6detail17trampoline_kernelINS0_14default_configENS1_35radix_sort_onesweep_config_selectorIilEEZZNS1_29radix_sort_onesweep_iterationIS3_Lb0EPiS7_N6thrust23THRUST_200600_302600_NS10device_ptrIlEESB_jNS0_19identity_decomposerENS1_16block_id_wrapperIjLb0EEEEE10hipError_tT1_PNSt15iterator_traitsISG_E10value_typeET2_T3_PNSH_ISM_E10value_typeET4_T5_PSR_SS_PNS1_23onesweep_lookback_stateEbbT6_jjT7_P12ihipStream_tbENKUlT_T0_SG_SL_E_clIS7_S7_SB_SB_EEDaSZ_S10_SG_SL_EUlSZ_E_NS1_11comp_targetILNS1_3genE8ELNS1_11target_archE1030ELNS1_3gpuE2ELNS1_3repE0EEENS1_47radix_sort_onesweep_sort_config_static_selectorELNS0_4arch9wavefront6targetE1EEEvSG_.numbered_sgpr, 0
	.set _ZN7rocprim17ROCPRIM_400000_NS6detail17trampoline_kernelINS0_14default_configENS1_35radix_sort_onesweep_config_selectorIilEEZZNS1_29radix_sort_onesweep_iterationIS3_Lb0EPiS7_N6thrust23THRUST_200600_302600_NS10device_ptrIlEESB_jNS0_19identity_decomposerENS1_16block_id_wrapperIjLb0EEEEE10hipError_tT1_PNSt15iterator_traitsISG_E10value_typeET2_T3_PNSH_ISM_E10value_typeET4_T5_PSR_SS_PNS1_23onesweep_lookback_stateEbbT6_jjT7_P12ihipStream_tbENKUlT_T0_SG_SL_E_clIS7_S7_SB_SB_EEDaSZ_S10_SG_SL_EUlSZ_E_NS1_11comp_targetILNS1_3genE8ELNS1_11target_archE1030ELNS1_3gpuE2ELNS1_3repE0EEENS1_47radix_sort_onesweep_sort_config_static_selectorELNS0_4arch9wavefront6targetE1EEEvSG_.num_named_barrier, 0
	.set _ZN7rocprim17ROCPRIM_400000_NS6detail17trampoline_kernelINS0_14default_configENS1_35radix_sort_onesweep_config_selectorIilEEZZNS1_29radix_sort_onesweep_iterationIS3_Lb0EPiS7_N6thrust23THRUST_200600_302600_NS10device_ptrIlEESB_jNS0_19identity_decomposerENS1_16block_id_wrapperIjLb0EEEEE10hipError_tT1_PNSt15iterator_traitsISG_E10value_typeET2_T3_PNSH_ISM_E10value_typeET4_T5_PSR_SS_PNS1_23onesweep_lookback_stateEbbT6_jjT7_P12ihipStream_tbENKUlT_T0_SG_SL_E_clIS7_S7_SB_SB_EEDaSZ_S10_SG_SL_EUlSZ_E_NS1_11comp_targetILNS1_3genE8ELNS1_11target_archE1030ELNS1_3gpuE2ELNS1_3repE0EEENS1_47radix_sort_onesweep_sort_config_static_selectorELNS0_4arch9wavefront6targetE1EEEvSG_.private_seg_size, 0
	.set _ZN7rocprim17ROCPRIM_400000_NS6detail17trampoline_kernelINS0_14default_configENS1_35radix_sort_onesweep_config_selectorIilEEZZNS1_29radix_sort_onesweep_iterationIS3_Lb0EPiS7_N6thrust23THRUST_200600_302600_NS10device_ptrIlEESB_jNS0_19identity_decomposerENS1_16block_id_wrapperIjLb0EEEEE10hipError_tT1_PNSt15iterator_traitsISG_E10value_typeET2_T3_PNSH_ISM_E10value_typeET4_T5_PSR_SS_PNS1_23onesweep_lookback_stateEbbT6_jjT7_P12ihipStream_tbENKUlT_T0_SG_SL_E_clIS7_S7_SB_SB_EEDaSZ_S10_SG_SL_EUlSZ_E_NS1_11comp_targetILNS1_3genE8ELNS1_11target_archE1030ELNS1_3gpuE2ELNS1_3repE0EEENS1_47radix_sort_onesweep_sort_config_static_selectorELNS0_4arch9wavefront6targetE1EEEvSG_.uses_vcc, 0
	.set _ZN7rocprim17ROCPRIM_400000_NS6detail17trampoline_kernelINS0_14default_configENS1_35radix_sort_onesweep_config_selectorIilEEZZNS1_29radix_sort_onesweep_iterationIS3_Lb0EPiS7_N6thrust23THRUST_200600_302600_NS10device_ptrIlEESB_jNS0_19identity_decomposerENS1_16block_id_wrapperIjLb0EEEEE10hipError_tT1_PNSt15iterator_traitsISG_E10value_typeET2_T3_PNSH_ISM_E10value_typeET4_T5_PSR_SS_PNS1_23onesweep_lookback_stateEbbT6_jjT7_P12ihipStream_tbENKUlT_T0_SG_SL_E_clIS7_S7_SB_SB_EEDaSZ_S10_SG_SL_EUlSZ_E_NS1_11comp_targetILNS1_3genE8ELNS1_11target_archE1030ELNS1_3gpuE2ELNS1_3repE0EEENS1_47radix_sort_onesweep_sort_config_static_selectorELNS0_4arch9wavefront6targetE1EEEvSG_.uses_flat_scratch, 0
	.set _ZN7rocprim17ROCPRIM_400000_NS6detail17trampoline_kernelINS0_14default_configENS1_35radix_sort_onesweep_config_selectorIilEEZZNS1_29radix_sort_onesweep_iterationIS3_Lb0EPiS7_N6thrust23THRUST_200600_302600_NS10device_ptrIlEESB_jNS0_19identity_decomposerENS1_16block_id_wrapperIjLb0EEEEE10hipError_tT1_PNSt15iterator_traitsISG_E10value_typeET2_T3_PNSH_ISM_E10value_typeET4_T5_PSR_SS_PNS1_23onesweep_lookback_stateEbbT6_jjT7_P12ihipStream_tbENKUlT_T0_SG_SL_E_clIS7_S7_SB_SB_EEDaSZ_S10_SG_SL_EUlSZ_E_NS1_11comp_targetILNS1_3genE8ELNS1_11target_archE1030ELNS1_3gpuE2ELNS1_3repE0EEENS1_47radix_sort_onesweep_sort_config_static_selectorELNS0_4arch9wavefront6targetE1EEEvSG_.has_dyn_sized_stack, 0
	.set _ZN7rocprim17ROCPRIM_400000_NS6detail17trampoline_kernelINS0_14default_configENS1_35radix_sort_onesweep_config_selectorIilEEZZNS1_29radix_sort_onesweep_iterationIS3_Lb0EPiS7_N6thrust23THRUST_200600_302600_NS10device_ptrIlEESB_jNS0_19identity_decomposerENS1_16block_id_wrapperIjLb0EEEEE10hipError_tT1_PNSt15iterator_traitsISG_E10value_typeET2_T3_PNSH_ISM_E10value_typeET4_T5_PSR_SS_PNS1_23onesweep_lookback_stateEbbT6_jjT7_P12ihipStream_tbENKUlT_T0_SG_SL_E_clIS7_S7_SB_SB_EEDaSZ_S10_SG_SL_EUlSZ_E_NS1_11comp_targetILNS1_3genE8ELNS1_11target_archE1030ELNS1_3gpuE2ELNS1_3repE0EEENS1_47radix_sort_onesweep_sort_config_static_selectorELNS0_4arch9wavefront6targetE1EEEvSG_.has_recursion, 0
	.set _ZN7rocprim17ROCPRIM_400000_NS6detail17trampoline_kernelINS0_14default_configENS1_35radix_sort_onesweep_config_selectorIilEEZZNS1_29radix_sort_onesweep_iterationIS3_Lb0EPiS7_N6thrust23THRUST_200600_302600_NS10device_ptrIlEESB_jNS0_19identity_decomposerENS1_16block_id_wrapperIjLb0EEEEE10hipError_tT1_PNSt15iterator_traitsISG_E10value_typeET2_T3_PNSH_ISM_E10value_typeET4_T5_PSR_SS_PNS1_23onesweep_lookback_stateEbbT6_jjT7_P12ihipStream_tbENKUlT_T0_SG_SL_E_clIS7_S7_SB_SB_EEDaSZ_S10_SG_SL_EUlSZ_E_NS1_11comp_targetILNS1_3genE8ELNS1_11target_archE1030ELNS1_3gpuE2ELNS1_3repE0EEENS1_47radix_sort_onesweep_sort_config_static_selectorELNS0_4arch9wavefront6targetE1EEEvSG_.has_indirect_call, 0
	.section	.AMDGPU.csdata,"",@progbits
; Kernel info:
; codeLenInByte = 0
; TotalNumSgprs: 4
; NumVgprs: 0
; ScratchSize: 0
; MemoryBound: 0
; FloatMode: 240
; IeeeMode: 1
; LDSByteSize: 0 bytes/workgroup (compile time only)
; SGPRBlocks: 0
; VGPRBlocks: 0
; NumSGPRsForWavesPerEU: 4
; NumVGPRsForWavesPerEU: 1
; Occupancy: 10
; WaveLimiterHint : 0
; COMPUTE_PGM_RSRC2:SCRATCH_EN: 0
; COMPUTE_PGM_RSRC2:USER_SGPR: 6
; COMPUTE_PGM_RSRC2:TRAP_HANDLER: 0
; COMPUTE_PGM_RSRC2:TGID_X_EN: 1
; COMPUTE_PGM_RSRC2:TGID_Y_EN: 0
; COMPUTE_PGM_RSRC2:TGID_Z_EN: 0
; COMPUTE_PGM_RSRC2:TIDIG_COMP_CNT: 0
	.section	.text._ZN7rocprim17ROCPRIM_400000_NS6detail17trampoline_kernelINS0_14default_configENS1_35radix_sort_onesweep_config_selectorIilEEZZNS1_29radix_sort_onesweep_iterationIS3_Lb0EPiS7_N6thrust23THRUST_200600_302600_NS10device_ptrIlEESB_jNS0_19identity_decomposerENS1_16block_id_wrapperIjLb0EEEEE10hipError_tT1_PNSt15iterator_traitsISG_E10value_typeET2_T3_PNSH_ISM_E10value_typeET4_T5_PSR_SS_PNS1_23onesweep_lookback_stateEbbT6_jjT7_P12ihipStream_tbENKUlT_T0_SG_SL_E_clIS7_S7_SB_PlEEDaSZ_S10_SG_SL_EUlSZ_E_NS1_11comp_targetILNS1_3genE0ELNS1_11target_archE4294967295ELNS1_3gpuE0ELNS1_3repE0EEENS1_47radix_sort_onesweep_sort_config_static_selectorELNS0_4arch9wavefront6targetE1EEEvSG_,"axG",@progbits,_ZN7rocprim17ROCPRIM_400000_NS6detail17trampoline_kernelINS0_14default_configENS1_35radix_sort_onesweep_config_selectorIilEEZZNS1_29radix_sort_onesweep_iterationIS3_Lb0EPiS7_N6thrust23THRUST_200600_302600_NS10device_ptrIlEESB_jNS0_19identity_decomposerENS1_16block_id_wrapperIjLb0EEEEE10hipError_tT1_PNSt15iterator_traitsISG_E10value_typeET2_T3_PNSH_ISM_E10value_typeET4_T5_PSR_SS_PNS1_23onesweep_lookback_stateEbbT6_jjT7_P12ihipStream_tbENKUlT_T0_SG_SL_E_clIS7_S7_SB_PlEEDaSZ_S10_SG_SL_EUlSZ_E_NS1_11comp_targetILNS1_3genE0ELNS1_11target_archE4294967295ELNS1_3gpuE0ELNS1_3repE0EEENS1_47radix_sort_onesweep_sort_config_static_selectorELNS0_4arch9wavefront6targetE1EEEvSG_,comdat
	.protected	_ZN7rocprim17ROCPRIM_400000_NS6detail17trampoline_kernelINS0_14default_configENS1_35radix_sort_onesweep_config_selectorIilEEZZNS1_29radix_sort_onesweep_iterationIS3_Lb0EPiS7_N6thrust23THRUST_200600_302600_NS10device_ptrIlEESB_jNS0_19identity_decomposerENS1_16block_id_wrapperIjLb0EEEEE10hipError_tT1_PNSt15iterator_traitsISG_E10value_typeET2_T3_PNSH_ISM_E10value_typeET4_T5_PSR_SS_PNS1_23onesweep_lookback_stateEbbT6_jjT7_P12ihipStream_tbENKUlT_T0_SG_SL_E_clIS7_S7_SB_PlEEDaSZ_S10_SG_SL_EUlSZ_E_NS1_11comp_targetILNS1_3genE0ELNS1_11target_archE4294967295ELNS1_3gpuE0ELNS1_3repE0EEENS1_47radix_sort_onesweep_sort_config_static_selectorELNS0_4arch9wavefront6targetE1EEEvSG_ ; -- Begin function _ZN7rocprim17ROCPRIM_400000_NS6detail17trampoline_kernelINS0_14default_configENS1_35radix_sort_onesweep_config_selectorIilEEZZNS1_29radix_sort_onesweep_iterationIS3_Lb0EPiS7_N6thrust23THRUST_200600_302600_NS10device_ptrIlEESB_jNS0_19identity_decomposerENS1_16block_id_wrapperIjLb0EEEEE10hipError_tT1_PNSt15iterator_traitsISG_E10value_typeET2_T3_PNSH_ISM_E10value_typeET4_T5_PSR_SS_PNS1_23onesweep_lookback_stateEbbT6_jjT7_P12ihipStream_tbENKUlT_T0_SG_SL_E_clIS7_S7_SB_PlEEDaSZ_S10_SG_SL_EUlSZ_E_NS1_11comp_targetILNS1_3genE0ELNS1_11target_archE4294967295ELNS1_3gpuE0ELNS1_3repE0EEENS1_47radix_sort_onesweep_sort_config_static_selectorELNS0_4arch9wavefront6targetE1EEEvSG_
	.globl	_ZN7rocprim17ROCPRIM_400000_NS6detail17trampoline_kernelINS0_14default_configENS1_35radix_sort_onesweep_config_selectorIilEEZZNS1_29radix_sort_onesweep_iterationIS3_Lb0EPiS7_N6thrust23THRUST_200600_302600_NS10device_ptrIlEESB_jNS0_19identity_decomposerENS1_16block_id_wrapperIjLb0EEEEE10hipError_tT1_PNSt15iterator_traitsISG_E10value_typeET2_T3_PNSH_ISM_E10value_typeET4_T5_PSR_SS_PNS1_23onesweep_lookback_stateEbbT6_jjT7_P12ihipStream_tbENKUlT_T0_SG_SL_E_clIS7_S7_SB_PlEEDaSZ_S10_SG_SL_EUlSZ_E_NS1_11comp_targetILNS1_3genE0ELNS1_11target_archE4294967295ELNS1_3gpuE0ELNS1_3repE0EEENS1_47radix_sort_onesweep_sort_config_static_selectorELNS0_4arch9wavefront6targetE1EEEvSG_
	.p2align	8
	.type	_ZN7rocprim17ROCPRIM_400000_NS6detail17trampoline_kernelINS0_14default_configENS1_35radix_sort_onesweep_config_selectorIilEEZZNS1_29radix_sort_onesweep_iterationIS3_Lb0EPiS7_N6thrust23THRUST_200600_302600_NS10device_ptrIlEESB_jNS0_19identity_decomposerENS1_16block_id_wrapperIjLb0EEEEE10hipError_tT1_PNSt15iterator_traitsISG_E10value_typeET2_T3_PNSH_ISM_E10value_typeET4_T5_PSR_SS_PNS1_23onesweep_lookback_stateEbbT6_jjT7_P12ihipStream_tbENKUlT_T0_SG_SL_E_clIS7_S7_SB_PlEEDaSZ_S10_SG_SL_EUlSZ_E_NS1_11comp_targetILNS1_3genE0ELNS1_11target_archE4294967295ELNS1_3gpuE0ELNS1_3repE0EEENS1_47radix_sort_onesweep_sort_config_static_selectorELNS0_4arch9wavefront6targetE1EEEvSG_,@function
_ZN7rocprim17ROCPRIM_400000_NS6detail17trampoline_kernelINS0_14default_configENS1_35radix_sort_onesweep_config_selectorIilEEZZNS1_29radix_sort_onesweep_iterationIS3_Lb0EPiS7_N6thrust23THRUST_200600_302600_NS10device_ptrIlEESB_jNS0_19identity_decomposerENS1_16block_id_wrapperIjLb0EEEEE10hipError_tT1_PNSt15iterator_traitsISG_E10value_typeET2_T3_PNSH_ISM_E10value_typeET4_T5_PSR_SS_PNS1_23onesweep_lookback_stateEbbT6_jjT7_P12ihipStream_tbENKUlT_T0_SG_SL_E_clIS7_S7_SB_PlEEDaSZ_S10_SG_SL_EUlSZ_E_NS1_11comp_targetILNS1_3genE0ELNS1_11target_archE4294967295ELNS1_3gpuE0ELNS1_3repE0EEENS1_47radix_sort_onesweep_sort_config_static_selectorELNS0_4arch9wavefront6targetE1EEEvSG_: ; @_ZN7rocprim17ROCPRIM_400000_NS6detail17trampoline_kernelINS0_14default_configENS1_35radix_sort_onesweep_config_selectorIilEEZZNS1_29radix_sort_onesweep_iterationIS3_Lb0EPiS7_N6thrust23THRUST_200600_302600_NS10device_ptrIlEESB_jNS0_19identity_decomposerENS1_16block_id_wrapperIjLb0EEEEE10hipError_tT1_PNSt15iterator_traitsISG_E10value_typeET2_T3_PNSH_ISM_E10value_typeET4_T5_PSR_SS_PNS1_23onesweep_lookback_stateEbbT6_jjT7_P12ihipStream_tbENKUlT_T0_SG_SL_E_clIS7_S7_SB_PlEEDaSZ_S10_SG_SL_EUlSZ_E_NS1_11comp_targetILNS1_3genE0ELNS1_11target_archE4294967295ELNS1_3gpuE0ELNS1_3repE0EEENS1_47radix_sort_onesweep_sort_config_static_selectorELNS0_4arch9wavefront6targetE1EEEvSG_
; %bb.0:
	.section	.rodata,"a",@progbits
	.p2align	6, 0x0
	.amdhsa_kernel _ZN7rocprim17ROCPRIM_400000_NS6detail17trampoline_kernelINS0_14default_configENS1_35radix_sort_onesweep_config_selectorIilEEZZNS1_29radix_sort_onesweep_iterationIS3_Lb0EPiS7_N6thrust23THRUST_200600_302600_NS10device_ptrIlEESB_jNS0_19identity_decomposerENS1_16block_id_wrapperIjLb0EEEEE10hipError_tT1_PNSt15iterator_traitsISG_E10value_typeET2_T3_PNSH_ISM_E10value_typeET4_T5_PSR_SS_PNS1_23onesweep_lookback_stateEbbT6_jjT7_P12ihipStream_tbENKUlT_T0_SG_SL_E_clIS7_S7_SB_PlEEDaSZ_S10_SG_SL_EUlSZ_E_NS1_11comp_targetILNS1_3genE0ELNS1_11target_archE4294967295ELNS1_3gpuE0ELNS1_3repE0EEENS1_47radix_sort_onesweep_sort_config_static_selectorELNS0_4arch9wavefront6targetE1EEEvSG_
		.amdhsa_group_segment_fixed_size 0
		.amdhsa_private_segment_fixed_size 0
		.amdhsa_kernarg_size 88
		.amdhsa_user_sgpr_count 6
		.amdhsa_user_sgpr_private_segment_buffer 1
		.amdhsa_user_sgpr_dispatch_ptr 0
		.amdhsa_user_sgpr_queue_ptr 0
		.amdhsa_user_sgpr_kernarg_segment_ptr 1
		.amdhsa_user_sgpr_dispatch_id 0
		.amdhsa_user_sgpr_flat_scratch_init 0
		.amdhsa_user_sgpr_private_segment_size 0
		.amdhsa_uses_dynamic_stack 0
		.amdhsa_system_sgpr_private_segment_wavefront_offset 0
		.amdhsa_system_sgpr_workgroup_id_x 1
		.amdhsa_system_sgpr_workgroup_id_y 0
		.amdhsa_system_sgpr_workgroup_id_z 0
		.amdhsa_system_sgpr_workgroup_info 0
		.amdhsa_system_vgpr_workitem_id 0
		.amdhsa_next_free_vgpr 1
		.amdhsa_next_free_sgpr 0
		.amdhsa_reserve_vcc 0
		.amdhsa_reserve_flat_scratch 0
		.amdhsa_float_round_mode_32 0
		.amdhsa_float_round_mode_16_64 0
		.amdhsa_float_denorm_mode_32 3
		.amdhsa_float_denorm_mode_16_64 3
		.amdhsa_dx10_clamp 1
		.amdhsa_ieee_mode 1
		.amdhsa_fp16_overflow 0
		.amdhsa_exception_fp_ieee_invalid_op 0
		.amdhsa_exception_fp_denorm_src 0
		.amdhsa_exception_fp_ieee_div_zero 0
		.amdhsa_exception_fp_ieee_overflow 0
		.amdhsa_exception_fp_ieee_underflow 0
		.amdhsa_exception_fp_ieee_inexact 0
		.amdhsa_exception_int_div_zero 0
	.end_amdhsa_kernel
	.section	.text._ZN7rocprim17ROCPRIM_400000_NS6detail17trampoline_kernelINS0_14default_configENS1_35radix_sort_onesweep_config_selectorIilEEZZNS1_29radix_sort_onesweep_iterationIS3_Lb0EPiS7_N6thrust23THRUST_200600_302600_NS10device_ptrIlEESB_jNS0_19identity_decomposerENS1_16block_id_wrapperIjLb0EEEEE10hipError_tT1_PNSt15iterator_traitsISG_E10value_typeET2_T3_PNSH_ISM_E10value_typeET4_T5_PSR_SS_PNS1_23onesweep_lookback_stateEbbT6_jjT7_P12ihipStream_tbENKUlT_T0_SG_SL_E_clIS7_S7_SB_PlEEDaSZ_S10_SG_SL_EUlSZ_E_NS1_11comp_targetILNS1_3genE0ELNS1_11target_archE4294967295ELNS1_3gpuE0ELNS1_3repE0EEENS1_47radix_sort_onesweep_sort_config_static_selectorELNS0_4arch9wavefront6targetE1EEEvSG_,"axG",@progbits,_ZN7rocprim17ROCPRIM_400000_NS6detail17trampoline_kernelINS0_14default_configENS1_35radix_sort_onesweep_config_selectorIilEEZZNS1_29radix_sort_onesweep_iterationIS3_Lb0EPiS7_N6thrust23THRUST_200600_302600_NS10device_ptrIlEESB_jNS0_19identity_decomposerENS1_16block_id_wrapperIjLb0EEEEE10hipError_tT1_PNSt15iterator_traitsISG_E10value_typeET2_T3_PNSH_ISM_E10value_typeET4_T5_PSR_SS_PNS1_23onesweep_lookback_stateEbbT6_jjT7_P12ihipStream_tbENKUlT_T0_SG_SL_E_clIS7_S7_SB_PlEEDaSZ_S10_SG_SL_EUlSZ_E_NS1_11comp_targetILNS1_3genE0ELNS1_11target_archE4294967295ELNS1_3gpuE0ELNS1_3repE0EEENS1_47radix_sort_onesweep_sort_config_static_selectorELNS0_4arch9wavefront6targetE1EEEvSG_,comdat
.Lfunc_end902:
	.size	_ZN7rocprim17ROCPRIM_400000_NS6detail17trampoline_kernelINS0_14default_configENS1_35radix_sort_onesweep_config_selectorIilEEZZNS1_29radix_sort_onesweep_iterationIS3_Lb0EPiS7_N6thrust23THRUST_200600_302600_NS10device_ptrIlEESB_jNS0_19identity_decomposerENS1_16block_id_wrapperIjLb0EEEEE10hipError_tT1_PNSt15iterator_traitsISG_E10value_typeET2_T3_PNSH_ISM_E10value_typeET4_T5_PSR_SS_PNS1_23onesweep_lookback_stateEbbT6_jjT7_P12ihipStream_tbENKUlT_T0_SG_SL_E_clIS7_S7_SB_PlEEDaSZ_S10_SG_SL_EUlSZ_E_NS1_11comp_targetILNS1_3genE0ELNS1_11target_archE4294967295ELNS1_3gpuE0ELNS1_3repE0EEENS1_47radix_sort_onesweep_sort_config_static_selectorELNS0_4arch9wavefront6targetE1EEEvSG_, .Lfunc_end902-_ZN7rocprim17ROCPRIM_400000_NS6detail17trampoline_kernelINS0_14default_configENS1_35radix_sort_onesweep_config_selectorIilEEZZNS1_29radix_sort_onesweep_iterationIS3_Lb0EPiS7_N6thrust23THRUST_200600_302600_NS10device_ptrIlEESB_jNS0_19identity_decomposerENS1_16block_id_wrapperIjLb0EEEEE10hipError_tT1_PNSt15iterator_traitsISG_E10value_typeET2_T3_PNSH_ISM_E10value_typeET4_T5_PSR_SS_PNS1_23onesweep_lookback_stateEbbT6_jjT7_P12ihipStream_tbENKUlT_T0_SG_SL_E_clIS7_S7_SB_PlEEDaSZ_S10_SG_SL_EUlSZ_E_NS1_11comp_targetILNS1_3genE0ELNS1_11target_archE4294967295ELNS1_3gpuE0ELNS1_3repE0EEENS1_47radix_sort_onesweep_sort_config_static_selectorELNS0_4arch9wavefront6targetE1EEEvSG_
                                        ; -- End function
	.set _ZN7rocprim17ROCPRIM_400000_NS6detail17trampoline_kernelINS0_14default_configENS1_35radix_sort_onesweep_config_selectorIilEEZZNS1_29radix_sort_onesweep_iterationIS3_Lb0EPiS7_N6thrust23THRUST_200600_302600_NS10device_ptrIlEESB_jNS0_19identity_decomposerENS1_16block_id_wrapperIjLb0EEEEE10hipError_tT1_PNSt15iterator_traitsISG_E10value_typeET2_T3_PNSH_ISM_E10value_typeET4_T5_PSR_SS_PNS1_23onesweep_lookback_stateEbbT6_jjT7_P12ihipStream_tbENKUlT_T0_SG_SL_E_clIS7_S7_SB_PlEEDaSZ_S10_SG_SL_EUlSZ_E_NS1_11comp_targetILNS1_3genE0ELNS1_11target_archE4294967295ELNS1_3gpuE0ELNS1_3repE0EEENS1_47radix_sort_onesweep_sort_config_static_selectorELNS0_4arch9wavefront6targetE1EEEvSG_.num_vgpr, 0
	.set _ZN7rocprim17ROCPRIM_400000_NS6detail17trampoline_kernelINS0_14default_configENS1_35radix_sort_onesweep_config_selectorIilEEZZNS1_29radix_sort_onesweep_iterationIS3_Lb0EPiS7_N6thrust23THRUST_200600_302600_NS10device_ptrIlEESB_jNS0_19identity_decomposerENS1_16block_id_wrapperIjLb0EEEEE10hipError_tT1_PNSt15iterator_traitsISG_E10value_typeET2_T3_PNSH_ISM_E10value_typeET4_T5_PSR_SS_PNS1_23onesweep_lookback_stateEbbT6_jjT7_P12ihipStream_tbENKUlT_T0_SG_SL_E_clIS7_S7_SB_PlEEDaSZ_S10_SG_SL_EUlSZ_E_NS1_11comp_targetILNS1_3genE0ELNS1_11target_archE4294967295ELNS1_3gpuE0ELNS1_3repE0EEENS1_47radix_sort_onesweep_sort_config_static_selectorELNS0_4arch9wavefront6targetE1EEEvSG_.num_agpr, 0
	.set _ZN7rocprim17ROCPRIM_400000_NS6detail17trampoline_kernelINS0_14default_configENS1_35radix_sort_onesweep_config_selectorIilEEZZNS1_29radix_sort_onesweep_iterationIS3_Lb0EPiS7_N6thrust23THRUST_200600_302600_NS10device_ptrIlEESB_jNS0_19identity_decomposerENS1_16block_id_wrapperIjLb0EEEEE10hipError_tT1_PNSt15iterator_traitsISG_E10value_typeET2_T3_PNSH_ISM_E10value_typeET4_T5_PSR_SS_PNS1_23onesweep_lookback_stateEbbT6_jjT7_P12ihipStream_tbENKUlT_T0_SG_SL_E_clIS7_S7_SB_PlEEDaSZ_S10_SG_SL_EUlSZ_E_NS1_11comp_targetILNS1_3genE0ELNS1_11target_archE4294967295ELNS1_3gpuE0ELNS1_3repE0EEENS1_47radix_sort_onesweep_sort_config_static_selectorELNS0_4arch9wavefront6targetE1EEEvSG_.numbered_sgpr, 0
	.set _ZN7rocprim17ROCPRIM_400000_NS6detail17trampoline_kernelINS0_14default_configENS1_35radix_sort_onesweep_config_selectorIilEEZZNS1_29radix_sort_onesweep_iterationIS3_Lb0EPiS7_N6thrust23THRUST_200600_302600_NS10device_ptrIlEESB_jNS0_19identity_decomposerENS1_16block_id_wrapperIjLb0EEEEE10hipError_tT1_PNSt15iterator_traitsISG_E10value_typeET2_T3_PNSH_ISM_E10value_typeET4_T5_PSR_SS_PNS1_23onesweep_lookback_stateEbbT6_jjT7_P12ihipStream_tbENKUlT_T0_SG_SL_E_clIS7_S7_SB_PlEEDaSZ_S10_SG_SL_EUlSZ_E_NS1_11comp_targetILNS1_3genE0ELNS1_11target_archE4294967295ELNS1_3gpuE0ELNS1_3repE0EEENS1_47radix_sort_onesweep_sort_config_static_selectorELNS0_4arch9wavefront6targetE1EEEvSG_.num_named_barrier, 0
	.set _ZN7rocprim17ROCPRIM_400000_NS6detail17trampoline_kernelINS0_14default_configENS1_35radix_sort_onesweep_config_selectorIilEEZZNS1_29radix_sort_onesweep_iterationIS3_Lb0EPiS7_N6thrust23THRUST_200600_302600_NS10device_ptrIlEESB_jNS0_19identity_decomposerENS1_16block_id_wrapperIjLb0EEEEE10hipError_tT1_PNSt15iterator_traitsISG_E10value_typeET2_T3_PNSH_ISM_E10value_typeET4_T5_PSR_SS_PNS1_23onesweep_lookback_stateEbbT6_jjT7_P12ihipStream_tbENKUlT_T0_SG_SL_E_clIS7_S7_SB_PlEEDaSZ_S10_SG_SL_EUlSZ_E_NS1_11comp_targetILNS1_3genE0ELNS1_11target_archE4294967295ELNS1_3gpuE0ELNS1_3repE0EEENS1_47radix_sort_onesweep_sort_config_static_selectorELNS0_4arch9wavefront6targetE1EEEvSG_.private_seg_size, 0
	.set _ZN7rocprim17ROCPRIM_400000_NS6detail17trampoline_kernelINS0_14default_configENS1_35radix_sort_onesweep_config_selectorIilEEZZNS1_29radix_sort_onesweep_iterationIS3_Lb0EPiS7_N6thrust23THRUST_200600_302600_NS10device_ptrIlEESB_jNS0_19identity_decomposerENS1_16block_id_wrapperIjLb0EEEEE10hipError_tT1_PNSt15iterator_traitsISG_E10value_typeET2_T3_PNSH_ISM_E10value_typeET4_T5_PSR_SS_PNS1_23onesweep_lookback_stateEbbT6_jjT7_P12ihipStream_tbENKUlT_T0_SG_SL_E_clIS7_S7_SB_PlEEDaSZ_S10_SG_SL_EUlSZ_E_NS1_11comp_targetILNS1_3genE0ELNS1_11target_archE4294967295ELNS1_3gpuE0ELNS1_3repE0EEENS1_47radix_sort_onesweep_sort_config_static_selectorELNS0_4arch9wavefront6targetE1EEEvSG_.uses_vcc, 0
	.set _ZN7rocprim17ROCPRIM_400000_NS6detail17trampoline_kernelINS0_14default_configENS1_35radix_sort_onesweep_config_selectorIilEEZZNS1_29radix_sort_onesweep_iterationIS3_Lb0EPiS7_N6thrust23THRUST_200600_302600_NS10device_ptrIlEESB_jNS0_19identity_decomposerENS1_16block_id_wrapperIjLb0EEEEE10hipError_tT1_PNSt15iterator_traitsISG_E10value_typeET2_T3_PNSH_ISM_E10value_typeET4_T5_PSR_SS_PNS1_23onesweep_lookback_stateEbbT6_jjT7_P12ihipStream_tbENKUlT_T0_SG_SL_E_clIS7_S7_SB_PlEEDaSZ_S10_SG_SL_EUlSZ_E_NS1_11comp_targetILNS1_3genE0ELNS1_11target_archE4294967295ELNS1_3gpuE0ELNS1_3repE0EEENS1_47radix_sort_onesweep_sort_config_static_selectorELNS0_4arch9wavefront6targetE1EEEvSG_.uses_flat_scratch, 0
	.set _ZN7rocprim17ROCPRIM_400000_NS6detail17trampoline_kernelINS0_14default_configENS1_35radix_sort_onesweep_config_selectorIilEEZZNS1_29radix_sort_onesweep_iterationIS3_Lb0EPiS7_N6thrust23THRUST_200600_302600_NS10device_ptrIlEESB_jNS0_19identity_decomposerENS1_16block_id_wrapperIjLb0EEEEE10hipError_tT1_PNSt15iterator_traitsISG_E10value_typeET2_T3_PNSH_ISM_E10value_typeET4_T5_PSR_SS_PNS1_23onesweep_lookback_stateEbbT6_jjT7_P12ihipStream_tbENKUlT_T0_SG_SL_E_clIS7_S7_SB_PlEEDaSZ_S10_SG_SL_EUlSZ_E_NS1_11comp_targetILNS1_3genE0ELNS1_11target_archE4294967295ELNS1_3gpuE0ELNS1_3repE0EEENS1_47radix_sort_onesweep_sort_config_static_selectorELNS0_4arch9wavefront6targetE1EEEvSG_.has_dyn_sized_stack, 0
	.set _ZN7rocprim17ROCPRIM_400000_NS6detail17trampoline_kernelINS0_14default_configENS1_35radix_sort_onesweep_config_selectorIilEEZZNS1_29radix_sort_onesweep_iterationIS3_Lb0EPiS7_N6thrust23THRUST_200600_302600_NS10device_ptrIlEESB_jNS0_19identity_decomposerENS1_16block_id_wrapperIjLb0EEEEE10hipError_tT1_PNSt15iterator_traitsISG_E10value_typeET2_T3_PNSH_ISM_E10value_typeET4_T5_PSR_SS_PNS1_23onesweep_lookback_stateEbbT6_jjT7_P12ihipStream_tbENKUlT_T0_SG_SL_E_clIS7_S7_SB_PlEEDaSZ_S10_SG_SL_EUlSZ_E_NS1_11comp_targetILNS1_3genE0ELNS1_11target_archE4294967295ELNS1_3gpuE0ELNS1_3repE0EEENS1_47radix_sort_onesweep_sort_config_static_selectorELNS0_4arch9wavefront6targetE1EEEvSG_.has_recursion, 0
	.set _ZN7rocprim17ROCPRIM_400000_NS6detail17trampoline_kernelINS0_14default_configENS1_35radix_sort_onesweep_config_selectorIilEEZZNS1_29radix_sort_onesweep_iterationIS3_Lb0EPiS7_N6thrust23THRUST_200600_302600_NS10device_ptrIlEESB_jNS0_19identity_decomposerENS1_16block_id_wrapperIjLb0EEEEE10hipError_tT1_PNSt15iterator_traitsISG_E10value_typeET2_T3_PNSH_ISM_E10value_typeET4_T5_PSR_SS_PNS1_23onesweep_lookback_stateEbbT6_jjT7_P12ihipStream_tbENKUlT_T0_SG_SL_E_clIS7_S7_SB_PlEEDaSZ_S10_SG_SL_EUlSZ_E_NS1_11comp_targetILNS1_3genE0ELNS1_11target_archE4294967295ELNS1_3gpuE0ELNS1_3repE0EEENS1_47radix_sort_onesweep_sort_config_static_selectorELNS0_4arch9wavefront6targetE1EEEvSG_.has_indirect_call, 0
	.section	.AMDGPU.csdata,"",@progbits
; Kernel info:
; codeLenInByte = 0
; TotalNumSgprs: 4
; NumVgprs: 0
; ScratchSize: 0
; MemoryBound: 0
; FloatMode: 240
; IeeeMode: 1
; LDSByteSize: 0 bytes/workgroup (compile time only)
; SGPRBlocks: 0
; VGPRBlocks: 0
; NumSGPRsForWavesPerEU: 4
; NumVGPRsForWavesPerEU: 1
; Occupancy: 10
; WaveLimiterHint : 0
; COMPUTE_PGM_RSRC2:SCRATCH_EN: 0
; COMPUTE_PGM_RSRC2:USER_SGPR: 6
; COMPUTE_PGM_RSRC2:TRAP_HANDLER: 0
; COMPUTE_PGM_RSRC2:TGID_X_EN: 1
; COMPUTE_PGM_RSRC2:TGID_Y_EN: 0
; COMPUTE_PGM_RSRC2:TGID_Z_EN: 0
; COMPUTE_PGM_RSRC2:TIDIG_COMP_CNT: 0
	.section	.text._ZN7rocprim17ROCPRIM_400000_NS6detail17trampoline_kernelINS0_14default_configENS1_35radix_sort_onesweep_config_selectorIilEEZZNS1_29radix_sort_onesweep_iterationIS3_Lb0EPiS7_N6thrust23THRUST_200600_302600_NS10device_ptrIlEESB_jNS0_19identity_decomposerENS1_16block_id_wrapperIjLb0EEEEE10hipError_tT1_PNSt15iterator_traitsISG_E10value_typeET2_T3_PNSH_ISM_E10value_typeET4_T5_PSR_SS_PNS1_23onesweep_lookback_stateEbbT6_jjT7_P12ihipStream_tbENKUlT_T0_SG_SL_E_clIS7_S7_SB_PlEEDaSZ_S10_SG_SL_EUlSZ_E_NS1_11comp_targetILNS1_3genE6ELNS1_11target_archE950ELNS1_3gpuE13ELNS1_3repE0EEENS1_47radix_sort_onesweep_sort_config_static_selectorELNS0_4arch9wavefront6targetE1EEEvSG_,"axG",@progbits,_ZN7rocprim17ROCPRIM_400000_NS6detail17trampoline_kernelINS0_14default_configENS1_35radix_sort_onesweep_config_selectorIilEEZZNS1_29radix_sort_onesweep_iterationIS3_Lb0EPiS7_N6thrust23THRUST_200600_302600_NS10device_ptrIlEESB_jNS0_19identity_decomposerENS1_16block_id_wrapperIjLb0EEEEE10hipError_tT1_PNSt15iterator_traitsISG_E10value_typeET2_T3_PNSH_ISM_E10value_typeET4_T5_PSR_SS_PNS1_23onesweep_lookback_stateEbbT6_jjT7_P12ihipStream_tbENKUlT_T0_SG_SL_E_clIS7_S7_SB_PlEEDaSZ_S10_SG_SL_EUlSZ_E_NS1_11comp_targetILNS1_3genE6ELNS1_11target_archE950ELNS1_3gpuE13ELNS1_3repE0EEENS1_47radix_sort_onesweep_sort_config_static_selectorELNS0_4arch9wavefront6targetE1EEEvSG_,comdat
	.protected	_ZN7rocprim17ROCPRIM_400000_NS6detail17trampoline_kernelINS0_14default_configENS1_35radix_sort_onesweep_config_selectorIilEEZZNS1_29radix_sort_onesweep_iterationIS3_Lb0EPiS7_N6thrust23THRUST_200600_302600_NS10device_ptrIlEESB_jNS0_19identity_decomposerENS1_16block_id_wrapperIjLb0EEEEE10hipError_tT1_PNSt15iterator_traitsISG_E10value_typeET2_T3_PNSH_ISM_E10value_typeET4_T5_PSR_SS_PNS1_23onesweep_lookback_stateEbbT6_jjT7_P12ihipStream_tbENKUlT_T0_SG_SL_E_clIS7_S7_SB_PlEEDaSZ_S10_SG_SL_EUlSZ_E_NS1_11comp_targetILNS1_3genE6ELNS1_11target_archE950ELNS1_3gpuE13ELNS1_3repE0EEENS1_47radix_sort_onesweep_sort_config_static_selectorELNS0_4arch9wavefront6targetE1EEEvSG_ ; -- Begin function _ZN7rocprim17ROCPRIM_400000_NS6detail17trampoline_kernelINS0_14default_configENS1_35radix_sort_onesweep_config_selectorIilEEZZNS1_29radix_sort_onesweep_iterationIS3_Lb0EPiS7_N6thrust23THRUST_200600_302600_NS10device_ptrIlEESB_jNS0_19identity_decomposerENS1_16block_id_wrapperIjLb0EEEEE10hipError_tT1_PNSt15iterator_traitsISG_E10value_typeET2_T3_PNSH_ISM_E10value_typeET4_T5_PSR_SS_PNS1_23onesweep_lookback_stateEbbT6_jjT7_P12ihipStream_tbENKUlT_T0_SG_SL_E_clIS7_S7_SB_PlEEDaSZ_S10_SG_SL_EUlSZ_E_NS1_11comp_targetILNS1_3genE6ELNS1_11target_archE950ELNS1_3gpuE13ELNS1_3repE0EEENS1_47radix_sort_onesweep_sort_config_static_selectorELNS0_4arch9wavefront6targetE1EEEvSG_
	.globl	_ZN7rocprim17ROCPRIM_400000_NS6detail17trampoline_kernelINS0_14default_configENS1_35radix_sort_onesweep_config_selectorIilEEZZNS1_29radix_sort_onesweep_iterationIS3_Lb0EPiS7_N6thrust23THRUST_200600_302600_NS10device_ptrIlEESB_jNS0_19identity_decomposerENS1_16block_id_wrapperIjLb0EEEEE10hipError_tT1_PNSt15iterator_traitsISG_E10value_typeET2_T3_PNSH_ISM_E10value_typeET4_T5_PSR_SS_PNS1_23onesweep_lookback_stateEbbT6_jjT7_P12ihipStream_tbENKUlT_T0_SG_SL_E_clIS7_S7_SB_PlEEDaSZ_S10_SG_SL_EUlSZ_E_NS1_11comp_targetILNS1_3genE6ELNS1_11target_archE950ELNS1_3gpuE13ELNS1_3repE0EEENS1_47radix_sort_onesweep_sort_config_static_selectorELNS0_4arch9wavefront6targetE1EEEvSG_
	.p2align	8
	.type	_ZN7rocprim17ROCPRIM_400000_NS6detail17trampoline_kernelINS0_14default_configENS1_35radix_sort_onesweep_config_selectorIilEEZZNS1_29radix_sort_onesweep_iterationIS3_Lb0EPiS7_N6thrust23THRUST_200600_302600_NS10device_ptrIlEESB_jNS0_19identity_decomposerENS1_16block_id_wrapperIjLb0EEEEE10hipError_tT1_PNSt15iterator_traitsISG_E10value_typeET2_T3_PNSH_ISM_E10value_typeET4_T5_PSR_SS_PNS1_23onesweep_lookback_stateEbbT6_jjT7_P12ihipStream_tbENKUlT_T0_SG_SL_E_clIS7_S7_SB_PlEEDaSZ_S10_SG_SL_EUlSZ_E_NS1_11comp_targetILNS1_3genE6ELNS1_11target_archE950ELNS1_3gpuE13ELNS1_3repE0EEENS1_47radix_sort_onesweep_sort_config_static_selectorELNS0_4arch9wavefront6targetE1EEEvSG_,@function
_ZN7rocprim17ROCPRIM_400000_NS6detail17trampoline_kernelINS0_14default_configENS1_35radix_sort_onesweep_config_selectorIilEEZZNS1_29radix_sort_onesweep_iterationIS3_Lb0EPiS7_N6thrust23THRUST_200600_302600_NS10device_ptrIlEESB_jNS0_19identity_decomposerENS1_16block_id_wrapperIjLb0EEEEE10hipError_tT1_PNSt15iterator_traitsISG_E10value_typeET2_T3_PNSH_ISM_E10value_typeET4_T5_PSR_SS_PNS1_23onesweep_lookback_stateEbbT6_jjT7_P12ihipStream_tbENKUlT_T0_SG_SL_E_clIS7_S7_SB_PlEEDaSZ_S10_SG_SL_EUlSZ_E_NS1_11comp_targetILNS1_3genE6ELNS1_11target_archE950ELNS1_3gpuE13ELNS1_3repE0EEENS1_47radix_sort_onesweep_sort_config_static_selectorELNS0_4arch9wavefront6targetE1EEEvSG_: ; @_ZN7rocprim17ROCPRIM_400000_NS6detail17trampoline_kernelINS0_14default_configENS1_35radix_sort_onesweep_config_selectorIilEEZZNS1_29radix_sort_onesweep_iterationIS3_Lb0EPiS7_N6thrust23THRUST_200600_302600_NS10device_ptrIlEESB_jNS0_19identity_decomposerENS1_16block_id_wrapperIjLb0EEEEE10hipError_tT1_PNSt15iterator_traitsISG_E10value_typeET2_T3_PNSH_ISM_E10value_typeET4_T5_PSR_SS_PNS1_23onesweep_lookback_stateEbbT6_jjT7_P12ihipStream_tbENKUlT_T0_SG_SL_E_clIS7_S7_SB_PlEEDaSZ_S10_SG_SL_EUlSZ_E_NS1_11comp_targetILNS1_3genE6ELNS1_11target_archE950ELNS1_3gpuE13ELNS1_3repE0EEENS1_47radix_sort_onesweep_sort_config_static_selectorELNS0_4arch9wavefront6targetE1EEEvSG_
; %bb.0:
	.section	.rodata,"a",@progbits
	.p2align	6, 0x0
	.amdhsa_kernel _ZN7rocprim17ROCPRIM_400000_NS6detail17trampoline_kernelINS0_14default_configENS1_35radix_sort_onesweep_config_selectorIilEEZZNS1_29radix_sort_onesweep_iterationIS3_Lb0EPiS7_N6thrust23THRUST_200600_302600_NS10device_ptrIlEESB_jNS0_19identity_decomposerENS1_16block_id_wrapperIjLb0EEEEE10hipError_tT1_PNSt15iterator_traitsISG_E10value_typeET2_T3_PNSH_ISM_E10value_typeET4_T5_PSR_SS_PNS1_23onesweep_lookback_stateEbbT6_jjT7_P12ihipStream_tbENKUlT_T0_SG_SL_E_clIS7_S7_SB_PlEEDaSZ_S10_SG_SL_EUlSZ_E_NS1_11comp_targetILNS1_3genE6ELNS1_11target_archE950ELNS1_3gpuE13ELNS1_3repE0EEENS1_47radix_sort_onesweep_sort_config_static_selectorELNS0_4arch9wavefront6targetE1EEEvSG_
		.amdhsa_group_segment_fixed_size 0
		.amdhsa_private_segment_fixed_size 0
		.amdhsa_kernarg_size 88
		.amdhsa_user_sgpr_count 6
		.amdhsa_user_sgpr_private_segment_buffer 1
		.amdhsa_user_sgpr_dispatch_ptr 0
		.amdhsa_user_sgpr_queue_ptr 0
		.amdhsa_user_sgpr_kernarg_segment_ptr 1
		.amdhsa_user_sgpr_dispatch_id 0
		.amdhsa_user_sgpr_flat_scratch_init 0
		.amdhsa_user_sgpr_private_segment_size 0
		.amdhsa_uses_dynamic_stack 0
		.amdhsa_system_sgpr_private_segment_wavefront_offset 0
		.amdhsa_system_sgpr_workgroup_id_x 1
		.amdhsa_system_sgpr_workgroup_id_y 0
		.amdhsa_system_sgpr_workgroup_id_z 0
		.amdhsa_system_sgpr_workgroup_info 0
		.amdhsa_system_vgpr_workitem_id 0
		.amdhsa_next_free_vgpr 1
		.amdhsa_next_free_sgpr 0
		.amdhsa_reserve_vcc 0
		.amdhsa_reserve_flat_scratch 0
		.amdhsa_float_round_mode_32 0
		.amdhsa_float_round_mode_16_64 0
		.amdhsa_float_denorm_mode_32 3
		.amdhsa_float_denorm_mode_16_64 3
		.amdhsa_dx10_clamp 1
		.amdhsa_ieee_mode 1
		.amdhsa_fp16_overflow 0
		.amdhsa_exception_fp_ieee_invalid_op 0
		.amdhsa_exception_fp_denorm_src 0
		.amdhsa_exception_fp_ieee_div_zero 0
		.amdhsa_exception_fp_ieee_overflow 0
		.amdhsa_exception_fp_ieee_underflow 0
		.amdhsa_exception_fp_ieee_inexact 0
		.amdhsa_exception_int_div_zero 0
	.end_amdhsa_kernel
	.section	.text._ZN7rocprim17ROCPRIM_400000_NS6detail17trampoline_kernelINS0_14default_configENS1_35radix_sort_onesweep_config_selectorIilEEZZNS1_29radix_sort_onesweep_iterationIS3_Lb0EPiS7_N6thrust23THRUST_200600_302600_NS10device_ptrIlEESB_jNS0_19identity_decomposerENS1_16block_id_wrapperIjLb0EEEEE10hipError_tT1_PNSt15iterator_traitsISG_E10value_typeET2_T3_PNSH_ISM_E10value_typeET4_T5_PSR_SS_PNS1_23onesweep_lookback_stateEbbT6_jjT7_P12ihipStream_tbENKUlT_T0_SG_SL_E_clIS7_S7_SB_PlEEDaSZ_S10_SG_SL_EUlSZ_E_NS1_11comp_targetILNS1_3genE6ELNS1_11target_archE950ELNS1_3gpuE13ELNS1_3repE0EEENS1_47radix_sort_onesweep_sort_config_static_selectorELNS0_4arch9wavefront6targetE1EEEvSG_,"axG",@progbits,_ZN7rocprim17ROCPRIM_400000_NS6detail17trampoline_kernelINS0_14default_configENS1_35radix_sort_onesweep_config_selectorIilEEZZNS1_29radix_sort_onesweep_iterationIS3_Lb0EPiS7_N6thrust23THRUST_200600_302600_NS10device_ptrIlEESB_jNS0_19identity_decomposerENS1_16block_id_wrapperIjLb0EEEEE10hipError_tT1_PNSt15iterator_traitsISG_E10value_typeET2_T3_PNSH_ISM_E10value_typeET4_T5_PSR_SS_PNS1_23onesweep_lookback_stateEbbT6_jjT7_P12ihipStream_tbENKUlT_T0_SG_SL_E_clIS7_S7_SB_PlEEDaSZ_S10_SG_SL_EUlSZ_E_NS1_11comp_targetILNS1_3genE6ELNS1_11target_archE950ELNS1_3gpuE13ELNS1_3repE0EEENS1_47radix_sort_onesweep_sort_config_static_selectorELNS0_4arch9wavefront6targetE1EEEvSG_,comdat
.Lfunc_end903:
	.size	_ZN7rocprim17ROCPRIM_400000_NS6detail17trampoline_kernelINS0_14default_configENS1_35radix_sort_onesweep_config_selectorIilEEZZNS1_29radix_sort_onesweep_iterationIS3_Lb0EPiS7_N6thrust23THRUST_200600_302600_NS10device_ptrIlEESB_jNS0_19identity_decomposerENS1_16block_id_wrapperIjLb0EEEEE10hipError_tT1_PNSt15iterator_traitsISG_E10value_typeET2_T3_PNSH_ISM_E10value_typeET4_T5_PSR_SS_PNS1_23onesweep_lookback_stateEbbT6_jjT7_P12ihipStream_tbENKUlT_T0_SG_SL_E_clIS7_S7_SB_PlEEDaSZ_S10_SG_SL_EUlSZ_E_NS1_11comp_targetILNS1_3genE6ELNS1_11target_archE950ELNS1_3gpuE13ELNS1_3repE0EEENS1_47radix_sort_onesweep_sort_config_static_selectorELNS0_4arch9wavefront6targetE1EEEvSG_, .Lfunc_end903-_ZN7rocprim17ROCPRIM_400000_NS6detail17trampoline_kernelINS0_14default_configENS1_35radix_sort_onesweep_config_selectorIilEEZZNS1_29radix_sort_onesweep_iterationIS3_Lb0EPiS7_N6thrust23THRUST_200600_302600_NS10device_ptrIlEESB_jNS0_19identity_decomposerENS1_16block_id_wrapperIjLb0EEEEE10hipError_tT1_PNSt15iterator_traitsISG_E10value_typeET2_T3_PNSH_ISM_E10value_typeET4_T5_PSR_SS_PNS1_23onesweep_lookback_stateEbbT6_jjT7_P12ihipStream_tbENKUlT_T0_SG_SL_E_clIS7_S7_SB_PlEEDaSZ_S10_SG_SL_EUlSZ_E_NS1_11comp_targetILNS1_3genE6ELNS1_11target_archE950ELNS1_3gpuE13ELNS1_3repE0EEENS1_47radix_sort_onesweep_sort_config_static_selectorELNS0_4arch9wavefront6targetE1EEEvSG_
                                        ; -- End function
	.set _ZN7rocprim17ROCPRIM_400000_NS6detail17trampoline_kernelINS0_14default_configENS1_35radix_sort_onesweep_config_selectorIilEEZZNS1_29radix_sort_onesweep_iterationIS3_Lb0EPiS7_N6thrust23THRUST_200600_302600_NS10device_ptrIlEESB_jNS0_19identity_decomposerENS1_16block_id_wrapperIjLb0EEEEE10hipError_tT1_PNSt15iterator_traitsISG_E10value_typeET2_T3_PNSH_ISM_E10value_typeET4_T5_PSR_SS_PNS1_23onesweep_lookback_stateEbbT6_jjT7_P12ihipStream_tbENKUlT_T0_SG_SL_E_clIS7_S7_SB_PlEEDaSZ_S10_SG_SL_EUlSZ_E_NS1_11comp_targetILNS1_3genE6ELNS1_11target_archE950ELNS1_3gpuE13ELNS1_3repE0EEENS1_47radix_sort_onesweep_sort_config_static_selectorELNS0_4arch9wavefront6targetE1EEEvSG_.num_vgpr, 0
	.set _ZN7rocprim17ROCPRIM_400000_NS6detail17trampoline_kernelINS0_14default_configENS1_35radix_sort_onesweep_config_selectorIilEEZZNS1_29radix_sort_onesweep_iterationIS3_Lb0EPiS7_N6thrust23THRUST_200600_302600_NS10device_ptrIlEESB_jNS0_19identity_decomposerENS1_16block_id_wrapperIjLb0EEEEE10hipError_tT1_PNSt15iterator_traitsISG_E10value_typeET2_T3_PNSH_ISM_E10value_typeET4_T5_PSR_SS_PNS1_23onesweep_lookback_stateEbbT6_jjT7_P12ihipStream_tbENKUlT_T0_SG_SL_E_clIS7_S7_SB_PlEEDaSZ_S10_SG_SL_EUlSZ_E_NS1_11comp_targetILNS1_3genE6ELNS1_11target_archE950ELNS1_3gpuE13ELNS1_3repE0EEENS1_47radix_sort_onesweep_sort_config_static_selectorELNS0_4arch9wavefront6targetE1EEEvSG_.num_agpr, 0
	.set _ZN7rocprim17ROCPRIM_400000_NS6detail17trampoline_kernelINS0_14default_configENS1_35radix_sort_onesweep_config_selectorIilEEZZNS1_29radix_sort_onesweep_iterationIS3_Lb0EPiS7_N6thrust23THRUST_200600_302600_NS10device_ptrIlEESB_jNS0_19identity_decomposerENS1_16block_id_wrapperIjLb0EEEEE10hipError_tT1_PNSt15iterator_traitsISG_E10value_typeET2_T3_PNSH_ISM_E10value_typeET4_T5_PSR_SS_PNS1_23onesweep_lookback_stateEbbT6_jjT7_P12ihipStream_tbENKUlT_T0_SG_SL_E_clIS7_S7_SB_PlEEDaSZ_S10_SG_SL_EUlSZ_E_NS1_11comp_targetILNS1_3genE6ELNS1_11target_archE950ELNS1_3gpuE13ELNS1_3repE0EEENS1_47radix_sort_onesweep_sort_config_static_selectorELNS0_4arch9wavefront6targetE1EEEvSG_.numbered_sgpr, 0
	.set _ZN7rocprim17ROCPRIM_400000_NS6detail17trampoline_kernelINS0_14default_configENS1_35radix_sort_onesweep_config_selectorIilEEZZNS1_29radix_sort_onesweep_iterationIS3_Lb0EPiS7_N6thrust23THRUST_200600_302600_NS10device_ptrIlEESB_jNS0_19identity_decomposerENS1_16block_id_wrapperIjLb0EEEEE10hipError_tT1_PNSt15iterator_traitsISG_E10value_typeET2_T3_PNSH_ISM_E10value_typeET4_T5_PSR_SS_PNS1_23onesweep_lookback_stateEbbT6_jjT7_P12ihipStream_tbENKUlT_T0_SG_SL_E_clIS7_S7_SB_PlEEDaSZ_S10_SG_SL_EUlSZ_E_NS1_11comp_targetILNS1_3genE6ELNS1_11target_archE950ELNS1_3gpuE13ELNS1_3repE0EEENS1_47radix_sort_onesweep_sort_config_static_selectorELNS0_4arch9wavefront6targetE1EEEvSG_.num_named_barrier, 0
	.set _ZN7rocprim17ROCPRIM_400000_NS6detail17trampoline_kernelINS0_14default_configENS1_35radix_sort_onesweep_config_selectorIilEEZZNS1_29radix_sort_onesweep_iterationIS3_Lb0EPiS7_N6thrust23THRUST_200600_302600_NS10device_ptrIlEESB_jNS0_19identity_decomposerENS1_16block_id_wrapperIjLb0EEEEE10hipError_tT1_PNSt15iterator_traitsISG_E10value_typeET2_T3_PNSH_ISM_E10value_typeET4_T5_PSR_SS_PNS1_23onesweep_lookback_stateEbbT6_jjT7_P12ihipStream_tbENKUlT_T0_SG_SL_E_clIS7_S7_SB_PlEEDaSZ_S10_SG_SL_EUlSZ_E_NS1_11comp_targetILNS1_3genE6ELNS1_11target_archE950ELNS1_3gpuE13ELNS1_3repE0EEENS1_47radix_sort_onesweep_sort_config_static_selectorELNS0_4arch9wavefront6targetE1EEEvSG_.private_seg_size, 0
	.set _ZN7rocprim17ROCPRIM_400000_NS6detail17trampoline_kernelINS0_14default_configENS1_35radix_sort_onesweep_config_selectorIilEEZZNS1_29radix_sort_onesweep_iterationIS3_Lb0EPiS7_N6thrust23THRUST_200600_302600_NS10device_ptrIlEESB_jNS0_19identity_decomposerENS1_16block_id_wrapperIjLb0EEEEE10hipError_tT1_PNSt15iterator_traitsISG_E10value_typeET2_T3_PNSH_ISM_E10value_typeET4_T5_PSR_SS_PNS1_23onesweep_lookback_stateEbbT6_jjT7_P12ihipStream_tbENKUlT_T0_SG_SL_E_clIS7_S7_SB_PlEEDaSZ_S10_SG_SL_EUlSZ_E_NS1_11comp_targetILNS1_3genE6ELNS1_11target_archE950ELNS1_3gpuE13ELNS1_3repE0EEENS1_47radix_sort_onesweep_sort_config_static_selectorELNS0_4arch9wavefront6targetE1EEEvSG_.uses_vcc, 0
	.set _ZN7rocprim17ROCPRIM_400000_NS6detail17trampoline_kernelINS0_14default_configENS1_35radix_sort_onesweep_config_selectorIilEEZZNS1_29radix_sort_onesweep_iterationIS3_Lb0EPiS7_N6thrust23THRUST_200600_302600_NS10device_ptrIlEESB_jNS0_19identity_decomposerENS1_16block_id_wrapperIjLb0EEEEE10hipError_tT1_PNSt15iterator_traitsISG_E10value_typeET2_T3_PNSH_ISM_E10value_typeET4_T5_PSR_SS_PNS1_23onesweep_lookback_stateEbbT6_jjT7_P12ihipStream_tbENKUlT_T0_SG_SL_E_clIS7_S7_SB_PlEEDaSZ_S10_SG_SL_EUlSZ_E_NS1_11comp_targetILNS1_3genE6ELNS1_11target_archE950ELNS1_3gpuE13ELNS1_3repE0EEENS1_47radix_sort_onesweep_sort_config_static_selectorELNS0_4arch9wavefront6targetE1EEEvSG_.uses_flat_scratch, 0
	.set _ZN7rocprim17ROCPRIM_400000_NS6detail17trampoline_kernelINS0_14default_configENS1_35radix_sort_onesweep_config_selectorIilEEZZNS1_29radix_sort_onesweep_iterationIS3_Lb0EPiS7_N6thrust23THRUST_200600_302600_NS10device_ptrIlEESB_jNS0_19identity_decomposerENS1_16block_id_wrapperIjLb0EEEEE10hipError_tT1_PNSt15iterator_traitsISG_E10value_typeET2_T3_PNSH_ISM_E10value_typeET4_T5_PSR_SS_PNS1_23onesweep_lookback_stateEbbT6_jjT7_P12ihipStream_tbENKUlT_T0_SG_SL_E_clIS7_S7_SB_PlEEDaSZ_S10_SG_SL_EUlSZ_E_NS1_11comp_targetILNS1_3genE6ELNS1_11target_archE950ELNS1_3gpuE13ELNS1_3repE0EEENS1_47radix_sort_onesweep_sort_config_static_selectorELNS0_4arch9wavefront6targetE1EEEvSG_.has_dyn_sized_stack, 0
	.set _ZN7rocprim17ROCPRIM_400000_NS6detail17trampoline_kernelINS0_14default_configENS1_35radix_sort_onesweep_config_selectorIilEEZZNS1_29radix_sort_onesweep_iterationIS3_Lb0EPiS7_N6thrust23THRUST_200600_302600_NS10device_ptrIlEESB_jNS0_19identity_decomposerENS1_16block_id_wrapperIjLb0EEEEE10hipError_tT1_PNSt15iterator_traitsISG_E10value_typeET2_T3_PNSH_ISM_E10value_typeET4_T5_PSR_SS_PNS1_23onesweep_lookback_stateEbbT6_jjT7_P12ihipStream_tbENKUlT_T0_SG_SL_E_clIS7_S7_SB_PlEEDaSZ_S10_SG_SL_EUlSZ_E_NS1_11comp_targetILNS1_3genE6ELNS1_11target_archE950ELNS1_3gpuE13ELNS1_3repE0EEENS1_47radix_sort_onesweep_sort_config_static_selectorELNS0_4arch9wavefront6targetE1EEEvSG_.has_recursion, 0
	.set _ZN7rocprim17ROCPRIM_400000_NS6detail17trampoline_kernelINS0_14default_configENS1_35radix_sort_onesweep_config_selectorIilEEZZNS1_29radix_sort_onesweep_iterationIS3_Lb0EPiS7_N6thrust23THRUST_200600_302600_NS10device_ptrIlEESB_jNS0_19identity_decomposerENS1_16block_id_wrapperIjLb0EEEEE10hipError_tT1_PNSt15iterator_traitsISG_E10value_typeET2_T3_PNSH_ISM_E10value_typeET4_T5_PSR_SS_PNS1_23onesweep_lookback_stateEbbT6_jjT7_P12ihipStream_tbENKUlT_T0_SG_SL_E_clIS7_S7_SB_PlEEDaSZ_S10_SG_SL_EUlSZ_E_NS1_11comp_targetILNS1_3genE6ELNS1_11target_archE950ELNS1_3gpuE13ELNS1_3repE0EEENS1_47radix_sort_onesweep_sort_config_static_selectorELNS0_4arch9wavefront6targetE1EEEvSG_.has_indirect_call, 0
	.section	.AMDGPU.csdata,"",@progbits
; Kernel info:
; codeLenInByte = 0
; TotalNumSgprs: 4
; NumVgprs: 0
; ScratchSize: 0
; MemoryBound: 0
; FloatMode: 240
; IeeeMode: 1
; LDSByteSize: 0 bytes/workgroup (compile time only)
; SGPRBlocks: 0
; VGPRBlocks: 0
; NumSGPRsForWavesPerEU: 4
; NumVGPRsForWavesPerEU: 1
; Occupancy: 10
; WaveLimiterHint : 0
; COMPUTE_PGM_RSRC2:SCRATCH_EN: 0
; COMPUTE_PGM_RSRC2:USER_SGPR: 6
; COMPUTE_PGM_RSRC2:TRAP_HANDLER: 0
; COMPUTE_PGM_RSRC2:TGID_X_EN: 1
; COMPUTE_PGM_RSRC2:TGID_Y_EN: 0
; COMPUTE_PGM_RSRC2:TGID_Z_EN: 0
; COMPUTE_PGM_RSRC2:TIDIG_COMP_CNT: 0
	.section	.text._ZN7rocprim17ROCPRIM_400000_NS6detail17trampoline_kernelINS0_14default_configENS1_35radix_sort_onesweep_config_selectorIilEEZZNS1_29radix_sort_onesweep_iterationIS3_Lb0EPiS7_N6thrust23THRUST_200600_302600_NS10device_ptrIlEESB_jNS0_19identity_decomposerENS1_16block_id_wrapperIjLb0EEEEE10hipError_tT1_PNSt15iterator_traitsISG_E10value_typeET2_T3_PNSH_ISM_E10value_typeET4_T5_PSR_SS_PNS1_23onesweep_lookback_stateEbbT6_jjT7_P12ihipStream_tbENKUlT_T0_SG_SL_E_clIS7_S7_SB_PlEEDaSZ_S10_SG_SL_EUlSZ_E_NS1_11comp_targetILNS1_3genE5ELNS1_11target_archE942ELNS1_3gpuE9ELNS1_3repE0EEENS1_47radix_sort_onesweep_sort_config_static_selectorELNS0_4arch9wavefront6targetE1EEEvSG_,"axG",@progbits,_ZN7rocprim17ROCPRIM_400000_NS6detail17trampoline_kernelINS0_14default_configENS1_35radix_sort_onesweep_config_selectorIilEEZZNS1_29radix_sort_onesweep_iterationIS3_Lb0EPiS7_N6thrust23THRUST_200600_302600_NS10device_ptrIlEESB_jNS0_19identity_decomposerENS1_16block_id_wrapperIjLb0EEEEE10hipError_tT1_PNSt15iterator_traitsISG_E10value_typeET2_T3_PNSH_ISM_E10value_typeET4_T5_PSR_SS_PNS1_23onesweep_lookback_stateEbbT6_jjT7_P12ihipStream_tbENKUlT_T0_SG_SL_E_clIS7_S7_SB_PlEEDaSZ_S10_SG_SL_EUlSZ_E_NS1_11comp_targetILNS1_3genE5ELNS1_11target_archE942ELNS1_3gpuE9ELNS1_3repE0EEENS1_47radix_sort_onesweep_sort_config_static_selectorELNS0_4arch9wavefront6targetE1EEEvSG_,comdat
	.protected	_ZN7rocprim17ROCPRIM_400000_NS6detail17trampoline_kernelINS0_14default_configENS1_35radix_sort_onesweep_config_selectorIilEEZZNS1_29radix_sort_onesweep_iterationIS3_Lb0EPiS7_N6thrust23THRUST_200600_302600_NS10device_ptrIlEESB_jNS0_19identity_decomposerENS1_16block_id_wrapperIjLb0EEEEE10hipError_tT1_PNSt15iterator_traitsISG_E10value_typeET2_T3_PNSH_ISM_E10value_typeET4_T5_PSR_SS_PNS1_23onesweep_lookback_stateEbbT6_jjT7_P12ihipStream_tbENKUlT_T0_SG_SL_E_clIS7_S7_SB_PlEEDaSZ_S10_SG_SL_EUlSZ_E_NS1_11comp_targetILNS1_3genE5ELNS1_11target_archE942ELNS1_3gpuE9ELNS1_3repE0EEENS1_47radix_sort_onesweep_sort_config_static_selectorELNS0_4arch9wavefront6targetE1EEEvSG_ ; -- Begin function _ZN7rocprim17ROCPRIM_400000_NS6detail17trampoline_kernelINS0_14default_configENS1_35radix_sort_onesweep_config_selectorIilEEZZNS1_29radix_sort_onesweep_iterationIS3_Lb0EPiS7_N6thrust23THRUST_200600_302600_NS10device_ptrIlEESB_jNS0_19identity_decomposerENS1_16block_id_wrapperIjLb0EEEEE10hipError_tT1_PNSt15iterator_traitsISG_E10value_typeET2_T3_PNSH_ISM_E10value_typeET4_T5_PSR_SS_PNS1_23onesweep_lookback_stateEbbT6_jjT7_P12ihipStream_tbENKUlT_T0_SG_SL_E_clIS7_S7_SB_PlEEDaSZ_S10_SG_SL_EUlSZ_E_NS1_11comp_targetILNS1_3genE5ELNS1_11target_archE942ELNS1_3gpuE9ELNS1_3repE0EEENS1_47radix_sort_onesweep_sort_config_static_selectorELNS0_4arch9wavefront6targetE1EEEvSG_
	.globl	_ZN7rocprim17ROCPRIM_400000_NS6detail17trampoline_kernelINS0_14default_configENS1_35radix_sort_onesweep_config_selectorIilEEZZNS1_29radix_sort_onesweep_iterationIS3_Lb0EPiS7_N6thrust23THRUST_200600_302600_NS10device_ptrIlEESB_jNS0_19identity_decomposerENS1_16block_id_wrapperIjLb0EEEEE10hipError_tT1_PNSt15iterator_traitsISG_E10value_typeET2_T3_PNSH_ISM_E10value_typeET4_T5_PSR_SS_PNS1_23onesweep_lookback_stateEbbT6_jjT7_P12ihipStream_tbENKUlT_T0_SG_SL_E_clIS7_S7_SB_PlEEDaSZ_S10_SG_SL_EUlSZ_E_NS1_11comp_targetILNS1_3genE5ELNS1_11target_archE942ELNS1_3gpuE9ELNS1_3repE0EEENS1_47radix_sort_onesweep_sort_config_static_selectorELNS0_4arch9wavefront6targetE1EEEvSG_
	.p2align	8
	.type	_ZN7rocprim17ROCPRIM_400000_NS6detail17trampoline_kernelINS0_14default_configENS1_35radix_sort_onesweep_config_selectorIilEEZZNS1_29radix_sort_onesweep_iterationIS3_Lb0EPiS7_N6thrust23THRUST_200600_302600_NS10device_ptrIlEESB_jNS0_19identity_decomposerENS1_16block_id_wrapperIjLb0EEEEE10hipError_tT1_PNSt15iterator_traitsISG_E10value_typeET2_T3_PNSH_ISM_E10value_typeET4_T5_PSR_SS_PNS1_23onesweep_lookback_stateEbbT6_jjT7_P12ihipStream_tbENKUlT_T0_SG_SL_E_clIS7_S7_SB_PlEEDaSZ_S10_SG_SL_EUlSZ_E_NS1_11comp_targetILNS1_3genE5ELNS1_11target_archE942ELNS1_3gpuE9ELNS1_3repE0EEENS1_47radix_sort_onesweep_sort_config_static_selectorELNS0_4arch9wavefront6targetE1EEEvSG_,@function
_ZN7rocprim17ROCPRIM_400000_NS6detail17trampoline_kernelINS0_14default_configENS1_35radix_sort_onesweep_config_selectorIilEEZZNS1_29radix_sort_onesweep_iterationIS3_Lb0EPiS7_N6thrust23THRUST_200600_302600_NS10device_ptrIlEESB_jNS0_19identity_decomposerENS1_16block_id_wrapperIjLb0EEEEE10hipError_tT1_PNSt15iterator_traitsISG_E10value_typeET2_T3_PNSH_ISM_E10value_typeET4_T5_PSR_SS_PNS1_23onesweep_lookback_stateEbbT6_jjT7_P12ihipStream_tbENKUlT_T0_SG_SL_E_clIS7_S7_SB_PlEEDaSZ_S10_SG_SL_EUlSZ_E_NS1_11comp_targetILNS1_3genE5ELNS1_11target_archE942ELNS1_3gpuE9ELNS1_3repE0EEENS1_47radix_sort_onesweep_sort_config_static_selectorELNS0_4arch9wavefront6targetE1EEEvSG_: ; @_ZN7rocprim17ROCPRIM_400000_NS6detail17trampoline_kernelINS0_14default_configENS1_35radix_sort_onesweep_config_selectorIilEEZZNS1_29radix_sort_onesweep_iterationIS3_Lb0EPiS7_N6thrust23THRUST_200600_302600_NS10device_ptrIlEESB_jNS0_19identity_decomposerENS1_16block_id_wrapperIjLb0EEEEE10hipError_tT1_PNSt15iterator_traitsISG_E10value_typeET2_T3_PNSH_ISM_E10value_typeET4_T5_PSR_SS_PNS1_23onesweep_lookback_stateEbbT6_jjT7_P12ihipStream_tbENKUlT_T0_SG_SL_E_clIS7_S7_SB_PlEEDaSZ_S10_SG_SL_EUlSZ_E_NS1_11comp_targetILNS1_3genE5ELNS1_11target_archE942ELNS1_3gpuE9ELNS1_3repE0EEENS1_47radix_sort_onesweep_sort_config_static_selectorELNS0_4arch9wavefront6targetE1EEEvSG_
; %bb.0:
	.section	.rodata,"a",@progbits
	.p2align	6, 0x0
	.amdhsa_kernel _ZN7rocprim17ROCPRIM_400000_NS6detail17trampoline_kernelINS0_14default_configENS1_35radix_sort_onesweep_config_selectorIilEEZZNS1_29radix_sort_onesweep_iterationIS3_Lb0EPiS7_N6thrust23THRUST_200600_302600_NS10device_ptrIlEESB_jNS0_19identity_decomposerENS1_16block_id_wrapperIjLb0EEEEE10hipError_tT1_PNSt15iterator_traitsISG_E10value_typeET2_T3_PNSH_ISM_E10value_typeET4_T5_PSR_SS_PNS1_23onesweep_lookback_stateEbbT6_jjT7_P12ihipStream_tbENKUlT_T0_SG_SL_E_clIS7_S7_SB_PlEEDaSZ_S10_SG_SL_EUlSZ_E_NS1_11comp_targetILNS1_3genE5ELNS1_11target_archE942ELNS1_3gpuE9ELNS1_3repE0EEENS1_47radix_sort_onesweep_sort_config_static_selectorELNS0_4arch9wavefront6targetE1EEEvSG_
		.amdhsa_group_segment_fixed_size 0
		.amdhsa_private_segment_fixed_size 0
		.amdhsa_kernarg_size 88
		.amdhsa_user_sgpr_count 6
		.amdhsa_user_sgpr_private_segment_buffer 1
		.amdhsa_user_sgpr_dispatch_ptr 0
		.amdhsa_user_sgpr_queue_ptr 0
		.amdhsa_user_sgpr_kernarg_segment_ptr 1
		.amdhsa_user_sgpr_dispatch_id 0
		.amdhsa_user_sgpr_flat_scratch_init 0
		.amdhsa_user_sgpr_private_segment_size 0
		.amdhsa_uses_dynamic_stack 0
		.amdhsa_system_sgpr_private_segment_wavefront_offset 0
		.amdhsa_system_sgpr_workgroup_id_x 1
		.amdhsa_system_sgpr_workgroup_id_y 0
		.amdhsa_system_sgpr_workgroup_id_z 0
		.amdhsa_system_sgpr_workgroup_info 0
		.amdhsa_system_vgpr_workitem_id 0
		.amdhsa_next_free_vgpr 1
		.amdhsa_next_free_sgpr 0
		.amdhsa_reserve_vcc 0
		.amdhsa_reserve_flat_scratch 0
		.amdhsa_float_round_mode_32 0
		.amdhsa_float_round_mode_16_64 0
		.amdhsa_float_denorm_mode_32 3
		.amdhsa_float_denorm_mode_16_64 3
		.amdhsa_dx10_clamp 1
		.amdhsa_ieee_mode 1
		.amdhsa_fp16_overflow 0
		.amdhsa_exception_fp_ieee_invalid_op 0
		.amdhsa_exception_fp_denorm_src 0
		.amdhsa_exception_fp_ieee_div_zero 0
		.amdhsa_exception_fp_ieee_overflow 0
		.amdhsa_exception_fp_ieee_underflow 0
		.amdhsa_exception_fp_ieee_inexact 0
		.amdhsa_exception_int_div_zero 0
	.end_amdhsa_kernel
	.section	.text._ZN7rocprim17ROCPRIM_400000_NS6detail17trampoline_kernelINS0_14default_configENS1_35radix_sort_onesweep_config_selectorIilEEZZNS1_29radix_sort_onesweep_iterationIS3_Lb0EPiS7_N6thrust23THRUST_200600_302600_NS10device_ptrIlEESB_jNS0_19identity_decomposerENS1_16block_id_wrapperIjLb0EEEEE10hipError_tT1_PNSt15iterator_traitsISG_E10value_typeET2_T3_PNSH_ISM_E10value_typeET4_T5_PSR_SS_PNS1_23onesweep_lookback_stateEbbT6_jjT7_P12ihipStream_tbENKUlT_T0_SG_SL_E_clIS7_S7_SB_PlEEDaSZ_S10_SG_SL_EUlSZ_E_NS1_11comp_targetILNS1_3genE5ELNS1_11target_archE942ELNS1_3gpuE9ELNS1_3repE0EEENS1_47radix_sort_onesweep_sort_config_static_selectorELNS0_4arch9wavefront6targetE1EEEvSG_,"axG",@progbits,_ZN7rocprim17ROCPRIM_400000_NS6detail17trampoline_kernelINS0_14default_configENS1_35radix_sort_onesweep_config_selectorIilEEZZNS1_29radix_sort_onesweep_iterationIS3_Lb0EPiS7_N6thrust23THRUST_200600_302600_NS10device_ptrIlEESB_jNS0_19identity_decomposerENS1_16block_id_wrapperIjLb0EEEEE10hipError_tT1_PNSt15iterator_traitsISG_E10value_typeET2_T3_PNSH_ISM_E10value_typeET4_T5_PSR_SS_PNS1_23onesweep_lookback_stateEbbT6_jjT7_P12ihipStream_tbENKUlT_T0_SG_SL_E_clIS7_S7_SB_PlEEDaSZ_S10_SG_SL_EUlSZ_E_NS1_11comp_targetILNS1_3genE5ELNS1_11target_archE942ELNS1_3gpuE9ELNS1_3repE0EEENS1_47radix_sort_onesweep_sort_config_static_selectorELNS0_4arch9wavefront6targetE1EEEvSG_,comdat
.Lfunc_end904:
	.size	_ZN7rocprim17ROCPRIM_400000_NS6detail17trampoline_kernelINS0_14default_configENS1_35radix_sort_onesweep_config_selectorIilEEZZNS1_29radix_sort_onesweep_iterationIS3_Lb0EPiS7_N6thrust23THRUST_200600_302600_NS10device_ptrIlEESB_jNS0_19identity_decomposerENS1_16block_id_wrapperIjLb0EEEEE10hipError_tT1_PNSt15iterator_traitsISG_E10value_typeET2_T3_PNSH_ISM_E10value_typeET4_T5_PSR_SS_PNS1_23onesweep_lookback_stateEbbT6_jjT7_P12ihipStream_tbENKUlT_T0_SG_SL_E_clIS7_S7_SB_PlEEDaSZ_S10_SG_SL_EUlSZ_E_NS1_11comp_targetILNS1_3genE5ELNS1_11target_archE942ELNS1_3gpuE9ELNS1_3repE0EEENS1_47radix_sort_onesweep_sort_config_static_selectorELNS0_4arch9wavefront6targetE1EEEvSG_, .Lfunc_end904-_ZN7rocprim17ROCPRIM_400000_NS6detail17trampoline_kernelINS0_14default_configENS1_35radix_sort_onesweep_config_selectorIilEEZZNS1_29radix_sort_onesweep_iterationIS3_Lb0EPiS7_N6thrust23THRUST_200600_302600_NS10device_ptrIlEESB_jNS0_19identity_decomposerENS1_16block_id_wrapperIjLb0EEEEE10hipError_tT1_PNSt15iterator_traitsISG_E10value_typeET2_T3_PNSH_ISM_E10value_typeET4_T5_PSR_SS_PNS1_23onesweep_lookback_stateEbbT6_jjT7_P12ihipStream_tbENKUlT_T0_SG_SL_E_clIS7_S7_SB_PlEEDaSZ_S10_SG_SL_EUlSZ_E_NS1_11comp_targetILNS1_3genE5ELNS1_11target_archE942ELNS1_3gpuE9ELNS1_3repE0EEENS1_47radix_sort_onesweep_sort_config_static_selectorELNS0_4arch9wavefront6targetE1EEEvSG_
                                        ; -- End function
	.set _ZN7rocprim17ROCPRIM_400000_NS6detail17trampoline_kernelINS0_14default_configENS1_35radix_sort_onesweep_config_selectorIilEEZZNS1_29radix_sort_onesweep_iterationIS3_Lb0EPiS7_N6thrust23THRUST_200600_302600_NS10device_ptrIlEESB_jNS0_19identity_decomposerENS1_16block_id_wrapperIjLb0EEEEE10hipError_tT1_PNSt15iterator_traitsISG_E10value_typeET2_T3_PNSH_ISM_E10value_typeET4_T5_PSR_SS_PNS1_23onesweep_lookback_stateEbbT6_jjT7_P12ihipStream_tbENKUlT_T0_SG_SL_E_clIS7_S7_SB_PlEEDaSZ_S10_SG_SL_EUlSZ_E_NS1_11comp_targetILNS1_3genE5ELNS1_11target_archE942ELNS1_3gpuE9ELNS1_3repE0EEENS1_47radix_sort_onesweep_sort_config_static_selectorELNS0_4arch9wavefront6targetE1EEEvSG_.num_vgpr, 0
	.set _ZN7rocprim17ROCPRIM_400000_NS6detail17trampoline_kernelINS0_14default_configENS1_35radix_sort_onesweep_config_selectorIilEEZZNS1_29radix_sort_onesweep_iterationIS3_Lb0EPiS7_N6thrust23THRUST_200600_302600_NS10device_ptrIlEESB_jNS0_19identity_decomposerENS1_16block_id_wrapperIjLb0EEEEE10hipError_tT1_PNSt15iterator_traitsISG_E10value_typeET2_T3_PNSH_ISM_E10value_typeET4_T5_PSR_SS_PNS1_23onesweep_lookback_stateEbbT6_jjT7_P12ihipStream_tbENKUlT_T0_SG_SL_E_clIS7_S7_SB_PlEEDaSZ_S10_SG_SL_EUlSZ_E_NS1_11comp_targetILNS1_3genE5ELNS1_11target_archE942ELNS1_3gpuE9ELNS1_3repE0EEENS1_47radix_sort_onesweep_sort_config_static_selectorELNS0_4arch9wavefront6targetE1EEEvSG_.num_agpr, 0
	.set _ZN7rocprim17ROCPRIM_400000_NS6detail17trampoline_kernelINS0_14default_configENS1_35radix_sort_onesweep_config_selectorIilEEZZNS1_29radix_sort_onesweep_iterationIS3_Lb0EPiS7_N6thrust23THRUST_200600_302600_NS10device_ptrIlEESB_jNS0_19identity_decomposerENS1_16block_id_wrapperIjLb0EEEEE10hipError_tT1_PNSt15iterator_traitsISG_E10value_typeET2_T3_PNSH_ISM_E10value_typeET4_T5_PSR_SS_PNS1_23onesweep_lookback_stateEbbT6_jjT7_P12ihipStream_tbENKUlT_T0_SG_SL_E_clIS7_S7_SB_PlEEDaSZ_S10_SG_SL_EUlSZ_E_NS1_11comp_targetILNS1_3genE5ELNS1_11target_archE942ELNS1_3gpuE9ELNS1_3repE0EEENS1_47radix_sort_onesweep_sort_config_static_selectorELNS0_4arch9wavefront6targetE1EEEvSG_.numbered_sgpr, 0
	.set _ZN7rocprim17ROCPRIM_400000_NS6detail17trampoline_kernelINS0_14default_configENS1_35radix_sort_onesweep_config_selectorIilEEZZNS1_29radix_sort_onesweep_iterationIS3_Lb0EPiS7_N6thrust23THRUST_200600_302600_NS10device_ptrIlEESB_jNS0_19identity_decomposerENS1_16block_id_wrapperIjLb0EEEEE10hipError_tT1_PNSt15iterator_traitsISG_E10value_typeET2_T3_PNSH_ISM_E10value_typeET4_T5_PSR_SS_PNS1_23onesweep_lookback_stateEbbT6_jjT7_P12ihipStream_tbENKUlT_T0_SG_SL_E_clIS7_S7_SB_PlEEDaSZ_S10_SG_SL_EUlSZ_E_NS1_11comp_targetILNS1_3genE5ELNS1_11target_archE942ELNS1_3gpuE9ELNS1_3repE0EEENS1_47radix_sort_onesweep_sort_config_static_selectorELNS0_4arch9wavefront6targetE1EEEvSG_.num_named_barrier, 0
	.set _ZN7rocprim17ROCPRIM_400000_NS6detail17trampoline_kernelINS0_14default_configENS1_35radix_sort_onesweep_config_selectorIilEEZZNS1_29radix_sort_onesweep_iterationIS3_Lb0EPiS7_N6thrust23THRUST_200600_302600_NS10device_ptrIlEESB_jNS0_19identity_decomposerENS1_16block_id_wrapperIjLb0EEEEE10hipError_tT1_PNSt15iterator_traitsISG_E10value_typeET2_T3_PNSH_ISM_E10value_typeET4_T5_PSR_SS_PNS1_23onesweep_lookback_stateEbbT6_jjT7_P12ihipStream_tbENKUlT_T0_SG_SL_E_clIS7_S7_SB_PlEEDaSZ_S10_SG_SL_EUlSZ_E_NS1_11comp_targetILNS1_3genE5ELNS1_11target_archE942ELNS1_3gpuE9ELNS1_3repE0EEENS1_47radix_sort_onesweep_sort_config_static_selectorELNS0_4arch9wavefront6targetE1EEEvSG_.private_seg_size, 0
	.set _ZN7rocprim17ROCPRIM_400000_NS6detail17trampoline_kernelINS0_14default_configENS1_35radix_sort_onesweep_config_selectorIilEEZZNS1_29radix_sort_onesweep_iterationIS3_Lb0EPiS7_N6thrust23THRUST_200600_302600_NS10device_ptrIlEESB_jNS0_19identity_decomposerENS1_16block_id_wrapperIjLb0EEEEE10hipError_tT1_PNSt15iterator_traitsISG_E10value_typeET2_T3_PNSH_ISM_E10value_typeET4_T5_PSR_SS_PNS1_23onesweep_lookback_stateEbbT6_jjT7_P12ihipStream_tbENKUlT_T0_SG_SL_E_clIS7_S7_SB_PlEEDaSZ_S10_SG_SL_EUlSZ_E_NS1_11comp_targetILNS1_3genE5ELNS1_11target_archE942ELNS1_3gpuE9ELNS1_3repE0EEENS1_47radix_sort_onesweep_sort_config_static_selectorELNS0_4arch9wavefront6targetE1EEEvSG_.uses_vcc, 0
	.set _ZN7rocprim17ROCPRIM_400000_NS6detail17trampoline_kernelINS0_14default_configENS1_35radix_sort_onesweep_config_selectorIilEEZZNS1_29radix_sort_onesweep_iterationIS3_Lb0EPiS7_N6thrust23THRUST_200600_302600_NS10device_ptrIlEESB_jNS0_19identity_decomposerENS1_16block_id_wrapperIjLb0EEEEE10hipError_tT1_PNSt15iterator_traitsISG_E10value_typeET2_T3_PNSH_ISM_E10value_typeET4_T5_PSR_SS_PNS1_23onesweep_lookback_stateEbbT6_jjT7_P12ihipStream_tbENKUlT_T0_SG_SL_E_clIS7_S7_SB_PlEEDaSZ_S10_SG_SL_EUlSZ_E_NS1_11comp_targetILNS1_3genE5ELNS1_11target_archE942ELNS1_3gpuE9ELNS1_3repE0EEENS1_47radix_sort_onesweep_sort_config_static_selectorELNS0_4arch9wavefront6targetE1EEEvSG_.uses_flat_scratch, 0
	.set _ZN7rocprim17ROCPRIM_400000_NS6detail17trampoline_kernelINS0_14default_configENS1_35radix_sort_onesweep_config_selectorIilEEZZNS1_29radix_sort_onesweep_iterationIS3_Lb0EPiS7_N6thrust23THRUST_200600_302600_NS10device_ptrIlEESB_jNS0_19identity_decomposerENS1_16block_id_wrapperIjLb0EEEEE10hipError_tT1_PNSt15iterator_traitsISG_E10value_typeET2_T3_PNSH_ISM_E10value_typeET4_T5_PSR_SS_PNS1_23onesweep_lookback_stateEbbT6_jjT7_P12ihipStream_tbENKUlT_T0_SG_SL_E_clIS7_S7_SB_PlEEDaSZ_S10_SG_SL_EUlSZ_E_NS1_11comp_targetILNS1_3genE5ELNS1_11target_archE942ELNS1_3gpuE9ELNS1_3repE0EEENS1_47radix_sort_onesweep_sort_config_static_selectorELNS0_4arch9wavefront6targetE1EEEvSG_.has_dyn_sized_stack, 0
	.set _ZN7rocprim17ROCPRIM_400000_NS6detail17trampoline_kernelINS0_14default_configENS1_35radix_sort_onesweep_config_selectorIilEEZZNS1_29radix_sort_onesweep_iterationIS3_Lb0EPiS7_N6thrust23THRUST_200600_302600_NS10device_ptrIlEESB_jNS0_19identity_decomposerENS1_16block_id_wrapperIjLb0EEEEE10hipError_tT1_PNSt15iterator_traitsISG_E10value_typeET2_T3_PNSH_ISM_E10value_typeET4_T5_PSR_SS_PNS1_23onesweep_lookback_stateEbbT6_jjT7_P12ihipStream_tbENKUlT_T0_SG_SL_E_clIS7_S7_SB_PlEEDaSZ_S10_SG_SL_EUlSZ_E_NS1_11comp_targetILNS1_3genE5ELNS1_11target_archE942ELNS1_3gpuE9ELNS1_3repE0EEENS1_47radix_sort_onesweep_sort_config_static_selectorELNS0_4arch9wavefront6targetE1EEEvSG_.has_recursion, 0
	.set _ZN7rocprim17ROCPRIM_400000_NS6detail17trampoline_kernelINS0_14default_configENS1_35radix_sort_onesweep_config_selectorIilEEZZNS1_29radix_sort_onesweep_iterationIS3_Lb0EPiS7_N6thrust23THRUST_200600_302600_NS10device_ptrIlEESB_jNS0_19identity_decomposerENS1_16block_id_wrapperIjLb0EEEEE10hipError_tT1_PNSt15iterator_traitsISG_E10value_typeET2_T3_PNSH_ISM_E10value_typeET4_T5_PSR_SS_PNS1_23onesweep_lookback_stateEbbT6_jjT7_P12ihipStream_tbENKUlT_T0_SG_SL_E_clIS7_S7_SB_PlEEDaSZ_S10_SG_SL_EUlSZ_E_NS1_11comp_targetILNS1_3genE5ELNS1_11target_archE942ELNS1_3gpuE9ELNS1_3repE0EEENS1_47radix_sort_onesweep_sort_config_static_selectorELNS0_4arch9wavefront6targetE1EEEvSG_.has_indirect_call, 0
	.section	.AMDGPU.csdata,"",@progbits
; Kernel info:
; codeLenInByte = 0
; TotalNumSgprs: 4
; NumVgprs: 0
; ScratchSize: 0
; MemoryBound: 0
; FloatMode: 240
; IeeeMode: 1
; LDSByteSize: 0 bytes/workgroup (compile time only)
; SGPRBlocks: 0
; VGPRBlocks: 0
; NumSGPRsForWavesPerEU: 4
; NumVGPRsForWavesPerEU: 1
; Occupancy: 10
; WaveLimiterHint : 0
; COMPUTE_PGM_RSRC2:SCRATCH_EN: 0
; COMPUTE_PGM_RSRC2:USER_SGPR: 6
; COMPUTE_PGM_RSRC2:TRAP_HANDLER: 0
; COMPUTE_PGM_RSRC2:TGID_X_EN: 1
; COMPUTE_PGM_RSRC2:TGID_Y_EN: 0
; COMPUTE_PGM_RSRC2:TGID_Z_EN: 0
; COMPUTE_PGM_RSRC2:TIDIG_COMP_CNT: 0
	.section	.text._ZN7rocprim17ROCPRIM_400000_NS6detail17trampoline_kernelINS0_14default_configENS1_35radix_sort_onesweep_config_selectorIilEEZZNS1_29radix_sort_onesweep_iterationIS3_Lb0EPiS7_N6thrust23THRUST_200600_302600_NS10device_ptrIlEESB_jNS0_19identity_decomposerENS1_16block_id_wrapperIjLb0EEEEE10hipError_tT1_PNSt15iterator_traitsISG_E10value_typeET2_T3_PNSH_ISM_E10value_typeET4_T5_PSR_SS_PNS1_23onesweep_lookback_stateEbbT6_jjT7_P12ihipStream_tbENKUlT_T0_SG_SL_E_clIS7_S7_SB_PlEEDaSZ_S10_SG_SL_EUlSZ_E_NS1_11comp_targetILNS1_3genE2ELNS1_11target_archE906ELNS1_3gpuE6ELNS1_3repE0EEENS1_47radix_sort_onesweep_sort_config_static_selectorELNS0_4arch9wavefront6targetE1EEEvSG_,"axG",@progbits,_ZN7rocprim17ROCPRIM_400000_NS6detail17trampoline_kernelINS0_14default_configENS1_35radix_sort_onesweep_config_selectorIilEEZZNS1_29radix_sort_onesweep_iterationIS3_Lb0EPiS7_N6thrust23THRUST_200600_302600_NS10device_ptrIlEESB_jNS0_19identity_decomposerENS1_16block_id_wrapperIjLb0EEEEE10hipError_tT1_PNSt15iterator_traitsISG_E10value_typeET2_T3_PNSH_ISM_E10value_typeET4_T5_PSR_SS_PNS1_23onesweep_lookback_stateEbbT6_jjT7_P12ihipStream_tbENKUlT_T0_SG_SL_E_clIS7_S7_SB_PlEEDaSZ_S10_SG_SL_EUlSZ_E_NS1_11comp_targetILNS1_3genE2ELNS1_11target_archE906ELNS1_3gpuE6ELNS1_3repE0EEENS1_47radix_sort_onesweep_sort_config_static_selectorELNS0_4arch9wavefront6targetE1EEEvSG_,comdat
	.protected	_ZN7rocprim17ROCPRIM_400000_NS6detail17trampoline_kernelINS0_14default_configENS1_35radix_sort_onesweep_config_selectorIilEEZZNS1_29radix_sort_onesweep_iterationIS3_Lb0EPiS7_N6thrust23THRUST_200600_302600_NS10device_ptrIlEESB_jNS0_19identity_decomposerENS1_16block_id_wrapperIjLb0EEEEE10hipError_tT1_PNSt15iterator_traitsISG_E10value_typeET2_T3_PNSH_ISM_E10value_typeET4_T5_PSR_SS_PNS1_23onesweep_lookback_stateEbbT6_jjT7_P12ihipStream_tbENKUlT_T0_SG_SL_E_clIS7_S7_SB_PlEEDaSZ_S10_SG_SL_EUlSZ_E_NS1_11comp_targetILNS1_3genE2ELNS1_11target_archE906ELNS1_3gpuE6ELNS1_3repE0EEENS1_47radix_sort_onesweep_sort_config_static_selectorELNS0_4arch9wavefront6targetE1EEEvSG_ ; -- Begin function _ZN7rocprim17ROCPRIM_400000_NS6detail17trampoline_kernelINS0_14default_configENS1_35radix_sort_onesweep_config_selectorIilEEZZNS1_29radix_sort_onesweep_iterationIS3_Lb0EPiS7_N6thrust23THRUST_200600_302600_NS10device_ptrIlEESB_jNS0_19identity_decomposerENS1_16block_id_wrapperIjLb0EEEEE10hipError_tT1_PNSt15iterator_traitsISG_E10value_typeET2_T3_PNSH_ISM_E10value_typeET4_T5_PSR_SS_PNS1_23onesweep_lookback_stateEbbT6_jjT7_P12ihipStream_tbENKUlT_T0_SG_SL_E_clIS7_S7_SB_PlEEDaSZ_S10_SG_SL_EUlSZ_E_NS1_11comp_targetILNS1_3genE2ELNS1_11target_archE906ELNS1_3gpuE6ELNS1_3repE0EEENS1_47radix_sort_onesweep_sort_config_static_selectorELNS0_4arch9wavefront6targetE1EEEvSG_
	.globl	_ZN7rocprim17ROCPRIM_400000_NS6detail17trampoline_kernelINS0_14default_configENS1_35radix_sort_onesweep_config_selectorIilEEZZNS1_29radix_sort_onesweep_iterationIS3_Lb0EPiS7_N6thrust23THRUST_200600_302600_NS10device_ptrIlEESB_jNS0_19identity_decomposerENS1_16block_id_wrapperIjLb0EEEEE10hipError_tT1_PNSt15iterator_traitsISG_E10value_typeET2_T3_PNSH_ISM_E10value_typeET4_T5_PSR_SS_PNS1_23onesweep_lookback_stateEbbT6_jjT7_P12ihipStream_tbENKUlT_T0_SG_SL_E_clIS7_S7_SB_PlEEDaSZ_S10_SG_SL_EUlSZ_E_NS1_11comp_targetILNS1_3genE2ELNS1_11target_archE906ELNS1_3gpuE6ELNS1_3repE0EEENS1_47radix_sort_onesweep_sort_config_static_selectorELNS0_4arch9wavefront6targetE1EEEvSG_
	.p2align	8
	.type	_ZN7rocprim17ROCPRIM_400000_NS6detail17trampoline_kernelINS0_14default_configENS1_35radix_sort_onesweep_config_selectorIilEEZZNS1_29radix_sort_onesweep_iterationIS3_Lb0EPiS7_N6thrust23THRUST_200600_302600_NS10device_ptrIlEESB_jNS0_19identity_decomposerENS1_16block_id_wrapperIjLb0EEEEE10hipError_tT1_PNSt15iterator_traitsISG_E10value_typeET2_T3_PNSH_ISM_E10value_typeET4_T5_PSR_SS_PNS1_23onesweep_lookback_stateEbbT6_jjT7_P12ihipStream_tbENKUlT_T0_SG_SL_E_clIS7_S7_SB_PlEEDaSZ_S10_SG_SL_EUlSZ_E_NS1_11comp_targetILNS1_3genE2ELNS1_11target_archE906ELNS1_3gpuE6ELNS1_3repE0EEENS1_47radix_sort_onesweep_sort_config_static_selectorELNS0_4arch9wavefront6targetE1EEEvSG_,@function
_ZN7rocprim17ROCPRIM_400000_NS6detail17trampoline_kernelINS0_14default_configENS1_35radix_sort_onesweep_config_selectorIilEEZZNS1_29radix_sort_onesweep_iterationIS3_Lb0EPiS7_N6thrust23THRUST_200600_302600_NS10device_ptrIlEESB_jNS0_19identity_decomposerENS1_16block_id_wrapperIjLb0EEEEE10hipError_tT1_PNSt15iterator_traitsISG_E10value_typeET2_T3_PNSH_ISM_E10value_typeET4_T5_PSR_SS_PNS1_23onesweep_lookback_stateEbbT6_jjT7_P12ihipStream_tbENKUlT_T0_SG_SL_E_clIS7_S7_SB_PlEEDaSZ_S10_SG_SL_EUlSZ_E_NS1_11comp_targetILNS1_3genE2ELNS1_11target_archE906ELNS1_3gpuE6ELNS1_3repE0EEENS1_47radix_sort_onesweep_sort_config_static_selectorELNS0_4arch9wavefront6targetE1EEEvSG_: ; @_ZN7rocprim17ROCPRIM_400000_NS6detail17trampoline_kernelINS0_14default_configENS1_35radix_sort_onesweep_config_selectorIilEEZZNS1_29radix_sort_onesweep_iterationIS3_Lb0EPiS7_N6thrust23THRUST_200600_302600_NS10device_ptrIlEESB_jNS0_19identity_decomposerENS1_16block_id_wrapperIjLb0EEEEE10hipError_tT1_PNSt15iterator_traitsISG_E10value_typeET2_T3_PNSH_ISM_E10value_typeET4_T5_PSR_SS_PNS1_23onesweep_lookback_stateEbbT6_jjT7_P12ihipStream_tbENKUlT_T0_SG_SL_E_clIS7_S7_SB_PlEEDaSZ_S10_SG_SL_EUlSZ_E_NS1_11comp_targetILNS1_3genE2ELNS1_11target_archE906ELNS1_3gpuE6ELNS1_3repE0EEENS1_47radix_sort_onesweep_sort_config_static_selectorELNS0_4arch9wavefront6targetE1EEEvSG_
; %bb.0:
	s_add_u32 s0, s0, s7
	s_load_dwordx4 s[44:47], s[4:5], 0x44
	s_load_dwordx8 s[36:43], s[4:5], 0x0
	s_load_dwordx4 s[28:31], s[4:5], 0x28
	s_load_dwordx2 s[34:35], s[4:5], 0x38
	s_addc_u32 s1, s1, 0
	s_mov_b64 s[8:9], -1
	s_waitcnt lgkmcnt(0)
	s_cmp_ge_u32 s6, s46
	v_mbcnt_lo_u32_b32 v22, -1, 0
	v_lshlrev_b32_e32 v21, 3, v0
	s_cbranch_scc0 .LBB905_88
; %bb.1:
	s_load_dword s7, s[4:5], 0x20
	s_lshl_b32 s10, s46, 12
	s_lshl_b32 s46, s6, 12
	s_mov_b32 s47, 0
	s_lshl_b64 s[8:9], s[46:47], 2
	s_waitcnt lgkmcnt(0)
	s_sub_i32 s7, s7, s10
	v_mbcnt_hi_u32_b32 v17, -1, v22
	s_add_u32 s8, s36, s8
	v_and_b32_e32 v15, 63, v17
	s_addc_u32 s9, s37, s9
	v_lshlrev_b32_e32 v3, 2, v15
	v_and_b32_e32 v14, 0xe00, v21
	v_mov_b32_e32 v4, s9
	v_add_co_u32_e32 v3, vcc, s8, v3
	v_addc_co_u32_e32 v4, vcc, 0, v4, vcc
	v_lshlrev_b32_e32 v5, 2, v14
	v_add_co_u32_e32 v11, vcc, v3, v5
	v_or_b32_e32 v13, v15, v14
	v_bfrev_b32_e32 v3, -2
	v_addc_co_u32_e32 v12, vcc, 0, v4, vcc
	v_cmp_gt_u32_e64 s[24:25], s7, v13
	v_mov_b32_e32 v4, v3
	v_mov_b32_e32 v5, v3
	;; [unrolled: 1-line block ×7, first 2 shown]
	s_and_saveexec_b64 s[8:9], s[24:25]
	s_cbranch_execz .LBB905_3
; %bb.2:
	global_load_dword v23, v[11:12], off
	v_mov_b32_e32 v24, v3
	v_mov_b32_e32 v25, v3
	;; [unrolled: 1-line block ×7, first 2 shown]
	s_waitcnt vmcnt(0)
	v_mov_b32_e32 v3, v23
	v_mov_b32_e32 v4, v24
	;; [unrolled: 1-line block ×8, first 2 shown]
.LBB905_3:
	s_or_b64 exec, exec, s[8:9]
	v_or_b32_e32 v16, 64, v13
	v_cmp_gt_u32_e64 s[8:9], s7, v16
	s_and_saveexec_b64 s[10:11], s[8:9]
	s_cbranch_execz .LBB905_5
; %bb.4:
	global_load_dword v4, v[11:12], off offset:256
.LBB905_5:
	s_or_b64 exec, exec, s[10:11]
	v_or_b32_e32 v16, 0x80, v13
	v_cmp_gt_u32_e64 s[10:11], s7, v16
	s_and_saveexec_b64 s[12:13], s[10:11]
	s_cbranch_execz .LBB905_7
; %bb.6:
	global_load_dword v5, v[11:12], off offset:512
.LBB905_7:
	s_or_b64 exec, exec, s[12:13]
	v_or_b32_e32 v16, 0xc0, v13
	v_cmp_gt_u32_e64 s[12:13], s7, v16
	s_and_saveexec_b64 s[14:15], s[12:13]
	s_cbranch_execz .LBB905_9
; %bb.8:
	global_load_dword v6, v[11:12], off offset:768
.LBB905_9:
	s_or_b64 exec, exec, s[14:15]
	v_or_b32_e32 v16, 0x100, v13
	v_cmp_gt_u32_e64 s[14:15], s7, v16
	s_and_saveexec_b64 s[16:17], s[14:15]
	s_cbranch_execz .LBB905_11
; %bb.10:
	global_load_dword v7, v[11:12], off offset:1024
.LBB905_11:
	s_or_b64 exec, exec, s[16:17]
	v_or_b32_e32 v16, 0x140, v13
	v_cmp_gt_u32_e64 s[16:17], s7, v16
	s_and_saveexec_b64 s[18:19], s[16:17]
	s_cbranch_execz .LBB905_13
; %bb.12:
	global_load_dword v8, v[11:12], off offset:1280
.LBB905_13:
	s_or_b64 exec, exec, s[18:19]
	v_or_b32_e32 v16, 0x180, v13
	v_cmp_gt_u32_e64 s[18:19], s7, v16
	s_and_saveexec_b64 s[20:21], s[18:19]
	s_cbranch_execz .LBB905_15
; %bb.14:
	global_load_dword v9, v[11:12], off offset:1536
.LBB905_15:
	s_or_b64 exec, exec, s[20:21]
	v_or_b32_e32 v13, 0x1c0, v13
	v_cmp_gt_u32_e64 s[20:21], s7, v13
	s_and_saveexec_b64 s[22:23], s[20:21]
	s_cbranch_execz .LBB905_17
; %bb.16:
	global_load_dword v10, v[11:12], off offset:1792
.LBB905_17:
	s_or_b64 exec, exec, s[22:23]
	s_load_dword s22, s[4:5], 0x64
	s_load_dword s33, s[4:5], 0x58
	s_add_u32 s23, s4, 0x58
	s_addc_u32 s26, s5, 0
	v_mov_b32_e32 v11, 0
	s_waitcnt lgkmcnt(0)
	s_lshr_b32 s27, s22, 16
	s_cmp_lt_u32 s6, s33
	s_cselect_b32 s22, 12, 18
	s_add_u32 s22, s23, s22
	s_addc_u32 s23, s26, 0
	global_load_ushort v13, v11, s[22:23]
	v_xor_b32_e32 v16, 0x80000000, v3
	s_lshl_b32 s22, -1, s45
	v_lshrrev_b32_e32 v3, s44, v16
	s_not_b32 s54, s22
	v_and_b32_e32 v3, s54, v3
	v_and_b32_e32 v20, 1, v3
	v_add_co_u32_e32 v24, vcc, -1, v20
	v_lshlrev_b32_e32 v12, 30, v3
	v_addc_co_u32_e64 v25, s[22:23], 0, -1, vcc
	v_cmp_ne_u32_e32 vcc, 0, v20
	v_cmp_gt_i64_e64 s[22:23], 0, v[11:12]
	v_not_b32_e32 v20, v12
	v_lshlrev_b32_e32 v12, 29, v3
	v_xor_b32_e32 v25, vcc_hi, v25
	v_xor_b32_e32 v24, vcc_lo, v24
	v_ashrrev_i32_e32 v20, 31, v20
	v_cmp_gt_i64_e32 vcc, 0, v[11:12]
	v_not_b32_e32 v26, v12
	v_lshlrev_b32_e32 v12, 28, v3
	v_and_b32_e32 v25, exec_hi, v25
	v_and_b32_e32 v24, exec_lo, v24
	v_xor_b32_e32 v27, s23, v20
	v_xor_b32_e32 v20, s22, v20
	v_ashrrev_i32_e32 v26, 31, v26
	v_cmp_gt_i64_e64 s[22:23], 0, v[11:12]
	v_not_b32_e32 v28, v12
	v_lshlrev_b32_e32 v12, 27, v3
	v_and_b32_e32 v25, v25, v27
	v_and_b32_e32 v20, v24, v20
	v_xor_b32_e32 v24, vcc_hi, v26
	v_xor_b32_e32 v26, vcc_lo, v26
	v_ashrrev_i32_e32 v27, 31, v28
	v_cmp_gt_i64_e32 vcc, 0, v[11:12]
	v_not_b32_e32 v28, v12
	v_lshlrev_b32_e32 v12, 26, v3
	v_and_b32_e32 v24, v25, v24
	v_and_b32_e32 v20, v20, v26
	v_xor_b32_e32 v25, s23, v27
	v_xor_b32_e32 v26, s22, v27
	v_ashrrev_i32_e32 v27, 31, v28
	v_cmp_gt_i64_e64 s[22:23], 0, v[11:12]
	v_not_b32_e32 v28, v12
	v_lshlrev_b32_e32 v12, 25, v3
	v_and_b32_e32 v24, v24, v25
	v_and_b32_e32 v20, v20, v26
	v_xor_b32_e32 v25, vcc_hi, v27
	v_xor_b32_e32 v26, vcc_lo, v27
	v_ashrrev_i32_e32 v27, 31, v28
	v_cmp_gt_i64_e32 vcc, 0, v[11:12]
	v_not_b32_e32 v28, v12
	v_mul_lo_u32 v23, v3, 36
	v_lshlrev_b32_e32 v12, 24, v3
	v_and_b32_e32 v3, v24, v25
	v_and_b32_e32 v20, v20, v26
	v_xor_b32_e32 v24, s23, v27
	v_xor_b32_e32 v25, s22, v27
	v_ashrrev_i32_e32 v26, 31, v28
	v_mad_u32_u24 v19, v2, s27, v1
	v_and_b32_e32 v3, v3, v24
	v_and_b32_e32 v20, v20, v25
	v_xor_b32_e32 v24, vcc_hi, v26
	v_xor_b32_e32 v25, vcc_lo, v26
	v_and_b32_e32 v3, v3, v24
	v_and_b32_e32 v24, v20, v25
	v_cmp_gt_i64_e64 s[22:23], 0, v[11:12]
	v_not_b32_e32 v12, v12
	v_ashrrev_i32_e32 v12, 31, v12
	v_xor_b32_e32 v25, s23, v12
	v_xor_b32_e32 v12, s22, v12
	v_and_b32_e32 v12, v24, v12
	v_mul_u32_u24_e32 v18, 20, v0
	ds_write2_b32 v18, v11, v11 offset0:8 offset1:9
	ds_write2_b32 v18, v11, v11 offset0:10 offset1:11
	ds_write_b32 v18, v11 offset:48
	s_waitcnt vmcnt(0) lgkmcnt(0)
	s_barrier
	; wave barrier
	v_mad_u64_u32 v[19:20], s[26:27], v19, v13, v[0:1]
	v_and_b32_e32 v13, v3, v25
	v_cmp_ne_u64_e32 vcc, 0, v[12:13]
	v_lshrrev_b32_e32 v3, 4, v19
	v_and_b32_e32 v39, 0xffffffc, v3
	v_mbcnt_lo_u32_b32 v3, v12, 0
	v_mbcnt_hi_u32_b32 v19, v13, v3
	v_cmp_eq_u32_e64 s[22:23], 0, v19
	s_and_b64 s[26:27], vcc, s[22:23]
	v_add_u32_e32 v32, v39, v23
	s_and_saveexec_b64 s[22:23], s[26:27]
; %bb.18:
	v_bcnt_u32_b32 v3, v12, 0
	v_bcnt_u32_b32 v3, v13, v3
	ds_write_b32 v32, v3 offset:32
; %bb.19:
	s_or_b64 exec, exec, s[22:23]
	v_xor_b32_e32 v13, 0x80000000, v4
	v_lshrrev_b32_e32 v3, s44, v13
	v_and_b32_e32 v3, s54, v3
	v_mul_lo_u32 v4, v3, 36
	v_and_b32_e32 v12, 1, v3
	; wave barrier
	v_add_u32_e32 v33, v39, v4
	v_add_co_u32_e32 v4, vcc, -1, v12
	v_addc_co_u32_e64 v20, s[22:23], 0, -1, vcc
	v_cmp_ne_u32_e32 vcc, 0, v12
	v_xor_b32_e32 v12, vcc_hi, v20
	v_and_b32_e32 v20, exec_hi, v12
	v_lshlrev_b32_e32 v12, 30, v3
	v_xor_b32_e32 v4, vcc_lo, v4
	v_cmp_gt_i64_e32 vcc, 0, v[11:12]
	v_not_b32_e32 v12, v12
	v_ashrrev_i32_e32 v12, 31, v12
	v_and_b32_e32 v4, exec_lo, v4
	v_xor_b32_e32 v24, vcc_hi, v12
	v_xor_b32_e32 v12, vcc_lo, v12
	v_and_b32_e32 v4, v4, v12
	v_lshlrev_b32_e32 v12, 29, v3
	v_cmp_gt_i64_e32 vcc, 0, v[11:12]
	v_not_b32_e32 v12, v12
	v_ashrrev_i32_e32 v12, 31, v12
	v_and_b32_e32 v20, v20, v24
	v_xor_b32_e32 v24, vcc_hi, v12
	v_xor_b32_e32 v12, vcc_lo, v12
	v_and_b32_e32 v4, v4, v12
	v_lshlrev_b32_e32 v12, 28, v3
	v_cmp_gt_i64_e32 vcc, 0, v[11:12]
	v_not_b32_e32 v12, v12
	v_ashrrev_i32_e32 v12, 31, v12
	v_and_b32_e32 v20, v20, v24
	;; [unrolled: 8-line block ×5, first 2 shown]
	v_xor_b32_e32 v24, vcc_hi, v12
	v_xor_b32_e32 v12, vcc_lo, v12
	v_and_b32_e32 v20, v20, v24
	v_and_b32_e32 v24, v4, v12
	v_lshlrev_b32_e32 v12, 24, v3
	v_cmp_gt_i64_e32 vcc, 0, v[11:12]
	v_not_b32_e32 v3, v12
	v_ashrrev_i32_e32 v3, 31, v3
	v_xor_b32_e32 v4, vcc_hi, v3
	v_xor_b32_e32 v3, vcc_lo, v3
	ds_read_b32 v23, v33 offset:32
	v_and_b32_e32 v3, v24, v3
	v_and_b32_e32 v4, v20, v4
	v_mbcnt_lo_u32_b32 v11, v3, 0
	v_mbcnt_hi_u32_b32 v24, v4, v11
	v_cmp_ne_u64_e32 vcc, 0, v[3:4]
	v_cmp_eq_u32_e64 s[22:23], 0, v24
	s_and_b64 s[26:27], vcc, s[22:23]
	; wave barrier
	s_and_saveexec_b64 s[22:23], s[26:27]
	s_cbranch_execz .LBB905_21
; %bb.20:
	v_bcnt_u32_b32 v3, v3, 0
	v_bcnt_u32_b32 v3, v4, v3
	s_waitcnt lgkmcnt(0)
	v_add_u32_e32 v3, v23, v3
	ds_write_b32 v33, v3 offset:32
.LBB905_21:
	s_or_b64 exec, exec, s[22:23]
	v_xor_b32_e32 v11, 0x80000000, v5
	v_lshrrev_b32_e32 v3, s44, v11
	v_and_b32_e32 v5, s54, v3
	v_mul_lo_u32 v3, v5, 36
	v_and_b32_e32 v4, 1, v5
	v_add_co_u32_e32 v12, vcc, -1, v4
	v_addc_co_u32_e64 v20, s[22:23], 0, -1, vcc
	v_cmp_ne_u32_e32 vcc, 0, v4
	v_xor_b32_e32 v4, vcc_hi, v20
	v_add_u32_e32 v37, v39, v3
	v_mov_b32_e32 v3, 0
	v_and_b32_e32 v20, exec_hi, v4
	v_lshlrev_b32_e32 v4, 30, v5
	v_xor_b32_e32 v12, vcc_lo, v12
	v_cmp_gt_i64_e32 vcc, 0, v[3:4]
	v_not_b32_e32 v4, v4
	v_ashrrev_i32_e32 v4, 31, v4
	v_and_b32_e32 v12, exec_lo, v12
	v_xor_b32_e32 v26, vcc_hi, v4
	v_xor_b32_e32 v4, vcc_lo, v4
	v_and_b32_e32 v12, v12, v4
	v_lshlrev_b32_e32 v4, 29, v5
	v_cmp_gt_i64_e32 vcc, 0, v[3:4]
	v_not_b32_e32 v4, v4
	v_ashrrev_i32_e32 v4, 31, v4
	v_and_b32_e32 v20, v20, v26
	v_xor_b32_e32 v26, vcc_hi, v4
	v_xor_b32_e32 v4, vcc_lo, v4
	v_and_b32_e32 v12, v12, v4
	v_lshlrev_b32_e32 v4, 28, v5
	v_cmp_gt_i64_e32 vcc, 0, v[3:4]
	v_not_b32_e32 v4, v4
	v_ashrrev_i32_e32 v4, 31, v4
	v_and_b32_e32 v20, v20, v26
	;; [unrolled: 8-line block ×5, first 2 shown]
	v_xor_b32_e32 v26, vcc_hi, v4
	v_xor_b32_e32 v4, vcc_lo, v4
	v_and_b32_e32 v12, v12, v4
	v_lshlrev_b32_e32 v4, 24, v5
	v_cmp_gt_i64_e32 vcc, 0, v[3:4]
	v_not_b32_e32 v4, v4
	v_ashrrev_i32_e32 v4, 31, v4
	v_xor_b32_e32 v5, vcc_hi, v4
	v_xor_b32_e32 v4, vcc_lo, v4
	; wave barrier
	ds_read_b32 v25, v37 offset:32
	v_and_b32_e32 v20, v20, v26
	v_and_b32_e32 v4, v12, v4
	v_and_b32_e32 v5, v20, v5
	v_mbcnt_lo_u32_b32 v12, v4, 0
	v_mbcnt_hi_u32_b32 v26, v5, v12
	v_cmp_ne_u64_e32 vcc, 0, v[4:5]
	v_cmp_eq_u32_e64 s[22:23], 0, v26
	s_and_b64 s[26:27], vcc, s[22:23]
	; wave barrier
	s_and_saveexec_b64 s[22:23], s[26:27]
	s_cbranch_execz .LBB905_23
; %bb.22:
	v_bcnt_u32_b32 v4, v4, 0
	v_bcnt_u32_b32 v4, v5, v4
	s_waitcnt lgkmcnt(0)
	v_add_u32_e32 v4, v25, v4
	ds_write_b32 v37, v4 offset:32
.LBB905_23:
	s_or_b64 exec, exec, s[22:23]
	v_xor_b32_e32 v12, 0x80000000, v6
	v_lshrrev_b32_e32 v4, s44, v12
	v_and_b32_e32 v5, s54, v4
	v_mul_lo_u32 v4, v5, 36
	v_and_b32_e32 v6, 1, v5
	; wave barrier
	v_add_u32_e32 v40, v39, v4
	v_add_co_u32_e32 v4, vcc, -1, v6
	v_addc_co_u32_e64 v20, s[22:23], 0, -1, vcc
	v_cmp_ne_u32_e32 vcc, 0, v6
	v_xor_b32_e32 v4, vcc_lo, v4
	v_xor_b32_e32 v6, vcc_hi, v20
	v_and_b32_e32 v20, exec_lo, v4
	v_lshlrev_b32_e32 v4, 30, v5
	v_cmp_gt_i64_e32 vcc, 0, v[3:4]
	v_not_b32_e32 v4, v4
	v_ashrrev_i32_e32 v4, 31, v4
	v_xor_b32_e32 v28, vcc_hi, v4
	v_xor_b32_e32 v4, vcc_lo, v4
	v_and_b32_e32 v20, v20, v4
	v_lshlrev_b32_e32 v4, 29, v5
	v_cmp_gt_i64_e32 vcc, 0, v[3:4]
	v_not_b32_e32 v4, v4
	v_and_b32_e32 v6, exec_hi, v6
	v_ashrrev_i32_e32 v4, 31, v4
	v_and_b32_e32 v6, v6, v28
	v_xor_b32_e32 v28, vcc_hi, v4
	v_xor_b32_e32 v4, vcc_lo, v4
	v_and_b32_e32 v20, v20, v4
	v_lshlrev_b32_e32 v4, 28, v5
	v_cmp_gt_i64_e32 vcc, 0, v[3:4]
	v_not_b32_e32 v4, v4
	v_ashrrev_i32_e32 v4, 31, v4
	v_and_b32_e32 v6, v6, v28
	v_xor_b32_e32 v28, vcc_hi, v4
	v_xor_b32_e32 v4, vcc_lo, v4
	v_and_b32_e32 v20, v20, v4
	v_lshlrev_b32_e32 v4, 27, v5
	v_cmp_gt_i64_e32 vcc, 0, v[3:4]
	v_not_b32_e32 v4, v4
	;; [unrolled: 8-line block ×5, first 2 shown]
	v_ashrrev_i32_e32 v3, 31, v3
	v_xor_b32_e32 v4, vcc_hi, v3
	v_xor_b32_e32 v3, vcc_lo, v3
	ds_read_b32 v27, v40 offset:32
	v_and_b32_e32 v6, v6, v28
	v_and_b32_e32 v3, v20, v3
	;; [unrolled: 1-line block ×3, first 2 shown]
	v_mbcnt_lo_u32_b32 v5, v3, 0
	v_mbcnt_hi_u32_b32 v28, v4, v5
	v_cmp_ne_u64_e32 vcc, 0, v[3:4]
	v_cmp_eq_u32_e64 s[22:23], 0, v28
	s_and_b64 s[26:27], vcc, s[22:23]
	; wave barrier
	s_and_saveexec_b64 s[22:23], s[26:27]
	s_cbranch_execz .LBB905_25
; %bb.24:
	v_bcnt_u32_b32 v3, v3, 0
	v_bcnt_u32_b32 v3, v4, v3
	s_waitcnt lgkmcnt(0)
	v_add_u32_e32 v3, v27, v3
	ds_write_b32 v40, v3 offset:32
.LBB905_25:
	s_or_b64 exec, exec, s[22:23]
	v_xor_b32_e32 v20, 0x80000000, v7
	v_lshrrev_b32_e32 v3, s44, v20
	v_and_b32_e32 v5, s54, v3
	v_mul_lo_u32 v3, v5, 36
	v_and_b32_e32 v4, 1, v5
	v_add_co_u32_e32 v6, vcc, -1, v4
	v_addc_co_u32_e64 v30, s[22:23], 0, -1, vcc
	v_cmp_ne_u32_e32 vcc, 0, v4
	v_xor_b32_e32 v4, vcc_hi, v30
	v_add_u32_e32 v7, v39, v3
	v_mov_b32_e32 v3, 0
	v_and_b32_e32 v30, exec_hi, v4
	v_lshlrev_b32_e32 v4, 30, v5
	v_xor_b32_e32 v6, vcc_lo, v6
	v_cmp_gt_i64_e32 vcc, 0, v[3:4]
	v_not_b32_e32 v4, v4
	v_ashrrev_i32_e32 v4, 31, v4
	v_and_b32_e32 v6, exec_lo, v6
	v_xor_b32_e32 v31, vcc_hi, v4
	v_xor_b32_e32 v4, vcc_lo, v4
	v_and_b32_e32 v6, v6, v4
	v_lshlrev_b32_e32 v4, 29, v5
	v_cmp_gt_i64_e32 vcc, 0, v[3:4]
	v_not_b32_e32 v4, v4
	v_ashrrev_i32_e32 v4, 31, v4
	v_and_b32_e32 v30, v30, v31
	v_xor_b32_e32 v31, vcc_hi, v4
	v_xor_b32_e32 v4, vcc_lo, v4
	v_and_b32_e32 v6, v6, v4
	v_lshlrev_b32_e32 v4, 28, v5
	v_cmp_gt_i64_e32 vcc, 0, v[3:4]
	v_not_b32_e32 v4, v4
	v_ashrrev_i32_e32 v4, 31, v4
	v_and_b32_e32 v30, v30, v31
	;; [unrolled: 8-line block ×5, first 2 shown]
	v_xor_b32_e32 v31, vcc_hi, v4
	v_xor_b32_e32 v4, vcc_lo, v4
	v_and_b32_e32 v6, v6, v4
	v_lshlrev_b32_e32 v4, 24, v5
	v_cmp_gt_i64_e32 vcc, 0, v[3:4]
	v_not_b32_e32 v4, v4
	v_ashrrev_i32_e32 v4, 31, v4
	v_xor_b32_e32 v5, vcc_hi, v4
	v_xor_b32_e32 v4, vcc_lo, v4
	; wave barrier
	ds_read_b32 v29, v7 offset:32
	v_and_b32_e32 v30, v30, v31
	v_and_b32_e32 v4, v6, v4
	;; [unrolled: 1-line block ×3, first 2 shown]
	v_mbcnt_lo_u32_b32 v6, v4, 0
	v_mbcnt_hi_u32_b32 v30, v5, v6
	v_cmp_ne_u64_e32 vcc, 0, v[4:5]
	v_cmp_eq_u32_e64 s[22:23], 0, v30
	s_and_b64 s[26:27], vcc, s[22:23]
	; wave barrier
	s_and_saveexec_b64 s[22:23], s[26:27]
	s_cbranch_execz .LBB905_27
; %bb.26:
	v_bcnt_u32_b32 v4, v4, 0
	v_bcnt_u32_b32 v4, v5, v4
	s_waitcnt lgkmcnt(0)
	v_add_u32_e32 v4, v29, v4
	ds_write_b32 v7, v4 offset:32
.LBB905_27:
	s_or_b64 exec, exec, s[22:23]
	v_xor_b32_e32 v35, 0x80000000, v8
	v_lshrrev_b32_e32 v4, s44, v35
	v_and_b32_e32 v5, s54, v4
	v_mul_lo_u32 v4, v5, 36
	v_and_b32_e32 v6, 1, v5
	; wave barrier
	v_add_u32_e32 v8, v39, v4
	v_add_co_u32_e32 v4, vcc, -1, v6
	v_addc_co_u32_e64 v34, s[22:23], 0, -1, vcc
	v_cmp_ne_u32_e32 vcc, 0, v6
	v_xor_b32_e32 v4, vcc_lo, v4
	v_xor_b32_e32 v6, vcc_hi, v34
	v_and_b32_e32 v34, exec_lo, v4
	v_lshlrev_b32_e32 v4, 30, v5
	v_cmp_gt_i64_e32 vcc, 0, v[3:4]
	v_not_b32_e32 v4, v4
	v_ashrrev_i32_e32 v4, 31, v4
	v_xor_b32_e32 v36, vcc_hi, v4
	v_xor_b32_e32 v4, vcc_lo, v4
	v_and_b32_e32 v34, v34, v4
	v_lshlrev_b32_e32 v4, 29, v5
	v_cmp_gt_i64_e32 vcc, 0, v[3:4]
	v_not_b32_e32 v4, v4
	v_and_b32_e32 v6, exec_hi, v6
	v_ashrrev_i32_e32 v4, 31, v4
	v_and_b32_e32 v6, v6, v36
	v_xor_b32_e32 v36, vcc_hi, v4
	v_xor_b32_e32 v4, vcc_lo, v4
	v_and_b32_e32 v34, v34, v4
	v_lshlrev_b32_e32 v4, 28, v5
	v_cmp_gt_i64_e32 vcc, 0, v[3:4]
	v_not_b32_e32 v4, v4
	v_ashrrev_i32_e32 v4, 31, v4
	v_and_b32_e32 v6, v6, v36
	v_xor_b32_e32 v36, vcc_hi, v4
	v_xor_b32_e32 v4, vcc_lo, v4
	v_and_b32_e32 v34, v34, v4
	v_lshlrev_b32_e32 v4, 27, v5
	v_cmp_gt_i64_e32 vcc, 0, v[3:4]
	v_not_b32_e32 v4, v4
	;; [unrolled: 8-line block ×5, first 2 shown]
	v_ashrrev_i32_e32 v3, 31, v3
	v_xor_b32_e32 v4, vcc_hi, v3
	v_xor_b32_e32 v3, vcc_lo, v3
	ds_read_b32 v31, v8 offset:32
	v_and_b32_e32 v6, v6, v36
	v_and_b32_e32 v3, v34, v3
	;; [unrolled: 1-line block ×3, first 2 shown]
	v_mbcnt_lo_u32_b32 v5, v3, 0
	v_mbcnt_hi_u32_b32 v34, v4, v5
	v_cmp_ne_u64_e32 vcc, 0, v[3:4]
	v_cmp_eq_u32_e64 s[22:23], 0, v34
	s_and_b64 s[26:27], vcc, s[22:23]
	; wave barrier
	s_and_saveexec_b64 s[22:23], s[26:27]
	s_cbranch_execz .LBB905_29
; %bb.28:
	v_bcnt_u32_b32 v3, v3, 0
	v_bcnt_u32_b32 v3, v4, v3
	s_waitcnt lgkmcnt(0)
	v_add_u32_e32 v3, v31, v3
	ds_write_b32 v8, v3 offset:32
.LBB905_29:
	s_or_b64 exec, exec, s[22:23]
	v_xor_b32_e32 v9, 0x80000000, v9
	v_lshrrev_b32_e32 v3, s44, v9
	v_and_b32_e32 v5, s54, v3
	v_mul_lo_u32 v3, v5, 36
	v_and_b32_e32 v4, 1, v5
	v_add_co_u32_e32 v6, vcc, -1, v4
	v_addc_co_u32_e64 v38, s[22:23], 0, -1, vcc
	v_cmp_ne_u32_e32 vcc, 0, v4
	v_xor_b32_e32 v4, vcc_hi, v38
	v_add_u32_e32 v46, v39, v3
	v_mov_b32_e32 v3, 0
	v_and_b32_e32 v38, exec_hi, v4
	v_lshlrev_b32_e32 v4, 30, v5
	v_xor_b32_e32 v6, vcc_lo, v6
	v_cmp_gt_i64_e32 vcc, 0, v[3:4]
	v_not_b32_e32 v4, v4
	v_ashrrev_i32_e32 v4, 31, v4
	v_and_b32_e32 v6, exec_lo, v6
	v_xor_b32_e32 v41, vcc_hi, v4
	v_xor_b32_e32 v4, vcc_lo, v4
	v_and_b32_e32 v6, v6, v4
	v_lshlrev_b32_e32 v4, 29, v5
	v_cmp_gt_i64_e32 vcc, 0, v[3:4]
	v_not_b32_e32 v4, v4
	v_ashrrev_i32_e32 v4, 31, v4
	v_and_b32_e32 v38, v38, v41
	v_xor_b32_e32 v41, vcc_hi, v4
	v_xor_b32_e32 v4, vcc_lo, v4
	v_and_b32_e32 v6, v6, v4
	v_lshlrev_b32_e32 v4, 28, v5
	v_cmp_gt_i64_e32 vcc, 0, v[3:4]
	v_not_b32_e32 v4, v4
	v_ashrrev_i32_e32 v4, 31, v4
	v_and_b32_e32 v38, v38, v41
	;; [unrolled: 8-line block ×5, first 2 shown]
	v_xor_b32_e32 v41, vcc_hi, v4
	v_xor_b32_e32 v4, vcc_lo, v4
	v_and_b32_e32 v6, v6, v4
	v_lshlrev_b32_e32 v4, 24, v5
	v_cmp_gt_i64_e32 vcc, 0, v[3:4]
	v_not_b32_e32 v4, v4
	v_ashrrev_i32_e32 v4, 31, v4
	v_xor_b32_e32 v5, vcc_hi, v4
	v_xor_b32_e32 v4, vcc_lo, v4
	; wave barrier
	ds_read_b32 v36, v46 offset:32
	v_and_b32_e32 v38, v38, v41
	v_and_b32_e32 v4, v6, v4
	;; [unrolled: 1-line block ×3, first 2 shown]
	v_mbcnt_lo_u32_b32 v6, v4, 0
	v_mbcnt_hi_u32_b32 v38, v5, v6
	v_cmp_ne_u64_e32 vcc, 0, v[4:5]
	v_cmp_eq_u32_e64 s[22:23], 0, v38
	s_and_b64 s[26:27], vcc, s[22:23]
	; wave barrier
	s_and_saveexec_b64 s[22:23], s[26:27]
	s_cbranch_execz .LBB905_31
; %bb.30:
	v_bcnt_u32_b32 v4, v4, 0
	v_bcnt_u32_b32 v4, v5, v4
	s_waitcnt lgkmcnt(0)
	v_add_u32_e32 v4, v36, v4
	ds_write_b32 v46, v4 offset:32
.LBB905_31:
	s_or_b64 exec, exec, s[22:23]
	v_xor_b32_e32 v10, 0x80000000, v10
	v_lshrrev_b32_e32 v4, s44, v10
	v_and_b32_e32 v5, s54, v4
	v_mul_lo_u32 v4, v5, 36
	v_and_b32_e32 v6, 1, v5
	; wave barrier
	v_add_u32_e32 v47, v39, v4
	v_add_co_u32_e32 v4, vcc, -1, v6
	v_addc_co_u32_e64 v41, s[22:23], 0, -1, vcc
	v_cmp_ne_u32_e32 vcc, 0, v6
	v_xor_b32_e32 v4, vcc_lo, v4
	v_xor_b32_e32 v6, vcc_hi, v41
	v_and_b32_e32 v41, exec_lo, v4
	v_lshlrev_b32_e32 v4, 30, v5
	v_cmp_gt_i64_e32 vcc, 0, v[3:4]
	v_not_b32_e32 v4, v4
	v_ashrrev_i32_e32 v4, 31, v4
	v_xor_b32_e32 v42, vcc_hi, v4
	v_xor_b32_e32 v4, vcc_lo, v4
	v_and_b32_e32 v41, v41, v4
	v_lshlrev_b32_e32 v4, 29, v5
	v_cmp_gt_i64_e32 vcc, 0, v[3:4]
	v_not_b32_e32 v4, v4
	v_and_b32_e32 v6, exec_hi, v6
	v_ashrrev_i32_e32 v4, 31, v4
	v_and_b32_e32 v6, v6, v42
	v_xor_b32_e32 v42, vcc_hi, v4
	v_xor_b32_e32 v4, vcc_lo, v4
	v_and_b32_e32 v41, v41, v4
	v_lshlrev_b32_e32 v4, 28, v5
	v_cmp_gt_i64_e32 vcc, 0, v[3:4]
	v_not_b32_e32 v4, v4
	v_ashrrev_i32_e32 v4, 31, v4
	v_and_b32_e32 v6, v6, v42
	v_xor_b32_e32 v42, vcc_hi, v4
	v_xor_b32_e32 v4, vcc_lo, v4
	v_and_b32_e32 v41, v41, v4
	v_lshlrev_b32_e32 v4, 27, v5
	v_cmp_gt_i64_e32 vcc, 0, v[3:4]
	v_not_b32_e32 v4, v4
	;; [unrolled: 8-line block ×5, first 2 shown]
	v_ashrrev_i32_e32 v3, 31, v3
	v_xor_b32_e32 v4, vcc_hi, v3
	v_xor_b32_e32 v3, vcc_lo, v3
	ds_read_b32 v39, v47 offset:32
	v_and_b32_e32 v6, v6, v42
	v_and_b32_e32 v3, v41, v3
	;; [unrolled: 1-line block ×3, first 2 shown]
	v_mbcnt_lo_u32_b32 v5, v3, 0
	v_mbcnt_hi_u32_b32 v41, v4, v5
	v_cmp_ne_u64_e32 vcc, 0, v[3:4]
	v_cmp_eq_u32_e64 s[22:23], 0, v41
	s_and_b64 s[26:27], vcc, s[22:23]
	; wave barrier
	s_and_saveexec_b64 s[22:23], s[26:27]
	s_cbranch_execz .LBB905_33
; %bb.32:
	v_bcnt_u32_b32 v3, v3, 0
	v_bcnt_u32_b32 v3, v4, v3
	s_waitcnt lgkmcnt(0)
	v_add_u32_e32 v3, v39, v3
	ds_write_b32 v47, v3 offset:32
.LBB905_33:
	s_or_b64 exec, exec, s[22:23]
	; wave barrier
	s_waitcnt lgkmcnt(0)
	s_barrier
	ds_read2_b32 v[5:6], v18 offset0:8 offset1:9
	ds_read2_b32 v[3:4], v18 offset0:10 offset1:11
	ds_read_b32 v42, v18 offset:48
	s_waitcnt lgkmcnt(1)
	v_add3_u32 v43, v6, v5, v3
	s_waitcnt lgkmcnt(0)
	v_add3_u32 v42, v43, v4, v42
	v_and_b32_e32 v43, 15, v17
	v_cmp_ne_u32_e32 vcc, 0, v43
	v_mov_b32_dpp v44, v42 row_shr:1 row_mask:0xf bank_mask:0xf
	v_cndmask_b32_e32 v44, 0, v44, vcc
	v_add_u32_e32 v42, v44, v42
	v_cmp_lt_u32_e32 vcc, 1, v43
	s_nop 0
	v_mov_b32_dpp v44, v42 row_shr:2 row_mask:0xf bank_mask:0xf
	v_cndmask_b32_e32 v44, 0, v44, vcc
	v_add_u32_e32 v42, v42, v44
	v_cmp_lt_u32_e32 vcc, 3, v43
	s_nop 0
	;; [unrolled: 5-line block ×3, first 2 shown]
	v_mov_b32_dpp v44, v42 row_shr:8 row_mask:0xf bank_mask:0xf
	v_cndmask_b32_e32 v43, 0, v44, vcc
	v_add_u32_e32 v42, v42, v43
	v_bfe_i32 v44, v17, 4, 1
	v_cmp_lt_u32_e32 vcc, 31, v17
	v_mov_b32_dpp v43, v42 row_bcast:15 row_mask:0xf bank_mask:0xf
	v_and_b32_e32 v43, v44, v43
	v_add_u32_e32 v42, v42, v43
	v_or_b32_e32 v44, 63, v0
	s_nop 0
	v_mov_b32_dpp v43, v42 row_bcast:31 row_mask:0xf bank_mask:0xf
	v_cndmask_b32_e32 v43, 0, v43, vcc
	v_add_u32_e32 v42, v42, v43
	v_lshrrev_b32_e32 v43, 6, v0
	v_cmp_eq_u32_e32 vcc, v0, v44
	s_and_saveexec_b64 s[22:23], vcc
; %bb.34:
	v_lshlrev_b32_e32 v44, 2, v43
	ds_write_b32 v44, v42
; %bb.35:
	s_or_b64 exec, exec, s[22:23]
	v_cmp_gt_u32_e32 vcc, 8, v0
	s_waitcnt lgkmcnt(0)
	s_barrier
	s_and_saveexec_b64 s[26:27], vcc
	s_cbranch_execz .LBB905_37
; %bb.36:
	v_lshlrev_b32_e32 v44, 2, v0
	ds_read_b32 v45, v44
	v_and_b32_e32 v48, 7, v17
	v_cmp_ne_u32_e32 vcc, 0, v48
	v_cmp_lt_u32_e64 s[22:23], 1, v48
	s_waitcnt lgkmcnt(0)
	v_mov_b32_dpp v49, v45 row_shr:1 row_mask:0xf bank_mask:0xf
	v_cndmask_b32_e32 v49, 0, v49, vcc
	v_add_u32_e32 v45, v49, v45
	v_cmp_lt_u32_e32 vcc, 3, v48
	s_nop 0
	v_mov_b32_dpp v49, v45 row_shr:2 row_mask:0xf bank_mask:0xf
	v_cndmask_b32_e64 v49, 0, v49, s[22:23]
	v_add_u32_e32 v45, v45, v49
	s_nop 1
	v_mov_b32_dpp v49, v45 row_shr:4 row_mask:0xf bank_mask:0xf
	v_cndmask_b32_e32 v48, 0, v49, vcc
	v_add_u32_e32 v45, v45, v48
	ds_write_b32 v44, v45
.LBB905_37:
	s_or_b64 exec, exec, s[26:27]
	v_cmp_lt_u32_e32 vcc, 63, v0
	v_mov_b32_e32 v44, 0
	s_waitcnt lgkmcnt(0)
	s_barrier
	s_and_saveexec_b64 s[22:23], vcc
; %bb.38:
	v_lshl_add_u32 v43, v43, 2, -4
	ds_read_b32 v44, v43
; %bb.39:
	s_or_b64 exec, exec, s[22:23]
	v_subrev_co_u32_e32 v43, vcc, 1, v17
	v_and_b32_e32 v45, 64, v17
	v_cmp_lt_i32_e64 s[22:23], v43, v45
	v_cndmask_b32_e64 v17, v43, v17, s[22:23]
	s_waitcnt lgkmcnt(0)
	v_add_u32_e32 v42, v44, v42
	v_lshlrev_b32_e32 v17, 2, v17
	ds_bpermute_b32 v17, v17, v42
	s_movk_i32 s22, 0xff
	s_movk_i32 s26, 0x100
	v_cmp_lt_u32_e64 s[22:23], s22, v0
	s_waitcnt lgkmcnt(0)
	v_cndmask_b32_e32 v17, v17, v44, vcc
	v_cmp_ne_u32_e32 vcc, 0, v0
	v_cndmask_b32_e32 v17, 0, v17, vcc
	v_add_u32_e32 v5, v17, v5
	v_add_u32_e32 v6, v5, v6
	;; [unrolled: 1-line block ×4, first 2 shown]
	ds_write2_b32 v18, v17, v5 offset0:8 offset1:9
	ds_write2_b32 v18, v6, v3 offset0:10 offset1:11
	ds_write_b32 v18, v4 offset:48
	s_waitcnt lgkmcnt(0)
	s_barrier
	ds_read_b32 v17, v32 offset:32
	ds_read_b32 v42, v33 offset:32
	;; [unrolled: 1-line block ×8, first 2 shown]
	v_cmp_gt_u32_e32 vcc, s26, v0
                                        ; implicit-def: $vgpr32
                                        ; implicit-def: $vgpr33
	s_and_saveexec_b64 s[48:49], vcc
	s_cbranch_execz .LBB905_43
; %bb.40:
	v_mul_u32_u24_e32 v3, 36, v0
	ds_read_b32 v32, v3 offset:32
	v_add_u32_e32 v4, 1, v0
	v_cmp_ne_u32_e64 s[26:27], s26, v4
	v_mov_b32_e32 v3, 0x1000
	s_and_saveexec_b64 s[50:51], s[26:27]
; %bb.41:
	v_mul_u32_u24_e32 v3, 36, v4
	ds_read_b32 v3, v3 offset:32
; %bb.42:
	s_or_b64 exec, exec, s[50:51]
	s_waitcnt lgkmcnt(0)
	v_sub_u32_e32 v33, v3, v32
.LBB905_43:
	s_or_b64 exec, exec, s[48:49]
	v_mov_b32_e32 v4, 0
	v_lshlrev_b32_e32 v37, 2, v0
	s_waitcnt lgkmcnt(0)
	s_barrier
	s_and_saveexec_b64 s[26:27], vcc
	s_cbranch_execz .LBB905_53
; %bb.44:
	v_lshl_add_u32 v3, s6, 8, v0
	v_lshlrev_b64 v[5:6], 2, v[3:4]
	v_mov_b32_e32 v18, s35
	v_add_co_u32_e32 v5, vcc, s34, v5
	v_addc_co_u32_e32 v6, vcc, v18, v6, vcc
	v_or_b32_e32 v3, 2.0, v33
	s_mov_b64 s[48:49], 0
	s_brev_b32 s55, -4
	s_mov_b32 s56, s6
	v_mov_b32_e32 v48, 0
	global_store_dword v[5:6], v3, off
                                        ; implicit-def: $sgpr50_sgpr51
	s_branch .LBB905_47
.LBB905_45:                             ;   in Loop: Header=BB905_47 Depth=1
	s_or_b64 exec, exec, s[52:53]
.LBB905_46:                             ;   in Loop: Header=BB905_47 Depth=1
	s_or_b64 exec, exec, s[50:51]
	v_and_b32_e32 v7, 0x3fffffff, v3
	v_add_u32_e32 v48, v7, v48
	v_cmp_gt_i32_e64 s[50:51], -2.0, v3
	s_and_b64 s[52:53], exec, s[50:51]
	s_or_b64 s[48:49], s[52:53], s[48:49]
	s_andn2_b64 exec, exec, s[48:49]
	s_cbranch_execz .LBB905_52
.LBB905_47:                             ; =>This Loop Header: Depth=1
                                        ;     Child Loop BB905_50 Depth 2
	s_or_b64 s[50:51], s[50:51], exec
	s_cmp_eq_u32 s56, 0
	s_cbranch_scc1 .LBB905_51
; %bb.48:                               ;   in Loop: Header=BB905_47 Depth=1
	s_add_i32 s56, s56, -1
	v_lshl_or_b32 v3, s56, 8, v0
	v_lshlrev_b64 v[7:8], 2, v[3:4]
	v_add_co_u32_e32 v7, vcc, s34, v7
	v_addc_co_u32_e32 v8, vcc, v18, v8, vcc
	global_load_dword v3, v[7:8], off glc
	s_waitcnt vmcnt(0)
	v_cmp_gt_u32_e32 vcc, 2.0, v3
	s_and_saveexec_b64 s[50:51], vcc
	s_cbranch_execz .LBB905_46
; %bb.49:                               ;   in Loop: Header=BB905_47 Depth=1
	s_mov_b64 s[52:53], 0
.LBB905_50:                             ;   Parent Loop BB905_47 Depth=1
                                        ; =>  This Inner Loop Header: Depth=2
	global_load_dword v3, v[7:8], off glc
	s_waitcnt vmcnt(0)
	v_cmp_lt_u32_e32 vcc, s55, v3
	s_or_b64 s[52:53], vcc, s[52:53]
	s_andn2_b64 exec, exec, s[52:53]
	s_cbranch_execnz .LBB905_50
	s_branch .LBB905_45
.LBB905_51:                             ;   in Loop: Header=BB905_47 Depth=1
                                        ; implicit-def: $sgpr56
	s_and_b64 s[52:53], exec, s[50:51]
	s_or_b64 s[48:49], s[52:53], s[48:49]
	s_andn2_b64 exec, exec, s[48:49]
	s_cbranch_execnz .LBB905_47
.LBB905_52:
	s_or_b64 exec, exec, s[48:49]
	v_add_u32_e32 v3, v48, v33
	v_or_b32_e32 v3, 0x80000000, v3
	global_store_dword v[5:6], v3, off
	global_load_dword v3, v37, s[28:29]
	v_sub_u32_e32 v4, v48, v32
	s_waitcnt vmcnt(0)
	v_add_u32_e32 v3, v4, v3
	ds_write_b32 v37, v3
.LBB905_53:
	s_or_b64 exec, exec, s[26:27]
	v_add_u32_e32 v48, v17, v19
	v_add3_u32 v5, v24, v23, v42
	v_add3_u32 v6, v26, v25, v43
	;; [unrolled: 1-line block ×7, first 2 shown]
	s_mov_b32 s50, 16
	s_mov_b32 s55, 0
	s_mov_b64 s[26:27], -1
	v_mov_b32_e32 v4, 0
	s_movk_i32 s51, 0x200
	s_movk_i32 s52, 0x400
	;; [unrolled: 1-line block ×3, first 2 shown]
	v_mov_b32_e32 v49, v48
	v_mov_b32_e32 v50, v0
	s_branch .LBB905_55
.LBB905_54:                             ;   in Loop: Header=BB905_55 Depth=1
	s_or_b64 exec, exec, s[48:49]
	s_xor_b64 s[48:49], s[26:27], -1
	v_add_u32_e32 v50, 0x800, v50
	v_add_u32_e32 v19, 0xfffff800, v19
	;; [unrolled: 1-line block ×9, first 2 shown]
	s_mov_b64 s[26:27], 0
	s_and_b64 vcc, exec, s[48:49]
	s_mov_b32 s55, s50
	s_waitcnt vmcnt(0)
	s_barrier
	s_cbranch_vccnz .LBB905_63
.LBB905_55:                             ; =>This Inner Loop Header: Depth=1
	v_min_u32_e32 v3, 0x800, v49
	v_lshlrev_b32_e32 v3, 2, v3
	ds_write_b32 v3, v16 offset:1024
	v_min_u32_e32 v3, 0x800, v5
	v_lshlrev_b32_e32 v3, 2, v3
	ds_write_b32 v3, v13 offset:1024
	;; [unrolled: 3-line block ×7, first 2 shown]
	v_min_u32_e32 v3, 0x800, v19
	v_lshlrev_b32_e32 v3, 2, v3
	v_cmp_gt_u32_e32 vcc, s7, v50
	ds_write_b32 v3, v10 offset:1024
	s_waitcnt lgkmcnt(0)
	s_barrier
	s_and_saveexec_b64 s[48:49], vcc
	s_cbranch_execz .LBB905_57
; %bb.56:                               ;   in Loop: Header=BB905_55 Depth=1
	ds_read_b32 v3, v37 offset:1024
	v_mov_b32_e32 v54, s39
	v_mov_b32_e32 v55, s55
	s_waitcnt lgkmcnt(0)
	v_lshrrev_b32_e32 v51, s44, v3
	v_and_b32_e32 v53, s54, v51
	v_lshlrev_b32_e32 v51, 2, v53
	ds_read_b32 v51, v51
	v_xor_b32_e32 v56, 0x80000000, v3
	buffer_store_dword v53, v55, s[0:3], 0 offen
	s_waitcnt lgkmcnt(0)
	v_add_u32_e32 v3, v50, v51
	v_lshlrev_b64 v[51:52], 2, v[3:4]
	v_add_co_u32_e32 v51, vcc, s38, v51
	v_addc_co_u32_e32 v52, vcc, v54, v52, vcc
	global_store_dword v[51:52], v56, off
.LBB905_57:                             ;   in Loop: Header=BB905_55 Depth=1
	s_or_b64 exec, exec, s[48:49]
	v_add_u32_e32 v3, 0x200, v50
	v_cmp_gt_u32_e32 vcc, s7, v3
	s_and_saveexec_b64 s[48:49], vcc
	s_cbranch_execz .LBB905_59
; %bb.58:                               ;   in Loop: Header=BB905_55 Depth=1
	ds_read_b32 v3, v37 offset:3072
	v_mov_b32_e32 v54, s39
	v_mov_b32_e32 v55, s55
	s_waitcnt lgkmcnt(0)
	v_lshrrev_b32_e32 v51, s44, v3
	v_and_b32_e32 v53, s54, v51
	v_lshlrev_b32_e32 v51, 2, v53
	ds_read_b32 v51, v51
	v_xor_b32_e32 v56, 0x80000000, v3
	buffer_store_dword v53, v55, s[0:3], 0 offen offset:4
	s_waitcnt lgkmcnt(0)
	v_add3_u32 v3, v50, v51, s51
	v_lshlrev_b64 v[51:52], 2, v[3:4]
	v_add_co_u32_e32 v51, vcc, s38, v51
	v_addc_co_u32_e32 v52, vcc, v54, v52, vcc
	global_store_dword v[51:52], v56, off
.LBB905_59:                             ;   in Loop: Header=BB905_55 Depth=1
	s_or_b64 exec, exec, s[48:49]
	v_add_u32_e32 v3, 0x400, v50
	v_cmp_gt_u32_e32 vcc, s7, v3
	s_and_saveexec_b64 s[48:49], vcc
	s_cbranch_execz .LBB905_61
; %bb.60:                               ;   in Loop: Header=BB905_55 Depth=1
	ds_read_b32 v3, v37 offset:5120
	v_mov_b32_e32 v54, s39
	v_mov_b32_e32 v55, s55
	s_waitcnt lgkmcnt(0)
	v_lshrrev_b32_e32 v51, s44, v3
	v_and_b32_e32 v53, s54, v51
	v_lshlrev_b32_e32 v51, 2, v53
	ds_read_b32 v51, v51
	v_xor_b32_e32 v56, 0x80000000, v3
	buffer_store_dword v53, v55, s[0:3], 0 offen offset:8
	s_waitcnt lgkmcnt(0)
	v_add3_u32 v3, v50, v51, s52
	v_lshlrev_b64 v[51:52], 2, v[3:4]
	v_add_co_u32_e32 v51, vcc, s38, v51
	v_addc_co_u32_e32 v52, vcc, v54, v52, vcc
	global_store_dword v[51:52], v56, off
.LBB905_61:                             ;   in Loop: Header=BB905_55 Depth=1
	s_or_b64 exec, exec, s[48:49]
	v_add_u32_e32 v3, 0x600, v50
	v_cmp_gt_u32_e32 vcc, s7, v3
	s_and_saveexec_b64 s[48:49], vcc
	s_cbranch_execz .LBB905_54
; %bb.62:                               ;   in Loop: Header=BB905_55 Depth=1
	ds_read_b32 v3, v37 offset:7168
	v_mov_b32_e32 v54, s39
	v_mov_b32_e32 v55, s55
	s_waitcnt lgkmcnt(0)
	v_lshrrev_b32_e32 v51, s44, v3
	v_and_b32_e32 v53, s54, v51
	v_lshlrev_b32_e32 v51, 2, v53
	ds_read_b32 v51, v51
	v_xor_b32_e32 v56, 0x80000000, v3
	buffer_store_dword v53, v55, s[0:3], 0 offen offset:12
	s_waitcnt lgkmcnt(0)
	v_add3_u32 v3, v50, v51, s53
	v_lshlrev_b64 v[51:52], 2, v[3:4]
	v_add_co_u32_e32 v51, vcc, s38, v51
	v_addc_co_u32_e32 v52, vcc, v54, v52, vcc
	global_store_dword v[51:52], v56, off
	s_branch .LBB905_54
.LBB905_63:
	s_lshl_b64 s[26:27], s[46:47], 3
	s_add_u32 s26, s40, s26
	s_addc_u32 s27, s41, s27
	v_lshlrev_b32_e32 v3, 3, v15
	v_mov_b32_e32 v4, s27
	v_add_co_u32_e32 v3, vcc, s26, v3
	v_addc_co_u32_e32 v4, vcc, 0, v4, vcc
	v_lshlrev_b32_e32 v5, 3, v14
	v_add_co_u32_e32 v19, vcc, v3, v5
	v_addc_co_u32_e32 v20, vcc, 0, v4, vcc
                                        ; implicit-def: $vgpr3_vgpr4
	s_and_saveexec_b64 s[26:27], s[24:25]
	s_cbranch_execz .LBB905_71
; %bb.64:
	global_load_dwordx2 v[3:4], v[19:20], off
	s_or_b64 exec, exec, s[26:27]
                                        ; implicit-def: $vgpr5_vgpr6
	s_and_saveexec_b64 s[24:25], s[8:9]
	s_cbranch_execnz .LBB905_72
.LBB905_65:
	s_or_b64 exec, exec, s[24:25]
                                        ; implicit-def: $vgpr7_vgpr8
	s_and_saveexec_b64 s[8:9], s[10:11]
	s_cbranch_execz .LBB905_73
.LBB905_66:
	global_load_dwordx2 v[7:8], v[19:20], off offset:1024
	s_or_b64 exec, exec, s[8:9]
                                        ; implicit-def: $vgpr9_vgpr10
	s_and_saveexec_b64 s[8:9], s[12:13]
	s_cbranch_execnz .LBB905_74
.LBB905_67:
	s_or_b64 exec, exec, s[8:9]
                                        ; implicit-def: $vgpr11_vgpr12
	s_and_saveexec_b64 s[8:9], s[14:15]
	s_cbranch_execz .LBB905_75
.LBB905_68:
	global_load_dwordx2 v[11:12], v[19:20], off offset:2048
	s_or_b64 exec, exec, s[8:9]
                                        ; implicit-def: $vgpr13_vgpr14
	s_and_saveexec_b64 s[8:9], s[16:17]
	s_cbranch_execnz .LBB905_76
.LBB905_69:
	s_or_b64 exec, exec, s[8:9]
                                        ; implicit-def: $vgpr15_vgpr16
	s_and_saveexec_b64 s[8:9], s[18:19]
	s_cbranch_execz .LBB905_77
.LBB905_70:
	global_load_dwordx2 v[15:16], v[19:20], off offset:3072
	s_or_b64 exec, exec, s[8:9]
                                        ; implicit-def: $vgpr17_vgpr18
	s_and_saveexec_b64 s[8:9], s[20:21]
	s_cbranch_execnz .LBB905_78
	s_branch .LBB905_79
.LBB905_71:
	s_or_b64 exec, exec, s[26:27]
                                        ; implicit-def: $vgpr5_vgpr6
	s_and_saveexec_b64 s[24:25], s[8:9]
	s_cbranch_execz .LBB905_65
.LBB905_72:
	global_load_dwordx2 v[5:6], v[19:20], off offset:512
	s_or_b64 exec, exec, s[24:25]
                                        ; implicit-def: $vgpr7_vgpr8
	s_and_saveexec_b64 s[8:9], s[10:11]
	s_cbranch_execnz .LBB905_66
.LBB905_73:
	s_or_b64 exec, exec, s[8:9]
                                        ; implicit-def: $vgpr9_vgpr10
	s_and_saveexec_b64 s[8:9], s[12:13]
	s_cbranch_execz .LBB905_67
.LBB905_74:
	global_load_dwordx2 v[9:10], v[19:20], off offset:1536
	s_or_b64 exec, exec, s[8:9]
                                        ; implicit-def: $vgpr11_vgpr12
	s_and_saveexec_b64 s[8:9], s[14:15]
	s_cbranch_execnz .LBB905_68
.LBB905_75:
	s_or_b64 exec, exec, s[8:9]
                                        ; implicit-def: $vgpr13_vgpr14
	s_and_saveexec_b64 s[8:9], s[16:17]
	s_cbranch_execz .LBB905_69
.LBB905_76:
	global_load_dwordx2 v[13:14], v[19:20], off offset:2560
	s_or_b64 exec, exec, s[8:9]
                                        ; implicit-def: $vgpr15_vgpr16
	s_and_saveexec_b64 s[8:9], s[18:19]
	s_cbranch_execnz .LBB905_70
.LBB905_77:
	s_or_b64 exec, exec, s[8:9]
                                        ; implicit-def: $vgpr17_vgpr18
	s_and_saveexec_b64 s[8:9], s[20:21]
	s_cbranch_execz .LBB905_79
.LBB905_78:
	global_load_dwordx2 v[17:18], v[19:20], off offset:3584
.LBB905_79:
	s_or_b64 exec, exec, s[8:9]
	v_add3_u32 v35, v41, v47, v39
	v_add3_u32 v36, v38, v46, v36
	;; [unrolled: 1-line block ×7, first 2 shown]
	s_mov_b32 s10, 0
	s_mov_b32 s11, 0
	v_mov_b32_e32 v20, 0
	s_movk_i32 s12, 0x200
	v_mov_b32_e32 v24, v0
	s_branch .LBB905_81
.LBB905_80:                             ;   in Loop: Header=BB905_81 Depth=1
	s_or_b64 exec, exec, s[8:9]
	s_addk_i32 s11, 0xfc00
	s_add_i32 s10, s10, 8
	s_cmpk_eq_i32 s11, 0xf000
	v_add_u32_e32 v24, 0x400, v24
	s_waitcnt vmcnt(0)
	s_barrier
	s_cbranch_scc1 .LBB905_85
.LBB905_81:                             ; =>This Inner Loop Header: Depth=1
	v_add_u32_e32 v19, s11, v48
	v_min_u32_e32 v19, 0x400, v19
	v_lshlrev_b32_e32 v19, 3, v19
	s_waitcnt vmcnt(0)
	ds_write_b64 v19, v[3:4] offset:1024
	v_add_u32_e32 v19, s11, v23
	v_min_u32_e32 v19, 0x400, v19
	v_lshlrev_b32_e32 v19, 3, v19
	ds_write_b64 v19, v[5:6] offset:1024
	v_add_u32_e32 v19, s11, v25
	v_min_u32_e32 v19, 0x400, v19
	v_lshlrev_b32_e32 v19, 3, v19
	;; [unrolled: 4-line block ×7, first 2 shown]
	v_cmp_gt_u32_e32 vcc, s7, v24
	ds_write_b64 v19, v[17:18] offset:1024
	s_waitcnt lgkmcnt(0)
	s_barrier
	s_and_saveexec_b64 s[8:9], vcc
	s_cbranch_execz .LBB905_83
; %bb.82:                               ;   in Loop: Header=BB905_81 Depth=1
	v_mov_b32_e32 v19, s10
	buffer_load_dword v19, v19, s[0:3], 0 offen
	v_mov_b32_e32 v26, s43
	s_waitcnt vmcnt(0)
	v_lshlrev_b32_e32 v19, 2, v19
	ds_read_b32 v19, v19
	ds_read_b64 v[38:39], v21 offset:1024
	s_waitcnt lgkmcnt(1)
	v_add_u32_e32 v19, v24, v19
	v_lshlrev_b64 v[40:41], 3, v[19:20]
	v_add_co_u32_e32 v40, vcc, s42, v40
	v_addc_co_u32_e32 v41, vcc, v26, v41, vcc
	s_waitcnt lgkmcnt(0)
	global_store_dwordx2 v[40:41], v[38:39], off
.LBB905_83:                             ;   in Loop: Header=BB905_81 Depth=1
	s_or_b64 exec, exec, s[8:9]
	v_add_u32_e32 v19, 0x200, v24
	v_cmp_gt_u32_e32 vcc, s7, v19
	s_and_saveexec_b64 s[8:9], vcc
	s_cbranch_execz .LBB905_80
; %bb.84:                               ;   in Loop: Header=BB905_81 Depth=1
	v_mov_b32_e32 v19, s10
	buffer_load_dword v19, v19, s[0:3], 0 offen offset:4
	v_mov_b32_e32 v26, s43
	s_waitcnt vmcnt(0)
	v_lshlrev_b32_e32 v19, 2, v19
	ds_read_b32 v19, v19
	ds_read_b64 v[38:39], v21 offset:5120
	s_waitcnt lgkmcnt(1)
	v_add3_u32 v19, v24, v19, s12
	v_lshlrev_b64 v[40:41], 3, v[19:20]
	v_add_co_u32_e32 v40, vcc, s42, v40
	v_addc_co_u32_e32 v41, vcc, v26, v41, vcc
	s_waitcnt lgkmcnt(0)
	global_store_dwordx2 v[40:41], v[38:39], off
	s_branch .LBB905_80
.LBB905_85:
	s_add_i32 s33, s33, -1
	s_cmp_eq_u32 s6, s33
	s_cselect_b64 s[8:9], -1, 0
	s_xor_b64 s[10:11], s[22:23], -1
	s_and_b64 s[10:11], s[10:11], s[8:9]
	s_and_saveexec_b64 s[8:9], s[10:11]
	s_cbranch_execz .LBB905_87
; %bb.86:
	ds_read_b32 v3, v37
	s_waitcnt lgkmcnt(0)
	v_add3_u32 v3, v32, v33, v3
	global_store_dword v37, v3, s[30:31]
.LBB905_87:
	s_or_b64 exec, exec, s[8:9]
	s_mov_b64 s[8:9], 0
.LBB905_88:
	s_and_b64 vcc, exec, s[8:9]
	s_cbranch_vccz .LBB905_131
; %bb.89:
	s_lshl_b32 s10, s6, 12
	s_mov_b32 s11, 0
	s_lshl_b64 s[8:9], s[10:11], 2
	v_mbcnt_hi_u32_b32 v5, -1, v22
	s_add_u32 s7, s36, s8
	v_and_b32_e32 v8, 63, v5
	s_addc_u32 s8, s37, s9
	v_lshlrev_b32_e32 v3, 2, v8
	v_and_b32_e32 v7, 0xe00, v21
	v_mov_b32_e32 v4, s8
	v_add_co_u32_e32 v3, vcc, s7, v3
	v_addc_co_u32_e32 v4, vcc, 0, v4, vcc
	v_lshlrev_b32_e32 v6, 2, v7
	v_add_co_u32_e32 v12, vcc, v3, v6
	v_addc_co_u32_e32 v13, vcc, 0, v4, vcc
	global_load_dword v4, v[12:13], off
	s_load_dword s8, s[4:5], 0x64
	s_load_dword s7, s[4:5], 0x58
	s_add_u32 s4, s4, 0x58
	s_addc_u32 s5, s5, 0
	v_mov_b32_e32 v3, 0
	s_waitcnt lgkmcnt(0)
	s_lshr_b32 s12, s8, 16
	s_cmp_lt_u32 s6, s7
	s_cselect_b32 s8, 12, 18
	s_add_u32 s4, s4, s8
	s_addc_u32 s5, s5, 0
	global_load_ushort v6, v3, s[4:5]
	global_load_dword v10, v[12:13], off offset:256
	global_load_dword v11, v[12:13], off offset:512
	;; [unrolled: 1-line block ×7, first 2 shown]
	s_lshl_b32 s4, -1, s45
	s_not_b32 s18, s4
	v_mad_u32_u24 v1, v2, s12, v1
	s_waitcnt vmcnt(8)
	v_xor_b32_e32 v9, 0x80000000, v4
	v_lshrrev_b32_e32 v4, s44, v9
	v_and_b32_e32 v15, s18, v4
	v_and_b32_e32 v12, 1, v15
	v_lshlrev_b32_e32 v4, 30, v15
	v_cmp_ne_u32_e32 vcc, 0, v12
	v_add_co_u32_e64 v12, s[8:9], -1, v12
	v_cmp_gt_i64_e64 s[4:5], 0, v[3:4]
	v_addc_co_u32_e64 v13, s[8:9], 0, -1, s[8:9]
	v_not_b32_e32 v16, v4
	v_lshlrev_b32_e32 v4, 29, v15
	v_xor_b32_e32 v13, vcc_hi, v13
	v_ashrrev_i32_e32 v16, 31, v16
	v_xor_b32_e32 v12, vcc_lo, v12
	v_cmp_gt_i64_e32 vcc, 0, v[3:4]
	v_not_b32_e32 v18, v4
	v_lshlrev_b32_e32 v4, 28, v15
	v_and_b32_e32 v13, exec_hi, v13
	v_xor_b32_e32 v19, s5, v16
	v_and_b32_e32 v12, exec_lo, v12
	v_xor_b32_e32 v16, s4, v16
	v_ashrrev_i32_e32 v18, 31, v18
	v_cmp_gt_i64_e64 s[4:5], 0, v[3:4]
	v_not_b32_e32 v20, v4
	v_lshlrev_b32_e32 v4, 27, v15
	v_and_b32_e32 v13, v13, v19
	v_and_b32_e32 v12, v12, v16
	v_xor_b32_e32 v16, vcc_hi, v18
	v_xor_b32_e32 v18, vcc_lo, v18
	v_ashrrev_i32_e32 v19, 31, v20
	v_cmp_gt_i64_e32 vcc, 0, v[3:4]
	v_not_b32_e32 v20, v4
	v_lshlrev_b32_e32 v4, 26, v15
	v_and_b32_e32 v13, v13, v16
	v_and_b32_e32 v12, v12, v18
	v_xor_b32_e32 v16, s5, v19
	v_xor_b32_e32 v18, s4, v19
	v_ashrrev_i32_e32 v19, 31, v20
	v_cmp_gt_i64_e64 s[4:5], 0, v[3:4]
	v_not_b32_e32 v20, v4
	v_lshlrev_b32_e32 v4, 25, v15
	v_and_b32_e32 v13, v13, v16
	v_and_b32_e32 v12, v12, v18
	v_xor_b32_e32 v16, vcc_hi, v19
	v_xor_b32_e32 v18, vcc_lo, v19
	v_ashrrev_i32_e32 v19, 31, v20
	v_cmp_gt_i64_e32 vcc, 0, v[3:4]
	v_not_b32_e32 v4, v4
	v_and_b32_e32 v13, v13, v16
	v_and_b32_e32 v12, v12, v18
	v_xor_b32_e32 v16, s5, v19
	v_xor_b32_e32 v18, s4, v19
	v_ashrrev_i32_e32 v4, 31, v4
	v_and_b32_e32 v13, v13, v16
	v_and_b32_e32 v12, v12, v18
	v_xor_b32_e32 v16, vcc_hi, v4
	v_xor_b32_e32 v4, vcc_lo, v4
	v_and_b32_e32 v18, v12, v4
	v_lshlrev_b32_e32 v4, 24, v15
	v_cmp_gt_i64_e32 vcc, 0, v[3:4]
	v_not_b32_e32 v4, v4
	v_and_b32_e32 v16, v13, v16
	v_ashrrev_i32_e32 v4, 31, v4
	s_waitcnt vmcnt(7)
	v_mad_u64_u32 v[12:13], s[4:5], v1, v6, v[0:1]
	v_xor_b32_e32 v19, vcc_hi, v4
	v_xor_b32_e32 v1, vcc_lo, v4
	v_mul_lo_u32 v4, v15, 36
	v_and_b32_e32 v1, v18, v1
	v_lshrrev_b32_e32 v27, 6, v12
	v_and_b32_e32 v2, v16, v19
	v_lshl_add_u32 v18, v27, 2, v4
	v_mbcnt_lo_u32_b32 v4, v1, 0
	v_mbcnt_hi_u32_b32 v12, v2, v4
	v_cmp_ne_u64_e32 vcc, 0, v[1:2]
	v_cmp_eq_u32_e64 s[4:5], 0, v12
	v_mul_u32_u24_e32 v6, 20, v0
	s_and_b64 s[8:9], vcc, s[4:5]
	ds_write2_b32 v6, v3, v3 offset0:8 offset1:9
	ds_write2_b32 v6, v3, v3 offset0:10 offset1:11
	ds_write_b32 v6, v3 offset:48
	s_waitcnt vmcnt(0) lgkmcnt(0)
	s_barrier
	; wave barrier
	s_and_saveexec_b64 s[4:5], s[8:9]
; %bb.90:
	v_bcnt_u32_b32 v1, v1, 0
	v_bcnt_u32_b32 v1, v2, v1
	ds_write_b32 v18, v1 offset:32
; %bb.91:
	s_or_b64 exec, exec, s[4:5]
	v_xor_b32_e32 v10, 0x80000000, v10
	v_lshrrev_b32_e32 v1, s44, v10
	v_and_b32_e32 v1, s18, v1
	v_mul_lo_u32 v2, v1, 36
	v_and_b32_e32 v4, 1, v1
	; wave barrier
	v_lshl_add_u32 v19, v27, 2, v2
	v_add_co_u32_e32 v2, vcc, -1, v4
	v_addc_co_u32_e64 v15, s[4:5], 0, -1, vcc
	v_cmp_ne_u32_e32 vcc, 0, v4
	v_xor_b32_e32 v4, vcc_hi, v15
	v_and_b32_e32 v15, exec_hi, v4
	v_lshlrev_b32_e32 v4, 30, v1
	v_xor_b32_e32 v2, vcc_lo, v2
	v_cmp_gt_i64_e32 vcc, 0, v[3:4]
	v_not_b32_e32 v4, v4
	v_ashrrev_i32_e32 v4, 31, v4
	v_and_b32_e32 v2, exec_lo, v2
	v_xor_b32_e32 v16, vcc_hi, v4
	v_xor_b32_e32 v4, vcc_lo, v4
	v_and_b32_e32 v2, v2, v4
	v_lshlrev_b32_e32 v4, 29, v1
	v_cmp_gt_i64_e32 vcc, 0, v[3:4]
	v_not_b32_e32 v4, v4
	v_ashrrev_i32_e32 v4, 31, v4
	v_and_b32_e32 v15, v15, v16
	v_xor_b32_e32 v16, vcc_hi, v4
	v_xor_b32_e32 v4, vcc_lo, v4
	v_and_b32_e32 v2, v2, v4
	v_lshlrev_b32_e32 v4, 28, v1
	v_cmp_gt_i64_e32 vcc, 0, v[3:4]
	v_not_b32_e32 v4, v4
	v_ashrrev_i32_e32 v4, 31, v4
	v_and_b32_e32 v15, v15, v16
	;; [unrolled: 8-line block ×5, first 2 shown]
	v_xor_b32_e32 v16, vcc_hi, v4
	v_xor_b32_e32 v4, vcc_lo, v4
	v_and_b32_e32 v15, v15, v16
	v_and_b32_e32 v16, v2, v4
	v_lshlrev_b32_e32 v4, 24, v1
	v_cmp_gt_i64_e32 vcc, 0, v[3:4]
	v_not_b32_e32 v1, v4
	v_ashrrev_i32_e32 v1, 31, v1
	v_xor_b32_e32 v2, vcc_hi, v1
	v_xor_b32_e32 v1, vcc_lo, v1
	ds_read_b32 v13, v19 offset:32
	v_and_b32_e32 v1, v16, v1
	v_and_b32_e32 v2, v15, v2
	v_mbcnt_lo_u32_b32 v3, v1, 0
	v_mbcnt_hi_u32_b32 v15, v2, v3
	v_cmp_ne_u64_e32 vcc, 0, v[1:2]
	v_cmp_eq_u32_e64 s[4:5], 0, v15
	s_and_b64 s[8:9], vcc, s[4:5]
	; wave barrier
	s_and_saveexec_b64 s[4:5], s[8:9]
	s_cbranch_execz .LBB905_93
; %bb.92:
	v_bcnt_u32_b32 v1, v1, 0
	v_bcnt_u32_b32 v1, v2, v1
	s_waitcnt lgkmcnt(0)
	v_add_u32_e32 v1, v13, v1
	ds_write_b32 v19, v1 offset:32
.LBB905_93:
	s_or_b64 exec, exec, s[4:5]
	v_xor_b32_e32 v11, 0x80000000, v11
	v_lshrrev_b32_e32 v1, s44, v11
	v_and_b32_e32 v3, s18, v1
	v_mul_lo_u32 v1, v3, 36
	v_and_b32_e32 v2, 1, v3
	v_add_co_u32_e32 v4, vcc, -1, v2
	v_addc_co_u32_e64 v20, s[4:5], 0, -1, vcc
	v_cmp_ne_u32_e32 vcc, 0, v2
	v_xor_b32_e32 v2, vcc_hi, v20
	v_lshl_add_u32 v25, v27, 2, v1
	v_mov_b32_e32 v1, 0
	v_and_b32_e32 v20, exec_hi, v2
	v_lshlrev_b32_e32 v2, 30, v3
	v_xor_b32_e32 v4, vcc_lo, v4
	v_cmp_gt_i64_e32 vcc, 0, v[1:2]
	v_not_b32_e32 v2, v2
	v_ashrrev_i32_e32 v2, 31, v2
	v_and_b32_e32 v4, exec_lo, v4
	v_xor_b32_e32 v22, vcc_hi, v2
	v_xor_b32_e32 v2, vcc_lo, v2
	v_and_b32_e32 v4, v4, v2
	v_lshlrev_b32_e32 v2, 29, v3
	v_cmp_gt_i64_e32 vcc, 0, v[1:2]
	v_not_b32_e32 v2, v2
	v_ashrrev_i32_e32 v2, 31, v2
	v_and_b32_e32 v20, v20, v22
	v_xor_b32_e32 v22, vcc_hi, v2
	v_xor_b32_e32 v2, vcc_lo, v2
	v_and_b32_e32 v4, v4, v2
	v_lshlrev_b32_e32 v2, 28, v3
	v_cmp_gt_i64_e32 vcc, 0, v[1:2]
	v_not_b32_e32 v2, v2
	v_ashrrev_i32_e32 v2, 31, v2
	v_and_b32_e32 v20, v20, v22
	;; [unrolled: 8-line block ×5, first 2 shown]
	v_xor_b32_e32 v22, vcc_hi, v2
	v_xor_b32_e32 v2, vcc_lo, v2
	v_and_b32_e32 v4, v4, v2
	v_lshlrev_b32_e32 v2, 24, v3
	v_cmp_gt_i64_e32 vcc, 0, v[1:2]
	v_not_b32_e32 v2, v2
	v_ashrrev_i32_e32 v2, 31, v2
	v_xor_b32_e32 v3, vcc_hi, v2
	v_xor_b32_e32 v2, vcc_lo, v2
	; wave barrier
	ds_read_b32 v16, v25 offset:32
	v_and_b32_e32 v20, v20, v22
	v_and_b32_e32 v2, v4, v2
	;; [unrolled: 1-line block ×3, first 2 shown]
	v_mbcnt_lo_u32_b32 v4, v2, 0
	v_mbcnt_hi_u32_b32 v20, v3, v4
	v_cmp_ne_u64_e32 vcc, 0, v[2:3]
	v_cmp_eq_u32_e64 s[4:5], 0, v20
	s_and_b64 s[8:9], vcc, s[4:5]
	; wave barrier
	s_and_saveexec_b64 s[4:5], s[8:9]
	s_cbranch_execz .LBB905_95
; %bb.94:
	v_bcnt_u32_b32 v2, v2, 0
	v_bcnt_u32_b32 v2, v3, v2
	s_waitcnt lgkmcnt(0)
	v_add_u32_e32 v2, v16, v2
	ds_write_b32 v25, v2 offset:32
.LBB905_95:
	s_or_b64 exec, exec, s[4:5]
	v_xor_b32_e32 v14, 0x80000000, v14
	v_lshrrev_b32_e32 v2, s44, v14
	v_and_b32_e32 v3, s18, v2
	v_mul_lo_u32 v2, v3, 36
	v_and_b32_e32 v4, 1, v3
	; wave barrier
	v_lshl_add_u32 v30, v27, 2, v2
	v_add_co_u32_e32 v2, vcc, -1, v4
	v_addc_co_u32_e64 v26, s[4:5], 0, -1, vcc
	v_cmp_ne_u32_e32 vcc, 0, v4
	v_xor_b32_e32 v2, vcc_lo, v2
	v_xor_b32_e32 v4, vcc_hi, v26
	v_and_b32_e32 v26, exec_lo, v2
	v_lshlrev_b32_e32 v2, 30, v3
	v_cmp_gt_i64_e32 vcc, 0, v[1:2]
	v_not_b32_e32 v2, v2
	v_ashrrev_i32_e32 v2, 31, v2
	v_xor_b32_e32 v28, vcc_hi, v2
	v_xor_b32_e32 v2, vcc_lo, v2
	v_and_b32_e32 v26, v26, v2
	v_lshlrev_b32_e32 v2, 29, v3
	v_cmp_gt_i64_e32 vcc, 0, v[1:2]
	v_not_b32_e32 v2, v2
	v_and_b32_e32 v4, exec_hi, v4
	v_ashrrev_i32_e32 v2, 31, v2
	v_and_b32_e32 v4, v4, v28
	v_xor_b32_e32 v28, vcc_hi, v2
	v_xor_b32_e32 v2, vcc_lo, v2
	v_and_b32_e32 v26, v26, v2
	v_lshlrev_b32_e32 v2, 28, v3
	v_cmp_gt_i64_e32 vcc, 0, v[1:2]
	v_not_b32_e32 v2, v2
	v_ashrrev_i32_e32 v2, 31, v2
	v_and_b32_e32 v4, v4, v28
	v_xor_b32_e32 v28, vcc_hi, v2
	v_xor_b32_e32 v2, vcc_lo, v2
	v_and_b32_e32 v26, v26, v2
	v_lshlrev_b32_e32 v2, 27, v3
	v_cmp_gt_i64_e32 vcc, 0, v[1:2]
	v_not_b32_e32 v2, v2
	;; [unrolled: 8-line block ×5, first 2 shown]
	v_ashrrev_i32_e32 v1, 31, v1
	v_xor_b32_e32 v2, vcc_hi, v1
	v_xor_b32_e32 v1, vcc_lo, v1
	ds_read_b32 v22, v30 offset:32
	v_and_b32_e32 v4, v4, v28
	v_and_b32_e32 v1, v26, v1
	;; [unrolled: 1-line block ×3, first 2 shown]
	v_mbcnt_lo_u32_b32 v3, v1, 0
	v_mbcnt_hi_u32_b32 v26, v2, v3
	v_cmp_ne_u64_e32 vcc, 0, v[1:2]
	v_cmp_eq_u32_e64 s[4:5], 0, v26
	s_and_b64 s[8:9], vcc, s[4:5]
	; wave barrier
	s_and_saveexec_b64 s[4:5], s[8:9]
	s_cbranch_execz .LBB905_97
; %bb.96:
	v_bcnt_u32_b32 v1, v1, 0
	v_bcnt_u32_b32 v1, v2, v1
	s_waitcnt lgkmcnt(0)
	v_add_u32_e32 v1, v22, v1
	ds_write_b32 v30, v1 offset:32
.LBB905_97:
	s_or_b64 exec, exec, s[4:5]
	v_xor_b32_e32 v17, 0x80000000, v17
	v_lshrrev_b32_e32 v1, s44, v17
	v_and_b32_e32 v3, s18, v1
	v_mul_lo_u32 v1, v3, 36
	v_and_b32_e32 v2, 1, v3
	v_add_co_u32_e32 v4, vcc, -1, v2
	v_addc_co_u32_e64 v31, s[4:5], 0, -1, vcc
	v_cmp_ne_u32_e32 vcc, 0, v2
	v_xor_b32_e32 v2, vcc_hi, v31
	v_lshl_add_u32 v34, v27, 2, v1
	v_mov_b32_e32 v1, 0
	v_and_b32_e32 v31, exec_hi, v2
	v_lshlrev_b32_e32 v2, 30, v3
	v_xor_b32_e32 v4, vcc_lo, v4
	v_cmp_gt_i64_e32 vcc, 0, v[1:2]
	v_not_b32_e32 v2, v2
	v_ashrrev_i32_e32 v2, 31, v2
	v_and_b32_e32 v4, exec_lo, v4
	v_xor_b32_e32 v32, vcc_hi, v2
	v_xor_b32_e32 v2, vcc_lo, v2
	v_and_b32_e32 v4, v4, v2
	v_lshlrev_b32_e32 v2, 29, v3
	v_cmp_gt_i64_e32 vcc, 0, v[1:2]
	v_not_b32_e32 v2, v2
	v_ashrrev_i32_e32 v2, 31, v2
	v_and_b32_e32 v31, v31, v32
	v_xor_b32_e32 v32, vcc_hi, v2
	v_xor_b32_e32 v2, vcc_lo, v2
	v_and_b32_e32 v4, v4, v2
	v_lshlrev_b32_e32 v2, 28, v3
	v_cmp_gt_i64_e32 vcc, 0, v[1:2]
	v_not_b32_e32 v2, v2
	v_ashrrev_i32_e32 v2, 31, v2
	v_and_b32_e32 v31, v31, v32
	;; [unrolled: 8-line block ×5, first 2 shown]
	v_xor_b32_e32 v32, vcc_hi, v2
	v_xor_b32_e32 v2, vcc_lo, v2
	v_and_b32_e32 v4, v4, v2
	v_lshlrev_b32_e32 v2, 24, v3
	v_cmp_gt_i64_e32 vcc, 0, v[1:2]
	v_not_b32_e32 v2, v2
	v_ashrrev_i32_e32 v2, 31, v2
	v_xor_b32_e32 v3, vcc_hi, v2
	v_xor_b32_e32 v2, vcc_lo, v2
	; wave barrier
	ds_read_b32 v28, v34 offset:32
	v_and_b32_e32 v31, v31, v32
	v_and_b32_e32 v2, v4, v2
	;; [unrolled: 1-line block ×3, first 2 shown]
	v_mbcnt_lo_u32_b32 v4, v2, 0
	v_mbcnt_hi_u32_b32 v31, v3, v4
	v_cmp_ne_u64_e32 vcc, 0, v[2:3]
	v_cmp_eq_u32_e64 s[4:5], 0, v31
	s_and_b64 s[8:9], vcc, s[4:5]
	; wave barrier
	s_and_saveexec_b64 s[4:5], s[8:9]
	s_cbranch_execz .LBB905_99
; %bb.98:
	v_bcnt_u32_b32 v2, v2, 0
	v_bcnt_u32_b32 v2, v3, v2
	s_waitcnt lgkmcnt(0)
	v_add_u32_e32 v2, v28, v2
	ds_write_b32 v34, v2 offset:32
.LBB905_99:
	s_or_b64 exec, exec, s[4:5]
	v_xor_b32_e32 v23, 0x80000000, v23
	v_lshrrev_b32_e32 v2, s44, v23
	v_and_b32_e32 v3, s18, v2
	v_mul_lo_u32 v2, v3, 36
	v_and_b32_e32 v4, 1, v3
	; wave barrier
	v_lshl_add_u32 v37, v27, 2, v2
	v_add_co_u32_e32 v2, vcc, -1, v4
	v_addc_co_u32_e64 v33, s[4:5], 0, -1, vcc
	v_cmp_ne_u32_e32 vcc, 0, v4
	v_xor_b32_e32 v2, vcc_lo, v2
	v_xor_b32_e32 v4, vcc_hi, v33
	v_and_b32_e32 v33, exec_lo, v2
	v_lshlrev_b32_e32 v2, 30, v3
	v_cmp_gt_i64_e32 vcc, 0, v[1:2]
	v_not_b32_e32 v2, v2
	v_ashrrev_i32_e32 v2, 31, v2
	v_xor_b32_e32 v35, vcc_hi, v2
	v_xor_b32_e32 v2, vcc_lo, v2
	v_and_b32_e32 v33, v33, v2
	v_lshlrev_b32_e32 v2, 29, v3
	v_cmp_gt_i64_e32 vcc, 0, v[1:2]
	v_not_b32_e32 v2, v2
	v_and_b32_e32 v4, exec_hi, v4
	v_ashrrev_i32_e32 v2, 31, v2
	v_and_b32_e32 v4, v4, v35
	v_xor_b32_e32 v35, vcc_hi, v2
	v_xor_b32_e32 v2, vcc_lo, v2
	v_and_b32_e32 v33, v33, v2
	v_lshlrev_b32_e32 v2, 28, v3
	v_cmp_gt_i64_e32 vcc, 0, v[1:2]
	v_not_b32_e32 v2, v2
	v_ashrrev_i32_e32 v2, 31, v2
	v_and_b32_e32 v4, v4, v35
	v_xor_b32_e32 v35, vcc_hi, v2
	v_xor_b32_e32 v2, vcc_lo, v2
	v_and_b32_e32 v33, v33, v2
	v_lshlrev_b32_e32 v2, 27, v3
	v_cmp_gt_i64_e32 vcc, 0, v[1:2]
	v_not_b32_e32 v2, v2
	;; [unrolled: 8-line block ×5, first 2 shown]
	v_ashrrev_i32_e32 v1, 31, v1
	v_xor_b32_e32 v2, vcc_hi, v1
	v_xor_b32_e32 v1, vcc_lo, v1
	ds_read_b32 v32, v37 offset:32
	v_and_b32_e32 v4, v4, v35
	v_and_b32_e32 v1, v33, v1
	;; [unrolled: 1-line block ×3, first 2 shown]
	v_mbcnt_lo_u32_b32 v3, v1, 0
	v_mbcnt_hi_u32_b32 v35, v2, v3
	v_cmp_ne_u64_e32 vcc, 0, v[1:2]
	v_cmp_eq_u32_e64 s[4:5], 0, v35
	s_and_b64 s[8:9], vcc, s[4:5]
	; wave barrier
	s_and_saveexec_b64 s[4:5], s[8:9]
	s_cbranch_execz .LBB905_101
; %bb.100:
	v_bcnt_u32_b32 v1, v1, 0
	v_bcnt_u32_b32 v1, v2, v1
	s_waitcnt lgkmcnt(0)
	v_add_u32_e32 v1, v32, v1
	ds_write_b32 v37, v1 offset:32
.LBB905_101:
	s_or_b64 exec, exec, s[4:5]
	v_xor_b32_e32 v29, 0x80000000, v29
	v_lshrrev_b32_e32 v1, s44, v29
	v_and_b32_e32 v3, s18, v1
	v_mul_lo_u32 v1, v3, 36
	v_and_b32_e32 v2, 1, v3
	v_add_co_u32_e32 v4, vcc, -1, v2
	v_addc_co_u32_e64 v33, s[4:5], 0, -1, vcc
	v_cmp_ne_u32_e32 vcc, 0, v2
	v_xor_b32_e32 v2, vcc_hi, v33
	v_lshl_add_u32 v39, v27, 2, v1
	v_mov_b32_e32 v1, 0
	v_and_b32_e32 v33, exec_hi, v2
	v_lshlrev_b32_e32 v2, 30, v3
	v_xor_b32_e32 v4, vcc_lo, v4
	v_cmp_gt_i64_e32 vcc, 0, v[1:2]
	v_not_b32_e32 v2, v2
	v_ashrrev_i32_e32 v2, 31, v2
	v_and_b32_e32 v4, exec_lo, v4
	v_xor_b32_e32 v38, vcc_hi, v2
	v_xor_b32_e32 v2, vcc_lo, v2
	v_and_b32_e32 v4, v4, v2
	v_lshlrev_b32_e32 v2, 29, v3
	v_cmp_gt_i64_e32 vcc, 0, v[1:2]
	v_not_b32_e32 v2, v2
	v_ashrrev_i32_e32 v2, 31, v2
	v_and_b32_e32 v33, v33, v38
	v_xor_b32_e32 v38, vcc_hi, v2
	v_xor_b32_e32 v2, vcc_lo, v2
	v_and_b32_e32 v4, v4, v2
	v_lshlrev_b32_e32 v2, 28, v3
	v_cmp_gt_i64_e32 vcc, 0, v[1:2]
	v_not_b32_e32 v2, v2
	v_ashrrev_i32_e32 v2, 31, v2
	v_and_b32_e32 v33, v33, v38
	;; [unrolled: 8-line block ×5, first 2 shown]
	v_xor_b32_e32 v38, vcc_hi, v2
	v_xor_b32_e32 v2, vcc_lo, v2
	v_and_b32_e32 v4, v4, v2
	v_lshlrev_b32_e32 v2, 24, v3
	v_cmp_gt_i64_e32 vcc, 0, v[1:2]
	v_not_b32_e32 v2, v2
	v_ashrrev_i32_e32 v2, 31, v2
	v_xor_b32_e32 v3, vcc_hi, v2
	v_xor_b32_e32 v2, vcc_lo, v2
	; wave barrier
	ds_read_b32 v36, v39 offset:32
	v_and_b32_e32 v33, v33, v38
	v_and_b32_e32 v2, v4, v2
	;; [unrolled: 1-line block ×3, first 2 shown]
	v_mbcnt_lo_u32_b32 v4, v2, 0
	v_mbcnt_hi_u32_b32 v38, v3, v4
	v_cmp_ne_u64_e32 vcc, 0, v[2:3]
	v_cmp_eq_u32_e64 s[4:5], 0, v38
	s_and_b64 s[8:9], vcc, s[4:5]
	; wave barrier
	s_and_saveexec_b64 s[4:5], s[8:9]
	s_cbranch_execz .LBB905_103
; %bb.102:
	v_bcnt_u32_b32 v2, v2, 0
	v_bcnt_u32_b32 v2, v3, v2
	s_waitcnt lgkmcnt(0)
	v_add_u32_e32 v2, v36, v2
	ds_write_b32 v39, v2 offset:32
.LBB905_103:
	s_or_b64 exec, exec, s[4:5]
	v_xor_b32_e32 v33, 0x80000000, v24
	v_lshrrev_b32_e32 v2, s44, v33
	v_and_b32_e32 v3, s18, v2
	v_mul_lo_u32 v2, v3, 36
	v_and_b32_e32 v4, 1, v3
	; wave barrier
	v_lshl_add_u32 v41, v27, 2, v2
	v_add_co_u32_e32 v2, vcc, -1, v4
	v_addc_co_u32_e64 v24, s[4:5], 0, -1, vcc
	v_cmp_ne_u32_e32 vcc, 0, v4
	v_xor_b32_e32 v2, vcc_lo, v2
	v_xor_b32_e32 v4, vcc_hi, v24
	v_and_b32_e32 v24, exec_lo, v2
	v_lshlrev_b32_e32 v2, 30, v3
	v_cmp_gt_i64_e32 vcc, 0, v[1:2]
	v_not_b32_e32 v2, v2
	v_ashrrev_i32_e32 v2, 31, v2
	v_xor_b32_e32 v40, vcc_hi, v2
	v_xor_b32_e32 v2, vcc_lo, v2
	v_and_b32_e32 v24, v24, v2
	v_lshlrev_b32_e32 v2, 29, v3
	v_cmp_gt_i64_e32 vcc, 0, v[1:2]
	v_not_b32_e32 v2, v2
	v_and_b32_e32 v4, exec_hi, v4
	v_ashrrev_i32_e32 v2, 31, v2
	v_and_b32_e32 v4, v4, v40
	v_xor_b32_e32 v40, vcc_hi, v2
	v_xor_b32_e32 v2, vcc_lo, v2
	v_and_b32_e32 v24, v24, v2
	v_lshlrev_b32_e32 v2, 28, v3
	v_cmp_gt_i64_e32 vcc, 0, v[1:2]
	v_not_b32_e32 v2, v2
	v_ashrrev_i32_e32 v2, 31, v2
	v_and_b32_e32 v4, v4, v40
	v_xor_b32_e32 v40, vcc_hi, v2
	v_xor_b32_e32 v2, vcc_lo, v2
	v_and_b32_e32 v24, v24, v2
	v_lshlrev_b32_e32 v2, 27, v3
	v_cmp_gt_i64_e32 vcc, 0, v[1:2]
	v_not_b32_e32 v2, v2
	v_ashrrev_i32_e32 v2, 31, v2
	v_and_b32_e32 v4, v4, v40
	v_xor_b32_e32 v40, vcc_hi, v2
	v_xor_b32_e32 v2, vcc_lo, v2
	v_and_b32_e32 v24, v24, v2
	v_lshlrev_b32_e32 v2, 26, v3
	v_cmp_gt_i64_e32 vcc, 0, v[1:2]
	v_not_b32_e32 v2, v2
	v_ashrrev_i32_e32 v2, 31, v2
	v_and_b32_e32 v4, v4, v40
	v_xor_b32_e32 v40, vcc_hi, v2
	v_xor_b32_e32 v2, vcc_lo, v2
	v_and_b32_e32 v24, v24, v2
	v_lshlrev_b32_e32 v2, 25, v3
	v_cmp_gt_i64_e32 vcc, 0, v[1:2]
	v_not_b32_e32 v2, v2
	v_ashrrev_i32_e32 v2, 31, v2
	v_and_b32_e32 v4, v4, v40
	v_xor_b32_e32 v40, vcc_hi, v2
	v_xor_b32_e32 v2, vcc_lo, v2
	v_and_b32_e32 v24, v24, v2
	v_lshlrev_b32_e32 v2, 24, v3
	v_cmp_gt_i64_e32 vcc, 0, v[1:2]
	v_not_b32_e32 v1, v2
	v_ashrrev_i32_e32 v1, 31, v1
	v_xor_b32_e32 v2, vcc_hi, v1
	v_xor_b32_e32 v1, vcc_lo, v1
	ds_read_b32 v27, v41 offset:32
	v_and_b32_e32 v4, v4, v40
	v_and_b32_e32 v1, v24, v1
	;; [unrolled: 1-line block ×3, first 2 shown]
	v_mbcnt_lo_u32_b32 v3, v1, 0
	v_mbcnt_hi_u32_b32 v40, v2, v3
	v_cmp_ne_u64_e32 vcc, 0, v[1:2]
	v_cmp_eq_u32_e64 s[4:5], 0, v40
	s_and_b64 s[8:9], vcc, s[4:5]
	; wave barrier
	s_and_saveexec_b64 s[4:5], s[8:9]
	s_cbranch_execz .LBB905_105
; %bb.104:
	v_bcnt_u32_b32 v1, v1, 0
	v_bcnt_u32_b32 v1, v2, v1
	s_waitcnt lgkmcnt(0)
	v_add_u32_e32 v1, v27, v1
	ds_write_b32 v41, v1 offset:32
.LBB905_105:
	s_or_b64 exec, exec, s[4:5]
	; wave barrier
	s_waitcnt lgkmcnt(0)
	s_barrier
	ds_read2_b32 v[3:4], v6 offset0:8 offset1:9
	ds_read2_b32 v[1:2], v6 offset0:10 offset1:11
	ds_read_b32 v24, v6 offset:48
	s_waitcnt lgkmcnt(1)
	v_add3_u32 v42, v4, v3, v1
	s_waitcnt lgkmcnt(0)
	v_add3_u32 v24, v42, v2, v24
	v_and_b32_e32 v42, 15, v5
	v_cmp_ne_u32_e32 vcc, 0, v42
	v_mov_b32_dpp v43, v24 row_shr:1 row_mask:0xf bank_mask:0xf
	v_cndmask_b32_e32 v43, 0, v43, vcc
	v_add_u32_e32 v24, v43, v24
	v_cmp_lt_u32_e32 vcc, 1, v42
	s_nop 0
	v_mov_b32_dpp v43, v24 row_shr:2 row_mask:0xf bank_mask:0xf
	v_cndmask_b32_e32 v43, 0, v43, vcc
	v_add_u32_e32 v24, v24, v43
	v_cmp_lt_u32_e32 vcc, 3, v42
	s_nop 0
	;; [unrolled: 5-line block ×3, first 2 shown]
	v_mov_b32_dpp v43, v24 row_shr:8 row_mask:0xf bank_mask:0xf
	v_cndmask_b32_e32 v42, 0, v43, vcc
	v_add_u32_e32 v24, v24, v42
	v_bfe_i32 v43, v5, 4, 1
	v_cmp_lt_u32_e32 vcc, 31, v5
	v_mov_b32_dpp v42, v24 row_bcast:15 row_mask:0xf bank_mask:0xf
	v_and_b32_e32 v42, v43, v42
	v_add_u32_e32 v24, v24, v42
	v_lshrrev_b32_e32 v43, 6, v0
	s_nop 0
	v_mov_b32_dpp v42, v24 row_bcast:31 row_mask:0xf bank_mask:0xf
	v_cndmask_b32_e32 v42, 0, v42, vcc
	v_add_u32_e32 v42, v24, v42
	v_or_b32_e32 v24, 63, v0
	v_cmp_eq_u32_e32 vcc, v0, v24
	s_and_saveexec_b64 s[4:5], vcc
; %bb.106:
	v_lshlrev_b32_e32 v24, 2, v43
	ds_write_b32 v24, v42
; %bb.107:
	s_or_b64 exec, exec, s[4:5]
	v_cmp_gt_u32_e32 vcc, 8, v0
	v_lshlrev_b32_e32 v24, 2, v0
	s_waitcnt lgkmcnt(0)
	s_barrier
	s_and_saveexec_b64 s[4:5], vcc
	s_cbranch_execz .LBB905_109
; %bb.108:
	ds_read_b32 v44, v24
	v_and_b32_e32 v45, 7, v5
	v_cmp_ne_u32_e32 vcc, 0, v45
	s_waitcnt lgkmcnt(0)
	v_mov_b32_dpp v46, v44 row_shr:1 row_mask:0xf bank_mask:0xf
	v_cndmask_b32_e32 v46, 0, v46, vcc
	v_add_u32_e32 v44, v46, v44
	v_cmp_lt_u32_e32 vcc, 1, v45
	s_nop 0
	v_mov_b32_dpp v46, v44 row_shr:2 row_mask:0xf bank_mask:0xf
	v_cndmask_b32_e32 v46, 0, v46, vcc
	v_add_u32_e32 v44, v44, v46
	v_cmp_lt_u32_e32 vcc, 3, v45
	s_nop 0
	v_mov_b32_dpp v46, v44 row_shr:4 row_mask:0xf bank_mask:0xf
	v_cndmask_b32_e32 v45, 0, v46, vcc
	v_add_u32_e32 v44, v44, v45
	ds_write_b32 v24, v44
.LBB905_109:
	s_or_b64 exec, exec, s[4:5]
	v_cmp_lt_u32_e32 vcc, 63, v0
	v_mov_b32_e32 v44, 0
	s_waitcnt lgkmcnt(0)
	s_barrier
	s_and_saveexec_b64 s[4:5], vcc
; %bb.110:
	v_lshl_add_u32 v43, v43, 2, -4
	ds_read_b32 v44, v43
; %bb.111:
	s_or_b64 exec, exec, s[4:5]
	v_subrev_co_u32_e32 v43, vcc, 1, v5
	v_and_b32_e32 v45, 64, v5
	v_cmp_lt_i32_e64 s[4:5], v43, v45
	v_cndmask_b32_e64 v5, v43, v5, s[4:5]
	s_waitcnt lgkmcnt(0)
	v_add_u32_e32 v42, v44, v42
	v_lshlrev_b32_e32 v5, 2, v5
	ds_bpermute_b32 v5, v5, v42
	s_movk_i32 s4, 0xff
	s_movk_i32 s8, 0x100
	v_cmp_lt_u32_e64 s[4:5], s4, v0
	s_waitcnt lgkmcnt(0)
	v_cndmask_b32_e32 v5, v5, v44, vcc
	v_cmp_ne_u32_e32 vcc, 0, v0
	v_cndmask_b32_e32 v5, 0, v5, vcc
	v_add_u32_e32 v3, v5, v3
	v_add_u32_e32 v4, v3, v4
	;; [unrolled: 1-line block ×4, first 2 shown]
	ds_write2_b32 v6, v5, v3 offset0:8 offset1:9
	ds_write2_b32 v6, v4, v1 offset0:10 offset1:11
	ds_write_b32 v6, v2 offset:48
	s_waitcnt lgkmcnt(0)
	s_barrier
	ds_read_b32 v45, v18 offset:32
	ds_read_b32 v18, v19 offset:32
	;; [unrolled: 1-line block ×8, first 2 shown]
	v_cmp_gt_u32_e32 vcc, s8, v0
                                        ; implicit-def: $vgpr19
                                        ; implicit-def: $vgpr25
	s_and_saveexec_b64 s[12:13], vcc
	s_cbranch_execz .LBB905_115
; %bb.112:
	v_mul_u32_u24_e32 v1, 36, v0
	ds_read_b32 v19, v1 offset:32
	v_add_u32_e32 v2, 1, v0
	v_cmp_ne_u32_e64 s[8:9], s8, v2
	v_mov_b32_e32 v1, 0x1000
	s_and_saveexec_b64 s[14:15], s[8:9]
; %bb.113:
	v_mul_u32_u24_e32 v1, 36, v2
	ds_read_b32 v1, v1 offset:32
; %bb.114:
	s_or_b64 exec, exec, s[14:15]
	s_waitcnt lgkmcnt(0)
	v_sub_u32_e32 v25, v1, v19
.LBB905_115:
	s_or_b64 exec, exec, s[12:13]
	v_mov_b32_e32 v2, 0
	s_waitcnt lgkmcnt(0)
	s_barrier
	s_and_saveexec_b64 s[8:9], vcc
	s_cbranch_execz .LBB905_125
; %bb.116:
	v_lshl_add_u32 v1, s6, 8, v0
	v_lshlrev_b64 v[3:4], 2, v[1:2]
	v_mov_b32_e32 v30, s35
	v_add_co_u32_e32 v3, vcc, s34, v3
	v_addc_co_u32_e32 v4, vcc, v30, v4, vcc
	v_or_b32_e32 v1, 2.0, v25
	s_mov_b64 s[12:13], 0
	s_brev_b32 s19, -4
	s_mov_b32 s20, s6
	v_mov_b32_e32 v41, 0
	global_store_dword v[3:4], v1, off
                                        ; implicit-def: $sgpr14_sgpr15
	s_branch .LBB905_119
.LBB905_117:                            ;   in Loop: Header=BB905_119 Depth=1
	s_or_b64 exec, exec, s[16:17]
.LBB905_118:                            ;   in Loop: Header=BB905_119 Depth=1
	s_or_b64 exec, exec, s[14:15]
	v_and_b32_e32 v5, 0x3fffffff, v1
	v_add_u32_e32 v41, v5, v41
	v_cmp_gt_i32_e64 s[14:15], -2.0, v1
	s_and_b64 s[16:17], exec, s[14:15]
	s_or_b64 s[12:13], s[16:17], s[12:13]
	s_andn2_b64 exec, exec, s[12:13]
	s_cbranch_execz .LBB905_124
.LBB905_119:                            ; =>This Loop Header: Depth=1
                                        ;     Child Loop BB905_122 Depth 2
	s_or_b64 s[14:15], s[14:15], exec
	s_cmp_eq_u32 s20, 0
	s_cbranch_scc1 .LBB905_123
; %bb.120:                              ;   in Loop: Header=BB905_119 Depth=1
	s_add_i32 s20, s20, -1
	v_lshl_or_b32 v1, s20, 8, v0
	v_lshlrev_b64 v[5:6], 2, v[1:2]
	v_add_co_u32_e32 v5, vcc, s34, v5
	v_addc_co_u32_e32 v6, vcc, v30, v6, vcc
	global_load_dword v1, v[5:6], off glc
	s_waitcnt vmcnt(0)
	v_cmp_gt_u32_e32 vcc, 2.0, v1
	s_and_saveexec_b64 s[14:15], vcc
	s_cbranch_execz .LBB905_118
; %bb.121:                              ;   in Loop: Header=BB905_119 Depth=1
	s_mov_b64 s[16:17], 0
.LBB905_122:                            ;   Parent Loop BB905_119 Depth=1
                                        ; =>  This Inner Loop Header: Depth=2
	global_load_dword v1, v[5:6], off glc
	s_waitcnt vmcnt(0)
	v_cmp_lt_u32_e32 vcc, s19, v1
	s_or_b64 s[16:17], vcc, s[16:17]
	s_andn2_b64 exec, exec, s[16:17]
	s_cbranch_execnz .LBB905_122
	s_branch .LBB905_117
.LBB905_123:                            ;   in Loop: Header=BB905_119 Depth=1
                                        ; implicit-def: $sgpr20
	s_and_b64 s[16:17], exec, s[14:15]
	s_or_b64 s[12:13], s[16:17], s[12:13]
	s_andn2_b64 exec, exec, s[12:13]
	s_cbranch_execnz .LBB905_119
.LBB905_124:
	s_or_b64 exec, exec, s[12:13]
	v_add_u32_e32 v1, v41, v25
	v_or_b32_e32 v1, 0x80000000, v1
	global_store_dword v[3:4], v1, off
	global_load_dword v1, v24, s[28:29]
	v_sub_u32_e32 v2, v41, v19
	s_waitcnt vmcnt(0)
	v_add_u32_e32 v1, v2, v1
	ds_write_b32 v24, v1
.LBB905_125:
	s_or_b64 exec, exec, s[8:9]
	v_add_u32_e32 v30, v45, v12
	s_mov_b32 s14, 16
	v_add3_u32 v27, v40, v39, v27
	v_add3_u32 v34, v38, v34, v36
	;; [unrolled: 1-line block ×7, first 2 shown]
	s_mov_b32 s20, 0
	s_mov_b64 s[12:13], -1
	s_mov_b32 s15, 0
	v_mov_b32_e32 v2, 0
	v_mov_b32_e32 v3, s39
	s_movk_i32 s16, 0x200
	s_movk_i32 s17, 0x400
	;; [unrolled: 1-line block ×3, first 2 shown]
	v_mov_b32_e32 v4, v0
.LBB905_126:                            ; =>This Inner Loop Header: Depth=1
	v_add_u32_e32 v1, s15, v30
	v_add_u32_e32 v5, s15, v26
	;; [unrolled: 1-line block ×8, first 2 shown]
	v_min_u32_e32 v1, 0x800, v1
	v_min_u32_e32 v5, 0x800, v5
	;; [unrolled: 1-line block ×8, first 2 shown]
	v_lshlrev_b32_e32 v1, 2, v1
	v_lshlrev_b32_e32 v5, 2, v5
	;; [unrolled: 1-line block ×8, first 2 shown]
	ds_write_b32 v1, v9 offset:1024
	ds_write_b32 v5, v10 offset:1024
	;; [unrolled: 1-line block ×8, first 2 shown]
	s_waitcnt lgkmcnt(0)
	s_barrier
	ds_read2st64_b32 v[5:6], v24 offset0:4 offset1:12
	ds_read2st64_b32 v[12:13], v24 offset0:20 offset1:28
	v_mov_b32_e32 v31, s20
	s_addk_i32 s15, 0xf800
	s_and_b64 vcc, exec, s[12:13]
	s_waitcnt lgkmcnt(1)
	v_lshrrev_b32_e32 v1, s44, v5
	v_xor_b32_e32 v18, 0x80000000, v5
	v_lshrrev_b32_e32 v5, s44, v6
	v_xor_b32_e32 v35, 0x80000000, v6
	s_waitcnt lgkmcnt(0)
	v_lshrrev_b32_e32 v6, s44, v12
	v_xor_b32_e32 v36, 0x80000000, v12
	v_lshrrev_b32_e32 v12, s44, v13
	v_and_b32_e32 v1, s18, v1
	v_and_b32_e32 v5, s18, v5
	;; [unrolled: 1-line block ×4, first 2 shown]
	v_xor_b32_e32 v37, 0x80000000, v13
	v_lshlrev_b32_e32 v13, 2, v1
	buffer_store_dword v1, v31, s[0:3], 0 offen
	buffer_store_dword v5, v31, s[0:3], 0 offen offset:4
	buffer_store_dword v6, v31, s[0:3], 0 offen offset:8
	buffer_store_dword v12, v31, s[0:3], 0 offen offset:12
	v_lshlrev_b32_e32 v1, 2, v5
	v_lshlrev_b32_e32 v5, 2, v6
	v_lshlrev_b32_e32 v6, 2, v12
	ds_read_b32 v12, v13
	ds_read_b32 v13, v1
	;; [unrolled: 1-line block ×4, first 2 shown]
	s_mov_b64 s[12:13], 0
	s_waitcnt lgkmcnt(3)
	v_add_u32_e32 v1, v4, v12
	v_lshlrev_b64 v[5:6], 2, v[1:2]
	s_waitcnt lgkmcnt(2)
	v_add3_u32 v1, v4, v13, s16
	v_lshlrev_b64 v[12:13], 2, v[1:2]
	v_add_co_u32_e64 v5, s[8:9], s38, v5
	s_waitcnt lgkmcnt(1)
	v_add3_u32 v1, v4, v15, s17
	v_addc_co_u32_e64 v6, s[8:9], v3, v6, s[8:9]
	v_lshlrev_b64 v[15:16], 2, v[1:2]
	global_store_dword v[5:6], v18, off
	v_add_co_u32_e64 v5, s[8:9], s38, v12
	s_waitcnt lgkmcnt(0)
	v_add3_u32 v1, v4, v31, s19
	v_addc_co_u32_e64 v6, s[8:9], v3, v13, s[8:9]
	v_lshlrev_b64 v[12:13], 2, v[1:2]
	global_store_dword v[5:6], v35, off
	v_add_co_u32_e64 v5, s[8:9], s38, v15
	v_addc_co_u32_e64 v6, s[8:9], v3, v16, s[8:9]
	global_store_dword v[5:6], v36, off
	v_add_co_u32_e64 v5, s[8:9], s38, v12
	s_mov_b32 s20, s14
	v_add_u32_e32 v4, 0x800, v4
	v_addc_co_u32_e64 v6, s[8:9], v3, v13, s[8:9]
	global_store_dword v[5:6], v37, off
	s_waitcnt vmcnt(0)
	s_barrier
	s_cbranch_vccnz .LBB905_126
; %bb.127:
	s_lshl_b64 s[8:9], s[10:11], 3
	s_add_u32 s8, s40, s8
	s_addc_u32 s9, s41, s9
	v_lshlrev_b32_e32 v1, 3, v8
	v_mov_b32_e32 v2, s9
	v_add_co_u32_e32 v1, vcc, s8, v1
	v_addc_co_u32_e32 v2, vcc, 0, v2, vcc
	v_lshlrev_b32_e32 v3, 3, v7
	v_add_co_u32_e32 v17, vcc, v1, v3
	v_addc_co_u32_e32 v18, vcc, 0, v2, vcc
	global_load_dwordx2 v[1:2], v[17:18], off
	global_load_dwordx2 v[3:4], v[17:18], off offset:512
	global_load_dwordx2 v[5:6], v[17:18], off offset:1024
	;; [unrolled: 1-line block ×7, first 2 shown]
	v_mov_b32_e32 v18, 0
	s_mov_b32 s8, 0
	s_mov_b32 s9, 0
	v_mov_b32_e32 v23, s43
	s_movk_i32 s10, 0x200
.LBB905_128:                            ; =>This Inner Loop Header: Depth=1
	v_add_u32_e32 v17, s9, v30
	v_add_u32_e32 v29, s9, v26
	;; [unrolled: 1-line block ×8, first 2 shown]
	v_min_u32_e32 v17, 0x400, v17
	v_min_u32_e32 v29, 0x400, v29
	v_mov_b32_e32 v39, s8
	v_min_u32_e32 v31, 0x400, v31
	v_min_u32_e32 v33, 0x400, v33
	;; [unrolled: 1-line block ×6, first 2 shown]
	v_lshlrev_b32_e32 v17, 3, v17
	v_lshlrev_b32_e32 v29, 3, v29
	;; [unrolled: 1-line block ×8, first 2 shown]
	s_waitcnt vmcnt(7)
	ds_write_b64 v17, v[1:2] offset:1024
	s_waitcnt vmcnt(6)
	ds_write_b64 v29, v[3:4] offset:1024
	;; [unrolled: 2-line block ×8, first 2 shown]
	s_waitcnt lgkmcnt(0)
	s_barrier
	buffer_load_dword v17, v39, s[0:3], 0 offen
	buffer_load_dword v29, v39, s[0:3], 0 offen offset:4
	ds_read2st64_b64 v[35:38], v21 offset0:2 offset1:10
	s_addk_i32 s9, 0xfc00
	s_add_i32 s8, s8, 8
	s_cmpk_lg_i32 s9, 0xf000
	s_waitcnt vmcnt(1)
	v_lshlrev_b32_e32 v17, 2, v17
	s_waitcnt vmcnt(0)
	v_lshlrev_b32_e32 v29, 2, v29
	ds_read_b32 v17, v17
	ds_read_b32 v29, v29
	s_waitcnt lgkmcnt(1)
	v_add_u32_e32 v17, v0, v17
	v_lshlrev_b64 v[39:40], 3, v[17:18]
	s_waitcnt lgkmcnt(0)
	v_add3_u32 v17, v0, v29, s10
	v_lshlrev_b64 v[41:42], 3, v[17:18]
	v_add_co_u32_e32 v39, vcc, s42, v39
	v_addc_co_u32_e32 v40, vcc, v23, v40, vcc
	global_store_dwordx2 v[39:40], v[35:36], off
	v_add_co_u32_e32 v35, vcc, s42, v41
	v_add_u32_e32 v0, 0x400, v0
	v_addc_co_u32_e32 v36, vcc, v23, v42, vcc
	global_store_dwordx2 v[35:36], v[37:38], off
	s_waitcnt vmcnt(0)
	s_barrier
	s_cbranch_scc1 .LBB905_128
; %bb.129:
	s_add_i32 s7, s7, -1
	s_cmp_eq_u32 s6, s7
	s_cselect_b64 s[6:7], -1, 0
	s_xor_b64 s[4:5], s[4:5], -1
	s_and_b64 s[4:5], s[4:5], s[6:7]
	s_and_saveexec_b64 s[6:7], s[4:5]
	s_cbranch_execz .LBB905_131
; %bb.130:
	ds_read_b32 v0, v24
	s_waitcnt lgkmcnt(0)
	v_add3_u32 v0, v19, v25, v0
	global_store_dword v24, v0, s[30:31]
.LBB905_131:
	s_endpgm
	.section	.rodata,"a",@progbits
	.p2align	6, 0x0
	.amdhsa_kernel _ZN7rocprim17ROCPRIM_400000_NS6detail17trampoline_kernelINS0_14default_configENS1_35radix_sort_onesweep_config_selectorIilEEZZNS1_29radix_sort_onesweep_iterationIS3_Lb0EPiS7_N6thrust23THRUST_200600_302600_NS10device_ptrIlEESB_jNS0_19identity_decomposerENS1_16block_id_wrapperIjLb0EEEEE10hipError_tT1_PNSt15iterator_traitsISG_E10value_typeET2_T3_PNSH_ISM_E10value_typeET4_T5_PSR_SS_PNS1_23onesweep_lookback_stateEbbT6_jjT7_P12ihipStream_tbENKUlT_T0_SG_SL_E_clIS7_S7_SB_PlEEDaSZ_S10_SG_SL_EUlSZ_E_NS1_11comp_targetILNS1_3genE2ELNS1_11target_archE906ELNS1_3gpuE6ELNS1_3repE0EEENS1_47radix_sort_onesweep_sort_config_static_selectorELNS0_4arch9wavefront6targetE1EEEvSG_
		.amdhsa_group_segment_fixed_size 10280
		.amdhsa_private_segment_fixed_size 48
		.amdhsa_kernarg_size 344
		.amdhsa_user_sgpr_count 6
		.amdhsa_user_sgpr_private_segment_buffer 1
		.amdhsa_user_sgpr_dispatch_ptr 0
		.amdhsa_user_sgpr_queue_ptr 0
		.amdhsa_user_sgpr_kernarg_segment_ptr 1
		.amdhsa_user_sgpr_dispatch_id 0
		.amdhsa_user_sgpr_flat_scratch_init 0
		.amdhsa_user_sgpr_private_segment_size 0
		.amdhsa_uses_dynamic_stack 0
		.amdhsa_system_sgpr_private_segment_wavefront_offset 1
		.amdhsa_system_sgpr_workgroup_id_x 1
		.amdhsa_system_sgpr_workgroup_id_y 0
		.amdhsa_system_sgpr_workgroup_id_z 0
		.amdhsa_system_sgpr_workgroup_info 0
		.amdhsa_system_vgpr_workitem_id 2
		.amdhsa_next_free_vgpr 57
		.amdhsa_next_free_sgpr 57
		.amdhsa_reserve_vcc 1
		.amdhsa_reserve_flat_scratch 0
		.amdhsa_float_round_mode_32 0
		.amdhsa_float_round_mode_16_64 0
		.amdhsa_float_denorm_mode_32 3
		.amdhsa_float_denorm_mode_16_64 3
		.amdhsa_dx10_clamp 1
		.amdhsa_ieee_mode 1
		.amdhsa_fp16_overflow 0
		.amdhsa_exception_fp_ieee_invalid_op 0
		.amdhsa_exception_fp_denorm_src 0
		.amdhsa_exception_fp_ieee_div_zero 0
		.amdhsa_exception_fp_ieee_overflow 0
		.amdhsa_exception_fp_ieee_underflow 0
		.amdhsa_exception_fp_ieee_inexact 0
		.amdhsa_exception_int_div_zero 0
	.end_amdhsa_kernel
	.section	.text._ZN7rocprim17ROCPRIM_400000_NS6detail17trampoline_kernelINS0_14default_configENS1_35radix_sort_onesweep_config_selectorIilEEZZNS1_29radix_sort_onesweep_iterationIS3_Lb0EPiS7_N6thrust23THRUST_200600_302600_NS10device_ptrIlEESB_jNS0_19identity_decomposerENS1_16block_id_wrapperIjLb0EEEEE10hipError_tT1_PNSt15iterator_traitsISG_E10value_typeET2_T3_PNSH_ISM_E10value_typeET4_T5_PSR_SS_PNS1_23onesweep_lookback_stateEbbT6_jjT7_P12ihipStream_tbENKUlT_T0_SG_SL_E_clIS7_S7_SB_PlEEDaSZ_S10_SG_SL_EUlSZ_E_NS1_11comp_targetILNS1_3genE2ELNS1_11target_archE906ELNS1_3gpuE6ELNS1_3repE0EEENS1_47radix_sort_onesweep_sort_config_static_selectorELNS0_4arch9wavefront6targetE1EEEvSG_,"axG",@progbits,_ZN7rocprim17ROCPRIM_400000_NS6detail17trampoline_kernelINS0_14default_configENS1_35radix_sort_onesweep_config_selectorIilEEZZNS1_29radix_sort_onesweep_iterationIS3_Lb0EPiS7_N6thrust23THRUST_200600_302600_NS10device_ptrIlEESB_jNS0_19identity_decomposerENS1_16block_id_wrapperIjLb0EEEEE10hipError_tT1_PNSt15iterator_traitsISG_E10value_typeET2_T3_PNSH_ISM_E10value_typeET4_T5_PSR_SS_PNS1_23onesweep_lookback_stateEbbT6_jjT7_P12ihipStream_tbENKUlT_T0_SG_SL_E_clIS7_S7_SB_PlEEDaSZ_S10_SG_SL_EUlSZ_E_NS1_11comp_targetILNS1_3genE2ELNS1_11target_archE906ELNS1_3gpuE6ELNS1_3repE0EEENS1_47radix_sort_onesweep_sort_config_static_selectorELNS0_4arch9wavefront6targetE1EEEvSG_,comdat
.Lfunc_end905:
	.size	_ZN7rocprim17ROCPRIM_400000_NS6detail17trampoline_kernelINS0_14default_configENS1_35radix_sort_onesweep_config_selectorIilEEZZNS1_29radix_sort_onesweep_iterationIS3_Lb0EPiS7_N6thrust23THRUST_200600_302600_NS10device_ptrIlEESB_jNS0_19identity_decomposerENS1_16block_id_wrapperIjLb0EEEEE10hipError_tT1_PNSt15iterator_traitsISG_E10value_typeET2_T3_PNSH_ISM_E10value_typeET4_T5_PSR_SS_PNS1_23onesweep_lookback_stateEbbT6_jjT7_P12ihipStream_tbENKUlT_T0_SG_SL_E_clIS7_S7_SB_PlEEDaSZ_S10_SG_SL_EUlSZ_E_NS1_11comp_targetILNS1_3genE2ELNS1_11target_archE906ELNS1_3gpuE6ELNS1_3repE0EEENS1_47radix_sort_onesweep_sort_config_static_selectorELNS0_4arch9wavefront6targetE1EEEvSG_, .Lfunc_end905-_ZN7rocprim17ROCPRIM_400000_NS6detail17trampoline_kernelINS0_14default_configENS1_35radix_sort_onesweep_config_selectorIilEEZZNS1_29radix_sort_onesweep_iterationIS3_Lb0EPiS7_N6thrust23THRUST_200600_302600_NS10device_ptrIlEESB_jNS0_19identity_decomposerENS1_16block_id_wrapperIjLb0EEEEE10hipError_tT1_PNSt15iterator_traitsISG_E10value_typeET2_T3_PNSH_ISM_E10value_typeET4_T5_PSR_SS_PNS1_23onesweep_lookback_stateEbbT6_jjT7_P12ihipStream_tbENKUlT_T0_SG_SL_E_clIS7_S7_SB_PlEEDaSZ_S10_SG_SL_EUlSZ_E_NS1_11comp_targetILNS1_3genE2ELNS1_11target_archE906ELNS1_3gpuE6ELNS1_3repE0EEENS1_47radix_sort_onesweep_sort_config_static_selectorELNS0_4arch9wavefront6targetE1EEEvSG_
                                        ; -- End function
	.set _ZN7rocprim17ROCPRIM_400000_NS6detail17trampoline_kernelINS0_14default_configENS1_35radix_sort_onesweep_config_selectorIilEEZZNS1_29radix_sort_onesweep_iterationIS3_Lb0EPiS7_N6thrust23THRUST_200600_302600_NS10device_ptrIlEESB_jNS0_19identity_decomposerENS1_16block_id_wrapperIjLb0EEEEE10hipError_tT1_PNSt15iterator_traitsISG_E10value_typeET2_T3_PNSH_ISM_E10value_typeET4_T5_PSR_SS_PNS1_23onesweep_lookback_stateEbbT6_jjT7_P12ihipStream_tbENKUlT_T0_SG_SL_E_clIS7_S7_SB_PlEEDaSZ_S10_SG_SL_EUlSZ_E_NS1_11comp_targetILNS1_3genE2ELNS1_11target_archE906ELNS1_3gpuE6ELNS1_3repE0EEENS1_47radix_sort_onesweep_sort_config_static_selectorELNS0_4arch9wavefront6targetE1EEEvSG_.num_vgpr, 57
	.set _ZN7rocprim17ROCPRIM_400000_NS6detail17trampoline_kernelINS0_14default_configENS1_35radix_sort_onesweep_config_selectorIilEEZZNS1_29radix_sort_onesweep_iterationIS3_Lb0EPiS7_N6thrust23THRUST_200600_302600_NS10device_ptrIlEESB_jNS0_19identity_decomposerENS1_16block_id_wrapperIjLb0EEEEE10hipError_tT1_PNSt15iterator_traitsISG_E10value_typeET2_T3_PNSH_ISM_E10value_typeET4_T5_PSR_SS_PNS1_23onesweep_lookback_stateEbbT6_jjT7_P12ihipStream_tbENKUlT_T0_SG_SL_E_clIS7_S7_SB_PlEEDaSZ_S10_SG_SL_EUlSZ_E_NS1_11comp_targetILNS1_3genE2ELNS1_11target_archE906ELNS1_3gpuE6ELNS1_3repE0EEENS1_47radix_sort_onesweep_sort_config_static_selectorELNS0_4arch9wavefront6targetE1EEEvSG_.num_agpr, 0
	.set _ZN7rocprim17ROCPRIM_400000_NS6detail17trampoline_kernelINS0_14default_configENS1_35radix_sort_onesweep_config_selectorIilEEZZNS1_29radix_sort_onesweep_iterationIS3_Lb0EPiS7_N6thrust23THRUST_200600_302600_NS10device_ptrIlEESB_jNS0_19identity_decomposerENS1_16block_id_wrapperIjLb0EEEEE10hipError_tT1_PNSt15iterator_traitsISG_E10value_typeET2_T3_PNSH_ISM_E10value_typeET4_T5_PSR_SS_PNS1_23onesweep_lookback_stateEbbT6_jjT7_P12ihipStream_tbENKUlT_T0_SG_SL_E_clIS7_S7_SB_PlEEDaSZ_S10_SG_SL_EUlSZ_E_NS1_11comp_targetILNS1_3genE2ELNS1_11target_archE906ELNS1_3gpuE6ELNS1_3repE0EEENS1_47radix_sort_onesweep_sort_config_static_selectorELNS0_4arch9wavefront6targetE1EEEvSG_.numbered_sgpr, 57
	.set _ZN7rocprim17ROCPRIM_400000_NS6detail17trampoline_kernelINS0_14default_configENS1_35radix_sort_onesweep_config_selectorIilEEZZNS1_29radix_sort_onesweep_iterationIS3_Lb0EPiS7_N6thrust23THRUST_200600_302600_NS10device_ptrIlEESB_jNS0_19identity_decomposerENS1_16block_id_wrapperIjLb0EEEEE10hipError_tT1_PNSt15iterator_traitsISG_E10value_typeET2_T3_PNSH_ISM_E10value_typeET4_T5_PSR_SS_PNS1_23onesweep_lookback_stateEbbT6_jjT7_P12ihipStream_tbENKUlT_T0_SG_SL_E_clIS7_S7_SB_PlEEDaSZ_S10_SG_SL_EUlSZ_E_NS1_11comp_targetILNS1_3genE2ELNS1_11target_archE906ELNS1_3gpuE6ELNS1_3repE0EEENS1_47radix_sort_onesweep_sort_config_static_selectorELNS0_4arch9wavefront6targetE1EEEvSG_.num_named_barrier, 0
	.set _ZN7rocprim17ROCPRIM_400000_NS6detail17trampoline_kernelINS0_14default_configENS1_35radix_sort_onesweep_config_selectorIilEEZZNS1_29radix_sort_onesweep_iterationIS3_Lb0EPiS7_N6thrust23THRUST_200600_302600_NS10device_ptrIlEESB_jNS0_19identity_decomposerENS1_16block_id_wrapperIjLb0EEEEE10hipError_tT1_PNSt15iterator_traitsISG_E10value_typeET2_T3_PNSH_ISM_E10value_typeET4_T5_PSR_SS_PNS1_23onesweep_lookback_stateEbbT6_jjT7_P12ihipStream_tbENKUlT_T0_SG_SL_E_clIS7_S7_SB_PlEEDaSZ_S10_SG_SL_EUlSZ_E_NS1_11comp_targetILNS1_3genE2ELNS1_11target_archE906ELNS1_3gpuE6ELNS1_3repE0EEENS1_47radix_sort_onesweep_sort_config_static_selectorELNS0_4arch9wavefront6targetE1EEEvSG_.private_seg_size, 48
	.set _ZN7rocprim17ROCPRIM_400000_NS6detail17trampoline_kernelINS0_14default_configENS1_35radix_sort_onesweep_config_selectorIilEEZZNS1_29radix_sort_onesweep_iterationIS3_Lb0EPiS7_N6thrust23THRUST_200600_302600_NS10device_ptrIlEESB_jNS0_19identity_decomposerENS1_16block_id_wrapperIjLb0EEEEE10hipError_tT1_PNSt15iterator_traitsISG_E10value_typeET2_T3_PNSH_ISM_E10value_typeET4_T5_PSR_SS_PNS1_23onesweep_lookback_stateEbbT6_jjT7_P12ihipStream_tbENKUlT_T0_SG_SL_E_clIS7_S7_SB_PlEEDaSZ_S10_SG_SL_EUlSZ_E_NS1_11comp_targetILNS1_3genE2ELNS1_11target_archE906ELNS1_3gpuE6ELNS1_3repE0EEENS1_47radix_sort_onesweep_sort_config_static_selectorELNS0_4arch9wavefront6targetE1EEEvSG_.uses_vcc, 1
	.set _ZN7rocprim17ROCPRIM_400000_NS6detail17trampoline_kernelINS0_14default_configENS1_35radix_sort_onesweep_config_selectorIilEEZZNS1_29radix_sort_onesweep_iterationIS3_Lb0EPiS7_N6thrust23THRUST_200600_302600_NS10device_ptrIlEESB_jNS0_19identity_decomposerENS1_16block_id_wrapperIjLb0EEEEE10hipError_tT1_PNSt15iterator_traitsISG_E10value_typeET2_T3_PNSH_ISM_E10value_typeET4_T5_PSR_SS_PNS1_23onesweep_lookback_stateEbbT6_jjT7_P12ihipStream_tbENKUlT_T0_SG_SL_E_clIS7_S7_SB_PlEEDaSZ_S10_SG_SL_EUlSZ_E_NS1_11comp_targetILNS1_3genE2ELNS1_11target_archE906ELNS1_3gpuE6ELNS1_3repE0EEENS1_47radix_sort_onesweep_sort_config_static_selectorELNS0_4arch9wavefront6targetE1EEEvSG_.uses_flat_scratch, 0
	.set _ZN7rocprim17ROCPRIM_400000_NS6detail17trampoline_kernelINS0_14default_configENS1_35radix_sort_onesweep_config_selectorIilEEZZNS1_29radix_sort_onesweep_iterationIS3_Lb0EPiS7_N6thrust23THRUST_200600_302600_NS10device_ptrIlEESB_jNS0_19identity_decomposerENS1_16block_id_wrapperIjLb0EEEEE10hipError_tT1_PNSt15iterator_traitsISG_E10value_typeET2_T3_PNSH_ISM_E10value_typeET4_T5_PSR_SS_PNS1_23onesweep_lookback_stateEbbT6_jjT7_P12ihipStream_tbENKUlT_T0_SG_SL_E_clIS7_S7_SB_PlEEDaSZ_S10_SG_SL_EUlSZ_E_NS1_11comp_targetILNS1_3genE2ELNS1_11target_archE906ELNS1_3gpuE6ELNS1_3repE0EEENS1_47radix_sort_onesweep_sort_config_static_selectorELNS0_4arch9wavefront6targetE1EEEvSG_.has_dyn_sized_stack, 0
	.set _ZN7rocprim17ROCPRIM_400000_NS6detail17trampoline_kernelINS0_14default_configENS1_35radix_sort_onesweep_config_selectorIilEEZZNS1_29radix_sort_onesweep_iterationIS3_Lb0EPiS7_N6thrust23THRUST_200600_302600_NS10device_ptrIlEESB_jNS0_19identity_decomposerENS1_16block_id_wrapperIjLb0EEEEE10hipError_tT1_PNSt15iterator_traitsISG_E10value_typeET2_T3_PNSH_ISM_E10value_typeET4_T5_PSR_SS_PNS1_23onesweep_lookback_stateEbbT6_jjT7_P12ihipStream_tbENKUlT_T0_SG_SL_E_clIS7_S7_SB_PlEEDaSZ_S10_SG_SL_EUlSZ_E_NS1_11comp_targetILNS1_3genE2ELNS1_11target_archE906ELNS1_3gpuE6ELNS1_3repE0EEENS1_47radix_sort_onesweep_sort_config_static_selectorELNS0_4arch9wavefront6targetE1EEEvSG_.has_recursion, 0
	.set _ZN7rocprim17ROCPRIM_400000_NS6detail17trampoline_kernelINS0_14default_configENS1_35radix_sort_onesweep_config_selectorIilEEZZNS1_29radix_sort_onesweep_iterationIS3_Lb0EPiS7_N6thrust23THRUST_200600_302600_NS10device_ptrIlEESB_jNS0_19identity_decomposerENS1_16block_id_wrapperIjLb0EEEEE10hipError_tT1_PNSt15iterator_traitsISG_E10value_typeET2_T3_PNSH_ISM_E10value_typeET4_T5_PSR_SS_PNS1_23onesweep_lookback_stateEbbT6_jjT7_P12ihipStream_tbENKUlT_T0_SG_SL_E_clIS7_S7_SB_PlEEDaSZ_S10_SG_SL_EUlSZ_E_NS1_11comp_targetILNS1_3genE2ELNS1_11target_archE906ELNS1_3gpuE6ELNS1_3repE0EEENS1_47radix_sort_onesweep_sort_config_static_selectorELNS0_4arch9wavefront6targetE1EEEvSG_.has_indirect_call, 0
	.section	.AMDGPU.csdata,"",@progbits
; Kernel info:
; codeLenInByte = 11808
; TotalNumSgprs: 61
; NumVgprs: 57
; ScratchSize: 48
; MemoryBound: 0
; FloatMode: 240
; IeeeMode: 1
; LDSByteSize: 10280 bytes/workgroup (compile time only)
; SGPRBlocks: 7
; VGPRBlocks: 14
; NumSGPRsForWavesPerEU: 61
; NumVGPRsForWavesPerEU: 57
; Occupancy: 4
; WaveLimiterHint : 1
; COMPUTE_PGM_RSRC2:SCRATCH_EN: 1
; COMPUTE_PGM_RSRC2:USER_SGPR: 6
; COMPUTE_PGM_RSRC2:TRAP_HANDLER: 0
; COMPUTE_PGM_RSRC2:TGID_X_EN: 1
; COMPUTE_PGM_RSRC2:TGID_Y_EN: 0
; COMPUTE_PGM_RSRC2:TGID_Z_EN: 0
; COMPUTE_PGM_RSRC2:TIDIG_COMP_CNT: 2
	.section	.text._ZN7rocprim17ROCPRIM_400000_NS6detail17trampoline_kernelINS0_14default_configENS1_35radix_sort_onesweep_config_selectorIilEEZZNS1_29radix_sort_onesweep_iterationIS3_Lb0EPiS7_N6thrust23THRUST_200600_302600_NS10device_ptrIlEESB_jNS0_19identity_decomposerENS1_16block_id_wrapperIjLb0EEEEE10hipError_tT1_PNSt15iterator_traitsISG_E10value_typeET2_T3_PNSH_ISM_E10value_typeET4_T5_PSR_SS_PNS1_23onesweep_lookback_stateEbbT6_jjT7_P12ihipStream_tbENKUlT_T0_SG_SL_E_clIS7_S7_SB_PlEEDaSZ_S10_SG_SL_EUlSZ_E_NS1_11comp_targetILNS1_3genE4ELNS1_11target_archE910ELNS1_3gpuE8ELNS1_3repE0EEENS1_47radix_sort_onesweep_sort_config_static_selectorELNS0_4arch9wavefront6targetE1EEEvSG_,"axG",@progbits,_ZN7rocprim17ROCPRIM_400000_NS6detail17trampoline_kernelINS0_14default_configENS1_35radix_sort_onesweep_config_selectorIilEEZZNS1_29radix_sort_onesweep_iterationIS3_Lb0EPiS7_N6thrust23THRUST_200600_302600_NS10device_ptrIlEESB_jNS0_19identity_decomposerENS1_16block_id_wrapperIjLb0EEEEE10hipError_tT1_PNSt15iterator_traitsISG_E10value_typeET2_T3_PNSH_ISM_E10value_typeET4_T5_PSR_SS_PNS1_23onesweep_lookback_stateEbbT6_jjT7_P12ihipStream_tbENKUlT_T0_SG_SL_E_clIS7_S7_SB_PlEEDaSZ_S10_SG_SL_EUlSZ_E_NS1_11comp_targetILNS1_3genE4ELNS1_11target_archE910ELNS1_3gpuE8ELNS1_3repE0EEENS1_47radix_sort_onesweep_sort_config_static_selectorELNS0_4arch9wavefront6targetE1EEEvSG_,comdat
	.protected	_ZN7rocprim17ROCPRIM_400000_NS6detail17trampoline_kernelINS0_14default_configENS1_35radix_sort_onesweep_config_selectorIilEEZZNS1_29radix_sort_onesweep_iterationIS3_Lb0EPiS7_N6thrust23THRUST_200600_302600_NS10device_ptrIlEESB_jNS0_19identity_decomposerENS1_16block_id_wrapperIjLb0EEEEE10hipError_tT1_PNSt15iterator_traitsISG_E10value_typeET2_T3_PNSH_ISM_E10value_typeET4_T5_PSR_SS_PNS1_23onesweep_lookback_stateEbbT6_jjT7_P12ihipStream_tbENKUlT_T0_SG_SL_E_clIS7_S7_SB_PlEEDaSZ_S10_SG_SL_EUlSZ_E_NS1_11comp_targetILNS1_3genE4ELNS1_11target_archE910ELNS1_3gpuE8ELNS1_3repE0EEENS1_47radix_sort_onesweep_sort_config_static_selectorELNS0_4arch9wavefront6targetE1EEEvSG_ ; -- Begin function _ZN7rocprim17ROCPRIM_400000_NS6detail17trampoline_kernelINS0_14default_configENS1_35radix_sort_onesweep_config_selectorIilEEZZNS1_29radix_sort_onesweep_iterationIS3_Lb0EPiS7_N6thrust23THRUST_200600_302600_NS10device_ptrIlEESB_jNS0_19identity_decomposerENS1_16block_id_wrapperIjLb0EEEEE10hipError_tT1_PNSt15iterator_traitsISG_E10value_typeET2_T3_PNSH_ISM_E10value_typeET4_T5_PSR_SS_PNS1_23onesweep_lookback_stateEbbT6_jjT7_P12ihipStream_tbENKUlT_T0_SG_SL_E_clIS7_S7_SB_PlEEDaSZ_S10_SG_SL_EUlSZ_E_NS1_11comp_targetILNS1_3genE4ELNS1_11target_archE910ELNS1_3gpuE8ELNS1_3repE0EEENS1_47radix_sort_onesweep_sort_config_static_selectorELNS0_4arch9wavefront6targetE1EEEvSG_
	.globl	_ZN7rocprim17ROCPRIM_400000_NS6detail17trampoline_kernelINS0_14default_configENS1_35radix_sort_onesweep_config_selectorIilEEZZNS1_29radix_sort_onesweep_iterationIS3_Lb0EPiS7_N6thrust23THRUST_200600_302600_NS10device_ptrIlEESB_jNS0_19identity_decomposerENS1_16block_id_wrapperIjLb0EEEEE10hipError_tT1_PNSt15iterator_traitsISG_E10value_typeET2_T3_PNSH_ISM_E10value_typeET4_T5_PSR_SS_PNS1_23onesweep_lookback_stateEbbT6_jjT7_P12ihipStream_tbENKUlT_T0_SG_SL_E_clIS7_S7_SB_PlEEDaSZ_S10_SG_SL_EUlSZ_E_NS1_11comp_targetILNS1_3genE4ELNS1_11target_archE910ELNS1_3gpuE8ELNS1_3repE0EEENS1_47radix_sort_onesweep_sort_config_static_selectorELNS0_4arch9wavefront6targetE1EEEvSG_
	.p2align	8
	.type	_ZN7rocprim17ROCPRIM_400000_NS6detail17trampoline_kernelINS0_14default_configENS1_35radix_sort_onesweep_config_selectorIilEEZZNS1_29radix_sort_onesweep_iterationIS3_Lb0EPiS7_N6thrust23THRUST_200600_302600_NS10device_ptrIlEESB_jNS0_19identity_decomposerENS1_16block_id_wrapperIjLb0EEEEE10hipError_tT1_PNSt15iterator_traitsISG_E10value_typeET2_T3_PNSH_ISM_E10value_typeET4_T5_PSR_SS_PNS1_23onesweep_lookback_stateEbbT6_jjT7_P12ihipStream_tbENKUlT_T0_SG_SL_E_clIS7_S7_SB_PlEEDaSZ_S10_SG_SL_EUlSZ_E_NS1_11comp_targetILNS1_3genE4ELNS1_11target_archE910ELNS1_3gpuE8ELNS1_3repE0EEENS1_47radix_sort_onesweep_sort_config_static_selectorELNS0_4arch9wavefront6targetE1EEEvSG_,@function
_ZN7rocprim17ROCPRIM_400000_NS6detail17trampoline_kernelINS0_14default_configENS1_35radix_sort_onesweep_config_selectorIilEEZZNS1_29radix_sort_onesweep_iterationIS3_Lb0EPiS7_N6thrust23THRUST_200600_302600_NS10device_ptrIlEESB_jNS0_19identity_decomposerENS1_16block_id_wrapperIjLb0EEEEE10hipError_tT1_PNSt15iterator_traitsISG_E10value_typeET2_T3_PNSH_ISM_E10value_typeET4_T5_PSR_SS_PNS1_23onesweep_lookback_stateEbbT6_jjT7_P12ihipStream_tbENKUlT_T0_SG_SL_E_clIS7_S7_SB_PlEEDaSZ_S10_SG_SL_EUlSZ_E_NS1_11comp_targetILNS1_3genE4ELNS1_11target_archE910ELNS1_3gpuE8ELNS1_3repE0EEENS1_47radix_sort_onesweep_sort_config_static_selectorELNS0_4arch9wavefront6targetE1EEEvSG_: ; @_ZN7rocprim17ROCPRIM_400000_NS6detail17trampoline_kernelINS0_14default_configENS1_35radix_sort_onesweep_config_selectorIilEEZZNS1_29radix_sort_onesweep_iterationIS3_Lb0EPiS7_N6thrust23THRUST_200600_302600_NS10device_ptrIlEESB_jNS0_19identity_decomposerENS1_16block_id_wrapperIjLb0EEEEE10hipError_tT1_PNSt15iterator_traitsISG_E10value_typeET2_T3_PNSH_ISM_E10value_typeET4_T5_PSR_SS_PNS1_23onesweep_lookback_stateEbbT6_jjT7_P12ihipStream_tbENKUlT_T0_SG_SL_E_clIS7_S7_SB_PlEEDaSZ_S10_SG_SL_EUlSZ_E_NS1_11comp_targetILNS1_3genE4ELNS1_11target_archE910ELNS1_3gpuE8ELNS1_3repE0EEENS1_47radix_sort_onesweep_sort_config_static_selectorELNS0_4arch9wavefront6targetE1EEEvSG_
; %bb.0:
	.section	.rodata,"a",@progbits
	.p2align	6, 0x0
	.amdhsa_kernel _ZN7rocprim17ROCPRIM_400000_NS6detail17trampoline_kernelINS0_14default_configENS1_35radix_sort_onesweep_config_selectorIilEEZZNS1_29radix_sort_onesweep_iterationIS3_Lb0EPiS7_N6thrust23THRUST_200600_302600_NS10device_ptrIlEESB_jNS0_19identity_decomposerENS1_16block_id_wrapperIjLb0EEEEE10hipError_tT1_PNSt15iterator_traitsISG_E10value_typeET2_T3_PNSH_ISM_E10value_typeET4_T5_PSR_SS_PNS1_23onesweep_lookback_stateEbbT6_jjT7_P12ihipStream_tbENKUlT_T0_SG_SL_E_clIS7_S7_SB_PlEEDaSZ_S10_SG_SL_EUlSZ_E_NS1_11comp_targetILNS1_3genE4ELNS1_11target_archE910ELNS1_3gpuE8ELNS1_3repE0EEENS1_47radix_sort_onesweep_sort_config_static_selectorELNS0_4arch9wavefront6targetE1EEEvSG_
		.amdhsa_group_segment_fixed_size 0
		.amdhsa_private_segment_fixed_size 0
		.amdhsa_kernarg_size 88
		.amdhsa_user_sgpr_count 6
		.amdhsa_user_sgpr_private_segment_buffer 1
		.amdhsa_user_sgpr_dispatch_ptr 0
		.amdhsa_user_sgpr_queue_ptr 0
		.amdhsa_user_sgpr_kernarg_segment_ptr 1
		.amdhsa_user_sgpr_dispatch_id 0
		.amdhsa_user_sgpr_flat_scratch_init 0
		.amdhsa_user_sgpr_private_segment_size 0
		.amdhsa_uses_dynamic_stack 0
		.amdhsa_system_sgpr_private_segment_wavefront_offset 0
		.amdhsa_system_sgpr_workgroup_id_x 1
		.amdhsa_system_sgpr_workgroup_id_y 0
		.amdhsa_system_sgpr_workgroup_id_z 0
		.amdhsa_system_sgpr_workgroup_info 0
		.amdhsa_system_vgpr_workitem_id 0
		.amdhsa_next_free_vgpr 1
		.amdhsa_next_free_sgpr 0
		.amdhsa_reserve_vcc 0
		.amdhsa_reserve_flat_scratch 0
		.amdhsa_float_round_mode_32 0
		.amdhsa_float_round_mode_16_64 0
		.amdhsa_float_denorm_mode_32 3
		.amdhsa_float_denorm_mode_16_64 3
		.amdhsa_dx10_clamp 1
		.amdhsa_ieee_mode 1
		.amdhsa_fp16_overflow 0
		.amdhsa_exception_fp_ieee_invalid_op 0
		.amdhsa_exception_fp_denorm_src 0
		.amdhsa_exception_fp_ieee_div_zero 0
		.amdhsa_exception_fp_ieee_overflow 0
		.amdhsa_exception_fp_ieee_underflow 0
		.amdhsa_exception_fp_ieee_inexact 0
		.amdhsa_exception_int_div_zero 0
	.end_amdhsa_kernel
	.section	.text._ZN7rocprim17ROCPRIM_400000_NS6detail17trampoline_kernelINS0_14default_configENS1_35radix_sort_onesweep_config_selectorIilEEZZNS1_29radix_sort_onesweep_iterationIS3_Lb0EPiS7_N6thrust23THRUST_200600_302600_NS10device_ptrIlEESB_jNS0_19identity_decomposerENS1_16block_id_wrapperIjLb0EEEEE10hipError_tT1_PNSt15iterator_traitsISG_E10value_typeET2_T3_PNSH_ISM_E10value_typeET4_T5_PSR_SS_PNS1_23onesweep_lookback_stateEbbT6_jjT7_P12ihipStream_tbENKUlT_T0_SG_SL_E_clIS7_S7_SB_PlEEDaSZ_S10_SG_SL_EUlSZ_E_NS1_11comp_targetILNS1_3genE4ELNS1_11target_archE910ELNS1_3gpuE8ELNS1_3repE0EEENS1_47radix_sort_onesweep_sort_config_static_selectorELNS0_4arch9wavefront6targetE1EEEvSG_,"axG",@progbits,_ZN7rocprim17ROCPRIM_400000_NS6detail17trampoline_kernelINS0_14default_configENS1_35radix_sort_onesweep_config_selectorIilEEZZNS1_29radix_sort_onesweep_iterationIS3_Lb0EPiS7_N6thrust23THRUST_200600_302600_NS10device_ptrIlEESB_jNS0_19identity_decomposerENS1_16block_id_wrapperIjLb0EEEEE10hipError_tT1_PNSt15iterator_traitsISG_E10value_typeET2_T3_PNSH_ISM_E10value_typeET4_T5_PSR_SS_PNS1_23onesweep_lookback_stateEbbT6_jjT7_P12ihipStream_tbENKUlT_T0_SG_SL_E_clIS7_S7_SB_PlEEDaSZ_S10_SG_SL_EUlSZ_E_NS1_11comp_targetILNS1_3genE4ELNS1_11target_archE910ELNS1_3gpuE8ELNS1_3repE0EEENS1_47radix_sort_onesweep_sort_config_static_selectorELNS0_4arch9wavefront6targetE1EEEvSG_,comdat
.Lfunc_end906:
	.size	_ZN7rocprim17ROCPRIM_400000_NS6detail17trampoline_kernelINS0_14default_configENS1_35radix_sort_onesweep_config_selectorIilEEZZNS1_29radix_sort_onesweep_iterationIS3_Lb0EPiS7_N6thrust23THRUST_200600_302600_NS10device_ptrIlEESB_jNS0_19identity_decomposerENS1_16block_id_wrapperIjLb0EEEEE10hipError_tT1_PNSt15iterator_traitsISG_E10value_typeET2_T3_PNSH_ISM_E10value_typeET4_T5_PSR_SS_PNS1_23onesweep_lookback_stateEbbT6_jjT7_P12ihipStream_tbENKUlT_T0_SG_SL_E_clIS7_S7_SB_PlEEDaSZ_S10_SG_SL_EUlSZ_E_NS1_11comp_targetILNS1_3genE4ELNS1_11target_archE910ELNS1_3gpuE8ELNS1_3repE0EEENS1_47radix_sort_onesweep_sort_config_static_selectorELNS0_4arch9wavefront6targetE1EEEvSG_, .Lfunc_end906-_ZN7rocprim17ROCPRIM_400000_NS6detail17trampoline_kernelINS0_14default_configENS1_35radix_sort_onesweep_config_selectorIilEEZZNS1_29radix_sort_onesweep_iterationIS3_Lb0EPiS7_N6thrust23THRUST_200600_302600_NS10device_ptrIlEESB_jNS0_19identity_decomposerENS1_16block_id_wrapperIjLb0EEEEE10hipError_tT1_PNSt15iterator_traitsISG_E10value_typeET2_T3_PNSH_ISM_E10value_typeET4_T5_PSR_SS_PNS1_23onesweep_lookback_stateEbbT6_jjT7_P12ihipStream_tbENKUlT_T0_SG_SL_E_clIS7_S7_SB_PlEEDaSZ_S10_SG_SL_EUlSZ_E_NS1_11comp_targetILNS1_3genE4ELNS1_11target_archE910ELNS1_3gpuE8ELNS1_3repE0EEENS1_47radix_sort_onesweep_sort_config_static_selectorELNS0_4arch9wavefront6targetE1EEEvSG_
                                        ; -- End function
	.set _ZN7rocprim17ROCPRIM_400000_NS6detail17trampoline_kernelINS0_14default_configENS1_35radix_sort_onesweep_config_selectorIilEEZZNS1_29radix_sort_onesweep_iterationIS3_Lb0EPiS7_N6thrust23THRUST_200600_302600_NS10device_ptrIlEESB_jNS0_19identity_decomposerENS1_16block_id_wrapperIjLb0EEEEE10hipError_tT1_PNSt15iterator_traitsISG_E10value_typeET2_T3_PNSH_ISM_E10value_typeET4_T5_PSR_SS_PNS1_23onesweep_lookback_stateEbbT6_jjT7_P12ihipStream_tbENKUlT_T0_SG_SL_E_clIS7_S7_SB_PlEEDaSZ_S10_SG_SL_EUlSZ_E_NS1_11comp_targetILNS1_3genE4ELNS1_11target_archE910ELNS1_3gpuE8ELNS1_3repE0EEENS1_47radix_sort_onesweep_sort_config_static_selectorELNS0_4arch9wavefront6targetE1EEEvSG_.num_vgpr, 0
	.set _ZN7rocprim17ROCPRIM_400000_NS6detail17trampoline_kernelINS0_14default_configENS1_35radix_sort_onesweep_config_selectorIilEEZZNS1_29radix_sort_onesweep_iterationIS3_Lb0EPiS7_N6thrust23THRUST_200600_302600_NS10device_ptrIlEESB_jNS0_19identity_decomposerENS1_16block_id_wrapperIjLb0EEEEE10hipError_tT1_PNSt15iterator_traitsISG_E10value_typeET2_T3_PNSH_ISM_E10value_typeET4_T5_PSR_SS_PNS1_23onesweep_lookback_stateEbbT6_jjT7_P12ihipStream_tbENKUlT_T0_SG_SL_E_clIS7_S7_SB_PlEEDaSZ_S10_SG_SL_EUlSZ_E_NS1_11comp_targetILNS1_3genE4ELNS1_11target_archE910ELNS1_3gpuE8ELNS1_3repE0EEENS1_47radix_sort_onesweep_sort_config_static_selectorELNS0_4arch9wavefront6targetE1EEEvSG_.num_agpr, 0
	.set _ZN7rocprim17ROCPRIM_400000_NS6detail17trampoline_kernelINS0_14default_configENS1_35radix_sort_onesweep_config_selectorIilEEZZNS1_29radix_sort_onesweep_iterationIS3_Lb0EPiS7_N6thrust23THRUST_200600_302600_NS10device_ptrIlEESB_jNS0_19identity_decomposerENS1_16block_id_wrapperIjLb0EEEEE10hipError_tT1_PNSt15iterator_traitsISG_E10value_typeET2_T3_PNSH_ISM_E10value_typeET4_T5_PSR_SS_PNS1_23onesweep_lookback_stateEbbT6_jjT7_P12ihipStream_tbENKUlT_T0_SG_SL_E_clIS7_S7_SB_PlEEDaSZ_S10_SG_SL_EUlSZ_E_NS1_11comp_targetILNS1_3genE4ELNS1_11target_archE910ELNS1_3gpuE8ELNS1_3repE0EEENS1_47radix_sort_onesweep_sort_config_static_selectorELNS0_4arch9wavefront6targetE1EEEvSG_.numbered_sgpr, 0
	.set _ZN7rocprim17ROCPRIM_400000_NS6detail17trampoline_kernelINS0_14default_configENS1_35radix_sort_onesweep_config_selectorIilEEZZNS1_29radix_sort_onesweep_iterationIS3_Lb0EPiS7_N6thrust23THRUST_200600_302600_NS10device_ptrIlEESB_jNS0_19identity_decomposerENS1_16block_id_wrapperIjLb0EEEEE10hipError_tT1_PNSt15iterator_traitsISG_E10value_typeET2_T3_PNSH_ISM_E10value_typeET4_T5_PSR_SS_PNS1_23onesweep_lookback_stateEbbT6_jjT7_P12ihipStream_tbENKUlT_T0_SG_SL_E_clIS7_S7_SB_PlEEDaSZ_S10_SG_SL_EUlSZ_E_NS1_11comp_targetILNS1_3genE4ELNS1_11target_archE910ELNS1_3gpuE8ELNS1_3repE0EEENS1_47radix_sort_onesweep_sort_config_static_selectorELNS0_4arch9wavefront6targetE1EEEvSG_.num_named_barrier, 0
	.set _ZN7rocprim17ROCPRIM_400000_NS6detail17trampoline_kernelINS0_14default_configENS1_35radix_sort_onesweep_config_selectorIilEEZZNS1_29radix_sort_onesweep_iterationIS3_Lb0EPiS7_N6thrust23THRUST_200600_302600_NS10device_ptrIlEESB_jNS0_19identity_decomposerENS1_16block_id_wrapperIjLb0EEEEE10hipError_tT1_PNSt15iterator_traitsISG_E10value_typeET2_T3_PNSH_ISM_E10value_typeET4_T5_PSR_SS_PNS1_23onesweep_lookback_stateEbbT6_jjT7_P12ihipStream_tbENKUlT_T0_SG_SL_E_clIS7_S7_SB_PlEEDaSZ_S10_SG_SL_EUlSZ_E_NS1_11comp_targetILNS1_3genE4ELNS1_11target_archE910ELNS1_3gpuE8ELNS1_3repE0EEENS1_47radix_sort_onesweep_sort_config_static_selectorELNS0_4arch9wavefront6targetE1EEEvSG_.private_seg_size, 0
	.set _ZN7rocprim17ROCPRIM_400000_NS6detail17trampoline_kernelINS0_14default_configENS1_35radix_sort_onesweep_config_selectorIilEEZZNS1_29radix_sort_onesweep_iterationIS3_Lb0EPiS7_N6thrust23THRUST_200600_302600_NS10device_ptrIlEESB_jNS0_19identity_decomposerENS1_16block_id_wrapperIjLb0EEEEE10hipError_tT1_PNSt15iterator_traitsISG_E10value_typeET2_T3_PNSH_ISM_E10value_typeET4_T5_PSR_SS_PNS1_23onesweep_lookback_stateEbbT6_jjT7_P12ihipStream_tbENKUlT_T0_SG_SL_E_clIS7_S7_SB_PlEEDaSZ_S10_SG_SL_EUlSZ_E_NS1_11comp_targetILNS1_3genE4ELNS1_11target_archE910ELNS1_3gpuE8ELNS1_3repE0EEENS1_47radix_sort_onesweep_sort_config_static_selectorELNS0_4arch9wavefront6targetE1EEEvSG_.uses_vcc, 0
	.set _ZN7rocprim17ROCPRIM_400000_NS6detail17trampoline_kernelINS0_14default_configENS1_35radix_sort_onesweep_config_selectorIilEEZZNS1_29radix_sort_onesweep_iterationIS3_Lb0EPiS7_N6thrust23THRUST_200600_302600_NS10device_ptrIlEESB_jNS0_19identity_decomposerENS1_16block_id_wrapperIjLb0EEEEE10hipError_tT1_PNSt15iterator_traitsISG_E10value_typeET2_T3_PNSH_ISM_E10value_typeET4_T5_PSR_SS_PNS1_23onesweep_lookback_stateEbbT6_jjT7_P12ihipStream_tbENKUlT_T0_SG_SL_E_clIS7_S7_SB_PlEEDaSZ_S10_SG_SL_EUlSZ_E_NS1_11comp_targetILNS1_3genE4ELNS1_11target_archE910ELNS1_3gpuE8ELNS1_3repE0EEENS1_47radix_sort_onesweep_sort_config_static_selectorELNS0_4arch9wavefront6targetE1EEEvSG_.uses_flat_scratch, 0
	.set _ZN7rocprim17ROCPRIM_400000_NS6detail17trampoline_kernelINS0_14default_configENS1_35radix_sort_onesweep_config_selectorIilEEZZNS1_29radix_sort_onesweep_iterationIS3_Lb0EPiS7_N6thrust23THRUST_200600_302600_NS10device_ptrIlEESB_jNS0_19identity_decomposerENS1_16block_id_wrapperIjLb0EEEEE10hipError_tT1_PNSt15iterator_traitsISG_E10value_typeET2_T3_PNSH_ISM_E10value_typeET4_T5_PSR_SS_PNS1_23onesweep_lookback_stateEbbT6_jjT7_P12ihipStream_tbENKUlT_T0_SG_SL_E_clIS7_S7_SB_PlEEDaSZ_S10_SG_SL_EUlSZ_E_NS1_11comp_targetILNS1_3genE4ELNS1_11target_archE910ELNS1_3gpuE8ELNS1_3repE0EEENS1_47radix_sort_onesweep_sort_config_static_selectorELNS0_4arch9wavefront6targetE1EEEvSG_.has_dyn_sized_stack, 0
	.set _ZN7rocprim17ROCPRIM_400000_NS6detail17trampoline_kernelINS0_14default_configENS1_35radix_sort_onesweep_config_selectorIilEEZZNS1_29radix_sort_onesweep_iterationIS3_Lb0EPiS7_N6thrust23THRUST_200600_302600_NS10device_ptrIlEESB_jNS0_19identity_decomposerENS1_16block_id_wrapperIjLb0EEEEE10hipError_tT1_PNSt15iterator_traitsISG_E10value_typeET2_T3_PNSH_ISM_E10value_typeET4_T5_PSR_SS_PNS1_23onesweep_lookback_stateEbbT6_jjT7_P12ihipStream_tbENKUlT_T0_SG_SL_E_clIS7_S7_SB_PlEEDaSZ_S10_SG_SL_EUlSZ_E_NS1_11comp_targetILNS1_3genE4ELNS1_11target_archE910ELNS1_3gpuE8ELNS1_3repE0EEENS1_47radix_sort_onesweep_sort_config_static_selectorELNS0_4arch9wavefront6targetE1EEEvSG_.has_recursion, 0
	.set _ZN7rocprim17ROCPRIM_400000_NS6detail17trampoline_kernelINS0_14default_configENS1_35radix_sort_onesweep_config_selectorIilEEZZNS1_29radix_sort_onesweep_iterationIS3_Lb0EPiS7_N6thrust23THRUST_200600_302600_NS10device_ptrIlEESB_jNS0_19identity_decomposerENS1_16block_id_wrapperIjLb0EEEEE10hipError_tT1_PNSt15iterator_traitsISG_E10value_typeET2_T3_PNSH_ISM_E10value_typeET4_T5_PSR_SS_PNS1_23onesweep_lookback_stateEbbT6_jjT7_P12ihipStream_tbENKUlT_T0_SG_SL_E_clIS7_S7_SB_PlEEDaSZ_S10_SG_SL_EUlSZ_E_NS1_11comp_targetILNS1_3genE4ELNS1_11target_archE910ELNS1_3gpuE8ELNS1_3repE0EEENS1_47radix_sort_onesweep_sort_config_static_selectorELNS0_4arch9wavefront6targetE1EEEvSG_.has_indirect_call, 0
	.section	.AMDGPU.csdata,"",@progbits
; Kernel info:
; codeLenInByte = 0
; TotalNumSgprs: 4
; NumVgprs: 0
; ScratchSize: 0
; MemoryBound: 0
; FloatMode: 240
; IeeeMode: 1
; LDSByteSize: 0 bytes/workgroup (compile time only)
; SGPRBlocks: 0
; VGPRBlocks: 0
; NumSGPRsForWavesPerEU: 4
; NumVGPRsForWavesPerEU: 1
; Occupancy: 10
; WaveLimiterHint : 0
; COMPUTE_PGM_RSRC2:SCRATCH_EN: 0
; COMPUTE_PGM_RSRC2:USER_SGPR: 6
; COMPUTE_PGM_RSRC2:TRAP_HANDLER: 0
; COMPUTE_PGM_RSRC2:TGID_X_EN: 1
; COMPUTE_PGM_RSRC2:TGID_Y_EN: 0
; COMPUTE_PGM_RSRC2:TGID_Z_EN: 0
; COMPUTE_PGM_RSRC2:TIDIG_COMP_CNT: 0
	.section	.text._ZN7rocprim17ROCPRIM_400000_NS6detail17trampoline_kernelINS0_14default_configENS1_35radix_sort_onesweep_config_selectorIilEEZZNS1_29radix_sort_onesweep_iterationIS3_Lb0EPiS7_N6thrust23THRUST_200600_302600_NS10device_ptrIlEESB_jNS0_19identity_decomposerENS1_16block_id_wrapperIjLb0EEEEE10hipError_tT1_PNSt15iterator_traitsISG_E10value_typeET2_T3_PNSH_ISM_E10value_typeET4_T5_PSR_SS_PNS1_23onesweep_lookback_stateEbbT6_jjT7_P12ihipStream_tbENKUlT_T0_SG_SL_E_clIS7_S7_SB_PlEEDaSZ_S10_SG_SL_EUlSZ_E_NS1_11comp_targetILNS1_3genE3ELNS1_11target_archE908ELNS1_3gpuE7ELNS1_3repE0EEENS1_47radix_sort_onesweep_sort_config_static_selectorELNS0_4arch9wavefront6targetE1EEEvSG_,"axG",@progbits,_ZN7rocprim17ROCPRIM_400000_NS6detail17trampoline_kernelINS0_14default_configENS1_35radix_sort_onesweep_config_selectorIilEEZZNS1_29radix_sort_onesweep_iterationIS3_Lb0EPiS7_N6thrust23THRUST_200600_302600_NS10device_ptrIlEESB_jNS0_19identity_decomposerENS1_16block_id_wrapperIjLb0EEEEE10hipError_tT1_PNSt15iterator_traitsISG_E10value_typeET2_T3_PNSH_ISM_E10value_typeET4_T5_PSR_SS_PNS1_23onesweep_lookback_stateEbbT6_jjT7_P12ihipStream_tbENKUlT_T0_SG_SL_E_clIS7_S7_SB_PlEEDaSZ_S10_SG_SL_EUlSZ_E_NS1_11comp_targetILNS1_3genE3ELNS1_11target_archE908ELNS1_3gpuE7ELNS1_3repE0EEENS1_47radix_sort_onesweep_sort_config_static_selectorELNS0_4arch9wavefront6targetE1EEEvSG_,comdat
	.protected	_ZN7rocprim17ROCPRIM_400000_NS6detail17trampoline_kernelINS0_14default_configENS1_35radix_sort_onesweep_config_selectorIilEEZZNS1_29radix_sort_onesweep_iterationIS3_Lb0EPiS7_N6thrust23THRUST_200600_302600_NS10device_ptrIlEESB_jNS0_19identity_decomposerENS1_16block_id_wrapperIjLb0EEEEE10hipError_tT1_PNSt15iterator_traitsISG_E10value_typeET2_T3_PNSH_ISM_E10value_typeET4_T5_PSR_SS_PNS1_23onesweep_lookback_stateEbbT6_jjT7_P12ihipStream_tbENKUlT_T0_SG_SL_E_clIS7_S7_SB_PlEEDaSZ_S10_SG_SL_EUlSZ_E_NS1_11comp_targetILNS1_3genE3ELNS1_11target_archE908ELNS1_3gpuE7ELNS1_3repE0EEENS1_47radix_sort_onesweep_sort_config_static_selectorELNS0_4arch9wavefront6targetE1EEEvSG_ ; -- Begin function _ZN7rocprim17ROCPRIM_400000_NS6detail17trampoline_kernelINS0_14default_configENS1_35radix_sort_onesweep_config_selectorIilEEZZNS1_29radix_sort_onesweep_iterationIS3_Lb0EPiS7_N6thrust23THRUST_200600_302600_NS10device_ptrIlEESB_jNS0_19identity_decomposerENS1_16block_id_wrapperIjLb0EEEEE10hipError_tT1_PNSt15iterator_traitsISG_E10value_typeET2_T3_PNSH_ISM_E10value_typeET4_T5_PSR_SS_PNS1_23onesweep_lookback_stateEbbT6_jjT7_P12ihipStream_tbENKUlT_T0_SG_SL_E_clIS7_S7_SB_PlEEDaSZ_S10_SG_SL_EUlSZ_E_NS1_11comp_targetILNS1_3genE3ELNS1_11target_archE908ELNS1_3gpuE7ELNS1_3repE0EEENS1_47radix_sort_onesweep_sort_config_static_selectorELNS0_4arch9wavefront6targetE1EEEvSG_
	.globl	_ZN7rocprim17ROCPRIM_400000_NS6detail17trampoline_kernelINS0_14default_configENS1_35radix_sort_onesweep_config_selectorIilEEZZNS1_29radix_sort_onesweep_iterationIS3_Lb0EPiS7_N6thrust23THRUST_200600_302600_NS10device_ptrIlEESB_jNS0_19identity_decomposerENS1_16block_id_wrapperIjLb0EEEEE10hipError_tT1_PNSt15iterator_traitsISG_E10value_typeET2_T3_PNSH_ISM_E10value_typeET4_T5_PSR_SS_PNS1_23onesweep_lookback_stateEbbT6_jjT7_P12ihipStream_tbENKUlT_T0_SG_SL_E_clIS7_S7_SB_PlEEDaSZ_S10_SG_SL_EUlSZ_E_NS1_11comp_targetILNS1_3genE3ELNS1_11target_archE908ELNS1_3gpuE7ELNS1_3repE0EEENS1_47radix_sort_onesweep_sort_config_static_selectorELNS0_4arch9wavefront6targetE1EEEvSG_
	.p2align	8
	.type	_ZN7rocprim17ROCPRIM_400000_NS6detail17trampoline_kernelINS0_14default_configENS1_35radix_sort_onesweep_config_selectorIilEEZZNS1_29radix_sort_onesweep_iterationIS3_Lb0EPiS7_N6thrust23THRUST_200600_302600_NS10device_ptrIlEESB_jNS0_19identity_decomposerENS1_16block_id_wrapperIjLb0EEEEE10hipError_tT1_PNSt15iterator_traitsISG_E10value_typeET2_T3_PNSH_ISM_E10value_typeET4_T5_PSR_SS_PNS1_23onesweep_lookback_stateEbbT6_jjT7_P12ihipStream_tbENKUlT_T0_SG_SL_E_clIS7_S7_SB_PlEEDaSZ_S10_SG_SL_EUlSZ_E_NS1_11comp_targetILNS1_3genE3ELNS1_11target_archE908ELNS1_3gpuE7ELNS1_3repE0EEENS1_47radix_sort_onesweep_sort_config_static_selectorELNS0_4arch9wavefront6targetE1EEEvSG_,@function
_ZN7rocprim17ROCPRIM_400000_NS6detail17trampoline_kernelINS0_14default_configENS1_35radix_sort_onesweep_config_selectorIilEEZZNS1_29radix_sort_onesweep_iterationIS3_Lb0EPiS7_N6thrust23THRUST_200600_302600_NS10device_ptrIlEESB_jNS0_19identity_decomposerENS1_16block_id_wrapperIjLb0EEEEE10hipError_tT1_PNSt15iterator_traitsISG_E10value_typeET2_T3_PNSH_ISM_E10value_typeET4_T5_PSR_SS_PNS1_23onesweep_lookback_stateEbbT6_jjT7_P12ihipStream_tbENKUlT_T0_SG_SL_E_clIS7_S7_SB_PlEEDaSZ_S10_SG_SL_EUlSZ_E_NS1_11comp_targetILNS1_3genE3ELNS1_11target_archE908ELNS1_3gpuE7ELNS1_3repE0EEENS1_47radix_sort_onesweep_sort_config_static_selectorELNS0_4arch9wavefront6targetE1EEEvSG_: ; @_ZN7rocprim17ROCPRIM_400000_NS6detail17trampoline_kernelINS0_14default_configENS1_35radix_sort_onesweep_config_selectorIilEEZZNS1_29radix_sort_onesweep_iterationIS3_Lb0EPiS7_N6thrust23THRUST_200600_302600_NS10device_ptrIlEESB_jNS0_19identity_decomposerENS1_16block_id_wrapperIjLb0EEEEE10hipError_tT1_PNSt15iterator_traitsISG_E10value_typeET2_T3_PNSH_ISM_E10value_typeET4_T5_PSR_SS_PNS1_23onesweep_lookback_stateEbbT6_jjT7_P12ihipStream_tbENKUlT_T0_SG_SL_E_clIS7_S7_SB_PlEEDaSZ_S10_SG_SL_EUlSZ_E_NS1_11comp_targetILNS1_3genE3ELNS1_11target_archE908ELNS1_3gpuE7ELNS1_3repE0EEENS1_47radix_sort_onesweep_sort_config_static_selectorELNS0_4arch9wavefront6targetE1EEEvSG_
; %bb.0:
	.section	.rodata,"a",@progbits
	.p2align	6, 0x0
	.amdhsa_kernel _ZN7rocprim17ROCPRIM_400000_NS6detail17trampoline_kernelINS0_14default_configENS1_35radix_sort_onesweep_config_selectorIilEEZZNS1_29radix_sort_onesweep_iterationIS3_Lb0EPiS7_N6thrust23THRUST_200600_302600_NS10device_ptrIlEESB_jNS0_19identity_decomposerENS1_16block_id_wrapperIjLb0EEEEE10hipError_tT1_PNSt15iterator_traitsISG_E10value_typeET2_T3_PNSH_ISM_E10value_typeET4_T5_PSR_SS_PNS1_23onesweep_lookback_stateEbbT6_jjT7_P12ihipStream_tbENKUlT_T0_SG_SL_E_clIS7_S7_SB_PlEEDaSZ_S10_SG_SL_EUlSZ_E_NS1_11comp_targetILNS1_3genE3ELNS1_11target_archE908ELNS1_3gpuE7ELNS1_3repE0EEENS1_47radix_sort_onesweep_sort_config_static_selectorELNS0_4arch9wavefront6targetE1EEEvSG_
		.amdhsa_group_segment_fixed_size 0
		.amdhsa_private_segment_fixed_size 0
		.amdhsa_kernarg_size 88
		.amdhsa_user_sgpr_count 6
		.amdhsa_user_sgpr_private_segment_buffer 1
		.amdhsa_user_sgpr_dispatch_ptr 0
		.amdhsa_user_sgpr_queue_ptr 0
		.amdhsa_user_sgpr_kernarg_segment_ptr 1
		.amdhsa_user_sgpr_dispatch_id 0
		.amdhsa_user_sgpr_flat_scratch_init 0
		.amdhsa_user_sgpr_private_segment_size 0
		.amdhsa_uses_dynamic_stack 0
		.amdhsa_system_sgpr_private_segment_wavefront_offset 0
		.amdhsa_system_sgpr_workgroup_id_x 1
		.amdhsa_system_sgpr_workgroup_id_y 0
		.amdhsa_system_sgpr_workgroup_id_z 0
		.amdhsa_system_sgpr_workgroup_info 0
		.amdhsa_system_vgpr_workitem_id 0
		.amdhsa_next_free_vgpr 1
		.amdhsa_next_free_sgpr 0
		.amdhsa_reserve_vcc 0
		.amdhsa_reserve_flat_scratch 0
		.amdhsa_float_round_mode_32 0
		.amdhsa_float_round_mode_16_64 0
		.amdhsa_float_denorm_mode_32 3
		.amdhsa_float_denorm_mode_16_64 3
		.amdhsa_dx10_clamp 1
		.amdhsa_ieee_mode 1
		.amdhsa_fp16_overflow 0
		.amdhsa_exception_fp_ieee_invalid_op 0
		.amdhsa_exception_fp_denorm_src 0
		.amdhsa_exception_fp_ieee_div_zero 0
		.amdhsa_exception_fp_ieee_overflow 0
		.amdhsa_exception_fp_ieee_underflow 0
		.amdhsa_exception_fp_ieee_inexact 0
		.amdhsa_exception_int_div_zero 0
	.end_amdhsa_kernel
	.section	.text._ZN7rocprim17ROCPRIM_400000_NS6detail17trampoline_kernelINS0_14default_configENS1_35radix_sort_onesweep_config_selectorIilEEZZNS1_29radix_sort_onesweep_iterationIS3_Lb0EPiS7_N6thrust23THRUST_200600_302600_NS10device_ptrIlEESB_jNS0_19identity_decomposerENS1_16block_id_wrapperIjLb0EEEEE10hipError_tT1_PNSt15iterator_traitsISG_E10value_typeET2_T3_PNSH_ISM_E10value_typeET4_T5_PSR_SS_PNS1_23onesweep_lookback_stateEbbT6_jjT7_P12ihipStream_tbENKUlT_T0_SG_SL_E_clIS7_S7_SB_PlEEDaSZ_S10_SG_SL_EUlSZ_E_NS1_11comp_targetILNS1_3genE3ELNS1_11target_archE908ELNS1_3gpuE7ELNS1_3repE0EEENS1_47radix_sort_onesweep_sort_config_static_selectorELNS0_4arch9wavefront6targetE1EEEvSG_,"axG",@progbits,_ZN7rocprim17ROCPRIM_400000_NS6detail17trampoline_kernelINS0_14default_configENS1_35radix_sort_onesweep_config_selectorIilEEZZNS1_29radix_sort_onesweep_iterationIS3_Lb0EPiS7_N6thrust23THRUST_200600_302600_NS10device_ptrIlEESB_jNS0_19identity_decomposerENS1_16block_id_wrapperIjLb0EEEEE10hipError_tT1_PNSt15iterator_traitsISG_E10value_typeET2_T3_PNSH_ISM_E10value_typeET4_T5_PSR_SS_PNS1_23onesweep_lookback_stateEbbT6_jjT7_P12ihipStream_tbENKUlT_T0_SG_SL_E_clIS7_S7_SB_PlEEDaSZ_S10_SG_SL_EUlSZ_E_NS1_11comp_targetILNS1_3genE3ELNS1_11target_archE908ELNS1_3gpuE7ELNS1_3repE0EEENS1_47radix_sort_onesweep_sort_config_static_selectorELNS0_4arch9wavefront6targetE1EEEvSG_,comdat
.Lfunc_end907:
	.size	_ZN7rocprim17ROCPRIM_400000_NS6detail17trampoline_kernelINS0_14default_configENS1_35radix_sort_onesweep_config_selectorIilEEZZNS1_29radix_sort_onesweep_iterationIS3_Lb0EPiS7_N6thrust23THRUST_200600_302600_NS10device_ptrIlEESB_jNS0_19identity_decomposerENS1_16block_id_wrapperIjLb0EEEEE10hipError_tT1_PNSt15iterator_traitsISG_E10value_typeET2_T3_PNSH_ISM_E10value_typeET4_T5_PSR_SS_PNS1_23onesweep_lookback_stateEbbT6_jjT7_P12ihipStream_tbENKUlT_T0_SG_SL_E_clIS7_S7_SB_PlEEDaSZ_S10_SG_SL_EUlSZ_E_NS1_11comp_targetILNS1_3genE3ELNS1_11target_archE908ELNS1_3gpuE7ELNS1_3repE0EEENS1_47radix_sort_onesweep_sort_config_static_selectorELNS0_4arch9wavefront6targetE1EEEvSG_, .Lfunc_end907-_ZN7rocprim17ROCPRIM_400000_NS6detail17trampoline_kernelINS0_14default_configENS1_35radix_sort_onesweep_config_selectorIilEEZZNS1_29radix_sort_onesweep_iterationIS3_Lb0EPiS7_N6thrust23THRUST_200600_302600_NS10device_ptrIlEESB_jNS0_19identity_decomposerENS1_16block_id_wrapperIjLb0EEEEE10hipError_tT1_PNSt15iterator_traitsISG_E10value_typeET2_T3_PNSH_ISM_E10value_typeET4_T5_PSR_SS_PNS1_23onesweep_lookback_stateEbbT6_jjT7_P12ihipStream_tbENKUlT_T0_SG_SL_E_clIS7_S7_SB_PlEEDaSZ_S10_SG_SL_EUlSZ_E_NS1_11comp_targetILNS1_3genE3ELNS1_11target_archE908ELNS1_3gpuE7ELNS1_3repE0EEENS1_47radix_sort_onesweep_sort_config_static_selectorELNS0_4arch9wavefront6targetE1EEEvSG_
                                        ; -- End function
	.set _ZN7rocprim17ROCPRIM_400000_NS6detail17trampoline_kernelINS0_14default_configENS1_35radix_sort_onesweep_config_selectorIilEEZZNS1_29radix_sort_onesweep_iterationIS3_Lb0EPiS7_N6thrust23THRUST_200600_302600_NS10device_ptrIlEESB_jNS0_19identity_decomposerENS1_16block_id_wrapperIjLb0EEEEE10hipError_tT1_PNSt15iterator_traitsISG_E10value_typeET2_T3_PNSH_ISM_E10value_typeET4_T5_PSR_SS_PNS1_23onesweep_lookback_stateEbbT6_jjT7_P12ihipStream_tbENKUlT_T0_SG_SL_E_clIS7_S7_SB_PlEEDaSZ_S10_SG_SL_EUlSZ_E_NS1_11comp_targetILNS1_3genE3ELNS1_11target_archE908ELNS1_3gpuE7ELNS1_3repE0EEENS1_47radix_sort_onesweep_sort_config_static_selectorELNS0_4arch9wavefront6targetE1EEEvSG_.num_vgpr, 0
	.set _ZN7rocprim17ROCPRIM_400000_NS6detail17trampoline_kernelINS0_14default_configENS1_35radix_sort_onesweep_config_selectorIilEEZZNS1_29radix_sort_onesweep_iterationIS3_Lb0EPiS7_N6thrust23THRUST_200600_302600_NS10device_ptrIlEESB_jNS0_19identity_decomposerENS1_16block_id_wrapperIjLb0EEEEE10hipError_tT1_PNSt15iterator_traitsISG_E10value_typeET2_T3_PNSH_ISM_E10value_typeET4_T5_PSR_SS_PNS1_23onesweep_lookback_stateEbbT6_jjT7_P12ihipStream_tbENKUlT_T0_SG_SL_E_clIS7_S7_SB_PlEEDaSZ_S10_SG_SL_EUlSZ_E_NS1_11comp_targetILNS1_3genE3ELNS1_11target_archE908ELNS1_3gpuE7ELNS1_3repE0EEENS1_47radix_sort_onesweep_sort_config_static_selectorELNS0_4arch9wavefront6targetE1EEEvSG_.num_agpr, 0
	.set _ZN7rocprim17ROCPRIM_400000_NS6detail17trampoline_kernelINS0_14default_configENS1_35radix_sort_onesweep_config_selectorIilEEZZNS1_29radix_sort_onesweep_iterationIS3_Lb0EPiS7_N6thrust23THRUST_200600_302600_NS10device_ptrIlEESB_jNS0_19identity_decomposerENS1_16block_id_wrapperIjLb0EEEEE10hipError_tT1_PNSt15iterator_traitsISG_E10value_typeET2_T3_PNSH_ISM_E10value_typeET4_T5_PSR_SS_PNS1_23onesweep_lookback_stateEbbT6_jjT7_P12ihipStream_tbENKUlT_T0_SG_SL_E_clIS7_S7_SB_PlEEDaSZ_S10_SG_SL_EUlSZ_E_NS1_11comp_targetILNS1_3genE3ELNS1_11target_archE908ELNS1_3gpuE7ELNS1_3repE0EEENS1_47radix_sort_onesweep_sort_config_static_selectorELNS0_4arch9wavefront6targetE1EEEvSG_.numbered_sgpr, 0
	.set _ZN7rocprim17ROCPRIM_400000_NS6detail17trampoline_kernelINS0_14default_configENS1_35radix_sort_onesweep_config_selectorIilEEZZNS1_29radix_sort_onesweep_iterationIS3_Lb0EPiS7_N6thrust23THRUST_200600_302600_NS10device_ptrIlEESB_jNS0_19identity_decomposerENS1_16block_id_wrapperIjLb0EEEEE10hipError_tT1_PNSt15iterator_traitsISG_E10value_typeET2_T3_PNSH_ISM_E10value_typeET4_T5_PSR_SS_PNS1_23onesweep_lookback_stateEbbT6_jjT7_P12ihipStream_tbENKUlT_T0_SG_SL_E_clIS7_S7_SB_PlEEDaSZ_S10_SG_SL_EUlSZ_E_NS1_11comp_targetILNS1_3genE3ELNS1_11target_archE908ELNS1_3gpuE7ELNS1_3repE0EEENS1_47radix_sort_onesweep_sort_config_static_selectorELNS0_4arch9wavefront6targetE1EEEvSG_.num_named_barrier, 0
	.set _ZN7rocprim17ROCPRIM_400000_NS6detail17trampoline_kernelINS0_14default_configENS1_35radix_sort_onesweep_config_selectorIilEEZZNS1_29radix_sort_onesweep_iterationIS3_Lb0EPiS7_N6thrust23THRUST_200600_302600_NS10device_ptrIlEESB_jNS0_19identity_decomposerENS1_16block_id_wrapperIjLb0EEEEE10hipError_tT1_PNSt15iterator_traitsISG_E10value_typeET2_T3_PNSH_ISM_E10value_typeET4_T5_PSR_SS_PNS1_23onesweep_lookback_stateEbbT6_jjT7_P12ihipStream_tbENKUlT_T0_SG_SL_E_clIS7_S7_SB_PlEEDaSZ_S10_SG_SL_EUlSZ_E_NS1_11comp_targetILNS1_3genE3ELNS1_11target_archE908ELNS1_3gpuE7ELNS1_3repE0EEENS1_47radix_sort_onesweep_sort_config_static_selectorELNS0_4arch9wavefront6targetE1EEEvSG_.private_seg_size, 0
	.set _ZN7rocprim17ROCPRIM_400000_NS6detail17trampoline_kernelINS0_14default_configENS1_35radix_sort_onesweep_config_selectorIilEEZZNS1_29radix_sort_onesweep_iterationIS3_Lb0EPiS7_N6thrust23THRUST_200600_302600_NS10device_ptrIlEESB_jNS0_19identity_decomposerENS1_16block_id_wrapperIjLb0EEEEE10hipError_tT1_PNSt15iterator_traitsISG_E10value_typeET2_T3_PNSH_ISM_E10value_typeET4_T5_PSR_SS_PNS1_23onesweep_lookback_stateEbbT6_jjT7_P12ihipStream_tbENKUlT_T0_SG_SL_E_clIS7_S7_SB_PlEEDaSZ_S10_SG_SL_EUlSZ_E_NS1_11comp_targetILNS1_3genE3ELNS1_11target_archE908ELNS1_3gpuE7ELNS1_3repE0EEENS1_47radix_sort_onesweep_sort_config_static_selectorELNS0_4arch9wavefront6targetE1EEEvSG_.uses_vcc, 0
	.set _ZN7rocprim17ROCPRIM_400000_NS6detail17trampoline_kernelINS0_14default_configENS1_35radix_sort_onesweep_config_selectorIilEEZZNS1_29radix_sort_onesweep_iterationIS3_Lb0EPiS7_N6thrust23THRUST_200600_302600_NS10device_ptrIlEESB_jNS0_19identity_decomposerENS1_16block_id_wrapperIjLb0EEEEE10hipError_tT1_PNSt15iterator_traitsISG_E10value_typeET2_T3_PNSH_ISM_E10value_typeET4_T5_PSR_SS_PNS1_23onesweep_lookback_stateEbbT6_jjT7_P12ihipStream_tbENKUlT_T0_SG_SL_E_clIS7_S7_SB_PlEEDaSZ_S10_SG_SL_EUlSZ_E_NS1_11comp_targetILNS1_3genE3ELNS1_11target_archE908ELNS1_3gpuE7ELNS1_3repE0EEENS1_47radix_sort_onesweep_sort_config_static_selectorELNS0_4arch9wavefront6targetE1EEEvSG_.uses_flat_scratch, 0
	.set _ZN7rocprim17ROCPRIM_400000_NS6detail17trampoline_kernelINS0_14default_configENS1_35radix_sort_onesweep_config_selectorIilEEZZNS1_29radix_sort_onesweep_iterationIS3_Lb0EPiS7_N6thrust23THRUST_200600_302600_NS10device_ptrIlEESB_jNS0_19identity_decomposerENS1_16block_id_wrapperIjLb0EEEEE10hipError_tT1_PNSt15iterator_traitsISG_E10value_typeET2_T3_PNSH_ISM_E10value_typeET4_T5_PSR_SS_PNS1_23onesweep_lookback_stateEbbT6_jjT7_P12ihipStream_tbENKUlT_T0_SG_SL_E_clIS7_S7_SB_PlEEDaSZ_S10_SG_SL_EUlSZ_E_NS1_11comp_targetILNS1_3genE3ELNS1_11target_archE908ELNS1_3gpuE7ELNS1_3repE0EEENS1_47radix_sort_onesweep_sort_config_static_selectorELNS0_4arch9wavefront6targetE1EEEvSG_.has_dyn_sized_stack, 0
	.set _ZN7rocprim17ROCPRIM_400000_NS6detail17trampoline_kernelINS0_14default_configENS1_35radix_sort_onesweep_config_selectorIilEEZZNS1_29radix_sort_onesweep_iterationIS3_Lb0EPiS7_N6thrust23THRUST_200600_302600_NS10device_ptrIlEESB_jNS0_19identity_decomposerENS1_16block_id_wrapperIjLb0EEEEE10hipError_tT1_PNSt15iterator_traitsISG_E10value_typeET2_T3_PNSH_ISM_E10value_typeET4_T5_PSR_SS_PNS1_23onesweep_lookback_stateEbbT6_jjT7_P12ihipStream_tbENKUlT_T0_SG_SL_E_clIS7_S7_SB_PlEEDaSZ_S10_SG_SL_EUlSZ_E_NS1_11comp_targetILNS1_3genE3ELNS1_11target_archE908ELNS1_3gpuE7ELNS1_3repE0EEENS1_47radix_sort_onesweep_sort_config_static_selectorELNS0_4arch9wavefront6targetE1EEEvSG_.has_recursion, 0
	.set _ZN7rocprim17ROCPRIM_400000_NS6detail17trampoline_kernelINS0_14default_configENS1_35radix_sort_onesweep_config_selectorIilEEZZNS1_29radix_sort_onesweep_iterationIS3_Lb0EPiS7_N6thrust23THRUST_200600_302600_NS10device_ptrIlEESB_jNS0_19identity_decomposerENS1_16block_id_wrapperIjLb0EEEEE10hipError_tT1_PNSt15iterator_traitsISG_E10value_typeET2_T3_PNSH_ISM_E10value_typeET4_T5_PSR_SS_PNS1_23onesweep_lookback_stateEbbT6_jjT7_P12ihipStream_tbENKUlT_T0_SG_SL_E_clIS7_S7_SB_PlEEDaSZ_S10_SG_SL_EUlSZ_E_NS1_11comp_targetILNS1_3genE3ELNS1_11target_archE908ELNS1_3gpuE7ELNS1_3repE0EEENS1_47radix_sort_onesweep_sort_config_static_selectorELNS0_4arch9wavefront6targetE1EEEvSG_.has_indirect_call, 0
	.section	.AMDGPU.csdata,"",@progbits
; Kernel info:
; codeLenInByte = 0
; TotalNumSgprs: 4
; NumVgprs: 0
; ScratchSize: 0
; MemoryBound: 0
; FloatMode: 240
; IeeeMode: 1
; LDSByteSize: 0 bytes/workgroup (compile time only)
; SGPRBlocks: 0
; VGPRBlocks: 0
; NumSGPRsForWavesPerEU: 4
; NumVGPRsForWavesPerEU: 1
; Occupancy: 10
; WaveLimiterHint : 0
; COMPUTE_PGM_RSRC2:SCRATCH_EN: 0
; COMPUTE_PGM_RSRC2:USER_SGPR: 6
; COMPUTE_PGM_RSRC2:TRAP_HANDLER: 0
; COMPUTE_PGM_RSRC2:TGID_X_EN: 1
; COMPUTE_PGM_RSRC2:TGID_Y_EN: 0
; COMPUTE_PGM_RSRC2:TGID_Z_EN: 0
; COMPUTE_PGM_RSRC2:TIDIG_COMP_CNT: 0
	.section	.text._ZN7rocprim17ROCPRIM_400000_NS6detail17trampoline_kernelINS0_14default_configENS1_35radix_sort_onesweep_config_selectorIilEEZZNS1_29radix_sort_onesweep_iterationIS3_Lb0EPiS7_N6thrust23THRUST_200600_302600_NS10device_ptrIlEESB_jNS0_19identity_decomposerENS1_16block_id_wrapperIjLb0EEEEE10hipError_tT1_PNSt15iterator_traitsISG_E10value_typeET2_T3_PNSH_ISM_E10value_typeET4_T5_PSR_SS_PNS1_23onesweep_lookback_stateEbbT6_jjT7_P12ihipStream_tbENKUlT_T0_SG_SL_E_clIS7_S7_SB_PlEEDaSZ_S10_SG_SL_EUlSZ_E_NS1_11comp_targetILNS1_3genE10ELNS1_11target_archE1201ELNS1_3gpuE5ELNS1_3repE0EEENS1_47radix_sort_onesweep_sort_config_static_selectorELNS0_4arch9wavefront6targetE1EEEvSG_,"axG",@progbits,_ZN7rocprim17ROCPRIM_400000_NS6detail17trampoline_kernelINS0_14default_configENS1_35radix_sort_onesweep_config_selectorIilEEZZNS1_29radix_sort_onesweep_iterationIS3_Lb0EPiS7_N6thrust23THRUST_200600_302600_NS10device_ptrIlEESB_jNS0_19identity_decomposerENS1_16block_id_wrapperIjLb0EEEEE10hipError_tT1_PNSt15iterator_traitsISG_E10value_typeET2_T3_PNSH_ISM_E10value_typeET4_T5_PSR_SS_PNS1_23onesweep_lookback_stateEbbT6_jjT7_P12ihipStream_tbENKUlT_T0_SG_SL_E_clIS7_S7_SB_PlEEDaSZ_S10_SG_SL_EUlSZ_E_NS1_11comp_targetILNS1_3genE10ELNS1_11target_archE1201ELNS1_3gpuE5ELNS1_3repE0EEENS1_47radix_sort_onesweep_sort_config_static_selectorELNS0_4arch9wavefront6targetE1EEEvSG_,comdat
	.protected	_ZN7rocprim17ROCPRIM_400000_NS6detail17trampoline_kernelINS0_14default_configENS1_35radix_sort_onesweep_config_selectorIilEEZZNS1_29radix_sort_onesweep_iterationIS3_Lb0EPiS7_N6thrust23THRUST_200600_302600_NS10device_ptrIlEESB_jNS0_19identity_decomposerENS1_16block_id_wrapperIjLb0EEEEE10hipError_tT1_PNSt15iterator_traitsISG_E10value_typeET2_T3_PNSH_ISM_E10value_typeET4_T5_PSR_SS_PNS1_23onesweep_lookback_stateEbbT6_jjT7_P12ihipStream_tbENKUlT_T0_SG_SL_E_clIS7_S7_SB_PlEEDaSZ_S10_SG_SL_EUlSZ_E_NS1_11comp_targetILNS1_3genE10ELNS1_11target_archE1201ELNS1_3gpuE5ELNS1_3repE0EEENS1_47radix_sort_onesweep_sort_config_static_selectorELNS0_4arch9wavefront6targetE1EEEvSG_ ; -- Begin function _ZN7rocprim17ROCPRIM_400000_NS6detail17trampoline_kernelINS0_14default_configENS1_35radix_sort_onesweep_config_selectorIilEEZZNS1_29radix_sort_onesweep_iterationIS3_Lb0EPiS7_N6thrust23THRUST_200600_302600_NS10device_ptrIlEESB_jNS0_19identity_decomposerENS1_16block_id_wrapperIjLb0EEEEE10hipError_tT1_PNSt15iterator_traitsISG_E10value_typeET2_T3_PNSH_ISM_E10value_typeET4_T5_PSR_SS_PNS1_23onesweep_lookback_stateEbbT6_jjT7_P12ihipStream_tbENKUlT_T0_SG_SL_E_clIS7_S7_SB_PlEEDaSZ_S10_SG_SL_EUlSZ_E_NS1_11comp_targetILNS1_3genE10ELNS1_11target_archE1201ELNS1_3gpuE5ELNS1_3repE0EEENS1_47radix_sort_onesweep_sort_config_static_selectorELNS0_4arch9wavefront6targetE1EEEvSG_
	.globl	_ZN7rocprim17ROCPRIM_400000_NS6detail17trampoline_kernelINS0_14default_configENS1_35radix_sort_onesweep_config_selectorIilEEZZNS1_29radix_sort_onesweep_iterationIS3_Lb0EPiS7_N6thrust23THRUST_200600_302600_NS10device_ptrIlEESB_jNS0_19identity_decomposerENS1_16block_id_wrapperIjLb0EEEEE10hipError_tT1_PNSt15iterator_traitsISG_E10value_typeET2_T3_PNSH_ISM_E10value_typeET4_T5_PSR_SS_PNS1_23onesweep_lookback_stateEbbT6_jjT7_P12ihipStream_tbENKUlT_T0_SG_SL_E_clIS7_S7_SB_PlEEDaSZ_S10_SG_SL_EUlSZ_E_NS1_11comp_targetILNS1_3genE10ELNS1_11target_archE1201ELNS1_3gpuE5ELNS1_3repE0EEENS1_47radix_sort_onesweep_sort_config_static_selectorELNS0_4arch9wavefront6targetE1EEEvSG_
	.p2align	8
	.type	_ZN7rocprim17ROCPRIM_400000_NS6detail17trampoline_kernelINS0_14default_configENS1_35radix_sort_onesweep_config_selectorIilEEZZNS1_29radix_sort_onesweep_iterationIS3_Lb0EPiS7_N6thrust23THRUST_200600_302600_NS10device_ptrIlEESB_jNS0_19identity_decomposerENS1_16block_id_wrapperIjLb0EEEEE10hipError_tT1_PNSt15iterator_traitsISG_E10value_typeET2_T3_PNSH_ISM_E10value_typeET4_T5_PSR_SS_PNS1_23onesweep_lookback_stateEbbT6_jjT7_P12ihipStream_tbENKUlT_T0_SG_SL_E_clIS7_S7_SB_PlEEDaSZ_S10_SG_SL_EUlSZ_E_NS1_11comp_targetILNS1_3genE10ELNS1_11target_archE1201ELNS1_3gpuE5ELNS1_3repE0EEENS1_47radix_sort_onesweep_sort_config_static_selectorELNS0_4arch9wavefront6targetE1EEEvSG_,@function
_ZN7rocprim17ROCPRIM_400000_NS6detail17trampoline_kernelINS0_14default_configENS1_35radix_sort_onesweep_config_selectorIilEEZZNS1_29radix_sort_onesweep_iterationIS3_Lb0EPiS7_N6thrust23THRUST_200600_302600_NS10device_ptrIlEESB_jNS0_19identity_decomposerENS1_16block_id_wrapperIjLb0EEEEE10hipError_tT1_PNSt15iterator_traitsISG_E10value_typeET2_T3_PNSH_ISM_E10value_typeET4_T5_PSR_SS_PNS1_23onesweep_lookback_stateEbbT6_jjT7_P12ihipStream_tbENKUlT_T0_SG_SL_E_clIS7_S7_SB_PlEEDaSZ_S10_SG_SL_EUlSZ_E_NS1_11comp_targetILNS1_3genE10ELNS1_11target_archE1201ELNS1_3gpuE5ELNS1_3repE0EEENS1_47radix_sort_onesweep_sort_config_static_selectorELNS0_4arch9wavefront6targetE1EEEvSG_: ; @_ZN7rocprim17ROCPRIM_400000_NS6detail17trampoline_kernelINS0_14default_configENS1_35radix_sort_onesweep_config_selectorIilEEZZNS1_29radix_sort_onesweep_iterationIS3_Lb0EPiS7_N6thrust23THRUST_200600_302600_NS10device_ptrIlEESB_jNS0_19identity_decomposerENS1_16block_id_wrapperIjLb0EEEEE10hipError_tT1_PNSt15iterator_traitsISG_E10value_typeET2_T3_PNSH_ISM_E10value_typeET4_T5_PSR_SS_PNS1_23onesweep_lookback_stateEbbT6_jjT7_P12ihipStream_tbENKUlT_T0_SG_SL_E_clIS7_S7_SB_PlEEDaSZ_S10_SG_SL_EUlSZ_E_NS1_11comp_targetILNS1_3genE10ELNS1_11target_archE1201ELNS1_3gpuE5ELNS1_3repE0EEENS1_47radix_sort_onesweep_sort_config_static_selectorELNS0_4arch9wavefront6targetE1EEEvSG_
; %bb.0:
	.section	.rodata,"a",@progbits
	.p2align	6, 0x0
	.amdhsa_kernel _ZN7rocprim17ROCPRIM_400000_NS6detail17trampoline_kernelINS0_14default_configENS1_35radix_sort_onesweep_config_selectorIilEEZZNS1_29radix_sort_onesweep_iterationIS3_Lb0EPiS7_N6thrust23THRUST_200600_302600_NS10device_ptrIlEESB_jNS0_19identity_decomposerENS1_16block_id_wrapperIjLb0EEEEE10hipError_tT1_PNSt15iterator_traitsISG_E10value_typeET2_T3_PNSH_ISM_E10value_typeET4_T5_PSR_SS_PNS1_23onesweep_lookback_stateEbbT6_jjT7_P12ihipStream_tbENKUlT_T0_SG_SL_E_clIS7_S7_SB_PlEEDaSZ_S10_SG_SL_EUlSZ_E_NS1_11comp_targetILNS1_3genE10ELNS1_11target_archE1201ELNS1_3gpuE5ELNS1_3repE0EEENS1_47radix_sort_onesweep_sort_config_static_selectorELNS0_4arch9wavefront6targetE1EEEvSG_
		.amdhsa_group_segment_fixed_size 0
		.amdhsa_private_segment_fixed_size 0
		.amdhsa_kernarg_size 88
		.amdhsa_user_sgpr_count 6
		.amdhsa_user_sgpr_private_segment_buffer 1
		.amdhsa_user_sgpr_dispatch_ptr 0
		.amdhsa_user_sgpr_queue_ptr 0
		.amdhsa_user_sgpr_kernarg_segment_ptr 1
		.amdhsa_user_sgpr_dispatch_id 0
		.amdhsa_user_sgpr_flat_scratch_init 0
		.amdhsa_user_sgpr_private_segment_size 0
		.amdhsa_uses_dynamic_stack 0
		.amdhsa_system_sgpr_private_segment_wavefront_offset 0
		.amdhsa_system_sgpr_workgroup_id_x 1
		.amdhsa_system_sgpr_workgroup_id_y 0
		.amdhsa_system_sgpr_workgroup_id_z 0
		.amdhsa_system_sgpr_workgroup_info 0
		.amdhsa_system_vgpr_workitem_id 0
		.amdhsa_next_free_vgpr 1
		.amdhsa_next_free_sgpr 0
		.amdhsa_reserve_vcc 0
		.amdhsa_reserve_flat_scratch 0
		.amdhsa_float_round_mode_32 0
		.amdhsa_float_round_mode_16_64 0
		.amdhsa_float_denorm_mode_32 3
		.amdhsa_float_denorm_mode_16_64 3
		.amdhsa_dx10_clamp 1
		.amdhsa_ieee_mode 1
		.amdhsa_fp16_overflow 0
		.amdhsa_exception_fp_ieee_invalid_op 0
		.amdhsa_exception_fp_denorm_src 0
		.amdhsa_exception_fp_ieee_div_zero 0
		.amdhsa_exception_fp_ieee_overflow 0
		.amdhsa_exception_fp_ieee_underflow 0
		.amdhsa_exception_fp_ieee_inexact 0
		.amdhsa_exception_int_div_zero 0
	.end_amdhsa_kernel
	.section	.text._ZN7rocprim17ROCPRIM_400000_NS6detail17trampoline_kernelINS0_14default_configENS1_35radix_sort_onesweep_config_selectorIilEEZZNS1_29radix_sort_onesweep_iterationIS3_Lb0EPiS7_N6thrust23THRUST_200600_302600_NS10device_ptrIlEESB_jNS0_19identity_decomposerENS1_16block_id_wrapperIjLb0EEEEE10hipError_tT1_PNSt15iterator_traitsISG_E10value_typeET2_T3_PNSH_ISM_E10value_typeET4_T5_PSR_SS_PNS1_23onesweep_lookback_stateEbbT6_jjT7_P12ihipStream_tbENKUlT_T0_SG_SL_E_clIS7_S7_SB_PlEEDaSZ_S10_SG_SL_EUlSZ_E_NS1_11comp_targetILNS1_3genE10ELNS1_11target_archE1201ELNS1_3gpuE5ELNS1_3repE0EEENS1_47radix_sort_onesweep_sort_config_static_selectorELNS0_4arch9wavefront6targetE1EEEvSG_,"axG",@progbits,_ZN7rocprim17ROCPRIM_400000_NS6detail17trampoline_kernelINS0_14default_configENS1_35radix_sort_onesweep_config_selectorIilEEZZNS1_29radix_sort_onesweep_iterationIS3_Lb0EPiS7_N6thrust23THRUST_200600_302600_NS10device_ptrIlEESB_jNS0_19identity_decomposerENS1_16block_id_wrapperIjLb0EEEEE10hipError_tT1_PNSt15iterator_traitsISG_E10value_typeET2_T3_PNSH_ISM_E10value_typeET4_T5_PSR_SS_PNS1_23onesweep_lookback_stateEbbT6_jjT7_P12ihipStream_tbENKUlT_T0_SG_SL_E_clIS7_S7_SB_PlEEDaSZ_S10_SG_SL_EUlSZ_E_NS1_11comp_targetILNS1_3genE10ELNS1_11target_archE1201ELNS1_3gpuE5ELNS1_3repE0EEENS1_47radix_sort_onesweep_sort_config_static_selectorELNS0_4arch9wavefront6targetE1EEEvSG_,comdat
.Lfunc_end908:
	.size	_ZN7rocprim17ROCPRIM_400000_NS6detail17trampoline_kernelINS0_14default_configENS1_35radix_sort_onesweep_config_selectorIilEEZZNS1_29radix_sort_onesweep_iterationIS3_Lb0EPiS7_N6thrust23THRUST_200600_302600_NS10device_ptrIlEESB_jNS0_19identity_decomposerENS1_16block_id_wrapperIjLb0EEEEE10hipError_tT1_PNSt15iterator_traitsISG_E10value_typeET2_T3_PNSH_ISM_E10value_typeET4_T5_PSR_SS_PNS1_23onesweep_lookback_stateEbbT6_jjT7_P12ihipStream_tbENKUlT_T0_SG_SL_E_clIS7_S7_SB_PlEEDaSZ_S10_SG_SL_EUlSZ_E_NS1_11comp_targetILNS1_3genE10ELNS1_11target_archE1201ELNS1_3gpuE5ELNS1_3repE0EEENS1_47radix_sort_onesweep_sort_config_static_selectorELNS0_4arch9wavefront6targetE1EEEvSG_, .Lfunc_end908-_ZN7rocprim17ROCPRIM_400000_NS6detail17trampoline_kernelINS0_14default_configENS1_35radix_sort_onesweep_config_selectorIilEEZZNS1_29radix_sort_onesweep_iterationIS3_Lb0EPiS7_N6thrust23THRUST_200600_302600_NS10device_ptrIlEESB_jNS0_19identity_decomposerENS1_16block_id_wrapperIjLb0EEEEE10hipError_tT1_PNSt15iterator_traitsISG_E10value_typeET2_T3_PNSH_ISM_E10value_typeET4_T5_PSR_SS_PNS1_23onesweep_lookback_stateEbbT6_jjT7_P12ihipStream_tbENKUlT_T0_SG_SL_E_clIS7_S7_SB_PlEEDaSZ_S10_SG_SL_EUlSZ_E_NS1_11comp_targetILNS1_3genE10ELNS1_11target_archE1201ELNS1_3gpuE5ELNS1_3repE0EEENS1_47radix_sort_onesweep_sort_config_static_selectorELNS0_4arch9wavefront6targetE1EEEvSG_
                                        ; -- End function
	.set _ZN7rocprim17ROCPRIM_400000_NS6detail17trampoline_kernelINS0_14default_configENS1_35radix_sort_onesweep_config_selectorIilEEZZNS1_29radix_sort_onesweep_iterationIS3_Lb0EPiS7_N6thrust23THRUST_200600_302600_NS10device_ptrIlEESB_jNS0_19identity_decomposerENS1_16block_id_wrapperIjLb0EEEEE10hipError_tT1_PNSt15iterator_traitsISG_E10value_typeET2_T3_PNSH_ISM_E10value_typeET4_T5_PSR_SS_PNS1_23onesweep_lookback_stateEbbT6_jjT7_P12ihipStream_tbENKUlT_T0_SG_SL_E_clIS7_S7_SB_PlEEDaSZ_S10_SG_SL_EUlSZ_E_NS1_11comp_targetILNS1_3genE10ELNS1_11target_archE1201ELNS1_3gpuE5ELNS1_3repE0EEENS1_47radix_sort_onesweep_sort_config_static_selectorELNS0_4arch9wavefront6targetE1EEEvSG_.num_vgpr, 0
	.set _ZN7rocprim17ROCPRIM_400000_NS6detail17trampoline_kernelINS0_14default_configENS1_35radix_sort_onesweep_config_selectorIilEEZZNS1_29radix_sort_onesweep_iterationIS3_Lb0EPiS7_N6thrust23THRUST_200600_302600_NS10device_ptrIlEESB_jNS0_19identity_decomposerENS1_16block_id_wrapperIjLb0EEEEE10hipError_tT1_PNSt15iterator_traitsISG_E10value_typeET2_T3_PNSH_ISM_E10value_typeET4_T5_PSR_SS_PNS1_23onesweep_lookback_stateEbbT6_jjT7_P12ihipStream_tbENKUlT_T0_SG_SL_E_clIS7_S7_SB_PlEEDaSZ_S10_SG_SL_EUlSZ_E_NS1_11comp_targetILNS1_3genE10ELNS1_11target_archE1201ELNS1_3gpuE5ELNS1_3repE0EEENS1_47radix_sort_onesweep_sort_config_static_selectorELNS0_4arch9wavefront6targetE1EEEvSG_.num_agpr, 0
	.set _ZN7rocprim17ROCPRIM_400000_NS6detail17trampoline_kernelINS0_14default_configENS1_35radix_sort_onesweep_config_selectorIilEEZZNS1_29radix_sort_onesweep_iterationIS3_Lb0EPiS7_N6thrust23THRUST_200600_302600_NS10device_ptrIlEESB_jNS0_19identity_decomposerENS1_16block_id_wrapperIjLb0EEEEE10hipError_tT1_PNSt15iterator_traitsISG_E10value_typeET2_T3_PNSH_ISM_E10value_typeET4_T5_PSR_SS_PNS1_23onesweep_lookback_stateEbbT6_jjT7_P12ihipStream_tbENKUlT_T0_SG_SL_E_clIS7_S7_SB_PlEEDaSZ_S10_SG_SL_EUlSZ_E_NS1_11comp_targetILNS1_3genE10ELNS1_11target_archE1201ELNS1_3gpuE5ELNS1_3repE0EEENS1_47radix_sort_onesweep_sort_config_static_selectorELNS0_4arch9wavefront6targetE1EEEvSG_.numbered_sgpr, 0
	.set _ZN7rocprim17ROCPRIM_400000_NS6detail17trampoline_kernelINS0_14default_configENS1_35radix_sort_onesweep_config_selectorIilEEZZNS1_29radix_sort_onesweep_iterationIS3_Lb0EPiS7_N6thrust23THRUST_200600_302600_NS10device_ptrIlEESB_jNS0_19identity_decomposerENS1_16block_id_wrapperIjLb0EEEEE10hipError_tT1_PNSt15iterator_traitsISG_E10value_typeET2_T3_PNSH_ISM_E10value_typeET4_T5_PSR_SS_PNS1_23onesweep_lookback_stateEbbT6_jjT7_P12ihipStream_tbENKUlT_T0_SG_SL_E_clIS7_S7_SB_PlEEDaSZ_S10_SG_SL_EUlSZ_E_NS1_11comp_targetILNS1_3genE10ELNS1_11target_archE1201ELNS1_3gpuE5ELNS1_3repE0EEENS1_47radix_sort_onesweep_sort_config_static_selectorELNS0_4arch9wavefront6targetE1EEEvSG_.num_named_barrier, 0
	.set _ZN7rocprim17ROCPRIM_400000_NS6detail17trampoline_kernelINS0_14default_configENS1_35radix_sort_onesweep_config_selectorIilEEZZNS1_29radix_sort_onesweep_iterationIS3_Lb0EPiS7_N6thrust23THRUST_200600_302600_NS10device_ptrIlEESB_jNS0_19identity_decomposerENS1_16block_id_wrapperIjLb0EEEEE10hipError_tT1_PNSt15iterator_traitsISG_E10value_typeET2_T3_PNSH_ISM_E10value_typeET4_T5_PSR_SS_PNS1_23onesweep_lookback_stateEbbT6_jjT7_P12ihipStream_tbENKUlT_T0_SG_SL_E_clIS7_S7_SB_PlEEDaSZ_S10_SG_SL_EUlSZ_E_NS1_11comp_targetILNS1_3genE10ELNS1_11target_archE1201ELNS1_3gpuE5ELNS1_3repE0EEENS1_47radix_sort_onesweep_sort_config_static_selectorELNS0_4arch9wavefront6targetE1EEEvSG_.private_seg_size, 0
	.set _ZN7rocprim17ROCPRIM_400000_NS6detail17trampoline_kernelINS0_14default_configENS1_35radix_sort_onesweep_config_selectorIilEEZZNS1_29radix_sort_onesweep_iterationIS3_Lb0EPiS7_N6thrust23THRUST_200600_302600_NS10device_ptrIlEESB_jNS0_19identity_decomposerENS1_16block_id_wrapperIjLb0EEEEE10hipError_tT1_PNSt15iterator_traitsISG_E10value_typeET2_T3_PNSH_ISM_E10value_typeET4_T5_PSR_SS_PNS1_23onesweep_lookback_stateEbbT6_jjT7_P12ihipStream_tbENKUlT_T0_SG_SL_E_clIS7_S7_SB_PlEEDaSZ_S10_SG_SL_EUlSZ_E_NS1_11comp_targetILNS1_3genE10ELNS1_11target_archE1201ELNS1_3gpuE5ELNS1_3repE0EEENS1_47radix_sort_onesweep_sort_config_static_selectorELNS0_4arch9wavefront6targetE1EEEvSG_.uses_vcc, 0
	.set _ZN7rocprim17ROCPRIM_400000_NS6detail17trampoline_kernelINS0_14default_configENS1_35radix_sort_onesweep_config_selectorIilEEZZNS1_29radix_sort_onesweep_iterationIS3_Lb0EPiS7_N6thrust23THRUST_200600_302600_NS10device_ptrIlEESB_jNS0_19identity_decomposerENS1_16block_id_wrapperIjLb0EEEEE10hipError_tT1_PNSt15iterator_traitsISG_E10value_typeET2_T3_PNSH_ISM_E10value_typeET4_T5_PSR_SS_PNS1_23onesweep_lookback_stateEbbT6_jjT7_P12ihipStream_tbENKUlT_T0_SG_SL_E_clIS7_S7_SB_PlEEDaSZ_S10_SG_SL_EUlSZ_E_NS1_11comp_targetILNS1_3genE10ELNS1_11target_archE1201ELNS1_3gpuE5ELNS1_3repE0EEENS1_47radix_sort_onesweep_sort_config_static_selectorELNS0_4arch9wavefront6targetE1EEEvSG_.uses_flat_scratch, 0
	.set _ZN7rocprim17ROCPRIM_400000_NS6detail17trampoline_kernelINS0_14default_configENS1_35radix_sort_onesweep_config_selectorIilEEZZNS1_29radix_sort_onesweep_iterationIS3_Lb0EPiS7_N6thrust23THRUST_200600_302600_NS10device_ptrIlEESB_jNS0_19identity_decomposerENS1_16block_id_wrapperIjLb0EEEEE10hipError_tT1_PNSt15iterator_traitsISG_E10value_typeET2_T3_PNSH_ISM_E10value_typeET4_T5_PSR_SS_PNS1_23onesweep_lookback_stateEbbT6_jjT7_P12ihipStream_tbENKUlT_T0_SG_SL_E_clIS7_S7_SB_PlEEDaSZ_S10_SG_SL_EUlSZ_E_NS1_11comp_targetILNS1_3genE10ELNS1_11target_archE1201ELNS1_3gpuE5ELNS1_3repE0EEENS1_47radix_sort_onesweep_sort_config_static_selectorELNS0_4arch9wavefront6targetE1EEEvSG_.has_dyn_sized_stack, 0
	.set _ZN7rocprim17ROCPRIM_400000_NS6detail17trampoline_kernelINS0_14default_configENS1_35radix_sort_onesweep_config_selectorIilEEZZNS1_29radix_sort_onesweep_iterationIS3_Lb0EPiS7_N6thrust23THRUST_200600_302600_NS10device_ptrIlEESB_jNS0_19identity_decomposerENS1_16block_id_wrapperIjLb0EEEEE10hipError_tT1_PNSt15iterator_traitsISG_E10value_typeET2_T3_PNSH_ISM_E10value_typeET4_T5_PSR_SS_PNS1_23onesweep_lookback_stateEbbT6_jjT7_P12ihipStream_tbENKUlT_T0_SG_SL_E_clIS7_S7_SB_PlEEDaSZ_S10_SG_SL_EUlSZ_E_NS1_11comp_targetILNS1_3genE10ELNS1_11target_archE1201ELNS1_3gpuE5ELNS1_3repE0EEENS1_47radix_sort_onesweep_sort_config_static_selectorELNS0_4arch9wavefront6targetE1EEEvSG_.has_recursion, 0
	.set _ZN7rocprim17ROCPRIM_400000_NS6detail17trampoline_kernelINS0_14default_configENS1_35radix_sort_onesweep_config_selectorIilEEZZNS1_29radix_sort_onesweep_iterationIS3_Lb0EPiS7_N6thrust23THRUST_200600_302600_NS10device_ptrIlEESB_jNS0_19identity_decomposerENS1_16block_id_wrapperIjLb0EEEEE10hipError_tT1_PNSt15iterator_traitsISG_E10value_typeET2_T3_PNSH_ISM_E10value_typeET4_T5_PSR_SS_PNS1_23onesweep_lookback_stateEbbT6_jjT7_P12ihipStream_tbENKUlT_T0_SG_SL_E_clIS7_S7_SB_PlEEDaSZ_S10_SG_SL_EUlSZ_E_NS1_11comp_targetILNS1_3genE10ELNS1_11target_archE1201ELNS1_3gpuE5ELNS1_3repE0EEENS1_47radix_sort_onesweep_sort_config_static_selectorELNS0_4arch9wavefront6targetE1EEEvSG_.has_indirect_call, 0
	.section	.AMDGPU.csdata,"",@progbits
; Kernel info:
; codeLenInByte = 0
; TotalNumSgprs: 4
; NumVgprs: 0
; ScratchSize: 0
; MemoryBound: 0
; FloatMode: 240
; IeeeMode: 1
; LDSByteSize: 0 bytes/workgroup (compile time only)
; SGPRBlocks: 0
; VGPRBlocks: 0
; NumSGPRsForWavesPerEU: 4
; NumVGPRsForWavesPerEU: 1
; Occupancy: 10
; WaveLimiterHint : 0
; COMPUTE_PGM_RSRC2:SCRATCH_EN: 0
; COMPUTE_PGM_RSRC2:USER_SGPR: 6
; COMPUTE_PGM_RSRC2:TRAP_HANDLER: 0
; COMPUTE_PGM_RSRC2:TGID_X_EN: 1
; COMPUTE_PGM_RSRC2:TGID_Y_EN: 0
; COMPUTE_PGM_RSRC2:TGID_Z_EN: 0
; COMPUTE_PGM_RSRC2:TIDIG_COMP_CNT: 0
	.section	.text._ZN7rocprim17ROCPRIM_400000_NS6detail17trampoline_kernelINS0_14default_configENS1_35radix_sort_onesweep_config_selectorIilEEZZNS1_29radix_sort_onesweep_iterationIS3_Lb0EPiS7_N6thrust23THRUST_200600_302600_NS10device_ptrIlEESB_jNS0_19identity_decomposerENS1_16block_id_wrapperIjLb0EEEEE10hipError_tT1_PNSt15iterator_traitsISG_E10value_typeET2_T3_PNSH_ISM_E10value_typeET4_T5_PSR_SS_PNS1_23onesweep_lookback_stateEbbT6_jjT7_P12ihipStream_tbENKUlT_T0_SG_SL_E_clIS7_S7_SB_PlEEDaSZ_S10_SG_SL_EUlSZ_E_NS1_11comp_targetILNS1_3genE9ELNS1_11target_archE1100ELNS1_3gpuE3ELNS1_3repE0EEENS1_47radix_sort_onesweep_sort_config_static_selectorELNS0_4arch9wavefront6targetE1EEEvSG_,"axG",@progbits,_ZN7rocprim17ROCPRIM_400000_NS6detail17trampoline_kernelINS0_14default_configENS1_35radix_sort_onesweep_config_selectorIilEEZZNS1_29radix_sort_onesweep_iterationIS3_Lb0EPiS7_N6thrust23THRUST_200600_302600_NS10device_ptrIlEESB_jNS0_19identity_decomposerENS1_16block_id_wrapperIjLb0EEEEE10hipError_tT1_PNSt15iterator_traitsISG_E10value_typeET2_T3_PNSH_ISM_E10value_typeET4_T5_PSR_SS_PNS1_23onesweep_lookback_stateEbbT6_jjT7_P12ihipStream_tbENKUlT_T0_SG_SL_E_clIS7_S7_SB_PlEEDaSZ_S10_SG_SL_EUlSZ_E_NS1_11comp_targetILNS1_3genE9ELNS1_11target_archE1100ELNS1_3gpuE3ELNS1_3repE0EEENS1_47radix_sort_onesweep_sort_config_static_selectorELNS0_4arch9wavefront6targetE1EEEvSG_,comdat
	.protected	_ZN7rocprim17ROCPRIM_400000_NS6detail17trampoline_kernelINS0_14default_configENS1_35radix_sort_onesweep_config_selectorIilEEZZNS1_29radix_sort_onesweep_iterationIS3_Lb0EPiS7_N6thrust23THRUST_200600_302600_NS10device_ptrIlEESB_jNS0_19identity_decomposerENS1_16block_id_wrapperIjLb0EEEEE10hipError_tT1_PNSt15iterator_traitsISG_E10value_typeET2_T3_PNSH_ISM_E10value_typeET4_T5_PSR_SS_PNS1_23onesweep_lookback_stateEbbT6_jjT7_P12ihipStream_tbENKUlT_T0_SG_SL_E_clIS7_S7_SB_PlEEDaSZ_S10_SG_SL_EUlSZ_E_NS1_11comp_targetILNS1_3genE9ELNS1_11target_archE1100ELNS1_3gpuE3ELNS1_3repE0EEENS1_47radix_sort_onesweep_sort_config_static_selectorELNS0_4arch9wavefront6targetE1EEEvSG_ ; -- Begin function _ZN7rocprim17ROCPRIM_400000_NS6detail17trampoline_kernelINS0_14default_configENS1_35radix_sort_onesweep_config_selectorIilEEZZNS1_29radix_sort_onesweep_iterationIS3_Lb0EPiS7_N6thrust23THRUST_200600_302600_NS10device_ptrIlEESB_jNS0_19identity_decomposerENS1_16block_id_wrapperIjLb0EEEEE10hipError_tT1_PNSt15iterator_traitsISG_E10value_typeET2_T3_PNSH_ISM_E10value_typeET4_T5_PSR_SS_PNS1_23onesweep_lookback_stateEbbT6_jjT7_P12ihipStream_tbENKUlT_T0_SG_SL_E_clIS7_S7_SB_PlEEDaSZ_S10_SG_SL_EUlSZ_E_NS1_11comp_targetILNS1_3genE9ELNS1_11target_archE1100ELNS1_3gpuE3ELNS1_3repE0EEENS1_47radix_sort_onesweep_sort_config_static_selectorELNS0_4arch9wavefront6targetE1EEEvSG_
	.globl	_ZN7rocprim17ROCPRIM_400000_NS6detail17trampoline_kernelINS0_14default_configENS1_35radix_sort_onesweep_config_selectorIilEEZZNS1_29radix_sort_onesweep_iterationIS3_Lb0EPiS7_N6thrust23THRUST_200600_302600_NS10device_ptrIlEESB_jNS0_19identity_decomposerENS1_16block_id_wrapperIjLb0EEEEE10hipError_tT1_PNSt15iterator_traitsISG_E10value_typeET2_T3_PNSH_ISM_E10value_typeET4_T5_PSR_SS_PNS1_23onesweep_lookback_stateEbbT6_jjT7_P12ihipStream_tbENKUlT_T0_SG_SL_E_clIS7_S7_SB_PlEEDaSZ_S10_SG_SL_EUlSZ_E_NS1_11comp_targetILNS1_3genE9ELNS1_11target_archE1100ELNS1_3gpuE3ELNS1_3repE0EEENS1_47radix_sort_onesweep_sort_config_static_selectorELNS0_4arch9wavefront6targetE1EEEvSG_
	.p2align	8
	.type	_ZN7rocprim17ROCPRIM_400000_NS6detail17trampoline_kernelINS0_14default_configENS1_35radix_sort_onesweep_config_selectorIilEEZZNS1_29radix_sort_onesweep_iterationIS3_Lb0EPiS7_N6thrust23THRUST_200600_302600_NS10device_ptrIlEESB_jNS0_19identity_decomposerENS1_16block_id_wrapperIjLb0EEEEE10hipError_tT1_PNSt15iterator_traitsISG_E10value_typeET2_T3_PNSH_ISM_E10value_typeET4_T5_PSR_SS_PNS1_23onesweep_lookback_stateEbbT6_jjT7_P12ihipStream_tbENKUlT_T0_SG_SL_E_clIS7_S7_SB_PlEEDaSZ_S10_SG_SL_EUlSZ_E_NS1_11comp_targetILNS1_3genE9ELNS1_11target_archE1100ELNS1_3gpuE3ELNS1_3repE0EEENS1_47radix_sort_onesweep_sort_config_static_selectorELNS0_4arch9wavefront6targetE1EEEvSG_,@function
_ZN7rocprim17ROCPRIM_400000_NS6detail17trampoline_kernelINS0_14default_configENS1_35radix_sort_onesweep_config_selectorIilEEZZNS1_29radix_sort_onesweep_iterationIS3_Lb0EPiS7_N6thrust23THRUST_200600_302600_NS10device_ptrIlEESB_jNS0_19identity_decomposerENS1_16block_id_wrapperIjLb0EEEEE10hipError_tT1_PNSt15iterator_traitsISG_E10value_typeET2_T3_PNSH_ISM_E10value_typeET4_T5_PSR_SS_PNS1_23onesweep_lookback_stateEbbT6_jjT7_P12ihipStream_tbENKUlT_T0_SG_SL_E_clIS7_S7_SB_PlEEDaSZ_S10_SG_SL_EUlSZ_E_NS1_11comp_targetILNS1_3genE9ELNS1_11target_archE1100ELNS1_3gpuE3ELNS1_3repE0EEENS1_47radix_sort_onesweep_sort_config_static_selectorELNS0_4arch9wavefront6targetE1EEEvSG_: ; @_ZN7rocprim17ROCPRIM_400000_NS6detail17trampoline_kernelINS0_14default_configENS1_35radix_sort_onesweep_config_selectorIilEEZZNS1_29radix_sort_onesweep_iterationIS3_Lb0EPiS7_N6thrust23THRUST_200600_302600_NS10device_ptrIlEESB_jNS0_19identity_decomposerENS1_16block_id_wrapperIjLb0EEEEE10hipError_tT1_PNSt15iterator_traitsISG_E10value_typeET2_T3_PNSH_ISM_E10value_typeET4_T5_PSR_SS_PNS1_23onesweep_lookback_stateEbbT6_jjT7_P12ihipStream_tbENKUlT_T0_SG_SL_E_clIS7_S7_SB_PlEEDaSZ_S10_SG_SL_EUlSZ_E_NS1_11comp_targetILNS1_3genE9ELNS1_11target_archE1100ELNS1_3gpuE3ELNS1_3repE0EEENS1_47radix_sort_onesweep_sort_config_static_selectorELNS0_4arch9wavefront6targetE1EEEvSG_
; %bb.0:
	.section	.rodata,"a",@progbits
	.p2align	6, 0x0
	.amdhsa_kernel _ZN7rocprim17ROCPRIM_400000_NS6detail17trampoline_kernelINS0_14default_configENS1_35radix_sort_onesweep_config_selectorIilEEZZNS1_29radix_sort_onesweep_iterationIS3_Lb0EPiS7_N6thrust23THRUST_200600_302600_NS10device_ptrIlEESB_jNS0_19identity_decomposerENS1_16block_id_wrapperIjLb0EEEEE10hipError_tT1_PNSt15iterator_traitsISG_E10value_typeET2_T3_PNSH_ISM_E10value_typeET4_T5_PSR_SS_PNS1_23onesweep_lookback_stateEbbT6_jjT7_P12ihipStream_tbENKUlT_T0_SG_SL_E_clIS7_S7_SB_PlEEDaSZ_S10_SG_SL_EUlSZ_E_NS1_11comp_targetILNS1_3genE9ELNS1_11target_archE1100ELNS1_3gpuE3ELNS1_3repE0EEENS1_47radix_sort_onesweep_sort_config_static_selectorELNS0_4arch9wavefront6targetE1EEEvSG_
		.amdhsa_group_segment_fixed_size 0
		.amdhsa_private_segment_fixed_size 0
		.amdhsa_kernarg_size 88
		.amdhsa_user_sgpr_count 6
		.amdhsa_user_sgpr_private_segment_buffer 1
		.amdhsa_user_sgpr_dispatch_ptr 0
		.amdhsa_user_sgpr_queue_ptr 0
		.amdhsa_user_sgpr_kernarg_segment_ptr 1
		.amdhsa_user_sgpr_dispatch_id 0
		.amdhsa_user_sgpr_flat_scratch_init 0
		.amdhsa_user_sgpr_private_segment_size 0
		.amdhsa_uses_dynamic_stack 0
		.amdhsa_system_sgpr_private_segment_wavefront_offset 0
		.amdhsa_system_sgpr_workgroup_id_x 1
		.amdhsa_system_sgpr_workgroup_id_y 0
		.amdhsa_system_sgpr_workgroup_id_z 0
		.amdhsa_system_sgpr_workgroup_info 0
		.amdhsa_system_vgpr_workitem_id 0
		.amdhsa_next_free_vgpr 1
		.amdhsa_next_free_sgpr 0
		.amdhsa_reserve_vcc 0
		.amdhsa_reserve_flat_scratch 0
		.amdhsa_float_round_mode_32 0
		.amdhsa_float_round_mode_16_64 0
		.amdhsa_float_denorm_mode_32 3
		.amdhsa_float_denorm_mode_16_64 3
		.amdhsa_dx10_clamp 1
		.amdhsa_ieee_mode 1
		.amdhsa_fp16_overflow 0
		.amdhsa_exception_fp_ieee_invalid_op 0
		.amdhsa_exception_fp_denorm_src 0
		.amdhsa_exception_fp_ieee_div_zero 0
		.amdhsa_exception_fp_ieee_overflow 0
		.amdhsa_exception_fp_ieee_underflow 0
		.amdhsa_exception_fp_ieee_inexact 0
		.amdhsa_exception_int_div_zero 0
	.end_amdhsa_kernel
	.section	.text._ZN7rocprim17ROCPRIM_400000_NS6detail17trampoline_kernelINS0_14default_configENS1_35radix_sort_onesweep_config_selectorIilEEZZNS1_29radix_sort_onesweep_iterationIS3_Lb0EPiS7_N6thrust23THRUST_200600_302600_NS10device_ptrIlEESB_jNS0_19identity_decomposerENS1_16block_id_wrapperIjLb0EEEEE10hipError_tT1_PNSt15iterator_traitsISG_E10value_typeET2_T3_PNSH_ISM_E10value_typeET4_T5_PSR_SS_PNS1_23onesweep_lookback_stateEbbT6_jjT7_P12ihipStream_tbENKUlT_T0_SG_SL_E_clIS7_S7_SB_PlEEDaSZ_S10_SG_SL_EUlSZ_E_NS1_11comp_targetILNS1_3genE9ELNS1_11target_archE1100ELNS1_3gpuE3ELNS1_3repE0EEENS1_47radix_sort_onesweep_sort_config_static_selectorELNS0_4arch9wavefront6targetE1EEEvSG_,"axG",@progbits,_ZN7rocprim17ROCPRIM_400000_NS6detail17trampoline_kernelINS0_14default_configENS1_35radix_sort_onesweep_config_selectorIilEEZZNS1_29radix_sort_onesweep_iterationIS3_Lb0EPiS7_N6thrust23THRUST_200600_302600_NS10device_ptrIlEESB_jNS0_19identity_decomposerENS1_16block_id_wrapperIjLb0EEEEE10hipError_tT1_PNSt15iterator_traitsISG_E10value_typeET2_T3_PNSH_ISM_E10value_typeET4_T5_PSR_SS_PNS1_23onesweep_lookback_stateEbbT6_jjT7_P12ihipStream_tbENKUlT_T0_SG_SL_E_clIS7_S7_SB_PlEEDaSZ_S10_SG_SL_EUlSZ_E_NS1_11comp_targetILNS1_3genE9ELNS1_11target_archE1100ELNS1_3gpuE3ELNS1_3repE0EEENS1_47radix_sort_onesweep_sort_config_static_selectorELNS0_4arch9wavefront6targetE1EEEvSG_,comdat
.Lfunc_end909:
	.size	_ZN7rocprim17ROCPRIM_400000_NS6detail17trampoline_kernelINS0_14default_configENS1_35radix_sort_onesweep_config_selectorIilEEZZNS1_29radix_sort_onesweep_iterationIS3_Lb0EPiS7_N6thrust23THRUST_200600_302600_NS10device_ptrIlEESB_jNS0_19identity_decomposerENS1_16block_id_wrapperIjLb0EEEEE10hipError_tT1_PNSt15iterator_traitsISG_E10value_typeET2_T3_PNSH_ISM_E10value_typeET4_T5_PSR_SS_PNS1_23onesweep_lookback_stateEbbT6_jjT7_P12ihipStream_tbENKUlT_T0_SG_SL_E_clIS7_S7_SB_PlEEDaSZ_S10_SG_SL_EUlSZ_E_NS1_11comp_targetILNS1_3genE9ELNS1_11target_archE1100ELNS1_3gpuE3ELNS1_3repE0EEENS1_47radix_sort_onesweep_sort_config_static_selectorELNS0_4arch9wavefront6targetE1EEEvSG_, .Lfunc_end909-_ZN7rocprim17ROCPRIM_400000_NS6detail17trampoline_kernelINS0_14default_configENS1_35radix_sort_onesweep_config_selectorIilEEZZNS1_29radix_sort_onesweep_iterationIS3_Lb0EPiS7_N6thrust23THRUST_200600_302600_NS10device_ptrIlEESB_jNS0_19identity_decomposerENS1_16block_id_wrapperIjLb0EEEEE10hipError_tT1_PNSt15iterator_traitsISG_E10value_typeET2_T3_PNSH_ISM_E10value_typeET4_T5_PSR_SS_PNS1_23onesweep_lookback_stateEbbT6_jjT7_P12ihipStream_tbENKUlT_T0_SG_SL_E_clIS7_S7_SB_PlEEDaSZ_S10_SG_SL_EUlSZ_E_NS1_11comp_targetILNS1_3genE9ELNS1_11target_archE1100ELNS1_3gpuE3ELNS1_3repE0EEENS1_47radix_sort_onesweep_sort_config_static_selectorELNS0_4arch9wavefront6targetE1EEEvSG_
                                        ; -- End function
	.set _ZN7rocprim17ROCPRIM_400000_NS6detail17trampoline_kernelINS0_14default_configENS1_35radix_sort_onesweep_config_selectorIilEEZZNS1_29radix_sort_onesweep_iterationIS3_Lb0EPiS7_N6thrust23THRUST_200600_302600_NS10device_ptrIlEESB_jNS0_19identity_decomposerENS1_16block_id_wrapperIjLb0EEEEE10hipError_tT1_PNSt15iterator_traitsISG_E10value_typeET2_T3_PNSH_ISM_E10value_typeET4_T5_PSR_SS_PNS1_23onesweep_lookback_stateEbbT6_jjT7_P12ihipStream_tbENKUlT_T0_SG_SL_E_clIS7_S7_SB_PlEEDaSZ_S10_SG_SL_EUlSZ_E_NS1_11comp_targetILNS1_3genE9ELNS1_11target_archE1100ELNS1_3gpuE3ELNS1_3repE0EEENS1_47radix_sort_onesweep_sort_config_static_selectorELNS0_4arch9wavefront6targetE1EEEvSG_.num_vgpr, 0
	.set _ZN7rocprim17ROCPRIM_400000_NS6detail17trampoline_kernelINS0_14default_configENS1_35radix_sort_onesweep_config_selectorIilEEZZNS1_29radix_sort_onesweep_iterationIS3_Lb0EPiS7_N6thrust23THRUST_200600_302600_NS10device_ptrIlEESB_jNS0_19identity_decomposerENS1_16block_id_wrapperIjLb0EEEEE10hipError_tT1_PNSt15iterator_traitsISG_E10value_typeET2_T3_PNSH_ISM_E10value_typeET4_T5_PSR_SS_PNS1_23onesweep_lookback_stateEbbT6_jjT7_P12ihipStream_tbENKUlT_T0_SG_SL_E_clIS7_S7_SB_PlEEDaSZ_S10_SG_SL_EUlSZ_E_NS1_11comp_targetILNS1_3genE9ELNS1_11target_archE1100ELNS1_3gpuE3ELNS1_3repE0EEENS1_47radix_sort_onesweep_sort_config_static_selectorELNS0_4arch9wavefront6targetE1EEEvSG_.num_agpr, 0
	.set _ZN7rocprim17ROCPRIM_400000_NS6detail17trampoline_kernelINS0_14default_configENS1_35radix_sort_onesweep_config_selectorIilEEZZNS1_29radix_sort_onesweep_iterationIS3_Lb0EPiS7_N6thrust23THRUST_200600_302600_NS10device_ptrIlEESB_jNS0_19identity_decomposerENS1_16block_id_wrapperIjLb0EEEEE10hipError_tT1_PNSt15iterator_traitsISG_E10value_typeET2_T3_PNSH_ISM_E10value_typeET4_T5_PSR_SS_PNS1_23onesweep_lookback_stateEbbT6_jjT7_P12ihipStream_tbENKUlT_T0_SG_SL_E_clIS7_S7_SB_PlEEDaSZ_S10_SG_SL_EUlSZ_E_NS1_11comp_targetILNS1_3genE9ELNS1_11target_archE1100ELNS1_3gpuE3ELNS1_3repE0EEENS1_47radix_sort_onesweep_sort_config_static_selectorELNS0_4arch9wavefront6targetE1EEEvSG_.numbered_sgpr, 0
	.set _ZN7rocprim17ROCPRIM_400000_NS6detail17trampoline_kernelINS0_14default_configENS1_35radix_sort_onesweep_config_selectorIilEEZZNS1_29radix_sort_onesweep_iterationIS3_Lb0EPiS7_N6thrust23THRUST_200600_302600_NS10device_ptrIlEESB_jNS0_19identity_decomposerENS1_16block_id_wrapperIjLb0EEEEE10hipError_tT1_PNSt15iterator_traitsISG_E10value_typeET2_T3_PNSH_ISM_E10value_typeET4_T5_PSR_SS_PNS1_23onesweep_lookback_stateEbbT6_jjT7_P12ihipStream_tbENKUlT_T0_SG_SL_E_clIS7_S7_SB_PlEEDaSZ_S10_SG_SL_EUlSZ_E_NS1_11comp_targetILNS1_3genE9ELNS1_11target_archE1100ELNS1_3gpuE3ELNS1_3repE0EEENS1_47radix_sort_onesweep_sort_config_static_selectorELNS0_4arch9wavefront6targetE1EEEvSG_.num_named_barrier, 0
	.set _ZN7rocprim17ROCPRIM_400000_NS6detail17trampoline_kernelINS0_14default_configENS1_35radix_sort_onesweep_config_selectorIilEEZZNS1_29radix_sort_onesweep_iterationIS3_Lb0EPiS7_N6thrust23THRUST_200600_302600_NS10device_ptrIlEESB_jNS0_19identity_decomposerENS1_16block_id_wrapperIjLb0EEEEE10hipError_tT1_PNSt15iterator_traitsISG_E10value_typeET2_T3_PNSH_ISM_E10value_typeET4_T5_PSR_SS_PNS1_23onesweep_lookback_stateEbbT6_jjT7_P12ihipStream_tbENKUlT_T0_SG_SL_E_clIS7_S7_SB_PlEEDaSZ_S10_SG_SL_EUlSZ_E_NS1_11comp_targetILNS1_3genE9ELNS1_11target_archE1100ELNS1_3gpuE3ELNS1_3repE0EEENS1_47radix_sort_onesweep_sort_config_static_selectorELNS0_4arch9wavefront6targetE1EEEvSG_.private_seg_size, 0
	.set _ZN7rocprim17ROCPRIM_400000_NS6detail17trampoline_kernelINS0_14default_configENS1_35radix_sort_onesweep_config_selectorIilEEZZNS1_29radix_sort_onesweep_iterationIS3_Lb0EPiS7_N6thrust23THRUST_200600_302600_NS10device_ptrIlEESB_jNS0_19identity_decomposerENS1_16block_id_wrapperIjLb0EEEEE10hipError_tT1_PNSt15iterator_traitsISG_E10value_typeET2_T3_PNSH_ISM_E10value_typeET4_T5_PSR_SS_PNS1_23onesweep_lookback_stateEbbT6_jjT7_P12ihipStream_tbENKUlT_T0_SG_SL_E_clIS7_S7_SB_PlEEDaSZ_S10_SG_SL_EUlSZ_E_NS1_11comp_targetILNS1_3genE9ELNS1_11target_archE1100ELNS1_3gpuE3ELNS1_3repE0EEENS1_47radix_sort_onesweep_sort_config_static_selectorELNS0_4arch9wavefront6targetE1EEEvSG_.uses_vcc, 0
	.set _ZN7rocprim17ROCPRIM_400000_NS6detail17trampoline_kernelINS0_14default_configENS1_35radix_sort_onesweep_config_selectorIilEEZZNS1_29radix_sort_onesweep_iterationIS3_Lb0EPiS7_N6thrust23THRUST_200600_302600_NS10device_ptrIlEESB_jNS0_19identity_decomposerENS1_16block_id_wrapperIjLb0EEEEE10hipError_tT1_PNSt15iterator_traitsISG_E10value_typeET2_T3_PNSH_ISM_E10value_typeET4_T5_PSR_SS_PNS1_23onesweep_lookback_stateEbbT6_jjT7_P12ihipStream_tbENKUlT_T0_SG_SL_E_clIS7_S7_SB_PlEEDaSZ_S10_SG_SL_EUlSZ_E_NS1_11comp_targetILNS1_3genE9ELNS1_11target_archE1100ELNS1_3gpuE3ELNS1_3repE0EEENS1_47radix_sort_onesweep_sort_config_static_selectorELNS0_4arch9wavefront6targetE1EEEvSG_.uses_flat_scratch, 0
	.set _ZN7rocprim17ROCPRIM_400000_NS6detail17trampoline_kernelINS0_14default_configENS1_35radix_sort_onesweep_config_selectorIilEEZZNS1_29radix_sort_onesweep_iterationIS3_Lb0EPiS7_N6thrust23THRUST_200600_302600_NS10device_ptrIlEESB_jNS0_19identity_decomposerENS1_16block_id_wrapperIjLb0EEEEE10hipError_tT1_PNSt15iterator_traitsISG_E10value_typeET2_T3_PNSH_ISM_E10value_typeET4_T5_PSR_SS_PNS1_23onesweep_lookback_stateEbbT6_jjT7_P12ihipStream_tbENKUlT_T0_SG_SL_E_clIS7_S7_SB_PlEEDaSZ_S10_SG_SL_EUlSZ_E_NS1_11comp_targetILNS1_3genE9ELNS1_11target_archE1100ELNS1_3gpuE3ELNS1_3repE0EEENS1_47radix_sort_onesweep_sort_config_static_selectorELNS0_4arch9wavefront6targetE1EEEvSG_.has_dyn_sized_stack, 0
	.set _ZN7rocprim17ROCPRIM_400000_NS6detail17trampoline_kernelINS0_14default_configENS1_35radix_sort_onesweep_config_selectorIilEEZZNS1_29radix_sort_onesweep_iterationIS3_Lb0EPiS7_N6thrust23THRUST_200600_302600_NS10device_ptrIlEESB_jNS0_19identity_decomposerENS1_16block_id_wrapperIjLb0EEEEE10hipError_tT1_PNSt15iterator_traitsISG_E10value_typeET2_T3_PNSH_ISM_E10value_typeET4_T5_PSR_SS_PNS1_23onesweep_lookback_stateEbbT6_jjT7_P12ihipStream_tbENKUlT_T0_SG_SL_E_clIS7_S7_SB_PlEEDaSZ_S10_SG_SL_EUlSZ_E_NS1_11comp_targetILNS1_3genE9ELNS1_11target_archE1100ELNS1_3gpuE3ELNS1_3repE0EEENS1_47radix_sort_onesweep_sort_config_static_selectorELNS0_4arch9wavefront6targetE1EEEvSG_.has_recursion, 0
	.set _ZN7rocprim17ROCPRIM_400000_NS6detail17trampoline_kernelINS0_14default_configENS1_35radix_sort_onesweep_config_selectorIilEEZZNS1_29radix_sort_onesweep_iterationIS3_Lb0EPiS7_N6thrust23THRUST_200600_302600_NS10device_ptrIlEESB_jNS0_19identity_decomposerENS1_16block_id_wrapperIjLb0EEEEE10hipError_tT1_PNSt15iterator_traitsISG_E10value_typeET2_T3_PNSH_ISM_E10value_typeET4_T5_PSR_SS_PNS1_23onesweep_lookback_stateEbbT6_jjT7_P12ihipStream_tbENKUlT_T0_SG_SL_E_clIS7_S7_SB_PlEEDaSZ_S10_SG_SL_EUlSZ_E_NS1_11comp_targetILNS1_3genE9ELNS1_11target_archE1100ELNS1_3gpuE3ELNS1_3repE0EEENS1_47radix_sort_onesweep_sort_config_static_selectorELNS0_4arch9wavefront6targetE1EEEvSG_.has_indirect_call, 0
	.section	.AMDGPU.csdata,"",@progbits
; Kernel info:
; codeLenInByte = 0
; TotalNumSgprs: 4
; NumVgprs: 0
; ScratchSize: 0
; MemoryBound: 0
; FloatMode: 240
; IeeeMode: 1
; LDSByteSize: 0 bytes/workgroup (compile time only)
; SGPRBlocks: 0
; VGPRBlocks: 0
; NumSGPRsForWavesPerEU: 4
; NumVGPRsForWavesPerEU: 1
; Occupancy: 10
; WaveLimiterHint : 0
; COMPUTE_PGM_RSRC2:SCRATCH_EN: 0
; COMPUTE_PGM_RSRC2:USER_SGPR: 6
; COMPUTE_PGM_RSRC2:TRAP_HANDLER: 0
; COMPUTE_PGM_RSRC2:TGID_X_EN: 1
; COMPUTE_PGM_RSRC2:TGID_Y_EN: 0
; COMPUTE_PGM_RSRC2:TGID_Z_EN: 0
; COMPUTE_PGM_RSRC2:TIDIG_COMP_CNT: 0
	.section	.text._ZN7rocprim17ROCPRIM_400000_NS6detail17trampoline_kernelINS0_14default_configENS1_35radix_sort_onesweep_config_selectorIilEEZZNS1_29radix_sort_onesweep_iterationIS3_Lb0EPiS7_N6thrust23THRUST_200600_302600_NS10device_ptrIlEESB_jNS0_19identity_decomposerENS1_16block_id_wrapperIjLb0EEEEE10hipError_tT1_PNSt15iterator_traitsISG_E10value_typeET2_T3_PNSH_ISM_E10value_typeET4_T5_PSR_SS_PNS1_23onesweep_lookback_stateEbbT6_jjT7_P12ihipStream_tbENKUlT_T0_SG_SL_E_clIS7_S7_SB_PlEEDaSZ_S10_SG_SL_EUlSZ_E_NS1_11comp_targetILNS1_3genE8ELNS1_11target_archE1030ELNS1_3gpuE2ELNS1_3repE0EEENS1_47radix_sort_onesweep_sort_config_static_selectorELNS0_4arch9wavefront6targetE1EEEvSG_,"axG",@progbits,_ZN7rocprim17ROCPRIM_400000_NS6detail17trampoline_kernelINS0_14default_configENS1_35radix_sort_onesweep_config_selectorIilEEZZNS1_29radix_sort_onesweep_iterationIS3_Lb0EPiS7_N6thrust23THRUST_200600_302600_NS10device_ptrIlEESB_jNS0_19identity_decomposerENS1_16block_id_wrapperIjLb0EEEEE10hipError_tT1_PNSt15iterator_traitsISG_E10value_typeET2_T3_PNSH_ISM_E10value_typeET4_T5_PSR_SS_PNS1_23onesweep_lookback_stateEbbT6_jjT7_P12ihipStream_tbENKUlT_T0_SG_SL_E_clIS7_S7_SB_PlEEDaSZ_S10_SG_SL_EUlSZ_E_NS1_11comp_targetILNS1_3genE8ELNS1_11target_archE1030ELNS1_3gpuE2ELNS1_3repE0EEENS1_47radix_sort_onesweep_sort_config_static_selectorELNS0_4arch9wavefront6targetE1EEEvSG_,comdat
	.protected	_ZN7rocprim17ROCPRIM_400000_NS6detail17trampoline_kernelINS0_14default_configENS1_35radix_sort_onesweep_config_selectorIilEEZZNS1_29radix_sort_onesweep_iterationIS3_Lb0EPiS7_N6thrust23THRUST_200600_302600_NS10device_ptrIlEESB_jNS0_19identity_decomposerENS1_16block_id_wrapperIjLb0EEEEE10hipError_tT1_PNSt15iterator_traitsISG_E10value_typeET2_T3_PNSH_ISM_E10value_typeET4_T5_PSR_SS_PNS1_23onesweep_lookback_stateEbbT6_jjT7_P12ihipStream_tbENKUlT_T0_SG_SL_E_clIS7_S7_SB_PlEEDaSZ_S10_SG_SL_EUlSZ_E_NS1_11comp_targetILNS1_3genE8ELNS1_11target_archE1030ELNS1_3gpuE2ELNS1_3repE0EEENS1_47radix_sort_onesweep_sort_config_static_selectorELNS0_4arch9wavefront6targetE1EEEvSG_ ; -- Begin function _ZN7rocprim17ROCPRIM_400000_NS6detail17trampoline_kernelINS0_14default_configENS1_35radix_sort_onesweep_config_selectorIilEEZZNS1_29radix_sort_onesweep_iterationIS3_Lb0EPiS7_N6thrust23THRUST_200600_302600_NS10device_ptrIlEESB_jNS0_19identity_decomposerENS1_16block_id_wrapperIjLb0EEEEE10hipError_tT1_PNSt15iterator_traitsISG_E10value_typeET2_T3_PNSH_ISM_E10value_typeET4_T5_PSR_SS_PNS1_23onesweep_lookback_stateEbbT6_jjT7_P12ihipStream_tbENKUlT_T0_SG_SL_E_clIS7_S7_SB_PlEEDaSZ_S10_SG_SL_EUlSZ_E_NS1_11comp_targetILNS1_3genE8ELNS1_11target_archE1030ELNS1_3gpuE2ELNS1_3repE0EEENS1_47radix_sort_onesweep_sort_config_static_selectorELNS0_4arch9wavefront6targetE1EEEvSG_
	.globl	_ZN7rocprim17ROCPRIM_400000_NS6detail17trampoline_kernelINS0_14default_configENS1_35radix_sort_onesweep_config_selectorIilEEZZNS1_29radix_sort_onesweep_iterationIS3_Lb0EPiS7_N6thrust23THRUST_200600_302600_NS10device_ptrIlEESB_jNS0_19identity_decomposerENS1_16block_id_wrapperIjLb0EEEEE10hipError_tT1_PNSt15iterator_traitsISG_E10value_typeET2_T3_PNSH_ISM_E10value_typeET4_T5_PSR_SS_PNS1_23onesweep_lookback_stateEbbT6_jjT7_P12ihipStream_tbENKUlT_T0_SG_SL_E_clIS7_S7_SB_PlEEDaSZ_S10_SG_SL_EUlSZ_E_NS1_11comp_targetILNS1_3genE8ELNS1_11target_archE1030ELNS1_3gpuE2ELNS1_3repE0EEENS1_47radix_sort_onesweep_sort_config_static_selectorELNS0_4arch9wavefront6targetE1EEEvSG_
	.p2align	8
	.type	_ZN7rocprim17ROCPRIM_400000_NS6detail17trampoline_kernelINS0_14default_configENS1_35radix_sort_onesweep_config_selectorIilEEZZNS1_29radix_sort_onesweep_iterationIS3_Lb0EPiS7_N6thrust23THRUST_200600_302600_NS10device_ptrIlEESB_jNS0_19identity_decomposerENS1_16block_id_wrapperIjLb0EEEEE10hipError_tT1_PNSt15iterator_traitsISG_E10value_typeET2_T3_PNSH_ISM_E10value_typeET4_T5_PSR_SS_PNS1_23onesweep_lookback_stateEbbT6_jjT7_P12ihipStream_tbENKUlT_T0_SG_SL_E_clIS7_S7_SB_PlEEDaSZ_S10_SG_SL_EUlSZ_E_NS1_11comp_targetILNS1_3genE8ELNS1_11target_archE1030ELNS1_3gpuE2ELNS1_3repE0EEENS1_47radix_sort_onesweep_sort_config_static_selectorELNS0_4arch9wavefront6targetE1EEEvSG_,@function
_ZN7rocprim17ROCPRIM_400000_NS6detail17trampoline_kernelINS0_14default_configENS1_35radix_sort_onesweep_config_selectorIilEEZZNS1_29radix_sort_onesweep_iterationIS3_Lb0EPiS7_N6thrust23THRUST_200600_302600_NS10device_ptrIlEESB_jNS0_19identity_decomposerENS1_16block_id_wrapperIjLb0EEEEE10hipError_tT1_PNSt15iterator_traitsISG_E10value_typeET2_T3_PNSH_ISM_E10value_typeET4_T5_PSR_SS_PNS1_23onesweep_lookback_stateEbbT6_jjT7_P12ihipStream_tbENKUlT_T0_SG_SL_E_clIS7_S7_SB_PlEEDaSZ_S10_SG_SL_EUlSZ_E_NS1_11comp_targetILNS1_3genE8ELNS1_11target_archE1030ELNS1_3gpuE2ELNS1_3repE0EEENS1_47radix_sort_onesweep_sort_config_static_selectorELNS0_4arch9wavefront6targetE1EEEvSG_: ; @_ZN7rocprim17ROCPRIM_400000_NS6detail17trampoline_kernelINS0_14default_configENS1_35radix_sort_onesweep_config_selectorIilEEZZNS1_29radix_sort_onesweep_iterationIS3_Lb0EPiS7_N6thrust23THRUST_200600_302600_NS10device_ptrIlEESB_jNS0_19identity_decomposerENS1_16block_id_wrapperIjLb0EEEEE10hipError_tT1_PNSt15iterator_traitsISG_E10value_typeET2_T3_PNSH_ISM_E10value_typeET4_T5_PSR_SS_PNS1_23onesweep_lookback_stateEbbT6_jjT7_P12ihipStream_tbENKUlT_T0_SG_SL_E_clIS7_S7_SB_PlEEDaSZ_S10_SG_SL_EUlSZ_E_NS1_11comp_targetILNS1_3genE8ELNS1_11target_archE1030ELNS1_3gpuE2ELNS1_3repE0EEENS1_47radix_sort_onesweep_sort_config_static_selectorELNS0_4arch9wavefront6targetE1EEEvSG_
; %bb.0:
	.section	.rodata,"a",@progbits
	.p2align	6, 0x0
	.amdhsa_kernel _ZN7rocprim17ROCPRIM_400000_NS6detail17trampoline_kernelINS0_14default_configENS1_35radix_sort_onesweep_config_selectorIilEEZZNS1_29radix_sort_onesweep_iterationIS3_Lb0EPiS7_N6thrust23THRUST_200600_302600_NS10device_ptrIlEESB_jNS0_19identity_decomposerENS1_16block_id_wrapperIjLb0EEEEE10hipError_tT1_PNSt15iterator_traitsISG_E10value_typeET2_T3_PNSH_ISM_E10value_typeET4_T5_PSR_SS_PNS1_23onesweep_lookback_stateEbbT6_jjT7_P12ihipStream_tbENKUlT_T0_SG_SL_E_clIS7_S7_SB_PlEEDaSZ_S10_SG_SL_EUlSZ_E_NS1_11comp_targetILNS1_3genE8ELNS1_11target_archE1030ELNS1_3gpuE2ELNS1_3repE0EEENS1_47radix_sort_onesweep_sort_config_static_selectorELNS0_4arch9wavefront6targetE1EEEvSG_
		.amdhsa_group_segment_fixed_size 0
		.amdhsa_private_segment_fixed_size 0
		.amdhsa_kernarg_size 88
		.amdhsa_user_sgpr_count 6
		.amdhsa_user_sgpr_private_segment_buffer 1
		.amdhsa_user_sgpr_dispatch_ptr 0
		.amdhsa_user_sgpr_queue_ptr 0
		.amdhsa_user_sgpr_kernarg_segment_ptr 1
		.amdhsa_user_sgpr_dispatch_id 0
		.amdhsa_user_sgpr_flat_scratch_init 0
		.amdhsa_user_sgpr_private_segment_size 0
		.amdhsa_uses_dynamic_stack 0
		.amdhsa_system_sgpr_private_segment_wavefront_offset 0
		.amdhsa_system_sgpr_workgroup_id_x 1
		.amdhsa_system_sgpr_workgroup_id_y 0
		.amdhsa_system_sgpr_workgroup_id_z 0
		.amdhsa_system_sgpr_workgroup_info 0
		.amdhsa_system_vgpr_workitem_id 0
		.amdhsa_next_free_vgpr 1
		.amdhsa_next_free_sgpr 0
		.amdhsa_reserve_vcc 0
		.amdhsa_reserve_flat_scratch 0
		.amdhsa_float_round_mode_32 0
		.amdhsa_float_round_mode_16_64 0
		.amdhsa_float_denorm_mode_32 3
		.amdhsa_float_denorm_mode_16_64 3
		.amdhsa_dx10_clamp 1
		.amdhsa_ieee_mode 1
		.amdhsa_fp16_overflow 0
		.amdhsa_exception_fp_ieee_invalid_op 0
		.amdhsa_exception_fp_denorm_src 0
		.amdhsa_exception_fp_ieee_div_zero 0
		.amdhsa_exception_fp_ieee_overflow 0
		.amdhsa_exception_fp_ieee_underflow 0
		.amdhsa_exception_fp_ieee_inexact 0
		.amdhsa_exception_int_div_zero 0
	.end_amdhsa_kernel
	.section	.text._ZN7rocprim17ROCPRIM_400000_NS6detail17trampoline_kernelINS0_14default_configENS1_35radix_sort_onesweep_config_selectorIilEEZZNS1_29radix_sort_onesweep_iterationIS3_Lb0EPiS7_N6thrust23THRUST_200600_302600_NS10device_ptrIlEESB_jNS0_19identity_decomposerENS1_16block_id_wrapperIjLb0EEEEE10hipError_tT1_PNSt15iterator_traitsISG_E10value_typeET2_T3_PNSH_ISM_E10value_typeET4_T5_PSR_SS_PNS1_23onesweep_lookback_stateEbbT6_jjT7_P12ihipStream_tbENKUlT_T0_SG_SL_E_clIS7_S7_SB_PlEEDaSZ_S10_SG_SL_EUlSZ_E_NS1_11comp_targetILNS1_3genE8ELNS1_11target_archE1030ELNS1_3gpuE2ELNS1_3repE0EEENS1_47radix_sort_onesweep_sort_config_static_selectorELNS0_4arch9wavefront6targetE1EEEvSG_,"axG",@progbits,_ZN7rocprim17ROCPRIM_400000_NS6detail17trampoline_kernelINS0_14default_configENS1_35radix_sort_onesweep_config_selectorIilEEZZNS1_29radix_sort_onesweep_iterationIS3_Lb0EPiS7_N6thrust23THRUST_200600_302600_NS10device_ptrIlEESB_jNS0_19identity_decomposerENS1_16block_id_wrapperIjLb0EEEEE10hipError_tT1_PNSt15iterator_traitsISG_E10value_typeET2_T3_PNSH_ISM_E10value_typeET4_T5_PSR_SS_PNS1_23onesweep_lookback_stateEbbT6_jjT7_P12ihipStream_tbENKUlT_T0_SG_SL_E_clIS7_S7_SB_PlEEDaSZ_S10_SG_SL_EUlSZ_E_NS1_11comp_targetILNS1_3genE8ELNS1_11target_archE1030ELNS1_3gpuE2ELNS1_3repE0EEENS1_47radix_sort_onesweep_sort_config_static_selectorELNS0_4arch9wavefront6targetE1EEEvSG_,comdat
.Lfunc_end910:
	.size	_ZN7rocprim17ROCPRIM_400000_NS6detail17trampoline_kernelINS0_14default_configENS1_35radix_sort_onesweep_config_selectorIilEEZZNS1_29radix_sort_onesweep_iterationIS3_Lb0EPiS7_N6thrust23THRUST_200600_302600_NS10device_ptrIlEESB_jNS0_19identity_decomposerENS1_16block_id_wrapperIjLb0EEEEE10hipError_tT1_PNSt15iterator_traitsISG_E10value_typeET2_T3_PNSH_ISM_E10value_typeET4_T5_PSR_SS_PNS1_23onesweep_lookback_stateEbbT6_jjT7_P12ihipStream_tbENKUlT_T0_SG_SL_E_clIS7_S7_SB_PlEEDaSZ_S10_SG_SL_EUlSZ_E_NS1_11comp_targetILNS1_3genE8ELNS1_11target_archE1030ELNS1_3gpuE2ELNS1_3repE0EEENS1_47radix_sort_onesweep_sort_config_static_selectorELNS0_4arch9wavefront6targetE1EEEvSG_, .Lfunc_end910-_ZN7rocprim17ROCPRIM_400000_NS6detail17trampoline_kernelINS0_14default_configENS1_35radix_sort_onesweep_config_selectorIilEEZZNS1_29radix_sort_onesweep_iterationIS3_Lb0EPiS7_N6thrust23THRUST_200600_302600_NS10device_ptrIlEESB_jNS0_19identity_decomposerENS1_16block_id_wrapperIjLb0EEEEE10hipError_tT1_PNSt15iterator_traitsISG_E10value_typeET2_T3_PNSH_ISM_E10value_typeET4_T5_PSR_SS_PNS1_23onesweep_lookback_stateEbbT6_jjT7_P12ihipStream_tbENKUlT_T0_SG_SL_E_clIS7_S7_SB_PlEEDaSZ_S10_SG_SL_EUlSZ_E_NS1_11comp_targetILNS1_3genE8ELNS1_11target_archE1030ELNS1_3gpuE2ELNS1_3repE0EEENS1_47radix_sort_onesweep_sort_config_static_selectorELNS0_4arch9wavefront6targetE1EEEvSG_
                                        ; -- End function
	.set _ZN7rocprim17ROCPRIM_400000_NS6detail17trampoline_kernelINS0_14default_configENS1_35radix_sort_onesweep_config_selectorIilEEZZNS1_29radix_sort_onesweep_iterationIS3_Lb0EPiS7_N6thrust23THRUST_200600_302600_NS10device_ptrIlEESB_jNS0_19identity_decomposerENS1_16block_id_wrapperIjLb0EEEEE10hipError_tT1_PNSt15iterator_traitsISG_E10value_typeET2_T3_PNSH_ISM_E10value_typeET4_T5_PSR_SS_PNS1_23onesweep_lookback_stateEbbT6_jjT7_P12ihipStream_tbENKUlT_T0_SG_SL_E_clIS7_S7_SB_PlEEDaSZ_S10_SG_SL_EUlSZ_E_NS1_11comp_targetILNS1_3genE8ELNS1_11target_archE1030ELNS1_3gpuE2ELNS1_3repE0EEENS1_47radix_sort_onesweep_sort_config_static_selectorELNS0_4arch9wavefront6targetE1EEEvSG_.num_vgpr, 0
	.set _ZN7rocprim17ROCPRIM_400000_NS6detail17trampoline_kernelINS0_14default_configENS1_35radix_sort_onesweep_config_selectorIilEEZZNS1_29radix_sort_onesweep_iterationIS3_Lb0EPiS7_N6thrust23THRUST_200600_302600_NS10device_ptrIlEESB_jNS0_19identity_decomposerENS1_16block_id_wrapperIjLb0EEEEE10hipError_tT1_PNSt15iterator_traitsISG_E10value_typeET2_T3_PNSH_ISM_E10value_typeET4_T5_PSR_SS_PNS1_23onesweep_lookback_stateEbbT6_jjT7_P12ihipStream_tbENKUlT_T0_SG_SL_E_clIS7_S7_SB_PlEEDaSZ_S10_SG_SL_EUlSZ_E_NS1_11comp_targetILNS1_3genE8ELNS1_11target_archE1030ELNS1_3gpuE2ELNS1_3repE0EEENS1_47radix_sort_onesweep_sort_config_static_selectorELNS0_4arch9wavefront6targetE1EEEvSG_.num_agpr, 0
	.set _ZN7rocprim17ROCPRIM_400000_NS6detail17trampoline_kernelINS0_14default_configENS1_35radix_sort_onesweep_config_selectorIilEEZZNS1_29radix_sort_onesweep_iterationIS3_Lb0EPiS7_N6thrust23THRUST_200600_302600_NS10device_ptrIlEESB_jNS0_19identity_decomposerENS1_16block_id_wrapperIjLb0EEEEE10hipError_tT1_PNSt15iterator_traitsISG_E10value_typeET2_T3_PNSH_ISM_E10value_typeET4_T5_PSR_SS_PNS1_23onesweep_lookback_stateEbbT6_jjT7_P12ihipStream_tbENKUlT_T0_SG_SL_E_clIS7_S7_SB_PlEEDaSZ_S10_SG_SL_EUlSZ_E_NS1_11comp_targetILNS1_3genE8ELNS1_11target_archE1030ELNS1_3gpuE2ELNS1_3repE0EEENS1_47radix_sort_onesweep_sort_config_static_selectorELNS0_4arch9wavefront6targetE1EEEvSG_.numbered_sgpr, 0
	.set _ZN7rocprim17ROCPRIM_400000_NS6detail17trampoline_kernelINS0_14default_configENS1_35radix_sort_onesweep_config_selectorIilEEZZNS1_29radix_sort_onesweep_iterationIS3_Lb0EPiS7_N6thrust23THRUST_200600_302600_NS10device_ptrIlEESB_jNS0_19identity_decomposerENS1_16block_id_wrapperIjLb0EEEEE10hipError_tT1_PNSt15iterator_traitsISG_E10value_typeET2_T3_PNSH_ISM_E10value_typeET4_T5_PSR_SS_PNS1_23onesweep_lookback_stateEbbT6_jjT7_P12ihipStream_tbENKUlT_T0_SG_SL_E_clIS7_S7_SB_PlEEDaSZ_S10_SG_SL_EUlSZ_E_NS1_11comp_targetILNS1_3genE8ELNS1_11target_archE1030ELNS1_3gpuE2ELNS1_3repE0EEENS1_47radix_sort_onesweep_sort_config_static_selectorELNS0_4arch9wavefront6targetE1EEEvSG_.num_named_barrier, 0
	.set _ZN7rocprim17ROCPRIM_400000_NS6detail17trampoline_kernelINS0_14default_configENS1_35radix_sort_onesweep_config_selectorIilEEZZNS1_29radix_sort_onesweep_iterationIS3_Lb0EPiS7_N6thrust23THRUST_200600_302600_NS10device_ptrIlEESB_jNS0_19identity_decomposerENS1_16block_id_wrapperIjLb0EEEEE10hipError_tT1_PNSt15iterator_traitsISG_E10value_typeET2_T3_PNSH_ISM_E10value_typeET4_T5_PSR_SS_PNS1_23onesweep_lookback_stateEbbT6_jjT7_P12ihipStream_tbENKUlT_T0_SG_SL_E_clIS7_S7_SB_PlEEDaSZ_S10_SG_SL_EUlSZ_E_NS1_11comp_targetILNS1_3genE8ELNS1_11target_archE1030ELNS1_3gpuE2ELNS1_3repE0EEENS1_47radix_sort_onesweep_sort_config_static_selectorELNS0_4arch9wavefront6targetE1EEEvSG_.private_seg_size, 0
	.set _ZN7rocprim17ROCPRIM_400000_NS6detail17trampoline_kernelINS0_14default_configENS1_35radix_sort_onesweep_config_selectorIilEEZZNS1_29radix_sort_onesweep_iterationIS3_Lb0EPiS7_N6thrust23THRUST_200600_302600_NS10device_ptrIlEESB_jNS0_19identity_decomposerENS1_16block_id_wrapperIjLb0EEEEE10hipError_tT1_PNSt15iterator_traitsISG_E10value_typeET2_T3_PNSH_ISM_E10value_typeET4_T5_PSR_SS_PNS1_23onesweep_lookback_stateEbbT6_jjT7_P12ihipStream_tbENKUlT_T0_SG_SL_E_clIS7_S7_SB_PlEEDaSZ_S10_SG_SL_EUlSZ_E_NS1_11comp_targetILNS1_3genE8ELNS1_11target_archE1030ELNS1_3gpuE2ELNS1_3repE0EEENS1_47radix_sort_onesweep_sort_config_static_selectorELNS0_4arch9wavefront6targetE1EEEvSG_.uses_vcc, 0
	.set _ZN7rocprim17ROCPRIM_400000_NS6detail17trampoline_kernelINS0_14default_configENS1_35radix_sort_onesweep_config_selectorIilEEZZNS1_29radix_sort_onesweep_iterationIS3_Lb0EPiS7_N6thrust23THRUST_200600_302600_NS10device_ptrIlEESB_jNS0_19identity_decomposerENS1_16block_id_wrapperIjLb0EEEEE10hipError_tT1_PNSt15iterator_traitsISG_E10value_typeET2_T3_PNSH_ISM_E10value_typeET4_T5_PSR_SS_PNS1_23onesweep_lookback_stateEbbT6_jjT7_P12ihipStream_tbENKUlT_T0_SG_SL_E_clIS7_S7_SB_PlEEDaSZ_S10_SG_SL_EUlSZ_E_NS1_11comp_targetILNS1_3genE8ELNS1_11target_archE1030ELNS1_3gpuE2ELNS1_3repE0EEENS1_47radix_sort_onesweep_sort_config_static_selectorELNS0_4arch9wavefront6targetE1EEEvSG_.uses_flat_scratch, 0
	.set _ZN7rocprim17ROCPRIM_400000_NS6detail17trampoline_kernelINS0_14default_configENS1_35radix_sort_onesweep_config_selectorIilEEZZNS1_29radix_sort_onesweep_iterationIS3_Lb0EPiS7_N6thrust23THRUST_200600_302600_NS10device_ptrIlEESB_jNS0_19identity_decomposerENS1_16block_id_wrapperIjLb0EEEEE10hipError_tT1_PNSt15iterator_traitsISG_E10value_typeET2_T3_PNSH_ISM_E10value_typeET4_T5_PSR_SS_PNS1_23onesweep_lookback_stateEbbT6_jjT7_P12ihipStream_tbENKUlT_T0_SG_SL_E_clIS7_S7_SB_PlEEDaSZ_S10_SG_SL_EUlSZ_E_NS1_11comp_targetILNS1_3genE8ELNS1_11target_archE1030ELNS1_3gpuE2ELNS1_3repE0EEENS1_47radix_sort_onesweep_sort_config_static_selectorELNS0_4arch9wavefront6targetE1EEEvSG_.has_dyn_sized_stack, 0
	.set _ZN7rocprim17ROCPRIM_400000_NS6detail17trampoline_kernelINS0_14default_configENS1_35radix_sort_onesweep_config_selectorIilEEZZNS1_29radix_sort_onesweep_iterationIS3_Lb0EPiS7_N6thrust23THRUST_200600_302600_NS10device_ptrIlEESB_jNS0_19identity_decomposerENS1_16block_id_wrapperIjLb0EEEEE10hipError_tT1_PNSt15iterator_traitsISG_E10value_typeET2_T3_PNSH_ISM_E10value_typeET4_T5_PSR_SS_PNS1_23onesweep_lookback_stateEbbT6_jjT7_P12ihipStream_tbENKUlT_T0_SG_SL_E_clIS7_S7_SB_PlEEDaSZ_S10_SG_SL_EUlSZ_E_NS1_11comp_targetILNS1_3genE8ELNS1_11target_archE1030ELNS1_3gpuE2ELNS1_3repE0EEENS1_47radix_sort_onesweep_sort_config_static_selectorELNS0_4arch9wavefront6targetE1EEEvSG_.has_recursion, 0
	.set _ZN7rocprim17ROCPRIM_400000_NS6detail17trampoline_kernelINS0_14default_configENS1_35radix_sort_onesweep_config_selectorIilEEZZNS1_29radix_sort_onesweep_iterationIS3_Lb0EPiS7_N6thrust23THRUST_200600_302600_NS10device_ptrIlEESB_jNS0_19identity_decomposerENS1_16block_id_wrapperIjLb0EEEEE10hipError_tT1_PNSt15iterator_traitsISG_E10value_typeET2_T3_PNSH_ISM_E10value_typeET4_T5_PSR_SS_PNS1_23onesweep_lookback_stateEbbT6_jjT7_P12ihipStream_tbENKUlT_T0_SG_SL_E_clIS7_S7_SB_PlEEDaSZ_S10_SG_SL_EUlSZ_E_NS1_11comp_targetILNS1_3genE8ELNS1_11target_archE1030ELNS1_3gpuE2ELNS1_3repE0EEENS1_47radix_sort_onesweep_sort_config_static_selectorELNS0_4arch9wavefront6targetE1EEEvSG_.has_indirect_call, 0
	.section	.AMDGPU.csdata,"",@progbits
; Kernel info:
; codeLenInByte = 0
; TotalNumSgprs: 4
; NumVgprs: 0
; ScratchSize: 0
; MemoryBound: 0
; FloatMode: 240
; IeeeMode: 1
; LDSByteSize: 0 bytes/workgroup (compile time only)
; SGPRBlocks: 0
; VGPRBlocks: 0
; NumSGPRsForWavesPerEU: 4
; NumVGPRsForWavesPerEU: 1
; Occupancy: 10
; WaveLimiterHint : 0
; COMPUTE_PGM_RSRC2:SCRATCH_EN: 0
; COMPUTE_PGM_RSRC2:USER_SGPR: 6
; COMPUTE_PGM_RSRC2:TRAP_HANDLER: 0
; COMPUTE_PGM_RSRC2:TGID_X_EN: 1
; COMPUTE_PGM_RSRC2:TGID_Y_EN: 0
; COMPUTE_PGM_RSRC2:TGID_Z_EN: 0
; COMPUTE_PGM_RSRC2:TIDIG_COMP_CNT: 0
	.section	.text._ZN7rocprim17ROCPRIM_400000_NS6detail17trampoline_kernelINS0_14default_configENS1_35radix_sort_onesweep_config_selectorIilEEZZNS1_29radix_sort_onesweep_iterationIS3_Lb0EPiS7_N6thrust23THRUST_200600_302600_NS10device_ptrIlEESB_jNS0_19identity_decomposerENS1_16block_id_wrapperIjLb0EEEEE10hipError_tT1_PNSt15iterator_traitsISG_E10value_typeET2_T3_PNSH_ISM_E10value_typeET4_T5_PSR_SS_PNS1_23onesweep_lookback_stateEbbT6_jjT7_P12ihipStream_tbENKUlT_T0_SG_SL_E_clIS7_S7_PlSB_EEDaSZ_S10_SG_SL_EUlSZ_E_NS1_11comp_targetILNS1_3genE0ELNS1_11target_archE4294967295ELNS1_3gpuE0ELNS1_3repE0EEENS1_47radix_sort_onesweep_sort_config_static_selectorELNS0_4arch9wavefront6targetE1EEEvSG_,"axG",@progbits,_ZN7rocprim17ROCPRIM_400000_NS6detail17trampoline_kernelINS0_14default_configENS1_35radix_sort_onesweep_config_selectorIilEEZZNS1_29radix_sort_onesweep_iterationIS3_Lb0EPiS7_N6thrust23THRUST_200600_302600_NS10device_ptrIlEESB_jNS0_19identity_decomposerENS1_16block_id_wrapperIjLb0EEEEE10hipError_tT1_PNSt15iterator_traitsISG_E10value_typeET2_T3_PNSH_ISM_E10value_typeET4_T5_PSR_SS_PNS1_23onesweep_lookback_stateEbbT6_jjT7_P12ihipStream_tbENKUlT_T0_SG_SL_E_clIS7_S7_PlSB_EEDaSZ_S10_SG_SL_EUlSZ_E_NS1_11comp_targetILNS1_3genE0ELNS1_11target_archE4294967295ELNS1_3gpuE0ELNS1_3repE0EEENS1_47radix_sort_onesweep_sort_config_static_selectorELNS0_4arch9wavefront6targetE1EEEvSG_,comdat
	.protected	_ZN7rocprim17ROCPRIM_400000_NS6detail17trampoline_kernelINS0_14default_configENS1_35radix_sort_onesweep_config_selectorIilEEZZNS1_29radix_sort_onesweep_iterationIS3_Lb0EPiS7_N6thrust23THRUST_200600_302600_NS10device_ptrIlEESB_jNS0_19identity_decomposerENS1_16block_id_wrapperIjLb0EEEEE10hipError_tT1_PNSt15iterator_traitsISG_E10value_typeET2_T3_PNSH_ISM_E10value_typeET4_T5_PSR_SS_PNS1_23onesweep_lookback_stateEbbT6_jjT7_P12ihipStream_tbENKUlT_T0_SG_SL_E_clIS7_S7_PlSB_EEDaSZ_S10_SG_SL_EUlSZ_E_NS1_11comp_targetILNS1_3genE0ELNS1_11target_archE4294967295ELNS1_3gpuE0ELNS1_3repE0EEENS1_47radix_sort_onesweep_sort_config_static_selectorELNS0_4arch9wavefront6targetE1EEEvSG_ ; -- Begin function _ZN7rocprim17ROCPRIM_400000_NS6detail17trampoline_kernelINS0_14default_configENS1_35radix_sort_onesweep_config_selectorIilEEZZNS1_29radix_sort_onesweep_iterationIS3_Lb0EPiS7_N6thrust23THRUST_200600_302600_NS10device_ptrIlEESB_jNS0_19identity_decomposerENS1_16block_id_wrapperIjLb0EEEEE10hipError_tT1_PNSt15iterator_traitsISG_E10value_typeET2_T3_PNSH_ISM_E10value_typeET4_T5_PSR_SS_PNS1_23onesweep_lookback_stateEbbT6_jjT7_P12ihipStream_tbENKUlT_T0_SG_SL_E_clIS7_S7_PlSB_EEDaSZ_S10_SG_SL_EUlSZ_E_NS1_11comp_targetILNS1_3genE0ELNS1_11target_archE4294967295ELNS1_3gpuE0ELNS1_3repE0EEENS1_47radix_sort_onesweep_sort_config_static_selectorELNS0_4arch9wavefront6targetE1EEEvSG_
	.globl	_ZN7rocprim17ROCPRIM_400000_NS6detail17trampoline_kernelINS0_14default_configENS1_35radix_sort_onesweep_config_selectorIilEEZZNS1_29radix_sort_onesweep_iterationIS3_Lb0EPiS7_N6thrust23THRUST_200600_302600_NS10device_ptrIlEESB_jNS0_19identity_decomposerENS1_16block_id_wrapperIjLb0EEEEE10hipError_tT1_PNSt15iterator_traitsISG_E10value_typeET2_T3_PNSH_ISM_E10value_typeET4_T5_PSR_SS_PNS1_23onesweep_lookback_stateEbbT6_jjT7_P12ihipStream_tbENKUlT_T0_SG_SL_E_clIS7_S7_PlSB_EEDaSZ_S10_SG_SL_EUlSZ_E_NS1_11comp_targetILNS1_3genE0ELNS1_11target_archE4294967295ELNS1_3gpuE0ELNS1_3repE0EEENS1_47radix_sort_onesweep_sort_config_static_selectorELNS0_4arch9wavefront6targetE1EEEvSG_
	.p2align	8
	.type	_ZN7rocprim17ROCPRIM_400000_NS6detail17trampoline_kernelINS0_14default_configENS1_35radix_sort_onesweep_config_selectorIilEEZZNS1_29radix_sort_onesweep_iterationIS3_Lb0EPiS7_N6thrust23THRUST_200600_302600_NS10device_ptrIlEESB_jNS0_19identity_decomposerENS1_16block_id_wrapperIjLb0EEEEE10hipError_tT1_PNSt15iterator_traitsISG_E10value_typeET2_T3_PNSH_ISM_E10value_typeET4_T5_PSR_SS_PNS1_23onesweep_lookback_stateEbbT6_jjT7_P12ihipStream_tbENKUlT_T0_SG_SL_E_clIS7_S7_PlSB_EEDaSZ_S10_SG_SL_EUlSZ_E_NS1_11comp_targetILNS1_3genE0ELNS1_11target_archE4294967295ELNS1_3gpuE0ELNS1_3repE0EEENS1_47radix_sort_onesweep_sort_config_static_selectorELNS0_4arch9wavefront6targetE1EEEvSG_,@function
_ZN7rocprim17ROCPRIM_400000_NS6detail17trampoline_kernelINS0_14default_configENS1_35radix_sort_onesweep_config_selectorIilEEZZNS1_29radix_sort_onesweep_iterationIS3_Lb0EPiS7_N6thrust23THRUST_200600_302600_NS10device_ptrIlEESB_jNS0_19identity_decomposerENS1_16block_id_wrapperIjLb0EEEEE10hipError_tT1_PNSt15iterator_traitsISG_E10value_typeET2_T3_PNSH_ISM_E10value_typeET4_T5_PSR_SS_PNS1_23onesweep_lookback_stateEbbT6_jjT7_P12ihipStream_tbENKUlT_T0_SG_SL_E_clIS7_S7_PlSB_EEDaSZ_S10_SG_SL_EUlSZ_E_NS1_11comp_targetILNS1_3genE0ELNS1_11target_archE4294967295ELNS1_3gpuE0ELNS1_3repE0EEENS1_47radix_sort_onesweep_sort_config_static_selectorELNS0_4arch9wavefront6targetE1EEEvSG_: ; @_ZN7rocprim17ROCPRIM_400000_NS6detail17trampoline_kernelINS0_14default_configENS1_35radix_sort_onesweep_config_selectorIilEEZZNS1_29radix_sort_onesweep_iterationIS3_Lb0EPiS7_N6thrust23THRUST_200600_302600_NS10device_ptrIlEESB_jNS0_19identity_decomposerENS1_16block_id_wrapperIjLb0EEEEE10hipError_tT1_PNSt15iterator_traitsISG_E10value_typeET2_T3_PNSH_ISM_E10value_typeET4_T5_PSR_SS_PNS1_23onesweep_lookback_stateEbbT6_jjT7_P12ihipStream_tbENKUlT_T0_SG_SL_E_clIS7_S7_PlSB_EEDaSZ_S10_SG_SL_EUlSZ_E_NS1_11comp_targetILNS1_3genE0ELNS1_11target_archE4294967295ELNS1_3gpuE0ELNS1_3repE0EEENS1_47radix_sort_onesweep_sort_config_static_selectorELNS0_4arch9wavefront6targetE1EEEvSG_
; %bb.0:
	.section	.rodata,"a",@progbits
	.p2align	6, 0x0
	.amdhsa_kernel _ZN7rocprim17ROCPRIM_400000_NS6detail17trampoline_kernelINS0_14default_configENS1_35radix_sort_onesweep_config_selectorIilEEZZNS1_29radix_sort_onesweep_iterationIS3_Lb0EPiS7_N6thrust23THRUST_200600_302600_NS10device_ptrIlEESB_jNS0_19identity_decomposerENS1_16block_id_wrapperIjLb0EEEEE10hipError_tT1_PNSt15iterator_traitsISG_E10value_typeET2_T3_PNSH_ISM_E10value_typeET4_T5_PSR_SS_PNS1_23onesweep_lookback_stateEbbT6_jjT7_P12ihipStream_tbENKUlT_T0_SG_SL_E_clIS7_S7_PlSB_EEDaSZ_S10_SG_SL_EUlSZ_E_NS1_11comp_targetILNS1_3genE0ELNS1_11target_archE4294967295ELNS1_3gpuE0ELNS1_3repE0EEENS1_47radix_sort_onesweep_sort_config_static_selectorELNS0_4arch9wavefront6targetE1EEEvSG_
		.amdhsa_group_segment_fixed_size 0
		.amdhsa_private_segment_fixed_size 0
		.amdhsa_kernarg_size 88
		.amdhsa_user_sgpr_count 6
		.amdhsa_user_sgpr_private_segment_buffer 1
		.amdhsa_user_sgpr_dispatch_ptr 0
		.amdhsa_user_sgpr_queue_ptr 0
		.amdhsa_user_sgpr_kernarg_segment_ptr 1
		.amdhsa_user_sgpr_dispatch_id 0
		.amdhsa_user_sgpr_flat_scratch_init 0
		.amdhsa_user_sgpr_private_segment_size 0
		.amdhsa_uses_dynamic_stack 0
		.amdhsa_system_sgpr_private_segment_wavefront_offset 0
		.amdhsa_system_sgpr_workgroup_id_x 1
		.amdhsa_system_sgpr_workgroup_id_y 0
		.amdhsa_system_sgpr_workgroup_id_z 0
		.amdhsa_system_sgpr_workgroup_info 0
		.amdhsa_system_vgpr_workitem_id 0
		.amdhsa_next_free_vgpr 1
		.amdhsa_next_free_sgpr 0
		.amdhsa_reserve_vcc 0
		.amdhsa_reserve_flat_scratch 0
		.amdhsa_float_round_mode_32 0
		.amdhsa_float_round_mode_16_64 0
		.amdhsa_float_denorm_mode_32 3
		.amdhsa_float_denorm_mode_16_64 3
		.amdhsa_dx10_clamp 1
		.amdhsa_ieee_mode 1
		.amdhsa_fp16_overflow 0
		.amdhsa_exception_fp_ieee_invalid_op 0
		.amdhsa_exception_fp_denorm_src 0
		.amdhsa_exception_fp_ieee_div_zero 0
		.amdhsa_exception_fp_ieee_overflow 0
		.amdhsa_exception_fp_ieee_underflow 0
		.amdhsa_exception_fp_ieee_inexact 0
		.amdhsa_exception_int_div_zero 0
	.end_amdhsa_kernel
	.section	.text._ZN7rocprim17ROCPRIM_400000_NS6detail17trampoline_kernelINS0_14default_configENS1_35radix_sort_onesweep_config_selectorIilEEZZNS1_29radix_sort_onesweep_iterationIS3_Lb0EPiS7_N6thrust23THRUST_200600_302600_NS10device_ptrIlEESB_jNS0_19identity_decomposerENS1_16block_id_wrapperIjLb0EEEEE10hipError_tT1_PNSt15iterator_traitsISG_E10value_typeET2_T3_PNSH_ISM_E10value_typeET4_T5_PSR_SS_PNS1_23onesweep_lookback_stateEbbT6_jjT7_P12ihipStream_tbENKUlT_T0_SG_SL_E_clIS7_S7_PlSB_EEDaSZ_S10_SG_SL_EUlSZ_E_NS1_11comp_targetILNS1_3genE0ELNS1_11target_archE4294967295ELNS1_3gpuE0ELNS1_3repE0EEENS1_47radix_sort_onesweep_sort_config_static_selectorELNS0_4arch9wavefront6targetE1EEEvSG_,"axG",@progbits,_ZN7rocprim17ROCPRIM_400000_NS6detail17trampoline_kernelINS0_14default_configENS1_35radix_sort_onesweep_config_selectorIilEEZZNS1_29radix_sort_onesweep_iterationIS3_Lb0EPiS7_N6thrust23THRUST_200600_302600_NS10device_ptrIlEESB_jNS0_19identity_decomposerENS1_16block_id_wrapperIjLb0EEEEE10hipError_tT1_PNSt15iterator_traitsISG_E10value_typeET2_T3_PNSH_ISM_E10value_typeET4_T5_PSR_SS_PNS1_23onesweep_lookback_stateEbbT6_jjT7_P12ihipStream_tbENKUlT_T0_SG_SL_E_clIS7_S7_PlSB_EEDaSZ_S10_SG_SL_EUlSZ_E_NS1_11comp_targetILNS1_3genE0ELNS1_11target_archE4294967295ELNS1_3gpuE0ELNS1_3repE0EEENS1_47radix_sort_onesweep_sort_config_static_selectorELNS0_4arch9wavefront6targetE1EEEvSG_,comdat
.Lfunc_end911:
	.size	_ZN7rocprim17ROCPRIM_400000_NS6detail17trampoline_kernelINS0_14default_configENS1_35radix_sort_onesweep_config_selectorIilEEZZNS1_29radix_sort_onesweep_iterationIS3_Lb0EPiS7_N6thrust23THRUST_200600_302600_NS10device_ptrIlEESB_jNS0_19identity_decomposerENS1_16block_id_wrapperIjLb0EEEEE10hipError_tT1_PNSt15iterator_traitsISG_E10value_typeET2_T3_PNSH_ISM_E10value_typeET4_T5_PSR_SS_PNS1_23onesweep_lookback_stateEbbT6_jjT7_P12ihipStream_tbENKUlT_T0_SG_SL_E_clIS7_S7_PlSB_EEDaSZ_S10_SG_SL_EUlSZ_E_NS1_11comp_targetILNS1_3genE0ELNS1_11target_archE4294967295ELNS1_3gpuE0ELNS1_3repE0EEENS1_47radix_sort_onesweep_sort_config_static_selectorELNS0_4arch9wavefront6targetE1EEEvSG_, .Lfunc_end911-_ZN7rocprim17ROCPRIM_400000_NS6detail17trampoline_kernelINS0_14default_configENS1_35radix_sort_onesweep_config_selectorIilEEZZNS1_29radix_sort_onesweep_iterationIS3_Lb0EPiS7_N6thrust23THRUST_200600_302600_NS10device_ptrIlEESB_jNS0_19identity_decomposerENS1_16block_id_wrapperIjLb0EEEEE10hipError_tT1_PNSt15iterator_traitsISG_E10value_typeET2_T3_PNSH_ISM_E10value_typeET4_T5_PSR_SS_PNS1_23onesweep_lookback_stateEbbT6_jjT7_P12ihipStream_tbENKUlT_T0_SG_SL_E_clIS7_S7_PlSB_EEDaSZ_S10_SG_SL_EUlSZ_E_NS1_11comp_targetILNS1_3genE0ELNS1_11target_archE4294967295ELNS1_3gpuE0ELNS1_3repE0EEENS1_47radix_sort_onesweep_sort_config_static_selectorELNS0_4arch9wavefront6targetE1EEEvSG_
                                        ; -- End function
	.set _ZN7rocprim17ROCPRIM_400000_NS6detail17trampoline_kernelINS0_14default_configENS1_35radix_sort_onesweep_config_selectorIilEEZZNS1_29radix_sort_onesweep_iterationIS3_Lb0EPiS7_N6thrust23THRUST_200600_302600_NS10device_ptrIlEESB_jNS0_19identity_decomposerENS1_16block_id_wrapperIjLb0EEEEE10hipError_tT1_PNSt15iterator_traitsISG_E10value_typeET2_T3_PNSH_ISM_E10value_typeET4_T5_PSR_SS_PNS1_23onesweep_lookback_stateEbbT6_jjT7_P12ihipStream_tbENKUlT_T0_SG_SL_E_clIS7_S7_PlSB_EEDaSZ_S10_SG_SL_EUlSZ_E_NS1_11comp_targetILNS1_3genE0ELNS1_11target_archE4294967295ELNS1_3gpuE0ELNS1_3repE0EEENS1_47radix_sort_onesweep_sort_config_static_selectorELNS0_4arch9wavefront6targetE1EEEvSG_.num_vgpr, 0
	.set _ZN7rocprim17ROCPRIM_400000_NS6detail17trampoline_kernelINS0_14default_configENS1_35radix_sort_onesweep_config_selectorIilEEZZNS1_29radix_sort_onesweep_iterationIS3_Lb0EPiS7_N6thrust23THRUST_200600_302600_NS10device_ptrIlEESB_jNS0_19identity_decomposerENS1_16block_id_wrapperIjLb0EEEEE10hipError_tT1_PNSt15iterator_traitsISG_E10value_typeET2_T3_PNSH_ISM_E10value_typeET4_T5_PSR_SS_PNS1_23onesweep_lookback_stateEbbT6_jjT7_P12ihipStream_tbENKUlT_T0_SG_SL_E_clIS7_S7_PlSB_EEDaSZ_S10_SG_SL_EUlSZ_E_NS1_11comp_targetILNS1_3genE0ELNS1_11target_archE4294967295ELNS1_3gpuE0ELNS1_3repE0EEENS1_47radix_sort_onesweep_sort_config_static_selectorELNS0_4arch9wavefront6targetE1EEEvSG_.num_agpr, 0
	.set _ZN7rocprim17ROCPRIM_400000_NS6detail17trampoline_kernelINS0_14default_configENS1_35radix_sort_onesweep_config_selectorIilEEZZNS1_29radix_sort_onesweep_iterationIS3_Lb0EPiS7_N6thrust23THRUST_200600_302600_NS10device_ptrIlEESB_jNS0_19identity_decomposerENS1_16block_id_wrapperIjLb0EEEEE10hipError_tT1_PNSt15iterator_traitsISG_E10value_typeET2_T3_PNSH_ISM_E10value_typeET4_T5_PSR_SS_PNS1_23onesweep_lookback_stateEbbT6_jjT7_P12ihipStream_tbENKUlT_T0_SG_SL_E_clIS7_S7_PlSB_EEDaSZ_S10_SG_SL_EUlSZ_E_NS1_11comp_targetILNS1_3genE0ELNS1_11target_archE4294967295ELNS1_3gpuE0ELNS1_3repE0EEENS1_47radix_sort_onesweep_sort_config_static_selectorELNS0_4arch9wavefront6targetE1EEEvSG_.numbered_sgpr, 0
	.set _ZN7rocprim17ROCPRIM_400000_NS6detail17trampoline_kernelINS0_14default_configENS1_35radix_sort_onesweep_config_selectorIilEEZZNS1_29radix_sort_onesweep_iterationIS3_Lb0EPiS7_N6thrust23THRUST_200600_302600_NS10device_ptrIlEESB_jNS0_19identity_decomposerENS1_16block_id_wrapperIjLb0EEEEE10hipError_tT1_PNSt15iterator_traitsISG_E10value_typeET2_T3_PNSH_ISM_E10value_typeET4_T5_PSR_SS_PNS1_23onesweep_lookback_stateEbbT6_jjT7_P12ihipStream_tbENKUlT_T0_SG_SL_E_clIS7_S7_PlSB_EEDaSZ_S10_SG_SL_EUlSZ_E_NS1_11comp_targetILNS1_3genE0ELNS1_11target_archE4294967295ELNS1_3gpuE0ELNS1_3repE0EEENS1_47radix_sort_onesweep_sort_config_static_selectorELNS0_4arch9wavefront6targetE1EEEvSG_.num_named_barrier, 0
	.set _ZN7rocprim17ROCPRIM_400000_NS6detail17trampoline_kernelINS0_14default_configENS1_35radix_sort_onesweep_config_selectorIilEEZZNS1_29radix_sort_onesweep_iterationIS3_Lb0EPiS7_N6thrust23THRUST_200600_302600_NS10device_ptrIlEESB_jNS0_19identity_decomposerENS1_16block_id_wrapperIjLb0EEEEE10hipError_tT1_PNSt15iterator_traitsISG_E10value_typeET2_T3_PNSH_ISM_E10value_typeET4_T5_PSR_SS_PNS1_23onesweep_lookback_stateEbbT6_jjT7_P12ihipStream_tbENKUlT_T0_SG_SL_E_clIS7_S7_PlSB_EEDaSZ_S10_SG_SL_EUlSZ_E_NS1_11comp_targetILNS1_3genE0ELNS1_11target_archE4294967295ELNS1_3gpuE0ELNS1_3repE0EEENS1_47radix_sort_onesweep_sort_config_static_selectorELNS0_4arch9wavefront6targetE1EEEvSG_.private_seg_size, 0
	.set _ZN7rocprim17ROCPRIM_400000_NS6detail17trampoline_kernelINS0_14default_configENS1_35radix_sort_onesweep_config_selectorIilEEZZNS1_29radix_sort_onesweep_iterationIS3_Lb0EPiS7_N6thrust23THRUST_200600_302600_NS10device_ptrIlEESB_jNS0_19identity_decomposerENS1_16block_id_wrapperIjLb0EEEEE10hipError_tT1_PNSt15iterator_traitsISG_E10value_typeET2_T3_PNSH_ISM_E10value_typeET4_T5_PSR_SS_PNS1_23onesweep_lookback_stateEbbT6_jjT7_P12ihipStream_tbENKUlT_T0_SG_SL_E_clIS7_S7_PlSB_EEDaSZ_S10_SG_SL_EUlSZ_E_NS1_11comp_targetILNS1_3genE0ELNS1_11target_archE4294967295ELNS1_3gpuE0ELNS1_3repE0EEENS1_47radix_sort_onesweep_sort_config_static_selectorELNS0_4arch9wavefront6targetE1EEEvSG_.uses_vcc, 0
	.set _ZN7rocprim17ROCPRIM_400000_NS6detail17trampoline_kernelINS0_14default_configENS1_35radix_sort_onesweep_config_selectorIilEEZZNS1_29radix_sort_onesweep_iterationIS3_Lb0EPiS7_N6thrust23THRUST_200600_302600_NS10device_ptrIlEESB_jNS0_19identity_decomposerENS1_16block_id_wrapperIjLb0EEEEE10hipError_tT1_PNSt15iterator_traitsISG_E10value_typeET2_T3_PNSH_ISM_E10value_typeET4_T5_PSR_SS_PNS1_23onesweep_lookback_stateEbbT6_jjT7_P12ihipStream_tbENKUlT_T0_SG_SL_E_clIS7_S7_PlSB_EEDaSZ_S10_SG_SL_EUlSZ_E_NS1_11comp_targetILNS1_3genE0ELNS1_11target_archE4294967295ELNS1_3gpuE0ELNS1_3repE0EEENS1_47radix_sort_onesweep_sort_config_static_selectorELNS0_4arch9wavefront6targetE1EEEvSG_.uses_flat_scratch, 0
	.set _ZN7rocprim17ROCPRIM_400000_NS6detail17trampoline_kernelINS0_14default_configENS1_35radix_sort_onesweep_config_selectorIilEEZZNS1_29radix_sort_onesweep_iterationIS3_Lb0EPiS7_N6thrust23THRUST_200600_302600_NS10device_ptrIlEESB_jNS0_19identity_decomposerENS1_16block_id_wrapperIjLb0EEEEE10hipError_tT1_PNSt15iterator_traitsISG_E10value_typeET2_T3_PNSH_ISM_E10value_typeET4_T5_PSR_SS_PNS1_23onesweep_lookback_stateEbbT6_jjT7_P12ihipStream_tbENKUlT_T0_SG_SL_E_clIS7_S7_PlSB_EEDaSZ_S10_SG_SL_EUlSZ_E_NS1_11comp_targetILNS1_3genE0ELNS1_11target_archE4294967295ELNS1_3gpuE0ELNS1_3repE0EEENS1_47radix_sort_onesweep_sort_config_static_selectorELNS0_4arch9wavefront6targetE1EEEvSG_.has_dyn_sized_stack, 0
	.set _ZN7rocprim17ROCPRIM_400000_NS6detail17trampoline_kernelINS0_14default_configENS1_35radix_sort_onesweep_config_selectorIilEEZZNS1_29radix_sort_onesweep_iterationIS3_Lb0EPiS7_N6thrust23THRUST_200600_302600_NS10device_ptrIlEESB_jNS0_19identity_decomposerENS1_16block_id_wrapperIjLb0EEEEE10hipError_tT1_PNSt15iterator_traitsISG_E10value_typeET2_T3_PNSH_ISM_E10value_typeET4_T5_PSR_SS_PNS1_23onesweep_lookback_stateEbbT6_jjT7_P12ihipStream_tbENKUlT_T0_SG_SL_E_clIS7_S7_PlSB_EEDaSZ_S10_SG_SL_EUlSZ_E_NS1_11comp_targetILNS1_3genE0ELNS1_11target_archE4294967295ELNS1_3gpuE0ELNS1_3repE0EEENS1_47radix_sort_onesweep_sort_config_static_selectorELNS0_4arch9wavefront6targetE1EEEvSG_.has_recursion, 0
	.set _ZN7rocprim17ROCPRIM_400000_NS6detail17trampoline_kernelINS0_14default_configENS1_35radix_sort_onesweep_config_selectorIilEEZZNS1_29radix_sort_onesweep_iterationIS3_Lb0EPiS7_N6thrust23THRUST_200600_302600_NS10device_ptrIlEESB_jNS0_19identity_decomposerENS1_16block_id_wrapperIjLb0EEEEE10hipError_tT1_PNSt15iterator_traitsISG_E10value_typeET2_T3_PNSH_ISM_E10value_typeET4_T5_PSR_SS_PNS1_23onesweep_lookback_stateEbbT6_jjT7_P12ihipStream_tbENKUlT_T0_SG_SL_E_clIS7_S7_PlSB_EEDaSZ_S10_SG_SL_EUlSZ_E_NS1_11comp_targetILNS1_3genE0ELNS1_11target_archE4294967295ELNS1_3gpuE0ELNS1_3repE0EEENS1_47radix_sort_onesweep_sort_config_static_selectorELNS0_4arch9wavefront6targetE1EEEvSG_.has_indirect_call, 0
	.section	.AMDGPU.csdata,"",@progbits
; Kernel info:
; codeLenInByte = 0
; TotalNumSgprs: 4
; NumVgprs: 0
; ScratchSize: 0
; MemoryBound: 0
; FloatMode: 240
; IeeeMode: 1
; LDSByteSize: 0 bytes/workgroup (compile time only)
; SGPRBlocks: 0
; VGPRBlocks: 0
; NumSGPRsForWavesPerEU: 4
; NumVGPRsForWavesPerEU: 1
; Occupancy: 10
; WaveLimiterHint : 0
; COMPUTE_PGM_RSRC2:SCRATCH_EN: 0
; COMPUTE_PGM_RSRC2:USER_SGPR: 6
; COMPUTE_PGM_RSRC2:TRAP_HANDLER: 0
; COMPUTE_PGM_RSRC2:TGID_X_EN: 1
; COMPUTE_PGM_RSRC2:TGID_Y_EN: 0
; COMPUTE_PGM_RSRC2:TGID_Z_EN: 0
; COMPUTE_PGM_RSRC2:TIDIG_COMP_CNT: 0
	.section	.text._ZN7rocprim17ROCPRIM_400000_NS6detail17trampoline_kernelINS0_14default_configENS1_35radix_sort_onesweep_config_selectorIilEEZZNS1_29radix_sort_onesweep_iterationIS3_Lb0EPiS7_N6thrust23THRUST_200600_302600_NS10device_ptrIlEESB_jNS0_19identity_decomposerENS1_16block_id_wrapperIjLb0EEEEE10hipError_tT1_PNSt15iterator_traitsISG_E10value_typeET2_T3_PNSH_ISM_E10value_typeET4_T5_PSR_SS_PNS1_23onesweep_lookback_stateEbbT6_jjT7_P12ihipStream_tbENKUlT_T0_SG_SL_E_clIS7_S7_PlSB_EEDaSZ_S10_SG_SL_EUlSZ_E_NS1_11comp_targetILNS1_3genE6ELNS1_11target_archE950ELNS1_3gpuE13ELNS1_3repE0EEENS1_47radix_sort_onesweep_sort_config_static_selectorELNS0_4arch9wavefront6targetE1EEEvSG_,"axG",@progbits,_ZN7rocprim17ROCPRIM_400000_NS6detail17trampoline_kernelINS0_14default_configENS1_35radix_sort_onesweep_config_selectorIilEEZZNS1_29radix_sort_onesweep_iterationIS3_Lb0EPiS7_N6thrust23THRUST_200600_302600_NS10device_ptrIlEESB_jNS0_19identity_decomposerENS1_16block_id_wrapperIjLb0EEEEE10hipError_tT1_PNSt15iterator_traitsISG_E10value_typeET2_T3_PNSH_ISM_E10value_typeET4_T5_PSR_SS_PNS1_23onesweep_lookback_stateEbbT6_jjT7_P12ihipStream_tbENKUlT_T0_SG_SL_E_clIS7_S7_PlSB_EEDaSZ_S10_SG_SL_EUlSZ_E_NS1_11comp_targetILNS1_3genE6ELNS1_11target_archE950ELNS1_3gpuE13ELNS1_3repE0EEENS1_47radix_sort_onesweep_sort_config_static_selectorELNS0_4arch9wavefront6targetE1EEEvSG_,comdat
	.protected	_ZN7rocprim17ROCPRIM_400000_NS6detail17trampoline_kernelINS0_14default_configENS1_35radix_sort_onesweep_config_selectorIilEEZZNS1_29radix_sort_onesweep_iterationIS3_Lb0EPiS7_N6thrust23THRUST_200600_302600_NS10device_ptrIlEESB_jNS0_19identity_decomposerENS1_16block_id_wrapperIjLb0EEEEE10hipError_tT1_PNSt15iterator_traitsISG_E10value_typeET2_T3_PNSH_ISM_E10value_typeET4_T5_PSR_SS_PNS1_23onesweep_lookback_stateEbbT6_jjT7_P12ihipStream_tbENKUlT_T0_SG_SL_E_clIS7_S7_PlSB_EEDaSZ_S10_SG_SL_EUlSZ_E_NS1_11comp_targetILNS1_3genE6ELNS1_11target_archE950ELNS1_3gpuE13ELNS1_3repE0EEENS1_47radix_sort_onesweep_sort_config_static_selectorELNS0_4arch9wavefront6targetE1EEEvSG_ ; -- Begin function _ZN7rocprim17ROCPRIM_400000_NS6detail17trampoline_kernelINS0_14default_configENS1_35radix_sort_onesweep_config_selectorIilEEZZNS1_29radix_sort_onesweep_iterationIS3_Lb0EPiS7_N6thrust23THRUST_200600_302600_NS10device_ptrIlEESB_jNS0_19identity_decomposerENS1_16block_id_wrapperIjLb0EEEEE10hipError_tT1_PNSt15iterator_traitsISG_E10value_typeET2_T3_PNSH_ISM_E10value_typeET4_T5_PSR_SS_PNS1_23onesweep_lookback_stateEbbT6_jjT7_P12ihipStream_tbENKUlT_T0_SG_SL_E_clIS7_S7_PlSB_EEDaSZ_S10_SG_SL_EUlSZ_E_NS1_11comp_targetILNS1_3genE6ELNS1_11target_archE950ELNS1_3gpuE13ELNS1_3repE0EEENS1_47radix_sort_onesweep_sort_config_static_selectorELNS0_4arch9wavefront6targetE1EEEvSG_
	.globl	_ZN7rocprim17ROCPRIM_400000_NS6detail17trampoline_kernelINS0_14default_configENS1_35radix_sort_onesweep_config_selectorIilEEZZNS1_29radix_sort_onesweep_iterationIS3_Lb0EPiS7_N6thrust23THRUST_200600_302600_NS10device_ptrIlEESB_jNS0_19identity_decomposerENS1_16block_id_wrapperIjLb0EEEEE10hipError_tT1_PNSt15iterator_traitsISG_E10value_typeET2_T3_PNSH_ISM_E10value_typeET4_T5_PSR_SS_PNS1_23onesweep_lookback_stateEbbT6_jjT7_P12ihipStream_tbENKUlT_T0_SG_SL_E_clIS7_S7_PlSB_EEDaSZ_S10_SG_SL_EUlSZ_E_NS1_11comp_targetILNS1_3genE6ELNS1_11target_archE950ELNS1_3gpuE13ELNS1_3repE0EEENS1_47radix_sort_onesweep_sort_config_static_selectorELNS0_4arch9wavefront6targetE1EEEvSG_
	.p2align	8
	.type	_ZN7rocprim17ROCPRIM_400000_NS6detail17trampoline_kernelINS0_14default_configENS1_35radix_sort_onesweep_config_selectorIilEEZZNS1_29radix_sort_onesweep_iterationIS3_Lb0EPiS7_N6thrust23THRUST_200600_302600_NS10device_ptrIlEESB_jNS0_19identity_decomposerENS1_16block_id_wrapperIjLb0EEEEE10hipError_tT1_PNSt15iterator_traitsISG_E10value_typeET2_T3_PNSH_ISM_E10value_typeET4_T5_PSR_SS_PNS1_23onesweep_lookback_stateEbbT6_jjT7_P12ihipStream_tbENKUlT_T0_SG_SL_E_clIS7_S7_PlSB_EEDaSZ_S10_SG_SL_EUlSZ_E_NS1_11comp_targetILNS1_3genE6ELNS1_11target_archE950ELNS1_3gpuE13ELNS1_3repE0EEENS1_47radix_sort_onesweep_sort_config_static_selectorELNS0_4arch9wavefront6targetE1EEEvSG_,@function
_ZN7rocprim17ROCPRIM_400000_NS6detail17trampoline_kernelINS0_14default_configENS1_35radix_sort_onesweep_config_selectorIilEEZZNS1_29radix_sort_onesweep_iterationIS3_Lb0EPiS7_N6thrust23THRUST_200600_302600_NS10device_ptrIlEESB_jNS0_19identity_decomposerENS1_16block_id_wrapperIjLb0EEEEE10hipError_tT1_PNSt15iterator_traitsISG_E10value_typeET2_T3_PNSH_ISM_E10value_typeET4_T5_PSR_SS_PNS1_23onesweep_lookback_stateEbbT6_jjT7_P12ihipStream_tbENKUlT_T0_SG_SL_E_clIS7_S7_PlSB_EEDaSZ_S10_SG_SL_EUlSZ_E_NS1_11comp_targetILNS1_3genE6ELNS1_11target_archE950ELNS1_3gpuE13ELNS1_3repE0EEENS1_47radix_sort_onesweep_sort_config_static_selectorELNS0_4arch9wavefront6targetE1EEEvSG_: ; @_ZN7rocprim17ROCPRIM_400000_NS6detail17trampoline_kernelINS0_14default_configENS1_35radix_sort_onesweep_config_selectorIilEEZZNS1_29radix_sort_onesweep_iterationIS3_Lb0EPiS7_N6thrust23THRUST_200600_302600_NS10device_ptrIlEESB_jNS0_19identity_decomposerENS1_16block_id_wrapperIjLb0EEEEE10hipError_tT1_PNSt15iterator_traitsISG_E10value_typeET2_T3_PNSH_ISM_E10value_typeET4_T5_PSR_SS_PNS1_23onesweep_lookback_stateEbbT6_jjT7_P12ihipStream_tbENKUlT_T0_SG_SL_E_clIS7_S7_PlSB_EEDaSZ_S10_SG_SL_EUlSZ_E_NS1_11comp_targetILNS1_3genE6ELNS1_11target_archE950ELNS1_3gpuE13ELNS1_3repE0EEENS1_47radix_sort_onesweep_sort_config_static_selectorELNS0_4arch9wavefront6targetE1EEEvSG_
; %bb.0:
	.section	.rodata,"a",@progbits
	.p2align	6, 0x0
	.amdhsa_kernel _ZN7rocprim17ROCPRIM_400000_NS6detail17trampoline_kernelINS0_14default_configENS1_35radix_sort_onesweep_config_selectorIilEEZZNS1_29radix_sort_onesweep_iterationIS3_Lb0EPiS7_N6thrust23THRUST_200600_302600_NS10device_ptrIlEESB_jNS0_19identity_decomposerENS1_16block_id_wrapperIjLb0EEEEE10hipError_tT1_PNSt15iterator_traitsISG_E10value_typeET2_T3_PNSH_ISM_E10value_typeET4_T5_PSR_SS_PNS1_23onesweep_lookback_stateEbbT6_jjT7_P12ihipStream_tbENKUlT_T0_SG_SL_E_clIS7_S7_PlSB_EEDaSZ_S10_SG_SL_EUlSZ_E_NS1_11comp_targetILNS1_3genE6ELNS1_11target_archE950ELNS1_3gpuE13ELNS1_3repE0EEENS1_47radix_sort_onesweep_sort_config_static_selectorELNS0_4arch9wavefront6targetE1EEEvSG_
		.amdhsa_group_segment_fixed_size 0
		.amdhsa_private_segment_fixed_size 0
		.amdhsa_kernarg_size 88
		.amdhsa_user_sgpr_count 6
		.amdhsa_user_sgpr_private_segment_buffer 1
		.amdhsa_user_sgpr_dispatch_ptr 0
		.amdhsa_user_sgpr_queue_ptr 0
		.amdhsa_user_sgpr_kernarg_segment_ptr 1
		.amdhsa_user_sgpr_dispatch_id 0
		.amdhsa_user_sgpr_flat_scratch_init 0
		.amdhsa_user_sgpr_private_segment_size 0
		.amdhsa_uses_dynamic_stack 0
		.amdhsa_system_sgpr_private_segment_wavefront_offset 0
		.amdhsa_system_sgpr_workgroup_id_x 1
		.amdhsa_system_sgpr_workgroup_id_y 0
		.amdhsa_system_sgpr_workgroup_id_z 0
		.amdhsa_system_sgpr_workgroup_info 0
		.amdhsa_system_vgpr_workitem_id 0
		.amdhsa_next_free_vgpr 1
		.amdhsa_next_free_sgpr 0
		.amdhsa_reserve_vcc 0
		.amdhsa_reserve_flat_scratch 0
		.amdhsa_float_round_mode_32 0
		.amdhsa_float_round_mode_16_64 0
		.amdhsa_float_denorm_mode_32 3
		.amdhsa_float_denorm_mode_16_64 3
		.amdhsa_dx10_clamp 1
		.amdhsa_ieee_mode 1
		.amdhsa_fp16_overflow 0
		.amdhsa_exception_fp_ieee_invalid_op 0
		.amdhsa_exception_fp_denorm_src 0
		.amdhsa_exception_fp_ieee_div_zero 0
		.amdhsa_exception_fp_ieee_overflow 0
		.amdhsa_exception_fp_ieee_underflow 0
		.amdhsa_exception_fp_ieee_inexact 0
		.amdhsa_exception_int_div_zero 0
	.end_amdhsa_kernel
	.section	.text._ZN7rocprim17ROCPRIM_400000_NS6detail17trampoline_kernelINS0_14default_configENS1_35radix_sort_onesweep_config_selectorIilEEZZNS1_29radix_sort_onesweep_iterationIS3_Lb0EPiS7_N6thrust23THRUST_200600_302600_NS10device_ptrIlEESB_jNS0_19identity_decomposerENS1_16block_id_wrapperIjLb0EEEEE10hipError_tT1_PNSt15iterator_traitsISG_E10value_typeET2_T3_PNSH_ISM_E10value_typeET4_T5_PSR_SS_PNS1_23onesweep_lookback_stateEbbT6_jjT7_P12ihipStream_tbENKUlT_T0_SG_SL_E_clIS7_S7_PlSB_EEDaSZ_S10_SG_SL_EUlSZ_E_NS1_11comp_targetILNS1_3genE6ELNS1_11target_archE950ELNS1_3gpuE13ELNS1_3repE0EEENS1_47radix_sort_onesweep_sort_config_static_selectorELNS0_4arch9wavefront6targetE1EEEvSG_,"axG",@progbits,_ZN7rocprim17ROCPRIM_400000_NS6detail17trampoline_kernelINS0_14default_configENS1_35radix_sort_onesweep_config_selectorIilEEZZNS1_29radix_sort_onesweep_iterationIS3_Lb0EPiS7_N6thrust23THRUST_200600_302600_NS10device_ptrIlEESB_jNS0_19identity_decomposerENS1_16block_id_wrapperIjLb0EEEEE10hipError_tT1_PNSt15iterator_traitsISG_E10value_typeET2_T3_PNSH_ISM_E10value_typeET4_T5_PSR_SS_PNS1_23onesweep_lookback_stateEbbT6_jjT7_P12ihipStream_tbENKUlT_T0_SG_SL_E_clIS7_S7_PlSB_EEDaSZ_S10_SG_SL_EUlSZ_E_NS1_11comp_targetILNS1_3genE6ELNS1_11target_archE950ELNS1_3gpuE13ELNS1_3repE0EEENS1_47radix_sort_onesweep_sort_config_static_selectorELNS0_4arch9wavefront6targetE1EEEvSG_,comdat
.Lfunc_end912:
	.size	_ZN7rocprim17ROCPRIM_400000_NS6detail17trampoline_kernelINS0_14default_configENS1_35radix_sort_onesweep_config_selectorIilEEZZNS1_29radix_sort_onesweep_iterationIS3_Lb0EPiS7_N6thrust23THRUST_200600_302600_NS10device_ptrIlEESB_jNS0_19identity_decomposerENS1_16block_id_wrapperIjLb0EEEEE10hipError_tT1_PNSt15iterator_traitsISG_E10value_typeET2_T3_PNSH_ISM_E10value_typeET4_T5_PSR_SS_PNS1_23onesweep_lookback_stateEbbT6_jjT7_P12ihipStream_tbENKUlT_T0_SG_SL_E_clIS7_S7_PlSB_EEDaSZ_S10_SG_SL_EUlSZ_E_NS1_11comp_targetILNS1_3genE6ELNS1_11target_archE950ELNS1_3gpuE13ELNS1_3repE0EEENS1_47radix_sort_onesweep_sort_config_static_selectorELNS0_4arch9wavefront6targetE1EEEvSG_, .Lfunc_end912-_ZN7rocprim17ROCPRIM_400000_NS6detail17trampoline_kernelINS0_14default_configENS1_35radix_sort_onesweep_config_selectorIilEEZZNS1_29radix_sort_onesweep_iterationIS3_Lb0EPiS7_N6thrust23THRUST_200600_302600_NS10device_ptrIlEESB_jNS0_19identity_decomposerENS1_16block_id_wrapperIjLb0EEEEE10hipError_tT1_PNSt15iterator_traitsISG_E10value_typeET2_T3_PNSH_ISM_E10value_typeET4_T5_PSR_SS_PNS1_23onesweep_lookback_stateEbbT6_jjT7_P12ihipStream_tbENKUlT_T0_SG_SL_E_clIS7_S7_PlSB_EEDaSZ_S10_SG_SL_EUlSZ_E_NS1_11comp_targetILNS1_3genE6ELNS1_11target_archE950ELNS1_3gpuE13ELNS1_3repE0EEENS1_47radix_sort_onesweep_sort_config_static_selectorELNS0_4arch9wavefront6targetE1EEEvSG_
                                        ; -- End function
	.set _ZN7rocprim17ROCPRIM_400000_NS6detail17trampoline_kernelINS0_14default_configENS1_35radix_sort_onesweep_config_selectorIilEEZZNS1_29radix_sort_onesweep_iterationIS3_Lb0EPiS7_N6thrust23THRUST_200600_302600_NS10device_ptrIlEESB_jNS0_19identity_decomposerENS1_16block_id_wrapperIjLb0EEEEE10hipError_tT1_PNSt15iterator_traitsISG_E10value_typeET2_T3_PNSH_ISM_E10value_typeET4_T5_PSR_SS_PNS1_23onesweep_lookback_stateEbbT6_jjT7_P12ihipStream_tbENKUlT_T0_SG_SL_E_clIS7_S7_PlSB_EEDaSZ_S10_SG_SL_EUlSZ_E_NS1_11comp_targetILNS1_3genE6ELNS1_11target_archE950ELNS1_3gpuE13ELNS1_3repE0EEENS1_47radix_sort_onesweep_sort_config_static_selectorELNS0_4arch9wavefront6targetE1EEEvSG_.num_vgpr, 0
	.set _ZN7rocprim17ROCPRIM_400000_NS6detail17trampoline_kernelINS0_14default_configENS1_35radix_sort_onesweep_config_selectorIilEEZZNS1_29radix_sort_onesweep_iterationIS3_Lb0EPiS7_N6thrust23THRUST_200600_302600_NS10device_ptrIlEESB_jNS0_19identity_decomposerENS1_16block_id_wrapperIjLb0EEEEE10hipError_tT1_PNSt15iterator_traitsISG_E10value_typeET2_T3_PNSH_ISM_E10value_typeET4_T5_PSR_SS_PNS1_23onesweep_lookback_stateEbbT6_jjT7_P12ihipStream_tbENKUlT_T0_SG_SL_E_clIS7_S7_PlSB_EEDaSZ_S10_SG_SL_EUlSZ_E_NS1_11comp_targetILNS1_3genE6ELNS1_11target_archE950ELNS1_3gpuE13ELNS1_3repE0EEENS1_47radix_sort_onesweep_sort_config_static_selectorELNS0_4arch9wavefront6targetE1EEEvSG_.num_agpr, 0
	.set _ZN7rocprim17ROCPRIM_400000_NS6detail17trampoline_kernelINS0_14default_configENS1_35radix_sort_onesweep_config_selectorIilEEZZNS1_29radix_sort_onesweep_iterationIS3_Lb0EPiS7_N6thrust23THRUST_200600_302600_NS10device_ptrIlEESB_jNS0_19identity_decomposerENS1_16block_id_wrapperIjLb0EEEEE10hipError_tT1_PNSt15iterator_traitsISG_E10value_typeET2_T3_PNSH_ISM_E10value_typeET4_T5_PSR_SS_PNS1_23onesweep_lookback_stateEbbT6_jjT7_P12ihipStream_tbENKUlT_T0_SG_SL_E_clIS7_S7_PlSB_EEDaSZ_S10_SG_SL_EUlSZ_E_NS1_11comp_targetILNS1_3genE6ELNS1_11target_archE950ELNS1_3gpuE13ELNS1_3repE0EEENS1_47radix_sort_onesweep_sort_config_static_selectorELNS0_4arch9wavefront6targetE1EEEvSG_.numbered_sgpr, 0
	.set _ZN7rocprim17ROCPRIM_400000_NS6detail17trampoline_kernelINS0_14default_configENS1_35radix_sort_onesweep_config_selectorIilEEZZNS1_29radix_sort_onesweep_iterationIS3_Lb0EPiS7_N6thrust23THRUST_200600_302600_NS10device_ptrIlEESB_jNS0_19identity_decomposerENS1_16block_id_wrapperIjLb0EEEEE10hipError_tT1_PNSt15iterator_traitsISG_E10value_typeET2_T3_PNSH_ISM_E10value_typeET4_T5_PSR_SS_PNS1_23onesweep_lookback_stateEbbT6_jjT7_P12ihipStream_tbENKUlT_T0_SG_SL_E_clIS7_S7_PlSB_EEDaSZ_S10_SG_SL_EUlSZ_E_NS1_11comp_targetILNS1_3genE6ELNS1_11target_archE950ELNS1_3gpuE13ELNS1_3repE0EEENS1_47radix_sort_onesweep_sort_config_static_selectorELNS0_4arch9wavefront6targetE1EEEvSG_.num_named_barrier, 0
	.set _ZN7rocprim17ROCPRIM_400000_NS6detail17trampoline_kernelINS0_14default_configENS1_35radix_sort_onesweep_config_selectorIilEEZZNS1_29radix_sort_onesweep_iterationIS3_Lb0EPiS7_N6thrust23THRUST_200600_302600_NS10device_ptrIlEESB_jNS0_19identity_decomposerENS1_16block_id_wrapperIjLb0EEEEE10hipError_tT1_PNSt15iterator_traitsISG_E10value_typeET2_T3_PNSH_ISM_E10value_typeET4_T5_PSR_SS_PNS1_23onesweep_lookback_stateEbbT6_jjT7_P12ihipStream_tbENKUlT_T0_SG_SL_E_clIS7_S7_PlSB_EEDaSZ_S10_SG_SL_EUlSZ_E_NS1_11comp_targetILNS1_3genE6ELNS1_11target_archE950ELNS1_3gpuE13ELNS1_3repE0EEENS1_47radix_sort_onesweep_sort_config_static_selectorELNS0_4arch9wavefront6targetE1EEEvSG_.private_seg_size, 0
	.set _ZN7rocprim17ROCPRIM_400000_NS6detail17trampoline_kernelINS0_14default_configENS1_35radix_sort_onesweep_config_selectorIilEEZZNS1_29radix_sort_onesweep_iterationIS3_Lb0EPiS7_N6thrust23THRUST_200600_302600_NS10device_ptrIlEESB_jNS0_19identity_decomposerENS1_16block_id_wrapperIjLb0EEEEE10hipError_tT1_PNSt15iterator_traitsISG_E10value_typeET2_T3_PNSH_ISM_E10value_typeET4_T5_PSR_SS_PNS1_23onesweep_lookback_stateEbbT6_jjT7_P12ihipStream_tbENKUlT_T0_SG_SL_E_clIS7_S7_PlSB_EEDaSZ_S10_SG_SL_EUlSZ_E_NS1_11comp_targetILNS1_3genE6ELNS1_11target_archE950ELNS1_3gpuE13ELNS1_3repE0EEENS1_47radix_sort_onesweep_sort_config_static_selectorELNS0_4arch9wavefront6targetE1EEEvSG_.uses_vcc, 0
	.set _ZN7rocprim17ROCPRIM_400000_NS6detail17trampoline_kernelINS0_14default_configENS1_35radix_sort_onesweep_config_selectorIilEEZZNS1_29radix_sort_onesweep_iterationIS3_Lb0EPiS7_N6thrust23THRUST_200600_302600_NS10device_ptrIlEESB_jNS0_19identity_decomposerENS1_16block_id_wrapperIjLb0EEEEE10hipError_tT1_PNSt15iterator_traitsISG_E10value_typeET2_T3_PNSH_ISM_E10value_typeET4_T5_PSR_SS_PNS1_23onesweep_lookback_stateEbbT6_jjT7_P12ihipStream_tbENKUlT_T0_SG_SL_E_clIS7_S7_PlSB_EEDaSZ_S10_SG_SL_EUlSZ_E_NS1_11comp_targetILNS1_3genE6ELNS1_11target_archE950ELNS1_3gpuE13ELNS1_3repE0EEENS1_47radix_sort_onesweep_sort_config_static_selectorELNS0_4arch9wavefront6targetE1EEEvSG_.uses_flat_scratch, 0
	.set _ZN7rocprim17ROCPRIM_400000_NS6detail17trampoline_kernelINS0_14default_configENS1_35radix_sort_onesweep_config_selectorIilEEZZNS1_29radix_sort_onesweep_iterationIS3_Lb0EPiS7_N6thrust23THRUST_200600_302600_NS10device_ptrIlEESB_jNS0_19identity_decomposerENS1_16block_id_wrapperIjLb0EEEEE10hipError_tT1_PNSt15iterator_traitsISG_E10value_typeET2_T3_PNSH_ISM_E10value_typeET4_T5_PSR_SS_PNS1_23onesweep_lookback_stateEbbT6_jjT7_P12ihipStream_tbENKUlT_T0_SG_SL_E_clIS7_S7_PlSB_EEDaSZ_S10_SG_SL_EUlSZ_E_NS1_11comp_targetILNS1_3genE6ELNS1_11target_archE950ELNS1_3gpuE13ELNS1_3repE0EEENS1_47radix_sort_onesweep_sort_config_static_selectorELNS0_4arch9wavefront6targetE1EEEvSG_.has_dyn_sized_stack, 0
	.set _ZN7rocprim17ROCPRIM_400000_NS6detail17trampoline_kernelINS0_14default_configENS1_35radix_sort_onesweep_config_selectorIilEEZZNS1_29radix_sort_onesweep_iterationIS3_Lb0EPiS7_N6thrust23THRUST_200600_302600_NS10device_ptrIlEESB_jNS0_19identity_decomposerENS1_16block_id_wrapperIjLb0EEEEE10hipError_tT1_PNSt15iterator_traitsISG_E10value_typeET2_T3_PNSH_ISM_E10value_typeET4_T5_PSR_SS_PNS1_23onesweep_lookback_stateEbbT6_jjT7_P12ihipStream_tbENKUlT_T0_SG_SL_E_clIS7_S7_PlSB_EEDaSZ_S10_SG_SL_EUlSZ_E_NS1_11comp_targetILNS1_3genE6ELNS1_11target_archE950ELNS1_3gpuE13ELNS1_3repE0EEENS1_47radix_sort_onesweep_sort_config_static_selectorELNS0_4arch9wavefront6targetE1EEEvSG_.has_recursion, 0
	.set _ZN7rocprim17ROCPRIM_400000_NS6detail17trampoline_kernelINS0_14default_configENS1_35radix_sort_onesweep_config_selectorIilEEZZNS1_29radix_sort_onesweep_iterationIS3_Lb0EPiS7_N6thrust23THRUST_200600_302600_NS10device_ptrIlEESB_jNS0_19identity_decomposerENS1_16block_id_wrapperIjLb0EEEEE10hipError_tT1_PNSt15iterator_traitsISG_E10value_typeET2_T3_PNSH_ISM_E10value_typeET4_T5_PSR_SS_PNS1_23onesweep_lookback_stateEbbT6_jjT7_P12ihipStream_tbENKUlT_T0_SG_SL_E_clIS7_S7_PlSB_EEDaSZ_S10_SG_SL_EUlSZ_E_NS1_11comp_targetILNS1_3genE6ELNS1_11target_archE950ELNS1_3gpuE13ELNS1_3repE0EEENS1_47radix_sort_onesweep_sort_config_static_selectorELNS0_4arch9wavefront6targetE1EEEvSG_.has_indirect_call, 0
	.section	.AMDGPU.csdata,"",@progbits
; Kernel info:
; codeLenInByte = 0
; TotalNumSgprs: 4
; NumVgprs: 0
; ScratchSize: 0
; MemoryBound: 0
; FloatMode: 240
; IeeeMode: 1
; LDSByteSize: 0 bytes/workgroup (compile time only)
; SGPRBlocks: 0
; VGPRBlocks: 0
; NumSGPRsForWavesPerEU: 4
; NumVGPRsForWavesPerEU: 1
; Occupancy: 10
; WaveLimiterHint : 0
; COMPUTE_PGM_RSRC2:SCRATCH_EN: 0
; COMPUTE_PGM_RSRC2:USER_SGPR: 6
; COMPUTE_PGM_RSRC2:TRAP_HANDLER: 0
; COMPUTE_PGM_RSRC2:TGID_X_EN: 1
; COMPUTE_PGM_RSRC2:TGID_Y_EN: 0
; COMPUTE_PGM_RSRC2:TGID_Z_EN: 0
; COMPUTE_PGM_RSRC2:TIDIG_COMP_CNT: 0
	.section	.text._ZN7rocprim17ROCPRIM_400000_NS6detail17trampoline_kernelINS0_14default_configENS1_35radix_sort_onesweep_config_selectorIilEEZZNS1_29radix_sort_onesweep_iterationIS3_Lb0EPiS7_N6thrust23THRUST_200600_302600_NS10device_ptrIlEESB_jNS0_19identity_decomposerENS1_16block_id_wrapperIjLb0EEEEE10hipError_tT1_PNSt15iterator_traitsISG_E10value_typeET2_T3_PNSH_ISM_E10value_typeET4_T5_PSR_SS_PNS1_23onesweep_lookback_stateEbbT6_jjT7_P12ihipStream_tbENKUlT_T0_SG_SL_E_clIS7_S7_PlSB_EEDaSZ_S10_SG_SL_EUlSZ_E_NS1_11comp_targetILNS1_3genE5ELNS1_11target_archE942ELNS1_3gpuE9ELNS1_3repE0EEENS1_47radix_sort_onesweep_sort_config_static_selectorELNS0_4arch9wavefront6targetE1EEEvSG_,"axG",@progbits,_ZN7rocprim17ROCPRIM_400000_NS6detail17trampoline_kernelINS0_14default_configENS1_35radix_sort_onesweep_config_selectorIilEEZZNS1_29radix_sort_onesweep_iterationIS3_Lb0EPiS7_N6thrust23THRUST_200600_302600_NS10device_ptrIlEESB_jNS0_19identity_decomposerENS1_16block_id_wrapperIjLb0EEEEE10hipError_tT1_PNSt15iterator_traitsISG_E10value_typeET2_T3_PNSH_ISM_E10value_typeET4_T5_PSR_SS_PNS1_23onesweep_lookback_stateEbbT6_jjT7_P12ihipStream_tbENKUlT_T0_SG_SL_E_clIS7_S7_PlSB_EEDaSZ_S10_SG_SL_EUlSZ_E_NS1_11comp_targetILNS1_3genE5ELNS1_11target_archE942ELNS1_3gpuE9ELNS1_3repE0EEENS1_47radix_sort_onesweep_sort_config_static_selectorELNS0_4arch9wavefront6targetE1EEEvSG_,comdat
	.protected	_ZN7rocprim17ROCPRIM_400000_NS6detail17trampoline_kernelINS0_14default_configENS1_35radix_sort_onesweep_config_selectorIilEEZZNS1_29radix_sort_onesweep_iterationIS3_Lb0EPiS7_N6thrust23THRUST_200600_302600_NS10device_ptrIlEESB_jNS0_19identity_decomposerENS1_16block_id_wrapperIjLb0EEEEE10hipError_tT1_PNSt15iterator_traitsISG_E10value_typeET2_T3_PNSH_ISM_E10value_typeET4_T5_PSR_SS_PNS1_23onesweep_lookback_stateEbbT6_jjT7_P12ihipStream_tbENKUlT_T0_SG_SL_E_clIS7_S7_PlSB_EEDaSZ_S10_SG_SL_EUlSZ_E_NS1_11comp_targetILNS1_3genE5ELNS1_11target_archE942ELNS1_3gpuE9ELNS1_3repE0EEENS1_47radix_sort_onesweep_sort_config_static_selectorELNS0_4arch9wavefront6targetE1EEEvSG_ ; -- Begin function _ZN7rocprim17ROCPRIM_400000_NS6detail17trampoline_kernelINS0_14default_configENS1_35radix_sort_onesweep_config_selectorIilEEZZNS1_29radix_sort_onesweep_iterationIS3_Lb0EPiS7_N6thrust23THRUST_200600_302600_NS10device_ptrIlEESB_jNS0_19identity_decomposerENS1_16block_id_wrapperIjLb0EEEEE10hipError_tT1_PNSt15iterator_traitsISG_E10value_typeET2_T3_PNSH_ISM_E10value_typeET4_T5_PSR_SS_PNS1_23onesweep_lookback_stateEbbT6_jjT7_P12ihipStream_tbENKUlT_T0_SG_SL_E_clIS7_S7_PlSB_EEDaSZ_S10_SG_SL_EUlSZ_E_NS1_11comp_targetILNS1_3genE5ELNS1_11target_archE942ELNS1_3gpuE9ELNS1_3repE0EEENS1_47radix_sort_onesweep_sort_config_static_selectorELNS0_4arch9wavefront6targetE1EEEvSG_
	.globl	_ZN7rocprim17ROCPRIM_400000_NS6detail17trampoline_kernelINS0_14default_configENS1_35radix_sort_onesweep_config_selectorIilEEZZNS1_29radix_sort_onesweep_iterationIS3_Lb0EPiS7_N6thrust23THRUST_200600_302600_NS10device_ptrIlEESB_jNS0_19identity_decomposerENS1_16block_id_wrapperIjLb0EEEEE10hipError_tT1_PNSt15iterator_traitsISG_E10value_typeET2_T3_PNSH_ISM_E10value_typeET4_T5_PSR_SS_PNS1_23onesweep_lookback_stateEbbT6_jjT7_P12ihipStream_tbENKUlT_T0_SG_SL_E_clIS7_S7_PlSB_EEDaSZ_S10_SG_SL_EUlSZ_E_NS1_11comp_targetILNS1_3genE5ELNS1_11target_archE942ELNS1_3gpuE9ELNS1_3repE0EEENS1_47radix_sort_onesweep_sort_config_static_selectorELNS0_4arch9wavefront6targetE1EEEvSG_
	.p2align	8
	.type	_ZN7rocprim17ROCPRIM_400000_NS6detail17trampoline_kernelINS0_14default_configENS1_35radix_sort_onesweep_config_selectorIilEEZZNS1_29radix_sort_onesweep_iterationIS3_Lb0EPiS7_N6thrust23THRUST_200600_302600_NS10device_ptrIlEESB_jNS0_19identity_decomposerENS1_16block_id_wrapperIjLb0EEEEE10hipError_tT1_PNSt15iterator_traitsISG_E10value_typeET2_T3_PNSH_ISM_E10value_typeET4_T5_PSR_SS_PNS1_23onesweep_lookback_stateEbbT6_jjT7_P12ihipStream_tbENKUlT_T0_SG_SL_E_clIS7_S7_PlSB_EEDaSZ_S10_SG_SL_EUlSZ_E_NS1_11comp_targetILNS1_3genE5ELNS1_11target_archE942ELNS1_3gpuE9ELNS1_3repE0EEENS1_47radix_sort_onesweep_sort_config_static_selectorELNS0_4arch9wavefront6targetE1EEEvSG_,@function
_ZN7rocprim17ROCPRIM_400000_NS6detail17trampoline_kernelINS0_14default_configENS1_35radix_sort_onesweep_config_selectorIilEEZZNS1_29radix_sort_onesweep_iterationIS3_Lb0EPiS7_N6thrust23THRUST_200600_302600_NS10device_ptrIlEESB_jNS0_19identity_decomposerENS1_16block_id_wrapperIjLb0EEEEE10hipError_tT1_PNSt15iterator_traitsISG_E10value_typeET2_T3_PNSH_ISM_E10value_typeET4_T5_PSR_SS_PNS1_23onesweep_lookback_stateEbbT6_jjT7_P12ihipStream_tbENKUlT_T0_SG_SL_E_clIS7_S7_PlSB_EEDaSZ_S10_SG_SL_EUlSZ_E_NS1_11comp_targetILNS1_3genE5ELNS1_11target_archE942ELNS1_3gpuE9ELNS1_3repE0EEENS1_47radix_sort_onesweep_sort_config_static_selectorELNS0_4arch9wavefront6targetE1EEEvSG_: ; @_ZN7rocprim17ROCPRIM_400000_NS6detail17trampoline_kernelINS0_14default_configENS1_35radix_sort_onesweep_config_selectorIilEEZZNS1_29radix_sort_onesweep_iterationIS3_Lb0EPiS7_N6thrust23THRUST_200600_302600_NS10device_ptrIlEESB_jNS0_19identity_decomposerENS1_16block_id_wrapperIjLb0EEEEE10hipError_tT1_PNSt15iterator_traitsISG_E10value_typeET2_T3_PNSH_ISM_E10value_typeET4_T5_PSR_SS_PNS1_23onesweep_lookback_stateEbbT6_jjT7_P12ihipStream_tbENKUlT_T0_SG_SL_E_clIS7_S7_PlSB_EEDaSZ_S10_SG_SL_EUlSZ_E_NS1_11comp_targetILNS1_3genE5ELNS1_11target_archE942ELNS1_3gpuE9ELNS1_3repE0EEENS1_47radix_sort_onesweep_sort_config_static_selectorELNS0_4arch9wavefront6targetE1EEEvSG_
; %bb.0:
	.section	.rodata,"a",@progbits
	.p2align	6, 0x0
	.amdhsa_kernel _ZN7rocprim17ROCPRIM_400000_NS6detail17trampoline_kernelINS0_14default_configENS1_35radix_sort_onesweep_config_selectorIilEEZZNS1_29radix_sort_onesweep_iterationIS3_Lb0EPiS7_N6thrust23THRUST_200600_302600_NS10device_ptrIlEESB_jNS0_19identity_decomposerENS1_16block_id_wrapperIjLb0EEEEE10hipError_tT1_PNSt15iterator_traitsISG_E10value_typeET2_T3_PNSH_ISM_E10value_typeET4_T5_PSR_SS_PNS1_23onesweep_lookback_stateEbbT6_jjT7_P12ihipStream_tbENKUlT_T0_SG_SL_E_clIS7_S7_PlSB_EEDaSZ_S10_SG_SL_EUlSZ_E_NS1_11comp_targetILNS1_3genE5ELNS1_11target_archE942ELNS1_3gpuE9ELNS1_3repE0EEENS1_47radix_sort_onesweep_sort_config_static_selectorELNS0_4arch9wavefront6targetE1EEEvSG_
		.amdhsa_group_segment_fixed_size 0
		.amdhsa_private_segment_fixed_size 0
		.amdhsa_kernarg_size 88
		.amdhsa_user_sgpr_count 6
		.amdhsa_user_sgpr_private_segment_buffer 1
		.amdhsa_user_sgpr_dispatch_ptr 0
		.amdhsa_user_sgpr_queue_ptr 0
		.amdhsa_user_sgpr_kernarg_segment_ptr 1
		.amdhsa_user_sgpr_dispatch_id 0
		.amdhsa_user_sgpr_flat_scratch_init 0
		.amdhsa_user_sgpr_private_segment_size 0
		.amdhsa_uses_dynamic_stack 0
		.amdhsa_system_sgpr_private_segment_wavefront_offset 0
		.amdhsa_system_sgpr_workgroup_id_x 1
		.amdhsa_system_sgpr_workgroup_id_y 0
		.amdhsa_system_sgpr_workgroup_id_z 0
		.amdhsa_system_sgpr_workgroup_info 0
		.amdhsa_system_vgpr_workitem_id 0
		.amdhsa_next_free_vgpr 1
		.amdhsa_next_free_sgpr 0
		.amdhsa_reserve_vcc 0
		.amdhsa_reserve_flat_scratch 0
		.amdhsa_float_round_mode_32 0
		.amdhsa_float_round_mode_16_64 0
		.amdhsa_float_denorm_mode_32 3
		.amdhsa_float_denorm_mode_16_64 3
		.amdhsa_dx10_clamp 1
		.amdhsa_ieee_mode 1
		.amdhsa_fp16_overflow 0
		.amdhsa_exception_fp_ieee_invalid_op 0
		.amdhsa_exception_fp_denorm_src 0
		.amdhsa_exception_fp_ieee_div_zero 0
		.amdhsa_exception_fp_ieee_overflow 0
		.amdhsa_exception_fp_ieee_underflow 0
		.amdhsa_exception_fp_ieee_inexact 0
		.amdhsa_exception_int_div_zero 0
	.end_amdhsa_kernel
	.section	.text._ZN7rocprim17ROCPRIM_400000_NS6detail17trampoline_kernelINS0_14default_configENS1_35radix_sort_onesweep_config_selectorIilEEZZNS1_29radix_sort_onesweep_iterationIS3_Lb0EPiS7_N6thrust23THRUST_200600_302600_NS10device_ptrIlEESB_jNS0_19identity_decomposerENS1_16block_id_wrapperIjLb0EEEEE10hipError_tT1_PNSt15iterator_traitsISG_E10value_typeET2_T3_PNSH_ISM_E10value_typeET4_T5_PSR_SS_PNS1_23onesweep_lookback_stateEbbT6_jjT7_P12ihipStream_tbENKUlT_T0_SG_SL_E_clIS7_S7_PlSB_EEDaSZ_S10_SG_SL_EUlSZ_E_NS1_11comp_targetILNS1_3genE5ELNS1_11target_archE942ELNS1_3gpuE9ELNS1_3repE0EEENS1_47radix_sort_onesweep_sort_config_static_selectorELNS0_4arch9wavefront6targetE1EEEvSG_,"axG",@progbits,_ZN7rocprim17ROCPRIM_400000_NS6detail17trampoline_kernelINS0_14default_configENS1_35radix_sort_onesweep_config_selectorIilEEZZNS1_29radix_sort_onesweep_iterationIS3_Lb0EPiS7_N6thrust23THRUST_200600_302600_NS10device_ptrIlEESB_jNS0_19identity_decomposerENS1_16block_id_wrapperIjLb0EEEEE10hipError_tT1_PNSt15iterator_traitsISG_E10value_typeET2_T3_PNSH_ISM_E10value_typeET4_T5_PSR_SS_PNS1_23onesweep_lookback_stateEbbT6_jjT7_P12ihipStream_tbENKUlT_T0_SG_SL_E_clIS7_S7_PlSB_EEDaSZ_S10_SG_SL_EUlSZ_E_NS1_11comp_targetILNS1_3genE5ELNS1_11target_archE942ELNS1_3gpuE9ELNS1_3repE0EEENS1_47radix_sort_onesweep_sort_config_static_selectorELNS0_4arch9wavefront6targetE1EEEvSG_,comdat
.Lfunc_end913:
	.size	_ZN7rocprim17ROCPRIM_400000_NS6detail17trampoline_kernelINS0_14default_configENS1_35radix_sort_onesweep_config_selectorIilEEZZNS1_29radix_sort_onesweep_iterationIS3_Lb0EPiS7_N6thrust23THRUST_200600_302600_NS10device_ptrIlEESB_jNS0_19identity_decomposerENS1_16block_id_wrapperIjLb0EEEEE10hipError_tT1_PNSt15iterator_traitsISG_E10value_typeET2_T3_PNSH_ISM_E10value_typeET4_T5_PSR_SS_PNS1_23onesweep_lookback_stateEbbT6_jjT7_P12ihipStream_tbENKUlT_T0_SG_SL_E_clIS7_S7_PlSB_EEDaSZ_S10_SG_SL_EUlSZ_E_NS1_11comp_targetILNS1_3genE5ELNS1_11target_archE942ELNS1_3gpuE9ELNS1_3repE0EEENS1_47radix_sort_onesweep_sort_config_static_selectorELNS0_4arch9wavefront6targetE1EEEvSG_, .Lfunc_end913-_ZN7rocprim17ROCPRIM_400000_NS6detail17trampoline_kernelINS0_14default_configENS1_35radix_sort_onesweep_config_selectorIilEEZZNS1_29radix_sort_onesweep_iterationIS3_Lb0EPiS7_N6thrust23THRUST_200600_302600_NS10device_ptrIlEESB_jNS0_19identity_decomposerENS1_16block_id_wrapperIjLb0EEEEE10hipError_tT1_PNSt15iterator_traitsISG_E10value_typeET2_T3_PNSH_ISM_E10value_typeET4_T5_PSR_SS_PNS1_23onesweep_lookback_stateEbbT6_jjT7_P12ihipStream_tbENKUlT_T0_SG_SL_E_clIS7_S7_PlSB_EEDaSZ_S10_SG_SL_EUlSZ_E_NS1_11comp_targetILNS1_3genE5ELNS1_11target_archE942ELNS1_3gpuE9ELNS1_3repE0EEENS1_47radix_sort_onesweep_sort_config_static_selectorELNS0_4arch9wavefront6targetE1EEEvSG_
                                        ; -- End function
	.set _ZN7rocprim17ROCPRIM_400000_NS6detail17trampoline_kernelINS0_14default_configENS1_35radix_sort_onesweep_config_selectorIilEEZZNS1_29radix_sort_onesweep_iterationIS3_Lb0EPiS7_N6thrust23THRUST_200600_302600_NS10device_ptrIlEESB_jNS0_19identity_decomposerENS1_16block_id_wrapperIjLb0EEEEE10hipError_tT1_PNSt15iterator_traitsISG_E10value_typeET2_T3_PNSH_ISM_E10value_typeET4_T5_PSR_SS_PNS1_23onesweep_lookback_stateEbbT6_jjT7_P12ihipStream_tbENKUlT_T0_SG_SL_E_clIS7_S7_PlSB_EEDaSZ_S10_SG_SL_EUlSZ_E_NS1_11comp_targetILNS1_3genE5ELNS1_11target_archE942ELNS1_3gpuE9ELNS1_3repE0EEENS1_47radix_sort_onesweep_sort_config_static_selectorELNS0_4arch9wavefront6targetE1EEEvSG_.num_vgpr, 0
	.set _ZN7rocprim17ROCPRIM_400000_NS6detail17trampoline_kernelINS0_14default_configENS1_35radix_sort_onesweep_config_selectorIilEEZZNS1_29radix_sort_onesweep_iterationIS3_Lb0EPiS7_N6thrust23THRUST_200600_302600_NS10device_ptrIlEESB_jNS0_19identity_decomposerENS1_16block_id_wrapperIjLb0EEEEE10hipError_tT1_PNSt15iterator_traitsISG_E10value_typeET2_T3_PNSH_ISM_E10value_typeET4_T5_PSR_SS_PNS1_23onesweep_lookback_stateEbbT6_jjT7_P12ihipStream_tbENKUlT_T0_SG_SL_E_clIS7_S7_PlSB_EEDaSZ_S10_SG_SL_EUlSZ_E_NS1_11comp_targetILNS1_3genE5ELNS1_11target_archE942ELNS1_3gpuE9ELNS1_3repE0EEENS1_47radix_sort_onesweep_sort_config_static_selectorELNS0_4arch9wavefront6targetE1EEEvSG_.num_agpr, 0
	.set _ZN7rocprim17ROCPRIM_400000_NS6detail17trampoline_kernelINS0_14default_configENS1_35radix_sort_onesweep_config_selectorIilEEZZNS1_29radix_sort_onesweep_iterationIS3_Lb0EPiS7_N6thrust23THRUST_200600_302600_NS10device_ptrIlEESB_jNS0_19identity_decomposerENS1_16block_id_wrapperIjLb0EEEEE10hipError_tT1_PNSt15iterator_traitsISG_E10value_typeET2_T3_PNSH_ISM_E10value_typeET4_T5_PSR_SS_PNS1_23onesweep_lookback_stateEbbT6_jjT7_P12ihipStream_tbENKUlT_T0_SG_SL_E_clIS7_S7_PlSB_EEDaSZ_S10_SG_SL_EUlSZ_E_NS1_11comp_targetILNS1_3genE5ELNS1_11target_archE942ELNS1_3gpuE9ELNS1_3repE0EEENS1_47radix_sort_onesweep_sort_config_static_selectorELNS0_4arch9wavefront6targetE1EEEvSG_.numbered_sgpr, 0
	.set _ZN7rocprim17ROCPRIM_400000_NS6detail17trampoline_kernelINS0_14default_configENS1_35radix_sort_onesweep_config_selectorIilEEZZNS1_29radix_sort_onesweep_iterationIS3_Lb0EPiS7_N6thrust23THRUST_200600_302600_NS10device_ptrIlEESB_jNS0_19identity_decomposerENS1_16block_id_wrapperIjLb0EEEEE10hipError_tT1_PNSt15iterator_traitsISG_E10value_typeET2_T3_PNSH_ISM_E10value_typeET4_T5_PSR_SS_PNS1_23onesweep_lookback_stateEbbT6_jjT7_P12ihipStream_tbENKUlT_T0_SG_SL_E_clIS7_S7_PlSB_EEDaSZ_S10_SG_SL_EUlSZ_E_NS1_11comp_targetILNS1_3genE5ELNS1_11target_archE942ELNS1_3gpuE9ELNS1_3repE0EEENS1_47radix_sort_onesweep_sort_config_static_selectorELNS0_4arch9wavefront6targetE1EEEvSG_.num_named_barrier, 0
	.set _ZN7rocprim17ROCPRIM_400000_NS6detail17trampoline_kernelINS0_14default_configENS1_35radix_sort_onesweep_config_selectorIilEEZZNS1_29radix_sort_onesweep_iterationIS3_Lb0EPiS7_N6thrust23THRUST_200600_302600_NS10device_ptrIlEESB_jNS0_19identity_decomposerENS1_16block_id_wrapperIjLb0EEEEE10hipError_tT1_PNSt15iterator_traitsISG_E10value_typeET2_T3_PNSH_ISM_E10value_typeET4_T5_PSR_SS_PNS1_23onesweep_lookback_stateEbbT6_jjT7_P12ihipStream_tbENKUlT_T0_SG_SL_E_clIS7_S7_PlSB_EEDaSZ_S10_SG_SL_EUlSZ_E_NS1_11comp_targetILNS1_3genE5ELNS1_11target_archE942ELNS1_3gpuE9ELNS1_3repE0EEENS1_47radix_sort_onesweep_sort_config_static_selectorELNS0_4arch9wavefront6targetE1EEEvSG_.private_seg_size, 0
	.set _ZN7rocprim17ROCPRIM_400000_NS6detail17trampoline_kernelINS0_14default_configENS1_35radix_sort_onesweep_config_selectorIilEEZZNS1_29radix_sort_onesweep_iterationIS3_Lb0EPiS7_N6thrust23THRUST_200600_302600_NS10device_ptrIlEESB_jNS0_19identity_decomposerENS1_16block_id_wrapperIjLb0EEEEE10hipError_tT1_PNSt15iterator_traitsISG_E10value_typeET2_T3_PNSH_ISM_E10value_typeET4_T5_PSR_SS_PNS1_23onesweep_lookback_stateEbbT6_jjT7_P12ihipStream_tbENKUlT_T0_SG_SL_E_clIS7_S7_PlSB_EEDaSZ_S10_SG_SL_EUlSZ_E_NS1_11comp_targetILNS1_3genE5ELNS1_11target_archE942ELNS1_3gpuE9ELNS1_3repE0EEENS1_47radix_sort_onesweep_sort_config_static_selectorELNS0_4arch9wavefront6targetE1EEEvSG_.uses_vcc, 0
	.set _ZN7rocprim17ROCPRIM_400000_NS6detail17trampoline_kernelINS0_14default_configENS1_35radix_sort_onesweep_config_selectorIilEEZZNS1_29radix_sort_onesweep_iterationIS3_Lb0EPiS7_N6thrust23THRUST_200600_302600_NS10device_ptrIlEESB_jNS0_19identity_decomposerENS1_16block_id_wrapperIjLb0EEEEE10hipError_tT1_PNSt15iterator_traitsISG_E10value_typeET2_T3_PNSH_ISM_E10value_typeET4_T5_PSR_SS_PNS1_23onesweep_lookback_stateEbbT6_jjT7_P12ihipStream_tbENKUlT_T0_SG_SL_E_clIS7_S7_PlSB_EEDaSZ_S10_SG_SL_EUlSZ_E_NS1_11comp_targetILNS1_3genE5ELNS1_11target_archE942ELNS1_3gpuE9ELNS1_3repE0EEENS1_47radix_sort_onesweep_sort_config_static_selectorELNS0_4arch9wavefront6targetE1EEEvSG_.uses_flat_scratch, 0
	.set _ZN7rocprim17ROCPRIM_400000_NS6detail17trampoline_kernelINS0_14default_configENS1_35radix_sort_onesweep_config_selectorIilEEZZNS1_29radix_sort_onesweep_iterationIS3_Lb0EPiS7_N6thrust23THRUST_200600_302600_NS10device_ptrIlEESB_jNS0_19identity_decomposerENS1_16block_id_wrapperIjLb0EEEEE10hipError_tT1_PNSt15iterator_traitsISG_E10value_typeET2_T3_PNSH_ISM_E10value_typeET4_T5_PSR_SS_PNS1_23onesweep_lookback_stateEbbT6_jjT7_P12ihipStream_tbENKUlT_T0_SG_SL_E_clIS7_S7_PlSB_EEDaSZ_S10_SG_SL_EUlSZ_E_NS1_11comp_targetILNS1_3genE5ELNS1_11target_archE942ELNS1_3gpuE9ELNS1_3repE0EEENS1_47radix_sort_onesweep_sort_config_static_selectorELNS0_4arch9wavefront6targetE1EEEvSG_.has_dyn_sized_stack, 0
	.set _ZN7rocprim17ROCPRIM_400000_NS6detail17trampoline_kernelINS0_14default_configENS1_35radix_sort_onesweep_config_selectorIilEEZZNS1_29radix_sort_onesweep_iterationIS3_Lb0EPiS7_N6thrust23THRUST_200600_302600_NS10device_ptrIlEESB_jNS0_19identity_decomposerENS1_16block_id_wrapperIjLb0EEEEE10hipError_tT1_PNSt15iterator_traitsISG_E10value_typeET2_T3_PNSH_ISM_E10value_typeET4_T5_PSR_SS_PNS1_23onesweep_lookback_stateEbbT6_jjT7_P12ihipStream_tbENKUlT_T0_SG_SL_E_clIS7_S7_PlSB_EEDaSZ_S10_SG_SL_EUlSZ_E_NS1_11comp_targetILNS1_3genE5ELNS1_11target_archE942ELNS1_3gpuE9ELNS1_3repE0EEENS1_47radix_sort_onesweep_sort_config_static_selectorELNS0_4arch9wavefront6targetE1EEEvSG_.has_recursion, 0
	.set _ZN7rocprim17ROCPRIM_400000_NS6detail17trampoline_kernelINS0_14default_configENS1_35radix_sort_onesweep_config_selectorIilEEZZNS1_29radix_sort_onesweep_iterationIS3_Lb0EPiS7_N6thrust23THRUST_200600_302600_NS10device_ptrIlEESB_jNS0_19identity_decomposerENS1_16block_id_wrapperIjLb0EEEEE10hipError_tT1_PNSt15iterator_traitsISG_E10value_typeET2_T3_PNSH_ISM_E10value_typeET4_T5_PSR_SS_PNS1_23onesweep_lookback_stateEbbT6_jjT7_P12ihipStream_tbENKUlT_T0_SG_SL_E_clIS7_S7_PlSB_EEDaSZ_S10_SG_SL_EUlSZ_E_NS1_11comp_targetILNS1_3genE5ELNS1_11target_archE942ELNS1_3gpuE9ELNS1_3repE0EEENS1_47radix_sort_onesweep_sort_config_static_selectorELNS0_4arch9wavefront6targetE1EEEvSG_.has_indirect_call, 0
	.section	.AMDGPU.csdata,"",@progbits
; Kernel info:
; codeLenInByte = 0
; TotalNumSgprs: 4
; NumVgprs: 0
; ScratchSize: 0
; MemoryBound: 0
; FloatMode: 240
; IeeeMode: 1
; LDSByteSize: 0 bytes/workgroup (compile time only)
; SGPRBlocks: 0
; VGPRBlocks: 0
; NumSGPRsForWavesPerEU: 4
; NumVGPRsForWavesPerEU: 1
; Occupancy: 10
; WaveLimiterHint : 0
; COMPUTE_PGM_RSRC2:SCRATCH_EN: 0
; COMPUTE_PGM_RSRC2:USER_SGPR: 6
; COMPUTE_PGM_RSRC2:TRAP_HANDLER: 0
; COMPUTE_PGM_RSRC2:TGID_X_EN: 1
; COMPUTE_PGM_RSRC2:TGID_Y_EN: 0
; COMPUTE_PGM_RSRC2:TGID_Z_EN: 0
; COMPUTE_PGM_RSRC2:TIDIG_COMP_CNT: 0
	.section	.text._ZN7rocprim17ROCPRIM_400000_NS6detail17trampoline_kernelINS0_14default_configENS1_35radix_sort_onesweep_config_selectorIilEEZZNS1_29radix_sort_onesweep_iterationIS3_Lb0EPiS7_N6thrust23THRUST_200600_302600_NS10device_ptrIlEESB_jNS0_19identity_decomposerENS1_16block_id_wrapperIjLb0EEEEE10hipError_tT1_PNSt15iterator_traitsISG_E10value_typeET2_T3_PNSH_ISM_E10value_typeET4_T5_PSR_SS_PNS1_23onesweep_lookback_stateEbbT6_jjT7_P12ihipStream_tbENKUlT_T0_SG_SL_E_clIS7_S7_PlSB_EEDaSZ_S10_SG_SL_EUlSZ_E_NS1_11comp_targetILNS1_3genE2ELNS1_11target_archE906ELNS1_3gpuE6ELNS1_3repE0EEENS1_47radix_sort_onesweep_sort_config_static_selectorELNS0_4arch9wavefront6targetE1EEEvSG_,"axG",@progbits,_ZN7rocprim17ROCPRIM_400000_NS6detail17trampoline_kernelINS0_14default_configENS1_35radix_sort_onesweep_config_selectorIilEEZZNS1_29radix_sort_onesweep_iterationIS3_Lb0EPiS7_N6thrust23THRUST_200600_302600_NS10device_ptrIlEESB_jNS0_19identity_decomposerENS1_16block_id_wrapperIjLb0EEEEE10hipError_tT1_PNSt15iterator_traitsISG_E10value_typeET2_T3_PNSH_ISM_E10value_typeET4_T5_PSR_SS_PNS1_23onesweep_lookback_stateEbbT6_jjT7_P12ihipStream_tbENKUlT_T0_SG_SL_E_clIS7_S7_PlSB_EEDaSZ_S10_SG_SL_EUlSZ_E_NS1_11comp_targetILNS1_3genE2ELNS1_11target_archE906ELNS1_3gpuE6ELNS1_3repE0EEENS1_47radix_sort_onesweep_sort_config_static_selectorELNS0_4arch9wavefront6targetE1EEEvSG_,comdat
	.protected	_ZN7rocprim17ROCPRIM_400000_NS6detail17trampoline_kernelINS0_14default_configENS1_35radix_sort_onesweep_config_selectorIilEEZZNS1_29radix_sort_onesweep_iterationIS3_Lb0EPiS7_N6thrust23THRUST_200600_302600_NS10device_ptrIlEESB_jNS0_19identity_decomposerENS1_16block_id_wrapperIjLb0EEEEE10hipError_tT1_PNSt15iterator_traitsISG_E10value_typeET2_T3_PNSH_ISM_E10value_typeET4_T5_PSR_SS_PNS1_23onesweep_lookback_stateEbbT6_jjT7_P12ihipStream_tbENKUlT_T0_SG_SL_E_clIS7_S7_PlSB_EEDaSZ_S10_SG_SL_EUlSZ_E_NS1_11comp_targetILNS1_3genE2ELNS1_11target_archE906ELNS1_3gpuE6ELNS1_3repE0EEENS1_47radix_sort_onesweep_sort_config_static_selectorELNS0_4arch9wavefront6targetE1EEEvSG_ ; -- Begin function _ZN7rocprim17ROCPRIM_400000_NS6detail17trampoline_kernelINS0_14default_configENS1_35radix_sort_onesweep_config_selectorIilEEZZNS1_29radix_sort_onesweep_iterationIS3_Lb0EPiS7_N6thrust23THRUST_200600_302600_NS10device_ptrIlEESB_jNS0_19identity_decomposerENS1_16block_id_wrapperIjLb0EEEEE10hipError_tT1_PNSt15iterator_traitsISG_E10value_typeET2_T3_PNSH_ISM_E10value_typeET4_T5_PSR_SS_PNS1_23onesweep_lookback_stateEbbT6_jjT7_P12ihipStream_tbENKUlT_T0_SG_SL_E_clIS7_S7_PlSB_EEDaSZ_S10_SG_SL_EUlSZ_E_NS1_11comp_targetILNS1_3genE2ELNS1_11target_archE906ELNS1_3gpuE6ELNS1_3repE0EEENS1_47radix_sort_onesweep_sort_config_static_selectorELNS0_4arch9wavefront6targetE1EEEvSG_
	.globl	_ZN7rocprim17ROCPRIM_400000_NS6detail17trampoline_kernelINS0_14default_configENS1_35radix_sort_onesweep_config_selectorIilEEZZNS1_29radix_sort_onesweep_iterationIS3_Lb0EPiS7_N6thrust23THRUST_200600_302600_NS10device_ptrIlEESB_jNS0_19identity_decomposerENS1_16block_id_wrapperIjLb0EEEEE10hipError_tT1_PNSt15iterator_traitsISG_E10value_typeET2_T3_PNSH_ISM_E10value_typeET4_T5_PSR_SS_PNS1_23onesweep_lookback_stateEbbT6_jjT7_P12ihipStream_tbENKUlT_T0_SG_SL_E_clIS7_S7_PlSB_EEDaSZ_S10_SG_SL_EUlSZ_E_NS1_11comp_targetILNS1_3genE2ELNS1_11target_archE906ELNS1_3gpuE6ELNS1_3repE0EEENS1_47radix_sort_onesweep_sort_config_static_selectorELNS0_4arch9wavefront6targetE1EEEvSG_
	.p2align	8
	.type	_ZN7rocprim17ROCPRIM_400000_NS6detail17trampoline_kernelINS0_14default_configENS1_35radix_sort_onesweep_config_selectorIilEEZZNS1_29radix_sort_onesweep_iterationIS3_Lb0EPiS7_N6thrust23THRUST_200600_302600_NS10device_ptrIlEESB_jNS0_19identity_decomposerENS1_16block_id_wrapperIjLb0EEEEE10hipError_tT1_PNSt15iterator_traitsISG_E10value_typeET2_T3_PNSH_ISM_E10value_typeET4_T5_PSR_SS_PNS1_23onesweep_lookback_stateEbbT6_jjT7_P12ihipStream_tbENKUlT_T0_SG_SL_E_clIS7_S7_PlSB_EEDaSZ_S10_SG_SL_EUlSZ_E_NS1_11comp_targetILNS1_3genE2ELNS1_11target_archE906ELNS1_3gpuE6ELNS1_3repE0EEENS1_47radix_sort_onesweep_sort_config_static_selectorELNS0_4arch9wavefront6targetE1EEEvSG_,@function
_ZN7rocprim17ROCPRIM_400000_NS6detail17trampoline_kernelINS0_14default_configENS1_35radix_sort_onesweep_config_selectorIilEEZZNS1_29radix_sort_onesweep_iterationIS3_Lb0EPiS7_N6thrust23THRUST_200600_302600_NS10device_ptrIlEESB_jNS0_19identity_decomposerENS1_16block_id_wrapperIjLb0EEEEE10hipError_tT1_PNSt15iterator_traitsISG_E10value_typeET2_T3_PNSH_ISM_E10value_typeET4_T5_PSR_SS_PNS1_23onesweep_lookback_stateEbbT6_jjT7_P12ihipStream_tbENKUlT_T0_SG_SL_E_clIS7_S7_PlSB_EEDaSZ_S10_SG_SL_EUlSZ_E_NS1_11comp_targetILNS1_3genE2ELNS1_11target_archE906ELNS1_3gpuE6ELNS1_3repE0EEENS1_47radix_sort_onesweep_sort_config_static_selectorELNS0_4arch9wavefront6targetE1EEEvSG_: ; @_ZN7rocprim17ROCPRIM_400000_NS6detail17trampoline_kernelINS0_14default_configENS1_35radix_sort_onesweep_config_selectorIilEEZZNS1_29radix_sort_onesweep_iterationIS3_Lb0EPiS7_N6thrust23THRUST_200600_302600_NS10device_ptrIlEESB_jNS0_19identity_decomposerENS1_16block_id_wrapperIjLb0EEEEE10hipError_tT1_PNSt15iterator_traitsISG_E10value_typeET2_T3_PNSH_ISM_E10value_typeET4_T5_PSR_SS_PNS1_23onesweep_lookback_stateEbbT6_jjT7_P12ihipStream_tbENKUlT_T0_SG_SL_E_clIS7_S7_PlSB_EEDaSZ_S10_SG_SL_EUlSZ_E_NS1_11comp_targetILNS1_3genE2ELNS1_11target_archE906ELNS1_3gpuE6ELNS1_3repE0EEENS1_47radix_sort_onesweep_sort_config_static_selectorELNS0_4arch9wavefront6targetE1EEEvSG_
; %bb.0:
	s_add_u32 s0, s0, s7
	s_load_dwordx4 s[44:47], s[4:5], 0x44
	s_load_dwordx8 s[36:43], s[4:5], 0x0
	s_load_dwordx4 s[28:31], s[4:5], 0x28
	s_load_dwordx2 s[34:35], s[4:5], 0x38
	s_addc_u32 s1, s1, 0
	s_mov_b64 s[8:9], -1
	s_waitcnt lgkmcnt(0)
	s_cmp_ge_u32 s6, s46
	v_mbcnt_lo_u32_b32 v22, -1, 0
	v_lshlrev_b32_e32 v21, 3, v0
	s_cbranch_scc0 .LBB914_88
; %bb.1:
	s_load_dword s7, s[4:5], 0x20
	s_lshl_b32 s10, s46, 12
	s_lshl_b32 s46, s6, 12
	s_mov_b32 s47, 0
	s_lshl_b64 s[8:9], s[46:47], 2
	s_waitcnt lgkmcnt(0)
	s_sub_i32 s7, s7, s10
	v_mbcnt_hi_u32_b32 v17, -1, v22
	s_add_u32 s8, s36, s8
	v_and_b32_e32 v15, 63, v17
	s_addc_u32 s9, s37, s9
	v_lshlrev_b32_e32 v3, 2, v15
	v_and_b32_e32 v14, 0xe00, v21
	v_mov_b32_e32 v4, s9
	v_add_co_u32_e32 v3, vcc, s8, v3
	v_addc_co_u32_e32 v4, vcc, 0, v4, vcc
	v_lshlrev_b32_e32 v5, 2, v14
	v_add_co_u32_e32 v11, vcc, v3, v5
	v_or_b32_e32 v13, v15, v14
	v_bfrev_b32_e32 v3, -2
	v_addc_co_u32_e32 v12, vcc, 0, v4, vcc
	v_cmp_gt_u32_e64 s[24:25], s7, v13
	v_mov_b32_e32 v4, v3
	v_mov_b32_e32 v5, v3
	;; [unrolled: 1-line block ×7, first 2 shown]
	s_and_saveexec_b64 s[8:9], s[24:25]
	s_cbranch_execz .LBB914_3
; %bb.2:
	global_load_dword v23, v[11:12], off
	v_mov_b32_e32 v24, v3
	v_mov_b32_e32 v25, v3
	v_mov_b32_e32 v26, v3
	v_mov_b32_e32 v27, v3
	v_mov_b32_e32 v28, v3
	v_mov_b32_e32 v29, v3
	v_mov_b32_e32 v30, v3
	s_waitcnt vmcnt(0)
	v_mov_b32_e32 v3, v23
	v_mov_b32_e32 v4, v24
	v_mov_b32_e32 v5, v25
	v_mov_b32_e32 v6, v26
	v_mov_b32_e32 v7, v27
	v_mov_b32_e32 v8, v28
	v_mov_b32_e32 v9, v29
	v_mov_b32_e32 v10, v30
.LBB914_3:
	s_or_b64 exec, exec, s[8:9]
	v_or_b32_e32 v16, 64, v13
	v_cmp_gt_u32_e64 s[8:9], s7, v16
	s_and_saveexec_b64 s[10:11], s[8:9]
	s_cbranch_execz .LBB914_5
; %bb.4:
	global_load_dword v4, v[11:12], off offset:256
.LBB914_5:
	s_or_b64 exec, exec, s[10:11]
	v_or_b32_e32 v16, 0x80, v13
	v_cmp_gt_u32_e64 s[10:11], s7, v16
	s_and_saveexec_b64 s[12:13], s[10:11]
	s_cbranch_execz .LBB914_7
; %bb.6:
	global_load_dword v5, v[11:12], off offset:512
.LBB914_7:
	;; [unrolled: 8-line block ×7, first 2 shown]
	s_or_b64 exec, exec, s[22:23]
	s_load_dword s22, s[4:5], 0x64
	s_load_dword s33, s[4:5], 0x58
	s_add_u32 s23, s4, 0x58
	s_addc_u32 s26, s5, 0
	v_mov_b32_e32 v11, 0
	s_waitcnt lgkmcnt(0)
	s_lshr_b32 s27, s22, 16
	s_cmp_lt_u32 s6, s33
	s_cselect_b32 s22, 12, 18
	s_add_u32 s22, s23, s22
	s_addc_u32 s23, s26, 0
	global_load_ushort v13, v11, s[22:23]
	v_xor_b32_e32 v16, 0x80000000, v3
	s_lshl_b32 s22, -1, s45
	v_lshrrev_b32_e32 v3, s44, v16
	s_not_b32 s54, s22
	v_and_b32_e32 v3, s54, v3
	v_and_b32_e32 v20, 1, v3
	v_add_co_u32_e32 v24, vcc, -1, v20
	v_lshlrev_b32_e32 v12, 30, v3
	v_addc_co_u32_e64 v25, s[22:23], 0, -1, vcc
	v_cmp_ne_u32_e32 vcc, 0, v20
	v_cmp_gt_i64_e64 s[22:23], 0, v[11:12]
	v_not_b32_e32 v20, v12
	v_lshlrev_b32_e32 v12, 29, v3
	v_xor_b32_e32 v25, vcc_hi, v25
	v_xor_b32_e32 v24, vcc_lo, v24
	v_ashrrev_i32_e32 v20, 31, v20
	v_cmp_gt_i64_e32 vcc, 0, v[11:12]
	v_not_b32_e32 v26, v12
	v_lshlrev_b32_e32 v12, 28, v3
	v_and_b32_e32 v25, exec_hi, v25
	v_and_b32_e32 v24, exec_lo, v24
	v_xor_b32_e32 v27, s23, v20
	v_xor_b32_e32 v20, s22, v20
	v_ashrrev_i32_e32 v26, 31, v26
	v_cmp_gt_i64_e64 s[22:23], 0, v[11:12]
	v_not_b32_e32 v28, v12
	v_lshlrev_b32_e32 v12, 27, v3
	v_and_b32_e32 v25, v25, v27
	v_and_b32_e32 v20, v24, v20
	v_xor_b32_e32 v24, vcc_hi, v26
	v_xor_b32_e32 v26, vcc_lo, v26
	v_ashrrev_i32_e32 v27, 31, v28
	v_cmp_gt_i64_e32 vcc, 0, v[11:12]
	v_not_b32_e32 v28, v12
	v_lshlrev_b32_e32 v12, 26, v3
	v_and_b32_e32 v24, v25, v24
	v_and_b32_e32 v20, v20, v26
	v_xor_b32_e32 v25, s23, v27
	v_xor_b32_e32 v26, s22, v27
	v_ashrrev_i32_e32 v27, 31, v28
	v_cmp_gt_i64_e64 s[22:23], 0, v[11:12]
	v_not_b32_e32 v28, v12
	v_lshlrev_b32_e32 v12, 25, v3
	v_and_b32_e32 v24, v24, v25
	v_and_b32_e32 v20, v20, v26
	v_xor_b32_e32 v25, vcc_hi, v27
	v_xor_b32_e32 v26, vcc_lo, v27
	v_ashrrev_i32_e32 v27, 31, v28
	v_cmp_gt_i64_e32 vcc, 0, v[11:12]
	v_not_b32_e32 v28, v12
	v_mul_lo_u32 v23, v3, 36
	v_lshlrev_b32_e32 v12, 24, v3
	v_and_b32_e32 v3, v24, v25
	v_and_b32_e32 v20, v20, v26
	v_xor_b32_e32 v24, s23, v27
	v_xor_b32_e32 v25, s22, v27
	v_ashrrev_i32_e32 v26, 31, v28
	v_mad_u32_u24 v19, v2, s27, v1
	v_and_b32_e32 v3, v3, v24
	v_and_b32_e32 v20, v20, v25
	v_xor_b32_e32 v24, vcc_hi, v26
	v_xor_b32_e32 v25, vcc_lo, v26
	v_and_b32_e32 v3, v3, v24
	v_and_b32_e32 v24, v20, v25
	v_cmp_gt_i64_e64 s[22:23], 0, v[11:12]
	v_not_b32_e32 v12, v12
	v_ashrrev_i32_e32 v12, 31, v12
	v_xor_b32_e32 v25, s23, v12
	v_xor_b32_e32 v12, s22, v12
	v_and_b32_e32 v12, v24, v12
	v_mul_u32_u24_e32 v18, 20, v0
	ds_write2_b32 v18, v11, v11 offset0:8 offset1:9
	ds_write2_b32 v18, v11, v11 offset0:10 offset1:11
	ds_write_b32 v18, v11 offset:48
	s_waitcnt vmcnt(0) lgkmcnt(0)
	s_barrier
	; wave barrier
	v_mad_u64_u32 v[19:20], s[26:27], v19, v13, v[0:1]
	v_and_b32_e32 v13, v3, v25
	v_cmp_ne_u64_e32 vcc, 0, v[12:13]
	v_lshrrev_b32_e32 v3, 4, v19
	v_and_b32_e32 v39, 0xffffffc, v3
	v_mbcnt_lo_u32_b32 v3, v12, 0
	v_mbcnt_hi_u32_b32 v19, v13, v3
	v_cmp_eq_u32_e64 s[22:23], 0, v19
	s_and_b64 s[26:27], vcc, s[22:23]
	v_add_u32_e32 v32, v39, v23
	s_and_saveexec_b64 s[22:23], s[26:27]
; %bb.18:
	v_bcnt_u32_b32 v3, v12, 0
	v_bcnt_u32_b32 v3, v13, v3
	ds_write_b32 v32, v3 offset:32
; %bb.19:
	s_or_b64 exec, exec, s[22:23]
	v_xor_b32_e32 v13, 0x80000000, v4
	v_lshrrev_b32_e32 v3, s44, v13
	v_and_b32_e32 v3, s54, v3
	v_mul_lo_u32 v4, v3, 36
	v_and_b32_e32 v12, 1, v3
	; wave barrier
	v_add_u32_e32 v33, v39, v4
	v_add_co_u32_e32 v4, vcc, -1, v12
	v_addc_co_u32_e64 v20, s[22:23], 0, -1, vcc
	v_cmp_ne_u32_e32 vcc, 0, v12
	v_xor_b32_e32 v12, vcc_hi, v20
	v_and_b32_e32 v20, exec_hi, v12
	v_lshlrev_b32_e32 v12, 30, v3
	v_xor_b32_e32 v4, vcc_lo, v4
	v_cmp_gt_i64_e32 vcc, 0, v[11:12]
	v_not_b32_e32 v12, v12
	v_ashrrev_i32_e32 v12, 31, v12
	v_and_b32_e32 v4, exec_lo, v4
	v_xor_b32_e32 v24, vcc_hi, v12
	v_xor_b32_e32 v12, vcc_lo, v12
	v_and_b32_e32 v4, v4, v12
	v_lshlrev_b32_e32 v12, 29, v3
	v_cmp_gt_i64_e32 vcc, 0, v[11:12]
	v_not_b32_e32 v12, v12
	v_ashrrev_i32_e32 v12, 31, v12
	v_and_b32_e32 v20, v20, v24
	v_xor_b32_e32 v24, vcc_hi, v12
	v_xor_b32_e32 v12, vcc_lo, v12
	v_and_b32_e32 v4, v4, v12
	v_lshlrev_b32_e32 v12, 28, v3
	v_cmp_gt_i64_e32 vcc, 0, v[11:12]
	v_not_b32_e32 v12, v12
	v_ashrrev_i32_e32 v12, 31, v12
	v_and_b32_e32 v20, v20, v24
	v_xor_b32_e32 v24, vcc_hi, v12
	v_xor_b32_e32 v12, vcc_lo, v12
	v_and_b32_e32 v4, v4, v12
	v_lshlrev_b32_e32 v12, 27, v3
	v_cmp_gt_i64_e32 vcc, 0, v[11:12]
	v_not_b32_e32 v12, v12
	v_ashrrev_i32_e32 v12, 31, v12
	v_and_b32_e32 v20, v20, v24
	v_xor_b32_e32 v24, vcc_hi, v12
	v_xor_b32_e32 v12, vcc_lo, v12
	v_and_b32_e32 v4, v4, v12
	v_lshlrev_b32_e32 v12, 26, v3
	v_cmp_gt_i64_e32 vcc, 0, v[11:12]
	v_not_b32_e32 v12, v12
	v_ashrrev_i32_e32 v12, 31, v12
	v_and_b32_e32 v20, v20, v24
	v_xor_b32_e32 v24, vcc_hi, v12
	v_xor_b32_e32 v12, vcc_lo, v12
	v_and_b32_e32 v4, v4, v12
	v_lshlrev_b32_e32 v12, 25, v3
	v_cmp_gt_i64_e32 vcc, 0, v[11:12]
	v_not_b32_e32 v12, v12
	v_ashrrev_i32_e32 v12, 31, v12
	v_and_b32_e32 v20, v20, v24
	v_xor_b32_e32 v24, vcc_hi, v12
	v_xor_b32_e32 v12, vcc_lo, v12
	v_and_b32_e32 v20, v20, v24
	v_and_b32_e32 v24, v4, v12
	v_lshlrev_b32_e32 v12, 24, v3
	v_cmp_gt_i64_e32 vcc, 0, v[11:12]
	v_not_b32_e32 v3, v12
	v_ashrrev_i32_e32 v3, 31, v3
	v_xor_b32_e32 v4, vcc_hi, v3
	v_xor_b32_e32 v3, vcc_lo, v3
	ds_read_b32 v23, v33 offset:32
	v_and_b32_e32 v3, v24, v3
	v_and_b32_e32 v4, v20, v4
	v_mbcnt_lo_u32_b32 v11, v3, 0
	v_mbcnt_hi_u32_b32 v24, v4, v11
	v_cmp_ne_u64_e32 vcc, 0, v[3:4]
	v_cmp_eq_u32_e64 s[22:23], 0, v24
	s_and_b64 s[26:27], vcc, s[22:23]
	; wave barrier
	s_and_saveexec_b64 s[22:23], s[26:27]
	s_cbranch_execz .LBB914_21
; %bb.20:
	v_bcnt_u32_b32 v3, v3, 0
	v_bcnt_u32_b32 v3, v4, v3
	s_waitcnt lgkmcnt(0)
	v_add_u32_e32 v3, v23, v3
	ds_write_b32 v33, v3 offset:32
.LBB914_21:
	s_or_b64 exec, exec, s[22:23]
	v_xor_b32_e32 v11, 0x80000000, v5
	v_lshrrev_b32_e32 v3, s44, v11
	v_and_b32_e32 v5, s54, v3
	v_mul_lo_u32 v3, v5, 36
	v_and_b32_e32 v4, 1, v5
	v_add_co_u32_e32 v12, vcc, -1, v4
	v_addc_co_u32_e64 v20, s[22:23], 0, -1, vcc
	v_cmp_ne_u32_e32 vcc, 0, v4
	v_xor_b32_e32 v4, vcc_hi, v20
	v_add_u32_e32 v37, v39, v3
	v_mov_b32_e32 v3, 0
	v_and_b32_e32 v20, exec_hi, v4
	v_lshlrev_b32_e32 v4, 30, v5
	v_xor_b32_e32 v12, vcc_lo, v12
	v_cmp_gt_i64_e32 vcc, 0, v[3:4]
	v_not_b32_e32 v4, v4
	v_ashrrev_i32_e32 v4, 31, v4
	v_and_b32_e32 v12, exec_lo, v12
	v_xor_b32_e32 v26, vcc_hi, v4
	v_xor_b32_e32 v4, vcc_lo, v4
	v_and_b32_e32 v12, v12, v4
	v_lshlrev_b32_e32 v4, 29, v5
	v_cmp_gt_i64_e32 vcc, 0, v[3:4]
	v_not_b32_e32 v4, v4
	v_ashrrev_i32_e32 v4, 31, v4
	v_and_b32_e32 v20, v20, v26
	v_xor_b32_e32 v26, vcc_hi, v4
	v_xor_b32_e32 v4, vcc_lo, v4
	v_and_b32_e32 v12, v12, v4
	v_lshlrev_b32_e32 v4, 28, v5
	v_cmp_gt_i64_e32 vcc, 0, v[3:4]
	v_not_b32_e32 v4, v4
	v_ashrrev_i32_e32 v4, 31, v4
	v_and_b32_e32 v20, v20, v26
	;; [unrolled: 8-line block ×5, first 2 shown]
	v_xor_b32_e32 v26, vcc_hi, v4
	v_xor_b32_e32 v4, vcc_lo, v4
	v_and_b32_e32 v12, v12, v4
	v_lshlrev_b32_e32 v4, 24, v5
	v_cmp_gt_i64_e32 vcc, 0, v[3:4]
	v_not_b32_e32 v4, v4
	v_ashrrev_i32_e32 v4, 31, v4
	v_xor_b32_e32 v5, vcc_hi, v4
	v_xor_b32_e32 v4, vcc_lo, v4
	; wave barrier
	ds_read_b32 v25, v37 offset:32
	v_and_b32_e32 v20, v20, v26
	v_and_b32_e32 v4, v12, v4
	v_and_b32_e32 v5, v20, v5
	v_mbcnt_lo_u32_b32 v12, v4, 0
	v_mbcnt_hi_u32_b32 v26, v5, v12
	v_cmp_ne_u64_e32 vcc, 0, v[4:5]
	v_cmp_eq_u32_e64 s[22:23], 0, v26
	s_and_b64 s[26:27], vcc, s[22:23]
	; wave barrier
	s_and_saveexec_b64 s[22:23], s[26:27]
	s_cbranch_execz .LBB914_23
; %bb.22:
	v_bcnt_u32_b32 v4, v4, 0
	v_bcnt_u32_b32 v4, v5, v4
	s_waitcnt lgkmcnt(0)
	v_add_u32_e32 v4, v25, v4
	ds_write_b32 v37, v4 offset:32
.LBB914_23:
	s_or_b64 exec, exec, s[22:23]
	v_xor_b32_e32 v12, 0x80000000, v6
	v_lshrrev_b32_e32 v4, s44, v12
	v_and_b32_e32 v5, s54, v4
	v_mul_lo_u32 v4, v5, 36
	v_and_b32_e32 v6, 1, v5
	; wave barrier
	v_add_u32_e32 v40, v39, v4
	v_add_co_u32_e32 v4, vcc, -1, v6
	v_addc_co_u32_e64 v20, s[22:23], 0, -1, vcc
	v_cmp_ne_u32_e32 vcc, 0, v6
	v_xor_b32_e32 v4, vcc_lo, v4
	v_xor_b32_e32 v6, vcc_hi, v20
	v_and_b32_e32 v20, exec_lo, v4
	v_lshlrev_b32_e32 v4, 30, v5
	v_cmp_gt_i64_e32 vcc, 0, v[3:4]
	v_not_b32_e32 v4, v4
	v_ashrrev_i32_e32 v4, 31, v4
	v_xor_b32_e32 v28, vcc_hi, v4
	v_xor_b32_e32 v4, vcc_lo, v4
	v_and_b32_e32 v20, v20, v4
	v_lshlrev_b32_e32 v4, 29, v5
	v_cmp_gt_i64_e32 vcc, 0, v[3:4]
	v_not_b32_e32 v4, v4
	v_and_b32_e32 v6, exec_hi, v6
	v_ashrrev_i32_e32 v4, 31, v4
	v_and_b32_e32 v6, v6, v28
	v_xor_b32_e32 v28, vcc_hi, v4
	v_xor_b32_e32 v4, vcc_lo, v4
	v_and_b32_e32 v20, v20, v4
	v_lshlrev_b32_e32 v4, 28, v5
	v_cmp_gt_i64_e32 vcc, 0, v[3:4]
	v_not_b32_e32 v4, v4
	v_ashrrev_i32_e32 v4, 31, v4
	v_and_b32_e32 v6, v6, v28
	v_xor_b32_e32 v28, vcc_hi, v4
	v_xor_b32_e32 v4, vcc_lo, v4
	v_and_b32_e32 v20, v20, v4
	v_lshlrev_b32_e32 v4, 27, v5
	v_cmp_gt_i64_e32 vcc, 0, v[3:4]
	v_not_b32_e32 v4, v4
	;; [unrolled: 8-line block ×5, first 2 shown]
	v_ashrrev_i32_e32 v3, 31, v3
	v_xor_b32_e32 v4, vcc_hi, v3
	v_xor_b32_e32 v3, vcc_lo, v3
	ds_read_b32 v27, v40 offset:32
	v_and_b32_e32 v6, v6, v28
	v_and_b32_e32 v3, v20, v3
	;; [unrolled: 1-line block ×3, first 2 shown]
	v_mbcnt_lo_u32_b32 v5, v3, 0
	v_mbcnt_hi_u32_b32 v28, v4, v5
	v_cmp_ne_u64_e32 vcc, 0, v[3:4]
	v_cmp_eq_u32_e64 s[22:23], 0, v28
	s_and_b64 s[26:27], vcc, s[22:23]
	; wave barrier
	s_and_saveexec_b64 s[22:23], s[26:27]
	s_cbranch_execz .LBB914_25
; %bb.24:
	v_bcnt_u32_b32 v3, v3, 0
	v_bcnt_u32_b32 v3, v4, v3
	s_waitcnt lgkmcnt(0)
	v_add_u32_e32 v3, v27, v3
	ds_write_b32 v40, v3 offset:32
.LBB914_25:
	s_or_b64 exec, exec, s[22:23]
	v_xor_b32_e32 v20, 0x80000000, v7
	v_lshrrev_b32_e32 v3, s44, v20
	v_and_b32_e32 v5, s54, v3
	v_mul_lo_u32 v3, v5, 36
	v_and_b32_e32 v4, 1, v5
	v_add_co_u32_e32 v6, vcc, -1, v4
	v_addc_co_u32_e64 v30, s[22:23], 0, -1, vcc
	v_cmp_ne_u32_e32 vcc, 0, v4
	v_xor_b32_e32 v4, vcc_hi, v30
	v_add_u32_e32 v7, v39, v3
	v_mov_b32_e32 v3, 0
	v_and_b32_e32 v30, exec_hi, v4
	v_lshlrev_b32_e32 v4, 30, v5
	v_xor_b32_e32 v6, vcc_lo, v6
	v_cmp_gt_i64_e32 vcc, 0, v[3:4]
	v_not_b32_e32 v4, v4
	v_ashrrev_i32_e32 v4, 31, v4
	v_and_b32_e32 v6, exec_lo, v6
	v_xor_b32_e32 v31, vcc_hi, v4
	v_xor_b32_e32 v4, vcc_lo, v4
	v_and_b32_e32 v6, v6, v4
	v_lshlrev_b32_e32 v4, 29, v5
	v_cmp_gt_i64_e32 vcc, 0, v[3:4]
	v_not_b32_e32 v4, v4
	v_ashrrev_i32_e32 v4, 31, v4
	v_and_b32_e32 v30, v30, v31
	v_xor_b32_e32 v31, vcc_hi, v4
	v_xor_b32_e32 v4, vcc_lo, v4
	v_and_b32_e32 v6, v6, v4
	v_lshlrev_b32_e32 v4, 28, v5
	v_cmp_gt_i64_e32 vcc, 0, v[3:4]
	v_not_b32_e32 v4, v4
	v_ashrrev_i32_e32 v4, 31, v4
	v_and_b32_e32 v30, v30, v31
	;; [unrolled: 8-line block ×5, first 2 shown]
	v_xor_b32_e32 v31, vcc_hi, v4
	v_xor_b32_e32 v4, vcc_lo, v4
	v_and_b32_e32 v6, v6, v4
	v_lshlrev_b32_e32 v4, 24, v5
	v_cmp_gt_i64_e32 vcc, 0, v[3:4]
	v_not_b32_e32 v4, v4
	v_ashrrev_i32_e32 v4, 31, v4
	v_xor_b32_e32 v5, vcc_hi, v4
	v_xor_b32_e32 v4, vcc_lo, v4
	; wave barrier
	ds_read_b32 v29, v7 offset:32
	v_and_b32_e32 v30, v30, v31
	v_and_b32_e32 v4, v6, v4
	v_and_b32_e32 v5, v30, v5
	v_mbcnt_lo_u32_b32 v6, v4, 0
	v_mbcnt_hi_u32_b32 v30, v5, v6
	v_cmp_ne_u64_e32 vcc, 0, v[4:5]
	v_cmp_eq_u32_e64 s[22:23], 0, v30
	s_and_b64 s[26:27], vcc, s[22:23]
	; wave barrier
	s_and_saveexec_b64 s[22:23], s[26:27]
	s_cbranch_execz .LBB914_27
; %bb.26:
	v_bcnt_u32_b32 v4, v4, 0
	v_bcnt_u32_b32 v4, v5, v4
	s_waitcnt lgkmcnt(0)
	v_add_u32_e32 v4, v29, v4
	ds_write_b32 v7, v4 offset:32
.LBB914_27:
	s_or_b64 exec, exec, s[22:23]
	v_xor_b32_e32 v35, 0x80000000, v8
	v_lshrrev_b32_e32 v4, s44, v35
	v_and_b32_e32 v5, s54, v4
	v_mul_lo_u32 v4, v5, 36
	v_and_b32_e32 v6, 1, v5
	; wave barrier
	v_add_u32_e32 v8, v39, v4
	v_add_co_u32_e32 v4, vcc, -1, v6
	v_addc_co_u32_e64 v34, s[22:23], 0, -1, vcc
	v_cmp_ne_u32_e32 vcc, 0, v6
	v_xor_b32_e32 v4, vcc_lo, v4
	v_xor_b32_e32 v6, vcc_hi, v34
	v_and_b32_e32 v34, exec_lo, v4
	v_lshlrev_b32_e32 v4, 30, v5
	v_cmp_gt_i64_e32 vcc, 0, v[3:4]
	v_not_b32_e32 v4, v4
	v_ashrrev_i32_e32 v4, 31, v4
	v_xor_b32_e32 v36, vcc_hi, v4
	v_xor_b32_e32 v4, vcc_lo, v4
	v_and_b32_e32 v34, v34, v4
	v_lshlrev_b32_e32 v4, 29, v5
	v_cmp_gt_i64_e32 vcc, 0, v[3:4]
	v_not_b32_e32 v4, v4
	v_and_b32_e32 v6, exec_hi, v6
	v_ashrrev_i32_e32 v4, 31, v4
	v_and_b32_e32 v6, v6, v36
	v_xor_b32_e32 v36, vcc_hi, v4
	v_xor_b32_e32 v4, vcc_lo, v4
	v_and_b32_e32 v34, v34, v4
	v_lshlrev_b32_e32 v4, 28, v5
	v_cmp_gt_i64_e32 vcc, 0, v[3:4]
	v_not_b32_e32 v4, v4
	v_ashrrev_i32_e32 v4, 31, v4
	v_and_b32_e32 v6, v6, v36
	v_xor_b32_e32 v36, vcc_hi, v4
	v_xor_b32_e32 v4, vcc_lo, v4
	v_and_b32_e32 v34, v34, v4
	v_lshlrev_b32_e32 v4, 27, v5
	v_cmp_gt_i64_e32 vcc, 0, v[3:4]
	v_not_b32_e32 v4, v4
	;; [unrolled: 8-line block ×5, first 2 shown]
	v_ashrrev_i32_e32 v3, 31, v3
	v_xor_b32_e32 v4, vcc_hi, v3
	v_xor_b32_e32 v3, vcc_lo, v3
	ds_read_b32 v31, v8 offset:32
	v_and_b32_e32 v6, v6, v36
	v_and_b32_e32 v3, v34, v3
	;; [unrolled: 1-line block ×3, first 2 shown]
	v_mbcnt_lo_u32_b32 v5, v3, 0
	v_mbcnt_hi_u32_b32 v34, v4, v5
	v_cmp_ne_u64_e32 vcc, 0, v[3:4]
	v_cmp_eq_u32_e64 s[22:23], 0, v34
	s_and_b64 s[26:27], vcc, s[22:23]
	; wave barrier
	s_and_saveexec_b64 s[22:23], s[26:27]
	s_cbranch_execz .LBB914_29
; %bb.28:
	v_bcnt_u32_b32 v3, v3, 0
	v_bcnt_u32_b32 v3, v4, v3
	s_waitcnt lgkmcnt(0)
	v_add_u32_e32 v3, v31, v3
	ds_write_b32 v8, v3 offset:32
.LBB914_29:
	s_or_b64 exec, exec, s[22:23]
	v_xor_b32_e32 v9, 0x80000000, v9
	v_lshrrev_b32_e32 v3, s44, v9
	v_and_b32_e32 v5, s54, v3
	v_mul_lo_u32 v3, v5, 36
	v_and_b32_e32 v4, 1, v5
	v_add_co_u32_e32 v6, vcc, -1, v4
	v_addc_co_u32_e64 v38, s[22:23], 0, -1, vcc
	v_cmp_ne_u32_e32 vcc, 0, v4
	v_xor_b32_e32 v4, vcc_hi, v38
	v_add_u32_e32 v46, v39, v3
	v_mov_b32_e32 v3, 0
	v_and_b32_e32 v38, exec_hi, v4
	v_lshlrev_b32_e32 v4, 30, v5
	v_xor_b32_e32 v6, vcc_lo, v6
	v_cmp_gt_i64_e32 vcc, 0, v[3:4]
	v_not_b32_e32 v4, v4
	v_ashrrev_i32_e32 v4, 31, v4
	v_and_b32_e32 v6, exec_lo, v6
	v_xor_b32_e32 v41, vcc_hi, v4
	v_xor_b32_e32 v4, vcc_lo, v4
	v_and_b32_e32 v6, v6, v4
	v_lshlrev_b32_e32 v4, 29, v5
	v_cmp_gt_i64_e32 vcc, 0, v[3:4]
	v_not_b32_e32 v4, v4
	v_ashrrev_i32_e32 v4, 31, v4
	v_and_b32_e32 v38, v38, v41
	v_xor_b32_e32 v41, vcc_hi, v4
	v_xor_b32_e32 v4, vcc_lo, v4
	v_and_b32_e32 v6, v6, v4
	v_lshlrev_b32_e32 v4, 28, v5
	v_cmp_gt_i64_e32 vcc, 0, v[3:4]
	v_not_b32_e32 v4, v4
	v_ashrrev_i32_e32 v4, 31, v4
	v_and_b32_e32 v38, v38, v41
	;; [unrolled: 8-line block ×5, first 2 shown]
	v_xor_b32_e32 v41, vcc_hi, v4
	v_xor_b32_e32 v4, vcc_lo, v4
	v_and_b32_e32 v6, v6, v4
	v_lshlrev_b32_e32 v4, 24, v5
	v_cmp_gt_i64_e32 vcc, 0, v[3:4]
	v_not_b32_e32 v4, v4
	v_ashrrev_i32_e32 v4, 31, v4
	v_xor_b32_e32 v5, vcc_hi, v4
	v_xor_b32_e32 v4, vcc_lo, v4
	; wave barrier
	ds_read_b32 v36, v46 offset:32
	v_and_b32_e32 v38, v38, v41
	v_and_b32_e32 v4, v6, v4
	;; [unrolled: 1-line block ×3, first 2 shown]
	v_mbcnt_lo_u32_b32 v6, v4, 0
	v_mbcnt_hi_u32_b32 v38, v5, v6
	v_cmp_ne_u64_e32 vcc, 0, v[4:5]
	v_cmp_eq_u32_e64 s[22:23], 0, v38
	s_and_b64 s[26:27], vcc, s[22:23]
	; wave barrier
	s_and_saveexec_b64 s[22:23], s[26:27]
	s_cbranch_execz .LBB914_31
; %bb.30:
	v_bcnt_u32_b32 v4, v4, 0
	v_bcnt_u32_b32 v4, v5, v4
	s_waitcnt lgkmcnt(0)
	v_add_u32_e32 v4, v36, v4
	ds_write_b32 v46, v4 offset:32
.LBB914_31:
	s_or_b64 exec, exec, s[22:23]
	v_xor_b32_e32 v10, 0x80000000, v10
	v_lshrrev_b32_e32 v4, s44, v10
	v_and_b32_e32 v5, s54, v4
	v_mul_lo_u32 v4, v5, 36
	v_and_b32_e32 v6, 1, v5
	; wave barrier
	v_add_u32_e32 v47, v39, v4
	v_add_co_u32_e32 v4, vcc, -1, v6
	v_addc_co_u32_e64 v41, s[22:23], 0, -1, vcc
	v_cmp_ne_u32_e32 vcc, 0, v6
	v_xor_b32_e32 v4, vcc_lo, v4
	v_xor_b32_e32 v6, vcc_hi, v41
	v_and_b32_e32 v41, exec_lo, v4
	v_lshlrev_b32_e32 v4, 30, v5
	v_cmp_gt_i64_e32 vcc, 0, v[3:4]
	v_not_b32_e32 v4, v4
	v_ashrrev_i32_e32 v4, 31, v4
	v_xor_b32_e32 v42, vcc_hi, v4
	v_xor_b32_e32 v4, vcc_lo, v4
	v_and_b32_e32 v41, v41, v4
	v_lshlrev_b32_e32 v4, 29, v5
	v_cmp_gt_i64_e32 vcc, 0, v[3:4]
	v_not_b32_e32 v4, v4
	v_and_b32_e32 v6, exec_hi, v6
	v_ashrrev_i32_e32 v4, 31, v4
	v_and_b32_e32 v6, v6, v42
	v_xor_b32_e32 v42, vcc_hi, v4
	v_xor_b32_e32 v4, vcc_lo, v4
	v_and_b32_e32 v41, v41, v4
	v_lshlrev_b32_e32 v4, 28, v5
	v_cmp_gt_i64_e32 vcc, 0, v[3:4]
	v_not_b32_e32 v4, v4
	v_ashrrev_i32_e32 v4, 31, v4
	v_and_b32_e32 v6, v6, v42
	v_xor_b32_e32 v42, vcc_hi, v4
	v_xor_b32_e32 v4, vcc_lo, v4
	v_and_b32_e32 v41, v41, v4
	v_lshlrev_b32_e32 v4, 27, v5
	v_cmp_gt_i64_e32 vcc, 0, v[3:4]
	v_not_b32_e32 v4, v4
	;; [unrolled: 8-line block ×5, first 2 shown]
	v_ashrrev_i32_e32 v3, 31, v3
	v_xor_b32_e32 v4, vcc_hi, v3
	v_xor_b32_e32 v3, vcc_lo, v3
	ds_read_b32 v39, v47 offset:32
	v_and_b32_e32 v6, v6, v42
	v_and_b32_e32 v3, v41, v3
	;; [unrolled: 1-line block ×3, first 2 shown]
	v_mbcnt_lo_u32_b32 v5, v3, 0
	v_mbcnt_hi_u32_b32 v41, v4, v5
	v_cmp_ne_u64_e32 vcc, 0, v[3:4]
	v_cmp_eq_u32_e64 s[22:23], 0, v41
	s_and_b64 s[26:27], vcc, s[22:23]
	; wave barrier
	s_and_saveexec_b64 s[22:23], s[26:27]
	s_cbranch_execz .LBB914_33
; %bb.32:
	v_bcnt_u32_b32 v3, v3, 0
	v_bcnt_u32_b32 v3, v4, v3
	s_waitcnt lgkmcnt(0)
	v_add_u32_e32 v3, v39, v3
	ds_write_b32 v47, v3 offset:32
.LBB914_33:
	s_or_b64 exec, exec, s[22:23]
	; wave barrier
	s_waitcnt lgkmcnt(0)
	s_barrier
	ds_read2_b32 v[5:6], v18 offset0:8 offset1:9
	ds_read2_b32 v[3:4], v18 offset0:10 offset1:11
	ds_read_b32 v42, v18 offset:48
	s_waitcnt lgkmcnt(1)
	v_add3_u32 v43, v6, v5, v3
	s_waitcnt lgkmcnt(0)
	v_add3_u32 v42, v43, v4, v42
	v_and_b32_e32 v43, 15, v17
	v_cmp_ne_u32_e32 vcc, 0, v43
	v_mov_b32_dpp v44, v42 row_shr:1 row_mask:0xf bank_mask:0xf
	v_cndmask_b32_e32 v44, 0, v44, vcc
	v_add_u32_e32 v42, v44, v42
	v_cmp_lt_u32_e32 vcc, 1, v43
	s_nop 0
	v_mov_b32_dpp v44, v42 row_shr:2 row_mask:0xf bank_mask:0xf
	v_cndmask_b32_e32 v44, 0, v44, vcc
	v_add_u32_e32 v42, v42, v44
	v_cmp_lt_u32_e32 vcc, 3, v43
	s_nop 0
	;; [unrolled: 5-line block ×3, first 2 shown]
	v_mov_b32_dpp v44, v42 row_shr:8 row_mask:0xf bank_mask:0xf
	v_cndmask_b32_e32 v43, 0, v44, vcc
	v_add_u32_e32 v42, v42, v43
	v_bfe_i32 v44, v17, 4, 1
	v_cmp_lt_u32_e32 vcc, 31, v17
	v_mov_b32_dpp v43, v42 row_bcast:15 row_mask:0xf bank_mask:0xf
	v_and_b32_e32 v43, v44, v43
	v_add_u32_e32 v42, v42, v43
	v_or_b32_e32 v44, 63, v0
	s_nop 0
	v_mov_b32_dpp v43, v42 row_bcast:31 row_mask:0xf bank_mask:0xf
	v_cndmask_b32_e32 v43, 0, v43, vcc
	v_add_u32_e32 v42, v42, v43
	v_lshrrev_b32_e32 v43, 6, v0
	v_cmp_eq_u32_e32 vcc, v0, v44
	s_and_saveexec_b64 s[22:23], vcc
; %bb.34:
	v_lshlrev_b32_e32 v44, 2, v43
	ds_write_b32 v44, v42
; %bb.35:
	s_or_b64 exec, exec, s[22:23]
	v_cmp_gt_u32_e32 vcc, 8, v0
	s_waitcnt lgkmcnt(0)
	s_barrier
	s_and_saveexec_b64 s[26:27], vcc
	s_cbranch_execz .LBB914_37
; %bb.36:
	v_lshlrev_b32_e32 v44, 2, v0
	ds_read_b32 v45, v44
	v_and_b32_e32 v48, 7, v17
	v_cmp_ne_u32_e32 vcc, 0, v48
	v_cmp_lt_u32_e64 s[22:23], 1, v48
	s_waitcnt lgkmcnt(0)
	v_mov_b32_dpp v49, v45 row_shr:1 row_mask:0xf bank_mask:0xf
	v_cndmask_b32_e32 v49, 0, v49, vcc
	v_add_u32_e32 v45, v49, v45
	v_cmp_lt_u32_e32 vcc, 3, v48
	s_nop 0
	v_mov_b32_dpp v49, v45 row_shr:2 row_mask:0xf bank_mask:0xf
	v_cndmask_b32_e64 v49, 0, v49, s[22:23]
	v_add_u32_e32 v45, v45, v49
	s_nop 1
	v_mov_b32_dpp v49, v45 row_shr:4 row_mask:0xf bank_mask:0xf
	v_cndmask_b32_e32 v48, 0, v49, vcc
	v_add_u32_e32 v45, v45, v48
	ds_write_b32 v44, v45
.LBB914_37:
	s_or_b64 exec, exec, s[26:27]
	v_cmp_lt_u32_e32 vcc, 63, v0
	v_mov_b32_e32 v44, 0
	s_waitcnt lgkmcnt(0)
	s_barrier
	s_and_saveexec_b64 s[22:23], vcc
; %bb.38:
	v_lshl_add_u32 v43, v43, 2, -4
	ds_read_b32 v44, v43
; %bb.39:
	s_or_b64 exec, exec, s[22:23]
	v_subrev_co_u32_e32 v43, vcc, 1, v17
	v_and_b32_e32 v45, 64, v17
	v_cmp_lt_i32_e64 s[22:23], v43, v45
	v_cndmask_b32_e64 v17, v43, v17, s[22:23]
	s_waitcnt lgkmcnt(0)
	v_add_u32_e32 v42, v44, v42
	v_lshlrev_b32_e32 v17, 2, v17
	ds_bpermute_b32 v17, v17, v42
	s_movk_i32 s22, 0xff
	s_movk_i32 s26, 0x100
	v_cmp_lt_u32_e64 s[22:23], s22, v0
	s_waitcnt lgkmcnt(0)
	v_cndmask_b32_e32 v17, v17, v44, vcc
	v_cmp_ne_u32_e32 vcc, 0, v0
	v_cndmask_b32_e32 v17, 0, v17, vcc
	v_add_u32_e32 v5, v17, v5
	v_add_u32_e32 v6, v5, v6
	;; [unrolled: 1-line block ×4, first 2 shown]
	ds_write2_b32 v18, v17, v5 offset0:8 offset1:9
	ds_write2_b32 v18, v6, v3 offset0:10 offset1:11
	ds_write_b32 v18, v4 offset:48
	s_waitcnt lgkmcnt(0)
	s_barrier
	ds_read_b32 v17, v32 offset:32
	ds_read_b32 v42, v33 offset:32
	;; [unrolled: 1-line block ×8, first 2 shown]
	v_cmp_gt_u32_e32 vcc, s26, v0
                                        ; implicit-def: $vgpr32
                                        ; implicit-def: $vgpr33
	s_and_saveexec_b64 s[48:49], vcc
	s_cbranch_execz .LBB914_43
; %bb.40:
	v_mul_u32_u24_e32 v3, 36, v0
	ds_read_b32 v32, v3 offset:32
	v_add_u32_e32 v4, 1, v0
	v_cmp_ne_u32_e64 s[26:27], s26, v4
	v_mov_b32_e32 v3, 0x1000
	s_and_saveexec_b64 s[50:51], s[26:27]
; %bb.41:
	v_mul_u32_u24_e32 v3, 36, v4
	ds_read_b32 v3, v3 offset:32
; %bb.42:
	s_or_b64 exec, exec, s[50:51]
	s_waitcnt lgkmcnt(0)
	v_sub_u32_e32 v33, v3, v32
.LBB914_43:
	s_or_b64 exec, exec, s[48:49]
	v_mov_b32_e32 v4, 0
	v_lshlrev_b32_e32 v37, 2, v0
	s_waitcnt lgkmcnt(0)
	s_barrier
	s_and_saveexec_b64 s[26:27], vcc
	s_cbranch_execz .LBB914_53
; %bb.44:
	v_lshl_add_u32 v3, s6, 8, v0
	v_lshlrev_b64 v[5:6], 2, v[3:4]
	v_mov_b32_e32 v18, s35
	v_add_co_u32_e32 v5, vcc, s34, v5
	v_addc_co_u32_e32 v6, vcc, v18, v6, vcc
	v_or_b32_e32 v3, 2.0, v33
	s_mov_b64 s[48:49], 0
	s_brev_b32 s55, -4
	s_mov_b32 s56, s6
	v_mov_b32_e32 v48, 0
	global_store_dword v[5:6], v3, off
                                        ; implicit-def: $sgpr50_sgpr51
	s_branch .LBB914_47
.LBB914_45:                             ;   in Loop: Header=BB914_47 Depth=1
	s_or_b64 exec, exec, s[52:53]
.LBB914_46:                             ;   in Loop: Header=BB914_47 Depth=1
	s_or_b64 exec, exec, s[50:51]
	v_and_b32_e32 v7, 0x3fffffff, v3
	v_add_u32_e32 v48, v7, v48
	v_cmp_gt_i32_e64 s[50:51], -2.0, v3
	s_and_b64 s[52:53], exec, s[50:51]
	s_or_b64 s[48:49], s[52:53], s[48:49]
	s_andn2_b64 exec, exec, s[48:49]
	s_cbranch_execz .LBB914_52
.LBB914_47:                             ; =>This Loop Header: Depth=1
                                        ;     Child Loop BB914_50 Depth 2
	s_or_b64 s[50:51], s[50:51], exec
	s_cmp_eq_u32 s56, 0
	s_cbranch_scc1 .LBB914_51
; %bb.48:                               ;   in Loop: Header=BB914_47 Depth=1
	s_add_i32 s56, s56, -1
	v_lshl_or_b32 v3, s56, 8, v0
	v_lshlrev_b64 v[7:8], 2, v[3:4]
	v_add_co_u32_e32 v7, vcc, s34, v7
	v_addc_co_u32_e32 v8, vcc, v18, v8, vcc
	global_load_dword v3, v[7:8], off glc
	s_waitcnt vmcnt(0)
	v_cmp_gt_u32_e32 vcc, 2.0, v3
	s_and_saveexec_b64 s[50:51], vcc
	s_cbranch_execz .LBB914_46
; %bb.49:                               ;   in Loop: Header=BB914_47 Depth=1
	s_mov_b64 s[52:53], 0
.LBB914_50:                             ;   Parent Loop BB914_47 Depth=1
                                        ; =>  This Inner Loop Header: Depth=2
	global_load_dword v3, v[7:8], off glc
	s_waitcnt vmcnt(0)
	v_cmp_lt_u32_e32 vcc, s55, v3
	s_or_b64 s[52:53], vcc, s[52:53]
	s_andn2_b64 exec, exec, s[52:53]
	s_cbranch_execnz .LBB914_50
	s_branch .LBB914_45
.LBB914_51:                             ;   in Loop: Header=BB914_47 Depth=1
                                        ; implicit-def: $sgpr56
	s_and_b64 s[52:53], exec, s[50:51]
	s_or_b64 s[48:49], s[52:53], s[48:49]
	s_andn2_b64 exec, exec, s[48:49]
	s_cbranch_execnz .LBB914_47
.LBB914_52:
	s_or_b64 exec, exec, s[48:49]
	v_add_u32_e32 v3, v48, v33
	v_or_b32_e32 v3, 0x80000000, v3
	global_store_dword v[5:6], v3, off
	global_load_dword v3, v37, s[28:29]
	v_sub_u32_e32 v4, v48, v32
	s_waitcnt vmcnt(0)
	v_add_u32_e32 v3, v4, v3
	ds_write_b32 v37, v3
.LBB914_53:
	s_or_b64 exec, exec, s[26:27]
	v_add_u32_e32 v48, v17, v19
	v_add3_u32 v5, v24, v23, v42
	v_add3_u32 v6, v26, v25, v43
	;; [unrolled: 1-line block ×7, first 2 shown]
	s_mov_b32 s50, 16
	s_mov_b32 s55, 0
	s_mov_b64 s[26:27], -1
	v_mov_b32_e32 v4, 0
	s_movk_i32 s51, 0x200
	s_movk_i32 s52, 0x400
	;; [unrolled: 1-line block ×3, first 2 shown]
	v_mov_b32_e32 v49, v48
	v_mov_b32_e32 v50, v0
	s_branch .LBB914_55
.LBB914_54:                             ;   in Loop: Header=BB914_55 Depth=1
	s_or_b64 exec, exec, s[48:49]
	s_xor_b64 s[48:49], s[26:27], -1
	v_add_u32_e32 v50, 0x800, v50
	v_add_u32_e32 v19, 0xfffff800, v19
	;; [unrolled: 1-line block ×9, first 2 shown]
	s_mov_b64 s[26:27], 0
	s_and_b64 vcc, exec, s[48:49]
	s_mov_b32 s55, s50
	s_waitcnt vmcnt(0)
	s_barrier
	s_cbranch_vccnz .LBB914_63
.LBB914_55:                             ; =>This Inner Loop Header: Depth=1
	v_min_u32_e32 v3, 0x800, v49
	v_lshlrev_b32_e32 v3, 2, v3
	ds_write_b32 v3, v16 offset:1024
	v_min_u32_e32 v3, 0x800, v5
	v_lshlrev_b32_e32 v3, 2, v3
	ds_write_b32 v3, v13 offset:1024
	;; [unrolled: 3-line block ×7, first 2 shown]
	v_min_u32_e32 v3, 0x800, v19
	v_lshlrev_b32_e32 v3, 2, v3
	v_cmp_gt_u32_e32 vcc, s7, v50
	ds_write_b32 v3, v10 offset:1024
	s_waitcnt lgkmcnt(0)
	s_barrier
	s_and_saveexec_b64 s[48:49], vcc
	s_cbranch_execz .LBB914_57
; %bb.56:                               ;   in Loop: Header=BB914_55 Depth=1
	ds_read_b32 v3, v37 offset:1024
	v_mov_b32_e32 v54, s39
	v_mov_b32_e32 v55, s55
	s_waitcnt lgkmcnt(0)
	v_lshrrev_b32_e32 v51, s44, v3
	v_and_b32_e32 v53, s54, v51
	v_lshlrev_b32_e32 v51, 2, v53
	ds_read_b32 v51, v51
	v_xor_b32_e32 v56, 0x80000000, v3
	buffer_store_dword v53, v55, s[0:3], 0 offen
	s_waitcnt lgkmcnt(0)
	v_add_u32_e32 v3, v50, v51
	v_lshlrev_b64 v[51:52], 2, v[3:4]
	v_add_co_u32_e32 v51, vcc, s38, v51
	v_addc_co_u32_e32 v52, vcc, v54, v52, vcc
	global_store_dword v[51:52], v56, off
.LBB914_57:                             ;   in Loop: Header=BB914_55 Depth=1
	s_or_b64 exec, exec, s[48:49]
	v_add_u32_e32 v3, 0x200, v50
	v_cmp_gt_u32_e32 vcc, s7, v3
	s_and_saveexec_b64 s[48:49], vcc
	s_cbranch_execz .LBB914_59
; %bb.58:                               ;   in Loop: Header=BB914_55 Depth=1
	ds_read_b32 v3, v37 offset:3072
	v_mov_b32_e32 v54, s39
	v_mov_b32_e32 v55, s55
	s_waitcnt lgkmcnt(0)
	v_lshrrev_b32_e32 v51, s44, v3
	v_and_b32_e32 v53, s54, v51
	v_lshlrev_b32_e32 v51, 2, v53
	ds_read_b32 v51, v51
	v_xor_b32_e32 v56, 0x80000000, v3
	buffer_store_dword v53, v55, s[0:3], 0 offen offset:4
	s_waitcnt lgkmcnt(0)
	v_add3_u32 v3, v50, v51, s51
	v_lshlrev_b64 v[51:52], 2, v[3:4]
	v_add_co_u32_e32 v51, vcc, s38, v51
	v_addc_co_u32_e32 v52, vcc, v54, v52, vcc
	global_store_dword v[51:52], v56, off
.LBB914_59:                             ;   in Loop: Header=BB914_55 Depth=1
	s_or_b64 exec, exec, s[48:49]
	v_add_u32_e32 v3, 0x400, v50
	v_cmp_gt_u32_e32 vcc, s7, v3
	s_and_saveexec_b64 s[48:49], vcc
	s_cbranch_execz .LBB914_61
; %bb.60:                               ;   in Loop: Header=BB914_55 Depth=1
	ds_read_b32 v3, v37 offset:5120
	v_mov_b32_e32 v54, s39
	v_mov_b32_e32 v55, s55
	s_waitcnt lgkmcnt(0)
	v_lshrrev_b32_e32 v51, s44, v3
	v_and_b32_e32 v53, s54, v51
	v_lshlrev_b32_e32 v51, 2, v53
	ds_read_b32 v51, v51
	v_xor_b32_e32 v56, 0x80000000, v3
	buffer_store_dword v53, v55, s[0:3], 0 offen offset:8
	s_waitcnt lgkmcnt(0)
	v_add3_u32 v3, v50, v51, s52
	v_lshlrev_b64 v[51:52], 2, v[3:4]
	v_add_co_u32_e32 v51, vcc, s38, v51
	v_addc_co_u32_e32 v52, vcc, v54, v52, vcc
	global_store_dword v[51:52], v56, off
.LBB914_61:                             ;   in Loop: Header=BB914_55 Depth=1
	s_or_b64 exec, exec, s[48:49]
	v_add_u32_e32 v3, 0x600, v50
	v_cmp_gt_u32_e32 vcc, s7, v3
	s_and_saveexec_b64 s[48:49], vcc
	s_cbranch_execz .LBB914_54
; %bb.62:                               ;   in Loop: Header=BB914_55 Depth=1
	ds_read_b32 v3, v37 offset:7168
	v_mov_b32_e32 v54, s39
	v_mov_b32_e32 v55, s55
	s_waitcnt lgkmcnt(0)
	v_lshrrev_b32_e32 v51, s44, v3
	v_and_b32_e32 v53, s54, v51
	v_lshlrev_b32_e32 v51, 2, v53
	ds_read_b32 v51, v51
	v_xor_b32_e32 v56, 0x80000000, v3
	buffer_store_dword v53, v55, s[0:3], 0 offen offset:12
	s_waitcnt lgkmcnt(0)
	v_add3_u32 v3, v50, v51, s53
	v_lshlrev_b64 v[51:52], 2, v[3:4]
	v_add_co_u32_e32 v51, vcc, s38, v51
	v_addc_co_u32_e32 v52, vcc, v54, v52, vcc
	global_store_dword v[51:52], v56, off
	s_branch .LBB914_54
.LBB914_63:
	s_lshl_b64 s[26:27], s[46:47], 3
	s_add_u32 s26, s40, s26
	s_addc_u32 s27, s41, s27
	v_lshlrev_b32_e32 v3, 3, v15
	v_mov_b32_e32 v4, s27
	v_add_co_u32_e32 v3, vcc, s26, v3
	v_addc_co_u32_e32 v4, vcc, 0, v4, vcc
	v_lshlrev_b32_e32 v5, 3, v14
	v_add_co_u32_e32 v19, vcc, v3, v5
	v_addc_co_u32_e32 v20, vcc, 0, v4, vcc
                                        ; implicit-def: $vgpr3_vgpr4
	s_and_saveexec_b64 s[26:27], s[24:25]
	s_cbranch_execz .LBB914_71
; %bb.64:
	global_load_dwordx2 v[3:4], v[19:20], off
	s_or_b64 exec, exec, s[26:27]
                                        ; implicit-def: $vgpr5_vgpr6
	s_and_saveexec_b64 s[24:25], s[8:9]
	s_cbranch_execnz .LBB914_72
.LBB914_65:
	s_or_b64 exec, exec, s[24:25]
                                        ; implicit-def: $vgpr7_vgpr8
	s_and_saveexec_b64 s[8:9], s[10:11]
	s_cbranch_execz .LBB914_73
.LBB914_66:
	global_load_dwordx2 v[7:8], v[19:20], off offset:1024
	s_or_b64 exec, exec, s[8:9]
                                        ; implicit-def: $vgpr9_vgpr10
	s_and_saveexec_b64 s[8:9], s[12:13]
	s_cbranch_execnz .LBB914_74
.LBB914_67:
	s_or_b64 exec, exec, s[8:9]
                                        ; implicit-def: $vgpr11_vgpr12
	s_and_saveexec_b64 s[8:9], s[14:15]
	s_cbranch_execz .LBB914_75
.LBB914_68:
	global_load_dwordx2 v[11:12], v[19:20], off offset:2048
	s_or_b64 exec, exec, s[8:9]
                                        ; implicit-def: $vgpr13_vgpr14
	s_and_saveexec_b64 s[8:9], s[16:17]
	s_cbranch_execnz .LBB914_76
.LBB914_69:
	s_or_b64 exec, exec, s[8:9]
                                        ; implicit-def: $vgpr15_vgpr16
	s_and_saveexec_b64 s[8:9], s[18:19]
	s_cbranch_execz .LBB914_77
.LBB914_70:
	global_load_dwordx2 v[15:16], v[19:20], off offset:3072
	s_or_b64 exec, exec, s[8:9]
                                        ; implicit-def: $vgpr17_vgpr18
	s_and_saveexec_b64 s[8:9], s[20:21]
	s_cbranch_execnz .LBB914_78
	s_branch .LBB914_79
.LBB914_71:
	s_or_b64 exec, exec, s[26:27]
                                        ; implicit-def: $vgpr5_vgpr6
	s_and_saveexec_b64 s[24:25], s[8:9]
	s_cbranch_execz .LBB914_65
.LBB914_72:
	global_load_dwordx2 v[5:6], v[19:20], off offset:512
	s_or_b64 exec, exec, s[24:25]
                                        ; implicit-def: $vgpr7_vgpr8
	s_and_saveexec_b64 s[8:9], s[10:11]
	s_cbranch_execnz .LBB914_66
.LBB914_73:
	s_or_b64 exec, exec, s[8:9]
                                        ; implicit-def: $vgpr9_vgpr10
	s_and_saveexec_b64 s[8:9], s[12:13]
	s_cbranch_execz .LBB914_67
.LBB914_74:
	global_load_dwordx2 v[9:10], v[19:20], off offset:1536
	s_or_b64 exec, exec, s[8:9]
                                        ; implicit-def: $vgpr11_vgpr12
	s_and_saveexec_b64 s[8:9], s[14:15]
	s_cbranch_execnz .LBB914_68
.LBB914_75:
	s_or_b64 exec, exec, s[8:9]
                                        ; implicit-def: $vgpr13_vgpr14
	s_and_saveexec_b64 s[8:9], s[16:17]
	s_cbranch_execz .LBB914_69
.LBB914_76:
	global_load_dwordx2 v[13:14], v[19:20], off offset:2560
	s_or_b64 exec, exec, s[8:9]
                                        ; implicit-def: $vgpr15_vgpr16
	s_and_saveexec_b64 s[8:9], s[18:19]
	s_cbranch_execnz .LBB914_70
.LBB914_77:
	s_or_b64 exec, exec, s[8:9]
                                        ; implicit-def: $vgpr17_vgpr18
	s_and_saveexec_b64 s[8:9], s[20:21]
	s_cbranch_execz .LBB914_79
.LBB914_78:
	global_load_dwordx2 v[17:18], v[19:20], off offset:3584
.LBB914_79:
	s_or_b64 exec, exec, s[8:9]
	v_add3_u32 v35, v41, v47, v39
	v_add3_u32 v36, v38, v46, v36
	;; [unrolled: 1-line block ×7, first 2 shown]
	s_mov_b32 s10, 0
	s_mov_b32 s11, 0
	v_mov_b32_e32 v20, 0
	s_movk_i32 s12, 0x200
	v_mov_b32_e32 v24, v0
	s_branch .LBB914_81
.LBB914_80:                             ;   in Loop: Header=BB914_81 Depth=1
	s_or_b64 exec, exec, s[8:9]
	s_addk_i32 s11, 0xfc00
	s_add_i32 s10, s10, 8
	s_cmpk_eq_i32 s11, 0xf000
	v_add_u32_e32 v24, 0x400, v24
	s_waitcnt vmcnt(0)
	s_barrier
	s_cbranch_scc1 .LBB914_85
.LBB914_81:                             ; =>This Inner Loop Header: Depth=1
	v_add_u32_e32 v19, s11, v48
	v_min_u32_e32 v19, 0x400, v19
	v_lshlrev_b32_e32 v19, 3, v19
	s_waitcnt vmcnt(0)
	ds_write_b64 v19, v[3:4] offset:1024
	v_add_u32_e32 v19, s11, v23
	v_min_u32_e32 v19, 0x400, v19
	v_lshlrev_b32_e32 v19, 3, v19
	ds_write_b64 v19, v[5:6] offset:1024
	v_add_u32_e32 v19, s11, v25
	v_min_u32_e32 v19, 0x400, v19
	v_lshlrev_b32_e32 v19, 3, v19
	;; [unrolled: 4-line block ×7, first 2 shown]
	v_cmp_gt_u32_e32 vcc, s7, v24
	ds_write_b64 v19, v[17:18] offset:1024
	s_waitcnt lgkmcnt(0)
	s_barrier
	s_and_saveexec_b64 s[8:9], vcc
	s_cbranch_execz .LBB914_83
; %bb.82:                               ;   in Loop: Header=BB914_81 Depth=1
	v_mov_b32_e32 v19, s10
	buffer_load_dword v19, v19, s[0:3], 0 offen
	v_mov_b32_e32 v26, s43
	s_waitcnt vmcnt(0)
	v_lshlrev_b32_e32 v19, 2, v19
	ds_read_b32 v19, v19
	ds_read_b64 v[38:39], v21 offset:1024
	s_waitcnt lgkmcnt(1)
	v_add_u32_e32 v19, v24, v19
	v_lshlrev_b64 v[40:41], 3, v[19:20]
	v_add_co_u32_e32 v40, vcc, s42, v40
	v_addc_co_u32_e32 v41, vcc, v26, v41, vcc
	s_waitcnt lgkmcnt(0)
	global_store_dwordx2 v[40:41], v[38:39], off
.LBB914_83:                             ;   in Loop: Header=BB914_81 Depth=1
	s_or_b64 exec, exec, s[8:9]
	v_add_u32_e32 v19, 0x200, v24
	v_cmp_gt_u32_e32 vcc, s7, v19
	s_and_saveexec_b64 s[8:9], vcc
	s_cbranch_execz .LBB914_80
; %bb.84:                               ;   in Loop: Header=BB914_81 Depth=1
	v_mov_b32_e32 v19, s10
	buffer_load_dword v19, v19, s[0:3], 0 offen offset:4
	v_mov_b32_e32 v26, s43
	s_waitcnt vmcnt(0)
	v_lshlrev_b32_e32 v19, 2, v19
	ds_read_b32 v19, v19
	ds_read_b64 v[38:39], v21 offset:5120
	s_waitcnt lgkmcnt(1)
	v_add3_u32 v19, v24, v19, s12
	v_lshlrev_b64 v[40:41], 3, v[19:20]
	v_add_co_u32_e32 v40, vcc, s42, v40
	v_addc_co_u32_e32 v41, vcc, v26, v41, vcc
	s_waitcnt lgkmcnt(0)
	global_store_dwordx2 v[40:41], v[38:39], off
	s_branch .LBB914_80
.LBB914_85:
	s_add_i32 s33, s33, -1
	s_cmp_eq_u32 s6, s33
	s_cselect_b64 s[8:9], -1, 0
	s_xor_b64 s[10:11], s[22:23], -1
	s_and_b64 s[10:11], s[10:11], s[8:9]
	s_and_saveexec_b64 s[8:9], s[10:11]
	s_cbranch_execz .LBB914_87
; %bb.86:
	ds_read_b32 v3, v37
	s_waitcnt lgkmcnt(0)
	v_add3_u32 v3, v32, v33, v3
	global_store_dword v37, v3, s[30:31]
.LBB914_87:
	s_or_b64 exec, exec, s[8:9]
	s_mov_b64 s[8:9], 0
.LBB914_88:
	s_and_b64 vcc, exec, s[8:9]
	s_cbranch_vccz .LBB914_131
; %bb.89:
	s_lshl_b32 s10, s6, 12
	s_mov_b32 s11, 0
	s_lshl_b64 s[8:9], s[10:11], 2
	v_mbcnt_hi_u32_b32 v5, -1, v22
	s_add_u32 s7, s36, s8
	v_and_b32_e32 v8, 63, v5
	s_addc_u32 s8, s37, s9
	v_lshlrev_b32_e32 v3, 2, v8
	v_and_b32_e32 v7, 0xe00, v21
	v_mov_b32_e32 v4, s8
	v_add_co_u32_e32 v3, vcc, s7, v3
	v_addc_co_u32_e32 v4, vcc, 0, v4, vcc
	v_lshlrev_b32_e32 v6, 2, v7
	v_add_co_u32_e32 v12, vcc, v3, v6
	v_addc_co_u32_e32 v13, vcc, 0, v4, vcc
	global_load_dword v4, v[12:13], off
	s_load_dword s8, s[4:5], 0x64
	s_load_dword s7, s[4:5], 0x58
	s_add_u32 s4, s4, 0x58
	s_addc_u32 s5, s5, 0
	v_mov_b32_e32 v3, 0
	s_waitcnt lgkmcnt(0)
	s_lshr_b32 s12, s8, 16
	s_cmp_lt_u32 s6, s7
	s_cselect_b32 s8, 12, 18
	s_add_u32 s4, s4, s8
	s_addc_u32 s5, s5, 0
	global_load_ushort v6, v3, s[4:5]
	global_load_dword v10, v[12:13], off offset:256
	global_load_dword v11, v[12:13], off offset:512
	;; [unrolled: 1-line block ×7, first 2 shown]
	s_lshl_b32 s4, -1, s45
	s_not_b32 s18, s4
	v_mad_u32_u24 v1, v2, s12, v1
	s_waitcnt vmcnt(8)
	v_xor_b32_e32 v9, 0x80000000, v4
	v_lshrrev_b32_e32 v4, s44, v9
	v_and_b32_e32 v15, s18, v4
	v_and_b32_e32 v12, 1, v15
	v_lshlrev_b32_e32 v4, 30, v15
	v_cmp_ne_u32_e32 vcc, 0, v12
	v_add_co_u32_e64 v12, s[8:9], -1, v12
	v_cmp_gt_i64_e64 s[4:5], 0, v[3:4]
	v_addc_co_u32_e64 v13, s[8:9], 0, -1, s[8:9]
	v_not_b32_e32 v16, v4
	v_lshlrev_b32_e32 v4, 29, v15
	v_xor_b32_e32 v13, vcc_hi, v13
	v_ashrrev_i32_e32 v16, 31, v16
	v_xor_b32_e32 v12, vcc_lo, v12
	v_cmp_gt_i64_e32 vcc, 0, v[3:4]
	v_not_b32_e32 v18, v4
	v_lshlrev_b32_e32 v4, 28, v15
	v_and_b32_e32 v13, exec_hi, v13
	v_xor_b32_e32 v19, s5, v16
	v_and_b32_e32 v12, exec_lo, v12
	v_xor_b32_e32 v16, s4, v16
	v_ashrrev_i32_e32 v18, 31, v18
	v_cmp_gt_i64_e64 s[4:5], 0, v[3:4]
	v_not_b32_e32 v20, v4
	v_lshlrev_b32_e32 v4, 27, v15
	v_and_b32_e32 v13, v13, v19
	v_and_b32_e32 v12, v12, v16
	v_xor_b32_e32 v16, vcc_hi, v18
	v_xor_b32_e32 v18, vcc_lo, v18
	v_ashrrev_i32_e32 v19, 31, v20
	v_cmp_gt_i64_e32 vcc, 0, v[3:4]
	v_not_b32_e32 v20, v4
	v_lshlrev_b32_e32 v4, 26, v15
	v_and_b32_e32 v13, v13, v16
	v_and_b32_e32 v12, v12, v18
	v_xor_b32_e32 v16, s5, v19
	v_xor_b32_e32 v18, s4, v19
	v_ashrrev_i32_e32 v19, 31, v20
	v_cmp_gt_i64_e64 s[4:5], 0, v[3:4]
	v_not_b32_e32 v20, v4
	v_lshlrev_b32_e32 v4, 25, v15
	v_and_b32_e32 v13, v13, v16
	v_and_b32_e32 v12, v12, v18
	v_xor_b32_e32 v16, vcc_hi, v19
	v_xor_b32_e32 v18, vcc_lo, v19
	v_ashrrev_i32_e32 v19, 31, v20
	v_cmp_gt_i64_e32 vcc, 0, v[3:4]
	v_not_b32_e32 v4, v4
	v_and_b32_e32 v13, v13, v16
	v_and_b32_e32 v12, v12, v18
	v_xor_b32_e32 v16, s5, v19
	v_xor_b32_e32 v18, s4, v19
	v_ashrrev_i32_e32 v4, 31, v4
	v_and_b32_e32 v13, v13, v16
	v_and_b32_e32 v12, v12, v18
	v_xor_b32_e32 v16, vcc_hi, v4
	v_xor_b32_e32 v4, vcc_lo, v4
	v_and_b32_e32 v18, v12, v4
	v_lshlrev_b32_e32 v4, 24, v15
	v_cmp_gt_i64_e32 vcc, 0, v[3:4]
	v_not_b32_e32 v4, v4
	v_and_b32_e32 v16, v13, v16
	v_ashrrev_i32_e32 v4, 31, v4
	s_waitcnt vmcnt(7)
	v_mad_u64_u32 v[12:13], s[4:5], v1, v6, v[0:1]
	v_xor_b32_e32 v19, vcc_hi, v4
	v_xor_b32_e32 v1, vcc_lo, v4
	v_mul_lo_u32 v4, v15, 36
	v_and_b32_e32 v1, v18, v1
	v_lshrrev_b32_e32 v27, 6, v12
	v_and_b32_e32 v2, v16, v19
	v_lshl_add_u32 v18, v27, 2, v4
	v_mbcnt_lo_u32_b32 v4, v1, 0
	v_mbcnt_hi_u32_b32 v12, v2, v4
	v_cmp_ne_u64_e32 vcc, 0, v[1:2]
	v_cmp_eq_u32_e64 s[4:5], 0, v12
	v_mul_u32_u24_e32 v6, 20, v0
	s_and_b64 s[8:9], vcc, s[4:5]
	ds_write2_b32 v6, v3, v3 offset0:8 offset1:9
	ds_write2_b32 v6, v3, v3 offset0:10 offset1:11
	ds_write_b32 v6, v3 offset:48
	s_waitcnt vmcnt(0) lgkmcnt(0)
	s_barrier
	; wave barrier
	s_and_saveexec_b64 s[4:5], s[8:9]
; %bb.90:
	v_bcnt_u32_b32 v1, v1, 0
	v_bcnt_u32_b32 v1, v2, v1
	ds_write_b32 v18, v1 offset:32
; %bb.91:
	s_or_b64 exec, exec, s[4:5]
	v_xor_b32_e32 v10, 0x80000000, v10
	v_lshrrev_b32_e32 v1, s44, v10
	v_and_b32_e32 v1, s18, v1
	v_mul_lo_u32 v2, v1, 36
	v_and_b32_e32 v4, 1, v1
	; wave barrier
	v_lshl_add_u32 v19, v27, 2, v2
	v_add_co_u32_e32 v2, vcc, -1, v4
	v_addc_co_u32_e64 v15, s[4:5], 0, -1, vcc
	v_cmp_ne_u32_e32 vcc, 0, v4
	v_xor_b32_e32 v4, vcc_hi, v15
	v_and_b32_e32 v15, exec_hi, v4
	v_lshlrev_b32_e32 v4, 30, v1
	v_xor_b32_e32 v2, vcc_lo, v2
	v_cmp_gt_i64_e32 vcc, 0, v[3:4]
	v_not_b32_e32 v4, v4
	v_ashrrev_i32_e32 v4, 31, v4
	v_and_b32_e32 v2, exec_lo, v2
	v_xor_b32_e32 v16, vcc_hi, v4
	v_xor_b32_e32 v4, vcc_lo, v4
	v_and_b32_e32 v2, v2, v4
	v_lshlrev_b32_e32 v4, 29, v1
	v_cmp_gt_i64_e32 vcc, 0, v[3:4]
	v_not_b32_e32 v4, v4
	v_ashrrev_i32_e32 v4, 31, v4
	v_and_b32_e32 v15, v15, v16
	v_xor_b32_e32 v16, vcc_hi, v4
	v_xor_b32_e32 v4, vcc_lo, v4
	v_and_b32_e32 v2, v2, v4
	v_lshlrev_b32_e32 v4, 28, v1
	v_cmp_gt_i64_e32 vcc, 0, v[3:4]
	v_not_b32_e32 v4, v4
	v_ashrrev_i32_e32 v4, 31, v4
	v_and_b32_e32 v15, v15, v16
	;; [unrolled: 8-line block ×5, first 2 shown]
	v_xor_b32_e32 v16, vcc_hi, v4
	v_xor_b32_e32 v4, vcc_lo, v4
	v_and_b32_e32 v15, v15, v16
	v_and_b32_e32 v16, v2, v4
	v_lshlrev_b32_e32 v4, 24, v1
	v_cmp_gt_i64_e32 vcc, 0, v[3:4]
	v_not_b32_e32 v1, v4
	v_ashrrev_i32_e32 v1, 31, v1
	v_xor_b32_e32 v2, vcc_hi, v1
	v_xor_b32_e32 v1, vcc_lo, v1
	ds_read_b32 v13, v19 offset:32
	v_and_b32_e32 v1, v16, v1
	v_and_b32_e32 v2, v15, v2
	v_mbcnt_lo_u32_b32 v3, v1, 0
	v_mbcnt_hi_u32_b32 v15, v2, v3
	v_cmp_ne_u64_e32 vcc, 0, v[1:2]
	v_cmp_eq_u32_e64 s[4:5], 0, v15
	s_and_b64 s[8:9], vcc, s[4:5]
	; wave barrier
	s_and_saveexec_b64 s[4:5], s[8:9]
	s_cbranch_execz .LBB914_93
; %bb.92:
	v_bcnt_u32_b32 v1, v1, 0
	v_bcnt_u32_b32 v1, v2, v1
	s_waitcnt lgkmcnt(0)
	v_add_u32_e32 v1, v13, v1
	ds_write_b32 v19, v1 offset:32
.LBB914_93:
	s_or_b64 exec, exec, s[4:5]
	v_xor_b32_e32 v11, 0x80000000, v11
	v_lshrrev_b32_e32 v1, s44, v11
	v_and_b32_e32 v3, s18, v1
	v_mul_lo_u32 v1, v3, 36
	v_and_b32_e32 v2, 1, v3
	v_add_co_u32_e32 v4, vcc, -1, v2
	v_addc_co_u32_e64 v20, s[4:5], 0, -1, vcc
	v_cmp_ne_u32_e32 vcc, 0, v2
	v_xor_b32_e32 v2, vcc_hi, v20
	v_lshl_add_u32 v25, v27, 2, v1
	v_mov_b32_e32 v1, 0
	v_and_b32_e32 v20, exec_hi, v2
	v_lshlrev_b32_e32 v2, 30, v3
	v_xor_b32_e32 v4, vcc_lo, v4
	v_cmp_gt_i64_e32 vcc, 0, v[1:2]
	v_not_b32_e32 v2, v2
	v_ashrrev_i32_e32 v2, 31, v2
	v_and_b32_e32 v4, exec_lo, v4
	v_xor_b32_e32 v22, vcc_hi, v2
	v_xor_b32_e32 v2, vcc_lo, v2
	v_and_b32_e32 v4, v4, v2
	v_lshlrev_b32_e32 v2, 29, v3
	v_cmp_gt_i64_e32 vcc, 0, v[1:2]
	v_not_b32_e32 v2, v2
	v_ashrrev_i32_e32 v2, 31, v2
	v_and_b32_e32 v20, v20, v22
	v_xor_b32_e32 v22, vcc_hi, v2
	v_xor_b32_e32 v2, vcc_lo, v2
	v_and_b32_e32 v4, v4, v2
	v_lshlrev_b32_e32 v2, 28, v3
	v_cmp_gt_i64_e32 vcc, 0, v[1:2]
	v_not_b32_e32 v2, v2
	v_ashrrev_i32_e32 v2, 31, v2
	v_and_b32_e32 v20, v20, v22
	;; [unrolled: 8-line block ×5, first 2 shown]
	v_xor_b32_e32 v22, vcc_hi, v2
	v_xor_b32_e32 v2, vcc_lo, v2
	v_and_b32_e32 v4, v4, v2
	v_lshlrev_b32_e32 v2, 24, v3
	v_cmp_gt_i64_e32 vcc, 0, v[1:2]
	v_not_b32_e32 v2, v2
	v_ashrrev_i32_e32 v2, 31, v2
	v_xor_b32_e32 v3, vcc_hi, v2
	v_xor_b32_e32 v2, vcc_lo, v2
	; wave barrier
	ds_read_b32 v16, v25 offset:32
	v_and_b32_e32 v20, v20, v22
	v_and_b32_e32 v2, v4, v2
	;; [unrolled: 1-line block ×3, first 2 shown]
	v_mbcnt_lo_u32_b32 v4, v2, 0
	v_mbcnt_hi_u32_b32 v20, v3, v4
	v_cmp_ne_u64_e32 vcc, 0, v[2:3]
	v_cmp_eq_u32_e64 s[4:5], 0, v20
	s_and_b64 s[8:9], vcc, s[4:5]
	; wave barrier
	s_and_saveexec_b64 s[4:5], s[8:9]
	s_cbranch_execz .LBB914_95
; %bb.94:
	v_bcnt_u32_b32 v2, v2, 0
	v_bcnt_u32_b32 v2, v3, v2
	s_waitcnt lgkmcnt(0)
	v_add_u32_e32 v2, v16, v2
	ds_write_b32 v25, v2 offset:32
.LBB914_95:
	s_or_b64 exec, exec, s[4:5]
	v_xor_b32_e32 v14, 0x80000000, v14
	v_lshrrev_b32_e32 v2, s44, v14
	v_and_b32_e32 v3, s18, v2
	v_mul_lo_u32 v2, v3, 36
	v_and_b32_e32 v4, 1, v3
	; wave barrier
	v_lshl_add_u32 v30, v27, 2, v2
	v_add_co_u32_e32 v2, vcc, -1, v4
	v_addc_co_u32_e64 v26, s[4:5], 0, -1, vcc
	v_cmp_ne_u32_e32 vcc, 0, v4
	v_xor_b32_e32 v2, vcc_lo, v2
	v_xor_b32_e32 v4, vcc_hi, v26
	v_and_b32_e32 v26, exec_lo, v2
	v_lshlrev_b32_e32 v2, 30, v3
	v_cmp_gt_i64_e32 vcc, 0, v[1:2]
	v_not_b32_e32 v2, v2
	v_ashrrev_i32_e32 v2, 31, v2
	v_xor_b32_e32 v28, vcc_hi, v2
	v_xor_b32_e32 v2, vcc_lo, v2
	v_and_b32_e32 v26, v26, v2
	v_lshlrev_b32_e32 v2, 29, v3
	v_cmp_gt_i64_e32 vcc, 0, v[1:2]
	v_not_b32_e32 v2, v2
	v_and_b32_e32 v4, exec_hi, v4
	v_ashrrev_i32_e32 v2, 31, v2
	v_and_b32_e32 v4, v4, v28
	v_xor_b32_e32 v28, vcc_hi, v2
	v_xor_b32_e32 v2, vcc_lo, v2
	v_and_b32_e32 v26, v26, v2
	v_lshlrev_b32_e32 v2, 28, v3
	v_cmp_gt_i64_e32 vcc, 0, v[1:2]
	v_not_b32_e32 v2, v2
	v_ashrrev_i32_e32 v2, 31, v2
	v_and_b32_e32 v4, v4, v28
	v_xor_b32_e32 v28, vcc_hi, v2
	v_xor_b32_e32 v2, vcc_lo, v2
	v_and_b32_e32 v26, v26, v2
	v_lshlrev_b32_e32 v2, 27, v3
	v_cmp_gt_i64_e32 vcc, 0, v[1:2]
	v_not_b32_e32 v2, v2
	v_ashrrev_i32_e32 v2, 31, v2
	v_and_b32_e32 v4, v4, v28
	v_xor_b32_e32 v28, vcc_hi, v2
	v_xor_b32_e32 v2, vcc_lo, v2
	v_and_b32_e32 v26, v26, v2
	v_lshlrev_b32_e32 v2, 26, v3
	v_cmp_gt_i64_e32 vcc, 0, v[1:2]
	v_not_b32_e32 v2, v2
	v_ashrrev_i32_e32 v2, 31, v2
	v_and_b32_e32 v4, v4, v28
	v_xor_b32_e32 v28, vcc_hi, v2
	v_xor_b32_e32 v2, vcc_lo, v2
	v_and_b32_e32 v26, v26, v2
	v_lshlrev_b32_e32 v2, 25, v3
	v_cmp_gt_i64_e32 vcc, 0, v[1:2]
	v_not_b32_e32 v2, v2
	v_ashrrev_i32_e32 v2, 31, v2
	v_and_b32_e32 v4, v4, v28
	v_xor_b32_e32 v28, vcc_hi, v2
	v_xor_b32_e32 v2, vcc_lo, v2
	v_and_b32_e32 v26, v26, v2
	v_lshlrev_b32_e32 v2, 24, v3
	v_cmp_gt_i64_e32 vcc, 0, v[1:2]
	v_not_b32_e32 v1, v2
	v_ashrrev_i32_e32 v1, 31, v1
	v_xor_b32_e32 v2, vcc_hi, v1
	v_xor_b32_e32 v1, vcc_lo, v1
	ds_read_b32 v22, v30 offset:32
	v_and_b32_e32 v4, v4, v28
	v_and_b32_e32 v1, v26, v1
	;; [unrolled: 1-line block ×3, first 2 shown]
	v_mbcnt_lo_u32_b32 v3, v1, 0
	v_mbcnt_hi_u32_b32 v26, v2, v3
	v_cmp_ne_u64_e32 vcc, 0, v[1:2]
	v_cmp_eq_u32_e64 s[4:5], 0, v26
	s_and_b64 s[8:9], vcc, s[4:5]
	; wave barrier
	s_and_saveexec_b64 s[4:5], s[8:9]
	s_cbranch_execz .LBB914_97
; %bb.96:
	v_bcnt_u32_b32 v1, v1, 0
	v_bcnt_u32_b32 v1, v2, v1
	s_waitcnt lgkmcnt(0)
	v_add_u32_e32 v1, v22, v1
	ds_write_b32 v30, v1 offset:32
.LBB914_97:
	s_or_b64 exec, exec, s[4:5]
	v_xor_b32_e32 v17, 0x80000000, v17
	v_lshrrev_b32_e32 v1, s44, v17
	v_and_b32_e32 v3, s18, v1
	v_mul_lo_u32 v1, v3, 36
	v_and_b32_e32 v2, 1, v3
	v_add_co_u32_e32 v4, vcc, -1, v2
	v_addc_co_u32_e64 v31, s[4:5], 0, -1, vcc
	v_cmp_ne_u32_e32 vcc, 0, v2
	v_xor_b32_e32 v2, vcc_hi, v31
	v_lshl_add_u32 v34, v27, 2, v1
	v_mov_b32_e32 v1, 0
	v_and_b32_e32 v31, exec_hi, v2
	v_lshlrev_b32_e32 v2, 30, v3
	v_xor_b32_e32 v4, vcc_lo, v4
	v_cmp_gt_i64_e32 vcc, 0, v[1:2]
	v_not_b32_e32 v2, v2
	v_ashrrev_i32_e32 v2, 31, v2
	v_and_b32_e32 v4, exec_lo, v4
	v_xor_b32_e32 v32, vcc_hi, v2
	v_xor_b32_e32 v2, vcc_lo, v2
	v_and_b32_e32 v4, v4, v2
	v_lshlrev_b32_e32 v2, 29, v3
	v_cmp_gt_i64_e32 vcc, 0, v[1:2]
	v_not_b32_e32 v2, v2
	v_ashrrev_i32_e32 v2, 31, v2
	v_and_b32_e32 v31, v31, v32
	v_xor_b32_e32 v32, vcc_hi, v2
	v_xor_b32_e32 v2, vcc_lo, v2
	v_and_b32_e32 v4, v4, v2
	v_lshlrev_b32_e32 v2, 28, v3
	v_cmp_gt_i64_e32 vcc, 0, v[1:2]
	v_not_b32_e32 v2, v2
	v_ashrrev_i32_e32 v2, 31, v2
	v_and_b32_e32 v31, v31, v32
	;; [unrolled: 8-line block ×5, first 2 shown]
	v_xor_b32_e32 v32, vcc_hi, v2
	v_xor_b32_e32 v2, vcc_lo, v2
	v_and_b32_e32 v4, v4, v2
	v_lshlrev_b32_e32 v2, 24, v3
	v_cmp_gt_i64_e32 vcc, 0, v[1:2]
	v_not_b32_e32 v2, v2
	v_ashrrev_i32_e32 v2, 31, v2
	v_xor_b32_e32 v3, vcc_hi, v2
	v_xor_b32_e32 v2, vcc_lo, v2
	; wave barrier
	ds_read_b32 v28, v34 offset:32
	v_and_b32_e32 v31, v31, v32
	v_and_b32_e32 v2, v4, v2
	;; [unrolled: 1-line block ×3, first 2 shown]
	v_mbcnt_lo_u32_b32 v4, v2, 0
	v_mbcnt_hi_u32_b32 v31, v3, v4
	v_cmp_ne_u64_e32 vcc, 0, v[2:3]
	v_cmp_eq_u32_e64 s[4:5], 0, v31
	s_and_b64 s[8:9], vcc, s[4:5]
	; wave barrier
	s_and_saveexec_b64 s[4:5], s[8:9]
	s_cbranch_execz .LBB914_99
; %bb.98:
	v_bcnt_u32_b32 v2, v2, 0
	v_bcnt_u32_b32 v2, v3, v2
	s_waitcnt lgkmcnt(0)
	v_add_u32_e32 v2, v28, v2
	ds_write_b32 v34, v2 offset:32
.LBB914_99:
	s_or_b64 exec, exec, s[4:5]
	v_xor_b32_e32 v23, 0x80000000, v23
	v_lshrrev_b32_e32 v2, s44, v23
	v_and_b32_e32 v3, s18, v2
	v_mul_lo_u32 v2, v3, 36
	v_and_b32_e32 v4, 1, v3
	; wave barrier
	v_lshl_add_u32 v37, v27, 2, v2
	v_add_co_u32_e32 v2, vcc, -1, v4
	v_addc_co_u32_e64 v33, s[4:5], 0, -1, vcc
	v_cmp_ne_u32_e32 vcc, 0, v4
	v_xor_b32_e32 v2, vcc_lo, v2
	v_xor_b32_e32 v4, vcc_hi, v33
	v_and_b32_e32 v33, exec_lo, v2
	v_lshlrev_b32_e32 v2, 30, v3
	v_cmp_gt_i64_e32 vcc, 0, v[1:2]
	v_not_b32_e32 v2, v2
	v_ashrrev_i32_e32 v2, 31, v2
	v_xor_b32_e32 v35, vcc_hi, v2
	v_xor_b32_e32 v2, vcc_lo, v2
	v_and_b32_e32 v33, v33, v2
	v_lshlrev_b32_e32 v2, 29, v3
	v_cmp_gt_i64_e32 vcc, 0, v[1:2]
	v_not_b32_e32 v2, v2
	v_and_b32_e32 v4, exec_hi, v4
	v_ashrrev_i32_e32 v2, 31, v2
	v_and_b32_e32 v4, v4, v35
	v_xor_b32_e32 v35, vcc_hi, v2
	v_xor_b32_e32 v2, vcc_lo, v2
	v_and_b32_e32 v33, v33, v2
	v_lshlrev_b32_e32 v2, 28, v3
	v_cmp_gt_i64_e32 vcc, 0, v[1:2]
	v_not_b32_e32 v2, v2
	v_ashrrev_i32_e32 v2, 31, v2
	v_and_b32_e32 v4, v4, v35
	v_xor_b32_e32 v35, vcc_hi, v2
	v_xor_b32_e32 v2, vcc_lo, v2
	v_and_b32_e32 v33, v33, v2
	v_lshlrev_b32_e32 v2, 27, v3
	v_cmp_gt_i64_e32 vcc, 0, v[1:2]
	v_not_b32_e32 v2, v2
	;; [unrolled: 8-line block ×5, first 2 shown]
	v_ashrrev_i32_e32 v1, 31, v1
	v_xor_b32_e32 v2, vcc_hi, v1
	v_xor_b32_e32 v1, vcc_lo, v1
	ds_read_b32 v32, v37 offset:32
	v_and_b32_e32 v4, v4, v35
	v_and_b32_e32 v1, v33, v1
	;; [unrolled: 1-line block ×3, first 2 shown]
	v_mbcnt_lo_u32_b32 v3, v1, 0
	v_mbcnt_hi_u32_b32 v35, v2, v3
	v_cmp_ne_u64_e32 vcc, 0, v[1:2]
	v_cmp_eq_u32_e64 s[4:5], 0, v35
	s_and_b64 s[8:9], vcc, s[4:5]
	; wave barrier
	s_and_saveexec_b64 s[4:5], s[8:9]
	s_cbranch_execz .LBB914_101
; %bb.100:
	v_bcnt_u32_b32 v1, v1, 0
	v_bcnt_u32_b32 v1, v2, v1
	s_waitcnt lgkmcnt(0)
	v_add_u32_e32 v1, v32, v1
	ds_write_b32 v37, v1 offset:32
.LBB914_101:
	s_or_b64 exec, exec, s[4:5]
	v_xor_b32_e32 v29, 0x80000000, v29
	v_lshrrev_b32_e32 v1, s44, v29
	v_and_b32_e32 v3, s18, v1
	v_mul_lo_u32 v1, v3, 36
	v_and_b32_e32 v2, 1, v3
	v_add_co_u32_e32 v4, vcc, -1, v2
	v_addc_co_u32_e64 v33, s[4:5], 0, -1, vcc
	v_cmp_ne_u32_e32 vcc, 0, v2
	v_xor_b32_e32 v2, vcc_hi, v33
	v_lshl_add_u32 v39, v27, 2, v1
	v_mov_b32_e32 v1, 0
	v_and_b32_e32 v33, exec_hi, v2
	v_lshlrev_b32_e32 v2, 30, v3
	v_xor_b32_e32 v4, vcc_lo, v4
	v_cmp_gt_i64_e32 vcc, 0, v[1:2]
	v_not_b32_e32 v2, v2
	v_ashrrev_i32_e32 v2, 31, v2
	v_and_b32_e32 v4, exec_lo, v4
	v_xor_b32_e32 v38, vcc_hi, v2
	v_xor_b32_e32 v2, vcc_lo, v2
	v_and_b32_e32 v4, v4, v2
	v_lshlrev_b32_e32 v2, 29, v3
	v_cmp_gt_i64_e32 vcc, 0, v[1:2]
	v_not_b32_e32 v2, v2
	v_ashrrev_i32_e32 v2, 31, v2
	v_and_b32_e32 v33, v33, v38
	v_xor_b32_e32 v38, vcc_hi, v2
	v_xor_b32_e32 v2, vcc_lo, v2
	v_and_b32_e32 v4, v4, v2
	v_lshlrev_b32_e32 v2, 28, v3
	v_cmp_gt_i64_e32 vcc, 0, v[1:2]
	v_not_b32_e32 v2, v2
	v_ashrrev_i32_e32 v2, 31, v2
	v_and_b32_e32 v33, v33, v38
	;; [unrolled: 8-line block ×5, first 2 shown]
	v_xor_b32_e32 v38, vcc_hi, v2
	v_xor_b32_e32 v2, vcc_lo, v2
	v_and_b32_e32 v4, v4, v2
	v_lshlrev_b32_e32 v2, 24, v3
	v_cmp_gt_i64_e32 vcc, 0, v[1:2]
	v_not_b32_e32 v2, v2
	v_ashrrev_i32_e32 v2, 31, v2
	v_xor_b32_e32 v3, vcc_hi, v2
	v_xor_b32_e32 v2, vcc_lo, v2
	; wave barrier
	ds_read_b32 v36, v39 offset:32
	v_and_b32_e32 v33, v33, v38
	v_and_b32_e32 v2, v4, v2
	v_and_b32_e32 v3, v33, v3
	v_mbcnt_lo_u32_b32 v4, v2, 0
	v_mbcnt_hi_u32_b32 v38, v3, v4
	v_cmp_ne_u64_e32 vcc, 0, v[2:3]
	v_cmp_eq_u32_e64 s[4:5], 0, v38
	s_and_b64 s[8:9], vcc, s[4:5]
	; wave barrier
	s_and_saveexec_b64 s[4:5], s[8:9]
	s_cbranch_execz .LBB914_103
; %bb.102:
	v_bcnt_u32_b32 v2, v2, 0
	v_bcnt_u32_b32 v2, v3, v2
	s_waitcnt lgkmcnt(0)
	v_add_u32_e32 v2, v36, v2
	ds_write_b32 v39, v2 offset:32
.LBB914_103:
	s_or_b64 exec, exec, s[4:5]
	v_xor_b32_e32 v33, 0x80000000, v24
	v_lshrrev_b32_e32 v2, s44, v33
	v_and_b32_e32 v3, s18, v2
	v_mul_lo_u32 v2, v3, 36
	v_and_b32_e32 v4, 1, v3
	; wave barrier
	v_lshl_add_u32 v41, v27, 2, v2
	v_add_co_u32_e32 v2, vcc, -1, v4
	v_addc_co_u32_e64 v24, s[4:5], 0, -1, vcc
	v_cmp_ne_u32_e32 vcc, 0, v4
	v_xor_b32_e32 v2, vcc_lo, v2
	v_xor_b32_e32 v4, vcc_hi, v24
	v_and_b32_e32 v24, exec_lo, v2
	v_lshlrev_b32_e32 v2, 30, v3
	v_cmp_gt_i64_e32 vcc, 0, v[1:2]
	v_not_b32_e32 v2, v2
	v_ashrrev_i32_e32 v2, 31, v2
	v_xor_b32_e32 v40, vcc_hi, v2
	v_xor_b32_e32 v2, vcc_lo, v2
	v_and_b32_e32 v24, v24, v2
	v_lshlrev_b32_e32 v2, 29, v3
	v_cmp_gt_i64_e32 vcc, 0, v[1:2]
	v_not_b32_e32 v2, v2
	v_and_b32_e32 v4, exec_hi, v4
	v_ashrrev_i32_e32 v2, 31, v2
	v_and_b32_e32 v4, v4, v40
	v_xor_b32_e32 v40, vcc_hi, v2
	v_xor_b32_e32 v2, vcc_lo, v2
	v_and_b32_e32 v24, v24, v2
	v_lshlrev_b32_e32 v2, 28, v3
	v_cmp_gt_i64_e32 vcc, 0, v[1:2]
	v_not_b32_e32 v2, v2
	v_ashrrev_i32_e32 v2, 31, v2
	v_and_b32_e32 v4, v4, v40
	v_xor_b32_e32 v40, vcc_hi, v2
	v_xor_b32_e32 v2, vcc_lo, v2
	v_and_b32_e32 v24, v24, v2
	v_lshlrev_b32_e32 v2, 27, v3
	v_cmp_gt_i64_e32 vcc, 0, v[1:2]
	v_not_b32_e32 v2, v2
	;; [unrolled: 8-line block ×5, first 2 shown]
	v_ashrrev_i32_e32 v1, 31, v1
	v_xor_b32_e32 v2, vcc_hi, v1
	v_xor_b32_e32 v1, vcc_lo, v1
	ds_read_b32 v27, v41 offset:32
	v_and_b32_e32 v4, v4, v40
	v_and_b32_e32 v1, v24, v1
	;; [unrolled: 1-line block ×3, first 2 shown]
	v_mbcnt_lo_u32_b32 v3, v1, 0
	v_mbcnt_hi_u32_b32 v40, v2, v3
	v_cmp_ne_u64_e32 vcc, 0, v[1:2]
	v_cmp_eq_u32_e64 s[4:5], 0, v40
	s_and_b64 s[8:9], vcc, s[4:5]
	; wave barrier
	s_and_saveexec_b64 s[4:5], s[8:9]
	s_cbranch_execz .LBB914_105
; %bb.104:
	v_bcnt_u32_b32 v1, v1, 0
	v_bcnt_u32_b32 v1, v2, v1
	s_waitcnt lgkmcnt(0)
	v_add_u32_e32 v1, v27, v1
	ds_write_b32 v41, v1 offset:32
.LBB914_105:
	s_or_b64 exec, exec, s[4:5]
	; wave barrier
	s_waitcnt lgkmcnt(0)
	s_barrier
	ds_read2_b32 v[3:4], v6 offset0:8 offset1:9
	ds_read2_b32 v[1:2], v6 offset0:10 offset1:11
	ds_read_b32 v24, v6 offset:48
	s_waitcnt lgkmcnt(1)
	v_add3_u32 v42, v4, v3, v1
	s_waitcnt lgkmcnt(0)
	v_add3_u32 v24, v42, v2, v24
	v_and_b32_e32 v42, 15, v5
	v_cmp_ne_u32_e32 vcc, 0, v42
	v_mov_b32_dpp v43, v24 row_shr:1 row_mask:0xf bank_mask:0xf
	v_cndmask_b32_e32 v43, 0, v43, vcc
	v_add_u32_e32 v24, v43, v24
	v_cmp_lt_u32_e32 vcc, 1, v42
	s_nop 0
	v_mov_b32_dpp v43, v24 row_shr:2 row_mask:0xf bank_mask:0xf
	v_cndmask_b32_e32 v43, 0, v43, vcc
	v_add_u32_e32 v24, v24, v43
	v_cmp_lt_u32_e32 vcc, 3, v42
	s_nop 0
	;; [unrolled: 5-line block ×3, first 2 shown]
	v_mov_b32_dpp v43, v24 row_shr:8 row_mask:0xf bank_mask:0xf
	v_cndmask_b32_e32 v42, 0, v43, vcc
	v_add_u32_e32 v24, v24, v42
	v_bfe_i32 v43, v5, 4, 1
	v_cmp_lt_u32_e32 vcc, 31, v5
	v_mov_b32_dpp v42, v24 row_bcast:15 row_mask:0xf bank_mask:0xf
	v_and_b32_e32 v42, v43, v42
	v_add_u32_e32 v24, v24, v42
	v_lshrrev_b32_e32 v43, 6, v0
	s_nop 0
	v_mov_b32_dpp v42, v24 row_bcast:31 row_mask:0xf bank_mask:0xf
	v_cndmask_b32_e32 v42, 0, v42, vcc
	v_add_u32_e32 v42, v24, v42
	v_or_b32_e32 v24, 63, v0
	v_cmp_eq_u32_e32 vcc, v0, v24
	s_and_saveexec_b64 s[4:5], vcc
; %bb.106:
	v_lshlrev_b32_e32 v24, 2, v43
	ds_write_b32 v24, v42
; %bb.107:
	s_or_b64 exec, exec, s[4:5]
	v_cmp_gt_u32_e32 vcc, 8, v0
	v_lshlrev_b32_e32 v24, 2, v0
	s_waitcnt lgkmcnt(0)
	s_barrier
	s_and_saveexec_b64 s[4:5], vcc
	s_cbranch_execz .LBB914_109
; %bb.108:
	ds_read_b32 v44, v24
	v_and_b32_e32 v45, 7, v5
	v_cmp_ne_u32_e32 vcc, 0, v45
	s_waitcnt lgkmcnt(0)
	v_mov_b32_dpp v46, v44 row_shr:1 row_mask:0xf bank_mask:0xf
	v_cndmask_b32_e32 v46, 0, v46, vcc
	v_add_u32_e32 v44, v46, v44
	v_cmp_lt_u32_e32 vcc, 1, v45
	s_nop 0
	v_mov_b32_dpp v46, v44 row_shr:2 row_mask:0xf bank_mask:0xf
	v_cndmask_b32_e32 v46, 0, v46, vcc
	v_add_u32_e32 v44, v44, v46
	v_cmp_lt_u32_e32 vcc, 3, v45
	s_nop 0
	v_mov_b32_dpp v46, v44 row_shr:4 row_mask:0xf bank_mask:0xf
	v_cndmask_b32_e32 v45, 0, v46, vcc
	v_add_u32_e32 v44, v44, v45
	ds_write_b32 v24, v44
.LBB914_109:
	s_or_b64 exec, exec, s[4:5]
	v_cmp_lt_u32_e32 vcc, 63, v0
	v_mov_b32_e32 v44, 0
	s_waitcnt lgkmcnt(0)
	s_barrier
	s_and_saveexec_b64 s[4:5], vcc
; %bb.110:
	v_lshl_add_u32 v43, v43, 2, -4
	ds_read_b32 v44, v43
; %bb.111:
	s_or_b64 exec, exec, s[4:5]
	v_subrev_co_u32_e32 v43, vcc, 1, v5
	v_and_b32_e32 v45, 64, v5
	v_cmp_lt_i32_e64 s[4:5], v43, v45
	v_cndmask_b32_e64 v5, v43, v5, s[4:5]
	s_waitcnt lgkmcnt(0)
	v_add_u32_e32 v42, v44, v42
	v_lshlrev_b32_e32 v5, 2, v5
	ds_bpermute_b32 v5, v5, v42
	s_movk_i32 s4, 0xff
	s_movk_i32 s8, 0x100
	v_cmp_lt_u32_e64 s[4:5], s4, v0
	s_waitcnt lgkmcnt(0)
	v_cndmask_b32_e32 v5, v5, v44, vcc
	v_cmp_ne_u32_e32 vcc, 0, v0
	v_cndmask_b32_e32 v5, 0, v5, vcc
	v_add_u32_e32 v3, v5, v3
	v_add_u32_e32 v4, v3, v4
	;; [unrolled: 1-line block ×4, first 2 shown]
	ds_write2_b32 v6, v5, v3 offset0:8 offset1:9
	ds_write2_b32 v6, v4, v1 offset0:10 offset1:11
	ds_write_b32 v6, v2 offset:48
	s_waitcnt lgkmcnt(0)
	s_barrier
	ds_read_b32 v45, v18 offset:32
	ds_read_b32 v18, v19 offset:32
	;; [unrolled: 1-line block ×8, first 2 shown]
	v_cmp_gt_u32_e32 vcc, s8, v0
                                        ; implicit-def: $vgpr19
                                        ; implicit-def: $vgpr25
	s_and_saveexec_b64 s[12:13], vcc
	s_cbranch_execz .LBB914_115
; %bb.112:
	v_mul_u32_u24_e32 v1, 36, v0
	ds_read_b32 v19, v1 offset:32
	v_add_u32_e32 v2, 1, v0
	v_cmp_ne_u32_e64 s[8:9], s8, v2
	v_mov_b32_e32 v1, 0x1000
	s_and_saveexec_b64 s[14:15], s[8:9]
; %bb.113:
	v_mul_u32_u24_e32 v1, 36, v2
	ds_read_b32 v1, v1 offset:32
; %bb.114:
	s_or_b64 exec, exec, s[14:15]
	s_waitcnt lgkmcnt(0)
	v_sub_u32_e32 v25, v1, v19
.LBB914_115:
	s_or_b64 exec, exec, s[12:13]
	v_mov_b32_e32 v2, 0
	s_waitcnt lgkmcnt(0)
	s_barrier
	s_and_saveexec_b64 s[8:9], vcc
	s_cbranch_execz .LBB914_125
; %bb.116:
	v_lshl_add_u32 v1, s6, 8, v0
	v_lshlrev_b64 v[3:4], 2, v[1:2]
	v_mov_b32_e32 v30, s35
	v_add_co_u32_e32 v3, vcc, s34, v3
	v_addc_co_u32_e32 v4, vcc, v30, v4, vcc
	v_or_b32_e32 v1, 2.0, v25
	s_mov_b64 s[12:13], 0
	s_brev_b32 s19, -4
	s_mov_b32 s20, s6
	v_mov_b32_e32 v41, 0
	global_store_dword v[3:4], v1, off
                                        ; implicit-def: $sgpr14_sgpr15
	s_branch .LBB914_119
.LBB914_117:                            ;   in Loop: Header=BB914_119 Depth=1
	s_or_b64 exec, exec, s[16:17]
.LBB914_118:                            ;   in Loop: Header=BB914_119 Depth=1
	s_or_b64 exec, exec, s[14:15]
	v_and_b32_e32 v5, 0x3fffffff, v1
	v_add_u32_e32 v41, v5, v41
	v_cmp_gt_i32_e64 s[14:15], -2.0, v1
	s_and_b64 s[16:17], exec, s[14:15]
	s_or_b64 s[12:13], s[16:17], s[12:13]
	s_andn2_b64 exec, exec, s[12:13]
	s_cbranch_execz .LBB914_124
.LBB914_119:                            ; =>This Loop Header: Depth=1
                                        ;     Child Loop BB914_122 Depth 2
	s_or_b64 s[14:15], s[14:15], exec
	s_cmp_eq_u32 s20, 0
	s_cbranch_scc1 .LBB914_123
; %bb.120:                              ;   in Loop: Header=BB914_119 Depth=1
	s_add_i32 s20, s20, -1
	v_lshl_or_b32 v1, s20, 8, v0
	v_lshlrev_b64 v[5:6], 2, v[1:2]
	v_add_co_u32_e32 v5, vcc, s34, v5
	v_addc_co_u32_e32 v6, vcc, v30, v6, vcc
	global_load_dword v1, v[5:6], off glc
	s_waitcnt vmcnt(0)
	v_cmp_gt_u32_e32 vcc, 2.0, v1
	s_and_saveexec_b64 s[14:15], vcc
	s_cbranch_execz .LBB914_118
; %bb.121:                              ;   in Loop: Header=BB914_119 Depth=1
	s_mov_b64 s[16:17], 0
.LBB914_122:                            ;   Parent Loop BB914_119 Depth=1
                                        ; =>  This Inner Loop Header: Depth=2
	global_load_dword v1, v[5:6], off glc
	s_waitcnt vmcnt(0)
	v_cmp_lt_u32_e32 vcc, s19, v1
	s_or_b64 s[16:17], vcc, s[16:17]
	s_andn2_b64 exec, exec, s[16:17]
	s_cbranch_execnz .LBB914_122
	s_branch .LBB914_117
.LBB914_123:                            ;   in Loop: Header=BB914_119 Depth=1
                                        ; implicit-def: $sgpr20
	s_and_b64 s[16:17], exec, s[14:15]
	s_or_b64 s[12:13], s[16:17], s[12:13]
	s_andn2_b64 exec, exec, s[12:13]
	s_cbranch_execnz .LBB914_119
.LBB914_124:
	s_or_b64 exec, exec, s[12:13]
	v_add_u32_e32 v1, v41, v25
	v_or_b32_e32 v1, 0x80000000, v1
	global_store_dword v[3:4], v1, off
	global_load_dword v1, v24, s[28:29]
	v_sub_u32_e32 v2, v41, v19
	s_waitcnt vmcnt(0)
	v_add_u32_e32 v1, v2, v1
	ds_write_b32 v24, v1
.LBB914_125:
	s_or_b64 exec, exec, s[8:9]
	v_add_u32_e32 v30, v45, v12
	s_mov_b32 s14, 16
	v_add3_u32 v27, v40, v39, v27
	v_add3_u32 v34, v38, v34, v36
	;; [unrolled: 1-line block ×7, first 2 shown]
	s_mov_b32 s20, 0
	s_mov_b64 s[12:13], -1
	s_mov_b32 s15, 0
	v_mov_b32_e32 v2, 0
	v_mov_b32_e32 v3, s39
	s_movk_i32 s16, 0x200
	s_movk_i32 s17, 0x400
	;; [unrolled: 1-line block ×3, first 2 shown]
	v_mov_b32_e32 v4, v0
.LBB914_126:                            ; =>This Inner Loop Header: Depth=1
	v_add_u32_e32 v1, s15, v30
	v_add_u32_e32 v5, s15, v26
	v_add_u32_e32 v6, s15, v20
	v_add_u32_e32 v12, s15, v22
	v_add_u32_e32 v13, s15, v28
	v_add_u32_e32 v15, s15, v32
	v_add_u32_e32 v16, s15, v34
	v_add_u32_e32 v18, s15, v27
	v_min_u32_e32 v1, 0x800, v1
	v_min_u32_e32 v5, 0x800, v5
	;; [unrolled: 1-line block ×8, first 2 shown]
	v_lshlrev_b32_e32 v1, 2, v1
	v_lshlrev_b32_e32 v5, 2, v5
	;; [unrolled: 1-line block ×8, first 2 shown]
	ds_write_b32 v1, v9 offset:1024
	ds_write_b32 v5, v10 offset:1024
	;; [unrolled: 1-line block ×8, first 2 shown]
	s_waitcnt lgkmcnt(0)
	s_barrier
	ds_read2st64_b32 v[5:6], v24 offset0:4 offset1:12
	ds_read2st64_b32 v[12:13], v24 offset0:20 offset1:28
	v_mov_b32_e32 v31, s20
	s_addk_i32 s15, 0xf800
	s_and_b64 vcc, exec, s[12:13]
	s_waitcnt lgkmcnt(1)
	v_lshrrev_b32_e32 v1, s44, v5
	v_xor_b32_e32 v18, 0x80000000, v5
	v_lshrrev_b32_e32 v5, s44, v6
	v_xor_b32_e32 v35, 0x80000000, v6
	s_waitcnt lgkmcnt(0)
	v_lshrrev_b32_e32 v6, s44, v12
	v_xor_b32_e32 v36, 0x80000000, v12
	v_lshrrev_b32_e32 v12, s44, v13
	v_and_b32_e32 v1, s18, v1
	v_and_b32_e32 v5, s18, v5
	;; [unrolled: 1-line block ×4, first 2 shown]
	v_xor_b32_e32 v37, 0x80000000, v13
	v_lshlrev_b32_e32 v13, 2, v1
	buffer_store_dword v1, v31, s[0:3], 0 offen
	buffer_store_dword v5, v31, s[0:3], 0 offen offset:4
	buffer_store_dword v6, v31, s[0:3], 0 offen offset:8
	;; [unrolled: 1-line block ×3, first 2 shown]
	v_lshlrev_b32_e32 v1, 2, v5
	v_lshlrev_b32_e32 v5, 2, v6
	;; [unrolled: 1-line block ×3, first 2 shown]
	ds_read_b32 v12, v13
	ds_read_b32 v13, v1
	;; [unrolled: 1-line block ×4, first 2 shown]
	s_mov_b64 s[12:13], 0
	s_waitcnt lgkmcnt(3)
	v_add_u32_e32 v1, v4, v12
	v_lshlrev_b64 v[5:6], 2, v[1:2]
	s_waitcnt lgkmcnt(2)
	v_add3_u32 v1, v4, v13, s16
	v_lshlrev_b64 v[12:13], 2, v[1:2]
	v_add_co_u32_e64 v5, s[8:9], s38, v5
	s_waitcnt lgkmcnt(1)
	v_add3_u32 v1, v4, v15, s17
	v_addc_co_u32_e64 v6, s[8:9], v3, v6, s[8:9]
	v_lshlrev_b64 v[15:16], 2, v[1:2]
	global_store_dword v[5:6], v18, off
	v_add_co_u32_e64 v5, s[8:9], s38, v12
	s_waitcnt lgkmcnt(0)
	v_add3_u32 v1, v4, v31, s19
	v_addc_co_u32_e64 v6, s[8:9], v3, v13, s[8:9]
	v_lshlrev_b64 v[12:13], 2, v[1:2]
	global_store_dword v[5:6], v35, off
	v_add_co_u32_e64 v5, s[8:9], s38, v15
	v_addc_co_u32_e64 v6, s[8:9], v3, v16, s[8:9]
	global_store_dword v[5:6], v36, off
	v_add_co_u32_e64 v5, s[8:9], s38, v12
	s_mov_b32 s20, s14
	v_add_u32_e32 v4, 0x800, v4
	v_addc_co_u32_e64 v6, s[8:9], v3, v13, s[8:9]
	global_store_dword v[5:6], v37, off
	s_waitcnt vmcnt(0)
	s_barrier
	s_cbranch_vccnz .LBB914_126
; %bb.127:
	s_lshl_b64 s[8:9], s[10:11], 3
	s_add_u32 s8, s40, s8
	s_addc_u32 s9, s41, s9
	v_lshlrev_b32_e32 v1, 3, v8
	v_mov_b32_e32 v2, s9
	v_add_co_u32_e32 v1, vcc, s8, v1
	v_addc_co_u32_e32 v2, vcc, 0, v2, vcc
	v_lshlrev_b32_e32 v3, 3, v7
	v_add_co_u32_e32 v17, vcc, v1, v3
	v_addc_co_u32_e32 v18, vcc, 0, v2, vcc
	global_load_dwordx2 v[1:2], v[17:18], off
	global_load_dwordx2 v[3:4], v[17:18], off offset:512
	global_load_dwordx2 v[5:6], v[17:18], off offset:1024
	;; [unrolled: 1-line block ×7, first 2 shown]
	v_mov_b32_e32 v18, 0
	s_mov_b32 s8, 0
	s_mov_b32 s9, 0
	v_mov_b32_e32 v23, s43
	s_movk_i32 s10, 0x200
.LBB914_128:                            ; =>This Inner Loop Header: Depth=1
	v_add_u32_e32 v17, s9, v30
	v_add_u32_e32 v29, s9, v26
	;; [unrolled: 1-line block ×8, first 2 shown]
	v_min_u32_e32 v17, 0x400, v17
	v_min_u32_e32 v29, 0x400, v29
	v_mov_b32_e32 v39, s8
	v_min_u32_e32 v31, 0x400, v31
	v_min_u32_e32 v33, 0x400, v33
	;; [unrolled: 1-line block ×6, first 2 shown]
	v_lshlrev_b32_e32 v17, 3, v17
	v_lshlrev_b32_e32 v29, 3, v29
	;; [unrolled: 1-line block ×8, first 2 shown]
	s_waitcnt vmcnt(7)
	ds_write_b64 v17, v[1:2] offset:1024
	s_waitcnt vmcnt(6)
	ds_write_b64 v29, v[3:4] offset:1024
	;; [unrolled: 2-line block ×8, first 2 shown]
	s_waitcnt lgkmcnt(0)
	s_barrier
	buffer_load_dword v17, v39, s[0:3], 0 offen
	buffer_load_dword v29, v39, s[0:3], 0 offen offset:4
	ds_read2st64_b64 v[35:38], v21 offset0:2 offset1:10
	s_addk_i32 s9, 0xfc00
	s_add_i32 s8, s8, 8
	s_cmpk_lg_i32 s9, 0xf000
	s_waitcnt vmcnt(1)
	v_lshlrev_b32_e32 v17, 2, v17
	s_waitcnt vmcnt(0)
	v_lshlrev_b32_e32 v29, 2, v29
	ds_read_b32 v17, v17
	ds_read_b32 v29, v29
	s_waitcnt lgkmcnt(1)
	v_add_u32_e32 v17, v0, v17
	v_lshlrev_b64 v[39:40], 3, v[17:18]
	s_waitcnt lgkmcnt(0)
	v_add3_u32 v17, v0, v29, s10
	v_lshlrev_b64 v[41:42], 3, v[17:18]
	v_add_co_u32_e32 v39, vcc, s42, v39
	v_addc_co_u32_e32 v40, vcc, v23, v40, vcc
	global_store_dwordx2 v[39:40], v[35:36], off
	v_add_co_u32_e32 v35, vcc, s42, v41
	v_add_u32_e32 v0, 0x400, v0
	v_addc_co_u32_e32 v36, vcc, v23, v42, vcc
	global_store_dwordx2 v[35:36], v[37:38], off
	s_waitcnt vmcnt(0)
	s_barrier
	s_cbranch_scc1 .LBB914_128
; %bb.129:
	s_add_i32 s7, s7, -1
	s_cmp_eq_u32 s6, s7
	s_cselect_b64 s[6:7], -1, 0
	s_xor_b64 s[4:5], s[4:5], -1
	s_and_b64 s[4:5], s[4:5], s[6:7]
	s_and_saveexec_b64 s[6:7], s[4:5]
	s_cbranch_execz .LBB914_131
; %bb.130:
	ds_read_b32 v0, v24
	s_waitcnt lgkmcnt(0)
	v_add3_u32 v0, v19, v25, v0
	global_store_dword v24, v0, s[30:31]
.LBB914_131:
	s_endpgm
	.section	.rodata,"a",@progbits
	.p2align	6, 0x0
	.amdhsa_kernel _ZN7rocprim17ROCPRIM_400000_NS6detail17trampoline_kernelINS0_14default_configENS1_35radix_sort_onesweep_config_selectorIilEEZZNS1_29radix_sort_onesweep_iterationIS3_Lb0EPiS7_N6thrust23THRUST_200600_302600_NS10device_ptrIlEESB_jNS0_19identity_decomposerENS1_16block_id_wrapperIjLb0EEEEE10hipError_tT1_PNSt15iterator_traitsISG_E10value_typeET2_T3_PNSH_ISM_E10value_typeET4_T5_PSR_SS_PNS1_23onesweep_lookback_stateEbbT6_jjT7_P12ihipStream_tbENKUlT_T0_SG_SL_E_clIS7_S7_PlSB_EEDaSZ_S10_SG_SL_EUlSZ_E_NS1_11comp_targetILNS1_3genE2ELNS1_11target_archE906ELNS1_3gpuE6ELNS1_3repE0EEENS1_47radix_sort_onesweep_sort_config_static_selectorELNS0_4arch9wavefront6targetE1EEEvSG_
		.amdhsa_group_segment_fixed_size 10280
		.amdhsa_private_segment_fixed_size 48
		.amdhsa_kernarg_size 344
		.amdhsa_user_sgpr_count 6
		.amdhsa_user_sgpr_private_segment_buffer 1
		.amdhsa_user_sgpr_dispatch_ptr 0
		.amdhsa_user_sgpr_queue_ptr 0
		.amdhsa_user_sgpr_kernarg_segment_ptr 1
		.amdhsa_user_sgpr_dispatch_id 0
		.amdhsa_user_sgpr_flat_scratch_init 0
		.amdhsa_user_sgpr_private_segment_size 0
		.amdhsa_uses_dynamic_stack 0
		.amdhsa_system_sgpr_private_segment_wavefront_offset 1
		.amdhsa_system_sgpr_workgroup_id_x 1
		.amdhsa_system_sgpr_workgroup_id_y 0
		.amdhsa_system_sgpr_workgroup_id_z 0
		.amdhsa_system_sgpr_workgroup_info 0
		.amdhsa_system_vgpr_workitem_id 2
		.amdhsa_next_free_vgpr 57
		.amdhsa_next_free_sgpr 57
		.amdhsa_reserve_vcc 1
		.amdhsa_reserve_flat_scratch 0
		.amdhsa_float_round_mode_32 0
		.amdhsa_float_round_mode_16_64 0
		.amdhsa_float_denorm_mode_32 3
		.amdhsa_float_denorm_mode_16_64 3
		.amdhsa_dx10_clamp 1
		.amdhsa_ieee_mode 1
		.amdhsa_fp16_overflow 0
		.amdhsa_exception_fp_ieee_invalid_op 0
		.amdhsa_exception_fp_denorm_src 0
		.amdhsa_exception_fp_ieee_div_zero 0
		.amdhsa_exception_fp_ieee_overflow 0
		.amdhsa_exception_fp_ieee_underflow 0
		.amdhsa_exception_fp_ieee_inexact 0
		.amdhsa_exception_int_div_zero 0
	.end_amdhsa_kernel
	.section	.text._ZN7rocprim17ROCPRIM_400000_NS6detail17trampoline_kernelINS0_14default_configENS1_35radix_sort_onesweep_config_selectorIilEEZZNS1_29radix_sort_onesweep_iterationIS3_Lb0EPiS7_N6thrust23THRUST_200600_302600_NS10device_ptrIlEESB_jNS0_19identity_decomposerENS1_16block_id_wrapperIjLb0EEEEE10hipError_tT1_PNSt15iterator_traitsISG_E10value_typeET2_T3_PNSH_ISM_E10value_typeET4_T5_PSR_SS_PNS1_23onesweep_lookback_stateEbbT6_jjT7_P12ihipStream_tbENKUlT_T0_SG_SL_E_clIS7_S7_PlSB_EEDaSZ_S10_SG_SL_EUlSZ_E_NS1_11comp_targetILNS1_3genE2ELNS1_11target_archE906ELNS1_3gpuE6ELNS1_3repE0EEENS1_47radix_sort_onesweep_sort_config_static_selectorELNS0_4arch9wavefront6targetE1EEEvSG_,"axG",@progbits,_ZN7rocprim17ROCPRIM_400000_NS6detail17trampoline_kernelINS0_14default_configENS1_35radix_sort_onesweep_config_selectorIilEEZZNS1_29radix_sort_onesweep_iterationIS3_Lb0EPiS7_N6thrust23THRUST_200600_302600_NS10device_ptrIlEESB_jNS0_19identity_decomposerENS1_16block_id_wrapperIjLb0EEEEE10hipError_tT1_PNSt15iterator_traitsISG_E10value_typeET2_T3_PNSH_ISM_E10value_typeET4_T5_PSR_SS_PNS1_23onesweep_lookback_stateEbbT6_jjT7_P12ihipStream_tbENKUlT_T0_SG_SL_E_clIS7_S7_PlSB_EEDaSZ_S10_SG_SL_EUlSZ_E_NS1_11comp_targetILNS1_3genE2ELNS1_11target_archE906ELNS1_3gpuE6ELNS1_3repE0EEENS1_47radix_sort_onesweep_sort_config_static_selectorELNS0_4arch9wavefront6targetE1EEEvSG_,comdat
.Lfunc_end914:
	.size	_ZN7rocprim17ROCPRIM_400000_NS6detail17trampoline_kernelINS0_14default_configENS1_35radix_sort_onesweep_config_selectorIilEEZZNS1_29radix_sort_onesweep_iterationIS3_Lb0EPiS7_N6thrust23THRUST_200600_302600_NS10device_ptrIlEESB_jNS0_19identity_decomposerENS1_16block_id_wrapperIjLb0EEEEE10hipError_tT1_PNSt15iterator_traitsISG_E10value_typeET2_T3_PNSH_ISM_E10value_typeET4_T5_PSR_SS_PNS1_23onesweep_lookback_stateEbbT6_jjT7_P12ihipStream_tbENKUlT_T0_SG_SL_E_clIS7_S7_PlSB_EEDaSZ_S10_SG_SL_EUlSZ_E_NS1_11comp_targetILNS1_3genE2ELNS1_11target_archE906ELNS1_3gpuE6ELNS1_3repE0EEENS1_47radix_sort_onesweep_sort_config_static_selectorELNS0_4arch9wavefront6targetE1EEEvSG_, .Lfunc_end914-_ZN7rocprim17ROCPRIM_400000_NS6detail17trampoline_kernelINS0_14default_configENS1_35radix_sort_onesweep_config_selectorIilEEZZNS1_29radix_sort_onesweep_iterationIS3_Lb0EPiS7_N6thrust23THRUST_200600_302600_NS10device_ptrIlEESB_jNS0_19identity_decomposerENS1_16block_id_wrapperIjLb0EEEEE10hipError_tT1_PNSt15iterator_traitsISG_E10value_typeET2_T3_PNSH_ISM_E10value_typeET4_T5_PSR_SS_PNS1_23onesweep_lookback_stateEbbT6_jjT7_P12ihipStream_tbENKUlT_T0_SG_SL_E_clIS7_S7_PlSB_EEDaSZ_S10_SG_SL_EUlSZ_E_NS1_11comp_targetILNS1_3genE2ELNS1_11target_archE906ELNS1_3gpuE6ELNS1_3repE0EEENS1_47radix_sort_onesweep_sort_config_static_selectorELNS0_4arch9wavefront6targetE1EEEvSG_
                                        ; -- End function
	.set _ZN7rocprim17ROCPRIM_400000_NS6detail17trampoline_kernelINS0_14default_configENS1_35radix_sort_onesweep_config_selectorIilEEZZNS1_29radix_sort_onesweep_iterationIS3_Lb0EPiS7_N6thrust23THRUST_200600_302600_NS10device_ptrIlEESB_jNS0_19identity_decomposerENS1_16block_id_wrapperIjLb0EEEEE10hipError_tT1_PNSt15iterator_traitsISG_E10value_typeET2_T3_PNSH_ISM_E10value_typeET4_T5_PSR_SS_PNS1_23onesweep_lookback_stateEbbT6_jjT7_P12ihipStream_tbENKUlT_T0_SG_SL_E_clIS7_S7_PlSB_EEDaSZ_S10_SG_SL_EUlSZ_E_NS1_11comp_targetILNS1_3genE2ELNS1_11target_archE906ELNS1_3gpuE6ELNS1_3repE0EEENS1_47radix_sort_onesweep_sort_config_static_selectorELNS0_4arch9wavefront6targetE1EEEvSG_.num_vgpr, 57
	.set _ZN7rocprim17ROCPRIM_400000_NS6detail17trampoline_kernelINS0_14default_configENS1_35radix_sort_onesweep_config_selectorIilEEZZNS1_29radix_sort_onesweep_iterationIS3_Lb0EPiS7_N6thrust23THRUST_200600_302600_NS10device_ptrIlEESB_jNS0_19identity_decomposerENS1_16block_id_wrapperIjLb0EEEEE10hipError_tT1_PNSt15iterator_traitsISG_E10value_typeET2_T3_PNSH_ISM_E10value_typeET4_T5_PSR_SS_PNS1_23onesweep_lookback_stateEbbT6_jjT7_P12ihipStream_tbENKUlT_T0_SG_SL_E_clIS7_S7_PlSB_EEDaSZ_S10_SG_SL_EUlSZ_E_NS1_11comp_targetILNS1_3genE2ELNS1_11target_archE906ELNS1_3gpuE6ELNS1_3repE0EEENS1_47radix_sort_onesweep_sort_config_static_selectorELNS0_4arch9wavefront6targetE1EEEvSG_.num_agpr, 0
	.set _ZN7rocprim17ROCPRIM_400000_NS6detail17trampoline_kernelINS0_14default_configENS1_35radix_sort_onesweep_config_selectorIilEEZZNS1_29radix_sort_onesweep_iterationIS3_Lb0EPiS7_N6thrust23THRUST_200600_302600_NS10device_ptrIlEESB_jNS0_19identity_decomposerENS1_16block_id_wrapperIjLb0EEEEE10hipError_tT1_PNSt15iterator_traitsISG_E10value_typeET2_T3_PNSH_ISM_E10value_typeET4_T5_PSR_SS_PNS1_23onesweep_lookback_stateEbbT6_jjT7_P12ihipStream_tbENKUlT_T0_SG_SL_E_clIS7_S7_PlSB_EEDaSZ_S10_SG_SL_EUlSZ_E_NS1_11comp_targetILNS1_3genE2ELNS1_11target_archE906ELNS1_3gpuE6ELNS1_3repE0EEENS1_47radix_sort_onesweep_sort_config_static_selectorELNS0_4arch9wavefront6targetE1EEEvSG_.numbered_sgpr, 57
	.set _ZN7rocprim17ROCPRIM_400000_NS6detail17trampoline_kernelINS0_14default_configENS1_35radix_sort_onesweep_config_selectorIilEEZZNS1_29radix_sort_onesweep_iterationIS3_Lb0EPiS7_N6thrust23THRUST_200600_302600_NS10device_ptrIlEESB_jNS0_19identity_decomposerENS1_16block_id_wrapperIjLb0EEEEE10hipError_tT1_PNSt15iterator_traitsISG_E10value_typeET2_T3_PNSH_ISM_E10value_typeET4_T5_PSR_SS_PNS1_23onesweep_lookback_stateEbbT6_jjT7_P12ihipStream_tbENKUlT_T0_SG_SL_E_clIS7_S7_PlSB_EEDaSZ_S10_SG_SL_EUlSZ_E_NS1_11comp_targetILNS1_3genE2ELNS1_11target_archE906ELNS1_3gpuE6ELNS1_3repE0EEENS1_47radix_sort_onesweep_sort_config_static_selectorELNS0_4arch9wavefront6targetE1EEEvSG_.num_named_barrier, 0
	.set _ZN7rocprim17ROCPRIM_400000_NS6detail17trampoline_kernelINS0_14default_configENS1_35radix_sort_onesweep_config_selectorIilEEZZNS1_29radix_sort_onesweep_iterationIS3_Lb0EPiS7_N6thrust23THRUST_200600_302600_NS10device_ptrIlEESB_jNS0_19identity_decomposerENS1_16block_id_wrapperIjLb0EEEEE10hipError_tT1_PNSt15iterator_traitsISG_E10value_typeET2_T3_PNSH_ISM_E10value_typeET4_T5_PSR_SS_PNS1_23onesweep_lookback_stateEbbT6_jjT7_P12ihipStream_tbENKUlT_T0_SG_SL_E_clIS7_S7_PlSB_EEDaSZ_S10_SG_SL_EUlSZ_E_NS1_11comp_targetILNS1_3genE2ELNS1_11target_archE906ELNS1_3gpuE6ELNS1_3repE0EEENS1_47radix_sort_onesweep_sort_config_static_selectorELNS0_4arch9wavefront6targetE1EEEvSG_.private_seg_size, 48
	.set _ZN7rocprim17ROCPRIM_400000_NS6detail17trampoline_kernelINS0_14default_configENS1_35radix_sort_onesweep_config_selectorIilEEZZNS1_29radix_sort_onesweep_iterationIS3_Lb0EPiS7_N6thrust23THRUST_200600_302600_NS10device_ptrIlEESB_jNS0_19identity_decomposerENS1_16block_id_wrapperIjLb0EEEEE10hipError_tT1_PNSt15iterator_traitsISG_E10value_typeET2_T3_PNSH_ISM_E10value_typeET4_T5_PSR_SS_PNS1_23onesweep_lookback_stateEbbT6_jjT7_P12ihipStream_tbENKUlT_T0_SG_SL_E_clIS7_S7_PlSB_EEDaSZ_S10_SG_SL_EUlSZ_E_NS1_11comp_targetILNS1_3genE2ELNS1_11target_archE906ELNS1_3gpuE6ELNS1_3repE0EEENS1_47radix_sort_onesweep_sort_config_static_selectorELNS0_4arch9wavefront6targetE1EEEvSG_.uses_vcc, 1
	.set _ZN7rocprim17ROCPRIM_400000_NS6detail17trampoline_kernelINS0_14default_configENS1_35radix_sort_onesweep_config_selectorIilEEZZNS1_29radix_sort_onesweep_iterationIS3_Lb0EPiS7_N6thrust23THRUST_200600_302600_NS10device_ptrIlEESB_jNS0_19identity_decomposerENS1_16block_id_wrapperIjLb0EEEEE10hipError_tT1_PNSt15iterator_traitsISG_E10value_typeET2_T3_PNSH_ISM_E10value_typeET4_T5_PSR_SS_PNS1_23onesweep_lookback_stateEbbT6_jjT7_P12ihipStream_tbENKUlT_T0_SG_SL_E_clIS7_S7_PlSB_EEDaSZ_S10_SG_SL_EUlSZ_E_NS1_11comp_targetILNS1_3genE2ELNS1_11target_archE906ELNS1_3gpuE6ELNS1_3repE0EEENS1_47radix_sort_onesweep_sort_config_static_selectorELNS0_4arch9wavefront6targetE1EEEvSG_.uses_flat_scratch, 0
	.set _ZN7rocprim17ROCPRIM_400000_NS6detail17trampoline_kernelINS0_14default_configENS1_35radix_sort_onesweep_config_selectorIilEEZZNS1_29radix_sort_onesweep_iterationIS3_Lb0EPiS7_N6thrust23THRUST_200600_302600_NS10device_ptrIlEESB_jNS0_19identity_decomposerENS1_16block_id_wrapperIjLb0EEEEE10hipError_tT1_PNSt15iterator_traitsISG_E10value_typeET2_T3_PNSH_ISM_E10value_typeET4_T5_PSR_SS_PNS1_23onesweep_lookback_stateEbbT6_jjT7_P12ihipStream_tbENKUlT_T0_SG_SL_E_clIS7_S7_PlSB_EEDaSZ_S10_SG_SL_EUlSZ_E_NS1_11comp_targetILNS1_3genE2ELNS1_11target_archE906ELNS1_3gpuE6ELNS1_3repE0EEENS1_47radix_sort_onesweep_sort_config_static_selectorELNS0_4arch9wavefront6targetE1EEEvSG_.has_dyn_sized_stack, 0
	.set _ZN7rocprim17ROCPRIM_400000_NS6detail17trampoline_kernelINS0_14default_configENS1_35radix_sort_onesweep_config_selectorIilEEZZNS1_29radix_sort_onesweep_iterationIS3_Lb0EPiS7_N6thrust23THRUST_200600_302600_NS10device_ptrIlEESB_jNS0_19identity_decomposerENS1_16block_id_wrapperIjLb0EEEEE10hipError_tT1_PNSt15iterator_traitsISG_E10value_typeET2_T3_PNSH_ISM_E10value_typeET4_T5_PSR_SS_PNS1_23onesweep_lookback_stateEbbT6_jjT7_P12ihipStream_tbENKUlT_T0_SG_SL_E_clIS7_S7_PlSB_EEDaSZ_S10_SG_SL_EUlSZ_E_NS1_11comp_targetILNS1_3genE2ELNS1_11target_archE906ELNS1_3gpuE6ELNS1_3repE0EEENS1_47radix_sort_onesweep_sort_config_static_selectorELNS0_4arch9wavefront6targetE1EEEvSG_.has_recursion, 0
	.set _ZN7rocprim17ROCPRIM_400000_NS6detail17trampoline_kernelINS0_14default_configENS1_35radix_sort_onesweep_config_selectorIilEEZZNS1_29radix_sort_onesweep_iterationIS3_Lb0EPiS7_N6thrust23THRUST_200600_302600_NS10device_ptrIlEESB_jNS0_19identity_decomposerENS1_16block_id_wrapperIjLb0EEEEE10hipError_tT1_PNSt15iterator_traitsISG_E10value_typeET2_T3_PNSH_ISM_E10value_typeET4_T5_PSR_SS_PNS1_23onesweep_lookback_stateEbbT6_jjT7_P12ihipStream_tbENKUlT_T0_SG_SL_E_clIS7_S7_PlSB_EEDaSZ_S10_SG_SL_EUlSZ_E_NS1_11comp_targetILNS1_3genE2ELNS1_11target_archE906ELNS1_3gpuE6ELNS1_3repE0EEENS1_47radix_sort_onesweep_sort_config_static_selectorELNS0_4arch9wavefront6targetE1EEEvSG_.has_indirect_call, 0
	.section	.AMDGPU.csdata,"",@progbits
; Kernel info:
; codeLenInByte = 11808
; TotalNumSgprs: 61
; NumVgprs: 57
; ScratchSize: 48
; MemoryBound: 0
; FloatMode: 240
; IeeeMode: 1
; LDSByteSize: 10280 bytes/workgroup (compile time only)
; SGPRBlocks: 7
; VGPRBlocks: 14
; NumSGPRsForWavesPerEU: 61
; NumVGPRsForWavesPerEU: 57
; Occupancy: 4
; WaveLimiterHint : 1
; COMPUTE_PGM_RSRC2:SCRATCH_EN: 1
; COMPUTE_PGM_RSRC2:USER_SGPR: 6
; COMPUTE_PGM_RSRC2:TRAP_HANDLER: 0
; COMPUTE_PGM_RSRC2:TGID_X_EN: 1
; COMPUTE_PGM_RSRC2:TGID_Y_EN: 0
; COMPUTE_PGM_RSRC2:TGID_Z_EN: 0
; COMPUTE_PGM_RSRC2:TIDIG_COMP_CNT: 2
	.section	.text._ZN7rocprim17ROCPRIM_400000_NS6detail17trampoline_kernelINS0_14default_configENS1_35radix_sort_onesweep_config_selectorIilEEZZNS1_29radix_sort_onesweep_iterationIS3_Lb0EPiS7_N6thrust23THRUST_200600_302600_NS10device_ptrIlEESB_jNS0_19identity_decomposerENS1_16block_id_wrapperIjLb0EEEEE10hipError_tT1_PNSt15iterator_traitsISG_E10value_typeET2_T3_PNSH_ISM_E10value_typeET4_T5_PSR_SS_PNS1_23onesweep_lookback_stateEbbT6_jjT7_P12ihipStream_tbENKUlT_T0_SG_SL_E_clIS7_S7_PlSB_EEDaSZ_S10_SG_SL_EUlSZ_E_NS1_11comp_targetILNS1_3genE4ELNS1_11target_archE910ELNS1_3gpuE8ELNS1_3repE0EEENS1_47radix_sort_onesweep_sort_config_static_selectorELNS0_4arch9wavefront6targetE1EEEvSG_,"axG",@progbits,_ZN7rocprim17ROCPRIM_400000_NS6detail17trampoline_kernelINS0_14default_configENS1_35radix_sort_onesweep_config_selectorIilEEZZNS1_29radix_sort_onesweep_iterationIS3_Lb0EPiS7_N6thrust23THRUST_200600_302600_NS10device_ptrIlEESB_jNS0_19identity_decomposerENS1_16block_id_wrapperIjLb0EEEEE10hipError_tT1_PNSt15iterator_traitsISG_E10value_typeET2_T3_PNSH_ISM_E10value_typeET4_T5_PSR_SS_PNS1_23onesweep_lookback_stateEbbT6_jjT7_P12ihipStream_tbENKUlT_T0_SG_SL_E_clIS7_S7_PlSB_EEDaSZ_S10_SG_SL_EUlSZ_E_NS1_11comp_targetILNS1_3genE4ELNS1_11target_archE910ELNS1_3gpuE8ELNS1_3repE0EEENS1_47radix_sort_onesweep_sort_config_static_selectorELNS0_4arch9wavefront6targetE1EEEvSG_,comdat
	.protected	_ZN7rocprim17ROCPRIM_400000_NS6detail17trampoline_kernelINS0_14default_configENS1_35radix_sort_onesweep_config_selectorIilEEZZNS1_29radix_sort_onesweep_iterationIS3_Lb0EPiS7_N6thrust23THRUST_200600_302600_NS10device_ptrIlEESB_jNS0_19identity_decomposerENS1_16block_id_wrapperIjLb0EEEEE10hipError_tT1_PNSt15iterator_traitsISG_E10value_typeET2_T3_PNSH_ISM_E10value_typeET4_T5_PSR_SS_PNS1_23onesweep_lookback_stateEbbT6_jjT7_P12ihipStream_tbENKUlT_T0_SG_SL_E_clIS7_S7_PlSB_EEDaSZ_S10_SG_SL_EUlSZ_E_NS1_11comp_targetILNS1_3genE4ELNS1_11target_archE910ELNS1_3gpuE8ELNS1_3repE0EEENS1_47radix_sort_onesweep_sort_config_static_selectorELNS0_4arch9wavefront6targetE1EEEvSG_ ; -- Begin function _ZN7rocprim17ROCPRIM_400000_NS6detail17trampoline_kernelINS0_14default_configENS1_35radix_sort_onesweep_config_selectorIilEEZZNS1_29radix_sort_onesweep_iterationIS3_Lb0EPiS7_N6thrust23THRUST_200600_302600_NS10device_ptrIlEESB_jNS0_19identity_decomposerENS1_16block_id_wrapperIjLb0EEEEE10hipError_tT1_PNSt15iterator_traitsISG_E10value_typeET2_T3_PNSH_ISM_E10value_typeET4_T5_PSR_SS_PNS1_23onesweep_lookback_stateEbbT6_jjT7_P12ihipStream_tbENKUlT_T0_SG_SL_E_clIS7_S7_PlSB_EEDaSZ_S10_SG_SL_EUlSZ_E_NS1_11comp_targetILNS1_3genE4ELNS1_11target_archE910ELNS1_3gpuE8ELNS1_3repE0EEENS1_47radix_sort_onesweep_sort_config_static_selectorELNS0_4arch9wavefront6targetE1EEEvSG_
	.globl	_ZN7rocprim17ROCPRIM_400000_NS6detail17trampoline_kernelINS0_14default_configENS1_35radix_sort_onesweep_config_selectorIilEEZZNS1_29radix_sort_onesweep_iterationIS3_Lb0EPiS7_N6thrust23THRUST_200600_302600_NS10device_ptrIlEESB_jNS0_19identity_decomposerENS1_16block_id_wrapperIjLb0EEEEE10hipError_tT1_PNSt15iterator_traitsISG_E10value_typeET2_T3_PNSH_ISM_E10value_typeET4_T5_PSR_SS_PNS1_23onesweep_lookback_stateEbbT6_jjT7_P12ihipStream_tbENKUlT_T0_SG_SL_E_clIS7_S7_PlSB_EEDaSZ_S10_SG_SL_EUlSZ_E_NS1_11comp_targetILNS1_3genE4ELNS1_11target_archE910ELNS1_3gpuE8ELNS1_3repE0EEENS1_47radix_sort_onesweep_sort_config_static_selectorELNS0_4arch9wavefront6targetE1EEEvSG_
	.p2align	8
	.type	_ZN7rocprim17ROCPRIM_400000_NS6detail17trampoline_kernelINS0_14default_configENS1_35radix_sort_onesweep_config_selectorIilEEZZNS1_29radix_sort_onesweep_iterationIS3_Lb0EPiS7_N6thrust23THRUST_200600_302600_NS10device_ptrIlEESB_jNS0_19identity_decomposerENS1_16block_id_wrapperIjLb0EEEEE10hipError_tT1_PNSt15iterator_traitsISG_E10value_typeET2_T3_PNSH_ISM_E10value_typeET4_T5_PSR_SS_PNS1_23onesweep_lookback_stateEbbT6_jjT7_P12ihipStream_tbENKUlT_T0_SG_SL_E_clIS7_S7_PlSB_EEDaSZ_S10_SG_SL_EUlSZ_E_NS1_11comp_targetILNS1_3genE4ELNS1_11target_archE910ELNS1_3gpuE8ELNS1_3repE0EEENS1_47radix_sort_onesweep_sort_config_static_selectorELNS0_4arch9wavefront6targetE1EEEvSG_,@function
_ZN7rocprim17ROCPRIM_400000_NS6detail17trampoline_kernelINS0_14default_configENS1_35radix_sort_onesweep_config_selectorIilEEZZNS1_29radix_sort_onesweep_iterationIS3_Lb0EPiS7_N6thrust23THRUST_200600_302600_NS10device_ptrIlEESB_jNS0_19identity_decomposerENS1_16block_id_wrapperIjLb0EEEEE10hipError_tT1_PNSt15iterator_traitsISG_E10value_typeET2_T3_PNSH_ISM_E10value_typeET4_T5_PSR_SS_PNS1_23onesweep_lookback_stateEbbT6_jjT7_P12ihipStream_tbENKUlT_T0_SG_SL_E_clIS7_S7_PlSB_EEDaSZ_S10_SG_SL_EUlSZ_E_NS1_11comp_targetILNS1_3genE4ELNS1_11target_archE910ELNS1_3gpuE8ELNS1_3repE0EEENS1_47radix_sort_onesweep_sort_config_static_selectorELNS0_4arch9wavefront6targetE1EEEvSG_: ; @_ZN7rocprim17ROCPRIM_400000_NS6detail17trampoline_kernelINS0_14default_configENS1_35radix_sort_onesweep_config_selectorIilEEZZNS1_29radix_sort_onesweep_iterationIS3_Lb0EPiS7_N6thrust23THRUST_200600_302600_NS10device_ptrIlEESB_jNS0_19identity_decomposerENS1_16block_id_wrapperIjLb0EEEEE10hipError_tT1_PNSt15iterator_traitsISG_E10value_typeET2_T3_PNSH_ISM_E10value_typeET4_T5_PSR_SS_PNS1_23onesweep_lookback_stateEbbT6_jjT7_P12ihipStream_tbENKUlT_T0_SG_SL_E_clIS7_S7_PlSB_EEDaSZ_S10_SG_SL_EUlSZ_E_NS1_11comp_targetILNS1_3genE4ELNS1_11target_archE910ELNS1_3gpuE8ELNS1_3repE0EEENS1_47radix_sort_onesweep_sort_config_static_selectorELNS0_4arch9wavefront6targetE1EEEvSG_
; %bb.0:
	.section	.rodata,"a",@progbits
	.p2align	6, 0x0
	.amdhsa_kernel _ZN7rocprim17ROCPRIM_400000_NS6detail17trampoline_kernelINS0_14default_configENS1_35radix_sort_onesweep_config_selectorIilEEZZNS1_29radix_sort_onesweep_iterationIS3_Lb0EPiS7_N6thrust23THRUST_200600_302600_NS10device_ptrIlEESB_jNS0_19identity_decomposerENS1_16block_id_wrapperIjLb0EEEEE10hipError_tT1_PNSt15iterator_traitsISG_E10value_typeET2_T3_PNSH_ISM_E10value_typeET4_T5_PSR_SS_PNS1_23onesweep_lookback_stateEbbT6_jjT7_P12ihipStream_tbENKUlT_T0_SG_SL_E_clIS7_S7_PlSB_EEDaSZ_S10_SG_SL_EUlSZ_E_NS1_11comp_targetILNS1_3genE4ELNS1_11target_archE910ELNS1_3gpuE8ELNS1_3repE0EEENS1_47radix_sort_onesweep_sort_config_static_selectorELNS0_4arch9wavefront6targetE1EEEvSG_
		.amdhsa_group_segment_fixed_size 0
		.amdhsa_private_segment_fixed_size 0
		.amdhsa_kernarg_size 88
		.amdhsa_user_sgpr_count 6
		.amdhsa_user_sgpr_private_segment_buffer 1
		.amdhsa_user_sgpr_dispatch_ptr 0
		.amdhsa_user_sgpr_queue_ptr 0
		.amdhsa_user_sgpr_kernarg_segment_ptr 1
		.amdhsa_user_sgpr_dispatch_id 0
		.amdhsa_user_sgpr_flat_scratch_init 0
		.amdhsa_user_sgpr_private_segment_size 0
		.amdhsa_uses_dynamic_stack 0
		.amdhsa_system_sgpr_private_segment_wavefront_offset 0
		.amdhsa_system_sgpr_workgroup_id_x 1
		.amdhsa_system_sgpr_workgroup_id_y 0
		.amdhsa_system_sgpr_workgroup_id_z 0
		.amdhsa_system_sgpr_workgroup_info 0
		.amdhsa_system_vgpr_workitem_id 0
		.amdhsa_next_free_vgpr 1
		.amdhsa_next_free_sgpr 0
		.amdhsa_reserve_vcc 0
		.amdhsa_reserve_flat_scratch 0
		.amdhsa_float_round_mode_32 0
		.amdhsa_float_round_mode_16_64 0
		.amdhsa_float_denorm_mode_32 3
		.amdhsa_float_denorm_mode_16_64 3
		.amdhsa_dx10_clamp 1
		.amdhsa_ieee_mode 1
		.amdhsa_fp16_overflow 0
		.amdhsa_exception_fp_ieee_invalid_op 0
		.amdhsa_exception_fp_denorm_src 0
		.amdhsa_exception_fp_ieee_div_zero 0
		.amdhsa_exception_fp_ieee_overflow 0
		.amdhsa_exception_fp_ieee_underflow 0
		.amdhsa_exception_fp_ieee_inexact 0
		.amdhsa_exception_int_div_zero 0
	.end_amdhsa_kernel
	.section	.text._ZN7rocprim17ROCPRIM_400000_NS6detail17trampoline_kernelINS0_14default_configENS1_35radix_sort_onesweep_config_selectorIilEEZZNS1_29radix_sort_onesweep_iterationIS3_Lb0EPiS7_N6thrust23THRUST_200600_302600_NS10device_ptrIlEESB_jNS0_19identity_decomposerENS1_16block_id_wrapperIjLb0EEEEE10hipError_tT1_PNSt15iterator_traitsISG_E10value_typeET2_T3_PNSH_ISM_E10value_typeET4_T5_PSR_SS_PNS1_23onesweep_lookback_stateEbbT6_jjT7_P12ihipStream_tbENKUlT_T0_SG_SL_E_clIS7_S7_PlSB_EEDaSZ_S10_SG_SL_EUlSZ_E_NS1_11comp_targetILNS1_3genE4ELNS1_11target_archE910ELNS1_3gpuE8ELNS1_3repE0EEENS1_47radix_sort_onesweep_sort_config_static_selectorELNS0_4arch9wavefront6targetE1EEEvSG_,"axG",@progbits,_ZN7rocprim17ROCPRIM_400000_NS6detail17trampoline_kernelINS0_14default_configENS1_35radix_sort_onesweep_config_selectorIilEEZZNS1_29radix_sort_onesweep_iterationIS3_Lb0EPiS7_N6thrust23THRUST_200600_302600_NS10device_ptrIlEESB_jNS0_19identity_decomposerENS1_16block_id_wrapperIjLb0EEEEE10hipError_tT1_PNSt15iterator_traitsISG_E10value_typeET2_T3_PNSH_ISM_E10value_typeET4_T5_PSR_SS_PNS1_23onesweep_lookback_stateEbbT6_jjT7_P12ihipStream_tbENKUlT_T0_SG_SL_E_clIS7_S7_PlSB_EEDaSZ_S10_SG_SL_EUlSZ_E_NS1_11comp_targetILNS1_3genE4ELNS1_11target_archE910ELNS1_3gpuE8ELNS1_3repE0EEENS1_47radix_sort_onesweep_sort_config_static_selectorELNS0_4arch9wavefront6targetE1EEEvSG_,comdat
.Lfunc_end915:
	.size	_ZN7rocprim17ROCPRIM_400000_NS6detail17trampoline_kernelINS0_14default_configENS1_35radix_sort_onesweep_config_selectorIilEEZZNS1_29radix_sort_onesweep_iterationIS3_Lb0EPiS7_N6thrust23THRUST_200600_302600_NS10device_ptrIlEESB_jNS0_19identity_decomposerENS1_16block_id_wrapperIjLb0EEEEE10hipError_tT1_PNSt15iterator_traitsISG_E10value_typeET2_T3_PNSH_ISM_E10value_typeET4_T5_PSR_SS_PNS1_23onesweep_lookback_stateEbbT6_jjT7_P12ihipStream_tbENKUlT_T0_SG_SL_E_clIS7_S7_PlSB_EEDaSZ_S10_SG_SL_EUlSZ_E_NS1_11comp_targetILNS1_3genE4ELNS1_11target_archE910ELNS1_3gpuE8ELNS1_3repE0EEENS1_47radix_sort_onesweep_sort_config_static_selectorELNS0_4arch9wavefront6targetE1EEEvSG_, .Lfunc_end915-_ZN7rocprim17ROCPRIM_400000_NS6detail17trampoline_kernelINS0_14default_configENS1_35radix_sort_onesweep_config_selectorIilEEZZNS1_29radix_sort_onesweep_iterationIS3_Lb0EPiS7_N6thrust23THRUST_200600_302600_NS10device_ptrIlEESB_jNS0_19identity_decomposerENS1_16block_id_wrapperIjLb0EEEEE10hipError_tT1_PNSt15iterator_traitsISG_E10value_typeET2_T3_PNSH_ISM_E10value_typeET4_T5_PSR_SS_PNS1_23onesweep_lookback_stateEbbT6_jjT7_P12ihipStream_tbENKUlT_T0_SG_SL_E_clIS7_S7_PlSB_EEDaSZ_S10_SG_SL_EUlSZ_E_NS1_11comp_targetILNS1_3genE4ELNS1_11target_archE910ELNS1_3gpuE8ELNS1_3repE0EEENS1_47radix_sort_onesweep_sort_config_static_selectorELNS0_4arch9wavefront6targetE1EEEvSG_
                                        ; -- End function
	.set _ZN7rocprim17ROCPRIM_400000_NS6detail17trampoline_kernelINS0_14default_configENS1_35radix_sort_onesweep_config_selectorIilEEZZNS1_29radix_sort_onesweep_iterationIS3_Lb0EPiS7_N6thrust23THRUST_200600_302600_NS10device_ptrIlEESB_jNS0_19identity_decomposerENS1_16block_id_wrapperIjLb0EEEEE10hipError_tT1_PNSt15iterator_traitsISG_E10value_typeET2_T3_PNSH_ISM_E10value_typeET4_T5_PSR_SS_PNS1_23onesweep_lookback_stateEbbT6_jjT7_P12ihipStream_tbENKUlT_T0_SG_SL_E_clIS7_S7_PlSB_EEDaSZ_S10_SG_SL_EUlSZ_E_NS1_11comp_targetILNS1_3genE4ELNS1_11target_archE910ELNS1_3gpuE8ELNS1_3repE0EEENS1_47radix_sort_onesweep_sort_config_static_selectorELNS0_4arch9wavefront6targetE1EEEvSG_.num_vgpr, 0
	.set _ZN7rocprim17ROCPRIM_400000_NS6detail17trampoline_kernelINS0_14default_configENS1_35radix_sort_onesweep_config_selectorIilEEZZNS1_29radix_sort_onesweep_iterationIS3_Lb0EPiS7_N6thrust23THRUST_200600_302600_NS10device_ptrIlEESB_jNS0_19identity_decomposerENS1_16block_id_wrapperIjLb0EEEEE10hipError_tT1_PNSt15iterator_traitsISG_E10value_typeET2_T3_PNSH_ISM_E10value_typeET4_T5_PSR_SS_PNS1_23onesweep_lookback_stateEbbT6_jjT7_P12ihipStream_tbENKUlT_T0_SG_SL_E_clIS7_S7_PlSB_EEDaSZ_S10_SG_SL_EUlSZ_E_NS1_11comp_targetILNS1_3genE4ELNS1_11target_archE910ELNS1_3gpuE8ELNS1_3repE0EEENS1_47radix_sort_onesweep_sort_config_static_selectorELNS0_4arch9wavefront6targetE1EEEvSG_.num_agpr, 0
	.set _ZN7rocprim17ROCPRIM_400000_NS6detail17trampoline_kernelINS0_14default_configENS1_35radix_sort_onesweep_config_selectorIilEEZZNS1_29radix_sort_onesweep_iterationIS3_Lb0EPiS7_N6thrust23THRUST_200600_302600_NS10device_ptrIlEESB_jNS0_19identity_decomposerENS1_16block_id_wrapperIjLb0EEEEE10hipError_tT1_PNSt15iterator_traitsISG_E10value_typeET2_T3_PNSH_ISM_E10value_typeET4_T5_PSR_SS_PNS1_23onesweep_lookback_stateEbbT6_jjT7_P12ihipStream_tbENKUlT_T0_SG_SL_E_clIS7_S7_PlSB_EEDaSZ_S10_SG_SL_EUlSZ_E_NS1_11comp_targetILNS1_3genE4ELNS1_11target_archE910ELNS1_3gpuE8ELNS1_3repE0EEENS1_47radix_sort_onesweep_sort_config_static_selectorELNS0_4arch9wavefront6targetE1EEEvSG_.numbered_sgpr, 0
	.set _ZN7rocprim17ROCPRIM_400000_NS6detail17trampoline_kernelINS0_14default_configENS1_35radix_sort_onesweep_config_selectorIilEEZZNS1_29radix_sort_onesweep_iterationIS3_Lb0EPiS7_N6thrust23THRUST_200600_302600_NS10device_ptrIlEESB_jNS0_19identity_decomposerENS1_16block_id_wrapperIjLb0EEEEE10hipError_tT1_PNSt15iterator_traitsISG_E10value_typeET2_T3_PNSH_ISM_E10value_typeET4_T5_PSR_SS_PNS1_23onesweep_lookback_stateEbbT6_jjT7_P12ihipStream_tbENKUlT_T0_SG_SL_E_clIS7_S7_PlSB_EEDaSZ_S10_SG_SL_EUlSZ_E_NS1_11comp_targetILNS1_3genE4ELNS1_11target_archE910ELNS1_3gpuE8ELNS1_3repE0EEENS1_47radix_sort_onesweep_sort_config_static_selectorELNS0_4arch9wavefront6targetE1EEEvSG_.num_named_barrier, 0
	.set _ZN7rocprim17ROCPRIM_400000_NS6detail17trampoline_kernelINS0_14default_configENS1_35radix_sort_onesweep_config_selectorIilEEZZNS1_29radix_sort_onesweep_iterationIS3_Lb0EPiS7_N6thrust23THRUST_200600_302600_NS10device_ptrIlEESB_jNS0_19identity_decomposerENS1_16block_id_wrapperIjLb0EEEEE10hipError_tT1_PNSt15iterator_traitsISG_E10value_typeET2_T3_PNSH_ISM_E10value_typeET4_T5_PSR_SS_PNS1_23onesweep_lookback_stateEbbT6_jjT7_P12ihipStream_tbENKUlT_T0_SG_SL_E_clIS7_S7_PlSB_EEDaSZ_S10_SG_SL_EUlSZ_E_NS1_11comp_targetILNS1_3genE4ELNS1_11target_archE910ELNS1_3gpuE8ELNS1_3repE0EEENS1_47radix_sort_onesweep_sort_config_static_selectorELNS0_4arch9wavefront6targetE1EEEvSG_.private_seg_size, 0
	.set _ZN7rocprim17ROCPRIM_400000_NS6detail17trampoline_kernelINS0_14default_configENS1_35radix_sort_onesweep_config_selectorIilEEZZNS1_29radix_sort_onesweep_iterationIS3_Lb0EPiS7_N6thrust23THRUST_200600_302600_NS10device_ptrIlEESB_jNS0_19identity_decomposerENS1_16block_id_wrapperIjLb0EEEEE10hipError_tT1_PNSt15iterator_traitsISG_E10value_typeET2_T3_PNSH_ISM_E10value_typeET4_T5_PSR_SS_PNS1_23onesweep_lookback_stateEbbT6_jjT7_P12ihipStream_tbENKUlT_T0_SG_SL_E_clIS7_S7_PlSB_EEDaSZ_S10_SG_SL_EUlSZ_E_NS1_11comp_targetILNS1_3genE4ELNS1_11target_archE910ELNS1_3gpuE8ELNS1_3repE0EEENS1_47radix_sort_onesweep_sort_config_static_selectorELNS0_4arch9wavefront6targetE1EEEvSG_.uses_vcc, 0
	.set _ZN7rocprim17ROCPRIM_400000_NS6detail17trampoline_kernelINS0_14default_configENS1_35radix_sort_onesweep_config_selectorIilEEZZNS1_29radix_sort_onesweep_iterationIS3_Lb0EPiS7_N6thrust23THRUST_200600_302600_NS10device_ptrIlEESB_jNS0_19identity_decomposerENS1_16block_id_wrapperIjLb0EEEEE10hipError_tT1_PNSt15iterator_traitsISG_E10value_typeET2_T3_PNSH_ISM_E10value_typeET4_T5_PSR_SS_PNS1_23onesweep_lookback_stateEbbT6_jjT7_P12ihipStream_tbENKUlT_T0_SG_SL_E_clIS7_S7_PlSB_EEDaSZ_S10_SG_SL_EUlSZ_E_NS1_11comp_targetILNS1_3genE4ELNS1_11target_archE910ELNS1_3gpuE8ELNS1_3repE0EEENS1_47radix_sort_onesweep_sort_config_static_selectorELNS0_4arch9wavefront6targetE1EEEvSG_.uses_flat_scratch, 0
	.set _ZN7rocprim17ROCPRIM_400000_NS6detail17trampoline_kernelINS0_14default_configENS1_35radix_sort_onesweep_config_selectorIilEEZZNS1_29radix_sort_onesweep_iterationIS3_Lb0EPiS7_N6thrust23THRUST_200600_302600_NS10device_ptrIlEESB_jNS0_19identity_decomposerENS1_16block_id_wrapperIjLb0EEEEE10hipError_tT1_PNSt15iterator_traitsISG_E10value_typeET2_T3_PNSH_ISM_E10value_typeET4_T5_PSR_SS_PNS1_23onesweep_lookback_stateEbbT6_jjT7_P12ihipStream_tbENKUlT_T0_SG_SL_E_clIS7_S7_PlSB_EEDaSZ_S10_SG_SL_EUlSZ_E_NS1_11comp_targetILNS1_3genE4ELNS1_11target_archE910ELNS1_3gpuE8ELNS1_3repE0EEENS1_47radix_sort_onesweep_sort_config_static_selectorELNS0_4arch9wavefront6targetE1EEEvSG_.has_dyn_sized_stack, 0
	.set _ZN7rocprim17ROCPRIM_400000_NS6detail17trampoline_kernelINS0_14default_configENS1_35radix_sort_onesweep_config_selectorIilEEZZNS1_29radix_sort_onesweep_iterationIS3_Lb0EPiS7_N6thrust23THRUST_200600_302600_NS10device_ptrIlEESB_jNS0_19identity_decomposerENS1_16block_id_wrapperIjLb0EEEEE10hipError_tT1_PNSt15iterator_traitsISG_E10value_typeET2_T3_PNSH_ISM_E10value_typeET4_T5_PSR_SS_PNS1_23onesweep_lookback_stateEbbT6_jjT7_P12ihipStream_tbENKUlT_T0_SG_SL_E_clIS7_S7_PlSB_EEDaSZ_S10_SG_SL_EUlSZ_E_NS1_11comp_targetILNS1_3genE4ELNS1_11target_archE910ELNS1_3gpuE8ELNS1_3repE0EEENS1_47radix_sort_onesweep_sort_config_static_selectorELNS0_4arch9wavefront6targetE1EEEvSG_.has_recursion, 0
	.set _ZN7rocprim17ROCPRIM_400000_NS6detail17trampoline_kernelINS0_14default_configENS1_35radix_sort_onesweep_config_selectorIilEEZZNS1_29radix_sort_onesweep_iterationIS3_Lb0EPiS7_N6thrust23THRUST_200600_302600_NS10device_ptrIlEESB_jNS0_19identity_decomposerENS1_16block_id_wrapperIjLb0EEEEE10hipError_tT1_PNSt15iterator_traitsISG_E10value_typeET2_T3_PNSH_ISM_E10value_typeET4_T5_PSR_SS_PNS1_23onesweep_lookback_stateEbbT6_jjT7_P12ihipStream_tbENKUlT_T0_SG_SL_E_clIS7_S7_PlSB_EEDaSZ_S10_SG_SL_EUlSZ_E_NS1_11comp_targetILNS1_3genE4ELNS1_11target_archE910ELNS1_3gpuE8ELNS1_3repE0EEENS1_47radix_sort_onesweep_sort_config_static_selectorELNS0_4arch9wavefront6targetE1EEEvSG_.has_indirect_call, 0
	.section	.AMDGPU.csdata,"",@progbits
; Kernel info:
; codeLenInByte = 0
; TotalNumSgprs: 4
; NumVgprs: 0
; ScratchSize: 0
; MemoryBound: 0
; FloatMode: 240
; IeeeMode: 1
; LDSByteSize: 0 bytes/workgroup (compile time only)
; SGPRBlocks: 0
; VGPRBlocks: 0
; NumSGPRsForWavesPerEU: 4
; NumVGPRsForWavesPerEU: 1
; Occupancy: 10
; WaveLimiterHint : 0
; COMPUTE_PGM_RSRC2:SCRATCH_EN: 0
; COMPUTE_PGM_RSRC2:USER_SGPR: 6
; COMPUTE_PGM_RSRC2:TRAP_HANDLER: 0
; COMPUTE_PGM_RSRC2:TGID_X_EN: 1
; COMPUTE_PGM_RSRC2:TGID_Y_EN: 0
; COMPUTE_PGM_RSRC2:TGID_Z_EN: 0
; COMPUTE_PGM_RSRC2:TIDIG_COMP_CNT: 0
	.section	.text._ZN7rocprim17ROCPRIM_400000_NS6detail17trampoline_kernelINS0_14default_configENS1_35radix_sort_onesweep_config_selectorIilEEZZNS1_29radix_sort_onesweep_iterationIS3_Lb0EPiS7_N6thrust23THRUST_200600_302600_NS10device_ptrIlEESB_jNS0_19identity_decomposerENS1_16block_id_wrapperIjLb0EEEEE10hipError_tT1_PNSt15iterator_traitsISG_E10value_typeET2_T3_PNSH_ISM_E10value_typeET4_T5_PSR_SS_PNS1_23onesweep_lookback_stateEbbT6_jjT7_P12ihipStream_tbENKUlT_T0_SG_SL_E_clIS7_S7_PlSB_EEDaSZ_S10_SG_SL_EUlSZ_E_NS1_11comp_targetILNS1_3genE3ELNS1_11target_archE908ELNS1_3gpuE7ELNS1_3repE0EEENS1_47radix_sort_onesweep_sort_config_static_selectorELNS0_4arch9wavefront6targetE1EEEvSG_,"axG",@progbits,_ZN7rocprim17ROCPRIM_400000_NS6detail17trampoline_kernelINS0_14default_configENS1_35radix_sort_onesweep_config_selectorIilEEZZNS1_29radix_sort_onesweep_iterationIS3_Lb0EPiS7_N6thrust23THRUST_200600_302600_NS10device_ptrIlEESB_jNS0_19identity_decomposerENS1_16block_id_wrapperIjLb0EEEEE10hipError_tT1_PNSt15iterator_traitsISG_E10value_typeET2_T3_PNSH_ISM_E10value_typeET4_T5_PSR_SS_PNS1_23onesweep_lookback_stateEbbT6_jjT7_P12ihipStream_tbENKUlT_T0_SG_SL_E_clIS7_S7_PlSB_EEDaSZ_S10_SG_SL_EUlSZ_E_NS1_11comp_targetILNS1_3genE3ELNS1_11target_archE908ELNS1_3gpuE7ELNS1_3repE0EEENS1_47radix_sort_onesweep_sort_config_static_selectorELNS0_4arch9wavefront6targetE1EEEvSG_,comdat
	.protected	_ZN7rocprim17ROCPRIM_400000_NS6detail17trampoline_kernelINS0_14default_configENS1_35radix_sort_onesweep_config_selectorIilEEZZNS1_29radix_sort_onesweep_iterationIS3_Lb0EPiS7_N6thrust23THRUST_200600_302600_NS10device_ptrIlEESB_jNS0_19identity_decomposerENS1_16block_id_wrapperIjLb0EEEEE10hipError_tT1_PNSt15iterator_traitsISG_E10value_typeET2_T3_PNSH_ISM_E10value_typeET4_T5_PSR_SS_PNS1_23onesweep_lookback_stateEbbT6_jjT7_P12ihipStream_tbENKUlT_T0_SG_SL_E_clIS7_S7_PlSB_EEDaSZ_S10_SG_SL_EUlSZ_E_NS1_11comp_targetILNS1_3genE3ELNS1_11target_archE908ELNS1_3gpuE7ELNS1_3repE0EEENS1_47radix_sort_onesweep_sort_config_static_selectorELNS0_4arch9wavefront6targetE1EEEvSG_ ; -- Begin function _ZN7rocprim17ROCPRIM_400000_NS6detail17trampoline_kernelINS0_14default_configENS1_35radix_sort_onesweep_config_selectorIilEEZZNS1_29radix_sort_onesweep_iterationIS3_Lb0EPiS7_N6thrust23THRUST_200600_302600_NS10device_ptrIlEESB_jNS0_19identity_decomposerENS1_16block_id_wrapperIjLb0EEEEE10hipError_tT1_PNSt15iterator_traitsISG_E10value_typeET2_T3_PNSH_ISM_E10value_typeET4_T5_PSR_SS_PNS1_23onesweep_lookback_stateEbbT6_jjT7_P12ihipStream_tbENKUlT_T0_SG_SL_E_clIS7_S7_PlSB_EEDaSZ_S10_SG_SL_EUlSZ_E_NS1_11comp_targetILNS1_3genE3ELNS1_11target_archE908ELNS1_3gpuE7ELNS1_3repE0EEENS1_47radix_sort_onesweep_sort_config_static_selectorELNS0_4arch9wavefront6targetE1EEEvSG_
	.globl	_ZN7rocprim17ROCPRIM_400000_NS6detail17trampoline_kernelINS0_14default_configENS1_35radix_sort_onesweep_config_selectorIilEEZZNS1_29radix_sort_onesweep_iterationIS3_Lb0EPiS7_N6thrust23THRUST_200600_302600_NS10device_ptrIlEESB_jNS0_19identity_decomposerENS1_16block_id_wrapperIjLb0EEEEE10hipError_tT1_PNSt15iterator_traitsISG_E10value_typeET2_T3_PNSH_ISM_E10value_typeET4_T5_PSR_SS_PNS1_23onesweep_lookback_stateEbbT6_jjT7_P12ihipStream_tbENKUlT_T0_SG_SL_E_clIS7_S7_PlSB_EEDaSZ_S10_SG_SL_EUlSZ_E_NS1_11comp_targetILNS1_3genE3ELNS1_11target_archE908ELNS1_3gpuE7ELNS1_3repE0EEENS1_47radix_sort_onesweep_sort_config_static_selectorELNS0_4arch9wavefront6targetE1EEEvSG_
	.p2align	8
	.type	_ZN7rocprim17ROCPRIM_400000_NS6detail17trampoline_kernelINS0_14default_configENS1_35radix_sort_onesweep_config_selectorIilEEZZNS1_29radix_sort_onesweep_iterationIS3_Lb0EPiS7_N6thrust23THRUST_200600_302600_NS10device_ptrIlEESB_jNS0_19identity_decomposerENS1_16block_id_wrapperIjLb0EEEEE10hipError_tT1_PNSt15iterator_traitsISG_E10value_typeET2_T3_PNSH_ISM_E10value_typeET4_T5_PSR_SS_PNS1_23onesweep_lookback_stateEbbT6_jjT7_P12ihipStream_tbENKUlT_T0_SG_SL_E_clIS7_S7_PlSB_EEDaSZ_S10_SG_SL_EUlSZ_E_NS1_11comp_targetILNS1_3genE3ELNS1_11target_archE908ELNS1_3gpuE7ELNS1_3repE0EEENS1_47radix_sort_onesweep_sort_config_static_selectorELNS0_4arch9wavefront6targetE1EEEvSG_,@function
_ZN7rocprim17ROCPRIM_400000_NS6detail17trampoline_kernelINS0_14default_configENS1_35radix_sort_onesweep_config_selectorIilEEZZNS1_29radix_sort_onesweep_iterationIS3_Lb0EPiS7_N6thrust23THRUST_200600_302600_NS10device_ptrIlEESB_jNS0_19identity_decomposerENS1_16block_id_wrapperIjLb0EEEEE10hipError_tT1_PNSt15iterator_traitsISG_E10value_typeET2_T3_PNSH_ISM_E10value_typeET4_T5_PSR_SS_PNS1_23onesweep_lookback_stateEbbT6_jjT7_P12ihipStream_tbENKUlT_T0_SG_SL_E_clIS7_S7_PlSB_EEDaSZ_S10_SG_SL_EUlSZ_E_NS1_11comp_targetILNS1_3genE3ELNS1_11target_archE908ELNS1_3gpuE7ELNS1_3repE0EEENS1_47radix_sort_onesweep_sort_config_static_selectorELNS0_4arch9wavefront6targetE1EEEvSG_: ; @_ZN7rocprim17ROCPRIM_400000_NS6detail17trampoline_kernelINS0_14default_configENS1_35radix_sort_onesweep_config_selectorIilEEZZNS1_29radix_sort_onesweep_iterationIS3_Lb0EPiS7_N6thrust23THRUST_200600_302600_NS10device_ptrIlEESB_jNS0_19identity_decomposerENS1_16block_id_wrapperIjLb0EEEEE10hipError_tT1_PNSt15iterator_traitsISG_E10value_typeET2_T3_PNSH_ISM_E10value_typeET4_T5_PSR_SS_PNS1_23onesweep_lookback_stateEbbT6_jjT7_P12ihipStream_tbENKUlT_T0_SG_SL_E_clIS7_S7_PlSB_EEDaSZ_S10_SG_SL_EUlSZ_E_NS1_11comp_targetILNS1_3genE3ELNS1_11target_archE908ELNS1_3gpuE7ELNS1_3repE0EEENS1_47radix_sort_onesweep_sort_config_static_selectorELNS0_4arch9wavefront6targetE1EEEvSG_
; %bb.0:
	.section	.rodata,"a",@progbits
	.p2align	6, 0x0
	.amdhsa_kernel _ZN7rocprim17ROCPRIM_400000_NS6detail17trampoline_kernelINS0_14default_configENS1_35radix_sort_onesweep_config_selectorIilEEZZNS1_29radix_sort_onesweep_iterationIS3_Lb0EPiS7_N6thrust23THRUST_200600_302600_NS10device_ptrIlEESB_jNS0_19identity_decomposerENS1_16block_id_wrapperIjLb0EEEEE10hipError_tT1_PNSt15iterator_traitsISG_E10value_typeET2_T3_PNSH_ISM_E10value_typeET4_T5_PSR_SS_PNS1_23onesweep_lookback_stateEbbT6_jjT7_P12ihipStream_tbENKUlT_T0_SG_SL_E_clIS7_S7_PlSB_EEDaSZ_S10_SG_SL_EUlSZ_E_NS1_11comp_targetILNS1_3genE3ELNS1_11target_archE908ELNS1_3gpuE7ELNS1_3repE0EEENS1_47radix_sort_onesweep_sort_config_static_selectorELNS0_4arch9wavefront6targetE1EEEvSG_
		.amdhsa_group_segment_fixed_size 0
		.amdhsa_private_segment_fixed_size 0
		.amdhsa_kernarg_size 88
		.amdhsa_user_sgpr_count 6
		.amdhsa_user_sgpr_private_segment_buffer 1
		.amdhsa_user_sgpr_dispatch_ptr 0
		.amdhsa_user_sgpr_queue_ptr 0
		.amdhsa_user_sgpr_kernarg_segment_ptr 1
		.amdhsa_user_sgpr_dispatch_id 0
		.amdhsa_user_sgpr_flat_scratch_init 0
		.amdhsa_user_sgpr_private_segment_size 0
		.amdhsa_uses_dynamic_stack 0
		.amdhsa_system_sgpr_private_segment_wavefront_offset 0
		.amdhsa_system_sgpr_workgroup_id_x 1
		.amdhsa_system_sgpr_workgroup_id_y 0
		.amdhsa_system_sgpr_workgroup_id_z 0
		.amdhsa_system_sgpr_workgroup_info 0
		.amdhsa_system_vgpr_workitem_id 0
		.amdhsa_next_free_vgpr 1
		.amdhsa_next_free_sgpr 0
		.amdhsa_reserve_vcc 0
		.amdhsa_reserve_flat_scratch 0
		.amdhsa_float_round_mode_32 0
		.amdhsa_float_round_mode_16_64 0
		.amdhsa_float_denorm_mode_32 3
		.amdhsa_float_denorm_mode_16_64 3
		.amdhsa_dx10_clamp 1
		.amdhsa_ieee_mode 1
		.amdhsa_fp16_overflow 0
		.amdhsa_exception_fp_ieee_invalid_op 0
		.amdhsa_exception_fp_denorm_src 0
		.amdhsa_exception_fp_ieee_div_zero 0
		.amdhsa_exception_fp_ieee_overflow 0
		.amdhsa_exception_fp_ieee_underflow 0
		.amdhsa_exception_fp_ieee_inexact 0
		.amdhsa_exception_int_div_zero 0
	.end_amdhsa_kernel
	.section	.text._ZN7rocprim17ROCPRIM_400000_NS6detail17trampoline_kernelINS0_14default_configENS1_35radix_sort_onesweep_config_selectorIilEEZZNS1_29radix_sort_onesweep_iterationIS3_Lb0EPiS7_N6thrust23THRUST_200600_302600_NS10device_ptrIlEESB_jNS0_19identity_decomposerENS1_16block_id_wrapperIjLb0EEEEE10hipError_tT1_PNSt15iterator_traitsISG_E10value_typeET2_T3_PNSH_ISM_E10value_typeET4_T5_PSR_SS_PNS1_23onesweep_lookback_stateEbbT6_jjT7_P12ihipStream_tbENKUlT_T0_SG_SL_E_clIS7_S7_PlSB_EEDaSZ_S10_SG_SL_EUlSZ_E_NS1_11comp_targetILNS1_3genE3ELNS1_11target_archE908ELNS1_3gpuE7ELNS1_3repE0EEENS1_47radix_sort_onesweep_sort_config_static_selectorELNS0_4arch9wavefront6targetE1EEEvSG_,"axG",@progbits,_ZN7rocprim17ROCPRIM_400000_NS6detail17trampoline_kernelINS0_14default_configENS1_35radix_sort_onesweep_config_selectorIilEEZZNS1_29radix_sort_onesweep_iterationIS3_Lb0EPiS7_N6thrust23THRUST_200600_302600_NS10device_ptrIlEESB_jNS0_19identity_decomposerENS1_16block_id_wrapperIjLb0EEEEE10hipError_tT1_PNSt15iterator_traitsISG_E10value_typeET2_T3_PNSH_ISM_E10value_typeET4_T5_PSR_SS_PNS1_23onesweep_lookback_stateEbbT6_jjT7_P12ihipStream_tbENKUlT_T0_SG_SL_E_clIS7_S7_PlSB_EEDaSZ_S10_SG_SL_EUlSZ_E_NS1_11comp_targetILNS1_3genE3ELNS1_11target_archE908ELNS1_3gpuE7ELNS1_3repE0EEENS1_47radix_sort_onesweep_sort_config_static_selectorELNS0_4arch9wavefront6targetE1EEEvSG_,comdat
.Lfunc_end916:
	.size	_ZN7rocprim17ROCPRIM_400000_NS6detail17trampoline_kernelINS0_14default_configENS1_35radix_sort_onesweep_config_selectorIilEEZZNS1_29radix_sort_onesweep_iterationIS3_Lb0EPiS7_N6thrust23THRUST_200600_302600_NS10device_ptrIlEESB_jNS0_19identity_decomposerENS1_16block_id_wrapperIjLb0EEEEE10hipError_tT1_PNSt15iterator_traitsISG_E10value_typeET2_T3_PNSH_ISM_E10value_typeET4_T5_PSR_SS_PNS1_23onesweep_lookback_stateEbbT6_jjT7_P12ihipStream_tbENKUlT_T0_SG_SL_E_clIS7_S7_PlSB_EEDaSZ_S10_SG_SL_EUlSZ_E_NS1_11comp_targetILNS1_3genE3ELNS1_11target_archE908ELNS1_3gpuE7ELNS1_3repE0EEENS1_47radix_sort_onesweep_sort_config_static_selectorELNS0_4arch9wavefront6targetE1EEEvSG_, .Lfunc_end916-_ZN7rocprim17ROCPRIM_400000_NS6detail17trampoline_kernelINS0_14default_configENS1_35radix_sort_onesweep_config_selectorIilEEZZNS1_29radix_sort_onesweep_iterationIS3_Lb0EPiS7_N6thrust23THRUST_200600_302600_NS10device_ptrIlEESB_jNS0_19identity_decomposerENS1_16block_id_wrapperIjLb0EEEEE10hipError_tT1_PNSt15iterator_traitsISG_E10value_typeET2_T3_PNSH_ISM_E10value_typeET4_T5_PSR_SS_PNS1_23onesweep_lookback_stateEbbT6_jjT7_P12ihipStream_tbENKUlT_T0_SG_SL_E_clIS7_S7_PlSB_EEDaSZ_S10_SG_SL_EUlSZ_E_NS1_11comp_targetILNS1_3genE3ELNS1_11target_archE908ELNS1_3gpuE7ELNS1_3repE0EEENS1_47radix_sort_onesweep_sort_config_static_selectorELNS0_4arch9wavefront6targetE1EEEvSG_
                                        ; -- End function
	.set _ZN7rocprim17ROCPRIM_400000_NS6detail17trampoline_kernelINS0_14default_configENS1_35radix_sort_onesweep_config_selectorIilEEZZNS1_29radix_sort_onesweep_iterationIS3_Lb0EPiS7_N6thrust23THRUST_200600_302600_NS10device_ptrIlEESB_jNS0_19identity_decomposerENS1_16block_id_wrapperIjLb0EEEEE10hipError_tT1_PNSt15iterator_traitsISG_E10value_typeET2_T3_PNSH_ISM_E10value_typeET4_T5_PSR_SS_PNS1_23onesweep_lookback_stateEbbT6_jjT7_P12ihipStream_tbENKUlT_T0_SG_SL_E_clIS7_S7_PlSB_EEDaSZ_S10_SG_SL_EUlSZ_E_NS1_11comp_targetILNS1_3genE3ELNS1_11target_archE908ELNS1_3gpuE7ELNS1_3repE0EEENS1_47radix_sort_onesweep_sort_config_static_selectorELNS0_4arch9wavefront6targetE1EEEvSG_.num_vgpr, 0
	.set _ZN7rocprim17ROCPRIM_400000_NS6detail17trampoline_kernelINS0_14default_configENS1_35radix_sort_onesweep_config_selectorIilEEZZNS1_29radix_sort_onesweep_iterationIS3_Lb0EPiS7_N6thrust23THRUST_200600_302600_NS10device_ptrIlEESB_jNS0_19identity_decomposerENS1_16block_id_wrapperIjLb0EEEEE10hipError_tT1_PNSt15iterator_traitsISG_E10value_typeET2_T3_PNSH_ISM_E10value_typeET4_T5_PSR_SS_PNS1_23onesweep_lookback_stateEbbT6_jjT7_P12ihipStream_tbENKUlT_T0_SG_SL_E_clIS7_S7_PlSB_EEDaSZ_S10_SG_SL_EUlSZ_E_NS1_11comp_targetILNS1_3genE3ELNS1_11target_archE908ELNS1_3gpuE7ELNS1_3repE0EEENS1_47radix_sort_onesweep_sort_config_static_selectorELNS0_4arch9wavefront6targetE1EEEvSG_.num_agpr, 0
	.set _ZN7rocprim17ROCPRIM_400000_NS6detail17trampoline_kernelINS0_14default_configENS1_35radix_sort_onesweep_config_selectorIilEEZZNS1_29radix_sort_onesweep_iterationIS3_Lb0EPiS7_N6thrust23THRUST_200600_302600_NS10device_ptrIlEESB_jNS0_19identity_decomposerENS1_16block_id_wrapperIjLb0EEEEE10hipError_tT1_PNSt15iterator_traitsISG_E10value_typeET2_T3_PNSH_ISM_E10value_typeET4_T5_PSR_SS_PNS1_23onesweep_lookback_stateEbbT6_jjT7_P12ihipStream_tbENKUlT_T0_SG_SL_E_clIS7_S7_PlSB_EEDaSZ_S10_SG_SL_EUlSZ_E_NS1_11comp_targetILNS1_3genE3ELNS1_11target_archE908ELNS1_3gpuE7ELNS1_3repE0EEENS1_47radix_sort_onesweep_sort_config_static_selectorELNS0_4arch9wavefront6targetE1EEEvSG_.numbered_sgpr, 0
	.set _ZN7rocprim17ROCPRIM_400000_NS6detail17trampoline_kernelINS0_14default_configENS1_35radix_sort_onesweep_config_selectorIilEEZZNS1_29radix_sort_onesweep_iterationIS3_Lb0EPiS7_N6thrust23THRUST_200600_302600_NS10device_ptrIlEESB_jNS0_19identity_decomposerENS1_16block_id_wrapperIjLb0EEEEE10hipError_tT1_PNSt15iterator_traitsISG_E10value_typeET2_T3_PNSH_ISM_E10value_typeET4_T5_PSR_SS_PNS1_23onesweep_lookback_stateEbbT6_jjT7_P12ihipStream_tbENKUlT_T0_SG_SL_E_clIS7_S7_PlSB_EEDaSZ_S10_SG_SL_EUlSZ_E_NS1_11comp_targetILNS1_3genE3ELNS1_11target_archE908ELNS1_3gpuE7ELNS1_3repE0EEENS1_47radix_sort_onesweep_sort_config_static_selectorELNS0_4arch9wavefront6targetE1EEEvSG_.num_named_barrier, 0
	.set _ZN7rocprim17ROCPRIM_400000_NS6detail17trampoline_kernelINS0_14default_configENS1_35radix_sort_onesweep_config_selectorIilEEZZNS1_29radix_sort_onesweep_iterationIS3_Lb0EPiS7_N6thrust23THRUST_200600_302600_NS10device_ptrIlEESB_jNS0_19identity_decomposerENS1_16block_id_wrapperIjLb0EEEEE10hipError_tT1_PNSt15iterator_traitsISG_E10value_typeET2_T3_PNSH_ISM_E10value_typeET4_T5_PSR_SS_PNS1_23onesweep_lookback_stateEbbT6_jjT7_P12ihipStream_tbENKUlT_T0_SG_SL_E_clIS7_S7_PlSB_EEDaSZ_S10_SG_SL_EUlSZ_E_NS1_11comp_targetILNS1_3genE3ELNS1_11target_archE908ELNS1_3gpuE7ELNS1_3repE0EEENS1_47radix_sort_onesweep_sort_config_static_selectorELNS0_4arch9wavefront6targetE1EEEvSG_.private_seg_size, 0
	.set _ZN7rocprim17ROCPRIM_400000_NS6detail17trampoline_kernelINS0_14default_configENS1_35radix_sort_onesweep_config_selectorIilEEZZNS1_29radix_sort_onesweep_iterationIS3_Lb0EPiS7_N6thrust23THRUST_200600_302600_NS10device_ptrIlEESB_jNS0_19identity_decomposerENS1_16block_id_wrapperIjLb0EEEEE10hipError_tT1_PNSt15iterator_traitsISG_E10value_typeET2_T3_PNSH_ISM_E10value_typeET4_T5_PSR_SS_PNS1_23onesweep_lookback_stateEbbT6_jjT7_P12ihipStream_tbENKUlT_T0_SG_SL_E_clIS7_S7_PlSB_EEDaSZ_S10_SG_SL_EUlSZ_E_NS1_11comp_targetILNS1_3genE3ELNS1_11target_archE908ELNS1_3gpuE7ELNS1_3repE0EEENS1_47radix_sort_onesweep_sort_config_static_selectorELNS0_4arch9wavefront6targetE1EEEvSG_.uses_vcc, 0
	.set _ZN7rocprim17ROCPRIM_400000_NS6detail17trampoline_kernelINS0_14default_configENS1_35radix_sort_onesweep_config_selectorIilEEZZNS1_29radix_sort_onesweep_iterationIS3_Lb0EPiS7_N6thrust23THRUST_200600_302600_NS10device_ptrIlEESB_jNS0_19identity_decomposerENS1_16block_id_wrapperIjLb0EEEEE10hipError_tT1_PNSt15iterator_traitsISG_E10value_typeET2_T3_PNSH_ISM_E10value_typeET4_T5_PSR_SS_PNS1_23onesweep_lookback_stateEbbT6_jjT7_P12ihipStream_tbENKUlT_T0_SG_SL_E_clIS7_S7_PlSB_EEDaSZ_S10_SG_SL_EUlSZ_E_NS1_11comp_targetILNS1_3genE3ELNS1_11target_archE908ELNS1_3gpuE7ELNS1_3repE0EEENS1_47radix_sort_onesweep_sort_config_static_selectorELNS0_4arch9wavefront6targetE1EEEvSG_.uses_flat_scratch, 0
	.set _ZN7rocprim17ROCPRIM_400000_NS6detail17trampoline_kernelINS0_14default_configENS1_35radix_sort_onesweep_config_selectorIilEEZZNS1_29radix_sort_onesweep_iterationIS3_Lb0EPiS7_N6thrust23THRUST_200600_302600_NS10device_ptrIlEESB_jNS0_19identity_decomposerENS1_16block_id_wrapperIjLb0EEEEE10hipError_tT1_PNSt15iterator_traitsISG_E10value_typeET2_T3_PNSH_ISM_E10value_typeET4_T5_PSR_SS_PNS1_23onesweep_lookback_stateEbbT6_jjT7_P12ihipStream_tbENKUlT_T0_SG_SL_E_clIS7_S7_PlSB_EEDaSZ_S10_SG_SL_EUlSZ_E_NS1_11comp_targetILNS1_3genE3ELNS1_11target_archE908ELNS1_3gpuE7ELNS1_3repE0EEENS1_47radix_sort_onesweep_sort_config_static_selectorELNS0_4arch9wavefront6targetE1EEEvSG_.has_dyn_sized_stack, 0
	.set _ZN7rocprim17ROCPRIM_400000_NS6detail17trampoline_kernelINS0_14default_configENS1_35radix_sort_onesweep_config_selectorIilEEZZNS1_29radix_sort_onesweep_iterationIS3_Lb0EPiS7_N6thrust23THRUST_200600_302600_NS10device_ptrIlEESB_jNS0_19identity_decomposerENS1_16block_id_wrapperIjLb0EEEEE10hipError_tT1_PNSt15iterator_traitsISG_E10value_typeET2_T3_PNSH_ISM_E10value_typeET4_T5_PSR_SS_PNS1_23onesweep_lookback_stateEbbT6_jjT7_P12ihipStream_tbENKUlT_T0_SG_SL_E_clIS7_S7_PlSB_EEDaSZ_S10_SG_SL_EUlSZ_E_NS1_11comp_targetILNS1_3genE3ELNS1_11target_archE908ELNS1_3gpuE7ELNS1_3repE0EEENS1_47radix_sort_onesweep_sort_config_static_selectorELNS0_4arch9wavefront6targetE1EEEvSG_.has_recursion, 0
	.set _ZN7rocprim17ROCPRIM_400000_NS6detail17trampoline_kernelINS0_14default_configENS1_35radix_sort_onesweep_config_selectorIilEEZZNS1_29radix_sort_onesweep_iterationIS3_Lb0EPiS7_N6thrust23THRUST_200600_302600_NS10device_ptrIlEESB_jNS0_19identity_decomposerENS1_16block_id_wrapperIjLb0EEEEE10hipError_tT1_PNSt15iterator_traitsISG_E10value_typeET2_T3_PNSH_ISM_E10value_typeET4_T5_PSR_SS_PNS1_23onesweep_lookback_stateEbbT6_jjT7_P12ihipStream_tbENKUlT_T0_SG_SL_E_clIS7_S7_PlSB_EEDaSZ_S10_SG_SL_EUlSZ_E_NS1_11comp_targetILNS1_3genE3ELNS1_11target_archE908ELNS1_3gpuE7ELNS1_3repE0EEENS1_47radix_sort_onesweep_sort_config_static_selectorELNS0_4arch9wavefront6targetE1EEEvSG_.has_indirect_call, 0
	.section	.AMDGPU.csdata,"",@progbits
; Kernel info:
; codeLenInByte = 0
; TotalNumSgprs: 4
; NumVgprs: 0
; ScratchSize: 0
; MemoryBound: 0
; FloatMode: 240
; IeeeMode: 1
; LDSByteSize: 0 bytes/workgroup (compile time only)
; SGPRBlocks: 0
; VGPRBlocks: 0
; NumSGPRsForWavesPerEU: 4
; NumVGPRsForWavesPerEU: 1
; Occupancy: 10
; WaveLimiterHint : 0
; COMPUTE_PGM_RSRC2:SCRATCH_EN: 0
; COMPUTE_PGM_RSRC2:USER_SGPR: 6
; COMPUTE_PGM_RSRC2:TRAP_HANDLER: 0
; COMPUTE_PGM_RSRC2:TGID_X_EN: 1
; COMPUTE_PGM_RSRC2:TGID_Y_EN: 0
; COMPUTE_PGM_RSRC2:TGID_Z_EN: 0
; COMPUTE_PGM_RSRC2:TIDIG_COMP_CNT: 0
	.section	.text._ZN7rocprim17ROCPRIM_400000_NS6detail17trampoline_kernelINS0_14default_configENS1_35radix_sort_onesweep_config_selectorIilEEZZNS1_29radix_sort_onesweep_iterationIS3_Lb0EPiS7_N6thrust23THRUST_200600_302600_NS10device_ptrIlEESB_jNS0_19identity_decomposerENS1_16block_id_wrapperIjLb0EEEEE10hipError_tT1_PNSt15iterator_traitsISG_E10value_typeET2_T3_PNSH_ISM_E10value_typeET4_T5_PSR_SS_PNS1_23onesweep_lookback_stateEbbT6_jjT7_P12ihipStream_tbENKUlT_T0_SG_SL_E_clIS7_S7_PlSB_EEDaSZ_S10_SG_SL_EUlSZ_E_NS1_11comp_targetILNS1_3genE10ELNS1_11target_archE1201ELNS1_3gpuE5ELNS1_3repE0EEENS1_47radix_sort_onesweep_sort_config_static_selectorELNS0_4arch9wavefront6targetE1EEEvSG_,"axG",@progbits,_ZN7rocprim17ROCPRIM_400000_NS6detail17trampoline_kernelINS0_14default_configENS1_35radix_sort_onesweep_config_selectorIilEEZZNS1_29radix_sort_onesweep_iterationIS3_Lb0EPiS7_N6thrust23THRUST_200600_302600_NS10device_ptrIlEESB_jNS0_19identity_decomposerENS1_16block_id_wrapperIjLb0EEEEE10hipError_tT1_PNSt15iterator_traitsISG_E10value_typeET2_T3_PNSH_ISM_E10value_typeET4_T5_PSR_SS_PNS1_23onesweep_lookback_stateEbbT6_jjT7_P12ihipStream_tbENKUlT_T0_SG_SL_E_clIS7_S7_PlSB_EEDaSZ_S10_SG_SL_EUlSZ_E_NS1_11comp_targetILNS1_3genE10ELNS1_11target_archE1201ELNS1_3gpuE5ELNS1_3repE0EEENS1_47radix_sort_onesweep_sort_config_static_selectorELNS0_4arch9wavefront6targetE1EEEvSG_,comdat
	.protected	_ZN7rocprim17ROCPRIM_400000_NS6detail17trampoline_kernelINS0_14default_configENS1_35radix_sort_onesweep_config_selectorIilEEZZNS1_29radix_sort_onesweep_iterationIS3_Lb0EPiS7_N6thrust23THRUST_200600_302600_NS10device_ptrIlEESB_jNS0_19identity_decomposerENS1_16block_id_wrapperIjLb0EEEEE10hipError_tT1_PNSt15iterator_traitsISG_E10value_typeET2_T3_PNSH_ISM_E10value_typeET4_T5_PSR_SS_PNS1_23onesweep_lookback_stateEbbT6_jjT7_P12ihipStream_tbENKUlT_T0_SG_SL_E_clIS7_S7_PlSB_EEDaSZ_S10_SG_SL_EUlSZ_E_NS1_11comp_targetILNS1_3genE10ELNS1_11target_archE1201ELNS1_3gpuE5ELNS1_3repE0EEENS1_47radix_sort_onesweep_sort_config_static_selectorELNS0_4arch9wavefront6targetE1EEEvSG_ ; -- Begin function _ZN7rocprim17ROCPRIM_400000_NS6detail17trampoline_kernelINS0_14default_configENS1_35radix_sort_onesweep_config_selectorIilEEZZNS1_29radix_sort_onesweep_iterationIS3_Lb0EPiS7_N6thrust23THRUST_200600_302600_NS10device_ptrIlEESB_jNS0_19identity_decomposerENS1_16block_id_wrapperIjLb0EEEEE10hipError_tT1_PNSt15iterator_traitsISG_E10value_typeET2_T3_PNSH_ISM_E10value_typeET4_T5_PSR_SS_PNS1_23onesweep_lookback_stateEbbT6_jjT7_P12ihipStream_tbENKUlT_T0_SG_SL_E_clIS7_S7_PlSB_EEDaSZ_S10_SG_SL_EUlSZ_E_NS1_11comp_targetILNS1_3genE10ELNS1_11target_archE1201ELNS1_3gpuE5ELNS1_3repE0EEENS1_47radix_sort_onesweep_sort_config_static_selectorELNS0_4arch9wavefront6targetE1EEEvSG_
	.globl	_ZN7rocprim17ROCPRIM_400000_NS6detail17trampoline_kernelINS0_14default_configENS1_35radix_sort_onesweep_config_selectorIilEEZZNS1_29radix_sort_onesweep_iterationIS3_Lb0EPiS7_N6thrust23THRUST_200600_302600_NS10device_ptrIlEESB_jNS0_19identity_decomposerENS1_16block_id_wrapperIjLb0EEEEE10hipError_tT1_PNSt15iterator_traitsISG_E10value_typeET2_T3_PNSH_ISM_E10value_typeET4_T5_PSR_SS_PNS1_23onesweep_lookback_stateEbbT6_jjT7_P12ihipStream_tbENKUlT_T0_SG_SL_E_clIS7_S7_PlSB_EEDaSZ_S10_SG_SL_EUlSZ_E_NS1_11comp_targetILNS1_3genE10ELNS1_11target_archE1201ELNS1_3gpuE5ELNS1_3repE0EEENS1_47radix_sort_onesweep_sort_config_static_selectorELNS0_4arch9wavefront6targetE1EEEvSG_
	.p2align	8
	.type	_ZN7rocprim17ROCPRIM_400000_NS6detail17trampoline_kernelINS0_14default_configENS1_35radix_sort_onesweep_config_selectorIilEEZZNS1_29radix_sort_onesweep_iterationIS3_Lb0EPiS7_N6thrust23THRUST_200600_302600_NS10device_ptrIlEESB_jNS0_19identity_decomposerENS1_16block_id_wrapperIjLb0EEEEE10hipError_tT1_PNSt15iterator_traitsISG_E10value_typeET2_T3_PNSH_ISM_E10value_typeET4_T5_PSR_SS_PNS1_23onesweep_lookback_stateEbbT6_jjT7_P12ihipStream_tbENKUlT_T0_SG_SL_E_clIS7_S7_PlSB_EEDaSZ_S10_SG_SL_EUlSZ_E_NS1_11comp_targetILNS1_3genE10ELNS1_11target_archE1201ELNS1_3gpuE5ELNS1_3repE0EEENS1_47radix_sort_onesweep_sort_config_static_selectorELNS0_4arch9wavefront6targetE1EEEvSG_,@function
_ZN7rocprim17ROCPRIM_400000_NS6detail17trampoline_kernelINS0_14default_configENS1_35radix_sort_onesweep_config_selectorIilEEZZNS1_29radix_sort_onesweep_iterationIS3_Lb0EPiS7_N6thrust23THRUST_200600_302600_NS10device_ptrIlEESB_jNS0_19identity_decomposerENS1_16block_id_wrapperIjLb0EEEEE10hipError_tT1_PNSt15iterator_traitsISG_E10value_typeET2_T3_PNSH_ISM_E10value_typeET4_T5_PSR_SS_PNS1_23onesweep_lookback_stateEbbT6_jjT7_P12ihipStream_tbENKUlT_T0_SG_SL_E_clIS7_S7_PlSB_EEDaSZ_S10_SG_SL_EUlSZ_E_NS1_11comp_targetILNS1_3genE10ELNS1_11target_archE1201ELNS1_3gpuE5ELNS1_3repE0EEENS1_47radix_sort_onesweep_sort_config_static_selectorELNS0_4arch9wavefront6targetE1EEEvSG_: ; @_ZN7rocprim17ROCPRIM_400000_NS6detail17trampoline_kernelINS0_14default_configENS1_35radix_sort_onesweep_config_selectorIilEEZZNS1_29radix_sort_onesweep_iterationIS3_Lb0EPiS7_N6thrust23THRUST_200600_302600_NS10device_ptrIlEESB_jNS0_19identity_decomposerENS1_16block_id_wrapperIjLb0EEEEE10hipError_tT1_PNSt15iterator_traitsISG_E10value_typeET2_T3_PNSH_ISM_E10value_typeET4_T5_PSR_SS_PNS1_23onesweep_lookback_stateEbbT6_jjT7_P12ihipStream_tbENKUlT_T0_SG_SL_E_clIS7_S7_PlSB_EEDaSZ_S10_SG_SL_EUlSZ_E_NS1_11comp_targetILNS1_3genE10ELNS1_11target_archE1201ELNS1_3gpuE5ELNS1_3repE0EEENS1_47radix_sort_onesweep_sort_config_static_selectorELNS0_4arch9wavefront6targetE1EEEvSG_
; %bb.0:
	.section	.rodata,"a",@progbits
	.p2align	6, 0x0
	.amdhsa_kernel _ZN7rocprim17ROCPRIM_400000_NS6detail17trampoline_kernelINS0_14default_configENS1_35radix_sort_onesweep_config_selectorIilEEZZNS1_29radix_sort_onesweep_iterationIS3_Lb0EPiS7_N6thrust23THRUST_200600_302600_NS10device_ptrIlEESB_jNS0_19identity_decomposerENS1_16block_id_wrapperIjLb0EEEEE10hipError_tT1_PNSt15iterator_traitsISG_E10value_typeET2_T3_PNSH_ISM_E10value_typeET4_T5_PSR_SS_PNS1_23onesweep_lookback_stateEbbT6_jjT7_P12ihipStream_tbENKUlT_T0_SG_SL_E_clIS7_S7_PlSB_EEDaSZ_S10_SG_SL_EUlSZ_E_NS1_11comp_targetILNS1_3genE10ELNS1_11target_archE1201ELNS1_3gpuE5ELNS1_3repE0EEENS1_47radix_sort_onesweep_sort_config_static_selectorELNS0_4arch9wavefront6targetE1EEEvSG_
		.amdhsa_group_segment_fixed_size 0
		.amdhsa_private_segment_fixed_size 0
		.amdhsa_kernarg_size 88
		.amdhsa_user_sgpr_count 6
		.amdhsa_user_sgpr_private_segment_buffer 1
		.amdhsa_user_sgpr_dispatch_ptr 0
		.amdhsa_user_sgpr_queue_ptr 0
		.amdhsa_user_sgpr_kernarg_segment_ptr 1
		.amdhsa_user_sgpr_dispatch_id 0
		.amdhsa_user_sgpr_flat_scratch_init 0
		.amdhsa_user_sgpr_private_segment_size 0
		.amdhsa_uses_dynamic_stack 0
		.amdhsa_system_sgpr_private_segment_wavefront_offset 0
		.amdhsa_system_sgpr_workgroup_id_x 1
		.amdhsa_system_sgpr_workgroup_id_y 0
		.amdhsa_system_sgpr_workgroup_id_z 0
		.amdhsa_system_sgpr_workgroup_info 0
		.amdhsa_system_vgpr_workitem_id 0
		.amdhsa_next_free_vgpr 1
		.amdhsa_next_free_sgpr 0
		.amdhsa_reserve_vcc 0
		.amdhsa_reserve_flat_scratch 0
		.amdhsa_float_round_mode_32 0
		.amdhsa_float_round_mode_16_64 0
		.amdhsa_float_denorm_mode_32 3
		.amdhsa_float_denorm_mode_16_64 3
		.amdhsa_dx10_clamp 1
		.amdhsa_ieee_mode 1
		.amdhsa_fp16_overflow 0
		.amdhsa_exception_fp_ieee_invalid_op 0
		.amdhsa_exception_fp_denorm_src 0
		.amdhsa_exception_fp_ieee_div_zero 0
		.amdhsa_exception_fp_ieee_overflow 0
		.amdhsa_exception_fp_ieee_underflow 0
		.amdhsa_exception_fp_ieee_inexact 0
		.amdhsa_exception_int_div_zero 0
	.end_amdhsa_kernel
	.section	.text._ZN7rocprim17ROCPRIM_400000_NS6detail17trampoline_kernelINS0_14default_configENS1_35radix_sort_onesweep_config_selectorIilEEZZNS1_29radix_sort_onesweep_iterationIS3_Lb0EPiS7_N6thrust23THRUST_200600_302600_NS10device_ptrIlEESB_jNS0_19identity_decomposerENS1_16block_id_wrapperIjLb0EEEEE10hipError_tT1_PNSt15iterator_traitsISG_E10value_typeET2_T3_PNSH_ISM_E10value_typeET4_T5_PSR_SS_PNS1_23onesweep_lookback_stateEbbT6_jjT7_P12ihipStream_tbENKUlT_T0_SG_SL_E_clIS7_S7_PlSB_EEDaSZ_S10_SG_SL_EUlSZ_E_NS1_11comp_targetILNS1_3genE10ELNS1_11target_archE1201ELNS1_3gpuE5ELNS1_3repE0EEENS1_47radix_sort_onesweep_sort_config_static_selectorELNS0_4arch9wavefront6targetE1EEEvSG_,"axG",@progbits,_ZN7rocprim17ROCPRIM_400000_NS6detail17trampoline_kernelINS0_14default_configENS1_35radix_sort_onesweep_config_selectorIilEEZZNS1_29radix_sort_onesweep_iterationIS3_Lb0EPiS7_N6thrust23THRUST_200600_302600_NS10device_ptrIlEESB_jNS0_19identity_decomposerENS1_16block_id_wrapperIjLb0EEEEE10hipError_tT1_PNSt15iterator_traitsISG_E10value_typeET2_T3_PNSH_ISM_E10value_typeET4_T5_PSR_SS_PNS1_23onesweep_lookback_stateEbbT6_jjT7_P12ihipStream_tbENKUlT_T0_SG_SL_E_clIS7_S7_PlSB_EEDaSZ_S10_SG_SL_EUlSZ_E_NS1_11comp_targetILNS1_3genE10ELNS1_11target_archE1201ELNS1_3gpuE5ELNS1_3repE0EEENS1_47radix_sort_onesweep_sort_config_static_selectorELNS0_4arch9wavefront6targetE1EEEvSG_,comdat
.Lfunc_end917:
	.size	_ZN7rocprim17ROCPRIM_400000_NS6detail17trampoline_kernelINS0_14default_configENS1_35radix_sort_onesweep_config_selectorIilEEZZNS1_29radix_sort_onesweep_iterationIS3_Lb0EPiS7_N6thrust23THRUST_200600_302600_NS10device_ptrIlEESB_jNS0_19identity_decomposerENS1_16block_id_wrapperIjLb0EEEEE10hipError_tT1_PNSt15iterator_traitsISG_E10value_typeET2_T3_PNSH_ISM_E10value_typeET4_T5_PSR_SS_PNS1_23onesweep_lookback_stateEbbT6_jjT7_P12ihipStream_tbENKUlT_T0_SG_SL_E_clIS7_S7_PlSB_EEDaSZ_S10_SG_SL_EUlSZ_E_NS1_11comp_targetILNS1_3genE10ELNS1_11target_archE1201ELNS1_3gpuE5ELNS1_3repE0EEENS1_47radix_sort_onesweep_sort_config_static_selectorELNS0_4arch9wavefront6targetE1EEEvSG_, .Lfunc_end917-_ZN7rocprim17ROCPRIM_400000_NS6detail17trampoline_kernelINS0_14default_configENS1_35radix_sort_onesweep_config_selectorIilEEZZNS1_29radix_sort_onesweep_iterationIS3_Lb0EPiS7_N6thrust23THRUST_200600_302600_NS10device_ptrIlEESB_jNS0_19identity_decomposerENS1_16block_id_wrapperIjLb0EEEEE10hipError_tT1_PNSt15iterator_traitsISG_E10value_typeET2_T3_PNSH_ISM_E10value_typeET4_T5_PSR_SS_PNS1_23onesweep_lookback_stateEbbT6_jjT7_P12ihipStream_tbENKUlT_T0_SG_SL_E_clIS7_S7_PlSB_EEDaSZ_S10_SG_SL_EUlSZ_E_NS1_11comp_targetILNS1_3genE10ELNS1_11target_archE1201ELNS1_3gpuE5ELNS1_3repE0EEENS1_47radix_sort_onesweep_sort_config_static_selectorELNS0_4arch9wavefront6targetE1EEEvSG_
                                        ; -- End function
	.set _ZN7rocprim17ROCPRIM_400000_NS6detail17trampoline_kernelINS0_14default_configENS1_35radix_sort_onesweep_config_selectorIilEEZZNS1_29radix_sort_onesweep_iterationIS3_Lb0EPiS7_N6thrust23THRUST_200600_302600_NS10device_ptrIlEESB_jNS0_19identity_decomposerENS1_16block_id_wrapperIjLb0EEEEE10hipError_tT1_PNSt15iterator_traitsISG_E10value_typeET2_T3_PNSH_ISM_E10value_typeET4_T5_PSR_SS_PNS1_23onesweep_lookback_stateEbbT6_jjT7_P12ihipStream_tbENKUlT_T0_SG_SL_E_clIS7_S7_PlSB_EEDaSZ_S10_SG_SL_EUlSZ_E_NS1_11comp_targetILNS1_3genE10ELNS1_11target_archE1201ELNS1_3gpuE5ELNS1_3repE0EEENS1_47radix_sort_onesweep_sort_config_static_selectorELNS0_4arch9wavefront6targetE1EEEvSG_.num_vgpr, 0
	.set _ZN7rocprim17ROCPRIM_400000_NS6detail17trampoline_kernelINS0_14default_configENS1_35radix_sort_onesweep_config_selectorIilEEZZNS1_29radix_sort_onesweep_iterationIS3_Lb0EPiS7_N6thrust23THRUST_200600_302600_NS10device_ptrIlEESB_jNS0_19identity_decomposerENS1_16block_id_wrapperIjLb0EEEEE10hipError_tT1_PNSt15iterator_traitsISG_E10value_typeET2_T3_PNSH_ISM_E10value_typeET4_T5_PSR_SS_PNS1_23onesweep_lookback_stateEbbT6_jjT7_P12ihipStream_tbENKUlT_T0_SG_SL_E_clIS7_S7_PlSB_EEDaSZ_S10_SG_SL_EUlSZ_E_NS1_11comp_targetILNS1_3genE10ELNS1_11target_archE1201ELNS1_3gpuE5ELNS1_3repE0EEENS1_47radix_sort_onesweep_sort_config_static_selectorELNS0_4arch9wavefront6targetE1EEEvSG_.num_agpr, 0
	.set _ZN7rocprim17ROCPRIM_400000_NS6detail17trampoline_kernelINS0_14default_configENS1_35radix_sort_onesweep_config_selectorIilEEZZNS1_29radix_sort_onesweep_iterationIS3_Lb0EPiS7_N6thrust23THRUST_200600_302600_NS10device_ptrIlEESB_jNS0_19identity_decomposerENS1_16block_id_wrapperIjLb0EEEEE10hipError_tT1_PNSt15iterator_traitsISG_E10value_typeET2_T3_PNSH_ISM_E10value_typeET4_T5_PSR_SS_PNS1_23onesweep_lookback_stateEbbT6_jjT7_P12ihipStream_tbENKUlT_T0_SG_SL_E_clIS7_S7_PlSB_EEDaSZ_S10_SG_SL_EUlSZ_E_NS1_11comp_targetILNS1_3genE10ELNS1_11target_archE1201ELNS1_3gpuE5ELNS1_3repE0EEENS1_47radix_sort_onesweep_sort_config_static_selectorELNS0_4arch9wavefront6targetE1EEEvSG_.numbered_sgpr, 0
	.set _ZN7rocprim17ROCPRIM_400000_NS6detail17trampoline_kernelINS0_14default_configENS1_35radix_sort_onesweep_config_selectorIilEEZZNS1_29radix_sort_onesweep_iterationIS3_Lb0EPiS7_N6thrust23THRUST_200600_302600_NS10device_ptrIlEESB_jNS0_19identity_decomposerENS1_16block_id_wrapperIjLb0EEEEE10hipError_tT1_PNSt15iterator_traitsISG_E10value_typeET2_T3_PNSH_ISM_E10value_typeET4_T5_PSR_SS_PNS1_23onesweep_lookback_stateEbbT6_jjT7_P12ihipStream_tbENKUlT_T0_SG_SL_E_clIS7_S7_PlSB_EEDaSZ_S10_SG_SL_EUlSZ_E_NS1_11comp_targetILNS1_3genE10ELNS1_11target_archE1201ELNS1_3gpuE5ELNS1_3repE0EEENS1_47radix_sort_onesweep_sort_config_static_selectorELNS0_4arch9wavefront6targetE1EEEvSG_.num_named_barrier, 0
	.set _ZN7rocprim17ROCPRIM_400000_NS6detail17trampoline_kernelINS0_14default_configENS1_35radix_sort_onesweep_config_selectorIilEEZZNS1_29radix_sort_onesweep_iterationIS3_Lb0EPiS7_N6thrust23THRUST_200600_302600_NS10device_ptrIlEESB_jNS0_19identity_decomposerENS1_16block_id_wrapperIjLb0EEEEE10hipError_tT1_PNSt15iterator_traitsISG_E10value_typeET2_T3_PNSH_ISM_E10value_typeET4_T5_PSR_SS_PNS1_23onesweep_lookback_stateEbbT6_jjT7_P12ihipStream_tbENKUlT_T0_SG_SL_E_clIS7_S7_PlSB_EEDaSZ_S10_SG_SL_EUlSZ_E_NS1_11comp_targetILNS1_3genE10ELNS1_11target_archE1201ELNS1_3gpuE5ELNS1_3repE0EEENS1_47radix_sort_onesweep_sort_config_static_selectorELNS0_4arch9wavefront6targetE1EEEvSG_.private_seg_size, 0
	.set _ZN7rocprim17ROCPRIM_400000_NS6detail17trampoline_kernelINS0_14default_configENS1_35radix_sort_onesweep_config_selectorIilEEZZNS1_29radix_sort_onesweep_iterationIS3_Lb0EPiS7_N6thrust23THRUST_200600_302600_NS10device_ptrIlEESB_jNS0_19identity_decomposerENS1_16block_id_wrapperIjLb0EEEEE10hipError_tT1_PNSt15iterator_traitsISG_E10value_typeET2_T3_PNSH_ISM_E10value_typeET4_T5_PSR_SS_PNS1_23onesweep_lookback_stateEbbT6_jjT7_P12ihipStream_tbENKUlT_T0_SG_SL_E_clIS7_S7_PlSB_EEDaSZ_S10_SG_SL_EUlSZ_E_NS1_11comp_targetILNS1_3genE10ELNS1_11target_archE1201ELNS1_3gpuE5ELNS1_3repE0EEENS1_47radix_sort_onesweep_sort_config_static_selectorELNS0_4arch9wavefront6targetE1EEEvSG_.uses_vcc, 0
	.set _ZN7rocprim17ROCPRIM_400000_NS6detail17trampoline_kernelINS0_14default_configENS1_35radix_sort_onesweep_config_selectorIilEEZZNS1_29radix_sort_onesweep_iterationIS3_Lb0EPiS7_N6thrust23THRUST_200600_302600_NS10device_ptrIlEESB_jNS0_19identity_decomposerENS1_16block_id_wrapperIjLb0EEEEE10hipError_tT1_PNSt15iterator_traitsISG_E10value_typeET2_T3_PNSH_ISM_E10value_typeET4_T5_PSR_SS_PNS1_23onesweep_lookback_stateEbbT6_jjT7_P12ihipStream_tbENKUlT_T0_SG_SL_E_clIS7_S7_PlSB_EEDaSZ_S10_SG_SL_EUlSZ_E_NS1_11comp_targetILNS1_3genE10ELNS1_11target_archE1201ELNS1_3gpuE5ELNS1_3repE0EEENS1_47radix_sort_onesweep_sort_config_static_selectorELNS0_4arch9wavefront6targetE1EEEvSG_.uses_flat_scratch, 0
	.set _ZN7rocprim17ROCPRIM_400000_NS6detail17trampoline_kernelINS0_14default_configENS1_35radix_sort_onesweep_config_selectorIilEEZZNS1_29radix_sort_onesweep_iterationIS3_Lb0EPiS7_N6thrust23THRUST_200600_302600_NS10device_ptrIlEESB_jNS0_19identity_decomposerENS1_16block_id_wrapperIjLb0EEEEE10hipError_tT1_PNSt15iterator_traitsISG_E10value_typeET2_T3_PNSH_ISM_E10value_typeET4_T5_PSR_SS_PNS1_23onesweep_lookback_stateEbbT6_jjT7_P12ihipStream_tbENKUlT_T0_SG_SL_E_clIS7_S7_PlSB_EEDaSZ_S10_SG_SL_EUlSZ_E_NS1_11comp_targetILNS1_3genE10ELNS1_11target_archE1201ELNS1_3gpuE5ELNS1_3repE0EEENS1_47radix_sort_onesweep_sort_config_static_selectorELNS0_4arch9wavefront6targetE1EEEvSG_.has_dyn_sized_stack, 0
	.set _ZN7rocprim17ROCPRIM_400000_NS6detail17trampoline_kernelINS0_14default_configENS1_35radix_sort_onesweep_config_selectorIilEEZZNS1_29radix_sort_onesweep_iterationIS3_Lb0EPiS7_N6thrust23THRUST_200600_302600_NS10device_ptrIlEESB_jNS0_19identity_decomposerENS1_16block_id_wrapperIjLb0EEEEE10hipError_tT1_PNSt15iterator_traitsISG_E10value_typeET2_T3_PNSH_ISM_E10value_typeET4_T5_PSR_SS_PNS1_23onesweep_lookback_stateEbbT6_jjT7_P12ihipStream_tbENKUlT_T0_SG_SL_E_clIS7_S7_PlSB_EEDaSZ_S10_SG_SL_EUlSZ_E_NS1_11comp_targetILNS1_3genE10ELNS1_11target_archE1201ELNS1_3gpuE5ELNS1_3repE0EEENS1_47radix_sort_onesweep_sort_config_static_selectorELNS0_4arch9wavefront6targetE1EEEvSG_.has_recursion, 0
	.set _ZN7rocprim17ROCPRIM_400000_NS6detail17trampoline_kernelINS0_14default_configENS1_35radix_sort_onesweep_config_selectorIilEEZZNS1_29radix_sort_onesweep_iterationIS3_Lb0EPiS7_N6thrust23THRUST_200600_302600_NS10device_ptrIlEESB_jNS0_19identity_decomposerENS1_16block_id_wrapperIjLb0EEEEE10hipError_tT1_PNSt15iterator_traitsISG_E10value_typeET2_T3_PNSH_ISM_E10value_typeET4_T5_PSR_SS_PNS1_23onesweep_lookback_stateEbbT6_jjT7_P12ihipStream_tbENKUlT_T0_SG_SL_E_clIS7_S7_PlSB_EEDaSZ_S10_SG_SL_EUlSZ_E_NS1_11comp_targetILNS1_3genE10ELNS1_11target_archE1201ELNS1_3gpuE5ELNS1_3repE0EEENS1_47radix_sort_onesweep_sort_config_static_selectorELNS0_4arch9wavefront6targetE1EEEvSG_.has_indirect_call, 0
	.section	.AMDGPU.csdata,"",@progbits
; Kernel info:
; codeLenInByte = 0
; TotalNumSgprs: 4
; NumVgprs: 0
; ScratchSize: 0
; MemoryBound: 0
; FloatMode: 240
; IeeeMode: 1
; LDSByteSize: 0 bytes/workgroup (compile time only)
; SGPRBlocks: 0
; VGPRBlocks: 0
; NumSGPRsForWavesPerEU: 4
; NumVGPRsForWavesPerEU: 1
; Occupancy: 10
; WaveLimiterHint : 0
; COMPUTE_PGM_RSRC2:SCRATCH_EN: 0
; COMPUTE_PGM_RSRC2:USER_SGPR: 6
; COMPUTE_PGM_RSRC2:TRAP_HANDLER: 0
; COMPUTE_PGM_RSRC2:TGID_X_EN: 1
; COMPUTE_PGM_RSRC2:TGID_Y_EN: 0
; COMPUTE_PGM_RSRC2:TGID_Z_EN: 0
; COMPUTE_PGM_RSRC2:TIDIG_COMP_CNT: 0
	.section	.text._ZN7rocprim17ROCPRIM_400000_NS6detail17trampoline_kernelINS0_14default_configENS1_35radix_sort_onesweep_config_selectorIilEEZZNS1_29radix_sort_onesweep_iterationIS3_Lb0EPiS7_N6thrust23THRUST_200600_302600_NS10device_ptrIlEESB_jNS0_19identity_decomposerENS1_16block_id_wrapperIjLb0EEEEE10hipError_tT1_PNSt15iterator_traitsISG_E10value_typeET2_T3_PNSH_ISM_E10value_typeET4_T5_PSR_SS_PNS1_23onesweep_lookback_stateEbbT6_jjT7_P12ihipStream_tbENKUlT_T0_SG_SL_E_clIS7_S7_PlSB_EEDaSZ_S10_SG_SL_EUlSZ_E_NS1_11comp_targetILNS1_3genE9ELNS1_11target_archE1100ELNS1_3gpuE3ELNS1_3repE0EEENS1_47radix_sort_onesweep_sort_config_static_selectorELNS0_4arch9wavefront6targetE1EEEvSG_,"axG",@progbits,_ZN7rocprim17ROCPRIM_400000_NS6detail17trampoline_kernelINS0_14default_configENS1_35radix_sort_onesweep_config_selectorIilEEZZNS1_29radix_sort_onesweep_iterationIS3_Lb0EPiS7_N6thrust23THRUST_200600_302600_NS10device_ptrIlEESB_jNS0_19identity_decomposerENS1_16block_id_wrapperIjLb0EEEEE10hipError_tT1_PNSt15iterator_traitsISG_E10value_typeET2_T3_PNSH_ISM_E10value_typeET4_T5_PSR_SS_PNS1_23onesweep_lookback_stateEbbT6_jjT7_P12ihipStream_tbENKUlT_T0_SG_SL_E_clIS7_S7_PlSB_EEDaSZ_S10_SG_SL_EUlSZ_E_NS1_11comp_targetILNS1_3genE9ELNS1_11target_archE1100ELNS1_3gpuE3ELNS1_3repE0EEENS1_47radix_sort_onesweep_sort_config_static_selectorELNS0_4arch9wavefront6targetE1EEEvSG_,comdat
	.protected	_ZN7rocprim17ROCPRIM_400000_NS6detail17trampoline_kernelINS0_14default_configENS1_35radix_sort_onesweep_config_selectorIilEEZZNS1_29radix_sort_onesweep_iterationIS3_Lb0EPiS7_N6thrust23THRUST_200600_302600_NS10device_ptrIlEESB_jNS0_19identity_decomposerENS1_16block_id_wrapperIjLb0EEEEE10hipError_tT1_PNSt15iterator_traitsISG_E10value_typeET2_T3_PNSH_ISM_E10value_typeET4_T5_PSR_SS_PNS1_23onesweep_lookback_stateEbbT6_jjT7_P12ihipStream_tbENKUlT_T0_SG_SL_E_clIS7_S7_PlSB_EEDaSZ_S10_SG_SL_EUlSZ_E_NS1_11comp_targetILNS1_3genE9ELNS1_11target_archE1100ELNS1_3gpuE3ELNS1_3repE0EEENS1_47radix_sort_onesweep_sort_config_static_selectorELNS0_4arch9wavefront6targetE1EEEvSG_ ; -- Begin function _ZN7rocprim17ROCPRIM_400000_NS6detail17trampoline_kernelINS0_14default_configENS1_35radix_sort_onesweep_config_selectorIilEEZZNS1_29radix_sort_onesweep_iterationIS3_Lb0EPiS7_N6thrust23THRUST_200600_302600_NS10device_ptrIlEESB_jNS0_19identity_decomposerENS1_16block_id_wrapperIjLb0EEEEE10hipError_tT1_PNSt15iterator_traitsISG_E10value_typeET2_T3_PNSH_ISM_E10value_typeET4_T5_PSR_SS_PNS1_23onesweep_lookback_stateEbbT6_jjT7_P12ihipStream_tbENKUlT_T0_SG_SL_E_clIS7_S7_PlSB_EEDaSZ_S10_SG_SL_EUlSZ_E_NS1_11comp_targetILNS1_3genE9ELNS1_11target_archE1100ELNS1_3gpuE3ELNS1_3repE0EEENS1_47radix_sort_onesweep_sort_config_static_selectorELNS0_4arch9wavefront6targetE1EEEvSG_
	.globl	_ZN7rocprim17ROCPRIM_400000_NS6detail17trampoline_kernelINS0_14default_configENS1_35radix_sort_onesweep_config_selectorIilEEZZNS1_29radix_sort_onesweep_iterationIS3_Lb0EPiS7_N6thrust23THRUST_200600_302600_NS10device_ptrIlEESB_jNS0_19identity_decomposerENS1_16block_id_wrapperIjLb0EEEEE10hipError_tT1_PNSt15iterator_traitsISG_E10value_typeET2_T3_PNSH_ISM_E10value_typeET4_T5_PSR_SS_PNS1_23onesweep_lookback_stateEbbT6_jjT7_P12ihipStream_tbENKUlT_T0_SG_SL_E_clIS7_S7_PlSB_EEDaSZ_S10_SG_SL_EUlSZ_E_NS1_11comp_targetILNS1_3genE9ELNS1_11target_archE1100ELNS1_3gpuE3ELNS1_3repE0EEENS1_47radix_sort_onesweep_sort_config_static_selectorELNS0_4arch9wavefront6targetE1EEEvSG_
	.p2align	8
	.type	_ZN7rocprim17ROCPRIM_400000_NS6detail17trampoline_kernelINS0_14default_configENS1_35radix_sort_onesweep_config_selectorIilEEZZNS1_29radix_sort_onesweep_iterationIS3_Lb0EPiS7_N6thrust23THRUST_200600_302600_NS10device_ptrIlEESB_jNS0_19identity_decomposerENS1_16block_id_wrapperIjLb0EEEEE10hipError_tT1_PNSt15iterator_traitsISG_E10value_typeET2_T3_PNSH_ISM_E10value_typeET4_T5_PSR_SS_PNS1_23onesweep_lookback_stateEbbT6_jjT7_P12ihipStream_tbENKUlT_T0_SG_SL_E_clIS7_S7_PlSB_EEDaSZ_S10_SG_SL_EUlSZ_E_NS1_11comp_targetILNS1_3genE9ELNS1_11target_archE1100ELNS1_3gpuE3ELNS1_3repE0EEENS1_47radix_sort_onesweep_sort_config_static_selectorELNS0_4arch9wavefront6targetE1EEEvSG_,@function
_ZN7rocprim17ROCPRIM_400000_NS6detail17trampoline_kernelINS0_14default_configENS1_35radix_sort_onesweep_config_selectorIilEEZZNS1_29radix_sort_onesweep_iterationIS3_Lb0EPiS7_N6thrust23THRUST_200600_302600_NS10device_ptrIlEESB_jNS0_19identity_decomposerENS1_16block_id_wrapperIjLb0EEEEE10hipError_tT1_PNSt15iterator_traitsISG_E10value_typeET2_T3_PNSH_ISM_E10value_typeET4_T5_PSR_SS_PNS1_23onesweep_lookback_stateEbbT6_jjT7_P12ihipStream_tbENKUlT_T0_SG_SL_E_clIS7_S7_PlSB_EEDaSZ_S10_SG_SL_EUlSZ_E_NS1_11comp_targetILNS1_3genE9ELNS1_11target_archE1100ELNS1_3gpuE3ELNS1_3repE0EEENS1_47radix_sort_onesweep_sort_config_static_selectorELNS0_4arch9wavefront6targetE1EEEvSG_: ; @_ZN7rocprim17ROCPRIM_400000_NS6detail17trampoline_kernelINS0_14default_configENS1_35radix_sort_onesweep_config_selectorIilEEZZNS1_29radix_sort_onesweep_iterationIS3_Lb0EPiS7_N6thrust23THRUST_200600_302600_NS10device_ptrIlEESB_jNS0_19identity_decomposerENS1_16block_id_wrapperIjLb0EEEEE10hipError_tT1_PNSt15iterator_traitsISG_E10value_typeET2_T3_PNSH_ISM_E10value_typeET4_T5_PSR_SS_PNS1_23onesweep_lookback_stateEbbT6_jjT7_P12ihipStream_tbENKUlT_T0_SG_SL_E_clIS7_S7_PlSB_EEDaSZ_S10_SG_SL_EUlSZ_E_NS1_11comp_targetILNS1_3genE9ELNS1_11target_archE1100ELNS1_3gpuE3ELNS1_3repE0EEENS1_47radix_sort_onesweep_sort_config_static_selectorELNS0_4arch9wavefront6targetE1EEEvSG_
; %bb.0:
	.section	.rodata,"a",@progbits
	.p2align	6, 0x0
	.amdhsa_kernel _ZN7rocprim17ROCPRIM_400000_NS6detail17trampoline_kernelINS0_14default_configENS1_35radix_sort_onesweep_config_selectorIilEEZZNS1_29radix_sort_onesweep_iterationIS3_Lb0EPiS7_N6thrust23THRUST_200600_302600_NS10device_ptrIlEESB_jNS0_19identity_decomposerENS1_16block_id_wrapperIjLb0EEEEE10hipError_tT1_PNSt15iterator_traitsISG_E10value_typeET2_T3_PNSH_ISM_E10value_typeET4_T5_PSR_SS_PNS1_23onesweep_lookback_stateEbbT6_jjT7_P12ihipStream_tbENKUlT_T0_SG_SL_E_clIS7_S7_PlSB_EEDaSZ_S10_SG_SL_EUlSZ_E_NS1_11comp_targetILNS1_3genE9ELNS1_11target_archE1100ELNS1_3gpuE3ELNS1_3repE0EEENS1_47radix_sort_onesweep_sort_config_static_selectorELNS0_4arch9wavefront6targetE1EEEvSG_
		.amdhsa_group_segment_fixed_size 0
		.amdhsa_private_segment_fixed_size 0
		.amdhsa_kernarg_size 88
		.amdhsa_user_sgpr_count 6
		.amdhsa_user_sgpr_private_segment_buffer 1
		.amdhsa_user_sgpr_dispatch_ptr 0
		.amdhsa_user_sgpr_queue_ptr 0
		.amdhsa_user_sgpr_kernarg_segment_ptr 1
		.amdhsa_user_sgpr_dispatch_id 0
		.amdhsa_user_sgpr_flat_scratch_init 0
		.amdhsa_user_sgpr_private_segment_size 0
		.amdhsa_uses_dynamic_stack 0
		.amdhsa_system_sgpr_private_segment_wavefront_offset 0
		.amdhsa_system_sgpr_workgroup_id_x 1
		.amdhsa_system_sgpr_workgroup_id_y 0
		.amdhsa_system_sgpr_workgroup_id_z 0
		.amdhsa_system_sgpr_workgroup_info 0
		.amdhsa_system_vgpr_workitem_id 0
		.amdhsa_next_free_vgpr 1
		.amdhsa_next_free_sgpr 0
		.amdhsa_reserve_vcc 0
		.amdhsa_reserve_flat_scratch 0
		.amdhsa_float_round_mode_32 0
		.amdhsa_float_round_mode_16_64 0
		.amdhsa_float_denorm_mode_32 3
		.amdhsa_float_denorm_mode_16_64 3
		.amdhsa_dx10_clamp 1
		.amdhsa_ieee_mode 1
		.amdhsa_fp16_overflow 0
		.amdhsa_exception_fp_ieee_invalid_op 0
		.amdhsa_exception_fp_denorm_src 0
		.amdhsa_exception_fp_ieee_div_zero 0
		.amdhsa_exception_fp_ieee_overflow 0
		.amdhsa_exception_fp_ieee_underflow 0
		.amdhsa_exception_fp_ieee_inexact 0
		.amdhsa_exception_int_div_zero 0
	.end_amdhsa_kernel
	.section	.text._ZN7rocprim17ROCPRIM_400000_NS6detail17trampoline_kernelINS0_14default_configENS1_35radix_sort_onesweep_config_selectorIilEEZZNS1_29radix_sort_onesweep_iterationIS3_Lb0EPiS7_N6thrust23THRUST_200600_302600_NS10device_ptrIlEESB_jNS0_19identity_decomposerENS1_16block_id_wrapperIjLb0EEEEE10hipError_tT1_PNSt15iterator_traitsISG_E10value_typeET2_T3_PNSH_ISM_E10value_typeET4_T5_PSR_SS_PNS1_23onesweep_lookback_stateEbbT6_jjT7_P12ihipStream_tbENKUlT_T0_SG_SL_E_clIS7_S7_PlSB_EEDaSZ_S10_SG_SL_EUlSZ_E_NS1_11comp_targetILNS1_3genE9ELNS1_11target_archE1100ELNS1_3gpuE3ELNS1_3repE0EEENS1_47radix_sort_onesweep_sort_config_static_selectorELNS0_4arch9wavefront6targetE1EEEvSG_,"axG",@progbits,_ZN7rocprim17ROCPRIM_400000_NS6detail17trampoline_kernelINS0_14default_configENS1_35radix_sort_onesweep_config_selectorIilEEZZNS1_29radix_sort_onesweep_iterationIS3_Lb0EPiS7_N6thrust23THRUST_200600_302600_NS10device_ptrIlEESB_jNS0_19identity_decomposerENS1_16block_id_wrapperIjLb0EEEEE10hipError_tT1_PNSt15iterator_traitsISG_E10value_typeET2_T3_PNSH_ISM_E10value_typeET4_T5_PSR_SS_PNS1_23onesweep_lookback_stateEbbT6_jjT7_P12ihipStream_tbENKUlT_T0_SG_SL_E_clIS7_S7_PlSB_EEDaSZ_S10_SG_SL_EUlSZ_E_NS1_11comp_targetILNS1_3genE9ELNS1_11target_archE1100ELNS1_3gpuE3ELNS1_3repE0EEENS1_47radix_sort_onesweep_sort_config_static_selectorELNS0_4arch9wavefront6targetE1EEEvSG_,comdat
.Lfunc_end918:
	.size	_ZN7rocprim17ROCPRIM_400000_NS6detail17trampoline_kernelINS0_14default_configENS1_35radix_sort_onesweep_config_selectorIilEEZZNS1_29radix_sort_onesweep_iterationIS3_Lb0EPiS7_N6thrust23THRUST_200600_302600_NS10device_ptrIlEESB_jNS0_19identity_decomposerENS1_16block_id_wrapperIjLb0EEEEE10hipError_tT1_PNSt15iterator_traitsISG_E10value_typeET2_T3_PNSH_ISM_E10value_typeET4_T5_PSR_SS_PNS1_23onesweep_lookback_stateEbbT6_jjT7_P12ihipStream_tbENKUlT_T0_SG_SL_E_clIS7_S7_PlSB_EEDaSZ_S10_SG_SL_EUlSZ_E_NS1_11comp_targetILNS1_3genE9ELNS1_11target_archE1100ELNS1_3gpuE3ELNS1_3repE0EEENS1_47radix_sort_onesweep_sort_config_static_selectorELNS0_4arch9wavefront6targetE1EEEvSG_, .Lfunc_end918-_ZN7rocprim17ROCPRIM_400000_NS6detail17trampoline_kernelINS0_14default_configENS1_35radix_sort_onesweep_config_selectorIilEEZZNS1_29radix_sort_onesweep_iterationIS3_Lb0EPiS7_N6thrust23THRUST_200600_302600_NS10device_ptrIlEESB_jNS0_19identity_decomposerENS1_16block_id_wrapperIjLb0EEEEE10hipError_tT1_PNSt15iterator_traitsISG_E10value_typeET2_T3_PNSH_ISM_E10value_typeET4_T5_PSR_SS_PNS1_23onesweep_lookback_stateEbbT6_jjT7_P12ihipStream_tbENKUlT_T0_SG_SL_E_clIS7_S7_PlSB_EEDaSZ_S10_SG_SL_EUlSZ_E_NS1_11comp_targetILNS1_3genE9ELNS1_11target_archE1100ELNS1_3gpuE3ELNS1_3repE0EEENS1_47radix_sort_onesweep_sort_config_static_selectorELNS0_4arch9wavefront6targetE1EEEvSG_
                                        ; -- End function
	.set _ZN7rocprim17ROCPRIM_400000_NS6detail17trampoline_kernelINS0_14default_configENS1_35radix_sort_onesweep_config_selectorIilEEZZNS1_29radix_sort_onesweep_iterationIS3_Lb0EPiS7_N6thrust23THRUST_200600_302600_NS10device_ptrIlEESB_jNS0_19identity_decomposerENS1_16block_id_wrapperIjLb0EEEEE10hipError_tT1_PNSt15iterator_traitsISG_E10value_typeET2_T3_PNSH_ISM_E10value_typeET4_T5_PSR_SS_PNS1_23onesweep_lookback_stateEbbT6_jjT7_P12ihipStream_tbENKUlT_T0_SG_SL_E_clIS7_S7_PlSB_EEDaSZ_S10_SG_SL_EUlSZ_E_NS1_11comp_targetILNS1_3genE9ELNS1_11target_archE1100ELNS1_3gpuE3ELNS1_3repE0EEENS1_47radix_sort_onesweep_sort_config_static_selectorELNS0_4arch9wavefront6targetE1EEEvSG_.num_vgpr, 0
	.set _ZN7rocprim17ROCPRIM_400000_NS6detail17trampoline_kernelINS0_14default_configENS1_35radix_sort_onesweep_config_selectorIilEEZZNS1_29radix_sort_onesweep_iterationIS3_Lb0EPiS7_N6thrust23THRUST_200600_302600_NS10device_ptrIlEESB_jNS0_19identity_decomposerENS1_16block_id_wrapperIjLb0EEEEE10hipError_tT1_PNSt15iterator_traitsISG_E10value_typeET2_T3_PNSH_ISM_E10value_typeET4_T5_PSR_SS_PNS1_23onesweep_lookback_stateEbbT6_jjT7_P12ihipStream_tbENKUlT_T0_SG_SL_E_clIS7_S7_PlSB_EEDaSZ_S10_SG_SL_EUlSZ_E_NS1_11comp_targetILNS1_3genE9ELNS1_11target_archE1100ELNS1_3gpuE3ELNS1_3repE0EEENS1_47radix_sort_onesweep_sort_config_static_selectorELNS0_4arch9wavefront6targetE1EEEvSG_.num_agpr, 0
	.set _ZN7rocprim17ROCPRIM_400000_NS6detail17trampoline_kernelINS0_14default_configENS1_35radix_sort_onesweep_config_selectorIilEEZZNS1_29radix_sort_onesweep_iterationIS3_Lb0EPiS7_N6thrust23THRUST_200600_302600_NS10device_ptrIlEESB_jNS0_19identity_decomposerENS1_16block_id_wrapperIjLb0EEEEE10hipError_tT1_PNSt15iterator_traitsISG_E10value_typeET2_T3_PNSH_ISM_E10value_typeET4_T5_PSR_SS_PNS1_23onesweep_lookback_stateEbbT6_jjT7_P12ihipStream_tbENKUlT_T0_SG_SL_E_clIS7_S7_PlSB_EEDaSZ_S10_SG_SL_EUlSZ_E_NS1_11comp_targetILNS1_3genE9ELNS1_11target_archE1100ELNS1_3gpuE3ELNS1_3repE0EEENS1_47radix_sort_onesweep_sort_config_static_selectorELNS0_4arch9wavefront6targetE1EEEvSG_.numbered_sgpr, 0
	.set _ZN7rocprim17ROCPRIM_400000_NS6detail17trampoline_kernelINS0_14default_configENS1_35radix_sort_onesweep_config_selectorIilEEZZNS1_29radix_sort_onesweep_iterationIS3_Lb0EPiS7_N6thrust23THRUST_200600_302600_NS10device_ptrIlEESB_jNS0_19identity_decomposerENS1_16block_id_wrapperIjLb0EEEEE10hipError_tT1_PNSt15iterator_traitsISG_E10value_typeET2_T3_PNSH_ISM_E10value_typeET4_T5_PSR_SS_PNS1_23onesweep_lookback_stateEbbT6_jjT7_P12ihipStream_tbENKUlT_T0_SG_SL_E_clIS7_S7_PlSB_EEDaSZ_S10_SG_SL_EUlSZ_E_NS1_11comp_targetILNS1_3genE9ELNS1_11target_archE1100ELNS1_3gpuE3ELNS1_3repE0EEENS1_47radix_sort_onesweep_sort_config_static_selectorELNS0_4arch9wavefront6targetE1EEEvSG_.num_named_barrier, 0
	.set _ZN7rocprim17ROCPRIM_400000_NS6detail17trampoline_kernelINS0_14default_configENS1_35radix_sort_onesweep_config_selectorIilEEZZNS1_29radix_sort_onesweep_iterationIS3_Lb0EPiS7_N6thrust23THRUST_200600_302600_NS10device_ptrIlEESB_jNS0_19identity_decomposerENS1_16block_id_wrapperIjLb0EEEEE10hipError_tT1_PNSt15iterator_traitsISG_E10value_typeET2_T3_PNSH_ISM_E10value_typeET4_T5_PSR_SS_PNS1_23onesweep_lookback_stateEbbT6_jjT7_P12ihipStream_tbENKUlT_T0_SG_SL_E_clIS7_S7_PlSB_EEDaSZ_S10_SG_SL_EUlSZ_E_NS1_11comp_targetILNS1_3genE9ELNS1_11target_archE1100ELNS1_3gpuE3ELNS1_3repE0EEENS1_47radix_sort_onesweep_sort_config_static_selectorELNS0_4arch9wavefront6targetE1EEEvSG_.private_seg_size, 0
	.set _ZN7rocprim17ROCPRIM_400000_NS6detail17trampoline_kernelINS0_14default_configENS1_35radix_sort_onesweep_config_selectorIilEEZZNS1_29radix_sort_onesweep_iterationIS3_Lb0EPiS7_N6thrust23THRUST_200600_302600_NS10device_ptrIlEESB_jNS0_19identity_decomposerENS1_16block_id_wrapperIjLb0EEEEE10hipError_tT1_PNSt15iterator_traitsISG_E10value_typeET2_T3_PNSH_ISM_E10value_typeET4_T5_PSR_SS_PNS1_23onesweep_lookback_stateEbbT6_jjT7_P12ihipStream_tbENKUlT_T0_SG_SL_E_clIS7_S7_PlSB_EEDaSZ_S10_SG_SL_EUlSZ_E_NS1_11comp_targetILNS1_3genE9ELNS1_11target_archE1100ELNS1_3gpuE3ELNS1_3repE0EEENS1_47radix_sort_onesweep_sort_config_static_selectorELNS0_4arch9wavefront6targetE1EEEvSG_.uses_vcc, 0
	.set _ZN7rocprim17ROCPRIM_400000_NS6detail17trampoline_kernelINS0_14default_configENS1_35radix_sort_onesweep_config_selectorIilEEZZNS1_29radix_sort_onesweep_iterationIS3_Lb0EPiS7_N6thrust23THRUST_200600_302600_NS10device_ptrIlEESB_jNS0_19identity_decomposerENS1_16block_id_wrapperIjLb0EEEEE10hipError_tT1_PNSt15iterator_traitsISG_E10value_typeET2_T3_PNSH_ISM_E10value_typeET4_T5_PSR_SS_PNS1_23onesweep_lookback_stateEbbT6_jjT7_P12ihipStream_tbENKUlT_T0_SG_SL_E_clIS7_S7_PlSB_EEDaSZ_S10_SG_SL_EUlSZ_E_NS1_11comp_targetILNS1_3genE9ELNS1_11target_archE1100ELNS1_3gpuE3ELNS1_3repE0EEENS1_47radix_sort_onesweep_sort_config_static_selectorELNS0_4arch9wavefront6targetE1EEEvSG_.uses_flat_scratch, 0
	.set _ZN7rocprim17ROCPRIM_400000_NS6detail17trampoline_kernelINS0_14default_configENS1_35radix_sort_onesweep_config_selectorIilEEZZNS1_29radix_sort_onesweep_iterationIS3_Lb0EPiS7_N6thrust23THRUST_200600_302600_NS10device_ptrIlEESB_jNS0_19identity_decomposerENS1_16block_id_wrapperIjLb0EEEEE10hipError_tT1_PNSt15iterator_traitsISG_E10value_typeET2_T3_PNSH_ISM_E10value_typeET4_T5_PSR_SS_PNS1_23onesweep_lookback_stateEbbT6_jjT7_P12ihipStream_tbENKUlT_T0_SG_SL_E_clIS7_S7_PlSB_EEDaSZ_S10_SG_SL_EUlSZ_E_NS1_11comp_targetILNS1_3genE9ELNS1_11target_archE1100ELNS1_3gpuE3ELNS1_3repE0EEENS1_47radix_sort_onesweep_sort_config_static_selectorELNS0_4arch9wavefront6targetE1EEEvSG_.has_dyn_sized_stack, 0
	.set _ZN7rocprim17ROCPRIM_400000_NS6detail17trampoline_kernelINS0_14default_configENS1_35radix_sort_onesweep_config_selectorIilEEZZNS1_29radix_sort_onesweep_iterationIS3_Lb0EPiS7_N6thrust23THRUST_200600_302600_NS10device_ptrIlEESB_jNS0_19identity_decomposerENS1_16block_id_wrapperIjLb0EEEEE10hipError_tT1_PNSt15iterator_traitsISG_E10value_typeET2_T3_PNSH_ISM_E10value_typeET4_T5_PSR_SS_PNS1_23onesweep_lookback_stateEbbT6_jjT7_P12ihipStream_tbENKUlT_T0_SG_SL_E_clIS7_S7_PlSB_EEDaSZ_S10_SG_SL_EUlSZ_E_NS1_11comp_targetILNS1_3genE9ELNS1_11target_archE1100ELNS1_3gpuE3ELNS1_3repE0EEENS1_47radix_sort_onesweep_sort_config_static_selectorELNS0_4arch9wavefront6targetE1EEEvSG_.has_recursion, 0
	.set _ZN7rocprim17ROCPRIM_400000_NS6detail17trampoline_kernelINS0_14default_configENS1_35radix_sort_onesweep_config_selectorIilEEZZNS1_29radix_sort_onesweep_iterationIS3_Lb0EPiS7_N6thrust23THRUST_200600_302600_NS10device_ptrIlEESB_jNS0_19identity_decomposerENS1_16block_id_wrapperIjLb0EEEEE10hipError_tT1_PNSt15iterator_traitsISG_E10value_typeET2_T3_PNSH_ISM_E10value_typeET4_T5_PSR_SS_PNS1_23onesweep_lookback_stateEbbT6_jjT7_P12ihipStream_tbENKUlT_T0_SG_SL_E_clIS7_S7_PlSB_EEDaSZ_S10_SG_SL_EUlSZ_E_NS1_11comp_targetILNS1_3genE9ELNS1_11target_archE1100ELNS1_3gpuE3ELNS1_3repE0EEENS1_47radix_sort_onesweep_sort_config_static_selectorELNS0_4arch9wavefront6targetE1EEEvSG_.has_indirect_call, 0
	.section	.AMDGPU.csdata,"",@progbits
; Kernel info:
; codeLenInByte = 0
; TotalNumSgprs: 4
; NumVgprs: 0
; ScratchSize: 0
; MemoryBound: 0
; FloatMode: 240
; IeeeMode: 1
; LDSByteSize: 0 bytes/workgroup (compile time only)
; SGPRBlocks: 0
; VGPRBlocks: 0
; NumSGPRsForWavesPerEU: 4
; NumVGPRsForWavesPerEU: 1
; Occupancy: 10
; WaveLimiterHint : 0
; COMPUTE_PGM_RSRC2:SCRATCH_EN: 0
; COMPUTE_PGM_RSRC2:USER_SGPR: 6
; COMPUTE_PGM_RSRC2:TRAP_HANDLER: 0
; COMPUTE_PGM_RSRC2:TGID_X_EN: 1
; COMPUTE_PGM_RSRC2:TGID_Y_EN: 0
; COMPUTE_PGM_RSRC2:TGID_Z_EN: 0
; COMPUTE_PGM_RSRC2:TIDIG_COMP_CNT: 0
	.section	.text._ZN7rocprim17ROCPRIM_400000_NS6detail17trampoline_kernelINS0_14default_configENS1_35radix_sort_onesweep_config_selectorIilEEZZNS1_29radix_sort_onesweep_iterationIS3_Lb0EPiS7_N6thrust23THRUST_200600_302600_NS10device_ptrIlEESB_jNS0_19identity_decomposerENS1_16block_id_wrapperIjLb0EEEEE10hipError_tT1_PNSt15iterator_traitsISG_E10value_typeET2_T3_PNSH_ISM_E10value_typeET4_T5_PSR_SS_PNS1_23onesweep_lookback_stateEbbT6_jjT7_P12ihipStream_tbENKUlT_T0_SG_SL_E_clIS7_S7_PlSB_EEDaSZ_S10_SG_SL_EUlSZ_E_NS1_11comp_targetILNS1_3genE8ELNS1_11target_archE1030ELNS1_3gpuE2ELNS1_3repE0EEENS1_47radix_sort_onesweep_sort_config_static_selectorELNS0_4arch9wavefront6targetE1EEEvSG_,"axG",@progbits,_ZN7rocprim17ROCPRIM_400000_NS6detail17trampoline_kernelINS0_14default_configENS1_35radix_sort_onesweep_config_selectorIilEEZZNS1_29radix_sort_onesweep_iterationIS3_Lb0EPiS7_N6thrust23THRUST_200600_302600_NS10device_ptrIlEESB_jNS0_19identity_decomposerENS1_16block_id_wrapperIjLb0EEEEE10hipError_tT1_PNSt15iterator_traitsISG_E10value_typeET2_T3_PNSH_ISM_E10value_typeET4_T5_PSR_SS_PNS1_23onesweep_lookback_stateEbbT6_jjT7_P12ihipStream_tbENKUlT_T0_SG_SL_E_clIS7_S7_PlSB_EEDaSZ_S10_SG_SL_EUlSZ_E_NS1_11comp_targetILNS1_3genE8ELNS1_11target_archE1030ELNS1_3gpuE2ELNS1_3repE0EEENS1_47radix_sort_onesweep_sort_config_static_selectorELNS0_4arch9wavefront6targetE1EEEvSG_,comdat
	.protected	_ZN7rocprim17ROCPRIM_400000_NS6detail17trampoline_kernelINS0_14default_configENS1_35radix_sort_onesweep_config_selectorIilEEZZNS1_29radix_sort_onesweep_iterationIS3_Lb0EPiS7_N6thrust23THRUST_200600_302600_NS10device_ptrIlEESB_jNS0_19identity_decomposerENS1_16block_id_wrapperIjLb0EEEEE10hipError_tT1_PNSt15iterator_traitsISG_E10value_typeET2_T3_PNSH_ISM_E10value_typeET4_T5_PSR_SS_PNS1_23onesweep_lookback_stateEbbT6_jjT7_P12ihipStream_tbENKUlT_T0_SG_SL_E_clIS7_S7_PlSB_EEDaSZ_S10_SG_SL_EUlSZ_E_NS1_11comp_targetILNS1_3genE8ELNS1_11target_archE1030ELNS1_3gpuE2ELNS1_3repE0EEENS1_47radix_sort_onesweep_sort_config_static_selectorELNS0_4arch9wavefront6targetE1EEEvSG_ ; -- Begin function _ZN7rocprim17ROCPRIM_400000_NS6detail17trampoline_kernelINS0_14default_configENS1_35radix_sort_onesweep_config_selectorIilEEZZNS1_29radix_sort_onesweep_iterationIS3_Lb0EPiS7_N6thrust23THRUST_200600_302600_NS10device_ptrIlEESB_jNS0_19identity_decomposerENS1_16block_id_wrapperIjLb0EEEEE10hipError_tT1_PNSt15iterator_traitsISG_E10value_typeET2_T3_PNSH_ISM_E10value_typeET4_T5_PSR_SS_PNS1_23onesweep_lookback_stateEbbT6_jjT7_P12ihipStream_tbENKUlT_T0_SG_SL_E_clIS7_S7_PlSB_EEDaSZ_S10_SG_SL_EUlSZ_E_NS1_11comp_targetILNS1_3genE8ELNS1_11target_archE1030ELNS1_3gpuE2ELNS1_3repE0EEENS1_47radix_sort_onesweep_sort_config_static_selectorELNS0_4arch9wavefront6targetE1EEEvSG_
	.globl	_ZN7rocprim17ROCPRIM_400000_NS6detail17trampoline_kernelINS0_14default_configENS1_35radix_sort_onesweep_config_selectorIilEEZZNS1_29radix_sort_onesweep_iterationIS3_Lb0EPiS7_N6thrust23THRUST_200600_302600_NS10device_ptrIlEESB_jNS0_19identity_decomposerENS1_16block_id_wrapperIjLb0EEEEE10hipError_tT1_PNSt15iterator_traitsISG_E10value_typeET2_T3_PNSH_ISM_E10value_typeET4_T5_PSR_SS_PNS1_23onesweep_lookback_stateEbbT6_jjT7_P12ihipStream_tbENKUlT_T0_SG_SL_E_clIS7_S7_PlSB_EEDaSZ_S10_SG_SL_EUlSZ_E_NS1_11comp_targetILNS1_3genE8ELNS1_11target_archE1030ELNS1_3gpuE2ELNS1_3repE0EEENS1_47radix_sort_onesweep_sort_config_static_selectorELNS0_4arch9wavefront6targetE1EEEvSG_
	.p2align	8
	.type	_ZN7rocprim17ROCPRIM_400000_NS6detail17trampoline_kernelINS0_14default_configENS1_35radix_sort_onesweep_config_selectorIilEEZZNS1_29radix_sort_onesweep_iterationIS3_Lb0EPiS7_N6thrust23THRUST_200600_302600_NS10device_ptrIlEESB_jNS0_19identity_decomposerENS1_16block_id_wrapperIjLb0EEEEE10hipError_tT1_PNSt15iterator_traitsISG_E10value_typeET2_T3_PNSH_ISM_E10value_typeET4_T5_PSR_SS_PNS1_23onesweep_lookback_stateEbbT6_jjT7_P12ihipStream_tbENKUlT_T0_SG_SL_E_clIS7_S7_PlSB_EEDaSZ_S10_SG_SL_EUlSZ_E_NS1_11comp_targetILNS1_3genE8ELNS1_11target_archE1030ELNS1_3gpuE2ELNS1_3repE0EEENS1_47radix_sort_onesweep_sort_config_static_selectorELNS0_4arch9wavefront6targetE1EEEvSG_,@function
_ZN7rocprim17ROCPRIM_400000_NS6detail17trampoline_kernelINS0_14default_configENS1_35radix_sort_onesweep_config_selectorIilEEZZNS1_29radix_sort_onesweep_iterationIS3_Lb0EPiS7_N6thrust23THRUST_200600_302600_NS10device_ptrIlEESB_jNS0_19identity_decomposerENS1_16block_id_wrapperIjLb0EEEEE10hipError_tT1_PNSt15iterator_traitsISG_E10value_typeET2_T3_PNSH_ISM_E10value_typeET4_T5_PSR_SS_PNS1_23onesweep_lookback_stateEbbT6_jjT7_P12ihipStream_tbENKUlT_T0_SG_SL_E_clIS7_S7_PlSB_EEDaSZ_S10_SG_SL_EUlSZ_E_NS1_11comp_targetILNS1_3genE8ELNS1_11target_archE1030ELNS1_3gpuE2ELNS1_3repE0EEENS1_47radix_sort_onesweep_sort_config_static_selectorELNS0_4arch9wavefront6targetE1EEEvSG_: ; @_ZN7rocprim17ROCPRIM_400000_NS6detail17trampoline_kernelINS0_14default_configENS1_35radix_sort_onesweep_config_selectorIilEEZZNS1_29radix_sort_onesweep_iterationIS3_Lb0EPiS7_N6thrust23THRUST_200600_302600_NS10device_ptrIlEESB_jNS0_19identity_decomposerENS1_16block_id_wrapperIjLb0EEEEE10hipError_tT1_PNSt15iterator_traitsISG_E10value_typeET2_T3_PNSH_ISM_E10value_typeET4_T5_PSR_SS_PNS1_23onesweep_lookback_stateEbbT6_jjT7_P12ihipStream_tbENKUlT_T0_SG_SL_E_clIS7_S7_PlSB_EEDaSZ_S10_SG_SL_EUlSZ_E_NS1_11comp_targetILNS1_3genE8ELNS1_11target_archE1030ELNS1_3gpuE2ELNS1_3repE0EEENS1_47radix_sort_onesweep_sort_config_static_selectorELNS0_4arch9wavefront6targetE1EEEvSG_
; %bb.0:
	.section	.rodata,"a",@progbits
	.p2align	6, 0x0
	.amdhsa_kernel _ZN7rocprim17ROCPRIM_400000_NS6detail17trampoline_kernelINS0_14default_configENS1_35radix_sort_onesweep_config_selectorIilEEZZNS1_29radix_sort_onesweep_iterationIS3_Lb0EPiS7_N6thrust23THRUST_200600_302600_NS10device_ptrIlEESB_jNS0_19identity_decomposerENS1_16block_id_wrapperIjLb0EEEEE10hipError_tT1_PNSt15iterator_traitsISG_E10value_typeET2_T3_PNSH_ISM_E10value_typeET4_T5_PSR_SS_PNS1_23onesweep_lookback_stateEbbT6_jjT7_P12ihipStream_tbENKUlT_T0_SG_SL_E_clIS7_S7_PlSB_EEDaSZ_S10_SG_SL_EUlSZ_E_NS1_11comp_targetILNS1_3genE8ELNS1_11target_archE1030ELNS1_3gpuE2ELNS1_3repE0EEENS1_47radix_sort_onesweep_sort_config_static_selectorELNS0_4arch9wavefront6targetE1EEEvSG_
		.amdhsa_group_segment_fixed_size 0
		.amdhsa_private_segment_fixed_size 0
		.amdhsa_kernarg_size 88
		.amdhsa_user_sgpr_count 6
		.amdhsa_user_sgpr_private_segment_buffer 1
		.amdhsa_user_sgpr_dispatch_ptr 0
		.amdhsa_user_sgpr_queue_ptr 0
		.amdhsa_user_sgpr_kernarg_segment_ptr 1
		.amdhsa_user_sgpr_dispatch_id 0
		.amdhsa_user_sgpr_flat_scratch_init 0
		.amdhsa_user_sgpr_private_segment_size 0
		.amdhsa_uses_dynamic_stack 0
		.amdhsa_system_sgpr_private_segment_wavefront_offset 0
		.amdhsa_system_sgpr_workgroup_id_x 1
		.amdhsa_system_sgpr_workgroup_id_y 0
		.amdhsa_system_sgpr_workgroup_id_z 0
		.amdhsa_system_sgpr_workgroup_info 0
		.amdhsa_system_vgpr_workitem_id 0
		.amdhsa_next_free_vgpr 1
		.amdhsa_next_free_sgpr 0
		.amdhsa_reserve_vcc 0
		.amdhsa_reserve_flat_scratch 0
		.amdhsa_float_round_mode_32 0
		.amdhsa_float_round_mode_16_64 0
		.amdhsa_float_denorm_mode_32 3
		.amdhsa_float_denorm_mode_16_64 3
		.amdhsa_dx10_clamp 1
		.amdhsa_ieee_mode 1
		.amdhsa_fp16_overflow 0
		.amdhsa_exception_fp_ieee_invalid_op 0
		.amdhsa_exception_fp_denorm_src 0
		.amdhsa_exception_fp_ieee_div_zero 0
		.amdhsa_exception_fp_ieee_overflow 0
		.amdhsa_exception_fp_ieee_underflow 0
		.amdhsa_exception_fp_ieee_inexact 0
		.amdhsa_exception_int_div_zero 0
	.end_amdhsa_kernel
	.section	.text._ZN7rocprim17ROCPRIM_400000_NS6detail17trampoline_kernelINS0_14default_configENS1_35radix_sort_onesweep_config_selectorIilEEZZNS1_29radix_sort_onesweep_iterationIS3_Lb0EPiS7_N6thrust23THRUST_200600_302600_NS10device_ptrIlEESB_jNS0_19identity_decomposerENS1_16block_id_wrapperIjLb0EEEEE10hipError_tT1_PNSt15iterator_traitsISG_E10value_typeET2_T3_PNSH_ISM_E10value_typeET4_T5_PSR_SS_PNS1_23onesweep_lookback_stateEbbT6_jjT7_P12ihipStream_tbENKUlT_T0_SG_SL_E_clIS7_S7_PlSB_EEDaSZ_S10_SG_SL_EUlSZ_E_NS1_11comp_targetILNS1_3genE8ELNS1_11target_archE1030ELNS1_3gpuE2ELNS1_3repE0EEENS1_47radix_sort_onesweep_sort_config_static_selectorELNS0_4arch9wavefront6targetE1EEEvSG_,"axG",@progbits,_ZN7rocprim17ROCPRIM_400000_NS6detail17trampoline_kernelINS0_14default_configENS1_35radix_sort_onesweep_config_selectorIilEEZZNS1_29radix_sort_onesweep_iterationIS3_Lb0EPiS7_N6thrust23THRUST_200600_302600_NS10device_ptrIlEESB_jNS0_19identity_decomposerENS1_16block_id_wrapperIjLb0EEEEE10hipError_tT1_PNSt15iterator_traitsISG_E10value_typeET2_T3_PNSH_ISM_E10value_typeET4_T5_PSR_SS_PNS1_23onesweep_lookback_stateEbbT6_jjT7_P12ihipStream_tbENKUlT_T0_SG_SL_E_clIS7_S7_PlSB_EEDaSZ_S10_SG_SL_EUlSZ_E_NS1_11comp_targetILNS1_3genE8ELNS1_11target_archE1030ELNS1_3gpuE2ELNS1_3repE0EEENS1_47radix_sort_onesweep_sort_config_static_selectorELNS0_4arch9wavefront6targetE1EEEvSG_,comdat
.Lfunc_end919:
	.size	_ZN7rocprim17ROCPRIM_400000_NS6detail17trampoline_kernelINS0_14default_configENS1_35radix_sort_onesweep_config_selectorIilEEZZNS1_29radix_sort_onesweep_iterationIS3_Lb0EPiS7_N6thrust23THRUST_200600_302600_NS10device_ptrIlEESB_jNS0_19identity_decomposerENS1_16block_id_wrapperIjLb0EEEEE10hipError_tT1_PNSt15iterator_traitsISG_E10value_typeET2_T3_PNSH_ISM_E10value_typeET4_T5_PSR_SS_PNS1_23onesweep_lookback_stateEbbT6_jjT7_P12ihipStream_tbENKUlT_T0_SG_SL_E_clIS7_S7_PlSB_EEDaSZ_S10_SG_SL_EUlSZ_E_NS1_11comp_targetILNS1_3genE8ELNS1_11target_archE1030ELNS1_3gpuE2ELNS1_3repE0EEENS1_47radix_sort_onesweep_sort_config_static_selectorELNS0_4arch9wavefront6targetE1EEEvSG_, .Lfunc_end919-_ZN7rocprim17ROCPRIM_400000_NS6detail17trampoline_kernelINS0_14default_configENS1_35radix_sort_onesweep_config_selectorIilEEZZNS1_29radix_sort_onesweep_iterationIS3_Lb0EPiS7_N6thrust23THRUST_200600_302600_NS10device_ptrIlEESB_jNS0_19identity_decomposerENS1_16block_id_wrapperIjLb0EEEEE10hipError_tT1_PNSt15iterator_traitsISG_E10value_typeET2_T3_PNSH_ISM_E10value_typeET4_T5_PSR_SS_PNS1_23onesweep_lookback_stateEbbT6_jjT7_P12ihipStream_tbENKUlT_T0_SG_SL_E_clIS7_S7_PlSB_EEDaSZ_S10_SG_SL_EUlSZ_E_NS1_11comp_targetILNS1_3genE8ELNS1_11target_archE1030ELNS1_3gpuE2ELNS1_3repE0EEENS1_47radix_sort_onesweep_sort_config_static_selectorELNS0_4arch9wavefront6targetE1EEEvSG_
                                        ; -- End function
	.set _ZN7rocprim17ROCPRIM_400000_NS6detail17trampoline_kernelINS0_14default_configENS1_35radix_sort_onesweep_config_selectorIilEEZZNS1_29radix_sort_onesweep_iterationIS3_Lb0EPiS7_N6thrust23THRUST_200600_302600_NS10device_ptrIlEESB_jNS0_19identity_decomposerENS1_16block_id_wrapperIjLb0EEEEE10hipError_tT1_PNSt15iterator_traitsISG_E10value_typeET2_T3_PNSH_ISM_E10value_typeET4_T5_PSR_SS_PNS1_23onesweep_lookback_stateEbbT6_jjT7_P12ihipStream_tbENKUlT_T0_SG_SL_E_clIS7_S7_PlSB_EEDaSZ_S10_SG_SL_EUlSZ_E_NS1_11comp_targetILNS1_3genE8ELNS1_11target_archE1030ELNS1_3gpuE2ELNS1_3repE0EEENS1_47radix_sort_onesweep_sort_config_static_selectorELNS0_4arch9wavefront6targetE1EEEvSG_.num_vgpr, 0
	.set _ZN7rocprim17ROCPRIM_400000_NS6detail17trampoline_kernelINS0_14default_configENS1_35radix_sort_onesweep_config_selectorIilEEZZNS1_29radix_sort_onesweep_iterationIS3_Lb0EPiS7_N6thrust23THRUST_200600_302600_NS10device_ptrIlEESB_jNS0_19identity_decomposerENS1_16block_id_wrapperIjLb0EEEEE10hipError_tT1_PNSt15iterator_traitsISG_E10value_typeET2_T3_PNSH_ISM_E10value_typeET4_T5_PSR_SS_PNS1_23onesweep_lookback_stateEbbT6_jjT7_P12ihipStream_tbENKUlT_T0_SG_SL_E_clIS7_S7_PlSB_EEDaSZ_S10_SG_SL_EUlSZ_E_NS1_11comp_targetILNS1_3genE8ELNS1_11target_archE1030ELNS1_3gpuE2ELNS1_3repE0EEENS1_47radix_sort_onesweep_sort_config_static_selectorELNS0_4arch9wavefront6targetE1EEEvSG_.num_agpr, 0
	.set _ZN7rocprim17ROCPRIM_400000_NS6detail17trampoline_kernelINS0_14default_configENS1_35radix_sort_onesweep_config_selectorIilEEZZNS1_29radix_sort_onesweep_iterationIS3_Lb0EPiS7_N6thrust23THRUST_200600_302600_NS10device_ptrIlEESB_jNS0_19identity_decomposerENS1_16block_id_wrapperIjLb0EEEEE10hipError_tT1_PNSt15iterator_traitsISG_E10value_typeET2_T3_PNSH_ISM_E10value_typeET4_T5_PSR_SS_PNS1_23onesweep_lookback_stateEbbT6_jjT7_P12ihipStream_tbENKUlT_T0_SG_SL_E_clIS7_S7_PlSB_EEDaSZ_S10_SG_SL_EUlSZ_E_NS1_11comp_targetILNS1_3genE8ELNS1_11target_archE1030ELNS1_3gpuE2ELNS1_3repE0EEENS1_47radix_sort_onesweep_sort_config_static_selectorELNS0_4arch9wavefront6targetE1EEEvSG_.numbered_sgpr, 0
	.set _ZN7rocprim17ROCPRIM_400000_NS6detail17trampoline_kernelINS0_14default_configENS1_35radix_sort_onesweep_config_selectorIilEEZZNS1_29radix_sort_onesweep_iterationIS3_Lb0EPiS7_N6thrust23THRUST_200600_302600_NS10device_ptrIlEESB_jNS0_19identity_decomposerENS1_16block_id_wrapperIjLb0EEEEE10hipError_tT1_PNSt15iterator_traitsISG_E10value_typeET2_T3_PNSH_ISM_E10value_typeET4_T5_PSR_SS_PNS1_23onesweep_lookback_stateEbbT6_jjT7_P12ihipStream_tbENKUlT_T0_SG_SL_E_clIS7_S7_PlSB_EEDaSZ_S10_SG_SL_EUlSZ_E_NS1_11comp_targetILNS1_3genE8ELNS1_11target_archE1030ELNS1_3gpuE2ELNS1_3repE0EEENS1_47radix_sort_onesweep_sort_config_static_selectorELNS0_4arch9wavefront6targetE1EEEvSG_.num_named_barrier, 0
	.set _ZN7rocprim17ROCPRIM_400000_NS6detail17trampoline_kernelINS0_14default_configENS1_35radix_sort_onesweep_config_selectorIilEEZZNS1_29radix_sort_onesweep_iterationIS3_Lb0EPiS7_N6thrust23THRUST_200600_302600_NS10device_ptrIlEESB_jNS0_19identity_decomposerENS1_16block_id_wrapperIjLb0EEEEE10hipError_tT1_PNSt15iterator_traitsISG_E10value_typeET2_T3_PNSH_ISM_E10value_typeET4_T5_PSR_SS_PNS1_23onesweep_lookback_stateEbbT6_jjT7_P12ihipStream_tbENKUlT_T0_SG_SL_E_clIS7_S7_PlSB_EEDaSZ_S10_SG_SL_EUlSZ_E_NS1_11comp_targetILNS1_3genE8ELNS1_11target_archE1030ELNS1_3gpuE2ELNS1_3repE0EEENS1_47radix_sort_onesweep_sort_config_static_selectorELNS0_4arch9wavefront6targetE1EEEvSG_.private_seg_size, 0
	.set _ZN7rocprim17ROCPRIM_400000_NS6detail17trampoline_kernelINS0_14default_configENS1_35radix_sort_onesweep_config_selectorIilEEZZNS1_29radix_sort_onesweep_iterationIS3_Lb0EPiS7_N6thrust23THRUST_200600_302600_NS10device_ptrIlEESB_jNS0_19identity_decomposerENS1_16block_id_wrapperIjLb0EEEEE10hipError_tT1_PNSt15iterator_traitsISG_E10value_typeET2_T3_PNSH_ISM_E10value_typeET4_T5_PSR_SS_PNS1_23onesweep_lookback_stateEbbT6_jjT7_P12ihipStream_tbENKUlT_T0_SG_SL_E_clIS7_S7_PlSB_EEDaSZ_S10_SG_SL_EUlSZ_E_NS1_11comp_targetILNS1_3genE8ELNS1_11target_archE1030ELNS1_3gpuE2ELNS1_3repE0EEENS1_47radix_sort_onesweep_sort_config_static_selectorELNS0_4arch9wavefront6targetE1EEEvSG_.uses_vcc, 0
	.set _ZN7rocprim17ROCPRIM_400000_NS6detail17trampoline_kernelINS0_14default_configENS1_35radix_sort_onesweep_config_selectorIilEEZZNS1_29radix_sort_onesweep_iterationIS3_Lb0EPiS7_N6thrust23THRUST_200600_302600_NS10device_ptrIlEESB_jNS0_19identity_decomposerENS1_16block_id_wrapperIjLb0EEEEE10hipError_tT1_PNSt15iterator_traitsISG_E10value_typeET2_T3_PNSH_ISM_E10value_typeET4_T5_PSR_SS_PNS1_23onesweep_lookback_stateEbbT6_jjT7_P12ihipStream_tbENKUlT_T0_SG_SL_E_clIS7_S7_PlSB_EEDaSZ_S10_SG_SL_EUlSZ_E_NS1_11comp_targetILNS1_3genE8ELNS1_11target_archE1030ELNS1_3gpuE2ELNS1_3repE0EEENS1_47radix_sort_onesweep_sort_config_static_selectorELNS0_4arch9wavefront6targetE1EEEvSG_.uses_flat_scratch, 0
	.set _ZN7rocprim17ROCPRIM_400000_NS6detail17trampoline_kernelINS0_14default_configENS1_35radix_sort_onesweep_config_selectorIilEEZZNS1_29radix_sort_onesweep_iterationIS3_Lb0EPiS7_N6thrust23THRUST_200600_302600_NS10device_ptrIlEESB_jNS0_19identity_decomposerENS1_16block_id_wrapperIjLb0EEEEE10hipError_tT1_PNSt15iterator_traitsISG_E10value_typeET2_T3_PNSH_ISM_E10value_typeET4_T5_PSR_SS_PNS1_23onesweep_lookback_stateEbbT6_jjT7_P12ihipStream_tbENKUlT_T0_SG_SL_E_clIS7_S7_PlSB_EEDaSZ_S10_SG_SL_EUlSZ_E_NS1_11comp_targetILNS1_3genE8ELNS1_11target_archE1030ELNS1_3gpuE2ELNS1_3repE0EEENS1_47radix_sort_onesweep_sort_config_static_selectorELNS0_4arch9wavefront6targetE1EEEvSG_.has_dyn_sized_stack, 0
	.set _ZN7rocprim17ROCPRIM_400000_NS6detail17trampoline_kernelINS0_14default_configENS1_35radix_sort_onesweep_config_selectorIilEEZZNS1_29radix_sort_onesweep_iterationIS3_Lb0EPiS7_N6thrust23THRUST_200600_302600_NS10device_ptrIlEESB_jNS0_19identity_decomposerENS1_16block_id_wrapperIjLb0EEEEE10hipError_tT1_PNSt15iterator_traitsISG_E10value_typeET2_T3_PNSH_ISM_E10value_typeET4_T5_PSR_SS_PNS1_23onesweep_lookback_stateEbbT6_jjT7_P12ihipStream_tbENKUlT_T0_SG_SL_E_clIS7_S7_PlSB_EEDaSZ_S10_SG_SL_EUlSZ_E_NS1_11comp_targetILNS1_3genE8ELNS1_11target_archE1030ELNS1_3gpuE2ELNS1_3repE0EEENS1_47radix_sort_onesweep_sort_config_static_selectorELNS0_4arch9wavefront6targetE1EEEvSG_.has_recursion, 0
	.set _ZN7rocprim17ROCPRIM_400000_NS6detail17trampoline_kernelINS0_14default_configENS1_35radix_sort_onesweep_config_selectorIilEEZZNS1_29radix_sort_onesweep_iterationIS3_Lb0EPiS7_N6thrust23THRUST_200600_302600_NS10device_ptrIlEESB_jNS0_19identity_decomposerENS1_16block_id_wrapperIjLb0EEEEE10hipError_tT1_PNSt15iterator_traitsISG_E10value_typeET2_T3_PNSH_ISM_E10value_typeET4_T5_PSR_SS_PNS1_23onesweep_lookback_stateEbbT6_jjT7_P12ihipStream_tbENKUlT_T0_SG_SL_E_clIS7_S7_PlSB_EEDaSZ_S10_SG_SL_EUlSZ_E_NS1_11comp_targetILNS1_3genE8ELNS1_11target_archE1030ELNS1_3gpuE2ELNS1_3repE0EEENS1_47radix_sort_onesweep_sort_config_static_selectorELNS0_4arch9wavefront6targetE1EEEvSG_.has_indirect_call, 0
	.section	.AMDGPU.csdata,"",@progbits
; Kernel info:
; codeLenInByte = 0
; TotalNumSgprs: 4
; NumVgprs: 0
; ScratchSize: 0
; MemoryBound: 0
; FloatMode: 240
; IeeeMode: 1
; LDSByteSize: 0 bytes/workgroup (compile time only)
; SGPRBlocks: 0
; VGPRBlocks: 0
; NumSGPRsForWavesPerEU: 4
; NumVGPRsForWavesPerEU: 1
; Occupancy: 10
; WaveLimiterHint : 0
; COMPUTE_PGM_RSRC2:SCRATCH_EN: 0
; COMPUTE_PGM_RSRC2:USER_SGPR: 6
; COMPUTE_PGM_RSRC2:TRAP_HANDLER: 0
; COMPUTE_PGM_RSRC2:TGID_X_EN: 1
; COMPUTE_PGM_RSRC2:TGID_Y_EN: 0
; COMPUTE_PGM_RSRC2:TGID_Z_EN: 0
; COMPUTE_PGM_RSRC2:TIDIG_COMP_CNT: 0
	.section	.text._ZN7rocprim17ROCPRIM_400000_NS6detail17trampoline_kernelINS0_14default_configENS1_22reduce_config_selectorIiEEZNS1_11reduce_implILb1ES3_N6thrust23THRUST_200600_302600_NS11hip_rocprim35transform_pair_of_input_iterators_tIiPiSB_NS8_12not_equal_toIiEEEESB_iNS8_4plusIiEEEE10hipError_tPvRmT1_T2_T3_mT4_P12ihipStream_tbEUlT_E0_NS1_11comp_targetILNS1_3genE0ELNS1_11target_archE4294967295ELNS1_3gpuE0ELNS1_3repE0EEENS1_30default_config_static_selectorELNS0_4arch9wavefront6targetE1EEEvSK_,"axG",@progbits,_ZN7rocprim17ROCPRIM_400000_NS6detail17trampoline_kernelINS0_14default_configENS1_22reduce_config_selectorIiEEZNS1_11reduce_implILb1ES3_N6thrust23THRUST_200600_302600_NS11hip_rocprim35transform_pair_of_input_iterators_tIiPiSB_NS8_12not_equal_toIiEEEESB_iNS8_4plusIiEEEE10hipError_tPvRmT1_T2_T3_mT4_P12ihipStream_tbEUlT_E0_NS1_11comp_targetILNS1_3genE0ELNS1_11target_archE4294967295ELNS1_3gpuE0ELNS1_3repE0EEENS1_30default_config_static_selectorELNS0_4arch9wavefront6targetE1EEEvSK_,comdat
	.protected	_ZN7rocprim17ROCPRIM_400000_NS6detail17trampoline_kernelINS0_14default_configENS1_22reduce_config_selectorIiEEZNS1_11reduce_implILb1ES3_N6thrust23THRUST_200600_302600_NS11hip_rocprim35transform_pair_of_input_iterators_tIiPiSB_NS8_12not_equal_toIiEEEESB_iNS8_4plusIiEEEE10hipError_tPvRmT1_T2_T3_mT4_P12ihipStream_tbEUlT_E0_NS1_11comp_targetILNS1_3genE0ELNS1_11target_archE4294967295ELNS1_3gpuE0ELNS1_3repE0EEENS1_30default_config_static_selectorELNS0_4arch9wavefront6targetE1EEEvSK_ ; -- Begin function _ZN7rocprim17ROCPRIM_400000_NS6detail17trampoline_kernelINS0_14default_configENS1_22reduce_config_selectorIiEEZNS1_11reduce_implILb1ES3_N6thrust23THRUST_200600_302600_NS11hip_rocprim35transform_pair_of_input_iterators_tIiPiSB_NS8_12not_equal_toIiEEEESB_iNS8_4plusIiEEEE10hipError_tPvRmT1_T2_T3_mT4_P12ihipStream_tbEUlT_E0_NS1_11comp_targetILNS1_3genE0ELNS1_11target_archE4294967295ELNS1_3gpuE0ELNS1_3repE0EEENS1_30default_config_static_selectorELNS0_4arch9wavefront6targetE1EEEvSK_
	.globl	_ZN7rocprim17ROCPRIM_400000_NS6detail17trampoline_kernelINS0_14default_configENS1_22reduce_config_selectorIiEEZNS1_11reduce_implILb1ES3_N6thrust23THRUST_200600_302600_NS11hip_rocprim35transform_pair_of_input_iterators_tIiPiSB_NS8_12not_equal_toIiEEEESB_iNS8_4plusIiEEEE10hipError_tPvRmT1_T2_T3_mT4_P12ihipStream_tbEUlT_E0_NS1_11comp_targetILNS1_3genE0ELNS1_11target_archE4294967295ELNS1_3gpuE0ELNS1_3repE0EEENS1_30default_config_static_selectorELNS0_4arch9wavefront6targetE1EEEvSK_
	.p2align	8
	.type	_ZN7rocprim17ROCPRIM_400000_NS6detail17trampoline_kernelINS0_14default_configENS1_22reduce_config_selectorIiEEZNS1_11reduce_implILb1ES3_N6thrust23THRUST_200600_302600_NS11hip_rocprim35transform_pair_of_input_iterators_tIiPiSB_NS8_12not_equal_toIiEEEESB_iNS8_4plusIiEEEE10hipError_tPvRmT1_T2_T3_mT4_P12ihipStream_tbEUlT_E0_NS1_11comp_targetILNS1_3genE0ELNS1_11target_archE4294967295ELNS1_3gpuE0ELNS1_3repE0EEENS1_30default_config_static_selectorELNS0_4arch9wavefront6targetE1EEEvSK_,@function
_ZN7rocprim17ROCPRIM_400000_NS6detail17trampoline_kernelINS0_14default_configENS1_22reduce_config_selectorIiEEZNS1_11reduce_implILb1ES3_N6thrust23THRUST_200600_302600_NS11hip_rocprim35transform_pair_of_input_iterators_tIiPiSB_NS8_12not_equal_toIiEEEESB_iNS8_4plusIiEEEE10hipError_tPvRmT1_T2_T3_mT4_P12ihipStream_tbEUlT_E0_NS1_11comp_targetILNS1_3genE0ELNS1_11target_archE4294967295ELNS1_3gpuE0ELNS1_3repE0EEENS1_30default_config_static_selectorELNS0_4arch9wavefront6targetE1EEEvSK_: ; @_ZN7rocprim17ROCPRIM_400000_NS6detail17trampoline_kernelINS0_14default_configENS1_22reduce_config_selectorIiEEZNS1_11reduce_implILb1ES3_N6thrust23THRUST_200600_302600_NS11hip_rocprim35transform_pair_of_input_iterators_tIiPiSB_NS8_12not_equal_toIiEEEESB_iNS8_4plusIiEEEE10hipError_tPvRmT1_T2_T3_mT4_P12ihipStream_tbEUlT_E0_NS1_11comp_targetILNS1_3genE0ELNS1_11target_archE4294967295ELNS1_3gpuE0ELNS1_3repE0EEENS1_30default_config_static_selectorELNS0_4arch9wavefront6targetE1EEEvSK_
; %bb.0:
	.section	.rodata,"a",@progbits
	.p2align	6, 0x0
	.amdhsa_kernel _ZN7rocprim17ROCPRIM_400000_NS6detail17trampoline_kernelINS0_14default_configENS1_22reduce_config_selectorIiEEZNS1_11reduce_implILb1ES3_N6thrust23THRUST_200600_302600_NS11hip_rocprim35transform_pair_of_input_iterators_tIiPiSB_NS8_12not_equal_toIiEEEESB_iNS8_4plusIiEEEE10hipError_tPvRmT1_T2_T3_mT4_P12ihipStream_tbEUlT_E0_NS1_11comp_targetILNS1_3genE0ELNS1_11target_archE4294967295ELNS1_3gpuE0ELNS1_3repE0EEENS1_30default_config_static_selectorELNS0_4arch9wavefront6targetE1EEEvSK_
		.amdhsa_group_segment_fixed_size 0
		.amdhsa_private_segment_fixed_size 0
		.amdhsa_kernarg_size 72
		.amdhsa_user_sgpr_count 6
		.amdhsa_user_sgpr_private_segment_buffer 1
		.amdhsa_user_sgpr_dispatch_ptr 0
		.amdhsa_user_sgpr_queue_ptr 0
		.amdhsa_user_sgpr_kernarg_segment_ptr 1
		.amdhsa_user_sgpr_dispatch_id 0
		.amdhsa_user_sgpr_flat_scratch_init 0
		.amdhsa_user_sgpr_private_segment_size 0
		.amdhsa_uses_dynamic_stack 0
		.amdhsa_system_sgpr_private_segment_wavefront_offset 0
		.amdhsa_system_sgpr_workgroup_id_x 1
		.amdhsa_system_sgpr_workgroup_id_y 0
		.amdhsa_system_sgpr_workgroup_id_z 0
		.amdhsa_system_sgpr_workgroup_info 0
		.amdhsa_system_vgpr_workitem_id 0
		.amdhsa_next_free_vgpr 1
		.amdhsa_next_free_sgpr 0
		.amdhsa_reserve_vcc 0
		.amdhsa_reserve_flat_scratch 0
		.amdhsa_float_round_mode_32 0
		.amdhsa_float_round_mode_16_64 0
		.amdhsa_float_denorm_mode_32 3
		.amdhsa_float_denorm_mode_16_64 3
		.amdhsa_dx10_clamp 1
		.amdhsa_ieee_mode 1
		.amdhsa_fp16_overflow 0
		.amdhsa_exception_fp_ieee_invalid_op 0
		.amdhsa_exception_fp_denorm_src 0
		.amdhsa_exception_fp_ieee_div_zero 0
		.amdhsa_exception_fp_ieee_overflow 0
		.amdhsa_exception_fp_ieee_underflow 0
		.amdhsa_exception_fp_ieee_inexact 0
		.amdhsa_exception_int_div_zero 0
	.end_amdhsa_kernel
	.section	.text._ZN7rocprim17ROCPRIM_400000_NS6detail17trampoline_kernelINS0_14default_configENS1_22reduce_config_selectorIiEEZNS1_11reduce_implILb1ES3_N6thrust23THRUST_200600_302600_NS11hip_rocprim35transform_pair_of_input_iterators_tIiPiSB_NS8_12not_equal_toIiEEEESB_iNS8_4plusIiEEEE10hipError_tPvRmT1_T2_T3_mT4_P12ihipStream_tbEUlT_E0_NS1_11comp_targetILNS1_3genE0ELNS1_11target_archE4294967295ELNS1_3gpuE0ELNS1_3repE0EEENS1_30default_config_static_selectorELNS0_4arch9wavefront6targetE1EEEvSK_,"axG",@progbits,_ZN7rocprim17ROCPRIM_400000_NS6detail17trampoline_kernelINS0_14default_configENS1_22reduce_config_selectorIiEEZNS1_11reduce_implILb1ES3_N6thrust23THRUST_200600_302600_NS11hip_rocprim35transform_pair_of_input_iterators_tIiPiSB_NS8_12not_equal_toIiEEEESB_iNS8_4plusIiEEEE10hipError_tPvRmT1_T2_T3_mT4_P12ihipStream_tbEUlT_E0_NS1_11comp_targetILNS1_3genE0ELNS1_11target_archE4294967295ELNS1_3gpuE0ELNS1_3repE0EEENS1_30default_config_static_selectorELNS0_4arch9wavefront6targetE1EEEvSK_,comdat
.Lfunc_end920:
	.size	_ZN7rocprim17ROCPRIM_400000_NS6detail17trampoline_kernelINS0_14default_configENS1_22reduce_config_selectorIiEEZNS1_11reduce_implILb1ES3_N6thrust23THRUST_200600_302600_NS11hip_rocprim35transform_pair_of_input_iterators_tIiPiSB_NS8_12not_equal_toIiEEEESB_iNS8_4plusIiEEEE10hipError_tPvRmT1_T2_T3_mT4_P12ihipStream_tbEUlT_E0_NS1_11comp_targetILNS1_3genE0ELNS1_11target_archE4294967295ELNS1_3gpuE0ELNS1_3repE0EEENS1_30default_config_static_selectorELNS0_4arch9wavefront6targetE1EEEvSK_, .Lfunc_end920-_ZN7rocprim17ROCPRIM_400000_NS6detail17trampoline_kernelINS0_14default_configENS1_22reduce_config_selectorIiEEZNS1_11reduce_implILb1ES3_N6thrust23THRUST_200600_302600_NS11hip_rocprim35transform_pair_of_input_iterators_tIiPiSB_NS8_12not_equal_toIiEEEESB_iNS8_4plusIiEEEE10hipError_tPvRmT1_T2_T3_mT4_P12ihipStream_tbEUlT_E0_NS1_11comp_targetILNS1_3genE0ELNS1_11target_archE4294967295ELNS1_3gpuE0ELNS1_3repE0EEENS1_30default_config_static_selectorELNS0_4arch9wavefront6targetE1EEEvSK_
                                        ; -- End function
	.set _ZN7rocprim17ROCPRIM_400000_NS6detail17trampoline_kernelINS0_14default_configENS1_22reduce_config_selectorIiEEZNS1_11reduce_implILb1ES3_N6thrust23THRUST_200600_302600_NS11hip_rocprim35transform_pair_of_input_iterators_tIiPiSB_NS8_12not_equal_toIiEEEESB_iNS8_4plusIiEEEE10hipError_tPvRmT1_T2_T3_mT4_P12ihipStream_tbEUlT_E0_NS1_11comp_targetILNS1_3genE0ELNS1_11target_archE4294967295ELNS1_3gpuE0ELNS1_3repE0EEENS1_30default_config_static_selectorELNS0_4arch9wavefront6targetE1EEEvSK_.num_vgpr, 0
	.set _ZN7rocprim17ROCPRIM_400000_NS6detail17trampoline_kernelINS0_14default_configENS1_22reduce_config_selectorIiEEZNS1_11reduce_implILb1ES3_N6thrust23THRUST_200600_302600_NS11hip_rocprim35transform_pair_of_input_iterators_tIiPiSB_NS8_12not_equal_toIiEEEESB_iNS8_4plusIiEEEE10hipError_tPvRmT1_T2_T3_mT4_P12ihipStream_tbEUlT_E0_NS1_11comp_targetILNS1_3genE0ELNS1_11target_archE4294967295ELNS1_3gpuE0ELNS1_3repE0EEENS1_30default_config_static_selectorELNS0_4arch9wavefront6targetE1EEEvSK_.num_agpr, 0
	.set _ZN7rocprim17ROCPRIM_400000_NS6detail17trampoline_kernelINS0_14default_configENS1_22reduce_config_selectorIiEEZNS1_11reduce_implILb1ES3_N6thrust23THRUST_200600_302600_NS11hip_rocprim35transform_pair_of_input_iterators_tIiPiSB_NS8_12not_equal_toIiEEEESB_iNS8_4plusIiEEEE10hipError_tPvRmT1_T2_T3_mT4_P12ihipStream_tbEUlT_E0_NS1_11comp_targetILNS1_3genE0ELNS1_11target_archE4294967295ELNS1_3gpuE0ELNS1_3repE0EEENS1_30default_config_static_selectorELNS0_4arch9wavefront6targetE1EEEvSK_.numbered_sgpr, 0
	.set _ZN7rocprim17ROCPRIM_400000_NS6detail17trampoline_kernelINS0_14default_configENS1_22reduce_config_selectorIiEEZNS1_11reduce_implILb1ES3_N6thrust23THRUST_200600_302600_NS11hip_rocprim35transform_pair_of_input_iterators_tIiPiSB_NS8_12not_equal_toIiEEEESB_iNS8_4plusIiEEEE10hipError_tPvRmT1_T2_T3_mT4_P12ihipStream_tbEUlT_E0_NS1_11comp_targetILNS1_3genE0ELNS1_11target_archE4294967295ELNS1_3gpuE0ELNS1_3repE0EEENS1_30default_config_static_selectorELNS0_4arch9wavefront6targetE1EEEvSK_.num_named_barrier, 0
	.set _ZN7rocprim17ROCPRIM_400000_NS6detail17trampoline_kernelINS0_14default_configENS1_22reduce_config_selectorIiEEZNS1_11reduce_implILb1ES3_N6thrust23THRUST_200600_302600_NS11hip_rocprim35transform_pair_of_input_iterators_tIiPiSB_NS8_12not_equal_toIiEEEESB_iNS8_4plusIiEEEE10hipError_tPvRmT1_T2_T3_mT4_P12ihipStream_tbEUlT_E0_NS1_11comp_targetILNS1_3genE0ELNS1_11target_archE4294967295ELNS1_3gpuE0ELNS1_3repE0EEENS1_30default_config_static_selectorELNS0_4arch9wavefront6targetE1EEEvSK_.private_seg_size, 0
	.set _ZN7rocprim17ROCPRIM_400000_NS6detail17trampoline_kernelINS0_14default_configENS1_22reduce_config_selectorIiEEZNS1_11reduce_implILb1ES3_N6thrust23THRUST_200600_302600_NS11hip_rocprim35transform_pair_of_input_iterators_tIiPiSB_NS8_12not_equal_toIiEEEESB_iNS8_4plusIiEEEE10hipError_tPvRmT1_T2_T3_mT4_P12ihipStream_tbEUlT_E0_NS1_11comp_targetILNS1_3genE0ELNS1_11target_archE4294967295ELNS1_3gpuE0ELNS1_3repE0EEENS1_30default_config_static_selectorELNS0_4arch9wavefront6targetE1EEEvSK_.uses_vcc, 0
	.set _ZN7rocprim17ROCPRIM_400000_NS6detail17trampoline_kernelINS0_14default_configENS1_22reduce_config_selectorIiEEZNS1_11reduce_implILb1ES3_N6thrust23THRUST_200600_302600_NS11hip_rocprim35transform_pair_of_input_iterators_tIiPiSB_NS8_12not_equal_toIiEEEESB_iNS8_4plusIiEEEE10hipError_tPvRmT1_T2_T3_mT4_P12ihipStream_tbEUlT_E0_NS1_11comp_targetILNS1_3genE0ELNS1_11target_archE4294967295ELNS1_3gpuE0ELNS1_3repE0EEENS1_30default_config_static_selectorELNS0_4arch9wavefront6targetE1EEEvSK_.uses_flat_scratch, 0
	.set _ZN7rocprim17ROCPRIM_400000_NS6detail17trampoline_kernelINS0_14default_configENS1_22reduce_config_selectorIiEEZNS1_11reduce_implILb1ES3_N6thrust23THRUST_200600_302600_NS11hip_rocprim35transform_pair_of_input_iterators_tIiPiSB_NS8_12not_equal_toIiEEEESB_iNS8_4plusIiEEEE10hipError_tPvRmT1_T2_T3_mT4_P12ihipStream_tbEUlT_E0_NS1_11comp_targetILNS1_3genE0ELNS1_11target_archE4294967295ELNS1_3gpuE0ELNS1_3repE0EEENS1_30default_config_static_selectorELNS0_4arch9wavefront6targetE1EEEvSK_.has_dyn_sized_stack, 0
	.set _ZN7rocprim17ROCPRIM_400000_NS6detail17trampoline_kernelINS0_14default_configENS1_22reduce_config_selectorIiEEZNS1_11reduce_implILb1ES3_N6thrust23THRUST_200600_302600_NS11hip_rocprim35transform_pair_of_input_iterators_tIiPiSB_NS8_12not_equal_toIiEEEESB_iNS8_4plusIiEEEE10hipError_tPvRmT1_T2_T3_mT4_P12ihipStream_tbEUlT_E0_NS1_11comp_targetILNS1_3genE0ELNS1_11target_archE4294967295ELNS1_3gpuE0ELNS1_3repE0EEENS1_30default_config_static_selectorELNS0_4arch9wavefront6targetE1EEEvSK_.has_recursion, 0
	.set _ZN7rocprim17ROCPRIM_400000_NS6detail17trampoline_kernelINS0_14default_configENS1_22reduce_config_selectorIiEEZNS1_11reduce_implILb1ES3_N6thrust23THRUST_200600_302600_NS11hip_rocprim35transform_pair_of_input_iterators_tIiPiSB_NS8_12not_equal_toIiEEEESB_iNS8_4plusIiEEEE10hipError_tPvRmT1_T2_T3_mT4_P12ihipStream_tbEUlT_E0_NS1_11comp_targetILNS1_3genE0ELNS1_11target_archE4294967295ELNS1_3gpuE0ELNS1_3repE0EEENS1_30default_config_static_selectorELNS0_4arch9wavefront6targetE1EEEvSK_.has_indirect_call, 0
	.section	.AMDGPU.csdata,"",@progbits
; Kernel info:
; codeLenInByte = 0
; TotalNumSgprs: 4
; NumVgprs: 0
; ScratchSize: 0
; MemoryBound: 0
; FloatMode: 240
; IeeeMode: 1
; LDSByteSize: 0 bytes/workgroup (compile time only)
; SGPRBlocks: 0
; VGPRBlocks: 0
; NumSGPRsForWavesPerEU: 4
; NumVGPRsForWavesPerEU: 1
; Occupancy: 10
; WaveLimiterHint : 0
; COMPUTE_PGM_RSRC2:SCRATCH_EN: 0
; COMPUTE_PGM_RSRC2:USER_SGPR: 6
; COMPUTE_PGM_RSRC2:TRAP_HANDLER: 0
; COMPUTE_PGM_RSRC2:TGID_X_EN: 1
; COMPUTE_PGM_RSRC2:TGID_Y_EN: 0
; COMPUTE_PGM_RSRC2:TGID_Z_EN: 0
; COMPUTE_PGM_RSRC2:TIDIG_COMP_CNT: 0
	.section	.text._ZN7rocprim17ROCPRIM_400000_NS6detail17trampoline_kernelINS0_14default_configENS1_22reduce_config_selectorIiEEZNS1_11reduce_implILb1ES3_N6thrust23THRUST_200600_302600_NS11hip_rocprim35transform_pair_of_input_iterators_tIiPiSB_NS8_12not_equal_toIiEEEESB_iNS8_4plusIiEEEE10hipError_tPvRmT1_T2_T3_mT4_P12ihipStream_tbEUlT_E0_NS1_11comp_targetILNS1_3genE5ELNS1_11target_archE942ELNS1_3gpuE9ELNS1_3repE0EEENS1_30default_config_static_selectorELNS0_4arch9wavefront6targetE1EEEvSK_,"axG",@progbits,_ZN7rocprim17ROCPRIM_400000_NS6detail17trampoline_kernelINS0_14default_configENS1_22reduce_config_selectorIiEEZNS1_11reduce_implILb1ES3_N6thrust23THRUST_200600_302600_NS11hip_rocprim35transform_pair_of_input_iterators_tIiPiSB_NS8_12not_equal_toIiEEEESB_iNS8_4plusIiEEEE10hipError_tPvRmT1_T2_T3_mT4_P12ihipStream_tbEUlT_E0_NS1_11comp_targetILNS1_3genE5ELNS1_11target_archE942ELNS1_3gpuE9ELNS1_3repE0EEENS1_30default_config_static_selectorELNS0_4arch9wavefront6targetE1EEEvSK_,comdat
	.protected	_ZN7rocprim17ROCPRIM_400000_NS6detail17trampoline_kernelINS0_14default_configENS1_22reduce_config_selectorIiEEZNS1_11reduce_implILb1ES3_N6thrust23THRUST_200600_302600_NS11hip_rocprim35transform_pair_of_input_iterators_tIiPiSB_NS8_12not_equal_toIiEEEESB_iNS8_4plusIiEEEE10hipError_tPvRmT1_T2_T3_mT4_P12ihipStream_tbEUlT_E0_NS1_11comp_targetILNS1_3genE5ELNS1_11target_archE942ELNS1_3gpuE9ELNS1_3repE0EEENS1_30default_config_static_selectorELNS0_4arch9wavefront6targetE1EEEvSK_ ; -- Begin function _ZN7rocprim17ROCPRIM_400000_NS6detail17trampoline_kernelINS0_14default_configENS1_22reduce_config_selectorIiEEZNS1_11reduce_implILb1ES3_N6thrust23THRUST_200600_302600_NS11hip_rocprim35transform_pair_of_input_iterators_tIiPiSB_NS8_12not_equal_toIiEEEESB_iNS8_4plusIiEEEE10hipError_tPvRmT1_T2_T3_mT4_P12ihipStream_tbEUlT_E0_NS1_11comp_targetILNS1_3genE5ELNS1_11target_archE942ELNS1_3gpuE9ELNS1_3repE0EEENS1_30default_config_static_selectorELNS0_4arch9wavefront6targetE1EEEvSK_
	.globl	_ZN7rocprim17ROCPRIM_400000_NS6detail17trampoline_kernelINS0_14default_configENS1_22reduce_config_selectorIiEEZNS1_11reduce_implILb1ES3_N6thrust23THRUST_200600_302600_NS11hip_rocprim35transform_pair_of_input_iterators_tIiPiSB_NS8_12not_equal_toIiEEEESB_iNS8_4plusIiEEEE10hipError_tPvRmT1_T2_T3_mT4_P12ihipStream_tbEUlT_E0_NS1_11comp_targetILNS1_3genE5ELNS1_11target_archE942ELNS1_3gpuE9ELNS1_3repE0EEENS1_30default_config_static_selectorELNS0_4arch9wavefront6targetE1EEEvSK_
	.p2align	8
	.type	_ZN7rocprim17ROCPRIM_400000_NS6detail17trampoline_kernelINS0_14default_configENS1_22reduce_config_selectorIiEEZNS1_11reduce_implILb1ES3_N6thrust23THRUST_200600_302600_NS11hip_rocprim35transform_pair_of_input_iterators_tIiPiSB_NS8_12not_equal_toIiEEEESB_iNS8_4plusIiEEEE10hipError_tPvRmT1_T2_T3_mT4_P12ihipStream_tbEUlT_E0_NS1_11comp_targetILNS1_3genE5ELNS1_11target_archE942ELNS1_3gpuE9ELNS1_3repE0EEENS1_30default_config_static_selectorELNS0_4arch9wavefront6targetE1EEEvSK_,@function
_ZN7rocprim17ROCPRIM_400000_NS6detail17trampoline_kernelINS0_14default_configENS1_22reduce_config_selectorIiEEZNS1_11reduce_implILb1ES3_N6thrust23THRUST_200600_302600_NS11hip_rocprim35transform_pair_of_input_iterators_tIiPiSB_NS8_12not_equal_toIiEEEESB_iNS8_4plusIiEEEE10hipError_tPvRmT1_T2_T3_mT4_P12ihipStream_tbEUlT_E0_NS1_11comp_targetILNS1_3genE5ELNS1_11target_archE942ELNS1_3gpuE9ELNS1_3repE0EEENS1_30default_config_static_selectorELNS0_4arch9wavefront6targetE1EEEvSK_: ; @_ZN7rocprim17ROCPRIM_400000_NS6detail17trampoline_kernelINS0_14default_configENS1_22reduce_config_selectorIiEEZNS1_11reduce_implILb1ES3_N6thrust23THRUST_200600_302600_NS11hip_rocprim35transform_pair_of_input_iterators_tIiPiSB_NS8_12not_equal_toIiEEEESB_iNS8_4plusIiEEEE10hipError_tPvRmT1_T2_T3_mT4_P12ihipStream_tbEUlT_E0_NS1_11comp_targetILNS1_3genE5ELNS1_11target_archE942ELNS1_3gpuE9ELNS1_3repE0EEENS1_30default_config_static_selectorELNS0_4arch9wavefront6targetE1EEEvSK_
; %bb.0:
	.section	.rodata,"a",@progbits
	.p2align	6, 0x0
	.amdhsa_kernel _ZN7rocprim17ROCPRIM_400000_NS6detail17trampoline_kernelINS0_14default_configENS1_22reduce_config_selectorIiEEZNS1_11reduce_implILb1ES3_N6thrust23THRUST_200600_302600_NS11hip_rocprim35transform_pair_of_input_iterators_tIiPiSB_NS8_12not_equal_toIiEEEESB_iNS8_4plusIiEEEE10hipError_tPvRmT1_T2_T3_mT4_P12ihipStream_tbEUlT_E0_NS1_11comp_targetILNS1_3genE5ELNS1_11target_archE942ELNS1_3gpuE9ELNS1_3repE0EEENS1_30default_config_static_selectorELNS0_4arch9wavefront6targetE1EEEvSK_
		.amdhsa_group_segment_fixed_size 0
		.amdhsa_private_segment_fixed_size 0
		.amdhsa_kernarg_size 72
		.amdhsa_user_sgpr_count 6
		.amdhsa_user_sgpr_private_segment_buffer 1
		.amdhsa_user_sgpr_dispatch_ptr 0
		.amdhsa_user_sgpr_queue_ptr 0
		.amdhsa_user_sgpr_kernarg_segment_ptr 1
		.amdhsa_user_sgpr_dispatch_id 0
		.amdhsa_user_sgpr_flat_scratch_init 0
		.amdhsa_user_sgpr_private_segment_size 0
		.amdhsa_uses_dynamic_stack 0
		.amdhsa_system_sgpr_private_segment_wavefront_offset 0
		.amdhsa_system_sgpr_workgroup_id_x 1
		.amdhsa_system_sgpr_workgroup_id_y 0
		.amdhsa_system_sgpr_workgroup_id_z 0
		.amdhsa_system_sgpr_workgroup_info 0
		.amdhsa_system_vgpr_workitem_id 0
		.amdhsa_next_free_vgpr 1
		.amdhsa_next_free_sgpr 0
		.amdhsa_reserve_vcc 0
		.amdhsa_reserve_flat_scratch 0
		.amdhsa_float_round_mode_32 0
		.amdhsa_float_round_mode_16_64 0
		.amdhsa_float_denorm_mode_32 3
		.amdhsa_float_denorm_mode_16_64 3
		.amdhsa_dx10_clamp 1
		.amdhsa_ieee_mode 1
		.amdhsa_fp16_overflow 0
		.amdhsa_exception_fp_ieee_invalid_op 0
		.amdhsa_exception_fp_denorm_src 0
		.amdhsa_exception_fp_ieee_div_zero 0
		.amdhsa_exception_fp_ieee_overflow 0
		.amdhsa_exception_fp_ieee_underflow 0
		.amdhsa_exception_fp_ieee_inexact 0
		.amdhsa_exception_int_div_zero 0
	.end_amdhsa_kernel
	.section	.text._ZN7rocprim17ROCPRIM_400000_NS6detail17trampoline_kernelINS0_14default_configENS1_22reduce_config_selectorIiEEZNS1_11reduce_implILb1ES3_N6thrust23THRUST_200600_302600_NS11hip_rocprim35transform_pair_of_input_iterators_tIiPiSB_NS8_12not_equal_toIiEEEESB_iNS8_4plusIiEEEE10hipError_tPvRmT1_T2_T3_mT4_P12ihipStream_tbEUlT_E0_NS1_11comp_targetILNS1_3genE5ELNS1_11target_archE942ELNS1_3gpuE9ELNS1_3repE0EEENS1_30default_config_static_selectorELNS0_4arch9wavefront6targetE1EEEvSK_,"axG",@progbits,_ZN7rocprim17ROCPRIM_400000_NS6detail17trampoline_kernelINS0_14default_configENS1_22reduce_config_selectorIiEEZNS1_11reduce_implILb1ES3_N6thrust23THRUST_200600_302600_NS11hip_rocprim35transform_pair_of_input_iterators_tIiPiSB_NS8_12not_equal_toIiEEEESB_iNS8_4plusIiEEEE10hipError_tPvRmT1_T2_T3_mT4_P12ihipStream_tbEUlT_E0_NS1_11comp_targetILNS1_3genE5ELNS1_11target_archE942ELNS1_3gpuE9ELNS1_3repE0EEENS1_30default_config_static_selectorELNS0_4arch9wavefront6targetE1EEEvSK_,comdat
.Lfunc_end921:
	.size	_ZN7rocprim17ROCPRIM_400000_NS6detail17trampoline_kernelINS0_14default_configENS1_22reduce_config_selectorIiEEZNS1_11reduce_implILb1ES3_N6thrust23THRUST_200600_302600_NS11hip_rocprim35transform_pair_of_input_iterators_tIiPiSB_NS8_12not_equal_toIiEEEESB_iNS8_4plusIiEEEE10hipError_tPvRmT1_T2_T3_mT4_P12ihipStream_tbEUlT_E0_NS1_11comp_targetILNS1_3genE5ELNS1_11target_archE942ELNS1_3gpuE9ELNS1_3repE0EEENS1_30default_config_static_selectorELNS0_4arch9wavefront6targetE1EEEvSK_, .Lfunc_end921-_ZN7rocprim17ROCPRIM_400000_NS6detail17trampoline_kernelINS0_14default_configENS1_22reduce_config_selectorIiEEZNS1_11reduce_implILb1ES3_N6thrust23THRUST_200600_302600_NS11hip_rocprim35transform_pair_of_input_iterators_tIiPiSB_NS8_12not_equal_toIiEEEESB_iNS8_4plusIiEEEE10hipError_tPvRmT1_T2_T3_mT4_P12ihipStream_tbEUlT_E0_NS1_11comp_targetILNS1_3genE5ELNS1_11target_archE942ELNS1_3gpuE9ELNS1_3repE0EEENS1_30default_config_static_selectorELNS0_4arch9wavefront6targetE1EEEvSK_
                                        ; -- End function
	.set _ZN7rocprim17ROCPRIM_400000_NS6detail17trampoline_kernelINS0_14default_configENS1_22reduce_config_selectorIiEEZNS1_11reduce_implILb1ES3_N6thrust23THRUST_200600_302600_NS11hip_rocprim35transform_pair_of_input_iterators_tIiPiSB_NS8_12not_equal_toIiEEEESB_iNS8_4plusIiEEEE10hipError_tPvRmT1_T2_T3_mT4_P12ihipStream_tbEUlT_E0_NS1_11comp_targetILNS1_3genE5ELNS1_11target_archE942ELNS1_3gpuE9ELNS1_3repE0EEENS1_30default_config_static_selectorELNS0_4arch9wavefront6targetE1EEEvSK_.num_vgpr, 0
	.set _ZN7rocprim17ROCPRIM_400000_NS6detail17trampoline_kernelINS0_14default_configENS1_22reduce_config_selectorIiEEZNS1_11reduce_implILb1ES3_N6thrust23THRUST_200600_302600_NS11hip_rocprim35transform_pair_of_input_iterators_tIiPiSB_NS8_12not_equal_toIiEEEESB_iNS8_4plusIiEEEE10hipError_tPvRmT1_T2_T3_mT4_P12ihipStream_tbEUlT_E0_NS1_11comp_targetILNS1_3genE5ELNS1_11target_archE942ELNS1_3gpuE9ELNS1_3repE0EEENS1_30default_config_static_selectorELNS0_4arch9wavefront6targetE1EEEvSK_.num_agpr, 0
	.set _ZN7rocprim17ROCPRIM_400000_NS6detail17trampoline_kernelINS0_14default_configENS1_22reduce_config_selectorIiEEZNS1_11reduce_implILb1ES3_N6thrust23THRUST_200600_302600_NS11hip_rocprim35transform_pair_of_input_iterators_tIiPiSB_NS8_12not_equal_toIiEEEESB_iNS8_4plusIiEEEE10hipError_tPvRmT1_T2_T3_mT4_P12ihipStream_tbEUlT_E0_NS1_11comp_targetILNS1_3genE5ELNS1_11target_archE942ELNS1_3gpuE9ELNS1_3repE0EEENS1_30default_config_static_selectorELNS0_4arch9wavefront6targetE1EEEvSK_.numbered_sgpr, 0
	.set _ZN7rocprim17ROCPRIM_400000_NS6detail17trampoline_kernelINS0_14default_configENS1_22reduce_config_selectorIiEEZNS1_11reduce_implILb1ES3_N6thrust23THRUST_200600_302600_NS11hip_rocprim35transform_pair_of_input_iterators_tIiPiSB_NS8_12not_equal_toIiEEEESB_iNS8_4plusIiEEEE10hipError_tPvRmT1_T2_T3_mT4_P12ihipStream_tbEUlT_E0_NS1_11comp_targetILNS1_3genE5ELNS1_11target_archE942ELNS1_3gpuE9ELNS1_3repE0EEENS1_30default_config_static_selectorELNS0_4arch9wavefront6targetE1EEEvSK_.num_named_barrier, 0
	.set _ZN7rocprim17ROCPRIM_400000_NS6detail17trampoline_kernelINS0_14default_configENS1_22reduce_config_selectorIiEEZNS1_11reduce_implILb1ES3_N6thrust23THRUST_200600_302600_NS11hip_rocprim35transform_pair_of_input_iterators_tIiPiSB_NS8_12not_equal_toIiEEEESB_iNS8_4plusIiEEEE10hipError_tPvRmT1_T2_T3_mT4_P12ihipStream_tbEUlT_E0_NS1_11comp_targetILNS1_3genE5ELNS1_11target_archE942ELNS1_3gpuE9ELNS1_3repE0EEENS1_30default_config_static_selectorELNS0_4arch9wavefront6targetE1EEEvSK_.private_seg_size, 0
	.set _ZN7rocprim17ROCPRIM_400000_NS6detail17trampoline_kernelINS0_14default_configENS1_22reduce_config_selectorIiEEZNS1_11reduce_implILb1ES3_N6thrust23THRUST_200600_302600_NS11hip_rocprim35transform_pair_of_input_iterators_tIiPiSB_NS8_12not_equal_toIiEEEESB_iNS8_4plusIiEEEE10hipError_tPvRmT1_T2_T3_mT4_P12ihipStream_tbEUlT_E0_NS1_11comp_targetILNS1_3genE5ELNS1_11target_archE942ELNS1_3gpuE9ELNS1_3repE0EEENS1_30default_config_static_selectorELNS0_4arch9wavefront6targetE1EEEvSK_.uses_vcc, 0
	.set _ZN7rocprim17ROCPRIM_400000_NS6detail17trampoline_kernelINS0_14default_configENS1_22reduce_config_selectorIiEEZNS1_11reduce_implILb1ES3_N6thrust23THRUST_200600_302600_NS11hip_rocprim35transform_pair_of_input_iterators_tIiPiSB_NS8_12not_equal_toIiEEEESB_iNS8_4plusIiEEEE10hipError_tPvRmT1_T2_T3_mT4_P12ihipStream_tbEUlT_E0_NS1_11comp_targetILNS1_3genE5ELNS1_11target_archE942ELNS1_3gpuE9ELNS1_3repE0EEENS1_30default_config_static_selectorELNS0_4arch9wavefront6targetE1EEEvSK_.uses_flat_scratch, 0
	.set _ZN7rocprim17ROCPRIM_400000_NS6detail17trampoline_kernelINS0_14default_configENS1_22reduce_config_selectorIiEEZNS1_11reduce_implILb1ES3_N6thrust23THRUST_200600_302600_NS11hip_rocprim35transform_pair_of_input_iterators_tIiPiSB_NS8_12not_equal_toIiEEEESB_iNS8_4plusIiEEEE10hipError_tPvRmT1_T2_T3_mT4_P12ihipStream_tbEUlT_E0_NS1_11comp_targetILNS1_3genE5ELNS1_11target_archE942ELNS1_3gpuE9ELNS1_3repE0EEENS1_30default_config_static_selectorELNS0_4arch9wavefront6targetE1EEEvSK_.has_dyn_sized_stack, 0
	.set _ZN7rocprim17ROCPRIM_400000_NS6detail17trampoline_kernelINS0_14default_configENS1_22reduce_config_selectorIiEEZNS1_11reduce_implILb1ES3_N6thrust23THRUST_200600_302600_NS11hip_rocprim35transform_pair_of_input_iterators_tIiPiSB_NS8_12not_equal_toIiEEEESB_iNS8_4plusIiEEEE10hipError_tPvRmT1_T2_T3_mT4_P12ihipStream_tbEUlT_E0_NS1_11comp_targetILNS1_3genE5ELNS1_11target_archE942ELNS1_3gpuE9ELNS1_3repE0EEENS1_30default_config_static_selectorELNS0_4arch9wavefront6targetE1EEEvSK_.has_recursion, 0
	.set _ZN7rocprim17ROCPRIM_400000_NS6detail17trampoline_kernelINS0_14default_configENS1_22reduce_config_selectorIiEEZNS1_11reduce_implILb1ES3_N6thrust23THRUST_200600_302600_NS11hip_rocprim35transform_pair_of_input_iterators_tIiPiSB_NS8_12not_equal_toIiEEEESB_iNS8_4plusIiEEEE10hipError_tPvRmT1_T2_T3_mT4_P12ihipStream_tbEUlT_E0_NS1_11comp_targetILNS1_3genE5ELNS1_11target_archE942ELNS1_3gpuE9ELNS1_3repE0EEENS1_30default_config_static_selectorELNS0_4arch9wavefront6targetE1EEEvSK_.has_indirect_call, 0
	.section	.AMDGPU.csdata,"",@progbits
; Kernel info:
; codeLenInByte = 0
; TotalNumSgprs: 4
; NumVgprs: 0
; ScratchSize: 0
; MemoryBound: 0
; FloatMode: 240
; IeeeMode: 1
; LDSByteSize: 0 bytes/workgroup (compile time only)
; SGPRBlocks: 0
; VGPRBlocks: 0
; NumSGPRsForWavesPerEU: 4
; NumVGPRsForWavesPerEU: 1
; Occupancy: 10
; WaveLimiterHint : 0
; COMPUTE_PGM_RSRC2:SCRATCH_EN: 0
; COMPUTE_PGM_RSRC2:USER_SGPR: 6
; COMPUTE_PGM_RSRC2:TRAP_HANDLER: 0
; COMPUTE_PGM_RSRC2:TGID_X_EN: 1
; COMPUTE_PGM_RSRC2:TGID_Y_EN: 0
; COMPUTE_PGM_RSRC2:TGID_Z_EN: 0
; COMPUTE_PGM_RSRC2:TIDIG_COMP_CNT: 0
	.section	.text._ZN7rocprim17ROCPRIM_400000_NS6detail17trampoline_kernelINS0_14default_configENS1_22reduce_config_selectorIiEEZNS1_11reduce_implILb1ES3_N6thrust23THRUST_200600_302600_NS11hip_rocprim35transform_pair_of_input_iterators_tIiPiSB_NS8_12not_equal_toIiEEEESB_iNS8_4plusIiEEEE10hipError_tPvRmT1_T2_T3_mT4_P12ihipStream_tbEUlT_E0_NS1_11comp_targetILNS1_3genE4ELNS1_11target_archE910ELNS1_3gpuE8ELNS1_3repE0EEENS1_30default_config_static_selectorELNS0_4arch9wavefront6targetE1EEEvSK_,"axG",@progbits,_ZN7rocprim17ROCPRIM_400000_NS6detail17trampoline_kernelINS0_14default_configENS1_22reduce_config_selectorIiEEZNS1_11reduce_implILb1ES3_N6thrust23THRUST_200600_302600_NS11hip_rocprim35transform_pair_of_input_iterators_tIiPiSB_NS8_12not_equal_toIiEEEESB_iNS8_4plusIiEEEE10hipError_tPvRmT1_T2_T3_mT4_P12ihipStream_tbEUlT_E0_NS1_11comp_targetILNS1_3genE4ELNS1_11target_archE910ELNS1_3gpuE8ELNS1_3repE0EEENS1_30default_config_static_selectorELNS0_4arch9wavefront6targetE1EEEvSK_,comdat
	.protected	_ZN7rocprim17ROCPRIM_400000_NS6detail17trampoline_kernelINS0_14default_configENS1_22reduce_config_selectorIiEEZNS1_11reduce_implILb1ES3_N6thrust23THRUST_200600_302600_NS11hip_rocprim35transform_pair_of_input_iterators_tIiPiSB_NS8_12not_equal_toIiEEEESB_iNS8_4plusIiEEEE10hipError_tPvRmT1_T2_T3_mT4_P12ihipStream_tbEUlT_E0_NS1_11comp_targetILNS1_3genE4ELNS1_11target_archE910ELNS1_3gpuE8ELNS1_3repE0EEENS1_30default_config_static_selectorELNS0_4arch9wavefront6targetE1EEEvSK_ ; -- Begin function _ZN7rocprim17ROCPRIM_400000_NS6detail17trampoline_kernelINS0_14default_configENS1_22reduce_config_selectorIiEEZNS1_11reduce_implILb1ES3_N6thrust23THRUST_200600_302600_NS11hip_rocprim35transform_pair_of_input_iterators_tIiPiSB_NS8_12not_equal_toIiEEEESB_iNS8_4plusIiEEEE10hipError_tPvRmT1_T2_T3_mT4_P12ihipStream_tbEUlT_E0_NS1_11comp_targetILNS1_3genE4ELNS1_11target_archE910ELNS1_3gpuE8ELNS1_3repE0EEENS1_30default_config_static_selectorELNS0_4arch9wavefront6targetE1EEEvSK_
	.globl	_ZN7rocprim17ROCPRIM_400000_NS6detail17trampoline_kernelINS0_14default_configENS1_22reduce_config_selectorIiEEZNS1_11reduce_implILb1ES3_N6thrust23THRUST_200600_302600_NS11hip_rocprim35transform_pair_of_input_iterators_tIiPiSB_NS8_12not_equal_toIiEEEESB_iNS8_4plusIiEEEE10hipError_tPvRmT1_T2_T3_mT4_P12ihipStream_tbEUlT_E0_NS1_11comp_targetILNS1_3genE4ELNS1_11target_archE910ELNS1_3gpuE8ELNS1_3repE0EEENS1_30default_config_static_selectorELNS0_4arch9wavefront6targetE1EEEvSK_
	.p2align	8
	.type	_ZN7rocprim17ROCPRIM_400000_NS6detail17trampoline_kernelINS0_14default_configENS1_22reduce_config_selectorIiEEZNS1_11reduce_implILb1ES3_N6thrust23THRUST_200600_302600_NS11hip_rocprim35transform_pair_of_input_iterators_tIiPiSB_NS8_12not_equal_toIiEEEESB_iNS8_4plusIiEEEE10hipError_tPvRmT1_T2_T3_mT4_P12ihipStream_tbEUlT_E0_NS1_11comp_targetILNS1_3genE4ELNS1_11target_archE910ELNS1_3gpuE8ELNS1_3repE0EEENS1_30default_config_static_selectorELNS0_4arch9wavefront6targetE1EEEvSK_,@function
_ZN7rocprim17ROCPRIM_400000_NS6detail17trampoline_kernelINS0_14default_configENS1_22reduce_config_selectorIiEEZNS1_11reduce_implILb1ES3_N6thrust23THRUST_200600_302600_NS11hip_rocprim35transform_pair_of_input_iterators_tIiPiSB_NS8_12not_equal_toIiEEEESB_iNS8_4plusIiEEEE10hipError_tPvRmT1_T2_T3_mT4_P12ihipStream_tbEUlT_E0_NS1_11comp_targetILNS1_3genE4ELNS1_11target_archE910ELNS1_3gpuE8ELNS1_3repE0EEENS1_30default_config_static_selectorELNS0_4arch9wavefront6targetE1EEEvSK_: ; @_ZN7rocprim17ROCPRIM_400000_NS6detail17trampoline_kernelINS0_14default_configENS1_22reduce_config_selectorIiEEZNS1_11reduce_implILb1ES3_N6thrust23THRUST_200600_302600_NS11hip_rocprim35transform_pair_of_input_iterators_tIiPiSB_NS8_12not_equal_toIiEEEESB_iNS8_4plusIiEEEE10hipError_tPvRmT1_T2_T3_mT4_P12ihipStream_tbEUlT_E0_NS1_11comp_targetILNS1_3genE4ELNS1_11target_archE910ELNS1_3gpuE8ELNS1_3repE0EEENS1_30default_config_static_selectorELNS0_4arch9wavefront6targetE1EEEvSK_
; %bb.0:
	.section	.rodata,"a",@progbits
	.p2align	6, 0x0
	.amdhsa_kernel _ZN7rocprim17ROCPRIM_400000_NS6detail17trampoline_kernelINS0_14default_configENS1_22reduce_config_selectorIiEEZNS1_11reduce_implILb1ES3_N6thrust23THRUST_200600_302600_NS11hip_rocprim35transform_pair_of_input_iterators_tIiPiSB_NS8_12not_equal_toIiEEEESB_iNS8_4plusIiEEEE10hipError_tPvRmT1_T2_T3_mT4_P12ihipStream_tbEUlT_E0_NS1_11comp_targetILNS1_3genE4ELNS1_11target_archE910ELNS1_3gpuE8ELNS1_3repE0EEENS1_30default_config_static_selectorELNS0_4arch9wavefront6targetE1EEEvSK_
		.amdhsa_group_segment_fixed_size 0
		.amdhsa_private_segment_fixed_size 0
		.amdhsa_kernarg_size 72
		.amdhsa_user_sgpr_count 6
		.amdhsa_user_sgpr_private_segment_buffer 1
		.amdhsa_user_sgpr_dispatch_ptr 0
		.amdhsa_user_sgpr_queue_ptr 0
		.amdhsa_user_sgpr_kernarg_segment_ptr 1
		.amdhsa_user_sgpr_dispatch_id 0
		.amdhsa_user_sgpr_flat_scratch_init 0
		.amdhsa_user_sgpr_private_segment_size 0
		.amdhsa_uses_dynamic_stack 0
		.amdhsa_system_sgpr_private_segment_wavefront_offset 0
		.amdhsa_system_sgpr_workgroup_id_x 1
		.amdhsa_system_sgpr_workgroup_id_y 0
		.amdhsa_system_sgpr_workgroup_id_z 0
		.amdhsa_system_sgpr_workgroup_info 0
		.amdhsa_system_vgpr_workitem_id 0
		.amdhsa_next_free_vgpr 1
		.amdhsa_next_free_sgpr 0
		.amdhsa_reserve_vcc 0
		.amdhsa_reserve_flat_scratch 0
		.amdhsa_float_round_mode_32 0
		.amdhsa_float_round_mode_16_64 0
		.amdhsa_float_denorm_mode_32 3
		.amdhsa_float_denorm_mode_16_64 3
		.amdhsa_dx10_clamp 1
		.amdhsa_ieee_mode 1
		.amdhsa_fp16_overflow 0
		.amdhsa_exception_fp_ieee_invalid_op 0
		.amdhsa_exception_fp_denorm_src 0
		.amdhsa_exception_fp_ieee_div_zero 0
		.amdhsa_exception_fp_ieee_overflow 0
		.amdhsa_exception_fp_ieee_underflow 0
		.amdhsa_exception_fp_ieee_inexact 0
		.amdhsa_exception_int_div_zero 0
	.end_amdhsa_kernel
	.section	.text._ZN7rocprim17ROCPRIM_400000_NS6detail17trampoline_kernelINS0_14default_configENS1_22reduce_config_selectorIiEEZNS1_11reduce_implILb1ES3_N6thrust23THRUST_200600_302600_NS11hip_rocprim35transform_pair_of_input_iterators_tIiPiSB_NS8_12not_equal_toIiEEEESB_iNS8_4plusIiEEEE10hipError_tPvRmT1_T2_T3_mT4_P12ihipStream_tbEUlT_E0_NS1_11comp_targetILNS1_3genE4ELNS1_11target_archE910ELNS1_3gpuE8ELNS1_3repE0EEENS1_30default_config_static_selectorELNS0_4arch9wavefront6targetE1EEEvSK_,"axG",@progbits,_ZN7rocprim17ROCPRIM_400000_NS6detail17trampoline_kernelINS0_14default_configENS1_22reduce_config_selectorIiEEZNS1_11reduce_implILb1ES3_N6thrust23THRUST_200600_302600_NS11hip_rocprim35transform_pair_of_input_iterators_tIiPiSB_NS8_12not_equal_toIiEEEESB_iNS8_4plusIiEEEE10hipError_tPvRmT1_T2_T3_mT4_P12ihipStream_tbEUlT_E0_NS1_11comp_targetILNS1_3genE4ELNS1_11target_archE910ELNS1_3gpuE8ELNS1_3repE0EEENS1_30default_config_static_selectorELNS0_4arch9wavefront6targetE1EEEvSK_,comdat
.Lfunc_end922:
	.size	_ZN7rocprim17ROCPRIM_400000_NS6detail17trampoline_kernelINS0_14default_configENS1_22reduce_config_selectorIiEEZNS1_11reduce_implILb1ES3_N6thrust23THRUST_200600_302600_NS11hip_rocprim35transform_pair_of_input_iterators_tIiPiSB_NS8_12not_equal_toIiEEEESB_iNS8_4plusIiEEEE10hipError_tPvRmT1_T2_T3_mT4_P12ihipStream_tbEUlT_E0_NS1_11comp_targetILNS1_3genE4ELNS1_11target_archE910ELNS1_3gpuE8ELNS1_3repE0EEENS1_30default_config_static_selectorELNS0_4arch9wavefront6targetE1EEEvSK_, .Lfunc_end922-_ZN7rocprim17ROCPRIM_400000_NS6detail17trampoline_kernelINS0_14default_configENS1_22reduce_config_selectorIiEEZNS1_11reduce_implILb1ES3_N6thrust23THRUST_200600_302600_NS11hip_rocprim35transform_pair_of_input_iterators_tIiPiSB_NS8_12not_equal_toIiEEEESB_iNS8_4plusIiEEEE10hipError_tPvRmT1_T2_T3_mT4_P12ihipStream_tbEUlT_E0_NS1_11comp_targetILNS1_3genE4ELNS1_11target_archE910ELNS1_3gpuE8ELNS1_3repE0EEENS1_30default_config_static_selectorELNS0_4arch9wavefront6targetE1EEEvSK_
                                        ; -- End function
	.set _ZN7rocprim17ROCPRIM_400000_NS6detail17trampoline_kernelINS0_14default_configENS1_22reduce_config_selectorIiEEZNS1_11reduce_implILb1ES3_N6thrust23THRUST_200600_302600_NS11hip_rocprim35transform_pair_of_input_iterators_tIiPiSB_NS8_12not_equal_toIiEEEESB_iNS8_4plusIiEEEE10hipError_tPvRmT1_T2_T3_mT4_P12ihipStream_tbEUlT_E0_NS1_11comp_targetILNS1_3genE4ELNS1_11target_archE910ELNS1_3gpuE8ELNS1_3repE0EEENS1_30default_config_static_selectorELNS0_4arch9wavefront6targetE1EEEvSK_.num_vgpr, 0
	.set _ZN7rocprim17ROCPRIM_400000_NS6detail17trampoline_kernelINS0_14default_configENS1_22reduce_config_selectorIiEEZNS1_11reduce_implILb1ES3_N6thrust23THRUST_200600_302600_NS11hip_rocprim35transform_pair_of_input_iterators_tIiPiSB_NS8_12not_equal_toIiEEEESB_iNS8_4plusIiEEEE10hipError_tPvRmT1_T2_T3_mT4_P12ihipStream_tbEUlT_E0_NS1_11comp_targetILNS1_3genE4ELNS1_11target_archE910ELNS1_3gpuE8ELNS1_3repE0EEENS1_30default_config_static_selectorELNS0_4arch9wavefront6targetE1EEEvSK_.num_agpr, 0
	.set _ZN7rocprim17ROCPRIM_400000_NS6detail17trampoline_kernelINS0_14default_configENS1_22reduce_config_selectorIiEEZNS1_11reduce_implILb1ES3_N6thrust23THRUST_200600_302600_NS11hip_rocprim35transform_pair_of_input_iterators_tIiPiSB_NS8_12not_equal_toIiEEEESB_iNS8_4plusIiEEEE10hipError_tPvRmT1_T2_T3_mT4_P12ihipStream_tbEUlT_E0_NS1_11comp_targetILNS1_3genE4ELNS1_11target_archE910ELNS1_3gpuE8ELNS1_3repE0EEENS1_30default_config_static_selectorELNS0_4arch9wavefront6targetE1EEEvSK_.numbered_sgpr, 0
	.set _ZN7rocprim17ROCPRIM_400000_NS6detail17trampoline_kernelINS0_14default_configENS1_22reduce_config_selectorIiEEZNS1_11reduce_implILb1ES3_N6thrust23THRUST_200600_302600_NS11hip_rocprim35transform_pair_of_input_iterators_tIiPiSB_NS8_12not_equal_toIiEEEESB_iNS8_4plusIiEEEE10hipError_tPvRmT1_T2_T3_mT4_P12ihipStream_tbEUlT_E0_NS1_11comp_targetILNS1_3genE4ELNS1_11target_archE910ELNS1_3gpuE8ELNS1_3repE0EEENS1_30default_config_static_selectorELNS0_4arch9wavefront6targetE1EEEvSK_.num_named_barrier, 0
	.set _ZN7rocprim17ROCPRIM_400000_NS6detail17trampoline_kernelINS0_14default_configENS1_22reduce_config_selectorIiEEZNS1_11reduce_implILb1ES3_N6thrust23THRUST_200600_302600_NS11hip_rocprim35transform_pair_of_input_iterators_tIiPiSB_NS8_12not_equal_toIiEEEESB_iNS8_4plusIiEEEE10hipError_tPvRmT1_T2_T3_mT4_P12ihipStream_tbEUlT_E0_NS1_11comp_targetILNS1_3genE4ELNS1_11target_archE910ELNS1_3gpuE8ELNS1_3repE0EEENS1_30default_config_static_selectorELNS0_4arch9wavefront6targetE1EEEvSK_.private_seg_size, 0
	.set _ZN7rocprim17ROCPRIM_400000_NS6detail17trampoline_kernelINS0_14default_configENS1_22reduce_config_selectorIiEEZNS1_11reduce_implILb1ES3_N6thrust23THRUST_200600_302600_NS11hip_rocprim35transform_pair_of_input_iterators_tIiPiSB_NS8_12not_equal_toIiEEEESB_iNS8_4plusIiEEEE10hipError_tPvRmT1_T2_T3_mT4_P12ihipStream_tbEUlT_E0_NS1_11comp_targetILNS1_3genE4ELNS1_11target_archE910ELNS1_3gpuE8ELNS1_3repE0EEENS1_30default_config_static_selectorELNS0_4arch9wavefront6targetE1EEEvSK_.uses_vcc, 0
	.set _ZN7rocprim17ROCPRIM_400000_NS6detail17trampoline_kernelINS0_14default_configENS1_22reduce_config_selectorIiEEZNS1_11reduce_implILb1ES3_N6thrust23THRUST_200600_302600_NS11hip_rocprim35transform_pair_of_input_iterators_tIiPiSB_NS8_12not_equal_toIiEEEESB_iNS8_4plusIiEEEE10hipError_tPvRmT1_T2_T3_mT4_P12ihipStream_tbEUlT_E0_NS1_11comp_targetILNS1_3genE4ELNS1_11target_archE910ELNS1_3gpuE8ELNS1_3repE0EEENS1_30default_config_static_selectorELNS0_4arch9wavefront6targetE1EEEvSK_.uses_flat_scratch, 0
	.set _ZN7rocprim17ROCPRIM_400000_NS6detail17trampoline_kernelINS0_14default_configENS1_22reduce_config_selectorIiEEZNS1_11reduce_implILb1ES3_N6thrust23THRUST_200600_302600_NS11hip_rocprim35transform_pair_of_input_iterators_tIiPiSB_NS8_12not_equal_toIiEEEESB_iNS8_4plusIiEEEE10hipError_tPvRmT1_T2_T3_mT4_P12ihipStream_tbEUlT_E0_NS1_11comp_targetILNS1_3genE4ELNS1_11target_archE910ELNS1_3gpuE8ELNS1_3repE0EEENS1_30default_config_static_selectorELNS0_4arch9wavefront6targetE1EEEvSK_.has_dyn_sized_stack, 0
	.set _ZN7rocprim17ROCPRIM_400000_NS6detail17trampoline_kernelINS0_14default_configENS1_22reduce_config_selectorIiEEZNS1_11reduce_implILb1ES3_N6thrust23THRUST_200600_302600_NS11hip_rocprim35transform_pair_of_input_iterators_tIiPiSB_NS8_12not_equal_toIiEEEESB_iNS8_4plusIiEEEE10hipError_tPvRmT1_T2_T3_mT4_P12ihipStream_tbEUlT_E0_NS1_11comp_targetILNS1_3genE4ELNS1_11target_archE910ELNS1_3gpuE8ELNS1_3repE0EEENS1_30default_config_static_selectorELNS0_4arch9wavefront6targetE1EEEvSK_.has_recursion, 0
	.set _ZN7rocprim17ROCPRIM_400000_NS6detail17trampoline_kernelINS0_14default_configENS1_22reduce_config_selectorIiEEZNS1_11reduce_implILb1ES3_N6thrust23THRUST_200600_302600_NS11hip_rocprim35transform_pair_of_input_iterators_tIiPiSB_NS8_12not_equal_toIiEEEESB_iNS8_4plusIiEEEE10hipError_tPvRmT1_T2_T3_mT4_P12ihipStream_tbEUlT_E0_NS1_11comp_targetILNS1_3genE4ELNS1_11target_archE910ELNS1_3gpuE8ELNS1_3repE0EEENS1_30default_config_static_selectorELNS0_4arch9wavefront6targetE1EEEvSK_.has_indirect_call, 0
	.section	.AMDGPU.csdata,"",@progbits
; Kernel info:
; codeLenInByte = 0
; TotalNumSgprs: 4
; NumVgprs: 0
; ScratchSize: 0
; MemoryBound: 0
; FloatMode: 240
; IeeeMode: 1
; LDSByteSize: 0 bytes/workgroup (compile time only)
; SGPRBlocks: 0
; VGPRBlocks: 0
; NumSGPRsForWavesPerEU: 4
; NumVGPRsForWavesPerEU: 1
; Occupancy: 10
; WaveLimiterHint : 0
; COMPUTE_PGM_RSRC2:SCRATCH_EN: 0
; COMPUTE_PGM_RSRC2:USER_SGPR: 6
; COMPUTE_PGM_RSRC2:TRAP_HANDLER: 0
; COMPUTE_PGM_RSRC2:TGID_X_EN: 1
; COMPUTE_PGM_RSRC2:TGID_Y_EN: 0
; COMPUTE_PGM_RSRC2:TGID_Z_EN: 0
; COMPUTE_PGM_RSRC2:TIDIG_COMP_CNT: 0
	.section	.text._ZN7rocprim17ROCPRIM_400000_NS6detail17trampoline_kernelINS0_14default_configENS1_22reduce_config_selectorIiEEZNS1_11reduce_implILb1ES3_N6thrust23THRUST_200600_302600_NS11hip_rocprim35transform_pair_of_input_iterators_tIiPiSB_NS8_12not_equal_toIiEEEESB_iNS8_4plusIiEEEE10hipError_tPvRmT1_T2_T3_mT4_P12ihipStream_tbEUlT_E0_NS1_11comp_targetILNS1_3genE3ELNS1_11target_archE908ELNS1_3gpuE7ELNS1_3repE0EEENS1_30default_config_static_selectorELNS0_4arch9wavefront6targetE1EEEvSK_,"axG",@progbits,_ZN7rocprim17ROCPRIM_400000_NS6detail17trampoline_kernelINS0_14default_configENS1_22reduce_config_selectorIiEEZNS1_11reduce_implILb1ES3_N6thrust23THRUST_200600_302600_NS11hip_rocprim35transform_pair_of_input_iterators_tIiPiSB_NS8_12not_equal_toIiEEEESB_iNS8_4plusIiEEEE10hipError_tPvRmT1_T2_T3_mT4_P12ihipStream_tbEUlT_E0_NS1_11comp_targetILNS1_3genE3ELNS1_11target_archE908ELNS1_3gpuE7ELNS1_3repE0EEENS1_30default_config_static_selectorELNS0_4arch9wavefront6targetE1EEEvSK_,comdat
	.protected	_ZN7rocprim17ROCPRIM_400000_NS6detail17trampoline_kernelINS0_14default_configENS1_22reduce_config_selectorIiEEZNS1_11reduce_implILb1ES3_N6thrust23THRUST_200600_302600_NS11hip_rocprim35transform_pair_of_input_iterators_tIiPiSB_NS8_12not_equal_toIiEEEESB_iNS8_4plusIiEEEE10hipError_tPvRmT1_T2_T3_mT4_P12ihipStream_tbEUlT_E0_NS1_11comp_targetILNS1_3genE3ELNS1_11target_archE908ELNS1_3gpuE7ELNS1_3repE0EEENS1_30default_config_static_selectorELNS0_4arch9wavefront6targetE1EEEvSK_ ; -- Begin function _ZN7rocprim17ROCPRIM_400000_NS6detail17trampoline_kernelINS0_14default_configENS1_22reduce_config_selectorIiEEZNS1_11reduce_implILb1ES3_N6thrust23THRUST_200600_302600_NS11hip_rocprim35transform_pair_of_input_iterators_tIiPiSB_NS8_12not_equal_toIiEEEESB_iNS8_4plusIiEEEE10hipError_tPvRmT1_T2_T3_mT4_P12ihipStream_tbEUlT_E0_NS1_11comp_targetILNS1_3genE3ELNS1_11target_archE908ELNS1_3gpuE7ELNS1_3repE0EEENS1_30default_config_static_selectorELNS0_4arch9wavefront6targetE1EEEvSK_
	.globl	_ZN7rocprim17ROCPRIM_400000_NS6detail17trampoline_kernelINS0_14default_configENS1_22reduce_config_selectorIiEEZNS1_11reduce_implILb1ES3_N6thrust23THRUST_200600_302600_NS11hip_rocprim35transform_pair_of_input_iterators_tIiPiSB_NS8_12not_equal_toIiEEEESB_iNS8_4plusIiEEEE10hipError_tPvRmT1_T2_T3_mT4_P12ihipStream_tbEUlT_E0_NS1_11comp_targetILNS1_3genE3ELNS1_11target_archE908ELNS1_3gpuE7ELNS1_3repE0EEENS1_30default_config_static_selectorELNS0_4arch9wavefront6targetE1EEEvSK_
	.p2align	8
	.type	_ZN7rocprim17ROCPRIM_400000_NS6detail17trampoline_kernelINS0_14default_configENS1_22reduce_config_selectorIiEEZNS1_11reduce_implILb1ES3_N6thrust23THRUST_200600_302600_NS11hip_rocprim35transform_pair_of_input_iterators_tIiPiSB_NS8_12not_equal_toIiEEEESB_iNS8_4plusIiEEEE10hipError_tPvRmT1_T2_T3_mT4_P12ihipStream_tbEUlT_E0_NS1_11comp_targetILNS1_3genE3ELNS1_11target_archE908ELNS1_3gpuE7ELNS1_3repE0EEENS1_30default_config_static_selectorELNS0_4arch9wavefront6targetE1EEEvSK_,@function
_ZN7rocprim17ROCPRIM_400000_NS6detail17trampoline_kernelINS0_14default_configENS1_22reduce_config_selectorIiEEZNS1_11reduce_implILb1ES3_N6thrust23THRUST_200600_302600_NS11hip_rocprim35transform_pair_of_input_iterators_tIiPiSB_NS8_12not_equal_toIiEEEESB_iNS8_4plusIiEEEE10hipError_tPvRmT1_T2_T3_mT4_P12ihipStream_tbEUlT_E0_NS1_11comp_targetILNS1_3genE3ELNS1_11target_archE908ELNS1_3gpuE7ELNS1_3repE0EEENS1_30default_config_static_selectorELNS0_4arch9wavefront6targetE1EEEvSK_: ; @_ZN7rocprim17ROCPRIM_400000_NS6detail17trampoline_kernelINS0_14default_configENS1_22reduce_config_selectorIiEEZNS1_11reduce_implILb1ES3_N6thrust23THRUST_200600_302600_NS11hip_rocprim35transform_pair_of_input_iterators_tIiPiSB_NS8_12not_equal_toIiEEEESB_iNS8_4plusIiEEEE10hipError_tPvRmT1_T2_T3_mT4_P12ihipStream_tbEUlT_E0_NS1_11comp_targetILNS1_3genE3ELNS1_11target_archE908ELNS1_3gpuE7ELNS1_3repE0EEENS1_30default_config_static_selectorELNS0_4arch9wavefront6targetE1EEEvSK_
; %bb.0:
	.section	.rodata,"a",@progbits
	.p2align	6, 0x0
	.amdhsa_kernel _ZN7rocprim17ROCPRIM_400000_NS6detail17trampoline_kernelINS0_14default_configENS1_22reduce_config_selectorIiEEZNS1_11reduce_implILb1ES3_N6thrust23THRUST_200600_302600_NS11hip_rocprim35transform_pair_of_input_iterators_tIiPiSB_NS8_12not_equal_toIiEEEESB_iNS8_4plusIiEEEE10hipError_tPvRmT1_T2_T3_mT4_P12ihipStream_tbEUlT_E0_NS1_11comp_targetILNS1_3genE3ELNS1_11target_archE908ELNS1_3gpuE7ELNS1_3repE0EEENS1_30default_config_static_selectorELNS0_4arch9wavefront6targetE1EEEvSK_
		.amdhsa_group_segment_fixed_size 0
		.amdhsa_private_segment_fixed_size 0
		.amdhsa_kernarg_size 72
		.amdhsa_user_sgpr_count 6
		.amdhsa_user_sgpr_private_segment_buffer 1
		.amdhsa_user_sgpr_dispatch_ptr 0
		.amdhsa_user_sgpr_queue_ptr 0
		.amdhsa_user_sgpr_kernarg_segment_ptr 1
		.amdhsa_user_sgpr_dispatch_id 0
		.amdhsa_user_sgpr_flat_scratch_init 0
		.amdhsa_user_sgpr_private_segment_size 0
		.amdhsa_uses_dynamic_stack 0
		.amdhsa_system_sgpr_private_segment_wavefront_offset 0
		.amdhsa_system_sgpr_workgroup_id_x 1
		.amdhsa_system_sgpr_workgroup_id_y 0
		.amdhsa_system_sgpr_workgroup_id_z 0
		.amdhsa_system_sgpr_workgroup_info 0
		.amdhsa_system_vgpr_workitem_id 0
		.amdhsa_next_free_vgpr 1
		.amdhsa_next_free_sgpr 0
		.amdhsa_reserve_vcc 0
		.amdhsa_reserve_flat_scratch 0
		.amdhsa_float_round_mode_32 0
		.amdhsa_float_round_mode_16_64 0
		.amdhsa_float_denorm_mode_32 3
		.amdhsa_float_denorm_mode_16_64 3
		.amdhsa_dx10_clamp 1
		.amdhsa_ieee_mode 1
		.amdhsa_fp16_overflow 0
		.amdhsa_exception_fp_ieee_invalid_op 0
		.amdhsa_exception_fp_denorm_src 0
		.amdhsa_exception_fp_ieee_div_zero 0
		.amdhsa_exception_fp_ieee_overflow 0
		.amdhsa_exception_fp_ieee_underflow 0
		.amdhsa_exception_fp_ieee_inexact 0
		.amdhsa_exception_int_div_zero 0
	.end_amdhsa_kernel
	.section	.text._ZN7rocprim17ROCPRIM_400000_NS6detail17trampoline_kernelINS0_14default_configENS1_22reduce_config_selectorIiEEZNS1_11reduce_implILb1ES3_N6thrust23THRUST_200600_302600_NS11hip_rocprim35transform_pair_of_input_iterators_tIiPiSB_NS8_12not_equal_toIiEEEESB_iNS8_4plusIiEEEE10hipError_tPvRmT1_T2_T3_mT4_P12ihipStream_tbEUlT_E0_NS1_11comp_targetILNS1_3genE3ELNS1_11target_archE908ELNS1_3gpuE7ELNS1_3repE0EEENS1_30default_config_static_selectorELNS0_4arch9wavefront6targetE1EEEvSK_,"axG",@progbits,_ZN7rocprim17ROCPRIM_400000_NS6detail17trampoline_kernelINS0_14default_configENS1_22reduce_config_selectorIiEEZNS1_11reduce_implILb1ES3_N6thrust23THRUST_200600_302600_NS11hip_rocprim35transform_pair_of_input_iterators_tIiPiSB_NS8_12not_equal_toIiEEEESB_iNS8_4plusIiEEEE10hipError_tPvRmT1_T2_T3_mT4_P12ihipStream_tbEUlT_E0_NS1_11comp_targetILNS1_3genE3ELNS1_11target_archE908ELNS1_3gpuE7ELNS1_3repE0EEENS1_30default_config_static_selectorELNS0_4arch9wavefront6targetE1EEEvSK_,comdat
.Lfunc_end923:
	.size	_ZN7rocprim17ROCPRIM_400000_NS6detail17trampoline_kernelINS0_14default_configENS1_22reduce_config_selectorIiEEZNS1_11reduce_implILb1ES3_N6thrust23THRUST_200600_302600_NS11hip_rocprim35transform_pair_of_input_iterators_tIiPiSB_NS8_12not_equal_toIiEEEESB_iNS8_4plusIiEEEE10hipError_tPvRmT1_T2_T3_mT4_P12ihipStream_tbEUlT_E0_NS1_11comp_targetILNS1_3genE3ELNS1_11target_archE908ELNS1_3gpuE7ELNS1_3repE0EEENS1_30default_config_static_selectorELNS0_4arch9wavefront6targetE1EEEvSK_, .Lfunc_end923-_ZN7rocprim17ROCPRIM_400000_NS6detail17trampoline_kernelINS0_14default_configENS1_22reduce_config_selectorIiEEZNS1_11reduce_implILb1ES3_N6thrust23THRUST_200600_302600_NS11hip_rocprim35transform_pair_of_input_iterators_tIiPiSB_NS8_12not_equal_toIiEEEESB_iNS8_4plusIiEEEE10hipError_tPvRmT1_T2_T3_mT4_P12ihipStream_tbEUlT_E0_NS1_11comp_targetILNS1_3genE3ELNS1_11target_archE908ELNS1_3gpuE7ELNS1_3repE0EEENS1_30default_config_static_selectorELNS0_4arch9wavefront6targetE1EEEvSK_
                                        ; -- End function
	.set _ZN7rocprim17ROCPRIM_400000_NS6detail17trampoline_kernelINS0_14default_configENS1_22reduce_config_selectorIiEEZNS1_11reduce_implILb1ES3_N6thrust23THRUST_200600_302600_NS11hip_rocprim35transform_pair_of_input_iterators_tIiPiSB_NS8_12not_equal_toIiEEEESB_iNS8_4plusIiEEEE10hipError_tPvRmT1_T2_T3_mT4_P12ihipStream_tbEUlT_E0_NS1_11comp_targetILNS1_3genE3ELNS1_11target_archE908ELNS1_3gpuE7ELNS1_3repE0EEENS1_30default_config_static_selectorELNS0_4arch9wavefront6targetE1EEEvSK_.num_vgpr, 0
	.set _ZN7rocprim17ROCPRIM_400000_NS6detail17trampoline_kernelINS0_14default_configENS1_22reduce_config_selectorIiEEZNS1_11reduce_implILb1ES3_N6thrust23THRUST_200600_302600_NS11hip_rocprim35transform_pair_of_input_iterators_tIiPiSB_NS8_12not_equal_toIiEEEESB_iNS8_4plusIiEEEE10hipError_tPvRmT1_T2_T3_mT4_P12ihipStream_tbEUlT_E0_NS1_11comp_targetILNS1_3genE3ELNS1_11target_archE908ELNS1_3gpuE7ELNS1_3repE0EEENS1_30default_config_static_selectorELNS0_4arch9wavefront6targetE1EEEvSK_.num_agpr, 0
	.set _ZN7rocprim17ROCPRIM_400000_NS6detail17trampoline_kernelINS0_14default_configENS1_22reduce_config_selectorIiEEZNS1_11reduce_implILb1ES3_N6thrust23THRUST_200600_302600_NS11hip_rocprim35transform_pair_of_input_iterators_tIiPiSB_NS8_12not_equal_toIiEEEESB_iNS8_4plusIiEEEE10hipError_tPvRmT1_T2_T3_mT4_P12ihipStream_tbEUlT_E0_NS1_11comp_targetILNS1_3genE3ELNS1_11target_archE908ELNS1_3gpuE7ELNS1_3repE0EEENS1_30default_config_static_selectorELNS0_4arch9wavefront6targetE1EEEvSK_.numbered_sgpr, 0
	.set _ZN7rocprim17ROCPRIM_400000_NS6detail17trampoline_kernelINS0_14default_configENS1_22reduce_config_selectorIiEEZNS1_11reduce_implILb1ES3_N6thrust23THRUST_200600_302600_NS11hip_rocprim35transform_pair_of_input_iterators_tIiPiSB_NS8_12not_equal_toIiEEEESB_iNS8_4plusIiEEEE10hipError_tPvRmT1_T2_T3_mT4_P12ihipStream_tbEUlT_E0_NS1_11comp_targetILNS1_3genE3ELNS1_11target_archE908ELNS1_3gpuE7ELNS1_3repE0EEENS1_30default_config_static_selectorELNS0_4arch9wavefront6targetE1EEEvSK_.num_named_barrier, 0
	.set _ZN7rocprim17ROCPRIM_400000_NS6detail17trampoline_kernelINS0_14default_configENS1_22reduce_config_selectorIiEEZNS1_11reduce_implILb1ES3_N6thrust23THRUST_200600_302600_NS11hip_rocprim35transform_pair_of_input_iterators_tIiPiSB_NS8_12not_equal_toIiEEEESB_iNS8_4plusIiEEEE10hipError_tPvRmT1_T2_T3_mT4_P12ihipStream_tbEUlT_E0_NS1_11comp_targetILNS1_3genE3ELNS1_11target_archE908ELNS1_3gpuE7ELNS1_3repE0EEENS1_30default_config_static_selectorELNS0_4arch9wavefront6targetE1EEEvSK_.private_seg_size, 0
	.set _ZN7rocprim17ROCPRIM_400000_NS6detail17trampoline_kernelINS0_14default_configENS1_22reduce_config_selectorIiEEZNS1_11reduce_implILb1ES3_N6thrust23THRUST_200600_302600_NS11hip_rocprim35transform_pair_of_input_iterators_tIiPiSB_NS8_12not_equal_toIiEEEESB_iNS8_4plusIiEEEE10hipError_tPvRmT1_T2_T3_mT4_P12ihipStream_tbEUlT_E0_NS1_11comp_targetILNS1_3genE3ELNS1_11target_archE908ELNS1_3gpuE7ELNS1_3repE0EEENS1_30default_config_static_selectorELNS0_4arch9wavefront6targetE1EEEvSK_.uses_vcc, 0
	.set _ZN7rocprim17ROCPRIM_400000_NS6detail17trampoline_kernelINS0_14default_configENS1_22reduce_config_selectorIiEEZNS1_11reduce_implILb1ES3_N6thrust23THRUST_200600_302600_NS11hip_rocprim35transform_pair_of_input_iterators_tIiPiSB_NS8_12not_equal_toIiEEEESB_iNS8_4plusIiEEEE10hipError_tPvRmT1_T2_T3_mT4_P12ihipStream_tbEUlT_E0_NS1_11comp_targetILNS1_3genE3ELNS1_11target_archE908ELNS1_3gpuE7ELNS1_3repE0EEENS1_30default_config_static_selectorELNS0_4arch9wavefront6targetE1EEEvSK_.uses_flat_scratch, 0
	.set _ZN7rocprim17ROCPRIM_400000_NS6detail17trampoline_kernelINS0_14default_configENS1_22reduce_config_selectorIiEEZNS1_11reduce_implILb1ES3_N6thrust23THRUST_200600_302600_NS11hip_rocprim35transform_pair_of_input_iterators_tIiPiSB_NS8_12not_equal_toIiEEEESB_iNS8_4plusIiEEEE10hipError_tPvRmT1_T2_T3_mT4_P12ihipStream_tbEUlT_E0_NS1_11comp_targetILNS1_3genE3ELNS1_11target_archE908ELNS1_3gpuE7ELNS1_3repE0EEENS1_30default_config_static_selectorELNS0_4arch9wavefront6targetE1EEEvSK_.has_dyn_sized_stack, 0
	.set _ZN7rocprim17ROCPRIM_400000_NS6detail17trampoline_kernelINS0_14default_configENS1_22reduce_config_selectorIiEEZNS1_11reduce_implILb1ES3_N6thrust23THRUST_200600_302600_NS11hip_rocprim35transform_pair_of_input_iterators_tIiPiSB_NS8_12not_equal_toIiEEEESB_iNS8_4plusIiEEEE10hipError_tPvRmT1_T2_T3_mT4_P12ihipStream_tbEUlT_E0_NS1_11comp_targetILNS1_3genE3ELNS1_11target_archE908ELNS1_3gpuE7ELNS1_3repE0EEENS1_30default_config_static_selectorELNS0_4arch9wavefront6targetE1EEEvSK_.has_recursion, 0
	.set _ZN7rocprim17ROCPRIM_400000_NS6detail17trampoline_kernelINS0_14default_configENS1_22reduce_config_selectorIiEEZNS1_11reduce_implILb1ES3_N6thrust23THRUST_200600_302600_NS11hip_rocprim35transform_pair_of_input_iterators_tIiPiSB_NS8_12not_equal_toIiEEEESB_iNS8_4plusIiEEEE10hipError_tPvRmT1_T2_T3_mT4_P12ihipStream_tbEUlT_E0_NS1_11comp_targetILNS1_3genE3ELNS1_11target_archE908ELNS1_3gpuE7ELNS1_3repE0EEENS1_30default_config_static_selectorELNS0_4arch9wavefront6targetE1EEEvSK_.has_indirect_call, 0
	.section	.AMDGPU.csdata,"",@progbits
; Kernel info:
; codeLenInByte = 0
; TotalNumSgprs: 4
; NumVgprs: 0
; ScratchSize: 0
; MemoryBound: 0
; FloatMode: 240
; IeeeMode: 1
; LDSByteSize: 0 bytes/workgroup (compile time only)
; SGPRBlocks: 0
; VGPRBlocks: 0
; NumSGPRsForWavesPerEU: 4
; NumVGPRsForWavesPerEU: 1
; Occupancy: 10
; WaveLimiterHint : 0
; COMPUTE_PGM_RSRC2:SCRATCH_EN: 0
; COMPUTE_PGM_RSRC2:USER_SGPR: 6
; COMPUTE_PGM_RSRC2:TRAP_HANDLER: 0
; COMPUTE_PGM_RSRC2:TGID_X_EN: 1
; COMPUTE_PGM_RSRC2:TGID_Y_EN: 0
; COMPUTE_PGM_RSRC2:TGID_Z_EN: 0
; COMPUTE_PGM_RSRC2:TIDIG_COMP_CNT: 0
	.section	.text._ZN7rocprim17ROCPRIM_400000_NS6detail17trampoline_kernelINS0_14default_configENS1_22reduce_config_selectorIiEEZNS1_11reduce_implILb1ES3_N6thrust23THRUST_200600_302600_NS11hip_rocprim35transform_pair_of_input_iterators_tIiPiSB_NS8_12not_equal_toIiEEEESB_iNS8_4plusIiEEEE10hipError_tPvRmT1_T2_T3_mT4_P12ihipStream_tbEUlT_E0_NS1_11comp_targetILNS1_3genE2ELNS1_11target_archE906ELNS1_3gpuE6ELNS1_3repE0EEENS1_30default_config_static_selectorELNS0_4arch9wavefront6targetE1EEEvSK_,"axG",@progbits,_ZN7rocprim17ROCPRIM_400000_NS6detail17trampoline_kernelINS0_14default_configENS1_22reduce_config_selectorIiEEZNS1_11reduce_implILb1ES3_N6thrust23THRUST_200600_302600_NS11hip_rocprim35transform_pair_of_input_iterators_tIiPiSB_NS8_12not_equal_toIiEEEESB_iNS8_4plusIiEEEE10hipError_tPvRmT1_T2_T3_mT4_P12ihipStream_tbEUlT_E0_NS1_11comp_targetILNS1_3genE2ELNS1_11target_archE906ELNS1_3gpuE6ELNS1_3repE0EEENS1_30default_config_static_selectorELNS0_4arch9wavefront6targetE1EEEvSK_,comdat
	.protected	_ZN7rocprim17ROCPRIM_400000_NS6detail17trampoline_kernelINS0_14default_configENS1_22reduce_config_selectorIiEEZNS1_11reduce_implILb1ES3_N6thrust23THRUST_200600_302600_NS11hip_rocprim35transform_pair_of_input_iterators_tIiPiSB_NS8_12not_equal_toIiEEEESB_iNS8_4plusIiEEEE10hipError_tPvRmT1_T2_T3_mT4_P12ihipStream_tbEUlT_E0_NS1_11comp_targetILNS1_3genE2ELNS1_11target_archE906ELNS1_3gpuE6ELNS1_3repE0EEENS1_30default_config_static_selectorELNS0_4arch9wavefront6targetE1EEEvSK_ ; -- Begin function _ZN7rocprim17ROCPRIM_400000_NS6detail17trampoline_kernelINS0_14default_configENS1_22reduce_config_selectorIiEEZNS1_11reduce_implILb1ES3_N6thrust23THRUST_200600_302600_NS11hip_rocprim35transform_pair_of_input_iterators_tIiPiSB_NS8_12not_equal_toIiEEEESB_iNS8_4plusIiEEEE10hipError_tPvRmT1_T2_T3_mT4_P12ihipStream_tbEUlT_E0_NS1_11comp_targetILNS1_3genE2ELNS1_11target_archE906ELNS1_3gpuE6ELNS1_3repE0EEENS1_30default_config_static_selectorELNS0_4arch9wavefront6targetE1EEEvSK_
	.globl	_ZN7rocprim17ROCPRIM_400000_NS6detail17trampoline_kernelINS0_14default_configENS1_22reduce_config_selectorIiEEZNS1_11reduce_implILb1ES3_N6thrust23THRUST_200600_302600_NS11hip_rocprim35transform_pair_of_input_iterators_tIiPiSB_NS8_12not_equal_toIiEEEESB_iNS8_4plusIiEEEE10hipError_tPvRmT1_T2_T3_mT4_P12ihipStream_tbEUlT_E0_NS1_11comp_targetILNS1_3genE2ELNS1_11target_archE906ELNS1_3gpuE6ELNS1_3repE0EEENS1_30default_config_static_selectorELNS0_4arch9wavefront6targetE1EEEvSK_
	.p2align	8
	.type	_ZN7rocprim17ROCPRIM_400000_NS6detail17trampoline_kernelINS0_14default_configENS1_22reduce_config_selectorIiEEZNS1_11reduce_implILb1ES3_N6thrust23THRUST_200600_302600_NS11hip_rocprim35transform_pair_of_input_iterators_tIiPiSB_NS8_12not_equal_toIiEEEESB_iNS8_4plusIiEEEE10hipError_tPvRmT1_T2_T3_mT4_P12ihipStream_tbEUlT_E0_NS1_11comp_targetILNS1_3genE2ELNS1_11target_archE906ELNS1_3gpuE6ELNS1_3repE0EEENS1_30default_config_static_selectorELNS0_4arch9wavefront6targetE1EEEvSK_,@function
_ZN7rocprim17ROCPRIM_400000_NS6detail17trampoline_kernelINS0_14default_configENS1_22reduce_config_selectorIiEEZNS1_11reduce_implILb1ES3_N6thrust23THRUST_200600_302600_NS11hip_rocprim35transform_pair_of_input_iterators_tIiPiSB_NS8_12not_equal_toIiEEEESB_iNS8_4plusIiEEEE10hipError_tPvRmT1_T2_T3_mT4_P12ihipStream_tbEUlT_E0_NS1_11comp_targetILNS1_3genE2ELNS1_11target_archE906ELNS1_3gpuE6ELNS1_3repE0EEENS1_30default_config_static_selectorELNS0_4arch9wavefront6targetE1EEEvSK_: ; @_ZN7rocprim17ROCPRIM_400000_NS6detail17trampoline_kernelINS0_14default_configENS1_22reduce_config_selectorIiEEZNS1_11reduce_implILb1ES3_N6thrust23THRUST_200600_302600_NS11hip_rocprim35transform_pair_of_input_iterators_tIiPiSB_NS8_12not_equal_toIiEEEESB_iNS8_4plusIiEEEE10hipError_tPvRmT1_T2_T3_mT4_P12ihipStream_tbEUlT_E0_NS1_11comp_targetILNS1_3genE2ELNS1_11target_archE906ELNS1_3gpuE6ELNS1_3repE0EEENS1_30default_config_static_selectorELNS0_4arch9wavefront6targetE1EEEvSK_
; %bb.0:
	s_load_dwordx8 s[8:15], s[4:5], 0x18
	s_load_dwordx4 s[0:3], s[4:5], 0x0
	s_load_dwordx2 s[16:17], s[4:5], 0x38
	v_lshlrev_b32_e32 v6, 2, v0
	v_mbcnt_lo_u32_b32 v5, -1, 0
	s_waitcnt lgkmcnt(0)
	s_lshl_b64 s[8:9], s[8:9], 2
	s_add_u32 s20, s0, s8
	s_addc_u32 s21, s1, s9
	s_add_u32 s22, s2, s8
	s_addc_u32 s23, s3, s9
	s_lshl_b32 s0, s6, 10
	s_mov_b32 s1, 0
	s_lshr_b64 s[2:3], s[10:11], 10
	s_lshl_b64 s[18:19], s[0:1], 2
	s_add_u32 s8, s20, s18
	s_addc_u32 s9, s21, s19
	s_add_u32 s18, s22, s18
	s_mov_b32 s7, s1
	s_addc_u32 s19, s23, s19
	s_cmp_lg_u64 s[2:3], s[6:7]
	s_cbranch_scc0 .LBB924_6
; %bb.1:
	global_load_dword v1, v6, s[8:9]
	global_load_dword v4, v6, s[18:19]
	global_load_dword v7, v6, s[8:9] offset:2048
	global_load_dword v8, v6, s[18:19] offset:2048
	;; [unrolled: 1-line block ×6, first 2 shown]
	v_mbcnt_hi_u32_b32 v2, -1, v5
	v_lshlrev_b32_e32 v3, 2, v2
	s_waitcnt vmcnt(6)
	v_cmp_ne_u32_e32 vcc, v1, v4
	v_cndmask_b32_e64 v1, 0, 1, vcc
	s_waitcnt vmcnt(4)
	v_cmp_ne_u32_e32 vcc, v7, v8
	v_cndmask_b32_e64 v4, 0, 1, vcc
	s_waitcnt vmcnt(2)
	v_cmp_ne_u32_e32 vcc, v9, v10
	v_addc_co_u32_e32 v1, vcc, 0, v1, vcc
	s_waitcnt vmcnt(0)
	v_cmp_ne_u32_e32 vcc, v12, v11
	v_addc_co_u32_e32 v1, vcc, v1, v4, vcc
	v_or_b32_e32 v4, 0xfc, v3
	s_nop 0
	v_add_u32_dpp v1, v1, v1 quad_perm:[1,0,3,2] row_mask:0xf bank_mask:0xf bound_ctrl:1
	v_cmp_eq_u32_e32 vcc, 0, v2
	s_nop 0
	v_add_u32_dpp v1, v1, v1 quad_perm:[2,3,0,1] row_mask:0xf bank_mask:0xf bound_ctrl:1
	s_nop 1
	v_add_u32_dpp v1, v1, v1 row_ror:4 row_mask:0xf bank_mask:0xf bound_ctrl:1
	s_nop 1
	v_add_u32_dpp v1, v1, v1 row_ror:8 row_mask:0xf bank_mask:0xf bound_ctrl:1
	s_nop 1
	v_add_u32_dpp v1, v1, v1 row_bcast:15 row_mask:0xf bank_mask:0xf bound_ctrl:1
	s_nop 1
	v_add_u32_dpp v1, v1, v1 row_bcast:31 row_mask:0xf bank_mask:0xf bound_ctrl:1
	ds_bpermute_b32 v1, v4, v1
	s_and_saveexec_b64 s[2:3], vcc
	s_cbranch_execz .LBB924_3
; %bb.2:
	v_lshrrev_b32_e32 v4, 4, v0
	v_and_b32_e32 v4, 12, v4
	s_waitcnt lgkmcnt(0)
	ds_write_b32 v4, v1
.LBB924_3:
	s_or_b64 exec, exec, s[2:3]
	v_cmp_gt_u32_e32 vcc, 64, v0
	s_waitcnt lgkmcnt(0)
	s_barrier
	s_and_saveexec_b64 s[2:3], vcc
	s_cbranch_execz .LBB924_5
; %bb.4:
	v_and_b32_e32 v1, 3, v2
	v_lshlrev_b32_e32 v4, 2, v1
	ds_read_b32 v4, v4
	v_cmp_ne_u32_e32 vcc, 3, v1
	v_addc_co_u32_e32 v1, vcc, 0, v2, vcc
	v_lshlrev_b32_e32 v1, 2, v1
	s_waitcnt lgkmcnt(0)
	ds_bpermute_b32 v1, v1, v4
	v_or_b32_e32 v2, 8, v3
	s_waitcnt lgkmcnt(0)
	v_add_u32_e32 v1, v1, v4
	ds_bpermute_b32 v2, v2, v1
	s_waitcnt lgkmcnt(0)
	v_add_u32_e32 v1, v2, v1
.LBB924_5:
	s_or_b64 exec, exec, s[2:3]
	s_load_dword s22, s[4:5], 0x40
	s_branch .LBB924_20
.LBB924_6:
                                        ; implicit-def: $vgpr1
	s_load_dword s22, s[4:5], 0x40
	s_cbranch_execz .LBB924_20
; %bb.7:
	s_sub_i32 s23, s10, s0
	v_mov_b32_e32 v1, 0
	v_cmp_gt_u32_e32 vcc, s23, v0
	v_mov_b32_e32 v2, v1
	v_mov_b32_e32 v3, v1
	v_mov_b32_e32 v4, v1
	s_and_saveexec_b64 s[0:1], vcc
	s_cbranch_execz .LBB924_9
; %bb.8:
	global_load_dword v2, v6, s[8:9]
	global_load_dword v3, v6, s[18:19]
	v_mov_b32_e32 v8, v1
	v_mov_b32_e32 v9, v1
	;; [unrolled: 1-line block ×3, first 2 shown]
	s_waitcnt vmcnt(0)
	v_cmp_ne_u32_e32 vcc, v2, v3
	v_cndmask_b32_e64 v2, 0, 1, vcc
	v_and_b32_e32 v7, 0xffff, v2
	v_mov_b32_e32 v1, v7
	v_mov_b32_e32 v2, v8
	;; [unrolled: 1-line block ×4, first 2 shown]
.LBB924_9:
	s_or_b64 exec, exec, s[0:1]
	v_or_b32_e32 v7, 0x100, v0
	v_cmp_gt_u32_e32 vcc, s23, v7
	s_and_saveexec_b64 s[2:3], vcc
	s_cbranch_execz .LBB924_11
; %bb.10:
	global_load_dword v2, v6, s[8:9] offset:1024
	global_load_dword v7, v6, s[18:19] offset:1024
	s_waitcnt vmcnt(0)
	v_cmp_ne_u32_e64 s[0:1], v2, v7
	v_cndmask_b32_e64 v2, 0, 1, s[0:1]
.LBB924_11:
	s_or_b64 exec, exec, s[2:3]
	v_or_b32_e32 v7, 0x200, v0
	v_cmp_gt_u32_e64 s[0:1], s23, v7
	s_and_saveexec_b64 s[4:5], s[0:1]
	s_cbranch_execz .LBB924_13
; %bb.12:
	global_load_dword v3, v6, s[8:9] offset:2048
	global_load_dword v7, v6, s[18:19] offset:2048
	s_waitcnt vmcnt(0)
	v_cmp_ne_u32_e64 s[2:3], v3, v7
	v_cndmask_b32_e64 v3, 0, 1, s[2:3]
.LBB924_13:
	s_or_b64 exec, exec, s[4:5]
	v_or_b32_e32 v7, 0x300, v0
	v_cmp_gt_u32_e64 s[2:3], s23, v7
	s_and_saveexec_b64 s[20:21], s[2:3]
	s_cbranch_execz .LBB924_15
; %bb.14:
	global_load_dword v4, v6, s[8:9] offset:3072
	global_load_dword v7, v6, s[18:19] offset:3072
	s_waitcnt vmcnt(0)
	v_cmp_ne_u32_e64 s[4:5], v4, v7
	v_cndmask_b32_e64 v4, 0, 1, s[4:5]
.LBB924_15:
	s_or_b64 exec, exec, s[20:21]
	v_cndmask_b32_e32 v2, 0, v2, vcc
	v_add_u32_e32 v1, v2, v1
	v_cndmask_b32_e64 v2, 0, v3, s[0:1]
	v_cndmask_b32_e64 v3, 0, v4, s[2:3]
	v_add3_u32 v1, v1, v2, v3
	v_mbcnt_hi_u32_b32 v2, -1, v5
	v_and_b32_e32 v4, 63, v2
	v_cmp_ne_u32_e32 vcc, 63, v4
	v_addc_co_u32_e32 v3, vcc, 0, v2, vcc
	v_lshlrev_b32_e32 v3, 2, v3
	ds_bpermute_b32 v3, v3, v1
	s_min_u32 s2, s23, 0x100
	v_and_b32_e32 v5, 0xc0, v0
	v_sub_u32_e64 v5, s2, v5 clamp
	v_add_u32_e32 v6, 1, v4
	v_cmp_lt_u32_e32 vcc, v6, v5
	s_waitcnt lgkmcnt(0)
	v_cndmask_b32_e32 v3, 0, v3, vcc
	v_cmp_gt_u32_e32 vcc, 62, v4
	v_add_u32_e32 v1, v3, v1
	v_cndmask_b32_e64 v3, 0, 2, vcc
	v_add_lshl_u32 v3, v3, v2, 2
	ds_bpermute_b32 v3, v3, v1
	v_add_u32_e32 v6, 2, v4
	v_cmp_lt_u32_e32 vcc, v6, v5
	v_add_u32_e32 v6, 4, v4
	s_waitcnt lgkmcnt(0)
	v_cndmask_b32_e32 v3, 0, v3, vcc
	v_cmp_gt_u32_e32 vcc, 60, v4
	v_add_u32_e32 v1, v1, v3
	v_cndmask_b32_e64 v3, 0, 4, vcc
	v_add_lshl_u32 v3, v3, v2, 2
	ds_bpermute_b32 v3, v3, v1
	v_cmp_lt_u32_e32 vcc, v6, v5
	v_add_u32_e32 v6, 8, v4
	s_waitcnt lgkmcnt(0)
	v_cndmask_b32_e32 v3, 0, v3, vcc
	v_cmp_gt_u32_e32 vcc, 56, v4
	v_add_u32_e32 v1, v1, v3
	v_cndmask_b32_e64 v3, 0, 8, vcc
	v_add_lshl_u32 v3, v3, v2, 2
	ds_bpermute_b32 v3, v3, v1
	;; [unrolled: 9-line block ×3, first 2 shown]
	v_cmp_lt_u32_e32 vcc, v6, v5
	v_add_u32_e32 v4, 32, v4
	s_waitcnt lgkmcnt(0)
	v_cndmask_b32_e32 v3, 0, v3, vcc
	v_add_u32_e32 v1, v1, v3
	v_lshlrev_b32_e32 v3, 2, v2
	v_or_b32_e32 v6, 0x80, v3
	ds_bpermute_b32 v6, v6, v1
	v_cmp_lt_u32_e32 vcc, v4, v5
	s_waitcnt lgkmcnt(0)
	v_cndmask_b32_e32 v4, 0, v6, vcc
	v_add_u32_e32 v1, v1, v4
	v_cmp_eq_u32_e32 vcc, 0, v2
	s_and_saveexec_b64 s[0:1], vcc
; %bb.16:
	v_lshrrev_b32_e32 v4, 4, v0
	v_and_b32_e32 v4, 12, v4
	ds_write_b32 v4, v1 offset:16
; %bb.17:
	s_or_b64 exec, exec, s[0:1]
	v_cmp_gt_u32_e32 vcc, 4, v0
	s_waitcnt lgkmcnt(0)
	s_barrier
	s_and_saveexec_b64 s[0:1], vcc
	s_cbranch_execz .LBB924_19
; %bb.18:
	ds_read_b32 v1, v3 offset:16
	v_and_b32_e32 v4, 3, v2
	v_cmp_ne_u32_e32 vcc, 3, v4
	v_addc_co_u32_e32 v2, vcc, 0, v2, vcc
	v_lshlrev_b32_e32 v2, 2, v2
	s_waitcnt lgkmcnt(0)
	ds_bpermute_b32 v2, v2, v1
	s_add_i32 s2, s2, 63
	s_lshr_b32 s2, s2, 6
	v_add_u32_e32 v5, 1, v4
	v_cmp_gt_u32_e32 vcc, s2, v5
	s_waitcnt lgkmcnt(0)
	v_cndmask_b32_e32 v2, 0, v2, vcc
	v_add_u32_e32 v1, v2, v1
	v_or_b32_e32 v2, 8, v3
	ds_bpermute_b32 v2, v2, v1
	v_add_u32_e32 v3, 2, v4
	v_cmp_gt_u32_e32 vcc, s2, v3
	s_waitcnt lgkmcnt(0)
	v_cndmask_b32_e32 v2, 0, v2, vcc
	v_add_u32_e32 v1, v1, v2
.LBB924_19:
	s_or_b64 exec, exec, s[0:1]
.LBB924_20:
	v_cmp_eq_u32_e32 vcc, 0, v0
	s_and_saveexec_b64 s[0:1], vcc
	s_cbranch_execnz .LBB924_22
; %bb.21:
	s_endpgm
.LBB924_22:
	s_mul_i32 s0, s16, s15
	s_mul_hi_u32 s1, s16, s14
	s_add_i32 s0, s1, s0
	s_mul_i32 s1, s17, s14
	s_add_i32 s1, s0, s1
	s_mul_i32 s0, s16, s14
	s_lshl_b64 s[0:1], s[0:1], 2
	s_add_u32 s2, s12, s0
	s_addc_u32 s3, s13, s1
	s_cmp_eq_u64 s[10:11], 0
	s_cselect_b64 vcc, -1, 0
	s_lshl_b64 s[0:1], s[6:7], 2
	s_waitcnt lgkmcnt(0)
	v_mov_b32_e32 v0, s22
	s_add_u32 s0, s2, s0
	v_cndmask_b32_e32 v0, v1, v0, vcc
	s_addc_u32 s1, s3, s1
	v_mov_b32_e32 v1, 0
	global_store_dword v1, v0, s[0:1]
	s_endpgm
	.section	.rodata,"a",@progbits
	.p2align	6, 0x0
	.amdhsa_kernel _ZN7rocprim17ROCPRIM_400000_NS6detail17trampoline_kernelINS0_14default_configENS1_22reduce_config_selectorIiEEZNS1_11reduce_implILb1ES3_N6thrust23THRUST_200600_302600_NS11hip_rocprim35transform_pair_of_input_iterators_tIiPiSB_NS8_12not_equal_toIiEEEESB_iNS8_4plusIiEEEE10hipError_tPvRmT1_T2_T3_mT4_P12ihipStream_tbEUlT_E0_NS1_11comp_targetILNS1_3genE2ELNS1_11target_archE906ELNS1_3gpuE6ELNS1_3repE0EEENS1_30default_config_static_selectorELNS0_4arch9wavefront6targetE1EEEvSK_
		.amdhsa_group_segment_fixed_size 32
		.amdhsa_private_segment_fixed_size 0
		.amdhsa_kernarg_size 72
		.amdhsa_user_sgpr_count 6
		.amdhsa_user_sgpr_private_segment_buffer 1
		.amdhsa_user_sgpr_dispatch_ptr 0
		.amdhsa_user_sgpr_queue_ptr 0
		.amdhsa_user_sgpr_kernarg_segment_ptr 1
		.amdhsa_user_sgpr_dispatch_id 0
		.amdhsa_user_sgpr_flat_scratch_init 0
		.amdhsa_user_sgpr_private_segment_size 0
		.amdhsa_uses_dynamic_stack 0
		.amdhsa_system_sgpr_private_segment_wavefront_offset 0
		.amdhsa_system_sgpr_workgroup_id_x 1
		.amdhsa_system_sgpr_workgroup_id_y 0
		.amdhsa_system_sgpr_workgroup_id_z 0
		.amdhsa_system_sgpr_workgroup_info 0
		.amdhsa_system_vgpr_workitem_id 0
		.amdhsa_next_free_vgpr 13
		.amdhsa_next_free_sgpr 24
		.amdhsa_reserve_vcc 1
		.amdhsa_reserve_flat_scratch 0
		.amdhsa_float_round_mode_32 0
		.amdhsa_float_round_mode_16_64 0
		.amdhsa_float_denorm_mode_32 3
		.amdhsa_float_denorm_mode_16_64 3
		.amdhsa_dx10_clamp 1
		.amdhsa_ieee_mode 1
		.amdhsa_fp16_overflow 0
		.amdhsa_exception_fp_ieee_invalid_op 0
		.amdhsa_exception_fp_denorm_src 0
		.amdhsa_exception_fp_ieee_div_zero 0
		.amdhsa_exception_fp_ieee_overflow 0
		.amdhsa_exception_fp_ieee_underflow 0
		.amdhsa_exception_fp_ieee_inexact 0
		.amdhsa_exception_int_div_zero 0
	.end_amdhsa_kernel
	.section	.text._ZN7rocprim17ROCPRIM_400000_NS6detail17trampoline_kernelINS0_14default_configENS1_22reduce_config_selectorIiEEZNS1_11reduce_implILb1ES3_N6thrust23THRUST_200600_302600_NS11hip_rocprim35transform_pair_of_input_iterators_tIiPiSB_NS8_12not_equal_toIiEEEESB_iNS8_4plusIiEEEE10hipError_tPvRmT1_T2_T3_mT4_P12ihipStream_tbEUlT_E0_NS1_11comp_targetILNS1_3genE2ELNS1_11target_archE906ELNS1_3gpuE6ELNS1_3repE0EEENS1_30default_config_static_selectorELNS0_4arch9wavefront6targetE1EEEvSK_,"axG",@progbits,_ZN7rocprim17ROCPRIM_400000_NS6detail17trampoline_kernelINS0_14default_configENS1_22reduce_config_selectorIiEEZNS1_11reduce_implILb1ES3_N6thrust23THRUST_200600_302600_NS11hip_rocprim35transform_pair_of_input_iterators_tIiPiSB_NS8_12not_equal_toIiEEEESB_iNS8_4plusIiEEEE10hipError_tPvRmT1_T2_T3_mT4_P12ihipStream_tbEUlT_E0_NS1_11comp_targetILNS1_3genE2ELNS1_11target_archE906ELNS1_3gpuE6ELNS1_3repE0EEENS1_30default_config_static_selectorELNS0_4arch9wavefront6targetE1EEEvSK_,comdat
.Lfunc_end924:
	.size	_ZN7rocprim17ROCPRIM_400000_NS6detail17trampoline_kernelINS0_14default_configENS1_22reduce_config_selectorIiEEZNS1_11reduce_implILb1ES3_N6thrust23THRUST_200600_302600_NS11hip_rocprim35transform_pair_of_input_iterators_tIiPiSB_NS8_12not_equal_toIiEEEESB_iNS8_4plusIiEEEE10hipError_tPvRmT1_T2_T3_mT4_P12ihipStream_tbEUlT_E0_NS1_11comp_targetILNS1_3genE2ELNS1_11target_archE906ELNS1_3gpuE6ELNS1_3repE0EEENS1_30default_config_static_selectorELNS0_4arch9wavefront6targetE1EEEvSK_, .Lfunc_end924-_ZN7rocprim17ROCPRIM_400000_NS6detail17trampoline_kernelINS0_14default_configENS1_22reduce_config_selectorIiEEZNS1_11reduce_implILb1ES3_N6thrust23THRUST_200600_302600_NS11hip_rocprim35transform_pair_of_input_iterators_tIiPiSB_NS8_12not_equal_toIiEEEESB_iNS8_4plusIiEEEE10hipError_tPvRmT1_T2_T3_mT4_P12ihipStream_tbEUlT_E0_NS1_11comp_targetILNS1_3genE2ELNS1_11target_archE906ELNS1_3gpuE6ELNS1_3repE0EEENS1_30default_config_static_selectorELNS0_4arch9wavefront6targetE1EEEvSK_
                                        ; -- End function
	.set _ZN7rocprim17ROCPRIM_400000_NS6detail17trampoline_kernelINS0_14default_configENS1_22reduce_config_selectorIiEEZNS1_11reduce_implILb1ES3_N6thrust23THRUST_200600_302600_NS11hip_rocprim35transform_pair_of_input_iterators_tIiPiSB_NS8_12not_equal_toIiEEEESB_iNS8_4plusIiEEEE10hipError_tPvRmT1_T2_T3_mT4_P12ihipStream_tbEUlT_E0_NS1_11comp_targetILNS1_3genE2ELNS1_11target_archE906ELNS1_3gpuE6ELNS1_3repE0EEENS1_30default_config_static_selectorELNS0_4arch9wavefront6targetE1EEEvSK_.num_vgpr, 13
	.set _ZN7rocprim17ROCPRIM_400000_NS6detail17trampoline_kernelINS0_14default_configENS1_22reduce_config_selectorIiEEZNS1_11reduce_implILb1ES3_N6thrust23THRUST_200600_302600_NS11hip_rocprim35transform_pair_of_input_iterators_tIiPiSB_NS8_12not_equal_toIiEEEESB_iNS8_4plusIiEEEE10hipError_tPvRmT1_T2_T3_mT4_P12ihipStream_tbEUlT_E0_NS1_11comp_targetILNS1_3genE2ELNS1_11target_archE906ELNS1_3gpuE6ELNS1_3repE0EEENS1_30default_config_static_selectorELNS0_4arch9wavefront6targetE1EEEvSK_.num_agpr, 0
	.set _ZN7rocprim17ROCPRIM_400000_NS6detail17trampoline_kernelINS0_14default_configENS1_22reduce_config_selectorIiEEZNS1_11reduce_implILb1ES3_N6thrust23THRUST_200600_302600_NS11hip_rocprim35transform_pair_of_input_iterators_tIiPiSB_NS8_12not_equal_toIiEEEESB_iNS8_4plusIiEEEE10hipError_tPvRmT1_T2_T3_mT4_P12ihipStream_tbEUlT_E0_NS1_11comp_targetILNS1_3genE2ELNS1_11target_archE906ELNS1_3gpuE6ELNS1_3repE0EEENS1_30default_config_static_selectorELNS0_4arch9wavefront6targetE1EEEvSK_.numbered_sgpr, 24
	.set _ZN7rocprim17ROCPRIM_400000_NS6detail17trampoline_kernelINS0_14default_configENS1_22reduce_config_selectorIiEEZNS1_11reduce_implILb1ES3_N6thrust23THRUST_200600_302600_NS11hip_rocprim35transform_pair_of_input_iterators_tIiPiSB_NS8_12not_equal_toIiEEEESB_iNS8_4plusIiEEEE10hipError_tPvRmT1_T2_T3_mT4_P12ihipStream_tbEUlT_E0_NS1_11comp_targetILNS1_3genE2ELNS1_11target_archE906ELNS1_3gpuE6ELNS1_3repE0EEENS1_30default_config_static_selectorELNS0_4arch9wavefront6targetE1EEEvSK_.num_named_barrier, 0
	.set _ZN7rocprim17ROCPRIM_400000_NS6detail17trampoline_kernelINS0_14default_configENS1_22reduce_config_selectorIiEEZNS1_11reduce_implILb1ES3_N6thrust23THRUST_200600_302600_NS11hip_rocprim35transform_pair_of_input_iterators_tIiPiSB_NS8_12not_equal_toIiEEEESB_iNS8_4plusIiEEEE10hipError_tPvRmT1_T2_T3_mT4_P12ihipStream_tbEUlT_E0_NS1_11comp_targetILNS1_3genE2ELNS1_11target_archE906ELNS1_3gpuE6ELNS1_3repE0EEENS1_30default_config_static_selectorELNS0_4arch9wavefront6targetE1EEEvSK_.private_seg_size, 0
	.set _ZN7rocprim17ROCPRIM_400000_NS6detail17trampoline_kernelINS0_14default_configENS1_22reduce_config_selectorIiEEZNS1_11reduce_implILb1ES3_N6thrust23THRUST_200600_302600_NS11hip_rocprim35transform_pair_of_input_iterators_tIiPiSB_NS8_12not_equal_toIiEEEESB_iNS8_4plusIiEEEE10hipError_tPvRmT1_T2_T3_mT4_P12ihipStream_tbEUlT_E0_NS1_11comp_targetILNS1_3genE2ELNS1_11target_archE906ELNS1_3gpuE6ELNS1_3repE0EEENS1_30default_config_static_selectorELNS0_4arch9wavefront6targetE1EEEvSK_.uses_vcc, 1
	.set _ZN7rocprim17ROCPRIM_400000_NS6detail17trampoline_kernelINS0_14default_configENS1_22reduce_config_selectorIiEEZNS1_11reduce_implILb1ES3_N6thrust23THRUST_200600_302600_NS11hip_rocprim35transform_pair_of_input_iterators_tIiPiSB_NS8_12not_equal_toIiEEEESB_iNS8_4plusIiEEEE10hipError_tPvRmT1_T2_T3_mT4_P12ihipStream_tbEUlT_E0_NS1_11comp_targetILNS1_3genE2ELNS1_11target_archE906ELNS1_3gpuE6ELNS1_3repE0EEENS1_30default_config_static_selectorELNS0_4arch9wavefront6targetE1EEEvSK_.uses_flat_scratch, 0
	.set _ZN7rocprim17ROCPRIM_400000_NS6detail17trampoline_kernelINS0_14default_configENS1_22reduce_config_selectorIiEEZNS1_11reduce_implILb1ES3_N6thrust23THRUST_200600_302600_NS11hip_rocprim35transform_pair_of_input_iterators_tIiPiSB_NS8_12not_equal_toIiEEEESB_iNS8_4plusIiEEEE10hipError_tPvRmT1_T2_T3_mT4_P12ihipStream_tbEUlT_E0_NS1_11comp_targetILNS1_3genE2ELNS1_11target_archE906ELNS1_3gpuE6ELNS1_3repE0EEENS1_30default_config_static_selectorELNS0_4arch9wavefront6targetE1EEEvSK_.has_dyn_sized_stack, 0
	.set _ZN7rocprim17ROCPRIM_400000_NS6detail17trampoline_kernelINS0_14default_configENS1_22reduce_config_selectorIiEEZNS1_11reduce_implILb1ES3_N6thrust23THRUST_200600_302600_NS11hip_rocprim35transform_pair_of_input_iterators_tIiPiSB_NS8_12not_equal_toIiEEEESB_iNS8_4plusIiEEEE10hipError_tPvRmT1_T2_T3_mT4_P12ihipStream_tbEUlT_E0_NS1_11comp_targetILNS1_3genE2ELNS1_11target_archE906ELNS1_3gpuE6ELNS1_3repE0EEENS1_30default_config_static_selectorELNS0_4arch9wavefront6targetE1EEEvSK_.has_recursion, 0
	.set _ZN7rocprim17ROCPRIM_400000_NS6detail17trampoline_kernelINS0_14default_configENS1_22reduce_config_selectorIiEEZNS1_11reduce_implILb1ES3_N6thrust23THRUST_200600_302600_NS11hip_rocprim35transform_pair_of_input_iterators_tIiPiSB_NS8_12not_equal_toIiEEEESB_iNS8_4plusIiEEEE10hipError_tPvRmT1_T2_T3_mT4_P12ihipStream_tbEUlT_E0_NS1_11comp_targetILNS1_3genE2ELNS1_11target_archE906ELNS1_3gpuE6ELNS1_3repE0EEENS1_30default_config_static_selectorELNS0_4arch9wavefront6targetE1EEEvSK_.has_indirect_call, 0
	.section	.AMDGPU.csdata,"",@progbits
; Kernel info:
; codeLenInByte = 1356
; TotalNumSgprs: 28
; NumVgprs: 13
; ScratchSize: 0
; MemoryBound: 0
; FloatMode: 240
; IeeeMode: 1
; LDSByteSize: 32 bytes/workgroup (compile time only)
; SGPRBlocks: 3
; VGPRBlocks: 3
; NumSGPRsForWavesPerEU: 28
; NumVGPRsForWavesPerEU: 13
; Occupancy: 10
; WaveLimiterHint : 0
; COMPUTE_PGM_RSRC2:SCRATCH_EN: 0
; COMPUTE_PGM_RSRC2:USER_SGPR: 6
; COMPUTE_PGM_RSRC2:TRAP_HANDLER: 0
; COMPUTE_PGM_RSRC2:TGID_X_EN: 1
; COMPUTE_PGM_RSRC2:TGID_Y_EN: 0
; COMPUTE_PGM_RSRC2:TGID_Z_EN: 0
; COMPUTE_PGM_RSRC2:TIDIG_COMP_CNT: 0
	.section	.text._ZN7rocprim17ROCPRIM_400000_NS6detail17trampoline_kernelINS0_14default_configENS1_22reduce_config_selectorIiEEZNS1_11reduce_implILb1ES3_N6thrust23THRUST_200600_302600_NS11hip_rocprim35transform_pair_of_input_iterators_tIiPiSB_NS8_12not_equal_toIiEEEESB_iNS8_4plusIiEEEE10hipError_tPvRmT1_T2_T3_mT4_P12ihipStream_tbEUlT_E0_NS1_11comp_targetILNS1_3genE10ELNS1_11target_archE1201ELNS1_3gpuE5ELNS1_3repE0EEENS1_30default_config_static_selectorELNS0_4arch9wavefront6targetE1EEEvSK_,"axG",@progbits,_ZN7rocprim17ROCPRIM_400000_NS6detail17trampoline_kernelINS0_14default_configENS1_22reduce_config_selectorIiEEZNS1_11reduce_implILb1ES3_N6thrust23THRUST_200600_302600_NS11hip_rocprim35transform_pair_of_input_iterators_tIiPiSB_NS8_12not_equal_toIiEEEESB_iNS8_4plusIiEEEE10hipError_tPvRmT1_T2_T3_mT4_P12ihipStream_tbEUlT_E0_NS1_11comp_targetILNS1_3genE10ELNS1_11target_archE1201ELNS1_3gpuE5ELNS1_3repE0EEENS1_30default_config_static_selectorELNS0_4arch9wavefront6targetE1EEEvSK_,comdat
	.protected	_ZN7rocprim17ROCPRIM_400000_NS6detail17trampoline_kernelINS0_14default_configENS1_22reduce_config_selectorIiEEZNS1_11reduce_implILb1ES3_N6thrust23THRUST_200600_302600_NS11hip_rocprim35transform_pair_of_input_iterators_tIiPiSB_NS8_12not_equal_toIiEEEESB_iNS8_4plusIiEEEE10hipError_tPvRmT1_T2_T3_mT4_P12ihipStream_tbEUlT_E0_NS1_11comp_targetILNS1_3genE10ELNS1_11target_archE1201ELNS1_3gpuE5ELNS1_3repE0EEENS1_30default_config_static_selectorELNS0_4arch9wavefront6targetE1EEEvSK_ ; -- Begin function _ZN7rocprim17ROCPRIM_400000_NS6detail17trampoline_kernelINS0_14default_configENS1_22reduce_config_selectorIiEEZNS1_11reduce_implILb1ES3_N6thrust23THRUST_200600_302600_NS11hip_rocprim35transform_pair_of_input_iterators_tIiPiSB_NS8_12not_equal_toIiEEEESB_iNS8_4plusIiEEEE10hipError_tPvRmT1_T2_T3_mT4_P12ihipStream_tbEUlT_E0_NS1_11comp_targetILNS1_3genE10ELNS1_11target_archE1201ELNS1_3gpuE5ELNS1_3repE0EEENS1_30default_config_static_selectorELNS0_4arch9wavefront6targetE1EEEvSK_
	.globl	_ZN7rocprim17ROCPRIM_400000_NS6detail17trampoline_kernelINS0_14default_configENS1_22reduce_config_selectorIiEEZNS1_11reduce_implILb1ES3_N6thrust23THRUST_200600_302600_NS11hip_rocprim35transform_pair_of_input_iterators_tIiPiSB_NS8_12not_equal_toIiEEEESB_iNS8_4plusIiEEEE10hipError_tPvRmT1_T2_T3_mT4_P12ihipStream_tbEUlT_E0_NS1_11comp_targetILNS1_3genE10ELNS1_11target_archE1201ELNS1_3gpuE5ELNS1_3repE0EEENS1_30default_config_static_selectorELNS0_4arch9wavefront6targetE1EEEvSK_
	.p2align	8
	.type	_ZN7rocprim17ROCPRIM_400000_NS6detail17trampoline_kernelINS0_14default_configENS1_22reduce_config_selectorIiEEZNS1_11reduce_implILb1ES3_N6thrust23THRUST_200600_302600_NS11hip_rocprim35transform_pair_of_input_iterators_tIiPiSB_NS8_12not_equal_toIiEEEESB_iNS8_4plusIiEEEE10hipError_tPvRmT1_T2_T3_mT4_P12ihipStream_tbEUlT_E0_NS1_11comp_targetILNS1_3genE10ELNS1_11target_archE1201ELNS1_3gpuE5ELNS1_3repE0EEENS1_30default_config_static_selectorELNS0_4arch9wavefront6targetE1EEEvSK_,@function
_ZN7rocprim17ROCPRIM_400000_NS6detail17trampoline_kernelINS0_14default_configENS1_22reduce_config_selectorIiEEZNS1_11reduce_implILb1ES3_N6thrust23THRUST_200600_302600_NS11hip_rocprim35transform_pair_of_input_iterators_tIiPiSB_NS8_12not_equal_toIiEEEESB_iNS8_4plusIiEEEE10hipError_tPvRmT1_T2_T3_mT4_P12ihipStream_tbEUlT_E0_NS1_11comp_targetILNS1_3genE10ELNS1_11target_archE1201ELNS1_3gpuE5ELNS1_3repE0EEENS1_30default_config_static_selectorELNS0_4arch9wavefront6targetE1EEEvSK_: ; @_ZN7rocprim17ROCPRIM_400000_NS6detail17trampoline_kernelINS0_14default_configENS1_22reduce_config_selectorIiEEZNS1_11reduce_implILb1ES3_N6thrust23THRUST_200600_302600_NS11hip_rocprim35transform_pair_of_input_iterators_tIiPiSB_NS8_12not_equal_toIiEEEESB_iNS8_4plusIiEEEE10hipError_tPvRmT1_T2_T3_mT4_P12ihipStream_tbEUlT_E0_NS1_11comp_targetILNS1_3genE10ELNS1_11target_archE1201ELNS1_3gpuE5ELNS1_3repE0EEENS1_30default_config_static_selectorELNS0_4arch9wavefront6targetE1EEEvSK_
; %bb.0:
	.section	.rodata,"a",@progbits
	.p2align	6, 0x0
	.amdhsa_kernel _ZN7rocprim17ROCPRIM_400000_NS6detail17trampoline_kernelINS0_14default_configENS1_22reduce_config_selectorIiEEZNS1_11reduce_implILb1ES3_N6thrust23THRUST_200600_302600_NS11hip_rocprim35transform_pair_of_input_iterators_tIiPiSB_NS8_12not_equal_toIiEEEESB_iNS8_4plusIiEEEE10hipError_tPvRmT1_T2_T3_mT4_P12ihipStream_tbEUlT_E0_NS1_11comp_targetILNS1_3genE10ELNS1_11target_archE1201ELNS1_3gpuE5ELNS1_3repE0EEENS1_30default_config_static_selectorELNS0_4arch9wavefront6targetE1EEEvSK_
		.amdhsa_group_segment_fixed_size 0
		.amdhsa_private_segment_fixed_size 0
		.amdhsa_kernarg_size 72
		.amdhsa_user_sgpr_count 6
		.amdhsa_user_sgpr_private_segment_buffer 1
		.amdhsa_user_sgpr_dispatch_ptr 0
		.amdhsa_user_sgpr_queue_ptr 0
		.amdhsa_user_sgpr_kernarg_segment_ptr 1
		.amdhsa_user_sgpr_dispatch_id 0
		.amdhsa_user_sgpr_flat_scratch_init 0
		.amdhsa_user_sgpr_private_segment_size 0
		.amdhsa_uses_dynamic_stack 0
		.amdhsa_system_sgpr_private_segment_wavefront_offset 0
		.amdhsa_system_sgpr_workgroup_id_x 1
		.amdhsa_system_sgpr_workgroup_id_y 0
		.amdhsa_system_sgpr_workgroup_id_z 0
		.amdhsa_system_sgpr_workgroup_info 0
		.amdhsa_system_vgpr_workitem_id 0
		.amdhsa_next_free_vgpr 1
		.amdhsa_next_free_sgpr 0
		.amdhsa_reserve_vcc 0
		.amdhsa_reserve_flat_scratch 0
		.amdhsa_float_round_mode_32 0
		.amdhsa_float_round_mode_16_64 0
		.amdhsa_float_denorm_mode_32 3
		.amdhsa_float_denorm_mode_16_64 3
		.amdhsa_dx10_clamp 1
		.amdhsa_ieee_mode 1
		.amdhsa_fp16_overflow 0
		.amdhsa_exception_fp_ieee_invalid_op 0
		.amdhsa_exception_fp_denorm_src 0
		.amdhsa_exception_fp_ieee_div_zero 0
		.amdhsa_exception_fp_ieee_overflow 0
		.amdhsa_exception_fp_ieee_underflow 0
		.amdhsa_exception_fp_ieee_inexact 0
		.amdhsa_exception_int_div_zero 0
	.end_amdhsa_kernel
	.section	.text._ZN7rocprim17ROCPRIM_400000_NS6detail17trampoline_kernelINS0_14default_configENS1_22reduce_config_selectorIiEEZNS1_11reduce_implILb1ES3_N6thrust23THRUST_200600_302600_NS11hip_rocprim35transform_pair_of_input_iterators_tIiPiSB_NS8_12not_equal_toIiEEEESB_iNS8_4plusIiEEEE10hipError_tPvRmT1_T2_T3_mT4_P12ihipStream_tbEUlT_E0_NS1_11comp_targetILNS1_3genE10ELNS1_11target_archE1201ELNS1_3gpuE5ELNS1_3repE0EEENS1_30default_config_static_selectorELNS0_4arch9wavefront6targetE1EEEvSK_,"axG",@progbits,_ZN7rocprim17ROCPRIM_400000_NS6detail17trampoline_kernelINS0_14default_configENS1_22reduce_config_selectorIiEEZNS1_11reduce_implILb1ES3_N6thrust23THRUST_200600_302600_NS11hip_rocprim35transform_pair_of_input_iterators_tIiPiSB_NS8_12not_equal_toIiEEEESB_iNS8_4plusIiEEEE10hipError_tPvRmT1_T2_T3_mT4_P12ihipStream_tbEUlT_E0_NS1_11comp_targetILNS1_3genE10ELNS1_11target_archE1201ELNS1_3gpuE5ELNS1_3repE0EEENS1_30default_config_static_selectorELNS0_4arch9wavefront6targetE1EEEvSK_,comdat
.Lfunc_end925:
	.size	_ZN7rocprim17ROCPRIM_400000_NS6detail17trampoline_kernelINS0_14default_configENS1_22reduce_config_selectorIiEEZNS1_11reduce_implILb1ES3_N6thrust23THRUST_200600_302600_NS11hip_rocprim35transform_pair_of_input_iterators_tIiPiSB_NS8_12not_equal_toIiEEEESB_iNS8_4plusIiEEEE10hipError_tPvRmT1_T2_T3_mT4_P12ihipStream_tbEUlT_E0_NS1_11comp_targetILNS1_3genE10ELNS1_11target_archE1201ELNS1_3gpuE5ELNS1_3repE0EEENS1_30default_config_static_selectorELNS0_4arch9wavefront6targetE1EEEvSK_, .Lfunc_end925-_ZN7rocprim17ROCPRIM_400000_NS6detail17trampoline_kernelINS0_14default_configENS1_22reduce_config_selectorIiEEZNS1_11reduce_implILb1ES3_N6thrust23THRUST_200600_302600_NS11hip_rocprim35transform_pair_of_input_iterators_tIiPiSB_NS8_12not_equal_toIiEEEESB_iNS8_4plusIiEEEE10hipError_tPvRmT1_T2_T3_mT4_P12ihipStream_tbEUlT_E0_NS1_11comp_targetILNS1_3genE10ELNS1_11target_archE1201ELNS1_3gpuE5ELNS1_3repE0EEENS1_30default_config_static_selectorELNS0_4arch9wavefront6targetE1EEEvSK_
                                        ; -- End function
	.set _ZN7rocprim17ROCPRIM_400000_NS6detail17trampoline_kernelINS0_14default_configENS1_22reduce_config_selectorIiEEZNS1_11reduce_implILb1ES3_N6thrust23THRUST_200600_302600_NS11hip_rocprim35transform_pair_of_input_iterators_tIiPiSB_NS8_12not_equal_toIiEEEESB_iNS8_4plusIiEEEE10hipError_tPvRmT1_T2_T3_mT4_P12ihipStream_tbEUlT_E0_NS1_11comp_targetILNS1_3genE10ELNS1_11target_archE1201ELNS1_3gpuE5ELNS1_3repE0EEENS1_30default_config_static_selectorELNS0_4arch9wavefront6targetE1EEEvSK_.num_vgpr, 0
	.set _ZN7rocprim17ROCPRIM_400000_NS6detail17trampoline_kernelINS0_14default_configENS1_22reduce_config_selectorIiEEZNS1_11reduce_implILb1ES3_N6thrust23THRUST_200600_302600_NS11hip_rocprim35transform_pair_of_input_iterators_tIiPiSB_NS8_12not_equal_toIiEEEESB_iNS8_4plusIiEEEE10hipError_tPvRmT1_T2_T3_mT4_P12ihipStream_tbEUlT_E0_NS1_11comp_targetILNS1_3genE10ELNS1_11target_archE1201ELNS1_3gpuE5ELNS1_3repE0EEENS1_30default_config_static_selectorELNS0_4arch9wavefront6targetE1EEEvSK_.num_agpr, 0
	.set _ZN7rocprim17ROCPRIM_400000_NS6detail17trampoline_kernelINS0_14default_configENS1_22reduce_config_selectorIiEEZNS1_11reduce_implILb1ES3_N6thrust23THRUST_200600_302600_NS11hip_rocprim35transform_pair_of_input_iterators_tIiPiSB_NS8_12not_equal_toIiEEEESB_iNS8_4plusIiEEEE10hipError_tPvRmT1_T2_T3_mT4_P12ihipStream_tbEUlT_E0_NS1_11comp_targetILNS1_3genE10ELNS1_11target_archE1201ELNS1_3gpuE5ELNS1_3repE0EEENS1_30default_config_static_selectorELNS0_4arch9wavefront6targetE1EEEvSK_.numbered_sgpr, 0
	.set _ZN7rocprim17ROCPRIM_400000_NS6detail17trampoline_kernelINS0_14default_configENS1_22reduce_config_selectorIiEEZNS1_11reduce_implILb1ES3_N6thrust23THRUST_200600_302600_NS11hip_rocprim35transform_pair_of_input_iterators_tIiPiSB_NS8_12not_equal_toIiEEEESB_iNS8_4plusIiEEEE10hipError_tPvRmT1_T2_T3_mT4_P12ihipStream_tbEUlT_E0_NS1_11comp_targetILNS1_3genE10ELNS1_11target_archE1201ELNS1_3gpuE5ELNS1_3repE0EEENS1_30default_config_static_selectorELNS0_4arch9wavefront6targetE1EEEvSK_.num_named_barrier, 0
	.set _ZN7rocprim17ROCPRIM_400000_NS6detail17trampoline_kernelINS0_14default_configENS1_22reduce_config_selectorIiEEZNS1_11reduce_implILb1ES3_N6thrust23THRUST_200600_302600_NS11hip_rocprim35transform_pair_of_input_iterators_tIiPiSB_NS8_12not_equal_toIiEEEESB_iNS8_4plusIiEEEE10hipError_tPvRmT1_T2_T3_mT4_P12ihipStream_tbEUlT_E0_NS1_11comp_targetILNS1_3genE10ELNS1_11target_archE1201ELNS1_3gpuE5ELNS1_3repE0EEENS1_30default_config_static_selectorELNS0_4arch9wavefront6targetE1EEEvSK_.private_seg_size, 0
	.set _ZN7rocprim17ROCPRIM_400000_NS6detail17trampoline_kernelINS0_14default_configENS1_22reduce_config_selectorIiEEZNS1_11reduce_implILb1ES3_N6thrust23THRUST_200600_302600_NS11hip_rocprim35transform_pair_of_input_iterators_tIiPiSB_NS8_12not_equal_toIiEEEESB_iNS8_4plusIiEEEE10hipError_tPvRmT1_T2_T3_mT4_P12ihipStream_tbEUlT_E0_NS1_11comp_targetILNS1_3genE10ELNS1_11target_archE1201ELNS1_3gpuE5ELNS1_3repE0EEENS1_30default_config_static_selectorELNS0_4arch9wavefront6targetE1EEEvSK_.uses_vcc, 0
	.set _ZN7rocprim17ROCPRIM_400000_NS6detail17trampoline_kernelINS0_14default_configENS1_22reduce_config_selectorIiEEZNS1_11reduce_implILb1ES3_N6thrust23THRUST_200600_302600_NS11hip_rocprim35transform_pair_of_input_iterators_tIiPiSB_NS8_12not_equal_toIiEEEESB_iNS8_4plusIiEEEE10hipError_tPvRmT1_T2_T3_mT4_P12ihipStream_tbEUlT_E0_NS1_11comp_targetILNS1_3genE10ELNS1_11target_archE1201ELNS1_3gpuE5ELNS1_3repE0EEENS1_30default_config_static_selectorELNS0_4arch9wavefront6targetE1EEEvSK_.uses_flat_scratch, 0
	.set _ZN7rocprim17ROCPRIM_400000_NS6detail17trampoline_kernelINS0_14default_configENS1_22reduce_config_selectorIiEEZNS1_11reduce_implILb1ES3_N6thrust23THRUST_200600_302600_NS11hip_rocprim35transform_pair_of_input_iterators_tIiPiSB_NS8_12not_equal_toIiEEEESB_iNS8_4plusIiEEEE10hipError_tPvRmT1_T2_T3_mT4_P12ihipStream_tbEUlT_E0_NS1_11comp_targetILNS1_3genE10ELNS1_11target_archE1201ELNS1_3gpuE5ELNS1_3repE0EEENS1_30default_config_static_selectorELNS0_4arch9wavefront6targetE1EEEvSK_.has_dyn_sized_stack, 0
	.set _ZN7rocprim17ROCPRIM_400000_NS6detail17trampoline_kernelINS0_14default_configENS1_22reduce_config_selectorIiEEZNS1_11reduce_implILb1ES3_N6thrust23THRUST_200600_302600_NS11hip_rocprim35transform_pair_of_input_iterators_tIiPiSB_NS8_12not_equal_toIiEEEESB_iNS8_4plusIiEEEE10hipError_tPvRmT1_T2_T3_mT4_P12ihipStream_tbEUlT_E0_NS1_11comp_targetILNS1_3genE10ELNS1_11target_archE1201ELNS1_3gpuE5ELNS1_3repE0EEENS1_30default_config_static_selectorELNS0_4arch9wavefront6targetE1EEEvSK_.has_recursion, 0
	.set _ZN7rocprim17ROCPRIM_400000_NS6detail17trampoline_kernelINS0_14default_configENS1_22reduce_config_selectorIiEEZNS1_11reduce_implILb1ES3_N6thrust23THRUST_200600_302600_NS11hip_rocprim35transform_pair_of_input_iterators_tIiPiSB_NS8_12not_equal_toIiEEEESB_iNS8_4plusIiEEEE10hipError_tPvRmT1_T2_T3_mT4_P12ihipStream_tbEUlT_E0_NS1_11comp_targetILNS1_3genE10ELNS1_11target_archE1201ELNS1_3gpuE5ELNS1_3repE0EEENS1_30default_config_static_selectorELNS0_4arch9wavefront6targetE1EEEvSK_.has_indirect_call, 0
	.section	.AMDGPU.csdata,"",@progbits
; Kernel info:
; codeLenInByte = 0
; TotalNumSgprs: 4
; NumVgprs: 0
; ScratchSize: 0
; MemoryBound: 0
; FloatMode: 240
; IeeeMode: 1
; LDSByteSize: 0 bytes/workgroup (compile time only)
; SGPRBlocks: 0
; VGPRBlocks: 0
; NumSGPRsForWavesPerEU: 4
; NumVGPRsForWavesPerEU: 1
; Occupancy: 10
; WaveLimiterHint : 0
; COMPUTE_PGM_RSRC2:SCRATCH_EN: 0
; COMPUTE_PGM_RSRC2:USER_SGPR: 6
; COMPUTE_PGM_RSRC2:TRAP_HANDLER: 0
; COMPUTE_PGM_RSRC2:TGID_X_EN: 1
; COMPUTE_PGM_RSRC2:TGID_Y_EN: 0
; COMPUTE_PGM_RSRC2:TGID_Z_EN: 0
; COMPUTE_PGM_RSRC2:TIDIG_COMP_CNT: 0
	.section	.text._ZN7rocprim17ROCPRIM_400000_NS6detail17trampoline_kernelINS0_14default_configENS1_22reduce_config_selectorIiEEZNS1_11reduce_implILb1ES3_N6thrust23THRUST_200600_302600_NS11hip_rocprim35transform_pair_of_input_iterators_tIiPiSB_NS8_12not_equal_toIiEEEESB_iNS8_4plusIiEEEE10hipError_tPvRmT1_T2_T3_mT4_P12ihipStream_tbEUlT_E0_NS1_11comp_targetILNS1_3genE10ELNS1_11target_archE1200ELNS1_3gpuE4ELNS1_3repE0EEENS1_30default_config_static_selectorELNS0_4arch9wavefront6targetE1EEEvSK_,"axG",@progbits,_ZN7rocprim17ROCPRIM_400000_NS6detail17trampoline_kernelINS0_14default_configENS1_22reduce_config_selectorIiEEZNS1_11reduce_implILb1ES3_N6thrust23THRUST_200600_302600_NS11hip_rocprim35transform_pair_of_input_iterators_tIiPiSB_NS8_12not_equal_toIiEEEESB_iNS8_4plusIiEEEE10hipError_tPvRmT1_T2_T3_mT4_P12ihipStream_tbEUlT_E0_NS1_11comp_targetILNS1_3genE10ELNS1_11target_archE1200ELNS1_3gpuE4ELNS1_3repE0EEENS1_30default_config_static_selectorELNS0_4arch9wavefront6targetE1EEEvSK_,comdat
	.protected	_ZN7rocprim17ROCPRIM_400000_NS6detail17trampoline_kernelINS0_14default_configENS1_22reduce_config_selectorIiEEZNS1_11reduce_implILb1ES3_N6thrust23THRUST_200600_302600_NS11hip_rocprim35transform_pair_of_input_iterators_tIiPiSB_NS8_12not_equal_toIiEEEESB_iNS8_4plusIiEEEE10hipError_tPvRmT1_T2_T3_mT4_P12ihipStream_tbEUlT_E0_NS1_11comp_targetILNS1_3genE10ELNS1_11target_archE1200ELNS1_3gpuE4ELNS1_3repE0EEENS1_30default_config_static_selectorELNS0_4arch9wavefront6targetE1EEEvSK_ ; -- Begin function _ZN7rocprim17ROCPRIM_400000_NS6detail17trampoline_kernelINS0_14default_configENS1_22reduce_config_selectorIiEEZNS1_11reduce_implILb1ES3_N6thrust23THRUST_200600_302600_NS11hip_rocprim35transform_pair_of_input_iterators_tIiPiSB_NS8_12not_equal_toIiEEEESB_iNS8_4plusIiEEEE10hipError_tPvRmT1_T2_T3_mT4_P12ihipStream_tbEUlT_E0_NS1_11comp_targetILNS1_3genE10ELNS1_11target_archE1200ELNS1_3gpuE4ELNS1_3repE0EEENS1_30default_config_static_selectorELNS0_4arch9wavefront6targetE1EEEvSK_
	.globl	_ZN7rocprim17ROCPRIM_400000_NS6detail17trampoline_kernelINS0_14default_configENS1_22reduce_config_selectorIiEEZNS1_11reduce_implILb1ES3_N6thrust23THRUST_200600_302600_NS11hip_rocprim35transform_pair_of_input_iterators_tIiPiSB_NS8_12not_equal_toIiEEEESB_iNS8_4plusIiEEEE10hipError_tPvRmT1_T2_T3_mT4_P12ihipStream_tbEUlT_E0_NS1_11comp_targetILNS1_3genE10ELNS1_11target_archE1200ELNS1_3gpuE4ELNS1_3repE0EEENS1_30default_config_static_selectorELNS0_4arch9wavefront6targetE1EEEvSK_
	.p2align	8
	.type	_ZN7rocprim17ROCPRIM_400000_NS6detail17trampoline_kernelINS0_14default_configENS1_22reduce_config_selectorIiEEZNS1_11reduce_implILb1ES3_N6thrust23THRUST_200600_302600_NS11hip_rocprim35transform_pair_of_input_iterators_tIiPiSB_NS8_12not_equal_toIiEEEESB_iNS8_4plusIiEEEE10hipError_tPvRmT1_T2_T3_mT4_P12ihipStream_tbEUlT_E0_NS1_11comp_targetILNS1_3genE10ELNS1_11target_archE1200ELNS1_3gpuE4ELNS1_3repE0EEENS1_30default_config_static_selectorELNS0_4arch9wavefront6targetE1EEEvSK_,@function
_ZN7rocprim17ROCPRIM_400000_NS6detail17trampoline_kernelINS0_14default_configENS1_22reduce_config_selectorIiEEZNS1_11reduce_implILb1ES3_N6thrust23THRUST_200600_302600_NS11hip_rocprim35transform_pair_of_input_iterators_tIiPiSB_NS8_12not_equal_toIiEEEESB_iNS8_4plusIiEEEE10hipError_tPvRmT1_T2_T3_mT4_P12ihipStream_tbEUlT_E0_NS1_11comp_targetILNS1_3genE10ELNS1_11target_archE1200ELNS1_3gpuE4ELNS1_3repE0EEENS1_30default_config_static_selectorELNS0_4arch9wavefront6targetE1EEEvSK_: ; @_ZN7rocprim17ROCPRIM_400000_NS6detail17trampoline_kernelINS0_14default_configENS1_22reduce_config_selectorIiEEZNS1_11reduce_implILb1ES3_N6thrust23THRUST_200600_302600_NS11hip_rocprim35transform_pair_of_input_iterators_tIiPiSB_NS8_12not_equal_toIiEEEESB_iNS8_4plusIiEEEE10hipError_tPvRmT1_T2_T3_mT4_P12ihipStream_tbEUlT_E0_NS1_11comp_targetILNS1_3genE10ELNS1_11target_archE1200ELNS1_3gpuE4ELNS1_3repE0EEENS1_30default_config_static_selectorELNS0_4arch9wavefront6targetE1EEEvSK_
; %bb.0:
	.section	.rodata,"a",@progbits
	.p2align	6, 0x0
	.amdhsa_kernel _ZN7rocprim17ROCPRIM_400000_NS6detail17trampoline_kernelINS0_14default_configENS1_22reduce_config_selectorIiEEZNS1_11reduce_implILb1ES3_N6thrust23THRUST_200600_302600_NS11hip_rocprim35transform_pair_of_input_iterators_tIiPiSB_NS8_12not_equal_toIiEEEESB_iNS8_4plusIiEEEE10hipError_tPvRmT1_T2_T3_mT4_P12ihipStream_tbEUlT_E0_NS1_11comp_targetILNS1_3genE10ELNS1_11target_archE1200ELNS1_3gpuE4ELNS1_3repE0EEENS1_30default_config_static_selectorELNS0_4arch9wavefront6targetE1EEEvSK_
		.amdhsa_group_segment_fixed_size 0
		.amdhsa_private_segment_fixed_size 0
		.amdhsa_kernarg_size 72
		.amdhsa_user_sgpr_count 6
		.amdhsa_user_sgpr_private_segment_buffer 1
		.amdhsa_user_sgpr_dispatch_ptr 0
		.amdhsa_user_sgpr_queue_ptr 0
		.amdhsa_user_sgpr_kernarg_segment_ptr 1
		.amdhsa_user_sgpr_dispatch_id 0
		.amdhsa_user_sgpr_flat_scratch_init 0
		.amdhsa_user_sgpr_private_segment_size 0
		.amdhsa_uses_dynamic_stack 0
		.amdhsa_system_sgpr_private_segment_wavefront_offset 0
		.amdhsa_system_sgpr_workgroup_id_x 1
		.amdhsa_system_sgpr_workgroup_id_y 0
		.amdhsa_system_sgpr_workgroup_id_z 0
		.amdhsa_system_sgpr_workgroup_info 0
		.amdhsa_system_vgpr_workitem_id 0
		.amdhsa_next_free_vgpr 1
		.amdhsa_next_free_sgpr 0
		.amdhsa_reserve_vcc 0
		.amdhsa_reserve_flat_scratch 0
		.amdhsa_float_round_mode_32 0
		.amdhsa_float_round_mode_16_64 0
		.amdhsa_float_denorm_mode_32 3
		.amdhsa_float_denorm_mode_16_64 3
		.amdhsa_dx10_clamp 1
		.amdhsa_ieee_mode 1
		.amdhsa_fp16_overflow 0
		.amdhsa_exception_fp_ieee_invalid_op 0
		.amdhsa_exception_fp_denorm_src 0
		.amdhsa_exception_fp_ieee_div_zero 0
		.amdhsa_exception_fp_ieee_overflow 0
		.amdhsa_exception_fp_ieee_underflow 0
		.amdhsa_exception_fp_ieee_inexact 0
		.amdhsa_exception_int_div_zero 0
	.end_amdhsa_kernel
	.section	.text._ZN7rocprim17ROCPRIM_400000_NS6detail17trampoline_kernelINS0_14default_configENS1_22reduce_config_selectorIiEEZNS1_11reduce_implILb1ES3_N6thrust23THRUST_200600_302600_NS11hip_rocprim35transform_pair_of_input_iterators_tIiPiSB_NS8_12not_equal_toIiEEEESB_iNS8_4plusIiEEEE10hipError_tPvRmT1_T2_T3_mT4_P12ihipStream_tbEUlT_E0_NS1_11comp_targetILNS1_3genE10ELNS1_11target_archE1200ELNS1_3gpuE4ELNS1_3repE0EEENS1_30default_config_static_selectorELNS0_4arch9wavefront6targetE1EEEvSK_,"axG",@progbits,_ZN7rocprim17ROCPRIM_400000_NS6detail17trampoline_kernelINS0_14default_configENS1_22reduce_config_selectorIiEEZNS1_11reduce_implILb1ES3_N6thrust23THRUST_200600_302600_NS11hip_rocprim35transform_pair_of_input_iterators_tIiPiSB_NS8_12not_equal_toIiEEEESB_iNS8_4plusIiEEEE10hipError_tPvRmT1_T2_T3_mT4_P12ihipStream_tbEUlT_E0_NS1_11comp_targetILNS1_3genE10ELNS1_11target_archE1200ELNS1_3gpuE4ELNS1_3repE0EEENS1_30default_config_static_selectorELNS0_4arch9wavefront6targetE1EEEvSK_,comdat
.Lfunc_end926:
	.size	_ZN7rocprim17ROCPRIM_400000_NS6detail17trampoline_kernelINS0_14default_configENS1_22reduce_config_selectorIiEEZNS1_11reduce_implILb1ES3_N6thrust23THRUST_200600_302600_NS11hip_rocprim35transform_pair_of_input_iterators_tIiPiSB_NS8_12not_equal_toIiEEEESB_iNS8_4plusIiEEEE10hipError_tPvRmT1_T2_T3_mT4_P12ihipStream_tbEUlT_E0_NS1_11comp_targetILNS1_3genE10ELNS1_11target_archE1200ELNS1_3gpuE4ELNS1_3repE0EEENS1_30default_config_static_selectorELNS0_4arch9wavefront6targetE1EEEvSK_, .Lfunc_end926-_ZN7rocprim17ROCPRIM_400000_NS6detail17trampoline_kernelINS0_14default_configENS1_22reduce_config_selectorIiEEZNS1_11reduce_implILb1ES3_N6thrust23THRUST_200600_302600_NS11hip_rocprim35transform_pair_of_input_iterators_tIiPiSB_NS8_12not_equal_toIiEEEESB_iNS8_4plusIiEEEE10hipError_tPvRmT1_T2_T3_mT4_P12ihipStream_tbEUlT_E0_NS1_11comp_targetILNS1_3genE10ELNS1_11target_archE1200ELNS1_3gpuE4ELNS1_3repE0EEENS1_30default_config_static_selectorELNS0_4arch9wavefront6targetE1EEEvSK_
                                        ; -- End function
	.set _ZN7rocprim17ROCPRIM_400000_NS6detail17trampoline_kernelINS0_14default_configENS1_22reduce_config_selectorIiEEZNS1_11reduce_implILb1ES3_N6thrust23THRUST_200600_302600_NS11hip_rocprim35transform_pair_of_input_iterators_tIiPiSB_NS8_12not_equal_toIiEEEESB_iNS8_4plusIiEEEE10hipError_tPvRmT1_T2_T3_mT4_P12ihipStream_tbEUlT_E0_NS1_11comp_targetILNS1_3genE10ELNS1_11target_archE1200ELNS1_3gpuE4ELNS1_3repE0EEENS1_30default_config_static_selectorELNS0_4arch9wavefront6targetE1EEEvSK_.num_vgpr, 0
	.set _ZN7rocprim17ROCPRIM_400000_NS6detail17trampoline_kernelINS0_14default_configENS1_22reduce_config_selectorIiEEZNS1_11reduce_implILb1ES3_N6thrust23THRUST_200600_302600_NS11hip_rocprim35transform_pair_of_input_iterators_tIiPiSB_NS8_12not_equal_toIiEEEESB_iNS8_4plusIiEEEE10hipError_tPvRmT1_T2_T3_mT4_P12ihipStream_tbEUlT_E0_NS1_11comp_targetILNS1_3genE10ELNS1_11target_archE1200ELNS1_3gpuE4ELNS1_3repE0EEENS1_30default_config_static_selectorELNS0_4arch9wavefront6targetE1EEEvSK_.num_agpr, 0
	.set _ZN7rocprim17ROCPRIM_400000_NS6detail17trampoline_kernelINS0_14default_configENS1_22reduce_config_selectorIiEEZNS1_11reduce_implILb1ES3_N6thrust23THRUST_200600_302600_NS11hip_rocprim35transform_pair_of_input_iterators_tIiPiSB_NS8_12not_equal_toIiEEEESB_iNS8_4plusIiEEEE10hipError_tPvRmT1_T2_T3_mT4_P12ihipStream_tbEUlT_E0_NS1_11comp_targetILNS1_3genE10ELNS1_11target_archE1200ELNS1_3gpuE4ELNS1_3repE0EEENS1_30default_config_static_selectorELNS0_4arch9wavefront6targetE1EEEvSK_.numbered_sgpr, 0
	.set _ZN7rocprim17ROCPRIM_400000_NS6detail17trampoline_kernelINS0_14default_configENS1_22reduce_config_selectorIiEEZNS1_11reduce_implILb1ES3_N6thrust23THRUST_200600_302600_NS11hip_rocprim35transform_pair_of_input_iterators_tIiPiSB_NS8_12not_equal_toIiEEEESB_iNS8_4plusIiEEEE10hipError_tPvRmT1_T2_T3_mT4_P12ihipStream_tbEUlT_E0_NS1_11comp_targetILNS1_3genE10ELNS1_11target_archE1200ELNS1_3gpuE4ELNS1_3repE0EEENS1_30default_config_static_selectorELNS0_4arch9wavefront6targetE1EEEvSK_.num_named_barrier, 0
	.set _ZN7rocprim17ROCPRIM_400000_NS6detail17trampoline_kernelINS0_14default_configENS1_22reduce_config_selectorIiEEZNS1_11reduce_implILb1ES3_N6thrust23THRUST_200600_302600_NS11hip_rocprim35transform_pair_of_input_iterators_tIiPiSB_NS8_12not_equal_toIiEEEESB_iNS8_4plusIiEEEE10hipError_tPvRmT1_T2_T3_mT4_P12ihipStream_tbEUlT_E0_NS1_11comp_targetILNS1_3genE10ELNS1_11target_archE1200ELNS1_3gpuE4ELNS1_3repE0EEENS1_30default_config_static_selectorELNS0_4arch9wavefront6targetE1EEEvSK_.private_seg_size, 0
	.set _ZN7rocprim17ROCPRIM_400000_NS6detail17trampoline_kernelINS0_14default_configENS1_22reduce_config_selectorIiEEZNS1_11reduce_implILb1ES3_N6thrust23THRUST_200600_302600_NS11hip_rocprim35transform_pair_of_input_iterators_tIiPiSB_NS8_12not_equal_toIiEEEESB_iNS8_4plusIiEEEE10hipError_tPvRmT1_T2_T3_mT4_P12ihipStream_tbEUlT_E0_NS1_11comp_targetILNS1_3genE10ELNS1_11target_archE1200ELNS1_3gpuE4ELNS1_3repE0EEENS1_30default_config_static_selectorELNS0_4arch9wavefront6targetE1EEEvSK_.uses_vcc, 0
	.set _ZN7rocprim17ROCPRIM_400000_NS6detail17trampoline_kernelINS0_14default_configENS1_22reduce_config_selectorIiEEZNS1_11reduce_implILb1ES3_N6thrust23THRUST_200600_302600_NS11hip_rocprim35transform_pair_of_input_iterators_tIiPiSB_NS8_12not_equal_toIiEEEESB_iNS8_4plusIiEEEE10hipError_tPvRmT1_T2_T3_mT4_P12ihipStream_tbEUlT_E0_NS1_11comp_targetILNS1_3genE10ELNS1_11target_archE1200ELNS1_3gpuE4ELNS1_3repE0EEENS1_30default_config_static_selectorELNS0_4arch9wavefront6targetE1EEEvSK_.uses_flat_scratch, 0
	.set _ZN7rocprim17ROCPRIM_400000_NS6detail17trampoline_kernelINS0_14default_configENS1_22reduce_config_selectorIiEEZNS1_11reduce_implILb1ES3_N6thrust23THRUST_200600_302600_NS11hip_rocprim35transform_pair_of_input_iterators_tIiPiSB_NS8_12not_equal_toIiEEEESB_iNS8_4plusIiEEEE10hipError_tPvRmT1_T2_T3_mT4_P12ihipStream_tbEUlT_E0_NS1_11comp_targetILNS1_3genE10ELNS1_11target_archE1200ELNS1_3gpuE4ELNS1_3repE0EEENS1_30default_config_static_selectorELNS0_4arch9wavefront6targetE1EEEvSK_.has_dyn_sized_stack, 0
	.set _ZN7rocprim17ROCPRIM_400000_NS6detail17trampoline_kernelINS0_14default_configENS1_22reduce_config_selectorIiEEZNS1_11reduce_implILb1ES3_N6thrust23THRUST_200600_302600_NS11hip_rocprim35transform_pair_of_input_iterators_tIiPiSB_NS8_12not_equal_toIiEEEESB_iNS8_4plusIiEEEE10hipError_tPvRmT1_T2_T3_mT4_P12ihipStream_tbEUlT_E0_NS1_11comp_targetILNS1_3genE10ELNS1_11target_archE1200ELNS1_3gpuE4ELNS1_3repE0EEENS1_30default_config_static_selectorELNS0_4arch9wavefront6targetE1EEEvSK_.has_recursion, 0
	.set _ZN7rocprim17ROCPRIM_400000_NS6detail17trampoline_kernelINS0_14default_configENS1_22reduce_config_selectorIiEEZNS1_11reduce_implILb1ES3_N6thrust23THRUST_200600_302600_NS11hip_rocprim35transform_pair_of_input_iterators_tIiPiSB_NS8_12not_equal_toIiEEEESB_iNS8_4plusIiEEEE10hipError_tPvRmT1_T2_T3_mT4_P12ihipStream_tbEUlT_E0_NS1_11comp_targetILNS1_3genE10ELNS1_11target_archE1200ELNS1_3gpuE4ELNS1_3repE0EEENS1_30default_config_static_selectorELNS0_4arch9wavefront6targetE1EEEvSK_.has_indirect_call, 0
	.section	.AMDGPU.csdata,"",@progbits
; Kernel info:
; codeLenInByte = 0
; TotalNumSgprs: 4
; NumVgprs: 0
; ScratchSize: 0
; MemoryBound: 0
; FloatMode: 240
; IeeeMode: 1
; LDSByteSize: 0 bytes/workgroup (compile time only)
; SGPRBlocks: 0
; VGPRBlocks: 0
; NumSGPRsForWavesPerEU: 4
; NumVGPRsForWavesPerEU: 1
; Occupancy: 10
; WaveLimiterHint : 0
; COMPUTE_PGM_RSRC2:SCRATCH_EN: 0
; COMPUTE_PGM_RSRC2:USER_SGPR: 6
; COMPUTE_PGM_RSRC2:TRAP_HANDLER: 0
; COMPUTE_PGM_RSRC2:TGID_X_EN: 1
; COMPUTE_PGM_RSRC2:TGID_Y_EN: 0
; COMPUTE_PGM_RSRC2:TGID_Z_EN: 0
; COMPUTE_PGM_RSRC2:TIDIG_COMP_CNT: 0
	.section	.text._ZN7rocprim17ROCPRIM_400000_NS6detail17trampoline_kernelINS0_14default_configENS1_22reduce_config_selectorIiEEZNS1_11reduce_implILb1ES3_N6thrust23THRUST_200600_302600_NS11hip_rocprim35transform_pair_of_input_iterators_tIiPiSB_NS8_12not_equal_toIiEEEESB_iNS8_4plusIiEEEE10hipError_tPvRmT1_T2_T3_mT4_P12ihipStream_tbEUlT_E0_NS1_11comp_targetILNS1_3genE9ELNS1_11target_archE1100ELNS1_3gpuE3ELNS1_3repE0EEENS1_30default_config_static_selectorELNS0_4arch9wavefront6targetE1EEEvSK_,"axG",@progbits,_ZN7rocprim17ROCPRIM_400000_NS6detail17trampoline_kernelINS0_14default_configENS1_22reduce_config_selectorIiEEZNS1_11reduce_implILb1ES3_N6thrust23THRUST_200600_302600_NS11hip_rocprim35transform_pair_of_input_iterators_tIiPiSB_NS8_12not_equal_toIiEEEESB_iNS8_4plusIiEEEE10hipError_tPvRmT1_T2_T3_mT4_P12ihipStream_tbEUlT_E0_NS1_11comp_targetILNS1_3genE9ELNS1_11target_archE1100ELNS1_3gpuE3ELNS1_3repE0EEENS1_30default_config_static_selectorELNS0_4arch9wavefront6targetE1EEEvSK_,comdat
	.protected	_ZN7rocprim17ROCPRIM_400000_NS6detail17trampoline_kernelINS0_14default_configENS1_22reduce_config_selectorIiEEZNS1_11reduce_implILb1ES3_N6thrust23THRUST_200600_302600_NS11hip_rocprim35transform_pair_of_input_iterators_tIiPiSB_NS8_12not_equal_toIiEEEESB_iNS8_4plusIiEEEE10hipError_tPvRmT1_T2_T3_mT4_P12ihipStream_tbEUlT_E0_NS1_11comp_targetILNS1_3genE9ELNS1_11target_archE1100ELNS1_3gpuE3ELNS1_3repE0EEENS1_30default_config_static_selectorELNS0_4arch9wavefront6targetE1EEEvSK_ ; -- Begin function _ZN7rocprim17ROCPRIM_400000_NS6detail17trampoline_kernelINS0_14default_configENS1_22reduce_config_selectorIiEEZNS1_11reduce_implILb1ES3_N6thrust23THRUST_200600_302600_NS11hip_rocprim35transform_pair_of_input_iterators_tIiPiSB_NS8_12not_equal_toIiEEEESB_iNS8_4plusIiEEEE10hipError_tPvRmT1_T2_T3_mT4_P12ihipStream_tbEUlT_E0_NS1_11comp_targetILNS1_3genE9ELNS1_11target_archE1100ELNS1_3gpuE3ELNS1_3repE0EEENS1_30default_config_static_selectorELNS0_4arch9wavefront6targetE1EEEvSK_
	.globl	_ZN7rocprim17ROCPRIM_400000_NS6detail17trampoline_kernelINS0_14default_configENS1_22reduce_config_selectorIiEEZNS1_11reduce_implILb1ES3_N6thrust23THRUST_200600_302600_NS11hip_rocprim35transform_pair_of_input_iterators_tIiPiSB_NS8_12not_equal_toIiEEEESB_iNS8_4plusIiEEEE10hipError_tPvRmT1_T2_T3_mT4_P12ihipStream_tbEUlT_E0_NS1_11comp_targetILNS1_3genE9ELNS1_11target_archE1100ELNS1_3gpuE3ELNS1_3repE0EEENS1_30default_config_static_selectorELNS0_4arch9wavefront6targetE1EEEvSK_
	.p2align	8
	.type	_ZN7rocprim17ROCPRIM_400000_NS6detail17trampoline_kernelINS0_14default_configENS1_22reduce_config_selectorIiEEZNS1_11reduce_implILb1ES3_N6thrust23THRUST_200600_302600_NS11hip_rocprim35transform_pair_of_input_iterators_tIiPiSB_NS8_12not_equal_toIiEEEESB_iNS8_4plusIiEEEE10hipError_tPvRmT1_T2_T3_mT4_P12ihipStream_tbEUlT_E0_NS1_11comp_targetILNS1_3genE9ELNS1_11target_archE1100ELNS1_3gpuE3ELNS1_3repE0EEENS1_30default_config_static_selectorELNS0_4arch9wavefront6targetE1EEEvSK_,@function
_ZN7rocprim17ROCPRIM_400000_NS6detail17trampoline_kernelINS0_14default_configENS1_22reduce_config_selectorIiEEZNS1_11reduce_implILb1ES3_N6thrust23THRUST_200600_302600_NS11hip_rocprim35transform_pair_of_input_iterators_tIiPiSB_NS8_12not_equal_toIiEEEESB_iNS8_4plusIiEEEE10hipError_tPvRmT1_T2_T3_mT4_P12ihipStream_tbEUlT_E0_NS1_11comp_targetILNS1_3genE9ELNS1_11target_archE1100ELNS1_3gpuE3ELNS1_3repE0EEENS1_30default_config_static_selectorELNS0_4arch9wavefront6targetE1EEEvSK_: ; @_ZN7rocprim17ROCPRIM_400000_NS6detail17trampoline_kernelINS0_14default_configENS1_22reduce_config_selectorIiEEZNS1_11reduce_implILb1ES3_N6thrust23THRUST_200600_302600_NS11hip_rocprim35transform_pair_of_input_iterators_tIiPiSB_NS8_12not_equal_toIiEEEESB_iNS8_4plusIiEEEE10hipError_tPvRmT1_T2_T3_mT4_P12ihipStream_tbEUlT_E0_NS1_11comp_targetILNS1_3genE9ELNS1_11target_archE1100ELNS1_3gpuE3ELNS1_3repE0EEENS1_30default_config_static_selectorELNS0_4arch9wavefront6targetE1EEEvSK_
; %bb.0:
	.section	.rodata,"a",@progbits
	.p2align	6, 0x0
	.amdhsa_kernel _ZN7rocprim17ROCPRIM_400000_NS6detail17trampoline_kernelINS0_14default_configENS1_22reduce_config_selectorIiEEZNS1_11reduce_implILb1ES3_N6thrust23THRUST_200600_302600_NS11hip_rocprim35transform_pair_of_input_iterators_tIiPiSB_NS8_12not_equal_toIiEEEESB_iNS8_4plusIiEEEE10hipError_tPvRmT1_T2_T3_mT4_P12ihipStream_tbEUlT_E0_NS1_11comp_targetILNS1_3genE9ELNS1_11target_archE1100ELNS1_3gpuE3ELNS1_3repE0EEENS1_30default_config_static_selectorELNS0_4arch9wavefront6targetE1EEEvSK_
		.amdhsa_group_segment_fixed_size 0
		.amdhsa_private_segment_fixed_size 0
		.amdhsa_kernarg_size 72
		.amdhsa_user_sgpr_count 6
		.amdhsa_user_sgpr_private_segment_buffer 1
		.amdhsa_user_sgpr_dispatch_ptr 0
		.amdhsa_user_sgpr_queue_ptr 0
		.amdhsa_user_sgpr_kernarg_segment_ptr 1
		.amdhsa_user_sgpr_dispatch_id 0
		.amdhsa_user_sgpr_flat_scratch_init 0
		.amdhsa_user_sgpr_private_segment_size 0
		.amdhsa_uses_dynamic_stack 0
		.amdhsa_system_sgpr_private_segment_wavefront_offset 0
		.amdhsa_system_sgpr_workgroup_id_x 1
		.amdhsa_system_sgpr_workgroup_id_y 0
		.amdhsa_system_sgpr_workgroup_id_z 0
		.amdhsa_system_sgpr_workgroup_info 0
		.amdhsa_system_vgpr_workitem_id 0
		.amdhsa_next_free_vgpr 1
		.amdhsa_next_free_sgpr 0
		.amdhsa_reserve_vcc 0
		.amdhsa_reserve_flat_scratch 0
		.amdhsa_float_round_mode_32 0
		.amdhsa_float_round_mode_16_64 0
		.amdhsa_float_denorm_mode_32 3
		.amdhsa_float_denorm_mode_16_64 3
		.amdhsa_dx10_clamp 1
		.amdhsa_ieee_mode 1
		.amdhsa_fp16_overflow 0
		.amdhsa_exception_fp_ieee_invalid_op 0
		.amdhsa_exception_fp_denorm_src 0
		.amdhsa_exception_fp_ieee_div_zero 0
		.amdhsa_exception_fp_ieee_overflow 0
		.amdhsa_exception_fp_ieee_underflow 0
		.amdhsa_exception_fp_ieee_inexact 0
		.amdhsa_exception_int_div_zero 0
	.end_amdhsa_kernel
	.section	.text._ZN7rocprim17ROCPRIM_400000_NS6detail17trampoline_kernelINS0_14default_configENS1_22reduce_config_selectorIiEEZNS1_11reduce_implILb1ES3_N6thrust23THRUST_200600_302600_NS11hip_rocprim35transform_pair_of_input_iterators_tIiPiSB_NS8_12not_equal_toIiEEEESB_iNS8_4plusIiEEEE10hipError_tPvRmT1_T2_T3_mT4_P12ihipStream_tbEUlT_E0_NS1_11comp_targetILNS1_3genE9ELNS1_11target_archE1100ELNS1_3gpuE3ELNS1_3repE0EEENS1_30default_config_static_selectorELNS0_4arch9wavefront6targetE1EEEvSK_,"axG",@progbits,_ZN7rocprim17ROCPRIM_400000_NS6detail17trampoline_kernelINS0_14default_configENS1_22reduce_config_selectorIiEEZNS1_11reduce_implILb1ES3_N6thrust23THRUST_200600_302600_NS11hip_rocprim35transform_pair_of_input_iterators_tIiPiSB_NS8_12not_equal_toIiEEEESB_iNS8_4plusIiEEEE10hipError_tPvRmT1_T2_T3_mT4_P12ihipStream_tbEUlT_E0_NS1_11comp_targetILNS1_3genE9ELNS1_11target_archE1100ELNS1_3gpuE3ELNS1_3repE0EEENS1_30default_config_static_selectorELNS0_4arch9wavefront6targetE1EEEvSK_,comdat
.Lfunc_end927:
	.size	_ZN7rocprim17ROCPRIM_400000_NS6detail17trampoline_kernelINS0_14default_configENS1_22reduce_config_selectorIiEEZNS1_11reduce_implILb1ES3_N6thrust23THRUST_200600_302600_NS11hip_rocprim35transform_pair_of_input_iterators_tIiPiSB_NS8_12not_equal_toIiEEEESB_iNS8_4plusIiEEEE10hipError_tPvRmT1_T2_T3_mT4_P12ihipStream_tbEUlT_E0_NS1_11comp_targetILNS1_3genE9ELNS1_11target_archE1100ELNS1_3gpuE3ELNS1_3repE0EEENS1_30default_config_static_selectorELNS0_4arch9wavefront6targetE1EEEvSK_, .Lfunc_end927-_ZN7rocprim17ROCPRIM_400000_NS6detail17trampoline_kernelINS0_14default_configENS1_22reduce_config_selectorIiEEZNS1_11reduce_implILb1ES3_N6thrust23THRUST_200600_302600_NS11hip_rocprim35transform_pair_of_input_iterators_tIiPiSB_NS8_12not_equal_toIiEEEESB_iNS8_4plusIiEEEE10hipError_tPvRmT1_T2_T3_mT4_P12ihipStream_tbEUlT_E0_NS1_11comp_targetILNS1_3genE9ELNS1_11target_archE1100ELNS1_3gpuE3ELNS1_3repE0EEENS1_30default_config_static_selectorELNS0_4arch9wavefront6targetE1EEEvSK_
                                        ; -- End function
	.set _ZN7rocprim17ROCPRIM_400000_NS6detail17trampoline_kernelINS0_14default_configENS1_22reduce_config_selectorIiEEZNS1_11reduce_implILb1ES3_N6thrust23THRUST_200600_302600_NS11hip_rocprim35transform_pair_of_input_iterators_tIiPiSB_NS8_12not_equal_toIiEEEESB_iNS8_4plusIiEEEE10hipError_tPvRmT1_T2_T3_mT4_P12ihipStream_tbEUlT_E0_NS1_11comp_targetILNS1_3genE9ELNS1_11target_archE1100ELNS1_3gpuE3ELNS1_3repE0EEENS1_30default_config_static_selectorELNS0_4arch9wavefront6targetE1EEEvSK_.num_vgpr, 0
	.set _ZN7rocprim17ROCPRIM_400000_NS6detail17trampoline_kernelINS0_14default_configENS1_22reduce_config_selectorIiEEZNS1_11reduce_implILb1ES3_N6thrust23THRUST_200600_302600_NS11hip_rocprim35transform_pair_of_input_iterators_tIiPiSB_NS8_12not_equal_toIiEEEESB_iNS8_4plusIiEEEE10hipError_tPvRmT1_T2_T3_mT4_P12ihipStream_tbEUlT_E0_NS1_11comp_targetILNS1_3genE9ELNS1_11target_archE1100ELNS1_3gpuE3ELNS1_3repE0EEENS1_30default_config_static_selectorELNS0_4arch9wavefront6targetE1EEEvSK_.num_agpr, 0
	.set _ZN7rocprim17ROCPRIM_400000_NS6detail17trampoline_kernelINS0_14default_configENS1_22reduce_config_selectorIiEEZNS1_11reduce_implILb1ES3_N6thrust23THRUST_200600_302600_NS11hip_rocprim35transform_pair_of_input_iterators_tIiPiSB_NS8_12not_equal_toIiEEEESB_iNS8_4plusIiEEEE10hipError_tPvRmT1_T2_T3_mT4_P12ihipStream_tbEUlT_E0_NS1_11comp_targetILNS1_3genE9ELNS1_11target_archE1100ELNS1_3gpuE3ELNS1_3repE0EEENS1_30default_config_static_selectorELNS0_4arch9wavefront6targetE1EEEvSK_.numbered_sgpr, 0
	.set _ZN7rocprim17ROCPRIM_400000_NS6detail17trampoline_kernelINS0_14default_configENS1_22reduce_config_selectorIiEEZNS1_11reduce_implILb1ES3_N6thrust23THRUST_200600_302600_NS11hip_rocprim35transform_pair_of_input_iterators_tIiPiSB_NS8_12not_equal_toIiEEEESB_iNS8_4plusIiEEEE10hipError_tPvRmT1_T2_T3_mT4_P12ihipStream_tbEUlT_E0_NS1_11comp_targetILNS1_3genE9ELNS1_11target_archE1100ELNS1_3gpuE3ELNS1_3repE0EEENS1_30default_config_static_selectorELNS0_4arch9wavefront6targetE1EEEvSK_.num_named_barrier, 0
	.set _ZN7rocprim17ROCPRIM_400000_NS6detail17trampoline_kernelINS0_14default_configENS1_22reduce_config_selectorIiEEZNS1_11reduce_implILb1ES3_N6thrust23THRUST_200600_302600_NS11hip_rocprim35transform_pair_of_input_iterators_tIiPiSB_NS8_12not_equal_toIiEEEESB_iNS8_4plusIiEEEE10hipError_tPvRmT1_T2_T3_mT4_P12ihipStream_tbEUlT_E0_NS1_11comp_targetILNS1_3genE9ELNS1_11target_archE1100ELNS1_3gpuE3ELNS1_3repE0EEENS1_30default_config_static_selectorELNS0_4arch9wavefront6targetE1EEEvSK_.private_seg_size, 0
	.set _ZN7rocprim17ROCPRIM_400000_NS6detail17trampoline_kernelINS0_14default_configENS1_22reduce_config_selectorIiEEZNS1_11reduce_implILb1ES3_N6thrust23THRUST_200600_302600_NS11hip_rocprim35transform_pair_of_input_iterators_tIiPiSB_NS8_12not_equal_toIiEEEESB_iNS8_4plusIiEEEE10hipError_tPvRmT1_T2_T3_mT4_P12ihipStream_tbEUlT_E0_NS1_11comp_targetILNS1_3genE9ELNS1_11target_archE1100ELNS1_3gpuE3ELNS1_3repE0EEENS1_30default_config_static_selectorELNS0_4arch9wavefront6targetE1EEEvSK_.uses_vcc, 0
	.set _ZN7rocprim17ROCPRIM_400000_NS6detail17trampoline_kernelINS0_14default_configENS1_22reduce_config_selectorIiEEZNS1_11reduce_implILb1ES3_N6thrust23THRUST_200600_302600_NS11hip_rocprim35transform_pair_of_input_iterators_tIiPiSB_NS8_12not_equal_toIiEEEESB_iNS8_4plusIiEEEE10hipError_tPvRmT1_T2_T3_mT4_P12ihipStream_tbEUlT_E0_NS1_11comp_targetILNS1_3genE9ELNS1_11target_archE1100ELNS1_3gpuE3ELNS1_3repE0EEENS1_30default_config_static_selectorELNS0_4arch9wavefront6targetE1EEEvSK_.uses_flat_scratch, 0
	.set _ZN7rocprim17ROCPRIM_400000_NS6detail17trampoline_kernelINS0_14default_configENS1_22reduce_config_selectorIiEEZNS1_11reduce_implILb1ES3_N6thrust23THRUST_200600_302600_NS11hip_rocprim35transform_pair_of_input_iterators_tIiPiSB_NS8_12not_equal_toIiEEEESB_iNS8_4plusIiEEEE10hipError_tPvRmT1_T2_T3_mT4_P12ihipStream_tbEUlT_E0_NS1_11comp_targetILNS1_3genE9ELNS1_11target_archE1100ELNS1_3gpuE3ELNS1_3repE0EEENS1_30default_config_static_selectorELNS0_4arch9wavefront6targetE1EEEvSK_.has_dyn_sized_stack, 0
	.set _ZN7rocprim17ROCPRIM_400000_NS6detail17trampoline_kernelINS0_14default_configENS1_22reduce_config_selectorIiEEZNS1_11reduce_implILb1ES3_N6thrust23THRUST_200600_302600_NS11hip_rocprim35transform_pair_of_input_iterators_tIiPiSB_NS8_12not_equal_toIiEEEESB_iNS8_4plusIiEEEE10hipError_tPvRmT1_T2_T3_mT4_P12ihipStream_tbEUlT_E0_NS1_11comp_targetILNS1_3genE9ELNS1_11target_archE1100ELNS1_3gpuE3ELNS1_3repE0EEENS1_30default_config_static_selectorELNS0_4arch9wavefront6targetE1EEEvSK_.has_recursion, 0
	.set _ZN7rocprim17ROCPRIM_400000_NS6detail17trampoline_kernelINS0_14default_configENS1_22reduce_config_selectorIiEEZNS1_11reduce_implILb1ES3_N6thrust23THRUST_200600_302600_NS11hip_rocprim35transform_pair_of_input_iterators_tIiPiSB_NS8_12not_equal_toIiEEEESB_iNS8_4plusIiEEEE10hipError_tPvRmT1_T2_T3_mT4_P12ihipStream_tbEUlT_E0_NS1_11comp_targetILNS1_3genE9ELNS1_11target_archE1100ELNS1_3gpuE3ELNS1_3repE0EEENS1_30default_config_static_selectorELNS0_4arch9wavefront6targetE1EEEvSK_.has_indirect_call, 0
	.section	.AMDGPU.csdata,"",@progbits
; Kernel info:
; codeLenInByte = 0
; TotalNumSgprs: 4
; NumVgprs: 0
; ScratchSize: 0
; MemoryBound: 0
; FloatMode: 240
; IeeeMode: 1
; LDSByteSize: 0 bytes/workgroup (compile time only)
; SGPRBlocks: 0
; VGPRBlocks: 0
; NumSGPRsForWavesPerEU: 4
; NumVGPRsForWavesPerEU: 1
; Occupancy: 10
; WaveLimiterHint : 0
; COMPUTE_PGM_RSRC2:SCRATCH_EN: 0
; COMPUTE_PGM_RSRC2:USER_SGPR: 6
; COMPUTE_PGM_RSRC2:TRAP_HANDLER: 0
; COMPUTE_PGM_RSRC2:TGID_X_EN: 1
; COMPUTE_PGM_RSRC2:TGID_Y_EN: 0
; COMPUTE_PGM_RSRC2:TGID_Z_EN: 0
; COMPUTE_PGM_RSRC2:TIDIG_COMP_CNT: 0
	.section	.text._ZN7rocprim17ROCPRIM_400000_NS6detail17trampoline_kernelINS0_14default_configENS1_22reduce_config_selectorIiEEZNS1_11reduce_implILb1ES3_N6thrust23THRUST_200600_302600_NS11hip_rocprim35transform_pair_of_input_iterators_tIiPiSB_NS8_12not_equal_toIiEEEESB_iNS8_4plusIiEEEE10hipError_tPvRmT1_T2_T3_mT4_P12ihipStream_tbEUlT_E0_NS1_11comp_targetILNS1_3genE8ELNS1_11target_archE1030ELNS1_3gpuE2ELNS1_3repE0EEENS1_30default_config_static_selectorELNS0_4arch9wavefront6targetE1EEEvSK_,"axG",@progbits,_ZN7rocprim17ROCPRIM_400000_NS6detail17trampoline_kernelINS0_14default_configENS1_22reduce_config_selectorIiEEZNS1_11reduce_implILb1ES3_N6thrust23THRUST_200600_302600_NS11hip_rocprim35transform_pair_of_input_iterators_tIiPiSB_NS8_12not_equal_toIiEEEESB_iNS8_4plusIiEEEE10hipError_tPvRmT1_T2_T3_mT4_P12ihipStream_tbEUlT_E0_NS1_11comp_targetILNS1_3genE8ELNS1_11target_archE1030ELNS1_3gpuE2ELNS1_3repE0EEENS1_30default_config_static_selectorELNS0_4arch9wavefront6targetE1EEEvSK_,comdat
	.protected	_ZN7rocprim17ROCPRIM_400000_NS6detail17trampoline_kernelINS0_14default_configENS1_22reduce_config_selectorIiEEZNS1_11reduce_implILb1ES3_N6thrust23THRUST_200600_302600_NS11hip_rocprim35transform_pair_of_input_iterators_tIiPiSB_NS8_12not_equal_toIiEEEESB_iNS8_4plusIiEEEE10hipError_tPvRmT1_T2_T3_mT4_P12ihipStream_tbEUlT_E0_NS1_11comp_targetILNS1_3genE8ELNS1_11target_archE1030ELNS1_3gpuE2ELNS1_3repE0EEENS1_30default_config_static_selectorELNS0_4arch9wavefront6targetE1EEEvSK_ ; -- Begin function _ZN7rocprim17ROCPRIM_400000_NS6detail17trampoline_kernelINS0_14default_configENS1_22reduce_config_selectorIiEEZNS1_11reduce_implILb1ES3_N6thrust23THRUST_200600_302600_NS11hip_rocprim35transform_pair_of_input_iterators_tIiPiSB_NS8_12not_equal_toIiEEEESB_iNS8_4plusIiEEEE10hipError_tPvRmT1_T2_T3_mT4_P12ihipStream_tbEUlT_E0_NS1_11comp_targetILNS1_3genE8ELNS1_11target_archE1030ELNS1_3gpuE2ELNS1_3repE0EEENS1_30default_config_static_selectorELNS0_4arch9wavefront6targetE1EEEvSK_
	.globl	_ZN7rocprim17ROCPRIM_400000_NS6detail17trampoline_kernelINS0_14default_configENS1_22reduce_config_selectorIiEEZNS1_11reduce_implILb1ES3_N6thrust23THRUST_200600_302600_NS11hip_rocprim35transform_pair_of_input_iterators_tIiPiSB_NS8_12not_equal_toIiEEEESB_iNS8_4plusIiEEEE10hipError_tPvRmT1_T2_T3_mT4_P12ihipStream_tbEUlT_E0_NS1_11comp_targetILNS1_3genE8ELNS1_11target_archE1030ELNS1_3gpuE2ELNS1_3repE0EEENS1_30default_config_static_selectorELNS0_4arch9wavefront6targetE1EEEvSK_
	.p2align	8
	.type	_ZN7rocprim17ROCPRIM_400000_NS6detail17trampoline_kernelINS0_14default_configENS1_22reduce_config_selectorIiEEZNS1_11reduce_implILb1ES3_N6thrust23THRUST_200600_302600_NS11hip_rocprim35transform_pair_of_input_iterators_tIiPiSB_NS8_12not_equal_toIiEEEESB_iNS8_4plusIiEEEE10hipError_tPvRmT1_T2_T3_mT4_P12ihipStream_tbEUlT_E0_NS1_11comp_targetILNS1_3genE8ELNS1_11target_archE1030ELNS1_3gpuE2ELNS1_3repE0EEENS1_30default_config_static_selectorELNS0_4arch9wavefront6targetE1EEEvSK_,@function
_ZN7rocprim17ROCPRIM_400000_NS6detail17trampoline_kernelINS0_14default_configENS1_22reduce_config_selectorIiEEZNS1_11reduce_implILb1ES3_N6thrust23THRUST_200600_302600_NS11hip_rocprim35transform_pair_of_input_iterators_tIiPiSB_NS8_12not_equal_toIiEEEESB_iNS8_4plusIiEEEE10hipError_tPvRmT1_T2_T3_mT4_P12ihipStream_tbEUlT_E0_NS1_11comp_targetILNS1_3genE8ELNS1_11target_archE1030ELNS1_3gpuE2ELNS1_3repE0EEENS1_30default_config_static_selectorELNS0_4arch9wavefront6targetE1EEEvSK_: ; @_ZN7rocprim17ROCPRIM_400000_NS6detail17trampoline_kernelINS0_14default_configENS1_22reduce_config_selectorIiEEZNS1_11reduce_implILb1ES3_N6thrust23THRUST_200600_302600_NS11hip_rocprim35transform_pair_of_input_iterators_tIiPiSB_NS8_12not_equal_toIiEEEESB_iNS8_4plusIiEEEE10hipError_tPvRmT1_T2_T3_mT4_P12ihipStream_tbEUlT_E0_NS1_11comp_targetILNS1_3genE8ELNS1_11target_archE1030ELNS1_3gpuE2ELNS1_3repE0EEENS1_30default_config_static_selectorELNS0_4arch9wavefront6targetE1EEEvSK_
; %bb.0:
	.section	.rodata,"a",@progbits
	.p2align	6, 0x0
	.amdhsa_kernel _ZN7rocprim17ROCPRIM_400000_NS6detail17trampoline_kernelINS0_14default_configENS1_22reduce_config_selectorIiEEZNS1_11reduce_implILb1ES3_N6thrust23THRUST_200600_302600_NS11hip_rocprim35transform_pair_of_input_iterators_tIiPiSB_NS8_12not_equal_toIiEEEESB_iNS8_4plusIiEEEE10hipError_tPvRmT1_T2_T3_mT4_P12ihipStream_tbEUlT_E0_NS1_11comp_targetILNS1_3genE8ELNS1_11target_archE1030ELNS1_3gpuE2ELNS1_3repE0EEENS1_30default_config_static_selectorELNS0_4arch9wavefront6targetE1EEEvSK_
		.amdhsa_group_segment_fixed_size 0
		.amdhsa_private_segment_fixed_size 0
		.amdhsa_kernarg_size 72
		.amdhsa_user_sgpr_count 6
		.amdhsa_user_sgpr_private_segment_buffer 1
		.amdhsa_user_sgpr_dispatch_ptr 0
		.amdhsa_user_sgpr_queue_ptr 0
		.amdhsa_user_sgpr_kernarg_segment_ptr 1
		.amdhsa_user_sgpr_dispatch_id 0
		.amdhsa_user_sgpr_flat_scratch_init 0
		.amdhsa_user_sgpr_private_segment_size 0
		.amdhsa_uses_dynamic_stack 0
		.amdhsa_system_sgpr_private_segment_wavefront_offset 0
		.amdhsa_system_sgpr_workgroup_id_x 1
		.amdhsa_system_sgpr_workgroup_id_y 0
		.amdhsa_system_sgpr_workgroup_id_z 0
		.amdhsa_system_sgpr_workgroup_info 0
		.amdhsa_system_vgpr_workitem_id 0
		.amdhsa_next_free_vgpr 1
		.amdhsa_next_free_sgpr 0
		.amdhsa_reserve_vcc 0
		.amdhsa_reserve_flat_scratch 0
		.amdhsa_float_round_mode_32 0
		.amdhsa_float_round_mode_16_64 0
		.amdhsa_float_denorm_mode_32 3
		.amdhsa_float_denorm_mode_16_64 3
		.amdhsa_dx10_clamp 1
		.amdhsa_ieee_mode 1
		.amdhsa_fp16_overflow 0
		.amdhsa_exception_fp_ieee_invalid_op 0
		.amdhsa_exception_fp_denorm_src 0
		.amdhsa_exception_fp_ieee_div_zero 0
		.amdhsa_exception_fp_ieee_overflow 0
		.amdhsa_exception_fp_ieee_underflow 0
		.amdhsa_exception_fp_ieee_inexact 0
		.amdhsa_exception_int_div_zero 0
	.end_amdhsa_kernel
	.section	.text._ZN7rocprim17ROCPRIM_400000_NS6detail17trampoline_kernelINS0_14default_configENS1_22reduce_config_selectorIiEEZNS1_11reduce_implILb1ES3_N6thrust23THRUST_200600_302600_NS11hip_rocprim35transform_pair_of_input_iterators_tIiPiSB_NS8_12not_equal_toIiEEEESB_iNS8_4plusIiEEEE10hipError_tPvRmT1_T2_T3_mT4_P12ihipStream_tbEUlT_E0_NS1_11comp_targetILNS1_3genE8ELNS1_11target_archE1030ELNS1_3gpuE2ELNS1_3repE0EEENS1_30default_config_static_selectorELNS0_4arch9wavefront6targetE1EEEvSK_,"axG",@progbits,_ZN7rocprim17ROCPRIM_400000_NS6detail17trampoline_kernelINS0_14default_configENS1_22reduce_config_selectorIiEEZNS1_11reduce_implILb1ES3_N6thrust23THRUST_200600_302600_NS11hip_rocprim35transform_pair_of_input_iterators_tIiPiSB_NS8_12not_equal_toIiEEEESB_iNS8_4plusIiEEEE10hipError_tPvRmT1_T2_T3_mT4_P12ihipStream_tbEUlT_E0_NS1_11comp_targetILNS1_3genE8ELNS1_11target_archE1030ELNS1_3gpuE2ELNS1_3repE0EEENS1_30default_config_static_selectorELNS0_4arch9wavefront6targetE1EEEvSK_,comdat
.Lfunc_end928:
	.size	_ZN7rocprim17ROCPRIM_400000_NS6detail17trampoline_kernelINS0_14default_configENS1_22reduce_config_selectorIiEEZNS1_11reduce_implILb1ES3_N6thrust23THRUST_200600_302600_NS11hip_rocprim35transform_pair_of_input_iterators_tIiPiSB_NS8_12not_equal_toIiEEEESB_iNS8_4plusIiEEEE10hipError_tPvRmT1_T2_T3_mT4_P12ihipStream_tbEUlT_E0_NS1_11comp_targetILNS1_3genE8ELNS1_11target_archE1030ELNS1_3gpuE2ELNS1_3repE0EEENS1_30default_config_static_selectorELNS0_4arch9wavefront6targetE1EEEvSK_, .Lfunc_end928-_ZN7rocprim17ROCPRIM_400000_NS6detail17trampoline_kernelINS0_14default_configENS1_22reduce_config_selectorIiEEZNS1_11reduce_implILb1ES3_N6thrust23THRUST_200600_302600_NS11hip_rocprim35transform_pair_of_input_iterators_tIiPiSB_NS8_12not_equal_toIiEEEESB_iNS8_4plusIiEEEE10hipError_tPvRmT1_T2_T3_mT4_P12ihipStream_tbEUlT_E0_NS1_11comp_targetILNS1_3genE8ELNS1_11target_archE1030ELNS1_3gpuE2ELNS1_3repE0EEENS1_30default_config_static_selectorELNS0_4arch9wavefront6targetE1EEEvSK_
                                        ; -- End function
	.set _ZN7rocprim17ROCPRIM_400000_NS6detail17trampoline_kernelINS0_14default_configENS1_22reduce_config_selectorIiEEZNS1_11reduce_implILb1ES3_N6thrust23THRUST_200600_302600_NS11hip_rocprim35transform_pair_of_input_iterators_tIiPiSB_NS8_12not_equal_toIiEEEESB_iNS8_4plusIiEEEE10hipError_tPvRmT1_T2_T3_mT4_P12ihipStream_tbEUlT_E0_NS1_11comp_targetILNS1_3genE8ELNS1_11target_archE1030ELNS1_3gpuE2ELNS1_3repE0EEENS1_30default_config_static_selectorELNS0_4arch9wavefront6targetE1EEEvSK_.num_vgpr, 0
	.set _ZN7rocprim17ROCPRIM_400000_NS6detail17trampoline_kernelINS0_14default_configENS1_22reduce_config_selectorIiEEZNS1_11reduce_implILb1ES3_N6thrust23THRUST_200600_302600_NS11hip_rocprim35transform_pair_of_input_iterators_tIiPiSB_NS8_12not_equal_toIiEEEESB_iNS8_4plusIiEEEE10hipError_tPvRmT1_T2_T3_mT4_P12ihipStream_tbEUlT_E0_NS1_11comp_targetILNS1_3genE8ELNS1_11target_archE1030ELNS1_3gpuE2ELNS1_3repE0EEENS1_30default_config_static_selectorELNS0_4arch9wavefront6targetE1EEEvSK_.num_agpr, 0
	.set _ZN7rocprim17ROCPRIM_400000_NS6detail17trampoline_kernelINS0_14default_configENS1_22reduce_config_selectorIiEEZNS1_11reduce_implILb1ES3_N6thrust23THRUST_200600_302600_NS11hip_rocprim35transform_pair_of_input_iterators_tIiPiSB_NS8_12not_equal_toIiEEEESB_iNS8_4plusIiEEEE10hipError_tPvRmT1_T2_T3_mT4_P12ihipStream_tbEUlT_E0_NS1_11comp_targetILNS1_3genE8ELNS1_11target_archE1030ELNS1_3gpuE2ELNS1_3repE0EEENS1_30default_config_static_selectorELNS0_4arch9wavefront6targetE1EEEvSK_.numbered_sgpr, 0
	.set _ZN7rocprim17ROCPRIM_400000_NS6detail17trampoline_kernelINS0_14default_configENS1_22reduce_config_selectorIiEEZNS1_11reduce_implILb1ES3_N6thrust23THRUST_200600_302600_NS11hip_rocprim35transform_pair_of_input_iterators_tIiPiSB_NS8_12not_equal_toIiEEEESB_iNS8_4plusIiEEEE10hipError_tPvRmT1_T2_T3_mT4_P12ihipStream_tbEUlT_E0_NS1_11comp_targetILNS1_3genE8ELNS1_11target_archE1030ELNS1_3gpuE2ELNS1_3repE0EEENS1_30default_config_static_selectorELNS0_4arch9wavefront6targetE1EEEvSK_.num_named_barrier, 0
	.set _ZN7rocprim17ROCPRIM_400000_NS6detail17trampoline_kernelINS0_14default_configENS1_22reduce_config_selectorIiEEZNS1_11reduce_implILb1ES3_N6thrust23THRUST_200600_302600_NS11hip_rocprim35transform_pair_of_input_iterators_tIiPiSB_NS8_12not_equal_toIiEEEESB_iNS8_4plusIiEEEE10hipError_tPvRmT1_T2_T3_mT4_P12ihipStream_tbEUlT_E0_NS1_11comp_targetILNS1_3genE8ELNS1_11target_archE1030ELNS1_3gpuE2ELNS1_3repE0EEENS1_30default_config_static_selectorELNS0_4arch9wavefront6targetE1EEEvSK_.private_seg_size, 0
	.set _ZN7rocprim17ROCPRIM_400000_NS6detail17trampoline_kernelINS0_14default_configENS1_22reduce_config_selectorIiEEZNS1_11reduce_implILb1ES3_N6thrust23THRUST_200600_302600_NS11hip_rocprim35transform_pair_of_input_iterators_tIiPiSB_NS8_12not_equal_toIiEEEESB_iNS8_4plusIiEEEE10hipError_tPvRmT1_T2_T3_mT4_P12ihipStream_tbEUlT_E0_NS1_11comp_targetILNS1_3genE8ELNS1_11target_archE1030ELNS1_3gpuE2ELNS1_3repE0EEENS1_30default_config_static_selectorELNS0_4arch9wavefront6targetE1EEEvSK_.uses_vcc, 0
	.set _ZN7rocprim17ROCPRIM_400000_NS6detail17trampoline_kernelINS0_14default_configENS1_22reduce_config_selectorIiEEZNS1_11reduce_implILb1ES3_N6thrust23THRUST_200600_302600_NS11hip_rocprim35transform_pair_of_input_iterators_tIiPiSB_NS8_12not_equal_toIiEEEESB_iNS8_4plusIiEEEE10hipError_tPvRmT1_T2_T3_mT4_P12ihipStream_tbEUlT_E0_NS1_11comp_targetILNS1_3genE8ELNS1_11target_archE1030ELNS1_3gpuE2ELNS1_3repE0EEENS1_30default_config_static_selectorELNS0_4arch9wavefront6targetE1EEEvSK_.uses_flat_scratch, 0
	.set _ZN7rocprim17ROCPRIM_400000_NS6detail17trampoline_kernelINS0_14default_configENS1_22reduce_config_selectorIiEEZNS1_11reduce_implILb1ES3_N6thrust23THRUST_200600_302600_NS11hip_rocprim35transform_pair_of_input_iterators_tIiPiSB_NS8_12not_equal_toIiEEEESB_iNS8_4plusIiEEEE10hipError_tPvRmT1_T2_T3_mT4_P12ihipStream_tbEUlT_E0_NS1_11comp_targetILNS1_3genE8ELNS1_11target_archE1030ELNS1_3gpuE2ELNS1_3repE0EEENS1_30default_config_static_selectorELNS0_4arch9wavefront6targetE1EEEvSK_.has_dyn_sized_stack, 0
	.set _ZN7rocprim17ROCPRIM_400000_NS6detail17trampoline_kernelINS0_14default_configENS1_22reduce_config_selectorIiEEZNS1_11reduce_implILb1ES3_N6thrust23THRUST_200600_302600_NS11hip_rocprim35transform_pair_of_input_iterators_tIiPiSB_NS8_12not_equal_toIiEEEESB_iNS8_4plusIiEEEE10hipError_tPvRmT1_T2_T3_mT4_P12ihipStream_tbEUlT_E0_NS1_11comp_targetILNS1_3genE8ELNS1_11target_archE1030ELNS1_3gpuE2ELNS1_3repE0EEENS1_30default_config_static_selectorELNS0_4arch9wavefront6targetE1EEEvSK_.has_recursion, 0
	.set _ZN7rocprim17ROCPRIM_400000_NS6detail17trampoline_kernelINS0_14default_configENS1_22reduce_config_selectorIiEEZNS1_11reduce_implILb1ES3_N6thrust23THRUST_200600_302600_NS11hip_rocprim35transform_pair_of_input_iterators_tIiPiSB_NS8_12not_equal_toIiEEEESB_iNS8_4plusIiEEEE10hipError_tPvRmT1_T2_T3_mT4_P12ihipStream_tbEUlT_E0_NS1_11comp_targetILNS1_3genE8ELNS1_11target_archE1030ELNS1_3gpuE2ELNS1_3repE0EEENS1_30default_config_static_selectorELNS0_4arch9wavefront6targetE1EEEvSK_.has_indirect_call, 0
	.section	.AMDGPU.csdata,"",@progbits
; Kernel info:
; codeLenInByte = 0
; TotalNumSgprs: 4
; NumVgprs: 0
; ScratchSize: 0
; MemoryBound: 0
; FloatMode: 240
; IeeeMode: 1
; LDSByteSize: 0 bytes/workgroup (compile time only)
; SGPRBlocks: 0
; VGPRBlocks: 0
; NumSGPRsForWavesPerEU: 4
; NumVGPRsForWavesPerEU: 1
; Occupancy: 10
; WaveLimiterHint : 0
; COMPUTE_PGM_RSRC2:SCRATCH_EN: 0
; COMPUTE_PGM_RSRC2:USER_SGPR: 6
; COMPUTE_PGM_RSRC2:TRAP_HANDLER: 0
; COMPUTE_PGM_RSRC2:TGID_X_EN: 1
; COMPUTE_PGM_RSRC2:TGID_Y_EN: 0
; COMPUTE_PGM_RSRC2:TGID_Z_EN: 0
; COMPUTE_PGM_RSRC2:TIDIG_COMP_CNT: 0
	.section	.text._ZN7rocprim17ROCPRIM_400000_NS6detail17trampoline_kernelINS0_14default_configENS1_22reduce_config_selectorIiEEZNS1_11reduce_implILb1ES3_N6thrust23THRUST_200600_302600_NS11hip_rocprim35transform_pair_of_input_iterators_tIiPiSB_NS8_12not_equal_toIiEEEESB_iNS8_4plusIiEEEE10hipError_tPvRmT1_T2_T3_mT4_P12ihipStream_tbEUlT_E1_NS1_11comp_targetILNS1_3genE0ELNS1_11target_archE4294967295ELNS1_3gpuE0ELNS1_3repE0EEENS1_30default_config_static_selectorELNS0_4arch9wavefront6targetE1EEEvSK_,"axG",@progbits,_ZN7rocprim17ROCPRIM_400000_NS6detail17trampoline_kernelINS0_14default_configENS1_22reduce_config_selectorIiEEZNS1_11reduce_implILb1ES3_N6thrust23THRUST_200600_302600_NS11hip_rocprim35transform_pair_of_input_iterators_tIiPiSB_NS8_12not_equal_toIiEEEESB_iNS8_4plusIiEEEE10hipError_tPvRmT1_T2_T3_mT4_P12ihipStream_tbEUlT_E1_NS1_11comp_targetILNS1_3genE0ELNS1_11target_archE4294967295ELNS1_3gpuE0ELNS1_3repE0EEENS1_30default_config_static_selectorELNS0_4arch9wavefront6targetE1EEEvSK_,comdat
	.protected	_ZN7rocprim17ROCPRIM_400000_NS6detail17trampoline_kernelINS0_14default_configENS1_22reduce_config_selectorIiEEZNS1_11reduce_implILb1ES3_N6thrust23THRUST_200600_302600_NS11hip_rocprim35transform_pair_of_input_iterators_tIiPiSB_NS8_12not_equal_toIiEEEESB_iNS8_4plusIiEEEE10hipError_tPvRmT1_T2_T3_mT4_P12ihipStream_tbEUlT_E1_NS1_11comp_targetILNS1_3genE0ELNS1_11target_archE4294967295ELNS1_3gpuE0ELNS1_3repE0EEENS1_30default_config_static_selectorELNS0_4arch9wavefront6targetE1EEEvSK_ ; -- Begin function _ZN7rocprim17ROCPRIM_400000_NS6detail17trampoline_kernelINS0_14default_configENS1_22reduce_config_selectorIiEEZNS1_11reduce_implILb1ES3_N6thrust23THRUST_200600_302600_NS11hip_rocprim35transform_pair_of_input_iterators_tIiPiSB_NS8_12not_equal_toIiEEEESB_iNS8_4plusIiEEEE10hipError_tPvRmT1_T2_T3_mT4_P12ihipStream_tbEUlT_E1_NS1_11comp_targetILNS1_3genE0ELNS1_11target_archE4294967295ELNS1_3gpuE0ELNS1_3repE0EEENS1_30default_config_static_selectorELNS0_4arch9wavefront6targetE1EEEvSK_
	.globl	_ZN7rocprim17ROCPRIM_400000_NS6detail17trampoline_kernelINS0_14default_configENS1_22reduce_config_selectorIiEEZNS1_11reduce_implILb1ES3_N6thrust23THRUST_200600_302600_NS11hip_rocprim35transform_pair_of_input_iterators_tIiPiSB_NS8_12not_equal_toIiEEEESB_iNS8_4plusIiEEEE10hipError_tPvRmT1_T2_T3_mT4_P12ihipStream_tbEUlT_E1_NS1_11comp_targetILNS1_3genE0ELNS1_11target_archE4294967295ELNS1_3gpuE0ELNS1_3repE0EEENS1_30default_config_static_selectorELNS0_4arch9wavefront6targetE1EEEvSK_
	.p2align	8
	.type	_ZN7rocprim17ROCPRIM_400000_NS6detail17trampoline_kernelINS0_14default_configENS1_22reduce_config_selectorIiEEZNS1_11reduce_implILb1ES3_N6thrust23THRUST_200600_302600_NS11hip_rocprim35transform_pair_of_input_iterators_tIiPiSB_NS8_12not_equal_toIiEEEESB_iNS8_4plusIiEEEE10hipError_tPvRmT1_T2_T3_mT4_P12ihipStream_tbEUlT_E1_NS1_11comp_targetILNS1_3genE0ELNS1_11target_archE4294967295ELNS1_3gpuE0ELNS1_3repE0EEENS1_30default_config_static_selectorELNS0_4arch9wavefront6targetE1EEEvSK_,@function
_ZN7rocprim17ROCPRIM_400000_NS6detail17trampoline_kernelINS0_14default_configENS1_22reduce_config_selectorIiEEZNS1_11reduce_implILb1ES3_N6thrust23THRUST_200600_302600_NS11hip_rocprim35transform_pair_of_input_iterators_tIiPiSB_NS8_12not_equal_toIiEEEESB_iNS8_4plusIiEEEE10hipError_tPvRmT1_T2_T3_mT4_P12ihipStream_tbEUlT_E1_NS1_11comp_targetILNS1_3genE0ELNS1_11target_archE4294967295ELNS1_3gpuE0ELNS1_3repE0EEENS1_30default_config_static_selectorELNS0_4arch9wavefront6targetE1EEEvSK_: ; @_ZN7rocprim17ROCPRIM_400000_NS6detail17trampoline_kernelINS0_14default_configENS1_22reduce_config_selectorIiEEZNS1_11reduce_implILb1ES3_N6thrust23THRUST_200600_302600_NS11hip_rocprim35transform_pair_of_input_iterators_tIiPiSB_NS8_12not_equal_toIiEEEESB_iNS8_4plusIiEEEE10hipError_tPvRmT1_T2_T3_mT4_P12ihipStream_tbEUlT_E1_NS1_11comp_targetILNS1_3genE0ELNS1_11target_archE4294967295ELNS1_3gpuE0ELNS1_3repE0EEENS1_30default_config_static_selectorELNS0_4arch9wavefront6targetE1EEEvSK_
; %bb.0:
	.section	.rodata,"a",@progbits
	.p2align	6, 0x0
	.amdhsa_kernel _ZN7rocprim17ROCPRIM_400000_NS6detail17trampoline_kernelINS0_14default_configENS1_22reduce_config_selectorIiEEZNS1_11reduce_implILb1ES3_N6thrust23THRUST_200600_302600_NS11hip_rocprim35transform_pair_of_input_iterators_tIiPiSB_NS8_12not_equal_toIiEEEESB_iNS8_4plusIiEEEE10hipError_tPvRmT1_T2_T3_mT4_P12ihipStream_tbEUlT_E1_NS1_11comp_targetILNS1_3genE0ELNS1_11target_archE4294967295ELNS1_3gpuE0ELNS1_3repE0EEENS1_30default_config_static_selectorELNS0_4arch9wavefront6targetE1EEEvSK_
		.amdhsa_group_segment_fixed_size 0
		.amdhsa_private_segment_fixed_size 0
		.amdhsa_kernarg_size 56
		.amdhsa_user_sgpr_count 6
		.amdhsa_user_sgpr_private_segment_buffer 1
		.amdhsa_user_sgpr_dispatch_ptr 0
		.amdhsa_user_sgpr_queue_ptr 0
		.amdhsa_user_sgpr_kernarg_segment_ptr 1
		.amdhsa_user_sgpr_dispatch_id 0
		.amdhsa_user_sgpr_flat_scratch_init 0
		.amdhsa_user_sgpr_private_segment_size 0
		.amdhsa_uses_dynamic_stack 0
		.amdhsa_system_sgpr_private_segment_wavefront_offset 0
		.amdhsa_system_sgpr_workgroup_id_x 1
		.amdhsa_system_sgpr_workgroup_id_y 0
		.amdhsa_system_sgpr_workgroup_id_z 0
		.amdhsa_system_sgpr_workgroup_info 0
		.amdhsa_system_vgpr_workitem_id 0
		.amdhsa_next_free_vgpr 1
		.amdhsa_next_free_sgpr 0
		.amdhsa_reserve_vcc 0
		.amdhsa_reserve_flat_scratch 0
		.amdhsa_float_round_mode_32 0
		.amdhsa_float_round_mode_16_64 0
		.amdhsa_float_denorm_mode_32 3
		.amdhsa_float_denorm_mode_16_64 3
		.amdhsa_dx10_clamp 1
		.amdhsa_ieee_mode 1
		.amdhsa_fp16_overflow 0
		.amdhsa_exception_fp_ieee_invalid_op 0
		.amdhsa_exception_fp_denorm_src 0
		.amdhsa_exception_fp_ieee_div_zero 0
		.amdhsa_exception_fp_ieee_overflow 0
		.amdhsa_exception_fp_ieee_underflow 0
		.amdhsa_exception_fp_ieee_inexact 0
		.amdhsa_exception_int_div_zero 0
	.end_amdhsa_kernel
	.section	.text._ZN7rocprim17ROCPRIM_400000_NS6detail17trampoline_kernelINS0_14default_configENS1_22reduce_config_selectorIiEEZNS1_11reduce_implILb1ES3_N6thrust23THRUST_200600_302600_NS11hip_rocprim35transform_pair_of_input_iterators_tIiPiSB_NS8_12not_equal_toIiEEEESB_iNS8_4plusIiEEEE10hipError_tPvRmT1_T2_T3_mT4_P12ihipStream_tbEUlT_E1_NS1_11comp_targetILNS1_3genE0ELNS1_11target_archE4294967295ELNS1_3gpuE0ELNS1_3repE0EEENS1_30default_config_static_selectorELNS0_4arch9wavefront6targetE1EEEvSK_,"axG",@progbits,_ZN7rocprim17ROCPRIM_400000_NS6detail17trampoline_kernelINS0_14default_configENS1_22reduce_config_selectorIiEEZNS1_11reduce_implILb1ES3_N6thrust23THRUST_200600_302600_NS11hip_rocprim35transform_pair_of_input_iterators_tIiPiSB_NS8_12not_equal_toIiEEEESB_iNS8_4plusIiEEEE10hipError_tPvRmT1_T2_T3_mT4_P12ihipStream_tbEUlT_E1_NS1_11comp_targetILNS1_3genE0ELNS1_11target_archE4294967295ELNS1_3gpuE0ELNS1_3repE0EEENS1_30default_config_static_selectorELNS0_4arch9wavefront6targetE1EEEvSK_,comdat
.Lfunc_end929:
	.size	_ZN7rocprim17ROCPRIM_400000_NS6detail17trampoline_kernelINS0_14default_configENS1_22reduce_config_selectorIiEEZNS1_11reduce_implILb1ES3_N6thrust23THRUST_200600_302600_NS11hip_rocprim35transform_pair_of_input_iterators_tIiPiSB_NS8_12not_equal_toIiEEEESB_iNS8_4plusIiEEEE10hipError_tPvRmT1_T2_T3_mT4_P12ihipStream_tbEUlT_E1_NS1_11comp_targetILNS1_3genE0ELNS1_11target_archE4294967295ELNS1_3gpuE0ELNS1_3repE0EEENS1_30default_config_static_selectorELNS0_4arch9wavefront6targetE1EEEvSK_, .Lfunc_end929-_ZN7rocprim17ROCPRIM_400000_NS6detail17trampoline_kernelINS0_14default_configENS1_22reduce_config_selectorIiEEZNS1_11reduce_implILb1ES3_N6thrust23THRUST_200600_302600_NS11hip_rocprim35transform_pair_of_input_iterators_tIiPiSB_NS8_12not_equal_toIiEEEESB_iNS8_4plusIiEEEE10hipError_tPvRmT1_T2_T3_mT4_P12ihipStream_tbEUlT_E1_NS1_11comp_targetILNS1_3genE0ELNS1_11target_archE4294967295ELNS1_3gpuE0ELNS1_3repE0EEENS1_30default_config_static_selectorELNS0_4arch9wavefront6targetE1EEEvSK_
                                        ; -- End function
	.set _ZN7rocprim17ROCPRIM_400000_NS6detail17trampoline_kernelINS0_14default_configENS1_22reduce_config_selectorIiEEZNS1_11reduce_implILb1ES3_N6thrust23THRUST_200600_302600_NS11hip_rocprim35transform_pair_of_input_iterators_tIiPiSB_NS8_12not_equal_toIiEEEESB_iNS8_4plusIiEEEE10hipError_tPvRmT1_T2_T3_mT4_P12ihipStream_tbEUlT_E1_NS1_11comp_targetILNS1_3genE0ELNS1_11target_archE4294967295ELNS1_3gpuE0ELNS1_3repE0EEENS1_30default_config_static_selectorELNS0_4arch9wavefront6targetE1EEEvSK_.num_vgpr, 0
	.set _ZN7rocprim17ROCPRIM_400000_NS6detail17trampoline_kernelINS0_14default_configENS1_22reduce_config_selectorIiEEZNS1_11reduce_implILb1ES3_N6thrust23THRUST_200600_302600_NS11hip_rocprim35transform_pair_of_input_iterators_tIiPiSB_NS8_12not_equal_toIiEEEESB_iNS8_4plusIiEEEE10hipError_tPvRmT1_T2_T3_mT4_P12ihipStream_tbEUlT_E1_NS1_11comp_targetILNS1_3genE0ELNS1_11target_archE4294967295ELNS1_3gpuE0ELNS1_3repE0EEENS1_30default_config_static_selectorELNS0_4arch9wavefront6targetE1EEEvSK_.num_agpr, 0
	.set _ZN7rocprim17ROCPRIM_400000_NS6detail17trampoline_kernelINS0_14default_configENS1_22reduce_config_selectorIiEEZNS1_11reduce_implILb1ES3_N6thrust23THRUST_200600_302600_NS11hip_rocprim35transform_pair_of_input_iterators_tIiPiSB_NS8_12not_equal_toIiEEEESB_iNS8_4plusIiEEEE10hipError_tPvRmT1_T2_T3_mT4_P12ihipStream_tbEUlT_E1_NS1_11comp_targetILNS1_3genE0ELNS1_11target_archE4294967295ELNS1_3gpuE0ELNS1_3repE0EEENS1_30default_config_static_selectorELNS0_4arch9wavefront6targetE1EEEvSK_.numbered_sgpr, 0
	.set _ZN7rocprim17ROCPRIM_400000_NS6detail17trampoline_kernelINS0_14default_configENS1_22reduce_config_selectorIiEEZNS1_11reduce_implILb1ES3_N6thrust23THRUST_200600_302600_NS11hip_rocprim35transform_pair_of_input_iterators_tIiPiSB_NS8_12not_equal_toIiEEEESB_iNS8_4plusIiEEEE10hipError_tPvRmT1_T2_T3_mT4_P12ihipStream_tbEUlT_E1_NS1_11comp_targetILNS1_3genE0ELNS1_11target_archE4294967295ELNS1_3gpuE0ELNS1_3repE0EEENS1_30default_config_static_selectorELNS0_4arch9wavefront6targetE1EEEvSK_.num_named_barrier, 0
	.set _ZN7rocprim17ROCPRIM_400000_NS6detail17trampoline_kernelINS0_14default_configENS1_22reduce_config_selectorIiEEZNS1_11reduce_implILb1ES3_N6thrust23THRUST_200600_302600_NS11hip_rocprim35transform_pair_of_input_iterators_tIiPiSB_NS8_12not_equal_toIiEEEESB_iNS8_4plusIiEEEE10hipError_tPvRmT1_T2_T3_mT4_P12ihipStream_tbEUlT_E1_NS1_11comp_targetILNS1_3genE0ELNS1_11target_archE4294967295ELNS1_3gpuE0ELNS1_3repE0EEENS1_30default_config_static_selectorELNS0_4arch9wavefront6targetE1EEEvSK_.private_seg_size, 0
	.set _ZN7rocprim17ROCPRIM_400000_NS6detail17trampoline_kernelINS0_14default_configENS1_22reduce_config_selectorIiEEZNS1_11reduce_implILb1ES3_N6thrust23THRUST_200600_302600_NS11hip_rocprim35transform_pair_of_input_iterators_tIiPiSB_NS8_12not_equal_toIiEEEESB_iNS8_4plusIiEEEE10hipError_tPvRmT1_T2_T3_mT4_P12ihipStream_tbEUlT_E1_NS1_11comp_targetILNS1_3genE0ELNS1_11target_archE4294967295ELNS1_3gpuE0ELNS1_3repE0EEENS1_30default_config_static_selectorELNS0_4arch9wavefront6targetE1EEEvSK_.uses_vcc, 0
	.set _ZN7rocprim17ROCPRIM_400000_NS6detail17trampoline_kernelINS0_14default_configENS1_22reduce_config_selectorIiEEZNS1_11reduce_implILb1ES3_N6thrust23THRUST_200600_302600_NS11hip_rocprim35transform_pair_of_input_iterators_tIiPiSB_NS8_12not_equal_toIiEEEESB_iNS8_4plusIiEEEE10hipError_tPvRmT1_T2_T3_mT4_P12ihipStream_tbEUlT_E1_NS1_11comp_targetILNS1_3genE0ELNS1_11target_archE4294967295ELNS1_3gpuE0ELNS1_3repE0EEENS1_30default_config_static_selectorELNS0_4arch9wavefront6targetE1EEEvSK_.uses_flat_scratch, 0
	.set _ZN7rocprim17ROCPRIM_400000_NS6detail17trampoline_kernelINS0_14default_configENS1_22reduce_config_selectorIiEEZNS1_11reduce_implILb1ES3_N6thrust23THRUST_200600_302600_NS11hip_rocprim35transform_pair_of_input_iterators_tIiPiSB_NS8_12not_equal_toIiEEEESB_iNS8_4plusIiEEEE10hipError_tPvRmT1_T2_T3_mT4_P12ihipStream_tbEUlT_E1_NS1_11comp_targetILNS1_3genE0ELNS1_11target_archE4294967295ELNS1_3gpuE0ELNS1_3repE0EEENS1_30default_config_static_selectorELNS0_4arch9wavefront6targetE1EEEvSK_.has_dyn_sized_stack, 0
	.set _ZN7rocprim17ROCPRIM_400000_NS6detail17trampoline_kernelINS0_14default_configENS1_22reduce_config_selectorIiEEZNS1_11reduce_implILb1ES3_N6thrust23THRUST_200600_302600_NS11hip_rocprim35transform_pair_of_input_iterators_tIiPiSB_NS8_12not_equal_toIiEEEESB_iNS8_4plusIiEEEE10hipError_tPvRmT1_T2_T3_mT4_P12ihipStream_tbEUlT_E1_NS1_11comp_targetILNS1_3genE0ELNS1_11target_archE4294967295ELNS1_3gpuE0ELNS1_3repE0EEENS1_30default_config_static_selectorELNS0_4arch9wavefront6targetE1EEEvSK_.has_recursion, 0
	.set _ZN7rocprim17ROCPRIM_400000_NS6detail17trampoline_kernelINS0_14default_configENS1_22reduce_config_selectorIiEEZNS1_11reduce_implILb1ES3_N6thrust23THRUST_200600_302600_NS11hip_rocprim35transform_pair_of_input_iterators_tIiPiSB_NS8_12not_equal_toIiEEEESB_iNS8_4plusIiEEEE10hipError_tPvRmT1_T2_T3_mT4_P12ihipStream_tbEUlT_E1_NS1_11comp_targetILNS1_3genE0ELNS1_11target_archE4294967295ELNS1_3gpuE0ELNS1_3repE0EEENS1_30default_config_static_selectorELNS0_4arch9wavefront6targetE1EEEvSK_.has_indirect_call, 0
	.section	.AMDGPU.csdata,"",@progbits
; Kernel info:
; codeLenInByte = 0
; TotalNumSgprs: 4
; NumVgprs: 0
; ScratchSize: 0
; MemoryBound: 0
; FloatMode: 240
; IeeeMode: 1
; LDSByteSize: 0 bytes/workgroup (compile time only)
; SGPRBlocks: 0
; VGPRBlocks: 0
; NumSGPRsForWavesPerEU: 4
; NumVGPRsForWavesPerEU: 1
; Occupancy: 10
; WaveLimiterHint : 0
; COMPUTE_PGM_RSRC2:SCRATCH_EN: 0
; COMPUTE_PGM_RSRC2:USER_SGPR: 6
; COMPUTE_PGM_RSRC2:TRAP_HANDLER: 0
; COMPUTE_PGM_RSRC2:TGID_X_EN: 1
; COMPUTE_PGM_RSRC2:TGID_Y_EN: 0
; COMPUTE_PGM_RSRC2:TGID_Z_EN: 0
; COMPUTE_PGM_RSRC2:TIDIG_COMP_CNT: 0
	.section	.text._ZN7rocprim17ROCPRIM_400000_NS6detail17trampoline_kernelINS0_14default_configENS1_22reduce_config_selectorIiEEZNS1_11reduce_implILb1ES3_N6thrust23THRUST_200600_302600_NS11hip_rocprim35transform_pair_of_input_iterators_tIiPiSB_NS8_12not_equal_toIiEEEESB_iNS8_4plusIiEEEE10hipError_tPvRmT1_T2_T3_mT4_P12ihipStream_tbEUlT_E1_NS1_11comp_targetILNS1_3genE5ELNS1_11target_archE942ELNS1_3gpuE9ELNS1_3repE0EEENS1_30default_config_static_selectorELNS0_4arch9wavefront6targetE1EEEvSK_,"axG",@progbits,_ZN7rocprim17ROCPRIM_400000_NS6detail17trampoline_kernelINS0_14default_configENS1_22reduce_config_selectorIiEEZNS1_11reduce_implILb1ES3_N6thrust23THRUST_200600_302600_NS11hip_rocprim35transform_pair_of_input_iterators_tIiPiSB_NS8_12not_equal_toIiEEEESB_iNS8_4plusIiEEEE10hipError_tPvRmT1_T2_T3_mT4_P12ihipStream_tbEUlT_E1_NS1_11comp_targetILNS1_3genE5ELNS1_11target_archE942ELNS1_3gpuE9ELNS1_3repE0EEENS1_30default_config_static_selectorELNS0_4arch9wavefront6targetE1EEEvSK_,comdat
	.protected	_ZN7rocprim17ROCPRIM_400000_NS6detail17trampoline_kernelINS0_14default_configENS1_22reduce_config_selectorIiEEZNS1_11reduce_implILb1ES3_N6thrust23THRUST_200600_302600_NS11hip_rocprim35transform_pair_of_input_iterators_tIiPiSB_NS8_12not_equal_toIiEEEESB_iNS8_4plusIiEEEE10hipError_tPvRmT1_T2_T3_mT4_P12ihipStream_tbEUlT_E1_NS1_11comp_targetILNS1_3genE5ELNS1_11target_archE942ELNS1_3gpuE9ELNS1_3repE0EEENS1_30default_config_static_selectorELNS0_4arch9wavefront6targetE1EEEvSK_ ; -- Begin function _ZN7rocprim17ROCPRIM_400000_NS6detail17trampoline_kernelINS0_14default_configENS1_22reduce_config_selectorIiEEZNS1_11reduce_implILb1ES3_N6thrust23THRUST_200600_302600_NS11hip_rocprim35transform_pair_of_input_iterators_tIiPiSB_NS8_12not_equal_toIiEEEESB_iNS8_4plusIiEEEE10hipError_tPvRmT1_T2_T3_mT4_P12ihipStream_tbEUlT_E1_NS1_11comp_targetILNS1_3genE5ELNS1_11target_archE942ELNS1_3gpuE9ELNS1_3repE0EEENS1_30default_config_static_selectorELNS0_4arch9wavefront6targetE1EEEvSK_
	.globl	_ZN7rocprim17ROCPRIM_400000_NS6detail17trampoline_kernelINS0_14default_configENS1_22reduce_config_selectorIiEEZNS1_11reduce_implILb1ES3_N6thrust23THRUST_200600_302600_NS11hip_rocprim35transform_pair_of_input_iterators_tIiPiSB_NS8_12not_equal_toIiEEEESB_iNS8_4plusIiEEEE10hipError_tPvRmT1_T2_T3_mT4_P12ihipStream_tbEUlT_E1_NS1_11comp_targetILNS1_3genE5ELNS1_11target_archE942ELNS1_3gpuE9ELNS1_3repE0EEENS1_30default_config_static_selectorELNS0_4arch9wavefront6targetE1EEEvSK_
	.p2align	8
	.type	_ZN7rocprim17ROCPRIM_400000_NS6detail17trampoline_kernelINS0_14default_configENS1_22reduce_config_selectorIiEEZNS1_11reduce_implILb1ES3_N6thrust23THRUST_200600_302600_NS11hip_rocprim35transform_pair_of_input_iterators_tIiPiSB_NS8_12not_equal_toIiEEEESB_iNS8_4plusIiEEEE10hipError_tPvRmT1_T2_T3_mT4_P12ihipStream_tbEUlT_E1_NS1_11comp_targetILNS1_3genE5ELNS1_11target_archE942ELNS1_3gpuE9ELNS1_3repE0EEENS1_30default_config_static_selectorELNS0_4arch9wavefront6targetE1EEEvSK_,@function
_ZN7rocprim17ROCPRIM_400000_NS6detail17trampoline_kernelINS0_14default_configENS1_22reduce_config_selectorIiEEZNS1_11reduce_implILb1ES3_N6thrust23THRUST_200600_302600_NS11hip_rocprim35transform_pair_of_input_iterators_tIiPiSB_NS8_12not_equal_toIiEEEESB_iNS8_4plusIiEEEE10hipError_tPvRmT1_T2_T3_mT4_P12ihipStream_tbEUlT_E1_NS1_11comp_targetILNS1_3genE5ELNS1_11target_archE942ELNS1_3gpuE9ELNS1_3repE0EEENS1_30default_config_static_selectorELNS0_4arch9wavefront6targetE1EEEvSK_: ; @_ZN7rocprim17ROCPRIM_400000_NS6detail17trampoline_kernelINS0_14default_configENS1_22reduce_config_selectorIiEEZNS1_11reduce_implILb1ES3_N6thrust23THRUST_200600_302600_NS11hip_rocprim35transform_pair_of_input_iterators_tIiPiSB_NS8_12not_equal_toIiEEEESB_iNS8_4plusIiEEEE10hipError_tPvRmT1_T2_T3_mT4_P12ihipStream_tbEUlT_E1_NS1_11comp_targetILNS1_3genE5ELNS1_11target_archE942ELNS1_3gpuE9ELNS1_3repE0EEENS1_30default_config_static_selectorELNS0_4arch9wavefront6targetE1EEEvSK_
; %bb.0:
	.section	.rodata,"a",@progbits
	.p2align	6, 0x0
	.amdhsa_kernel _ZN7rocprim17ROCPRIM_400000_NS6detail17trampoline_kernelINS0_14default_configENS1_22reduce_config_selectorIiEEZNS1_11reduce_implILb1ES3_N6thrust23THRUST_200600_302600_NS11hip_rocprim35transform_pair_of_input_iterators_tIiPiSB_NS8_12not_equal_toIiEEEESB_iNS8_4plusIiEEEE10hipError_tPvRmT1_T2_T3_mT4_P12ihipStream_tbEUlT_E1_NS1_11comp_targetILNS1_3genE5ELNS1_11target_archE942ELNS1_3gpuE9ELNS1_3repE0EEENS1_30default_config_static_selectorELNS0_4arch9wavefront6targetE1EEEvSK_
		.amdhsa_group_segment_fixed_size 0
		.amdhsa_private_segment_fixed_size 0
		.amdhsa_kernarg_size 56
		.amdhsa_user_sgpr_count 6
		.amdhsa_user_sgpr_private_segment_buffer 1
		.amdhsa_user_sgpr_dispatch_ptr 0
		.amdhsa_user_sgpr_queue_ptr 0
		.amdhsa_user_sgpr_kernarg_segment_ptr 1
		.amdhsa_user_sgpr_dispatch_id 0
		.amdhsa_user_sgpr_flat_scratch_init 0
		.amdhsa_user_sgpr_private_segment_size 0
		.amdhsa_uses_dynamic_stack 0
		.amdhsa_system_sgpr_private_segment_wavefront_offset 0
		.amdhsa_system_sgpr_workgroup_id_x 1
		.amdhsa_system_sgpr_workgroup_id_y 0
		.amdhsa_system_sgpr_workgroup_id_z 0
		.amdhsa_system_sgpr_workgroup_info 0
		.amdhsa_system_vgpr_workitem_id 0
		.amdhsa_next_free_vgpr 1
		.amdhsa_next_free_sgpr 0
		.amdhsa_reserve_vcc 0
		.amdhsa_reserve_flat_scratch 0
		.amdhsa_float_round_mode_32 0
		.amdhsa_float_round_mode_16_64 0
		.amdhsa_float_denorm_mode_32 3
		.amdhsa_float_denorm_mode_16_64 3
		.amdhsa_dx10_clamp 1
		.amdhsa_ieee_mode 1
		.amdhsa_fp16_overflow 0
		.amdhsa_exception_fp_ieee_invalid_op 0
		.amdhsa_exception_fp_denorm_src 0
		.amdhsa_exception_fp_ieee_div_zero 0
		.amdhsa_exception_fp_ieee_overflow 0
		.amdhsa_exception_fp_ieee_underflow 0
		.amdhsa_exception_fp_ieee_inexact 0
		.amdhsa_exception_int_div_zero 0
	.end_amdhsa_kernel
	.section	.text._ZN7rocprim17ROCPRIM_400000_NS6detail17trampoline_kernelINS0_14default_configENS1_22reduce_config_selectorIiEEZNS1_11reduce_implILb1ES3_N6thrust23THRUST_200600_302600_NS11hip_rocprim35transform_pair_of_input_iterators_tIiPiSB_NS8_12not_equal_toIiEEEESB_iNS8_4plusIiEEEE10hipError_tPvRmT1_T2_T3_mT4_P12ihipStream_tbEUlT_E1_NS1_11comp_targetILNS1_3genE5ELNS1_11target_archE942ELNS1_3gpuE9ELNS1_3repE0EEENS1_30default_config_static_selectorELNS0_4arch9wavefront6targetE1EEEvSK_,"axG",@progbits,_ZN7rocprim17ROCPRIM_400000_NS6detail17trampoline_kernelINS0_14default_configENS1_22reduce_config_selectorIiEEZNS1_11reduce_implILb1ES3_N6thrust23THRUST_200600_302600_NS11hip_rocprim35transform_pair_of_input_iterators_tIiPiSB_NS8_12not_equal_toIiEEEESB_iNS8_4plusIiEEEE10hipError_tPvRmT1_T2_T3_mT4_P12ihipStream_tbEUlT_E1_NS1_11comp_targetILNS1_3genE5ELNS1_11target_archE942ELNS1_3gpuE9ELNS1_3repE0EEENS1_30default_config_static_selectorELNS0_4arch9wavefront6targetE1EEEvSK_,comdat
.Lfunc_end930:
	.size	_ZN7rocprim17ROCPRIM_400000_NS6detail17trampoline_kernelINS0_14default_configENS1_22reduce_config_selectorIiEEZNS1_11reduce_implILb1ES3_N6thrust23THRUST_200600_302600_NS11hip_rocprim35transform_pair_of_input_iterators_tIiPiSB_NS8_12not_equal_toIiEEEESB_iNS8_4plusIiEEEE10hipError_tPvRmT1_T2_T3_mT4_P12ihipStream_tbEUlT_E1_NS1_11comp_targetILNS1_3genE5ELNS1_11target_archE942ELNS1_3gpuE9ELNS1_3repE0EEENS1_30default_config_static_selectorELNS0_4arch9wavefront6targetE1EEEvSK_, .Lfunc_end930-_ZN7rocprim17ROCPRIM_400000_NS6detail17trampoline_kernelINS0_14default_configENS1_22reduce_config_selectorIiEEZNS1_11reduce_implILb1ES3_N6thrust23THRUST_200600_302600_NS11hip_rocprim35transform_pair_of_input_iterators_tIiPiSB_NS8_12not_equal_toIiEEEESB_iNS8_4plusIiEEEE10hipError_tPvRmT1_T2_T3_mT4_P12ihipStream_tbEUlT_E1_NS1_11comp_targetILNS1_3genE5ELNS1_11target_archE942ELNS1_3gpuE9ELNS1_3repE0EEENS1_30default_config_static_selectorELNS0_4arch9wavefront6targetE1EEEvSK_
                                        ; -- End function
	.set _ZN7rocprim17ROCPRIM_400000_NS6detail17trampoline_kernelINS0_14default_configENS1_22reduce_config_selectorIiEEZNS1_11reduce_implILb1ES3_N6thrust23THRUST_200600_302600_NS11hip_rocprim35transform_pair_of_input_iterators_tIiPiSB_NS8_12not_equal_toIiEEEESB_iNS8_4plusIiEEEE10hipError_tPvRmT1_T2_T3_mT4_P12ihipStream_tbEUlT_E1_NS1_11comp_targetILNS1_3genE5ELNS1_11target_archE942ELNS1_3gpuE9ELNS1_3repE0EEENS1_30default_config_static_selectorELNS0_4arch9wavefront6targetE1EEEvSK_.num_vgpr, 0
	.set _ZN7rocprim17ROCPRIM_400000_NS6detail17trampoline_kernelINS0_14default_configENS1_22reduce_config_selectorIiEEZNS1_11reduce_implILb1ES3_N6thrust23THRUST_200600_302600_NS11hip_rocprim35transform_pair_of_input_iterators_tIiPiSB_NS8_12not_equal_toIiEEEESB_iNS8_4plusIiEEEE10hipError_tPvRmT1_T2_T3_mT4_P12ihipStream_tbEUlT_E1_NS1_11comp_targetILNS1_3genE5ELNS1_11target_archE942ELNS1_3gpuE9ELNS1_3repE0EEENS1_30default_config_static_selectorELNS0_4arch9wavefront6targetE1EEEvSK_.num_agpr, 0
	.set _ZN7rocprim17ROCPRIM_400000_NS6detail17trampoline_kernelINS0_14default_configENS1_22reduce_config_selectorIiEEZNS1_11reduce_implILb1ES3_N6thrust23THRUST_200600_302600_NS11hip_rocprim35transform_pair_of_input_iterators_tIiPiSB_NS8_12not_equal_toIiEEEESB_iNS8_4plusIiEEEE10hipError_tPvRmT1_T2_T3_mT4_P12ihipStream_tbEUlT_E1_NS1_11comp_targetILNS1_3genE5ELNS1_11target_archE942ELNS1_3gpuE9ELNS1_3repE0EEENS1_30default_config_static_selectorELNS0_4arch9wavefront6targetE1EEEvSK_.numbered_sgpr, 0
	.set _ZN7rocprim17ROCPRIM_400000_NS6detail17trampoline_kernelINS0_14default_configENS1_22reduce_config_selectorIiEEZNS1_11reduce_implILb1ES3_N6thrust23THRUST_200600_302600_NS11hip_rocprim35transform_pair_of_input_iterators_tIiPiSB_NS8_12not_equal_toIiEEEESB_iNS8_4plusIiEEEE10hipError_tPvRmT1_T2_T3_mT4_P12ihipStream_tbEUlT_E1_NS1_11comp_targetILNS1_3genE5ELNS1_11target_archE942ELNS1_3gpuE9ELNS1_3repE0EEENS1_30default_config_static_selectorELNS0_4arch9wavefront6targetE1EEEvSK_.num_named_barrier, 0
	.set _ZN7rocprim17ROCPRIM_400000_NS6detail17trampoline_kernelINS0_14default_configENS1_22reduce_config_selectorIiEEZNS1_11reduce_implILb1ES3_N6thrust23THRUST_200600_302600_NS11hip_rocprim35transform_pair_of_input_iterators_tIiPiSB_NS8_12not_equal_toIiEEEESB_iNS8_4plusIiEEEE10hipError_tPvRmT1_T2_T3_mT4_P12ihipStream_tbEUlT_E1_NS1_11comp_targetILNS1_3genE5ELNS1_11target_archE942ELNS1_3gpuE9ELNS1_3repE0EEENS1_30default_config_static_selectorELNS0_4arch9wavefront6targetE1EEEvSK_.private_seg_size, 0
	.set _ZN7rocprim17ROCPRIM_400000_NS6detail17trampoline_kernelINS0_14default_configENS1_22reduce_config_selectorIiEEZNS1_11reduce_implILb1ES3_N6thrust23THRUST_200600_302600_NS11hip_rocprim35transform_pair_of_input_iterators_tIiPiSB_NS8_12not_equal_toIiEEEESB_iNS8_4plusIiEEEE10hipError_tPvRmT1_T2_T3_mT4_P12ihipStream_tbEUlT_E1_NS1_11comp_targetILNS1_3genE5ELNS1_11target_archE942ELNS1_3gpuE9ELNS1_3repE0EEENS1_30default_config_static_selectorELNS0_4arch9wavefront6targetE1EEEvSK_.uses_vcc, 0
	.set _ZN7rocprim17ROCPRIM_400000_NS6detail17trampoline_kernelINS0_14default_configENS1_22reduce_config_selectorIiEEZNS1_11reduce_implILb1ES3_N6thrust23THRUST_200600_302600_NS11hip_rocprim35transform_pair_of_input_iterators_tIiPiSB_NS8_12not_equal_toIiEEEESB_iNS8_4plusIiEEEE10hipError_tPvRmT1_T2_T3_mT4_P12ihipStream_tbEUlT_E1_NS1_11comp_targetILNS1_3genE5ELNS1_11target_archE942ELNS1_3gpuE9ELNS1_3repE0EEENS1_30default_config_static_selectorELNS0_4arch9wavefront6targetE1EEEvSK_.uses_flat_scratch, 0
	.set _ZN7rocprim17ROCPRIM_400000_NS6detail17trampoline_kernelINS0_14default_configENS1_22reduce_config_selectorIiEEZNS1_11reduce_implILb1ES3_N6thrust23THRUST_200600_302600_NS11hip_rocprim35transform_pair_of_input_iterators_tIiPiSB_NS8_12not_equal_toIiEEEESB_iNS8_4plusIiEEEE10hipError_tPvRmT1_T2_T3_mT4_P12ihipStream_tbEUlT_E1_NS1_11comp_targetILNS1_3genE5ELNS1_11target_archE942ELNS1_3gpuE9ELNS1_3repE0EEENS1_30default_config_static_selectorELNS0_4arch9wavefront6targetE1EEEvSK_.has_dyn_sized_stack, 0
	.set _ZN7rocprim17ROCPRIM_400000_NS6detail17trampoline_kernelINS0_14default_configENS1_22reduce_config_selectorIiEEZNS1_11reduce_implILb1ES3_N6thrust23THRUST_200600_302600_NS11hip_rocprim35transform_pair_of_input_iterators_tIiPiSB_NS8_12not_equal_toIiEEEESB_iNS8_4plusIiEEEE10hipError_tPvRmT1_T2_T3_mT4_P12ihipStream_tbEUlT_E1_NS1_11comp_targetILNS1_3genE5ELNS1_11target_archE942ELNS1_3gpuE9ELNS1_3repE0EEENS1_30default_config_static_selectorELNS0_4arch9wavefront6targetE1EEEvSK_.has_recursion, 0
	.set _ZN7rocprim17ROCPRIM_400000_NS6detail17trampoline_kernelINS0_14default_configENS1_22reduce_config_selectorIiEEZNS1_11reduce_implILb1ES3_N6thrust23THRUST_200600_302600_NS11hip_rocprim35transform_pair_of_input_iterators_tIiPiSB_NS8_12not_equal_toIiEEEESB_iNS8_4plusIiEEEE10hipError_tPvRmT1_T2_T3_mT4_P12ihipStream_tbEUlT_E1_NS1_11comp_targetILNS1_3genE5ELNS1_11target_archE942ELNS1_3gpuE9ELNS1_3repE0EEENS1_30default_config_static_selectorELNS0_4arch9wavefront6targetE1EEEvSK_.has_indirect_call, 0
	.section	.AMDGPU.csdata,"",@progbits
; Kernel info:
; codeLenInByte = 0
; TotalNumSgprs: 4
; NumVgprs: 0
; ScratchSize: 0
; MemoryBound: 0
; FloatMode: 240
; IeeeMode: 1
; LDSByteSize: 0 bytes/workgroup (compile time only)
; SGPRBlocks: 0
; VGPRBlocks: 0
; NumSGPRsForWavesPerEU: 4
; NumVGPRsForWavesPerEU: 1
; Occupancy: 10
; WaveLimiterHint : 0
; COMPUTE_PGM_RSRC2:SCRATCH_EN: 0
; COMPUTE_PGM_RSRC2:USER_SGPR: 6
; COMPUTE_PGM_RSRC2:TRAP_HANDLER: 0
; COMPUTE_PGM_RSRC2:TGID_X_EN: 1
; COMPUTE_PGM_RSRC2:TGID_Y_EN: 0
; COMPUTE_PGM_RSRC2:TGID_Z_EN: 0
; COMPUTE_PGM_RSRC2:TIDIG_COMP_CNT: 0
	.section	.text._ZN7rocprim17ROCPRIM_400000_NS6detail17trampoline_kernelINS0_14default_configENS1_22reduce_config_selectorIiEEZNS1_11reduce_implILb1ES3_N6thrust23THRUST_200600_302600_NS11hip_rocprim35transform_pair_of_input_iterators_tIiPiSB_NS8_12not_equal_toIiEEEESB_iNS8_4plusIiEEEE10hipError_tPvRmT1_T2_T3_mT4_P12ihipStream_tbEUlT_E1_NS1_11comp_targetILNS1_3genE4ELNS1_11target_archE910ELNS1_3gpuE8ELNS1_3repE0EEENS1_30default_config_static_selectorELNS0_4arch9wavefront6targetE1EEEvSK_,"axG",@progbits,_ZN7rocprim17ROCPRIM_400000_NS6detail17trampoline_kernelINS0_14default_configENS1_22reduce_config_selectorIiEEZNS1_11reduce_implILb1ES3_N6thrust23THRUST_200600_302600_NS11hip_rocprim35transform_pair_of_input_iterators_tIiPiSB_NS8_12not_equal_toIiEEEESB_iNS8_4plusIiEEEE10hipError_tPvRmT1_T2_T3_mT4_P12ihipStream_tbEUlT_E1_NS1_11comp_targetILNS1_3genE4ELNS1_11target_archE910ELNS1_3gpuE8ELNS1_3repE0EEENS1_30default_config_static_selectorELNS0_4arch9wavefront6targetE1EEEvSK_,comdat
	.protected	_ZN7rocprim17ROCPRIM_400000_NS6detail17trampoline_kernelINS0_14default_configENS1_22reduce_config_selectorIiEEZNS1_11reduce_implILb1ES3_N6thrust23THRUST_200600_302600_NS11hip_rocprim35transform_pair_of_input_iterators_tIiPiSB_NS8_12not_equal_toIiEEEESB_iNS8_4plusIiEEEE10hipError_tPvRmT1_T2_T3_mT4_P12ihipStream_tbEUlT_E1_NS1_11comp_targetILNS1_3genE4ELNS1_11target_archE910ELNS1_3gpuE8ELNS1_3repE0EEENS1_30default_config_static_selectorELNS0_4arch9wavefront6targetE1EEEvSK_ ; -- Begin function _ZN7rocprim17ROCPRIM_400000_NS6detail17trampoline_kernelINS0_14default_configENS1_22reduce_config_selectorIiEEZNS1_11reduce_implILb1ES3_N6thrust23THRUST_200600_302600_NS11hip_rocprim35transform_pair_of_input_iterators_tIiPiSB_NS8_12not_equal_toIiEEEESB_iNS8_4plusIiEEEE10hipError_tPvRmT1_T2_T3_mT4_P12ihipStream_tbEUlT_E1_NS1_11comp_targetILNS1_3genE4ELNS1_11target_archE910ELNS1_3gpuE8ELNS1_3repE0EEENS1_30default_config_static_selectorELNS0_4arch9wavefront6targetE1EEEvSK_
	.globl	_ZN7rocprim17ROCPRIM_400000_NS6detail17trampoline_kernelINS0_14default_configENS1_22reduce_config_selectorIiEEZNS1_11reduce_implILb1ES3_N6thrust23THRUST_200600_302600_NS11hip_rocprim35transform_pair_of_input_iterators_tIiPiSB_NS8_12not_equal_toIiEEEESB_iNS8_4plusIiEEEE10hipError_tPvRmT1_T2_T3_mT4_P12ihipStream_tbEUlT_E1_NS1_11comp_targetILNS1_3genE4ELNS1_11target_archE910ELNS1_3gpuE8ELNS1_3repE0EEENS1_30default_config_static_selectorELNS0_4arch9wavefront6targetE1EEEvSK_
	.p2align	8
	.type	_ZN7rocprim17ROCPRIM_400000_NS6detail17trampoline_kernelINS0_14default_configENS1_22reduce_config_selectorIiEEZNS1_11reduce_implILb1ES3_N6thrust23THRUST_200600_302600_NS11hip_rocprim35transform_pair_of_input_iterators_tIiPiSB_NS8_12not_equal_toIiEEEESB_iNS8_4plusIiEEEE10hipError_tPvRmT1_T2_T3_mT4_P12ihipStream_tbEUlT_E1_NS1_11comp_targetILNS1_3genE4ELNS1_11target_archE910ELNS1_3gpuE8ELNS1_3repE0EEENS1_30default_config_static_selectorELNS0_4arch9wavefront6targetE1EEEvSK_,@function
_ZN7rocprim17ROCPRIM_400000_NS6detail17trampoline_kernelINS0_14default_configENS1_22reduce_config_selectorIiEEZNS1_11reduce_implILb1ES3_N6thrust23THRUST_200600_302600_NS11hip_rocprim35transform_pair_of_input_iterators_tIiPiSB_NS8_12not_equal_toIiEEEESB_iNS8_4plusIiEEEE10hipError_tPvRmT1_T2_T3_mT4_P12ihipStream_tbEUlT_E1_NS1_11comp_targetILNS1_3genE4ELNS1_11target_archE910ELNS1_3gpuE8ELNS1_3repE0EEENS1_30default_config_static_selectorELNS0_4arch9wavefront6targetE1EEEvSK_: ; @_ZN7rocprim17ROCPRIM_400000_NS6detail17trampoline_kernelINS0_14default_configENS1_22reduce_config_selectorIiEEZNS1_11reduce_implILb1ES3_N6thrust23THRUST_200600_302600_NS11hip_rocprim35transform_pair_of_input_iterators_tIiPiSB_NS8_12not_equal_toIiEEEESB_iNS8_4plusIiEEEE10hipError_tPvRmT1_T2_T3_mT4_P12ihipStream_tbEUlT_E1_NS1_11comp_targetILNS1_3genE4ELNS1_11target_archE910ELNS1_3gpuE8ELNS1_3repE0EEENS1_30default_config_static_selectorELNS0_4arch9wavefront6targetE1EEEvSK_
; %bb.0:
	.section	.rodata,"a",@progbits
	.p2align	6, 0x0
	.amdhsa_kernel _ZN7rocprim17ROCPRIM_400000_NS6detail17trampoline_kernelINS0_14default_configENS1_22reduce_config_selectorIiEEZNS1_11reduce_implILb1ES3_N6thrust23THRUST_200600_302600_NS11hip_rocprim35transform_pair_of_input_iterators_tIiPiSB_NS8_12not_equal_toIiEEEESB_iNS8_4plusIiEEEE10hipError_tPvRmT1_T2_T3_mT4_P12ihipStream_tbEUlT_E1_NS1_11comp_targetILNS1_3genE4ELNS1_11target_archE910ELNS1_3gpuE8ELNS1_3repE0EEENS1_30default_config_static_selectorELNS0_4arch9wavefront6targetE1EEEvSK_
		.amdhsa_group_segment_fixed_size 0
		.amdhsa_private_segment_fixed_size 0
		.amdhsa_kernarg_size 56
		.amdhsa_user_sgpr_count 6
		.amdhsa_user_sgpr_private_segment_buffer 1
		.amdhsa_user_sgpr_dispatch_ptr 0
		.amdhsa_user_sgpr_queue_ptr 0
		.amdhsa_user_sgpr_kernarg_segment_ptr 1
		.amdhsa_user_sgpr_dispatch_id 0
		.amdhsa_user_sgpr_flat_scratch_init 0
		.amdhsa_user_sgpr_private_segment_size 0
		.amdhsa_uses_dynamic_stack 0
		.amdhsa_system_sgpr_private_segment_wavefront_offset 0
		.amdhsa_system_sgpr_workgroup_id_x 1
		.amdhsa_system_sgpr_workgroup_id_y 0
		.amdhsa_system_sgpr_workgroup_id_z 0
		.amdhsa_system_sgpr_workgroup_info 0
		.amdhsa_system_vgpr_workitem_id 0
		.amdhsa_next_free_vgpr 1
		.amdhsa_next_free_sgpr 0
		.amdhsa_reserve_vcc 0
		.amdhsa_reserve_flat_scratch 0
		.amdhsa_float_round_mode_32 0
		.amdhsa_float_round_mode_16_64 0
		.amdhsa_float_denorm_mode_32 3
		.amdhsa_float_denorm_mode_16_64 3
		.amdhsa_dx10_clamp 1
		.amdhsa_ieee_mode 1
		.amdhsa_fp16_overflow 0
		.amdhsa_exception_fp_ieee_invalid_op 0
		.amdhsa_exception_fp_denorm_src 0
		.amdhsa_exception_fp_ieee_div_zero 0
		.amdhsa_exception_fp_ieee_overflow 0
		.amdhsa_exception_fp_ieee_underflow 0
		.amdhsa_exception_fp_ieee_inexact 0
		.amdhsa_exception_int_div_zero 0
	.end_amdhsa_kernel
	.section	.text._ZN7rocprim17ROCPRIM_400000_NS6detail17trampoline_kernelINS0_14default_configENS1_22reduce_config_selectorIiEEZNS1_11reduce_implILb1ES3_N6thrust23THRUST_200600_302600_NS11hip_rocprim35transform_pair_of_input_iterators_tIiPiSB_NS8_12not_equal_toIiEEEESB_iNS8_4plusIiEEEE10hipError_tPvRmT1_T2_T3_mT4_P12ihipStream_tbEUlT_E1_NS1_11comp_targetILNS1_3genE4ELNS1_11target_archE910ELNS1_3gpuE8ELNS1_3repE0EEENS1_30default_config_static_selectorELNS0_4arch9wavefront6targetE1EEEvSK_,"axG",@progbits,_ZN7rocprim17ROCPRIM_400000_NS6detail17trampoline_kernelINS0_14default_configENS1_22reduce_config_selectorIiEEZNS1_11reduce_implILb1ES3_N6thrust23THRUST_200600_302600_NS11hip_rocprim35transform_pair_of_input_iterators_tIiPiSB_NS8_12not_equal_toIiEEEESB_iNS8_4plusIiEEEE10hipError_tPvRmT1_T2_T3_mT4_P12ihipStream_tbEUlT_E1_NS1_11comp_targetILNS1_3genE4ELNS1_11target_archE910ELNS1_3gpuE8ELNS1_3repE0EEENS1_30default_config_static_selectorELNS0_4arch9wavefront6targetE1EEEvSK_,comdat
.Lfunc_end931:
	.size	_ZN7rocprim17ROCPRIM_400000_NS6detail17trampoline_kernelINS0_14default_configENS1_22reduce_config_selectorIiEEZNS1_11reduce_implILb1ES3_N6thrust23THRUST_200600_302600_NS11hip_rocprim35transform_pair_of_input_iterators_tIiPiSB_NS8_12not_equal_toIiEEEESB_iNS8_4plusIiEEEE10hipError_tPvRmT1_T2_T3_mT4_P12ihipStream_tbEUlT_E1_NS1_11comp_targetILNS1_3genE4ELNS1_11target_archE910ELNS1_3gpuE8ELNS1_3repE0EEENS1_30default_config_static_selectorELNS0_4arch9wavefront6targetE1EEEvSK_, .Lfunc_end931-_ZN7rocprim17ROCPRIM_400000_NS6detail17trampoline_kernelINS0_14default_configENS1_22reduce_config_selectorIiEEZNS1_11reduce_implILb1ES3_N6thrust23THRUST_200600_302600_NS11hip_rocprim35transform_pair_of_input_iterators_tIiPiSB_NS8_12not_equal_toIiEEEESB_iNS8_4plusIiEEEE10hipError_tPvRmT1_T2_T3_mT4_P12ihipStream_tbEUlT_E1_NS1_11comp_targetILNS1_3genE4ELNS1_11target_archE910ELNS1_3gpuE8ELNS1_3repE0EEENS1_30default_config_static_selectorELNS0_4arch9wavefront6targetE1EEEvSK_
                                        ; -- End function
	.set _ZN7rocprim17ROCPRIM_400000_NS6detail17trampoline_kernelINS0_14default_configENS1_22reduce_config_selectorIiEEZNS1_11reduce_implILb1ES3_N6thrust23THRUST_200600_302600_NS11hip_rocprim35transform_pair_of_input_iterators_tIiPiSB_NS8_12not_equal_toIiEEEESB_iNS8_4plusIiEEEE10hipError_tPvRmT1_T2_T3_mT4_P12ihipStream_tbEUlT_E1_NS1_11comp_targetILNS1_3genE4ELNS1_11target_archE910ELNS1_3gpuE8ELNS1_3repE0EEENS1_30default_config_static_selectorELNS0_4arch9wavefront6targetE1EEEvSK_.num_vgpr, 0
	.set _ZN7rocprim17ROCPRIM_400000_NS6detail17trampoline_kernelINS0_14default_configENS1_22reduce_config_selectorIiEEZNS1_11reduce_implILb1ES3_N6thrust23THRUST_200600_302600_NS11hip_rocprim35transform_pair_of_input_iterators_tIiPiSB_NS8_12not_equal_toIiEEEESB_iNS8_4plusIiEEEE10hipError_tPvRmT1_T2_T3_mT4_P12ihipStream_tbEUlT_E1_NS1_11comp_targetILNS1_3genE4ELNS1_11target_archE910ELNS1_3gpuE8ELNS1_3repE0EEENS1_30default_config_static_selectorELNS0_4arch9wavefront6targetE1EEEvSK_.num_agpr, 0
	.set _ZN7rocprim17ROCPRIM_400000_NS6detail17trampoline_kernelINS0_14default_configENS1_22reduce_config_selectorIiEEZNS1_11reduce_implILb1ES3_N6thrust23THRUST_200600_302600_NS11hip_rocprim35transform_pair_of_input_iterators_tIiPiSB_NS8_12not_equal_toIiEEEESB_iNS8_4plusIiEEEE10hipError_tPvRmT1_T2_T3_mT4_P12ihipStream_tbEUlT_E1_NS1_11comp_targetILNS1_3genE4ELNS1_11target_archE910ELNS1_3gpuE8ELNS1_3repE0EEENS1_30default_config_static_selectorELNS0_4arch9wavefront6targetE1EEEvSK_.numbered_sgpr, 0
	.set _ZN7rocprim17ROCPRIM_400000_NS6detail17trampoline_kernelINS0_14default_configENS1_22reduce_config_selectorIiEEZNS1_11reduce_implILb1ES3_N6thrust23THRUST_200600_302600_NS11hip_rocprim35transform_pair_of_input_iterators_tIiPiSB_NS8_12not_equal_toIiEEEESB_iNS8_4plusIiEEEE10hipError_tPvRmT1_T2_T3_mT4_P12ihipStream_tbEUlT_E1_NS1_11comp_targetILNS1_3genE4ELNS1_11target_archE910ELNS1_3gpuE8ELNS1_3repE0EEENS1_30default_config_static_selectorELNS0_4arch9wavefront6targetE1EEEvSK_.num_named_barrier, 0
	.set _ZN7rocprim17ROCPRIM_400000_NS6detail17trampoline_kernelINS0_14default_configENS1_22reduce_config_selectorIiEEZNS1_11reduce_implILb1ES3_N6thrust23THRUST_200600_302600_NS11hip_rocprim35transform_pair_of_input_iterators_tIiPiSB_NS8_12not_equal_toIiEEEESB_iNS8_4plusIiEEEE10hipError_tPvRmT1_T2_T3_mT4_P12ihipStream_tbEUlT_E1_NS1_11comp_targetILNS1_3genE4ELNS1_11target_archE910ELNS1_3gpuE8ELNS1_3repE0EEENS1_30default_config_static_selectorELNS0_4arch9wavefront6targetE1EEEvSK_.private_seg_size, 0
	.set _ZN7rocprim17ROCPRIM_400000_NS6detail17trampoline_kernelINS0_14default_configENS1_22reduce_config_selectorIiEEZNS1_11reduce_implILb1ES3_N6thrust23THRUST_200600_302600_NS11hip_rocprim35transform_pair_of_input_iterators_tIiPiSB_NS8_12not_equal_toIiEEEESB_iNS8_4plusIiEEEE10hipError_tPvRmT1_T2_T3_mT4_P12ihipStream_tbEUlT_E1_NS1_11comp_targetILNS1_3genE4ELNS1_11target_archE910ELNS1_3gpuE8ELNS1_3repE0EEENS1_30default_config_static_selectorELNS0_4arch9wavefront6targetE1EEEvSK_.uses_vcc, 0
	.set _ZN7rocprim17ROCPRIM_400000_NS6detail17trampoline_kernelINS0_14default_configENS1_22reduce_config_selectorIiEEZNS1_11reduce_implILb1ES3_N6thrust23THRUST_200600_302600_NS11hip_rocprim35transform_pair_of_input_iterators_tIiPiSB_NS8_12not_equal_toIiEEEESB_iNS8_4plusIiEEEE10hipError_tPvRmT1_T2_T3_mT4_P12ihipStream_tbEUlT_E1_NS1_11comp_targetILNS1_3genE4ELNS1_11target_archE910ELNS1_3gpuE8ELNS1_3repE0EEENS1_30default_config_static_selectorELNS0_4arch9wavefront6targetE1EEEvSK_.uses_flat_scratch, 0
	.set _ZN7rocprim17ROCPRIM_400000_NS6detail17trampoline_kernelINS0_14default_configENS1_22reduce_config_selectorIiEEZNS1_11reduce_implILb1ES3_N6thrust23THRUST_200600_302600_NS11hip_rocprim35transform_pair_of_input_iterators_tIiPiSB_NS8_12not_equal_toIiEEEESB_iNS8_4plusIiEEEE10hipError_tPvRmT1_T2_T3_mT4_P12ihipStream_tbEUlT_E1_NS1_11comp_targetILNS1_3genE4ELNS1_11target_archE910ELNS1_3gpuE8ELNS1_3repE0EEENS1_30default_config_static_selectorELNS0_4arch9wavefront6targetE1EEEvSK_.has_dyn_sized_stack, 0
	.set _ZN7rocprim17ROCPRIM_400000_NS6detail17trampoline_kernelINS0_14default_configENS1_22reduce_config_selectorIiEEZNS1_11reduce_implILb1ES3_N6thrust23THRUST_200600_302600_NS11hip_rocprim35transform_pair_of_input_iterators_tIiPiSB_NS8_12not_equal_toIiEEEESB_iNS8_4plusIiEEEE10hipError_tPvRmT1_T2_T3_mT4_P12ihipStream_tbEUlT_E1_NS1_11comp_targetILNS1_3genE4ELNS1_11target_archE910ELNS1_3gpuE8ELNS1_3repE0EEENS1_30default_config_static_selectorELNS0_4arch9wavefront6targetE1EEEvSK_.has_recursion, 0
	.set _ZN7rocprim17ROCPRIM_400000_NS6detail17trampoline_kernelINS0_14default_configENS1_22reduce_config_selectorIiEEZNS1_11reduce_implILb1ES3_N6thrust23THRUST_200600_302600_NS11hip_rocprim35transform_pair_of_input_iterators_tIiPiSB_NS8_12not_equal_toIiEEEESB_iNS8_4plusIiEEEE10hipError_tPvRmT1_T2_T3_mT4_P12ihipStream_tbEUlT_E1_NS1_11comp_targetILNS1_3genE4ELNS1_11target_archE910ELNS1_3gpuE8ELNS1_3repE0EEENS1_30default_config_static_selectorELNS0_4arch9wavefront6targetE1EEEvSK_.has_indirect_call, 0
	.section	.AMDGPU.csdata,"",@progbits
; Kernel info:
; codeLenInByte = 0
; TotalNumSgprs: 4
; NumVgprs: 0
; ScratchSize: 0
; MemoryBound: 0
; FloatMode: 240
; IeeeMode: 1
; LDSByteSize: 0 bytes/workgroup (compile time only)
; SGPRBlocks: 0
; VGPRBlocks: 0
; NumSGPRsForWavesPerEU: 4
; NumVGPRsForWavesPerEU: 1
; Occupancy: 10
; WaveLimiterHint : 0
; COMPUTE_PGM_RSRC2:SCRATCH_EN: 0
; COMPUTE_PGM_RSRC2:USER_SGPR: 6
; COMPUTE_PGM_RSRC2:TRAP_HANDLER: 0
; COMPUTE_PGM_RSRC2:TGID_X_EN: 1
; COMPUTE_PGM_RSRC2:TGID_Y_EN: 0
; COMPUTE_PGM_RSRC2:TGID_Z_EN: 0
; COMPUTE_PGM_RSRC2:TIDIG_COMP_CNT: 0
	.section	.text._ZN7rocprim17ROCPRIM_400000_NS6detail17trampoline_kernelINS0_14default_configENS1_22reduce_config_selectorIiEEZNS1_11reduce_implILb1ES3_N6thrust23THRUST_200600_302600_NS11hip_rocprim35transform_pair_of_input_iterators_tIiPiSB_NS8_12not_equal_toIiEEEESB_iNS8_4plusIiEEEE10hipError_tPvRmT1_T2_T3_mT4_P12ihipStream_tbEUlT_E1_NS1_11comp_targetILNS1_3genE3ELNS1_11target_archE908ELNS1_3gpuE7ELNS1_3repE0EEENS1_30default_config_static_selectorELNS0_4arch9wavefront6targetE1EEEvSK_,"axG",@progbits,_ZN7rocprim17ROCPRIM_400000_NS6detail17trampoline_kernelINS0_14default_configENS1_22reduce_config_selectorIiEEZNS1_11reduce_implILb1ES3_N6thrust23THRUST_200600_302600_NS11hip_rocprim35transform_pair_of_input_iterators_tIiPiSB_NS8_12not_equal_toIiEEEESB_iNS8_4plusIiEEEE10hipError_tPvRmT1_T2_T3_mT4_P12ihipStream_tbEUlT_E1_NS1_11comp_targetILNS1_3genE3ELNS1_11target_archE908ELNS1_3gpuE7ELNS1_3repE0EEENS1_30default_config_static_selectorELNS0_4arch9wavefront6targetE1EEEvSK_,comdat
	.protected	_ZN7rocprim17ROCPRIM_400000_NS6detail17trampoline_kernelINS0_14default_configENS1_22reduce_config_selectorIiEEZNS1_11reduce_implILb1ES3_N6thrust23THRUST_200600_302600_NS11hip_rocprim35transform_pair_of_input_iterators_tIiPiSB_NS8_12not_equal_toIiEEEESB_iNS8_4plusIiEEEE10hipError_tPvRmT1_T2_T3_mT4_P12ihipStream_tbEUlT_E1_NS1_11comp_targetILNS1_3genE3ELNS1_11target_archE908ELNS1_3gpuE7ELNS1_3repE0EEENS1_30default_config_static_selectorELNS0_4arch9wavefront6targetE1EEEvSK_ ; -- Begin function _ZN7rocprim17ROCPRIM_400000_NS6detail17trampoline_kernelINS0_14default_configENS1_22reduce_config_selectorIiEEZNS1_11reduce_implILb1ES3_N6thrust23THRUST_200600_302600_NS11hip_rocprim35transform_pair_of_input_iterators_tIiPiSB_NS8_12not_equal_toIiEEEESB_iNS8_4plusIiEEEE10hipError_tPvRmT1_T2_T3_mT4_P12ihipStream_tbEUlT_E1_NS1_11comp_targetILNS1_3genE3ELNS1_11target_archE908ELNS1_3gpuE7ELNS1_3repE0EEENS1_30default_config_static_selectorELNS0_4arch9wavefront6targetE1EEEvSK_
	.globl	_ZN7rocprim17ROCPRIM_400000_NS6detail17trampoline_kernelINS0_14default_configENS1_22reduce_config_selectorIiEEZNS1_11reduce_implILb1ES3_N6thrust23THRUST_200600_302600_NS11hip_rocprim35transform_pair_of_input_iterators_tIiPiSB_NS8_12not_equal_toIiEEEESB_iNS8_4plusIiEEEE10hipError_tPvRmT1_T2_T3_mT4_P12ihipStream_tbEUlT_E1_NS1_11comp_targetILNS1_3genE3ELNS1_11target_archE908ELNS1_3gpuE7ELNS1_3repE0EEENS1_30default_config_static_selectorELNS0_4arch9wavefront6targetE1EEEvSK_
	.p2align	8
	.type	_ZN7rocprim17ROCPRIM_400000_NS6detail17trampoline_kernelINS0_14default_configENS1_22reduce_config_selectorIiEEZNS1_11reduce_implILb1ES3_N6thrust23THRUST_200600_302600_NS11hip_rocprim35transform_pair_of_input_iterators_tIiPiSB_NS8_12not_equal_toIiEEEESB_iNS8_4plusIiEEEE10hipError_tPvRmT1_T2_T3_mT4_P12ihipStream_tbEUlT_E1_NS1_11comp_targetILNS1_3genE3ELNS1_11target_archE908ELNS1_3gpuE7ELNS1_3repE0EEENS1_30default_config_static_selectorELNS0_4arch9wavefront6targetE1EEEvSK_,@function
_ZN7rocprim17ROCPRIM_400000_NS6detail17trampoline_kernelINS0_14default_configENS1_22reduce_config_selectorIiEEZNS1_11reduce_implILb1ES3_N6thrust23THRUST_200600_302600_NS11hip_rocprim35transform_pair_of_input_iterators_tIiPiSB_NS8_12not_equal_toIiEEEESB_iNS8_4plusIiEEEE10hipError_tPvRmT1_T2_T3_mT4_P12ihipStream_tbEUlT_E1_NS1_11comp_targetILNS1_3genE3ELNS1_11target_archE908ELNS1_3gpuE7ELNS1_3repE0EEENS1_30default_config_static_selectorELNS0_4arch9wavefront6targetE1EEEvSK_: ; @_ZN7rocprim17ROCPRIM_400000_NS6detail17trampoline_kernelINS0_14default_configENS1_22reduce_config_selectorIiEEZNS1_11reduce_implILb1ES3_N6thrust23THRUST_200600_302600_NS11hip_rocprim35transform_pair_of_input_iterators_tIiPiSB_NS8_12not_equal_toIiEEEESB_iNS8_4plusIiEEEE10hipError_tPvRmT1_T2_T3_mT4_P12ihipStream_tbEUlT_E1_NS1_11comp_targetILNS1_3genE3ELNS1_11target_archE908ELNS1_3gpuE7ELNS1_3repE0EEENS1_30default_config_static_selectorELNS0_4arch9wavefront6targetE1EEEvSK_
; %bb.0:
	.section	.rodata,"a",@progbits
	.p2align	6, 0x0
	.amdhsa_kernel _ZN7rocprim17ROCPRIM_400000_NS6detail17trampoline_kernelINS0_14default_configENS1_22reduce_config_selectorIiEEZNS1_11reduce_implILb1ES3_N6thrust23THRUST_200600_302600_NS11hip_rocprim35transform_pair_of_input_iterators_tIiPiSB_NS8_12not_equal_toIiEEEESB_iNS8_4plusIiEEEE10hipError_tPvRmT1_T2_T3_mT4_P12ihipStream_tbEUlT_E1_NS1_11comp_targetILNS1_3genE3ELNS1_11target_archE908ELNS1_3gpuE7ELNS1_3repE0EEENS1_30default_config_static_selectorELNS0_4arch9wavefront6targetE1EEEvSK_
		.amdhsa_group_segment_fixed_size 0
		.amdhsa_private_segment_fixed_size 0
		.amdhsa_kernarg_size 56
		.amdhsa_user_sgpr_count 6
		.amdhsa_user_sgpr_private_segment_buffer 1
		.amdhsa_user_sgpr_dispatch_ptr 0
		.amdhsa_user_sgpr_queue_ptr 0
		.amdhsa_user_sgpr_kernarg_segment_ptr 1
		.amdhsa_user_sgpr_dispatch_id 0
		.amdhsa_user_sgpr_flat_scratch_init 0
		.amdhsa_user_sgpr_private_segment_size 0
		.amdhsa_uses_dynamic_stack 0
		.amdhsa_system_sgpr_private_segment_wavefront_offset 0
		.amdhsa_system_sgpr_workgroup_id_x 1
		.amdhsa_system_sgpr_workgroup_id_y 0
		.amdhsa_system_sgpr_workgroup_id_z 0
		.amdhsa_system_sgpr_workgroup_info 0
		.amdhsa_system_vgpr_workitem_id 0
		.amdhsa_next_free_vgpr 1
		.amdhsa_next_free_sgpr 0
		.amdhsa_reserve_vcc 0
		.amdhsa_reserve_flat_scratch 0
		.amdhsa_float_round_mode_32 0
		.amdhsa_float_round_mode_16_64 0
		.amdhsa_float_denorm_mode_32 3
		.amdhsa_float_denorm_mode_16_64 3
		.amdhsa_dx10_clamp 1
		.amdhsa_ieee_mode 1
		.amdhsa_fp16_overflow 0
		.amdhsa_exception_fp_ieee_invalid_op 0
		.amdhsa_exception_fp_denorm_src 0
		.amdhsa_exception_fp_ieee_div_zero 0
		.amdhsa_exception_fp_ieee_overflow 0
		.amdhsa_exception_fp_ieee_underflow 0
		.amdhsa_exception_fp_ieee_inexact 0
		.amdhsa_exception_int_div_zero 0
	.end_amdhsa_kernel
	.section	.text._ZN7rocprim17ROCPRIM_400000_NS6detail17trampoline_kernelINS0_14default_configENS1_22reduce_config_selectorIiEEZNS1_11reduce_implILb1ES3_N6thrust23THRUST_200600_302600_NS11hip_rocprim35transform_pair_of_input_iterators_tIiPiSB_NS8_12not_equal_toIiEEEESB_iNS8_4plusIiEEEE10hipError_tPvRmT1_T2_T3_mT4_P12ihipStream_tbEUlT_E1_NS1_11comp_targetILNS1_3genE3ELNS1_11target_archE908ELNS1_3gpuE7ELNS1_3repE0EEENS1_30default_config_static_selectorELNS0_4arch9wavefront6targetE1EEEvSK_,"axG",@progbits,_ZN7rocprim17ROCPRIM_400000_NS6detail17trampoline_kernelINS0_14default_configENS1_22reduce_config_selectorIiEEZNS1_11reduce_implILb1ES3_N6thrust23THRUST_200600_302600_NS11hip_rocprim35transform_pair_of_input_iterators_tIiPiSB_NS8_12not_equal_toIiEEEESB_iNS8_4plusIiEEEE10hipError_tPvRmT1_T2_T3_mT4_P12ihipStream_tbEUlT_E1_NS1_11comp_targetILNS1_3genE3ELNS1_11target_archE908ELNS1_3gpuE7ELNS1_3repE0EEENS1_30default_config_static_selectorELNS0_4arch9wavefront6targetE1EEEvSK_,comdat
.Lfunc_end932:
	.size	_ZN7rocprim17ROCPRIM_400000_NS6detail17trampoline_kernelINS0_14default_configENS1_22reduce_config_selectorIiEEZNS1_11reduce_implILb1ES3_N6thrust23THRUST_200600_302600_NS11hip_rocprim35transform_pair_of_input_iterators_tIiPiSB_NS8_12not_equal_toIiEEEESB_iNS8_4plusIiEEEE10hipError_tPvRmT1_T2_T3_mT4_P12ihipStream_tbEUlT_E1_NS1_11comp_targetILNS1_3genE3ELNS1_11target_archE908ELNS1_3gpuE7ELNS1_3repE0EEENS1_30default_config_static_selectorELNS0_4arch9wavefront6targetE1EEEvSK_, .Lfunc_end932-_ZN7rocprim17ROCPRIM_400000_NS6detail17trampoline_kernelINS0_14default_configENS1_22reduce_config_selectorIiEEZNS1_11reduce_implILb1ES3_N6thrust23THRUST_200600_302600_NS11hip_rocprim35transform_pair_of_input_iterators_tIiPiSB_NS8_12not_equal_toIiEEEESB_iNS8_4plusIiEEEE10hipError_tPvRmT1_T2_T3_mT4_P12ihipStream_tbEUlT_E1_NS1_11comp_targetILNS1_3genE3ELNS1_11target_archE908ELNS1_3gpuE7ELNS1_3repE0EEENS1_30default_config_static_selectorELNS0_4arch9wavefront6targetE1EEEvSK_
                                        ; -- End function
	.set _ZN7rocprim17ROCPRIM_400000_NS6detail17trampoline_kernelINS0_14default_configENS1_22reduce_config_selectorIiEEZNS1_11reduce_implILb1ES3_N6thrust23THRUST_200600_302600_NS11hip_rocprim35transform_pair_of_input_iterators_tIiPiSB_NS8_12not_equal_toIiEEEESB_iNS8_4plusIiEEEE10hipError_tPvRmT1_T2_T3_mT4_P12ihipStream_tbEUlT_E1_NS1_11comp_targetILNS1_3genE3ELNS1_11target_archE908ELNS1_3gpuE7ELNS1_3repE0EEENS1_30default_config_static_selectorELNS0_4arch9wavefront6targetE1EEEvSK_.num_vgpr, 0
	.set _ZN7rocprim17ROCPRIM_400000_NS6detail17trampoline_kernelINS0_14default_configENS1_22reduce_config_selectorIiEEZNS1_11reduce_implILb1ES3_N6thrust23THRUST_200600_302600_NS11hip_rocprim35transform_pair_of_input_iterators_tIiPiSB_NS8_12not_equal_toIiEEEESB_iNS8_4plusIiEEEE10hipError_tPvRmT1_T2_T3_mT4_P12ihipStream_tbEUlT_E1_NS1_11comp_targetILNS1_3genE3ELNS1_11target_archE908ELNS1_3gpuE7ELNS1_3repE0EEENS1_30default_config_static_selectorELNS0_4arch9wavefront6targetE1EEEvSK_.num_agpr, 0
	.set _ZN7rocprim17ROCPRIM_400000_NS6detail17trampoline_kernelINS0_14default_configENS1_22reduce_config_selectorIiEEZNS1_11reduce_implILb1ES3_N6thrust23THRUST_200600_302600_NS11hip_rocprim35transform_pair_of_input_iterators_tIiPiSB_NS8_12not_equal_toIiEEEESB_iNS8_4plusIiEEEE10hipError_tPvRmT1_T2_T3_mT4_P12ihipStream_tbEUlT_E1_NS1_11comp_targetILNS1_3genE3ELNS1_11target_archE908ELNS1_3gpuE7ELNS1_3repE0EEENS1_30default_config_static_selectorELNS0_4arch9wavefront6targetE1EEEvSK_.numbered_sgpr, 0
	.set _ZN7rocprim17ROCPRIM_400000_NS6detail17trampoline_kernelINS0_14default_configENS1_22reduce_config_selectorIiEEZNS1_11reduce_implILb1ES3_N6thrust23THRUST_200600_302600_NS11hip_rocprim35transform_pair_of_input_iterators_tIiPiSB_NS8_12not_equal_toIiEEEESB_iNS8_4plusIiEEEE10hipError_tPvRmT1_T2_T3_mT4_P12ihipStream_tbEUlT_E1_NS1_11comp_targetILNS1_3genE3ELNS1_11target_archE908ELNS1_3gpuE7ELNS1_3repE0EEENS1_30default_config_static_selectorELNS0_4arch9wavefront6targetE1EEEvSK_.num_named_barrier, 0
	.set _ZN7rocprim17ROCPRIM_400000_NS6detail17trampoline_kernelINS0_14default_configENS1_22reduce_config_selectorIiEEZNS1_11reduce_implILb1ES3_N6thrust23THRUST_200600_302600_NS11hip_rocprim35transform_pair_of_input_iterators_tIiPiSB_NS8_12not_equal_toIiEEEESB_iNS8_4plusIiEEEE10hipError_tPvRmT1_T2_T3_mT4_P12ihipStream_tbEUlT_E1_NS1_11comp_targetILNS1_3genE3ELNS1_11target_archE908ELNS1_3gpuE7ELNS1_3repE0EEENS1_30default_config_static_selectorELNS0_4arch9wavefront6targetE1EEEvSK_.private_seg_size, 0
	.set _ZN7rocprim17ROCPRIM_400000_NS6detail17trampoline_kernelINS0_14default_configENS1_22reduce_config_selectorIiEEZNS1_11reduce_implILb1ES3_N6thrust23THRUST_200600_302600_NS11hip_rocprim35transform_pair_of_input_iterators_tIiPiSB_NS8_12not_equal_toIiEEEESB_iNS8_4plusIiEEEE10hipError_tPvRmT1_T2_T3_mT4_P12ihipStream_tbEUlT_E1_NS1_11comp_targetILNS1_3genE3ELNS1_11target_archE908ELNS1_3gpuE7ELNS1_3repE0EEENS1_30default_config_static_selectorELNS0_4arch9wavefront6targetE1EEEvSK_.uses_vcc, 0
	.set _ZN7rocprim17ROCPRIM_400000_NS6detail17trampoline_kernelINS0_14default_configENS1_22reduce_config_selectorIiEEZNS1_11reduce_implILb1ES3_N6thrust23THRUST_200600_302600_NS11hip_rocprim35transform_pair_of_input_iterators_tIiPiSB_NS8_12not_equal_toIiEEEESB_iNS8_4plusIiEEEE10hipError_tPvRmT1_T2_T3_mT4_P12ihipStream_tbEUlT_E1_NS1_11comp_targetILNS1_3genE3ELNS1_11target_archE908ELNS1_3gpuE7ELNS1_3repE0EEENS1_30default_config_static_selectorELNS0_4arch9wavefront6targetE1EEEvSK_.uses_flat_scratch, 0
	.set _ZN7rocprim17ROCPRIM_400000_NS6detail17trampoline_kernelINS0_14default_configENS1_22reduce_config_selectorIiEEZNS1_11reduce_implILb1ES3_N6thrust23THRUST_200600_302600_NS11hip_rocprim35transform_pair_of_input_iterators_tIiPiSB_NS8_12not_equal_toIiEEEESB_iNS8_4plusIiEEEE10hipError_tPvRmT1_T2_T3_mT4_P12ihipStream_tbEUlT_E1_NS1_11comp_targetILNS1_3genE3ELNS1_11target_archE908ELNS1_3gpuE7ELNS1_3repE0EEENS1_30default_config_static_selectorELNS0_4arch9wavefront6targetE1EEEvSK_.has_dyn_sized_stack, 0
	.set _ZN7rocprim17ROCPRIM_400000_NS6detail17trampoline_kernelINS0_14default_configENS1_22reduce_config_selectorIiEEZNS1_11reduce_implILb1ES3_N6thrust23THRUST_200600_302600_NS11hip_rocprim35transform_pair_of_input_iterators_tIiPiSB_NS8_12not_equal_toIiEEEESB_iNS8_4plusIiEEEE10hipError_tPvRmT1_T2_T3_mT4_P12ihipStream_tbEUlT_E1_NS1_11comp_targetILNS1_3genE3ELNS1_11target_archE908ELNS1_3gpuE7ELNS1_3repE0EEENS1_30default_config_static_selectorELNS0_4arch9wavefront6targetE1EEEvSK_.has_recursion, 0
	.set _ZN7rocprim17ROCPRIM_400000_NS6detail17trampoline_kernelINS0_14default_configENS1_22reduce_config_selectorIiEEZNS1_11reduce_implILb1ES3_N6thrust23THRUST_200600_302600_NS11hip_rocprim35transform_pair_of_input_iterators_tIiPiSB_NS8_12not_equal_toIiEEEESB_iNS8_4plusIiEEEE10hipError_tPvRmT1_T2_T3_mT4_P12ihipStream_tbEUlT_E1_NS1_11comp_targetILNS1_3genE3ELNS1_11target_archE908ELNS1_3gpuE7ELNS1_3repE0EEENS1_30default_config_static_selectorELNS0_4arch9wavefront6targetE1EEEvSK_.has_indirect_call, 0
	.section	.AMDGPU.csdata,"",@progbits
; Kernel info:
; codeLenInByte = 0
; TotalNumSgprs: 4
; NumVgprs: 0
; ScratchSize: 0
; MemoryBound: 0
; FloatMode: 240
; IeeeMode: 1
; LDSByteSize: 0 bytes/workgroup (compile time only)
; SGPRBlocks: 0
; VGPRBlocks: 0
; NumSGPRsForWavesPerEU: 4
; NumVGPRsForWavesPerEU: 1
; Occupancy: 10
; WaveLimiterHint : 0
; COMPUTE_PGM_RSRC2:SCRATCH_EN: 0
; COMPUTE_PGM_RSRC2:USER_SGPR: 6
; COMPUTE_PGM_RSRC2:TRAP_HANDLER: 0
; COMPUTE_PGM_RSRC2:TGID_X_EN: 1
; COMPUTE_PGM_RSRC2:TGID_Y_EN: 0
; COMPUTE_PGM_RSRC2:TGID_Z_EN: 0
; COMPUTE_PGM_RSRC2:TIDIG_COMP_CNT: 0
	.section	.text._ZN7rocprim17ROCPRIM_400000_NS6detail17trampoline_kernelINS0_14default_configENS1_22reduce_config_selectorIiEEZNS1_11reduce_implILb1ES3_N6thrust23THRUST_200600_302600_NS11hip_rocprim35transform_pair_of_input_iterators_tIiPiSB_NS8_12not_equal_toIiEEEESB_iNS8_4plusIiEEEE10hipError_tPvRmT1_T2_T3_mT4_P12ihipStream_tbEUlT_E1_NS1_11comp_targetILNS1_3genE2ELNS1_11target_archE906ELNS1_3gpuE6ELNS1_3repE0EEENS1_30default_config_static_selectorELNS0_4arch9wavefront6targetE1EEEvSK_,"axG",@progbits,_ZN7rocprim17ROCPRIM_400000_NS6detail17trampoline_kernelINS0_14default_configENS1_22reduce_config_selectorIiEEZNS1_11reduce_implILb1ES3_N6thrust23THRUST_200600_302600_NS11hip_rocprim35transform_pair_of_input_iterators_tIiPiSB_NS8_12not_equal_toIiEEEESB_iNS8_4plusIiEEEE10hipError_tPvRmT1_T2_T3_mT4_P12ihipStream_tbEUlT_E1_NS1_11comp_targetILNS1_3genE2ELNS1_11target_archE906ELNS1_3gpuE6ELNS1_3repE0EEENS1_30default_config_static_selectorELNS0_4arch9wavefront6targetE1EEEvSK_,comdat
	.protected	_ZN7rocprim17ROCPRIM_400000_NS6detail17trampoline_kernelINS0_14default_configENS1_22reduce_config_selectorIiEEZNS1_11reduce_implILb1ES3_N6thrust23THRUST_200600_302600_NS11hip_rocprim35transform_pair_of_input_iterators_tIiPiSB_NS8_12not_equal_toIiEEEESB_iNS8_4plusIiEEEE10hipError_tPvRmT1_T2_T3_mT4_P12ihipStream_tbEUlT_E1_NS1_11comp_targetILNS1_3genE2ELNS1_11target_archE906ELNS1_3gpuE6ELNS1_3repE0EEENS1_30default_config_static_selectorELNS0_4arch9wavefront6targetE1EEEvSK_ ; -- Begin function _ZN7rocprim17ROCPRIM_400000_NS6detail17trampoline_kernelINS0_14default_configENS1_22reduce_config_selectorIiEEZNS1_11reduce_implILb1ES3_N6thrust23THRUST_200600_302600_NS11hip_rocprim35transform_pair_of_input_iterators_tIiPiSB_NS8_12not_equal_toIiEEEESB_iNS8_4plusIiEEEE10hipError_tPvRmT1_T2_T3_mT4_P12ihipStream_tbEUlT_E1_NS1_11comp_targetILNS1_3genE2ELNS1_11target_archE906ELNS1_3gpuE6ELNS1_3repE0EEENS1_30default_config_static_selectorELNS0_4arch9wavefront6targetE1EEEvSK_
	.globl	_ZN7rocprim17ROCPRIM_400000_NS6detail17trampoline_kernelINS0_14default_configENS1_22reduce_config_selectorIiEEZNS1_11reduce_implILb1ES3_N6thrust23THRUST_200600_302600_NS11hip_rocprim35transform_pair_of_input_iterators_tIiPiSB_NS8_12not_equal_toIiEEEESB_iNS8_4plusIiEEEE10hipError_tPvRmT1_T2_T3_mT4_P12ihipStream_tbEUlT_E1_NS1_11comp_targetILNS1_3genE2ELNS1_11target_archE906ELNS1_3gpuE6ELNS1_3repE0EEENS1_30default_config_static_selectorELNS0_4arch9wavefront6targetE1EEEvSK_
	.p2align	8
	.type	_ZN7rocprim17ROCPRIM_400000_NS6detail17trampoline_kernelINS0_14default_configENS1_22reduce_config_selectorIiEEZNS1_11reduce_implILb1ES3_N6thrust23THRUST_200600_302600_NS11hip_rocprim35transform_pair_of_input_iterators_tIiPiSB_NS8_12not_equal_toIiEEEESB_iNS8_4plusIiEEEE10hipError_tPvRmT1_T2_T3_mT4_P12ihipStream_tbEUlT_E1_NS1_11comp_targetILNS1_3genE2ELNS1_11target_archE906ELNS1_3gpuE6ELNS1_3repE0EEENS1_30default_config_static_selectorELNS0_4arch9wavefront6targetE1EEEvSK_,@function
_ZN7rocprim17ROCPRIM_400000_NS6detail17trampoline_kernelINS0_14default_configENS1_22reduce_config_selectorIiEEZNS1_11reduce_implILb1ES3_N6thrust23THRUST_200600_302600_NS11hip_rocprim35transform_pair_of_input_iterators_tIiPiSB_NS8_12not_equal_toIiEEEESB_iNS8_4plusIiEEEE10hipError_tPvRmT1_T2_T3_mT4_P12ihipStream_tbEUlT_E1_NS1_11comp_targetILNS1_3genE2ELNS1_11target_archE906ELNS1_3gpuE6ELNS1_3repE0EEENS1_30default_config_static_selectorELNS0_4arch9wavefront6targetE1EEEvSK_: ; @_ZN7rocprim17ROCPRIM_400000_NS6detail17trampoline_kernelINS0_14default_configENS1_22reduce_config_selectorIiEEZNS1_11reduce_implILb1ES3_N6thrust23THRUST_200600_302600_NS11hip_rocprim35transform_pair_of_input_iterators_tIiPiSB_NS8_12not_equal_toIiEEEESB_iNS8_4plusIiEEEE10hipError_tPvRmT1_T2_T3_mT4_P12ihipStream_tbEUlT_E1_NS1_11comp_targetILNS1_3genE2ELNS1_11target_archE906ELNS1_3gpuE6ELNS1_3repE0EEENS1_30default_config_static_selectorELNS0_4arch9wavefront6targetE1EEEvSK_
; %bb.0:
	s_load_dword s33, s[4:5], 0x4
	s_load_dwordx4 s[40:43], s[4:5], 0x8
	s_load_dwordx4 s[36:39], s[4:5], 0x20
	s_waitcnt lgkmcnt(0)
	s_cmp_lt_i32 s33, 8
	s_cbranch_scc1 .LBB933_11
; %bb.1:
	s_cmp_gt_i32 s33, 15
	s_cbranch_scc0 .LBB933_12
; %bb.2:
	s_cmp_gt_i32 s33, 31
	s_cbranch_scc0 .LBB933_13
; %bb.3:
	s_cmp_eq_u32 s33, 32
	s_mov_b64 s[16:17], 0
	s_cbranch_scc0 .LBB933_14
; %bb.4:
	s_mov_b32 s7, 0
	s_lshl_b32 s22, s6, 13
	s_mov_b32 s23, s7
	s_lshr_b64 s[0:1], s[36:37], 13
	s_lshl_b64 s[2:3], s[22:23], 2
	s_add_u32 s18, s40, s2
	s_addc_u32 s19, s41, s3
	s_add_u32 s20, s42, s2
	s_addc_u32 s21, s43, s3
	s_cmp_lg_u64 s[0:1], s[6:7]
	s_cbranch_scc0 .LBB933_23
; %bb.5:
	v_lshlrev_b32_e32 v9, 2, v0
	global_load_dword v10, v9, s[18:19]
	global_load_dword v11, v9, s[20:21]
	global_load_dword v12, v9, s[18:19] offset:1024
	global_load_dword v13, v9, s[20:21] offset:1024
	v_mov_b32_e32 v1, s19
	v_add_co_u32_e32 v14, vcc, s18, v9
	v_addc_co_u32_e32 v15, vcc, 0, v1, vcc
	global_load_dword v18, v9, s[18:19] offset:2048
	global_load_dword v19, v9, s[20:21] offset:2048
	v_mov_b32_e32 v2, s21
	v_add_co_u32_e32 v16, vcc, s20, v9
	s_movk_i32 s0, 0x1000
	v_addc_co_u32_e32 v17, vcc, 0, v2, vcc
	v_add_co_u32_e32 v1, vcc, s0, v14
	s_movk_i32 s1, 0x2000
	v_addc_co_u32_e32 v2, vcc, 0, v15, vcc
	v_add_co_u32_e32 v3, vcc, s1, v14
	v_addc_co_u32_e32 v4, vcc, 0, v15, vcc
	v_add_co_u32_e32 v5, vcc, s0, v16
	;; [unrolled: 2-line block ×3, first 2 shown]
	v_addc_co_u32_e32 v8, vcc, 0, v17, vcc
	global_load_dword v20, v[3:4], off offset:-4096
	global_load_dword v21, v[7:8], off offset:-4096
	global_load_dword v22, v[1:2], off offset:2048
	global_load_dword v23, v[5:6], off offset:2048
	global_load_dword v24, v[3:4], off
	global_load_dword v25, v[7:8], off
	global_load_dword v26, v9, s[20:21] offset:3072
	global_load_dword v27, v9, s[18:19] offset:3072
	global_load_dword v28, v[5:6], off offset:3072
	global_load_dword v29, v[5:6], off offset:1024
	;; [unrolled: 1-line block ×7, first 2 shown]
                                        ; kill: killed $vgpr5 killed $vgpr6
                                        ; kill: killed $vgpr1 killed $vgpr2
                                        ; kill: killed $vgpr9
	global_load_dword v9, v[7:8], off offset:2048
	s_movk_i32 s0, 0x4000
	v_add_co_u32_e32 v1, vcc, s0, v14
	v_addc_co_u32_e32 v2, vcc, 0, v15, vcc
	global_load_dword v35, v[3:4], off offset:3072
	v_add_co_u32_e64 v3, s[0:1], s0, v16
	global_load_dword v36, v[7:8], off offset:3072
	v_addc_co_u32_e64 v4, s[0:1], 0, v17, s[0:1]
	s_movk_i32 s2, 0x6000
	s_movk_i32 s12, 0x3000
	s_movk_i32 s23, 0x5000
	s_waitcnt vmcnt(22)
	v_cmp_ne_u32_e32 vcc, v10, v11
	v_cndmask_b32_e64 v5, 0, 1, vcc
	s_waitcnt vmcnt(20)
	v_cmp_ne_u32_e32 vcc, v12, v13
	global_load_dword v13, v[1:2], off offset:-4096
	global_load_dword v37, v[3:4], off offset:-4096
	v_addc_co_u32_e32 v5, vcc, 0, v5, vcc
	s_waitcnt vmcnt(20)
	v_cmp_ne_u32_e64 s[0:1], v18, v19
	v_cndmask_b32_e64 v6, 0, 1, s[0:1]
	s_waitcnt vmcnt(18)
	v_cmp_ne_u32_e32 vcc, v20, v21
	v_cndmask_b32_e64 v7, 0, 1, vcc
	s_waitcnt vmcnt(16)
	v_cmp_ne_u32_e32 vcc, v22, v23
	v_cndmask_b32_e64 v8, 0, 1, vcc
	;; [unrolled: 3-line block ×3, first 2 shown]
	s_waitcnt vmcnt(12)
	v_cmp_ne_u32_e32 vcc, v27, v26
	v_addc_co_u32_e32 v5, vcc, v5, v6, vcc
	global_load_dword v20, v[1:2], off
	global_load_dword v21, v[3:4], off
	s_waitcnt vmcnt(10)
	v_cmp_ne_u32_e32 vcc, v31, v29
	v_addc_co_u32_e32 v5, vcc, v5, v7, vcc
	v_cmp_ne_u32_e32 vcc, v30, v28
	v_addc_co_u32_e32 v19, vcc, v5, v8, vcc
	v_add_co_u32_e64 v5, s[0:1], s2, v14
	v_addc_co_u32_e64 v6, s[0:1], 0, v15, s[0:1]
	v_add_co_u32_e64 v7, s[0:1], s2, v16
	v_addc_co_u32_e64 v8, s[0:1], 0, v17, s[0:1]
	global_load_dword v22, v[5:6], off offset:-4096
	global_load_dword v23, v[7:8], off offset:-4096
	s_waitcnt vmcnt(8)
	v_cmp_ne_u32_e64 s[0:1], v34, v9
	global_load_dword v25, v[5:6], off
	global_load_dword v26, v[7:8], off
	s_movk_i32 s2, 0x7000
	v_cndmask_b32_e64 v24, 0, 1, s[0:1]
	v_add_co_u32_e64 v9, s[0:1], s2, v14
	v_addc_co_u32_e64 v10, s[0:1], 0, v15, s[0:1]
	v_add_co_u32_e64 v11, s[0:1], s2, v16
	v_cmp_ne_u32_e32 vcc, v33, v32
	v_addc_co_u32_e64 v12, s[0:1], 0, v17, s[0:1]
	global_load_dword v27, v[9:10], off
	global_load_dword v28, v[11:12], off
	v_addc_co_u32_e32 v18, vcc, v19, v18, vcc
	global_load_dword v19, v[1:2], off offset:1024
	global_load_dword v29, v[1:2], off offset:2048
	;; [unrolled: 1-line block ×6, first 2 shown]
	v_add_co_u32_e64 v1, s[10:11], s12, v14
	v_add_co_u32_e64 v3, s[12:13], s12, v16
	v_addc_co_u32_e64 v2, s[10:11], 0, v15, s[10:11]
	v_addc_co_u32_e64 v4, s[12:13], 0, v17, s[12:13]
	s_waitcnt vmcnt(16)
	v_cmp_ne_u32_e32 vcc, v35, v36
	v_addc_co_u32_e32 v18, vcc, v18, v24, vcc
	s_waitcnt vmcnt(14)
	v_cmp_ne_u32_e64 s[0:1], v13, v37
	global_load_dword v13, v[9:10], off offset:2048
	global_load_dword v34, v[11:12], off offset:2048
	s_waitcnt vmcnt(14)
	v_cmp_ne_u32_e64 s[2:3], v20, v21
	global_load_dword v20, v[5:6], off offset:1024
	global_load_dword v21, v[5:6], off offset:2048
	;; [unrolled: 1-line block ×6, first 2 shown]
	v_add_co_u32_e64 v5, s[14:15], s23, v14
	v_addc_co_u32_e64 v6, s[14:15], 0, v15, s[14:15]
	v_add_co_u32_e64 v7, s[14:15], s23, v16
	v_addc_co_u32_e64 v8, s[14:15], 0, v17, s[14:15]
	s_waitcnt vmcnt(18)
	v_cmp_ne_u32_e64 s[8:9], v22, v23
	s_waitcnt vmcnt(16)
	v_cmp_ne_u32_e64 s[10:11], v25, v26
	global_load_dword v22, v[9:10], off offset:3072
	global_load_dword v23, v[9:10], off offset:1024
	;; [unrolled: 1-line block ×5, first 2 shown]
	s_waitcnt vmcnt(19)
	v_cmp_ne_u32_e64 s[12:13], v27, v28
	global_load_dword v9, v[3:4], off offset:2048
	global_load_dword v10, v[5:6], off offset:2048
	v_cndmask_b32_e64 v17, 0, 1, s[12:13]
	s_waitcnt vmcnt(13)
	v_cmp_ne_u32_e64 s[14:15], v13, v34
	global_load_dword v11, v[7:8], off offset:2048
	global_load_dword v12, v[1:2], off offset:3072
	global_load_dword v13, v[1:2], off offset:1024
	global_load_dword v14, v[3:4], off offset:3072
	global_load_dword v15, v[3:4], off offset:1024
	global_load_dword v16, v[5:6], off offset:3072
                                        ; kill: killed $vgpr3 killed $vgpr4
                                        ; kill: killed $vgpr1 killed $vgpr2
	s_nop 0
	global_load_dword v1, v[5:6], off offset:1024
	global_load_dword v2, v[7:8], off offset:3072
	;; [unrolled: 1-line block ×3, first 2 shown]
	v_cndmask_b32_e64 v4, 0, 1, s[0:1]
	v_cndmask_b32_e64 v6, 0, 1, s[2:3]
	;; [unrolled: 1-line block ×3, first 2 shown]
	s_waitcnt vmcnt(10)
	v_cmp_ne_u32_e64 s[0:1], v39, v9
	v_cndmask_b32_e64 v5, 0, 1, s[0:1]
	v_cmp_ne_u32_e64 s[0:1], v29, v32
	v_cndmask_b32_e64 v7, 0, 1, s[0:1]
	s_waitcnt vmcnt(8)
	v_cmp_ne_u32_e64 s[0:1], v10, v11
	v_cndmask_b32_e64 v9, 0, 1, s[0:1]
	v_cndmask_b32_e64 v10, 0, 1, s[10:11]
	v_cmp_ne_u32_e64 s[0:1], v21, v37
	s_waitcnt vmcnt(4)
	v_cmp_ne_u32_e32 vcc, v13, v15
	v_addc_co_u32_e32 v4, vcc, v18, v4, vcc
	v_cmp_ne_u32_e32 vcc, v12, v14
	v_addc_co_u32_e32 v4, vcc, v4, v5, vcc
	;; [unrolled: 2-line block ×4, first 2 shown]
	s_waitcnt vmcnt(0)
	v_cmp_ne_u32_e32 vcc, v1, v3
	v_addc_co_u32_e32 v1, vcc, v4, v8, vcc
	v_cmp_ne_u32_e32 vcc, v16, v2
	v_addc_co_u32_e32 v1, vcc, v1, v9, vcc
	;; [unrolled: 2-line block ×3, first 2 shown]
	v_cndmask_b32_e64 v11, 0, 1, s[0:1]
	v_cmp_ne_u32_e32 vcc, v35, v38
	v_addc_co_u32_e32 v1, vcc, v1, v11, vcc
	v_cmp_ne_u32_e32 vcc, v23, v26
	v_addc_co_u32_e32 v1, vcc, v1, v17, vcc
	v_cndmask_b32_e64 v21, 0, 1, s[14:15]
	v_cmp_ne_u32_e32 vcc, v22, v25
	v_addc_co_u32_e32 v1, vcc, v1, v21, vcc
	v_mbcnt_lo_u32_b32 v2, -1, 0
	s_nop 0
	v_add_u32_dpp v1, v1, v1 quad_perm:[1,0,3,2] row_mask:0xf bank_mask:0xf bound_ctrl:1
	v_mbcnt_hi_u32_b32 v2, -1, v2
	v_lshlrev_b32_e32 v3, 2, v2
	v_add_u32_dpp v1, v1, v1 quad_perm:[2,3,0,1] row_mask:0xf bank_mask:0xf bound_ctrl:1
	v_or_b32_e32 v4, 0xfc, v3
	v_cmp_eq_u32_e32 vcc, 0, v2
	v_add_u32_dpp v1, v1, v1 row_ror:4 row_mask:0xf bank_mask:0xf bound_ctrl:1
	s_nop 1
	v_add_u32_dpp v1, v1, v1 row_ror:8 row_mask:0xf bank_mask:0xf bound_ctrl:1
	s_nop 1
	v_add_u32_dpp v1, v1, v1 row_bcast:15 row_mask:0xf bank_mask:0xf bound_ctrl:1
	s_nop 1
	v_add_u32_dpp v1, v1, v1 row_bcast:31 row_mask:0xf bank_mask:0xf bound_ctrl:1
	ds_bpermute_b32 v1, v4, v1
	s_and_saveexec_b64 s[0:1], vcc
	s_cbranch_execz .LBB933_7
; %bb.6:
	v_lshrrev_b32_e32 v4, 4, v0
	v_and_b32_e32 v4, 12, v4
	s_waitcnt lgkmcnt(0)
	ds_write_b32 v4, v1 offset:48
.LBB933_7:
	s_or_b64 exec, exec, s[0:1]
	v_cmp_gt_u32_e32 vcc, 64, v0
	s_waitcnt lgkmcnt(0)
	s_barrier
	s_and_saveexec_b64 s[0:1], vcc
	s_cbranch_execz .LBB933_9
; %bb.8:
	v_and_b32_e32 v1, 3, v2
	v_lshlrev_b32_e32 v4, 2, v1
	ds_read_b32 v4, v4 offset:48
	v_cmp_ne_u32_e32 vcc, 3, v1
	v_addc_co_u32_e32 v1, vcc, 0, v2, vcc
	v_lshlrev_b32_e32 v1, 2, v1
	s_waitcnt lgkmcnt(0)
	ds_bpermute_b32 v1, v1, v4
	v_or_b32_e32 v2, 8, v3
	s_waitcnt lgkmcnt(0)
	v_add_u32_e32 v1, v1, v4
	ds_bpermute_b32 v2, v2, v1
	s_waitcnt lgkmcnt(0)
	v_add_u32_e32 v1, v2, v1
.LBB933_9:
	s_or_b64 exec, exec, s[0:1]
.LBB933_10:
	v_cmp_eq_u32_e64 s[0:1], 0, v0
	s_and_b64 vcc, exec, s[16:17]
	s_cbranch_vccnz .LBB933_15
	s_branch .LBB933_93
.LBB933_11:
	s_mov_b64 s[0:1], 0
                                        ; implicit-def: $vgpr1
	s_cbranch_execnz .LBB933_166
	s_branch .LBB933_224
.LBB933_12:
	s_mov_b64 s[0:1], 0
                                        ; implicit-def: $vgpr1
	s_cbranch_execnz .LBB933_134
	s_branch .LBB933_142
.LBB933_13:
	s_mov_b64 s[16:17], -1
.LBB933_14:
	s_mov_b64 s[0:1], 0
                                        ; implicit-def: $vgpr1
	s_and_b64 vcc, exec, s[16:17]
	s_cbranch_vccz .LBB933_93
.LBB933_15:
	s_cmp_eq_u32 s33, 16
	s_cbranch_scc0 .LBB933_22
; %bb.16:
	s_mov_b32 s7, 0
	s_lshl_b32 s0, s6, 12
	s_mov_b32 s1, s7
	s_lshr_b64 s[2:3], s[36:37], 12
	s_lshl_b64 s[8:9], s[0:1], 2
	s_add_u32 s34, s40, s8
	s_addc_u32 s35, s41, s9
	s_add_u32 s44, s42, s8
	s_addc_u32 s45, s43, s9
	s_cmp_lg_u64 s[2:3], s[6:7]
	s_cbranch_scc0 .LBB933_94
; %bb.17:
	v_lshlrev_b32_e32 v1, 2, v0
	global_load_dword v13, v1, s[34:35]
	global_load_dword v14, v1, s[44:45]
	v_mov_b32_e32 v2, s35
	v_add_co_u32_e32 v9, vcc, s34, v1
	v_addc_co_u32_e32 v10, vcc, 0, v2, vcc
	v_mov_b32_e32 v3, s45
	v_add_co_u32_e32 v11, vcc, s44, v1
	s_movk_i32 s1, 0x1000
	v_addc_co_u32_e32 v12, vcc, 0, v3, vcc
	global_load_dword v15, v1, s[34:35] offset:1024
	global_load_dword v16, v1, s[44:45] offset:1024
	;; [unrolled: 1-line block ×6, first 2 shown]
	v_add_co_u32_e32 v1, vcc, s1, v9
	s_movk_i32 s2, 0x2000
	v_addc_co_u32_e32 v2, vcc, 0, v10, vcc
	v_add_co_u32_e32 v3, vcc, s2, v9
	v_addc_co_u32_e32 v4, vcc, 0, v10, vcc
	v_add_co_u32_e32 v5, vcc, s1, v11
	v_addc_co_u32_e32 v6, vcc, 0, v12, vcc
	v_add_co_u32_e32 v7, vcc, s2, v11
	s_movk_i32 s3, 0x3000
	v_addc_co_u32_e32 v8, vcc, 0, v12, vcc
	v_add_co_u32_e32 v9, vcc, s3, v9
	v_addc_co_u32_e32 v10, vcc, 0, v10, vcc
	v_add_co_u32_e32 v11, vcc, s3, v11
	v_addc_co_u32_e32 v12, vcc, 0, v12, vcc
	global_load_dword v21, v[3:4], off offset:-4096
	global_load_dword v22, v[7:8], off offset:-4096
	global_load_dword v23, v[1:2], off offset:2048
	global_load_dword v24, v[5:6], off offset:2048
	global_load_dword v25, v[3:4], off
	global_load_dword v26, v[3:4], off offset:2048
	global_load_dword v27, v[7:8], off
	;; [unrolled: 2-line block ×3, first 2 shown]
	global_load_dword v30, v[9:10], off
	global_load_dword v31, v[9:10], off offset:2048
	s_waitcnt vmcnt(17)
	v_cmp_ne_u32_e32 vcc, v13, v14
	global_load_dword v13, v[11:12], off offset:2048
	global_load_dword v14, v[1:2], off offset:3072
	;; [unrolled: 1-line block ×6, first 2 shown]
                                        ; kill: killed $vgpr5 killed $vgpr6
                                        ; kill: killed $vgpr1 killed $vgpr2
	s_nop 0
	global_load_dword v1, v[3:4], off offset:1024
	global_load_dword v2, v[7:8], off offset:3072
	;; [unrolled: 1-line block ×4, first 2 shown]
                                        ; kill: killed $vgpr7 killed $vgpr8
                                        ; kill: killed $vgpr3 killed $vgpr4
	s_nop 0
	global_load_dword v3, v[9:10], off offset:1024
	global_load_dword v4, v[11:12], off offset:3072
	global_load_dword v7, v[11:12], off offset:1024
	v_cndmask_b32_e64 v8, 0, 1, vcc
	s_waitcnt vmcnt(26)
	v_cmp_ne_u32_e32 vcc, v17, v18
	v_cndmask_b32_e64 v9, 0, 1, vcc
	s_waitcnt vmcnt(22)
	v_cmp_ne_u32_e32 vcc, v21, v22
	v_cndmask_b32_e64 v10, 0, 1, vcc
	s_waitcnt vmcnt(20)
	v_cmp_ne_u32_e32 vcc, v23, v24
	v_cndmask_b32_e64 v11, 0, 1, vcc
	s_waitcnt vmcnt(17)
	v_cmp_ne_u32_e32 vcc, v25, v27
	v_cndmask_b32_e64 v12, 0, 1, vcc
	s_waitcnt vmcnt(16)
	v_cmp_ne_u32_e32 vcc, v26, v28
	v_cndmask_b32_e64 v17, 0, 1, vcc
	s_waitcnt vmcnt(14)
	v_cmp_ne_u32_e32 vcc, v30, v29
	v_cndmask_b32_e64 v18, 0, 1, vcc
	s_waitcnt vmcnt(12)
	v_cmp_ne_u32_e32 vcc, v31, v13
	v_cndmask_b32_e64 v13, 0, 1, vcc
	v_cmp_ne_u32_e32 vcc, v15, v16
	v_addc_co_u32_e32 v8, vcc, 0, v8, vcc
	v_cmp_ne_u32_e32 vcc, v20, v19
	v_addc_co_u32_e32 v8, vcc, v8, v9, vcc
	s_waitcnt vmcnt(8)
	v_cmp_ne_u32_e32 vcc, v32, v34
	v_addc_co_u32_e32 v8, vcc, v8, v10, vcc
	v_cmp_ne_u32_e32 vcc, v14, v33
	v_addc_co_u32_e32 v8, vcc, v8, v11, vcc
	s_waitcnt vmcnt(4)
	;; [unrolled: 5-line block ×3, first 2 shown]
	v_cmp_ne_u32_e32 vcc, v3, v7
	v_addc_co_u32_e32 v1, vcc, v1, v18, vcc
	v_cmp_ne_u32_e32 vcc, v6, v4
	v_addc_co_u32_e32 v1, vcc, v1, v13, vcc
	v_mbcnt_lo_u32_b32 v2, -1, 0
	s_nop 0
	v_add_u32_dpp v1, v1, v1 quad_perm:[1,0,3,2] row_mask:0xf bank_mask:0xf bound_ctrl:1
	v_mbcnt_hi_u32_b32 v2, -1, v2
	v_lshlrev_b32_e32 v3, 2, v2
	v_add_u32_dpp v1, v1, v1 quad_perm:[2,3,0,1] row_mask:0xf bank_mask:0xf bound_ctrl:1
	v_or_b32_e32 v4, 0xfc, v3
	v_cmp_eq_u32_e32 vcc, 0, v2
	v_add_u32_dpp v1, v1, v1 row_ror:4 row_mask:0xf bank_mask:0xf bound_ctrl:1
	s_nop 1
	v_add_u32_dpp v1, v1, v1 row_ror:8 row_mask:0xf bank_mask:0xf bound_ctrl:1
	s_nop 1
	v_add_u32_dpp v1, v1, v1 row_bcast:15 row_mask:0xf bank_mask:0xf bound_ctrl:1
	s_nop 1
	v_add_u32_dpp v1, v1, v1 row_bcast:31 row_mask:0xf bank_mask:0xf bound_ctrl:1
	ds_bpermute_b32 v1, v4, v1
	s_and_saveexec_b64 s[2:3], vcc
	s_cbranch_execz .LBB933_19
; %bb.18:
	v_lshrrev_b32_e32 v4, 4, v0
	v_and_b32_e32 v4, 12, v4
	s_waitcnt lgkmcnt(0)
	ds_write_b32 v4, v1
.LBB933_19:
	s_or_b64 exec, exec, s[2:3]
	v_cmp_gt_u32_e32 vcc, 64, v0
	s_waitcnt lgkmcnt(0)
	s_barrier
	s_and_saveexec_b64 s[2:3], vcc
	s_cbranch_execz .LBB933_21
; %bb.20:
	v_and_b32_e32 v1, 3, v2
	v_lshlrev_b32_e32 v4, 2, v1
	ds_read_b32 v4, v4
	v_cmp_ne_u32_e32 vcc, 3, v1
	v_addc_co_u32_e32 v1, vcc, 0, v2, vcc
	v_lshlrev_b32_e32 v1, 2, v1
	s_waitcnt lgkmcnt(0)
	ds_bpermute_b32 v1, v1, v4
	v_or_b32_e32 v2, 8, v3
	s_waitcnt lgkmcnt(0)
	v_add_u32_e32 v1, v1, v4
	ds_bpermute_b32 v2, v2, v1
	s_waitcnt lgkmcnt(0)
	v_add_u32_e32 v1, v2, v1
.LBB933_21:
	s_or_b64 exec, exec, s[2:3]
	s_mov_b64 s[2:3], 0
	s_branch .LBB933_95
.LBB933_22:
                                        ; implicit-def: $vgpr1
	s_branch .LBB933_142
.LBB933_23:
                                        ; implicit-def: $vgpr1
	s_cbranch_execz .LBB933_10
; %bb.24:
	s_sub_i32 s2, s36, s22
	v_cmp_gt_u32_e32 vcc, s2, v0
                                        ; implicit-def: $vgpr1
	s_and_saveexec_b64 s[0:1], vcc
	s_cbranch_execz .LBB933_26
; %bb.25:
	v_lshlrev_b32_e32 v1, 2, v0
	global_load_dword v2, v1, s[18:19]
	global_load_dword v3, v1, s[20:21]
	s_waitcnt vmcnt(0)
	v_cmp_ne_u32_e32 vcc, v2, v3
	v_cndmask_b32_e64 v1, 0, 1, vcc
.LBB933_26:
	s_or_b64 exec, exec, s[0:1]
	v_or_b32_e32 v2, 0x100, v0
	v_cmp_gt_u32_e32 vcc, s2, v2
	v_mov_b32_e32 v2, 0
	v_mov_b32_e32 v3, 0
	s_and_saveexec_b64 s[0:1], vcc
	s_cbranch_execz .LBB933_28
; %bb.27:
	v_lshlrev_b32_e32 v3, 2, v0
	global_load_dword v4, v3, s[18:19] offset:1024
	global_load_dword v5, v3, s[20:21] offset:1024
	s_waitcnt vmcnt(0)
	v_cmp_ne_u32_e32 vcc, v4, v5
	v_cndmask_b32_e64 v3, 0, 1, vcc
.LBB933_28:
	s_or_b64 exec, exec, s[0:1]
	v_or_b32_e32 v4, 0x200, v0
	v_cmp_gt_u32_e32 vcc, s2, v4
	s_and_saveexec_b64 s[0:1], vcc
	s_cbranch_execz .LBB933_30
; %bb.29:
	v_lshlrev_b32_e32 v2, 2, v0
	global_load_dword v4, v2, s[18:19] offset:2048
	global_load_dword v5, v2, s[20:21] offset:2048
	s_waitcnt vmcnt(0)
	v_cmp_ne_u32_e32 vcc, v4, v5
	v_cndmask_b32_e64 v2, 0, 1, vcc
.LBB933_30:
	s_or_b64 exec, exec, s[0:1]
	v_or_b32_e32 v4, 0x300, v0
	v_cmp_gt_u32_e32 vcc, s2, v4
	v_mov_b32_e32 v4, 0
	v_mov_b32_e32 v5, 0
	s_and_saveexec_b64 s[0:1], vcc
	s_cbranch_execz .LBB933_32
; %bb.31:
	v_lshlrev_b32_e32 v5, 2, v0
	global_load_dword v6, v5, s[18:19] offset:3072
	global_load_dword v7, v5, s[20:21] offset:3072
	s_waitcnt vmcnt(0)
	v_cmp_ne_u32_e32 vcc, v6, v7
	v_cndmask_b32_e64 v5, 0, 1, vcc
.LBB933_32:
	s_or_b64 exec, exec, s[0:1]
	v_or_b32_e32 v6, 0x400, v0
	v_cmp_gt_u32_e32 vcc, s2, v6
	s_and_saveexec_b64 s[0:1], vcc
	s_cbranch_execz .LBB933_34
; %bb.33:
	v_lshlrev_b32_e32 v4, 2, v6
	global_load_dword v6, v4, s[18:19]
	global_load_dword v7, v4, s[20:21]
	s_waitcnt vmcnt(0)
	v_cmp_ne_u32_e32 vcc, v6, v7
	v_cndmask_b32_e64 v4, 0, 1, vcc
.LBB933_34:
	s_or_b64 exec, exec, s[0:1]
	v_or_b32_e32 v8, 0x500, v0
	v_cmp_gt_u32_e32 vcc, s2, v8
	v_mov_b32_e32 v6, 0
	v_mov_b32_e32 v7, 0
	s_and_saveexec_b64 s[0:1], vcc
	s_cbranch_execz .LBB933_36
; %bb.35:
	v_lshlrev_b32_e32 v7, 2, v8
	global_load_dword v8, v7, s[18:19]
	global_load_dword v9, v7, s[20:21]
	s_waitcnt vmcnt(0)
	v_cmp_ne_u32_e32 vcc, v8, v9
	v_cndmask_b32_e64 v7, 0, 1, vcc
.LBB933_36:
	s_or_b64 exec, exec, s[0:1]
	v_or_b32_e32 v8, 0x600, v0
	v_cmp_gt_u32_e32 vcc, s2, v8
	s_and_saveexec_b64 s[0:1], vcc
	s_cbranch_execz .LBB933_38
; %bb.37:
	v_lshlrev_b32_e32 v6, 2, v8
	global_load_dword v8, v6, s[18:19]
	global_load_dword v9, v6, s[20:21]
	s_waitcnt vmcnt(0)
	v_cmp_ne_u32_e32 vcc, v8, v9
	v_cndmask_b32_e64 v6, 0, 1, vcc
.LBB933_38:
	s_or_b64 exec, exec, s[0:1]
	v_or_b32_e32 v10, 0x700, v0
	v_cmp_gt_u32_e32 vcc, s2, v10
	v_mov_b32_e32 v8, 0
	v_mov_b32_e32 v9, 0
	s_and_saveexec_b64 s[0:1], vcc
	s_cbranch_execz .LBB933_40
; %bb.39:
	v_lshlrev_b32_e32 v9, 2, v10
	global_load_dword v10, v9, s[18:19]
	global_load_dword v11, v9, s[20:21]
	s_waitcnt vmcnt(0)
	v_cmp_ne_u32_e32 vcc, v10, v11
	v_cndmask_b32_e64 v9, 0, 1, vcc
.LBB933_40:
	;; [unrolled: 28-line block ×13, first 2 shown]
	s_or_b64 exec, exec, s[0:1]
	v_or_b32_e32 v32, 0x1e00, v0
	v_cmp_gt_u32_e32 vcc, s2, v32
	s_and_saveexec_b64 s[0:1], vcc
	s_cbranch_execz .LBB933_86
; %bb.85:
	v_lshlrev_b32_e32 v30, 2, v32
	global_load_dword v32, v30, s[18:19]
	global_load_dword v33, v30, s[20:21]
	s_waitcnt vmcnt(0)
	v_cmp_ne_u32_e32 vcc, v32, v33
	v_cndmask_b32_e64 v30, 0, 1, vcc
.LBB933_86:
	s_or_b64 exec, exec, s[0:1]
	v_or_b32_e32 v33, 0x1f00, v0
	v_cmp_gt_u32_e32 vcc, s2, v33
	v_mov_b32_e32 v32, 0
	s_and_saveexec_b64 s[0:1], vcc
	s_cbranch_execz .LBB933_88
; %bb.87:
	v_lshlrev_b32_e32 v32, 2, v33
	global_load_dword v33, v32, s[18:19]
	global_load_dword v34, v32, s[20:21]
	s_waitcnt vmcnt(0)
	v_cmp_ne_u32_e32 vcc, v33, v34
	v_cndmask_b32_e64 v32, 0, 1, vcc
.LBB933_88:
	s_or_b64 exec, exec, s[0:1]
	v_add_u32_e32 v1, v3, v1
	v_add3_u32 v1, v1, v2, v5
	v_add3_u32 v1, v1, v4, v7
	v_add3_u32 v1, v1, v6, v9
	v_add3_u32 v1, v1, v8, v11
	v_add3_u32 v1, v1, v10, v13
	v_add3_u32 v1, v1, v12, v15
	v_add3_u32 v1, v1, v14, v17
	v_add3_u32 v1, v1, v16, v19
	v_add3_u32 v1, v1, v18, v21
	v_add3_u32 v1, v1, v20, v23
	v_mbcnt_lo_u32_b32 v2, -1, 0
	v_add3_u32 v1, v1, v22, v25
	v_mbcnt_hi_u32_b32 v2, -1, v2
	v_add3_u32 v1, v1, v24, v27
	v_and_b32_e32 v4, 63, v2
	v_add3_u32 v1, v1, v26, v29
	v_cmp_ne_u32_e32 vcc, 63, v4
	v_add3_u32 v1, v1, v28, v31
	v_addc_co_u32_e32 v3, vcc, 0, v2, vcc
	v_add3_u32 v1, v1, v30, v32
	v_lshlrev_b32_e32 v3, 2, v3
	ds_bpermute_b32 v3, v3, v1
	s_min_u32 s2, s2, 0x100
	v_and_b32_e32 v5, 0xc0, v0
	v_sub_u32_e64 v5, s2, v5 clamp
	v_add_u32_e32 v6, 1, v4
	v_cmp_lt_u32_e32 vcc, v6, v5
	s_waitcnt lgkmcnt(0)
	v_cndmask_b32_e32 v3, 0, v3, vcc
	v_cmp_gt_u32_e32 vcc, 62, v4
	v_add_u32_e32 v1, v3, v1
	v_cndmask_b32_e64 v3, 0, 2, vcc
	v_add_lshl_u32 v3, v3, v2, 2
	ds_bpermute_b32 v3, v3, v1
	v_add_u32_e32 v6, 2, v4
	v_cmp_lt_u32_e32 vcc, v6, v5
	v_add_u32_e32 v6, 4, v4
	s_waitcnt lgkmcnt(0)
	v_cndmask_b32_e32 v3, 0, v3, vcc
	v_cmp_gt_u32_e32 vcc, 60, v4
	v_add_u32_e32 v1, v1, v3
	v_cndmask_b32_e64 v3, 0, 4, vcc
	v_add_lshl_u32 v3, v3, v2, 2
	ds_bpermute_b32 v3, v3, v1
	v_cmp_lt_u32_e32 vcc, v6, v5
	v_add_u32_e32 v6, 8, v4
	s_waitcnt lgkmcnt(0)
	v_cndmask_b32_e32 v3, 0, v3, vcc
	v_cmp_gt_u32_e32 vcc, 56, v4
	v_add_u32_e32 v1, v1, v3
	v_cndmask_b32_e64 v3, 0, 8, vcc
	v_add_lshl_u32 v3, v3, v2, 2
	ds_bpermute_b32 v3, v3, v1
	v_cmp_lt_u32_e32 vcc, v6, v5
	v_add_u32_e32 v6, 16, v4
	s_waitcnt lgkmcnt(0)
	v_cndmask_b32_e32 v3, 0, v3, vcc
	v_cmp_gt_u32_e32 vcc, 48, v4
	v_add_u32_e32 v1, v1, v3
	v_cndmask_b32_e64 v3, 0, 16, vcc
	v_add_lshl_u32 v3, v3, v2, 2
	ds_bpermute_b32 v3, v3, v1
	v_cmp_lt_u32_e32 vcc, v6, v5
	v_add_u32_e32 v4, 32, v4
	s_waitcnt lgkmcnt(0)
	v_cndmask_b32_e32 v3, 0, v3, vcc
	v_add_u32_e32 v1, v1, v3
	v_lshlrev_b32_e32 v3, 2, v2
	v_or_b32_e32 v6, 0x80, v3
	ds_bpermute_b32 v6, v6, v1
	v_cmp_lt_u32_e32 vcc, v4, v5
	s_waitcnt lgkmcnt(0)
	v_cndmask_b32_e32 v4, 0, v6, vcc
	v_add_u32_e32 v1, v1, v4
	v_cmp_eq_u32_e32 vcc, 0, v2
	s_and_saveexec_b64 s[0:1], vcc
; %bb.89:
	v_lshrrev_b32_e32 v4, 4, v0
	v_and_b32_e32 v4, 12, v4
	ds_write_b32 v4, v1 offset:96
; %bb.90:
	s_or_b64 exec, exec, s[0:1]
	v_cmp_gt_u32_e32 vcc, 4, v0
	s_waitcnt lgkmcnt(0)
	s_barrier
	s_and_saveexec_b64 s[0:1], vcc
	s_cbranch_execz .LBB933_92
; %bb.91:
	ds_read_b32 v1, v3 offset:96
	v_and_b32_e32 v4, 3, v2
	v_cmp_ne_u32_e32 vcc, 3, v4
	v_addc_co_u32_e32 v2, vcc, 0, v2, vcc
	v_lshlrev_b32_e32 v2, 2, v2
	s_waitcnt lgkmcnt(0)
	ds_bpermute_b32 v2, v2, v1
	s_add_i32 s2, s2, 63
	s_lshr_b32 s2, s2, 6
	v_add_u32_e32 v5, 1, v4
	v_cmp_gt_u32_e32 vcc, s2, v5
	s_waitcnt lgkmcnt(0)
	v_cndmask_b32_e32 v2, 0, v2, vcc
	v_add_u32_e32 v1, v2, v1
	v_or_b32_e32 v2, 8, v3
	ds_bpermute_b32 v2, v2, v1
	v_add_u32_e32 v3, 2, v4
	v_cmp_gt_u32_e32 vcc, s2, v3
	s_waitcnt lgkmcnt(0)
	v_cndmask_b32_e32 v2, 0, v2, vcc
	v_add_u32_e32 v1, v1, v2
.LBB933_92:
	s_or_b64 exec, exec, s[0:1]
	v_cmp_eq_u32_e64 s[0:1], 0, v0
	s_and_b64 vcc, exec, s[16:17]
	s_cbranch_vccnz .LBB933_15
.LBB933_93:
	s_branch .LBB933_142
.LBB933_94:
	s_mov_b64 s[2:3], -1
                                        ; implicit-def: $vgpr1
.LBB933_95:
	s_and_b64 vcc, exec, s[2:3]
	s_cbranch_vccz .LBB933_133
; %bb.96:
	s_sub_i32 s48, s36, s0
	v_mov_b32_e32 v1, 0
	v_cmp_gt_u32_e32 vcc, s48, v0
	v_mov_b32_e32 v2, v1
	v_mov_b32_e32 v3, v1
	;; [unrolled: 1-line block ×15, first 2 shown]
	s_and_saveexec_b64 s[0:1], vcc
	s_cbranch_execz .LBB933_98
; %bb.97:
	v_mov_b32_e32 v2, v1
	v_mov_b32_e32 v3, v1
	;; [unrolled: 1-line block ×15, first 2 shown]
	v_lshlrev_b32_e32 v1, 2, v0
	global_load_dword v17, v1, s[34:35]
	global_load_dword v18, v1, s[44:45]
	s_waitcnt vmcnt(0)
	v_cmp_ne_u32_e32 vcc, v17, v18
	v_cndmask_b32_e64 v1, 0, 1, vcc
	v_and_b32_e32 v1, 0xffff, v1
.LBB933_98:
	s_or_b64 exec, exec, s[0:1]
	v_or_b32_e32 v17, 0x100, v0
	v_cmp_gt_u32_e32 vcc, s48, v17
	s_and_saveexec_b64 s[2:3], vcc
	s_cbranch_execz .LBB933_100
; %bb.99:
	v_lshlrev_b32_e32 v2, 2, v0
	global_load_dword v17, v2, s[34:35] offset:1024
	global_load_dword v18, v2, s[44:45] offset:1024
	s_waitcnt vmcnt(0)
	v_cmp_ne_u32_e64 s[0:1], v17, v18
	v_cndmask_b32_e64 v2, 0, 1, s[0:1]
.LBB933_100:
	s_or_b64 exec, exec, s[2:3]
	v_or_b32_e32 v17, 0x200, v0
	v_cmp_gt_u32_e64 s[0:1], s48, v17
	s_and_saveexec_b64 s[8:9], s[0:1]
	s_cbranch_execz .LBB933_102
; %bb.101:
	v_lshlrev_b32_e32 v3, 2, v0
	global_load_dword v17, v3, s[34:35] offset:2048
	global_load_dword v18, v3, s[44:45] offset:2048
	s_waitcnt vmcnt(0)
	v_cmp_ne_u32_e64 s[2:3], v17, v18
	v_cndmask_b32_e64 v3, 0, 1, s[2:3]
.LBB933_102:
	s_or_b64 exec, exec, s[8:9]
	v_or_b32_e32 v17, 0x300, v0
	v_cmp_gt_u32_e64 s[2:3], s48, v17
	s_and_saveexec_b64 s[10:11], s[2:3]
	;; [unrolled: 13-line block ×3, first 2 shown]
	s_cbranch_execz .LBB933_106
; %bb.105:
	v_lshlrev_b32_e32 v5, 2, v17
	global_load_dword v17, v5, s[34:35]
	global_load_dword v18, v5, s[44:45]
	s_waitcnt vmcnt(0)
	v_cmp_ne_u32_e64 s[10:11], v17, v18
	v_cndmask_b32_e64 v5, 0, 1, s[10:11]
.LBB933_106:
	s_or_b64 exec, exec, s[12:13]
	v_or_b32_e32 v17, 0x500, v0
	v_cmp_gt_u32_e64 s[10:11], s48, v17
	s_and_saveexec_b64 s[14:15], s[10:11]
	s_cbranch_execz .LBB933_108
; %bb.107:
	v_lshlrev_b32_e32 v6, 2, v17
	global_load_dword v17, v6, s[34:35]
	global_load_dword v18, v6, s[44:45]
	s_waitcnt vmcnt(0)
	v_cmp_ne_u32_e64 s[12:13], v17, v18
	v_cndmask_b32_e64 v6, 0, 1, s[12:13]
.LBB933_108:
	s_or_b64 exec, exec, s[14:15]
	v_or_b32_e32 v17, 0x600, v0
	v_cmp_gt_u32_e64 s[12:13], s48, v17
	s_and_saveexec_b64 s[16:17], s[12:13]
	s_cbranch_execz .LBB933_110
; %bb.109:
	v_lshlrev_b32_e32 v7, 2, v17
	global_load_dword v17, v7, s[34:35]
	global_load_dword v18, v7, s[44:45]
	s_waitcnt vmcnt(0)
	v_cmp_ne_u32_e64 s[14:15], v17, v18
	v_cndmask_b32_e64 v7, 0, 1, s[14:15]
.LBB933_110:
	s_or_b64 exec, exec, s[16:17]
	v_or_b32_e32 v17, 0x700, v0
	v_cmp_gt_u32_e64 s[14:15], s48, v17
	s_and_saveexec_b64 s[18:19], s[14:15]
	s_cbranch_execz .LBB933_112
; %bb.111:
	v_lshlrev_b32_e32 v8, 2, v17
	global_load_dword v17, v8, s[34:35]
	global_load_dword v18, v8, s[44:45]
	s_waitcnt vmcnt(0)
	v_cmp_ne_u32_e64 s[16:17], v17, v18
	v_cndmask_b32_e64 v8, 0, 1, s[16:17]
.LBB933_112:
	s_or_b64 exec, exec, s[18:19]
	v_or_b32_e32 v17, 0x800, v0
	v_cmp_gt_u32_e64 s[16:17], s48, v17
	s_and_saveexec_b64 s[20:21], s[16:17]
	s_cbranch_execz .LBB933_114
; %bb.113:
	v_lshlrev_b32_e32 v9, 2, v17
	global_load_dword v17, v9, s[34:35]
	global_load_dword v18, v9, s[44:45]
	s_waitcnt vmcnt(0)
	v_cmp_ne_u32_e64 s[18:19], v17, v18
	v_cndmask_b32_e64 v9, 0, 1, s[18:19]
.LBB933_114:
	s_or_b64 exec, exec, s[20:21]
	v_or_b32_e32 v17, 0x900, v0
	v_cmp_gt_u32_e64 s[18:19], s48, v17
	s_and_saveexec_b64 s[22:23], s[18:19]
	s_cbranch_execz .LBB933_116
; %bb.115:
	v_lshlrev_b32_e32 v10, 2, v17
	global_load_dword v17, v10, s[34:35]
	global_load_dword v18, v10, s[44:45]
	s_waitcnt vmcnt(0)
	v_cmp_ne_u32_e64 s[20:21], v17, v18
	v_cndmask_b32_e64 v10, 0, 1, s[20:21]
.LBB933_116:
	s_or_b64 exec, exec, s[22:23]
	v_or_b32_e32 v17, 0xa00, v0
	v_cmp_gt_u32_e64 s[20:21], s48, v17
	s_and_saveexec_b64 s[24:25], s[20:21]
	s_cbranch_execz .LBB933_118
; %bb.117:
	v_lshlrev_b32_e32 v11, 2, v17
	global_load_dword v17, v11, s[34:35]
	global_load_dword v18, v11, s[44:45]
	s_waitcnt vmcnt(0)
	v_cmp_ne_u32_e64 s[22:23], v17, v18
	v_cndmask_b32_e64 v11, 0, 1, s[22:23]
.LBB933_118:
	s_or_b64 exec, exec, s[24:25]
	v_or_b32_e32 v17, 0xb00, v0
	v_cmp_gt_u32_e64 s[22:23], s48, v17
	s_and_saveexec_b64 s[26:27], s[22:23]
	s_cbranch_execz .LBB933_120
; %bb.119:
	v_lshlrev_b32_e32 v12, 2, v17
	global_load_dword v17, v12, s[34:35]
	global_load_dword v18, v12, s[44:45]
	s_waitcnt vmcnt(0)
	v_cmp_ne_u32_e64 s[24:25], v17, v18
	v_cndmask_b32_e64 v12, 0, 1, s[24:25]
.LBB933_120:
	s_or_b64 exec, exec, s[26:27]
	v_or_b32_e32 v17, 0xc00, v0
	v_cmp_gt_u32_e64 s[24:25], s48, v17
	s_and_saveexec_b64 s[28:29], s[24:25]
	s_cbranch_execz .LBB933_122
; %bb.121:
	v_lshlrev_b32_e32 v13, 2, v17
	global_load_dword v17, v13, s[34:35]
	global_load_dword v18, v13, s[44:45]
	s_waitcnt vmcnt(0)
	v_cmp_ne_u32_e64 s[26:27], v17, v18
	v_cndmask_b32_e64 v13, 0, 1, s[26:27]
.LBB933_122:
	s_or_b64 exec, exec, s[28:29]
	v_or_b32_e32 v17, 0xd00, v0
	v_cmp_gt_u32_e64 s[26:27], s48, v17
	s_and_saveexec_b64 s[30:31], s[26:27]
	s_cbranch_execz .LBB933_124
; %bb.123:
	v_lshlrev_b32_e32 v14, 2, v17
	global_load_dword v17, v14, s[34:35]
	global_load_dword v18, v14, s[44:45]
	s_waitcnt vmcnt(0)
	v_cmp_ne_u32_e64 s[28:29], v17, v18
	v_cndmask_b32_e64 v14, 0, 1, s[28:29]
.LBB933_124:
	s_or_b64 exec, exec, s[30:31]
	v_or_b32_e32 v17, 0xe00, v0
	v_cmp_gt_u32_e64 s[28:29], s48, v17
	s_and_saveexec_b64 s[46:47], s[28:29]
	s_cbranch_execz .LBB933_126
; %bb.125:
	v_lshlrev_b32_e32 v15, 2, v17
	global_load_dword v17, v15, s[34:35]
	s_nop 0
	global_load_dword v15, v15, s[44:45]
	s_waitcnt vmcnt(0)
	v_cmp_ne_u32_e64 s[30:31], v17, v15
	v_cndmask_b32_e64 v15, 0, 1, s[30:31]
.LBB933_126:
	s_or_b64 exec, exec, s[46:47]
	v_or_b32_e32 v17, 0xf00, v0
	v_cmp_gt_u32_e64 s[30:31], s48, v17
	s_and_saveexec_b64 s[46:47], s[30:31]
	s_cbranch_execz .LBB933_128
; %bb.127:
	v_lshlrev_b32_e32 v16, 2, v17
	global_load_dword v17, v16, s[34:35]
	s_nop 0
	global_load_dword v16, v16, s[44:45]
	s_waitcnt vmcnt(0)
	v_cmp_ne_u32_e64 s[34:35], v17, v16
	v_cndmask_b32_e64 v16, 0, 1, s[34:35]
.LBB933_128:
	s_or_b64 exec, exec, s[46:47]
	v_cndmask_b32_e32 v2, 0, v2, vcc
	v_add_u32_e32 v1, v2, v1
	v_cndmask_b32_e64 v2, 0, v3, s[0:1]
	v_cndmask_b32_e64 v3, 0, v4, s[2:3]
	v_add3_u32 v1, v1, v2, v3
	v_cndmask_b32_e64 v2, 0, v5, s[8:9]
	v_cndmask_b32_e64 v3, 0, v6, s[10:11]
	v_add3_u32 v1, v1, v2, v3
	;; [unrolled: 3-line block ×7, first 2 shown]
	v_mbcnt_lo_u32_b32 v2, -1, 0
	v_mbcnt_hi_u32_b32 v2, -1, v2
	v_and_b32_e32 v4, 63, v2
	v_cmp_ne_u32_e32 vcc, 63, v4
	v_addc_co_u32_e32 v3, vcc, 0, v2, vcc
	v_lshlrev_b32_e32 v3, 2, v3
	ds_bpermute_b32 v3, v3, v1
	s_min_u32 s2, s48, 0x100
	v_and_b32_e32 v5, 0xc0, v0
	v_sub_u32_e64 v5, s2, v5 clamp
	v_add_u32_e32 v6, 1, v4
	v_cmp_lt_u32_e32 vcc, v6, v5
	s_waitcnt lgkmcnt(0)
	v_cndmask_b32_e32 v3, 0, v3, vcc
	v_cmp_gt_u32_e32 vcc, 62, v4
	v_add_u32_e32 v1, v1, v3
	v_cndmask_b32_e64 v3, 0, 2, vcc
	v_add_lshl_u32 v3, v3, v2, 2
	ds_bpermute_b32 v3, v3, v1
	v_add_u32_e32 v6, 2, v4
	v_cmp_lt_u32_e32 vcc, v6, v5
	v_add_u32_e32 v6, 4, v4
	s_waitcnt lgkmcnt(0)
	v_cndmask_b32_e32 v3, 0, v3, vcc
	v_cmp_gt_u32_e32 vcc, 60, v4
	v_add_u32_e32 v1, v1, v3
	v_cndmask_b32_e64 v3, 0, 4, vcc
	v_add_lshl_u32 v3, v3, v2, 2
	ds_bpermute_b32 v3, v3, v1
	v_cmp_lt_u32_e32 vcc, v6, v5
	v_add_u32_e32 v6, 8, v4
	s_waitcnt lgkmcnt(0)
	v_cndmask_b32_e32 v3, 0, v3, vcc
	v_cmp_gt_u32_e32 vcc, 56, v4
	v_add_u32_e32 v1, v1, v3
	v_cndmask_b32_e64 v3, 0, 8, vcc
	v_add_lshl_u32 v3, v3, v2, 2
	ds_bpermute_b32 v3, v3, v1
	;; [unrolled: 9-line block ×3, first 2 shown]
	v_cmp_lt_u32_e32 vcc, v6, v5
	v_add_u32_e32 v4, 32, v4
	s_waitcnt lgkmcnt(0)
	v_cndmask_b32_e32 v3, 0, v3, vcc
	v_add_u32_e32 v1, v1, v3
	v_lshlrev_b32_e32 v3, 2, v2
	v_or_b32_e32 v6, 0x80, v3
	ds_bpermute_b32 v6, v6, v1
	v_cmp_lt_u32_e32 vcc, v4, v5
	s_waitcnt lgkmcnt(0)
	v_cndmask_b32_e32 v4, 0, v6, vcc
	v_add_u32_e32 v1, v1, v4
	v_cmp_eq_u32_e32 vcc, 0, v2
	s_and_saveexec_b64 s[0:1], vcc
; %bb.129:
	v_lshrrev_b32_e32 v4, 4, v0
	v_and_b32_e32 v4, 12, v4
	ds_write_b32 v4, v1 offset:96
; %bb.130:
	s_or_b64 exec, exec, s[0:1]
	v_cmp_gt_u32_e32 vcc, 4, v0
	s_waitcnt lgkmcnt(0)
	s_barrier
	s_and_saveexec_b64 s[0:1], vcc
	s_cbranch_execz .LBB933_132
; %bb.131:
	ds_read_b32 v1, v3 offset:96
	v_and_b32_e32 v4, 3, v2
	v_cmp_ne_u32_e32 vcc, 3, v4
	v_addc_co_u32_e32 v2, vcc, 0, v2, vcc
	v_lshlrev_b32_e32 v2, 2, v2
	s_waitcnt lgkmcnt(0)
	ds_bpermute_b32 v2, v2, v1
	s_add_i32 s2, s2, 63
	s_lshr_b32 s2, s2, 6
	v_add_u32_e32 v5, 1, v4
	v_cmp_gt_u32_e32 vcc, s2, v5
	s_waitcnt lgkmcnt(0)
	v_cndmask_b32_e32 v2, 0, v2, vcc
	v_add_u32_e32 v1, v2, v1
	v_or_b32_e32 v2, 8, v3
	ds_bpermute_b32 v2, v2, v1
	v_add_u32_e32 v3, 2, v4
	v_cmp_gt_u32_e32 vcc, s2, v3
	s_waitcnt lgkmcnt(0)
	v_cndmask_b32_e32 v2, 0, v2, vcc
	v_add_u32_e32 v1, v1, v2
.LBB933_132:
	s_or_b64 exec, exec, s[0:1]
.LBB933_133:
	v_cmp_eq_u32_e64 s[0:1], 0, v0
	s_branch .LBB933_142
.LBB933_134:
	s_cmp_eq_u32 s33, 8
	s_cbranch_scc0 .LBB933_141
; %bb.135:
	s_mov_b32 s7, 0
	s_lshl_b32 s0, s6, 11
	s_mov_b32 s1, s7
	s_lshr_b64 s[2:3], s[36:37], 11
	s_lshl_b64 s[8:9], s[0:1], 2
	s_add_u32 s16, s40, s8
	s_addc_u32 s17, s41, s9
	s_add_u32 s18, s42, s8
	s_addc_u32 s19, s43, s9
	s_cmp_lg_u64 s[2:3], s[6:7]
	s_cbranch_scc0 .LBB933_143
; %bb.136:
	v_lshlrev_b32_e32 v5, 2, v0
	global_load_dword v7, v5, s[16:17]
	global_load_dword v8, v5, s[18:19]
	global_load_dword v9, v5, s[16:17] offset:1024
	global_load_dword v10, v5, s[18:19] offset:1024
	;; [unrolled: 1-line block ×4, first 2 shown]
	v_mov_b32_e32 v1, s17
	v_add_co_u32_e32 v2, vcc, s16, v5
	v_addc_co_u32_e32 v3, vcc, 0, v1, vcc
	v_mov_b32_e32 v1, s19
	v_add_co_u32_e32 v4, vcc, s18, v5
	v_addc_co_u32_e32 v6, vcc, 0, v1, vcc
	s_movk_i32 s1, 0x1000
	v_add_co_u32_e32 v1, vcc, s1, v2
	v_addc_co_u32_e32 v2, vcc, 0, v3, vcc
	v_add_co_u32_e32 v3, vcc, s1, v4
	v_addc_co_u32_e32 v4, vcc, 0, v6, vcc
	global_load_dword v6, v[3:4], off
	global_load_dword v13, v[1:2], off
	global_load_dword v14, v[1:2], off offset:2048
	global_load_dword v15, v[3:4], off offset:2048
	global_load_dword v16, v5, s[18:19] offset:3072
	global_load_dword v17, v5, s[16:17] offset:3072
	global_load_dword v18, v[3:4], off offset:1024
	global_load_dword v19, v[1:2], off offset:1024
	;; [unrolled: 1-line block ×4, first 2 shown]
	v_mbcnt_lo_u32_b32 v1, -1, 0
	v_mbcnt_hi_u32_b32 v2, -1, v1
	v_lshlrev_b32_e32 v3, 2, v2
	s_waitcnt vmcnt(14)
	v_cmp_ne_u32_e32 vcc, v7, v8
	v_cndmask_b32_e64 v1, 0, 1, vcc
	s_waitcnt vmcnt(10)
	v_cmp_ne_u32_e32 vcc, v11, v12
	v_cndmask_b32_e64 v4, 0, 1, vcc
	v_cmp_ne_u32_e32 vcc, v9, v10
	v_addc_co_u32_e32 v1, vcc, 0, v1, vcc
	s_waitcnt vmcnt(8)
	v_cmp_ne_u32_e32 vcc, v13, v6
	v_cndmask_b32_e64 v5, 0, 1, vcc
	s_waitcnt vmcnt(6)
	v_cmp_ne_u32_e32 vcc, v14, v15
	v_cndmask_b32_e64 v6, 0, 1, vcc
	s_waitcnt vmcnt(4)
	v_cmp_ne_u32_e32 vcc, v17, v16
	v_addc_co_u32_e32 v1, vcc, v1, v4, vcc
	s_waitcnt vmcnt(2)
	v_cmp_ne_u32_e32 vcc, v19, v18
	v_addc_co_u32_e32 v1, vcc, v1, v5, vcc
	;; [unrolled: 3-line block ×3, first 2 shown]
	v_or_b32_e32 v4, 0xfc, v3
	s_nop 0
	v_add_u32_dpp v1, v1, v1 quad_perm:[1,0,3,2] row_mask:0xf bank_mask:0xf bound_ctrl:1
	v_cmp_eq_u32_e32 vcc, 0, v2
	s_nop 0
	v_add_u32_dpp v1, v1, v1 quad_perm:[2,3,0,1] row_mask:0xf bank_mask:0xf bound_ctrl:1
	s_nop 1
	v_add_u32_dpp v1, v1, v1 row_ror:4 row_mask:0xf bank_mask:0xf bound_ctrl:1
	s_nop 1
	v_add_u32_dpp v1, v1, v1 row_ror:8 row_mask:0xf bank_mask:0xf bound_ctrl:1
	s_nop 1
	v_add_u32_dpp v1, v1, v1 row_bcast:15 row_mask:0xf bank_mask:0xf bound_ctrl:1
	s_nop 1
	v_add_u32_dpp v1, v1, v1 row_bcast:31 row_mask:0xf bank_mask:0xf bound_ctrl:1
	ds_bpermute_b32 v1, v4, v1
	s_and_saveexec_b64 s[2:3], vcc
	s_cbranch_execz .LBB933_138
; %bb.137:
	v_lshrrev_b32_e32 v4, 4, v0
	v_and_b32_e32 v4, 12, v4
	s_waitcnt lgkmcnt(0)
	ds_write_b32 v4, v1 offset:80
.LBB933_138:
	s_or_b64 exec, exec, s[2:3]
	v_cmp_gt_u32_e32 vcc, 64, v0
	s_waitcnt lgkmcnt(0)
	s_barrier
	s_and_saveexec_b64 s[2:3], vcc
	s_cbranch_execz .LBB933_140
; %bb.139:
	v_and_b32_e32 v1, 3, v2
	v_lshlrev_b32_e32 v4, 2, v1
	ds_read_b32 v4, v4 offset:80
	v_cmp_ne_u32_e32 vcc, 3, v1
	v_addc_co_u32_e32 v1, vcc, 0, v2, vcc
	v_lshlrev_b32_e32 v1, 2, v1
	s_waitcnt lgkmcnt(0)
	ds_bpermute_b32 v1, v1, v4
	v_or_b32_e32 v2, 8, v3
	s_waitcnt lgkmcnt(0)
	v_add_u32_e32 v1, v1, v4
	ds_bpermute_b32 v2, v2, v1
	s_waitcnt lgkmcnt(0)
	v_add_u32_e32 v1, v2, v1
.LBB933_140:
	s_or_b64 exec, exec, s[2:3]
	s_branch .LBB933_165
.LBB933_141:
                                        ; implicit-def: $vgpr1
.LBB933_142:
	s_branch .LBB933_224
.LBB933_143:
                                        ; implicit-def: $vgpr1
	s_cbranch_execz .LBB933_165
; %bb.144:
	s_sub_i32 s22, s36, s0
	v_mov_b32_e32 v1, 0
	v_cmp_gt_u32_e32 vcc, s22, v0
	v_mov_b32_e32 v2, v1
	v_mov_b32_e32 v3, v1
	;; [unrolled: 1-line block ×7, first 2 shown]
	s_and_saveexec_b64 s[0:1], vcc
	s_cbranch_execz .LBB933_146
; %bb.145:
	v_lshlrev_b32_e32 v2, 2, v0
	global_load_dword v9, v2, s[16:17]
	global_load_dword v10, v2, s[18:19]
	v_mov_b32_e32 v3, v1
	v_mov_b32_e32 v4, v1
	;; [unrolled: 1-line block ×6, first 2 shown]
	s_waitcnt vmcnt(0)
	v_cmp_ne_u32_e32 vcc, v9, v10
	v_cndmask_b32_e64 v2, 0, 1, vcc
	v_and_b32_e32 v2, 0xffff, v2
	v_mov_b32_e32 v9, v1
	v_mov_b32_e32 v1, v2
	;; [unrolled: 1-line block ×9, first 2 shown]
.LBB933_146:
	s_or_b64 exec, exec, s[0:1]
	v_or_b32_e32 v9, 0x100, v0
	v_cmp_gt_u32_e32 vcc, s22, v9
	s_and_saveexec_b64 s[2:3], vcc
	s_cbranch_execz .LBB933_148
; %bb.147:
	v_lshlrev_b32_e32 v2, 2, v0
	global_load_dword v9, v2, s[16:17] offset:1024
	global_load_dword v10, v2, s[18:19] offset:1024
	s_waitcnt vmcnt(0)
	v_cmp_ne_u32_e64 s[0:1], v9, v10
	v_cndmask_b32_e64 v2, 0, 1, s[0:1]
.LBB933_148:
	s_or_b64 exec, exec, s[2:3]
	v_or_b32_e32 v9, 0x200, v0
	v_cmp_gt_u32_e64 s[0:1], s22, v9
	s_and_saveexec_b64 s[8:9], s[0:1]
	s_cbranch_execz .LBB933_150
; %bb.149:
	v_lshlrev_b32_e32 v3, 2, v0
	global_load_dword v9, v3, s[16:17] offset:2048
	global_load_dword v10, v3, s[18:19] offset:2048
	s_waitcnt vmcnt(0)
	v_cmp_ne_u32_e64 s[2:3], v9, v10
	v_cndmask_b32_e64 v3, 0, 1, s[2:3]
.LBB933_150:
	s_or_b64 exec, exec, s[8:9]
	v_or_b32_e32 v9, 0x300, v0
	v_cmp_gt_u32_e64 s[2:3], s22, v9
	s_and_saveexec_b64 s[10:11], s[2:3]
	;; [unrolled: 13-line block ×3, first 2 shown]
	s_cbranch_execz .LBB933_154
; %bb.153:
	v_lshlrev_b32_e32 v5, 2, v9
	global_load_dword v9, v5, s[16:17]
	global_load_dword v10, v5, s[18:19]
	s_waitcnt vmcnt(0)
	v_cmp_ne_u32_e64 s[10:11], v9, v10
	v_cndmask_b32_e64 v5, 0, 1, s[10:11]
.LBB933_154:
	s_or_b64 exec, exec, s[12:13]
	v_or_b32_e32 v9, 0x500, v0
	v_cmp_gt_u32_e64 s[10:11], s22, v9
	s_and_saveexec_b64 s[14:15], s[10:11]
	s_cbranch_execz .LBB933_156
; %bb.155:
	v_lshlrev_b32_e32 v6, 2, v9
	global_load_dword v9, v6, s[16:17]
	global_load_dword v10, v6, s[18:19]
	s_waitcnt vmcnt(0)
	v_cmp_ne_u32_e64 s[12:13], v9, v10
	v_cndmask_b32_e64 v6, 0, 1, s[12:13]
.LBB933_156:
	s_or_b64 exec, exec, s[14:15]
	v_or_b32_e32 v9, 0x600, v0
	v_cmp_gt_u32_e64 s[12:13], s22, v9
	s_and_saveexec_b64 s[20:21], s[12:13]
	;; [unrolled: 13-line block ×3, first 2 shown]
	s_cbranch_execz .LBB933_160
; %bb.159:
	v_lshlrev_b32_e32 v8, 2, v9
	global_load_dword v9, v8, s[16:17]
	global_load_dword v10, v8, s[18:19]
	s_waitcnt vmcnt(0)
	v_cmp_ne_u32_e64 s[16:17], v9, v10
	v_cndmask_b32_e64 v8, 0, 1, s[16:17]
.LBB933_160:
	s_or_b64 exec, exec, s[20:21]
	v_cndmask_b32_e32 v2, 0, v2, vcc
	v_add_u32_e32 v1, v2, v1
	v_cndmask_b32_e64 v2, 0, v3, s[0:1]
	v_cndmask_b32_e64 v3, 0, v4, s[2:3]
	v_add3_u32 v1, v1, v2, v3
	v_cndmask_b32_e64 v2, 0, v5, s[8:9]
	v_cndmask_b32_e64 v3, 0, v6, s[10:11]
	v_add3_u32 v1, v1, v2, v3
	;; [unrolled: 3-line block ×3, first 2 shown]
	v_mbcnt_lo_u32_b32 v2, -1, 0
	v_mbcnt_hi_u32_b32 v2, -1, v2
	v_and_b32_e32 v4, 63, v2
	v_cmp_ne_u32_e32 vcc, 63, v4
	v_addc_co_u32_e32 v3, vcc, 0, v2, vcc
	v_lshlrev_b32_e32 v3, 2, v3
	ds_bpermute_b32 v3, v3, v1
	s_min_u32 s2, s22, 0x100
	v_and_b32_e32 v5, 0xc0, v0
	v_sub_u32_e64 v5, s2, v5 clamp
	v_add_u32_e32 v6, 1, v4
	v_cmp_lt_u32_e32 vcc, v6, v5
	s_waitcnt lgkmcnt(0)
	v_cndmask_b32_e32 v3, 0, v3, vcc
	v_cmp_gt_u32_e32 vcc, 62, v4
	v_add_u32_e32 v1, v1, v3
	v_cndmask_b32_e64 v3, 0, 2, vcc
	v_add_lshl_u32 v3, v3, v2, 2
	ds_bpermute_b32 v3, v3, v1
	v_add_u32_e32 v6, 2, v4
	v_cmp_lt_u32_e32 vcc, v6, v5
	v_add_u32_e32 v6, 4, v4
	s_waitcnt lgkmcnt(0)
	v_cndmask_b32_e32 v3, 0, v3, vcc
	v_cmp_gt_u32_e32 vcc, 60, v4
	v_add_u32_e32 v1, v1, v3
	v_cndmask_b32_e64 v3, 0, 4, vcc
	v_add_lshl_u32 v3, v3, v2, 2
	ds_bpermute_b32 v3, v3, v1
	v_cmp_lt_u32_e32 vcc, v6, v5
	v_add_u32_e32 v6, 8, v4
	s_waitcnt lgkmcnt(0)
	v_cndmask_b32_e32 v3, 0, v3, vcc
	v_cmp_gt_u32_e32 vcc, 56, v4
	v_add_u32_e32 v1, v1, v3
	v_cndmask_b32_e64 v3, 0, 8, vcc
	v_add_lshl_u32 v3, v3, v2, 2
	ds_bpermute_b32 v3, v3, v1
	;; [unrolled: 9-line block ×3, first 2 shown]
	v_cmp_lt_u32_e32 vcc, v6, v5
	v_add_u32_e32 v4, 32, v4
	s_waitcnt lgkmcnt(0)
	v_cndmask_b32_e32 v3, 0, v3, vcc
	v_add_u32_e32 v1, v1, v3
	v_lshlrev_b32_e32 v3, 2, v2
	v_or_b32_e32 v6, 0x80, v3
	ds_bpermute_b32 v6, v6, v1
	v_cmp_lt_u32_e32 vcc, v4, v5
	s_waitcnt lgkmcnt(0)
	v_cndmask_b32_e32 v4, 0, v6, vcc
	v_add_u32_e32 v1, v1, v4
	v_cmp_eq_u32_e32 vcc, 0, v2
	s_and_saveexec_b64 s[0:1], vcc
; %bb.161:
	v_lshrrev_b32_e32 v4, 4, v0
	v_and_b32_e32 v4, 12, v4
	ds_write_b32 v4, v1 offset:96
; %bb.162:
	s_or_b64 exec, exec, s[0:1]
	v_cmp_gt_u32_e32 vcc, 4, v0
	s_waitcnt lgkmcnt(0)
	s_barrier
	s_and_saveexec_b64 s[0:1], vcc
	s_cbranch_execz .LBB933_164
; %bb.163:
	ds_read_b32 v1, v3 offset:96
	v_and_b32_e32 v4, 3, v2
	v_cmp_ne_u32_e32 vcc, 3, v4
	v_addc_co_u32_e32 v2, vcc, 0, v2, vcc
	v_lshlrev_b32_e32 v2, 2, v2
	s_waitcnt lgkmcnt(0)
	ds_bpermute_b32 v2, v2, v1
	s_add_i32 s2, s2, 63
	s_lshr_b32 s2, s2, 6
	v_add_u32_e32 v5, 1, v4
	v_cmp_gt_u32_e32 vcc, s2, v5
	s_waitcnt lgkmcnt(0)
	v_cndmask_b32_e32 v2, 0, v2, vcc
	v_add_u32_e32 v1, v2, v1
	v_or_b32_e32 v2, 8, v3
	ds_bpermute_b32 v2, v2, v1
	v_add_u32_e32 v3, 2, v4
	v_cmp_gt_u32_e32 vcc, s2, v3
	s_waitcnt lgkmcnt(0)
	v_cndmask_b32_e32 v2, 0, v2, vcc
	v_add_u32_e32 v1, v1, v2
.LBB933_164:
	s_or_b64 exec, exec, s[0:1]
.LBB933_165:
	v_cmp_eq_u32_e64 s[0:1], 0, v0
	s_branch .LBB933_224
.LBB933_166:
	s_cmp_gt_i32 s33, 1
	s_cbranch_scc0 .LBB933_175
; %bb.167:
	s_cmp_gt_i32 s33, 3
	s_cbranch_scc0 .LBB933_176
; %bb.168:
	s_cmp_eq_u32 s33, 4
	s_cbranch_scc0 .LBB933_177
; %bb.169:
	s_mov_b32 s7, 0
	s_lshl_b32 s0, s6, 10
	s_mov_b32 s1, s7
	s_lshr_b64 s[2:3], s[36:37], 10
	s_lshl_b64 s[10:11], s[0:1], 2
	s_add_u32 s8, s40, s10
	s_addc_u32 s9, s41, s11
	s_add_u32 s10, s42, s10
	s_addc_u32 s11, s43, s11
	s_cmp_lg_u64 s[2:3], s[6:7]
	s_cbranch_scc0 .LBB933_179
; %bb.170:
	v_lshlrev_b32_e32 v1, 2, v0
	global_load_dword v4, v1, s[8:9]
	global_load_dword v5, v1, s[10:11]
	global_load_dword v6, v1, s[8:9] offset:2048
	global_load_dword v7, v1, s[10:11] offset:2048
	;; [unrolled: 1-line block ×6, first 2 shown]
	v_mbcnt_lo_u32_b32 v1, -1, 0
	v_mbcnt_hi_u32_b32 v2, -1, v1
	v_lshlrev_b32_e32 v3, 2, v2
	s_waitcnt vmcnt(6)
	v_cmp_ne_u32_e32 vcc, v4, v5
	v_cndmask_b32_e64 v1, 0, 1, vcc
	s_waitcnt vmcnt(4)
	v_cmp_ne_u32_e32 vcc, v6, v7
	v_cndmask_b32_e64 v4, 0, 1, vcc
	s_waitcnt vmcnt(2)
	v_cmp_ne_u32_e32 vcc, v8, v9
	v_addc_co_u32_e32 v1, vcc, 0, v1, vcc
	s_waitcnt vmcnt(0)
	v_cmp_ne_u32_e32 vcc, v11, v10
	v_addc_co_u32_e32 v1, vcc, v1, v4, vcc
	v_or_b32_e32 v4, 0xfc, v3
	s_nop 0
	v_add_u32_dpp v1, v1, v1 quad_perm:[1,0,3,2] row_mask:0xf bank_mask:0xf bound_ctrl:1
	v_cmp_eq_u32_e32 vcc, 0, v2
	s_nop 0
	v_add_u32_dpp v1, v1, v1 quad_perm:[2,3,0,1] row_mask:0xf bank_mask:0xf bound_ctrl:1
	s_nop 1
	v_add_u32_dpp v1, v1, v1 row_ror:4 row_mask:0xf bank_mask:0xf bound_ctrl:1
	s_nop 1
	v_add_u32_dpp v1, v1, v1 row_ror:8 row_mask:0xf bank_mask:0xf bound_ctrl:1
	s_nop 1
	v_add_u32_dpp v1, v1, v1 row_bcast:15 row_mask:0xf bank_mask:0xf bound_ctrl:1
	s_nop 1
	v_add_u32_dpp v1, v1, v1 row_bcast:31 row_mask:0xf bank_mask:0xf bound_ctrl:1
	ds_bpermute_b32 v1, v4, v1
	s_and_saveexec_b64 s[2:3], vcc
	s_cbranch_execz .LBB933_172
; %bb.171:
	v_lshrrev_b32_e32 v4, 4, v0
	v_and_b32_e32 v4, 12, v4
	s_waitcnt lgkmcnt(0)
	ds_write_b32 v4, v1 offset:64
.LBB933_172:
	s_or_b64 exec, exec, s[2:3]
	v_cmp_gt_u32_e32 vcc, 64, v0
	s_waitcnt lgkmcnt(0)
	s_barrier
	s_and_saveexec_b64 s[2:3], vcc
	s_cbranch_execz .LBB933_174
; %bb.173:
	v_and_b32_e32 v1, 3, v2
	v_lshlrev_b32_e32 v4, 2, v1
	ds_read_b32 v4, v4 offset:64
	v_cmp_ne_u32_e32 vcc, 3, v1
	v_addc_co_u32_e32 v1, vcc, 0, v2, vcc
	v_lshlrev_b32_e32 v1, 2, v1
	s_waitcnt lgkmcnt(0)
	ds_bpermute_b32 v1, v1, v4
	v_or_b32_e32 v2, 8, v3
	s_waitcnt lgkmcnt(0)
	v_add_u32_e32 v1, v1, v4
	ds_bpermute_b32 v2, v2, v1
	s_waitcnt lgkmcnt(0)
	v_add_u32_e32 v1, v2, v1
.LBB933_174:
	s_or_b64 exec, exec, s[2:3]
	s_mov_b64 s[2:3], 0
	s_branch .LBB933_180
.LBB933_175:
                                        ; implicit-def: $vgpr1
	s_cbranch_execnz .LBB933_215
	s_branch .LBB933_224
.LBB933_176:
                                        ; implicit-def: $vgpr1
	s_cbranch_execz .LBB933_178
	s_branch .LBB933_195
.LBB933_177:
                                        ; implicit-def: $vgpr1
.LBB933_178:
	s_branch .LBB933_224
.LBB933_179:
	s_mov_b64 s[2:3], -1
                                        ; implicit-def: $vgpr1
.LBB933_180:
	s_and_b64 vcc, exec, s[2:3]
	s_cbranch_vccz .LBB933_194
; %bb.181:
	s_sub_i32 s14, s36, s0
	v_mov_b32_e32 v1, 0
	v_cmp_gt_u32_e32 vcc, s14, v0
	v_mov_b32_e32 v2, v1
	v_mov_b32_e32 v3, v1
	;; [unrolled: 1-line block ×3, first 2 shown]
	s_and_saveexec_b64 s[0:1], vcc
	s_cbranch_execz .LBB933_183
; %bb.182:
	v_lshlrev_b32_e32 v2, 2, v0
	global_load_dword v5, v2, s[8:9]
	global_load_dword v6, v2, s[10:11]
	v_mov_b32_e32 v3, v1
	v_mov_b32_e32 v4, v1
	s_waitcnt vmcnt(0)
	v_cmp_ne_u32_e32 vcc, v5, v6
	v_cndmask_b32_e64 v2, 0, 1, vcc
	v_and_b32_e32 v2, 0xffff, v2
	v_mov_b32_e32 v5, v1
	v_mov_b32_e32 v1, v2
	;; [unrolled: 1-line block ×5, first 2 shown]
.LBB933_183:
	s_or_b64 exec, exec, s[0:1]
	v_or_b32_e32 v5, 0x100, v0
	v_cmp_gt_u32_e32 vcc, s14, v5
	s_and_saveexec_b64 s[2:3], vcc
	s_cbranch_execz .LBB933_185
; %bb.184:
	v_lshlrev_b32_e32 v2, 2, v0
	global_load_dword v5, v2, s[8:9] offset:1024
	global_load_dword v6, v2, s[10:11] offset:1024
	s_waitcnt vmcnt(0)
	v_cmp_ne_u32_e64 s[0:1], v5, v6
	v_cndmask_b32_e64 v2, 0, 1, s[0:1]
.LBB933_185:
	s_or_b64 exec, exec, s[2:3]
	v_or_b32_e32 v5, 0x200, v0
	v_cmp_gt_u32_e64 s[0:1], s14, v5
	s_and_saveexec_b64 s[12:13], s[0:1]
	s_cbranch_execz .LBB933_187
; %bb.186:
	v_lshlrev_b32_e32 v3, 2, v0
	global_load_dword v5, v3, s[8:9] offset:2048
	global_load_dword v6, v3, s[10:11] offset:2048
	s_waitcnt vmcnt(0)
	v_cmp_ne_u32_e64 s[2:3], v5, v6
	v_cndmask_b32_e64 v3, 0, 1, s[2:3]
.LBB933_187:
	s_or_b64 exec, exec, s[12:13]
	v_or_b32_e32 v5, 0x300, v0
	v_cmp_gt_u32_e64 s[2:3], s14, v5
	s_and_saveexec_b64 s[12:13], s[2:3]
	s_cbranch_execz .LBB933_189
; %bb.188:
	v_lshlrev_b32_e32 v4, 2, v0
	global_load_dword v5, v4, s[8:9] offset:3072
	global_load_dword v6, v4, s[10:11] offset:3072
	s_waitcnt vmcnt(0)
	v_cmp_ne_u32_e64 s[8:9], v5, v6
	v_cndmask_b32_e64 v4, 0, 1, s[8:9]
.LBB933_189:
	s_or_b64 exec, exec, s[12:13]
	v_cndmask_b32_e32 v2, 0, v2, vcc
	v_add_u32_e32 v1, v2, v1
	v_cndmask_b32_e64 v2, 0, v3, s[0:1]
	v_cndmask_b32_e64 v3, 0, v4, s[2:3]
	v_add3_u32 v1, v1, v2, v3
	v_mbcnt_lo_u32_b32 v2, -1, 0
	v_mbcnt_hi_u32_b32 v2, -1, v2
	v_and_b32_e32 v4, 63, v2
	v_cmp_ne_u32_e32 vcc, 63, v4
	v_addc_co_u32_e32 v3, vcc, 0, v2, vcc
	v_lshlrev_b32_e32 v3, 2, v3
	ds_bpermute_b32 v3, v3, v1
	s_min_u32 s2, s14, 0x100
	v_and_b32_e32 v5, 0xc0, v0
	v_sub_u32_e64 v5, s2, v5 clamp
	v_add_u32_e32 v6, 1, v4
	v_cmp_lt_u32_e32 vcc, v6, v5
	s_waitcnt lgkmcnt(0)
	v_cndmask_b32_e32 v3, 0, v3, vcc
	v_cmp_gt_u32_e32 vcc, 62, v4
	v_add_u32_e32 v1, v3, v1
	v_cndmask_b32_e64 v3, 0, 2, vcc
	v_add_lshl_u32 v3, v3, v2, 2
	ds_bpermute_b32 v3, v3, v1
	v_add_u32_e32 v6, 2, v4
	v_cmp_lt_u32_e32 vcc, v6, v5
	v_add_u32_e32 v6, 4, v4
	s_waitcnt lgkmcnt(0)
	v_cndmask_b32_e32 v3, 0, v3, vcc
	v_cmp_gt_u32_e32 vcc, 60, v4
	v_add_u32_e32 v1, v1, v3
	v_cndmask_b32_e64 v3, 0, 4, vcc
	v_add_lshl_u32 v3, v3, v2, 2
	ds_bpermute_b32 v3, v3, v1
	v_cmp_lt_u32_e32 vcc, v6, v5
	v_add_u32_e32 v6, 8, v4
	s_waitcnt lgkmcnt(0)
	v_cndmask_b32_e32 v3, 0, v3, vcc
	v_cmp_gt_u32_e32 vcc, 56, v4
	v_add_u32_e32 v1, v1, v3
	v_cndmask_b32_e64 v3, 0, 8, vcc
	v_add_lshl_u32 v3, v3, v2, 2
	ds_bpermute_b32 v3, v3, v1
	;; [unrolled: 9-line block ×3, first 2 shown]
	v_cmp_lt_u32_e32 vcc, v6, v5
	v_add_u32_e32 v4, 32, v4
	s_waitcnt lgkmcnt(0)
	v_cndmask_b32_e32 v3, 0, v3, vcc
	v_add_u32_e32 v1, v1, v3
	v_lshlrev_b32_e32 v3, 2, v2
	v_or_b32_e32 v6, 0x80, v3
	ds_bpermute_b32 v6, v6, v1
	v_cmp_lt_u32_e32 vcc, v4, v5
	s_waitcnt lgkmcnt(0)
	v_cndmask_b32_e32 v4, 0, v6, vcc
	v_add_u32_e32 v1, v1, v4
	v_cmp_eq_u32_e32 vcc, 0, v2
	s_and_saveexec_b64 s[0:1], vcc
; %bb.190:
	v_lshrrev_b32_e32 v4, 4, v0
	v_and_b32_e32 v4, 12, v4
	ds_write_b32 v4, v1 offset:96
; %bb.191:
	s_or_b64 exec, exec, s[0:1]
	v_cmp_gt_u32_e32 vcc, 4, v0
	s_waitcnt lgkmcnt(0)
	s_barrier
	s_and_saveexec_b64 s[0:1], vcc
	s_cbranch_execz .LBB933_193
; %bb.192:
	ds_read_b32 v1, v3 offset:96
	v_and_b32_e32 v4, 3, v2
	v_cmp_ne_u32_e32 vcc, 3, v4
	v_addc_co_u32_e32 v2, vcc, 0, v2, vcc
	v_lshlrev_b32_e32 v2, 2, v2
	s_waitcnt lgkmcnt(0)
	ds_bpermute_b32 v2, v2, v1
	s_add_i32 s2, s2, 63
	s_lshr_b32 s2, s2, 6
	v_add_u32_e32 v5, 1, v4
	v_cmp_gt_u32_e32 vcc, s2, v5
	s_waitcnt lgkmcnt(0)
	v_cndmask_b32_e32 v2, 0, v2, vcc
	v_add_u32_e32 v1, v2, v1
	v_or_b32_e32 v2, 8, v3
	ds_bpermute_b32 v2, v2, v1
	v_add_u32_e32 v3, 2, v4
	v_cmp_gt_u32_e32 vcc, s2, v3
	s_waitcnt lgkmcnt(0)
	v_cndmask_b32_e32 v2, 0, v2, vcc
	v_add_u32_e32 v1, v1, v2
.LBB933_193:
	s_or_b64 exec, exec, s[0:1]
.LBB933_194:
	v_cmp_eq_u32_e64 s[0:1], 0, v0
	s_branch .LBB933_178
.LBB933_195:
	s_cmp_eq_u32 s33, 2
	s_cbranch_scc0 .LBB933_202
; %bb.196:
	s_mov_b32 s7, 0
	s_lshl_b32 s10, s6, 9
	s_mov_b32 s11, s7
	s_lshr_b64 s[0:1], s[36:37], 9
	s_lshl_b64 s[8:9], s[10:11], 2
	s_add_u32 s2, s40, s8
	s_addc_u32 s3, s41, s9
	s_add_u32 s8, s42, s8
	s_addc_u32 s9, s43, s9
	s_cmp_lg_u64 s[0:1], s[6:7]
	s_cbranch_scc0 .LBB933_203
; %bb.197:
	v_lshlrev_b32_e32 v1, 2, v0
	global_load_dword v4, v1, s[2:3]
	global_load_dword v5, v1, s[8:9]
	global_load_dword v6, v1, s[8:9] offset:1024
	global_load_dword v7, v1, s[2:3] offset:1024
	v_mbcnt_lo_u32_b32 v1, -1, 0
	v_mbcnt_hi_u32_b32 v2, -1, v1
	v_lshlrev_b32_e32 v3, 2, v2
	s_waitcnt vmcnt(2)
	v_cmp_ne_u32_e32 vcc, v4, v5
	v_cndmask_b32_e64 v1, 0, 1, vcc
	s_waitcnt vmcnt(0)
	v_cmp_ne_u32_e32 vcc, v7, v6
	v_addc_co_u32_e64 v4, s[0:1], 0, v1, vcc
	s_nop 1
	v_mov_b32_dpp v4, v4 quad_perm:[1,0,3,2] row_mask:0xf bank_mask:0xf bound_ctrl:1
	v_addc_co_u32_e32 v1, vcc, v4, v1, vcc
	v_or_b32_e32 v4, 0xfc, v3
	s_nop 0
	v_add_u32_dpp v1, v1, v1 quad_perm:[2,3,0,1] row_mask:0xf bank_mask:0xf bound_ctrl:1
	v_cmp_eq_u32_e32 vcc, 0, v2
	s_nop 0
	v_add_u32_dpp v1, v1, v1 row_ror:4 row_mask:0xf bank_mask:0xf bound_ctrl:1
	s_nop 1
	v_add_u32_dpp v1, v1, v1 row_ror:8 row_mask:0xf bank_mask:0xf bound_ctrl:1
	s_nop 1
	v_add_u32_dpp v1, v1, v1 row_bcast:15 row_mask:0xf bank_mask:0xf bound_ctrl:1
	s_nop 1
	v_add_u32_dpp v1, v1, v1 row_bcast:31 row_mask:0xf bank_mask:0xf bound_ctrl:1
	ds_bpermute_b32 v1, v4, v1
	s_and_saveexec_b64 s[0:1], vcc
	s_cbranch_execz .LBB933_199
; %bb.198:
	v_lshrrev_b32_e32 v4, 4, v0
	v_and_b32_e32 v4, 12, v4
	s_waitcnt lgkmcnt(0)
	ds_write_b32 v4, v1 offset:32
.LBB933_199:
	s_or_b64 exec, exec, s[0:1]
	v_cmp_gt_u32_e32 vcc, 64, v0
	s_waitcnt lgkmcnt(0)
	s_barrier
	s_and_saveexec_b64 s[0:1], vcc
	s_cbranch_execz .LBB933_201
; %bb.200:
	v_and_b32_e32 v1, 3, v2
	v_lshlrev_b32_e32 v4, 2, v1
	ds_read_b32 v4, v4 offset:32
	v_cmp_ne_u32_e32 vcc, 3, v1
	v_addc_co_u32_e32 v1, vcc, 0, v2, vcc
	v_lshlrev_b32_e32 v1, 2, v1
	s_waitcnt lgkmcnt(0)
	ds_bpermute_b32 v1, v1, v4
	v_or_b32_e32 v2, 8, v3
	s_waitcnt lgkmcnt(0)
	v_add_u32_e32 v1, v1, v4
	ds_bpermute_b32 v2, v2, v1
	s_waitcnt lgkmcnt(0)
	v_add_u32_e32 v1, v2, v1
.LBB933_201:
	s_or_b64 exec, exec, s[0:1]
	s_mov_b64 s[0:1], 0
	s_branch .LBB933_204
.LBB933_202:
                                        ; implicit-def: $vgpr1
	s_branch .LBB933_224
.LBB933_203:
	s_mov_b64 s[0:1], -1
                                        ; implicit-def: $vgpr1
.LBB933_204:
	s_and_b64 vcc, exec, s[0:1]
	s_cbranch_vccz .LBB933_214
; %bb.205:
	s_sub_i32 s12, s36, s10
	v_mov_b32_e32 v1, 0
	v_cmp_gt_u32_e32 vcc, s12, v0
	v_mov_b32_e32 v2, v1
	s_and_saveexec_b64 s[0:1], vcc
	s_cbranch_execz .LBB933_207
; %bb.206:
	v_lshlrev_b32_e32 v2, 2, v0
	global_load_dword v3, v2, s[2:3]
	global_load_dword v4, v2, s[8:9]
	s_waitcnt vmcnt(0)
	v_cmp_ne_u32_e32 vcc, v3, v4
	v_cndmask_b32_e64 v2, 0, 1, vcc
	v_and_b32_e32 v2, 0xffff, v2
	v_mov_b32_e32 v3, v1
	v_mov_b32_e32 v1, v2
	;; [unrolled: 1-line block ×3, first 2 shown]
.LBB933_207:
	s_or_b64 exec, exec, s[0:1]
	v_or_b32_e32 v3, 0x100, v0
	v_cmp_gt_u32_e32 vcc, s12, v3
	s_and_saveexec_b64 s[10:11], vcc
	s_cbranch_execz .LBB933_209
; %bb.208:
	v_lshlrev_b32_e32 v2, 2, v0
	global_load_dword v3, v2, s[2:3] offset:1024
	global_load_dword v4, v2, s[8:9] offset:1024
	s_waitcnt vmcnt(0)
	v_cmp_ne_u32_e64 s[0:1], v3, v4
	v_cndmask_b32_e64 v2, 0, 1, s[0:1]
.LBB933_209:
	s_or_b64 exec, exec, s[10:11]
	v_cndmask_b32_e32 v2, 0, v2, vcc
	v_add_u32_e32 v1, v2, v1
	v_mbcnt_lo_u32_b32 v2, -1, 0
	v_mbcnt_hi_u32_b32 v2, -1, v2
	v_and_b32_e32 v4, 63, v2
	v_cmp_ne_u32_e32 vcc, 63, v4
	v_addc_co_u32_e32 v3, vcc, 0, v2, vcc
	v_lshlrev_b32_e32 v3, 2, v3
	ds_bpermute_b32 v3, v3, v1
	s_min_u32 s2, s12, 0x100
	v_and_b32_e32 v5, 0xc0, v0
	v_sub_u32_e64 v5, s2, v5 clamp
	v_add_u32_e32 v6, 1, v4
	v_cmp_lt_u32_e32 vcc, v6, v5
	s_waitcnt lgkmcnt(0)
	v_cndmask_b32_e32 v3, 0, v3, vcc
	v_cmp_gt_u32_e32 vcc, 62, v4
	v_add_u32_e32 v1, v3, v1
	v_cndmask_b32_e64 v3, 0, 2, vcc
	v_add_lshl_u32 v3, v3, v2, 2
	ds_bpermute_b32 v3, v3, v1
	v_add_u32_e32 v6, 2, v4
	v_cmp_lt_u32_e32 vcc, v6, v5
	v_add_u32_e32 v6, 4, v4
	s_waitcnt lgkmcnt(0)
	v_cndmask_b32_e32 v3, 0, v3, vcc
	v_cmp_gt_u32_e32 vcc, 60, v4
	v_add_u32_e32 v1, v1, v3
	v_cndmask_b32_e64 v3, 0, 4, vcc
	v_add_lshl_u32 v3, v3, v2, 2
	ds_bpermute_b32 v3, v3, v1
	v_cmp_lt_u32_e32 vcc, v6, v5
	v_add_u32_e32 v6, 8, v4
	s_waitcnt lgkmcnt(0)
	v_cndmask_b32_e32 v3, 0, v3, vcc
	v_cmp_gt_u32_e32 vcc, 56, v4
	v_add_u32_e32 v1, v1, v3
	v_cndmask_b32_e64 v3, 0, 8, vcc
	v_add_lshl_u32 v3, v3, v2, 2
	ds_bpermute_b32 v3, v3, v1
	;; [unrolled: 9-line block ×3, first 2 shown]
	v_cmp_lt_u32_e32 vcc, v6, v5
	v_add_u32_e32 v4, 32, v4
	s_waitcnt lgkmcnt(0)
	v_cndmask_b32_e32 v3, 0, v3, vcc
	v_add_u32_e32 v1, v1, v3
	v_lshlrev_b32_e32 v3, 2, v2
	v_or_b32_e32 v6, 0x80, v3
	ds_bpermute_b32 v6, v6, v1
	v_cmp_lt_u32_e32 vcc, v4, v5
	s_waitcnt lgkmcnt(0)
	v_cndmask_b32_e32 v4, 0, v6, vcc
	v_add_u32_e32 v1, v1, v4
	v_cmp_eq_u32_e32 vcc, 0, v2
	s_and_saveexec_b64 s[0:1], vcc
; %bb.210:
	v_lshrrev_b32_e32 v4, 4, v0
	v_and_b32_e32 v4, 12, v4
	ds_write_b32 v4, v1 offset:96
; %bb.211:
	s_or_b64 exec, exec, s[0:1]
	v_cmp_gt_u32_e32 vcc, 4, v0
	s_waitcnt lgkmcnt(0)
	s_barrier
	s_and_saveexec_b64 s[0:1], vcc
	s_cbranch_execz .LBB933_213
; %bb.212:
	ds_read_b32 v1, v3 offset:96
	v_and_b32_e32 v4, 3, v2
	v_cmp_ne_u32_e32 vcc, 3, v4
	v_addc_co_u32_e32 v2, vcc, 0, v2, vcc
	v_lshlrev_b32_e32 v2, 2, v2
	s_waitcnt lgkmcnt(0)
	ds_bpermute_b32 v2, v2, v1
	s_add_i32 s2, s2, 63
	s_lshr_b32 s2, s2, 6
	v_add_u32_e32 v5, 1, v4
	v_cmp_gt_u32_e32 vcc, s2, v5
	s_waitcnt lgkmcnt(0)
	v_cndmask_b32_e32 v2, 0, v2, vcc
	v_add_u32_e32 v1, v2, v1
	v_or_b32_e32 v2, 8, v3
	ds_bpermute_b32 v2, v2, v1
	v_add_u32_e32 v3, 2, v4
	v_cmp_gt_u32_e32 vcc, s2, v3
	s_waitcnt lgkmcnt(0)
	v_cndmask_b32_e32 v2, 0, v2, vcc
	v_add_u32_e32 v1, v1, v2
.LBB933_213:
	s_or_b64 exec, exec, s[0:1]
.LBB933_214:
	v_cmp_eq_u32_e64 s[0:1], 0, v0
	s_branch .LBB933_224
.LBB933_215:
	s_cmp_eq_u32 s33, 1
	s_cbranch_scc0 .LBB933_223
; %bb.216:
	s_mov_b32 s3, 0
	s_lshl_b32 s2, s6, 8
	s_mov_b32 s7, s3
	s_lshr_b64 s[0:1], s[36:37], 8
	s_cmp_lg_u64 s[0:1], s[6:7]
	v_mbcnt_lo_u32_b32 v2, -1, 0
	s_cbranch_scc0 .LBB933_227
; %bb.217:
	s_lshl_b64 s[0:1], s[2:3], 2
	s_add_u32 s8, s40, s0
	s_addc_u32 s9, s41, s1
	s_add_u32 s0, s42, s0
	v_lshlrev_b32_e32 v1, 2, v0
	s_addc_u32 s1, s43, s1
	global_load_dword v5, v1, s[8:9]
	global_load_dword v6, v1, s[0:1]
	v_mbcnt_hi_u32_b32 v3, -1, v2
	v_lshlrev_b32_e32 v4, 2, v3
	s_waitcnt vmcnt(0)
	v_cmp_ne_u32_e32 vcc, v5, v6
	v_cndmask_b32_e64 v1, 0, 1, vcc
	s_nop 1
	v_mov_b32_dpp v1, v1 quad_perm:[1,0,3,2] row_mask:0xf bank_mask:0xf bound_ctrl:1
	v_addc_co_u32_e64 v5, s[0:1], 0, v1, vcc
	s_nop 1
	v_mov_b32_dpp v5, v5 quad_perm:[2,3,0,1] row_mask:0xf bank_mask:0xf bound_ctrl:1
	v_addc_co_u32_e32 v1, vcc, v5, v1, vcc
	v_or_b32_e32 v5, 0xfc, v4
	s_nop 0
	v_add_u32_dpp v1, v1, v1 row_ror:4 row_mask:0xf bank_mask:0xf bound_ctrl:1
	v_cmp_eq_u32_e32 vcc, 0, v3
	s_nop 0
	v_add_u32_dpp v1, v1, v1 row_ror:8 row_mask:0xf bank_mask:0xf bound_ctrl:1
	s_nop 1
	v_add_u32_dpp v1, v1, v1 row_bcast:15 row_mask:0xf bank_mask:0xf bound_ctrl:1
	s_nop 1
	v_add_u32_dpp v1, v1, v1 row_bcast:31 row_mask:0xf bank_mask:0xf bound_ctrl:1
	ds_bpermute_b32 v1, v5, v1
	s_and_saveexec_b64 s[0:1], vcc
	s_cbranch_execz .LBB933_219
; %bb.218:
	v_lshrrev_b32_e32 v5, 4, v0
	v_and_b32_e32 v5, 12, v5
	s_waitcnt lgkmcnt(0)
	ds_write_b32 v5, v1 offset:16
.LBB933_219:
	s_or_b64 exec, exec, s[0:1]
	v_cmp_gt_u32_e32 vcc, 64, v0
	s_waitcnt lgkmcnt(0)
	s_barrier
	s_and_saveexec_b64 s[0:1], vcc
	s_cbranch_execz .LBB933_221
; %bb.220:
	v_and_b32_e32 v1, 3, v3
	v_lshlrev_b32_e32 v5, 2, v1
	ds_read_b32 v5, v5 offset:16
	v_cmp_ne_u32_e32 vcc, 3, v1
	v_addc_co_u32_e32 v1, vcc, 0, v3, vcc
	v_lshlrev_b32_e32 v1, 2, v1
	s_waitcnt lgkmcnt(0)
	ds_bpermute_b32 v1, v1, v5
	v_or_b32_e32 v3, 8, v4
	s_waitcnt lgkmcnt(0)
	v_add_u32_e32 v1, v1, v5
	ds_bpermute_b32 v3, v3, v1
	s_waitcnt lgkmcnt(0)
	v_add_u32_e32 v1, v3, v1
.LBB933_221:
	s_or_b64 exec, exec, s[0:1]
.LBB933_222:
	v_cmp_eq_u32_e64 s[0:1], 0, v0
	s_and_saveexec_b64 s[2:3], s[0:1]
	s_cbranch_execnz .LBB933_225
	s_branch .LBB933_226
.LBB933_223:
                                        ; implicit-def: $vgpr1
                                        ; implicit-def: $sgpr6_sgpr7
.LBB933_224:
	s_and_saveexec_b64 s[2:3], s[0:1]
	s_cbranch_execz .LBB933_226
.LBB933_225:
	s_lshl_b64 s[0:1], s[6:7], 2
	s_load_dword s2, s[4:5], 0x30
	s_add_u32 s0, s38, s0
	s_addc_u32 s1, s39, s1
	s_cmp_lg_u64 s[36:37], 0
	s_cselect_b64 vcc, -1, 0
	v_cndmask_b32_e32 v1, 0, v1, vcc
	v_mov_b32_e32 v0, 0
	s_waitcnt lgkmcnt(0)
	v_add_u32_e32 v1, s2, v1
	global_store_dword v0, v1, s[0:1]
.LBB933_226:
	s_endpgm
.LBB933_227:
                                        ; implicit-def: $vgpr1
	s_cbranch_execz .LBB933_222
; %bb.228:
	s_sub_i32 s8, s36, s2
	v_cmp_gt_u32_e32 vcc, s8, v0
                                        ; implicit-def: $vgpr1
	s_and_saveexec_b64 s[0:1], vcc
	s_cbranch_execz .LBB933_230
; %bb.229:
	s_lshl_b64 s[2:3], s[2:3], 2
	s_add_u32 s10, s42, s2
	s_addc_u32 s11, s43, s3
	s_add_u32 s2, s40, s2
	v_lshlrev_b32_e32 v1, 2, v0
	s_addc_u32 s3, s41, s3
	global_load_dword v3, v1, s[2:3]
	global_load_dword v4, v1, s[10:11]
	s_waitcnt vmcnt(0)
	v_cmp_ne_u32_e32 vcc, v3, v4
	v_cndmask_b32_e64 v1, 0, 1, vcc
.LBB933_230:
	s_or_b64 exec, exec, s[0:1]
	v_mbcnt_hi_u32_b32 v2, -1, v2
	v_and_b32_e32 v4, 63, v2
	v_cmp_ne_u32_e32 vcc, 63, v4
	v_addc_co_u32_e32 v3, vcc, 0, v2, vcc
	v_lshlrev_b32_e32 v3, 2, v3
	ds_bpermute_b32 v3, v3, v1
	s_min_u32 s2, s8, 0x100
	v_and_b32_e32 v5, 0xc0, v0
	v_sub_u32_e64 v5, s2, v5 clamp
	v_add_u32_e32 v6, 1, v4
	v_cmp_lt_u32_e32 vcc, v6, v5
	s_waitcnt lgkmcnt(0)
	v_cndmask_b32_e32 v3, 0, v3, vcc
	v_cmp_gt_u32_e32 vcc, 62, v4
	v_add_u32_e32 v1, v3, v1
	v_cndmask_b32_e64 v3, 0, 2, vcc
	v_add_lshl_u32 v3, v3, v2, 2
	ds_bpermute_b32 v3, v3, v1
	v_add_u32_e32 v6, 2, v4
	v_cmp_lt_u32_e32 vcc, v6, v5
	v_add_u32_e32 v6, 4, v4
	s_waitcnt lgkmcnt(0)
	v_cndmask_b32_e32 v3, 0, v3, vcc
	v_cmp_gt_u32_e32 vcc, 60, v4
	v_add_u32_e32 v1, v1, v3
	v_cndmask_b32_e64 v3, 0, 4, vcc
	v_add_lshl_u32 v3, v3, v2, 2
	ds_bpermute_b32 v3, v3, v1
	v_cmp_lt_u32_e32 vcc, v6, v5
	v_add_u32_e32 v6, 8, v4
	s_waitcnt lgkmcnt(0)
	v_cndmask_b32_e32 v3, 0, v3, vcc
	v_cmp_gt_u32_e32 vcc, 56, v4
	v_add_u32_e32 v1, v1, v3
	v_cndmask_b32_e64 v3, 0, 8, vcc
	v_add_lshl_u32 v3, v3, v2, 2
	ds_bpermute_b32 v3, v3, v1
	;; [unrolled: 9-line block ×3, first 2 shown]
	v_cmp_lt_u32_e32 vcc, v6, v5
	v_add_u32_e32 v4, 32, v4
	s_waitcnt lgkmcnt(0)
	v_cndmask_b32_e32 v3, 0, v3, vcc
	v_add_u32_e32 v1, v1, v3
	v_lshlrev_b32_e32 v3, 2, v2
	v_or_b32_e32 v6, 0x80, v3
	ds_bpermute_b32 v6, v6, v1
	v_cmp_lt_u32_e32 vcc, v4, v5
	s_waitcnt lgkmcnt(0)
	v_cndmask_b32_e32 v4, 0, v6, vcc
	v_add_u32_e32 v1, v1, v4
	v_cmp_eq_u32_e32 vcc, 0, v2
	s_and_saveexec_b64 s[0:1], vcc
; %bb.231:
	v_lshrrev_b32_e32 v4, 4, v0
	v_and_b32_e32 v4, 12, v4
	ds_write_b32 v4, v1 offset:96
; %bb.232:
	s_or_b64 exec, exec, s[0:1]
	v_cmp_gt_u32_e32 vcc, 4, v0
	s_waitcnt lgkmcnt(0)
	s_barrier
	s_and_saveexec_b64 s[0:1], vcc
	s_cbranch_execz .LBB933_234
; %bb.233:
	ds_read_b32 v1, v3 offset:96
	v_and_b32_e32 v4, 3, v2
	v_cmp_ne_u32_e32 vcc, 3, v4
	v_addc_co_u32_e32 v2, vcc, 0, v2, vcc
	v_lshlrev_b32_e32 v2, 2, v2
	s_waitcnt lgkmcnt(0)
	ds_bpermute_b32 v2, v2, v1
	s_add_i32 s2, s2, 63
	s_lshr_b32 s2, s2, 6
	v_add_u32_e32 v5, 1, v4
	v_cmp_gt_u32_e32 vcc, s2, v5
	s_waitcnt lgkmcnt(0)
	v_cndmask_b32_e32 v2, 0, v2, vcc
	v_add_u32_e32 v1, v2, v1
	v_or_b32_e32 v2, 8, v3
	ds_bpermute_b32 v2, v2, v1
	v_add_u32_e32 v3, 2, v4
	v_cmp_gt_u32_e32 vcc, s2, v3
	s_waitcnt lgkmcnt(0)
	v_cndmask_b32_e32 v2, 0, v2, vcc
	v_add_u32_e32 v1, v1, v2
.LBB933_234:
	s_or_b64 exec, exec, s[0:1]
	v_cmp_eq_u32_e64 s[0:1], 0, v0
	s_and_saveexec_b64 s[2:3], s[0:1]
	s_cbranch_execnz .LBB933_225
	s_branch .LBB933_226
	.section	.rodata,"a",@progbits
	.p2align	6, 0x0
	.amdhsa_kernel _ZN7rocprim17ROCPRIM_400000_NS6detail17trampoline_kernelINS0_14default_configENS1_22reduce_config_selectorIiEEZNS1_11reduce_implILb1ES3_N6thrust23THRUST_200600_302600_NS11hip_rocprim35transform_pair_of_input_iterators_tIiPiSB_NS8_12not_equal_toIiEEEESB_iNS8_4plusIiEEEE10hipError_tPvRmT1_T2_T3_mT4_P12ihipStream_tbEUlT_E1_NS1_11comp_targetILNS1_3genE2ELNS1_11target_archE906ELNS1_3gpuE6ELNS1_3repE0EEENS1_30default_config_static_selectorELNS0_4arch9wavefront6targetE1EEEvSK_
		.amdhsa_group_segment_fixed_size 112
		.amdhsa_private_segment_fixed_size 0
		.amdhsa_kernarg_size 56
		.amdhsa_user_sgpr_count 6
		.amdhsa_user_sgpr_private_segment_buffer 1
		.amdhsa_user_sgpr_dispatch_ptr 0
		.amdhsa_user_sgpr_queue_ptr 0
		.amdhsa_user_sgpr_kernarg_segment_ptr 1
		.amdhsa_user_sgpr_dispatch_id 0
		.amdhsa_user_sgpr_flat_scratch_init 0
		.amdhsa_user_sgpr_private_segment_size 0
		.amdhsa_uses_dynamic_stack 0
		.amdhsa_system_sgpr_private_segment_wavefront_offset 0
		.amdhsa_system_sgpr_workgroup_id_x 1
		.amdhsa_system_sgpr_workgroup_id_y 0
		.amdhsa_system_sgpr_workgroup_id_z 0
		.amdhsa_system_sgpr_workgroup_info 0
		.amdhsa_system_vgpr_workitem_id 0
		.amdhsa_next_free_vgpr 40
		.amdhsa_next_free_sgpr 49
		.amdhsa_reserve_vcc 1
		.amdhsa_reserve_flat_scratch 0
		.amdhsa_float_round_mode_32 0
		.amdhsa_float_round_mode_16_64 0
		.amdhsa_float_denorm_mode_32 3
		.amdhsa_float_denorm_mode_16_64 3
		.amdhsa_dx10_clamp 1
		.amdhsa_ieee_mode 1
		.amdhsa_fp16_overflow 0
		.amdhsa_exception_fp_ieee_invalid_op 0
		.amdhsa_exception_fp_denorm_src 0
		.amdhsa_exception_fp_ieee_div_zero 0
		.amdhsa_exception_fp_ieee_overflow 0
		.amdhsa_exception_fp_ieee_underflow 0
		.amdhsa_exception_fp_ieee_inexact 0
		.amdhsa_exception_int_div_zero 0
	.end_amdhsa_kernel
	.section	.text._ZN7rocprim17ROCPRIM_400000_NS6detail17trampoline_kernelINS0_14default_configENS1_22reduce_config_selectorIiEEZNS1_11reduce_implILb1ES3_N6thrust23THRUST_200600_302600_NS11hip_rocprim35transform_pair_of_input_iterators_tIiPiSB_NS8_12not_equal_toIiEEEESB_iNS8_4plusIiEEEE10hipError_tPvRmT1_T2_T3_mT4_P12ihipStream_tbEUlT_E1_NS1_11comp_targetILNS1_3genE2ELNS1_11target_archE906ELNS1_3gpuE6ELNS1_3repE0EEENS1_30default_config_static_selectorELNS0_4arch9wavefront6targetE1EEEvSK_,"axG",@progbits,_ZN7rocprim17ROCPRIM_400000_NS6detail17trampoline_kernelINS0_14default_configENS1_22reduce_config_selectorIiEEZNS1_11reduce_implILb1ES3_N6thrust23THRUST_200600_302600_NS11hip_rocprim35transform_pair_of_input_iterators_tIiPiSB_NS8_12not_equal_toIiEEEESB_iNS8_4plusIiEEEE10hipError_tPvRmT1_T2_T3_mT4_P12ihipStream_tbEUlT_E1_NS1_11comp_targetILNS1_3genE2ELNS1_11target_archE906ELNS1_3gpuE6ELNS1_3repE0EEENS1_30default_config_static_selectorELNS0_4arch9wavefront6targetE1EEEvSK_,comdat
.Lfunc_end933:
	.size	_ZN7rocprim17ROCPRIM_400000_NS6detail17trampoline_kernelINS0_14default_configENS1_22reduce_config_selectorIiEEZNS1_11reduce_implILb1ES3_N6thrust23THRUST_200600_302600_NS11hip_rocprim35transform_pair_of_input_iterators_tIiPiSB_NS8_12not_equal_toIiEEEESB_iNS8_4plusIiEEEE10hipError_tPvRmT1_T2_T3_mT4_P12ihipStream_tbEUlT_E1_NS1_11comp_targetILNS1_3genE2ELNS1_11target_archE906ELNS1_3gpuE6ELNS1_3repE0EEENS1_30default_config_static_selectorELNS0_4arch9wavefront6targetE1EEEvSK_, .Lfunc_end933-_ZN7rocprim17ROCPRIM_400000_NS6detail17trampoline_kernelINS0_14default_configENS1_22reduce_config_selectorIiEEZNS1_11reduce_implILb1ES3_N6thrust23THRUST_200600_302600_NS11hip_rocprim35transform_pair_of_input_iterators_tIiPiSB_NS8_12not_equal_toIiEEEESB_iNS8_4plusIiEEEE10hipError_tPvRmT1_T2_T3_mT4_P12ihipStream_tbEUlT_E1_NS1_11comp_targetILNS1_3genE2ELNS1_11target_archE906ELNS1_3gpuE6ELNS1_3repE0EEENS1_30default_config_static_selectorELNS0_4arch9wavefront6targetE1EEEvSK_
                                        ; -- End function
	.set _ZN7rocprim17ROCPRIM_400000_NS6detail17trampoline_kernelINS0_14default_configENS1_22reduce_config_selectorIiEEZNS1_11reduce_implILb1ES3_N6thrust23THRUST_200600_302600_NS11hip_rocprim35transform_pair_of_input_iterators_tIiPiSB_NS8_12not_equal_toIiEEEESB_iNS8_4plusIiEEEE10hipError_tPvRmT1_T2_T3_mT4_P12ihipStream_tbEUlT_E1_NS1_11comp_targetILNS1_3genE2ELNS1_11target_archE906ELNS1_3gpuE6ELNS1_3repE0EEENS1_30default_config_static_selectorELNS0_4arch9wavefront6targetE1EEEvSK_.num_vgpr, 40
	.set _ZN7rocprim17ROCPRIM_400000_NS6detail17trampoline_kernelINS0_14default_configENS1_22reduce_config_selectorIiEEZNS1_11reduce_implILb1ES3_N6thrust23THRUST_200600_302600_NS11hip_rocprim35transform_pair_of_input_iterators_tIiPiSB_NS8_12not_equal_toIiEEEESB_iNS8_4plusIiEEEE10hipError_tPvRmT1_T2_T3_mT4_P12ihipStream_tbEUlT_E1_NS1_11comp_targetILNS1_3genE2ELNS1_11target_archE906ELNS1_3gpuE6ELNS1_3repE0EEENS1_30default_config_static_selectorELNS0_4arch9wavefront6targetE1EEEvSK_.num_agpr, 0
	.set _ZN7rocprim17ROCPRIM_400000_NS6detail17trampoline_kernelINS0_14default_configENS1_22reduce_config_selectorIiEEZNS1_11reduce_implILb1ES3_N6thrust23THRUST_200600_302600_NS11hip_rocprim35transform_pair_of_input_iterators_tIiPiSB_NS8_12not_equal_toIiEEEESB_iNS8_4plusIiEEEE10hipError_tPvRmT1_T2_T3_mT4_P12ihipStream_tbEUlT_E1_NS1_11comp_targetILNS1_3genE2ELNS1_11target_archE906ELNS1_3gpuE6ELNS1_3repE0EEENS1_30default_config_static_selectorELNS0_4arch9wavefront6targetE1EEEvSK_.numbered_sgpr, 49
	.set _ZN7rocprim17ROCPRIM_400000_NS6detail17trampoline_kernelINS0_14default_configENS1_22reduce_config_selectorIiEEZNS1_11reduce_implILb1ES3_N6thrust23THRUST_200600_302600_NS11hip_rocprim35transform_pair_of_input_iterators_tIiPiSB_NS8_12not_equal_toIiEEEESB_iNS8_4plusIiEEEE10hipError_tPvRmT1_T2_T3_mT4_P12ihipStream_tbEUlT_E1_NS1_11comp_targetILNS1_3genE2ELNS1_11target_archE906ELNS1_3gpuE6ELNS1_3repE0EEENS1_30default_config_static_selectorELNS0_4arch9wavefront6targetE1EEEvSK_.num_named_barrier, 0
	.set _ZN7rocprim17ROCPRIM_400000_NS6detail17trampoline_kernelINS0_14default_configENS1_22reduce_config_selectorIiEEZNS1_11reduce_implILb1ES3_N6thrust23THRUST_200600_302600_NS11hip_rocprim35transform_pair_of_input_iterators_tIiPiSB_NS8_12not_equal_toIiEEEESB_iNS8_4plusIiEEEE10hipError_tPvRmT1_T2_T3_mT4_P12ihipStream_tbEUlT_E1_NS1_11comp_targetILNS1_3genE2ELNS1_11target_archE906ELNS1_3gpuE6ELNS1_3repE0EEENS1_30default_config_static_selectorELNS0_4arch9wavefront6targetE1EEEvSK_.private_seg_size, 0
	.set _ZN7rocprim17ROCPRIM_400000_NS6detail17trampoline_kernelINS0_14default_configENS1_22reduce_config_selectorIiEEZNS1_11reduce_implILb1ES3_N6thrust23THRUST_200600_302600_NS11hip_rocprim35transform_pair_of_input_iterators_tIiPiSB_NS8_12not_equal_toIiEEEESB_iNS8_4plusIiEEEE10hipError_tPvRmT1_T2_T3_mT4_P12ihipStream_tbEUlT_E1_NS1_11comp_targetILNS1_3genE2ELNS1_11target_archE906ELNS1_3gpuE6ELNS1_3repE0EEENS1_30default_config_static_selectorELNS0_4arch9wavefront6targetE1EEEvSK_.uses_vcc, 1
	.set _ZN7rocprim17ROCPRIM_400000_NS6detail17trampoline_kernelINS0_14default_configENS1_22reduce_config_selectorIiEEZNS1_11reduce_implILb1ES3_N6thrust23THRUST_200600_302600_NS11hip_rocprim35transform_pair_of_input_iterators_tIiPiSB_NS8_12not_equal_toIiEEEESB_iNS8_4plusIiEEEE10hipError_tPvRmT1_T2_T3_mT4_P12ihipStream_tbEUlT_E1_NS1_11comp_targetILNS1_3genE2ELNS1_11target_archE906ELNS1_3gpuE6ELNS1_3repE0EEENS1_30default_config_static_selectorELNS0_4arch9wavefront6targetE1EEEvSK_.uses_flat_scratch, 0
	.set _ZN7rocprim17ROCPRIM_400000_NS6detail17trampoline_kernelINS0_14default_configENS1_22reduce_config_selectorIiEEZNS1_11reduce_implILb1ES3_N6thrust23THRUST_200600_302600_NS11hip_rocprim35transform_pair_of_input_iterators_tIiPiSB_NS8_12not_equal_toIiEEEESB_iNS8_4plusIiEEEE10hipError_tPvRmT1_T2_T3_mT4_P12ihipStream_tbEUlT_E1_NS1_11comp_targetILNS1_3genE2ELNS1_11target_archE906ELNS1_3gpuE6ELNS1_3repE0EEENS1_30default_config_static_selectorELNS0_4arch9wavefront6targetE1EEEvSK_.has_dyn_sized_stack, 0
	.set _ZN7rocprim17ROCPRIM_400000_NS6detail17trampoline_kernelINS0_14default_configENS1_22reduce_config_selectorIiEEZNS1_11reduce_implILb1ES3_N6thrust23THRUST_200600_302600_NS11hip_rocprim35transform_pair_of_input_iterators_tIiPiSB_NS8_12not_equal_toIiEEEESB_iNS8_4plusIiEEEE10hipError_tPvRmT1_T2_T3_mT4_P12ihipStream_tbEUlT_E1_NS1_11comp_targetILNS1_3genE2ELNS1_11target_archE906ELNS1_3gpuE6ELNS1_3repE0EEENS1_30default_config_static_selectorELNS0_4arch9wavefront6targetE1EEEvSK_.has_recursion, 0
	.set _ZN7rocprim17ROCPRIM_400000_NS6detail17trampoline_kernelINS0_14default_configENS1_22reduce_config_selectorIiEEZNS1_11reduce_implILb1ES3_N6thrust23THRUST_200600_302600_NS11hip_rocprim35transform_pair_of_input_iterators_tIiPiSB_NS8_12not_equal_toIiEEEESB_iNS8_4plusIiEEEE10hipError_tPvRmT1_T2_T3_mT4_P12ihipStream_tbEUlT_E1_NS1_11comp_targetILNS1_3genE2ELNS1_11target_archE906ELNS1_3gpuE6ELNS1_3repE0EEENS1_30default_config_static_selectorELNS0_4arch9wavefront6targetE1EEEvSK_.has_indirect_call, 0
	.section	.AMDGPU.csdata,"",@progbits
; Kernel info:
; codeLenInByte = 12020
; TotalNumSgprs: 53
; NumVgprs: 40
; ScratchSize: 0
; MemoryBound: 0
; FloatMode: 240
; IeeeMode: 1
; LDSByteSize: 112 bytes/workgroup (compile time only)
; SGPRBlocks: 6
; VGPRBlocks: 9
; NumSGPRsForWavesPerEU: 53
; NumVGPRsForWavesPerEU: 40
; Occupancy: 6
; WaveLimiterHint : 0
; COMPUTE_PGM_RSRC2:SCRATCH_EN: 0
; COMPUTE_PGM_RSRC2:USER_SGPR: 6
; COMPUTE_PGM_RSRC2:TRAP_HANDLER: 0
; COMPUTE_PGM_RSRC2:TGID_X_EN: 1
; COMPUTE_PGM_RSRC2:TGID_Y_EN: 0
; COMPUTE_PGM_RSRC2:TGID_Z_EN: 0
; COMPUTE_PGM_RSRC2:TIDIG_COMP_CNT: 0
	.section	.text._ZN7rocprim17ROCPRIM_400000_NS6detail17trampoline_kernelINS0_14default_configENS1_22reduce_config_selectorIiEEZNS1_11reduce_implILb1ES3_N6thrust23THRUST_200600_302600_NS11hip_rocprim35transform_pair_of_input_iterators_tIiPiSB_NS8_12not_equal_toIiEEEESB_iNS8_4plusIiEEEE10hipError_tPvRmT1_T2_T3_mT4_P12ihipStream_tbEUlT_E1_NS1_11comp_targetILNS1_3genE10ELNS1_11target_archE1201ELNS1_3gpuE5ELNS1_3repE0EEENS1_30default_config_static_selectorELNS0_4arch9wavefront6targetE1EEEvSK_,"axG",@progbits,_ZN7rocprim17ROCPRIM_400000_NS6detail17trampoline_kernelINS0_14default_configENS1_22reduce_config_selectorIiEEZNS1_11reduce_implILb1ES3_N6thrust23THRUST_200600_302600_NS11hip_rocprim35transform_pair_of_input_iterators_tIiPiSB_NS8_12not_equal_toIiEEEESB_iNS8_4plusIiEEEE10hipError_tPvRmT1_T2_T3_mT4_P12ihipStream_tbEUlT_E1_NS1_11comp_targetILNS1_3genE10ELNS1_11target_archE1201ELNS1_3gpuE5ELNS1_3repE0EEENS1_30default_config_static_selectorELNS0_4arch9wavefront6targetE1EEEvSK_,comdat
	.protected	_ZN7rocprim17ROCPRIM_400000_NS6detail17trampoline_kernelINS0_14default_configENS1_22reduce_config_selectorIiEEZNS1_11reduce_implILb1ES3_N6thrust23THRUST_200600_302600_NS11hip_rocprim35transform_pair_of_input_iterators_tIiPiSB_NS8_12not_equal_toIiEEEESB_iNS8_4plusIiEEEE10hipError_tPvRmT1_T2_T3_mT4_P12ihipStream_tbEUlT_E1_NS1_11comp_targetILNS1_3genE10ELNS1_11target_archE1201ELNS1_3gpuE5ELNS1_3repE0EEENS1_30default_config_static_selectorELNS0_4arch9wavefront6targetE1EEEvSK_ ; -- Begin function _ZN7rocprim17ROCPRIM_400000_NS6detail17trampoline_kernelINS0_14default_configENS1_22reduce_config_selectorIiEEZNS1_11reduce_implILb1ES3_N6thrust23THRUST_200600_302600_NS11hip_rocprim35transform_pair_of_input_iterators_tIiPiSB_NS8_12not_equal_toIiEEEESB_iNS8_4plusIiEEEE10hipError_tPvRmT1_T2_T3_mT4_P12ihipStream_tbEUlT_E1_NS1_11comp_targetILNS1_3genE10ELNS1_11target_archE1201ELNS1_3gpuE5ELNS1_3repE0EEENS1_30default_config_static_selectorELNS0_4arch9wavefront6targetE1EEEvSK_
	.globl	_ZN7rocprim17ROCPRIM_400000_NS6detail17trampoline_kernelINS0_14default_configENS1_22reduce_config_selectorIiEEZNS1_11reduce_implILb1ES3_N6thrust23THRUST_200600_302600_NS11hip_rocprim35transform_pair_of_input_iterators_tIiPiSB_NS8_12not_equal_toIiEEEESB_iNS8_4plusIiEEEE10hipError_tPvRmT1_T2_T3_mT4_P12ihipStream_tbEUlT_E1_NS1_11comp_targetILNS1_3genE10ELNS1_11target_archE1201ELNS1_3gpuE5ELNS1_3repE0EEENS1_30default_config_static_selectorELNS0_4arch9wavefront6targetE1EEEvSK_
	.p2align	8
	.type	_ZN7rocprim17ROCPRIM_400000_NS6detail17trampoline_kernelINS0_14default_configENS1_22reduce_config_selectorIiEEZNS1_11reduce_implILb1ES3_N6thrust23THRUST_200600_302600_NS11hip_rocprim35transform_pair_of_input_iterators_tIiPiSB_NS8_12not_equal_toIiEEEESB_iNS8_4plusIiEEEE10hipError_tPvRmT1_T2_T3_mT4_P12ihipStream_tbEUlT_E1_NS1_11comp_targetILNS1_3genE10ELNS1_11target_archE1201ELNS1_3gpuE5ELNS1_3repE0EEENS1_30default_config_static_selectorELNS0_4arch9wavefront6targetE1EEEvSK_,@function
_ZN7rocprim17ROCPRIM_400000_NS6detail17trampoline_kernelINS0_14default_configENS1_22reduce_config_selectorIiEEZNS1_11reduce_implILb1ES3_N6thrust23THRUST_200600_302600_NS11hip_rocprim35transform_pair_of_input_iterators_tIiPiSB_NS8_12not_equal_toIiEEEESB_iNS8_4plusIiEEEE10hipError_tPvRmT1_T2_T3_mT4_P12ihipStream_tbEUlT_E1_NS1_11comp_targetILNS1_3genE10ELNS1_11target_archE1201ELNS1_3gpuE5ELNS1_3repE0EEENS1_30default_config_static_selectorELNS0_4arch9wavefront6targetE1EEEvSK_: ; @_ZN7rocprim17ROCPRIM_400000_NS6detail17trampoline_kernelINS0_14default_configENS1_22reduce_config_selectorIiEEZNS1_11reduce_implILb1ES3_N6thrust23THRUST_200600_302600_NS11hip_rocprim35transform_pair_of_input_iterators_tIiPiSB_NS8_12not_equal_toIiEEEESB_iNS8_4plusIiEEEE10hipError_tPvRmT1_T2_T3_mT4_P12ihipStream_tbEUlT_E1_NS1_11comp_targetILNS1_3genE10ELNS1_11target_archE1201ELNS1_3gpuE5ELNS1_3repE0EEENS1_30default_config_static_selectorELNS0_4arch9wavefront6targetE1EEEvSK_
; %bb.0:
	.section	.rodata,"a",@progbits
	.p2align	6, 0x0
	.amdhsa_kernel _ZN7rocprim17ROCPRIM_400000_NS6detail17trampoline_kernelINS0_14default_configENS1_22reduce_config_selectorIiEEZNS1_11reduce_implILb1ES3_N6thrust23THRUST_200600_302600_NS11hip_rocprim35transform_pair_of_input_iterators_tIiPiSB_NS8_12not_equal_toIiEEEESB_iNS8_4plusIiEEEE10hipError_tPvRmT1_T2_T3_mT4_P12ihipStream_tbEUlT_E1_NS1_11comp_targetILNS1_3genE10ELNS1_11target_archE1201ELNS1_3gpuE5ELNS1_3repE0EEENS1_30default_config_static_selectorELNS0_4arch9wavefront6targetE1EEEvSK_
		.amdhsa_group_segment_fixed_size 0
		.amdhsa_private_segment_fixed_size 0
		.amdhsa_kernarg_size 56
		.amdhsa_user_sgpr_count 6
		.amdhsa_user_sgpr_private_segment_buffer 1
		.amdhsa_user_sgpr_dispatch_ptr 0
		.amdhsa_user_sgpr_queue_ptr 0
		.amdhsa_user_sgpr_kernarg_segment_ptr 1
		.amdhsa_user_sgpr_dispatch_id 0
		.amdhsa_user_sgpr_flat_scratch_init 0
		.amdhsa_user_sgpr_private_segment_size 0
		.amdhsa_uses_dynamic_stack 0
		.amdhsa_system_sgpr_private_segment_wavefront_offset 0
		.amdhsa_system_sgpr_workgroup_id_x 1
		.amdhsa_system_sgpr_workgroup_id_y 0
		.amdhsa_system_sgpr_workgroup_id_z 0
		.amdhsa_system_sgpr_workgroup_info 0
		.amdhsa_system_vgpr_workitem_id 0
		.amdhsa_next_free_vgpr 1
		.amdhsa_next_free_sgpr 0
		.amdhsa_reserve_vcc 0
		.amdhsa_reserve_flat_scratch 0
		.amdhsa_float_round_mode_32 0
		.amdhsa_float_round_mode_16_64 0
		.amdhsa_float_denorm_mode_32 3
		.amdhsa_float_denorm_mode_16_64 3
		.amdhsa_dx10_clamp 1
		.amdhsa_ieee_mode 1
		.amdhsa_fp16_overflow 0
		.amdhsa_exception_fp_ieee_invalid_op 0
		.amdhsa_exception_fp_denorm_src 0
		.amdhsa_exception_fp_ieee_div_zero 0
		.amdhsa_exception_fp_ieee_overflow 0
		.amdhsa_exception_fp_ieee_underflow 0
		.amdhsa_exception_fp_ieee_inexact 0
		.amdhsa_exception_int_div_zero 0
	.end_amdhsa_kernel
	.section	.text._ZN7rocprim17ROCPRIM_400000_NS6detail17trampoline_kernelINS0_14default_configENS1_22reduce_config_selectorIiEEZNS1_11reduce_implILb1ES3_N6thrust23THRUST_200600_302600_NS11hip_rocprim35transform_pair_of_input_iterators_tIiPiSB_NS8_12not_equal_toIiEEEESB_iNS8_4plusIiEEEE10hipError_tPvRmT1_T2_T3_mT4_P12ihipStream_tbEUlT_E1_NS1_11comp_targetILNS1_3genE10ELNS1_11target_archE1201ELNS1_3gpuE5ELNS1_3repE0EEENS1_30default_config_static_selectorELNS0_4arch9wavefront6targetE1EEEvSK_,"axG",@progbits,_ZN7rocprim17ROCPRIM_400000_NS6detail17trampoline_kernelINS0_14default_configENS1_22reduce_config_selectorIiEEZNS1_11reduce_implILb1ES3_N6thrust23THRUST_200600_302600_NS11hip_rocprim35transform_pair_of_input_iterators_tIiPiSB_NS8_12not_equal_toIiEEEESB_iNS8_4plusIiEEEE10hipError_tPvRmT1_T2_T3_mT4_P12ihipStream_tbEUlT_E1_NS1_11comp_targetILNS1_3genE10ELNS1_11target_archE1201ELNS1_3gpuE5ELNS1_3repE0EEENS1_30default_config_static_selectorELNS0_4arch9wavefront6targetE1EEEvSK_,comdat
.Lfunc_end934:
	.size	_ZN7rocprim17ROCPRIM_400000_NS6detail17trampoline_kernelINS0_14default_configENS1_22reduce_config_selectorIiEEZNS1_11reduce_implILb1ES3_N6thrust23THRUST_200600_302600_NS11hip_rocprim35transform_pair_of_input_iterators_tIiPiSB_NS8_12not_equal_toIiEEEESB_iNS8_4plusIiEEEE10hipError_tPvRmT1_T2_T3_mT4_P12ihipStream_tbEUlT_E1_NS1_11comp_targetILNS1_3genE10ELNS1_11target_archE1201ELNS1_3gpuE5ELNS1_3repE0EEENS1_30default_config_static_selectorELNS0_4arch9wavefront6targetE1EEEvSK_, .Lfunc_end934-_ZN7rocprim17ROCPRIM_400000_NS6detail17trampoline_kernelINS0_14default_configENS1_22reduce_config_selectorIiEEZNS1_11reduce_implILb1ES3_N6thrust23THRUST_200600_302600_NS11hip_rocprim35transform_pair_of_input_iterators_tIiPiSB_NS8_12not_equal_toIiEEEESB_iNS8_4plusIiEEEE10hipError_tPvRmT1_T2_T3_mT4_P12ihipStream_tbEUlT_E1_NS1_11comp_targetILNS1_3genE10ELNS1_11target_archE1201ELNS1_3gpuE5ELNS1_3repE0EEENS1_30default_config_static_selectorELNS0_4arch9wavefront6targetE1EEEvSK_
                                        ; -- End function
	.set _ZN7rocprim17ROCPRIM_400000_NS6detail17trampoline_kernelINS0_14default_configENS1_22reduce_config_selectorIiEEZNS1_11reduce_implILb1ES3_N6thrust23THRUST_200600_302600_NS11hip_rocprim35transform_pair_of_input_iterators_tIiPiSB_NS8_12not_equal_toIiEEEESB_iNS8_4plusIiEEEE10hipError_tPvRmT1_T2_T3_mT4_P12ihipStream_tbEUlT_E1_NS1_11comp_targetILNS1_3genE10ELNS1_11target_archE1201ELNS1_3gpuE5ELNS1_3repE0EEENS1_30default_config_static_selectorELNS0_4arch9wavefront6targetE1EEEvSK_.num_vgpr, 0
	.set _ZN7rocprim17ROCPRIM_400000_NS6detail17trampoline_kernelINS0_14default_configENS1_22reduce_config_selectorIiEEZNS1_11reduce_implILb1ES3_N6thrust23THRUST_200600_302600_NS11hip_rocprim35transform_pair_of_input_iterators_tIiPiSB_NS8_12not_equal_toIiEEEESB_iNS8_4plusIiEEEE10hipError_tPvRmT1_T2_T3_mT4_P12ihipStream_tbEUlT_E1_NS1_11comp_targetILNS1_3genE10ELNS1_11target_archE1201ELNS1_3gpuE5ELNS1_3repE0EEENS1_30default_config_static_selectorELNS0_4arch9wavefront6targetE1EEEvSK_.num_agpr, 0
	.set _ZN7rocprim17ROCPRIM_400000_NS6detail17trampoline_kernelINS0_14default_configENS1_22reduce_config_selectorIiEEZNS1_11reduce_implILb1ES3_N6thrust23THRUST_200600_302600_NS11hip_rocprim35transform_pair_of_input_iterators_tIiPiSB_NS8_12not_equal_toIiEEEESB_iNS8_4plusIiEEEE10hipError_tPvRmT1_T2_T3_mT4_P12ihipStream_tbEUlT_E1_NS1_11comp_targetILNS1_3genE10ELNS1_11target_archE1201ELNS1_3gpuE5ELNS1_3repE0EEENS1_30default_config_static_selectorELNS0_4arch9wavefront6targetE1EEEvSK_.numbered_sgpr, 0
	.set _ZN7rocprim17ROCPRIM_400000_NS6detail17trampoline_kernelINS0_14default_configENS1_22reduce_config_selectorIiEEZNS1_11reduce_implILb1ES3_N6thrust23THRUST_200600_302600_NS11hip_rocprim35transform_pair_of_input_iterators_tIiPiSB_NS8_12not_equal_toIiEEEESB_iNS8_4plusIiEEEE10hipError_tPvRmT1_T2_T3_mT4_P12ihipStream_tbEUlT_E1_NS1_11comp_targetILNS1_3genE10ELNS1_11target_archE1201ELNS1_3gpuE5ELNS1_3repE0EEENS1_30default_config_static_selectorELNS0_4arch9wavefront6targetE1EEEvSK_.num_named_barrier, 0
	.set _ZN7rocprim17ROCPRIM_400000_NS6detail17trampoline_kernelINS0_14default_configENS1_22reduce_config_selectorIiEEZNS1_11reduce_implILb1ES3_N6thrust23THRUST_200600_302600_NS11hip_rocprim35transform_pair_of_input_iterators_tIiPiSB_NS8_12not_equal_toIiEEEESB_iNS8_4plusIiEEEE10hipError_tPvRmT1_T2_T3_mT4_P12ihipStream_tbEUlT_E1_NS1_11comp_targetILNS1_3genE10ELNS1_11target_archE1201ELNS1_3gpuE5ELNS1_3repE0EEENS1_30default_config_static_selectorELNS0_4arch9wavefront6targetE1EEEvSK_.private_seg_size, 0
	.set _ZN7rocprim17ROCPRIM_400000_NS6detail17trampoline_kernelINS0_14default_configENS1_22reduce_config_selectorIiEEZNS1_11reduce_implILb1ES3_N6thrust23THRUST_200600_302600_NS11hip_rocprim35transform_pair_of_input_iterators_tIiPiSB_NS8_12not_equal_toIiEEEESB_iNS8_4plusIiEEEE10hipError_tPvRmT1_T2_T3_mT4_P12ihipStream_tbEUlT_E1_NS1_11comp_targetILNS1_3genE10ELNS1_11target_archE1201ELNS1_3gpuE5ELNS1_3repE0EEENS1_30default_config_static_selectorELNS0_4arch9wavefront6targetE1EEEvSK_.uses_vcc, 0
	.set _ZN7rocprim17ROCPRIM_400000_NS6detail17trampoline_kernelINS0_14default_configENS1_22reduce_config_selectorIiEEZNS1_11reduce_implILb1ES3_N6thrust23THRUST_200600_302600_NS11hip_rocprim35transform_pair_of_input_iterators_tIiPiSB_NS8_12not_equal_toIiEEEESB_iNS8_4plusIiEEEE10hipError_tPvRmT1_T2_T3_mT4_P12ihipStream_tbEUlT_E1_NS1_11comp_targetILNS1_3genE10ELNS1_11target_archE1201ELNS1_3gpuE5ELNS1_3repE0EEENS1_30default_config_static_selectorELNS0_4arch9wavefront6targetE1EEEvSK_.uses_flat_scratch, 0
	.set _ZN7rocprim17ROCPRIM_400000_NS6detail17trampoline_kernelINS0_14default_configENS1_22reduce_config_selectorIiEEZNS1_11reduce_implILb1ES3_N6thrust23THRUST_200600_302600_NS11hip_rocprim35transform_pair_of_input_iterators_tIiPiSB_NS8_12not_equal_toIiEEEESB_iNS8_4plusIiEEEE10hipError_tPvRmT1_T2_T3_mT4_P12ihipStream_tbEUlT_E1_NS1_11comp_targetILNS1_3genE10ELNS1_11target_archE1201ELNS1_3gpuE5ELNS1_3repE0EEENS1_30default_config_static_selectorELNS0_4arch9wavefront6targetE1EEEvSK_.has_dyn_sized_stack, 0
	.set _ZN7rocprim17ROCPRIM_400000_NS6detail17trampoline_kernelINS0_14default_configENS1_22reduce_config_selectorIiEEZNS1_11reduce_implILb1ES3_N6thrust23THRUST_200600_302600_NS11hip_rocprim35transform_pair_of_input_iterators_tIiPiSB_NS8_12not_equal_toIiEEEESB_iNS8_4plusIiEEEE10hipError_tPvRmT1_T2_T3_mT4_P12ihipStream_tbEUlT_E1_NS1_11comp_targetILNS1_3genE10ELNS1_11target_archE1201ELNS1_3gpuE5ELNS1_3repE0EEENS1_30default_config_static_selectorELNS0_4arch9wavefront6targetE1EEEvSK_.has_recursion, 0
	.set _ZN7rocprim17ROCPRIM_400000_NS6detail17trampoline_kernelINS0_14default_configENS1_22reduce_config_selectorIiEEZNS1_11reduce_implILb1ES3_N6thrust23THRUST_200600_302600_NS11hip_rocprim35transform_pair_of_input_iterators_tIiPiSB_NS8_12not_equal_toIiEEEESB_iNS8_4plusIiEEEE10hipError_tPvRmT1_T2_T3_mT4_P12ihipStream_tbEUlT_E1_NS1_11comp_targetILNS1_3genE10ELNS1_11target_archE1201ELNS1_3gpuE5ELNS1_3repE0EEENS1_30default_config_static_selectorELNS0_4arch9wavefront6targetE1EEEvSK_.has_indirect_call, 0
	.section	.AMDGPU.csdata,"",@progbits
; Kernel info:
; codeLenInByte = 0
; TotalNumSgprs: 4
; NumVgprs: 0
; ScratchSize: 0
; MemoryBound: 0
; FloatMode: 240
; IeeeMode: 1
; LDSByteSize: 0 bytes/workgroup (compile time only)
; SGPRBlocks: 0
; VGPRBlocks: 0
; NumSGPRsForWavesPerEU: 4
; NumVGPRsForWavesPerEU: 1
; Occupancy: 10
; WaveLimiterHint : 0
; COMPUTE_PGM_RSRC2:SCRATCH_EN: 0
; COMPUTE_PGM_RSRC2:USER_SGPR: 6
; COMPUTE_PGM_RSRC2:TRAP_HANDLER: 0
; COMPUTE_PGM_RSRC2:TGID_X_EN: 1
; COMPUTE_PGM_RSRC2:TGID_Y_EN: 0
; COMPUTE_PGM_RSRC2:TGID_Z_EN: 0
; COMPUTE_PGM_RSRC2:TIDIG_COMP_CNT: 0
	.section	.text._ZN7rocprim17ROCPRIM_400000_NS6detail17trampoline_kernelINS0_14default_configENS1_22reduce_config_selectorIiEEZNS1_11reduce_implILb1ES3_N6thrust23THRUST_200600_302600_NS11hip_rocprim35transform_pair_of_input_iterators_tIiPiSB_NS8_12not_equal_toIiEEEESB_iNS8_4plusIiEEEE10hipError_tPvRmT1_T2_T3_mT4_P12ihipStream_tbEUlT_E1_NS1_11comp_targetILNS1_3genE10ELNS1_11target_archE1200ELNS1_3gpuE4ELNS1_3repE0EEENS1_30default_config_static_selectorELNS0_4arch9wavefront6targetE1EEEvSK_,"axG",@progbits,_ZN7rocprim17ROCPRIM_400000_NS6detail17trampoline_kernelINS0_14default_configENS1_22reduce_config_selectorIiEEZNS1_11reduce_implILb1ES3_N6thrust23THRUST_200600_302600_NS11hip_rocprim35transform_pair_of_input_iterators_tIiPiSB_NS8_12not_equal_toIiEEEESB_iNS8_4plusIiEEEE10hipError_tPvRmT1_T2_T3_mT4_P12ihipStream_tbEUlT_E1_NS1_11comp_targetILNS1_3genE10ELNS1_11target_archE1200ELNS1_3gpuE4ELNS1_3repE0EEENS1_30default_config_static_selectorELNS0_4arch9wavefront6targetE1EEEvSK_,comdat
	.protected	_ZN7rocprim17ROCPRIM_400000_NS6detail17trampoline_kernelINS0_14default_configENS1_22reduce_config_selectorIiEEZNS1_11reduce_implILb1ES3_N6thrust23THRUST_200600_302600_NS11hip_rocprim35transform_pair_of_input_iterators_tIiPiSB_NS8_12not_equal_toIiEEEESB_iNS8_4plusIiEEEE10hipError_tPvRmT1_T2_T3_mT4_P12ihipStream_tbEUlT_E1_NS1_11comp_targetILNS1_3genE10ELNS1_11target_archE1200ELNS1_3gpuE4ELNS1_3repE0EEENS1_30default_config_static_selectorELNS0_4arch9wavefront6targetE1EEEvSK_ ; -- Begin function _ZN7rocprim17ROCPRIM_400000_NS6detail17trampoline_kernelINS0_14default_configENS1_22reduce_config_selectorIiEEZNS1_11reduce_implILb1ES3_N6thrust23THRUST_200600_302600_NS11hip_rocprim35transform_pair_of_input_iterators_tIiPiSB_NS8_12not_equal_toIiEEEESB_iNS8_4plusIiEEEE10hipError_tPvRmT1_T2_T3_mT4_P12ihipStream_tbEUlT_E1_NS1_11comp_targetILNS1_3genE10ELNS1_11target_archE1200ELNS1_3gpuE4ELNS1_3repE0EEENS1_30default_config_static_selectorELNS0_4arch9wavefront6targetE1EEEvSK_
	.globl	_ZN7rocprim17ROCPRIM_400000_NS6detail17trampoline_kernelINS0_14default_configENS1_22reduce_config_selectorIiEEZNS1_11reduce_implILb1ES3_N6thrust23THRUST_200600_302600_NS11hip_rocprim35transform_pair_of_input_iterators_tIiPiSB_NS8_12not_equal_toIiEEEESB_iNS8_4plusIiEEEE10hipError_tPvRmT1_T2_T3_mT4_P12ihipStream_tbEUlT_E1_NS1_11comp_targetILNS1_3genE10ELNS1_11target_archE1200ELNS1_3gpuE4ELNS1_3repE0EEENS1_30default_config_static_selectorELNS0_4arch9wavefront6targetE1EEEvSK_
	.p2align	8
	.type	_ZN7rocprim17ROCPRIM_400000_NS6detail17trampoline_kernelINS0_14default_configENS1_22reduce_config_selectorIiEEZNS1_11reduce_implILb1ES3_N6thrust23THRUST_200600_302600_NS11hip_rocprim35transform_pair_of_input_iterators_tIiPiSB_NS8_12not_equal_toIiEEEESB_iNS8_4plusIiEEEE10hipError_tPvRmT1_T2_T3_mT4_P12ihipStream_tbEUlT_E1_NS1_11comp_targetILNS1_3genE10ELNS1_11target_archE1200ELNS1_3gpuE4ELNS1_3repE0EEENS1_30default_config_static_selectorELNS0_4arch9wavefront6targetE1EEEvSK_,@function
_ZN7rocprim17ROCPRIM_400000_NS6detail17trampoline_kernelINS0_14default_configENS1_22reduce_config_selectorIiEEZNS1_11reduce_implILb1ES3_N6thrust23THRUST_200600_302600_NS11hip_rocprim35transform_pair_of_input_iterators_tIiPiSB_NS8_12not_equal_toIiEEEESB_iNS8_4plusIiEEEE10hipError_tPvRmT1_T2_T3_mT4_P12ihipStream_tbEUlT_E1_NS1_11comp_targetILNS1_3genE10ELNS1_11target_archE1200ELNS1_3gpuE4ELNS1_3repE0EEENS1_30default_config_static_selectorELNS0_4arch9wavefront6targetE1EEEvSK_: ; @_ZN7rocprim17ROCPRIM_400000_NS6detail17trampoline_kernelINS0_14default_configENS1_22reduce_config_selectorIiEEZNS1_11reduce_implILb1ES3_N6thrust23THRUST_200600_302600_NS11hip_rocprim35transform_pair_of_input_iterators_tIiPiSB_NS8_12not_equal_toIiEEEESB_iNS8_4plusIiEEEE10hipError_tPvRmT1_T2_T3_mT4_P12ihipStream_tbEUlT_E1_NS1_11comp_targetILNS1_3genE10ELNS1_11target_archE1200ELNS1_3gpuE4ELNS1_3repE0EEENS1_30default_config_static_selectorELNS0_4arch9wavefront6targetE1EEEvSK_
; %bb.0:
	.section	.rodata,"a",@progbits
	.p2align	6, 0x0
	.amdhsa_kernel _ZN7rocprim17ROCPRIM_400000_NS6detail17trampoline_kernelINS0_14default_configENS1_22reduce_config_selectorIiEEZNS1_11reduce_implILb1ES3_N6thrust23THRUST_200600_302600_NS11hip_rocprim35transform_pair_of_input_iterators_tIiPiSB_NS8_12not_equal_toIiEEEESB_iNS8_4plusIiEEEE10hipError_tPvRmT1_T2_T3_mT4_P12ihipStream_tbEUlT_E1_NS1_11comp_targetILNS1_3genE10ELNS1_11target_archE1200ELNS1_3gpuE4ELNS1_3repE0EEENS1_30default_config_static_selectorELNS0_4arch9wavefront6targetE1EEEvSK_
		.amdhsa_group_segment_fixed_size 0
		.amdhsa_private_segment_fixed_size 0
		.amdhsa_kernarg_size 56
		.amdhsa_user_sgpr_count 6
		.amdhsa_user_sgpr_private_segment_buffer 1
		.amdhsa_user_sgpr_dispatch_ptr 0
		.amdhsa_user_sgpr_queue_ptr 0
		.amdhsa_user_sgpr_kernarg_segment_ptr 1
		.amdhsa_user_sgpr_dispatch_id 0
		.amdhsa_user_sgpr_flat_scratch_init 0
		.amdhsa_user_sgpr_private_segment_size 0
		.amdhsa_uses_dynamic_stack 0
		.amdhsa_system_sgpr_private_segment_wavefront_offset 0
		.amdhsa_system_sgpr_workgroup_id_x 1
		.amdhsa_system_sgpr_workgroup_id_y 0
		.amdhsa_system_sgpr_workgroup_id_z 0
		.amdhsa_system_sgpr_workgroup_info 0
		.amdhsa_system_vgpr_workitem_id 0
		.amdhsa_next_free_vgpr 1
		.amdhsa_next_free_sgpr 0
		.amdhsa_reserve_vcc 0
		.amdhsa_reserve_flat_scratch 0
		.amdhsa_float_round_mode_32 0
		.amdhsa_float_round_mode_16_64 0
		.amdhsa_float_denorm_mode_32 3
		.amdhsa_float_denorm_mode_16_64 3
		.amdhsa_dx10_clamp 1
		.amdhsa_ieee_mode 1
		.amdhsa_fp16_overflow 0
		.amdhsa_exception_fp_ieee_invalid_op 0
		.amdhsa_exception_fp_denorm_src 0
		.amdhsa_exception_fp_ieee_div_zero 0
		.amdhsa_exception_fp_ieee_overflow 0
		.amdhsa_exception_fp_ieee_underflow 0
		.amdhsa_exception_fp_ieee_inexact 0
		.amdhsa_exception_int_div_zero 0
	.end_amdhsa_kernel
	.section	.text._ZN7rocprim17ROCPRIM_400000_NS6detail17trampoline_kernelINS0_14default_configENS1_22reduce_config_selectorIiEEZNS1_11reduce_implILb1ES3_N6thrust23THRUST_200600_302600_NS11hip_rocprim35transform_pair_of_input_iterators_tIiPiSB_NS8_12not_equal_toIiEEEESB_iNS8_4plusIiEEEE10hipError_tPvRmT1_T2_T3_mT4_P12ihipStream_tbEUlT_E1_NS1_11comp_targetILNS1_3genE10ELNS1_11target_archE1200ELNS1_3gpuE4ELNS1_3repE0EEENS1_30default_config_static_selectorELNS0_4arch9wavefront6targetE1EEEvSK_,"axG",@progbits,_ZN7rocprim17ROCPRIM_400000_NS6detail17trampoline_kernelINS0_14default_configENS1_22reduce_config_selectorIiEEZNS1_11reduce_implILb1ES3_N6thrust23THRUST_200600_302600_NS11hip_rocprim35transform_pair_of_input_iterators_tIiPiSB_NS8_12not_equal_toIiEEEESB_iNS8_4plusIiEEEE10hipError_tPvRmT1_T2_T3_mT4_P12ihipStream_tbEUlT_E1_NS1_11comp_targetILNS1_3genE10ELNS1_11target_archE1200ELNS1_3gpuE4ELNS1_3repE0EEENS1_30default_config_static_selectorELNS0_4arch9wavefront6targetE1EEEvSK_,comdat
.Lfunc_end935:
	.size	_ZN7rocprim17ROCPRIM_400000_NS6detail17trampoline_kernelINS0_14default_configENS1_22reduce_config_selectorIiEEZNS1_11reduce_implILb1ES3_N6thrust23THRUST_200600_302600_NS11hip_rocprim35transform_pair_of_input_iterators_tIiPiSB_NS8_12not_equal_toIiEEEESB_iNS8_4plusIiEEEE10hipError_tPvRmT1_T2_T3_mT4_P12ihipStream_tbEUlT_E1_NS1_11comp_targetILNS1_3genE10ELNS1_11target_archE1200ELNS1_3gpuE4ELNS1_3repE0EEENS1_30default_config_static_selectorELNS0_4arch9wavefront6targetE1EEEvSK_, .Lfunc_end935-_ZN7rocprim17ROCPRIM_400000_NS6detail17trampoline_kernelINS0_14default_configENS1_22reduce_config_selectorIiEEZNS1_11reduce_implILb1ES3_N6thrust23THRUST_200600_302600_NS11hip_rocprim35transform_pair_of_input_iterators_tIiPiSB_NS8_12not_equal_toIiEEEESB_iNS8_4plusIiEEEE10hipError_tPvRmT1_T2_T3_mT4_P12ihipStream_tbEUlT_E1_NS1_11comp_targetILNS1_3genE10ELNS1_11target_archE1200ELNS1_3gpuE4ELNS1_3repE0EEENS1_30default_config_static_selectorELNS0_4arch9wavefront6targetE1EEEvSK_
                                        ; -- End function
	.set _ZN7rocprim17ROCPRIM_400000_NS6detail17trampoline_kernelINS0_14default_configENS1_22reduce_config_selectorIiEEZNS1_11reduce_implILb1ES3_N6thrust23THRUST_200600_302600_NS11hip_rocprim35transform_pair_of_input_iterators_tIiPiSB_NS8_12not_equal_toIiEEEESB_iNS8_4plusIiEEEE10hipError_tPvRmT1_T2_T3_mT4_P12ihipStream_tbEUlT_E1_NS1_11comp_targetILNS1_3genE10ELNS1_11target_archE1200ELNS1_3gpuE4ELNS1_3repE0EEENS1_30default_config_static_selectorELNS0_4arch9wavefront6targetE1EEEvSK_.num_vgpr, 0
	.set _ZN7rocprim17ROCPRIM_400000_NS6detail17trampoline_kernelINS0_14default_configENS1_22reduce_config_selectorIiEEZNS1_11reduce_implILb1ES3_N6thrust23THRUST_200600_302600_NS11hip_rocprim35transform_pair_of_input_iterators_tIiPiSB_NS8_12not_equal_toIiEEEESB_iNS8_4plusIiEEEE10hipError_tPvRmT1_T2_T3_mT4_P12ihipStream_tbEUlT_E1_NS1_11comp_targetILNS1_3genE10ELNS1_11target_archE1200ELNS1_3gpuE4ELNS1_3repE0EEENS1_30default_config_static_selectorELNS0_4arch9wavefront6targetE1EEEvSK_.num_agpr, 0
	.set _ZN7rocprim17ROCPRIM_400000_NS6detail17trampoline_kernelINS0_14default_configENS1_22reduce_config_selectorIiEEZNS1_11reduce_implILb1ES3_N6thrust23THRUST_200600_302600_NS11hip_rocprim35transform_pair_of_input_iterators_tIiPiSB_NS8_12not_equal_toIiEEEESB_iNS8_4plusIiEEEE10hipError_tPvRmT1_T2_T3_mT4_P12ihipStream_tbEUlT_E1_NS1_11comp_targetILNS1_3genE10ELNS1_11target_archE1200ELNS1_3gpuE4ELNS1_3repE0EEENS1_30default_config_static_selectorELNS0_4arch9wavefront6targetE1EEEvSK_.numbered_sgpr, 0
	.set _ZN7rocprim17ROCPRIM_400000_NS6detail17trampoline_kernelINS0_14default_configENS1_22reduce_config_selectorIiEEZNS1_11reduce_implILb1ES3_N6thrust23THRUST_200600_302600_NS11hip_rocprim35transform_pair_of_input_iterators_tIiPiSB_NS8_12not_equal_toIiEEEESB_iNS8_4plusIiEEEE10hipError_tPvRmT1_T2_T3_mT4_P12ihipStream_tbEUlT_E1_NS1_11comp_targetILNS1_3genE10ELNS1_11target_archE1200ELNS1_3gpuE4ELNS1_3repE0EEENS1_30default_config_static_selectorELNS0_4arch9wavefront6targetE1EEEvSK_.num_named_barrier, 0
	.set _ZN7rocprim17ROCPRIM_400000_NS6detail17trampoline_kernelINS0_14default_configENS1_22reduce_config_selectorIiEEZNS1_11reduce_implILb1ES3_N6thrust23THRUST_200600_302600_NS11hip_rocprim35transform_pair_of_input_iterators_tIiPiSB_NS8_12not_equal_toIiEEEESB_iNS8_4plusIiEEEE10hipError_tPvRmT1_T2_T3_mT4_P12ihipStream_tbEUlT_E1_NS1_11comp_targetILNS1_3genE10ELNS1_11target_archE1200ELNS1_3gpuE4ELNS1_3repE0EEENS1_30default_config_static_selectorELNS0_4arch9wavefront6targetE1EEEvSK_.private_seg_size, 0
	.set _ZN7rocprim17ROCPRIM_400000_NS6detail17trampoline_kernelINS0_14default_configENS1_22reduce_config_selectorIiEEZNS1_11reduce_implILb1ES3_N6thrust23THRUST_200600_302600_NS11hip_rocprim35transform_pair_of_input_iterators_tIiPiSB_NS8_12not_equal_toIiEEEESB_iNS8_4plusIiEEEE10hipError_tPvRmT1_T2_T3_mT4_P12ihipStream_tbEUlT_E1_NS1_11comp_targetILNS1_3genE10ELNS1_11target_archE1200ELNS1_3gpuE4ELNS1_3repE0EEENS1_30default_config_static_selectorELNS0_4arch9wavefront6targetE1EEEvSK_.uses_vcc, 0
	.set _ZN7rocprim17ROCPRIM_400000_NS6detail17trampoline_kernelINS0_14default_configENS1_22reduce_config_selectorIiEEZNS1_11reduce_implILb1ES3_N6thrust23THRUST_200600_302600_NS11hip_rocprim35transform_pair_of_input_iterators_tIiPiSB_NS8_12not_equal_toIiEEEESB_iNS8_4plusIiEEEE10hipError_tPvRmT1_T2_T3_mT4_P12ihipStream_tbEUlT_E1_NS1_11comp_targetILNS1_3genE10ELNS1_11target_archE1200ELNS1_3gpuE4ELNS1_3repE0EEENS1_30default_config_static_selectorELNS0_4arch9wavefront6targetE1EEEvSK_.uses_flat_scratch, 0
	.set _ZN7rocprim17ROCPRIM_400000_NS6detail17trampoline_kernelINS0_14default_configENS1_22reduce_config_selectorIiEEZNS1_11reduce_implILb1ES3_N6thrust23THRUST_200600_302600_NS11hip_rocprim35transform_pair_of_input_iterators_tIiPiSB_NS8_12not_equal_toIiEEEESB_iNS8_4plusIiEEEE10hipError_tPvRmT1_T2_T3_mT4_P12ihipStream_tbEUlT_E1_NS1_11comp_targetILNS1_3genE10ELNS1_11target_archE1200ELNS1_3gpuE4ELNS1_3repE0EEENS1_30default_config_static_selectorELNS0_4arch9wavefront6targetE1EEEvSK_.has_dyn_sized_stack, 0
	.set _ZN7rocprim17ROCPRIM_400000_NS6detail17trampoline_kernelINS0_14default_configENS1_22reduce_config_selectorIiEEZNS1_11reduce_implILb1ES3_N6thrust23THRUST_200600_302600_NS11hip_rocprim35transform_pair_of_input_iterators_tIiPiSB_NS8_12not_equal_toIiEEEESB_iNS8_4plusIiEEEE10hipError_tPvRmT1_T2_T3_mT4_P12ihipStream_tbEUlT_E1_NS1_11comp_targetILNS1_3genE10ELNS1_11target_archE1200ELNS1_3gpuE4ELNS1_3repE0EEENS1_30default_config_static_selectorELNS0_4arch9wavefront6targetE1EEEvSK_.has_recursion, 0
	.set _ZN7rocprim17ROCPRIM_400000_NS6detail17trampoline_kernelINS0_14default_configENS1_22reduce_config_selectorIiEEZNS1_11reduce_implILb1ES3_N6thrust23THRUST_200600_302600_NS11hip_rocprim35transform_pair_of_input_iterators_tIiPiSB_NS8_12not_equal_toIiEEEESB_iNS8_4plusIiEEEE10hipError_tPvRmT1_T2_T3_mT4_P12ihipStream_tbEUlT_E1_NS1_11comp_targetILNS1_3genE10ELNS1_11target_archE1200ELNS1_3gpuE4ELNS1_3repE0EEENS1_30default_config_static_selectorELNS0_4arch9wavefront6targetE1EEEvSK_.has_indirect_call, 0
	.section	.AMDGPU.csdata,"",@progbits
; Kernel info:
; codeLenInByte = 0
; TotalNumSgprs: 4
; NumVgprs: 0
; ScratchSize: 0
; MemoryBound: 0
; FloatMode: 240
; IeeeMode: 1
; LDSByteSize: 0 bytes/workgroup (compile time only)
; SGPRBlocks: 0
; VGPRBlocks: 0
; NumSGPRsForWavesPerEU: 4
; NumVGPRsForWavesPerEU: 1
; Occupancy: 10
; WaveLimiterHint : 0
; COMPUTE_PGM_RSRC2:SCRATCH_EN: 0
; COMPUTE_PGM_RSRC2:USER_SGPR: 6
; COMPUTE_PGM_RSRC2:TRAP_HANDLER: 0
; COMPUTE_PGM_RSRC2:TGID_X_EN: 1
; COMPUTE_PGM_RSRC2:TGID_Y_EN: 0
; COMPUTE_PGM_RSRC2:TGID_Z_EN: 0
; COMPUTE_PGM_RSRC2:TIDIG_COMP_CNT: 0
	.section	.text._ZN7rocprim17ROCPRIM_400000_NS6detail17trampoline_kernelINS0_14default_configENS1_22reduce_config_selectorIiEEZNS1_11reduce_implILb1ES3_N6thrust23THRUST_200600_302600_NS11hip_rocprim35transform_pair_of_input_iterators_tIiPiSB_NS8_12not_equal_toIiEEEESB_iNS8_4plusIiEEEE10hipError_tPvRmT1_T2_T3_mT4_P12ihipStream_tbEUlT_E1_NS1_11comp_targetILNS1_3genE9ELNS1_11target_archE1100ELNS1_3gpuE3ELNS1_3repE0EEENS1_30default_config_static_selectorELNS0_4arch9wavefront6targetE1EEEvSK_,"axG",@progbits,_ZN7rocprim17ROCPRIM_400000_NS6detail17trampoline_kernelINS0_14default_configENS1_22reduce_config_selectorIiEEZNS1_11reduce_implILb1ES3_N6thrust23THRUST_200600_302600_NS11hip_rocprim35transform_pair_of_input_iterators_tIiPiSB_NS8_12not_equal_toIiEEEESB_iNS8_4plusIiEEEE10hipError_tPvRmT1_T2_T3_mT4_P12ihipStream_tbEUlT_E1_NS1_11comp_targetILNS1_3genE9ELNS1_11target_archE1100ELNS1_3gpuE3ELNS1_3repE0EEENS1_30default_config_static_selectorELNS0_4arch9wavefront6targetE1EEEvSK_,comdat
	.protected	_ZN7rocprim17ROCPRIM_400000_NS6detail17trampoline_kernelINS0_14default_configENS1_22reduce_config_selectorIiEEZNS1_11reduce_implILb1ES3_N6thrust23THRUST_200600_302600_NS11hip_rocprim35transform_pair_of_input_iterators_tIiPiSB_NS8_12not_equal_toIiEEEESB_iNS8_4plusIiEEEE10hipError_tPvRmT1_T2_T3_mT4_P12ihipStream_tbEUlT_E1_NS1_11comp_targetILNS1_3genE9ELNS1_11target_archE1100ELNS1_3gpuE3ELNS1_3repE0EEENS1_30default_config_static_selectorELNS0_4arch9wavefront6targetE1EEEvSK_ ; -- Begin function _ZN7rocprim17ROCPRIM_400000_NS6detail17trampoline_kernelINS0_14default_configENS1_22reduce_config_selectorIiEEZNS1_11reduce_implILb1ES3_N6thrust23THRUST_200600_302600_NS11hip_rocprim35transform_pair_of_input_iterators_tIiPiSB_NS8_12not_equal_toIiEEEESB_iNS8_4plusIiEEEE10hipError_tPvRmT1_T2_T3_mT4_P12ihipStream_tbEUlT_E1_NS1_11comp_targetILNS1_3genE9ELNS1_11target_archE1100ELNS1_3gpuE3ELNS1_3repE0EEENS1_30default_config_static_selectorELNS0_4arch9wavefront6targetE1EEEvSK_
	.globl	_ZN7rocprim17ROCPRIM_400000_NS6detail17trampoline_kernelINS0_14default_configENS1_22reduce_config_selectorIiEEZNS1_11reduce_implILb1ES3_N6thrust23THRUST_200600_302600_NS11hip_rocprim35transform_pair_of_input_iterators_tIiPiSB_NS8_12not_equal_toIiEEEESB_iNS8_4plusIiEEEE10hipError_tPvRmT1_T2_T3_mT4_P12ihipStream_tbEUlT_E1_NS1_11comp_targetILNS1_3genE9ELNS1_11target_archE1100ELNS1_3gpuE3ELNS1_3repE0EEENS1_30default_config_static_selectorELNS0_4arch9wavefront6targetE1EEEvSK_
	.p2align	8
	.type	_ZN7rocprim17ROCPRIM_400000_NS6detail17trampoline_kernelINS0_14default_configENS1_22reduce_config_selectorIiEEZNS1_11reduce_implILb1ES3_N6thrust23THRUST_200600_302600_NS11hip_rocprim35transform_pair_of_input_iterators_tIiPiSB_NS8_12not_equal_toIiEEEESB_iNS8_4plusIiEEEE10hipError_tPvRmT1_T2_T3_mT4_P12ihipStream_tbEUlT_E1_NS1_11comp_targetILNS1_3genE9ELNS1_11target_archE1100ELNS1_3gpuE3ELNS1_3repE0EEENS1_30default_config_static_selectorELNS0_4arch9wavefront6targetE1EEEvSK_,@function
_ZN7rocprim17ROCPRIM_400000_NS6detail17trampoline_kernelINS0_14default_configENS1_22reduce_config_selectorIiEEZNS1_11reduce_implILb1ES3_N6thrust23THRUST_200600_302600_NS11hip_rocprim35transform_pair_of_input_iterators_tIiPiSB_NS8_12not_equal_toIiEEEESB_iNS8_4plusIiEEEE10hipError_tPvRmT1_T2_T3_mT4_P12ihipStream_tbEUlT_E1_NS1_11comp_targetILNS1_3genE9ELNS1_11target_archE1100ELNS1_3gpuE3ELNS1_3repE0EEENS1_30default_config_static_selectorELNS0_4arch9wavefront6targetE1EEEvSK_: ; @_ZN7rocprim17ROCPRIM_400000_NS6detail17trampoline_kernelINS0_14default_configENS1_22reduce_config_selectorIiEEZNS1_11reduce_implILb1ES3_N6thrust23THRUST_200600_302600_NS11hip_rocprim35transform_pair_of_input_iterators_tIiPiSB_NS8_12not_equal_toIiEEEESB_iNS8_4plusIiEEEE10hipError_tPvRmT1_T2_T3_mT4_P12ihipStream_tbEUlT_E1_NS1_11comp_targetILNS1_3genE9ELNS1_11target_archE1100ELNS1_3gpuE3ELNS1_3repE0EEENS1_30default_config_static_selectorELNS0_4arch9wavefront6targetE1EEEvSK_
; %bb.0:
	.section	.rodata,"a",@progbits
	.p2align	6, 0x0
	.amdhsa_kernel _ZN7rocprim17ROCPRIM_400000_NS6detail17trampoline_kernelINS0_14default_configENS1_22reduce_config_selectorIiEEZNS1_11reduce_implILb1ES3_N6thrust23THRUST_200600_302600_NS11hip_rocprim35transform_pair_of_input_iterators_tIiPiSB_NS8_12not_equal_toIiEEEESB_iNS8_4plusIiEEEE10hipError_tPvRmT1_T2_T3_mT4_P12ihipStream_tbEUlT_E1_NS1_11comp_targetILNS1_3genE9ELNS1_11target_archE1100ELNS1_3gpuE3ELNS1_3repE0EEENS1_30default_config_static_selectorELNS0_4arch9wavefront6targetE1EEEvSK_
		.amdhsa_group_segment_fixed_size 0
		.amdhsa_private_segment_fixed_size 0
		.amdhsa_kernarg_size 56
		.amdhsa_user_sgpr_count 6
		.amdhsa_user_sgpr_private_segment_buffer 1
		.amdhsa_user_sgpr_dispatch_ptr 0
		.amdhsa_user_sgpr_queue_ptr 0
		.amdhsa_user_sgpr_kernarg_segment_ptr 1
		.amdhsa_user_sgpr_dispatch_id 0
		.amdhsa_user_sgpr_flat_scratch_init 0
		.amdhsa_user_sgpr_private_segment_size 0
		.amdhsa_uses_dynamic_stack 0
		.amdhsa_system_sgpr_private_segment_wavefront_offset 0
		.amdhsa_system_sgpr_workgroup_id_x 1
		.amdhsa_system_sgpr_workgroup_id_y 0
		.amdhsa_system_sgpr_workgroup_id_z 0
		.amdhsa_system_sgpr_workgroup_info 0
		.amdhsa_system_vgpr_workitem_id 0
		.amdhsa_next_free_vgpr 1
		.amdhsa_next_free_sgpr 0
		.amdhsa_reserve_vcc 0
		.amdhsa_reserve_flat_scratch 0
		.amdhsa_float_round_mode_32 0
		.amdhsa_float_round_mode_16_64 0
		.amdhsa_float_denorm_mode_32 3
		.amdhsa_float_denorm_mode_16_64 3
		.amdhsa_dx10_clamp 1
		.amdhsa_ieee_mode 1
		.amdhsa_fp16_overflow 0
		.amdhsa_exception_fp_ieee_invalid_op 0
		.amdhsa_exception_fp_denorm_src 0
		.amdhsa_exception_fp_ieee_div_zero 0
		.amdhsa_exception_fp_ieee_overflow 0
		.amdhsa_exception_fp_ieee_underflow 0
		.amdhsa_exception_fp_ieee_inexact 0
		.amdhsa_exception_int_div_zero 0
	.end_amdhsa_kernel
	.section	.text._ZN7rocprim17ROCPRIM_400000_NS6detail17trampoline_kernelINS0_14default_configENS1_22reduce_config_selectorIiEEZNS1_11reduce_implILb1ES3_N6thrust23THRUST_200600_302600_NS11hip_rocprim35transform_pair_of_input_iterators_tIiPiSB_NS8_12not_equal_toIiEEEESB_iNS8_4plusIiEEEE10hipError_tPvRmT1_T2_T3_mT4_P12ihipStream_tbEUlT_E1_NS1_11comp_targetILNS1_3genE9ELNS1_11target_archE1100ELNS1_3gpuE3ELNS1_3repE0EEENS1_30default_config_static_selectorELNS0_4arch9wavefront6targetE1EEEvSK_,"axG",@progbits,_ZN7rocprim17ROCPRIM_400000_NS6detail17trampoline_kernelINS0_14default_configENS1_22reduce_config_selectorIiEEZNS1_11reduce_implILb1ES3_N6thrust23THRUST_200600_302600_NS11hip_rocprim35transform_pair_of_input_iterators_tIiPiSB_NS8_12not_equal_toIiEEEESB_iNS8_4plusIiEEEE10hipError_tPvRmT1_T2_T3_mT4_P12ihipStream_tbEUlT_E1_NS1_11comp_targetILNS1_3genE9ELNS1_11target_archE1100ELNS1_3gpuE3ELNS1_3repE0EEENS1_30default_config_static_selectorELNS0_4arch9wavefront6targetE1EEEvSK_,comdat
.Lfunc_end936:
	.size	_ZN7rocprim17ROCPRIM_400000_NS6detail17trampoline_kernelINS0_14default_configENS1_22reduce_config_selectorIiEEZNS1_11reduce_implILb1ES3_N6thrust23THRUST_200600_302600_NS11hip_rocprim35transform_pair_of_input_iterators_tIiPiSB_NS8_12not_equal_toIiEEEESB_iNS8_4plusIiEEEE10hipError_tPvRmT1_T2_T3_mT4_P12ihipStream_tbEUlT_E1_NS1_11comp_targetILNS1_3genE9ELNS1_11target_archE1100ELNS1_3gpuE3ELNS1_3repE0EEENS1_30default_config_static_selectorELNS0_4arch9wavefront6targetE1EEEvSK_, .Lfunc_end936-_ZN7rocprim17ROCPRIM_400000_NS6detail17trampoline_kernelINS0_14default_configENS1_22reduce_config_selectorIiEEZNS1_11reduce_implILb1ES3_N6thrust23THRUST_200600_302600_NS11hip_rocprim35transform_pair_of_input_iterators_tIiPiSB_NS8_12not_equal_toIiEEEESB_iNS8_4plusIiEEEE10hipError_tPvRmT1_T2_T3_mT4_P12ihipStream_tbEUlT_E1_NS1_11comp_targetILNS1_3genE9ELNS1_11target_archE1100ELNS1_3gpuE3ELNS1_3repE0EEENS1_30default_config_static_selectorELNS0_4arch9wavefront6targetE1EEEvSK_
                                        ; -- End function
	.set _ZN7rocprim17ROCPRIM_400000_NS6detail17trampoline_kernelINS0_14default_configENS1_22reduce_config_selectorIiEEZNS1_11reduce_implILb1ES3_N6thrust23THRUST_200600_302600_NS11hip_rocprim35transform_pair_of_input_iterators_tIiPiSB_NS8_12not_equal_toIiEEEESB_iNS8_4plusIiEEEE10hipError_tPvRmT1_T2_T3_mT4_P12ihipStream_tbEUlT_E1_NS1_11comp_targetILNS1_3genE9ELNS1_11target_archE1100ELNS1_3gpuE3ELNS1_3repE0EEENS1_30default_config_static_selectorELNS0_4arch9wavefront6targetE1EEEvSK_.num_vgpr, 0
	.set _ZN7rocprim17ROCPRIM_400000_NS6detail17trampoline_kernelINS0_14default_configENS1_22reduce_config_selectorIiEEZNS1_11reduce_implILb1ES3_N6thrust23THRUST_200600_302600_NS11hip_rocprim35transform_pair_of_input_iterators_tIiPiSB_NS8_12not_equal_toIiEEEESB_iNS8_4plusIiEEEE10hipError_tPvRmT1_T2_T3_mT4_P12ihipStream_tbEUlT_E1_NS1_11comp_targetILNS1_3genE9ELNS1_11target_archE1100ELNS1_3gpuE3ELNS1_3repE0EEENS1_30default_config_static_selectorELNS0_4arch9wavefront6targetE1EEEvSK_.num_agpr, 0
	.set _ZN7rocprim17ROCPRIM_400000_NS6detail17trampoline_kernelINS0_14default_configENS1_22reduce_config_selectorIiEEZNS1_11reduce_implILb1ES3_N6thrust23THRUST_200600_302600_NS11hip_rocprim35transform_pair_of_input_iterators_tIiPiSB_NS8_12not_equal_toIiEEEESB_iNS8_4plusIiEEEE10hipError_tPvRmT1_T2_T3_mT4_P12ihipStream_tbEUlT_E1_NS1_11comp_targetILNS1_3genE9ELNS1_11target_archE1100ELNS1_3gpuE3ELNS1_3repE0EEENS1_30default_config_static_selectorELNS0_4arch9wavefront6targetE1EEEvSK_.numbered_sgpr, 0
	.set _ZN7rocprim17ROCPRIM_400000_NS6detail17trampoline_kernelINS0_14default_configENS1_22reduce_config_selectorIiEEZNS1_11reduce_implILb1ES3_N6thrust23THRUST_200600_302600_NS11hip_rocprim35transform_pair_of_input_iterators_tIiPiSB_NS8_12not_equal_toIiEEEESB_iNS8_4plusIiEEEE10hipError_tPvRmT1_T2_T3_mT4_P12ihipStream_tbEUlT_E1_NS1_11comp_targetILNS1_3genE9ELNS1_11target_archE1100ELNS1_3gpuE3ELNS1_3repE0EEENS1_30default_config_static_selectorELNS0_4arch9wavefront6targetE1EEEvSK_.num_named_barrier, 0
	.set _ZN7rocprim17ROCPRIM_400000_NS6detail17trampoline_kernelINS0_14default_configENS1_22reduce_config_selectorIiEEZNS1_11reduce_implILb1ES3_N6thrust23THRUST_200600_302600_NS11hip_rocprim35transform_pair_of_input_iterators_tIiPiSB_NS8_12not_equal_toIiEEEESB_iNS8_4plusIiEEEE10hipError_tPvRmT1_T2_T3_mT4_P12ihipStream_tbEUlT_E1_NS1_11comp_targetILNS1_3genE9ELNS1_11target_archE1100ELNS1_3gpuE3ELNS1_3repE0EEENS1_30default_config_static_selectorELNS0_4arch9wavefront6targetE1EEEvSK_.private_seg_size, 0
	.set _ZN7rocprim17ROCPRIM_400000_NS6detail17trampoline_kernelINS0_14default_configENS1_22reduce_config_selectorIiEEZNS1_11reduce_implILb1ES3_N6thrust23THRUST_200600_302600_NS11hip_rocprim35transform_pair_of_input_iterators_tIiPiSB_NS8_12not_equal_toIiEEEESB_iNS8_4plusIiEEEE10hipError_tPvRmT1_T2_T3_mT4_P12ihipStream_tbEUlT_E1_NS1_11comp_targetILNS1_3genE9ELNS1_11target_archE1100ELNS1_3gpuE3ELNS1_3repE0EEENS1_30default_config_static_selectorELNS0_4arch9wavefront6targetE1EEEvSK_.uses_vcc, 0
	.set _ZN7rocprim17ROCPRIM_400000_NS6detail17trampoline_kernelINS0_14default_configENS1_22reduce_config_selectorIiEEZNS1_11reduce_implILb1ES3_N6thrust23THRUST_200600_302600_NS11hip_rocprim35transform_pair_of_input_iterators_tIiPiSB_NS8_12not_equal_toIiEEEESB_iNS8_4plusIiEEEE10hipError_tPvRmT1_T2_T3_mT4_P12ihipStream_tbEUlT_E1_NS1_11comp_targetILNS1_3genE9ELNS1_11target_archE1100ELNS1_3gpuE3ELNS1_3repE0EEENS1_30default_config_static_selectorELNS0_4arch9wavefront6targetE1EEEvSK_.uses_flat_scratch, 0
	.set _ZN7rocprim17ROCPRIM_400000_NS6detail17trampoline_kernelINS0_14default_configENS1_22reduce_config_selectorIiEEZNS1_11reduce_implILb1ES3_N6thrust23THRUST_200600_302600_NS11hip_rocprim35transform_pair_of_input_iterators_tIiPiSB_NS8_12not_equal_toIiEEEESB_iNS8_4plusIiEEEE10hipError_tPvRmT1_T2_T3_mT4_P12ihipStream_tbEUlT_E1_NS1_11comp_targetILNS1_3genE9ELNS1_11target_archE1100ELNS1_3gpuE3ELNS1_3repE0EEENS1_30default_config_static_selectorELNS0_4arch9wavefront6targetE1EEEvSK_.has_dyn_sized_stack, 0
	.set _ZN7rocprim17ROCPRIM_400000_NS6detail17trampoline_kernelINS0_14default_configENS1_22reduce_config_selectorIiEEZNS1_11reduce_implILb1ES3_N6thrust23THRUST_200600_302600_NS11hip_rocprim35transform_pair_of_input_iterators_tIiPiSB_NS8_12not_equal_toIiEEEESB_iNS8_4plusIiEEEE10hipError_tPvRmT1_T2_T3_mT4_P12ihipStream_tbEUlT_E1_NS1_11comp_targetILNS1_3genE9ELNS1_11target_archE1100ELNS1_3gpuE3ELNS1_3repE0EEENS1_30default_config_static_selectorELNS0_4arch9wavefront6targetE1EEEvSK_.has_recursion, 0
	.set _ZN7rocprim17ROCPRIM_400000_NS6detail17trampoline_kernelINS0_14default_configENS1_22reduce_config_selectorIiEEZNS1_11reduce_implILb1ES3_N6thrust23THRUST_200600_302600_NS11hip_rocprim35transform_pair_of_input_iterators_tIiPiSB_NS8_12not_equal_toIiEEEESB_iNS8_4plusIiEEEE10hipError_tPvRmT1_T2_T3_mT4_P12ihipStream_tbEUlT_E1_NS1_11comp_targetILNS1_3genE9ELNS1_11target_archE1100ELNS1_3gpuE3ELNS1_3repE0EEENS1_30default_config_static_selectorELNS0_4arch9wavefront6targetE1EEEvSK_.has_indirect_call, 0
	.section	.AMDGPU.csdata,"",@progbits
; Kernel info:
; codeLenInByte = 0
; TotalNumSgprs: 4
; NumVgprs: 0
; ScratchSize: 0
; MemoryBound: 0
; FloatMode: 240
; IeeeMode: 1
; LDSByteSize: 0 bytes/workgroup (compile time only)
; SGPRBlocks: 0
; VGPRBlocks: 0
; NumSGPRsForWavesPerEU: 4
; NumVGPRsForWavesPerEU: 1
; Occupancy: 10
; WaveLimiterHint : 0
; COMPUTE_PGM_RSRC2:SCRATCH_EN: 0
; COMPUTE_PGM_RSRC2:USER_SGPR: 6
; COMPUTE_PGM_RSRC2:TRAP_HANDLER: 0
; COMPUTE_PGM_RSRC2:TGID_X_EN: 1
; COMPUTE_PGM_RSRC2:TGID_Y_EN: 0
; COMPUTE_PGM_RSRC2:TGID_Z_EN: 0
; COMPUTE_PGM_RSRC2:TIDIG_COMP_CNT: 0
	.section	.text._ZN7rocprim17ROCPRIM_400000_NS6detail17trampoline_kernelINS0_14default_configENS1_22reduce_config_selectorIiEEZNS1_11reduce_implILb1ES3_N6thrust23THRUST_200600_302600_NS11hip_rocprim35transform_pair_of_input_iterators_tIiPiSB_NS8_12not_equal_toIiEEEESB_iNS8_4plusIiEEEE10hipError_tPvRmT1_T2_T3_mT4_P12ihipStream_tbEUlT_E1_NS1_11comp_targetILNS1_3genE8ELNS1_11target_archE1030ELNS1_3gpuE2ELNS1_3repE0EEENS1_30default_config_static_selectorELNS0_4arch9wavefront6targetE1EEEvSK_,"axG",@progbits,_ZN7rocprim17ROCPRIM_400000_NS6detail17trampoline_kernelINS0_14default_configENS1_22reduce_config_selectorIiEEZNS1_11reduce_implILb1ES3_N6thrust23THRUST_200600_302600_NS11hip_rocprim35transform_pair_of_input_iterators_tIiPiSB_NS8_12not_equal_toIiEEEESB_iNS8_4plusIiEEEE10hipError_tPvRmT1_T2_T3_mT4_P12ihipStream_tbEUlT_E1_NS1_11comp_targetILNS1_3genE8ELNS1_11target_archE1030ELNS1_3gpuE2ELNS1_3repE0EEENS1_30default_config_static_selectorELNS0_4arch9wavefront6targetE1EEEvSK_,comdat
	.protected	_ZN7rocprim17ROCPRIM_400000_NS6detail17trampoline_kernelINS0_14default_configENS1_22reduce_config_selectorIiEEZNS1_11reduce_implILb1ES3_N6thrust23THRUST_200600_302600_NS11hip_rocprim35transform_pair_of_input_iterators_tIiPiSB_NS8_12not_equal_toIiEEEESB_iNS8_4plusIiEEEE10hipError_tPvRmT1_T2_T3_mT4_P12ihipStream_tbEUlT_E1_NS1_11comp_targetILNS1_3genE8ELNS1_11target_archE1030ELNS1_3gpuE2ELNS1_3repE0EEENS1_30default_config_static_selectorELNS0_4arch9wavefront6targetE1EEEvSK_ ; -- Begin function _ZN7rocprim17ROCPRIM_400000_NS6detail17trampoline_kernelINS0_14default_configENS1_22reduce_config_selectorIiEEZNS1_11reduce_implILb1ES3_N6thrust23THRUST_200600_302600_NS11hip_rocprim35transform_pair_of_input_iterators_tIiPiSB_NS8_12not_equal_toIiEEEESB_iNS8_4plusIiEEEE10hipError_tPvRmT1_T2_T3_mT4_P12ihipStream_tbEUlT_E1_NS1_11comp_targetILNS1_3genE8ELNS1_11target_archE1030ELNS1_3gpuE2ELNS1_3repE0EEENS1_30default_config_static_selectorELNS0_4arch9wavefront6targetE1EEEvSK_
	.globl	_ZN7rocprim17ROCPRIM_400000_NS6detail17trampoline_kernelINS0_14default_configENS1_22reduce_config_selectorIiEEZNS1_11reduce_implILb1ES3_N6thrust23THRUST_200600_302600_NS11hip_rocprim35transform_pair_of_input_iterators_tIiPiSB_NS8_12not_equal_toIiEEEESB_iNS8_4plusIiEEEE10hipError_tPvRmT1_T2_T3_mT4_P12ihipStream_tbEUlT_E1_NS1_11comp_targetILNS1_3genE8ELNS1_11target_archE1030ELNS1_3gpuE2ELNS1_3repE0EEENS1_30default_config_static_selectorELNS0_4arch9wavefront6targetE1EEEvSK_
	.p2align	8
	.type	_ZN7rocprim17ROCPRIM_400000_NS6detail17trampoline_kernelINS0_14default_configENS1_22reduce_config_selectorIiEEZNS1_11reduce_implILb1ES3_N6thrust23THRUST_200600_302600_NS11hip_rocprim35transform_pair_of_input_iterators_tIiPiSB_NS8_12not_equal_toIiEEEESB_iNS8_4plusIiEEEE10hipError_tPvRmT1_T2_T3_mT4_P12ihipStream_tbEUlT_E1_NS1_11comp_targetILNS1_3genE8ELNS1_11target_archE1030ELNS1_3gpuE2ELNS1_3repE0EEENS1_30default_config_static_selectorELNS0_4arch9wavefront6targetE1EEEvSK_,@function
_ZN7rocprim17ROCPRIM_400000_NS6detail17trampoline_kernelINS0_14default_configENS1_22reduce_config_selectorIiEEZNS1_11reduce_implILb1ES3_N6thrust23THRUST_200600_302600_NS11hip_rocprim35transform_pair_of_input_iterators_tIiPiSB_NS8_12not_equal_toIiEEEESB_iNS8_4plusIiEEEE10hipError_tPvRmT1_T2_T3_mT4_P12ihipStream_tbEUlT_E1_NS1_11comp_targetILNS1_3genE8ELNS1_11target_archE1030ELNS1_3gpuE2ELNS1_3repE0EEENS1_30default_config_static_selectorELNS0_4arch9wavefront6targetE1EEEvSK_: ; @_ZN7rocprim17ROCPRIM_400000_NS6detail17trampoline_kernelINS0_14default_configENS1_22reduce_config_selectorIiEEZNS1_11reduce_implILb1ES3_N6thrust23THRUST_200600_302600_NS11hip_rocprim35transform_pair_of_input_iterators_tIiPiSB_NS8_12not_equal_toIiEEEESB_iNS8_4plusIiEEEE10hipError_tPvRmT1_T2_T3_mT4_P12ihipStream_tbEUlT_E1_NS1_11comp_targetILNS1_3genE8ELNS1_11target_archE1030ELNS1_3gpuE2ELNS1_3repE0EEENS1_30default_config_static_selectorELNS0_4arch9wavefront6targetE1EEEvSK_
; %bb.0:
	.section	.rodata,"a",@progbits
	.p2align	6, 0x0
	.amdhsa_kernel _ZN7rocprim17ROCPRIM_400000_NS6detail17trampoline_kernelINS0_14default_configENS1_22reduce_config_selectorIiEEZNS1_11reduce_implILb1ES3_N6thrust23THRUST_200600_302600_NS11hip_rocprim35transform_pair_of_input_iterators_tIiPiSB_NS8_12not_equal_toIiEEEESB_iNS8_4plusIiEEEE10hipError_tPvRmT1_T2_T3_mT4_P12ihipStream_tbEUlT_E1_NS1_11comp_targetILNS1_3genE8ELNS1_11target_archE1030ELNS1_3gpuE2ELNS1_3repE0EEENS1_30default_config_static_selectorELNS0_4arch9wavefront6targetE1EEEvSK_
		.amdhsa_group_segment_fixed_size 0
		.amdhsa_private_segment_fixed_size 0
		.amdhsa_kernarg_size 56
		.amdhsa_user_sgpr_count 6
		.amdhsa_user_sgpr_private_segment_buffer 1
		.amdhsa_user_sgpr_dispatch_ptr 0
		.amdhsa_user_sgpr_queue_ptr 0
		.amdhsa_user_sgpr_kernarg_segment_ptr 1
		.amdhsa_user_sgpr_dispatch_id 0
		.amdhsa_user_sgpr_flat_scratch_init 0
		.amdhsa_user_sgpr_private_segment_size 0
		.amdhsa_uses_dynamic_stack 0
		.amdhsa_system_sgpr_private_segment_wavefront_offset 0
		.amdhsa_system_sgpr_workgroup_id_x 1
		.amdhsa_system_sgpr_workgroup_id_y 0
		.amdhsa_system_sgpr_workgroup_id_z 0
		.amdhsa_system_sgpr_workgroup_info 0
		.amdhsa_system_vgpr_workitem_id 0
		.amdhsa_next_free_vgpr 1
		.amdhsa_next_free_sgpr 0
		.amdhsa_reserve_vcc 0
		.amdhsa_reserve_flat_scratch 0
		.amdhsa_float_round_mode_32 0
		.amdhsa_float_round_mode_16_64 0
		.amdhsa_float_denorm_mode_32 3
		.amdhsa_float_denorm_mode_16_64 3
		.amdhsa_dx10_clamp 1
		.amdhsa_ieee_mode 1
		.amdhsa_fp16_overflow 0
		.amdhsa_exception_fp_ieee_invalid_op 0
		.amdhsa_exception_fp_denorm_src 0
		.amdhsa_exception_fp_ieee_div_zero 0
		.amdhsa_exception_fp_ieee_overflow 0
		.amdhsa_exception_fp_ieee_underflow 0
		.amdhsa_exception_fp_ieee_inexact 0
		.amdhsa_exception_int_div_zero 0
	.end_amdhsa_kernel
	.section	.text._ZN7rocprim17ROCPRIM_400000_NS6detail17trampoline_kernelINS0_14default_configENS1_22reduce_config_selectorIiEEZNS1_11reduce_implILb1ES3_N6thrust23THRUST_200600_302600_NS11hip_rocprim35transform_pair_of_input_iterators_tIiPiSB_NS8_12not_equal_toIiEEEESB_iNS8_4plusIiEEEE10hipError_tPvRmT1_T2_T3_mT4_P12ihipStream_tbEUlT_E1_NS1_11comp_targetILNS1_3genE8ELNS1_11target_archE1030ELNS1_3gpuE2ELNS1_3repE0EEENS1_30default_config_static_selectorELNS0_4arch9wavefront6targetE1EEEvSK_,"axG",@progbits,_ZN7rocprim17ROCPRIM_400000_NS6detail17trampoline_kernelINS0_14default_configENS1_22reduce_config_selectorIiEEZNS1_11reduce_implILb1ES3_N6thrust23THRUST_200600_302600_NS11hip_rocprim35transform_pair_of_input_iterators_tIiPiSB_NS8_12not_equal_toIiEEEESB_iNS8_4plusIiEEEE10hipError_tPvRmT1_T2_T3_mT4_P12ihipStream_tbEUlT_E1_NS1_11comp_targetILNS1_3genE8ELNS1_11target_archE1030ELNS1_3gpuE2ELNS1_3repE0EEENS1_30default_config_static_selectorELNS0_4arch9wavefront6targetE1EEEvSK_,comdat
.Lfunc_end937:
	.size	_ZN7rocprim17ROCPRIM_400000_NS6detail17trampoline_kernelINS0_14default_configENS1_22reduce_config_selectorIiEEZNS1_11reduce_implILb1ES3_N6thrust23THRUST_200600_302600_NS11hip_rocprim35transform_pair_of_input_iterators_tIiPiSB_NS8_12not_equal_toIiEEEESB_iNS8_4plusIiEEEE10hipError_tPvRmT1_T2_T3_mT4_P12ihipStream_tbEUlT_E1_NS1_11comp_targetILNS1_3genE8ELNS1_11target_archE1030ELNS1_3gpuE2ELNS1_3repE0EEENS1_30default_config_static_selectorELNS0_4arch9wavefront6targetE1EEEvSK_, .Lfunc_end937-_ZN7rocprim17ROCPRIM_400000_NS6detail17trampoline_kernelINS0_14default_configENS1_22reduce_config_selectorIiEEZNS1_11reduce_implILb1ES3_N6thrust23THRUST_200600_302600_NS11hip_rocprim35transform_pair_of_input_iterators_tIiPiSB_NS8_12not_equal_toIiEEEESB_iNS8_4plusIiEEEE10hipError_tPvRmT1_T2_T3_mT4_P12ihipStream_tbEUlT_E1_NS1_11comp_targetILNS1_3genE8ELNS1_11target_archE1030ELNS1_3gpuE2ELNS1_3repE0EEENS1_30default_config_static_selectorELNS0_4arch9wavefront6targetE1EEEvSK_
                                        ; -- End function
	.set _ZN7rocprim17ROCPRIM_400000_NS6detail17trampoline_kernelINS0_14default_configENS1_22reduce_config_selectorIiEEZNS1_11reduce_implILb1ES3_N6thrust23THRUST_200600_302600_NS11hip_rocprim35transform_pair_of_input_iterators_tIiPiSB_NS8_12not_equal_toIiEEEESB_iNS8_4plusIiEEEE10hipError_tPvRmT1_T2_T3_mT4_P12ihipStream_tbEUlT_E1_NS1_11comp_targetILNS1_3genE8ELNS1_11target_archE1030ELNS1_3gpuE2ELNS1_3repE0EEENS1_30default_config_static_selectorELNS0_4arch9wavefront6targetE1EEEvSK_.num_vgpr, 0
	.set _ZN7rocprim17ROCPRIM_400000_NS6detail17trampoline_kernelINS0_14default_configENS1_22reduce_config_selectorIiEEZNS1_11reduce_implILb1ES3_N6thrust23THRUST_200600_302600_NS11hip_rocprim35transform_pair_of_input_iterators_tIiPiSB_NS8_12not_equal_toIiEEEESB_iNS8_4plusIiEEEE10hipError_tPvRmT1_T2_T3_mT4_P12ihipStream_tbEUlT_E1_NS1_11comp_targetILNS1_3genE8ELNS1_11target_archE1030ELNS1_3gpuE2ELNS1_3repE0EEENS1_30default_config_static_selectorELNS0_4arch9wavefront6targetE1EEEvSK_.num_agpr, 0
	.set _ZN7rocprim17ROCPRIM_400000_NS6detail17trampoline_kernelINS0_14default_configENS1_22reduce_config_selectorIiEEZNS1_11reduce_implILb1ES3_N6thrust23THRUST_200600_302600_NS11hip_rocprim35transform_pair_of_input_iterators_tIiPiSB_NS8_12not_equal_toIiEEEESB_iNS8_4plusIiEEEE10hipError_tPvRmT1_T2_T3_mT4_P12ihipStream_tbEUlT_E1_NS1_11comp_targetILNS1_3genE8ELNS1_11target_archE1030ELNS1_3gpuE2ELNS1_3repE0EEENS1_30default_config_static_selectorELNS0_4arch9wavefront6targetE1EEEvSK_.numbered_sgpr, 0
	.set _ZN7rocprim17ROCPRIM_400000_NS6detail17trampoline_kernelINS0_14default_configENS1_22reduce_config_selectorIiEEZNS1_11reduce_implILb1ES3_N6thrust23THRUST_200600_302600_NS11hip_rocprim35transform_pair_of_input_iterators_tIiPiSB_NS8_12not_equal_toIiEEEESB_iNS8_4plusIiEEEE10hipError_tPvRmT1_T2_T3_mT4_P12ihipStream_tbEUlT_E1_NS1_11comp_targetILNS1_3genE8ELNS1_11target_archE1030ELNS1_3gpuE2ELNS1_3repE0EEENS1_30default_config_static_selectorELNS0_4arch9wavefront6targetE1EEEvSK_.num_named_barrier, 0
	.set _ZN7rocprim17ROCPRIM_400000_NS6detail17trampoline_kernelINS0_14default_configENS1_22reduce_config_selectorIiEEZNS1_11reduce_implILb1ES3_N6thrust23THRUST_200600_302600_NS11hip_rocprim35transform_pair_of_input_iterators_tIiPiSB_NS8_12not_equal_toIiEEEESB_iNS8_4plusIiEEEE10hipError_tPvRmT1_T2_T3_mT4_P12ihipStream_tbEUlT_E1_NS1_11comp_targetILNS1_3genE8ELNS1_11target_archE1030ELNS1_3gpuE2ELNS1_3repE0EEENS1_30default_config_static_selectorELNS0_4arch9wavefront6targetE1EEEvSK_.private_seg_size, 0
	.set _ZN7rocprim17ROCPRIM_400000_NS6detail17trampoline_kernelINS0_14default_configENS1_22reduce_config_selectorIiEEZNS1_11reduce_implILb1ES3_N6thrust23THRUST_200600_302600_NS11hip_rocprim35transform_pair_of_input_iterators_tIiPiSB_NS8_12not_equal_toIiEEEESB_iNS8_4plusIiEEEE10hipError_tPvRmT1_T2_T3_mT4_P12ihipStream_tbEUlT_E1_NS1_11comp_targetILNS1_3genE8ELNS1_11target_archE1030ELNS1_3gpuE2ELNS1_3repE0EEENS1_30default_config_static_selectorELNS0_4arch9wavefront6targetE1EEEvSK_.uses_vcc, 0
	.set _ZN7rocprim17ROCPRIM_400000_NS6detail17trampoline_kernelINS0_14default_configENS1_22reduce_config_selectorIiEEZNS1_11reduce_implILb1ES3_N6thrust23THRUST_200600_302600_NS11hip_rocprim35transform_pair_of_input_iterators_tIiPiSB_NS8_12not_equal_toIiEEEESB_iNS8_4plusIiEEEE10hipError_tPvRmT1_T2_T3_mT4_P12ihipStream_tbEUlT_E1_NS1_11comp_targetILNS1_3genE8ELNS1_11target_archE1030ELNS1_3gpuE2ELNS1_3repE0EEENS1_30default_config_static_selectorELNS0_4arch9wavefront6targetE1EEEvSK_.uses_flat_scratch, 0
	.set _ZN7rocprim17ROCPRIM_400000_NS6detail17trampoline_kernelINS0_14default_configENS1_22reduce_config_selectorIiEEZNS1_11reduce_implILb1ES3_N6thrust23THRUST_200600_302600_NS11hip_rocprim35transform_pair_of_input_iterators_tIiPiSB_NS8_12not_equal_toIiEEEESB_iNS8_4plusIiEEEE10hipError_tPvRmT1_T2_T3_mT4_P12ihipStream_tbEUlT_E1_NS1_11comp_targetILNS1_3genE8ELNS1_11target_archE1030ELNS1_3gpuE2ELNS1_3repE0EEENS1_30default_config_static_selectorELNS0_4arch9wavefront6targetE1EEEvSK_.has_dyn_sized_stack, 0
	.set _ZN7rocprim17ROCPRIM_400000_NS6detail17trampoline_kernelINS0_14default_configENS1_22reduce_config_selectorIiEEZNS1_11reduce_implILb1ES3_N6thrust23THRUST_200600_302600_NS11hip_rocprim35transform_pair_of_input_iterators_tIiPiSB_NS8_12not_equal_toIiEEEESB_iNS8_4plusIiEEEE10hipError_tPvRmT1_T2_T3_mT4_P12ihipStream_tbEUlT_E1_NS1_11comp_targetILNS1_3genE8ELNS1_11target_archE1030ELNS1_3gpuE2ELNS1_3repE0EEENS1_30default_config_static_selectorELNS0_4arch9wavefront6targetE1EEEvSK_.has_recursion, 0
	.set _ZN7rocprim17ROCPRIM_400000_NS6detail17trampoline_kernelINS0_14default_configENS1_22reduce_config_selectorIiEEZNS1_11reduce_implILb1ES3_N6thrust23THRUST_200600_302600_NS11hip_rocprim35transform_pair_of_input_iterators_tIiPiSB_NS8_12not_equal_toIiEEEESB_iNS8_4plusIiEEEE10hipError_tPvRmT1_T2_T3_mT4_P12ihipStream_tbEUlT_E1_NS1_11comp_targetILNS1_3genE8ELNS1_11target_archE1030ELNS1_3gpuE2ELNS1_3repE0EEENS1_30default_config_static_selectorELNS0_4arch9wavefront6targetE1EEEvSK_.has_indirect_call, 0
	.section	.AMDGPU.csdata,"",@progbits
; Kernel info:
; codeLenInByte = 0
; TotalNumSgprs: 4
; NumVgprs: 0
; ScratchSize: 0
; MemoryBound: 0
; FloatMode: 240
; IeeeMode: 1
; LDSByteSize: 0 bytes/workgroup (compile time only)
; SGPRBlocks: 0
; VGPRBlocks: 0
; NumSGPRsForWavesPerEU: 4
; NumVGPRsForWavesPerEU: 1
; Occupancy: 10
; WaveLimiterHint : 0
; COMPUTE_PGM_RSRC2:SCRATCH_EN: 0
; COMPUTE_PGM_RSRC2:USER_SGPR: 6
; COMPUTE_PGM_RSRC2:TRAP_HANDLER: 0
; COMPUTE_PGM_RSRC2:TGID_X_EN: 1
; COMPUTE_PGM_RSRC2:TGID_Y_EN: 0
; COMPUTE_PGM_RSRC2:TGID_Z_EN: 0
; COMPUTE_PGM_RSRC2:TIDIG_COMP_CNT: 0
	.section	.text._ZN7rocprim17ROCPRIM_400000_NS6detail17trampoline_kernelINS0_14default_configENS1_29reduce_by_key_config_selectorIilN6thrust23THRUST_200600_302600_NS4plusIlEEEEZZNS1_33reduce_by_key_impl_wrapped_configILNS1_25lookback_scan_determinismE0ES3_S9_PiNS6_17constant_iteratorIiNS6_11use_defaultESE_EENS6_10device_ptrIiEENSG_IlEEPmS8_NS6_8equal_toIiEEEE10hipError_tPvRmT2_T3_mT4_T5_T6_T7_T8_P12ihipStream_tbENKUlT_T0_E_clISt17integral_constantIbLb0EES13_EEDaSY_SZ_EUlSY_E_NS1_11comp_targetILNS1_3genE0ELNS1_11target_archE4294967295ELNS1_3gpuE0ELNS1_3repE0EEENS1_30default_config_static_selectorELNS0_4arch9wavefront6targetE1EEEvT1_,"axG",@progbits,_ZN7rocprim17ROCPRIM_400000_NS6detail17trampoline_kernelINS0_14default_configENS1_29reduce_by_key_config_selectorIilN6thrust23THRUST_200600_302600_NS4plusIlEEEEZZNS1_33reduce_by_key_impl_wrapped_configILNS1_25lookback_scan_determinismE0ES3_S9_PiNS6_17constant_iteratorIiNS6_11use_defaultESE_EENS6_10device_ptrIiEENSG_IlEEPmS8_NS6_8equal_toIiEEEE10hipError_tPvRmT2_T3_mT4_T5_T6_T7_T8_P12ihipStream_tbENKUlT_T0_E_clISt17integral_constantIbLb0EES13_EEDaSY_SZ_EUlSY_E_NS1_11comp_targetILNS1_3genE0ELNS1_11target_archE4294967295ELNS1_3gpuE0ELNS1_3repE0EEENS1_30default_config_static_selectorELNS0_4arch9wavefront6targetE1EEEvT1_,comdat
	.protected	_ZN7rocprim17ROCPRIM_400000_NS6detail17trampoline_kernelINS0_14default_configENS1_29reduce_by_key_config_selectorIilN6thrust23THRUST_200600_302600_NS4plusIlEEEEZZNS1_33reduce_by_key_impl_wrapped_configILNS1_25lookback_scan_determinismE0ES3_S9_PiNS6_17constant_iteratorIiNS6_11use_defaultESE_EENS6_10device_ptrIiEENSG_IlEEPmS8_NS6_8equal_toIiEEEE10hipError_tPvRmT2_T3_mT4_T5_T6_T7_T8_P12ihipStream_tbENKUlT_T0_E_clISt17integral_constantIbLb0EES13_EEDaSY_SZ_EUlSY_E_NS1_11comp_targetILNS1_3genE0ELNS1_11target_archE4294967295ELNS1_3gpuE0ELNS1_3repE0EEENS1_30default_config_static_selectorELNS0_4arch9wavefront6targetE1EEEvT1_ ; -- Begin function _ZN7rocprim17ROCPRIM_400000_NS6detail17trampoline_kernelINS0_14default_configENS1_29reduce_by_key_config_selectorIilN6thrust23THRUST_200600_302600_NS4plusIlEEEEZZNS1_33reduce_by_key_impl_wrapped_configILNS1_25lookback_scan_determinismE0ES3_S9_PiNS6_17constant_iteratorIiNS6_11use_defaultESE_EENS6_10device_ptrIiEENSG_IlEEPmS8_NS6_8equal_toIiEEEE10hipError_tPvRmT2_T3_mT4_T5_T6_T7_T8_P12ihipStream_tbENKUlT_T0_E_clISt17integral_constantIbLb0EES13_EEDaSY_SZ_EUlSY_E_NS1_11comp_targetILNS1_3genE0ELNS1_11target_archE4294967295ELNS1_3gpuE0ELNS1_3repE0EEENS1_30default_config_static_selectorELNS0_4arch9wavefront6targetE1EEEvT1_
	.globl	_ZN7rocprim17ROCPRIM_400000_NS6detail17trampoline_kernelINS0_14default_configENS1_29reduce_by_key_config_selectorIilN6thrust23THRUST_200600_302600_NS4plusIlEEEEZZNS1_33reduce_by_key_impl_wrapped_configILNS1_25lookback_scan_determinismE0ES3_S9_PiNS6_17constant_iteratorIiNS6_11use_defaultESE_EENS6_10device_ptrIiEENSG_IlEEPmS8_NS6_8equal_toIiEEEE10hipError_tPvRmT2_T3_mT4_T5_T6_T7_T8_P12ihipStream_tbENKUlT_T0_E_clISt17integral_constantIbLb0EES13_EEDaSY_SZ_EUlSY_E_NS1_11comp_targetILNS1_3genE0ELNS1_11target_archE4294967295ELNS1_3gpuE0ELNS1_3repE0EEENS1_30default_config_static_selectorELNS0_4arch9wavefront6targetE1EEEvT1_
	.p2align	8
	.type	_ZN7rocprim17ROCPRIM_400000_NS6detail17trampoline_kernelINS0_14default_configENS1_29reduce_by_key_config_selectorIilN6thrust23THRUST_200600_302600_NS4plusIlEEEEZZNS1_33reduce_by_key_impl_wrapped_configILNS1_25lookback_scan_determinismE0ES3_S9_PiNS6_17constant_iteratorIiNS6_11use_defaultESE_EENS6_10device_ptrIiEENSG_IlEEPmS8_NS6_8equal_toIiEEEE10hipError_tPvRmT2_T3_mT4_T5_T6_T7_T8_P12ihipStream_tbENKUlT_T0_E_clISt17integral_constantIbLb0EES13_EEDaSY_SZ_EUlSY_E_NS1_11comp_targetILNS1_3genE0ELNS1_11target_archE4294967295ELNS1_3gpuE0ELNS1_3repE0EEENS1_30default_config_static_selectorELNS0_4arch9wavefront6targetE1EEEvT1_,@function
_ZN7rocprim17ROCPRIM_400000_NS6detail17trampoline_kernelINS0_14default_configENS1_29reduce_by_key_config_selectorIilN6thrust23THRUST_200600_302600_NS4plusIlEEEEZZNS1_33reduce_by_key_impl_wrapped_configILNS1_25lookback_scan_determinismE0ES3_S9_PiNS6_17constant_iteratorIiNS6_11use_defaultESE_EENS6_10device_ptrIiEENSG_IlEEPmS8_NS6_8equal_toIiEEEE10hipError_tPvRmT2_T3_mT4_T5_T6_T7_T8_P12ihipStream_tbENKUlT_T0_E_clISt17integral_constantIbLb0EES13_EEDaSY_SZ_EUlSY_E_NS1_11comp_targetILNS1_3genE0ELNS1_11target_archE4294967295ELNS1_3gpuE0ELNS1_3repE0EEENS1_30default_config_static_selectorELNS0_4arch9wavefront6targetE1EEEvT1_: ; @_ZN7rocprim17ROCPRIM_400000_NS6detail17trampoline_kernelINS0_14default_configENS1_29reduce_by_key_config_selectorIilN6thrust23THRUST_200600_302600_NS4plusIlEEEEZZNS1_33reduce_by_key_impl_wrapped_configILNS1_25lookback_scan_determinismE0ES3_S9_PiNS6_17constant_iteratorIiNS6_11use_defaultESE_EENS6_10device_ptrIiEENSG_IlEEPmS8_NS6_8equal_toIiEEEE10hipError_tPvRmT2_T3_mT4_T5_T6_T7_T8_P12ihipStream_tbENKUlT_T0_E_clISt17integral_constantIbLb0EES13_EEDaSY_SZ_EUlSY_E_NS1_11comp_targetILNS1_3genE0ELNS1_11target_archE4294967295ELNS1_3gpuE0ELNS1_3repE0EEENS1_30default_config_static_selectorELNS0_4arch9wavefront6targetE1EEEvT1_
; %bb.0:
	.section	.rodata,"a",@progbits
	.p2align	6, 0x0
	.amdhsa_kernel _ZN7rocprim17ROCPRIM_400000_NS6detail17trampoline_kernelINS0_14default_configENS1_29reduce_by_key_config_selectorIilN6thrust23THRUST_200600_302600_NS4plusIlEEEEZZNS1_33reduce_by_key_impl_wrapped_configILNS1_25lookback_scan_determinismE0ES3_S9_PiNS6_17constant_iteratorIiNS6_11use_defaultESE_EENS6_10device_ptrIiEENSG_IlEEPmS8_NS6_8equal_toIiEEEE10hipError_tPvRmT2_T3_mT4_T5_T6_T7_T8_P12ihipStream_tbENKUlT_T0_E_clISt17integral_constantIbLb0EES13_EEDaSY_SZ_EUlSY_E_NS1_11comp_targetILNS1_3genE0ELNS1_11target_archE4294967295ELNS1_3gpuE0ELNS1_3repE0EEENS1_30default_config_static_selectorELNS0_4arch9wavefront6targetE1EEEvT1_
		.amdhsa_group_segment_fixed_size 0
		.amdhsa_private_segment_fixed_size 0
		.amdhsa_kernarg_size 144
		.amdhsa_user_sgpr_count 6
		.amdhsa_user_sgpr_private_segment_buffer 1
		.amdhsa_user_sgpr_dispatch_ptr 0
		.amdhsa_user_sgpr_queue_ptr 0
		.amdhsa_user_sgpr_kernarg_segment_ptr 1
		.amdhsa_user_sgpr_dispatch_id 0
		.amdhsa_user_sgpr_flat_scratch_init 0
		.amdhsa_user_sgpr_private_segment_size 0
		.amdhsa_uses_dynamic_stack 0
		.amdhsa_system_sgpr_private_segment_wavefront_offset 0
		.amdhsa_system_sgpr_workgroup_id_x 1
		.amdhsa_system_sgpr_workgroup_id_y 0
		.amdhsa_system_sgpr_workgroup_id_z 0
		.amdhsa_system_sgpr_workgroup_info 0
		.amdhsa_system_vgpr_workitem_id 0
		.amdhsa_next_free_vgpr 1
		.amdhsa_next_free_sgpr 0
		.amdhsa_reserve_vcc 0
		.amdhsa_reserve_flat_scratch 0
		.amdhsa_float_round_mode_32 0
		.amdhsa_float_round_mode_16_64 0
		.amdhsa_float_denorm_mode_32 3
		.amdhsa_float_denorm_mode_16_64 3
		.amdhsa_dx10_clamp 1
		.amdhsa_ieee_mode 1
		.amdhsa_fp16_overflow 0
		.amdhsa_exception_fp_ieee_invalid_op 0
		.amdhsa_exception_fp_denorm_src 0
		.amdhsa_exception_fp_ieee_div_zero 0
		.amdhsa_exception_fp_ieee_overflow 0
		.amdhsa_exception_fp_ieee_underflow 0
		.amdhsa_exception_fp_ieee_inexact 0
		.amdhsa_exception_int_div_zero 0
	.end_amdhsa_kernel
	.section	.text._ZN7rocprim17ROCPRIM_400000_NS6detail17trampoline_kernelINS0_14default_configENS1_29reduce_by_key_config_selectorIilN6thrust23THRUST_200600_302600_NS4plusIlEEEEZZNS1_33reduce_by_key_impl_wrapped_configILNS1_25lookback_scan_determinismE0ES3_S9_PiNS6_17constant_iteratorIiNS6_11use_defaultESE_EENS6_10device_ptrIiEENSG_IlEEPmS8_NS6_8equal_toIiEEEE10hipError_tPvRmT2_T3_mT4_T5_T6_T7_T8_P12ihipStream_tbENKUlT_T0_E_clISt17integral_constantIbLb0EES13_EEDaSY_SZ_EUlSY_E_NS1_11comp_targetILNS1_3genE0ELNS1_11target_archE4294967295ELNS1_3gpuE0ELNS1_3repE0EEENS1_30default_config_static_selectorELNS0_4arch9wavefront6targetE1EEEvT1_,"axG",@progbits,_ZN7rocprim17ROCPRIM_400000_NS6detail17trampoline_kernelINS0_14default_configENS1_29reduce_by_key_config_selectorIilN6thrust23THRUST_200600_302600_NS4plusIlEEEEZZNS1_33reduce_by_key_impl_wrapped_configILNS1_25lookback_scan_determinismE0ES3_S9_PiNS6_17constant_iteratorIiNS6_11use_defaultESE_EENS6_10device_ptrIiEENSG_IlEEPmS8_NS6_8equal_toIiEEEE10hipError_tPvRmT2_T3_mT4_T5_T6_T7_T8_P12ihipStream_tbENKUlT_T0_E_clISt17integral_constantIbLb0EES13_EEDaSY_SZ_EUlSY_E_NS1_11comp_targetILNS1_3genE0ELNS1_11target_archE4294967295ELNS1_3gpuE0ELNS1_3repE0EEENS1_30default_config_static_selectorELNS0_4arch9wavefront6targetE1EEEvT1_,comdat
.Lfunc_end938:
	.size	_ZN7rocprim17ROCPRIM_400000_NS6detail17trampoline_kernelINS0_14default_configENS1_29reduce_by_key_config_selectorIilN6thrust23THRUST_200600_302600_NS4plusIlEEEEZZNS1_33reduce_by_key_impl_wrapped_configILNS1_25lookback_scan_determinismE0ES3_S9_PiNS6_17constant_iteratorIiNS6_11use_defaultESE_EENS6_10device_ptrIiEENSG_IlEEPmS8_NS6_8equal_toIiEEEE10hipError_tPvRmT2_T3_mT4_T5_T6_T7_T8_P12ihipStream_tbENKUlT_T0_E_clISt17integral_constantIbLb0EES13_EEDaSY_SZ_EUlSY_E_NS1_11comp_targetILNS1_3genE0ELNS1_11target_archE4294967295ELNS1_3gpuE0ELNS1_3repE0EEENS1_30default_config_static_selectorELNS0_4arch9wavefront6targetE1EEEvT1_, .Lfunc_end938-_ZN7rocprim17ROCPRIM_400000_NS6detail17trampoline_kernelINS0_14default_configENS1_29reduce_by_key_config_selectorIilN6thrust23THRUST_200600_302600_NS4plusIlEEEEZZNS1_33reduce_by_key_impl_wrapped_configILNS1_25lookback_scan_determinismE0ES3_S9_PiNS6_17constant_iteratorIiNS6_11use_defaultESE_EENS6_10device_ptrIiEENSG_IlEEPmS8_NS6_8equal_toIiEEEE10hipError_tPvRmT2_T3_mT4_T5_T6_T7_T8_P12ihipStream_tbENKUlT_T0_E_clISt17integral_constantIbLb0EES13_EEDaSY_SZ_EUlSY_E_NS1_11comp_targetILNS1_3genE0ELNS1_11target_archE4294967295ELNS1_3gpuE0ELNS1_3repE0EEENS1_30default_config_static_selectorELNS0_4arch9wavefront6targetE1EEEvT1_
                                        ; -- End function
	.set _ZN7rocprim17ROCPRIM_400000_NS6detail17trampoline_kernelINS0_14default_configENS1_29reduce_by_key_config_selectorIilN6thrust23THRUST_200600_302600_NS4plusIlEEEEZZNS1_33reduce_by_key_impl_wrapped_configILNS1_25lookback_scan_determinismE0ES3_S9_PiNS6_17constant_iteratorIiNS6_11use_defaultESE_EENS6_10device_ptrIiEENSG_IlEEPmS8_NS6_8equal_toIiEEEE10hipError_tPvRmT2_T3_mT4_T5_T6_T7_T8_P12ihipStream_tbENKUlT_T0_E_clISt17integral_constantIbLb0EES13_EEDaSY_SZ_EUlSY_E_NS1_11comp_targetILNS1_3genE0ELNS1_11target_archE4294967295ELNS1_3gpuE0ELNS1_3repE0EEENS1_30default_config_static_selectorELNS0_4arch9wavefront6targetE1EEEvT1_.num_vgpr, 0
	.set _ZN7rocprim17ROCPRIM_400000_NS6detail17trampoline_kernelINS0_14default_configENS1_29reduce_by_key_config_selectorIilN6thrust23THRUST_200600_302600_NS4plusIlEEEEZZNS1_33reduce_by_key_impl_wrapped_configILNS1_25lookback_scan_determinismE0ES3_S9_PiNS6_17constant_iteratorIiNS6_11use_defaultESE_EENS6_10device_ptrIiEENSG_IlEEPmS8_NS6_8equal_toIiEEEE10hipError_tPvRmT2_T3_mT4_T5_T6_T7_T8_P12ihipStream_tbENKUlT_T0_E_clISt17integral_constantIbLb0EES13_EEDaSY_SZ_EUlSY_E_NS1_11comp_targetILNS1_3genE0ELNS1_11target_archE4294967295ELNS1_3gpuE0ELNS1_3repE0EEENS1_30default_config_static_selectorELNS0_4arch9wavefront6targetE1EEEvT1_.num_agpr, 0
	.set _ZN7rocprim17ROCPRIM_400000_NS6detail17trampoline_kernelINS0_14default_configENS1_29reduce_by_key_config_selectorIilN6thrust23THRUST_200600_302600_NS4plusIlEEEEZZNS1_33reduce_by_key_impl_wrapped_configILNS1_25lookback_scan_determinismE0ES3_S9_PiNS6_17constant_iteratorIiNS6_11use_defaultESE_EENS6_10device_ptrIiEENSG_IlEEPmS8_NS6_8equal_toIiEEEE10hipError_tPvRmT2_T3_mT4_T5_T6_T7_T8_P12ihipStream_tbENKUlT_T0_E_clISt17integral_constantIbLb0EES13_EEDaSY_SZ_EUlSY_E_NS1_11comp_targetILNS1_3genE0ELNS1_11target_archE4294967295ELNS1_3gpuE0ELNS1_3repE0EEENS1_30default_config_static_selectorELNS0_4arch9wavefront6targetE1EEEvT1_.numbered_sgpr, 0
	.set _ZN7rocprim17ROCPRIM_400000_NS6detail17trampoline_kernelINS0_14default_configENS1_29reduce_by_key_config_selectorIilN6thrust23THRUST_200600_302600_NS4plusIlEEEEZZNS1_33reduce_by_key_impl_wrapped_configILNS1_25lookback_scan_determinismE0ES3_S9_PiNS6_17constant_iteratorIiNS6_11use_defaultESE_EENS6_10device_ptrIiEENSG_IlEEPmS8_NS6_8equal_toIiEEEE10hipError_tPvRmT2_T3_mT4_T5_T6_T7_T8_P12ihipStream_tbENKUlT_T0_E_clISt17integral_constantIbLb0EES13_EEDaSY_SZ_EUlSY_E_NS1_11comp_targetILNS1_3genE0ELNS1_11target_archE4294967295ELNS1_3gpuE0ELNS1_3repE0EEENS1_30default_config_static_selectorELNS0_4arch9wavefront6targetE1EEEvT1_.num_named_barrier, 0
	.set _ZN7rocprim17ROCPRIM_400000_NS6detail17trampoline_kernelINS0_14default_configENS1_29reduce_by_key_config_selectorIilN6thrust23THRUST_200600_302600_NS4plusIlEEEEZZNS1_33reduce_by_key_impl_wrapped_configILNS1_25lookback_scan_determinismE0ES3_S9_PiNS6_17constant_iteratorIiNS6_11use_defaultESE_EENS6_10device_ptrIiEENSG_IlEEPmS8_NS6_8equal_toIiEEEE10hipError_tPvRmT2_T3_mT4_T5_T6_T7_T8_P12ihipStream_tbENKUlT_T0_E_clISt17integral_constantIbLb0EES13_EEDaSY_SZ_EUlSY_E_NS1_11comp_targetILNS1_3genE0ELNS1_11target_archE4294967295ELNS1_3gpuE0ELNS1_3repE0EEENS1_30default_config_static_selectorELNS0_4arch9wavefront6targetE1EEEvT1_.private_seg_size, 0
	.set _ZN7rocprim17ROCPRIM_400000_NS6detail17trampoline_kernelINS0_14default_configENS1_29reduce_by_key_config_selectorIilN6thrust23THRUST_200600_302600_NS4plusIlEEEEZZNS1_33reduce_by_key_impl_wrapped_configILNS1_25lookback_scan_determinismE0ES3_S9_PiNS6_17constant_iteratorIiNS6_11use_defaultESE_EENS6_10device_ptrIiEENSG_IlEEPmS8_NS6_8equal_toIiEEEE10hipError_tPvRmT2_T3_mT4_T5_T6_T7_T8_P12ihipStream_tbENKUlT_T0_E_clISt17integral_constantIbLb0EES13_EEDaSY_SZ_EUlSY_E_NS1_11comp_targetILNS1_3genE0ELNS1_11target_archE4294967295ELNS1_3gpuE0ELNS1_3repE0EEENS1_30default_config_static_selectorELNS0_4arch9wavefront6targetE1EEEvT1_.uses_vcc, 0
	.set _ZN7rocprim17ROCPRIM_400000_NS6detail17trampoline_kernelINS0_14default_configENS1_29reduce_by_key_config_selectorIilN6thrust23THRUST_200600_302600_NS4plusIlEEEEZZNS1_33reduce_by_key_impl_wrapped_configILNS1_25lookback_scan_determinismE0ES3_S9_PiNS6_17constant_iteratorIiNS6_11use_defaultESE_EENS6_10device_ptrIiEENSG_IlEEPmS8_NS6_8equal_toIiEEEE10hipError_tPvRmT2_T3_mT4_T5_T6_T7_T8_P12ihipStream_tbENKUlT_T0_E_clISt17integral_constantIbLb0EES13_EEDaSY_SZ_EUlSY_E_NS1_11comp_targetILNS1_3genE0ELNS1_11target_archE4294967295ELNS1_3gpuE0ELNS1_3repE0EEENS1_30default_config_static_selectorELNS0_4arch9wavefront6targetE1EEEvT1_.uses_flat_scratch, 0
	.set _ZN7rocprim17ROCPRIM_400000_NS6detail17trampoline_kernelINS0_14default_configENS1_29reduce_by_key_config_selectorIilN6thrust23THRUST_200600_302600_NS4plusIlEEEEZZNS1_33reduce_by_key_impl_wrapped_configILNS1_25lookback_scan_determinismE0ES3_S9_PiNS6_17constant_iteratorIiNS6_11use_defaultESE_EENS6_10device_ptrIiEENSG_IlEEPmS8_NS6_8equal_toIiEEEE10hipError_tPvRmT2_T3_mT4_T5_T6_T7_T8_P12ihipStream_tbENKUlT_T0_E_clISt17integral_constantIbLb0EES13_EEDaSY_SZ_EUlSY_E_NS1_11comp_targetILNS1_3genE0ELNS1_11target_archE4294967295ELNS1_3gpuE0ELNS1_3repE0EEENS1_30default_config_static_selectorELNS0_4arch9wavefront6targetE1EEEvT1_.has_dyn_sized_stack, 0
	.set _ZN7rocprim17ROCPRIM_400000_NS6detail17trampoline_kernelINS0_14default_configENS1_29reduce_by_key_config_selectorIilN6thrust23THRUST_200600_302600_NS4plusIlEEEEZZNS1_33reduce_by_key_impl_wrapped_configILNS1_25lookback_scan_determinismE0ES3_S9_PiNS6_17constant_iteratorIiNS6_11use_defaultESE_EENS6_10device_ptrIiEENSG_IlEEPmS8_NS6_8equal_toIiEEEE10hipError_tPvRmT2_T3_mT4_T5_T6_T7_T8_P12ihipStream_tbENKUlT_T0_E_clISt17integral_constantIbLb0EES13_EEDaSY_SZ_EUlSY_E_NS1_11comp_targetILNS1_3genE0ELNS1_11target_archE4294967295ELNS1_3gpuE0ELNS1_3repE0EEENS1_30default_config_static_selectorELNS0_4arch9wavefront6targetE1EEEvT1_.has_recursion, 0
	.set _ZN7rocprim17ROCPRIM_400000_NS6detail17trampoline_kernelINS0_14default_configENS1_29reduce_by_key_config_selectorIilN6thrust23THRUST_200600_302600_NS4plusIlEEEEZZNS1_33reduce_by_key_impl_wrapped_configILNS1_25lookback_scan_determinismE0ES3_S9_PiNS6_17constant_iteratorIiNS6_11use_defaultESE_EENS6_10device_ptrIiEENSG_IlEEPmS8_NS6_8equal_toIiEEEE10hipError_tPvRmT2_T3_mT4_T5_T6_T7_T8_P12ihipStream_tbENKUlT_T0_E_clISt17integral_constantIbLb0EES13_EEDaSY_SZ_EUlSY_E_NS1_11comp_targetILNS1_3genE0ELNS1_11target_archE4294967295ELNS1_3gpuE0ELNS1_3repE0EEENS1_30default_config_static_selectorELNS0_4arch9wavefront6targetE1EEEvT1_.has_indirect_call, 0
	.section	.AMDGPU.csdata,"",@progbits
; Kernel info:
; codeLenInByte = 0
; TotalNumSgprs: 4
; NumVgprs: 0
; ScratchSize: 0
; MemoryBound: 0
; FloatMode: 240
; IeeeMode: 1
; LDSByteSize: 0 bytes/workgroup (compile time only)
; SGPRBlocks: 0
; VGPRBlocks: 0
; NumSGPRsForWavesPerEU: 4
; NumVGPRsForWavesPerEU: 1
; Occupancy: 10
; WaveLimiterHint : 0
; COMPUTE_PGM_RSRC2:SCRATCH_EN: 0
; COMPUTE_PGM_RSRC2:USER_SGPR: 6
; COMPUTE_PGM_RSRC2:TRAP_HANDLER: 0
; COMPUTE_PGM_RSRC2:TGID_X_EN: 1
; COMPUTE_PGM_RSRC2:TGID_Y_EN: 0
; COMPUTE_PGM_RSRC2:TGID_Z_EN: 0
; COMPUTE_PGM_RSRC2:TIDIG_COMP_CNT: 0
	.section	.text._ZN7rocprim17ROCPRIM_400000_NS6detail17trampoline_kernelINS0_14default_configENS1_29reduce_by_key_config_selectorIilN6thrust23THRUST_200600_302600_NS4plusIlEEEEZZNS1_33reduce_by_key_impl_wrapped_configILNS1_25lookback_scan_determinismE0ES3_S9_PiNS6_17constant_iteratorIiNS6_11use_defaultESE_EENS6_10device_ptrIiEENSG_IlEEPmS8_NS6_8equal_toIiEEEE10hipError_tPvRmT2_T3_mT4_T5_T6_T7_T8_P12ihipStream_tbENKUlT_T0_E_clISt17integral_constantIbLb0EES13_EEDaSY_SZ_EUlSY_E_NS1_11comp_targetILNS1_3genE5ELNS1_11target_archE942ELNS1_3gpuE9ELNS1_3repE0EEENS1_30default_config_static_selectorELNS0_4arch9wavefront6targetE1EEEvT1_,"axG",@progbits,_ZN7rocprim17ROCPRIM_400000_NS6detail17trampoline_kernelINS0_14default_configENS1_29reduce_by_key_config_selectorIilN6thrust23THRUST_200600_302600_NS4plusIlEEEEZZNS1_33reduce_by_key_impl_wrapped_configILNS1_25lookback_scan_determinismE0ES3_S9_PiNS6_17constant_iteratorIiNS6_11use_defaultESE_EENS6_10device_ptrIiEENSG_IlEEPmS8_NS6_8equal_toIiEEEE10hipError_tPvRmT2_T3_mT4_T5_T6_T7_T8_P12ihipStream_tbENKUlT_T0_E_clISt17integral_constantIbLb0EES13_EEDaSY_SZ_EUlSY_E_NS1_11comp_targetILNS1_3genE5ELNS1_11target_archE942ELNS1_3gpuE9ELNS1_3repE0EEENS1_30default_config_static_selectorELNS0_4arch9wavefront6targetE1EEEvT1_,comdat
	.protected	_ZN7rocprim17ROCPRIM_400000_NS6detail17trampoline_kernelINS0_14default_configENS1_29reduce_by_key_config_selectorIilN6thrust23THRUST_200600_302600_NS4plusIlEEEEZZNS1_33reduce_by_key_impl_wrapped_configILNS1_25lookback_scan_determinismE0ES3_S9_PiNS6_17constant_iteratorIiNS6_11use_defaultESE_EENS6_10device_ptrIiEENSG_IlEEPmS8_NS6_8equal_toIiEEEE10hipError_tPvRmT2_T3_mT4_T5_T6_T7_T8_P12ihipStream_tbENKUlT_T0_E_clISt17integral_constantIbLb0EES13_EEDaSY_SZ_EUlSY_E_NS1_11comp_targetILNS1_3genE5ELNS1_11target_archE942ELNS1_3gpuE9ELNS1_3repE0EEENS1_30default_config_static_selectorELNS0_4arch9wavefront6targetE1EEEvT1_ ; -- Begin function _ZN7rocprim17ROCPRIM_400000_NS6detail17trampoline_kernelINS0_14default_configENS1_29reduce_by_key_config_selectorIilN6thrust23THRUST_200600_302600_NS4plusIlEEEEZZNS1_33reduce_by_key_impl_wrapped_configILNS1_25lookback_scan_determinismE0ES3_S9_PiNS6_17constant_iteratorIiNS6_11use_defaultESE_EENS6_10device_ptrIiEENSG_IlEEPmS8_NS6_8equal_toIiEEEE10hipError_tPvRmT2_T3_mT4_T5_T6_T7_T8_P12ihipStream_tbENKUlT_T0_E_clISt17integral_constantIbLb0EES13_EEDaSY_SZ_EUlSY_E_NS1_11comp_targetILNS1_3genE5ELNS1_11target_archE942ELNS1_3gpuE9ELNS1_3repE0EEENS1_30default_config_static_selectorELNS0_4arch9wavefront6targetE1EEEvT1_
	.globl	_ZN7rocprim17ROCPRIM_400000_NS6detail17trampoline_kernelINS0_14default_configENS1_29reduce_by_key_config_selectorIilN6thrust23THRUST_200600_302600_NS4plusIlEEEEZZNS1_33reduce_by_key_impl_wrapped_configILNS1_25lookback_scan_determinismE0ES3_S9_PiNS6_17constant_iteratorIiNS6_11use_defaultESE_EENS6_10device_ptrIiEENSG_IlEEPmS8_NS6_8equal_toIiEEEE10hipError_tPvRmT2_T3_mT4_T5_T6_T7_T8_P12ihipStream_tbENKUlT_T0_E_clISt17integral_constantIbLb0EES13_EEDaSY_SZ_EUlSY_E_NS1_11comp_targetILNS1_3genE5ELNS1_11target_archE942ELNS1_3gpuE9ELNS1_3repE0EEENS1_30default_config_static_selectorELNS0_4arch9wavefront6targetE1EEEvT1_
	.p2align	8
	.type	_ZN7rocprim17ROCPRIM_400000_NS6detail17trampoline_kernelINS0_14default_configENS1_29reduce_by_key_config_selectorIilN6thrust23THRUST_200600_302600_NS4plusIlEEEEZZNS1_33reduce_by_key_impl_wrapped_configILNS1_25lookback_scan_determinismE0ES3_S9_PiNS6_17constant_iteratorIiNS6_11use_defaultESE_EENS6_10device_ptrIiEENSG_IlEEPmS8_NS6_8equal_toIiEEEE10hipError_tPvRmT2_T3_mT4_T5_T6_T7_T8_P12ihipStream_tbENKUlT_T0_E_clISt17integral_constantIbLb0EES13_EEDaSY_SZ_EUlSY_E_NS1_11comp_targetILNS1_3genE5ELNS1_11target_archE942ELNS1_3gpuE9ELNS1_3repE0EEENS1_30default_config_static_selectorELNS0_4arch9wavefront6targetE1EEEvT1_,@function
_ZN7rocprim17ROCPRIM_400000_NS6detail17trampoline_kernelINS0_14default_configENS1_29reduce_by_key_config_selectorIilN6thrust23THRUST_200600_302600_NS4plusIlEEEEZZNS1_33reduce_by_key_impl_wrapped_configILNS1_25lookback_scan_determinismE0ES3_S9_PiNS6_17constant_iteratorIiNS6_11use_defaultESE_EENS6_10device_ptrIiEENSG_IlEEPmS8_NS6_8equal_toIiEEEE10hipError_tPvRmT2_T3_mT4_T5_T6_T7_T8_P12ihipStream_tbENKUlT_T0_E_clISt17integral_constantIbLb0EES13_EEDaSY_SZ_EUlSY_E_NS1_11comp_targetILNS1_3genE5ELNS1_11target_archE942ELNS1_3gpuE9ELNS1_3repE0EEENS1_30default_config_static_selectorELNS0_4arch9wavefront6targetE1EEEvT1_: ; @_ZN7rocprim17ROCPRIM_400000_NS6detail17trampoline_kernelINS0_14default_configENS1_29reduce_by_key_config_selectorIilN6thrust23THRUST_200600_302600_NS4plusIlEEEEZZNS1_33reduce_by_key_impl_wrapped_configILNS1_25lookback_scan_determinismE0ES3_S9_PiNS6_17constant_iteratorIiNS6_11use_defaultESE_EENS6_10device_ptrIiEENSG_IlEEPmS8_NS6_8equal_toIiEEEE10hipError_tPvRmT2_T3_mT4_T5_T6_T7_T8_P12ihipStream_tbENKUlT_T0_E_clISt17integral_constantIbLb0EES13_EEDaSY_SZ_EUlSY_E_NS1_11comp_targetILNS1_3genE5ELNS1_11target_archE942ELNS1_3gpuE9ELNS1_3repE0EEENS1_30default_config_static_selectorELNS0_4arch9wavefront6targetE1EEEvT1_
; %bb.0:
	.section	.rodata,"a",@progbits
	.p2align	6, 0x0
	.amdhsa_kernel _ZN7rocprim17ROCPRIM_400000_NS6detail17trampoline_kernelINS0_14default_configENS1_29reduce_by_key_config_selectorIilN6thrust23THRUST_200600_302600_NS4plusIlEEEEZZNS1_33reduce_by_key_impl_wrapped_configILNS1_25lookback_scan_determinismE0ES3_S9_PiNS6_17constant_iteratorIiNS6_11use_defaultESE_EENS6_10device_ptrIiEENSG_IlEEPmS8_NS6_8equal_toIiEEEE10hipError_tPvRmT2_T3_mT4_T5_T6_T7_T8_P12ihipStream_tbENKUlT_T0_E_clISt17integral_constantIbLb0EES13_EEDaSY_SZ_EUlSY_E_NS1_11comp_targetILNS1_3genE5ELNS1_11target_archE942ELNS1_3gpuE9ELNS1_3repE0EEENS1_30default_config_static_selectorELNS0_4arch9wavefront6targetE1EEEvT1_
		.amdhsa_group_segment_fixed_size 0
		.amdhsa_private_segment_fixed_size 0
		.amdhsa_kernarg_size 144
		.amdhsa_user_sgpr_count 6
		.amdhsa_user_sgpr_private_segment_buffer 1
		.amdhsa_user_sgpr_dispatch_ptr 0
		.amdhsa_user_sgpr_queue_ptr 0
		.amdhsa_user_sgpr_kernarg_segment_ptr 1
		.amdhsa_user_sgpr_dispatch_id 0
		.amdhsa_user_sgpr_flat_scratch_init 0
		.amdhsa_user_sgpr_private_segment_size 0
		.amdhsa_uses_dynamic_stack 0
		.amdhsa_system_sgpr_private_segment_wavefront_offset 0
		.amdhsa_system_sgpr_workgroup_id_x 1
		.amdhsa_system_sgpr_workgroup_id_y 0
		.amdhsa_system_sgpr_workgroup_id_z 0
		.amdhsa_system_sgpr_workgroup_info 0
		.amdhsa_system_vgpr_workitem_id 0
		.amdhsa_next_free_vgpr 1
		.amdhsa_next_free_sgpr 0
		.amdhsa_reserve_vcc 0
		.amdhsa_reserve_flat_scratch 0
		.amdhsa_float_round_mode_32 0
		.amdhsa_float_round_mode_16_64 0
		.amdhsa_float_denorm_mode_32 3
		.amdhsa_float_denorm_mode_16_64 3
		.amdhsa_dx10_clamp 1
		.amdhsa_ieee_mode 1
		.amdhsa_fp16_overflow 0
		.amdhsa_exception_fp_ieee_invalid_op 0
		.amdhsa_exception_fp_denorm_src 0
		.amdhsa_exception_fp_ieee_div_zero 0
		.amdhsa_exception_fp_ieee_overflow 0
		.amdhsa_exception_fp_ieee_underflow 0
		.amdhsa_exception_fp_ieee_inexact 0
		.amdhsa_exception_int_div_zero 0
	.end_amdhsa_kernel
	.section	.text._ZN7rocprim17ROCPRIM_400000_NS6detail17trampoline_kernelINS0_14default_configENS1_29reduce_by_key_config_selectorIilN6thrust23THRUST_200600_302600_NS4plusIlEEEEZZNS1_33reduce_by_key_impl_wrapped_configILNS1_25lookback_scan_determinismE0ES3_S9_PiNS6_17constant_iteratorIiNS6_11use_defaultESE_EENS6_10device_ptrIiEENSG_IlEEPmS8_NS6_8equal_toIiEEEE10hipError_tPvRmT2_T3_mT4_T5_T6_T7_T8_P12ihipStream_tbENKUlT_T0_E_clISt17integral_constantIbLb0EES13_EEDaSY_SZ_EUlSY_E_NS1_11comp_targetILNS1_3genE5ELNS1_11target_archE942ELNS1_3gpuE9ELNS1_3repE0EEENS1_30default_config_static_selectorELNS0_4arch9wavefront6targetE1EEEvT1_,"axG",@progbits,_ZN7rocprim17ROCPRIM_400000_NS6detail17trampoline_kernelINS0_14default_configENS1_29reduce_by_key_config_selectorIilN6thrust23THRUST_200600_302600_NS4plusIlEEEEZZNS1_33reduce_by_key_impl_wrapped_configILNS1_25lookback_scan_determinismE0ES3_S9_PiNS6_17constant_iteratorIiNS6_11use_defaultESE_EENS6_10device_ptrIiEENSG_IlEEPmS8_NS6_8equal_toIiEEEE10hipError_tPvRmT2_T3_mT4_T5_T6_T7_T8_P12ihipStream_tbENKUlT_T0_E_clISt17integral_constantIbLb0EES13_EEDaSY_SZ_EUlSY_E_NS1_11comp_targetILNS1_3genE5ELNS1_11target_archE942ELNS1_3gpuE9ELNS1_3repE0EEENS1_30default_config_static_selectorELNS0_4arch9wavefront6targetE1EEEvT1_,comdat
.Lfunc_end939:
	.size	_ZN7rocprim17ROCPRIM_400000_NS6detail17trampoline_kernelINS0_14default_configENS1_29reduce_by_key_config_selectorIilN6thrust23THRUST_200600_302600_NS4plusIlEEEEZZNS1_33reduce_by_key_impl_wrapped_configILNS1_25lookback_scan_determinismE0ES3_S9_PiNS6_17constant_iteratorIiNS6_11use_defaultESE_EENS6_10device_ptrIiEENSG_IlEEPmS8_NS6_8equal_toIiEEEE10hipError_tPvRmT2_T3_mT4_T5_T6_T7_T8_P12ihipStream_tbENKUlT_T0_E_clISt17integral_constantIbLb0EES13_EEDaSY_SZ_EUlSY_E_NS1_11comp_targetILNS1_3genE5ELNS1_11target_archE942ELNS1_3gpuE9ELNS1_3repE0EEENS1_30default_config_static_selectorELNS0_4arch9wavefront6targetE1EEEvT1_, .Lfunc_end939-_ZN7rocprim17ROCPRIM_400000_NS6detail17trampoline_kernelINS0_14default_configENS1_29reduce_by_key_config_selectorIilN6thrust23THRUST_200600_302600_NS4plusIlEEEEZZNS1_33reduce_by_key_impl_wrapped_configILNS1_25lookback_scan_determinismE0ES3_S9_PiNS6_17constant_iteratorIiNS6_11use_defaultESE_EENS6_10device_ptrIiEENSG_IlEEPmS8_NS6_8equal_toIiEEEE10hipError_tPvRmT2_T3_mT4_T5_T6_T7_T8_P12ihipStream_tbENKUlT_T0_E_clISt17integral_constantIbLb0EES13_EEDaSY_SZ_EUlSY_E_NS1_11comp_targetILNS1_3genE5ELNS1_11target_archE942ELNS1_3gpuE9ELNS1_3repE0EEENS1_30default_config_static_selectorELNS0_4arch9wavefront6targetE1EEEvT1_
                                        ; -- End function
	.set _ZN7rocprim17ROCPRIM_400000_NS6detail17trampoline_kernelINS0_14default_configENS1_29reduce_by_key_config_selectorIilN6thrust23THRUST_200600_302600_NS4plusIlEEEEZZNS1_33reduce_by_key_impl_wrapped_configILNS1_25lookback_scan_determinismE0ES3_S9_PiNS6_17constant_iteratorIiNS6_11use_defaultESE_EENS6_10device_ptrIiEENSG_IlEEPmS8_NS6_8equal_toIiEEEE10hipError_tPvRmT2_T3_mT4_T5_T6_T7_T8_P12ihipStream_tbENKUlT_T0_E_clISt17integral_constantIbLb0EES13_EEDaSY_SZ_EUlSY_E_NS1_11comp_targetILNS1_3genE5ELNS1_11target_archE942ELNS1_3gpuE9ELNS1_3repE0EEENS1_30default_config_static_selectorELNS0_4arch9wavefront6targetE1EEEvT1_.num_vgpr, 0
	.set _ZN7rocprim17ROCPRIM_400000_NS6detail17trampoline_kernelINS0_14default_configENS1_29reduce_by_key_config_selectorIilN6thrust23THRUST_200600_302600_NS4plusIlEEEEZZNS1_33reduce_by_key_impl_wrapped_configILNS1_25lookback_scan_determinismE0ES3_S9_PiNS6_17constant_iteratorIiNS6_11use_defaultESE_EENS6_10device_ptrIiEENSG_IlEEPmS8_NS6_8equal_toIiEEEE10hipError_tPvRmT2_T3_mT4_T5_T6_T7_T8_P12ihipStream_tbENKUlT_T0_E_clISt17integral_constantIbLb0EES13_EEDaSY_SZ_EUlSY_E_NS1_11comp_targetILNS1_3genE5ELNS1_11target_archE942ELNS1_3gpuE9ELNS1_3repE0EEENS1_30default_config_static_selectorELNS0_4arch9wavefront6targetE1EEEvT1_.num_agpr, 0
	.set _ZN7rocprim17ROCPRIM_400000_NS6detail17trampoline_kernelINS0_14default_configENS1_29reduce_by_key_config_selectorIilN6thrust23THRUST_200600_302600_NS4plusIlEEEEZZNS1_33reduce_by_key_impl_wrapped_configILNS1_25lookback_scan_determinismE0ES3_S9_PiNS6_17constant_iteratorIiNS6_11use_defaultESE_EENS6_10device_ptrIiEENSG_IlEEPmS8_NS6_8equal_toIiEEEE10hipError_tPvRmT2_T3_mT4_T5_T6_T7_T8_P12ihipStream_tbENKUlT_T0_E_clISt17integral_constantIbLb0EES13_EEDaSY_SZ_EUlSY_E_NS1_11comp_targetILNS1_3genE5ELNS1_11target_archE942ELNS1_3gpuE9ELNS1_3repE0EEENS1_30default_config_static_selectorELNS0_4arch9wavefront6targetE1EEEvT1_.numbered_sgpr, 0
	.set _ZN7rocprim17ROCPRIM_400000_NS6detail17trampoline_kernelINS0_14default_configENS1_29reduce_by_key_config_selectorIilN6thrust23THRUST_200600_302600_NS4plusIlEEEEZZNS1_33reduce_by_key_impl_wrapped_configILNS1_25lookback_scan_determinismE0ES3_S9_PiNS6_17constant_iteratorIiNS6_11use_defaultESE_EENS6_10device_ptrIiEENSG_IlEEPmS8_NS6_8equal_toIiEEEE10hipError_tPvRmT2_T3_mT4_T5_T6_T7_T8_P12ihipStream_tbENKUlT_T0_E_clISt17integral_constantIbLb0EES13_EEDaSY_SZ_EUlSY_E_NS1_11comp_targetILNS1_3genE5ELNS1_11target_archE942ELNS1_3gpuE9ELNS1_3repE0EEENS1_30default_config_static_selectorELNS0_4arch9wavefront6targetE1EEEvT1_.num_named_barrier, 0
	.set _ZN7rocprim17ROCPRIM_400000_NS6detail17trampoline_kernelINS0_14default_configENS1_29reduce_by_key_config_selectorIilN6thrust23THRUST_200600_302600_NS4plusIlEEEEZZNS1_33reduce_by_key_impl_wrapped_configILNS1_25lookback_scan_determinismE0ES3_S9_PiNS6_17constant_iteratorIiNS6_11use_defaultESE_EENS6_10device_ptrIiEENSG_IlEEPmS8_NS6_8equal_toIiEEEE10hipError_tPvRmT2_T3_mT4_T5_T6_T7_T8_P12ihipStream_tbENKUlT_T0_E_clISt17integral_constantIbLb0EES13_EEDaSY_SZ_EUlSY_E_NS1_11comp_targetILNS1_3genE5ELNS1_11target_archE942ELNS1_3gpuE9ELNS1_3repE0EEENS1_30default_config_static_selectorELNS0_4arch9wavefront6targetE1EEEvT1_.private_seg_size, 0
	.set _ZN7rocprim17ROCPRIM_400000_NS6detail17trampoline_kernelINS0_14default_configENS1_29reduce_by_key_config_selectorIilN6thrust23THRUST_200600_302600_NS4plusIlEEEEZZNS1_33reduce_by_key_impl_wrapped_configILNS1_25lookback_scan_determinismE0ES3_S9_PiNS6_17constant_iteratorIiNS6_11use_defaultESE_EENS6_10device_ptrIiEENSG_IlEEPmS8_NS6_8equal_toIiEEEE10hipError_tPvRmT2_T3_mT4_T5_T6_T7_T8_P12ihipStream_tbENKUlT_T0_E_clISt17integral_constantIbLb0EES13_EEDaSY_SZ_EUlSY_E_NS1_11comp_targetILNS1_3genE5ELNS1_11target_archE942ELNS1_3gpuE9ELNS1_3repE0EEENS1_30default_config_static_selectorELNS0_4arch9wavefront6targetE1EEEvT1_.uses_vcc, 0
	.set _ZN7rocprim17ROCPRIM_400000_NS6detail17trampoline_kernelINS0_14default_configENS1_29reduce_by_key_config_selectorIilN6thrust23THRUST_200600_302600_NS4plusIlEEEEZZNS1_33reduce_by_key_impl_wrapped_configILNS1_25lookback_scan_determinismE0ES3_S9_PiNS6_17constant_iteratorIiNS6_11use_defaultESE_EENS6_10device_ptrIiEENSG_IlEEPmS8_NS6_8equal_toIiEEEE10hipError_tPvRmT2_T3_mT4_T5_T6_T7_T8_P12ihipStream_tbENKUlT_T0_E_clISt17integral_constantIbLb0EES13_EEDaSY_SZ_EUlSY_E_NS1_11comp_targetILNS1_3genE5ELNS1_11target_archE942ELNS1_3gpuE9ELNS1_3repE0EEENS1_30default_config_static_selectorELNS0_4arch9wavefront6targetE1EEEvT1_.uses_flat_scratch, 0
	.set _ZN7rocprim17ROCPRIM_400000_NS6detail17trampoline_kernelINS0_14default_configENS1_29reduce_by_key_config_selectorIilN6thrust23THRUST_200600_302600_NS4plusIlEEEEZZNS1_33reduce_by_key_impl_wrapped_configILNS1_25lookback_scan_determinismE0ES3_S9_PiNS6_17constant_iteratorIiNS6_11use_defaultESE_EENS6_10device_ptrIiEENSG_IlEEPmS8_NS6_8equal_toIiEEEE10hipError_tPvRmT2_T3_mT4_T5_T6_T7_T8_P12ihipStream_tbENKUlT_T0_E_clISt17integral_constantIbLb0EES13_EEDaSY_SZ_EUlSY_E_NS1_11comp_targetILNS1_3genE5ELNS1_11target_archE942ELNS1_3gpuE9ELNS1_3repE0EEENS1_30default_config_static_selectorELNS0_4arch9wavefront6targetE1EEEvT1_.has_dyn_sized_stack, 0
	.set _ZN7rocprim17ROCPRIM_400000_NS6detail17trampoline_kernelINS0_14default_configENS1_29reduce_by_key_config_selectorIilN6thrust23THRUST_200600_302600_NS4plusIlEEEEZZNS1_33reduce_by_key_impl_wrapped_configILNS1_25lookback_scan_determinismE0ES3_S9_PiNS6_17constant_iteratorIiNS6_11use_defaultESE_EENS6_10device_ptrIiEENSG_IlEEPmS8_NS6_8equal_toIiEEEE10hipError_tPvRmT2_T3_mT4_T5_T6_T7_T8_P12ihipStream_tbENKUlT_T0_E_clISt17integral_constantIbLb0EES13_EEDaSY_SZ_EUlSY_E_NS1_11comp_targetILNS1_3genE5ELNS1_11target_archE942ELNS1_3gpuE9ELNS1_3repE0EEENS1_30default_config_static_selectorELNS0_4arch9wavefront6targetE1EEEvT1_.has_recursion, 0
	.set _ZN7rocprim17ROCPRIM_400000_NS6detail17trampoline_kernelINS0_14default_configENS1_29reduce_by_key_config_selectorIilN6thrust23THRUST_200600_302600_NS4plusIlEEEEZZNS1_33reduce_by_key_impl_wrapped_configILNS1_25lookback_scan_determinismE0ES3_S9_PiNS6_17constant_iteratorIiNS6_11use_defaultESE_EENS6_10device_ptrIiEENSG_IlEEPmS8_NS6_8equal_toIiEEEE10hipError_tPvRmT2_T3_mT4_T5_T6_T7_T8_P12ihipStream_tbENKUlT_T0_E_clISt17integral_constantIbLb0EES13_EEDaSY_SZ_EUlSY_E_NS1_11comp_targetILNS1_3genE5ELNS1_11target_archE942ELNS1_3gpuE9ELNS1_3repE0EEENS1_30default_config_static_selectorELNS0_4arch9wavefront6targetE1EEEvT1_.has_indirect_call, 0
	.section	.AMDGPU.csdata,"",@progbits
; Kernel info:
; codeLenInByte = 0
; TotalNumSgprs: 4
; NumVgprs: 0
; ScratchSize: 0
; MemoryBound: 0
; FloatMode: 240
; IeeeMode: 1
; LDSByteSize: 0 bytes/workgroup (compile time only)
; SGPRBlocks: 0
; VGPRBlocks: 0
; NumSGPRsForWavesPerEU: 4
; NumVGPRsForWavesPerEU: 1
; Occupancy: 10
; WaveLimiterHint : 0
; COMPUTE_PGM_RSRC2:SCRATCH_EN: 0
; COMPUTE_PGM_RSRC2:USER_SGPR: 6
; COMPUTE_PGM_RSRC2:TRAP_HANDLER: 0
; COMPUTE_PGM_RSRC2:TGID_X_EN: 1
; COMPUTE_PGM_RSRC2:TGID_Y_EN: 0
; COMPUTE_PGM_RSRC2:TGID_Z_EN: 0
; COMPUTE_PGM_RSRC2:TIDIG_COMP_CNT: 0
	.section	.text._ZN7rocprim17ROCPRIM_400000_NS6detail17trampoline_kernelINS0_14default_configENS1_29reduce_by_key_config_selectorIilN6thrust23THRUST_200600_302600_NS4plusIlEEEEZZNS1_33reduce_by_key_impl_wrapped_configILNS1_25lookback_scan_determinismE0ES3_S9_PiNS6_17constant_iteratorIiNS6_11use_defaultESE_EENS6_10device_ptrIiEENSG_IlEEPmS8_NS6_8equal_toIiEEEE10hipError_tPvRmT2_T3_mT4_T5_T6_T7_T8_P12ihipStream_tbENKUlT_T0_E_clISt17integral_constantIbLb0EES13_EEDaSY_SZ_EUlSY_E_NS1_11comp_targetILNS1_3genE4ELNS1_11target_archE910ELNS1_3gpuE8ELNS1_3repE0EEENS1_30default_config_static_selectorELNS0_4arch9wavefront6targetE1EEEvT1_,"axG",@progbits,_ZN7rocprim17ROCPRIM_400000_NS6detail17trampoline_kernelINS0_14default_configENS1_29reduce_by_key_config_selectorIilN6thrust23THRUST_200600_302600_NS4plusIlEEEEZZNS1_33reduce_by_key_impl_wrapped_configILNS1_25lookback_scan_determinismE0ES3_S9_PiNS6_17constant_iteratorIiNS6_11use_defaultESE_EENS6_10device_ptrIiEENSG_IlEEPmS8_NS6_8equal_toIiEEEE10hipError_tPvRmT2_T3_mT4_T5_T6_T7_T8_P12ihipStream_tbENKUlT_T0_E_clISt17integral_constantIbLb0EES13_EEDaSY_SZ_EUlSY_E_NS1_11comp_targetILNS1_3genE4ELNS1_11target_archE910ELNS1_3gpuE8ELNS1_3repE0EEENS1_30default_config_static_selectorELNS0_4arch9wavefront6targetE1EEEvT1_,comdat
	.protected	_ZN7rocprim17ROCPRIM_400000_NS6detail17trampoline_kernelINS0_14default_configENS1_29reduce_by_key_config_selectorIilN6thrust23THRUST_200600_302600_NS4plusIlEEEEZZNS1_33reduce_by_key_impl_wrapped_configILNS1_25lookback_scan_determinismE0ES3_S9_PiNS6_17constant_iteratorIiNS6_11use_defaultESE_EENS6_10device_ptrIiEENSG_IlEEPmS8_NS6_8equal_toIiEEEE10hipError_tPvRmT2_T3_mT4_T5_T6_T7_T8_P12ihipStream_tbENKUlT_T0_E_clISt17integral_constantIbLb0EES13_EEDaSY_SZ_EUlSY_E_NS1_11comp_targetILNS1_3genE4ELNS1_11target_archE910ELNS1_3gpuE8ELNS1_3repE0EEENS1_30default_config_static_selectorELNS0_4arch9wavefront6targetE1EEEvT1_ ; -- Begin function _ZN7rocprim17ROCPRIM_400000_NS6detail17trampoline_kernelINS0_14default_configENS1_29reduce_by_key_config_selectorIilN6thrust23THRUST_200600_302600_NS4plusIlEEEEZZNS1_33reduce_by_key_impl_wrapped_configILNS1_25lookback_scan_determinismE0ES3_S9_PiNS6_17constant_iteratorIiNS6_11use_defaultESE_EENS6_10device_ptrIiEENSG_IlEEPmS8_NS6_8equal_toIiEEEE10hipError_tPvRmT2_T3_mT4_T5_T6_T7_T8_P12ihipStream_tbENKUlT_T0_E_clISt17integral_constantIbLb0EES13_EEDaSY_SZ_EUlSY_E_NS1_11comp_targetILNS1_3genE4ELNS1_11target_archE910ELNS1_3gpuE8ELNS1_3repE0EEENS1_30default_config_static_selectorELNS0_4arch9wavefront6targetE1EEEvT1_
	.globl	_ZN7rocprim17ROCPRIM_400000_NS6detail17trampoline_kernelINS0_14default_configENS1_29reduce_by_key_config_selectorIilN6thrust23THRUST_200600_302600_NS4plusIlEEEEZZNS1_33reduce_by_key_impl_wrapped_configILNS1_25lookback_scan_determinismE0ES3_S9_PiNS6_17constant_iteratorIiNS6_11use_defaultESE_EENS6_10device_ptrIiEENSG_IlEEPmS8_NS6_8equal_toIiEEEE10hipError_tPvRmT2_T3_mT4_T5_T6_T7_T8_P12ihipStream_tbENKUlT_T0_E_clISt17integral_constantIbLb0EES13_EEDaSY_SZ_EUlSY_E_NS1_11comp_targetILNS1_3genE4ELNS1_11target_archE910ELNS1_3gpuE8ELNS1_3repE0EEENS1_30default_config_static_selectorELNS0_4arch9wavefront6targetE1EEEvT1_
	.p2align	8
	.type	_ZN7rocprim17ROCPRIM_400000_NS6detail17trampoline_kernelINS0_14default_configENS1_29reduce_by_key_config_selectorIilN6thrust23THRUST_200600_302600_NS4plusIlEEEEZZNS1_33reduce_by_key_impl_wrapped_configILNS1_25lookback_scan_determinismE0ES3_S9_PiNS6_17constant_iteratorIiNS6_11use_defaultESE_EENS6_10device_ptrIiEENSG_IlEEPmS8_NS6_8equal_toIiEEEE10hipError_tPvRmT2_T3_mT4_T5_T6_T7_T8_P12ihipStream_tbENKUlT_T0_E_clISt17integral_constantIbLb0EES13_EEDaSY_SZ_EUlSY_E_NS1_11comp_targetILNS1_3genE4ELNS1_11target_archE910ELNS1_3gpuE8ELNS1_3repE0EEENS1_30default_config_static_selectorELNS0_4arch9wavefront6targetE1EEEvT1_,@function
_ZN7rocprim17ROCPRIM_400000_NS6detail17trampoline_kernelINS0_14default_configENS1_29reduce_by_key_config_selectorIilN6thrust23THRUST_200600_302600_NS4plusIlEEEEZZNS1_33reduce_by_key_impl_wrapped_configILNS1_25lookback_scan_determinismE0ES3_S9_PiNS6_17constant_iteratorIiNS6_11use_defaultESE_EENS6_10device_ptrIiEENSG_IlEEPmS8_NS6_8equal_toIiEEEE10hipError_tPvRmT2_T3_mT4_T5_T6_T7_T8_P12ihipStream_tbENKUlT_T0_E_clISt17integral_constantIbLb0EES13_EEDaSY_SZ_EUlSY_E_NS1_11comp_targetILNS1_3genE4ELNS1_11target_archE910ELNS1_3gpuE8ELNS1_3repE0EEENS1_30default_config_static_selectorELNS0_4arch9wavefront6targetE1EEEvT1_: ; @_ZN7rocprim17ROCPRIM_400000_NS6detail17trampoline_kernelINS0_14default_configENS1_29reduce_by_key_config_selectorIilN6thrust23THRUST_200600_302600_NS4plusIlEEEEZZNS1_33reduce_by_key_impl_wrapped_configILNS1_25lookback_scan_determinismE0ES3_S9_PiNS6_17constant_iteratorIiNS6_11use_defaultESE_EENS6_10device_ptrIiEENSG_IlEEPmS8_NS6_8equal_toIiEEEE10hipError_tPvRmT2_T3_mT4_T5_T6_T7_T8_P12ihipStream_tbENKUlT_T0_E_clISt17integral_constantIbLb0EES13_EEDaSY_SZ_EUlSY_E_NS1_11comp_targetILNS1_3genE4ELNS1_11target_archE910ELNS1_3gpuE8ELNS1_3repE0EEENS1_30default_config_static_selectorELNS0_4arch9wavefront6targetE1EEEvT1_
; %bb.0:
	.section	.rodata,"a",@progbits
	.p2align	6, 0x0
	.amdhsa_kernel _ZN7rocprim17ROCPRIM_400000_NS6detail17trampoline_kernelINS0_14default_configENS1_29reduce_by_key_config_selectorIilN6thrust23THRUST_200600_302600_NS4plusIlEEEEZZNS1_33reduce_by_key_impl_wrapped_configILNS1_25lookback_scan_determinismE0ES3_S9_PiNS6_17constant_iteratorIiNS6_11use_defaultESE_EENS6_10device_ptrIiEENSG_IlEEPmS8_NS6_8equal_toIiEEEE10hipError_tPvRmT2_T3_mT4_T5_T6_T7_T8_P12ihipStream_tbENKUlT_T0_E_clISt17integral_constantIbLb0EES13_EEDaSY_SZ_EUlSY_E_NS1_11comp_targetILNS1_3genE4ELNS1_11target_archE910ELNS1_3gpuE8ELNS1_3repE0EEENS1_30default_config_static_selectorELNS0_4arch9wavefront6targetE1EEEvT1_
		.amdhsa_group_segment_fixed_size 0
		.amdhsa_private_segment_fixed_size 0
		.amdhsa_kernarg_size 144
		.amdhsa_user_sgpr_count 6
		.amdhsa_user_sgpr_private_segment_buffer 1
		.amdhsa_user_sgpr_dispatch_ptr 0
		.amdhsa_user_sgpr_queue_ptr 0
		.amdhsa_user_sgpr_kernarg_segment_ptr 1
		.amdhsa_user_sgpr_dispatch_id 0
		.amdhsa_user_sgpr_flat_scratch_init 0
		.amdhsa_user_sgpr_private_segment_size 0
		.amdhsa_uses_dynamic_stack 0
		.amdhsa_system_sgpr_private_segment_wavefront_offset 0
		.amdhsa_system_sgpr_workgroup_id_x 1
		.amdhsa_system_sgpr_workgroup_id_y 0
		.amdhsa_system_sgpr_workgroup_id_z 0
		.amdhsa_system_sgpr_workgroup_info 0
		.amdhsa_system_vgpr_workitem_id 0
		.amdhsa_next_free_vgpr 1
		.amdhsa_next_free_sgpr 0
		.amdhsa_reserve_vcc 0
		.amdhsa_reserve_flat_scratch 0
		.amdhsa_float_round_mode_32 0
		.amdhsa_float_round_mode_16_64 0
		.amdhsa_float_denorm_mode_32 3
		.amdhsa_float_denorm_mode_16_64 3
		.amdhsa_dx10_clamp 1
		.amdhsa_ieee_mode 1
		.amdhsa_fp16_overflow 0
		.amdhsa_exception_fp_ieee_invalid_op 0
		.amdhsa_exception_fp_denorm_src 0
		.amdhsa_exception_fp_ieee_div_zero 0
		.amdhsa_exception_fp_ieee_overflow 0
		.amdhsa_exception_fp_ieee_underflow 0
		.amdhsa_exception_fp_ieee_inexact 0
		.amdhsa_exception_int_div_zero 0
	.end_amdhsa_kernel
	.section	.text._ZN7rocprim17ROCPRIM_400000_NS6detail17trampoline_kernelINS0_14default_configENS1_29reduce_by_key_config_selectorIilN6thrust23THRUST_200600_302600_NS4plusIlEEEEZZNS1_33reduce_by_key_impl_wrapped_configILNS1_25lookback_scan_determinismE0ES3_S9_PiNS6_17constant_iteratorIiNS6_11use_defaultESE_EENS6_10device_ptrIiEENSG_IlEEPmS8_NS6_8equal_toIiEEEE10hipError_tPvRmT2_T3_mT4_T5_T6_T7_T8_P12ihipStream_tbENKUlT_T0_E_clISt17integral_constantIbLb0EES13_EEDaSY_SZ_EUlSY_E_NS1_11comp_targetILNS1_3genE4ELNS1_11target_archE910ELNS1_3gpuE8ELNS1_3repE0EEENS1_30default_config_static_selectorELNS0_4arch9wavefront6targetE1EEEvT1_,"axG",@progbits,_ZN7rocprim17ROCPRIM_400000_NS6detail17trampoline_kernelINS0_14default_configENS1_29reduce_by_key_config_selectorIilN6thrust23THRUST_200600_302600_NS4plusIlEEEEZZNS1_33reduce_by_key_impl_wrapped_configILNS1_25lookback_scan_determinismE0ES3_S9_PiNS6_17constant_iteratorIiNS6_11use_defaultESE_EENS6_10device_ptrIiEENSG_IlEEPmS8_NS6_8equal_toIiEEEE10hipError_tPvRmT2_T3_mT4_T5_T6_T7_T8_P12ihipStream_tbENKUlT_T0_E_clISt17integral_constantIbLb0EES13_EEDaSY_SZ_EUlSY_E_NS1_11comp_targetILNS1_3genE4ELNS1_11target_archE910ELNS1_3gpuE8ELNS1_3repE0EEENS1_30default_config_static_selectorELNS0_4arch9wavefront6targetE1EEEvT1_,comdat
.Lfunc_end940:
	.size	_ZN7rocprim17ROCPRIM_400000_NS6detail17trampoline_kernelINS0_14default_configENS1_29reduce_by_key_config_selectorIilN6thrust23THRUST_200600_302600_NS4plusIlEEEEZZNS1_33reduce_by_key_impl_wrapped_configILNS1_25lookback_scan_determinismE0ES3_S9_PiNS6_17constant_iteratorIiNS6_11use_defaultESE_EENS6_10device_ptrIiEENSG_IlEEPmS8_NS6_8equal_toIiEEEE10hipError_tPvRmT2_T3_mT4_T5_T6_T7_T8_P12ihipStream_tbENKUlT_T0_E_clISt17integral_constantIbLb0EES13_EEDaSY_SZ_EUlSY_E_NS1_11comp_targetILNS1_3genE4ELNS1_11target_archE910ELNS1_3gpuE8ELNS1_3repE0EEENS1_30default_config_static_selectorELNS0_4arch9wavefront6targetE1EEEvT1_, .Lfunc_end940-_ZN7rocprim17ROCPRIM_400000_NS6detail17trampoline_kernelINS0_14default_configENS1_29reduce_by_key_config_selectorIilN6thrust23THRUST_200600_302600_NS4plusIlEEEEZZNS1_33reduce_by_key_impl_wrapped_configILNS1_25lookback_scan_determinismE0ES3_S9_PiNS6_17constant_iteratorIiNS6_11use_defaultESE_EENS6_10device_ptrIiEENSG_IlEEPmS8_NS6_8equal_toIiEEEE10hipError_tPvRmT2_T3_mT4_T5_T6_T7_T8_P12ihipStream_tbENKUlT_T0_E_clISt17integral_constantIbLb0EES13_EEDaSY_SZ_EUlSY_E_NS1_11comp_targetILNS1_3genE4ELNS1_11target_archE910ELNS1_3gpuE8ELNS1_3repE0EEENS1_30default_config_static_selectorELNS0_4arch9wavefront6targetE1EEEvT1_
                                        ; -- End function
	.set _ZN7rocprim17ROCPRIM_400000_NS6detail17trampoline_kernelINS0_14default_configENS1_29reduce_by_key_config_selectorIilN6thrust23THRUST_200600_302600_NS4plusIlEEEEZZNS1_33reduce_by_key_impl_wrapped_configILNS1_25lookback_scan_determinismE0ES3_S9_PiNS6_17constant_iteratorIiNS6_11use_defaultESE_EENS6_10device_ptrIiEENSG_IlEEPmS8_NS6_8equal_toIiEEEE10hipError_tPvRmT2_T3_mT4_T5_T6_T7_T8_P12ihipStream_tbENKUlT_T0_E_clISt17integral_constantIbLb0EES13_EEDaSY_SZ_EUlSY_E_NS1_11comp_targetILNS1_3genE4ELNS1_11target_archE910ELNS1_3gpuE8ELNS1_3repE0EEENS1_30default_config_static_selectorELNS0_4arch9wavefront6targetE1EEEvT1_.num_vgpr, 0
	.set _ZN7rocprim17ROCPRIM_400000_NS6detail17trampoline_kernelINS0_14default_configENS1_29reduce_by_key_config_selectorIilN6thrust23THRUST_200600_302600_NS4plusIlEEEEZZNS1_33reduce_by_key_impl_wrapped_configILNS1_25lookback_scan_determinismE0ES3_S9_PiNS6_17constant_iteratorIiNS6_11use_defaultESE_EENS6_10device_ptrIiEENSG_IlEEPmS8_NS6_8equal_toIiEEEE10hipError_tPvRmT2_T3_mT4_T5_T6_T7_T8_P12ihipStream_tbENKUlT_T0_E_clISt17integral_constantIbLb0EES13_EEDaSY_SZ_EUlSY_E_NS1_11comp_targetILNS1_3genE4ELNS1_11target_archE910ELNS1_3gpuE8ELNS1_3repE0EEENS1_30default_config_static_selectorELNS0_4arch9wavefront6targetE1EEEvT1_.num_agpr, 0
	.set _ZN7rocprim17ROCPRIM_400000_NS6detail17trampoline_kernelINS0_14default_configENS1_29reduce_by_key_config_selectorIilN6thrust23THRUST_200600_302600_NS4plusIlEEEEZZNS1_33reduce_by_key_impl_wrapped_configILNS1_25lookback_scan_determinismE0ES3_S9_PiNS6_17constant_iteratorIiNS6_11use_defaultESE_EENS6_10device_ptrIiEENSG_IlEEPmS8_NS6_8equal_toIiEEEE10hipError_tPvRmT2_T3_mT4_T5_T6_T7_T8_P12ihipStream_tbENKUlT_T0_E_clISt17integral_constantIbLb0EES13_EEDaSY_SZ_EUlSY_E_NS1_11comp_targetILNS1_3genE4ELNS1_11target_archE910ELNS1_3gpuE8ELNS1_3repE0EEENS1_30default_config_static_selectorELNS0_4arch9wavefront6targetE1EEEvT1_.numbered_sgpr, 0
	.set _ZN7rocprim17ROCPRIM_400000_NS6detail17trampoline_kernelINS0_14default_configENS1_29reduce_by_key_config_selectorIilN6thrust23THRUST_200600_302600_NS4plusIlEEEEZZNS1_33reduce_by_key_impl_wrapped_configILNS1_25lookback_scan_determinismE0ES3_S9_PiNS6_17constant_iteratorIiNS6_11use_defaultESE_EENS6_10device_ptrIiEENSG_IlEEPmS8_NS6_8equal_toIiEEEE10hipError_tPvRmT2_T3_mT4_T5_T6_T7_T8_P12ihipStream_tbENKUlT_T0_E_clISt17integral_constantIbLb0EES13_EEDaSY_SZ_EUlSY_E_NS1_11comp_targetILNS1_3genE4ELNS1_11target_archE910ELNS1_3gpuE8ELNS1_3repE0EEENS1_30default_config_static_selectorELNS0_4arch9wavefront6targetE1EEEvT1_.num_named_barrier, 0
	.set _ZN7rocprim17ROCPRIM_400000_NS6detail17trampoline_kernelINS0_14default_configENS1_29reduce_by_key_config_selectorIilN6thrust23THRUST_200600_302600_NS4plusIlEEEEZZNS1_33reduce_by_key_impl_wrapped_configILNS1_25lookback_scan_determinismE0ES3_S9_PiNS6_17constant_iteratorIiNS6_11use_defaultESE_EENS6_10device_ptrIiEENSG_IlEEPmS8_NS6_8equal_toIiEEEE10hipError_tPvRmT2_T3_mT4_T5_T6_T7_T8_P12ihipStream_tbENKUlT_T0_E_clISt17integral_constantIbLb0EES13_EEDaSY_SZ_EUlSY_E_NS1_11comp_targetILNS1_3genE4ELNS1_11target_archE910ELNS1_3gpuE8ELNS1_3repE0EEENS1_30default_config_static_selectorELNS0_4arch9wavefront6targetE1EEEvT1_.private_seg_size, 0
	.set _ZN7rocprim17ROCPRIM_400000_NS6detail17trampoline_kernelINS0_14default_configENS1_29reduce_by_key_config_selectorIilN6thrust23THRUST_200600_302600_NS4plusIlEEEEZZNS1_33reduce_by_key_impl_wrapped_configILNS1_25lookback_scan_determinismE0ES3_S9_PiNS6_17constant_iteratorIiNS6_11use_defaultESE_EENS6_10device_ptrIiEENSG_IlEEPmS8_NS6_8equal_toIiEEEE10hipError_tPvRmT2_T3_mT4_T5_T6_T7_T8_P12ihipStream_tbENKUlT_T0_E_clISt17integral_constantIbLb0EES13_EEDaSY_SZ_EUlSY_E_NS1_11comp_targetILNS1_3genE4ELNS1_11target_archE910ELNS1_3gpuE8ELNS1_3repE0EEENS1_30default_config_static_selectorELNS0_4arch9wavefront6targetE1EEEvT1_.uses_vcc, 0
	.set _ZN7rocprim17ROCPRIM_400000_NS6detail17trampoline_kernelINS0_14default_configENS1_29reduce_by_key_config_selectorIilN6thrust23THRUST_200600_302600_NS4plusIlEEEEZZNS1_33reduce_by_key_impl_wrapped_configILNS1_25lookback_scan_determinismE0ES3_S9_PiNS6_17constant_iteratorIiNS6_11use_defaultESE_EENS6_10device_ptrIiEENSG_IlEEPmS8_NS6_8equal_toIiEEEE10hipError_tPvRmT2_T3_mT4_T5_T6_T7_T8_P12ihipStream_tbENKUlT_T0_E_clISt17integral_constantIbLb0EES13_EEDaSY_SZ_EUlSY_E_NS1_11comp_targetILNS1_3genE4ELNS1_11target_archE910ELNS1_3gpuE8ELNS1_3repE0EEENS1_30default_config_static_selectorELNS0_4arch9wavefront6targetE1EEEvT1_.uses_flat_scratch, 0
	.set _ZN7rocprim17ROCPRIM_400000_NS6detail17trampoline_kernelINS0_14default_configENS1_29reduce_by_key_config_selectorIilN6thrust23THRUST_200600_302600_NS4plusIlEEEEZZNS1_33reduce_by_key_impl_wrapped_configILNS1_25lookback_scan_determinismE0ES3_S9_PiNS6_17constant_iteratorIiNS6_11use_defaultESE_EENS6_10device_ptrIiEENSG_IlEEPmS8_NS6_8equal_toIiEEEE10hipError_tPvRmT2_T3_mT4_T5_T6_T7_T8_P12ihipStream_tbENKUlT_T0_E_clISt17integral_constantIbLb0EES13_EEDaSY_SZ_EUlSY_E_NS1_11comp_targetILNS1_3genE4ELNS1_11target_archE910ELNS1_3gpuE8ELNS1_3repE0EEENS1_30default_config_static_selectorELNS0_4arch9wavefront6targetE1EEEvT1_.has_dyn_sized_stack, 0
	.set _ZN7rocprim17ROCPRIM_400000_NS6detail17trampoline_kernelINS0_14default_configENS1_29reduce_by_key_config_selectorIilN6thrust23THRUST_200600_302600_NS4plusIlEEEEZZNS1_33reduce_by_key_impl_wrapped_configILNS1_25lookback_scan_determinismE0ES3_S9_PiNS6_17constant_iteratorIiNS6_11use_defaultESE_EENS6_10device_ptrIiEENSG_IlEEPmS8_NS6_8equal_toIiEEEE10hipError_tPvRmT2_T3_mT4_T5_T6_T7_T8_P12ihipStream_tbENKUlT_T0_E_clISt17integral_constantIbLb0EES13_EEDaSY_SZ_EUlSY_E_NS1_11comp_targetILNS1_3genE4ELNS1_11target_archE910ELNS1_3gpuE8ELNS1_3repE0EEENS1_30default_config_static_selectorELNS0_4arch9wavefront6targetE1EEEvT1_.has_recursion, 0
	.set _ZN7rocprim17ROCPRIM_400000_NS6detail17trampoline_kernelINS0_14default_configENS1_29reduce_by_key_config_selectorIilN6thrust23THRUST_200600_302600_NS4plusIlEEEEZZNS1_33reduce_by_key_impl_wrapped_configILNS1_25lookback_scan_determinismE0ES3_S9_PiNS6_17constant_iteratorIiNS6_11use_defaultESE_EENS6_10device_ptrIiEENSG_IlEEPmS8_NS6_8equal_toIiEEEE10hipError_tPvRmT2_T3_mT4_T5_T6_T7_T8_P12ihipStream_tbENKUlT_T0_E_clISt17integral_constantIbLb0EES13_EEDaSY_SZ_EUlSY_E_NS1_11comp_targetILNS1_3genE4ELNS1_11target_archE910ELNS1_3gpuE8ELNS1_3repE0EEENS1_30default_config_static_selectorELNS0_4arch9wavefront6targetE1EEEvT1_.has_indirect_call, 0
	.section	.AMDGPU.csdata,"",@progbits
; Kernel info:
; codeLenInByte = 0
; TotalNumSgprs: 4
; NumVgprs: 0
; ScratchSize: 0
; MemoryBound: 0
; FloatMode: 240
; IeeeMode: 1
; LDSByteSize: 0 bytes/workgroup (compile time only)
; SGPRBlocks: 0
; VGPRBlocks: 0
; NumSGPRsForWavesPerEU: 4
; NumVGPRsForWavesPerEU: 1
; Occupancy: 10
; WaveLimiterHint : 0
; COMPUTE_PGM_RSRC2:SCRATCH_EN: 0
; COMPUTE_PGM_RSRC2:USER_SGPR: 6
; COMPUTE_PGM_RSRC2:TRAP_HANDLER: 0
; COMPUTE_PGM_RSRC2:TGID_X_EN: 1
; COMPUTE_PGM_RSRC2:TGID_Y_EN: 0
; COMPUTE_PGM_RSRC2:TGID_Z_EN: 0
; COMPUTE_PGM_RSRC2:TIDIG_COMP_CNT: 0
	.section	.text._ZN7rocprim17ROCPRIM_400000_NS6detail17trampoline_kernelINS0_14default_configENS1_29reduce_by_key_config_selectorIilN6thrust23THRUST_200600_302600_NS4plusIlEEEEZZNS1_33reduce_by_key_impl_wrapped_configILNS1_25lookback_scan_determinismE0ES3_S9_PiNS6_17constant_iteratorIiNS6_11use_defaultESE_EENS6_10device_ptrIiEENSG_IlEEPmS8_NS6_8equal_toIiEEEE10hipError_tPvRmT2_T3_mT4_T5_T6_T7_T8_P12ihipStream_tbENKUlT_T0_E_clISt17integral_constantIbLb0EES13_EEDaSY_SZ_EUlSY_E_NS1_11comp_targetILNS1_3genE3ELNS1_11target_archE908ELNS1_3gpuE7ELNS1_3repE0EEENS1_30default_config_static_selectorELNS0_4arch9wavefront6targetE1EEEvT1_,"axG",@progbits,_ZN7rocprim17ROCPRIM_400000_NS6detail17trampoline_kernelINS0_14default_configENS1_29reduce_by_key_config_selectorIilN6thrust23THRUST_200600_302600_NS4plusIlEEEEZZNS1_33reduce_by_key_impl_wrapped_configILNS1_25lookback_scan_determinismE0ES3_S9_PiNS6_17constant_iteratorIiNS6_11use_defaultESE_EENS6_10device_ptrIiEENSG_IlEEPmS8_NS6_8equal_toIiEEEE10hipError_tPvRmT2_T3_mT4_T5_T6_T7_T8_P12ihipStream_tbENKUlT_T0_E_clISt17integral_constantIbLb0EES13_EEDaSY_SZ_EUlSY_E_NS1_11comp_targetILNS1_3genE3ELNS1_11target_archE908ELNS1_3gpuE7ELNS1_3repE0EEENS1_30default_config_static_selectorELNS0_4arch9wavefront6targetE1EEEvT1_,comdat
	.protected	_ZN7rocprim17ROCPRIM_400000_NS6detail17trampoline_kernelINS0_14default_configENS1_29reduce_by_key_config_selectorIilN6thrust23THRUST_200600_302600_NS4plusIlEEEEZZNS1_33reduce_by_key_impl_wrapped_configILNS1_25lookback_scan_determinismE0ES3_S9_PiNS6_17constant_iteratorIiNS6_11use_defaultESE_EENS6_10device_ptrIiEENSG_IlEEPmS8_NS6_8equal_toIiEEEE10hipError_tPvRmT2_T3_mT4_T5_T6_T7_T8_P12ihipStream_tbENKUlT_T0_E_clISt17integral_constantIbLb0EES13_EEDaSY_SZ_EUlSY_E_NS1_11comp_targetILNS1_3genE3ELNS1_11target_archE908ELNS1_3gpuE7ELNS1_3repE0EEENS1_30default_config_static_selectorELNS0_4arch9wavefront6targetE1EEEvT1_ ; -- Begin function _ZN7rocprim17ROCPRIM_400000_NS6detail17trampoline_kernelINS0_14default_configENS1_29reduce_by_key_config_selectorIilN6thrust23THRUST_200600_302600_NS4plusIlEEEEZZNS1_33reduce_by_key_impl_wrapped_configILNS1_25lookback_scan_determinismE0ES3_S9_PiNS6_17constant_iteratorIiNS6_11use_defaultESE_EENS6_10device_ptrIiEENSG_IlEEPmS8_NS6_8equal_toIiEEEE10hipError_tPvRmT2_T3_mT4_T5_T6_T7_T8_P12ihipStream_tbENKUlT_T0_E_clISt17integral_constantIbLb0EES13_EEDaSY_SZ_EUlSY_E_NS1_11comp_targetILNS1_3genE3ELNS1_11target_archE908ELNS1_3gpuE7ELNS1_3repE0EEENS1_30default_config_static_selectorELNS0_4arch9wavefront6targetE1EEEvT1_
	.globl	_ZN7rocprim17ROCPRIM_400000_NS6detail17trampoline_kernelINS0_14default_configENS1_29reduce_by_key_config_selectorIilN6thrust23THRUST_200600_302600_NS4plusIlEEEEZZNS1_33reduce_by_key_impl_wrapped_configILNS1_25lookback_scan_determinismE0ES3_S9_PiNS6_17constant_iteratorIiNS6_11use_defaultESE_EENS6_10device_ptrIiEENSG_IlEEPmS8_NS6_8equal_toIiEEEE10hipError_tPvRmT2_T3_mT4_T5_T6_T7_T8_P12ihipStream_tbENKUlT_T0_E_clISt17integral_constantIbLb0EES13_EEDaSY_SZ_EUlSY_E_NS1_11comp_targetILNS1_3genE3ELNS1_11target_archE908ELNS1_3gpuE7ELNS1_3repE0EEENS1_30default_config_static_selectorELNS0_4arch9wavefront6targetE1EEEvT1_
	.p2align	8
	.type	_ZN7rocprim17ROCPRIM_400000_NS6detail17trampoline_kernelINS0_14default_configENS1_29reduce_by_key_config_selectorIilN6thrust23THRUST_200600_302600_NS4plusIlEEEEZZNS1_33reduce_by_key_impl_wrapped_configILNS1_25lookback_scan_determinismE0ES3_S9_PiNS6_17constant_iteratorIiNS6_11use_defaultESE_EENS6_10device_ptrIiEENSG_IlEEPmS8_NS6_8equal_toIiEEEE10hipError_tPvRmT2_T3_mT4_T5_T6_T7_T8_P12ihipStream_tbENKUlT_T0_E_clISt17integral_constantIbLb0EES13_EEDaSY_SZ_EUlSY_E_NS1_11comp_targetILNS1_3genE3ELNS1_11target_archE908ELNS1_3gpuE7ELNS1_3repE0EEENS1_30default_config_static_selectorELNS0_4arch9wavefront6targetE1EEEvT1_,@function
_ZN7rocprim17ROCPRIM_400000_NS6detail17trampoline_kernelINS0_14default_configENS1_29reduce_by_key_config_selectorIilN6thrust23THRUST_200600_302600_NS4plusIlEEEEZZNS1_33reduce_by_key_impl_wrapped_configILNS1_25lookback_scan_determinismE0ES3_S9_PiNS6_17constant_iteratorIiNS6_11use_defaultESE_EENS6_10device_ptrIiEENSG_IlEEPmS8_NS6_8equal_toIiEEEE10hipError_tPvRmT2_T3_mT4_T5_T6_T7_T8_P12ihipStream_tbENKUlT_T0_E_clISt17integral_constantIbLb0EES13_EEDaSY_SZ_EUlSY_E_NS1_11comp_targetILNS1_3genE3ELNS1_11target_archE908ELNS1_3gpuE7ELNS1_3repE0EEENS1_30default_config_static_selectorELNS0_4arch9wavefront6targetE1EEEvT1_: ; @_ZN7rocprim17ROCPRIM_400000_NS6detail17trampoline_kernelINS0_14default_configENS1_29reduce_by_key_config_selectorIilN6thrust23THRUST_200600_302600_NS4plusIlEEEEZZNS1_33reduce_by_key_impl_wrapped_configILNS1_25lookback_scan_determinismE0ES3_S9_PiNS6_17constant_iteratorIiNS6_11use_defaultESE_EENS6_10device_ptrIiEENSG_IlEEPmS8_NS6_8equal_toIiEEEE10hipError_tPvRmT2_T3_mT4_T5_T6_T7_T8_P12ihipStream_tbENKUlT_T0_E_clISt17integral_constantIbLb0EES13_EEDaSY_SZ_EUlSY_E_NS1_11comp_targetILNS1_3genE3ELNS1_11target_archE908ELNS1_3gpuE7ELNS1_3repE0EEENS1_30default_config_static_selectorELNS0_4arch9wavefront6targetE1EEEvT1_
; %bb.0:
	.section	.rodata,"a",@progbits
	.p2align	6, 0x0
	.amdhsa_kernel _ZN7rocprim17ROCPRIM_400000_NS6detail17trampoline_kernelINS0_14default_configENS1_29reduce_by_key_config_selectorIilN6thrust23THRUST_200600_302600_NS4plusIlEEEEZZNS1_33reduce_by_key_impl_wrapped_configILNS1_25lookback_scan_determinismE0ES3_S9_PiNS6_17constant_iteratorIiNS6_11use_defaultESE_EENS6_10device_ptrIiEENSG_IlEEPmS8_NS6_8equal_toIiEEEE10hipError_tPvRmT2_T3_mT4_T5_T6_T7_T8_P12ihipStream_tbENKUlT_T0_E_clISt17integral_constantIbLb0EES13_EEDaSY_SZ_EUlSY_E_NS1_11comp_targetILNS1_3genE3ELNS1_11target_archE908ELNS1_3gpuE7ELNS1_3repE0EEENS1_30default_config_static_selectorELNS0_4arch9wavefront6targetE1EEEvT1_
		.amdhsa_group_segment_fixed_size 0
		.amdhsa_private_segment_fixed_size 0
		.amdhsa_kernarg_size 144
		.amdhsa_user_sgpr_count 6
		.amdhsa_user_sgpr_private_segment_buffer 1
		.amdhsa_user_sgpr_dispatch_ptr 0
		.amdhsa_user_sgpr_queue_ptr 0
		.amdhsa_user_sgpr_kernarg_segment_ptr 1
		.amdhsa_user_sgpr_dispatch_id 0
		.amdhsa_user_sgpr_flat_scratch_init 0
		.amdhsa_user_sgpr_private_segment_size 0
		.amdhsa_uses_dynamic_stack 0
		.amdhsa_system_sgpr_private_segment_wavefront_offset 0
		.amdhsa_system_sgpr_workgroup_id_x 1
		.amdhsa_system_sgpr_workgroup_id_y 0
		.amdhsa_system_sgpr_workgroup_id_z 0
		.amdhsa_system_sgpr_workgroup_info 0
		.amdhsa_system_vgpr_workitem_id 0
		.amdhsa_next_free_vgpr 1
		.amdhsa_next_free_sgpr 0
		.amdhsa_reserve_vcc 0
		.amdhsa_reserve_flat_scratch 0
		.amdhsa_float_round_mode_32 0
		.amdhsa_float_round_mode_16_64 0
		.amdhsa_float_denorm_mode_32 3
		.amdhsa_float_denorm_mode_16_64 3
		.amdhsa_dx10_clamp 1
		.amdhsa_ieee_mode 1
		.amdhsa_fp16_overflow 0
		.amdhsa_exception_fp_ieee_invalid_op 0
		.amdhsa_exception_fp_denorm_src 0
		.amdhsa_exception_fp_ieee_div_zero 0
		.amdhsa_exception_fp_ieee_overflow 0
		.amdhsa_exception_fp_ieee_underflow 0
		.amdhsa_exception_fp_ieee_inexact 0
		.amdhsa_exception_int_div_zero 0
	.end_amdhsa_kernel
	.section	.text._ZN7rocprim17ROCPRIM_400000_NS6detail17trampoline_kernelINS0_14default_configENS1_29reduce_by_key_config_selectorIilN6thrust23THRUST_200600_302600_NS4plusIlEEEEZZNS1_33reduce_by_key_impl_wrapped_configILNS1_25lookback_scan_determinismE0ES3_S9_PiNS6_17constant_iteratorIiNS6_11use_defaultESE_EENS6_10device_ptrIiEENSG_IlEEPmS8_NS6_8equal_toIiEEEE10hipError_tPvRmT2_T3_mT4_T5_T6_T7_T8_P12ihipStream_tbENKUlT_T0_E_clISt17integral_constantIbLb0EES13_EEDaSY_SZ_EUlSY_E_NS1_11comp_targetILNS1_3genE3ELNS1_11target_archE908ELNS1_3gpuE7ELNS1_3repE0EEENS1_30default_config_static_selectorELNS0_4arch9wavefront6targetE1EEEvT1_,"axG",@progbits,_ZN7rocprim17ROCPRIM_400000_NS6detail17trampoline_kernelINS0_14default_configENS1_29reduce_by_key_config_selectorIilN6thrust23THRUST_200600_302600_NS4plusIlEEEEZZNS1_33reduce_by_key_impl_wrapped_configILNS1_25lookback_scan_determinismE0ES3_S9_PiNS6_17constant_iteratorIiNS6_11use_defaultESE_EENS6_10device_ptrIiEENSG_IlEEPmS8_NS6_8equal_toIiEEEE10hipError_tPvRmT2_T3_mT4_T5_T6_T7_T8_P12ihipStream_tbENKUlT_T0_E_clISt17integral_constantIbLb0EES13_EEDaSY_SZ_EUlSY_E_NS1_11comp_targetILNS1_3genE3ELNS1_11target_archE908ELNS1_3gpuE7ELNS1_3repE0EEENS1_30default_config_static_selectorELNS0_4arch9wavefront6targetE1EEEvT1_,comdat
.Lfunc_end941:
	.size	_ZN7rocprim17ROCPRIM_400000_NS6detail17trampoline_kernelINS0_14default_configENS1_29reduce_by_key_config_selectorIilN6thrust23THRUST_200600_302600_NS4plusIlEEEEZZNS1_33reduce_by_key_impl_wrapped_configILNS1_25lookback_scan_determinismE0ES3_S9_PiNS6_17constant_iteratorIiNS6_11use_defaultESE_EENS6_10device_ptrIiEENSG_IlEEPmS8_NS6_8equal_toIiEEEE10hipError_tPvRmT2_T3_mT4_T5_T6_T7_T8_P12ihipStream_tbENKUlT_T0_E_clISt17integral_constantIbLb0EES13_EEDaSY_SZ_EUlSY_E_NS1_11comp_targetILNS1_3genE3ELNS1_11target_archE908ELNS1_3gpuE7ELNS1_3repE0EEENS1_30default_config_static_selectorELNS0_4arch9wavefront6targetE1EEEvT1_, .Lfunc_end941-_ZN7rocprim17ROCPRIM_400000_NS6detail17trampoline_kernelINS0_14default_configENS1_29reduce_by_key_config_selectorIilN6thrust23THRUST_200600_302600_NS4plusIlEEEEZZNS1_33reduce_by_key_impl_wrapped_configILNS1_25lookback_scan_determinismE0ES3_S9_PiNS6_17constant_iteratorIiNS6_11use_defaultESE_EENS6_10device_ptrIiEENSG_IlEEPmS8_NS6_8equal_toIiEEEE10hipError_tPvRmT2_T3_mT4_T5_T6_T7_T8_P12ihipStream_tbENKUlT_T0_E_clISt17integral_constantIbLb0EES13_EEDaSY_SZ_EUlSY_E_NS1_11comp_targetILNS1_3genE3ELNS1_11target_archE908ELNS1_3gpuE7ELNS1_3repE0EEENS1_30default_config_static_selectorELNS0_4arch9wavefront6targetE1EEEvT1_
                                        ; -- End function
	.set _ZN7rocprim17ROCPRIM_400000_NS6detail17trampoline_kernelINS0_14default_configENS1_29reduce_by_key_config_selectorIilN6thrust23THRUST_200600_302600_NS4plusIlEEEEZZNS1_33reduce_by_key_impl_wrapped_configILNS1_25lookback_scan_determinismE0ES3_S9_PiNS6_17constant_iteratorIiNS6_11use_defaultESE_EENS6_10device_ptrIiEENSG_IlEEPmS8_NS6_8equal_toIiEEEE10hipError_tPvRmT2_T3_mT4_T5_T6_T7_T8_P12ihipStream_tbENKUlT_T0_E_clISt17integral_constantIbLb0EES13_EEDaSY_SZ_EUlSY_E_NS1_11comp_targetILNS1_3genE3ELNS1_11target_archE908ELNS1_3gpuE7ELNS1_3repE0EEENS1_30default_config_static_selectorELNS0_4arch9wavefront6targetE1EEEvT1_.num_vgpr, 0
	.set _ZN7rocprim17ROCPRIM_400000_NS6detail17trampoline_kernelINS0_14default_configENS1_29reduce_by_key_config_selectorIilN6thrust23THRUST_200600_302600_NS4plusIlEEEEZZNS1_33reduce_by_key_impl_wrapped_configILNS1_25lookback_scan_determinismE0ES3_S9_PiNS6_17constant_iteratorIiNS6_11use_defaultESE_EENS6_10device_ptrIiEENSG_IlEEPmS8_NS6_8equal_toIiEEEE10hipError_tPvRmT2_T3_mT4_T5_T6_T7_T8_P12ihipStream_tbENKUlT_T0_E_clISt17integral_constantIbLb0EES13_EEDaSY_SZ_EUlSY_E_NS1_11comp_targetILNS1_3genE3ELNS1_11target_archE908ELNS1_3gpuE7ELNS1_3repE0EEENS1_30default_config_static_selectorELNS0_4arch9wavefront6targetE1EEEvT1_.num_agpr, 0
	.set _ZN7rocprim17ROCPRIM_400000_NS6detail17trampoline_kernelINS0_14default_configENS1_29reduce_by_key_config_selectorIilN6thrust23THRUST_200600_302600_NS4plusIlEEEEZZNS1_33reduce_by_key_impl_wrapped_configILNS1_25lookback_scan_determinismE0ES3_S9_PiNS6_17constant_iteratorIiNS6_11use_defaultESE_EENS6_10device_ptrIiEENSG_IlEEPmS8_NS6_8equal_toIiEEEE10hipError_tPvRmT2_T3_mT4_T5_T6_T7_T8_P12ihipStream_tbENKUlT_T0_E_clISt17integral_constantIbLb0EES13_EEDaSY_SZ_EUlSY_E_NS1_11comp_targetILNS1_3genE3ELNS1_11target_archE908ELNS1_3gpuE7ELNS1_3repE0EEENS1_30default_config_static_selectorELNS0_4arch9wavefront6targetE1EEEvT1_.numbered_sgpr, 0
	.set _ZN7rocprim17ROCPRIM_400000_NS6detail17trampoline_kernelINS0_14default_configENS1_29reduce_by_key_config_selectorIilN6thrust23THRUST_200600_302600_NS4plusIlEEEEZZNS1_33reduce_by_key_impl_wrapped_configILNS1_25lookback_scan_determinismE0ES3_S9_PiNS6_17constant_iteratorIiNS6_11use_defaultESE_EENS6_10device_ptrIiEENSG_IlEEPmS8_NS6_8equal_toIiEEEE10hipError_tPvRmT2_T3_mT4_T5_T6_T7_T8_P12ihipStream_tbENKUlT_T0_E_clISt17integral_constantIbLb0EES13_EEDaSY_SZ_EUlSY_E_NS1_11comp_targetILNS1_3genE3ELNS1_11target_archE908ELNS1_3gpuE7ELNS1_3repE0EEENS1_30default_config_static_selectorELNS0_4arch9wavefront6targetE1EEEvT1_.num_named_barrier, 0
	.set _ZN7rocprim17ROCPRIM_400000_NS6detail17trampoline_kernelINS0_14default_configENS1_29reduce_by_key_config_selectorIilN6thrust23THRUST_200600_302600_NS4plusIlEEEEZZNS1_33reduce_by_key_impl_wrapped_configILNS1_25lookback_scan_determinismE0ES3_S9_PiNS6_17constant_iteratorIiNS6_11use_defaultESE_EENS6_10device_ptrIiEENSG_IlEEPmS8_NS6_8equal_toIiEEEE10hipError_tPvRmT2_T3_mT4_T5_T6_T7_T8_P12ihipStream_tbENKUlT_T0_E_clISt17integral_constantIbLb0EES13_EEDaSY_SZ_EUlSY_E_NS1_11comp_targetILNS1_3genE3ELNS1_11target_archE908ELNS1_3gpuE7ELNS1_3repE0EEENS1_30default_config_static_selectorELNS0_4arch9wavefront6targetE1EEEvT1_.private_seg_size, 0
	.set _ZN7rocprim17ROCPRIM_400000_NS6detail17trampoline_kernelINS0_14default_configENS1_29reduce_by_key_config_selectorIilN6thrust23THRUST_200600_302600_NS4plusIlEEEEZZNS1_33reduce_by_key_impl_wrapped_configILNS1_25lookback_scan_determinismE0ES3_S9_PiNS6_17constant_iteratorIiNS6_11use_defaultESE_EENS6_10device_ptrIiEENSG_IlEEPmS8_NS6_8equal_toIiEEEE10hipError_tPvRmT2_T3_mT4_T5_T6_T7_T8_P12ihipStream_tbENKUlT_T0_E_clISt17integral_constantIbLb0EES13_EEDaSY_SZ_EUlSY_E_NS1_11comp_targetILNS1_3genE3ELNS1_11target_archE908ELNS1_3gpuE7ELNS1_3repE0EEENS1_30default_config_static_selectorELNS0_4arch9wavefront6targetE1EEEvT1_.uses_vcc, 0
	.set _ZN7rocprim17ROCPRIM_400000_NS6detail17trampoline_kernelINS0_14default_configENS1_29reduce_by_key_config_selectorIilN6thrust23THRUST_200600_302600_NS4plusIlEEEEZZNS1_33reduce_by_key_impl_wrapped_configILNS1_25lookback_scan_determinismE0ES3_S9_PiNS6_17constant_iteratorIiNS6_11use_defaultESE_EENS6_10device_ptrIiEENSG_IlEEPmS8_NS6_8equal_toIiEEEE10hipError_tPvRmT2_T3_mT4_T5_T6_T7_T8_P12ihipStream_tbENKUlT_T0_E_clISt17integral_constantIbLb0EES13_EEDaSY_SZ_EUlSY_E_NS1_11comp_targetILNS1_3genE3ELNS1_11target_archE908ELNS1_3gpuE7ELNS1_3repE0EEENS1_30default_config_static_selectorELNS0_4arch9wavefront6targetE1EEEvT1_.uses_flat_scratch, 0
	.set _ZN7rocprim17ROCPRIM_400000_NS6detail17trampoline_kernelINS0_14default_configENS1_29reduce_by_key_config_selectorIilN6thrust23THRUST_200600_302600_NS4plusIlEEEEZZNS1_33reduce_by_key_impl_wrapped_configILNS1_25lookback_scan_determinismE0ES3_S9_PiNS6_17constant_iteratorIiNS6_11use_defaultESE_EENS6_10device_ptrIiEENSG_IlEEPmS8_NS6_8equal_toIiEEEE10hipError_tPvRmT2_T3_mT4_T5_T6_T7_T8_P12ihipStream_tbENKUlT_T0_E_clISt17integral_constantIbLb0EES13_EEDaSY_SZ_EUlSY_E_NS1_11comp_targetILNS1_3genE3ELNS1_11target_archE908ELNS1_3gpuE7ELNS1_3repE0EEENS1_30default_config_static_selectorELNS0_4arch9wavefront6targetE1EEEvT1_.has_dyn_sized_stack, 0
	.set _ZN7rocprim17ROCPRIM_400000_NS6detail17trampoline_kernelINS0_14default_configENS1_29reduce_by_key_config_selectorIilN6thrust23THRUST_200600_302600_NS4plusIlEEEEZZNS1_33reduce_by_key_impl_wrapped_configILNS1_25lookback_scan_determinismE0ES3_S9_PiNS6_17constant_iteratorIiNS6_11use_defaultESE_EENS6_10device_ptrIiEENSG_IlEEPmS8_NS6_8equal_toIiEEEE10hipError_tPvRmT2_T3_mT4_T5_T6_T7_T8_P12ihipStream_tbENKUlT_T0_E_clISt17integral_constantIbLb0EES13_EEDaSY_SZ_EUlSY_E_NS1_11comp_targetILNS1_3genE3ELNS1_11target_archE908ELNS1_3gpuE7ELNS1_3repE0EEENS1_30default_config_static_selectorELNS0_4arch9wavefront6targetE1EEEvT1_.has_recursion, 0
	.set _ZN7rocprim17ROCPRIM_400000_NS6detail17trampoline_kernelINS0_14default_configENS1_29reduce_by_key_config_selectorIilN6thrust23THRUST_200600_302600_NS4plusIlEEEEZZNS1_33reduce_by_key_impl_wrapped_configILNS1_25lookback_scan_determinismE0ES3_S9_PiNS6_17constant_iteratorIiNS6_11use_defaultESE_EENS6_10device_ptrIiEENSG_IlEEPmS8_NS6_8equal_toIiEEEE10hipError_tPvRmT2_T3_mT4_T5_T6_T7_T8_P12ihipStream_tbENKUlT_T0_E_clISt17integral_constantIbLb0EES13_EEDaSY_SZ_EUlSY_E_NS1_11comp_targetILNS1_3genE3ELNS1_11target_archE908ELNS1_3gpuE7ELNS1_3repE0EEENS1_30default_config_static_selectorELNS0_4arch9wavefront6targetE1EEEvT1_.has_indirect_call, 0
	.section	.AMDGPU.csdata,"",@progbits
; Kernel info:
; codeLenInByte = 0
; TotalNumSgprs: 4
; NumVgprs: 0
; ScratchSize: 0
; MemoryBound: 0
; FloatMode: 240
; IeeeMode: 1
; LDSByteSize: 0 bytes/workgroup (compile time only)
; SGPRBlocks: 0
; VGPRBlocks: 0
; NumSGPRsForWavesPerEU: 4
; NumVGPRsForWavesPerEU: 1
; Occupancy: 10
; WaveLimiterHint : 0
; COMPUTE_PGM_RSRC2:SCRATCH_EN: 0
; COMPUTE_PGM_RSRC2:USER_SGPR: 6
; COMPUTE_PGM_RSRC2:TRAP_HANDLER: 0
; COMPUTE_PGM_RSRC2:TGID_X_EN: 1
; COMPUTE_PGM_RSRC2:TGID_Y_EN: 0
; COMPUTE_PGM_RSRC2:TGID_Z_EN: 0
; COMPUTE_PGM_RSRC2:TIDIG_COMP_CNT: 0
	.section	.text._ZN7rocprim17ROCPRIM_400000_NS6detail17trampoline_kernelINS0_14default_configENS1_29reduce_by_key_config_selectorIilN6thrust23THRUST_200600_302600_NS4plusIlEEEEZZNS1_33reduce_by_key_impl_wrapped_configILNS1_25lookback_scan_determinismE0ES3_S9_PiNS6_17constant_iteratorIiNS6_11use_defaultESE_EENS6_10device_ptrIiEENSG_IlEEPmS8_NS6_8equal_toIiEEEE10hipError_tPvRmT2_T3_mT4_T5_T6_T7_T8_P12ihipStream_tbENKUlT_T0_E_clISt17integral_constantIbLb0EES13_EEDaSY_SZ_EUlSY_E_NS1_11comp_targetILNS1_3genE2ELNS1_11target_archE906ELNS1_3gpuE6ELNS1_3repE0EEENS1_30default_config_static_selectorELNS0_4arch9wavefront6targetE1EEEvT1_,"axG",@progbits,_ZN7rocprim17ROCPRIM_400000_NS6detail17trampoline_kernelINS0_14default_configENS1_29reduce_by_key_config_selectorIilN6thrust23THRUST_200600_302600_NS4plusIlEEEEZZNS1_33reduce_by_key_impl_wrapped_configILNS1_25lookback_scan_determinismE0ES3_S9_PiNS6_17constant_iteratorIiNS6_11use_defaultESE_EENS6_10device_ptrIiEENSG_IlEEPmS8_NS6_8equal_toIiEEEE10hipError_tPvRmT2_T3_mT4_T5_T6_T7_T8_P12ihipStream_tbENKUlT_T0_E_clISt17integral_constantIbLb0EES13_EEDaSY_SZ_EUlSY_E_NS1_11comp_targetILNS1_3genE2ELNS1_11target_archE906ELNS1_3gpuE6ELNS1_3repE0EEENS1_30default_config_static_selectorELNS0_4arch9wavefront6targetE1EEEvT1_,comdat
	.protected	_ZN7rocprim17ROCPRIM_400000_NS6detail17trampoline_kernelINS0_14default_configENS1_29reduce_by_key_config_selectorIilN6thrust23THRUST_200600_302600_NS4plusIlEEEEZZNS1_33reduce_by_key_impl_wrapped_configILNS1_25lookback_scan_determinismE0ES3_S9_PiNS6_17constant_iteratorIiNS6_11use_defaultESE_EENS6_10device_ptrIiEENSG_IlEEPmS8_NS6_8equal_toIiEEEE10hipError_tPvRmT2_T3_mT4_T5_T6_T7_T8_P12ihipStream_tbENKUlT_T0_E_clISt17integral_constantIbLb0EES13_EEDaSY_SZ_EUlSY_E_NS1_11comp_targetILNS1_3genE2ELNS1_11target_archE906ELNS1_3gpuE6ELNS1_3repE0EEENS1_30default_config_static_selectorELNS0_4arch9wavefront6targetE1EEEvT1_ ; -- Begin function _ZN7rocprim17ROCPRIM_400000_NS6detail17trampoline_kernelINS0_14default_configENS1_29reduce_by_key_config_selectorIilN6thrust23THRUST_200600_302600_NS4plusIlEEEEZZNS1_33reduce_by_key_impl_wrapped_configILNS1_25lookback_scan_determinismE0ES3_S9_PiNS6_17constant_iteratorIiNS6_11use_defaultESE_EENS6_10device_ptrIiEENSG_IlEEPmS8_NS6_8equal_toIiEEEE10hipError_tPvRmT2_T3_mT4_T5_T6_T7_T8_P12ihipStream_tbENKUlT_T0_E_clISt17integral_constantIbLb0EES13_EEDaSY_SZ_EUlSY_E_NS1_11comp_targetILNS1_3genE2ELNS1_11target_archE906ELNS1_3gpuE6ELNS1_3repE0EEENS1_30default_config_static_selectorELNS0_4arch9wavefront6targetE1EEEvT1_
	.globl	_ZN7rocprim17ROCPRIM_400000_NS6detail17trampoline_kernelINS0_14default_configENS1_29reduce_by_key_config_selectorIilN6thrust23THRUST_200600_302600_NS4plusIlEEEEZZNS1_33reduce_by_key_impl_wrapped_configILNS1_25lookback_scan_determinismE0ES3_S9_PiNS6_17constant_iteratorIiNS6_11use_defaultESE_EENS6_10device_ptrIiEENSG_IlEEPmS8_NS6_8equal_toIiEEEE10hipError_tPvRmT2_T3_mT4_T5_T6_T7_T8_P12ihipStream_tbENKUlT_T0_E_clISt17integral_constantIbLb0EES13_EEDaSY_SZ_EUlSY_E_NS1_11comp_targetILNS1_3genE2ELNS1_11target_archE906ELNS1_3gpuE6ELNS1_3repE0EEENS1_30default_config_static_selectorELNS0_4arch9wavefront6targetE1EEEvT1_
	.p2align	8
	.type	_ZN7rocprim17ROCPRIM_400000_NS6detail17trampoline_kernelINS0_14default_configENS1_29reduce_by_key_config_selectorIilN6thrust23THRUST_200600_302600_NS4plusIlEEEEZZNS1_33reduce_by_key_impl_wrapped_configILNS1_25lookback_scan_determinismE0ES3_S9_PiNS6_17constant_iteratorIiNS6_11use_defaultESE_EENS6_10device_ptrIiEENSG_IlEEPmS8_NS6_8equal_toIiEEEE10hipError_tPvRmT2_T3_mT4_T5_T6_T7_T8_P12ihipStream_tbENKUlT_T0_E_clISt17integral_constantIbLb0EES13_EEDaSY_SZ_EUlSY_E_NS1_11comp_targetILNS1_3genE2ELNS1_11target_archE906ELNS1_3gpuE6ELNS1_3repE0EEENS1_30default_config_static_selectorELNS0_4arch9wavefront6targetE1EEEvT1_,@function
_ZN7rocprim17ROCPRIM_400000_NS6detail17trampoline_kernelINS0_14default_configENS1_29reduce_by_key_config_selectorIilN6thrust23THRUST_200600_302600_NS4plusIlEEEEZZNS1_33reduce_by_key_impl_wrapped_configILNS1_25lookback_scan_determinismE0ES3_S9_PiNS6_17constant_iteratorIiNS6_11use_defaultESE_EENS6_10device_ptrIiEENSG_IlEEPmS8_NS6_8equal_toIiEEEE10hipError_tPvRmT2_T3_mT4_T5_T6_T7_T8_P12ihipStream_tbENKUlT_T0_E_clISt17integral_constantIbLb0EES13_EEDaSY_SZ_EUlSY_E_NS1_11comp_targetILNS1_3genE2ELNS1_11target_archE906ELNS1_3gpuE6ELNS1_3repE0EEENS1_30default_config_static_selectorELNS0_4arch9wavefront6targetE1EEEvT1_: ; @_ZN7rocprim17ROCPRIM_400000_NS6detail17trampoline_kernelINS0_14default_configENS1_29reduce_by_key_config_selectorIilN6thrust23THRUST_200600_302600_NS4plusIlEEEEZZNS1_33reduce_by_key_impl_wrapped_configILNS1_25lookback_scan_determinismE0ES3_S9_PiNS6_17constant_iteratorIiNS6_11use_defaultESE_EENS6_10device_ptrIiEENSG_IlEEPmS8_NS6_8equal_toIiEEEE10hipError_tPvRmT2_T3_mT4_T5_T6_T7_T8_P12ihipStream_tbENKUlT_T0_E_clISt17integral_constantIbLb0EES13_EEDaSY_SZ_EUlSY_E_NS1_11comp_targetILNS1_3genE2ELNS1_11target_archE906ELNS1_3gpuE6ELNS1_3repE0EEENS1_30default_config_static_selectorELNS0_4arch9wavefront6targetE1EEEvT1_
; %bb.0:
	s_load_dwordx16 s[40:55], s[4:5], 0x40
	s_load_dwordx4 s[8:11], s[4:5], 0x0
	s_load_dword s12, s[4:5], 0x18
	s_load_dwordx4 s[56:59], s[4:5], 0x20
	s_load_dwordx2 s[38:39], s[4:5], 0x30
	s_add_u32 s0, s0, s7
	s_waitcnt lgkmcnt(0)
	s_mul_i32 s7, s48, s47
	s_mul_hi_u32 s13, s48, s46
	s_addc_u32 s1, s1, 0
	s_add_i32 s7, s13, s7
	s_mul_i32 s13, s49, s46
	s_add_i32 s7, s7, s13
	s_lshl_b64 s[10:11], s[10:11], 2
	s_add_u32 s10, s8, s10
	s_addc_u32 s11, s9, s11
	s_mul_i32 s8, s6, 0xf00
	s_mov_b32 s9, 0
	s_lshl_b64 s[8:9], s[8:9], 2
	s_add_u32 s62, s10, s8
	s_mul_i32 s13, s48, s46
	s_addc_u32 s63, s11, s9
	s_add_u32 s8, s13, s6
	s_addc_u32 s9, s7, 0
	s_add_u32 s16, s50, -1
	s_addc_u32 s17, s51, -1
	s_cmp_eq_u64 s[8:9], s[16:17]
	s_cselect_b64 s[48:49], -1, 0
	s_cmp_lg_u64 s[8:9], s[16:17]
	s_mov_b64 s[14:15], -1
	s_cselect_b64 s[10:11], -1, 0
	s_mul_i32 s33, s16, 0xfffff100
	s_and_b64 vcc, exec, s[48:49]
                                        ; implicit-def: $vgpr41
                                        ; implicit-def: $vgpr39
                                        ; implicit-def: $vgpr37
                                        ; implicit-def: $vgpr35
                                        ; implicit-def: $vgpr33
                                        ; implicit-def: $vgpr31
                                        ; implicit-def: $vgpr29
                                        ; implicit-def: $vgpr81
                                        ; implicit-def: $vgpr1
	s_cbranch_vccnz .LBB942_2
; %bb.1:
	v_lshlrev_b32_e32 v5, 2, v0
	v_mov_b32_e32 v1, s63
	v_add_co_u32_e32 v3, vcc, s62, v5
	v_addc_co_u32_e32 v4, vcc, 0, v1, vcc
	v_add_co_u32_e32 v1, vcc, 0x1000, v3
	v_addc_co_u32_e32 v2, vcc, 0, v4, vcc
	global_load_dword v6, v5, s[62:63]
	global_load_dword v7, v5, s[62:63] offset:1024
	global_load_dword v8, v5, s[62:63] offset:2048
	;; [unrolled: 1-line block ×3, first 2 shown]
	global_load_dword v10, v[1:2], off
	global_load_dword v11, v[1:2], off offset:1024
	global_load_dword v12, v[1:2], off offset:2048
	;; [unrolled: 1-line block ×3, first 2 shown]
	v_add_co_u32_e32 v1, vcc, 0x2000, v3
	v_addc_co_u32_e32 v2, vcc, 0, v4, vcc
	v_add_co_u32_e32 v3, vcc, 0x3000, v3
	v_addc_co_u32_e32 v4, vcc, 0, v4, vcc
	global_load_dword v14, v[1:2], off
	global_load_dword v15, v[1:2], off offset:1024
	global_load_dword v16, v[1:2], off offset:2048
	;; [unrolled: 1-line block ×3, first 2 shown]
	global_load_dword v18, v[3:4], off
	global_load_dword v19, v[3:4], off offset:1024
	global_load_dword v20, v[3:4], off offset:2048
	v_mad_u32_u24 v4, v0, 56, v5
	s_ashr_i32 s13, s12, 31
	s_movk_i32 s7, 0xffcc
	v_mov_b32_e32 v2, s12
	v_mul_u32_u24_e32 v1, 15, v0
	v_mov_b32_e32 v3, s13
	v_mad_i32_i24 v21, v0, s7, v4
	s_mov_b64 s[14:15], 0
	s_waitcnt vmcnt(13)
	ds_write2st64_b32 v5, v6, v7 offset1:4
	s_waitcnt vmcnt(11)
	ds_write2st64_b32 v5, v8, v9 offset0:8 offset1:12
	s_waitcnt vmcnt(9)
	ds_write2st64_b32 v5, v10, v11 offset0:16 offset1:20
	;; [unrolled: 2-line block ×6, first 2 shown]
	s_waitcnt vmcnt(0)
	ds_write_b32 v5, v20 offset:14336
	s_waitcnt lgkmcnt(0)
	s_barrier
	ds_read2_b32 v[41:42], v4 offset1:1
	ds_read2_b32 v[39:40], v4 offset0:2 offset1:3
	ds_read2_b32 v[37:38], v4 offset0:4 offset1:5
	;; [unrolled: 1-line block ×6, first 2 shown]
	ds_read_b32 v81, v4 offset:56
	s_waitcnt lgkmcnt(0)
	s_barrier
	ds_write2st64_b64 v21, v[2:3], v[2:3] offset1:4
	ds_write2st64_b64 v21, v[2:3], v[2:3] offset0:8 offset1:12
	ds_write2st64_b64 v21, v[2:3], v[2:3] offset0:16 offset1:20
	;; [unrolled: 1-line block ×6, first 2 shown]
	ds_write_b64 v21, v[2:3] offset:28672
	s_waitcnt lgkmcnt(0)
	s_barrier
.LBB942_2:
	s_load_dwordx2 s[60:61], s[4:5], 0x80
	s_andn2_b64 vcc, exec, s[14:15]
	s_add_i32 s33, s33, s52
	s_cbranch_vccnz .LBB942_34
; %bb.3:
	v_cmp_gt_u32_e32 vcc, s33, v0
                                        ; implicit-def: $vgpr1
	s_and_saveexec_b64 s[4:5], vcc
	s_cbranch_execz .LBB942_5
; %bb.4:
	v_lshlrev_b32_e32 v1, 2, v0
	global_load_dword v1, v1, s[62:63]
.LBB942_5:
	s_or_b64 exec, exec, s[4:5]
	v_or_b32_e32 v2, 0x100, v0
	v_cmp_gt_u32_e32 vcc, s33, v2
                                        ; implicit-def: $vgpr2
	s_and_saveexec_b64 s[4:5], vcc
	s_cbranch_execz .LBB942_7
; %bb.6:
	v_lshlrev_b32_e32 v2, 2, v0
	global_load_dword v2, v2, s[62:63] offset:1024
.LBB942_7:
	s_or_b64 exec, exec, s[4:5]
	v_or_b32_e32 v3, 0x200, v0
	v_cmp_gt_u32_e32 vcc, s33, v3
                                        ; implicit-def: $vgpr3
	s_and_saveexec_b64 s[4:5], vcc
	s_cbranch_execz .LBB942_9
; %bb.8:
	v_lshlrev_b32_e32 v3, 2, v0
	global_load_dword v3, v3, s[62:63] offset:2048
.LBB942_9:
	s_or_b64 exec, exec, s[4:5]
	v_or_b32_e32 v4, 0x300, v0
	v_cmp_gt_u32_e32 vcc, s33, v4
                                        ; implicit-def: $vgpr4
	s_and_saveexec_b64 s[4:5], vcc
	s_cbranch_execz .LBB942_11
; %bb.10:
	v_lshlrev_b32_e32 v4, 2, v0
	global_load_dword v4, v4, s[62:63] offset:3072
.LBB942_11:
	s_or_b64 exec, exec, s[4:5]
	v_or_b32_e32 v6, 0x400, v0
	v_cmp_gt_u32_e32 vcc, s33, v6
                                        ; implicit-def: $vgpr5
	s_and_saveexec_b64 s[4:5], vcc
	s_cbranch_execz .LBB942_13
; %bb.12:
	v_lshlrev_b32_e32 v5, 2, v6
	global_load_dword v5, v5, s[62:63]
.LBB942_13:
	s_or_b64 exec, exec, s[4:5]
	v_or_b32_e32 v7, 0x500, v0
	v_cmp_gt_u32_e32 vcc, s33, v7
                                        ; implicit-def: $vgpr6
	s_and_saveexec_b64 s[4:5], vcc
	s_cbranch_execz .LBB942_15
; %bb.14:
	v_lshlrev_b32_e32 v6, 2, v7
	global_load_dword v6, v6, s[62:63]
.LBB942_15:
	s_or_b64 exec, exec, s[4:5]
	v_or_b32_e32 v8, 0x600, v0
	v_cmp_gt_u32_e32 vcc, s33, v8
                                        ; implicit-def: $vgpr7
	s_and_saveexec_b64 s[4:5], vcc
	s_cbranch_execz .LBB942_17
; %bb.16:
	v_lshlrev_b32_e32 v7, 2, v8
	global_load_dword v7, v7, s[62:63]
.LBB942_17:
	s_or_b64 exec, exec, s[4:5]
	v_or_b32_e32 v9, 0x700, v0
	v_cmp_gt_u32_e32 vcc, s33, v9
                                        ; implicit-def: $vgpr8
	s_and_saveexec_b64 s[4:5], vcc
	s_cbranch_execz .LBB942_19
; %bb.18:
	v_lshlrev_b32_e32 v8, 2, v9
	global_load_dword v8, v8, s[62:63]
.LBB942_19:
	s_or_b64 exec, exec, s[4:5]
	v_or_b32_e32 v10, 0x800, v0
	v_cmp_gt_u32_e32 vcc, s33, v10
                                        ; implicit-def: $vgpr9
	s_and_saveexec_b64 s[4:5], vcc
	s_cbranch_execz .LBB942_21
; %bb.20:
	v_lshlrev_b32_e32 v9, 2, v10
	global_load_dword v9, v9, s[62:63]
.LBB942_21:
	s_or_b64 exec, exec, s[4:5]
	v_or_b32_e32 v11, 0x900, v0
	v_cmp_gt_u32_e32 vcc, s33, v11
                                        ; implicit-def: $vgpr10
	s_and_saveexec_b64 s[4:5], vcc
	s_cbranch_execz .LBB942_23
; %bb.22:
	v_lshlrev_b32_e32 v10, 2, v11
	global_load_dword v10, v10, s[62:63]
.LBB942_23:
	s_or_b64 exec, exec, s[4:5]
	v_or_b32_e32 v12, 0xa00, v0
	v_cmp_gt_u32_e32 vcc, s33, v12
                                        ; implicit-def: $vgpr11
	s_and_saveexec_b64 s[4:5], vcc
	s_cbranch_execz .LBB942_25
; %bb.24:
	v_lshlrev_b32_e32 v11, 2, v12
	global_load_dword v11, v11, s[62:63]
.LBB942_25:
	s_or_b64 exec, exec, s[4:5]
	v_or_b32_e32 v13, 0xb00, v0
	v_cmp_gt_u32_e32 vcc, s33, v13
                                        ; implicit-def: $vgpr12
	s_and_saveexec_b64 s[4:5], vcc
	s_cbranch_execz .LBB942_27
; %bb.26:
	v_lshlrev_b32_e32 v12, 2, v13
	global_load_dword v12, v12, s[62:63]
.LBB942_27:
	s_or_b64 exec, exec, s[4:5]
	v_or_b32_e32 v14, 0xc00, v0
	v_cmp_gt_u32_e32 vcc, s33, v14
                                        ; implicit-def: $vgpr13
	s_and_saveexec_b64 s[4:5], vcc
	s_cbranch_execz .LBB942_29
; %bb.28:
	v_lshlrev_b32_e32 v13, 2, v14
	global_load_dword v13, v13, s[62:63]
.LBB942_29:
	s_or_b64 exec, exec, s[4:5]
	v_or_b32_e32 v15, 0xd00, v0
	v_cmp_gt_u32_e32 vcc, s33, v15
                                        ; implicit-def: $vgpr14
	s_and_saveexec_b64 s[4:5], vcc
	s_cbranch_execz .LBB942_31
; %bb.30:
	v_lshlrev_b32_e32 v14, 2, v15
	global_load_dword v14, v14, s[62:63]
.LBB942_31:
	s_or_b64 exec, exec, s[4:5]
	v_or_b32_e32 v16, 0xe00, v0
	v_cmp_gt_u32_e32 vcc, s33, v16
                                        ; implicit-def: $vgpr15
	s_and_saveexec_b64 s[4:5], vcc
	s_cbranch_execz .LBB942_33
; %bb.32:
	v_lshlrev_b32_e32 v15, 2, v16
	global_load_dword v15, v15, s[62:63]
.LBB942_33:
	s_or_b64 exec, exec, s[4:5]
	v_lshlrev_b32_e32 v16, 2, v0
	s_waitcnt vmcnt(0)
	ds_write2st64_b32 v16, v1, v2 offset1:4
	ds_write2st64_b32 v16, v3, v4 offset0:8 offset1:12
	ds_write2st64_b32 v16, v5, v6 offset0:16 offset1:20
	;; [unrolled: 1-line block ×6, first 2 shown]
	ds_write_b32 v16, v15 offset:14336
	v_mad_u32_u24 v2, v0, 56, v16
	s_waitcnt lgkmcnt(0)
	s_barrier
	ds_read2_b32 v[41:42], v2 offset1:1
	ds_read2_b32 v[39:40], v2 offset0:2 offset1:3
	ds_read2_b32 v[37:38], v2 offset0:4 offset1:5
	;; [unrolled: 1-line block ×6, first 2 shown]
	ds_read_b32 v81, v2 offset:56
	s_movk_i32 s4, 0xffcc
	s_ashr_i32 s13, s12, 31
	v_mad_i32_i24 v4, v0, s4, v2
	v_mov_b32_e32 v2, s12
	v_mul_u32_u24_e32 v1, 15, v0
	v_mov_b32_e32 v3, s13
	s_waitcnt lgkmcnt(0)
	s_barrier
	ds_write2st64_b64 v4, v[2:3], v[2:3] offset1:4
	ds_write2st64_b64 v4, v[2:3], v[2:3] offset0:8 offset1:12
	ds_write2st64_b64 v4, v[2:3], v[2:3] offset0:16 offset1:20
	;; [unrolled: 1-line block ×6, first 2 shown]
	ds_write_b64 v4, v[2:3] offset:28672
	s_waitcnt lgkmcnt(0)
	s_barrier
.LBB942_34:
	v_lshlrev_b32_e32 v25, 3, v1
	s_waitcnt lgkmcnt(0)
	ds_read_b64 v[73:74], v25 offset:112
	ds_read2_b64 v[1:4], v25 offset0:12 offset1:13
	ds_read2_b64 v[5:8], v25 offset0:10 offset1:11
	;; [unrolled: 1-line block ×6, first 2 shown]
	ds_read2_b64 v[25:28], v25 offset1:1
	s_cmp_eq_u64 s[8:9], 0
	s_cselect_b64 s[50:51], -1, 0
	s_cmp_lg_u64 s[8:9], 0
	s_mov_b64 s[64:65], 0
	s_cselect_b64 s[4:5], -1, 0
	s_and_b64 vcc, exec, s[10:11]
	s_waitcnt lgkmcnt(0)
	s_barrier
	s_cbranch_vccz .LBB942_39
; %bb.35:
	s_and_b64 vcc, exec, s[4:5]
	s_cbranch_vccz .LBB942_40
; %bb.36:
	v_cmp_ne_u32_e32 vcc, v30, v81
	v_cndmask_b32_e64 v44, 0, 1, vcc
	v_cmp_ne_u32_e32 vcc, v29, v30
	buffer_store_dword v44, off, s[0:3], 0 offset:56
	v_cndmask_b32_e64 v44, 0, 1, vcc
	v_cmp_ne_u32_e32 vcc, v32, v29
	buffer_store_dword v44, off, s[0:3], 0 offset:52
	;; [unrolled: 3-line block ×6, first 2 shown]
	v_cndmask_b32_e64 v44, 0, 1, vcc
	v_cmp_ne_u32_e32 vcc, v35, v36
	s_add_u32 s10, s62, -4
	buffer_store_dword v44, off, s[0:3], 0 offset:32
	v_cndmask_b32_e64 v44, 0, 1, vcc
	v_cmp_ne_u32_e32 vcc, v38, v35
	s_addc_u32 s11, s63, -1
	buffer_store_dword v44, off, s[0:3], 0 offset:28
	v_cndmask_b32_e64 v44, 0, 1, vcc
	v_cmp_ne_u32_e32 vcc, v37, v38
	s_load_dword s7, s[10:11], 0x0
	buffer_store_dword v44, off, s[0:3], 0 offset:24
	v_cndmask_b32_e64 v44, 0, 1, vcc
	v_cmp_ne_u32_e32 vcc, v40, v37
	buffer_store_dword v44, off, s[0:3], 0 offset:20
	v_cndmask_b32_e64 v44, 0, 1, vcc
	v_cmp_ne_u32_e32 vcc, v39, v40
	;; [unrolled: 3-line block ×4, first 2 shown]
	buffer_store_dword v44, off, s[0:3], 0 offset:8
	v_cndmask_b32_e64 v44, 0, 1, vcc
	v_lshlrev_b32_e32 v43, 2, v0
	buffer_store_dword v44, off, s[0:3], 0 offset:4
	v_cmp_ne_u32_e32 vcc, 0, v0
	s_waitcnt lgkmcnt(0)
	v_mov_b32_e32 v44, s7
	ds_write_b32 v43, v81
	s_waitcnt vmcnt(0) lgkmcnt(0)
	s_barrier
	s_and_saveexec_b64 s[10:11], vcc
; %bb.37:
	v_add_u32_e32 v43, -4, v43
	ds_read_b32 v44, v43
; %bb.38:
	s_or_b64 exec, exec, s[10:11]
	s_waitcnt lgkmcnt(0)
	v_cmp_ne_u32_e64 s[10:11], v44, v41
	s_mov_b64 s[64:65], -1
	s_branch .LBB942_44
.LBB942_39:
                                        ; implicit-def: $sgpr10_sgpr11
	s_cbranch_execnz .LBB942_45
	s_branch .LBB942_53
.LBB942_40:
                                        ; implicit-def: $sgpr10_sgpr11
	s_cbranch_execz .LBB942_44
; %bb.41:
	v_cmp_ne_u32_e32 vcc, v30, v81
	v_cndmask_b32_e64 v44, 0, 1, vcc
	v_cmp_ne_u32_e32 vcc, v29, v30
	buffer_store_dword v44, off, s[0:3], 0 offset:56
	v_cndmask_b32_e64 v44, 0, 1, vcc
	v_cmp_ne_u32_e32 vcc, v32, v29
	buffer_store_dword v44, off, s[0:3], 0 offset:52
	;; [unrolled: 3-line block ×13, first 2 shown]
	v_cndmask_b32_e64 v44, 0, 1, vcc
	v_lshlrev_b32_e32 v43, 2, v0
	buffer_store_dword v44, off, s[0:3], 0 offset:4
	v_mov_b32_e32 v44, 1
	v_cmp_ne_u32_e32 vcc, 0, v0
	ds_write_b32 v43, v81
	s_waitcnt vmcnt(0) lgkmcnt(0)
	s_barrier
	buffer_store_dword v44, off, s[0:3], 0
                                        ; implicit-def: $sgpr10_sgpr11
	s_and_saveexec_b64 s[12:13], vcc
	s_xor_b64 s[12:13], exec, s[12:13]
	s_cbranch_execz .LBB942_43
; %bb.42:
	v_add_u32_e32 v43, -4, v43
	ds_read_b32 v43, v43
	s_or_b64 s[64:65], s[64:65], exec
	s_waitcnt lgkmcnt(0)
	v_cmp_ne_u32_e64 s[10:11], v43, v41
.LBB942_43:
	s_or_b64 exec, exec, s[12:13]
.LBB942_44:
	s_branch .LBB942_53
.LBB942_45:
	s_mul_i32 s7, s9, 0xfffff100
	s_mul_hi_u32 s9, s8, 0xfffff100
	s_sub_i32 s9, s9, s8
	s_add_i32 s9, s9, s7
	s_mul_i32 s7, s8, 0xfffff100
	s_add_u32 s52, s7, s52
	s_addc_u32 s53, s9, s53
	s_and_b64 vcc, exec, s[4:5]
	v_cmp_ne_u32_e64 s[34:35], v30, v81
	v_cmp_ne_u32_e64 s[30:31], v29, v30
	;; [unrolled: 1-line block ×14, first 2 shown]
	v_mad_u32_u24 v43, v0, 15, 14
	v_mad_u32_u24 v69, v0, 15, 13
	;; [unrolled: 1-line block ×14, first 2 shown]
	v_cmp_ne_u32_e64 s[8:9], 0, v0
	s_cbranch_vccz .LBB942_49
; %bb.46:
	v_mov_b32_e32 v44, 0
	global_load_dword v75, v44, s[62:63] offset:-4
	v_cmp_gt_u64_e32 vcc, s[52:53], v[43:44]
	v_mov_b32_e32 v70, v44
	s_and_b64 s[34:35], vcc, s[34:35]
	v_cmp_gt_u64_e32 vcc, s[52:53], v[69:70]
	v_mov_b32_e32 v68, v44
	s_and_b64 s[30:31], vcc, s[30:31]
	v_cmp_gt_u64_e32 vcc, s[52:53], v[67:68]
	v_mov_b32_e32 v66, v44
	s_and_b64 s[28:29], vcc, s[28:29]
	v_cmp_gt_u64_e32 vcc, s[52:53], v[65:66]
	v_mov_b32_e32 v64, v44
	s_and_b64 s[26:27], vcc, s[26:27]
	v_cmp_gt_u64_e32 vcc, s[52:53], v[63:64]
	v_mov_b32_e32 v62, v44
	s_and_b64 s[24:25], vcc, s[24:25]
	v_cmp_gt_u64_e32 vcc, s[52:53], v[61:62]
	v_mov_b32_e32 v60, v44
	s_and_b64 s[22:23], vcc, s[22:23]
	v_cmp_gt_u64_e32 vcc, s[52:53], v[59:60]
	v_mov_b32_e32 v58, v44
	v_cndmask_b32_e64 v46, 0, 1, s[34:35]
	s_and_b64 s[20:21], vcc, s[20:21]
	v_cmp_gt_u64_e32 vcc, s[52:53], v[57:58]
	buffer_store_dword v46, off, s[0:3], 0 offset:56
	v_cndmask_b32_e64 v46, 0, 1, s[30:31]
	v_mov_b32_e32 v56, v44
	buffer_store_dword v46, off, s[0:3], 0 offset:52
	v_cndmask_b32_e64 v46, 0, 1, s[28:29]
	s_and_b64 s[18:19], vcc, s[18:19]
	v_cmp_gt_u64_e32 vcc, s[52:53], v[55:56]
	buffer_store_dword v46, off, s[0:3], 0 offset:48
	v_cndmask_b32_e64 v46, 0, 1, s[26:27]
	v_mov_b32_e32 v54, v44
	buffer_store_dword v46, off, s[0:3], 0 offset:44
	;; [unrolled: 7-line block ×4, first 2 shown]
	v_cndmask_b32_e64 v46, 0, 1, s[16:17]
	s_and_b64 s[12:13], vcc, s[12:13]
	v_cmp_gt_u64_e32 vcc, s[52:53], v[49:50]
	buffer_store_dword v46, off, s[0:3], 0 offset:24
	v_cndmask_b32_e64 v46, 0, 1, s[14:15]
	buffer_store_dword v46, off, s[0:3], 0 offset:20
	v_cndmask_b32_e64 v46, 0, 1, s[12:13]
	s_and_b64 s[10:11], vcc, s[10:11]
	v_mov_b32_e32 v48, v44
	buffer_store_dword v46, off, s[0:3], 0 offset:16
	v_cndmask_b32_e64 v46, 0, 1, s[10:11]
	v_cmp_gt_u64_e32 vcc, s[52:53], v[47:48]
	buffer_store_dword v46, off, s[0:3], 0 offset:12
	v_mov_b32_e32 v46, v44
	s_and_b64 s[10:11], vcc, s[36:37]
	v_cmp_gt_u64_e32 vcc, s[52:53], v[45:46]
	v_lshlrev_b32_e32 v72, 2, v0
	s_and_b64 s[4:5], vcc, s[4:5]
	v_mul_u32_u24_e32 v71, 15, v0
	v_cndmask_b32_e64 v48, 0, 1, s[10:11]
	v_cndmask_b32_e64 v46, 0, 1, s[4:5]
	ds_write_b32 v72, v81
	buffer_store_dword v48, off, s[0:3], 0 offset:8
	buffer_store_dword v46, off, s[0:3], 0 offset:4
	s_waitcnt vmcnt(0) lgkmcnt(0)
	s_barrier
	s_and_saveexec_b64 s[4:5], s[8:9]
; %bb.47:
	v_add_u32_e32 v46, -4, v72
	ds_read_b32 v75, v46
; %bb.48:
	s_or_b64 exec, exec, s[4:5]
	v_mov_b32_e32 v72, v44
	v_cmp_gt_u64_e32 vcc, s[52:53], v[71:72]
	s_waitcnt lgkmcnt(0)
	v_cmp_ne_u32_e64 s[4:5], v75, v41
	s_and_b64 s[10:11], vcc, s[4:5]
	s_mov_b64 s[64:65], -1
	s_branch .LBB942_53
.LBB942_49:
                                        ; implicit-def: $sgpr10_sgpr11
	s_cbranch_execz .LBB942_53
; %bb.50:
	v_mov_b32_e32 v44, 0
	v_cmp_gt_u64_e32 vcc, s[52:53], v[43:44]
	v_cmp_ne_u32_e64 s[4:5], v30, v81
	v_mov_b32_e32 v70, v44
	s_and_b64 s[4:5], vcc, s[4:5]
	v_cmp_gt_u64_e32 vcc, s[52:53], v[69:70]
	v_cndmask_b32_e64 v43, 0, 1, s[4:5]
	v_cmp_ne_u32_e64 s[4:5], v29, v30
	v_mov_b32_e32 v68, v44
	s_and_b64 s[4:5], vcc, s[4:5]
	v_cmp_gt_u64_e32 vcc, s[52:53], v[67:68]
	buffer_store_dword v43, off, s[0:3], 0 offset:56
	v_cndmask_b32_e64 v43, 0, 1, s[4:5]
	v_cmp_ne_u32_e64 s[4:5], v32, v29
	v_mov_b32_e32 v66, v44
	s_and_b64 s[4:5], vcc, s[4:5]
	v_cmp_gt_u64_e32 vcc, s[52:53], v[65:66]
	buffer_store_dword v43, off, s[0:3], 0 offset:52
	;; [unrolled: 6-line block ×12, first 2 shown]
	v_cndmask_b32_e64 v43, 0, 1, s[4:5]
	v_cmp_ne_u32_e64 s[4:5], v41, v42
	s_and_b64 s[4:5], vcc, s[4:5]
	v_lshlrev_b32_e32 v71, 2, v0
	buffer_store_dword v43, off, s[0:3], 0 offset:8
	v_mov_b32_e32 v43, 1
	v_cndmask_b32_e64 v45, 0, 1, s[4:5]
	v_cmp_ne_u32_e32 vcc, 0, v0
	ds_write_b32 v71, v81
	buffer_store_dword v45, off, s[0:3], 0 offset:4
	s_waitcnt vmcnt(0) lgkmcnt(0)
	s_barrier
	buffer_store_dword v43, off, s[0:3], 0
                                        ; implicit-def: $sgpr10_sgpr11
	s_and_saveexec_b64 s[8:9], vcc
	s_cbranch_execz .LBB942_52
; %bb.51:
	v_add_u32_e32 v43, -4, v71
	ds_read_b32 v45, v43
	v_mul_u32_u24_e32 v43, 15, v0
	v_cmp_gt_u64_e32 vcc, s[52:53], v[43:44]
	s_or_b64 s[64:65], s[64:65], exec
	s_waitcnt lgkmcnt(0)
	v_cmp_ne_u32_e64 s[4:5], v45, v41
	s_and_b64 s[10:11], vcc, s[4:5]
.LBB942_52:
	s_or_b64 exec, exec, s[8:9]
.LBB942_53:
	v_mov_b32_e32 v82, 1
	s_and_saveexec_b64 s[4:5], s[64:65]
	s_cbranch_execz .LBB942_55
; %bb.54:
	v_cndmask_b32_e64 v82, 0, 1, s[10:11]
	buffer_store_dword v82, off, s[0:3], 0
.LBB942_55:
	s_or_b64 exec, exec, s[4:5]
	buffer_load_dword v95, off, s[0:3], 0 offset:4
	buffer_load_dword v94, off, s[0:3], 0 offset:8
	;; [unrolled: 1-line block ×14, first 2 shown]
	s_cmp_eq_u64 s[46:47], 0
	s_cselect_b64 s[46:47], -1, 0
	s_cmp_lg_u32 s6, 0
	v_mbcnt_lo_u32_b32 v97, -1, 0
	s_waitcnt vmcnt(13)
	v_cmp_eq_u32_e64 s[28:29], 0, v95
	s_waitcnt vmcnt(12)
	v_add3_u32 v43, v95, v82, v94
	v_cmp_eq_u32_e64 s[26:27], 0, v94
	s_waitcnt vmcnt(11)
	v_cmp_eq_u32_e64 s[24:25], 0, v93
	s_waitcnt vmcnt(10)
	;; [unrolled: 2-line block ×12, first 2 shown]
	v_cmp_eq_u32_e32 vcc, 0, v96
	v_add3_u32 v98, v43, v93, v83
	s_cbranch_scc0 .LBB942_117
; %bb.56:
	v_cndmask_b32_e64 v44, 0, v25, s[28:29]
	v_cndmask_b32_e64 v43, 0, v26, s[28:29]
	v_add_co_u32_e64 v44, s[30:31], v44, v27
	v_addc_co_u32_e64 v43, s[30:31], v43, v28, s[30:31]
	v_cndmask_b32_e64 v44, 0, v44, s[26:27]
	v_cndmask_b32_e64 v43, 0, v43, s[26:27]
	v_add_co_u32_e64 v44, s[30:31], v44, v21
	v_addc_co_u32_e64 v43, s[30:31], v43, v22, s[30:31]
	;; [unrolled: 4-line block ×11, first 2 shown]
	v_cndmask_b32_e64 v44, 0, v44, s[34:35]
	v_add3_u32 v45, v98, v84, v85
	v_cndmask_b32_e64 v43, 0, v43, s[34:35]
	v_add_co_u32_e64 v44, s[30:31], v44, v1
	v_add3_u32 v45, v45, v86, v87
	v_addc_co_u32_e64 v43, s[30:31], v43, v2, s[30:31]
	v_cndmask_b32_e64 v44, 0, v44, s[4:5]
	v_add3_u32 v45, v45, v88, v89
	v_cndmask_b32_e64 v43, 0, v43, s[4:5]
	v_add_co_u32_e64 v44, s[30:31], v44, v3
	v_add3_u32 v45, v45, v90, v91
	v_addc_co_u32_e64 v43, s[30:31], v43, v4, s[30:31]
	v_cndmask_b32_e32 v44, 0, v44, vcc
	v_add3_u32 v47, v45, v92, v96
	v_cndmask_b32_e32 v43, 0, v43, vcc
	v_add_co_u32_e32 v45, vcc, v44, v73
	v_mbcnt_hi_u32_b32 v52, -1, v97
	v_addc_co_u32_e32 v46, vcc, v43, v74, vcc
	v_and_b32_e32 v43, 15, v52
	v_mov_b32_dpp v48, v47 row_shr:1 row_mask:0xf bank_mask:0xf
	v_mov_b32_dpp v44, v45 row_shr:1 row_mask:0xf bank_mask:0xf
	;; [unrolled: 1-line block ×3, first 2 shown]
	v_cmp_ne_u32_e32 vcc, 0, v43
	s_and_saveexec_b64 s[30:31], vcc
; %bb.57:
	v_cmp_eq_u32_e32 vcc, 0, v47
	v_cndmask_b32_e32 v44, 0, v44, vcc
	v_add_u32_e32 v48, v48, v47
	v_cndmask_b32_e32 v47, 0, v49, vcc
	v_add_co_u32_e32 v45, vcc, v44, v45
	v_addc_co_u32_e32 v46, vcc, v47, v46, vcc
	v_mov_b32_e32 v47, v48
; %bb.58:
	s_or_b64 exec, exec, s[30:31]
	s_nop 0
	v_mov_b32_dpp v48, v47 row_shr:2 row_mask:0xf bank_mask:0xf
	v_mov_b32_dpp v44, v45 row_shr:2 row_mask:0xf bank_mask:0xf
	v_mov_b32_dpp v49, v46 row_shr:2 row_mask:0xf bank_mask:0xf
	v_cmp_lt_u32_e32 vcc, 1, v43
	s_and_saveexec_b64 s[30:31], vcc
; %bb.59:
	v_cmp_eq_u32_e32 vcc, 0, v47
	v_cndmask_b32_e32 v44, 0, v44, vcc
	v_add_u32_e32 v48, v48, v47
	v_cndmask_b32_e32 v47, 0, v49, vcc
	v_add_co_u32_e32 v45, vcc, v44, v45
	v_addc_co_u32_e32 v46, vcc, v47, v46, vcc
	v_mov_b32_e32 v47, v48
; %bb.60:
	s_or_b64 exec, exec, s[30:31]
	s_nop 0
	v_mov_b32_dpp v48, v47 row_shr:4 row_mask:0xf bank_mask:0xf
	v_mov_b32_dpp v44, v45 row_shr:4 row_mask:0xf bank_mask:0xf
	v_mov_b32_dpp v49, v46 row_shr:4 row_mask:0xf bank_mask:0xf
	v_cmp_lt_u32_e32 vcc, 3, v43
	;; [unrolled: 16-line block ×3, first 2 shown]
	s_and_saveexec_b64 s[30:31], vcc
; %bb.63:
	v_cmp_eq_u32_e32 vcc, 0, v47
	v_cndmask_b32_e32 v44, 0, v44, vcc
	v_add_u32_e32 v43, v48, v47
	v_cndmask_b32_e32 v47, 0, v49, vcc
	v_add_co_u32_e32 v45, vcc, v44, v45
	v_addc_co_u32_e32 v46, vcc, v47, v46, vcc
	v_mov_b32_e32 v47, v43
; %bb.64:
	s_or_b64 exec, exec, s[30:31]
	v_and_b32_e32 v49, 16, v52
	v_mov_b32_dpp v44, v47 row_bcast:15 row_mask:0xf bank_mask:0xf
	v_mov_b32_dpp v43, v45 row_bcast:15 row_mask:0xf bank_mask:0xf
	;; [unrolled: 1-line block ×3, first 2 shown]
	v_cmp_ne_u32_e32 vcc, 0, v49
	s_and_saveexec_b64 s[30:31], vcc
; %bb.65:
	v_cmp_eq_u32_e32 vcc, 0, v47
	v_cndmask_b32_e32 v43, 0, v43, vcc
	v_add_u32_e32 v44, v44, v47
	v_cndmask_b32_e32 v47, 0, v48, vcc
	v_add_co_u32_e32 v45, vcc, v43, v45
	v_addc_co_u32_e32 v46, vcc, v47, v46, vcc
	v_mov_b32_e32 v47, v44
; %bb.66:
	s_or_b64 exec, exec, s[30:31]
	s_nop 0
	v_mov_b32_dpp v44, v47 row_bcast:31 row_mask:0xf bank_mask:0xf
	v_mov_b32_dpp v43, v45 row_bcast:31 row_mask:0xf bank_mask:0xf
	;; [unrolled: 1-line block ×3, first 2 shown]
	v_cmp_lt_u32_e32 vcc, 31, v52
	s_and_saveexec_b64 s[30:31], vcc
; %bb.67:
	v_cmp_eq_u32_e32 vcc, 0, v47
	v_cndmask_b32_e32 v43, 0, v43, vcc
	v_add_u32_e32 v44, v44, v47
	v_cndmask_b32_e32 v47, 0, v48, vcc
	v_add_co_u32_e32 v45, vcc, v43, v45
	v_addc_co_u32_e32 v46, vcc, v47, v46, vcc
	v_mov_b32_e32 v47, v44
; %bb.68:
	s_or_b64 exec, exec, s[30:31]
	v_lshrrev_b32_e32 v43, 6, v0
	v_or_b32_e32 v44, 63, v0
	v_cmp_eq_u32_e32 vcc, v0, v44
	v_lshlrev_b32_e32 v48, 4, v43
	s_and_saveexec_b64 s[30:31], vcc
	s_cbranch_execz .LBB942_70
; %bb.69:
	ds_write_b32 v48, v47 offset:2080
	ds_write_b64 v48, v[45:46] offset:2088
.LBB942_70:
	s_or_b64 exec, exec, s[30:31]
	v_cmp_gt_u32_e32 vcc, 4, v0
	s_waitcnt lgkmcnt(0)
	s_barrier
	s_and_saveexec_b64 s[30:31], vcc
	s_cbranch_execz .LBB942_76
; %bb.71:
	v_lshlrev_b32_e32 v49, 4, v0
	ds_read_b32 v50, v49 offset:2080
	ds_read_b64 v[43:44], v49 offset:2088
	v_and_b32_e32 v51, 3, v52
	v_cmp_ne_u32_e32 vcc, 0, v51
	s_waitcnt lgkmcnt(1)
	v_mov_b32_dpp v54, v50 row_shr:1 row_mask:0xf bank_mask:0xf
	s_waitcnt lgkmcnt(0)
	v_mov_b32_dpp v53, v43 row_shr:1 row_mask:0xf bank_mask:0xf
	v_mov_b32_dpp v55, v44 row_shr:1 row_mask:0xf bank_mask:0xf
	s_and_saveexec_b64 s[36:37], vcc
; %bb.72:
	v_cmp_eq_u32_e32 vcc, 0, v50
	v_cndmask_b32_e32 v53, 0, v53, vcc
	v_add_u32_e32 v54, v54, v50
	v_cndmask_b32_e32 v50, 0, v55, vcc
	v_add_co_u32_e32 v43, vcc, v53, v43
	v_addc_co_u32_e32 v44, vcc, v50, v44, vcc
	v_mov_b32_e32 v50, v54
; %bb.73:
	s_or_b64 exec, exec, s[36:37]
	s_nop 0
	v_mov_b32_dpp v54, v50 row_shr:2 row_mask:0xf bank_mask:0xf
	v_mov_b32_dpp v53, v43 row_shr:2 row_mask:0xf bank_mask:0xf
	;; [unrolled: 1-line block ×3, first 2 shown]
	v_cmp_lt_u32_e32 vcc, 1, v51
	s_and_saveexec_b64 s[36:37], vcc
; %bb.74:
	v_cmp_eq_u32_e32 vcc, 0, v50
	v_cndmask_b32_e32 v53, 0, v53, vcc
	v_add_u32_e32 v51, v54, v50
	v_cndmask_b32_e32 v50, 0, v55, vcc
	v_add_co_u32_e32 v43, vcc, v53, v43
	v_addc_co_u32_e32 v44, vcc, v50, v44, vcc
	v_mov_b32_e32 v50, v51
; %bb.75:
	s_or_b64 exec, exec, s[36:37]
	ds_write_b32 v49, v50 offset:2080
	ds_write_b64 v49, v[43:44] offset:2088
.LBB942_76:
	s_or_b64 exec, exec, s[30:31]
	v_mov_b32_e32 v43, 0
	v_cmp_gt_u32_e32 vcc, 64, v0
	v_cmp_lt_u32_e64 s[30:31], 63, v0
	v_mov_b32_e32 v44, 0
	v_mov_b32_e32 v55, 0
	s_waitcnt lgkmcnt(0)
	s_barrier
	s_and_saveexec_b64 s[36:37], s[30:31]
	s_cbranch_execz .LBB942_78
; %bb.77:
	ds_read_b32 v55, v48 offset:2064
	ds_read_b64 v[43:44], v48 offset:2072
	v_cmp_eq_u32_e64 s[30:31], 0, v47
	s_waitcnt lgkmcnt(1)
	v_add_u32_e32 v48, v55, v47
	s_waitcnt lgkmcnt(0)
	v_cndmask_b32_e64 v49, 0, v43, s[30:31]
	v_cndmask_b32_e64 v47, 0, v44, s[30:31]
	v_add_co_u32_e64 v45, s[30:31], v49, v45
	v_addc_co_u32_e64 v46, s[30:31], v47, v46, s[30:31]
	v_mov_b32_e32 v47, v48
.LBB942_78:
	s_or_b64 exec, exec, s[36:37]
	v_subrev_co_u32_e64 v48, s[30:31], 1, v52
	v_and_b32_e32 v49, 64, v52
	v_cmp_lt_i32_e64 s[36:37], v48, v49
	v_cndmask_b32_e64 v48, v48, v52, s[36:37]
	v_lshlrev_b32_e32 v48, 2, v48
	ds_bpermute_b32 v56, v48, v47
	ds_bpermute_b32 v57, v48, v45
	;; [unrolled: 1-line block ×3, first 2 shown]
	s_and_saveexec_b64 s[52:53], vcc
	s_cbranch_execz .LBB942_122
; %bb.79:
	v_mov_b32_e32 v49, 0
	ds_read_b32 v59, v49 offset:2128
	ds_read_b64 v[45:46], v49 offset:2136
	s_and_saveexec_b64 s[36:37], s[30:31]
	s_cbranch_execz .LBB942_81
; %bb.80:
	s_add_i32 s62, s6, 64
	s_mov_b32 s63, 0
	s_lshl_b64 s[64:65], s[62:63], 4
	s_add_u32 s64, s40, s64
	s_addc_u32 s65, s41, s65
	v_mov_b32_e32 v47, 1
	v_mov_b32_e32 v48, s62
	s_waitcnt lgkmcnt(1)
	global_store_dword v49, v59, s[64:65]
	s_waitcnt lgkmcnt(0)
	global_store_dwordx2 v49, v[45:46], s[64:65] offset:8
	s_waitcnt vmcnt(0)
	buffer_wbinvl1_vol
	global_store_byte v48, v47, s[44:45]
.LBB942_81:
	s_or_b64 exec, exec, s[36:37]
	v_xad_u32 v47, v52, -1, s6
	v_add_u32_e32 v48, 64, v47
	global_load_ubyte v60, v48, s[44:45] glc
	s_waitcnt vmcnt(0)
	v_cmp_eq_u16_e32 vcc, 0, v60
	s_and_saveexec_b64 s[36:37], vcc
	s_cbranch_execz .LBB942_85
; %bb.82:
	v_mov_b32_e32 v51, s45
	v_add_co_u32_e32 v50, vcc, s44, v48
	v_addc_co_u32_e32 v51, vcc, 0, v51, vcc
	s_mov_b64 s[62:63], 0
.LBB942_83:                             ; =>This Inner Loop Header: Depth=1
	global_load_ubyte v60, v[50:51], off glc
	s_waitcnt vmcnt(0)
	v_cmp_ne_u16_e32 vcc, 0, v60
	s_or_b64 s[62:63], vcc, s[62:63]
	s_andn2_b64 exec, exec, s[62:63]
	s_cbranch_execnz .LBB942_83
; %bb.84:
	s_or_b64 exec, exec, s[62:63]
.LBB942_85:
	s_or_b64 exec, exec, s[36:37]
	v_mov_b32_e32 v50, s43
	v_mov_b32_e32 v51, s41
	v_cmp_eq_u16_e32 vcc, 1, v60
	v_cndmask_b32_e32 v50, v50, v51, vcc
	v_mov_b32_e32 v51, s42
	v_mov_b32_e32 v53, s40
	v_lshlrev_b64 v[48:49], 4, v[48:49]
	v_cndmask_b32_e32 v51, v51, v53, vcc
	v_add_co_u32_e32 v48, vcc, v51, v48
	v_addc_co_u32_e32 v49, vcc, v50, v49, vcc
	s_waitcnt lgkmcnt(0)
	buffer_wbinvl1_vol
	global_load_dword v77, v[48:49], off
	global_load_dwordx2 v[53:54], v[48:49], off offset:8
	v_and_b32_e32 v61, 63, v52
	v_lshlrev_b64 v[49:50], v52, -1
	v_cmp_ne_u32_e64 s[36:37], 63, v61
	v_cmp_eq_u16_e32 vcc, 2, v60
	v_addc_co_u32_e64 v48, s[36:37], 0, v52, s[36:37]
	v_and_b32_e32 v51, vcc_hi, v50
	v_lshlrev_b32_e32 v62, 2, v48
	v_or_b32_e32 v48, 0x80000000, v51
	v_and_b32_e32 v65, vcc_lo, v49
	v_ffbl_b32_e32 v48, v48
	v_add_u32_e32 v48, 32, v48
	v_ffbl_b32_e32 v65, v65
	v_min_u32_e32 v48, v65, v48
	v_cmp_lt_u32_e32 vcc, v61, v48
	s_waitcnt vmcnt(1)
	ds_bpermute_b32 v63, v62, v77
	s_waitcnt vmcnt(0)
	ds_bpermute_b32 v51, v62, v53
	ds_bpermute_b32 v64, v62, v54
	s_and_saveexec_b64 s[36:37], vcc
	s_cbranch_execz .LBB942_87
; %bb.86:
	v_cmp_eq_u32_e32 vcc, 0, v77
	s_waitcnt lgkmcnt(1)
	v_cndmask_b32_e32 v51, 0, v51, vcc
	v_add_u32_e32 v63, v63, v77
	s_waitcnt lgkmcnt(0)
	v_cndmask_b32_e32 v64, 0, v64, vcc
	v_add_co_u32_e32 v53, vcc, v51, v53
	v_addc_co_u32_e32 v54, vcc, v64, v54, vcc
	v_mov_b32_e32 v77, v63
.LBB942_87:
	s_or_b64 exec, exec, s[36:37]
	v_cmp_gt_u32_e32 vcc, 62, v61
	s_waitcnt lgkmcnt(1)
	v_cndmask_b32_e64 v51, 0, 2, vcc
	v_add_lshl_u32 v63, v51, v52, 2
	ds_bpermute_b32 v65, v63, v77
	ds_bpermute_b32 v51, v63, v53
	ds_bpermute_b32 v66, v63, v54
	s_waitcnt lgkmcnt(3)
	v_add_u32_e32 v64, 2, v61
	v_cmp_le_u32_e32 vcc, v64, v48
	s_and_saveexec_b64 s[36:37], vcc
	s_cbranch_execz .LBB942_89
; %bb.88:
	v_cmp_eq_u32_e32 vcc, 0, v77
	s_waitcnt lgkmcnt(1)
	v_cndmask_b32_e32 v51, 0, v51, vcc
	v_add_u32_e32 v65, v65, v77
	s_waitcnt lgkmcnt(0)
	v_cndmask_b32_e32 v66, 0, v66, vcc
	v_add_co_u32_e32 v53, vcc, v51, v53
	v_addc_co_u32_e32 v54, vcc, v66, v54, vcc
	v_mov_b32_e32 v77, v65
.LBB942_89:
	s_or_b64 exec, exec, s[36:37]
	v_cmp_gt_u32_e32 vcc, 60, v61
	s_waitcnt lgkmcnt(1)
	v_cndmask_b32_e64 v51, 0, 4, vcc
	v_add_lshl_u32 v65, v51, v52, 2
	ds_bpermute_b32 v67, v65, v77
	ds_bpermute_b32 v51, v65, v53
	ds_bpermute_b32 v68, v65, v54
	s_waitcnt lgkmcnt(3)
	v_add_u32_e32 v66, 4, v61
	v_cmp_le_u32_e32 vcc, v66, v48
	;; [unrolled: 24-line block ×4, first 2 shown]
	s_and_saveexec_b64 s[36:37], vcc
	s_cbranch_execz .LBB942_95
; %bb.94:
	v_cmp_eq_u32_e32 vcc, 0, v77
	s_waitcnt lgkmcnt(1)
	v_cndmask_b32_e32 v51, 0, v51, vcc
	v_add_u32_e32 v71, v71, v77
	s_waitcnt lgkmcnt(0)
	v_cndmask_b32_e32 v72, 0, v72, vcc
	v_add_co_u32_e32 v53, vcc, v51, v53
	v_addc_co_u32_e32 v54, vcc, v72, v54, vcc
	v_mov_b32_e32 v77, v71
.LBB942_95:
	s_or_b64 exec, exec, s[36:37]
	s_waitcnt lgkmcnt(1)
	v_mov_b32_e32 v51, 0x80
	s_waitcnt lgkmcnt(0)
	v_lshl_or_b32 v72, v52, 2, v51
	ds_bpermute_b32 v52, v72, v77
	ds_bpermute_b32 v51, v72, v53
	;; [unrolled: 1-line block ×3, first 2 shown]
	v_add_u32_e32 v75, 32, v61
	v_cmp_le_u32_e32 vcc, v75, v48
	s_and_saveexec_b64 s[36:37], vcc
	s_cbranch_execz .LBB942_97
; %bb.96:
	v_cmp_eq_u32_e32 vcc, 0, v77
	s_waitcnt lgkmcnt(1)
	v_cndmask_b32_e32 v51, 0, v51, vcc
	v_add_u32_e32 v48, v52, v77
	s_waitcnt lgkmcnt(0)
	v_cndmask_b32_e32 v52, 0, v71, vcc
	v_add_co_u32_e32 v53, vcc, v51, v53
	v_addc_co_u32_e32 v54, vcc, v52, v54, vcc
	v_mov_b32_e32 v77, v48
.LBB942_97:
	s_or_b64 exec, exec, s[36:37]
	v_mov_b32_e32 v48, 0
	v_mov_b32_e32 v76, 2
	s_branch .LBB942_100
.LBB942_98:                             ;   in Loop: Header=BB942_100 Depth=1
	s_or_b64 exec, exec, s[36:37]
	v_cmp_eq_u32_e32 vcc, 0, v71
	v_cndmask_b32_e32 v53, 0, v53, vcc
	v_cndmask_b32_e32 v54, 0, v54, vcc
	v_add_co_u32_e32 v53, vcc, v53, v51
	v_subrev_u32_e32 v47, 64, v47
	v_add_u32_e32 v77, v78, v71
	v_addc_co_u32_e32 v54, vcc, v54, v52, vcc
	s_mov_b64 s[36:37], 0
.LBB942_99:                             ;   in Loop: Header=BB942_100 Depth=1
	s_and_b64 vcc, exec, s[36:37]
	s_cbranch_vccnz .LBB942_118
.LBB942_100:                            ; =>This Loop Header: Depth=1
                                        ;     Child Loop BB942_103 Depth 2
	s_waitcnt lgkmcnt(1)
	v_mov_b32_e32 v51, v53
	v_cmp_ne_u16_sdwa s[36:37], v60, v76 src0_sel:BYTE_0 src1_sel:DWORD
	v_mov_b32_e32 v52, v54
	s_waitcnt lgkmcnt(0)
	v_mov_b32_e32 v71, v77
	s_cmp_lg_u64 s[36:37], exec
	s_mov_b64 s[36:37], -1
                                        ; implicit-def: $vgpr53_vgpr54
                                        ; implicit-def: $vgpr77
                                        ; implicit-def: $vgpr60
	s_cbranch_scc1 .LBB942_99
; %bb.101:                              ;   in Loop: Header=BB942_100 Depth=1
	global_load_ubyte v60, v47, s[44:45] glc
	s_waitcnt vmcnt(0)
	v_cmp_eq_u16_e32 vcc, 0, v60
	s_and_saveexec_b64 s[36:37], vcc
	s_cbranch_execz .LBB942_105
; %bb.102:                              ;   in Loop: Header=BB942_100 Depth=1
	v_mov_b32_e32 v54, s45
	v_add_co_u32_e32 v53, vcc, s44, v47
	v_addc_co_u32_e32 v54, vcc, 0, v54, vcc
	s_mov_b64 s[62:63], 0
.LBB942_103:                            ;   Parent Loop BB942_100 Depth=1
                                        ; =>  This Inner Loop Header: Depth=2
	global_load_ubyte v60, v[53:54], off glc
	s_waitcnt vmcnt(0)
	v_cmp_ne_u16_e32 vcc, 0, v60
	s_or_b64 s[62:63], vcc, s[62:63]
	s_andn2_b64 exec, exec, s[62:63]
	s_cbranch_execnz .LBB942_103
; %bb.104:                              ;   in Loop: Header=BB942_100 Depth=1
	s_or_b64 exec, exec, s[62:63]
.LBB942_105:                            ;   in Loop: Header=BB942_100 Depth=1
	s_or_b64 exec, exec, s[36:37]
	v_mov_b32_e32 v53, s43
	v_mov_b32_e32 v54, s41
	v_cmp_eq_u16_e32 vcc, 1, v60
	v_cndmask_b32_e32 v77, v53, v54, vcc
	v_mov_b32_e32 v53, s42
	v_mov_b32_e32 v54, s40
	v_cndmask_b32_e32 v78, v53, v54, vcc
	v_lshlrev_b64 v[53:54], 4, v[47:48]
	buffer_wbinvl1_vol
	v_add_co_u32_e32 v53, vcc, v78, v53
	v_addc_co_u32_e32 v54, vcc, v77, v54, vcc
	global_load_dword v78, v[53:54], off
	s_nop 0
	global_load_dwordx2 v[53:54], v[53:54], off offset:8
	v_cmp_eq_u16_e32 vcc, 2, v60
	v_and_b32_e32 v77, vcc_hi, v50
	v_or_b32_e32 v77, 0x80000000, v77
	v_and_b32_e32 v100, vcc_lo, v49
	v_ffbl_b32_e32 v77, v77
	v_add_u32_e32 v77, 32, v77
	v_ffbl_b32_e32 v100, v100
	v_min_u32_e32 v77, v100, v77
	v_cmp_lt_u32_e32 vcc, v61, v77
	s_waitcnt vmcnt(1)
	ds_bpermute_b32 v80, v62, v78
	s_waitcnt vmcnt(0)
	ds_bpermute_b32 v79, v62, v53
	ds_bpermute_b32 v99, v62, v54
	s_and_saveexec_b64 s[36:37], vcc
	s_cbranch_execz .LBB942_107
; %bb.106:                              ;   in Loop: Header=BB942_100 Depth=1
	v_cmp_eq_u32_e32 vcc, 0, v78
	s_waitcnt lgkmcnt(1)
	v_cndmask_b32_e32 v79, 0, v79, vcc
	v_add_u32_e32 v80, v80, v78
	s_waitcnt lgkmcnt(0)
	v_cndmask_b32_e32 v78, 0, v99, vcc
	v_add_co_u32_e32 v53, vcc, v79, v53
	v_addc_co_u32_e32 v54, vcc, v78, v54, vcc
	v_mov_b32_e32 v78, v80
.LBB942_107:                            ;   in Loop: Header=BB942_100 Depth=1
	s_or_b64 exec, exec, s[36:37]
	s_waitcnt lgkmcnt(2)
	ds_bpermute_b32 v80, v63, v78
	s_waitcnt lgkmcnt(2)
	ds_bpermute_b32 v79, v63, v53
	s_waitcnt lgkmcnt(2)
	ds_bpermute_b32 v99, v63, v54
	v_cmp_le_u32_e32 vcc, v64, v77
	s_and_saveexec_b64 s[36:37], vcc
	s_cbranch_execz .LBB942_109
; %bb.108:                              ;   in Loop: Header=BB942_100 Depth=1
	v_cmp_eq_u32_e32 vcc, 0, v78
	s_waitcnt lgkmcnt(1)
	v_cndmask_b32_e32 v79, 0, v79, vcc
	v_add_u32_e32 v80, v80, v78
	s_waitcnt lgkmcnt(0)
	v_cndmask_b32_e32 v78, 0, v99, vcc
	v_add_co_u32_e32 v53, vcc, v79, v53
	v_addc_co_u32_e32 v54, vcc, v78, v54, vcc
	v_mov_b32_e32 v78, v80
.LBB942_109:                            ;   in Loop: Header=BB942_100 Depth=1
	s_or_b64 exec, exec, s[36:37]
	s_waitcnt lgkmcnt(2)
	ds_bpermute_b32 v80, v65, v78
	s_waitcnt lgkmcnt(2)
	ds_bpermute_b32 v79, v65, v53
	s_waitcnt lgkmcnt(2)
	ds_bpermute_b32 v99, v65, v54
	v_cmp_le_u32_e32 vcc, v66, v77
	;; [unrolled: 21-line block ×5, first 2 shown]
	s_and_saveexec_b64 s[36:37], vcc
	s_cbranch_execz .LBB942_98
; %bb.116:                              ;   in Loop: Header=BB942_100 Depth=1
	v_cmp_eq_u32_e32 vcc, 0, v78
	s_waitcnt lgkmcnt(1)
	v_cndmask_b32_e32 v79, 0, v79, vcc
	v_add_u32_e32 v77, v80, v78
	s_waitcnt lgkmcnt(0)
	v_cndmask_b32_e32 v78, 0, v99, vcc
	v_add_co_u32_e32 v53, vcc, v79, v53
	v_addc_co_u32_e32 v54, vcc, v78, v54, vcc
	v_mov_b32_e32 v78, v77
	s_branch .LBB942_98
.LBB942_117:
                                        ; implicit-def: $vgpr43
                                        ; implicit-def: $vgpr45_vgpr46
                                        ; implicit-def: $vgpr47
                                        ; implicit-def: $vgpr75_vgpr76
                                        ; implicit-def: $vgpr49_vgpr50
                                        ; implicit-def: $vgpr51_vgpr52
                                        ; implicit-def: $vgpr53_vgpr54
                                        ; implicit-def: $vgpr55_vgpr56
                                        ; implicit-def: $vgpr57_vgpr58
                                        ; implicit-def: $vgpr59_vgpr60
                                        ; implicit-def: $vgpr61_vgpr62
                                        ; implicit-def: $vgpr63_vgpr64
                                        ; implicit-def: $vgpr65_vgpr66
                                        ; implicit-def: $vgpr67_vgpr68
                                        ; implicit-def: $vgpr69_vgpr70
                                        ; implicit-def: $vgpr71_vgpr72
                                        ; implicit-def: $vgpr77_vgpr78
                                        ; implicit-def: $vgpr79_vgpr80
                                        ; implicit-def: $vgpr44
	s_cbranch_execnz .LBB942_123
	s_branch .LBB942_150
.LBB942_118:
	s_and_saveexec_b64 s[36:37], s[30:31]
	s_cbranch_execz .LBB942_120
; %bb.119:
	s_mov_b32 s7, 0
	v_cmp_eq_u32_e32 vcc, 0, v59
	s_add_i32 s6, s6, 64
	v_cndmask_b32_e32 v47, 0, v51, vcc
	s_lshl_b64 s[40:41], s[6:7], 4
	v_cndmask_b32_e32 v48, 0, v52, vcc
	v_add_co_u32_e32 v47, vcc, v47, v45
	s_add_u32 s40, s42, s40
	v_add_u32_e32 v49, v71, v59
	v_addc_co_u32_e32 v48, vcc, v48, v46, vcc
	s_addc_u32 s41, s43, s41
	v_mov_b32_e32 v50, 0
	global_store_dword v50, v49, s[40:41]
	global_store_dwordx2 v50, v[47:48], s[40:41] offset:8
	v_mov_b32_e32 v47, 2
	v_mov_b32_e32 v48, s6
	s_waitcnt vmcnt(0) lgkmcnt(0)
	buffer_wbinvl1_vol
	global_store_byte v48, v47, s[44:45]
	ds_write_b32 v50, v59 offset:2048
	ds_write_b64 v50, v[45:46] offset:2056
	ds_write_b32 v50, v71 offset:2064
	ds_write_b64 v50, v[51:52] offset:2072
.LBB942_120:
	s_or_b64 exec, exec, s[36:37]
	v_cmp_eq_u32_e32 vcc, 0, v0
	s_and_b64 exec, exec, vcc
	s_cbranch_execz .LBB942_122
; %bb.121:
	v_mov_b32_e32 v45, 0
	ds_write_b32 v45, v71 offset:2128
	ds_write_b64 v45, v[51:52] offset:2136
.LBB942_122:
	s_or_b64 exec, exec, s[52:53]
	v_mov_b32_e32 v48, 0
	s_waitcnt vmcnt(0) lgkmcnt(0)
	s_barrier
	ds_read_b32 v47, v48 offset:2128
	ds_read_b64 v[45:46], v48 offset:2136
	v_cndmask_b32_e64 v49, v56, v55, s[30:31]
	v_cmp_eq_u32_e32 vcc, 0, v49
	v_cndmask_b32_e64 v43, v57, v43, s[30:31]
	v_cndmask_b32_e64 v44, v58, v44, s[30:31]
	s_waitcnt lgkmcnt(0)
	v_cndmask_b32_e32 v51, 0, v45, vcc
	v_cndmask_b32_e32 v50, 0, v46, vcc
	v_add_co_u32_e32 v43, vcc, v51, v43
	v_addc_co_u32_e32 v50, vcc, v50, v44, vcc
	v_cmp_eq_u32_e32 vcc, 0, v0
	v_cndmask_b32_e64 v44, v49, 0, vcc
	v_cndmask_b32_e32 v76, v50, v46, vcc
	v_cndmask_b32_e32 v75, v43, v45, vcc
	v_cmp_eq_u32_e32 vcc, 0, v82
	v_cndmask_b32_e32 v45, 0, v75, vcc
	v_cndmask_b32_e32 v43, 0, v76, vcc
	v_add_co_u32_e32 v49, vcc, v45, v25
	v_addc_co_u32_e32 v50, vcc, v43, v26, vcc
	v_cndmask_b32_e64 v45, 0, v49, s[28:29]
	v_cndmask_b32_e64 v43, 0, v50, s[28:29]
	v_add_co_u32_e32 v51, vcc, v45, v27
	v_addc_co_u32_e32 v52, vcc, v43, v28, vcc
	v_cndmask_b32_e64 v45, 0, v51, s[26:27]
	v_cndmask_b32_e64 v43, 0, v52, s[26:27]
	;; [unrolled: 4-line block ×11, first 2 shown]
	v_add_co_u32_e32 v71, vcc, v45, v7
	v_add_u32_e32 v44, v47, v44
	v_addc_co_u32_e32 v72, vcc, v43, v8, vcc
	s_barrier
	ds_read_b32 v43, v48 offset:2048
	ds_read_b64 v[45:46], v48 offset:2056
	ds_read_b32 v47, v48 offset:2064
	ds_read_b64 v[99:100], v48 offset:2072
	v_cndmask_b32_e64 v77, 0, v71, s[34:35]
	v_cndmask_b32_e64 v78, 0, v72, s[34:35]
	v_add_co_u32_e32 v77, vcc, v77, v1
	v_addc_co_u32_e32 v78, vcc, v78, v2, vcc
	s_waitcnt lgkmcnt(3)
	v_cmp_eq_u32_e32 vcc, 0, v43
	s_waitcnt lgkmcnt(0)
	v_cndmask_b32_e32 v99, 0, v99, vcc
	v_cndmask_b32_e32 v48, 0, v100, vcc
	v_add_co_u32_e32 v45, vcc, v99, v45
	v_cndmask_b32_e64 v80, 0, v78, s[4:5]
	v_cndmask_b32_e64 v79, 0, v77, s[4:5]
	v_addc_co_u32_e32 v46, vcc, v48, v46, vcc
	s_branch .LBB942_150
.LBB942_123:
	s_cmp_eq_u64 s[60:61], 0
	s_cselect_b64 s[4:5], -1, 0
	s_or_b64 s[4:5], s[46:47], s[4:5]
	v_mov_b32_e32 v48, v26
	s_and_b64 vcc, exec, s[4:5]
	v_mov_b32_e32 v47, v25
	s_cbranch_vccnz .LBB942_125
; %bb.124:
	v_mov_b32_e32 v43, 0
	global_load_dwordx2 v[47:48], v43, s[60:61]
.LBB942_125:
	v_cmp_eq_u32_e64 s[26:27], 0, v95
	v_cndmask_b32_e64 v44, 0, v25, s[26:27]
	v_cndmask_b32_e64 v43, 0, v26, s[26:27]
	v_add_co_u32_e32 v44, vcc, v44, v27
	v_cmp_eq_u32_e64 s[24:25], 0, v94
	v_addc_co_u32_e32 v43, vcc, v43, v28, vcc
	v_cndmask_b32_e64 v44, 0, v44, s[24:25]
	v_cndmask_b32_e64 v43, 0, v43, s[24:25]
	v_add_co_u32_e32 v44, vcc, v44, v21
	v_cmp_eq_u32_e64 s[22:23], 0, v93
	v_addc_co_u32_e32 v43, vcc, v43, v22, vcc
	;; [unrolled: 5-line block ×11, first 2 shown]
	v_cndmask_b32_e64 v44, 0, v44, s[6:7]
	v_cndmask_b32_e64 v43, 0, v43, s[6:7]
	v_add_co_u32_e32 v44, vcc, v44, v1
	v_addc_co_u32_e32 v43, vcc, v43, v2, vcc
	v_cmp_eq_u32_e32 vcc, 0, v92
	v_add3_u32 v45, v98, v84, v85
	v_cndmask_b32_e32 v44, 0, v44, vcc
	v_add3_u32 v45, v45, v86, v87
	v_cndmask_b32_e32 v43, 0, v43, vcc
	v_add_co_u32_e64 v44, s[28:29], v44, v3
	v_add3_u32 v45, v45, v88, v89
	v_addc_co_u32_e64 v43, s[28:29], v43, v4, s[28:29]
	v_add3_u32 v45, v45, v90, v91
	v_cmp_eq_u32_e64 s[28:29], 0, v96
	v_add3_u32 v50, v45, v92, v96
	v_cndmask_b32_e64 v45, 0, v43, s[28:29]
	v_cndmask_b32_e64 v43, 0, v44, s[28:29]
	v_add_co_u32_e64 v43, s[28:29], v43, v73
	v_mbcnt_hi_u32_b32 v49, -1, v97
	v_addc_co_u32_e64 v44, s[28:29], v45, v74, s[28:29]
	v_and_b32_e32 v45, 15, v49
	v_mov_b32_dpp v51, v50 row_shr:1 row_mask:0xf bank_mask:0xf
	v_mov_b32_dpp v46, v43 row_shr:1 row_mask:0xf bank_mask:0xf
	;; [unrolled: 1-line block ×3, first 2 shown]
	v_cmp_ne_u32_e64 s[28:29], 0, v45
	s_and_saveexec_b64 s[30:31], s[28:29]
; %bb.126:
	v_cmp_eq_u32_e64 s[28:29], 0, v50
	v_cndmask_b32_e64 v46, 0, v46, s[28:29]
	v_add_u32_e32 v51, v51, v50
	v_cndmask_b32_e64 v50, 0, v52, s[28:29]
	v_add_co_u32_e64 v43, s[28:29], v46, v43
	v_addc_co_u32_e64 v44, s[28:29], v50, v44, s[28:29]
	v_mov_b32_e32 v50, v51
; %bb.127:
	s_or_b64 exec, exec, s[30:31]
	s_nop 0
	v_mov_b32_dpp v51, v50 row_shr:2 row_mask:0xf bank_mask:0xf
	v_mov_b32_dpp v46, v43 row_shr:2 row_mask:0xf bank_mask:0xf
	v_mov_b32_dpp v52, v44 row_shr:2 row_mask:0xf bank_mask:0xf
	v_cmp_lt_u32_e64 s[28:29], 1, v45
	s_and_saveexec_b64 s[30:31], s[28:29]
; %bb.128:
	v_cmp_eq_u32_e64 s[28:29], 0, v50
	v_cndmask_b32_e64 v46, 0, v46, s[28:29]
	v_add_u32_e32 v51, v51, v50
	v_cndmask_b32_e64 v50, 0, v52, s[28:29]
	v_add_co_u32_e64 v43, s[28:29], v46, v43
	v_addc_co_u32_e64 v44, s[28:29], v50, v44, s[28:29]
	v_mov_b32_e32 v50, v51
; %bb.129:
	s_or_b64 exec, exec, s[30:31]
	s_nop 0
	v_mov_b32_dpp v51, v50 row_shr:4 row_mask:0xf bank_mask:0xf
	v_mov_b32_dpp v46, v43 row_shr:4 row_mask:0xf bank_mask:0xf
	v_mov_b32_dpp v52, v44 row_shr:4 row_mask:0xf bank_mask:0xf
	v_cmp_lt_u32_e64 s[28:29], 3, v45
	;; [unrolled: 16-line block ×3, first 2 shown]
	s_and_saveexec_b64 s[30:31], s[28:29]
; %bb.132:
	v_cmp_eq_u32_e64 s[28:29], 0, v50
	v_cndmask_b32_e64 v46, 0, v46, s[28:29]
	v_add_u32_e32 v45, v51, v50
	v_cndmask_b32_e64 v50, 0, v52, s[28:29]
	v_add_co_u32_e64 v43, s[28:29], v46, v43
	v_addc_co_u32_e64 v44, s[28:29], v50, v44, s[28:29]
	v_mov_b32_e32 v50, v45
; %bb.133:
	s_or_b64 exec, exec, s[30:31]
	v_and_b32_e32 v52, 16, v49
	v_mov_b32_dpp v46, v50 row_bcast:15 row_mask:0xf bank_mask:0xf
	v_mov_b32_dpp v45, v43 row_bcast:15 row_mask:0xf bank_mask:0xf
	;; [unrolled: 1-line block ×3, first 2 shown]
	v_cmp_ne_u32_e64 s[28:29], 0, v52
	s_and_saveexec_b64 s[30:31], s[28:29]
; %bb.134:
	v_cmp_eq_u32_e64 s[28:29], 0, v50
	v_cndmask_b32_e64 v45, 0, v45, s[28:29]
	v_add_u32_e32 v46, v46, v50
	v_cndmask_b32_e64 v50, 0, v51, s[28:29]
	v_add_co_u32_e64 v43, s[28:29], v45, v43
	v_addc_co_u32_e64 v44, s[28:29], v50, v44, s[28:29]
	v_mov_b32_e32 v50, v46
; %bb.135:
	s_or_b64 exec, exec, s[30:31]
	s_nop 0
	v_mov_b32_dpp v46, v50 row_bcast:31 row_mask:0xf bank_mask:0xf
	v_mov_b32_dpp v45, v43 row_bcast:31 row_mask:0xf bank_mask:0xf
	v_mov_b32_dpp v51, v44 row_bcast:31 row_mask:0xf bank_mask:0xf
	v_cmp_lt_u32_e64 s[28:29], 31, v49
	s_and_saveexec_b64 s[30:31], s[28:29]
; %bb.136:
	v_cmp_eq_u32_e64 s[28:29], 0, v50
	v_cndmask_b32_e64 v45, 0, v45, s[28:29]
	v_add_u32_e32 v46, v46, v50
	v_cndmask_b32_e64 v50, 0, v51, s[28:29]
	v_add_co_u32_e64 v43, s[28:29], v45, v43
	v_addc_co_u32_e64 v44, s[28:29], v50, v44, s[28:29]
	v_mov_b32_e32 v50, v46
; %bb.137:
	s_or_b64 exec, exec, s[30:31]
	v_lshrrev_b32_e32 v45, 6, v0
	v_or_b32_e32 v46, 63, v0
	v_cmp_eq_u32_e64 s[28:29], v0, v46
	v_lshlrev_b32_e32 v51, 4, v45
	s_and_saveexec_b64 s[30:31], s[28:29]
	s_cbranch_execz .LBB942_139
; %bb.138:
	ds_write_b32 v51, v50 offset:2080
	ds_write_b64 v51, v[43:44] offset:2088
.LBB942_139:
	s_or_b64 exec, exec, s[30:31]
	v_cmp_gt_u32_e64 s[28:29], 4, v0
	s_waitcnt vmcnt(0) lgkmcnt(0)
	s_barrier
	s_and_saveexec_b64 s[30:31], s[28:29]
	s_cbranch_execz .LBB942_145
; %bb.140:
	v_lshlrev_b32_e32 v52, 4, v0
	ds_read_b32 v53, v52 offset:2080
	ds_read_b64 v[45:46], v52 offset:2088
	v_and_b32_e32 v54, 3, v49
	v_cmp_ne_u32_e64 s[28:29], 0, v54
	s_waitcnt lgkmcnt(1)
	v_mov_b32_dpp v56, v53 row_shr:1 row_mask:0xf bank_mask:0xf
	s_waitcnt lgkmcnt(0)
	v_mov_b32_dpp v55, v45 row_shr:1 row_mask:0xf bank_mask:0xf
	v_mov_b32_dpp v57, v46 row_shr:1 row_mask:0xf bank_mask:0xf
	s_and_saveexec_b64 s[34:35], s[28:29]
; %bb.141:
	v_cmp_eq_u32_e64 s[28:29], 0, v53
	v_cndmask_b32_e64 v55, 0, v55, s[28:29]
	v_add_u32_e32 v56, v56, v53
	v_cndmask_b32_e64 v53, 0, v57, s[28:29]
	v_add_co_u32_e64 v45, s[28:29], v55, v45
	v_addc_co_u32_e64 v46, s[28:29], v53, v46, s[28:29]
	v_mov_b32_e32 v53, v56
; %bb.142:
	s_or_b64 exec, exec, s[34:35]
	s_nop 0
	v_mov_b32_dpp v56, v53 row_shr:2 row_mask:0xf bank_mask:0xf
	v_mov_b32_dpp v55, v45 row_shr:2 row_mask:0xf bank_mask:0xf
	;; [unrolled: 1-line block ×3, first 2 shown]
	v_cmp_lt_u32_e64 s[28:29], 1, v54
	s_and_saveexec_b64 s[34:35], s[28:29]
; %bb.143:
	v_cmp_eq_u32_e64 s[28:29], 0, v53
	v_cndmask_b32_e64 v55, 0, v55, s[28:29]
	v_add_u32_e32 v54, v56, v53
	v_cndmask_b32_e64 v53, 0, v57, s[28:29]
	v_add_co_u32_e64 v45, s[28:29], v55, v45
	v_addc_co_u32_e64 v46, s[28:29], v53, v46, s[28:29]
	v_mov_b32_e32 v53, v54
; %bb.144:
	s_or_b64 exec, exec, s[34:35]
	ds_write_b32 v52, v53 offset:2080
	ds_write_b64 v52, v[45:46] offset:2088
.LBB942_145:
	s_or_b64 exec, exec, s[30:31]
	v_mov_b32_e32 v45, v47
	v_cmp_lt_u32_e64 s[28:29], 63, v0
	v_mov_b32_e32 v73, 0
	v_mov_b32_e32 v52, 0
	;; [unrolled: 1-line block ×3, first 2 shown]
	s_waitcnt lgkmcnt(0)
	s_barrier
	s_and_saveexec_b64 s[30:31], s[28:29]
	s_cbranch_execz .LBB942_147
; %bb.146:
	ds_read_b32 v52, v51 offset:2064
	ds_read_b64 v[45:46], v51 offset:2072
	s_waitcnt lgkmcnt(1)
	v_cmp_eq_u32_e64 s[28:29], 0, v52
	v_cndmask_b32_e64 v53, 0, v47, s[28:29]
	v_cndmask_b32_e64 v51, 0, v48, s[28:29]
	s_waitcnt lgkmcnt(0)
	v_add_co_u32_e64 v45, s[28:29], v53, v45
	v_addc_co_u32_e64 v46, s[28:29], v51, v46, s[28:29]
.LBB942_147:
	s_or_b64 exec, exec, s[30:31]
	v_cmp_eq_u32_e64 s[28:29], 0, v50
	v_cndmask_b32_e64 v53, 0, v45, s[28:29]
	v_add_u32_e32 v51, v52, v50
	v_cndmask_b32_e64 v50, 0, v46, s[28:29]
	v_add_co_u32_e64 v43, s[28:29], v53, v43
	v_addc_co_u32_e64 v44, s[28:29], v50, v44, s[28:29]
	v_subrev_co_u32_e64 v50, s[28:29], 1, v49
	v_and_b32_e32 v53, 64, v49
	v_cmp_lt_i32_e64 s[30:31], v50, v53
	v_cndmask_b32_e64 v49, v50, v49, s[30:31]
	v_lshlrev_b32_e32 v49, 2, v49
	ds_bpermute_b32 v50, v49, v51
	ds_bpermute_b32 v51, v49, v44
	;; [unrolled: 1-line block ×3, first 2 shown]
	v_cmp_eq_u32_e64 s[30:31], 0, v82
	s_waitcnt lgkmcnt(2)
	v_cndmask_b32_e64 v44, v50, v52, s[28:29]
	s_waitcnt lgkmcnt(1)
	v_cndmask_b32_e64 v76, v51, v46, s[28:29]
	;; [unrolled: 2-line block ×3, first 2 shown]
	v_cmp_eq_u32_e64 s[28:29], 0, v0
	v_cndmask_b32_e64 v43, v75, v47, s[28:29]
	v_cndmask_b32_e64 v45, v76, v48, s[28:29]
	;; [unrolled: 1-line block ×4, first 2 shown]
	v_add_co_u32_e64 v49, s[30:31], v43, v25
	v_addc_co_u32_e64 v50, s[30:31], v45, v26, s[30:31]
	v_cndmask_b32_e64 v26, 0, v49, s[26:27]
	v_cndmask_b32_e64 v25, 0, v50, s[26:27]
	v_add_co_u32_e64 v51, s[26:27], v26, v27
	v_addc_co_u32_e64 v52, s[26:27], v25, v28, s[26:27]
	v_cndmask_b32_e64 v26, 0, v51, s[24:25]
	v_cndmask_b32_e64 v25, 0, v52, s[24:25]
	;; [unrolled: 4-line block ×11, first 2 shown]
	v_add_co_u32_e64 v71, s[4:5], v6, v7
	v_addc_co_u32_e64 v72, s[4:5], v5, v8, s[4:5]
	v_cndmask_b32_e64 v6, 0, v71, s[6:7]
	ds_read_b32 v43, v73 offset:2128
	v_cndmask_b32_e64 v5, 0, v72, s[6:7]
	v_add_co_u32_e64 v77, s[4:5], v6, v1
	v_addc_co_u32_e64 v78, s[4:5], v5, v2, s[4:5]
	ds_read_b64 v[1:2], v73 offset:2136
	v_cndmask_b32_e32 v80, 0, v78, vcc
	v_cndmask_b32_e32 v79, 0, v77, vcc
	s_waitcnt lgkmcnt(1)
	v_cmp_eq_u32_e32 vcc, 0, v43
	v_cndmask_b32_e32 v6, 0, v47, vcc
	v_cndmask_b32_e32 v5, 0, v48, vcc
	s_waitcnt lgkmcnt(0)
	v_add_co_u32_e32 v45, vcc, v6, v1
	v_addc_co_u32_e32 v46, vcc, v5, v2, vcc
	s_and_saveexec_b64 s[4:5], s[28:29]
	s_cbranch_execz .LBB942_149
; %bb.148:
	v_mov_b32_e32 v76, v48
	v_mov_b32_e32 v44, 0
	;; [unrolled: 1-line block ×4, first 2 shown]
	global_store_dword v44, v43, s[42:43] offset:1024
	global_store_dwordx2 v44, v[45:46], s[42:43] offset:1032
	s_waitcnt vmcnt(0)
	buffer_wbinvl1_vol
	global_store_byte v44, v1, s[44:45] offset:64
.LBB942_149:
	s_or_b64 exec, exec, s[4:5]
	v_mov_b32_e32 v47, 0
.LBB942_150:
	s_cmp_eq_u64 s[54:55], 0
	s_cselect_b64 s[4:5], -1, 0
	s_or_b64 s[4:5], s[46:47], s[4:5]
	v_mov_b32_e32 v1, 0
	s_and_b64 vcc, exec, s[4:5]
	v_mov_b32_e32 v2, 0
	s_waitcnt vmcnt(0)
	s_barrier
	s_cbranch_vccnz .LBB942_152
; %bb.151:
	v_mov_b32_e32 v1, 0
	global_load_dwordx2 v[1:2], v1, s[54:55]
.LBB942_152:
	s_nop 0
	buffer_load_dword v23, off, s[0:3], 0
	buffer_load_dword v24, off, s[0:3], 0 offset:4
	buffer_load_dword v25, off, s[0:3], 0 offset:8
	;; [unrolled: 1-line block ×13, first 2 shown]
	v_add_u32_e32 v20, v44, v82
	buffer_load_dword v82, off, s[0:3], 0 offset:56
	s_waitcnt vmcnt(15)
	v_lshlrev_b64 v[5:6], 2, v[1:2]
	v_mov_b32_e32 v48, 0
	v_mov_b32_e32 v9, s57
	v_lshlrev_b64 v[7:8], 2, v[47:48]
	v_add_co_u32_e32 v5, vcc, s56, v5
	v_addc_co_u32_e32 v6, vcc, v9, v6, vcc
	v_add_co_u32_e32 v21, vcc, v5, v7
	v_addc_co_u32_e32 v22, vcc, v6, v8, vcc
	v_add_u32_e32 v19, v20, v95
	v_add_u32_e32 v18, v19, v94
	;; [unrolled: 1-line block ×11, first 2 shown]
	s_movk_i32 s36, 0x100
	v_add_u32_e32 v8, v9, v91
	v_add_u32_e32 v7, v8, v92
	s_mov_b64 s[40:41], -1
	s_waitcnt vmcnt(14)
	v_cmp_eq_u32_e32 vcc, 0, v23
	v_cndmask_b32_e64 v5, 1, 2, vcc
	s_waitcnt vmcnt(13)
	v_cmp_eq_u32_e32 vcc, 0, v24
	v_cndmask_b32_e64 v6, 1, 2, vcc
	s_waitcnt vmcnt(12)
	v_cmp_eq_u32_e32 vcc, 0, v25
	v_cmp_ne_u32_e64 s[34:35], 0, v23
	v_cndmask_b32_e64 v23, 1, 2, vcc
	s_waitcnt vmcnt(11)
	v_cmp_eq_u32_e32 vcc, 0, v26
	v_and_b32_e32 v5, v6, v5
	v_cmp_ne_u32_e64 s[30:31], 0, v24
	v_cndmask_b32_e64 v24, 1, 2, vcc
	s_waitcnt vmcnt(10)
	v_cmp_eq_u32_e32 vcc, 0, v27
	v_and_b32_e32 v5, v5, v23
	;; [unrolled: 5-line block ×8, first 2 shown]
	v_cndmask_b32_e64 v83, 1, 2, vcc
	s_waitcnt vmcnt(3)
	v_cmp_eq_u32_e32 vcc, 0, v99
	v_and_b32_e32 v5, v5, v74
	v_cndmask_b32_e64 v84, 1, 2, vcc
	s_waitcnt vmcnt(2)
	v_cmp_eq_u32_e32 vcc, 0, v100
	v_and_b32_e32 v5, v5, v83
	v_cndmask_b32_e64 v85, 1, 2, vcc
	v_and_b32_e32 v5, v5, v84
	s_waitcnt vmcnt(1)
	v_cmp_eq_u32_e32 vcc, 0, v101
	v_and_b32_e32 v5, v5, v85
	v_cndmask_b32_e64 v6, 1, 2, vcc
	s_waitcnt vmcnt(0)
	v_cmp_eq_u32_e32 vcc, 0, v82
	v_and_b32_e32 v5, v5, v6
	v_cndmask_b32_e64 v6, 1, 2, vcc
	v_and_b32_e32 v5, v5, v6
	v_cmp_gt_u32_e32 vcc, s36, v43
	v_cmp_ne_u32_e64 s[16:17], 0, v96
	v_cmp_ne_u32_e64 s[14:15], 0, v97
	;; [unrolled: 1-line block ×7, first 2 shown]
	v_cmp_gt_i16_e64 s[36:37], 2, v5
	s_cbranch_vccz .LBB942_159
; %bb.153:
	s_and_saveexec_b64 s[40:41], s[36:37]
	s_cbranch_execz .LBB942_158
; %bb.154:
	v_cmp_ne_u16_e32 vcc, 1, v5
	s_mov_b64 s[42:43], 0
	s_and_saveexec_b64 s[36:37], vcc
	s_xor_b64 s[36:37], exec, s[36:37]
	s_cbranch_execnz .LBB942_194
; %bb.155:
	s_andn2_saveexec_b64 s[36:37], s[36:37]
	s_cbranch_execnz .LBB942_210
.LBB942_156:
	s_or_b64 exec, exec, s[36:37]
	s_and_b64 exec, exec, s[42:43]
	s_cbranch_execz .LBB942_158
.LBB942_157:
	v_sub_u32_e32 v23, v7, v47
	v_mov_b32_e32 v24, 0
	v_lshlrev_b64 v[23:24], 2, v[23:24]
	v_add_co_u32_e32 v23, vcc, v21, v23
	v_addc_co_u32_e32 v24, vcc, v22, v24, vcc
	global_store_dword v[23:24], v81, off
.LBB942_158:
	s_or_b64 exec, exec, s[40:41]
	s_mov_b64 s[40:41], 0
.LBB942_159:
	s_and_b64 vcc, exec, s[40:41]
	s_cbranch_vccz .LBB942_169
; %bb.160:
	v_cmp_gt_i16_e32 vcc, 2, v5
	s_and_saveexec_b64 s[36:37], vcc
	s_cbranch_execz .LBB942_165
; %bb.161:
	v_cmp_ne_u16_e32 vcc, 1, v5
	s_mov_b64 s[42:43], 0
	s_and_saveexec_b64 s[40:41], vcc
	s_xor_b64 s[40:41], exec, s[40:41]
	s_cbranch_execnz .LBB942_211
; %bb.162:
	s_andn2_saveexec_b64 s[4:5], s[40:41]
	s_cbranch_execnz .LBB942_227
.LBB942_163:
	s_or_b64 exec, exec, s[4:5]
	s_and_b64 exec, exec, s[42:43]
.LBB942_164:
	v_sub_u32_e32 v5, v7, v47
	v_lshlrev_b32_e32 v5, 2, v5
	ds_write_b32 v5, v81
.LBB942_165:
	s_or_b64 exec, exec, s[36:37]
	v_cmp_lt_u32_e32 vcc, v0, v43
	s_waitcnt vmcnt(0) lgkmcnt(0)
	s_barrier
	s_and_saveexec_b64 s[6:7], vcc
	s_cbranch_execz .LBB942_168
; %bb.166:
	v_lshlrev_b32_e32 v23, 2, v0
	s_mov_b64 s[8:9], 0
	v_mov_b32_e32 v6, 0
	v_mov_b32_e32 v5, v0
.LBB942_167:                            ; =>This Inner Loop Header: Depth=1
	ds_read_b32 v26, v23
	v_lshlrev_b64 v[24:25], 2, v[5:6]
	v_add_u32_e32 v5, 0x100, v5
	v_cmp_ge_u32_e32 vcc, v5, v43
	v_add_co_u32_e64 v24, s[4:5], v21, v24
	v_add_u32_e32 v23, 0x400, v23
	v_addc_co_u32_e64 v25, s[4:5], v22, v25, s[4:5]
	s_or_b64 s[8:9], vcc, s[8:9]
	s_waitcnt lgkmcnt(0)
	global_store_dword v[24:25], v26, off
	s_andn2_b64 exec, exec, s[8:9]
	s_cbranch_execnz .LBB942_167
.LBB942_168:
	s_or_b64 exec, exec, s[6:7]
.LBB942_169:
	v_cmp_eq_u32_e32 vcc, 0, v0
	s_and_b64 s[6:7], vcc, s[50:51]
	s_waitcnt vmcnt(0)
	s_barrier
	s_and_saveexec_b64 s[4:5], s[6:7]
	s_cbranch_execz .LBB942_171
; %bb.170:
	v_mov_b32_e32 v5, 0
	buffer_store_dword v5, off, s[0:3], 0
.LBB942_171:
	s_or_b64 exec, exec, s[4:5]
	s_mul_hi_u32 s4, s33, 0x88888889
	s_lshr_b32 s4, s4, 3
	v_cmp_eq_u32_e32 vcc, s4, v0
	s_and_b64 s[6:7], s[48:49], vcc
	s_and_saveexec_b64 s[4:5], s[6:7]
	s_cbranch_execz .LBB942_173
; %bb.172:
	s_lshl_b32 s6, s33, 2
	v_mov_b32_e32 v5, s6
	s_movk_i32 s6, 0xffc4
	v_mad_i32_i24 v5, v0, s6, v5
	v_mov_b32_e32 v6, 1
	buffer_store_dword v6, v5, s[0:3], 0 offen
.LBB942_173:
	s_or_b64 exec, exec, s[4:5]
	buffer_load_dword v25, off, s[0:3], 0
	buffer_load_dword v26, off, s[0:3], 0 offset:4
	buffer_load_dword v27, off, s[0:3], 0 offset:8
	;; [unrolled: 1-line block ×14, first 2 shown]
	v_add_co_u32_e32 v3, vcc, v79, v3
	v_lshlrev_b64 v[5:6], 3, v[1:2]
	v_addc_co_u32_e32 v4, vcc, v80, v4, vcc
	v_mov_b32_e32 v39, s59
	v_lshlrev_b64 v[22:23], 3, v[47:48]
	v_add_co_u32_e32 v5, vcc, s58, v5
	v_addc_co_u32_e32 v6, vcc, v39, v6, vcc
	v_cndmask_b32_e64 v21, 0, 1, s[50:51]
	v_add_co_u32_e32 v5, vcc, v5, v22
	v_lshlrev_b32_e32 v42, 3, v21
	v_addc_co_u32_e32 v6, vcc, v6, v23, vcc
	v_add_co_u32_e32 v22, vcc, v5, v42
	v_addc_co_u32_e32 v23, vcc, 0, v6, vcc
	v_add_co_u32_e32 v22, vcc, -8, v22
	v_addc_co_u32_e32 v23, vcc, -1, v23, vcc
	s_cmpk_lg_i32 s33, 0xf00
	s_cselect_b64 s[4:5], -1, 0
	s_and_b64 s[4:5], s[48:49], s[4:5]
	v_sub_u32_e32 v41, v43, v21
	v_add_u32_e32 v24, v47, v21
	v_cndmask_b32_e64 v21, 0, 1, s[4:5]
	v_add_u32_e32 v21, v41, v21
	s_movk_i32 s36, 0x100
	s_mov_b64 s[40:41], -1
	s_waitcnt vmcnt(14)
	v_cmp_eq_u32_e32 vcc, 0, v25
	v_cmp_ne_u32_e64 s[34:35], 0, v25
	v_cndmask_b32_e64 v25, 1, 2, vcc
	s_waitcnt vmcnt(13)
	v_cmp_eq_u32_e32 vcc, 0, v26
	v_cmp_ne_u32_e64 s[30:31], 0, v26
	v_cndmask_b32_e64 v26, 1, 2, vcc
	;; [unrolled: 4-line block ×3, first 2 shown]
	s_waitcnt vmcnt(11)
	v_cmp_eq_u32_e32 vcc, 0, v28
	v_and_b32_e32 v25, v26, v25
	v_cmp_ne_u32_e64 s[26:27], 0, v28
	v_cndmask_b32_e64 v28, 1, 2, vcc
	s_waitcnt vmcnt(10)
	v_cmp_eq_u32_e32 vcc, 0, v29
	v_and_b32_e32 v25, v25, v27
	v_cmp_ne_u32_e64 s[24:25], 0, v29
	v_cndmask_b32_e64 v29, 1, 2, vcc
	;; [unrolled: 5-line block ×8, first 2 shown]
	v_and_b32_e32 v25, v25, v34
	s_waitcnt vmcnt(3)
	v_cmp_eq_u32_e32 vcc, 0, v36
	v_and_b32_e32 v25, v25, v35
	v_cndmask_b32_e64 v26, 1, 2, vcc
	s_waitcnt vmcnt(2)
	v_cmp_eq_u32_e32 vcc, 0, v37
	v_and_b32_e32 v25, v25, v26
	v_cndmask_b32_e64 v26, 1, 2, vcc
	;; [unrolled: 4-line block ×4, first 2 shown]
	v_and_b32_e32 v25, v25, v26
	v_cmp_gt_u32_e32 vcc, s36, v21
	v_cmp_ne_u32_e64 s[8:9], 0, v36
	v_cmp_ne_u32_e64 s[10:11], 0, v37
	;; [unrolled: 1-line block ×4, first 2 shown]
	v_cmp_gt_i16_e64 s[36:37], 2, v25
	s_cbranch_vccz .LBB942_180
; %bb.174:
	s_and_saveexec_b64 s[40:41], s[36:37]
	s_cbranch_execz .LBB942_179
; %bb.175:
	v_cmp_ne_u16_e32 vcc, 1, v25
	s_mov_b64 s[42:43], 0
	s_and_saveexec_b64 s[36:37], vcc
	s_xor_b64 s[36:37], exec, s[36:37]
	s_cbranch_execnz .LBB942_228
; %bb.176:
	s_andn2_saveexec_b64 s[36:37], s[36:37]
	s_cbranch_execnz .LBB942_244
.LBB942_177:
	s_or_b64 exec, exec, s[36:37]
	s_and_b64 exec, exec, s[42:43]
	s_cbranch_execz .LBB942_179
.LBB942_178:
	v_sub_u32_e32 v26, v7, v24
	v_mov_b32_e32 v27, 0
	v_lshlrev_b64 v[26:27], 3, v[26:27]
	v_add_co_u32_e32 v26, vcc, v22, v26
	v_addc_co_u32_e32 v27, vcc, v23, v27, vcc
	global_store_dwordx2 v[26:27], v[3:4], off
.LBB942_179:
	s_or_b64 exec, exec, s[40:41]
	s_mov_b64 s[40:41], 0
.LBB942_180:
	s_and_b64 vcc, exec, s[40:41]
	s_cbranch_vccz .LBB942_190
; %bb.181:
	v_cmp_gt_i16_e32 vcc, 2, v25
	s_and_saveexec_b64 s[36:37], vcc
	s_cbranch_execz .LBB942_186
; %bb.182:
	v_cmp_ne_u16_e32 vcc, 1, v25
	s_mov_b64 s[42:43], 0
	s_and_saveexec_b64 s[40:41], vcc
	s_xor_b64 s[40:41], exec, s[40:41]
	s_cbranch_execnz .LBB942_245
; %bb.183:
	s_andn2_saveexec_b64 s[4:5], s[40:41]
	s_cbranch_execnz .LBB942_261
.LBB942_184:
	s_or_b64 exec, exec, s[4:5]
	s_and_b64 exec, exec, s[42:43]
.LBB942_185:
	v_sub_u32_e32 v7, v7, v24
	v_lshlrev_b32_e32 v7, 3, v7
	ds_write_b64 v7, v[3:4]
.LBB942_186:
	s_or_b64 exec, exec, s[36:37]
	v_cmp_lt_u32_e32 vcc, v0, v21
	s_waitcnt vmcnt(0) lgkmcnt(0)
	s_barrier
	s_and_saveexec_b64 s[6:7], vcc
	s_cbranch_execz .LBB942_189
; %bb.187:
	v_lshlrev_b32_e32 v7, 3, v0
	s_mov_b64 s[8:9], 0
	v_mov_b32_e32 v4, 0
	v_mov_b32_e32 v3, v0
.LBB942_188:                            ; =>This Inner Loop Header: Depth=1
	ds_read_b64 v[10:11], v7
	v_lshlrev_b64 v[8:9], 3, v[3:4]
	v_add_u32_e32 v3, 0x100, v3
	v_cmp_ge_u32_e32 vcc, v3, v21
	v_add_co_u32_e64 v8, s[4:5], v22, v8
	v_add_u32_e32 v7, 0x800, v7
	v_addc_co_u32_e64 v9, s[4:5], v23, v9, s[4:5]
	s_or_b64 s[8:9], vcc, s[8:9]
	s_waitcnt lgkmcnt(0)
	global_store_dwordx2 v[8:9], v[10:11], off
	s_andn2_b64 exec, exec, s[8:9]
	s_cbranch_execnz .LBB942_188
.LBB942_189:
	s_or_b64 exec, exec, s[6:7]
.LBB942_190:
	s_movk_i32 s4, 0xff
	v_cmp_eq_u32_e32 vcc, s4, v0
	s_and_b64 s[4:5], vcc, s[48:49]
	s_and_saveexec_b64 s[6:7], s[4:5]
	s_cbranch_execz .LBB942_193
; %bb.191:
	v_add_co_u32_e32 v0, vcc, v43, v47
	v_addc_co_u32_e64 v3, s[4:5], 0, 0, vcc
	v_add_co_u32_e32 v0, vcc, v0, v1
	v_mov_b32_e32 v44, 0
	v_addc_co_u32_e32 v1, vcc, v3, v2, vcc
	s_cmpk_lg_i32 s33, 0xf00
	global_store_dwordx2 v44, v[0:1], s[38:39]
	s_cbranch_scc1 .LBB942_193
; %bb.192:
	v_lshlrev_b64 v[0:1], 3, v[43:44]
	v_add_co_u32_e32 v0, vcc, v5, v0
	v_addc_co_u32_e32 v1, vcc, v6, v1, vcc
	global_store_dwordx2 v[0:1], v[45:46], off offset:-8
.LBB942_193:
	s_endpgm
.LBB942_194:
	s_and_saveexec_b64 s[42:43], s[34:35]
	s_cbranch_execnz .LBB942_262
; %bb.195:
	s_or_b64 exec, exec, s[42:43]
	s_and_saveexec_b64 s[42:43], s[30:31]
	s_cbranch_execnz .LBB942_263
.LBB942_196:
	s_or_b64 exec, exec, s[42:43]
	s_and_saveexec_b64 s[42:43], s[28:29]
	s_cbranch_execnz .LBB942_264
.LBB942_197:
	s_or_b64 exec, exec, s[42:43]
	s_and_saveexec_b64 s[42:43], s[26:27]
	s_cbranch_execnz .LBB942_265
.LBB942_198:
	s_or_b64 exec, exec, s[42:43]
	s_and_saveexec_b64 s[42:43], s[24:25]
	s_cbranch_execnz .LBB942_266
.LBB942_199:
	s_or_b64 exec, exec, s[42:43]
	s_and_saveexec_b64 s[42:43], s[22:23]
	s_cbranch_execnz .LBB942_267
.LBB942_200:
	s_or_b64 exec, exec, s[42:43]
	s_and_saveexec_b64 s[42:43], s[20:21]
	s_cbranch_execnz .LBB942_268
.LBB942_201:
	s_or_b64 exec, exec, s[42:43]
	s_and_saveexec_b64 s[42:43], s[18:19]
	s_cbranch_execnz .LBB942_269
.LBB942_202:
	s_or_b64 exec, exec, s[42:43]
	s_and_saveexec_b64 s[42:43], s[16:17]
	s_cbranch_execnz .LBB942_270
.LBB942_203:
	s_or_b64 exec, exec, s[42:43]
	s_and_saveexec_b64 s[42:43], s[14:15]
	s_cbranch_execnz .LBB942_271
.LBB942_204:
	s_or_b64 exec, exec, s[42:43]
	s_and_saveexec_b64 s[42:43], s[12:13]
	s_cbranch_execnz .LBB942_272
.LBB942_205:
	s_or_b64 exec, exec, s[42:43]
	s_and_saveexec_b64 s[42:43], s[10:11]
	s_cbranch_execnz .LBB942_273
.LBB942_206:
	s_or_b64 exec, exec, s[42:43]
	s_and_saveexec_b64 s[42:43], s[8:9]
	s_cbranch_execnz .LBB942_274
.LBB942_207:
	s_or_b64 exec, exec, s[42:43]
	s_and_saveexec_b64 s[42:43], s[4:5]
	s_cbranch_execz .LBB942_209
.LBB942_208:
	v_sub_u32_e32 v23, v8, v47
	v_mov_b32_e32 v24, 0
	v_lshlrev_b64 v[23:24], 2, v[23:24]
	v_add_co_u32_e32 v23, vcc, v21, v23
	v_addc_co_u32_e32 v24, vcc, v22, v24, vcc
	global_store_dword v[23:24], v30, off
.LBB942_209:
	s_or_b64 exec, exec, s[42:43]
	s_and_b64 s[42:43], s[6:7], exec
	s_andn2_saveexec_b64 s[36:37], s[36:37]
	s_cbranch_execz .LBB942_156
.LBB942_210:
	v_sub_u32_e32 v23, v44, v47
	v_mov_b32_e32 v24, 0
	v_lshlrev_b64 v[25:26], 2, v[23:24]
	v_sub_u32_e32 v23, v20, v47
	v_add_co_u32_e32 v25, vcc, v21, v25
	v_addc_co_u32_e32 v26, vcc, v22, v26, vcc
	global_store_dword v[25:26], v41, off
	v_lshlrev_b64 v[25:26], 2, v[23:24]
	v_sub_u32_e32 v23, v19, v47
	v_add_co_u32_e32 v25, vcc, v21, v25
	v_addc_co_u32_e32 v26, vcc, v22, v26, vcc
	global_store_dword v[25:26], v42, off
	;; [unrolled: 5-line block ×12, first 2 shown]
	v_lshlrev_b64 v[25:26], 2, v[23:24]
	v_sub_u32_e32 v23, v8, v47
	v_add_co_u32_e32 v25, vcc, v21, v25
	v_lshlrev_b64 v[23:24], 2, v[23:24]
	v_addc_co_u32_e32 v26, vcc, v22, v26, vcc
	v_add_co_u32_e32 v23, vcc, v21, v23
	v_addc_co_u32_e32 v24, vcc, v22, v24, vcc
	s_or_b64 s[42:43], s[42:43], exec
	global_store_dword v[25:26], v29, off
	global_store_dword v[23:24], v30, off
	s_or_b64 exec, exec, s[36:37]
	s_and_b64 exec, exec, s[42:43]
	s_cbranch_execnz .LBB942_157
	s_branch .LBB942_158
.LBB942_211:
	s_and_saveexec_b64 s[42:43], s[34:35]
	s_cbranch_execnz .LBB942_275
; %bb.212:
	s_or_b64 exec, exec, s[42:43]
	s_and_saveexec_b64 s[34:35], s[30:31]
	s_cbranch_execnz .LBB942_276
.LBB942_213:
	s_or_b64 exec, exec, s[34:35]
	s_and_saveexec_b64 s[30:31], s[28:29]
	s_cbranch_execnz .LBB942_277
.LBB942_214:
	s_or_b64 exec, exec, s[30:31]
	s_and_saveexec_b64 s[28:29], s[26:27]
	s_cbranch_execnz .LBB942_278
.LBB942_215:
	s_or_b64 exec, exec, s[28:29]
	s_and_saveexec_b64 s[26:27], s[24:25]
	s_cbranch_execnz .LBB942_279
.LBB942_216:
	s_or_b64 exec, exec, s[26:27]
	s_and_saveexec_b64 s[24:25], s[22:23]
	s_cbranch_execnz .LBB942_280
.LBB942_217:
	s_or_b64 exec, exec, s[24:25]
	s_and_saveexec_b64 s[22:23], s[20:21]
	s_cbranch_execnz .LBB942_281
.LBB942_218:
	s_or_b64 exec, exec, s[22:23]
	s_and_saveexec_b64 s[20:21], s[18:19]
	s_cbranch_execnz .LBB942_282
.LBB942_219:
	s_or_b64 exec, exec, s[20:21]
	s_and_saveexec_b64 s[18:19], s[16:17]
	s_cbranch_execnz .LBB942_283
.LBB942_220:
	s_or_b64 exec, exec, s[18:19]
	s_and_saveexec_b64 s[16:17], s[14:15]
	s_cbranch_execnz .LBB942_284
.LBB942_221:
	s_or_b64 exec, exec, s[16:17]
	s_and_saveexec_b64 s[14:15], s[12:13]
	s_cbranch_execnz .LBB942_285
.LBB942_222:
	s_or_b64 exec, exec, s[14:15]
	s_and_saveexec_b64 s[12:13], s[10:11]
	s_cbranch_execnz .LBB942_286
.LBB942_223:
	s_or_b64 exec, exec, s[12:13]
	s_and_saveexec_b64 s[10:11], s[8:9]
	s_cbranch_execnz .LBB942_287
.LBB942_224:
	s_or_b64 exec, exec, s[10:11]
	s_and_saveexec_b64 s[8:9], s[4:5]
.LBB942_225:
	v_sub_u32_e32 v5, v8, v47
	v_lshlrev_b32_e32 v5, 2, v5
	ds_write_b32 v5, v30
.LBB942_226:
	s_or_b64 exec, exec, s[8:9]
	s_and_b64 s[42:43], s[6:7], exec
                                        ; implicit-def: $vgpr41
                                        ; implicit-def: $vgpr39
                                        ; implicit-def: $vgpr37
                                        ; implicit-def: $vgpr35
                                        ; implicit-def: $vgpr33
                                        ; implicit-def: $vgpr31
                                        ; implicit-def: $vgpr29
	s_andn2_saveexec_b64 s[4:5], s[40:41]
	s_cbranch_execz .LBB942_163
.LBB942_227:
	v_sub_u32_e32 v5, v44, v47
	v_lshlrev_b32_e32 v5, 2, v5
	ds_write_b32 v5, v41
	v_sub_u32_e32 v5, v20, v47
	v_lshlrev_b32_e32 v5, 2, v5
	ds_write_b32 v5, v42
	;; [unrolled: 3-line block ×13, first 2 shown]
	v_sub_u32_e32 v5, v8, v47
	v_lshlrev_b32_e32 v5, 2, v5
	s_or_b64 s[42:43], s[42:43], exec
	ds_write_b32 v5, v30
	s_or_b64 exec, exec, s[4:5]
	s_and_b64 exec, exec, s[42:43]
	s_cbranch_execnz .LBB942_164
	s_branch .LBB942_165
.LBB942_228:
	s_and_saveexec_b64 s[42:43], s[34:35]
	s_cbranch_execnz .LBB942_288
; %bb.229:
	s_or_b64 exec, exec, s[42:43]
	s_and_saveexec_b64 s[42:43], s[30:31]
	s_cbranch_execnz .LBB942_289
.LBB942_230:
	s_or_b64 exec, exec, s[42:43]
	s_and_saveexec_b64 s[42:43], s[28:29]
	s_cbranch_execnz .LBB942_290
.LBB942_231:
	s_or_b64 exec, exec, s[42:43]
	s_and_saveexec_b64 s[42:43], s[26:27]
	s_cbranch_execnz .LBB942_291
.LBB942_232:
	s_or_b64 exec, exec, s[42:43]
	s_and_saveexec_b64 s[42:43], s[24:25]
	s_cbranch_execnz .LBB942_292
.LBB942_233:
	s_or_b64 exec, exec, s[42:43]
	s_and_saveexec_b64 s[42:43], s[22:23]
	s_cbranch_execnz .LBB942_293
.LBB942_234:
	s_or_b64 exec, exec, s[42:43]
	s_and_saveexec_b64 s[42:43], s[20:21]
	s_cbranch_execnz .LBB942_294
.LBB942_235:
	s_or_b64 exec, exec, s[42:43]
	s_and_saveexec_b64 s[42:43], s[18:19]
	s_cbranch_execnz .LBB942_295
.LBB942_236:
	s_or_b64 exec, exec, s[42:43]
	s_and_saveexec_b64 s[42:43], s[16:17]
	s_cbranch_execnz .LBB942_296
.LBB942_237:
	s_or_b64 exec, exec, s[42:43]
	s_and_saveexec_b64 s[42:43], s[14:15]
	s_cbranch_execnz .LBB942_297
.LBB942_238:
	s_or_b64 exec, exec, s[42:43]
	s_and_saveexec_b64 s[42:43], s[12:13]
	s_cbranch_execnz .LBB942_298
.LBB942_239:
	s_or_b64 exec, exec, s[42:43]
	s_and_saveexec_b64 s[42:43], s[8:9]
	s_cbranch_execnz .LBB942_299
.LBB942_240:
	s_or_b64 exec, exec, s[42:43]
	s_and_saveexec_b64 s[42:43], s[10:11]
	s_cbranch_execnz .LBB942_300
.LBB942_241:
	s_or_b64 exec, exec, s[42:43]
	s_and_saveexec_b64 s[42:43], s[6:7]
	s_cbranch_execz .LBB942_243
.LBB942_242:
	v_sub_u32_e32 v26, v8, v24
	v_mov_b32_e32 v27, 0
	v_lshlrev_b64 v[26:27], 3, v[26:27]
	v_add_co_u32_e32 v26, vcc, v22, v26
	v_addc_co_u32_e32 v27, vcc, v23, v27, vcc
	global_store_dwordx2 v[26:27], v[77:78], off
.LBB942_243:
	s_or_b64 exec, exec, s[42:43]
	s_and_b64 s[42:43], s[4:5], exec
	s_andn2_saveexec_b64 s[36:37], s[36:37]
	s_cbranch_execz .LBB942_177
.LBB942_244:
	v_sub_u32_e32 v26, v44, v24
	v_mov_b32_e32 v27, 0
	v_lshlrev_b64 v[28:29], 3, v[26:27]
	v_sub_u32_e32 v26, v20, v24
	v_add_co_u32_e32 v28, vcc, v22, v28
	v_addc_co_u32_e32 v29, vcc, v23, v29, vcc
	global_store_dwordx2 v[28:29], v[75:76], off
	v_lshlrev_b64 v[28:29], 3, v[26:27]
	v_sub_u32_e32 v26, v19, v24
	v_add_co_u32_e32 v28, vcc, v22, v28
	v_addc_co_u32_e32 v29, vcc, v23, v29, vcc
	global_store_dwordx2 v[28:29], v[49:50], off
	;; [unrolled: 5-line block ×12, first 2 shown]
	v_lshlrev_b64 v[28:29], 3, v[26:27]
	v_sub_u32_e32 v26, v8, v24
	v_add_co_u32_e32 v28, vcc, v22, v28
	v_lshlrev_b64 v[26:27], 3, v[26:27]
	v_addc_co_u32_e32 v29, vcc, v23, v29, vcc
	v_add_co_u32_e32 v26, vcc, v22, v26
	v_addc_co_u32_e32 v27, vcc, v23, v27, vcc
	s_or_b64 s[42:43], s[42:43], exec
	global_store_dwordx2 v[28:29], v[71:72], off
	global_store_dwordx2 v[26:27], v[77:78], off
	s_or_b64 exec, exec, s[36:37]
	s_and_b64 exec, exec, s[42:43]
	s_cbranch_execnz .LBB942_178
	s_branch .LBB942_179
.LBB942_245:
	s_and_saveexec_b64 s[42:43], s[34:35]
	s_cbranch_execnz .LBB942_301
; %bb.246:
	s_or_b64 exec, exec, s[42:43]
	s_and_saveexec_b64 s[34:35], s[30:31]
	s_cbranch_execnz .LBB942_302
.LBB942_247:
	s_or_b64 exec, exec, s[34:35]
	s_and_saveexec_b64 s[30:31], s[28:29]
	s_cbranch_execnz .LBB942_303
.LBB942_248:
	s_or_b64 exec, exec, s[30:31]
	s_and_saveexec_b64 s[28:29], s[26:27]
	s_cbranch_execnz .LBB942_304
.LBB942_249:
	s_or_b64 exec, exec, s[28:29]
	s_and_saveexec_b64 s[26:27], s[24:25]
	s_cbranch_execnz .LBB942_305
.LBB942_250:
	s_or_b64 exec, exec, s[26:27]
	s_and_saveexec_b64 s[24:25], s[22:23]
	s_cbranch_execnz .LBB942_306
.LBB942_251:
	s_or_b64 exec, exec, s[24:25]
	s_and_saveexec_b64 s[22:23], s[20:21]
	s_cbranch_execnz .LBB942_307
.LBB942_252:
	s_or_b64 exec, exec, s[22:23]
	s_and_saveexec_b64 s[20:21], s[18:19]
	s_cbranch_execnz .LBB942_308
.LBB942_253:
	s_or_b64 exec, exec, s[20:21]
	s_and_saveexec_b64 s[18:19], s[16:17]
	s_cbranch_execnz .LBB942_309
.LBB942_254:
	s_or_b64 exec, exec, s[18:19]
	s_and_saveexec_b64 s[16:17], s[14:15]
	s_cbranch_execnz .LBB942_310
.LBB942_255:
	s_or_b64 exec, exec, s[16:17]
	s_and_saveexec_b64 s[14:15], s[12:13]
	s_cbranch_execnz .LBB942_311
.LBB942_256:
	s_or_b64 exec, exec, s[14:15]
	s_and_saveexec_b64 s[12:13], s[8:9]
	s_cbranch_execnz .LBB942_312
.LBB942_257:
	s_or_b64 exec, exec, s[12:13]
	s_and_saveexec_b64 s[8:9], s[10:11]
	s_cbranch_execnz .LBB942_313
.LBB942_258:
	s_or_b64 exec, exec, s[8:9]
	s_and_saveexec_b64 s[8:9], s[6:7]
.LBB942_259:
	v_sub_u32_e32 v8, v8, v24
	v_lshlrev_b32_e32 v8, 3, v8
	ds_write_b64 v8, v[77:78]
.LBB942_260:
	s_or_b64 exec, exec, s[8:9]
	s_and_b64 s[42:43], s[4:5], exec
                                        ; implicit-def: $vgpr75_vgpr76
                                        ; implicit-def: $vgpr49_vgpr50
                                        ; implicit-def: $vgpr51_vgpr52
                                        ; implicit-def: $vgpr53_vgpr54
                                        ; implicit-def: $vgpr55_vgpr56
                                        ; implicit-def: $vgpr57_vgpr58
                                        ; implicit-def: $vgpr59_vgpr60
                                        ; implicit-def: $vgpr61_vgpr62
                                        ; implicit-def: $vgpr63_vgpr64
                                        ; implicit-def: $vgpr65_vgpr66
                                        ; implicit-def: $vgpr67_vgpr68
                                        ; implicit-def: $vgpr69_vgpr70
                                        ; implicit-def: $vgpr71_vgpr72
                                        ; implicit-def: $vgpr77_vgpr78
                                        ; implicit-def: $vgpr44
                                        ; implicit-def: $vgpr20
                                        ; implicit-def: $vgpr19
                                        ; implicit-def: $vgpr18
                                        ; implicit-def: $vgpr17
                                        ; implicit-def: $vgpr16
                                        ; implicit-def: $vgpr15
                                        ; implicit-def: $vgpr14
                                        ; implicit-def: $vgpr13
                                        ; implicit-def: $vgpr12
                                        ; implicit-def: $vgpr11
                                        ; implicit-def: $vgpr10
                                        ; implicit-def: $vgpr9
                                        ; implicit-def: $vgpr8
	s_andn2_saveexec_b64 s[4:5], s[40:41]
	s_cbranch_execz .LBB942_184
.LBB942_261:
	v_sub_u32_e32 v25, v44, v24
	v_sub_u32_e32 v20, v20, v24
	;; [unrolled: 1-line block ×14, first 2 shown]
	v_lshlrev_b32_e32 v25, 3, v25
	v_lshlrev_b32_e32 v20, 3, v20
	;; [unrolled: 1-line block ×14, first 2 shown]
	s_or_b64 s[42:43], s[42:43], exec
	ds_write_b64 v25, v[75:76]
	ds_write_b64 v20, v[49:50]
	;; [unrolled: 1-line block ×14, first 2 shown]
	s_or_b64 exec, exec, s[4:5]
	s_and_b64 exec, exec, s[42:43]
	s_cbranch_execnz .LBB942_185
	s_branch .LBB942_186
.LBB942_262:
	v_sub_u32_e32 v23, v44, v47
	v_mov_b32_e32 v24, 0
	v_lshlrev_b64 v[23:24], 2, v[23:24]
	v_add_co_u32_e32 v23, vcc, v21, v23
	v_addc_co_u32_e32 v24, vcc, v22, v24, vcc
	global_store_dword v[23:24], v41, off
	s_or_b64 exec, exec, s[42:43]
	s_and_saveexec_b64 s[42:43], s[30:31]
	s_cbranch_execz .LBB942_196
.LBB942_263:
	v_sub_u32_e32 v23, v20, v47
	v_mov_b32_e32 v24, 0
	v_lshlrev_b64 v[23:24], 2, v[23:24]
	v_add_co_u32_e32 v23, vcc, v21, v23
	v_addc_co_u32_e32 v24, vcc, v22, v24, vcc
	global_store_dword v[23:24], v42, off
	s_or_b64 exec, exec, s[42:43]
	s_and_saveexec_b64 s[42:43], s[28:29]
	s_cbranch_execz .LBB942_197
.LBB942_264:
	v_sub_u32_e32 v23, v19, v47
	v_mov_b32_e32 v24, 0
	v_lshlrev_b64 v[23:24], 2, v[23:24]
	v_add_co_u32_e32 v23, vcc, v21, v23
	v_addc_co_u32_e32 v24, vcc, v22, v24, vcc
	global_store_dword v[23:24], v39, off
	s_or_b64 exec, exec, s[42:43]
	s_and_saveexec_b64 s[42:43], s[26:27]
	s_cbranch_execz .LBB942_198
.LBB942_265:
	v_sub_u32_e32 v23, v18, v47
	v_mov_b32_e32 v24, 0
	v_lshlrev_b64 v[23:24], 2, v[23:24]
	v_add_co_u32_e32 v23, vcc, v21, v23
	v_addc_co_u32_e32 v24, vcc, v22, v24, vcc
	global_store_dword v[23:24], v40, off
	s_or_b64 exec, exec, s[42:43]
	s_and_saveexec_b64 s[42:43], s[24:25]
	s_cbranch_execz .LBB942_199
.LBB942_266:
	v_sub_u32_e32 v23, v17, v47
	v_mov_b32_e32 v24, 0
	v_lshlrev_b64 v[23:24], 2, v[23:24]
	v_add_co_u32_e32 v23, vcc, v21, v23
	v_addc_co_u32_e32 v24, vcc, v22, v24, vcc
	global_store_dword v[23:24], v37, off
	s_or_b64 exec, exec, s[42:43]
	s_and_saveexec_b64 s[42:43], s[22:23]
	s_cbranch_execz .LBB942_200
.LBB942_267:
	v_sub_u32_e32 v23, v16, v47
	v_mov_b32_e32 v24, 0
	v_lshlrev_b64 v[23:24], 2, v[23:24]
	v_add_co_u32_e32 v23, vcc, v21, v23
	v_addc_co_u32_e32 v24, vcc, v22, v24, vcc
	global_store_dword v[23:24], v38, off
	s_or_b64 exec, exec, s[42:43]
	s_and_saveexec_b64 s[42:43], s[20:21]
	s_cbranch_execz .LBB942_201
.LBB942_268:
	v_sub_u32_e32 v23, v15, v47
	v_mov_b32_e32 v24, 0
	v_lshlrev_b64 v[23:24], 2, v[23:24]
	v_add_co_u32_e32 v23, vcc, v21, v23
	v_addc_co_u32_e32 v24, vcc, v22, v24, vcc
	global_store_dword v[23:24], v35, off
	s_or_b64 exec, exec, s[42:43]
	s_and_saveexec_b64 s[42:43], s[18:19]
	s_cbranch_execz .LBB942_202
.LBB942_269:
	v_sub_u32_e32 v23, v14, v47
	v_mov_b32_e32 v24, 0
	v_lshlrev_b64 v[23:24], 2, v[23:24]
	v_add_co_u32_e32 v23, vcc, v21, v23
	v_addc_co_u32_e32 v24, vcc, v22, v24, vcc
	global_store_dword v[23:24], v36, off
	s_or_b64 exec, exec, s[42:43]
	s_and_saveexec_b64 s[42:43], s[16:17]
	s_cbranch_execz .LBB942_203
.LBB942_270:
	v_sub_u32_e32 v23, v13, v47
	v_mov_b32_e32 v24, 0
	v_lshlrev_b64 v[23:24], 2, v[23:24]
	v_add_co_u32_e32 v23, vcc, v21, v23
	v_addc_co_u32_e32 v24, vcc, v22, v24, vcc
	global_store_dword v[23:24], v33, off
	s_or_b64 exec, exec, s[42:43]
	s_and_saveexec_b64 s[42:43], s[14:15]
	s_cbranch_execz .LBB942_204
.LBB942_271:
	v_sub_u32_e32 v23, v12, v47
	v_mov_b32_e32 v24, 0
	v_lshlrev_b64 v[23:24], 2, v[23:24]
	v_add_co_u32_e32 v23, vcc, v21, v23
	v_addc_co_u32_e32 v24, vcc, v22, v24, vcc
	global_store_dword v[23:24], v34, off
	s_or_b64 exec, exec, s[42:43]
	s_and_saveexec_b64 s[42:43], s[12:13]
	s_cbranch_execz .LBB942_205
.LBB942_272:
	v_sub_u32_e32 v23, v11, v47
	v_mov_b32_e32 v24, 0
	v_lshlrev_b64 v[23:24], 2, v[23:24]
	v_add_co_u32_e32 v23, vcc, v21, v23
	v_addc_co_u32_e32 v24, vcc, v22, v24, vcc
	global_store_dword v[23:24], v31, off
	s_or_b64 exec, exec, s[42:43]
	s_and_saveexec_b64 s[42:43], s[10:11]
	s_cbranch_execz .LBB942_206
.LBB942_273:
	v_sub_u32_e32 v23, v10, v47
	v_mov_b32_e32 v24, 0
	v_lshlrev_b64 v[23:24], 2, v[23:24]
	v_add_co_u32_e32 v23, vcc, v21, v23
	v_addc_co_u32_e32 v24, vcc, v22, v24, vcc
	global_store_dword v[23:24], v32, off
	s_or_b64 exec, exec, s[42:43]
	s_and_saveexec_b64 s[42:43], s[8:9]
	s_cbranch_execz .LBB942_207
.LBB942_274:
	v_sub_u32_e32 v23, v9, v47
	v_mov_b32_e32 v24, 0
	v_lshlrev_b64 v[23:24], 2, v[23:24]
	v_add_co_u32_e32 v23, vcc, v21, v23
	v_addc_co_u32_e32 v24, vcc, v22, v24, vcc
	global_store_dword v[23:24], v29, off
	s_or_b64 exec, exec, s[42:43]
	s_and_saveexec_b64 s[42:43], s[4:5]
	s_cbranch_execnz .LBB942_208
	s_branch .LBB942_209
.LBB942_275:
	v_sub_u32_e32 v5, v44, v47
	v_lshlrev_b32_e32 v5, 2, v5
	ds_write_b32 v5, v41
	s_or_b64 exec, exec, s[42:43]
	s_and_saveexec_b64 s[34:35], s[30:31]
	s_cbranch_execz .LBB942_213
.LBB942_276:
	v_sub_u32_e32 v5, v20, v47
	v_lshlrev_b32_e32 v5, 2, v5
	ds_write_b32 v5, v42
	s_or_b64 exec, exec, s[34:35]
	s_and_saveexec_b64 s[30:31], s[28:29]
	s_cbranch_execz .LBB942_214
.LBB942_277:
	v_sub_u32_e32 v5, v19, v47
	v_lshlrev_b32_e32 v5, 2, v5
	ds_write_b32 v5, v39
	s_or_b64 exec, exec, s[30:31]
	s_and_saveexec_b64 s[28:29], s[26:27]
	s_cbranch_execz .LBB942_215
.LBB942_278:
	v_sub_u32_e32 v5, v18, v47
	v_lshlrev_b32_e32 v5, 2, v5
	ds_write_b32 v5, v40
	s_or_b64 exec, exec, s[28:29]
	s_and_saveexec_b64 s[26:27], s[24:25]
	s_cbranch_execz .LBB942_216
.LBB942_279:
	v_sub_u32_e32 v5, v17, v47
	v_lshlrev_b32_e32 v5, 2, v5
	ds_write_b32 v5, v37
	s_or_b64 exec, exec, s[26:27]
	s_and_saveexec_b64 s[24:25], s[22:23]
	s_cbranch_execz .LBB942_217
.LBB942_280:
	v_sub_u32_e32 v5, v16, v47
	v_lshlrev_b32_e32 v5, 2, v5
	ds_write_b32 v5, v38
	s_or_b64 exec, exec, s[24:25]
	s_and_saveexec_b64 s[22:23], s[20:21]
	s_cbranch_execz .LBB942_218
.LBB942_281:
	v_sub_u32_e32 v5, v15, v47
	v_lshlrev_b32_e32 v5, 2, v5
	ds_write_b32 v5, v35
	s_or_b64 exec, exec, s[22:23]
	s_and_saveexec_b64 s[20:21], s[18:19]
	s_cbranch_execz .LBB942_219
.LBB942_282:
	v_sub_u32_e32 v5, v14, v47
	v_lshlrev_b32_e32 v5, 2, v5
	ds_write_b32 v5, v36
	s_or_b64 exec, exec, s[20:21]
	s_and_saveexec_b64 s[18:19], s[16:17]
	s_cbranch_execz .LBB942_220
.LBB942_283:
	v_sub_u32_e32 v5, v13, v47
	v_lshlrev_b32_e32 v5, 2, v5
	ds_write_b32 v5, v33
	s_or_b64 exec, exec, s[18:19]
	s_and_saveexec_b64 s[16:17], s[14:15]
	s_cbranch_execz .LBB942_221
.LBB942_284:
	v_sub_u32_e32 v5, v12, v47
	v_lshlrev_b32_e32 v5, 2, v5
	ds_write_b32 v5, v34
	s_or_b64 exec, exec, s[16:17]
	s_and_saveexec_b64 s[14:15], s[12:13]
	s_cbranch_execz .LBB942_222
.LBB942_285:
	v_sub_u32_e32 v5, v11, v47
	v_lshlrev_b32_e32 v5, 2, v5
	ds_write_b32 v5, v31
	s_or_b64 exec, exec, s[14:15]
	s_and_saveexec_b64 s[12:13], s[10:11]
	s_cbranch_execz .LBB942_223
.LBB942_286:
	v_sub_u32_e32 v5, v10, v47
	v_lshlrev_b32_e32 v5, 2, v5
	ds_write_b32 v5, v32
	s_or_b64 exec, exec, s[12:13]
	s_and_saveexec_b64 s[10:11], s[8:9]
	s_cbranch_execz .LBB942_224
.LBB942_287:
	v_sub_u32_e32 v5, v9, v47
	v_lshlrev_b32_e32 v5, 2, v5
	ds_write_b32 v5, v29
	s_or_b64 exec, exec, s[10:11]
	s_and_saveexec_b64 s[8:9], s[4:5]
	s_cbranch_execnz .LBB942_225
	s_branch .LBB942_226
.LBB942_288:
	v_sub_u32_e32 v26, v44, v24
	v_mov_b32_e32 v27, 0
	v_lshlrev_b64 v[26:27], 3, v[26:27]
	v_add_co_u32_e32 v26, vcc, v22, v26
	v_addc_co_u32_e32 v27, vcc, v23, v27, vcc
	global_store_dwordx2 v[26:27], v[75:76], off
	s_or_b64 exec, exec, s[42:43]
	s_and_saveexec_b64 s[42:43], s[30:31]
	s_cbranch_execz .LBB942_230
.LBB942_289:
	v_sub_u32_e32 v26, v20, v24
	v_mov_b32_e32 v27, 0
	v_lshlrev_b64 v[26:27], 3, v[26:27]
	v_add_co_u32_e32 v26, vcc, v22, v26
	v_addc_co_u32_e32 v27, vcc, v23, v27, vcc
	global_store_dwordx2 v[26:27], v[49:50], off
	s_or_b64 exec, exec, s[42:43]
	s_and_saveexec_b64 s[42:43], s[28:29]
	s_cbranch_execz .LBB942_231
.LBB942_290:
	v_sub_u32_e32 v26, v19, v24
	v_mov_b32_e32 v27, 0
	v_lshlrev_b64 v[26:27], 3, v[26:27]
	v_add_co_u32_e32 v26, vcc, v22, v26
	v_addc_co_u32_e32 v27, vcc, v23, v27, vcc
	global_store_dwordx2 v[26:27], v[51:52], off
	s_or_b64 exec, exec, s[42:43]
	s_and_saveexec_b64 s[42:43], s[26:27]
	s_cbranch_execz .LBB942_232
.LBB942_291:
	v_sub_u32_e32 v26, v18, v24
	v_mov_b32_e32 v27, 0
	v_lshlrev_b64 v[26:27], 3, v[26:27]
	v_add_co_u32_e32 v26, vcc, v22, v26
	v_addc_co_u32_e32 v27, vcc, v23, v27, vcc
	global_store_dwordx2 v[26:27], v[53:54], off
	s_or_b64 exec, exec, s[42:43]
	s_and_saveexec_b64 s[42:43], s[24:25]
	s_cbranch_execz .LBB942_233
.LBB942_292:
	v_sub_u32_e32 v26, v17, v24
	v_mov_b32_e32 v27, 0
	v_lshlrev_b64 v[26:27], 3, v[26:27]
	v_add_co_u32_e32 v26, vcc, v22, v26
	v_addc_co_u32_e32 v27, vcc, v23, v27, vcc
	global_store_dwordx2 v[26:27], v[55:56], off
	s_or_b64 exec, exec, s[42:43]
	s_and_saveexec_b64 s[42:43], s[22:23]
	s_cbranch_execz .LBB942_234
.LBB942_293:
	v_sub_u32_e32 v26, v16, v24
	v_mov_b32_e32 v27, 0
	v_lshlrev_b64 v[26:27], 3, v[26:27]
	v_add_co_u32_e32 v26, vcc, v22, v26
	v_addc_co_u32_e32 v27, vcc, v23, v27, vcc
	global_store_dwordx2 v[26:27], v[57:58], off
	s_or_b64 exec, exec, s[42:43]
	s_and_saveexec_b64 s[42:43], s[20:21]
	s_cbranch_execz .LBB942_235
.LBB942_294:
	v_sub_u32_e32 v26, v15, v24
	v_mov_b32_e32 v27, 0
	v_lshlrev_b64 v[26:27], 3, v[26:27]
	v_add_co_u32_e32 v26, vcc, v22, v26
	v_addc_co_u32_e32 v27, vcc, v23, v27, vcc
	global_store_dwordx2 v[26:27], v[59:60], off
	s_or_b64 exec, exec, s[42:43]
	s_and_saveexec_b64 s[42:43], s[18:19]
	s_cbranch_execz .LBB942_236
.LBB942_295:
	v_sub_u32_e32 v26, v14, v24
	v_mov_b32_e32 v27, 0
	v_lshlrev_b64 v[26:27], 3, v[26:27]
	v_add_co_u32_e32 v26, vcc, v22, v26
	v_addc_co_u32_e32 v27, vcc, v23, v27, vcc
	global_store_dwordx2 v[26:27], v[61:62], off
	s_or_b64 exec, exec, s[42:43]
	s_and_saveexec_b64 s[42:43], s[16:17]
	s_cbranch_execz .LBB942_237
.LBB942_296:
	v_sub_u32_e32 v26, v13, v24
	v_mov_b32_e32 v27, 0
	v_lshlrev_b64 v[26:27], 3, v[26:27]
	v_add_co_u32_e32 v26, vcc, v22, v26
	v_addc_co_u32_e32 v27, vcc, v23, v27, vcc
	global_store_dwordx2 v[26:27], v[63:64], off
	s_or_b64 exec, exec, s[42:43]
	s_and_saveexec_b64 s[42:43], s[14:15]
	s_cbranch_execz .LBB942_238
.LBB942_297:
	v_sub_u32_e32 v26, v12, v24
	v_mov_b32_e32 v27, 0
	v_lshlrev_b64 v[26:27], 3, v[26:27]
	v_add_co_u32_e32 v26, vcc, v22, v26
	v_addc_co_u32_e32 v27, vcc, v23, v27, vcc
	global_store_dwordx2 v[26:27], v[65:66], off
	s_or_b64 exec, exec, s[42:43]
	s_and_saveexec_b64 s[42:43], s[12:13]
	s_cbranch_execz .LBB942_239
.LBB942_298:
	v_sub_u32_e32 v26, v11, v24
	v_mov_b32_e32 v27, 0
	v_lshlrev_b64 v[26:27], 3, v[26:27]
	v_add_co_u32_e32 v26, vcc, v22, v26
	v_addc_co_u32_e32 v27, vcc, v23, v27, vcc
	global_store_dwordx2 v[26:27], v[67:68], off
	s_or_b64 exec, exec, s[42:43]
	s_and_saveexec_b64 s[42:43], s[8:9]
	s_cbranch_execz .LBB942_240
.LBB942_299:
	v_sub_u32_e32 v26, v10, v24
	v_mov_b32_e32 v27, 0
	v_lshlrev_b64 v[26:27], 3, v[26:27]
	v_add_co_u32_e32 v26, vcc, v22, v26
	v_addc_co_u32_e32 v27, vcc, v23, v27, vcc
	global_store_dwordx2 v[26:27], v[69:70], off
	s_or_b64 exec, exec, s[42:43]
	s_and_saveexec_b64 s[42:43], s[10:11]
	s_cbranch_execz .LBB942_241
.LBB942_300:
	v_sub_u32_e32 v26, v9, v24
	v_mov_b32_e32 v27, 0
	v_lshlrev_b64 v[26:27], 3, v[26:27]
	v_add_co_u32_e32 v26, vcc, v22, v26
	v_addc_co_u32_e32 v27, vcc, v23, v27, vcc
	global_store_dwordx2 v[26:27], v[71:72], off
	s_or_b64 exec, exec, s[42:43]
	s_and_saveexec_b64 s[42:43], s[6:7]
	s_cbranch_execnz .LBB942_242
	s_branch .LBB942_243
.LBB942_301:
	v_sub_u32_e32 v25, v44, v24
	v_lshlrev_b32_e32 v25, 3, v25
	ds_write_b64 v25, v[75:76]
	s_or_b64 exec, exec, s[42:43]
	s_and_saveexec_b64 s[34:35], s[30:31]
	s_cbranch_execz .LBB942_247
.LBB942_302:
	v_sub_u32_e32 v20, v20, v24
	v_lshlrev_b32_e32 v20, 3, v20
	ds_write_b64 v20, v[49:50]
	s_or_b64 exec, exec, s[34:35]
	s_and_saveexec_b64 s[30:31], s[28:29]
	s_cbranch_execz .LBB942_248
.LBB942_303:
	v_sub_u32_e32 v19, v19, v24
	v_lshlrev_b32_e32 v19, 3, v19
	ds_write_b64 v19, v[51:52]
	s_or_b64 exec, exec, s[30:31]
	s_and_saveexec_b64 s[28:29], s[26:27]
	s_cbranch_execz .LBB942_249
.LBB942_304:
	v_sub_u32_e32 v18, v18, v24
	v_lshlrev_b32_e32 v18, 3, v18
	ds_write_b64 v18, v[53:54]
	s_or_b64 exec, exec, s[28:29]
	s_and_saveexec_b64 s[26:27], s[24:25]
	s_cbranch_execz .LBB942_250
.LBB942_305:
	v_sub_u32_e32 v17, v17, v24
	v_lshlrev_b32_e32 v17, 3, v17
	ds_write_b64 v17, v[55:56]
	s_or_b64 exec, exec, s[26:27]
	s_and_saveexec_b64 s[24:25], s[22:23]
	s_cbranch_execz .LBB942_251
.LBB942_306:
	v_sub_u32_e32 v16, v16, v24
	v_lshlrev_b32_e32 v16, 3, v16
	ds_write_b64 v16, v[57:58]
	s_or_b64 exec, exec, s[24:25]
	s_and_saveexec_b64 s[22:23], s[20:21]
	s_cbranch_execz .LBB942_252
.LBB942_307:
	v_sub_u32_e32 v15, v15, v24
	v_lshlrev_b32_e32 v15, 3, v15
	ds_write_b64 v15, v[59:60]
	s_or_b64 exec, exec, s[22:23]
	s_and_saveexec_b64 s[20:21], s[18:19]
	s_cbranch_execz .LBB942_253
.LBB942_308:
	v_sub_u32_e32 v14, v14, v24
	v_lshlrev_b32_e32 v14, 3, v14
	ds_write_b64 v14, v[61:62]
	s_or_b64 exec, exec, s[20:21]
	s_and_saveexec_b64 s[18:19], s[16:17]
	s_cbranch_execz .LBB942_254
.LBB942_309:
	v_sub_u32_e32 v13, v13, v24
	v_lshlrev_b32_e32 v13, 3, v13
	ds_write_b64 v13, v[63:64]
	s_or_b64 exec, exec, s[18:19]
	s_and_saveexec_b64 s[16:17], s[14:15]
	s_cbranch_execz .LBB942_255
.LBB942_310:
	v_sub_u32_e32 v12, v12, v24
	v_lshlrev_b32_e32 v12, 3, v12
	ds_write_b64 v12, v[65:66]
	s_or_b64 exec, exec, s[16:17]
	s_and_saveexec_b64 s[14:15], s[12:13]
	s_cbranch_execz .LBB942_256
.LBB942_311:
	v_sub_u32_e32 v11, v11, v24
	v_lshlrev_b32_e32 v11, 3, v11
	ds_write_b64 v11, v[67:68]
	s_or_b64 exec, exec, s[14:15]
	s_and_saveexec_b64 s[12:13], s[8:9]
	s_cbranch_execz .LBB942_257
.LBB942_312:
	v_sub_u32_e32 v10, v10, v24
	v_lshlrev_b32_e32 v10, 3, v10
	ds_write_b64 v10, v[69:70]
	s_or_b64 exec, exec, s[12:13]
	s_and_saveexec_b64 s[8:9], s[10:11]
	s_cbranch_execz .LBB942_258
.LBB942_313:
	v_sub_u32_e32 v9, v9, v24
	v_lshlrev_b32_e32 v9, 3, v9
	ds_write_b64 v9, v[71:72]
	s_or_b64 exec, exec, s[8:9]
	s_and_saveexec_b64 s[8:9], s[6:7]
	s_cbranch_execnz .LBB942_259
	s_branch .LBB942_260
	.section	.rodata,"a",@progbits
	.p2align	6, 0x0
	.amdhsa_kernel _ZN7rocprim17ROCPRIM_400000_NS6detail17trampoline_kernelINS0_14default_configENS1_29reduce_by_key_config_selectorIilN6thrust23THRUST_200600_302600_NS4plusIlEEEEZZNS1_33reduce_by_key_impl_wrapped_configILNS1_25lookback_scan_determinismE0ES3_S9_PiNS6_17constant_iteratorIiNS6_11use_defaultESE_EENS6_10device_ptrIiEENSG_IlEEPmS8_NS6_8equal_toIiEEEE10hipError_tPvRmT2_T3_mT4_T5_T6_T7_T8_P12ihipStream_tbENKUlT_T0_E_clISt17integral_constantIbLb0EES13_EEDaSY_SZ_EUlSY_E_NS1_11comp_targetILNS1_3genE2ELNS1_11target_archE906ELNS1_3gpuE6ELNS1_3repE0EEENS1_30default_config_static_selectorELNS0_4arch9wavefront6targetE1EEEvT1_
		.amdhsa_group_segment_fixed_size 30720
		.amdhsa_private_segment_fixed_size 64
		.amdhsa_kernarg_size 144
		.amdhsa_user_sgpr_count 6
		.amdhsa_user_sgpr_private_segment_buffer 1
		.amdhsa_user_sgpr_dispatch_ptr 0
		.amdhsa_user_sgpr_queue_ptr 0
		.amdhsa_user_sgpr_kernarg_segment_ptr 1
		.amdhsa_user_sgpr_dispatch_id 0
		.amdhsa_user_sgpr_flat_scratch_init 0
		.amdhsa_user_sgpr_private_segment_size 0
		.amdhsa_uses_dynamic_stack 0
		.amdhsa_system_sgpr_private_segment_wavefront_offset 1
		.amdhsa_system_sgpr_workgroup_id_x 1
		.amdhsa_system_sgpr_workgroup_id_y 0
		.amdhsa_system_sgpr_workgroup_id_z 0
		.amdhsa_system_sgpr_workgroup_info 0
		.amdhsa_system_vgpr_workitem_id 0
		.amdhsa_next_free_vgpr 102
		.amdhsa_next_free_sgpr 98
		.amdhsa_reserve_vcc 1
		.amdhsa_reserve_flat_scratch 0
		.amdhsa_float_round_mode_32 0
		.amdhsa_float_round_mode_16_64 0
		.amdhsa_float_denorm_mode_32 3
		.amdhsa_float_denorm_mode_16_64 3
		.amdhsa_dx10_clamp 1
		.amdhsa_ieee_mode 1
		.amdhsa_fp16_overflow 0
		.amdhsa_exception_fp_ieee_invalid_op 0
		.amdhsa_exception_fp_denorm_src 0
		.amdhsa_exception_fp_ieee_div_zero 0
		.amdhsa_exception_fp_ieee_overflow 0
		.amdhsa_exception_fp_ieee_underflow 0
		.amdhsa_exception_fp_ieee_inexact 0
		.amdhsa_exception_int_div_zero 0
	.end_amdhsa_kernel
	.section	.text._ZN7rocprim17ROCPRIM_400000_NS6detail17trampoline_kernelINS0_14default_configENS1_29reduce_by_key_config_selectorIilN6thrust23THRUST_200600_302600_NS4plusIlEEEEZZNS1_33reduce_by_key_impl_wrapped_configILNS1_25lookback_scan_determinismE0ES3_S9_PiNS6_17constant_iteratorIiNS6_11use_defaultESE_EENS6_10device_ptrIiEENSG_IlEEPmS8_NS6_8equal_toIiEEEE10hipError_tPvRmT2_T3_mT4_T5_T6_T7_T8_P12ihipStream_tbENKUlT_T0_E_clISt17integral_constantIbLb0EES13_EEDaSY_SZ_EUlSY_E_NS1_11comp_targetILNS1_3genE2ELNS1_11target_archE906ELNS1_3gpuE6ELNS1_3repE0EEENS1_30default_config_static_selectorELNS0_4arch9wavefront6targetE1EEEvT1_,"axG",@progbits,_ZN7rocprim17ROCPRIM_400000_NS6detail17trampoline_kernelINS0_14default_configENS1_29reduce_by_key_config_selectorIilN6thrust23THRUST_200600_302600_NS4plusIlEEEEZZNS1_33reduce_by_key_impl_wrapped_configILNS1_25lookback_scan_determinismE0ES3_S9_PiNS6_17constant_iteratorIiNS6_11use_defaultESE_EENS6_10device_ptrIiEENSG_IlEEPmS8_NS6_8equal_toIiEEEE10hipError_tPvRmT2_T3_mT4_T5_T6_T7_T8_P12ihipStream_tbENKUlT_T0_E_clISt17integral_constantIbLb0EES13_EEDaSY_SZ_EUlSY_E_NS1_11comp_targetILNS1_3genE2ELNS1_11target_archE906ELNS1_3gpuE6ELNS1_3repE0EEENS1_30default_config_static_selectorELNS0_4arch9wavefront6targetE1EEEvT1_,comdat
.Lfunc_end942:
	.size	_ZN7rocprim17ROCPRIM_400000_NS6detail17trampoline_kernelINS0_14default_configENS1_29reduce_by_key_config_selectorIilN6thrust23THRUST_200600_302600_NS4plusIlEEEEZZNS1_33reduce_by_key_impl_wrapped_configILNS1_25lookback_scan_determinismE0ES3_S9_PiNS6_17constant_iteratorIiNS6_11use_defaultESE_EENS6_10device_ptrIiEENSG_IlEEPmS8_NS6_8equal_toIiEEEE10hipError_tPvRmT2_T3_mT4_T5_T6_T7_T8_P12ihipStream_tbENKUlT_T0_E_clISt17integral_constantIbLb0EES13_EEDaSY_SZ_EUlSY_E_NS1_11comp_targetILNS1_3genE2ELNS1_11target_archE906ELNS1_3gpuE6ELNS1_3repE0EEENS1_30default_config_static_selectorELNS0_4arch9wavefront6targetE1EEEvT1_, .Lfunc_end942-_ZN7rocprim17ROCPRIM_400000_NS6detail17trampoline_kernelINS0_14default_configENS1_29reduce_by_key_config_selectorIilN6thrust23THRUST_200600_302600_NS4plusIlEEEEZZNS1_33reduce_by_key_impl_wrapped_configILNS1_25lookback_scan_determinismE0ES3_S9_PiNS6_17constant_iteratorIiNS6_11use_defaultESE_EENS6_10device_ptrIiEENSG_IlEEPmS8_NS6_8equal_toIiEEEE10hipError_tPvRmT2_T3_mT4_T5_T6_T7_T8_P12ihipStream_tbENKUlT_T0_E_clISt17integral_constantIbLb0EES13_EEDaSY_SZ_EUlSY_E_NS1_11comp_targetILNS1_3genE2ELNS1_11target_archE906ELNS1_3gpuE6ELNS1_3repE0EEENS1_30default_config_static_selectorELNS0_4arch9wavefront6targetE1EEEvT1_
                                        ; -- End function
	.set _ZN7rocprim17ROCPRIM_400000_NS6detail17trampoline_kernelINS0_14default_configENS1_29reduce_by_key_config_selectorIilN6thrust23THRUST_200600_302600_NS4plusIlEEEEZZNS1_33reduce_by_key_impl_wrapped_configILNS1_25lookback_scan_determinismE0ES3_S9_PiNS6_17constant_iteratorIiNS6_11use_defaultESE_EENS6_10device_ptrIiEENSG_IlEEPmS8_NS6_8equal_toIiEEEE10hipError_tPvRmT2_T3_mT4_T5_T6_T7_T8_P12ihipStream_tbENKUlT_T0_E_clISt17integral_constantIbLb0EES13_EEDaSY_SZ_EUlSY_E_NS1_11comp_targetILNS1_3genE2ELNS1_11target_archE906ELNS1_3gpuE6ELNS1_3repE0EEENS1_30default_config_static_selectorELNS0_4arch9wavefront6targetE1EEEvT1_.num_vgpr, 102
	.set _ZN7rocprim17ROCPRIM_400000_NS6detail17trampoline_kernelINS0_14default_configENS1_29reduce_by_key_config_selectorIilN6thrust23THRUST_200600_302600_NS4plusIlEEEEZZNS1_33reduce_by_key_impl_wrapped_configILNS1_25lookback_scan_determinismE0ES3_S9_PiNS6_17constant_iteratorIiNS6_11use_defaultESE_EENS6_10device_ptrIiEENSG_IlEEPmS8_NS6_8equal_toIiEEEE10hipError_tPvRmT2_T3_mT4_T5_T6_T7_T8_P12ihipStream_tbENKUlT_T0_E_clISt17integral_constantIbLb0EES13_EEDaSY_SZ_EUlSY_E_NS1_11comp_targetILNS1_3genE2ELNS1_11target_archE906ELNS1_3gpuE6ELNS1_3repE0EEENS1_30default_config_static_selectorELNS0_4arch9wavefront6targetE1EEEvT1_.num_agpr, 0
	.set _ZN7rocprim17ROCPRIM_400000_NS6detail17trampoline_kernelINS0_14default_configENS1_29reduce_by_key_config_selectorIilN6thrust23THRUST_200600_302600_NS4plusIlEEEEZZNS1_33reduce_by_key_impl_wrapped_configILNS1_25lookback_scan_determinismE0ES3_S9_PiNS6_17constant_iteratorIiNS6_11use_defaultESE_EENS6_10device_ptrIiEENSG_IlEEPmS8_NS6_8equal_toIiEEEE10hipError_tPvRmT2_T3_mT4_T5_T6_T7_T8_P12ihipStream_tbENKUlT_T0_E_clISt17integral_constantIbLb0EES13_EEDaSY_SZ_EUlSY_E_NS1_11comp_targetILNS1_3genE2ELNS1_11target_archE906ELNS1_3gpuE6ELNS1_3repE0EEENS1_30default_config_static_selectorELNS0_4arch9wavefront6targetE1EEEvT1_.numbered_sgpr, 66
	.set _ZN7rocprim17ROCPRIM_400000_NS6detail17trampoline_kernelINS0_14default_configENS1_29reduce_by_key_config_selectorIilN6thrust23THRUST_200600_302600_NS4plusIlEEEEZZNS1_33reduce_by_key_impl_wrapped_configILNS1_25lookback_scan_determinismE0ES3_S9_PiNS6_17constant_iteratorIiNS6_11use_defaultESE_EENS6_10device_ptrIiEENSG_IlEEPmS8_NS6_8equal_toIiEEEE10hipError_tPvRmT2_T3_mT4_T5_T6_T7_T8_P12ihipStream_tbENKUlT_T0_E_clISt17integral_constantIbLb0EES13_EEDaSY_SZ_EUlSY_E_NS1_11comp_targetILNS1_3genE2ELNS1_11target_archE906ELNS1_3gpuE6ELNS1_3repE0EEENS1_30default_config_static_selectorELNS0_4arch9wavefront6targetE1EEEvT1_.num_named_barrier, 0
	.set _ZN7rocprim17ROCPRIM_400000_NS6detail17trampoline_kernelINS0_14default_configENS1_29reduce_by_key_config_selectorIilN6thrust23THRUST_200600_302600_NS4plusIlEEEEZZNS1_33reduce_by_key_impl_wrapped_configILNS1_25lookback_scan_determinismE0ES3_S9_PiNS6_17constant_iteratorIiNS6_11use_defaultESE_EENS6_10device_ptrIiEENSG_IlEEPmS8_NS6_8equal_toIiEEEE10hipError_tPvRmT2_T3_mT4_T5_T6_T7_T8_P12ihipStream_tbENKUlT_T0_E_clISt17integral_constantIbLb0EES13_EEDaSY_SZ_EUlSY_E_NS1_11comp_targetILNS1_3genE2ELNS1_11target_archE906ELNS1_3gpuE6ELNS1_3repE0EEENS1_30default_config_static_selectorELNS0_4arch9wavefront6targetE1EEEvT1_.private_seg_size, 64
	.set _ZN7rocprim17ROCPRIM_400000_NS6detail17trampoline_kernelINS0_14default_configENS1_29reduce_by_key_config_selectorIilN6thrust23THRUST_200600_302600_NS4plusIlEEEEZZNS1_33reduce_by_key_impl_wrapped_configILNS1_25lookback_scan_determinismE0ES3_S9_PiNS6_17constant_iteratorIiNS6_11use_defaultESE_EENS6_10device_ptrIiEENSG_IlEEPmS8_NS6_8equal_toIiEEEE10hipError_tPvRmT2_T3_mT4_T5_T6_T7_T8_P12ihipStream_tbENKUlT_T0_E_clISt17integral_constantIbLb0EES13_EEDaSY_SZ_EUlSY_E_NS1_11comp_targetILNS1_3genE2ELNS1_11target_archE906ELNS1_3gpuE6ELNS1_3repE0EEENS1_30default_config_static_selectorELNS0_4arch9wavefront6targetE1EEEvT1_.uses_vcc, 1
	.set _ZN7rocprim17ROCPRIM_400000_NS6detail17trampoline_kernelINS0_14default_configENS1_29reduce_by_key_config_selectorIilN6thrust23THRUST_200600_302600_NS4plusIlEEEEZZNS1_33reduce_by_key_impl_wrapped_configILNS1_25lookback_scan_determinismE0ES3_S9_PiNS6_17constant_iteratorIiNS6_11use_defaultESE_EENS6_10device_ptrIiEENSG_IlEEPmS8_NS6_8equal_toIiEEEE10hipError_tPvRmT2_T3_mT4_T5_T6_T7_T8_P12ihipStream_tbENKUlT_T0_E_clISt17integral_constantIbLb0EES13_EEDaSY_SZ_EUlSY_E_NS1_11comp_targetILNS1_3genE2ELNS1_11target_archE906ELNS1_3gpuE6ELNS1_3repE0EEENS1_30default_config_static_selectorELNS0_4arch9wavefront6targetE1EEEvT1_.uses_flat_scratch, 0
	.set _ZN7rocprim17ROCPRIM_400000_NS6detail17trampoline_kernelINS0_14default_configENS1_29reduce_by_key_config_selectorIilN6thrust23THRUST_200600_302600_NS4plusIlEEEEZZNS1_33reduce_by_key_impl_wrapped_configILNS1_25lookback_scan_determinismE0ES3_S9_PiNS6_17constant_iteratorIiNS6_11use_defaultESE_EENS6_10device_ptrIiEENSG_IlEEPmS8_NS6_8equal_toIiEEEE10hipError_tPvRmT2_T3_mT4_T5_T6_T7_T8_P12ihipStream_tbENKUlT_T0_E_clISt17integral_constantIbLb0EES13_EEDaSY_SZ_EUlSY_E_NS1_11comp_targetILNS1_3genE2ELNS1_11target_archE906ELNS1_3gpuE6ELNS1_3repE0EEENS1_30default_config_static_selectorELNS0_4arch9wavefront6targetE1EEEvT1_.has_dyn_sized_stack, 0
	.set _ZN7rocprim17ROCPRIM_400000_NS6detail17trampoline_kernelINS0_14default_configENS1_29reduce_by_key_config_selectorIilN6thrust23THRUST_200600_302600_NS4plusIlEEEEZZNS1_33reduce_by_key_impl_wrapped_configILNS1_25lookback_scan_determinismE0ES3_S9_PiNS6_17constant_iteratorIiNS6_11use_defaultESE_EENS6_10device_ptrIiEENSG_IlEEPmS8_NS6_8equal_toIiEEEE10hipError_tPvRmT2_T3_mT4_T5_T6_T7_T8_P12ihipStream_tbENKUlT_T0_E_clISt17integral_constantIbLb0EES13_EEDaSY_SZ_EUlSY_E_NS1_11comp_targetILNS1_3genE2ELNS1_11target_archE906ELNS1_3gpuE6ELNS1_3repE0EEENS1_30default_config_static_selectorELNS0_4arch9wavefront6targetE1EEEvT1_.has_recursion, 0
	.set _ZN7rocprim17ROCPRIM_400000_NS6detail17trampoline_kernelINS0_14default_configENS1_29reduce_by_key_config_selectorIilN6thrust23THRUST_200600_302600_NS4plusIlEEEEZZNS1_33reduce_by_key_impl_wrapped_configILNS1_25lookback_scan_determinismE0ES3_S9_PiNS6_17constant_iteratorIiNS6_11use_defaultESE_EENS6_10device_ptrIiEENSG_IlEEPmS8_NS6_8equal_toIiEEEE10hipError_tPvRmT2_T3_mT4_T5_T6_T7_T8_P12ihipStream_tbENKUlT_T0_E_clISt17integral_constantIbLb0EES13_EEDaSY_SZ_EUlSY_E_NS1_11comp_targetILNS1_3genE2ELNS1_11target_archE906ELNS1_3gpuE6ELNS1_3repE0EEENS1_30default_config_static_selectorELNS0_4arch9wavefront6targetE1EEEvT1_.has_indirect_call, 0
	.section	.AMDGPU.csdata,"",@progbits
; Kernel info:
; codeLenInByte = 16092
; TotalNumSgprs: 70
; NumVgprs: 102
; ScratchSize: 64
; MemoryBound: 0
; FloatMode: 240
; IeeeMode: 1
; LDSByteSize: 30720 bytes/workgroup (compile time only)
; SGPRBlocks: 12
; VGPRBlocks: 25
; NumSGPRsForWavesPerEU: 102
; NumVGPRsForWavesPerEU: 102
; Occupancy: 2
; WaveLimiterHint : 1
; COMPUTE_PGM_RSRC2:SCRATCH_EN: 1
; COMPUTE_PGM_RSRC2:USER_SGPR: 6
; COMPUTE_PGM_RSRC2:TRAP_HANDLER: 0
; COMPUTE_PGM_RSRC2:TGID_X_EN: 1
; COMPUTE_PGM_RSRC2:TGID_Y_EN: 0
; COMPUTE_PGM_RSRC2:TGID_Z_EN: 0
; COMPUTE_PGM_RSRC2:TIDIG_COMP_CNT: 0
	.section	.text._ZN7rocprim17ROCPRIM_400000_NS6detail17trampoline_kernelINS0_14default_configENS1_29reduce_by_key_config_selectorIilN6thrust23THRUST_200600_302600_NS4plusIlEEEEZZNS1_33reduce_by_key_impl_wrapped_configILNS1_25lookback_scan_determinismE0ES3_S9_PiNS6_17constant_iteratorIiNS6_11use_defaultESE_EENS6_10device_ptrIiEENSG_IlEEPmS8_NS6_8equal_toIiEEEE10hipError_tPvRmT2_T3_mT4_T5_T6_T7_T8_P12ihipStream_tbENKUlT_T0_E_clISt17integral_constantIbLb0EES13_EEDaSY_SZ_EUlSY_E_NS1_11comp_targetILNS1_3genE10ELNS1_11target_archE1201ELNS1_3gpuE5ELNS1_3repE0EEENS1_30default_config_static_selectorELNS0_4arch9wavefront6targetE1EEEvT1_,"axG",@progbits,_ZN7rocprim17ROCPRIM_400000_NS6detail17trampoline_kernelINS0_14default_configENS1_29reduce_by_key_config_selectorIilN6thrust23THRUST_200600_302600_NS4plusIlEEEEZZNS1_33reduce_by_key_impl_wrapped_configILNS1_25lookback_scan_determinismE0ES3_S9_PiNS6_17constant_iteratorIiNS6_11use_defaultESE_EENS6_10device_ptrIiEENSG_IlEEPmS8_NS6_8equal_toIiEEEE10hipError_tPvRmT2_T3_mT4_T5_T6_T7_T8_P12ihipStream_tbENKUlT_T0_E_clISt17integral_constantIbLb0EES13_EEDaSY_SZ_EUlSY_E_NS1_11comp_targetILNS1_3genE10ELNS1_11target_archE1201ELNS1_3gpuE5ELNS1_3repE0EEENS1_30default_config_static_selectorELNS0_4arch9wavefront6targetE1EEEvT1_,comdat
	.protected	_ZN7rocprim17ROCPRIM_400000_NS6detail17trampoline_kernelINS0_14default_configENS1_29reduce_by_key_config_selectorIilN6thrust23THRUST_200600_302600_NS4plusIlEEEEZZNS1_33reduce_by_key_impl_wrapped_configILNS1_25lookback_scan_determinismE0ES3_S9_PiNS6_17constant_iteratorIiNS6_11use_defaultESE_EENS6_10device_ptrIiEENSG_IlEEPmS8_NS6_8equal_toIiEEEE10hipError_tPvRmT2_T3_mT4_T5_T6_T7_T8_P12ihipStream_tbENKUlT_T0_E_clISt17integral_constantIbLb0EES13_EEDaSY_SZ_EUlSY_E_NS1_11comp_targetILNS1_3genE10ELNS1_11target_archE1201ELNS1_3gpuE5ELNS1_3repE0EEENS1_30default_config_static_selectorELNS0_4arch9wavefront6targetE1EEEvT1_ ; -- Begin function _ZN7rocprim17ROCPRIM_400000_NS6detail17trampoline_kernelINS0_14default_configENS1_29reduce_by_key_config_selectorIilN6thrust23THRUST_200600_302600_NS4plusIlEEEEZZNS1_33reduce_by_key_impl_wrapped_configILNS1_25lookback_scan_determinismE0ES3_S9_PiNS6_17constant_iteratorIiNS6_11use_defaultESE_EENS6_10device_ptrIiEENSG_IlEEPmS8_NS6_8equal_toIiEEEE10hipError_tPvRmT2_T3_mT4_T5_T6_T7_T8_P12ihipStream_tbENKUlT_T0_E_clISt17integral_constantIbLb0EES13_EEDaSY_SZ_EUlSY_E_NS1_11comp_targetILNS1_3genE10ELNS1_11target_archE1201ELNS1_3gpuE5ELNS1_3repE0EEENS1_30default_config_static_selectorELNS0_4arch9wavefront6targetE1EEEvT1_
	.globl	_ZN7rocprim17ROCPRIM_400000_NS6detail17trampoline_kernelINS0_14default_configENS1_29reduce_by_key_config_selectorIilN6thrust23THRUST_200600_302600_NS4plusIlEEEEZZNS1_33reduce_by_key_impl_wrapped_configILNS1_25lookback_scan_determinismE0ES3_S9_PiNS6_17constant_iteratorIiNS6_11use_defaultESE_EENS6_10device_ptrIiEENSG_IlEEPmS8_NS6_8equal_toIiEEEE10hipError_tPvRmT2_T3_mT4_T5_T6_T7_T8_P12ihipStream_tbENKUlT_T0_E_clISt17integral_constantIbLb0EES13_EEDaSY_SZ_EUlSY_E_NS1_11comp_targetILNS1_3genE10ELNS1_11target_archE1201ELNS1_3gpuE5ELNS1_3repE0EEENS1_30default_config_static_selectorELNS0_4arch9wavefront6targetE1EEEvT1_
	.p2align	8
	.type	_ZN7rocprim17ROCPRIM_400000_NS6detail17trampoline_kernelINS0_14default_configENS1_29reduce_by_key_config_selectorIilN6thrust23THRUST_200600_302600_NS4plusIlEEEEZZNS1_33reduce_by_key_impl_wrapped_configILNS1_25lookback_scan_determinismE0ES3_S9_PiNS6_17constant_iteratorIiNS6_11use_defaultESE_EENS6_10device_ptrIiEENSG_IlEEPmS8_NS6_8equal_toIiEEEE10hipError_tPvRmT2_T3_mT4_T5_T6_T7_T8_P12ihipStream_tbENKUlT_T0_E_clISt17integral_constantIbLb0EES13_EEDaSY_SZ_EUlSY_E_NS1_11comp_targetILNS1_3genE10ELNS1_11target_archE1201ELNS1_3gpuE5ELNS1_3repE0EEENS1_30default_config_static_selectorELNS0_4arch9wavefront6targetE1EEEvT1_,@function
_ZN7rocprim17ROCPRIM_400000_NS6detail17trampoline_kernelINS0_14default_configENS1_29reduce_by_key_config_selectorIilN6thrust23THRUST_200600_302600_NS4plusIlEEEEZZNS1_33reduce_by_key_impl_wrapped_configILNS1_25lookback_scan_determinismE0ES3_S9_PiNS6_17constant_iteratorIiNS6_11use_defaultESE_EENS6_10device_ptrIiEENSG_IlEEPmS8_NS6_8equal_toIiEEEE10hipError_tPvRmT2_T3_mT4_T5_T6_T7_T8_P12ihipStream_tbENKUlT_T0_E_clISt17integral_constantIbLb0EES13_EEDaSY_SZ_EUlSY_E_NS1_11comp_targetILNS1_3genE10ELNS1_11target_archE1201ELNS1_3gpuE5ELNS1_3repE0EEENS1_30default_config_static_selectorELNS0_4arch9wavefront6targetE1EEEvT1_: ; @_ZN7rocprim17ROCPRIM_400000_NS6detail17trampoline_kernelINS0_14default_configENS1_29reduce_by_key_config_selectorIilN6thrust23THRUST_200600_302600_NS4plusIlEEEEZZNS1_33reduce_by_key_impl_wrapped_configILNS1_25lookback_scan_determinismE0ES3_S9_PiNS6_17constant_iteratorIiNS6_11use_defaultESE_EENS6_10device_ptrIiEENSG_IlEEPmS8_NS6_8equal_toIiEEEE10hipError_tPvRmT2_T3_mT4_T5_T6_T7_T8_P12ihipStream_tbENKUlT_T0_E_clISt17integral_constantIbLb0EES13_EEDaSY_SZ_EUlSY_E_NS1_11comp_targetILNS1_3genE10ELNS1_11target_archE1201ELNS1_3gpuE5ELNS1_3repE0EEENS1_30default_config_static_selectorELNS0_4arch9wavefront6targetE1EEEvT1_
; %bb.0:
	.section	.rodata,"a",@progbits
	.p2align	6, 0x0
	.amdhsa_kernel _ZN7rocprim17ROCPRIM_400000_NS6detail17trampoline_kernelINS0_14default_configENS1_29reduce_by_key_config_selectorIilN6thrust23THRUST_200600_302600_NS4plusIlEEEEZZNS1_33reduce_by_key_impl_wrapped_configILNS1_25lookback_scan_determinismE0ES3_S9_PiNS6_17constant_iteratorIiNS6_11use_defaultESE_EENS6_10device_ptrIiEENSG_IlEEPmS8_NS6_8equal_toIiEEEE10hipError_tPvRmT2_T3_mT4_T5_T6_T7_T8_P12ihipStream_tbENKUlT_T0_E_clISt17integral_constantIbLb0EES13_EEDaSY_SZ_EUlSY_E_NS1_11comp_targetILNS1_3genE10ELNS1_11target_archE1201ELNS1_3gpuE5ELNS1_3repE0EEENS1_30default_config_static_selectorELNS0_4arch9wavefront6targetE1EEEvT1_
		.amdhsa_group_segment_fixed_size 0
		.amdhsa_private_segment_fixed_size 0
		.amdhsa_kernarg_size 144
		.amdhsa_user_sgpr_count 6
		.amdhsa_user_sgpr_private_segment_buffer 1
		.amdhsa_user_sgpr_dispatch_ptr 0
		.amdhsa_user_sgpr_queue_ptr 0
		.amdhsa_user_sgpr_kernarg_segment_ptr 1
		.amdhsa_user_sgpr_dispatch_id 0
		.amdhsa_user_sgpr_flat_scratch_init 0
		.amdhsa_user_sgpr_private_segment_size 0
		.amdhsa_uses_dynamic_stack 0
		.amdhsa_system_sgpr_private_segment_wavefront_offset 0
		.amdhsa_system_sgpr_workgroup_id_x 1
		.amdhsa_system_sgpr_workgroup_id_y 0
		.amdhsa_system_sgpr_workgroup_id_z 0
		.amdhsa_system_sgpr_workgroup_info 0
		.amdhsa_system_vgpr_workitem_id 0
		.amdhsa_next_free_vgpr 1
		.amdhsa_next_free_sgpr 0
		.amdhsa_reserve_vcc 0
		.amdhsa_reserve_flat_scratch 0
		.amdhsa_float_round_mode_32 0
		.amdhsa_float_round_mode_16_64 0
		.amdhsa_float_denorm_mode_32 3
		.amdhsa_float_denorm_mode_16_64 3
		.amdhsa_dx10_clamp 1
		.amdhsa_ieee_mode 1
		.amdhsa_fp16_overflow 0
		.amdhsa_exception_fp_ieee_invalid_op 0
		.amdhsa_exception_fp_denorm_src 0
		.amdhsa_exception_fp_ieee_div_zero 0
		.amdhsa_exception_fp_ieee_overflow 0
		.amdhsa_exception_fp_ieee_underflow 0
		.amdhsa_exception_fp_ieee_inexact 0
		.amdhsa_exception_int_div_zero 0
	.end_amdhsa_kernel
	.section	.text._ZN7rocprim17ROCPRIM_400000_NS6detail17trampoline_kernelINS0_14default_configENS1_29reduce_by_key_config_selectorIilN6thrust23THRUST_200600_302600_NS4plusIlEEEEZZNS1_33reduce_by_key_impl_wrapped_configILNS1_25lookback_scan_determinismE0ES3_S9_PiNS6_17constant_iteratorIiNS6_11use_defaultESE_EENS6_10device_ptrIiEENSG_IlEEPmS8_NS6_8equal_toIiEEEE10hipError_tPvRmT2_T3_mT4_T5_T6_T7_T8_P12ihipStream_tbENKUlT_T0_E_clISt17integral_constantIbLb0EES13_EEDaSY_SZ_EUlSY_E_NS1_11comp_targetILNS1_3genE10ELNS1_11target_archE1201ELNS1_3gpuE5ELNS1_3repE0EEENS1_30default_config_static_selectorELNS0_4arch9wavefront6targetE1EEEvT1_,"axG",@progbits,_ZN7rocprim17ROCPRIM_400000_NS6detail17trampoline_kernelINS0_14default_configENS1_29reduce_by_key_config_selectorIilN6thrust23THRUST_200600_302600_NS4plusIlEEEEZZNS1_33reduce_by_key_impl_wrapped_configILNS1_25lookback_scan_determinismE0ES3_S9_PiNS6_17constant_iteratorIiNS6_11use_defaultESE_EENS6_10device_ptrIiEENSG_IlEEPmS8_NS6_8equal_toIiEEEE10hipError_tPvRmT2_T3_mT4_T5_T6_T7_T8_P12ihipStream_tbENKUlT_T0_E_clISt17integral_constantIbLb0EES13_EEDaSY_SZ_EUlSY_E_NS1_11comp_targetILNS1_3genE10ELNS1_11target_archE1201ELNS1_3gpuE5ELNS1_3repE0EEENS1_30default_config_static_selectorELNS0_4arch9wavefront6targetE1EEEvT1_,comdat
.Lfunc_end943:
	.size	_ZN7rocprim17ROCPRIM_400000_NS6detail17trampoline_kernelINS0_14default_configENS1_29reduce_by_key_config_selectorIilN6thrust23THRUST_200600_302600_NS4plusIlEEEEZZNS1_33reduce_by_key_impl_wrapped_configILNS1_25lookback_scan_determinismE0ES3_S9_PiNS6_17constant_iteratorIiNS6_11use_defaultESE_EENS6_10device_ptrIiEENSG_IlEEPmS8_NS6_8equal_toIiEEEE10hipError_tPvRmT2_T3_mT4_T5_T6_T7_T8_P12ihipStream_tbENKUlT_T0_E_clISt17integral_constantIbLb0EES13_EEDaSY_SZ_EUlSY_E_NS1_11comp_targetILNS1_3genE10ELNS1_11target_archE1201ELNS1_3gpuE5ELNS1_3repE0EEENS1_30default_config_static_selectorELNS0_4arch9wavefront6targetE1EEEvT1_, .Lfunc_end943-_ZN7rocprim17ROCPRIM_400000_NS6detail17trampoline_kernelINS0_14default_configENS1_29reduce_by_key_config_selectorIilN6thrust23THRUST_200600_302600_NS4plusIlEEEEZZNS1_33reduce_by_key_impl_wrapped_configILNS1_25lookback_scan_determinismE0ES3_S9_PiNS6_17constant_iteratorIiNS6_11use_defaultESE_EENS6_10device_ptrIiEENSG_IlEEPmS8_NS6_8equal_toIiEEEE10hipError_tPvRmT2_T3_mT4_T5_T6_T7_T8_P12ihipStream_tbENKUlT_T0_E_clISt17integral_constantIbLb0EES13_EEDaSY_SZ_EUlSY_E_NS1_11comp_targetILNS1_3genE10ELNS1_11target_archE1201ELNS1_3gpuE5ELNS1_3repE0EEENS1_30default_config_static_selectorELNS0_4arch9wavefront6targetE1EEEvT1_
                                        ; -- End function
	.set _ZN7rocprim17ROCPRIM_400000_NS6detail17trampoline_kernelINS0_14default_configENS1_29reduce_by_key_config_selectorIilN6thrust23THRUST_200600_302600_NS4plusIlEEEEZZNS1_33reduce_by_key_impl_wrapped_configILNS1_25lookback_scan_determinismE0ES3_S9_PiNS6_17constant_iteratorIiNS6_11use_defaultESE_EENS6_10device_ptrIiEENSG_IlEEPmS8_NS6_8equal_toIiEEEE10hipError_tPvRmT2_T3_mT4_T5_T6_T7_T8_P12ihipStream_tbENKUlT_T0_E_clISt17integral_constantIbLb0EES13_EEDaSY_SZ_EUlSY_E_NS1_11comp_targetILNS1_3genE10ELNS1_11target_archE1201ELNS1_3gpuE5ELNS1_3repE0EEENS1_30default_config_static_selectorELNS0_4arch9wavefront6targetE1EEEvT1_.num_vgpr, 0
	.set _ZN7rocprim17ROCPRIM_400000_NS6detail17trampoline_kernelINS0_14default_configENS1_29reduce_by_key_config_selectorIilN6thrust23THRUST_200600_302600_NS4plusIlEEEEZZNS1_33reduce_by_key_impl_wrapped_configILNS1_25lookback_scan_determinismE0ES3_S9_PiNS6_17constant_iteratorIiNS6_11use_defaultESE_EENS6_10device_ptrIiEENSG_IlEEPmS8_NS6_8equal_toIiEEEE10hipError_tPvRmT2_T3_mT4_T5_T6_T7_T8_P12ihipStream_tbENKUlT_T0_E_clISt17integral_constantIbLb0EES13_EEDaSY_SZ_EUlSY_E_NS1_11comp_targetILNS1_3genE10ELNS1_11target_archE1201ELNS1_3gpuE5ELNS1_3repE0EEENS1_30default_config_static_selectorELNS0_4arch9wavefront6targetE1EEEvT1_.num_agpr, 0
	.set _ZN7rocprim17ROCPRIM_400000_NS6detail17trampoline_kernelINS0_14default_configENS1_29reduce_by_key_config_selectorIilN6thrust23THRUST_200600_302600_NS4plusIlEEEEZZNS1_33reduce_by_key_impl_wrapped_configILNS1_25lookback_scan_determinismE0ES3_S9_PiNS6_17constant_iteratorIiNS6_11use_defaultESE_EENS6_10device_ptrIiEENSG_IlEEPmS8_NS6_8equal_toIiEEEE10hipError_tPvRmT2_T3_mT4_T5_T6_T7_T8_P12ihipStream_tbENKUlT_T0_E_clISt17integral_constantIbLb0EES13_EEDaSY_SZ_EUlSY_E_NS1_11comp_targetILNS1_3genE10ELNS1_11target_archE1201ELNS1_3gpuE5ELNS1_3repE0EEENS1_30default_config_static_selectorELNS0_4arch9wavefront6targetE1EEEvT1_.numbered_sgpr, 0
	.set _ZN7rocprim17ROCPRIM_400000_NS6detail17trampoline_kernelINS0_14default_configENS1_29reduce_by_key_config_selectorIilN6thrust23THRUST_200600_302600_NS4plusIlEEEEZZNS1_33reduce_by_key_impl_wrapped_configILNS1_25lookback_scan_determinismE0ES3_S9_PiNS6_17constant_iteratorIiNS6_11use_defaultESE_EENS6_10device_ptrIiEENSG_IlEEPmS8_NS6_8equal_toIiEEEE10hipError_tPvRmT2_T3_mT4_T5_T6_T7_T8_P12ihipStream_tbENKUlT_T0_E_clISt17integral_constantIbLb0EES13_EEDaSY_SZ_EUlSY_E_NS1_11comp_targetILNS1_3genE10ELNS1_11target_archE1201ELNS1_3gpuE5ELNS1_3repE0EEENS1_30default_config_static_selectorELNS0_4arch9wavefront6targetE1EEEvT1_.num_named_barrier, 0
	.set _ZN7rocprim17ROCPRIM_400000_NS6detail17trampoline_kernelINS0_14default_configENS1_29reduce_by_key_config_selectorIilN6thrust23THRUST_200600_302600_NS4plusIlEEEEZZNS1_33reduce_by_key_impl_wrapped_configILNS1_25lookback_scan_determinismE0ES3_S9_PiNS6_17constant_iteratorIiNS6_11use_defaultESE_EENS6_10device_ptrIiEENSG_IlEEPmS8_NS6_8equal_toIiEEEE10hipError_tPvRmT2_T3_mT4_T5_T6_T7_T8_P12ihipStream_tbENKUlT_T0_E_clISt17integral_constantIbLb0EES13_EEDaSY_SZ_EUlSY_E_NS1_11comp_targetILNS1_3genE10ELNS1_11target_archE1201ELNS1_3gpuE5ELNS1_3repE0EEENS1_30default_config_static_selectorELNS0_4arch9wavefront6targetE1EEEvT1_.private_seg_size, 0
	.set _ZN7rocprim17ROCPRIM_400000_NS6detail17trampoline_kernelINS0_14default_configENS1_29reduce_by_key_config_selectorIilN6thrust23THRUST_200600_302600_NS4plusIlEEEEZZNS1_33reduce_by_key_impl_wrapped_configILNS1_25lookback_scan_determinismE0ES3_S9_PiNS6_17constant_iteratorIiNS6_11use_defaultESE_EENS6_10device_ptrIiEENSG_IlEEPmS8_NS6_8equal_toIiEEEE10hipError_tPvRmT2_T3_mT4_T5_T6_T7_T8_P12ihipStream_tbENKUlT_T0_E_clISt17integral_constantIbLb0EES13_EEDaSY_SZ_EUlSY_E_NS1_11comp_targetILNS1_3genE10ELNS1_11target_archE1201ELNS1_3gpuE5ELNS1_3repE0EEENS1_30default_config_static_selectorELNS0_4arch9wavefront6targetE1EEEvT1_.uses_vcc, 0
	.set _ZN7rocprim17ROCPRIM_400000_NS6detail17trampoline_kernelINS0_14default_configENS1_29reduce_by_key_config_selectorIilN6thrust23THRUST_200600_302600_NS4plusIlEEEEZZNS1_33reduce_by_key_impl_wrapped_configILNS1_25lookback_scan_determinismE0ES3_S9_PiNS6_17constant_iteratorIiNS6_11use_defaultESE_EENS6_10device_ptrIiEENSG_IlEEPmS8_NS6_8equal_toIiEEEE10hipError_tPvRmT2_T3_mT4_T5_T6_T7_T8_P12ihipStream_tbENKUlT_T0_E_clISt17integral_constantIbLb0EES13_EEDaSY_SZ_EUlSY_E_NS1_11comp_targetILNS1_3genE10ELNS1_11target_archE1201ELNS1_3gpuE5ELNS1_3repE0EEENS1_30default_config_static_selectorELNS0_4arch9wavefront6targetE1EEEvT1_.uses_flat_scratch, 0
	.set _ZN7rocprim17ROCPRIM_400000_NS6detail17trampoline_kernelINS0_14default_configENS1_29reduce_by_key_config_selectorIilN6thrust23THRUST_200600_302600_NS4plusIlEEEEZZNS1_33reduce_by_key_impl_wrapped_configILNS1_25lookback_scan_determinismE0ES3_S9_PiNS6_17constant_iteratorIiNS6_11use_defaultESE_EENS6_10device_ptrIiEENSG_IlEEPmS8_NS6_8equal_toIiEEEE10hipError_tPvRmT2_T3_mT4_T5_T6_T7_T8_P12ihipStream_tbENKUlT_T0_E_clISt17integral_constantIbLb0EES13_EEDaSY_SZ_EUlSY_E_NS1_11comp_targetILNS1_3genE10ELNS1_11target_archE1201ELNS1_3gpuE5ELNS1_3repE0EEENS1_30default_config_static_selectorELNS0_4arch9wavefront6targetE1EEEvT1_.has_dyn_sized_stack, 0
	.set _ZN7rocprim17ROCPRIM_400000_NS6detail17trampoline_kernelINS0_14default_configENS1_29reduce_by_key_config_selectorIilN6thrust23THRUST_200600_302600_NS4plusIlEEEEZZNS1_33reduce_by_key_impl_wrapped_configILNS1_25lookback_scan_determinismE0ES3_S9_PiNS6_17constant_iteratorIiNS6_11use_defaultESE_EENS6_10device_ptrIiEENSG_IlEEPmS8_NS6_8equal_toIiEEEE10hipError_tPvRmT2_T3_mT4_T5_T6_T7_T8_P12ihipStream_tbENKUlT_T0_E_clISt17integral_constantIbLb0EES13_EEDaSY_SZ_EUlSY_E_NS1_11comp_targetILNS1_3genE10ELNS1_11target_archE1201ELNS1_3gpuE5ELNS1_3repE0EEENS1_30default_config_static_selectorELNS0_4arch9wavefront6targetE1EEEvT1_.has_recursion, 0
	.set _ZN7rocprim17ROCPRIM_400000_NS6detail17trampoline_kernelINS0_14default_configENS1_29reduce_by_key_config_selectorIilN6thrust23THRUST_200600_302600_NS4plusIlEEEEZZNS1_33reduce_by_key_impl_wrapped_configILNS1_25lookback_scan_determinismE0ES3_S9_PiNS6_17constant_iteratorIiNS6_11use_defaultESE_EENS6_10device_ptrIiEENSG_IlEEPmS8_NS6_8equal_toIiEEEE10hipError_tPvRmT2_T3_mT4_T5_T6_T7_T8_P12ihipStream_tbENKUlT_T0_E_clISt17integral_constantIbLb0EES13_EEDaSY_SZ_EUlSY_E_NS1_11comp_targetILNS1_3genE10ELNS1_11target_archE1201ELNS1_3gpuE5ELNS1_3repE0EEENS1_30default_config_static_selectorELNS0_4arch9wavefront6targetE1EEEvT1_.has_indirect_call, 0
	.section	.AMDGPU.csdata,"",@progbits
; Kernel info:
; codeLenInByte = 0
; TotalNumSgprs: 4
; NumVgprs: 0
; ScratchSize: 0
; MemoryBound: 0
; FloatMode: 240
; IeeeMode: 1
; LDSByteSize: 0 bytes/workgroup (compile time only)
; SGPRBlocks: 0
; VGPRBlocks: 0
; NumSGPRsForWavesPerEU: 4
; NumVGPRsForWavesPerEU: 1
; Occupancy: 10
; WaveLimiterHint : 0
; COMPUTE_PGM_RSRC2:SCRATCH_EN: 0
; COMPUTE_PGM_RSRC2:USER_SGPR: 6
; COMPUTE_PGM_RSRC2:TRAP_HANDLER: 0
; COMPUTE_PGM_RSRC2:TGID_X_EN: 1
; COMPUTE_PGM_RSRC2:TGID_Y_EN: 0
; COMPUTE_PGM_RSRC2:TGID_Z_EN: 0
; COMPUTE_PGM_RSRC2:TIDIG_COMP_CNT: 0
	.section	.text._ZN7rocprim17ROCPRIM_400000_NS6detail17trampoline_kernelINS0_14default_configENS1_29reduce_by_key_config_selectorIilN6thrust23THRUST_200600_302600_NS4plusIlEEEEZZNS1_33reduce_by_key_impl_wrapped_configILNS1_25lookback_scan_determinismE0ES3_S9_PiNS6_17constant_iteratorIiNS6_11use_defaultESE_EENS6_10device_ptrIiEENSG_IlEEPmS8_NS6_8equal_toIiEEEE10hipError_tPvRmT2_T3_mT4_T5_T6_T7_T8_P12ihipStream_tbENKUlT_T0_E_clISt17integral_constantIbLb0EES13_EEDaSY_SZ_EUlSY_E_NS1_11comp_targetILNS1_3genE10ELNS1_11target_archE1200ELNS1_3gpuE4ELNS1_3repE0EEENS1_30default_config_static_selectorELNS0_4arch9wavefront6targetE1EEEvT1_,"axG",@progbits,_ZN7rocprim17ROCPRIM_400000_NS6detail17trampoline_kernelINS0_14default_configENS1_29reduce_by_key_config_selectorIilN6thrust23THRUST_200600_302600_NS4plusIlEEEEZZNS1_33reduce_by_key_impl_wrapped_configILNS1_25lookback_scan_determinismE0ES3_S9_PiNS6_17constant_iteratorIiNS6_11use_defaultESE_EENS6_10device_ptrIiEENSG_IlEEPmS8_NS6_8equal_toIiEEEE10hipError_tPvRmT2_T3_mT4_T5_T6_T7_T8_P12ihipStream_tbENKUlT_T0_E_clISt17integral_constantIbLb0EES13_EEDaSY_SZ_EUlSY_E_NS1_11comp_targetILNS1_3genE10ELNS1_11target_archE1200ELNS1_3gpuE4ELNS1_3repE0EEENS1_30default_config_static_selectorELNS0_4arch9wavefront6targetE1EEEvT1_,comdat
	.protected	_ZN7rocprim17ROCPRIM_400000_NS6detail17trampoline_kernelINS0_14default_configENS1_29reduce_by_key_config_selectorIilN6thrust23THRUST_200600_302600_NS4plusIlEEEEZZNS1_33reduce_by_key_impl_wrapped_configILNS1_25lookback_scan_determinismE0ES3_S9_PiNS6_17constant_iteratorIiNS6_11use_defaultESE_EENS6_10device_ptrIiEENSG_IlEEPmS8_NS6_8equal_toIiEEEE10hipError_tPvRmT2_T3_mT4_T5_T6_T7_T8_P12ihipStream_tbENKUlT_T0_E_clISt17integral_constantIbLb0EES13_EEDaSY_SZ_EUlSY_E_NS1_11comp_targetILNS1_3genE10ELNS1_11target_archE1200ELNS1_3gpuE4ELNS1_3repE0EEENS1_30default_config_static_selectorELNS0_4arch9wavefront6targetE1EEEvT1_ ; -- Begin function _ZN7rocprim17ROCPRIM_400000_NS6detail17trampoline_kernelINS0_14default_configENS1_29reduce_by_key_config_selectorIilN6thrust23THRUST_200600_302600_NS4plusIlEEEEZZNS1_33reduce_by_key_impl_wrapped_configILNS1_25lookback_scan_determinismE0ES3_S9_PiNS6_17constant_iteratorIiNS6_11use_defaultESE_EENS6_10device_ptrIiEENSG_IlEEPmS8_NS6_8equal_toIiEEEE10hipError_tPvRmT2_T3_mT4_T5_T6_T7_T8_P12ihipStream_tbENKUlT_T0_E_clISt17integral_constantIbLb0EES13_EEDaSY_SZ_EUlSY_E_NS1_11comp_targetILNS1_3genE10ELNS1_11target_archE1200ELNS1_3gpuE4ELNS1_3repE0EEENS1_30default_config_static_selectorELNS0_4arch9wavefront6targetE1EEEvT1_
	.globl	_ZN7rocprim17ROCPRIM_400000_NS6detail17trampoline_kernelINS0_14default_configENS1_29reduce_by_key_config_selectorIilN6thrust23THRUST_200600_302600_NS4plusIlEEEEZZNS1_33reduce_by_key_impl_wrapped_configILNS1_25lookback_scan_determinismE0ES3_S9_PiNS6_17constant_iteratorIiNS6_11use_defaultESE_EENS6_10device_ptrIiEENSG_IlEEPmS8_NS6_8equal_toIiEEEE10hipError_tPvRmT2_T3_mT4_T5_T6_T7_T8_P12ihipStream_tbENKUlT_T0_E_clISt17integral_constantIbLb0EES13_EEDaSY_SZ_EUlSY_E_NS1_11comp_targetILNS1_3genE10ELNS1_11target_archE1200ELNS1_3gpuE4ELNS1_3repE0EEENS1_30default_config_static_selectorELNS0_4arch9wavefront6targetE1EEEvT1_
	.p2align	8
	.type	_ZN7rocprim17ROCPRIM_400000_NS6detail17trampoline_kernelINS0_14default_configENS1_29reduce_by_key_config_selectorIilN6thrust23THRUST_200600_302600_NS4plusIlEEEEZZNS1_33reduce_by_key_impl_wrapped_configILNS1_25lookback_scan_determinismE0ES3_S9_PiNS6_17constant_iteratorIiNS6_11use_defaultESE_EENS6_10device_ptrIiEENSG_IlEEPmS8_NS6_8equal_toIiEEEE10hipError_tPvRmT2_T3_mT4_T5_T6_T7_T8_P12ihipStream_tbENKUlT_T0_E_clISt17integral_constantIbLb0EES13_EEDaSY_SZ_EUlSY_E_NS1_11comp_targetILNS1_3genE10ELNS1_11target_archE1200ELNS1_3gpuE4ELNS1_3repE0EEENS1_30default_config_static_selectorELNS0_4arch9wavefront6targetE1EEEvT1_,@function
_ZN7rocprim17ROCPRIM_400000_NS6detail17trampoline_kernelINS0_14default_configENS1_29reduce_by_key_config_selectorIilN6thrust23THRUST_200600_302600_NS4plusIlEEEEZZNS1_33reduce_by_key_impl_wrapped_configILNS1_25lookback_scan_determinismE0ES3_S9_PiNS6_17constant_iteratorIiNS6_11use_defaultESE_EENS6_10device_ptrIiEENSG_IlEEPmS8_NS6_8equal_toIiEEEE10hipError_tPvRmT2_T3_mT4_T5_T6_T7_T8_P12ihipStream_tbENKUlT_T0_E_clISt17integral_constantIbLb0EES13_EEDaSY_SZ_EUlSY_E_NS1_11comp_targetILNS1_3genE10ELNS1_11target_archE1200ELNS1_3gpuE4ELNS1_3repE0EEENS1_30default_config_static_selectorELNS0_4arch9wavefront6targetE1EEEvT1_: ; @_ZN7rocprim17ROCPRIM_400000_NS6detail17trampoline_kernelINS0_14default_configENS1_29reduce_by_key_config_selectorIilN6thrust23THRUST_200600_302600_NS4plusIlEEEEZZNS1_33reduce_by_key_impl_wrapped_configILNS1_25lookback_scan_determinismE0ES3_S9_PiNS6_17constant_iteratorIiNS6_11use_defaultESE_EENS6_10device_ptrIiEENSG_IlEEPmS8_NS6_8equal_toIiEEEE10hipError_tPvRmT2_T3_mT4_T5_T6_T7_T8_P12ihipStream_tbENKUlT_T0_E_clISt17integral_constantIbLb0EES13_EEDaSY_SZ_EUlSY_E_NS1_11comp_targetILNS1_3genE10ELNS1_11target_archE1200ELNS1_3gpuE4ELNS1_3repE0EEENS1_30default_config_static_selectorELNS0_4arch9wavefront6targetE1EEEvT1_
; %bb.0:
	.section	.rodata,"a",@progbits
	.p2align	6, 0x0
	.amdhsa_kernel _ZN7rocprim17ROCPRIM_400000_NS6detail17trampoline_kernelINS0_14default_configENS1_29reduce_by_key_config_selectorIilN6thrust23THRUST_200600_302600_NS4plusIlEEEEZZNS1_33reduce_by_key_impl_wrapped_configILNS1_25lookback_scan_determinismE0ES3_S9_PiNS6_17constant_iteratorIiNS6_11use_defaultESE_EENS6_10device_ptrIiEENSG_IlEEPmS8_NS6_8equal_toIiEEEE10hipError_tPvRmT2_T3_mT4_T5_T6_T7_T8_P12ihipStream_tbENKUlT_T0_E_clISt17integral_constantIbLb0EES13_EEDaSY_SZ_EUlSY_E_NS1_11comp_targetILNS1_3genE10ELNS1_11target_archE1200ELNS1_3gpuE4ELNS1_3repE0EEENS1_30default_config_static_selectorELNS0_4arch9wavefront6targetE1EEEvT1_
		.amdhsa_group_segment_fixed_size 0
		.amdhsa_private_segment_fixed_size 0
		.amdhsa_kernarg_size 144
		.amdhsa_user_sgpr_count 6
		.amdhsa_user_sgpr_private_segment_buffer 1
		.amdhsa_user_sgpr_dispatch_ptr 0
		.amdhsa_user_sgpr_queue_ptr 0
		.amdhsa_user_sgpr_kernarg_segment_ptr 1
		.amdhsa_user_sgpr_dispatch_id 0
		.amdhsa_user_sgpr_flat_scratch_init 0
		.amdhsa_user_sgpr_private_segment_size 0
		.amdhsa_uses_dynamic_stack 0
		.amdhsa_system_sgpr_private_segment_wavefront_offset 0
		.amdhsa_system_sgpr_workgroup_id_x 1
		.amdhsa_system_sgpr_workgroup_id_y 0
		.amdhsa_system_sgpr_workgroup_id_z 0
		.amdhsa_system_sgpr_workgroup_info 0
		.amdhsa_system_vgpr_workitem_id 0
		.amdhsa_next_free_vgpr 1
		.amdhsa_next_free_sgpr 0
		.amdhsa_reserve_vcc 0
		.amdhsa_reserve_flat_scratch 0
		.amdhsa_float_round_mode_32 0
		.amdhsa_float_round_mode_16_64 0
		.amdhsa_float_denorm_mode_32 3
		.amdhsa_float_denorm_mode_16_64 3
		.amdhsa_dx10_clamp 1
		.amdhsa_ieee_mode 1
		.amdhsa_fp16_overflow 0
		.amdhsa_exception_fp_ieee_invalid_op 0
		.amdhsa_exception_fp_denorm_src 0
		.amdhsa_exception_fp_ieee_div_zero 0
		.amdhsa_exception_fp_ieee_overflow 0
		.amdhsa_exception_fp_ieee_underflow 0
		.amdhsa_exception_fp_ieee_inexact 0
		.amdhsa_exception_int_div_zero 0
	.end_amdhsa_kernel
	.section	.text._ZN7rocprim17ROCPRIM_400000_NS6detail17trampoline_kernelINS0_14default_configENS1_29reduce_by_key_config_selectorIilN6thrust23THRUST_200600_302600_NS4plusIlEEEEZZNS1_33reduce_by_key_impl_wrapped_configILNS1_25lookback_scan_determinismE0ES3_S9_PiNS6_17constant_iteratorIiNS6_11use_defaultESE_EENS6_10device_ptrIiEENSG_IlEEPmS8_NS6_8equal_toIiEEEE10hipError_tPvRmT2_T3_mT4_T5_T6_T7_T8_P12ihipStream_tbENKUlT_T0_E_clISt17integral_constantIbLb0EES13_EEDaSY_SZ_EUlSY_E_NS1_11comp_targetILNS1_3genE10ELNS1_11target_archE1200ELNS1_3gpuE4ELNS1_3repE0EEENS1_30default_config_static_selectorELNS0_4arch9wavefront6targetE1EEEvT1_,"axG",@progbits,_ZN7rocprim17ROCPRIM_400000_NS6detail17trampoline_kernelINS0_14default_configENS1_29reduce_by_key_config_selectorIilN6thrust23THRUST_200600_302600_NS4plusIlEEEEZZNS1_33reduce_by_key_impl_wrapped_configILNS1_25lookback_scan_determinismE0ES3_S9_PiNS6_17constant_iteratorIiNS6_11use_defaultESE_EENS6_10device_ptrIiEENSG_IlEEPmS8_NS6_8equal_toIiEEEE10hipError_tPvRmT2_T3_mT4_T5_T6_T7_T8_P12ihipStream_tbENKUlT_T0_E_clISt17integral_constantIbLb0EES13_EEDaSY_SZ_EUlSY_E_NS1_11comp_targetILNS1_3genE10ELNS1_11target_archE1200ELNS1_3gpuE4ELNS1_3repE0EEENS1_30default_config_static_selectorELNS0_4arch9wavefront6targetE1EEEvT1_,comdat
.Lfunc_end944:
	.size	_ZN7rocprim17ROCPRIM_400000_NS6detail17trampoline_kernelINS0_14default_configENS1_29reduce_by_key_config_selectorIilN6thrust23THRUST_200600_302600_NS4plusIlEEEEZZNS1_33reduce_by_key_impl_wrapped_configILNS1_25lookback_scan_determinismE0ES3_S9_PiNS6_17constant_iteratorIiNS6_11use_defaultESE_EENS6_10device_ptrIiEENSG_IlEEPmS8_NS6_8equal_toIiEEEE10hipError_tPvRmT2_T3_mT4_T5_T6_T7_T8_P12ihipStream_tbENKUlT_T0_E_clISt17integral_constantIbLb0EES13_EEDaSY_SZ_EUlSY_E_NS1_11comp_targetILNS1_3genE10ELNS1_11target_archE1200ELNS1_3gpuE4ELNS1_3repE0EEENS1_30default_config_static_selectorELNS0_4arch9wavefront6targetE1EEEvT1_, .Lfunc_end944-_ZN7rocprim17ROCPRIM_400000_NS6detail17trampoline_kernelINS0_14default_configENS1_29reduce_by_key_config_selectorIilN6thrust23THRUST_200600_302600_NS4plusIlEEEEZZNS1_33reduce_by_key_impl_wrapped_configILNS1_25lookback_scan_determinismE0ES3_S9_PiNS6_17constant_iteratorIiNS6_11use_defaultESE_EENS6_10device_ptrIiEENSG_IlEEPmS8_NS6_8equal_toIiEEEE10hipError_tPvRmT2_T3_mT4_T5_T6_T7_T8_P12ihipStream_tbENKUlT_T0_E_clISt17integral_constantIbLb0EES13_EEDaSY_SZ_EUlSY_E_NS1_11comp_targetILNS1_3genE10ELNS1_11target_archE1200ELNS1_3gpuE4ELNS1_3repE0EEENS1_30default_config_static_selectorELNS0_4arch9wavefront6targetE1EEEvT1_
                                        ; -- End function
	.set _ZN7rocprim17ROCPRIM_400000_NS6detail17trampoline_kernelINS0_14default_configENS1_29reduce_by_key_config_selectorIilN6thrust23THRUST_200600_302600_NS4plusIlEEEEZZNS1_33reduce_by_key_impl_wrapped_configILNS1_25lookback_scan_determinismE0ES3_S9_PiNS6_17constant_iteratorIiNS6_11use_defaultESE_EENS6_10device_ptrIiEENSG_IlEEPmS8_NS6_8equal_toIiEEEE10hipError_tPvRmT2_T3_mT4_T5_T6_T7_T8_P12ihipStream_tbENKUlT_T0_E_clISt17integral_constantIbLb0EES13_EEDaSY_SZ_EUlSY_E_NS1_11comp_targetILNS1_3genE10ELNS1_11target_archE1200ELNS1_3gpuE4ELNS1_3repE0EEENS1_30default_config_static_selectorELNS0_4arch9wavefront6targetE1EEEvT1_.num_vgpr, 0
	.set _ZN7rocprim17ROCPRIM_400000_NS6detail17trampoline_kernelINS0_14default_configENS1_29reduce_by_key_config_selectorIilN6thrust23THRUST_200600_302600_NS4plusIlEEEEZZNS1_33reduce_by_key_impl_wrapped_configILNS1_25lookback_scan_determinismE0ES3_S9_PiNS6_17constant_iteratorIiNS6_11use_defaultESE_EENS6_10device_ptrIiEENSG_IlEEPmS8_NS6_8equal_toIiEEEE10hipError_tPvRmT2_T3_mT4_T5_T6_T7_T8_P12ihipStream_tbENKUlT_T0_E_clISt17integral_constantIbLb0EES13_EEDaSY_SZ_EUlSY_E_NS1_11comp_targetILNS1_3genE10ELNS1_11target_archE1200ELNS1_3gpuE4ELNS1_3repE0EEENS1_30default_config_static_selectorELNS0_4arch9wavefront6targetE1EEEvT1_.num_agpr, 0
	.set _ZN7rocprim17ROCPRIM_400000_NS6detail17trampoline_kernelINS0_14default_configENS1_29reduce_by_key_config_selectorIilN6thrust23THRUST_200600_302600_NS4plusIlEEEEZZNS1_33reduce_by_key_impl_wrapped_configILNS1_25lookback_scan_determinismE0ES3_S9_PiNS6_17constant_iteratorIiNS6_11use_defaultESE_EENS6_10device_ptrIiEENSG_IlEEPmS8_NS6_8equal_toIiEEEE10hipError_tPvRmT2_T3_mT4_T5_T6_T7_T8_P12ihipStream_tbENKUlT_T0_E_clISt17integral_constantIbLb0EES13_EEDaSY_SZ_EUlSY_E_NS1_11comp_targetILNS1_3genE10ELNS1_11target_archE1200ELNS1_3gpuE4ELNS1_3repE0EEENS1_30default_config_static_selectorELNS0_4arch9wavefront6targetE1EEEvT1_.numbered_sgpr, 0
	.set _ZN7rocprim17ROCPRIM_400000_NS6detail17trampoline_kernelINS0_14default_configENS1_29reduce_by_key_config_selectorIilN6thrust23THRUST_200600_302600_NS4plusIlEEEEZZNS1_33reduce_by_key_impl_wrapped_configILNS1_25lookback_scan_determinismE0ES3_S9_PiNS6_17constant_iteratorIiNS6_11use_defaultESE_EENS6_10device_ptrIiEENSG_IlEEPmS8_NS6_8equal_toIiEEEE10hipError_tPvRmT2_T3_mT4_T5_T6_T7_T8_P12ihipStream_tbENKUlT_T0_E_clISt17integral_constantIbLb0EES13_EEDaSY_SZ_EUlSY_E_NS1_11comp_targetILNS1_3genE10ELNS1_11target_archE1200ELNS1_3gpuE4ELNS1_3repE0EEENS1_30default_config_static_selectorELNS0_4arch9wavefront6targetE1EEEvT1_.num_named_barrier, 0
	.set _ZN7rocprim17ROCPRIM_400000_NS6detail17trampoline_kernelINS0_14default_configENS1_29reduce_by_key_config_selectorIilN6thrust23THRUST_200600_302600_NS4plusIlEEEEZZNS1_33reduce_by_key_impl_wrapped_configILNS1_25lookback_scan_determinismE0ES3_S9_PiNS6_17constant_iteratorIiNS6_11use_defaultESE_EENS6_10device_ptrIiEENSG_IlEEPmS8_NS6_8equal_toIiEEEE10hipError_tPvRmT2_T3_mT4_T5_T6_T7_T8_P12ihipStream_tbENKUlT_T0_E_clISt17integral_constantIbLb0EES13_EEDaSY_SZ_EUlSY_E_NS1_11comp_targetILNS1_3genE10ELNS1_11target_archE1200ELNS1_3gpuE4ELNS1_3repE0EEENS1_30default_config_static_selectorELNS0_4arch9wavefront6targetE1EEEvT1_.private_seg_size, 0
	.set _ZN7rocprim17ROCPRIM_400000_NS6detail17trampoline_kernelINS0_14default_configENS1_29reduce_by_key_config_selectorIilN6thrust23THRUST_200600_302600_NS4plusIlEEEEZZNS1_33reduce_by_key_impl_wrapped_configILNS1_25lookback_scan_determinismE0ES3_S9_PiNS6_17constant_iteratorIiNS6_11use_defaultESE_EENS6_10device_ptrIiEENSG_IlEEPmS8_NS6_8equal_toIiEEEE10hipError_tPvRmT2_T3_mT4_T5_T6_T7_T8_P12ihipStream_tbENKUlT_T0_E_clISt17integral_constantIbLb0EES13_EEDaSY_SZ_EUlSY_E_NS1_11comp_targetILNS1_3genE10ELNS1_11target_archE1200ELNS1_3gpuE4ELNS1_3repE0EEENS1_30default_config_static_selectorELNS0_4arch9wavefront6targetE1EEEvT1_.uses_vcc, 0
	.set _ZN7rocprim17ROCPRIM_400000_NS6detail17trampoline_kernelINS0_14default_configENS1_29reduce_by_key_config_selectorIilN6thrust23THRUST_200600_302600_NS4plusIlEEEEZZNS1_33reduce_by_key_impl_wrapped_configILNS1_25lookback_scan_determinismE0ES3_S9_PiNS6_17constant_iteratorIiNS6_11use_defaultESE_EENS6_10device_ptrIiEENSG_IlEEPmS8_NS6_8equal_toIiEEEE10hipError_tPvRmT2_T3_mT4_T5_T6_T7_T8_P12ihipStream_tbENKUlT_T0_E_clISt17integral_constantIbLb0EES13_EEDaSY_SZ_EUlSY_E_NS1_11comp_targetILNS1_3genE10ELNS1_11target_archE1200ELNS1_3gpuE4ELNS1_3repE0EEENS1_30default_config_static_selectorELNS0_4arch9wavefront6targetE1EEEvT1_.uses_flat_scratch, 0
	.set _ZN7rocprim17ROCPRIM_400000_NS6detail17trampoline_kernelINS0_14default_configENS1_29reduce_by_key_config_selectorIilN6thrust23THRUST_200600_302600_NS4plusIlEEEEZZNS1_33reduce_by_key_impl_wrapped_configILNS1_25lookback_scan_determinismE0ES3_S9_PiNS6_17constant_iteratorIiNS6_11use_defaultESE_EENS6_10device_ptrIiEENSG_IlEEPmS8_NS6_8equal_toIiEEEE10hipError_tPvRmT2_T3_mT4_T5_T6_T7_T8_P12ihipStream_tbENKUlT_T0_E_clISt17integral_constantIbLb0EES13_EEDaSY_SZ_EUlSY_E_NS1_11comp_targetILNS1_3genE10ELNS1_11target_archE1200ELNS1_3gpuE4ELNS1_3repE0EEENS1_30default_config_static_selectorELNS0_4arch9wavefront6targetE1EEEvT1_.has_dyn_sized_stack, 0
	.set _ZN7rocprim17ROCPRIM_400000_NS6detail17trampoline_kernelINS0_14default_configENS1_29reduce_by_key_config_selectorIilN6thrust23THRUST_200600_302600_NS4plusIlEEEEZZNS1_33reduce_by_key_impl_wrapped_configILNS1_25lookback_scan_determinismE0ES3_S9_PiNS6_17constant_iteratorIiNS6_11use_defaultESE_EENS6_10device_ptrIiEENSG_IlEEPmS8_NS6_8equal_toIiEEEE10hipError_tPvRmT2_T3_mT4_T5_T6_T7_T8_P12ihipStream_tbENKUlT_T0_E_clISt17integral_constantIbLb0EES13_EEDaSY_SZ_EUlSY_E_NS1_11comp_targetILNS1_3genE10ELNS1_11target_archE1200ELNS1_3gpuE4ELNS1_3repE0EEENS1_30default_config_static_selectorELNS0_4arch9wavefront6targetE1EEEvT1_.has_recursion, 0
	.set _ZN7rocprim17ROCPRIM_400000_NS6detail17trampoline_kernelINS0_14default_configENS1_29reduce_by_key_config_selectorIilN6thrust23THRUST_200600_302600_NS4plusIlEEEEZZNS1_33reduce_by_key_impl_wrapped_configILNS1_25lookback_scan_determinismE0ES3_S9_PiNS6_17constant_iteratorIiNS6_11use_defaultESE_EENS6_10device_ptrIiEENSG_IlEEPmS8_NS6_8equal_toIiEEEE10hipError_tPvRmT2_T3_mT4_T5_T6_T7_T8_P12ihipStream_tbENKUlT_T0_E_clISt17integral_constantIbLb0EES13_EEDaSY_SZ_EUlSY_E_NS1_11comp_targetILNS1_3genE10ELNS1_11target_archE1200ELNS1_3gpuE4ELNS1_3repE0EEENS1_30default_config_static_selectorELNS0_4arch9wavefront6targetE1EEEvT1_.has_indirect_call, 0
	.section	.AMDGPU.csdata,"",@progbits
; Kernel info:
; codeLenInByte = 0
; TotalNumSgprs: 4
; NumVgprs: 0
; ScratchSize: 0
; MemoryBound: 0
; FloatMode: 240
; IeeeMode: 1
; LDSByteSize: 0 bytes/workgroup (compile time only)
; SGPRBlocks: 0
; VGPRBlocks: 0
; NumSGPRsForWavesPerEU: 4
; NumVGPRsForWavesPerEU: 1
; Occupancy: 10
; WaveLimiterHint : 0
; COMPUTE_PGM_RSRC2:SCRATCH_EN: 0
; COMPUTE_PGM_RSRC2:USER_SGPR: 6
; COMPUTE_PGM_RSRC2:TRAP_HANDLER: 0
; COMPUTE_PGM_RSRC2:TGID_X_EN: 1
; COMPUTE_PGM_RSRC2:TGID_Y_EN: 0
; COMPUTE_PGM_RSRC2:TGID_Z_EN: 0
; COMPUTE_PGM_RSRC2:TIDIG_COMP_CNT: 0
	.section	.text._ZN7rocprim17ROCPRIM_400000_NS6detail17trampoline_kernelINS0_14default_configENS1_29reduce_by_key_config_selectorIilN6thrust23THRUST_200600_302600_NS4plusIlEEEEZZNS1_33reduce_by_key_impl_wrapped_configILNS1_25lookback_scan_determinismE0ES3_S9_PiNS6_17constant_iteratorIiNS6_11use_defaultESE_EENS6_10device_ptrIiEENSG_IlEEPmS8_NS6_8equal_toIiEEEE10hipError_tPvRmT2_T3_mT4_T5_T6_T7_T8_P12ihipStream_tbENKUlT_T0_E_clISt17integral_constantIbLb0EES13_EEDaSY_SZ_EUlSY_E_NS1_11comp_targetILNS1_3genE9ELNS1_11target_archE1100ELNS1_3gpuE3ELNS1_3repE0EEENS1_30default_config_static_selectorELNS0_4arch9wavefront6targetE1EEEvT1_,"axG",@progbits,_ZN7rocprim17ROCPRIM_400000_NS6detail17trampoline_kernelINS0_14default_configENS1_29reduce_by_key_config_selectorIilN6thrust23THRUST_200600_302600_NS4plusIlEEEEZZNS1_33reduce_by_key_impl_wrapped_configILNS1_25lookback_scan_determinismE0ES3_S9_PiNS6_17constant_iteratorIiNS6_11use_defaultESE_EENS6_10device_ptrIiEENSG_IlEEPmS8_NS6_8equal_toIiEEEE10hipError_tPvRmT2_T3_mT4_T5_T6_T7_T8_P12ihipStream_tbENKUlT_T0_E_clISt17integral_constantIbLb0EES13_EEDaSY_SZ_EUlSY_E_NS1_11comp_targetILNS1_3genE9ELNS1_11target_archE1100ELNS1_3gpuE3ELNS1_3repE0EEENS1_30default_config_static_selectorELNS0_4arch9wavefront6targetE1EEEvT1_,comdat
	.protected	_ZN7rocprim17ROCPRIM_400000_NS6detail17trampoline_kernelINS0_14default_configENS1_29reduce_by_key_config_selectorIilN6thrust23THRUST_200600_302600_NS4plusIlEEEEZZNS1_33reduce_by_key_impl_wrapped_configILNS1_25lookback_scan_determinismE0ES3_S9_PiNS6_17constant_iteratorIiNS6_11use_defaultESE_EENS6_10device_ptrIiEENSG_IlEEPmS8_NS6_8equal_toIiEEEE10hipError_tPvRmT2_T3_mT4_T5_T6_T7_T8_P12ihipStream_tbENKUlT_T0_E_clISt17integral_constantIbLb0EES13_EEDaSY_SZ_EUlSY_E_NS1_11comp_targetILNS1_3genE9ELNS1_11target_archE1100ELNS1_3gpuE3ELNS1_3repE0EEENS1_30default_config_static_selectorELNS0_4arch9wavefront6targetE1EEEvT1_ ; -- Begin function _ZN7rocprim17ROCPRIM_400000_NS6detail17trampoline_kernelINS0_14default_configENS1_29reduce_by_key_config_selectorIilN6thrust23THRUST_200600_302600_NS4plusIlEEEEZZNS1_33reduce_by_key_impl_wrapped_configILNS1_25lookback_scan_determinismE0ES3_S9_PiNS6_17constant_iteratorIiNS6_11use_defaultESE_EENS6_10device_ptrIiEENSG_IlEEPmS8_NS6_8equal_toIiEEEE10hipError_tPvRmT2_T3_mT4_T5_T6_T7_T8_P12ihipStream_tbENKUlT_T0_E_clISt17integral_constantIbLb0EES13_EEDaSY_SZ_EUlSY_E_NS1_11comp_targetILNS1_3genE9ELNS1_11target_archE1100ELNS1_3gpuE3ELNS1_3repE0EEENS1_30default_config_static_selectorELNS0_4arch9wavefront6targetE1EEEvT1_
	.globl	_ZN7rocprim17ROCPRIM_400000_NS6detail17trampoline_kernelINS0_14default_configENS1_29reduce_by_key_config_selectorIilN6thrust23THRUST_200600_302600_NS4plusIlEEEEZZNS1_33reduce_by_key_impl_wrapped_configILNS1_25lookback_scan_determinismE0ES3_S9_PiNS6_17constant_iteratorIiNS6_11use_defaultESE_EENS6_10device_ptrIiEENSG_IlEEPmS8_NS6_8equal_toIiEEEE10hipError_tPvRmT2_T3_mT4_T5_T6_T7_T8_P12ihipStream_tbENKUlT_T0_E_clISt17integral_constantIbLb0EES13_EEDaSY_SZ_EUlSY_E_NS1_11comp_targetILNS1_3genE9ELNS1_11target_archE1100ELNS1_3gpuE3ELNS1_3repE0EEENS1_30default_config_static_selectorELNS0_4arch9wavefront6targetE1EEEvT1_
	.p2align	8
	.type	_ZN7rocprim17ROCPRIM_400000_NS6detail17trampoline_kernelINS0_14default_configENS1_29reduce_by_key_config_selectorIilN6thrust23THRUST_200600_302600_NS4plusIlEEEEZZNS1_33reduce_by_key_impl_wrapped_configILNS1_25lookback_scan_determinismE0ES3_S9_PiNS6_17constant_iteratorIiNS6_11use_defaultESE_EENS6_10device_ptrIiEENSG_IlEEPmS8_NS6_8equal_toIiEEEE10hipError_tPvRmT2_T3_mT4_T5_T6_T7_T8_P12ihipStream_tbENKUlT_T0_E_clISt17integral_constantIbLb0EES13_EEDaSY_SZ_EUlSY_E_NS1_11comp_targetILNS1_3genE9ELNS1_11target_archE1100ELNS1_3gpuE3ELNS1_3repE0EEENS1_30default_config_static_selectorELNS0_4arch9wavefront6targetE1EEEvT1_,@function
_ZN7rocprim17ROCPRIM_400000_NS6detail17trampoline_kernelINS0_14default_configENS1_29reduce_by_key_config_selectorIilN6thrust23THRUST_200600_302600_NS4plusIlEEEEZZNS1_33reduce_by_key_impl_wrapped_configILNS1_25lookback_scan_determinismE0ES3_S9_PiNS6_17constant_iteratorIiNS6_11use_defaultESE_EENS6_10device_ptrIiEENSG_IlEEPmS8_NS6_8equal_toIiEEEE10hipError_tPvRmT2_T3_mT4_T5_T6_T7_T8_P12ihipStream_tbENKUlT_T0_E_clISt17integral_constantIbLb0EES13_EEDaSY_SZ_EUlSY_E_NS1_11comp_targetILNS1_3genE9ELNS1_11target_archE1100ELNS1_3gpuE3ELNS1_3repE0EEENS1_30default_config_static_selectorELNS0_4arch9wavefront6targetE1EEEvT1_: ; @_ZN7rocprim17ROCPRIM_400000_NS6detail17trampoline_kernelINS0_14default_configENS1_29reduce_by_key_config_selectorIilN6thrust23THRUST_200600_302600_NS4plusIlEEEEZZNS1_33reduce_by_key_impl_wrapped_configILNS1_25lookback_scan_determinismE0ES3_S9_PiNS6_17constant_iteratorIiNS6_11use_defaultESE_EENS6_10device_ptrIiEENSG_IlEEPmS8_NS6_8equal_toIiEEEE10hipError_tPvRmT2_T3_mT4_T5_T6_T7_T8_P12ihipStream_tbENKUlT_T0_E_clISt17integral_constantIbLb0EES13_EEDaSY_SZ_EUlSY_E_NS1_11comp_targetILNS1_3genE9ELNS1_11target_archE1100ELNS1_3gpuE3ELNS1_3repE0EEENS1_30default_config_static_selectorELNS0_4arch9wavefront6targetE1EEEvT1_
; %bb.0:
	.section	.rodata,"a",@progbits
	.p2align	6, 0x0
	.amdhsa_kernel _ZN7rocprim17ROCPRIM_400000_NS6detail17trampoline_kernelINS0_14default_configENS1_29reduce_by_key_config_selectorIilN6thrust23THRUST_200600_302600_NS4plusIlEEEEZZNS1_33reduce_by_key_impl_wrapped_configILNS1_25lookback_scan_determinismE0ES3_S9_PiNS6_17constant_iteratorIiNS6_11use_defaultESE_EENS6_10device_ptrIiEENSG_IlEEPmS8_NS6_8equal_toIiEEEE10hipError_tPvRmT2_T3_mT4_T5_T6_T7_T8_P12ihipStream_tbENKUlT_T0_E_clISt17integral_constantIbLb0EES13_EEDaSY_SZ_EUlSY_E_NS1_11comp_targetILNS1_3genE9ELNS1_11target_archE1100ELNS1_3gpuE3ELNS1_3repE0EEENS1_30default_config_static_selectorELNS0_4arch9wavefront6targetE1EEEvT1_
		.amdhsa_group_segment_fixed_size 0
		.amdhsa_private_segment_fixed_size 0
		.amdhsa_kernarg_size 144
		.amdhsa_user_sgpr_count 6
		.amdhsa_user_sgpr_private_segment_buffer 1
		.amdhsa_user_sgpr_dispatch_ptr 0
		.amdhsa_user_sgpr_queue_ptr 0
		.amdhsa_user_sgpr_kernarg_segment_ptr 1
		.amdhsa_user_sgpr_dispatch_id 0
		.amdhsa_user_sgpr_flat_scratch_init 0
		.amdhsa_user_sgpr_private_segment_size 0
		.amdhsa_uses_dynamic_stack 0
		.amdhsa_system_sgpr_private_segment_wavefront_offset 0
		.amdhsa_system_sgpr_workgroup_id_x 1
		.amdhsa_system_sgpr_workgroup_id_y 0
		.amdhsa_system_sgpr_workgroup_id_z 0
		.amdhsa_system_sgpr_workgroup_info 0
		.amdhsa_system_vgpr_workitem_id 0
		.amdhsa_next_free_vgpr 1
		.amdhsa_next_free_sgpr 0
		.amdhsa_reserve_vcc 0
		.amdhsa_reserve_flat_scratch 0
		.amdhsa_float_round_mode_32 0
		.amdhsa_float_round_mode_16_64 0
		.amdhsa_float_denorm_mode_32 3
		.amdhsa_float_denorm_mode_16_64 3
		.amdhsa_dx10_clamp 1
		.amdhsa_ieee_mode 1
		.amdhsa_fp16_overflow 0
		.amdhsa_exception_fp_ieee_invalid_op 0
		.amdhsa_exception_fp_denorm_src 0
		.amdhsa_exception_fp_ieee_div_zero 0
		.amdhsa_exception_fp_ieee_overflow 0
		.amdhsa_exception_fp_ieee_underflow 0
		.amdhsa_exception_fp_ieee_inexact 0
		.amdhsa_exception_int_div_zero 0
	.end_amdhsa_kernel
	.section	.text._ZN7rocprim17ROCPRIM_400000_NS6detail17trampoline_kernelINS0_14default_configENS1_29reduce_by_key_config_selectorIilN6thrust23THRUST_200600_302600_NS4plusIlEEEEZZNS1_33reduce_by_key_impl_wrapped_configILNS1_25lookback_scan_determinismE0ES3_S9_PiNS6_17constant_iteratorIiNS6_11use_defaultESE_EENS6_10device_ptrIiEENSG_IlEEPmS8_NS6_8equal_toIiEEEE10hipError_tPvRmT2_T3_mT4_T5_T6_T7_T8_P12ihipStream_tbENKUlT_T0_E_clISt17integral_constantIbLb0EES13_EEDaSY_SZ_EUlSY_E_NS1_11comp_targetILNS1_3genE9ELNS1_11target_archE1100ELNS1_3gpuE3ELNS1_3repE0EEENS1_30default_config_static_selectorELNS0_4arch9wavefront6targetE1EEEvT1_,"axG",@progbits,_ZN7rocprim17ROCPRIM_400000_NS6detail17trampoline_kernelINS0_14default_configENS1_29reduce_by_key_config_selectorIilN6thrust23THRUST_200600_302600_NS4plusIlEEEEZZNS1_33reduce_by_key_impl_wrapped_configILNS1_25lookback_scan_determinismE0ES3_S9_PiNS6_17constant_iteratorIiNS6_11use_defaultESE_EENS6_10device_ptrIiEENSG_IlEEPmS8_NS6_8equal_toIiEEEE10hipError_tPvRmT2_T3_mT4_T5_T6_T7_T8_P12ihipStream_tbENKUlT_T0_E_clISt17integral_constantIbLb0EES13_EEDaSY_SZ_EUlSY_E_NS1_11comp_targetILNS1_3genE9ELNS1_11target_archE1100ELNS1_3gpuE3ELNS1_3repE0EEENS1_30default_config_static_selectorELNS0_4arch9wavefront6targetE1EEEvT1_,comdat
.Lfunc_end945:
	.size	_ZN7rocprim17ROCPRIM_400000_NS6detail17trampoline_kernelINS0_14default_configENS1_29reduce_by_key_config_selectorIilN6thrust23THRUST_200600_302600_NS4plusIlEEEEZZNS1_33reduce_by_key_impl_wrapped_configILNS1_25lookback_scan_determinismE0ES3_S9_PiNS6_17constant_iteratorIiNS6_11use_defaultESE_EENS6_10device_ptrIiEENSG_IlEEPmS8_NS6_8equal_toIiEEEE10hipError_tPvRmT2_T3_mT4_T5_T6_T7_T8_P12ihipStream_tbENKUlT_T0_E_clISt17integral_constantIbLb0EES13_EEDaSY_SZ_EUlSY_E_NS1_11comp_targetILNS1_3genE9ELNS1_11target_archE1100ELNS1_3gpuE3ELNS1_3repE0EEENS1_30default_config_static_selectorELNS0_4arch9wavefront6targetE1EEEvT1_, .Lfunc_end945-_ZN7rocprim17ROCPRIM_400000_NS6detail17trampoline_kernelINS0_14default_configENS1_29reduce_by_key_config_selectorIilN6thrust23THRUST_200600_302600_NS4plusIlEEEEZZNS1_33reduce_by_key_impl_wrapped_configILNS1_25lookback_scan_determinismE0ES3_S9_PiNS6_17constant_iteratorIiNS6_11use_defaultESE_EENS6_10device_ptrIiEENSG_IlEEPmS8_NS6_8equal_toIiEEEE10hipError_tPvRmT2_T3_mT4_T5_T6_T7_T8_P12ihipStream_tbENKUlT_T0_E_clISt17integral_constantIbLb0EES13_EEDaSY_SZ_EUlSY_E_NS1_11comp_targetILNS1_3genE9ELNS1_11target_archE1100ELNS1_3gpuE3ELNS1_3repE0EEENS1_30default_config_static_selectorELNS0_4arch9wavefront6targetE1EEEvT1_
                                        ; -- End function
	.set _ZN7rocprim17ROCPRIM_400000_NS6detail17trampoline_kernelINS0_14default_configENS1_29reduce_by_key_config_selectorIilN6thrust23THRUST_200600_302600_NS4plusIlEEEEZZNS1_33reduce_by_key_impl_wrapped_configILNS1_25lookback_scan_determinismE0ES3_S9_PiNS6_17constant_iteratorIiNS6_11use_defaultESE_EENS6_10device_ptrIiEENSG_IlEEPmS8_NS6_8equal_toIiEEEE10hipError_tPvRmT2_T3_mT4_T5_T6_T7_T8_P12ihipStream_tbENKUlT_T0_E_clISt17integral_constantIbLb0EES13_EEDaSY_SZ_EUlSY_E_NS1_11comp_targetILNS1_3genE9ELNS1_11target_archE1100ELNS1_3gpuE3ELNS1_3repE0EEENS1_30default_config_static_selectorELNS0_4arch9wavefront6targetE1EEEvT1_.num_vgpr, 0
	.set _ZN7rocprim17ROCPRIM_400000_NS6detail17trampoline_kernelINS0_14default_configENS1_29reduce_by_key_config_selectorIilN6thrust23THRUST_200600_302600_NS4plusIlEEEEZZNS1_33reduce_by_key_impl_wrapped_configILNS1_25lookback_scan_determinismE0ES3_S9_PiNS6_17constant_iteratorIiNS6_11use_defaultESE_EENS6_10device_ptrIiEENSG_IlEEPmS8_NS6_8equal_toIiEEEE10hipError_tPvRmT2_T3_mT4_T5_T6_T7_T8_P12ihipStream_tbENKUlT_T0_E_clISt17integral_constantIbLb0EES13_EEDaSY_SZ_EUlSY_E_NS1_11comp_targetILNS1_3genE9ELNS1_11target_archE1100ELNS1_3gpuE3ELNS1_3repE0EEENS1_30default_config_static_selectorELNS0_4arch9wavefront6targetE1EEEvT1_.num_agpr, 0
	.set _ZN7rocprim17ROCPRIM_400000_NS6detail17trampoline_kernelINS0_14default_configENS1_29reduce_by_key_config_selectorIilN6thrust23THRUST_200600_302600_NS4plusIlEEEEZZNS1_33reduce_by_key_impl_wrapped_configILNS1_25lookback_scan_determinismE0ES3_S9_PiNS6_17constant_iteratorIiNS6_11use_defaultESE_EENS6_10device_ptrIiEENSG_IlEEPmS8_NS6_8equal_toIiEEEE10hipError_tPvRmT2_T3_mT4_T5_T6_T7_T8_P12ihipStream_tbENKUlT_T0_E_clISt17integral_constantIbLb0EES13_EEDaSY_SZ_EUlSY_E_NS1_11comp_targetILNS1_3genE9ELNS1_11target_archE1100ELNS1_3gpuE3ELNS1_3repE0EEENS1_30default_config_static_selectorELNS0_4arch9wavefront6targetE1EEEvT1_.numbered_sgpr, 0
	.set _ZN7rocprim17ROCPRIM_400000_NS6detail17trampoline_kernelINS0_14default_configENS1_29reduce_by_key_config_selectorIilN6thrust23THRUST_200600_302600_NS4plusIlEEEEZZNS1_33reduce_by_key_impl_wrapped_configILNS1_25lookback_scan_determinismE0ES3_S9_PiNS6_17constant_iteratorIiNS6_11use_defaultESE_EENS6_10device_ptrIiEENSG_IlEEPmS8_NS6_8equal_toIiEEEE10hipError_tPvRmT2_T3_mT4_T5_T6_T7_T8_P12ihipStream_tbENKUlT_T0_E_clISt17integral_constantIbLb0EES13_EEDaSY_SZ_EUlSY_E_NS1_11comp_targetILNS1_3genE9ELNS1_11target_archE1100ELNS1_3gpuE3ELNS1_3repE0EEENS1_30default_config_static_selectorELNS0_4arch9wavefront6targetE1EEEvT1_.num_named_barrier, 0
	.set _ZN7rocprim17ROCPRIM_400000_NS6detail17trampoline_kernelINS0_14default_configENS1_29reduce_by_key_config_selectorIilN6thrust23THRUST_200600_302600_NS4plusIlEEEEZZNS1_33reduce_by_key_impl_wrapped_configILNS1_25lookback_scan_determinismE0ES3_S9_PiNS6_17constant_iteratorIiNS6_11use_defaultESE_EENS6_10device_ptrIiEENSG_IlEEPmS8_NS6_8equal_toIiEEEE10hipError_tPvRmT2_T3_mT4_T5_T6_T7_T8_P12ihipStream_tbENKUlT_T0_E_clISt17integral_constantIbLb0EES13_EEDaSY_SZ_EUlSY_E_NS1_11comp_targetILNS1_3genE9ELNS1_11target_archE1100ELNS1_3gpuE3ELNS1_3repE0EEENS1_30default_config_static_selectorELNS0_4arch9wavefront6targetE1EEEvT1_.private_seg_size, 0
	.set _ZN7rocprim17ROCPRIM_400000_NS6detail17trampoline_kernelINS0_14default_configENS1_29reduce_by_key_config_selectorIilN6thrust23THRUST_200600_302600_NS4plusIlEEEEZZNS1_33reduce_by_key_impl_wrapped_configILNS1_25lookback_scan_determinismE0ES3_S9_PiNS6_17constant_iteratorIiNS6_11use_defaultESE_EENS6_10device_ptrIiEENSG_IlEEPmS8_NS6_8equal_toIiEEEE10hipError_tPvRmT2_T3_mT4_T5_T6_T7_T8_P12ihipStream_tbENKUlT_T0_E_clISt17integral_constantIbLb0EES13_EEDaSY_SZ_EUlSY_E_NS1_11comp_targetILNS1_3genE9ELNS1_11target_archE1100ELNS1_3gpuE3ELNS1_3repE0EEENS1_30default_config_static_selectorELNS0_4arch9wavefront6targetE1EEEvT1_.uses_vcc, 0
	.set _ZN7rocprim17ROCPRIM_400000_NS6detail17trampoline_kernelINS0_14default_configENS1_29reduce_by_key_config_selectorIilN6thrust23THRUST_200600_302600_NS4plusIlEEEEZZNS1_33reduce_by_key_impl_wrapped_configILNS1_25lookback_scan_determinismE0ES3_S9_PiNS6_17constant_iteratorIiNS6_11use_defaultESE_EENS6_10device_ptrIiEENSG_IlEEPmS8_NS6_8equal_toIiEEEE10hipError_tPvRmT2_T3_mT4_T5_T6_T7_T8_P12ihipStream_tbENKUlT_T0_E_clISt17integral_constantIbLb0EES13_EEDaSY_SZ_EUlSY_E_NS1_11comp_targetILNS1_3genE9ELNS1_11target_archE1100ELNS1_3gpuE3ELNS1_3repE0EEENS1_30default_config_static_selectorELNS0_4arch9wavefront6targetE1EEEvT1_.uses_flat_scratch, 0
	.set _ZN7rocprim17ROCPRIM_400000_NS6detail17trampoline_kernelINS0_14default_configENS1_29reduce_by_key_config_selectorIilN6thrust23THRUST_200600_302600_NS4plusIlEEEEZZNS1_33reduce_by_key_impl_wrapped_configILNS1_25lookback_scan_determinismE0ES3_S9_PiNS6_17constant_iteratorIiNS6_11use_defaultESE_EENS6_10device_ptrIiEENSG_IlEEPmS8_NS6_8equal_toIiEEEE10hipError_tPvRmT2_T3_mT4_T5_T6_T7_T8_P12ihipStream_tbENKUlT_T0_E_clISt17integral_constantIbLb0EES13_EEDaSY_SZ_EUlSY_E_NS1_11comp_targetILNS1_3genE9ELNS1_11target_archE1100ELNS1_3gpuE3ELNS1_3repE0EEENS1_30default_config_static_selectorELNS0_4arch9wavefront6targetE1EEEvT1_.has_dyn_sized_stack, 0
	.set _ZN7rocprim17ROCPRIM_400000_NS6detail17trampoline_kernelINS0_14default_configENS1_29reduce_by_key_config_selectorIilN6thrust23THRUST_200600_302600_NS4plusIlEEEEZZNS1_33reduce_by_key_impl_wrapped_configILNS1_25lookback_scan_determinismE0ES3_S9_PiNS6_17constant_iteratorIiNS6_11use_defaultESE_EENS6_10device_ptrIiEENSG_IlEEPmS8_NS6_8equal_toIiEEEE10hipError_tPvRmT2_T3_mT4_T5_T6_T7_T8_P12ihipStream_tbENKUlT_T0_E_clISt17integral_constantIbLb0EES13_EEDaSY_SZ_EUlSY_E_NS1_11comp_targetILNS1_3genE9ELNS1_11target_archE1100ELNS1_3gpuE3ELNS1_3repE0EEENS1_30default_config_static_selectorELNS0_4arch9wavefront6targetE1EEEvT1_.has_recursion, 0
	.set _ZN7rocprim17ROCPRIM_400000_NS6detail17trampoline_kernelINS0_14default_configENS1_29reduce_by_key_config_selectorIilN6thrust23THRUST_200600_302600_NS4plusIlEEEEZZNS1_33reduce_by_key_impl_wrapped_configILNS1_25lookback_scan_determinismE0ES3_S9_PiNS6_17constant_iteratorIiNS6_11use_defaultESE_EENS6_10device_ptrIiEENSG_IlEEPmS8_NS6_8equal_toIiEEEE10hipError_tPvRmT2_T3_mT4_T5_T6_T7_T8_P12ihipStream_tbENKUlT_T0_E_clISt17integral_constantIbLb0EES13_EEDaSY_SZ_EUlSY_E_NS1_11comp_targetILNS1_3genE9ELNS1_11target_archE1100ELNS1_3gpuE3ELNS1_3repE0EEENS1_30default_config_static_selectorELNS0_4arch9wavefront6targetE1EEEvT1_.has_indirect_call, 0
	.section	.AMDGPU.csdata,"",@progbits
; Kernel info:
; codeLenInByte = 0
; TotalNumSgprs: 4
; NumVgprs: 0
; ScratchSize: 0
; MemoryBound: 0
; FloatMode: 240
; IeeeMode: 1
; LDSByteSize: 0 bytes/workgroup (compile time only)
; SGPRBlocks: 0
; VGPRBlocks: 0
; NumSGPRsForWavesPerEU: 4
; NumVGPRsForWavesPerEU: 1
; Occupancy: 10
; WaveLimiterHint : 0
; COMPUTE_PGM_RSRC2:SCRATCH_EN: 0
; COMPUTE_PGM_RSRC2:USER_SGPR: 6
; COMPUTE_PGM_RSRC2:TRAP_HANDLER: 0
; COMPUTE_PGM_RSRC2:TGID_X_EN: 1
; COMPUTE_PGM_RSRC2:TGID_Y_EN: 0
; COMPUTE_PGM_RSRC2:TGID_Z_EN: 0
; COMPUTE_PGM_RSRC2:TIDIG_COMP_CNT: 0
	.section	.text._ZN7rocprim17ROCPRIM_400000_NS6detail17trampoline_kernelINS0_14default_configENS1_29reduce_by_key_config_selectorIilN6thrust23THRUST_200600_302600_NS4plusIlEEEEZZNS1_33reduce_by_key_impl_wrapped_configILNS1_25lookback_scan_determinismE0ES3_S9_PiNS6_17constant_iteratorIiNS6_11use_defaultESE_EENS6_10device_ptrIiEENSG_IlEEPmS8_NS6_8equal_toIiEEEE10hipError_tPvRmT2_T3_mT4_T5_T6_T7_T8_P12ihipStream_tbENKUlT_T0_E_clISt17integral_constantIbLb0EES13_EEDaSY_SZ_EUlSY_E_NS1_11comp_targetILNS1_3genE8ELNS1_11target_archE1030ELNS1_3gpuE2ELNS1_3repE0EEENS1_30default_config_static_selectorELNS0_4arch9wavefront6targetE1EEEvT1_,"axG",@progbits,_ZN7rocprim17ROCPRIM_400000_NS6detail17trampoline_kernelINS0_14default_configENS1_29reduce_by_key_config_selectorIilN6thrust23THRUST_200600_302600_NS4plusIlEEEEZZNS1_33reduce_by_key_impl_wrapped_configILNS1_25lookback_scan_determinismE0ES3_S9_PiNS6_17constant_iteratorIiNS6_11use_defaultESE_EENS6_10device_ptrIiEENSG_IlEEPmS8_NS6_8equal_toIiEEEE10hipError_tPvRmT2_T3_mT4_T5_T6_T7_T8_P12ihipStream_tbENKUlT_T0_E_clISt17integral_constantIbLb0EES13_EEDaSY_SZ_EUlSY_E_NS1_11comp_targetILNS1_3genE8ELNS1_11target_archE1030ELNS1_3gpuE2ELNS1_3repE0EEENS1_30default_config_static_selectorELNS0_4arch9wavefront6targetE1EEEvT1_,comdat
	.protected	_ZN7rocprim17ROCPRIM_400000_NS6detail17trampoline_kernelINS0_14default_configENS1_29reduce_by_key_config_selectorIilN6thrust23THRUST_200600_302600_NS4plusIlEEEEZZNS1_33reduce_by_key_impl_wrapped_configILNS1_25lookback_scan_determinismE0ES3_S9_PiNS6_17constant_iteratorIiNS6_11use_defaultESE_EENS6_10device_ptrIiEENSG_IlEEPmS8_NS6_8equal_toIiEEEE10hipError_tPvRmT2_T3_mT4_T5_T6_T7_T8_P12ihipStream_tbENKUlT_T0_E_clISt17integral_constantIbLb0EES13_EEDaSY_SZ_EUlSY_E_NS1_11comp_targetILNS1_3genE8ELNS1_11target_archE1030ELNS1_3gpuE2ELNS1_3repE0EEENS1_30default_config_static_selectorELNS0_4arch9wavefront6targetE1EEEvT1_ ; -- Begin function _ZN7rocprim17ROCPRIM_400000_NS6detail17trampoline_kernelINS0_14default_configENS1_29reduce_by_key_config_selectorIilN6thrust23THRUST_200600_302600_NS4plusIlEEEEZZNS1_33reduce_by_key_impl_wrapped_configILNS1_25lookback_scan_determinismE0ES3_S9_PiNS6_17constant_iteratorIiNS6_11use_defaultESE_EENS6_10device_ptrIiEENSG_IlEEPmS8_NS6_8equal_toIiEEEE10hipError_tPvRmT2_T3_mT4_T5_T6_T7_T8_P12ihipStream_tbENKUlT_T0_E_clISt17integral_constantIbLb0EES13_EEDaSY_SZ_EUlSY_E_NS1_11comp_targetILNS1_3genE8ELNS1_11target_archE1030ELNS1_3gpuE2ELNS1_3repE0EEENS1_30default_config_static_selectorELNS0_4arch9wavefront6targetE1EEEvT1_
	.globl	_ZN7rocprim17ROCPRIM_400000_NS6detail17trampoline_kernelINS0_14default_configENS1_29reduce_by_key_config_selectorIilN6thrust23THRUST_200600_302600_NS4plusIlEEEEZZNS1_33reduce_by_key_impl_wrapped_configILNS1_25lookback_scan_determinismE0ES3_S9_PiNS6_17constant_iteratorIiNS6_11use_defaultESE_EENS6_10device_ptrIiEENSG_IlEEPmS8_NS6_8equal_toIiEEEE10hipError_tPvRmT2_T3_mT4_T5_T6_T7_T8_P12ihipStream_tbENKUlT_T0_E_clISt17integral_constantIbLb0EES13_EEDaSY_SZ_EUlSY_E_NS1_11comp_targetILNS1_3genE8ELNS1_11target_archE1030ELNS1_3gpuE2ELNS1_3repE0EEENS1_30default_config_static_selectorELNS0_4arch9wavefront6targetE1EEEvT1_
	.p2align	8
	.type	_ZN7rocprim17ROCPRIM_400000_NS6detail17trampoline_kernelINS0_14default_configENS1_29reduce_by_key_config_selectorIilN6thrust23THRUST_200600_302600_NS4plusIlEEEEZZNS1_33reduce_by_key_impl_wrapped_configILNS1_25lookback_scan_determinismE0ES3_S9_PiNS6_17constant_iteratorIiNS6_11use_defaultESE_EENS6_10device_ptrIiEENSG_IlEEPmS8_NS6_8equal_toIiEEEE10hipError_tPvRmT2_T3_mT4_T5_T6_T7_T8_P12ihipStream_tbENKUlT_T0_E_clISt17integral_constantIbLb0EES13_EEDaSY_SZ_EUlSY_E_NS1_11comp_targetILNS1_3genE8ELNS1_11target_archE1030ELNS1_3gpuE2ELNS1_3repE0EEENS1_30default_config_static_selectorELNS0_4arch9wavefront6targetE1EEEvT1_,@function
_ZN7rocprim17ROCPRIM_400000_NS6detail17trampoline_kernelINS0_14default_configENS1_29reduce_by_key_config_selectorIilN6thrust23THRUST_200600_302600_NS4plusIlEEEEZZNS1_33reduce_by_key_impl_wrapped_configILNS1_25lookback_scan_determinismE0ES3_S9_PiNS6_17constant_iteratorIiNS6_11use_defaultESE_EENS6_10device_ptrIiEENSG_IlEEPmS8_NS6_8equal_toIiEEEE10hipError_tPvRmT2_T3_mT4_T5_T6_T7_T8_P12ihipStream_tbENKUlT_T0_E_clISt17integral_constantIbLb0EES13_EEDaSY_SZ_EUlSY_E_NS1_11comp_targetILNS1_3genE8ELNS1_11target_archE1030ELNS1_3gpuE2ELNS1_3repE0EEENS1_30default_config_static_selectorELNS0_4arch9wavefront6targetE1EEEvT1_: ; @_ZN7rocprim17ROCPRIM_400000_NS6detail17trampoline_kernelINS0_14default_configENS1_29reduce_by_key_config_selectorIilN6thrust23THRUST_200600_302600_NS4plusIlEEEEZZNS1_33reduce_by_key_impl_wrapped_configILNS1_25lookback_scan_determinismE0ES3_S9_PiNS6_17constant_iteratorIiNS6_11use_defaultESE_EENS6_10device_ptrIiEENSG_IlEEPmS8_NS6_8equal_toIiEEEE10hipError_tPvRmT2_T3_mT4_T5_T6_T7_T8_P12ihipStream_tbENKUlT_T0_E_clISt17integral_constantIbLb0EES13_EEDaSY_SZ_EUlSY_E_NS1_11comp_targetILNS1_3genE8ELNS1_11target_archE1030ELNS1_3gpuE2ELNS1_3repE0EEENS1_30default_config_static_selectorELNS0_4arch9wavefront6targetE1EEEvT1_
; %bb.0:
	.section	.rodata,"a",@progbits
	.p2align	6, 0x0
	.amdhsa_kernel _ZN7rocprim17ROCPRIM_400000_NS6detail17trampoline_kernelINS0_14default_configENS1_29reduce_by_key_config_selectorIilN6thrust23THRUST_200600_302600_NS4plusIlEEEEZZNS1_33reduce_by_key_impl_wrapped_configILNS1_25lookback_scan_determinismE0ES3_S9_PiNS6_17constant_iteratorIiNS6_11use_defaultESE_EENS6_10device_ptrIiEENSG_IlEEPmS8_NS6_8equal_toIiEEEE10hipError_tPvRmT2_T3_mT4_T5_T6_T7_T8_P12ihipStream_tbENKUlT_T0_E_clISt17integral_constantIbLb0EES13_EEDaSY_SZ_EUlSY_E_NS1_11comp_targetILNS1_3genE8ELNS1_11target_archE1030ELNS1_3gpuE2ELNS1_3repE0EEENS1_30default_config_static_selectorELNS0_4arch9wavefront6targetE1EEEvT1_
		.amdhsa_group_segment_fixed_size 0
		.amdhsa_private_segment_fixed_size 0
		.amdhsa_kernarg_size 144
		.amdhsa_user_sgpr_count 6
		.amdhsa_user_sgpr_private_segment_buffer 1
		.amdhsa_user_sgpr_dispatch_ptr 0
		.amdhsa_user_sgpr_queue_ptr 0
		.amdhsa_user_sgpr_kernarg_segment_ptr 1
		.amdhsa_user_sgpr_dispatch_id 0
		.amdhsa_user_sgpr_flat_scratch_init 0
		.amdhsa_user_sgpr_private_segment_size 0
		.amdhsa_uses_dynamic_stack 0
		.amdhsa_system_sgpr_private_segment_wavefront_offset 0
		.amdhsa_system_sgpr_workgroup_id_x 1
		.amdhsa_system_sgpr_workgroup_id_y 0
		.amdhsa_system_sgpr_workgroup_id_z 0
		.amdhsa_system_sgpr_workgroup_info 0
		.amdhsa_system_vgpr_workitem_id 0
		.amdhsa_next_free_vgpr 1
		.amdhsa_next_free_sgpr 0
		.amdhsa_reserve_vcc 0
		.amdhsa_reserve_flat_scratch 0
		.amdhsa_float_round_mode_32 0
		.amdhsa_float_round_mode_16_64 0
		.amdhsa_float_denorm_mode_32 3
		.amdhsa_float_denorm_mode_16_64 3
		.amdhsa_dx10_clamp 1
		.amdhsa_ieee_mode 1
		.amdhsa_fp16_overflow 0
		.amdhsa_exception_fp_ieee_invalid_op 0
		.amdhsa_exception_fp_denorm_src 0
		.amdhsa_exception_fp_ieee_div_zero 0
		.amdhsa_exception_fp_ieee_overflow 0
		.amdhsa_exception_fp_ieee_underflow 0
		.amdhsa_exception_fp_ieee_inexact 0
		.amdhsa_exception_int_div_zero 0
	.end_amdhsa_kernel
	.section	.text._ZN7rocprim17ROCPRIM_400000_NS6detail17trampoline_kernelINS0_14default_configENS1_29reduce_by_key_config_selectorIilN6thrust23THRUST_200600_302600_NS4plusIlEEEEZZNS1_33reduce_by_key_impl_wrapped_configILNS1_25lookback_scan_determinismE0ES3_S9_PiNS6_17constant_iteratorIiNS6_11use_defaultESE_EENS6_10device_ptrIiEENSG_IlEEPmS8_NS6_8equal_toIiEEEE10hipError_tPvRmT2_T3_mT4_T5_T6_T7_T8_P12ihipStream_tbENKUlT_T0_E_clISt17integral_constantIbLb0EES13_EEDaSY_SZ_EUlSY_E_NS1_11comp_targetILNS1_3genE8ELNS1_11target_archE1030ELNS1_3gpuE2ELNS1_3repE0EEENS1_30default_config_static_selectorELNS0_4arch9wavefront6targetE1EEEvT1_,"axG",@progbits,_ZN7rocprim17ROCPRIM_400000_NS6detail17trampoline_kernelINS0_14default_configENS1_29reduce_by_key_config_selectorIilN6thrust23THRUST_200600_302600_NS4plusIlEEEEZZNS1_33reduce_by_key_impl_wrapped_configILNS1_25lookback_scan_determinismE0ES3_S9_PiNS6_17constant_iteratorIiNS6_11use_defaultESE_EENS6_10device_ptrIiEENSG_IlEEPmS8_NS6_8equal_toIiEEEE10hipError_tPvRmT2_T3_mT4_T5_T6_T7_T8_P12ihipStream_tbENKUlT_T0_E_clISt17integral_constantIbLb0EES13_EEDaSY_SZ_EUlSY_E_NS1_11comp_targetILNS1_3genE8ELNS1_11target_archE1030ELNS1_3gpuE2ELNS1_3repE0EEENS1_30default_config_static_selectorELNS0_4arch9wavefront6targetE1EEEvT1_,comdat
.Lfunc_end946:
	.size	_ZN7rocprim17ROCPRIM_400000_NS6detail17trampoline_kernelINS0_14default_configENS1_29reduce_by_key_config_selectorIilN6thrust23THRUST_200600_302600_NS4plusIlEEEEZZNS1_33reduce_by_key_impl_wrapped_configILNS1_25lookback_scan_determinismE0ES3_S9_PiNS6_17constant_iteratorIiNS6_11use_defaultESE_EENS6_10device_ptrIiEENSG_IlEEPmS8_NS6_8equal_toIiEEEE10hipError_tPvRmT2_T3_mT4_T5_T6_T7_T8_P12ihipStream_tbENKUlT_T0_E_clISt17integral_constantIbLb0EES13_EEDaSY_SZ_EUlSY_E_NS1_11comp_targetILNS1_3genE8ELNS1_11target_archE1030ELNS1_3gpuE2ELNS1_3repE0EEENS1_30default_config_static_selectorELNS0_4arch9wavefront6targetE1EEEvT1_, .Lfunc_end946-_ZN7rocprim17ROCPRIM_400000_NS6detail17trampoline_kernelINS0_14default_configENS1_29reduce_by_key_config_selectorIilN6thrust23THRUST_200600_302600_NS4plusIlEEEEZZNS1_33reduce_by_key_impl_wrapped_configILNS1_25lookback_scan_determinismE0ES3_S9_PiNS6_17constant_iteratorIiNS6_11use_defaultESE_EENS6_10device_ptrIiEENSG_IlEEPmS8_NS6_8equal_toIiEEEE10hipError_tPvRmT2_T3_mT4_T5_T6_T7_T8_P12ihipStream_tbENKUlT_T0_E_clISt17integral_constantIbLb0EES13_EEDaSY_SZ_EUlSY_E_NS1_11comp_targetILNS1_3genE8ELNS1_11target_archE1030ELNS1_3gpuE2ELNS1_3repE0EEENS1_30default_config_static_selectorELNS0_4arch9wavefront6targetE1EEEvT1_
                                        ; -- End function
	.set _ZN7rocprim17ROCPRIM_400000_NS6detail17trampoline_kernelINS0_14default_configENS1_29reduce_by_key_config_selectorIilN6thrust23THRUST_200600_302600_NS4plusIlEEEEZZNS1_33reduce_by_key_impl_wrapped_configILNS1_25lookback_scan_determinismE0ES3_S9_PiNS6_17constant_iteratorIiNS6_11use_defaultESE_EENS6_10device_ptrIiEENSG_IlEEPmS8_NS6_8equal_toIiEEEE10hipError_tPvRmT2_T3_mT4_T5_T6_T7_T8_P12ihipStream_tbENKUlT_T0_E_clISt17integral_constantIbLb0EES13_EEDaSY_SZ_EUlSY_E_NS1_11comp_targetILNS1_3genE8ELNS1_11target_archE1030ELNS1_3gpuE2ELNS1_3repE0EEENS1_30default_config_static_selectorELNS0_4arch9wavefront6targetE1EEEvT1_.num_vgpr, 0
	.set _ZN7rocprim17ROCPRIM_400000_NS6detail17trampoline_kernelINS0_14default_configENS1_29reduce_by_key_config_selectorIilN6thrust23THRUST_200600_302600_NS4plusIlEEEEZZNS1_33reduce_by_key_impl_wrapped_configILNS1_25lookback_scan_determinismE0ES3_S9_PiNS6_17constant_iteratorIiNS6_11use_defaultESE_EENS6_10device_ptrIiEENSG_IlEEPmS8_NS6_8equal_toIiEEEE10hipError_tPvRmT2_T3_mT4_T5_T6_T7_T8_P12ihipStream_tbENKUlT_T0_E_clISt17integral_constantIbLb0EES13_EEDaSY_SZ_EUlSY_E_NS1_11comp_targetILNS1_3genE8ELNS1_11target_archE1030ELNS1_3gpuE2ELNS1_3repE0EEENS1_30default_config_static_selectorELNS0_4arch9wavefront6targetE1EEEvT1_.num_agpr, 0
	.set _ZN7rocprim17ROCPRIM_400000_NS6detail17trampoline_kernelINS0_14default_configENS1_29reduce_by_key_config_selectorIilN6thrust23THRUST_200600_302600_NS4plusIlEEEEZZNS1_33reduce_by_key_impl_wrapped_configILNS1_25lookback_scan_determinismE0ES3_S9_PiNS6_17constant_iteratorIiNS6_11use_defaultESE_EENS6_10device_ptrIiEENSG_IlEEPmS8_NS6_8equal_toIiEEEE10hipError_tPvRmT2_T3_mT4_T5_T6_T7_T8_P12ihipStream_tbENKUlT_T0_E_clISt17integral_constantIbLb0EES13_EEDaSY_SZ_EUlSY_E_NS1_11comp_targetILNS1_3genE8ELNS1_11target_archE1030ELNS1_3gpuE2ELNS1_3repE0EEENS1_30default_config_static_selectorELNS0_4arch9wavefront6targetE1EEEvT1_.numbered_sgpr, 0
	.set _ZN7rocprim17ROCPRIM_400000_NS6detail17trampoline_kernelINS0_14default_configENS1_29reduce_by_key_config_selectorIilN6thrust23THRUST_200600_302600_NS4plusIlEEEEZZNS1_33reduce_by_key_impl_wrapped_configILNS1_25lookback_scan_determinismE0ES3_S9_PiNS6_17constant_iteratorIiNS6_11use_defaultESE_EENS6_10device_ptrIiEENSG_IlEEPmS8_NS6_8equal_toIiEEEE10hipError_tPvRmT2_T3_mT4_T5_T6_T7_T8_P12ihipStream_tbENKUlT_T0_E_clISt17integral_constantIbLb0EES13_EEDaSY_SZ_EUlSY_E_NS1_11comp_targetILNS1_3genE8ELNS1_11target_archE1030ELNS1_3gpuE2ELNS1_3repE0EEENS1_30default_config_static_selectorELNS0_4arch9wavefront6targetE1EEEvT1_.num_named_barrier, 0
	.set _ZN7rocprim17ROCPRIM_400000_NS6detail17trampoline_kernelINS0_14default_configENS1_29reduce_by_key_config_selectorIilN6thrust23THRUST_200600_302600_NS4plusIlEEEEZZNS1_33reduce_by_key_impl_wrapped_configILNS1_25lookback_scan_determinismE0ES3_S9_PiNS6_17constant_iteratorIiNS6_11use_defaultESE_EENS6_10device_ptrIiEENSG_IlEEPmS8_NS6_8equal_toIiEEEE10hipError_tPvRmT2_T3_mT4_T5_T6_T7_T8_P12ihipStream_tbENKUlT_T0_E_clISt17integral_constantIbLb0EES13_EEDaSY_SZ_EUlSY_E_NS1_11comp_targetILNS1_3genE8ELNS1_11target_archE1030ELNS1_3gpuE2ELNS1_3repE0EEENS1_30default_config_static_selectorELNS0_4arch9wavefront6targetE1EEEvT1_.private_seg_size, 0
	.set _ZN7rocprim17ROCPRIM_400000_NS6detail17trampoline_kernelINS0_14default_configENS1_29reduce_by_key_config_selectorIilN6thrust23THRUST_200600_302600_NS4plusIlEEEEZZNS1_33reduce_by_key_impl_wrapped_configILNS1_25lookback_scan_determinismE0ES3_S9_PiNS6_17constant_iteratorIiNS6_11use_defaultESE_EENS6_10device_ptrIiEENSG_IlEEPmS8_NS6_8equal_toIiEEEE10hipError_tPvRmT2_T3_mT4_T5_T6_T7_T8_P12ihipStream_tbENKUlT_T0_E_clISt17integral_constantIbLb0EES13_EEDaSY_SZ_EUlSY_E_NS1_11comp_targetILNS1_3genE8ELNS1_11target_archE1030ELNS1_3gpuE2ELNS1_3repE0EEENS1_30default_config_static_selectorELNS0_4arch9wavefront6targetE1EEEvT1_.uses_vcc, 0
	.set _ZN7rocprim17ROCPRIM_400000_NS6detail17trampoline_kernelINS0_14default_configENS1_29reduce_by_key_config_selectorIilN6thrust23THRUST_200600_302600_NS4plusIlEEEEZZNS1_33reduce_by_key_impl_wrapped_configILNS1_25lookback_scan_determinismE0ES3_S9_PiNS6_17constant_iteratorIiNS6_11use_defaultESE_EENS6_10device_ptrIiEENSG_IlEEPmS8_NS6_8equal_toIiEEEE10hipError_tPvRmT2_T3_mT4_T5_T6_T7_T8_P12ihipStream_tbENKUlT_T0_E_clISt17integral_constantIbLb0EES13_EEDaSY_SZ_EUlSY_E_NS1_11comp_targetILNS1_3genE8ELNS1_11target_archE1030ELNS1_3gpuE2ELNS1_3repE0EEENS1_30default_config_static_selectorELNS0_4arch9wavefront6targetE1EEEvT1_.uses_flat_scratch, 0
	.set _ZN7rocprim17ROCPRIM_400000_NS6detail17trampoline_kernelINS0_14default_configENS1_29reduce_by_key_config_selectorIilN6thrust23THRUST_200600_302600_NS4plusIlEEEEZZNS1_33reduce_by_key_impl_wrapped_configILNS1_25lookback_scan_determinismE0ES3_S9_PiNS6_17constant_iteratorIiNS6_11use_defaultESE_EENS6_10device_ptrIiEENSG_IlEEPmS8_NS6_8equal_toIiEEEE10hipError_tPvRmT2_T3_mT4_T5_T6_T7_T8_P12ihipStream_tbENKUlT_T0_E_clISt17integral_constantIbLb0EES13_EEDaSY_SZ_EUlSY_E_NS1_11comp_targetILNS1_3genE8ELNS1_11target_archE1030ELNS1_3gpuE2ELNS1_3repE0EEENS1_30default_config_static_selectorELNS0_4arch9wavefront6targetE1EEEvT1_.has_dyn_sized_stack, 0
	.set _ZN7rocprim17ROCPRIM_400000_NS6detail17trampoline_kernelINS0_14default_configENS1_29reduce_by_key_config_selectorIilN6thrust23THRUST_200600_302600_NS4plusIlEEEEZZNS1_33reduce_by_key_impl_wrapped_configILNS1_25lookback_scan_determinismE0ES3_S9_PiNS6_17constant_iteratorIiNS6_11use_defaultESE_EENS6_10device_ptrIiEENSG_IlEEPmS8_NS6_8equal_toIiEEEE10hipError_tPvRmT2_T3_mT4_T5_T6_T7_T8_P12ihipStream_tbENKUlT_T0_E_clISt17integral_constantIbLb0EES13_EEDaSY_SZ_EUlSY_E_NS1_11comp_targetILNS1_3genE8ELNS1_11target_archE1030ELNS1_3gpuE2ELNS1_3repE0EEENS1_30default_config_static_selectorELNS0_4arch9wavefront6targetE1EEEvT1_.has_recursion, 0
	.set _ZN7rocprim17ROCPRIM_400000_NS6detail17trampoline_kernelINS0_14default_configENS1_29reduce_by_key_config_selectorIilN6thrust23THRUST_200600_302600_NS4plusIlEEEEZZNS1_33reduce_by_key_impl_wrapped_configILNS1_25lookback_scan_determinismE0ES3_S9_PiNS6_17constant_iteratorIiNS6_11use_defaultESE_EENS6_10device_ptrIiEENSG_IlEEPmS8_NS6_8equal_toIiEEEE10hipError_tPvRmT2_T3_mT4_T5_T6_T7_T8_P12ihipStream_tbENKUlT_T0_E_clISt17integral_constantIbLb0EES13_EEDaSY_SZ_EUlSY_E_NS1_11comp_targetILNS1_3genE8ELNS1_11target_archE1030ELNS1_3gpuE2ELNS1_3repE0EEENS1_30default_config_static_selectorELNS0_4arch9wavefront6targetE1EEEvT1_.has_indirect_call, 0
	.section	.AMDGPU.csdata,"",@progbits
; Kernel info:
; codeLenInByte = 0
; TotalNumSgprs: 4
; NumVgprs: 0
; ScratchSize: 0
; MemoryBound: 0
; FloatMode: 240
; IeeeMode: 1
; LDSByteSize: 0 bytes/workgroup (compile time only)
; SGPRBlocks: 0
; VGPRBlocks: 0
; NumSGPRsForWavesPerEU: 4
; NumVGPRsForWavesPerEU: 1
; Occupancy: 10
; WaveLimiterHint : 0
; COMPUTE_PGM_RSRC2:SCRATCH_EN: 0
; COMPUTE_PGM_RSRC2:USER_SGPR: 6
; COMPUTE_PGM_RSRC2:TRAP_HANDLER: 0
; COMPUTE_PGM_RSRC2:TGID_X_EN: 1
; COMPUTE_PGM_RSRC2:TGID_Y_EN: 0
; COMPUTE_PGM_RSRC2:TGID_Z_EN: 0
; COMPUTE_PGM_RSRC2:TIDIG_COMP_CNT: 0
	.section	.text._ZN7rocprim17ROCPRIM_400000_NS6detail17trampoline_kernelINS0_14default_configENS1_29reduce_by_key_config_selectorIilN6thrust23THRUST_200600_302600_NS4plusIlEEEEZZNS1_33reduce_by_key_impl_wrapped_configILNS1_25lookback_scan_determinismE0ES3_S9_PiNS6_17constant_iteratorIiNS6_11use_defaultESE_EENS6_10device_ptrIiEENSG_IlEEPmS8_NS6_8equal_toIiEEEE10hipError_tPvRmT2_T3_mT4_T5_T6_T7_T8_P12ihipStream_tbENKUlT_T0_E_clISt17integral_constantIbLb1EES13_EEDaSY_SZ_EUlSY_E_NS1_11comp_targetILNS1_3genE0ELNS1_11target_archE4294967295ELNS1_3gpuE0ELNS1_3repE0EEENS1_30default_config_static_selectorELNS0_4arch9wavefront6targetE1EEEvT1_,"axG",@progbits,_ZN7rocprim17ROCPRIM_400000_NS6detail17trampoline_kernelINS0_14default_configENS1_29reduce_by_key_config_selectorIilN6thrust23THRUST_200600_302600_NS4plusIlEEEEZZNS1_33reduce_by_key_impl_wrapped_configILNS1_25lookback_scan_determinismE0ES3_S9_PiNS6_17constant_iteratorIiNS6_11use_defaultESE_EENS6_10device_ptrIiEENSG_IlEEPmS8_NS6_8equal_toIiEEEE10hipError_tPvRmT2_T3_mT4_T5_T6_T7_T8_P12ihipStream_tbENKUlT_T0_E_clISt17integral_constantIbLb1EES13_EEDaSY_SZ_EUlSY_E_NS1_11comp_targetILNS1_3genE0ELNS1_11target_archE4294967295ELNS1_3gpuE0ELNS1_3repE0EEENS1_30default_config_static_selectorELNS0_4arch9wavefront6targetE1EEEvT1_,comdat
	.protected	_ZN7rocprim17ROCPRIM_400000_NS6detail17trampoline_kernelINS0_14default_configENS1_29reduce_by_key_config_selectorIilN6thrust23THRUST_200600_302600_NS4plusIlEEEEZZNS1_33reduce_by_key_impl_wrapped_configILNS1_25lookback_scan_determinismE0ES3_S9_PiNS6_17constant_iteratorIiNS6_11use_defaultESE_EENS6_10device_ptrIiEENSG_IlEEPmS8_NS6_8equal_toIiEEEE10hipError_tPvRmT2_T3_mT4_T5_T6_T7_T8_P12ihipStream_tbENKUlT_T0_E_clISt17integral_constantIbLb1EES13_EEDaSY_SZ_EUlSY_E_NS1_11comp_targetILNS1_3genE0ELNS1_11target_archE4294967295ELNS1_3gpuE0ELNS1_3repE0EEENS1_30default_config_static_selectorELNS0_4arch9wavefront6targetE1EEEvT1_ ; -- Begin function _ZN7rocprim17ROCPRIM_400000_NS6detail17trampoline_kernelINS0_14default_configENS1_29reduce_by_key_config_selectorIilN6thrust23THRUST_200600_302600_NS4plusIlEEEEZZNS1_33reduce_by_key_impl_wrapped_configILNS1_25lookback_scan_determinismE0ES3_S9_PiNS6_17constant_iteratorIiNS6_11use_defaultESE_EENS6_10device_ptrIiEENSG_IlEEPmS8_NS6_8equal_toIiEEEE10hipError_tPvRmT2_T3_mT4_T5_T6_T7_T8_P12ihipStream_tbENKUlT_T0_E_clISt17integral_constantIbLb1EES13_EEDaSY_SZ_EUlSY_E_NS1_11comp_targetILNS1_3genE0ELNS1_11target_archE4294967295ELNS1_3gpuE0ELNS1_3repE0EEENS1_30default_config_static_selectorELNS0_4arch9wavefront6targetE1EEEvT1_
	.globl	_ZN7rocprim17ROCPRIM_400000_NS6detail17trampoline_kernelINS0_14default_configENS1_29reduce_by_key_config_selectorIilN6thrust23THRUST_200600_302600_NS4plusIlEEEEZZNS1_33reduce_by_key_impl_wrapped_configILNS1_25lookback_scan_determinismE0ES3_S9_PiNS6_17constant_iteratorIiNS6_11use_defaultESE_EENS6_10device_ptrIiEENSG_IlEEPmS8_NS6_8equal_toIiEEEE10hipError_tPvRmT2_T3_mT4_T5_T6_T7_T8_P12ihipStream_tbENKUlT_T0_E_clISt17integral_constantIbLb1EES13_EEDaSY_SZ_EUlSY_E_NS1_11comp_targetILNS1_3genE0ELNS1_11target_archE4294967295ELNS1_3gpuE0ELNS1_3repE0EEENS1_30default_config_static_selectorELNS0_4arch9wavefront6targetE1EEEvT1_
	.p2align	8
	.type	_ZN7rocprim17ROCPRIM_400000_NS6detail17trampoline_kernelINS0_14default_configENS1_29reduce_by_key_config_selectorIilN6thrust23THRUST_200600_302600_NS4plusIlEEEEZZNS1_33reduce_by_key_impl_wrapped_configILNS1_25lookback_scan_determinismE0ES3_S9_PiNS6_17constant_iteratorIiNS6_11use_defaultESE_EENS6_10device_ptrIiEENSG_IlEEPmS8_NS6_8equal_toIiEEEE10hipError_tPvRmT2_T3_mT4_T5_T6_T7_T8_P12ihipStream_tbENKUlT_T0_E_clISt17integral_constantIbLb1EES13_EEDaSY_SZ_EUlSY_E_NS1_11comp_targetILNS1_3genE0ELNS1_11target_archE4294967295ELNS1_3gpuE0ELNS1_3repE0EEENS1_30default_config_static_selectorELNS0_4arch9wavefront6targetE1EEEvT1_,@function
_ZN7rocprim17ROCPRIM_400000_NS6detail17trampoline_kernelINS0_14default_configENS1_29reduce_by_key_config_selectorIilN6thrust23THRUST_200600_302600_NS4plusIlEEEEZZNS1_33reduce_by_key_impl_wrapped_configILNS1_25lookback_scan_determinismE0ES3_S9_PiNS6_17constant_iteratorIiNS6_11use_defaultESE_EENS6_10device_ptrIiEENSG_IlEEPmS8_NS6_8equal_toIiEEEE10hipError_tPvRmT2_T3_mT4_T5_T6_T7_T8_P12ihipStream_tbENKUlT_T0_E_clISt17integral_constantIbLb1EES13_EEDaSY_SZ_EUlSY_E_NS1_11comp_targetILNS1_3genE0ELNS1_11target_archE4294967295ELNS1_3gpuE0ELNS1_3repE0EEENS1_30default_config_static_selectorELNS0_4arch9wavefront6targetE1EEEvT1_: ; @_ZN7rocprim17ROCPRIM_400000_NS6detail17trampoline_kernelINS0_14default_configENS1_29reduce_by_key_config_selectorIilN6thrust23THRUST_200600_302600_NS4plusIlEEEEZZNS1_33reduce_by_key_impl_wrapped_configILNS1_25lookback_scan_determinismE0ES3_S9_PiNS6_17constant_iteratorIiNS6_11use_defaultESE_EENS6_10device_ptrIiEENSG_IlEEPmS8_NS6_8equal_toIiEEEE10hipError_tPvRmT2_T3_mT4_T5_T6_T7_T8_P12ihipStream_tbENKUlT_T0_E_clISt17integral_constantIbLb1EES13_EEDaSY_SZ_EUlSY_E_NS1_11comp_targetILNS1_3genE0ELNS1_11target_archE4294967295ELNS1_3gpuE0ELNS1_3repE0EEENS1_30default_config_static_selectorELNS0_4arch9wavefront6targetE1EEEvT1_
; %bb.0:
	.section	.rodata,"a",@progbits
	.p2align	6, 0x0
	.amdhsa_kernel _ZN7rocprim17ROCPRIM_400000_NS6detail17trampoline_kernelINS0_14default_configENS1_29reduce_by_key_config_selectorIilN6thrust23THRUST_200600_302600_NS4plusIlEEEEZZNS1_33reduce_by_key_impl_wrapped_configILNS1_25lookback_scan_determinismE0ES3_S9_PiNS6_17constant_iteratorIiNS6_11use_defaultESE_EENS6_10device_ptrIiEENSG_IlEEPmS8_NS6_8equal_toIiEEEE10hipError_tPvRmT2_T3_mT4_T5_T6_T7_T8_P12ihipStream_tbENKUlT_T0_E_clISt17integral_constantIbLb1EES13_EEDaSY_SZ_EUlSY_E_NS1_11comp_targetILNS1_3genE0ELNS1_11target_archE4294967295ELNS1_3gpuE0ELNS1_3repE0EEENS1_30default_config_static_selectorELNS0_4arch9wavefront6targetE1EEEvT1_
		.amdhsa_group_segment_fixed_size 0
		.amdhsa_private_segment_fixed_size 0
		.amdhsa_kernarg_size 144
		.amdhsa_user_sgpr_count 6
		.amdhsa_user_sgpr_private_segment_buffer 1
		.amdhsa_user_sgpr_dispatch_ptr 0
		.amdhsa_user_sgpr_queue_ptr 0
		.amdhsa_user_sgpr_kernarg_segment_ptr 1
		.amdhsa_user_sgpr_dispatch_id 0
		.amdhsa_user_sgpr_flat_scratch_init 0
		.amdhsa_user_sgpr_private_segment_size 0
		.amdhsa_uses_dynamic_stack 0
		.amdhsa_system_sgpr_private_segment_wavefront_offset 0
		.amdhsa_system_sgpr_workgroup_id_x 1
		.amdhsa_system_sgpr_workgroup_id_y 0
		.amdhsa_system_sgpr_workgroup_id_z 0
		.amdhsa_system_sgpr_workgroup_info 0
		.amdhsa_system_vgpr_workitem_id 0
		.amdhsa_next_free_vgpr 1
		.amdhsa_next_free_sgpr 0
		.amdhsa_reserve_vcc 0
		.amdhsa_reserve_flat_scratch 0
		.amdhsa_float_round_mode_32 0
		.amdhsa_float_round_mode_16_64 0
		.amdhsa_float_denorm_mode_32 3
		.amdhsa_float_denorm_mode_16_64 3
		.amdhsa_dx10_clamp 1
		.amdhsa_ieee_mode 1
		.amdhsa_fp16_overflow 0
		.amdhsa_exception_fp_ieee_invalid_op 0
		.amdhsa_exception_fp_denorm_src 0
		.amdhsa_exception_fp_ieee_div_zero 0
		.amdhsa_exception_fp_ieee_overflow 0
		.amdhsa_exception_fp_ieee_underflow 0
		.amdhsa_exception_fp_ieee_inexact 0
		.amdhsa_exception_int_div_zero 0
	.end_amdhsa_kernel
	.section	.text._ZN7rocprim17ROCPRIM_400000_NS6detail17trampoline_kernelINS0_14default_configENS1_29reduce_by_key_config_selectorIilN6thrust23THRUST_200600_302600_NS4plusIlEEEEZZNS1_33reduce_by_key_impl_wrapped_configILNS1_25lookback_scan_determinismE0ES3_S9_PiNS6_17constant_iteratorIiNS6_11use_defaultESE_EENS6_10device_ptrIiEENSG_IlEEPmS8_NS6_8equal_toIiEEEE10hipError_tPvRmT2_T3_mT4_T5_T6_T7_T8_P12ihipStream_tbENKUlT_T0_E_clISt17integral_constantIbLb1EES13_EEDaSY_SZ_EUlSY_E_NS1_11comp_targetILNS1_3genE0ELNS1_11target_archE4294967295ELNS1_3gpuE0ELNS1_3repE0EEENS1_30default_config_static_selectorELNS0_4arch9wavefront6targetE1EEEvT1_,"axG",@progbits,_ZN7rocprim17ROCPRIM_400000_NS6detail17trampoline_kernelINS0_14default_configENS1_29reduce_by_key_config_selectorIilN6thrust23THRUST_200600_302600_NS4plusIlEEEEZZNS1_33reduce_by_key_impl_wrapped_configILNS1_25lookback_scan_determinismE0ES3_S9_PiNS6_17constant_iteratorIiNS6_11use_defaultESE_EENS6_10device_ptrIiEENSG_IlEEPmS8_NS6_8equal_toIiEEEE10hipError_tPvRmT2_T3_mT4_T5_T6_T7_T8_P12ihipStream_tbENKUlT_T0_E_clISt17integral_constantIbLb1EES13_EEDaSY_SZ_EUlSY_E_NS1_11comp_targetILNS1_3genE0ELNS1_11target_archE4294967295ELNS1_3gpuE0ELNS1_3repE0EEENS1_30default_config_static_selectorELNS0_4arch9wavefront6targetE1EEEvT1_,comdat
.Lfunc_end947:
	.size	_ZN7rocprim17ROCPRIM_400000_NS6detail17trampoline_kernelINS0_14default_configENS1_29reduce_by_key_config_selectorIilN6thrust23THRUST_200600_302600_NS4plusIlEEEEZZNS1_33reduce_by_key_impl_wrapped_configILNS1_25lookback_scan_determinismE0ES3_S9_PiNS6_17constant_iteratorIiNS6_11use_defaultESE_EENS6_10device_ptrIiEENSG_IlEEPmS8_NS6_8equal_toIiEEEE10hipError_tPvRmT2_T3_mT4_T5_T6_T7_T8_P12ihipStream_tbENKUlT_T0_E_clISt17integral_constantIbLb1EES13_EEDaSY_SZ_EUlSY_E_NS1_11comp_targetILNS1_3genE0ELNS1_11target_archE4294967295ELNS1_3gpuE0ELNS1_3repE0EEENS1_30default_config_static_selectorELNS0_4arch9wavefront6targetE1EEEvT1_, .Lfunc_end947-_ZN7rocprim17ROCPRIM_400000_NS6detail17trampoline_kernelINS0_14default_configENS1_29reduce_by_key_config_selectorIilN6thrust23THRUST_200600_302600_NS4plusIlEEEEZZNS1_33reduce_by_key_impl_wrapped_configILNS1_25lookback_scan_determinismE0ES3_S9_PiNS6_17constant_iteratorIiNS6_11use_defaultESE_EENS6_10device_ptrIiEENSG_IlEEPmS8_NS6_8equal_toIiEEEE10hipError_tPvRmT2_T3_mT4_T5_T6_T7_T8_P12ihipStream_tbENKUlT_T0_E_clISt17integral_constantIbLb1EES13_EEDaSY_SZ_EUlSY_E_NS1_11comp_targetILNS1_3genE0ELNS1_11target_archE4294967295ELNS1_3gpuE0ELNS1_3repE0EEENS1_30default_config_static_selectorELNS0_4arch9wavefront6targetE1EEEvT1_
                                        ; -- End function
	.set _ZN7rocprim17ROCPRIM_400000_NS6detail17trampoline_kernelINS0_14default_configENS1_29reduce_by_key_config_selectorIilN6thrust23THRUST_200600_302600_NS4plusIlEEEEZZNS1_33reduce_by_key_impl_wrapped_configILNS1_25lookback_scan_determinismE0ES3_S9_PiNS6_17constant_iteratorIiNS6_11use_defaultESE_EENS6_10device_ptrIiEENSG_IlEEPmS8_NS6_8equal_toIiEEEE10hipError_tPvRmT2_T3_mT4_T5_T6_T7_T8_P12ihipStream_tbENKUlT_T0_E_clISt17integral_constantIbLb1EES13_EEDaSY_SZ_EUlSY_E_NS1_11comp_targetILNS1_3genE0ELNS1_11target_archE4294967295ELNS1_3gpuE0ELNS1_3repE0EEENS1_30default_config_static_selectorELNS0_4arch9wavefront6targetE1EEEvT1_.num_vgpr, 0
	.set _ZN7rocprim17ROCPRIM_400000_NS6detail17trampoline_kernelINS0_14default_configENS1_29reduce_by_key_config_selectorIilN6thrust23THRUST_200600_302600_NS4plusIlEEEEZZNS1_33reduce_by_key_impl_wrapped_configILNS1_25lookback_scan_determinismE0ES3_S9_PiNS6_17constant_iteratorIiNS6_11use_defaultESE_EENS6_10device_ptrIiEENSG_IlEEPmS8_NS6_8equal_toIiEEEE10hipError_tPvRmT2_T3_mT4_T5_T6_T7_T8_P12ihipStream_tbENKUlT_T0_E_clISt17integral_constantIbLb1EES13_EEDaSY_SZ_EUlSY_E_NS1_11comp_targetILNS1_3genE0ELNS1_11target_archE4294967295ELNS1_3gpuE0ELNS1_3repE0EEENS1_30default_config_static_selectorELNS0_4arch9wavefront6targetE1EEEvT1_.num_agpr, 0
	.set _ZN7rocprim17ROCPRIM_400000_NS6detail17trampoline_kernelINS0_14default_configENS1_29reduce_by_key_config_selectorIilN6thrust23THRUST_200600_302600_NS4plusIlEEEEZZNS1_33reduce_by_key_impl_wrapped_configILNS1_25lookback_scan_determinismE0ES3_S9_PiNS6_17constant_iteratorIiNS6_11use_defaultESE_EENS6_10device_ptrIiEENSG_IlEEPmS8_NS6_8equal_toIiEEEE10hipError_tPvRmT2_T3_mT4_T5_T6_T7_T8_P12ihipStream_tbENKUlT_T0_E_clISt17integral_constantIbLb1EES13_EEDaSY_SZ_EUlSY_E_NS1_11comp_targetILNS1_3genE0ELNS1_11target_archE4294967295ELNS1_3gpuE0ELNS1_3repE0EEENS1_30default_config_static_selectorELNS0_4arch9wavefront6targetE1EEEvT1_.numbered_sgpr, 0
	.set _ZN7rocprim17ROCPRIM_400000_NS6detail17trampoline_kernelINS0_14default_configENS1_29reduce_by_key_config_selectorIilN6thrust23THRUST_200600_302600_NS4plusIlEEEEZZNS1_33reduce_by_key_impl_wrapped_configILNS1_25lookback_scan_determinismE0ES3_S9_PiNS6_17constant_iteratorIiNS6_11use_defaultESE_EENS6_10device_ptrIiEENSG_IlEEPmS8_NS6_8equal_toIiEEEE10hipError_tPvRmT2_T3_mT4_T5_T6_T7_T8_P12ihipStream_tbENKUlT_T0_E_clISt17integral_constantIbLb1EES13_EEDaSY_SZ_EUlSY_E_NS1_11comp_targetILNS1_3genE0ELNS1_11target_archE4294967295ELNS1_3gpuE0ELNS1_3repE0EEENS1_30default_config_static_selectorELNS0_4arch9wavefront6targetE1EEEvT1_.num_named_barrier, 0
	.set _ZN7rocprim17ROCPRIM_400000_NS6detail17trampoline_kernelINS0_14default_configENS1_29reduce_by_key_config_selectorIilN6thrust23THRUST_200600_302600_NS4plusIlEEEEZZNS1_33reduce_by_key_impl_wrapped_configILNS1_25lookback_scan_determinismE0ES3_S9_PiNS6_17constant_iteratorIiNS6_11use_defaultESE_EENS6_10device_ptrIiEENSG_IlEEPmS8_NS6_8equal_toIiEEEE10hipError_tPvRmT2_T3_mT4_T5_T6_T7_T8_P12ihipStream_tbENKUlT_T0_E_clISt17integral_constantIbLb1EES13_EEDaSY_SZ_EUlSY_E_NS1_11comp_targetILNS1_3genE0ELNS1_11target_archE4294967295ELNS1_3gpuE0ELNS1_3repE0EEENS1_30default_config_static_selectorELNS0_4arch9wavefront6targetE1EEEvT1_.private_seg_size, 0
	.set _ZN7rocprim17ROCPRIM_400000_NS6detail17trampoline_kernelINS0_14default_configENS1_29reduce_by_key_config_selectorIilN6thrust23THRUST_200600_302600_NS4plusIlEEEEZZNS1_33reduce_by_key_impl_wrapped_configILNS1_25lookback_scan_determinismE0ES3_S9_PiNS6_17constant_iteratorIiNS6_11use_defaultESE_EENS6_10device_ptrIiEENSG_IlEEPmS8_NS6_8equal_toIiEEEE10hipError_tPvRmT2_T3_mT4_T5_T6_T7_T8_P12ihipStream_tbENKUlT_T0_E_clISt17integral_constantIbLb1EES13_EEDaSY_SZ_EUlSY_E_NS1_11comp_targetILNS1_3genE0ELNS1_11target_archE4294967295ELNS1_3gpuE0ELNS1_3repE0EEENS1_30default_config_static_selectorELNS0_4arch9wavefront6targetE1EEEvT1_.uses_vcc, 0
	.set _ZN7rocprim17ROCPRIM_400000_NS6detail17trampoline_kernelINS0_14default_configENS1_29reduce_by_key_config_selectorIilN6thrust23THRUST_200600_302600_NS4plusIlEEEEZZNS1_33reduce_by_key_impl_wrapped_configILNS1_25lookback_scan_determinismE0ES3_S9_PiNS6_17constant_iteratorIiNS6_11use_defaultESE_EENS6_10device_ptrIiEENSG_IlEEPmS8_NS6_8equal_toIiEEEE10hipError_tPvRmT2_T3_mT4_T5_T6_T7_T8_P12ihipStream_tbENKUlT_T0_E_clISt17integral_constantIbLb1EES13_EEDaSY_SZ_EUlSY_E_NS1_11comp_targetILNS1_3genE0ELNS1_11target_archE4294967295ELNS1_3gpuE0ELNS1_3repE0EEENS1_30default_config_static_selectorELNS0_4arch9wavefront6targetE1EEEvT1_.uses_flat_scratch, 0
	.set _ZN7rocprim17ROCPRIM_400000_NS6detail17trampoline_kernelINS0_14default_configENS1_29reduce_by_key_config_selectorIilN6thrust23THRUST_200600_302600_NS4plusIlEEEEZZNS1_33reduce_by_key_impl_wrapped_configILNS1_25lookback_scan_determinismE0ES3_S9_PiNS6_17constant_iteratorIiNS6_11use_defaultESE_EENS6_10device_ptrIiEENSG_IlEEPmS8_NS6_8equal_toIiEEEE10hipError_tPvRmT2_T3_mT4_T5_T6_T7_T8_P12ihipStream_tbENKUlT_T0_E_clISt17integral_constantIbLb1EES13_EEDaSY_SZ_EUlSY_E_NS1_11comp_targetILNS1_3genE0ELNS1_11target_archE4294967295ELNS1_3gpuE0ELNS1_3repE0EEENS1_30default_config_static_selectorELNS0_4arch9wavefront6targetE1EEEvT1_.has_dyn_sized_stack, 0
	.set _ZN7rocprim17ROCPRIM_400000_NS6detail17trampoline_kernelINS0_14default_configENS1_29reduce_by_key_config_selectorIilN6thrust23THRUST_200600_302600_NS4plusIlEEEEZZNS1_33reduce_by_key_impl_wrapped_configILNS1_25lookback_scan_determinismE0ES3_S9_PiNS6_17constant_iteratorIiNS6_11use_defaultESE_EENS6_10device_ptrIiEENSG_IlEEPmS8_NS6_8equal_toIiEEEE10hipError_tPvRmT2_T3_mT4_T5_T6_T7_T8_P12ihipStream_tbENKUlT_T0_E_clISt17integral_constantIbLb1EES13_EEDaSY_SZ_EUlSY_E_NS1_11comp_targetILNS1_3genE0ELNS1_11target_archE4294967295ELNS1_3gpuE0ELNS1_3repE0EEENS1_30default_config_static_selectorELNS0_4arch9wavefront6targetE1EEEvT1_.has_recursion, 0
	.set _ZN7rocprim17ROCPRIM_400000_NS6detail17trampoline_kernelINS0_14default_configENS1_29reduce_by_key_config_selectorIilN6thrust23THRUST_200600_302600_NS4plusIlEEEEZZNS1_33reduce_by_key_impl_wrapped_configILNS1_25lookback_scan_determinismE0ES3_S9_PiNS6_17constant_iteratorIiNS6_11use_defaultESE_EENS6_10device_ptrIiEENSG_IlEEPmS8_NS6_8equal_toIiEEEE10hipError_tPvRmT2_T3_mT4_T5_T6_T7_T8_P12ihipStream_tbENKUlT_T0_E_clISt17integral_constantIbLb1EES13_EEDaSY_SZ_EUlSY_E_NS1_11comp_targetILNS1_3genE0ELNS1_11target_archE4294967295ELNS1_3gpuE0ELNS1_3repE0EEENS1_30default_config_static_selectorELNS0_4arch9wavefront6targetE1EEEvT1_.has_indirect_call, 0
	.section	.AMDGPU.csdata,"",@progbits
; Kernel info:
; codeLenInByte = 0
; TotalNumSgprs: 4
; NumVgprs: 0
; ScratchSize: 0
; MemoryBound: 0
; FloatMode: 240
; IeeeMode: 1
; LDSByteSize: 0 bytes/workgroup (compile time only)
; SGPRBlocks: 0
; VGPRBlocks: 0
; NumSGPRsForWavesPerEU: 4
; NumVGPRsForWavesPerEU: 1
; Occupancy: 10
; WaveLimiterHint : 0
; COMPUTE_PGM_RSRC2:SCRATCH_EN: 0
; COMPUTE_PGM_RSRC2:USER_SGPR: 6
; COMPUTE_PGM_RSRC2:TRAP_HANDLER: 0
; COMPUTE_PGM_RSRC2:TGID_X_EN: 1
; COMPUTE_PGM_RSRC2:TGID_Y_EN: 0
; COMPUTE_PGM_RSRC2:TGID_Z_EN: 0
; COMPUTE_PGM_RSRC2:TIDIG_COMP_CNT: 0
	.section	.text._ZN7rocprim17ROCPRIM_400000_NS6detail17trampoline_kernelINS0_14default_configENS1_29reduce_by_key_config_selectorIilN6thrust23THRUST_200600_302600_NS4plusIlEEEEZZNS1_33reduce_by_key_impl_wrapped_configILNS1_25lookback_scan_determinismE0ES3_S9_PiNS6_17constant_iteratorIiNS6_11use_defaultESE_EENS6_10device_ptrIiEENSG_IlEEPmS8_NS6_8equal_toIiEEEE10hipError_tPvRmT2_T3_mT4_T5_T6_T7_T8_P12ihipStream_tbENKUlT_T0_E_clISt17integral_constantIbLb1EES13_EEDaSY_SZ_EUlSY_E_NS1_11comp_targetILNS1_3genE5ELNS1_11target_archE942ELNS1_3gpuE9ELNS1_3repE0EEENS1_30default_config_static_selectorELNS0_4arch9wavefront6targetE1EEEvT1_,"axG",@progbits,_ZN7rocprim17ROCPRIM_400000_NS6detail17trampoline_kernelINS0_14default_configENS1_29reduce_by_key_config_selectorIilN6thrust23THRUST_200600_302600_NS4plusIlEEEEZZNS1_33reduce_by_key_impl_wrapped_configILNS1_25lookback_scan_determinismE0ES3_S9_PiNS6_17constant_iteratorIiNS6_11use_defaultESE_EENS6_10device_ptrIiEENSG_IlEEPmS8_NS6_8equal_toIiEEEE10hipError_tPvRmT2_T3_mT4_T5_T6_T7_T8_P12ihipStream_tbENKUlT_T0_E_clISt17integral_constantIbLb1EES13_EEDaSY_SZ_EUlSY_E_NS1_11comp_targetILNS1_3genE5ELNS1_11target_archE942ELNS1_3gpuE9ELNS1_3repE0EEENS1_30default_config_static_selectorELNS0_4arch9wavefront6targetE1EEEvT1_,comdat
	.protected	_ZN7rocprim17ROCPRIM_400000_NS6detail17trampoline_kernelINS0_14default_configENS1_29reduce_by_key_config_selectorIilN6thrust23THRUST_200600_302600_NS4plusIlEEEEZZNS1_33reduce_by_key_impl_wrapped_configILNS1_25lookback_scan_determinismE0ES3_S9_PiNS6_17constant_iteratorIiNS6_11use_defaultESE_EENS6_10device_ptrIiEENSG_IlEEPmS8_NS6_8equal_toIiEEEE10hipError_tPvRmT2_T3_mT4_T5_T6_T7_T8_P12ihipStream_tbENKUlT_T0_E_clISt17integral_constantIbLb1EES13_EEDaSY_SZ_EUlSY_E_NS1_11comp_targetILNS1_3genE5ELNS1_11target_archE942ELNS1_3gpuE9ELNS1_3repE0EEENS1_30default_config_static_selectorELNS0_4arch9wavefront6targetE1EEEvT1_ ; -- Begin function _ZN7rocprim17ROCPRIM_400000_NS6detail17trampoline_kernelINS0_14default_configENS1_29reduce_by_key_config_selectorIilN6thrust23THRUST_200600_302600_NS4plusIlEEEEZZNS1_33reduce_by_key_impl_wrapped_configILNS1_25lookback_scan_determinismE0ES3_S9_PiNS6_17constant_iteratorIiNS6_11use_defaultESE_EENS6_10device_ptrIiEENSG_IlEEPmS8_NS6_8equal_toIiEEEE10hipError_tPvRmT2_T3_mT4_T5_T6_T7_T8_P12ihipStream_tbENKUlT_T0_E_clISt17integral_constantIbLb1EES13_EEDaSY_SZ_EUlSY_E_NS1_11comp_targetILNS1_3genE5ELNS1_11target_archE942ELNS1_3gpuE9ELNS1_3repE0EEENS1_30default_config_static_selectorELNS0_4arch9wavefront6targetE1EEEvT1_
	.globl	_ZN7rocprim17ROCPRIM_400000_NS6detail17trampoline_kernelINS0_14default_configENS1_29reduce_by_key_config_selectorIilN6thrust23THRUST_200600_302600_NS4plusIlEEEEZZNS1_33reduce_by_key_impl_wrapped_configILNS1_25lookback_scan_determinismE0ES3_S9_PiNS6_17constant_iteratorIiNS6_11use_defaultESE_EENS6_10device_ptrIiEENSG_IlEEPmS8_NS6_8equal_toIiEEEE10hipError_tPvRmT2_T3_mT4_T5_T6_T7_T8_P12ihipStream_tbENKUlT_T0_E_clISt17integral_constantIbLb1EES13_EEDaSY_SZ_EUlSY_E_NS1_11comp_targetILNS1_3genE5ELNS1_11target_archE942ELNS1_3gpuE9ELNS1_3repE0EEENS1_30default_config_static_selectorELNS0_4arch9wavefront6targetE1EEEvT1_
	.p2align	8
	.type	_ZN7rocprim17ROCPRIM_400000_NS6detail17trampoline_kernelINS0_14default_configENS1_29reduce_by_key_config_selectorIilN6thrust23THRUST_200600_302600_NS4plusIlEEEEZZNS1_33reduce_by_key_impl_wrapped_configILNS1_25lookback_scan_determinismE0ES3_S9_PiNS6_17constant_iteratorIiNS6_11use_defaultESE_EENS6_10device_ptrIiEENSG_IlEEPmS8_NS6_8equal_toIiEEEE10hipError_tPvRmT2_T3_mT4_T5_T6_T7_T8_P12ihipStream_tbENKUlT_T0_E_clISt17integral_constantIbLb1EES13_EEDaSY_SZ_EUlSY_E_NS1_11comp_targetILNS1_3genE5ELNS1_11target_archE942ELNS1_3gpuE9ELNS1_3repE0EEENS1_30default_config_static_selectorELNS0_4arch9wavefront6targetE1EEEvT1_,@function
_ZN7rocprim17ROCPRIM_400000_NS6detail17trampoline_kernelINS0_14default_configENS1_29reduce_by_key_config_selectorIilN6thrust23THRUST_200600_302600_NS4plusIlEEEEZZNS1_33reduce_by_key_impl_wrapped_configILNS1_25lookback_scan_determinismE0ES3_S9_PiNS6_17constant_iteratorIiNS6_11use_defaultESE_EENS6_10device_ptrIiEENSG_IlEEPmS8_NS6_8equal_toIiEEEE10hipError_tPvRmT2_T3_mT4_T5_T6_T7_T8_P12ihipStream_tbENKUlT_T0_E_clISt17integral_constantIbLb1EES13_EEDaSY_SZ_EUlSY_E_NS1_11comp_targetILNS1_3genE5ELNS1_11target_archE942ELNS1_3gpuE9ELNS1_3repE0EEENS1_30default_config_static_selectorELNS0_4arch9wavefront6targetE1EEEvT1_: ; @_ZN7rocprim17ROCPRIM_400000_NS6detail17trampoline_kernelINS0_14default_configENS1_29reduce_by_key_config_selectorIilN6thrust23THRUST_200600_302600_NS4plusIlEEEEZZNS1_33reduce_by_key_impl_wrapped_configILNS1_25lookback_scan_determinismE0ES3_S9_PiNS6_17constant_iteratorIiNS6_11use_defaultESE_EENS6_10device_ptrIiEENSG_IlEEPmS8_NS6_8equal_toIiEEEE10hipError_tPvRmT2_T3_mT4_T5_T6_T7_T8_P12ihipStream_tbENKUlT_T0_E_clISt17integral_constantIbLb1EES13_EEDaSY_SZ_EUlSY_E_NS1_11comp_targetILNS1_3genE5ELNS1_11target_archE942ELNS1_3gpuE9ELNS1_3repE0EEENS1_30default_config_static_selectorELNS0_4arch9wavefront6targetE1EEEvT1_
; %bb.0:
	.section	.rodata,"a",@progbits
	.p2align	6, 0x0
	.amdhsa_kernel _ZN7rocprim17ROCPRIM_400000_NS6detail17trampoline_kernelINS0_14default_configENS1_29reduce_by_key_config_selectorIilN6thrust23THRUST_200600_302600_NS4plusIlEEEEZZNS1_33reduce_by_key_impl_wrapped_configILNS1_25lookback_scan_determinismE0ES3_S9_PiNS6_17constant_iteratorIiNS6_11use_defaultESE_EENS6_10device_ptrIiEENSG_IlEEPmS8_NS6_8equal_toIiEEEE10hipError_tPvRmT2_T3_mT4_T5_T6_T7_T8_P12ihipStream_tbENKUlT_T0_E_clISt17integral_constantIbLb1EES13_EEDaSY_SZ_EUlSY_E_NS1_11comp_targetILNS1_3genE5ELNS1_11target_archE942ELNS1_3gpuE9ELNS1_3repE0EEENS1_30default_config_static_selectorELNS0_4arch9wavefront6targetE1EEEvT1_
		.amdhsa_group_segment_fixed_size 0
		.amdhsa_private_segment_fixed_size 0
		.amdhsa_kernarg_size 144
		.amdhsa_user_sgpr_count 6
		.amdhsa_user_sgpr_private_segment_buffer 1
		.amdhsa_user_sgpr_dispatch_ptr 0
		.amdhsa_user_sgpr_queue_ptr 0
		.amdhsa_user_sgpr_kernarg_segment_ptr 1
		.amdhsa_user_sgpr_dispatch_id 0
		.amdhsa_user_sgpr_flat_scratch_init 0
		.amdhsa_user_sgpr_private_segment_size 0
		.amdhsa_uses_dynamic_stack 0
		.amdhsa_system_sgpr_private_segment_wavefront_offset 0
		.amdhsa_system_sgpr_workgroup_id_x 1
		.amdhsa_system_sgpr_workgroup_id_y 0
		.amdhsa_system_sgpr_workgroup_id_z 0
		.amdhsa_system_sgpr_workgroup_info 0
		.amdhsa_system_vgpr_workitem_id 0
		.amdhsa_next_free_vgpr 1
		.amdhsa_next_free_sgpr 0
		.amdhsa_reserve_vcc 0
		.amdhsa_reserve_flat_scratch 0
		.amdhsa_float_round_mode_32 0
		.amdhsa_float_round_mode_16_64 0
		.amdhsa_float_denorm_mode_32 3
		.amdhsa_float_denorm_mode_16_64 3
		.amdhsa_dx10_clamp 1
		.amdhsa_ieee_mode 1
		.amdhsa_fp16_overflow 0
		.amdhsa_exception_fp_ieee_invalid_op 0
		.amdhsa_exception_fp_denorm_src 0
		.amdhsa_exception_fp_ieee_div_zero 0
		.amdhsa_exception_fp_ieee_overflow 0
		.amdhsa_exception_fp_ieee_underflow 0
		.amdhsa_exception_fp_ieee_inexact 0
		.amdhsa_exception_int_div_zero 0
	.end_amdhsa_kernel
	.section	.text._ZN7rocprim17ROCPRIM_400000_NS6detail17trampoline_kernelINS0_14default_configENS1_29reduce_by_key_config_selectorIilN6thrust23THRUST_200600_302600_NS4plusIlEEEEZZNS1_33reduce_by_key_impl_wrapped_configILNS1_25lookback_scan_determinismE0ES3_S9_PiNS6_17constant_iteratorIiNS6_11use_defaultESE_EENS6_10device_ptrIiEENSG_IlEEPmS8_NS6_8equal_toIiEEEE10hipError_tPvRmT2_T3_mT4_T5_T6_T7_T8_P12ihipStream_tbENKUlT_T0_E_clISt17integral_constantIbLb1EES13_EEDaSY_SZ_EUlSY_E_NS1_11comp_targetILNS1_3genE5ELNS1_11target_archE942ELNS1_3gpuE9ELNS1_3repE0EEENS1_30default_config_static_selectorELNS0_4arch9wavefront6targetE1EEEvT1_,"axG",@progbits,_ZN7rocprim17ROCPRIM_400000_NS6detail17trampoline_kernelINS0_14default_configENS1_29reduce_by_key_config_selectorIilN6thrust23THRUST_200600_302600_NS4plusIlEEEEZZNS1_33reduce_by_key_impl_wrapped_configILNS1_25lookback_scan_determinismE0ES3_S9_PiNS6_17constant_iteratorIiNS6_11use_defaultESE_EENS6_10device_ptrIiEENSG_IlEEPmS8_NS6_8equal_toIiEEEE10hipError_tPvRmT2_T3_mT4_T5_T6_T7_T8_P12ihipStream_tbENKUlT_T0_E_clISt17integral_constantIbLb1EES13_EEDaSY_SZ_EUlSY_E_NS1_11comp_targetILNS1_3genE5ELNS1_11target_archE942ELNS1_3gpuE9ELNS1_3repE0EEENS1_30default_config_static_selectorELNS0_4arch9wavefront6targetE1EEEvT1_,comdat
.Lfunc_end948:
	.size	_ZN7rocprim17ROCPRIM_400000_NS6detail17trampoline_kernelINS0_14default_configENS1_29reduce_by_key_config_selectorIilN6thrust23THRUST_200600_302600_NS4plusIlEEEEZZNS1_33reduce_by_key_impl_wrapped_configILNS1_25lookback_scan_determinismE0ES3_S9_PiNS6_17constant_iteratorIiNS6_11use_defaultESE_EENS6_10device_ptrIiEENSG_IlEEPmS8_NS6_8equal_toIiEEEE10hipError_tPvRmT2_T3_mT4_T5_T6_T7_T8_P12ihipStream_tbENKUlT_T0_E_clISt17integral_constantIbLb1EES13_EEDaSY_SZ_EUlSY_E_NS1_11comp_targetILNS1_3genE5ELNS1_11target_archE942ELNS1_3gpuE9ELNS1_3repE0EEENS1_30default_config_static_selectorELNS0_4arch9wavefront6targetE1EEEvT1_, .Lfunc_end948-_ZN7rocprim17ROCPRIM_400000_NS6detail17trampoline_kernelINS0_14default_configENS1_29reduce_by_key_config_selectorIilN6thrust23THRUST_200600_302600_NS4plusIlEEEEZZNS1_33reduce_by_key_impl_wrapped_configILNS1_25lookback_scan_determinismE0ES3_S9_PiNS6_17constant_iteratorIiNS6_11use_defaultESE_EENS6_10device_ptrIiEENSG_IlEEPmS8_NS6_8equal_toIiEEEE10hipError_tPvRmT2_T3_mT4_T5_T6_T7_T8_P12ihipStream_tbENKUlT_T0_E_clISt17integral_constantIbLb1EES13_EEDaSY_SZ_EUlSY_E_NS1_11comp_targetILNS1_3genE5ELNS1_11target_archE942ELNS1_3gpuE9ELNS1_3repE0EEENS1_30default_config_static_selectorELNS0_4arch9wavefront6targetE1EEEvT1_
                                        ; -- End function
	.set _ZN7rocprim17ROCPRIM_400000_NS6detail17trampoline_kernelINS0_14default_configENS1_29reduce_by_key_config_selectorIilN6thrust23THRUST_200600_302600_NS4plusIlEEEEZZNS1_33reduce_by_key_impl_wrapped_configILNS1_25lookback_scan_determinismE0ES3_S9_PiNS6_17constant_iteratorIiNS6_11use_defaultESE_EENS6_10device_ptrIiEENSG_IlEEPmS8_NS6_8equal_toIiEEEE10hipError_tPvRmT2_T3_mT4_T5_T6_T7_T8_P12ihipStream_tbENKUlT_T0_E_clISt17integral_constantIbLb1EES13_EEDaSY_SZ_EUlSY_E_NS1_11comp_targetILNS1_3genE5ELNS1_11target_archE942ELNS1_3gpuE9ELNS1_3repE0EEENS1_30default_config_static_selectorELNS0_4arch9wavefront6targetE1EEEvT1_.num_vgpr, 0
	.set _ZN7rocprim17ROCPRIM_400000_NS6detail17trampoline_kernelINS0_14default_configENS1_29reduce_by_key_config_selectorIilN6thrust23THRUST_200600_302600_NS4plusIlEEEEZZNS1_33reduce_by_key_impl_wrapped_configILNS1_25lookback_scan_determinismE0ES3_S9_PiNS6_17constant_iteratorIiNS6_11use_defaultESE_EENS6_10device_ptrIiEENSG_IlEEPmS8_NS6_8equal_toIiEEEE10hipError_tPvRmT2_T3_mT4_T5_T6_T7_T8_P12ihipStream_tbENKUlT_T0_E_clISt17integral_constantIbLb1EES13_EEDaSY_SZ_EUlSY_E_NS1_11comp_targetILNS1_3genE5ELNS1_11target_archE942ELNS1_3gpuE9ELNS1_3repE0EEENS1_30default_config_static_selectorELNS0_4arch9wavefront6targetE1EEEvT1_.num_agpr, 0
	.set _ZN7rocprim17ROCPRIM_400000_NS6detail17trampoline_kernelINS0_14default_configENS1_29reduce_by_key_config_selectorIilN6thrust23THRUST_200600_302600_NS4plusIlEEEEZZNS1_33reduce_by_key_impl_wrapped_configILNS1_25lookback_scan_determinismE0ES3_S9_PiNS6_17constant_iteratorIiNS6_11use_defaultESE_EENS6_10device_ptrIiEENSG_IlEEPmS8_NS6_8equal_toIiEEEE10hipError_tPvRmT2_T3_mT4_T5_T6_T7_T8_P12ihipStream_tbENKUlT_T0_E_clISt17integral_constantIbLb1EES13_EEDaSY_SZ_EUlSY_E_NS1_11comp_targetILNS1_3genE5ELNS1_11target_archE942ELNS1_3gpuE9ELNS1_3repE0EEENS1_30default_config_static_selectorELNS0_4arch9wavefront6targetE1EEEvT1_.numbered_sgpr, 0
	.set _ZN7rocprim17ROCPRIM_400000_NS6detail17trampoline_kernelINS0_14default_configENS1_29reduce_by_key_config_selectorIilN6thrust23THRUST_200600_302600_NS4plusIlEEEEZZNS1_33reduce_by_key_impl_wrapped_configILNS1_25lookback_scan_determinismE0ES3_S9_PiNS6_17constant_iteratorIiNS6_11use_defaultESE_EENS6_10device_ptrIiEENSG_IlEEPmS8_NS6_8equal_toIiEEEE10hipError_tPvRmT2_T3_mT4_T5_T6_T7_T8_P12ihipStream_tbENKUlT_T0_E_clISt17integral_constantIbLb1EES13_EEDaSY_SZ_EUlSY_E_NS1_11comp_targetILNS1_3genE5ELNS1_11target_archE942ELNS1_3gpuE9ELNS1_3repE0EEENS1_30default_config_static_selectorELNS0_4arch9wavefront6targetE1EEEvT1_.num_named_barrier, 0
	.set _ZN7rocprim17ROCPRIM_400000_NS6detail17trampoline_kernelINS0_14default_configENS1_29reduce_by_key_config_selectorIilN6thrust23THRUST_200600_302600_NS4plusIlEEEEZZNS1_33reduce_by_key_impl_wrapped_configILNS1_25lookback_scan_determinismE0ES3_S9_PiNS6_17constant_iteratorIiNS6_11use_defaultESE_EENS6_10device_ptrIiEENSG_IlEEPmS8_NS6_8equal_toIiEEEE10hipError_tPvRmT2_T3_mT4_T5_T6_T7_T8_P12ihipStream_tbENKUlT_T0_E_clISt17integral_constantIbLb1EES13_EEDaSY_SZ_EUlSY_E_NS1_11comp_targetILNS1_3genE5ELNS1_11target_archE942ELNS1_3gpuE9ELNS1_3repE0EEENS1_30default_config_static_selectorELNS0_4arch9wavefront6targetE1EEEvT1_.private_seg_size, 0
	.set _ZN7rocprim17ROCPRIM_400000_NS6detail17trampoline_kernelINS0_14default_configENS1_29reduce_by_key_config_selectorIilN6thrust23THRUST_200600_302600_NS4plusIlEEEEZZNS1_33reduce_by_key_impl_wrapped_configILNS1_25lookback_scan_determinismE0ES3_S9_PiNS6_17constant_iteratorIiNS6_11use_defaultESE_EENS6_10device_ptrIiEENSG_IlEEPmS8_NS6_8equal_toIiEEEE10hipError_tPvRmT2_T3_mT4_T5_T6_T7_T8_P12ihipStream_tbENKUlT_T0_E_clISt17integral_constantIbLb1EES13_EEDaSY_SZ_EUlSY_E_NS1_11comp_targetILNS1_3genE5ELNS1_11target_archE942ELNS1_3gpuE9ELNS1_3repE0EEENS1_30default_config_static_selectorELNS0_4arch9wavefront6targetE1EEEvT1_.uses_vcc, 0
	.set _ZN7rocprim17ROCPRIM_400000_NS6detail17trampoline_kernelINS0_14default_configENS1_29reduce_by_key_config_selectorIilN6thrust23THRUST_200600_302600_NS4plusIlEEEEZZNS1_33reduce_by_key_impl_wrapped_configILNS1_25lookback_scan_determinismE0ES3_S9_PiNS6_17constant_iteratorIiNS6_11use_defaultESE_EENS6_10device_ptrIiEENSG_IlEEPmS8_NS6_8equal_toIiEEEE10hipError_tPvRmT2_T3_mT4_T5_T6_T7_T8_P12ihipStream_tbENKUlT_T0_E_clISt17integral_constantIbLb1EES13_EEDaSY_SZ_EUlSY_E_NS1_11comp_targetILNS1_3genE5ELNS1_11target_archE942ELNS1_3gpuE9ELNS1_3repE0EEENS1_30default_config_static_selectorELNS0_4arch9wavefront6targetE1EEEvT1_.uses_flat_scratch, 0
	.set _ZN7rocprim17ROCPRIM_400000_NS6detail17trampoline_kernelINS0_14default_configENS1_29reduce_by_key_config_selectorIilN6thrust23THRUST_200600_302600_NS4plusIlEEEEZZNS1_33reduce_by_key_impl_wrapped_configILNS1_25lookback_scan_determinismE0ES3_S9_PiNS6_17constant_iteratorIiNS6_11use_defaultESE_EENS6_10device_ptrIiEENSG_IlEEPmS8_NS6_8equal_toIiEEEE10hipError_tPvRmT2_T3_mT4_T5_T6_T7_T8_P12ihipStream_tbENKUlT_T0_E_clISt17integral_constantIbLb1EES13_EEDaSY_SZ_EUlSY_E_NS1_11comp_targetILNS1_3genE5ELNS1_11target_archE942ELNS1_3gpuE9ELNS1_3repE0EEENS1_30default_config_static_selectorELNS0_4arch9wavefront6targetE1EEEvT1_.has_dyn_sized_stack, 0
	.set _ZN7rocprim17ROCPRIM_400000_NS6detail17trampoline_kernelINS0_14default_configENS1_29reduce_by_key_config_selectorIilN6thrust23THRUST_200600_302600_NS4plusIlEEEEZZNS1_33reduce_by_key_impl_wrapped_configILNS1_25lookback_scan_determinismE0ES3_S9_PiNS6_17constant_iteratorIiNS6_11use_defaultESE_EENS6_10device_ptrIiEENSG_IlEEPmS8_NS6_8equal_toIiEEEE10hipError_tPvRmT2_T3_mT4_T5_T6_T7_T8_P12ihipStream_tbENKUlT_T0_E_clISt17integral_constantIbLb1EES13_EEDaSY_SZ_EUlSY_E_NS1_11comp_targetILNS1_3genE5ELNS1_11target_archE942ELNS1_3gpuE9ELNS1_3repE0EEENS1_30default_config_static_selectorELNS0_4arch9wavefront6targetE1EEEvT1_.has_recursion, 0
	.set _ZN7rocprim17ROCPRIM_400000_NS6detail17trampoline_kernelINS0_14default_configENS1_29reduce_by_key_config_selectorIilN6thrust23THRUST_200600_302600_NS4plusIlEEEEZZNS1_33reduce_by_key_impl_wrapped_configILNS1_25lookback_scan_determinismE0ES3_S9_PiNS6_17constant_iteratorIiNS6_11use_defaultESE_EENS6_10device_ptrIiEENSG_IlEEPmS8_NS6_8equal_toIiEEEE10hipError_tPvRmT2_T3_mT4_T5_T6_T7_T8_P12ihipStream_tbENKUlT_T0_E_clISt17integral_constantIbLb1EES13_EEDaSY_SZ_EUlSY_E_NS1_11comp_targetILNS1_3genE5ELNS1_11target_archE942ELNS1_3gpuE9ELNS1_3repE0EEENS1_30default_config_static_selectorELNS0_4arch9wavefront6targetE1EEEvT1_.has_indirect_call, 0
	.section	.AMDGPU.csdata,"",@progbits
; Kernel info:
; codeLenInByte = 0
; TotalNumSgprs: 4
; NumVgprs: 0
; ScratchSize: 0
; MemoryBound: 0
; FloatMode: 240
; IeeeMode: 1
; LDSByteSize: 0 bytes/workgroup (compile time only)
; SGPRBlocks: 0
; VGPRBlocks: 0
; NumSGPRsForWavesPerEU: 4
; NumVGPRsForWavesPerEU: 1
; Occupancy: 10
; WaveLimiterHint : 0
; COMPUTE_PGM_RSRC2:SCRATCH_EN: 0
; COMPUTE_PGM_RSRC2:USER_SGPR: 6
; COMPUTE_PGM_RSRC2:TRAP_HANDLER: 0
; COMPUTE_PGM_RSRC2:TGID_X_EN: 1
; COMPUTE_PGM_RSRC2:TGID_Y_EN: 0
; COMPUTE_PGM_RSRC2:TGID_Z_EN: 0
; COMPUTE_PGM_RSRC2:TIDIG_COMP_CNT: 0
	.section	.text._ZN7rocprim17ROCPRIM_400000_NS6detail17trampoline_kernelINS0_14default_configENS1_29reduce_by_key_config_selectorIilN6thrust23THRUST_200600_302600_NS4plusIlEEEEZZNS1_33reduce_by_key_impl_wrapped_configILNS1_25lookback_scan_determinismE0ES3_S9_PiNS6_17constant_iteratorIiNS6_11use_defaultESE_EENS6_10device_ptrIiEENSG_IlEEPmS8_NS6_8equal_toIiEEEE10hipError_tPvRmT2_T3_mT4_T5_T6_T7_T8_P12ihipStream_tbENKUlT_T0_E_clISt17integral_constantIbLb1EES13_EEDaSY_SZ_EUlSY_E_NS1_11comp_targetILNS1_3genE4ELNS1_11target_archE910ELNS1_3gpuE8ELNS1_3repE0EEENS1_30default_config_static_selectorELNS0_4arch9wavefront6targetE1EEEvT1_,"axG",@progbits,_ZN7rocprim17ROCPRIM_400000_NS6detail17trampoline_kernelINS0_14default_configENS1_29reduce_by_key_config_selectorIilN6thrust23THRUST_200600_302600_NS4plusIlEEEEZZNS1_33reduce_by_key_impl_wrapped_configILNS1_25lookback_scan_determinismE0ES3_S9_PiNS6_17constant_iteratorIiNS6_11use_defaultESE_EENS6_10device_ptrIiEENSG_IlEEPmS8_NS6_8equal_toIiEEEE10hipError_tPvRmT2_T3_mT4_T5_T6_T7_T8_P12ihipStream_tbENKUlT_T0_E_clISt17integral_constantIbLb1EES13_EEDaSY_SZ_EUlSY_E_NS1_11comp_targetILNS1_3genE4ELNS1_11target_archE910ELNS1_3gpuE8ELNS1_3repE0EEENS1_30default_config_static_selectorELNS0_4arch9wavefront6targetE1EEEvT1_,comdat
	.protected	_ZN7rocprim17ROCPRIM_400000_NS6detail17trampoline_kernelINS0_14default_configENS1_29reduce_by_key_config_selectorIilN6thrust23THRUST_200600_302600_NS4plusIlEEEEZZNS1_33reduce_by_key_impl_wrapped_configILNS1_25lookback_scan_determinismE0ES3_S9_PiNS6_17constant_iteratorIiNS6_11use_defaultESE_EENS6_10device_ptrIiEENSG_IlEEPmS8_NS6_8equal_toIiEEEE10hipError_tPvRmT2_T3_mT4_T5_T6_T7_T8_P12ihipStream_tbENKUlT_T0_E_clISt17integral_constantIbLb1EES13_EEDaSY_SZ_EUlSY_E_NS1_11comp_targetILNS1_3genE4ELNS1_11target_archE910ELNS1_3gpuE8ELNS1_3repE0EEENS1_30default_config_static_selectorELNS0_4arch9wavefront6targetE1EEEvT1_ ; -- Begin function _ZN7rocprim17ROCPRIM_400000_NS6detail17trampoline_kernelINS0_14default_configENS1_29reduce_by_key_config_selectorIilN6thrust23THRUST_200600_302600_NS4plusIlEEEEZZNS1_33reduce_by_key_impl_wrapped_configILNS1_25lookback_scan_determinismE0ES3_S9_PiNS6_17constant_iteratorIiNS6_11use_defaultESE_EENS6_10device_ptrIiEENSG_IlEEPmS8_NS6_8equal_toIiEEEE10hipError_tPvRmT2_T3_mT4_T5_T6_T7_T8_P12ihipStream_tbENKUlT_T0_E_clISt17integral_constantIbLb1EES13_EEDaSY_SZ_EUlSY_E_NS1_11comp_targetILNS1_3genE4ELNS1_11target_archE910ELNS1_3gpuE8ELNS1_3repE0EEENS1_30default_config_static_selectorELNS0_4arch9wavefront6targetE1EEEvT1_
	.globl	_ZN7rocprim17ROCPRIM_400000_NS6detail17trampoline_kernelINS0_14default_configENS1_29reduce_by_key_config_selectorIilN6thrust23THRUST_200600_302600_NS4plusIlEEEEZZNS1_33reduce_by_key_impl_wrapped_configILNS1_25lookback_scan_determinismE0ES3_S9_PiNS6_17constant_iteratorIiNS6_11use_defaultESE_EENS6_10device_ptrIiEENSG_IlEEPmS8_NS6_8equal_toIiEEEE10hipError_tPvRmT2_T3_mT4_T5_T6_T7_T8_P12ihipStream_tbENKUlT_T0_E_clISt17integral_constantIbLb1EES13_EEDaSY_SZ_EUlSY_E_NS1_11comp_targetILNS1_3genE4ELNS1_11target_archE910ELNS1_3gpuE8ELNS1_3repE0EEENS1_30default_config_static_selectorELNS0_4arch9wavefront6targetE1EEEvT1_
	.p2align	8
	.type	_ZN7rocprim17ROCPRIM_400000_NS6detail17trampoline_kernelINS0_14default_configENS1_29reduce_by_key_config_selectorIilN6thrust23THRUST_200600_302600_NS4plusIlEEEEZZNS1_33reduce_by_key_impl_wrapped_configILNS1_25lookback_scan_determinismE0ES3_S9_PiNS6_17constant_iteratorIiNS6_11use_defaultESE_EENS6_10device_ptrIiEENSG_IlEEPmS8_NS6_8equal_toIiEEEE10hipError_tPvRmT2_T3_mT4_T5_T6_T7_T8_P12ihipStream_tbENKUlT_T0_E_clISt17integral_constantIbLb1EES13_EEDaSY_SZ_EUlSY_E_NS1_11comp_targetILNS1_3genE4ELNS1_11target_archE910ELNS1_3gpuE8ELNS1_3repE0EEENS1_30default_config_static_selectorELNS0_4arch9wavefront6targetE1EEEvT1_,@function
_ZN7rocprim17ROCPRIM_400000_NS6detail17trampoline_kernelINS0_14default_configENS1_29reduce_by_key_config_selectorIilN6thrust23THRUST_200600_302600_NS4plusIlEEEEZZNS1_33reduce_by_key_impl_wrapped_configILNS1_25lookback_scan_determinismE0ES3_S9_PiNS6_17constant_iteratorIiNS6_11use_defaultESE_EENS6_10device_ptrIiEENSG_IlEEPmS8_NS6_8equal_toIiEEEE10hipError_tPvRmT2_T3_mT4_T5_T6_T7_T8_P12ihipStream_tbENKUlT_T0_E_clISt17integral_constantIbLb1EES13_EEDaSY_SZ_EUlSY_E_NS1_11comp_targetILNS1_3genE4ELNS1_11target_archE910ELNS1_3gpuE8ELNS1_3repE0EEENS1_30default_config_static_selectorELNS0_4arch9wavefront6targetE1EEEvT1_: ; @_ZN7rocprim17ROCPRIM_400000_NS6detail17trampoline_kernelINS0_14default_configENS1_29reduce_by_key_config_selectorIilN6thrust23THRUST_200600_302600_NS4plusIlEEEEZZNS1_33reduce_by_key_impl_wrapped_configILNS1_25lookback_scan_determinismE0ES3_S9_PiNS6_17constant_iteratorIiNS6_11use_defaultESE_EENS6_10device_ptrIiEENSG_IlEEPmS8_NS6_8equal_toIiEEEE10hipError_tPvRmT2_T3_mT4_T5_T6_T7_T8_P12ihipStream_tbENKUlT_T0_E_clISt17integral_constantIbLb1EES13_EEDaSY_SZ_EUlSY_E_NS1_11comp_targetILNS1_3genE4ELNS1_11target_archE910ELNS1_3gpuE8ELNS1_3repE0EEENS1_30default_config_static_selectorELNS0_4arch9wavefront6targetE1EEEvT1_
; %bb.0:
	.section	.rodata,"a",@progbits
	.p2align	6, 0x0
	.amdhsa_kernel _ZN7rocprim17ROCPRIM_400000_NS6detail17trampoline_kernelINS0_14default_configENS1_29reduce_by_key_config_selectorIilN6thrust23THRUST_200600_302600_NS4plusIlEEEEZZNS1_33reduce_by_key_impl_wrapped_configILNS1_25lookback_scan_determinismE0ES3_S9_PiNS6_17constant_iteratorIiNS6_11use_defaultESE_EENS6_10device_ptrIiEENSG_IlEEPmS8_NS6_8equal_toIiEEEE10hipError_tPvRmT2_T3_mT4_T5_T6_T7_T8_P12ihipStream_tbENKUlT_T0_E_clISt17integral_constantIbLb1EES13_EEDaSY_SZ_EUlSY_E_NS1_11comp_targetILNS1_3genE4ELNS1_11target_archE910ELNS1_3gpuE8ELNS1_3repE0EEENS1_30default_config_static_selectorELNS0_4arch9wavefront6targetE1EEEvT1_
		.amdhsa_group_segment_fixed_size 0
		.amdhsa_private_segment_fixed_size 0
		.amdhsa_kernarg_size 144
		.amdhsa_user_sgpr_count 6
		.amdhsa_user_sgpr_private_segment_buffer 1
		.amdhsa_user_sgpr_dispatch_ptr 0
		.amdhsa_user_sgpr_queue_ptr 0
		.amdhsa_user_sgpr_kernarg_segment_ptr 1
		.amdhsa_user_sgpr_dispatch_id 0
		.amdhsa_user_sgpr_flat_scratch_init 0
		.amdhsa_user_sgpr_private_segment_size 0
		.amdhsa_uses_dynamic_stack 0
		.amdhsa_system_sgpr_private_segment_wavefront_offset 0
		.amdhsa_system_sgpr_workgroup_id_x 1
		.amdhsa_system_sgpr_workgroup_id_y 0
		.amdhsa_system_sgpr_workgroup_id_z 0
		.amdhsa_system_sgpr_workgroup_info 0
		.amdhsa_system_vgpr_workitem_id 0
		.amdhsa_next_free_vgpr 1
		.amdhsa_next_free_sgpr 0
		.amdhsa_reserve_vcc 0
		.amdhsa_reserve_flat_scratch 0
		.amdhsa_float_round_mode_32 0
		.amdhsa_float_round_mode_16_64 0
		.amdhsa_float_denorm_mode_32 3
		.amdhsa_float_denorm_mode_16_64 3
		.amdhsa_dx10_clamp 1
		.amdhsa_ieee_mode 1
		.amdhsa_fp16_overflow 0
		.amdhsa_exception_fp_ieee_invalid_op 0
		.amdhsa_exception_fp_denorm_src 0
		.amdhsa_exception_fp_ieee_div_zero 0
		.amdhsa_exception_fp_ieee_overflow 0
		.amdhsa_exception_fp_ieee_underflow 0
		.amdhsa_exception_fp_ieee_inexact 0
		.amdhsa_exception_int_div_zero 0
	.end_amdhsa_kernel
	.section	.text._ZN7rocprim17ROCPRIM_400000_NS6detail17trampoline_kernelINS0_14default_configENS1_29reduce_by_key_config_selectorIilN6thrust23THRUST_200600_302600_NS4plusIlEEEEZZNS1_33reduce_by_key_impl_wrapped_configILNS1_25lookback_scan_determinismE0ES3_S9_PiNS6_17constant_iteratorIiNS6_11use_defaultESE_EENS6_10device_ptrIiEENSG_IlEEPmS8_NS6_8equal_toIiEEEE10hipError_tPvRmT2_T3_mT4_T5_T6_T7_T8_P12ihipStream_tbENKUlT_T0_E_clISt17integral_constantIbLb1EES13_EEDaSY_SZ_EUlSY_E_NS1_11comp_targetILNS1_3genE4ELNS1_11target_archE910ELNS1_3gpuE8ELNS1_3repE0EEENS1_30default_config_static_selectorELNS0_4arch9wavefront6targetE1EEEvT1_,"axG",@progbits,_ZN7rocprim17ROCPRIM_400000_NS6detail17trampoline_kernelINS0_14default_configENS1_29reduce_by_key_config_selectorIilN6thrust23THRUST_200600_302600_NS4plusIlEEEEZZNS1_33reduce_by_key_impl_wrapped_configILNS1_25lookback_scan_determinismE0ES3_S9_PiNS6_17constant_iteratorIiNS6_11use_defaultESE_EENS6_10device_ptrIiEENSG_IlEEPmS8_NS6_8equal_toIiEEEE10hipError_tPvRmT2_T3_mT4_T5_T6_T7_T8_P12ihipStream_tbENKUlT_T0_E_clISt17integral_constantIbLb1EES13_EEDaSY_SZ_EUlSY_E_NS1_11comp_targetILNS1_3genE4ELNS1_11target_archE910ELNS1_3gpuE8ELNS1_3repE0EEENS1_30default_config_static_selectorELNS0_4arch9wavefront6targetE1EEEvT1_,comdat
.Lfunc_end949:
	.size	_ZN7rocprim17ROCPRIM_400000_NS6detail17trampoline_kernelINS0_14default_configENS1_29reduce_by_key_config_selectorIilN6thrust23THRUST_200600_302600_NS4plusIlEEEEZZNS1_33reduce_by_key_impl_wrapped_configILNS1_25lookback_scan_determinismE0ES3_S9_PiNS6_17constant_iteratorIiNS6_11use_defaultESE_EENS6_10device_ptrIiEENSG_IlEEPmS8_NS6_8equal_toIiEEEE10hipError_tPvRmT2_T3_mT4_T5_T6_T7_T8_P12ihipStream_tbENKUlT_T0_E_clISt17integral_constantIbLb1EES13_EEDaSY_SZ_EUlSY_E_NS1_11comp_targetILNS1_3genE4ELNS1_11target_archE910ELNS1_3gpuE8ELNS1_3repE0EEENS1_30default_config_static_selectorELNS0_4arch9wavefront6targetE1EEEvT1_, .Lfunc_end949-_ZN7rocprim17ROCPRIM_400000_NS6detail17trampoline_kernelINS0_14default_configENS1_29reduce_by_key_config_selectorIilN6thrust23THRUST_200600_302600_NS4plusIlEEEEZZNS1_33reduce_by_key_impl_wrapped_configILNS1_25lookback_scan_determinismE0ES3_S9_PiNS6_17constant_iteratorIiNS6_11use_defaultESE_EENS6_10device_ptrIiEENSG_IlEEPmS8_NS6_8equal_toIiEEEE10hipError_tPvRmT2_T3_mT4_T5_T6_T7_T8_P12ihipStream_tbENKUlT_T0_E_clISt17integral_constantIbLb1EES13_EEDaSY_SZ_EUlSY_E_NS1_11comp_targetILNS1_3genE4ELNS1_11target_archE910ELNS1_3gpuE8ELNS1_3repE0EEENS1_30default_config_static_selectorELNS0_4arch9wavefront6targetE1EEEvT1_
                                        ; -- End function
	.set _ZN7rocprim17ROCPRIM_400000_NS6detail17trampoline_kernelINS0_14default_configENS1_29reduce_by_key_config_selectorIilN6thrust23THRUST_200600_302600_NS4plusIlEEEEZZNS1_33reduce_by_key_impl_wrapped_configILNS1_25lookback_scan_determinismE0ES3_S9_PiNS6_17constant_iteratorIiNS6_11use_defaultESE_EENS6_10device_ptrIiEENSG_IlEEPmS8_NS6_8equal_toIiEEEE10hipError_tPvRmT2_T3_mT4_T5_T6_T7_T8_P12ihipStream_tbENKUlT_T0_E_clISt17integral_constantIbLb1EES13_EEDaSY_SZ_EUlSY_E_NS1_11comp_targetILNS1_3genE4ELNS1_11target_archE910ELNS1_3gpuE8ELNS1_3repE0EEENS1_30default_config_static_selectorELNS0_4arch9wavefront6targetE1EEEvT1_.num_vgpr, 0
	.set _ZN7rocprim17ROCPRIM_400000_NS6detail17trampoline_kernelINS0_14default_configENS1_29reduce_by_key_config_selectorIilN6thrust23THRUST_200600_302600_NS4plusIlEEEEZZNS1_33reduce_by_key_impl_wrapped_configILNS1_25lookback_scan_determinismE0ES3_S9_PiNS6_17constant_iteratorIiNS6_11use_defaultESE_EENS6_10device_ptrIiEENSG_IlEEPmS8_NS6_8equal_toIiEEEE10hipError_tPvRmT2_T3_mT4_T5_T6_T7_T8_P12ihipStream_tbENKUlT_T0_E_clISt17integral_constantIbLb1EES13_EEDaSY_SZ_EUlSY_E_NS1_11comp_targetILNS1_3genE4ELNS1_11target_archE910ELNS1_3gpuE8ELNS1_3repE0EEENS1_30default_config_static_selectorELNS0_4arch9wavefront6targetE1EEEvT1_.num_agpr, 0
	.set _ZN7rocprim17ROCPRIM_400000_NS6detail17trampoline_kernelINS0_14default_configENS1_29reduce_by_key_config_selectorIilN6thrust23THRUST_200600_302600_NS4plusIlEEEEZZNS1_33reduce_by_key_impl_wrapped_configILNS1_25lookback_scan_determinismE0ES3_S9_PiNS6_17constant_iteratorIiNS6_11use_defaultESE_EENS6_10device_ptrIiEENSG_IlEEPmS8_NS6_8equal_toIiEEEE10hipError_tPvRmT2_T3_mT4_T5_T6_T7_T8_P12ihipStream_tbENKUlT_T0_E_clISt17integral_constantIbLb1EES13_EEDaSY_SZ_EUlSY_E_NS1_11comp_targetILNS1_3genE4ELNS1_11target_archE910ELNS1_3gpuE8ELNS1_3repE0EEENS1_30default_config_static_selectorELNS0_4arch9wavefront6targetE1EEEvT1_.numbered_sgpr, 0
	.set _ZN7rocprim17ROCPRIM_400000_NS6detail17trampoline_kernelINS0_14default_configENS1_29reduce_by_key_config_selectorIilN6thrust23THRUST_200600_302600_NS4plusIlEEEEZZNS1_33reduce_by_key_impl_wrapped_configILNS1_25lookback_scan_determinismE0ES3_S9_PiNS6_17constant_iteratorIiNS6_11use_defaultESE_EENS6_10device_ptrIiEENSG_IlEEPmS8_NS6_8equal_toIiEEEE10hipError_tPvRmT2_T3_mT4_T5_T6_T7_T8_P12ihipStream_tbENKUlT_T0_E_clISt17integral_constantIbLb1EES13_EEDaSY_SZ_EUlSY_E_NS1_11comp_targetILNS1_3genE4ELNS1_11target_archE910ELNS1_3gpuE8ELNS1_3repE0EEENS1_30default_config_static_selectorELNS0_4arch9wavefront6targetE1EEEvT1_.num_named_barrier, 0
	.set _ZN7rocprim17ROCPRIM_400000_NS6detail17trampoline_kernelINS0_14default_configENS1_29reduce_by_key_config_selectorIilN6thrust23THRUST_200600_302600_NS4plusIlEEEEZZNS1_33reduce_by_key_impl_wrapped_configILNS1_25lookback_scan_determinismE0ES3_S9_PiNS6_17constant_iteratorIiNS6_11use_defaultESE_EENS6_10device_ptrIiEENSG_IlEEPmS8_NS6_8equal_toIiEEEE10hipError_tPvRmT2_T3_mT4_T5_T6_T7_T8_P12ihipStream_tbENKUlT_T0_E_clISt17integral_constantIbLb1EES13_EEDaSY_SZ_EUlSY_E_NS1_11comp_targetILNS1_3genE4ELNS1_11target_archE910ELNS1_3gpuE8ELNS1_3repE0EEENS1_30default_config_static_selectorELNS0_4arch9wavefront6targetE1EEEvT1_.private_seg_size, 0
	.set _ZN7rocprim17ROCPRIM_400000_NS6detail17trampoline_kernelINS0_14default_configENS1_29reduce_by_key_config_selectorIilN6thrust23THRUST_200600_302600_NS4plusIlEEEEZZNS1_33reduce_by_key_impl_wrapped_configILNS1_25lookback_scan_determinismE0ES3_S9_PiNS6_17constant_iteratorIiNS6_11use_defaultESE_EENS6_10device_ptrIiEENSG_IlEEPmS8_NS6_8equal_toIiEEEE10hipError_tPvRmT2_T3_mT4_T5_T6_T7_T8_P12ihipStream_tbENKUlT_T0_E_clISt17integral_constantIbLb1EES13_EEDaSY_SZ_EUlSY_E_NS1_11comp_targetILNS1_3genE4ELNS1_11target_archE910ELNS1_3gpuE8ELNS1_3repE0EEENS1_30default_config_static_selectorELNS0_4arch9wavefront6targetE1EEEvT1_.uses_vcc, 0
	.set _ZN7rocprim17ROCPRIM_400000_NS6detail17trampoline_kernelINS0_14default_configENS1_29reduce_by_key_config_selectorIilN6thrust23THRUST_200600_302600_NS4plusIlEEEEZZNS1_33reduce_by_key_impl_wrapped_configILNS1_25lookback_scan_determinismE0ES3_S9_PiNS6_17constant_iteratorIiNS6_11use_defaultESE_EENS6_10device_ptrIiEENSG_IlEEPmS8_NS6_8equal_toIiEEEE10hipError_tPvRmT2_T3_mT4_T5_T6_T7_T8_P12ihipStream_tbENKUlT_T0_E_clISt17integral_constantIbLb1EES13_EEDaSY_SZ_EUlSY_E_NS1_11comp_targetILNS1_3genE4ELNS1_11target_archE910ELNS1_3gpuE8ELNS1_3repE0EEENS1_30default_config_static_selectorELNS0_4arch9wavefront6targetE1EEEvT1_.uses_flat_scratch, 0
	.set _ZN7rocprim17ROCPRIM_400000_NS6detail17trampoline_kernelINS0_14default_configENS1_29reduce_by_key_config_selectorIilN6thrust23THRUST_200600_302600_NS4plusIlEEEEZZNS1_33reduce_by_key_impl_wrapped_configILNS1_25lookback_scan_determinismE0ES3_S9_PiNS6_17constant_iteratorIiNS6_11use_defaultESE_EENS6_10device_ptrIiEENSG_IlEEPmS8_NS6_8equal_toIiEEEE10hipError_tPvRmT2_T3_mT4_T5_T6_T7_T8_P12ihipStream_tbENKUlT_T0_E_clISt17integral_constantIbLb1EES13_EEDaSY_SZ_EUlSY_E_NS1_11comp_targetILNS1_3genE4ELNS1_11target_archE910ELNS1_3gpuE8ELNS1_3repE0EEENS1_30default_config_static_selectorELNS0_4arch9wavefront6targetE1EEEvT1_.has_dyn_sized_stack, 0
	.set _ZN7rocprim17ROCPRIM_400000_NS6detail17trampoline_kernelINS0_14default_configENS1_29reduce_by_key_config_selectorIilN6thrust23THRUST_200600_302600_NS4plusIlEEEEZZNS1_33reduce_by_key_impl_wrapped_configILNS1_25lookback_scan_determinismE0ES3_S9_PiNS6_17constant_iteratorIiNS6_11use_defaultESE_EENS6_10device_ptrIiEENSG_IlEEPmS8_NS6_8equal_toIiEEEE10hipError_tPvRmT2_T3_mT4_T5_T6_T7_T8_P12ihipStream_tbENKUlT_T0_E_clISt17integral_constantIbLb1EES13_EEDaSY_SZ_EUlSY_E_NS1_11comp_targetILNS1_3genE4ELNS1_11target_archE910ELNS1_3gpuE8ELNS1_3repE0EEENS1_30default_config_static_selectorELNS0_4arch9wavefront6targetE1EEEvT1_.has_recursion, 0
	.set _ZN7rocprim17ROCPRIM_400000_NS6detail17trampoline_kernelINS0_14default_configENS1_29reduce_by_key_config_selectorIilN6thrust23THRUST_200600_302600_NS4plusIlEEEEZZNS1_33reduce_by_key_impl_wrapped_configILNS1_25lookback_scan_determinismE0ES3_S9_PiNS6_17constant_iteratorIiNS6_11use_defaultESE_EENS6_10device_ptrIiEENSG_IlEEPmS8_NS6_8equal_toIiEEEE10hipError_tPvRmT2_T3_mT4_T5_T6_T7_T8_P12ihipStream_tbENKUlT_T0_E_clISt17integral_constantIbLb1EES13_EEDaSY_SZ_EUlSY_E_NS1_11comp_targetILNS1_3genE4ELNS1_11target_archE910ELNS1_3gpuE8ELNS1_3repE0EEENS1_30default_config_static_selectorELNS0_4arch9wavefront6targetE1EEEvT1_.has_indirect_call, 0
	.section	.AMDGPU.csdata,"",@progbits
; Kernel info:
; codeLenInByte = 0
; TotalNumSgprs: 4
; NumVgprs: 0
; ScratchSize: 0
; MemoryBound: 0
; FloatMode: 240
; IeeeMode: 1
; LDSByteSize: 0 bytes/workgroup (compile time only)
; SGPRBlocks: 0
; VGPRBlocks: 0
; NumSGPRsForWavesPerEU: 4
; NumVGPRsForWavesPerEU: 1
; Occupancy: 10
; WaveLimiterHint : 0
; COMPUTE_PGM_RSRC2:SCRATCH_EN: 0
; COMPUTE_PGM_RSRC2:USER_SGPR: 6
; COMPUTE_PGM_RSRC2:TRAP_HANDLER: 0
; COMPUTE_PGM_RSRC2:TGID_X_EN: 1
; COMPUTE_PGM_RSRC2:TGID_Y_EN: 0
; COMPUTE_PGM_RSRC2:TGID_Z_EN: 0
; COMPUTE_PGM_RSRC2:TIDIG_COMP_CNT: 0
	.section	.text._ZN7rocprim17ROCPRIM_400000_NS6detail17trampoline_kernelINS0_14default_configENS1_29reduce_by_key_config_selectorIilN6thrust23THRUST_200600_302600_NS4plusIlEEEEZZNS1_33reduce_by_key_impl_wrapped_configILNS1_25lookback_scan_determinismE0ES3_S9_PiNS6_17constant_iteratorIiNS6_11use_defaultESE_EENS6_10device_ptrIiEENSG_IlEEPmS8_NS6_8equal_toIiEEEE10hipError_tPvRmT2_T3_mT4_T5_T6_T7_T8_P12ihipStream_tbENKUlT_T0_E_clISt17integral_constantIbLb1EES13_EEDaSY_SZ_EUlSY_E_NS1_11comp_targetILNS1_3genE3ELNS1_11target_archE908ELNS1_3gpuE7ELNS1_3repE0EEENS1_30default_config_static_selectorELNS0_4arch9wavefront6targetE1EEEvT1_,"axG",@progbits,_ZN7rocprim17ROCPRIM_400000_NS6detail17trampoline_kernelINS0_14default_configENS1_29reduce_by_key_config_selectorIilN6thrust23THRUST_200600_302600_NS4plusIlEEEEZZNS1_33reduce_by_key_impl_wrapped_configILNS1_25lookback_scan_determinismE0ES3_S9_PiNS6_17constant_iteratorIiNS6_11use_defaultESE_EENS6_10device_ptrIiEENSG_IlEEPmS8_NS6_8equal_toIiEEEE10hipError_tPvRmT2_T3_mT4_T5_T6_T7_T8_P12ihipStream_tbENKUlT_T0_E_clISt17integral_constantIbLb1EES13_EEDaSY_SZ_EUlSY_E_NS1_11comp_targetILNS1_3genE3ELNS1_11target_archE908ELNS1_3gpuE7ELNS1_3repE0EEENS1_30default_config_static_selectorELNS0_4arch9wavefront6targetE1EEEvT1_,comdat
	.protected	_ZN7rocprim17ROCPRIM_400000_NS6detail17trampoline_kernelINS0_14default_configENS1_29reduce_by_key_config_selectorIilN6thrust23THRUST_200600_302600_NS4plusIlEEEEZZNS1_33reduce_by_key_impl_wrapped_configILNS1_25lookback_scan_determinismE0ES3_S9_PiNS6_17constant_iteratorIiNS6_11use_defaultESE_EENS6_10device_ptrIiEENSG_IlEEPmS8_NS6_8equal_toIiEEEE10hipError_tPvRmT2_T3_mT4_T5_T6_T7_T8_P12ihipStream_tbENKUlT_T0_E_clISt17integral_constantIbLb1EES13_EEDaSY_SZ_EUlSY_E_NS1_11comp_targetILNS1_3genE3ELNS1_11target_archE908ELNS1_3gpuE7ELNS1_3repE0EEENS1_30default_config_static_selectorELNS0_4arch9wavefront6targetE1EEEvT1_ ; -- Begin function _ZN7rocprim17ROCPRIM_400000_NS6detail17trampoline_kernelINS0_14default_configENS1_29reduce_by_key_config_selectorIilN6thrust23THRUST_200600_302600_NS4plusIlEEEEZZNS1_33reduce_by_key_impl_wrapped_configILNS1_25lookback_scan_determinismE0ES3_S9_PiNS6_17constant_iteratorIiNS6_11use_defaultESE_EENS6_10device_ptrIiEENSG_IlEEPmS8_NS6_8equal_toIiEEEE10hipError_tPvRmT2_T3_mT4_T5_T6_T7_T8_P12ihipStream_tbENKUlT_T0_E_clISt17integral_constantIbLb1EES13_EEDaSY_SZ_EUlSY_E_NS1_11comp_targetILNS1_3genE3ELNS1_11target_archE908ELNS1_3gpuE7ELNS1_3repE0EEENS1_30default_config_static_selectorELNS0_4arch9wavefront6targetE1EEEvT1_
	.globl	_ZN7rocprim17ROCPRIM_400000_NS6detail17trampoline_kernelINS0_14default_configENS1_29reduce_by_key_config_selectorIilN6thrust23THRUST_200600_302600_NS4plusIlEEEEZZNS1_33reduce_by_key_impl_wrapped_configILNS1_25lookback_scan_determinismE0ES3_S9_PiNS6_17constant_iteratorIiNS6_11use_defaultESE_EENS6_10device_ptrIiEENSG_IlEEPmS8_NS6_8equal_toIiEEEE10hipError_tPvRmT2_T3_mT4_T5_T6_T7_T8_P12ihipStream_tbENKUlT_T0_E_clISt17integral_constantIbLb1EES13_EEDaSY_SZ_EUlSY_E_NS1_11comp_targetILNS1_3genE3ELNS1_11target_archE908ELNS1_3gpuE7ELNS1_3repE0EEENS1_30default_config_static_selectorELNS0_4arch9wavefront6targetE1EEEvT1_
	.p2align	8
	.type	_ZN7rocprim17ROCPRIM_400000_NS6detail17trampoline_kernelINS0_14default_configENS1_29reduce_by_key_config_selectorIilN6thrust23THRUST_200600_302600_NS4plusIlEEEEZZNS1_33reduce_by_key_impl_wrapped_configILNS1_25lookback_scan_determinismE0ES3_S9_PiNS6_17constant_iteratorIiNS6_11use_defaultESE_EENS6_10device_ptrIiEENSG_IlEEPmS8_NS6_8equal_toIiEEEE10hipError_tPvRmT2_T3_mT4_T5_T6_T7_T8_P12ihipStream_tbENKUlT_T0_E_clISt17integral_constantIbLb1EES13_EEDaSY_SZ_EUlSY_E_NS1_11comp_targetILNS1_3genE3ELNS1_11target_archE908ELNS1_3gpuE7ELNS1_3repE0EEENS1_30default_config_static_selectorELNS0_4arch9wavefront6targetE1EEEvT1_,@function
_ZN7rocprim17ROCPRIM_400000_NS6detail17trampoline_kernelINS0_14default_configENS1_29reduce_by_key_config_selectorIilN6thrust23THRUST_200600_302600_NS4plusIlEEEEZZNS1_33reduce_by_key_impl_wrapped_configILNS1_25lookback_scan_determinismE0ES3_S9_PiNS6_17constant_iteratorIiNS6_11use_defaultESE_EENS6_10device_ptrIiEENSG_IlEEPmS8_NS6_8equal_toIiEEEE10hipError_tPvRmT2_T3_mT4_T5_T6_T7_T8_P12ihipStream_tbENKUlT_T0_E_clISt17integral_constantIbLb1EES13_EEDaSY_SZ_EUlSY_E_NS1_11comp_targetILNS1_3genE3ELNS1_11target_archE908ELNS1_3gpuE7ELNS1_3repE0EEENS1_30default_config_static_selectorELNS0_4arch9wavefront6targetE1EEEvT1_: ; @_ZN7rocprim17ROCPRIM_400000_NS6detail17trampoline_kernelINS0_14default_configENS1_29reduce_by_key_config_selectorIilN6thrust23THRUST_200600_302600_NS4plusIlEEEEZZNS1_33reduce_by_key_impl_wrapped_configILNS1_25lookback_scan_determinismE0ES3_S9_PiNS6_17constant_iteratorIiNS6_11use_defaultESE_EENS6_10device_ptrIiEENSG_IlEEPmS8_NS6_8equal_toIiEEEE10hipError_tPvRmT2_T3_mT4_T5_T6_T7_T8_P12ihipStream_tbENKUlT_T0_E_clISt17integral_constantIbLb1EES13_EEDaSY_SZ_EUlSY_E_NS1_11comp_targetILNS1_3genE3ELNS1_11target_archE908ELNS1_3gpuE7ELNS1_3repE0EEENS1_30default_config_static_selectorELNS0_4arch9wavefront6targetE1EEEvT1_
; %bb.0:
	.section	.rodata,"a",@progbits
	.p2align	6, 0x0
	.amdhsa_kernel _ZN7rocprim17ROCPRIM_400000_NS6detail17trampoline_kernelINS0_14default_configENS1_29reduce_by_key_config_selectorIilN6thrust23THRUST_200600_302600_NS4plusIlEEEEZZNS1_33reduce_by_key_impl_wrapped_configILNS1_25lookback_scan_determinismE0ES3_S9_PiNS6_17constant_iteratorIiNS6_11use_defaultESE_EENS6_10device_ptrIiEENSG_IlEEPmS8_NS6_8equal_toIiEEEE10hipError_tPvRmT2_T3_mT4_T5_T6_T7_T8_P12ihipStream_tbENKUlT_T0_E_clISt17integral_constantIbLb1EES13_EEDaSY_SZ_EUlSY_E_NS1_11comp_targetILNS1_3genE3ELNS1_11target_archE908ELNS1_3gpuE7ELNS1_3repE0EEENS1_30default_config_static_selectorELNS0_4arch9wavefront6targetE1EEEvT1_
		.amdhsa_group_segment_fixed_size 0
		.amdhsa_private_segment_fixed_size 0
		.amdhsa_kernarg_size 144
		.amdhsa_user_sgpr_count 6
		.amdhsa_user_sgpr_private_segment_buffer 1
		.amdhsa_user_sgpr_dispatch_ptr 0
		.amdhsa_user_sgpr_queue_ptr 0
		.amdhsa_user_sgpr_kernarg_segment_ptr 1
		.amdhsa_user_sgpr_dispatch_id 0
		.amdhsa_user_sgpr_flat_scratch_init 0
		.amdhsa_user_sgpr_private_segment_size 0
		.amdhsa_uses_dynamic_stack 0
		.amdhsa_system_sgpr_private_segment_wavefront_offset 0
		.amdhsa_system_sgpr_workgroup_id_x 1
		.amdhsa_system_sgpr_workgroup_id_y 0
		.amdhsa_system_sgpr_workgroup_id_z 0
		.amdhsa_system_sgpr_workgroup_info 0
		.amdhsa_system_vgpr_workitem_id 0
		.amdhsa_next_free_vgpr 1
		.amdhsa_next_free_sgpr 0
		.amdhsa_reserve_vcc 0
		.amdhsa_reserve_flat_scratch 0
		.amdhsa_float_round_mode_32 0
		.amdhsa_float_round_mode_16_64 0
		.amdhsa_float_denorm_mode_32 3
		.amdhsa_float_denorm_mode_16_64 3
		.amdhsa_dx10_clamp 1
		.amdhsa_ieee_mode 1
		.amdhsa_fp16_overflow 0
		.amdhsa_exception_fp_ieee_invalid_op 0
		.amdhsa_exception_fp_denorm_src 0
		.amdhsa_exception_fp_ieee_div_zero 0
		.amdhsa_exception_fp_ieee_overflow 0
		.amdhsa_exception_fp_ieee_underflow 0
		.amdhsa_exception_fp_ieee_inexact 0
		.amdhsa_exception_int_div_zero 0
	.end_amdhsa_kernel
	.section	.text._ZN7rocprim17ROCPRIM_400000_NS6detail17trampoline_kernelINS0_14default_configENS1_29reduce_by_key_config_selectorIilN6thrust23THRUST_200600_302600_NS4plusIlEEEEZZNS1_33reduce_by_key_impl_wrapped_configILNS1_25lookback_scan_determinismE0ES3_S9_PiNS6_17constant_iteratorIiNS6_11use_defaultESE_EENS6_10device_ptrIiEENSG_IlEEPmS8_NS6_8equal_toIiEEEE10hipError_tPvRmT2_T3_mT4_T5_T6_T7_T8_P12ihipStream_tbENKUlT_T0_E_clISt17integral_constantIbLb1EES13_EEDaSY_SZ_EUlSY_E_NS1_11comp_targetILNS1_3genE3ELNS1_11target_archE908ELNS1_3gpuE7ELNS1_3repE0EEENS1_30default_config_static_selectorELNS0_4arch9wavefront6targetE1EEEvT1_,"axG",@progbits,_ZN7rocprim17ROCPRIM_400000_NS6detail17trampoline_kernelINS0_14default_configENS1_29reduce_by_key_config_selectorIilN6thrust23THRUST_200600_302600_NS4plusIlEEEEZZNS1_33reduce_by_key_impl_wrapped_configILNS1_25lookback_scan_determinismE0ES3_S9_PiNS6_17constant_iteratorIiNS6_11use_defaultESE_EENS6_10device_ptrIiEENSG_IlEEPmS8_NS6_8equal_toIiEEEE10hipError_tPvRmT2_T3_mT4_T5_T6_T7_T8_P12ihipStream_tbENKUlT_T0_E_clISt17integral_constantIbLb1EES13_EEDaSY_SZ_EUlSY_E_NS1_11comp_targetILNS1_3genE3ELNS1_11target_archE908ELNS1_3gpuE7ELNS1_3repE0EEENS1_30default_config_static_selectorELNS0_4arch9wavefront6targetE1EEEvT1_,comdat
.Lfunc_end950:
	.size	_ZN7rocprim17ROCPRIM_400000_NS6detail17trampoline_kernelINS0_14default_configENS1_29reduce_by_key_config_selectorIilN6thrust23THRUST_200600_302600_NS4plusIlEEEEZZNS1_33reduce_by_key_impl_wrapped_configILNS1_25lookback_scan_determinismE0ES3_S9_PiNS6_17constant_iteratorIiNS6_11use_defaultESE_EENS6_10device_ptrIiEENSG_IlEEPmS8_NS6_8equal_toIiEEEE10hipError_tPvRmT2_T3_mT4_T5_T6_T7_T8_P12ihipStream_tbENKUlT_T0_E_clISt17integral_constantIbLb1EES13_EEDaSY_SZ_EUlSY_E_NS1_11comp_targetILNS1_3genE3ELNS1_11target_archE908ELNS1_3gpuE7ELNS1_3repE0EEENS1_30default_config_static_selectorELNS0_4arch9wavefront6targetE1EEEvT1_, .Lfunc_end950-_ZN7rocprim17ROCPRIM_400000_NS6detail17trampoline_kernelINS0_14default_configENS1_29reduce_by_key_config_selectorIilN6thrust23THRUST_200600_302600_NS4plusIlEEEEZZNS1_33reduce_by_key_impl_wrapped_configILNS1_25lookback_scan_determinismE0ES3_S9_PiNS6_17constant_iteratorIiNS6_11use_defaultESE_EENS6_10device_ptrIiEENSG_IlEEPmS8_NS6_8equal_toIiEEEE10hipError_tPvRmT2_T3_mT4_T5_T6_T7_T8_P12ihipStream_tbENKUlT_T0_E_clISt17integral_constantIbLb1EES13_EEDaSY_SZ_EUlSY_E_NS1_11comp_targetILNS1_3genE3ELNS1_11target_archE908ELNS1_3gpuE7ELNS1_3repE0EEENS1_30default_config_static_selectorELNS0_4arch9wavefront6targetE1EEEvT1_
                                        ; -- End function
	.set _ZN7rocprim17ROCPRIM_400000_NS6detail17trampoline_kernelINS0_14default_configENS1_29reduce_by_key_config_selectorIilN6thrust23THRUST_200600_302600_NS4plusIlEEEEZZNS1_33reduce_by_key_impl_wrapped_configILNS1_25lookback_scan_determinismE0ES3_S9_PiNS6_17constant_iteratorIiNS6_11use_defaultESE_EENS6_10device_ptrIiEENSG_IlEEPmS8_NS6_8equal_toIiEEEE10hipError_tPvRmT2_T3_mT4_T5_T6_T7_T8_P12ihipStream_tbENKUlT_T0_E_clISt17integral_constantIbLb1EES13_EEDaSY_SZ_EUlSY_E_NS1_11comp_targetILNS1_3genE3ELNS1_11target_archE908ELNS1_3gpuE7ELNS1_3repE0EEENS1_30default_config_static_selectorELNS0_4arch9wavefront6targetE1EEEvT1_.num_vgpr, 0
	.set _ZN7rocprim17ROCPRIM_400000_NS6detail17trampoline_kernelINS0_14default_configENS1_29reduce_by_key_config_selectorIilN6thrust23THRUST_200600_302600_NS4plusIlEEEEZZNS1_33reduce_by_key_impl_wrapped_configILNS1_25lookback_scan_determinismE0ES3_S9_PiNS6_17constant_iteratorIiNS6_11use_defaultESE_EENS6_10device_ptrIiEENSG_IlEEPmS8_NS6_8equal_toIiEEEE10hipError_tPvRmT2_T3_mT4_T5_T6_T7_T8_P12ihipStream_tbENKUlT_T0_E_clISt17integral_constantIbLb1EES13_EEDaSY_SZ_EUlSY_E_NS1_11comp_targetILNS1_3genE3ELNS1_11target_archE908ELNS1_3gpuE7ELNS1_3repE0EEENS1_30default_config_static_selectorELNS0_4arch9wavefront6targetE1EEEvT1_.num_agpr, 0
	.set _ZN7rocprim17ROCPRIM_400000_NS6detail17trampoline_kernelINS0_14default_configENS1_29reduce_by_key_config_selectorIilN6thrust23THRUST_200600_302600_NS4plusIlEEEEZZNS1_33reduce_by_key_impl_wrapped_configILNS1_25lookback_scan_determinismE0ES3_S9_PiNS6_17constant_iteratorIiNS6_11use_defaultESE_EENS6_10device_ptrIiEENSG_IlEEPmS8_NS6_8equal_toIiEEEE10hipError_tPvRmT2_T3_mT4_T5_T6_T7_T8_P12ihipStream_tbENKUlT_T0_E_clISt17integral_constantIbLb1EES13_EEDaSY_SZ_EUlSY_E_NS1_11comp_targetILNS1_3genE3ELNS1_11target_archE908ELNS1_3gpuE7ELNS1_3repE0EEENS1_30default_config_static_selectorELNS0_4arch9wavefront6targetE1EEEvT1_.numbered_sgpr, 0
	.set _ZN7rocprim17ROCPRIM_400000_NS6detail17trampoline_kernelINS0_14default_configENS1_29reduce_by_key_config_selectorIilN6thrust23THRUST_200600_302600_NS4plusIlEEEEZZNS1_33reduce_by_key_impl_wrapped_configILNS1_25lookback_scan_determinismE0ES3_S9_PiNS6_17constant_iteratorIiNS6_11use_defaultESE_EENS6_10device_ptrIiEENSG_IlEEPmS8_NS6_8equal_toIiEEEE10hipError_tPvRmT2_T3_mT4_T5_T6_T7_T8_P12ihipStream_tbENKUlT_T0_E_clISt17integral_constantIbLb1EES13_EEDaSY_SZ_EUlSY_E_NS1_11comp_targetILNS1_3genE3ELNS1_11target_archE908ELNS1_3gpuE7ELNS1_3repE0EEENS1_30default_config_static_selectorELNS0_4arch9wavefront6targetE1EEEvT1_.num_named_barrier, 0
	.set _ZN7rocprim17ROCPRIM_400000_NS6detail17trampoline_kernelINS0_14default_configENS1_29reduce_by_key_config_selectorIilN6thrust23THRUST_200600_302600_NS4plusIlEEEEZZNS1_33reduce_by_key_impl_wrapped_configILNS1_25lookback_scan_determinismE0ES3_S9_PiNS6_17constant_iteratorIiNS6_11use_defaultESE_EENS6_10device_ptrIiEENSG_IlEEPmS8_NS6_8equal_toIiEEEE10hipError_tPvRmT2_T3_mT4_T5_T6_T7_T8_P12ihipStream_tbENKUlT_T0_E_clISt17integral_constantIbLb1EES13_EEDaSY_SZ_EUlSY_E_NS1_11comp_targetILNS1_3genE3ELNS1_11target_archE908ELNS1_3gpuE7ELNS1_3repE0EEENS1_30default_config_static_selectorELNS0_4arch9wavefront6targetE1EEEvT1_.private_seg_size, 0
	.set _ZN7rocprim17ROCPRIM_400000_NS6detail17trampoline_kernelINS0_14default_configENS1_29reduce_by_key_config_selectorIilN6thrust23THRUST_200600_302600_NS4plusIlEEEEZZNS1_33reduce_by_key_impl_wrapped_configILNS1_25lookback_scan_determinismE0ES3_S9_PiNS6_17constant_iteratorIiNS6_11use_defaultESE_EENS6_10device_ptrIiEENSG_IlEEPmS8_NS6_8equal_toIiEEEE10hipError_tPvRmT2_T3_mT4_T5_T6_T7_T8_P12ihipStream_tbENKUlT_T0_E_clISt17integral_constantIbLb1EES13_EEDaSY_SZ_EUlSY_E_NS1_11comp_targetILNS1_3genE3ELNS1_11target_archE908ELNS1_3gpuE7ELNS1_3repE0EEENS1_30default_config_static_selectorELNS0_4arch9wavefront6targetE1EEEvT1_.uses_vcc, 0
	.set _ZN7rocprim17ROCPRIM_400000_NS6detail17trampoline_kernelINS0_14default_configENS1_29reduce_by_key_config_selectorIilN6thrust23THRUST_200600_302600_NS4plusIlEEEEZZNS1_33reduce_by_key_impl_wrapped_configILNS1_25lookback_scan_determinismE0ES3_S9_PiNS6_17constant_iteratorIiNS6_11use_defaultESE_EENS6_10device_ptrIiEENSG_IlEEPmS8_NS6_8equal_toIiEEEE10hipError_tPvRmT2_T3_mT4_T5_T6_T7_T8_P12ihipStream_tbENKUlT_T0_E_clISt17integral_constantIbLb1EES13_EEDaSY_SZ_EUlSY_E_NS1_11comp_targetILNS1_3genE3ELNS1_11target_archE908ELNS1_3gpuE7ELNS1_3repE0EEENS1_30default_config_static_selectorELNS0_4arch9wavefront6targetE1EEEvT1_.uses_flat_scratch, 0
	.set _ZN7rocprim17ROCPRIM_400000_NS6detail17trampoline_kernelINS0_14default_configENS1_29reduce_by_key_config_selectorIilN6thrust23THRUST_200600_302600_NS4plusIlEEEEZZNS1_33reduce_by_key_impl_wrapped_configILNS1_25lookback_scan_determinismE0ES3_S9_PiNS6_17constant_iteratorIiNS6_11use_defaultESE_EENS6_10device_ptrIiEENSG_IlEEPmS8_NS6_8equal_toIiEEEE10hipError_tPvRmT2_T3_mT4_T5_T6_T7_T8_P12ihipStream_tbENKUlT_T0_E_clISt17integral_constantIbLb1EES13_EEDaSY_SZ_EUlSY_E_NS1_11comp_targetILNS1_3genE3ELNS1_11target_archE908ELNS1_3gpuE7ELNS1_3repE0EEENS1_30default_config_static_selectorELNS0_4arch9wavefront6targetE1EEEvT1_.has_dyn_sized_stack, 0
	.set _ZN7rocprim17ROCPRIM_400000_NS6detail17trampoline_kernelINS0_14default_configENS1_29reduce_by_key_config_selectorIilN6thrust23THRUST_200600_302600_NS4plusIlEEEEZZNS1_33reduce_by_key_impl_wrapped_configILNS1_25lookback_scan_determinismE0ES3_S9_PiNS6_17constant_iteratorIiNS6_11use_defaultESE_EENS6_10device_ptrIiEENSG_IlEEPmS8_NS6_8equal_toIiEEEE10hipError_tPvRmT2_T3_mT4_T5_T6_T7_T8_P12ihipStream_tbENKUlT_T0_E_clISt17integral_constantIbLb1EES13_EEDaSY_SZ_EUlSY_E_NS1_11comp_targetILNS1_3genE3ELNS1_11target_archE908ELNS1_3gpuE7ELNS1_3repE0EEENS1_30default_config_static_selectorELNS0_4arch9wavefront6targetE1EEEvT1_.has_recursion, 0
	.set _ZN7rocprim17ROCPRIM_400000_NS6detail17trampoline_kernelINS0_14default_configENS1_29reduce_by_key_config_selectorIilN6thrust23THRUST_200600_302600_NS4plusIlEEEEZZNS1_33reduce_by_key_impl_wrapped_configILNS1_25lookback_scan_determinismE0ES3_S9_PiNS6_17constant_iteratorIiNS6_11use_defaultESE_EENS6_10device_ptrIiEENSG_IlEEPmS8_NS6_8equal_toIiEEEE10hipError_tPvRmT2_T3_mT4_T5_T6_T7_T8_P12ihipStream_tbENKUlT_T0_E_clISt17integral_constantIbLb1EES13_EEDaSY_SZ_EUlSY_E_NS1_11comp_targetILNS1_3genE3ELNS1_11target_archE908ELNS1_3gpuE7ELNS1_3repE0EEENS1_30default_config_static_selectorELNS0_4arch9wavefront6targetE1EEEvT1_.has_indirect_call, 0
	.section	.AMDGPU.csdata,"",@progbits
; Kernel info:
; codeLenInByte = 0
; TotalNumSgprs: 4
; NumVgprs: 0
; ScratchSize: 0
; MemoryBound: 0
; FloatMode: 240
; IeeeMode: 1
; LDSByteSize: 0 bytes/workgroup (compile time only)
; SGPRBlocks: 0
; VGPRBlocks: 0
; NumSGPRsForWavesPerEU: 4
; NumVGPRsForWavesPerEU: 1
; Occupancy: 10
; WaveLimiterHint : 0
; COMPUTE_PGM_RSRC2:SCRATCH_EN: 0
; COMPUTE_PGM_RSRC2:USER_SGPR: 6
; COMPUTE_PGM_RSRC2:TRAP_HANDLER: 0
; COMPUTE_PGM_RSRC2:TGID_X_EN: 1
; COMPUTE_PGM_RSRC2:TGID_Y_EN: 0
; COMPUTE_PGM_RSRC2:TGID_Z_EN: 0
; COMPUTE_PGM_RSRC2:TIDIG_COMP_CNT: 0
	.section	.text._ZN7rocprim17ROCPRIM_400000_NS6detail17trampoline_kernelINS0_14default_configENS1_29reduce_by_key_config_selectorIilN6thrust23THRUST_200600_302600_NS4plusIlEEEEZZNS1_33reduce_by_key_impl_wrapped_configILNS1_25lookback_scan_determinismE0ES3_S9_PiNS6_17constant_iteratorIiNS6_11use_defaultESE_EENS6_10device_ptrIiEENSG_IlEEPmS8_NS6_8equal_toIiEEEE10hipError_tPvRmT2_T3_mT4_T5_T6_T7_T8_P12ihipStream_tbENKUlT_T0_E_clISt17integral_constantIbLb1EES13_EEDaSY_SZ_EUlSY_E_NS1_11comp_targetILNS1_3genE2ELNS1_11target_archE906ELNS1_3gpuE6ELNS1_3repE0EEENS1_30default_config_static_selectorELNS0_4arch9wavefront6targetE1EEEvT1_,"axG",@progbits,_ZN7rocprim17ROCPRIM_400000_NS6detail17trampoline_kernelINS0_14default_configENS1_29reduce_by_key_config_selectorIilN6thrust23THRUST_200600_302600_NS4plusIlEEEEZZNS1_33reduce_by_key_impl_wrapped_configILNS1_25lookback_scan_determinismE0ES3_S9_PiNS6_17constant_iteratorIiNS6_11use_defaultESE_EENS6_10device_ptrIiEENSG_IlEEPmS8_NS6_8equal_toIiEEEE10hipError_tPvRmT2_T3_mT4_T5_T6_T7_T8_P12ihipStream_tbENKUlT_T0_E_clISt17integral_constantIbLb1EES13_EEDaSY_SZ_EUlSY_E_NS1_11comp_targetILNS1_3genE2ELNS1_11target_archE906ELNS1_3gpuE6ELNS1_3repE0EEENS1_30default_config_static_selectorELNS0_4arch9wavefront6targetE1EEEvT1_,comdat
	.protected	_ZN7rocprim17ROCPRIM_400000_NS6detail17trampoline_kernelINS0_14default_configENS1_29reduce_by_key_config_selectorIilN6thrust23THRUST_200600_302600_NS4plusIlEEEEZZNS1_33reduce_by_key_impl_wrapped_configILNS1_25lookback_scan_determinismE0ES3_S9_PiNS6_17constant_iteratorIiNS6_11use_defaultESE_EENS6_10device_ptrIiEENSG_IlEEPmS8_NS6_8equal_toIiEEEE10hipError_tPvRmT2_T3_mT4_T5_T6_T7_T8_P12ihipStream_tbENKUlT_T0_E_clISt17integral_constantIbLb1EES13_EEDaSY_SZ_EUlSY_E_NS1_11comp_targetILNS1_3genE2ELNS1_11target_archE906ELNS1_3gpuE6ELNS1_3repE0EEENS1_30default_config_static_selectorELNS0_4arch9wavefront6targetE1EEEvT1_ ; -- Begin function _ZN7rocprim17ROCPRIM_400000_NS6detail17trampoline_kernelINS0_14default_configENS1_29reduce_by_key_config_selectorIilN6thrust23THRUST_200600_302600_NS4plusIlEEEEZZNS1_33reduce_by_key_impl_wrapped_configILNS1_25lookback_scan_determinismE0ES3_S9_PiNS6_17constant_iteratorIiNS6_11use_defaultESE_EENS6_10device_ptrIiEENSG_IlEEPmS8_NS6_8equal_toIiEEEE10hipError_tPvRmT2_T3_mT4_T5_T6_T7_T8_P12ihipStream_tbENKUlT_T0_E_clISt17integral_constantIbLb1EES13_EEDaSY_SZ_EUlSY_E_NS1_11comp_targetILNS1_3genE2ELNS1_11target_archE906ELNS1_3gpuE6ELNS1_3repE0EEENS1_30default_config_static_selectorELNS0_4arch9wavefront6targetE1EEEvT1_
	.globl	_ZN7rocprim17ROCPRIM_400000_NS6detail17trampoline_kernelINS0_14default_configENS1_29reduce_by_key_config_selectorIilN6thrust23THRUST_200600_302600_NS4plusIlEEEEZZNS1_33reduce_by_key_impl_wrapped_configILNS1_25lookback_scan_determinismE0ES3_S9_PiNS6_17constant_iteratorIiNS6_11use_defaultESE_EENS6_10device_ptrIiEENSG_IlEEPmS8_NS6_8equal_toIiEEEE10hipError_tPvRmT2_T3_mT4_T5_T6_T7_T8_P12ihipStream_tbENKUlT_T0_E_clISt17integral_constantIbLb1EES13_EEDaSY_SZ_EUlSY_E_NS1_11comp_targetILNS1_3genE2ELNS1_11target_archE906ELNS1_3gpuE6ELNS1_3repE0EEENS1_30default_config_static_selectorELNS0_4arch9wavefront6targetE1EEEvT1_
	.p2align	8
	.type	_ZN7rocprim17ROCPRIM_400000_NS6detail17trampoline_kernelINS0_14default_configENS1_29reduce_by_key_config_selectorIilN6thrust23THRUST_200600_302600_NS4plusIlEEEEZZNS1_33reduce_by_key_impl_wrapped_configILNS1_25lookback_scan_determinismE0ES3_S9_PiNS6_17constant_iteratorIiNS6_11use_defaultESE_EENS6_10device_ptrIiEENSG_IlEEPmS8_NS6_8equal_toIiEEEE10hipError_tPvRmT2_T3_mT4_T5_T6_T7_T8_P12ihipStream_tbENKUlT_T0_E_clISt17integral_constantIbLb1EES13_EEDaSY_SZ_EUlSY_E_NS1_11comp_targetILNS1_3genE2ELNS1_11target_archE906ELNS1_3gpuE6ELNS1_3repE0EEENS1_30default_config_static_selectorELNS0_4arch9wavefront6targetE1EEEvT1_,@function
_ZN7rocprim17ROCPRIM_400000_NS6detail17trampoline_kernelINS0_14default_configENS1_29reduce_by_key_config_selectorIilN6thrust23THRUST_200600_302600_NS4plusIlEEEEZZNS1_33reduce_by_key_impl_wrapped_configILNS1_25lookback_scan_determinismE0ES3_S9_PiNS6_17constant_iteratorIiNS6_11use_defaultESE_EENS6_10device_ptrIiEENSG_IlEEPmS8_NS6_8equal_toIiEEEE10hipError_tPvRmT2_T3_mT4_T5_T6_T7_T8_P12ihipStream_tbENKUlT_T0_E_clISt17integral_constantIbLb1EES13_EEDaSY_SZ_EUlSY_E_NS1_11comp_targetILNS1_3genE2ELNS1_11target_archE906ELNS1_3gpuE6ELNS1_3repE0EEENS1_30default_config_static_selectorELNS0_4arch9wavefront6targetE1EEEvT1_: ; @_ZN7rocprim17ROCPRIM_400000_NS6detail17trampoline_kernelINS0_14default_configENS1_29reduce_by_key_config_selectorIilN6thrust23THRUST_200600_302600_NS4plusIlEEEEZZNS1_33reduce_by_key_impl_wrapped_configILNS1_25lookback_scan_determinismE0ES3_S9_PiNS6_17constant_iteratorIiNS6_11use_defaultESE_EENS6_10device_ptrIiEENSG_IlEEPmS8_NS6_8equal_toIiEEEE10hipError_tPvRmT2_T3_mT4_T5_T6_T7_T8_P12ihipStream_tbENKUlT_T0_E_clISt17integral_constantIbLb1EES13_EEDaSY_SZ_EUlSY_E_NS1_11comp_targetILNS1_3genE2ELNS1_11target_archE906ELNS1_3gpuE6ELNS1_3repE0EEENS1_30default_config_static_selectorELNS0_4arch9wavefront6targetE1EEEvT1_
; %bb.0:
	s_endpgm
	.section	.rodata,"a",@progbits
	.p2align	6, 0x0
	.amdhsa_kernel _ZN7rocprim17ROCPRIM_400000_NS6detail17trampoline_kernelINS0_14default_configENS1_29reduce_by_key_config_selectorIilN6thrust23THRUST_200600_302600_NS4plusIlEEEEZZNS1_33reduce_by_key_impl_wrapped_configILNS1_25lookback_scan_determinismE0ES3_S9_PiNS6_17constant_iteratorIiNS6_11use_defaultESE_EENS6_10device_ptrIiEENSG_IlEEPmS8_NS6_8equal_toIiEEEE10hipError_tPvRmT2_T3_mT4_T5_T6_T7_T8_P12ihipStream_tbENKUlT_T0_E_clISt17integral_constantIbLb1EES13_EEDaSY_SZ_EUlSY_E_NS1_11comp_targetILNS1_3genE2ELNS1_11target_archE906ELNS1_3gpuE6ELNS1_3repE0EEENS1_30default_config_static_selectorELNS0_4arch9wavefront6targetE1EEEvT1_
		.amdhsa_group_segment_fixed_size 0
		.amdhsa_private_segment_fixed_size 0
		.amdhsa_kernarg_size 144
		.amdhsa_user_sgpr_count 6
		.amdhsa_user_sgpr_private_segment_buffer 1
		.amdhsa_user_sgpr_dispatch_ptr 0
		.amdhsa_user_sgpr_queue_ptr 0
		.amdhsa_user_sgpr_kernarg_segment_ptr 1
		.amdhsa_user_sgpr_dispatch_id 0
		.amdhsa_user_sgpr_flat_scratch_init 0
		.amdhsa_user_sgpr_private_segment_size 0
		.amdhsa_uses_dynamic_stack 0
		.amdhsa_system_sgpr_private_segment_wavefront_offset 0
		.amdhsa_system_sgpr_workgroup_id_x 1
		.amdhsa_system_sgpr_workgroup_id_y 0
		.amdhsa_system_sgpr_workgroup_id_z 0
		.amdhsa_system_sgpr_workgroup_info 0
		.amdhsa_system_vgpr_workitem_id 0
		.amdhsa_next_free_vgpr 1
		.amdhsa_next_free_sgpr 0
		.amdhsa_reserve_vcc 0
		.amdhsa_reserve_flat_scratch 0
		.amdhsa_float_round_mode_32 0
		.amdhsa_float_round_mode_16_64 0
		.amdhsa_float_denorm_mode_32 3
		.amdhsa_float_denorm_mode_16_64 3
		.amdhsa_dx10_clamp 1
		.amdhsa_ieee_mode 1
		.amdhsa_fp16_overflow 0
		.amdhsa_exception_fp_ieee_invalid_op 0
		.amdhsa_exception_fp_denorm_src 0
		.amdhsa_exception_fp_ieee_div_zero 0
		.amdhsa_exception_fp_ieee_overflow 0
		.amdhsa_exception_fp_ieee_underflow 0
		.amdhsa_exception_fp_ieee_inexact 0
		.amdhsa_exception_int_div_zero 0
	.end_amdhsa_kernel
	.section	.text._ZN7rocprim17ROCPRIM_400000_NS6detail17trampoline_kernelINS0_14default_configENS1_29reduce_by_key_config_selectorIilN6thrust23THRUST_200600_302600_NS4plusIlEEEEZZNS1_33reduce_by_key_impl_wrapped_configILNS1_25lookback_scan_determinismE0ES3_S9_PiNS6_17constant_iteratorIiNS6_11use_defaultESE_EENS6_10device_ptrIiEENSG_IlEEPmS8_NS6_8equal_toIiEEEE10hipError_tPvRmT2_T3_mT4_T5_T6_T7_T8_P12ihipStream_tbENKUlT_T0_E_clISt17integral_constantIbLb1EES13_EEDaSY_SZ_EUlSY_E_NS1_11comp_targetILNS1_3genE2ELNS1_11target_archE906ELNS1_3gpuE6ELNS1_3repE0EEENS1_30default_config_static_selectorELNS0_4arch9wavefront6targetE1EEEvT1_,"axG",@progbits,_ZN7rocprim17ROCPRIM_400000_NS6detail17trampoline_kernelINS0_14default_configENS1_29reduce_by_key_config_selectorIilN6thrust23THRUST_200600_302600_NS4plusIlEEEEZZNS1_33reduce_by_key_impl_wrapped_configILNS1_25lookback_scan_determinismE0ES3_S9_PiNS6_17constant_iteratorIiNS6_11use_defaultESE_EENS6_10device_ptrIiEENSG_IlEEPmS8_NS6_8equal_toIiEEEE10hipError_tPvRmT2_T3_mT4_T5_T6_T7_T8_P12ihipStream_tbENKUlT_T0_E_clISt17integral_constantIbLb1EES13_EEDaSY_SZ_EUlSY_E_NS1_11comp_targetILNS1_3genE2ELNS1_11target_archE906ELNS1_3gpuE6ELNS1_3repE0EEENS1_30default_config_static_selectorELNS0_4arch9wavefront6targetE1EEEvT1_,comdat
.Lfunc_end951:
	.size	_ZN7rocprim17ROCPRIM_400000_NS6detail17trampoline_kernelINS0_14default_configENS1_29reduce_by_key_config_selectorIilN6thrust23THRUST_200600_302600_NS4plusIlEEEEZZNS1_33reduce_by_key_impl_wrapped_configILNS1_25lookback_scan_determinismE0ES3_S9_PiNS6_17constant_iteratorIiNS6_11use_defaultESE_EENS6_10device_ptrIiEENSG_IlEEPmS8_NS6_8equal_toIiEEEE10hipError_tPvRmT2_T3_mT4_T5_T6_T7_T8_P12ihipStream_tbENKUlT_T0_E_clISt17integral_constantIbLb1EES13_EEDaSY_SZ_EUlSY_E_NS1_11comp_targetILNS1_3genE2ELNS1_11target_archE906ELNS1_3gpuE6ELNS1_3repE0EEENS1_30default_config_static_selectorELNS0_4arch9wavefront6targetE1EEEvT1_, .Lfunc_end951-_ZN7rocprim17ROCPRIM_400000_NS6detail17trampoline_kernelINS0_14default_configENS1_29reduce_by_key_config_selectorIilN6thrust23THRUST_200600_302600_NS4plusIlEEEEZZNS1_33reduce_by_key_impl_wrapped_configILNS1_25lookback_scan_determinismE0ES3_S9_PiNS6_17constant_iteratorIiNS6_11use_defaultESE_EENS6_10device_ptrIiEENSG_IlEEPmS8_NS6_8equal_toIiEEEE10hipError_tPvRmT2_T3_mT4_T5_T6_T7_T8_P12ihipStream_tbENKUlT_T0_E_clISt17integral_constantIbLb1EES13_EEDaSY_SZ_EUlSY_E_NS1_11comp_targetILNS1_3genE2ELNS1_11target_archE906ELNS1_3gpuE6ELNS1_3repE0EEENS1_30default_config_static_selectorELNS0_4arch9wavefront6targetE1EEEvT1_
                                        ; -- End function
	.set _ZN7rocprim17ROCPRIM_400000_NS6detail17trampoline_kernelINS0_14default_configENS1_29reduce_by_key_config_selectorIilN6thrust23THRUST_200600_302600_NS4plusIlEEEEZZNS1_33reduce_by_key_impl_wrapped_configILNS1_25lookback_scan_determinismE0ES3_S9_PiNS6_17constant_iteratorIiNS6_11use_defaultESE_EENS6_10device_ptrIiEENSG_IlEEPmS8_NS6_8equal_toIiEEEE10hipError_tPvRmT2_T3_mT4_T5_T6_T7_T8_P12ihipStream_tbENKUlT_T0_E_clISt17integral_constantIbLb1EES13_EEDaSY_SZ_EUlSY_E_NS1_11comp_targetILNS1_3genE2ELNS1_11target_archE906ELNS1_3gpuE6ELNS1_3repE0EEENS1_30default_config_static_selectorELNS0_4arch9wavefront6targetE1EEEvT1_.num_vgpr, 0
	.set _ZN7rocprim17ROCPRIM_400000_NS6detail17trampoline_kernelINS0_14default_configENS1_29reduce_by_key_config_selectorIilN6thrust23THRUST_200600_302600_NS4plusIlEEEEZZNS1_33reduce_by_key_impl_wrapped_configILNS1_25lookback_scan_determinismE0ES3_S9_PiNS6_17constant_iteratorIiNS6_11use_defaultESE_EENS6_10device_ptrIiEENSG_IlEEPmS8_NS6_8equal_toIiEEEE10hipError_tPvRmT2_T3_mT4_T5_T6_T7_T8_P12ihipStream_tbENKUlT_T0_E_clISt17integral_constantIbLb1EES13_EEDaSY_SZ_EUlSY_E_NS1_11comp_targetILNS1_3genE2ELNS1_11target_archE906ELNS1_3gpuE6ELNS1_3repE0EEENS1_30default_config_static_selectorELNS0_4arch9wavefront6targetE1EEEvT1_.num_agpr, 0
	.set _ZN7rocprim17ROCPRIM_400000_NS6detail17trampoline_kernelINS0_14default_configENS1_29reduce_by_key_config_selectorIilN6thrust23THRUST_200600_302600_NS4plusIlEEEEZZNS1_33reduce_by_key_impl_wrapped_configILNS1_25lookback_scan_determinismE0ES3_S9_PiNS6_17constant_iteratorIiNS6_11use_defaultESE_EENS6_10device_ptrIiEENSG_IlEEPmS8_NS6_8equal_toIiEEEE10hipError_tPvRmT2_T3_mT4_T5_T6_T7_T8_P12ihipStream_tbENKUlT_T0_E_clISt17integral_constantIbLb1EES13_EEDaSY_SZ_EUlSY_E_NS1_11comp_targetILNS1_3genE2ELNS1_11target_archE906ELNS1_3gpuE6ELNS1_3repE0EEENS1_30default_config_static_selectorELNS0_4arch9wavefront6targetE1EEEvT1_.numbered_sgpr, 0
	.set _ZN7rocprim17ROCPRIM_400000_NS6detail17trampoline_kernelINS0_14default_configENS1_29reduce_by_key_config_selectorIilN6thrust23THRUST_200600_302600_NS4plusIlEEEEZZNS1_33reduce_by_key_impl_wrapped_configILNS1_25lookback_scan_determinismE0ES3_S9_PiNS6_17constant_iteratorIiNS6_11use_defaultESE_EENS6_10device_ptrIiEENSG_IlEEPmS8_NS6_8equal_toIiEEEE10hipError_tPvRmT2_T3_mT4_T5_T6_T7_T8_P12ihipStream_tbENKUlT_T0_E_clISt17integral_constantIbLb1EES13_EEDaSY_SZ_EUlSY_E_NS1_11comp_targetILNS1_3genE2ELNS1_11target_archE906ELNS1_3gpuE6ELNS1_3repE0EEENS1_30default_config_static_selectorELNS0_4arch9wavefront6targetE1EEEvT1_.num_named_barrier, 0
	.set _ZN7rocprim17ROCPRIM_400000_NS6detail17trampoline_kernelINS0_14default_configENS1_29reduce_by_key_config_selectorIilN6thrust23THRUST_200600_302600_NS4plusIlEEEEZZNS1_33reduce_by_key_impl_wrapped_configILNS1_25lookback_scan_determinismE0ES3_S9_PiNS6_17constant_iteratorIiNS6_11use_defaultESE_EENS6_10device_ptrIiEENSG_IlEEPmS8_NS6_8equal_toIiEEEE10hipError_tPvRmT2_T3_mT4_T5_T6_T7_T8_P12ihipStream_tbENKUlT_T0_E_clISt17integral_constantIbLb1EES13_EEDaSY_SZ_EUlSY_E_NS1_11comp_targetILNS1_3genE2ELNS1_11target_archE906ELNS1_3gpuE6ELNS1_3repE0EEENS1_30default_config_static_selectorELNS0_4arch9wavefront6targetE1EEEvT1_.private_seg_size, 0
	.set _ZN7rocprim17ROCPRIM_400000_NS6detail17trampoline_kernelINS0_14default_configENS1_29reduce_by_key_config_selectorIilN6thrust23THRUST_200600_302600_NS4plusIlEEEEZZNS1_33reduce_by_key_impl_wrapped_configILNS1_25lookback_scan_determinismE0ES3_S9_PiNS6_17constant_iteratorIiNS6_11use_defaultESE_EENS6_10device_ptrIiEENSG_IlEEPmS8_NS6_8equal_toIiEEEE10hipError_tPvRmT2_T3_mT4_T5_T6_T7_T8_P12ihipStream_tbENKUlT_T0_E_clISt17integral_constantIbLb1EES13_EEDaSY_SZ_EUlSY_E_NS1_11comp_targetILNS1_3genE2ELNS1_11target_archE906ELNS1_3gpuE6ELNS1_3repE0EEENS1_30default_config_static_selectorELNS0_4arch9wavefront6targetE1EEEvT1_.uses_vcc, 0
	.set _ZN7rocprim17ROCPRIM_400000_NS6detail17trampoline_kernelINS0_14default_configENS1_29reduce_by_key_config_selectorIilN6thrust23THRUST_200600_302600_NS4plusIlEEEEZZNS1_33reduce_by_key_impl_wrapped_configILNS1_25lookback_scan_determinismE0ES3_S9_PiNS6_17constant_iteratorIiNS6_11use_defaultESE_EENS6_10device_ptrIiEENSG_IlEEPmS8_NS6_8equal_toIiEEEE10hipError_tPvRmT2_T3_mT4_T5_T6_T7_T8_P12ihipStream_tbENKUlT_T0_E_clISt17integral_constantIbLb1EES13_EEDaSY_SZ_EUlSY_E_NS1_11comp_targetILNS1_3genE2ELNS1_11target_archE906ELNS1_3gpuE6ELNS1_3repE0EEENS1_30default_config_static_selectorELNS0_4arch9wavefront6targetE1EEEvT1_.uses_flat_scratch, 0
	.set _ZN7rocprim17ROCPRIM_400000_NS6detail17trampoline_kernelINS0_14default_configENS1_29reduce_by_key_config_selectorIilN6thrust23THRUST_200600_302600_NS4plusIlEEEEZZNS1_33reduce_by_key_impl_wrapped_configILNS1_25lookback_scan_determinismE0ES3_S9_PiNS6_17constant_iteratorIiNS6_11use_defaultESE_EENS6_10device_ptrIiEENSG_IlEEPmS8_NS6_8equal_toIiEEEE10hipError_tPvRmT2_T3_mT4_T5_T6_T7_T8_P12ihipStream_tbENKUlT_T0_E_clISt17integral_constantIbLb1EES13_EEDaSY_SZ_EUlSY_E_NS1_11comp_targetILNS1_3genE2ELNS1_11target_archE906ELNS1_3gpuE6ELNS1_3repE0EEENS1_30default_config_static_selectorELNS0_4arch9wavefront6targetE1EEEvT1_.has_dyn_sized_stack, 0
	.set _ZN7rocprim17ROCPRIM_400000_NS6detail17trampoline_kernelINS0_14default_configENS1_29reduce_by_key_config_selectorIilN6thrust23THRUST_200600_302600_NS4plusIlEEEEZZNS1_33reduce_by_key_impl_wrapped_configILNS1_25lookback_scan_determinismE0ES3_S9_PiNS6_17constant_iteratorIiNS6_11use_defaultESE_EENS6_10device_ptrIiEENSG_IlEEPmS8_NS6_8equal_toIiEEEE10hipError_tPvRmT2_T3_mT4_T5_T6_T7_T8_P12ihipStream_tbENKUlT_T0_E_clISt17integral_constantIbLb1EES13_EEDaSY_SZ_EUlSY_E_NS1_11comp_targetILNS1_3genE2ELNS1_11target_archE906ELNS1_3gpuE6ELNS1_3repE0EEENS1_30default_config_static_selectorELNS0_4arch9wavefront6targetE1EEEvT1_.has_recursion, 0
	.set _ZN7rocprim17ROCPRIM_400000_NS6detail17trampoline_kernelINS0_14default_configENS1_29reduce_by_key_config_selectorIilN6thrust23THRUST_200600_302600_NS4plusIlEEEEZZNS1_33reduce_by_key_impl_wrapped_configILNS1_25lookback_scan_determinismE0ES3_S9_PiNS6_17constant_iteratorIiNS6_11use_defaultESE_EENS6_10device_ptrIiEENSG_IlEEPmS8_NS6_8equal_toIiEEEE10hipError_tPvRmT2_T3_mT4_T5_T6_T7_T8_P12ihipStream_tbENKUlT_T0_E_clISt17integral_constantIbLb1EES13_EEDaSY_SZ_EUlSY_E_NS1_11comp_targetILNS1_3genE2ELNS1_11target_archE906ELNS1_3gpuE6ELNS1_3repE0EEENS1_30default_config_static_selectorELNS0_4arch9wavefront6targetE1EEEvT1_.has_indirect_call, 0
	.section	.AMDGPU.csdata,"",@progbits
; Kernel info:
; codeLenInByte = 4
; TotalNumSgprs: 4
; NumVgprs: 0
; ScratchSize: 0
; MemoryBound: 0
; FloatMode: 240
; IeeeMode: 1
; LDSByteSize: 0 bytes/workgroup (compile time only)
; SGPRBlocks: 0
; VGPRBlocks: 0
; NumSGPRsForWavesPerEU: 4
; NumVGPRsForWavesPerEU: 1
; Occupancy: 10
; WaveLimiterHint : 0
; COMPUTE_PGM_RSRC2:SCRATCH_EN: 0
; COMPUTE_PGM_RSRC2:USER_SGPR: 6
; COMPUTE_PGM_RSRC2:TRAP_HANDLER: 0
; COMPUTE_PGM_RSRC2:TGID_X_EN: 1
; COMPUTE_PGM_RSRC2:TGID_Y_EN: 0
; COMPUTE_PGM_RSRC2:TGID_Z_EN: 0
; COMPUTE_PGM_RSRC2:TIDIG_COMP_CNT: 0
	.section	.text._ZN7rocprim17ROCPRIM_400000_NS6detail17trampoline_kernelINS0_14default_configENS1_29reduce_by_key_config_selectorIilN6thrust23THRUST_200600_302600_NS4plusIlEEEEZZNS1_33reduce_by_key_impl_wrapped_configILNS1_25lookback_scan_determinismE0ES3_S9_PiNS6_17constant_iteratorIiNS6_11use_defaultESE_EENS6_10device_ptrIiEENSG_IlEEPmS8_NS6_8equal_toIiEEEE10hipError_tPvRmT2_T3_mT4_T5_T6_T7_T8_P12ihipStream_tbENKUlT_T0_E_clISt17integral_constantIbLb1EES13_EEDaSY_SZ_EUlSY_E_NS1_11comp_targetILNS1_3genE10ELNS1_11target_archE1201ELNS1_3gpuE5ELNS1_3repE0EEENS1_30default_config_static_selectorELNS0_4arch9wavefront6targetE1EEEvT1_,"axG",@progbits,_ZN7rocprim17ROCPRIM_400000_NS6detail17trampoline_kernelINS0_14default_configENS1_29reduce_by_key_config_selectorIilN6thrust23THRUST_200600_302600_NS4plusIlEEEEZZNS1_33reduce_by_key_impl_wrapped_configILNS1_25lookback_scan_determinismE0ES3_S9_PiNS6_17constant_iteratorIiNS6_11use_defaultESE_EENS6_10device_ptrIiEENSG_IlEEPmS8_NS6_8equal_toIiEEEE10hipError_tPvRmT2_T3_mT4_T5_T6_T7_T8_P12ihipStream_tbENKUlT_T0_E_clISt17integral_constantIbLb1EES13_EEDaSY_SZ_EUlSY_E_NS1_11comp_targetILNS1_3genE10ELNS1_11target_archE1201ELNS1_3gpuE5ELNS1_3repE0EEENS1_30default_config_static_selectorELNS0_4arch9wavefront6targetE1EEEvT1_,comdat
	.protected	_ZN7rocprim17ROCPRIM_400000_NS6detail17trampoline_kernelINS0_14default_configENS1_29reduce_by_key_config_selectorIilN6thrust23THRUST_200600_302600_NS4plusIlEEEEZZNS1_33reduce_by_key_impl_wrapped_configILNS1_25lookback_scan_determinismE0ES3_S9_PiNS6_17constant_iteratorIiNS6_11use_defaultESE_EENS6_10device_ptrIiEENSG_IlEEPmS8_NS6_8equal_toIiEEEE10hipError_tPvRmT2_T3_mT4_T5_T6_T7_T8_P12ihipStream_tbENKUlT_T0_E_clISt17integral_constantIbLb1EES13_EEDaSY_SZ_EUlSY_E_NS1_11comp_targetILNS1_3genE10ELNS1_11target_archE1201ELNS1_3gpuE5ELNS1_3repE0EEENS1_30default_config_static_selectorELNS0_4arch9wavefront6targetE1EEEvT1_ ; -- Begin function _ZN7rocprim17ROCPRIM_400000_NS6detail17trampoline_kernelINS0_14default_configENS1_29reduce_by_key_config_selectorIilN6thrust23THRUST_200600_302600_NS4plusIlEEEEZZNS1_33reduce_by_key_impl_wrapped_configILNS1_25lookback_scan_determinismE0ES3_S9_PiNS6_17constant_iteratorIiNS6_11use_defaultESE_EENS6_10device_ptrIiEENSG_IlEEPmS8_NS6_8equal_toIiEEEE10hipError_tPvRmT2_T3_mT4_T5_T6_T7_T8_P12ihipStream_tbENKUlT_T0_E_clISt17integral_constantIbLb1EES13_EEDaSY_SZ_EUlSY_E_NS1_11comp_targetILNS1_3genE10ELNS1_11target_archE1201ELNS1_3gpuE5ELNS1_3repE0EEENS1_30default_config_static_selectorELNS0_4arch9wavefront6targetE1EEEvT1_
	.globl	_ZN7rocprim17ROCPRIM_400000_NS6detail17trampoline_kernelINS0_14default_configENS1_29reduce_by_key_config_selectorIilN6thrust23THRUST_200600_302600_NS4plusIlEEEEZZNS1_33reduce_by_key_impl_wrapped_configILNS1_25lookback_scan_determinismE0ES3_S9_PiNS6_17constant_iteratorIiNS6_11use_defaultESE_EENS6_10device_ptrIiEENSG_IlEEPmS8_NS6_8equal_toIiEEEE10hipError_tPvRmT2_T3_mT4_T5_T6_T7_T8_P12ihipStream_tbENKUlT_T0_E_clISt17integral_constantIbLb1EES13_EEDaSY_SZ_EUlSY_E_NS1_11comp_targetILNS1_3genE10ELNS1_11target_archE1201ELNS1_3gpuE5ELNS1_3repE0EEENS1_30default_config_static_selectorELNS0_4arch9wavefront6targetE1EEEvT1_
	.p2align	8
	.type	_ZN7rocprim17ROCPRIM_400000_NS6detail17trampoline_kernelINS0_14default_configENS1_29reduce_by_key_config_selectorIilN6thrust23THRUST_200600_302600_NS4plusIlEEEEZZNS1_33reduce_by_key_impl_wrapped_configILNS1_25lookback_scan_determinismE0ES3_S9_PiNS6_17constant_iteratorIiNS6_11use_defaultESE_EENS6_10device_ptrIiEENSG_IlEEPmS8_NS6_8equal_toIiEEEE10hipError_tPvRmT2_T3_mT4_T5_T6_T7_T8_P12ihipStream_tbENKUlT_T0_E_clISt17integral_constantIbLb1EES13_EEDaSY_SZ_EUlSY_E_NS1_11comp_targetILNS1_3genE10ELNS1_11target_archE1201ELNS1_3gpuE5ELNS1_3repE0EEENS1_30default_config_static_selectorELNS0_4arch9wavefront6targetE1EEEvT1_,@function
_ZN7rocprim17ROCPRIM_400000_NS6detail17trampoline_kernelINS0_14default_configENS1_29reduce_by_key_config_selectorIilN6thrust23THRUST_200600_302600_NS4plusIlEEEEZZNS1_33reduce_by_key_impl_wrapped_configILNS1_25lookback_scan_determinismE0ES3_S9_PiNS6_17constant_iteratorIiNS6_11use_defaultESE_EENS6_10device_ptrIiEENSG_IlEEPmS8_NS6_8equal_toIiEEEE10hipError_tPvRmT2_T3_mT4_T5_T6_T7_T8_P12ihipStream_tbENKUlT_T0_E_clISt17integral_constantIbLb1EES13_EEDaSY_SZ_EUlSY_E_NS1_11comp_targetILNS1_3genE10ELNS1_11target_archE1201ELNS1_3gpuE5ELNS1_3repE0EEENS1_30default_config_static_selectorELNS0_4arch9wavefront6targetE1EEEvT1_: ; @_ZN7rocprim17ROCPRIM_400000_NS6detail17trampoline_kernelINS0_14default_configENS1_29reduce_by_key_config_selectorIilN6thrust23THRUST_200600_302600_NS4plusIlEEEEZZNS1_33reduce_by_key_impl_wrapped_configILNS1_25lookback_scan_determinismE0ES3_S9_PiNS6_17constant_iteratorIiNS6_11use_defaultESE_EENS6_10device_ptrIiEENSG_IlEEPmS8_NS6_8equal_toIiEEEE10hipError_tPvRmT2_T3_mT4_T5_T6_T7_T8_P12ihipStream_tbENKUlT_T0_E_clISt17integral_constantIbLb1EES13_EEDaSY_SZ_EUlSY_E_NS1_11comp_targetILNS1_3genE10ELNS1_11target_archE1201ELNS1_3gpuE5ELNS1_3repE0EEENS1_30default_config_static_selectorELNS0_4arch9wavefront6targetE1EEEvT1_
; %bb.0:
	.section	.rodata,"a",@progbits
	.p2align	6, 0x0
	.amdhsa_kernel _ZN7rocprim17ROCPRIM_400000_NS6detail17trampoline_kernelINS0_14default_configENS1_29reduce_by_key_config_selectorIilN6thrust23THRUST_200600_302600_NS4plusIlEEEEZZNS1_33reduce_by_key_impl_wrapped_configILNS1_25lookback_scan_determinismE0ES3_S9_PiNS6_17constant_iteratorIiNS6_11use_defaultESE_EENS6_10device_ptrIiEENSG_IlEEPmS8_NS6_8equal_toIiEEEE10hipError_tPvRmT2_T3_mT4_T5_T6_T7_T8_P12ihipStream_tbENKUlT_T0_E_clISt17integral_constantIbLb1EES13_EEDaSY_SZ_EUlSY_E_NS1_11comp_targetILNS1_3genE10ELNS1_11target_archE1201ELNS1_3gpuE5ELNS1_3repE0EEENS1_30default_config_static_selectorELNS0_4arch9wavefront6targetE1EEEvT1_
		.amdhsa_group_segment_fixed_size 0
		.amdhsa_private_segment_fixed_size 0
		.amdhsa_kernarg_size 144
		.amdhsa_user_sgpr_count 6
		.amdhsa_user_sgpr_private_segment_buffer 1
		.amdhsa_user_sgpr_dispatch_ptr 0
		.amdhsa_user_sgpr_queue_ptr 0
		.amdhsa_user_sgpr_kernarg_segment_ptr 1
		.amdhsa_user_sgpr_dispatch_id 0
		.amdhsa_user_sgpr_flat_scratch_init 0
		.amdhsa_user_sgpr_private_segment_size 0
		.amdhsa_uses_dynamic_stack 0
		.amdhsa_system_sgpr_private_segment_wavefront_offset 0
		.amdhsa_system_sgpr_workgroup_id_x 1
		.amdhsa_system_sgpr_workgroup_id_y 0
		.amdhsa_system_sgpr_workgroup_id_z 0
		.amdhsa_system_sgpr_workgroup_info 0
		.amdhsa_system_vgpr_workitem_id 0
		.amdhsa_next_free_vgpr 1
		.amdhsa_next_free_sgpr 0
		.amdhsa_reserve_vcc 0
		.amdhsa_reserve_flat_scratch 0
		.amdhsa_float_round_mode_32 0
		.amdhsa_float_round_mode_16_64 0
		.amdhsa_float_denorm_mode_32 3
		.amdhsa_float_denorm_mode_16_64 3
		.amdhsa_dx10_clamp 1
		.amdhsa_ieee_mode 1
		.amdhsa_fp16_overflow 0
		.amdhsa_exception_fp_ieee_invalid_op 0
		.amdhsa_exception_fp_denorm_src 0
		.amdhsa_exception_fp_ieee_div_zero 0
		.amdhsa_exception_fp_ieee_overflow 0
		.amdhsa_exception_fp_ieee_underflow 0
		.amdhsa_exception_fp_ieee_inexact 0
		.amdhsa_exception_int_div_zero 0
	.end_amdhsa_kernel
	.section	.text._ZN7rocprim17ROCPRIM_400000_NS6detail17trampoline_kernelINS0_14default_configENS1_29reduce_by_key_config_selectorIilN6thrust23THRUST_200600_302600_NS4plusIlEEEEZZNS1_33reduce_by_key_impl_wrapped_configILNS1_25lookback_scan_determinismE0ES3_S9_PiNS6_17constant_iteratorIiNS6_11use_defaultESE_EENS6_10device_ptrIiEENSG_IlEEPmS8_NS6_8equal_toIiEEEE10hipError_tPvRmT2_T3_mT4_T5_T6_T7_T8_P12ihipStream_tbENKUlT_T0_E_clISt17integral_constantIbLb1EES13_EEDaSY_SZ_EUlSY_E_NS1_11comp_targetILNS1_3genE10ELNS1_11target_archE1201ELNS1_3gpuE5ELNS1_3repE0EEENS1_30default_config_static_selectorELNS0_4arch9wavefront6targetE1EEEvT1_,"axG",@progbits,_ZN7rocprim17ROCPRIM_400000_NS6detail17trampoline_kernelINS0_14default_configENS1_29reduce_by_key_config_selectorIilN6thrust23THRUST_200600_302600_NS4plusIlEEEEZZNS1_33reduce_by_key_impl_wrapped_configILNS1_25lookback_scan_determinismE0ES3_S9_PiNS6_17constant_iteratorIiNS6_11use_defaultESE_EENS6_10device_ptrIiEENSG_IlEEPmS8_NS6_8equal_toIiEEEE10hipError_tPvRmT2_T3_mT4_T5_T6_T7_T8_P12ihipStream_tbENKUlT_T0_E_clISt17integral_constantIbLb1EES13_EEDaSY_SZ_EUlSY_E_NS1_11comp_targetILNS1_3genE10ELNS1_11target_archE1201ELNS1_3gpuE5ELNS1_3repE0EEENS1_30default_config_static_selectorELNS0_4arch9wavefront6targetE1EEEvT1_,comdat
.Lfunc_end952:
	.size	_ZN7rocprim17ROCPRIM_400000_NS6detail17trampoline_kernelINS0_14default_configENS1_29reduce_by_key_config_selectorIilN6thrust23THRUST_200600_302600_NS4plusIlEEEEZZNS1_33reduce_by_key_impl_wrapped_configILNS1_25lookback_scan_determinismE0ES3_S9_PiNS6_17constant_iteratorIiNS6_11use_defaultESE_EENS6_10device_ptrIiEENSG_IlEEPmS8_NS6_8equal_toIiEEEE10hipError_tPvRmT2_T3_mT4_T5_T6_T7_T8_P12ihipStream_tbENKUlT_T0_E_clISt17integral_constantIbLb1EES13_EEDaSY_SZ_EUlSY_E_NS1_11comp_targetILNS1_3genE10ELNS1_11target_archE1201ELNS1_3gpuE5ELNS1_3repE0EEENS1_30default_config_static_selectorELNS0_4arch9wavefront6targetE1EEEvT1_, .Lfunc_end952-_ZN7rocprim17ROCPRIM_400000_NS6detail17trampoline_kernelINS0_14default_configENS1_29reduce_by_key_config_selectorIilN6thrust23THRUST_200600_302600_NS4plusIlEEEEZZNS1_33reduce_by_key_impl_wrapped_configILNS1_25lookback_scan_determinismE0ES3_S9_PiNS6_17constant_iteratorIiNS6_11use_defaultESE_EENS6_10device_ptrIiEENSG_IlEEPmS8_NS6_8equal_toIiEEEE10hipError_tPvRmT2_T3_mT4_T5_T6_T7_T8_P12ihipStream_tbENKUlT_T0_E_clISt17integral_constantIbLb1EES13_EEDaSY_SZ_EUlSY_E_NS1_11comp_targetILNS1_3genE10ELNS1_11target_archE1201ELNS1_3gpuE5ELNS1_3repE0EEENS1_30default_config_static_selectorELNS0_4arch9wavefront6targetE1EEEvT1_
                                        ; -- End function
	.set _ZN7rocprim17ROCPRIM_400000_NS6detail17trampoline_kernelINS0_14default_configENS1_29reduce_by_key_config_selectorIilN6thrust23THRUST_200600_302600_NS4plusIlEEEEZZNS1_33reduce_by_key_impl_wrapped_configILNS1_25lookback_scan_determinismE0ES3_S9_PiNS6_17constant_iteratorIiNS6_11use_defaultESE_EENS6_10device_ptrIiEENSG_IlEEPmS8_NS6_8equal_toIiEEEE10hipError_tPvRmT2_T3_mT4_T5_T6_T7_T8_P12ihipStream_tbENKUlT_T0_E_clISt17integral_constantIbLb1EES13_EEDaSY_SZ_EUlSY_E_NS1_11comp_targetILNS1_3genE10ELNS1_11target_archE1201ELNS1_3gpuE5ELNS1_3repE0EEENS1_30default_config_static_selectorELNS0_4arch9wavefront6targetE1EEEvT1_.num_vgpr, 0
	.set _ZN7rocprim17ROCPRIM_400000_NS6detail17trampoline_kernelINS0_14default_configENS1_29reduce_by_key_config_selectorIilN6thrust23THRUST_200600_302600_NS4plusIlEEEEZZNS1_33reduce_by_key_impl_wrapped_configILNS1_25lookback_scan_determinismE0ES3_S9_PiNS6_17constant_iteratorIiNS6_11use_defaultESE_EENS6_10device_ptrIiEENSG_IlEEPmS8_NS6_8equal_toIiEEEE10hipError_tPvRmT2_T3_mT4_T5_T6_T7_T8_P12ihipStream_tbENKUlT_T0_E_clISt17integral_constantIbLb1EES13_EEDaSY_SZ_EUlSY_E_NS1_11comp_targetILNS1_3genE10ELNS1_11target_archE1201ELNS1_3gpuE5ELNS1_3repE0EEENS1_30default_config_static_selectorELNS0_4arch9wavefront6targetE1EEEvT1_.num_agpr, 0
	.set _ZN7rocprim17ROCPRIM_400000_NS6detail17trampoline_kernelINS0_14default_configENS1_29reduce_by_key_config_selectorIilN6thrust23THRUST_200600_302600_NS4plusIlEEEEZZNS1_33reduce_by_key_impl_wrapped_configILNS1_25lookback_scan_determinismE0ES3_S9_PiNS6_17constant_iteratorIiNS6_11use_defaultESE_EENS6_10device_ptrIiEENSG_IlEEPmS8_NS6_8equal_toIiEEEE10hipError_tPvRmT2_T3_mT4_T5_T6_T7_T8_P12ihipStream_tbENKUlT_T0_E_clISt17integral_constantIbLb1EES13_EEDaSY_SZ_EUlSY_E_NS1_11comp_targetILNS1_3genE10ELNS1_11target_archE1201ELNS1_3gpuE5ELNS1_3repE0EEENS1_30default_config_static_selectorELNS0_4arch9wavefront6targetE1EEEvT1_.numbered_sgpr, 0
	.set _ZN7rocprim17ROCPRIM_400000_NS6detail17trampoline_kernelINS0_14default_configENS1_29reduce_by_key_config_selectorIilN6thrust23THRUST_200600_302600_NS4plusIlEEEEZZNS1_33reduce_by_key_impl_wrapped_configILNS1_25lookback_scan_determinismE0ES3_S9_PiNS6_17constant_iteratorIiNS6_11use_defaultESE_EENS6_10device_ptrIiEENSG_IlEEPmS8_NS6_8equal_toIiEEEE10hipError_tPvRmT2_T3_mT4_T5_T6_T7_T8_P12ihipStream_tbENKUlT_T0_E_clISt17integral_constantIbLb1EES13_EEDaSY_SZ_EUlSY_E_NS1_11comp_targetILNS1_3genE10ELNS1_11target_archE1201ELNS1_3gpuE5ELNS1_3repE0EEENS1_30default_config_static_selectorELNS0_4arch9wavefront6targetE1EEEvT1_.num_named_barrier, 0
	.set _ZN7rocprim17ROCPRIM_400000_NS6detail17trampoline_kernelINS0_14default_configENS1_29reduce_by_key_config_selectorIilN6thrust23THRUST_200600_302600_NS4plusIlEEEEZZNS1_33reduce_by_key_impl_wrapped_configILNS1_25lookback_scan_determinismE0ES3_S9_PiNS6_17constant_iteratorIiNS6_11use_defaultESE_EENS6_10device_ptrIiEENSG_IlEEPmS8_NS6_8equal_toIiEEEE10hipError_tPvRmT2_T3_mT4_T5_T6_T7_T8_P12ihipStream_tbENKUlT_T0_E_clISt17integral_constantIbLb1EES13_EEDaSY_SZ_EUlSY_E_NS1_11comp_targetILNS1_3genE10ELNS1_11target_archE1201ELNS1_3gpuE5ELNS1_3repE0EEENS1_30default_config_static_selectorELNS0_4arch9wavefront6targetE1EEEvT1_.private_seg_size, 0
	.set _ZN7rocprim17ROCPRIM_400000_NS6detail17trampoline_kernelINS0_14default_configENS1_29reduce_by_key_config_selectorIilN6thrust23THRUST_200600_302600_NS4plusIlEEEEZZNS1_33reduce_by_key_impl_wrapped_configILNS1_25lookback_scan_determinismE0ES3_S9_PiNS6_17constant_iteratorIiNS6_11use_defaultESE_EENS6_10device_ptrIiEENSG_IlEEPmS8_NS6_8equal_toIiEEEE10hipError_tPvRmT2_T3_mT4_T5_T6_T7_T8_P12ihipStream_tbENKUlT_T0_E_clISt17integral_constantIbLb1EES13_EEDaSY_SZ_EUlSY_E_NS1_11comp_targetILNS1_3genE10ELNS1_11target_archE1201ELNS1_3gpuE5ELNS1_3repE0EEENS1_30default_config_static_selectorELNS0_4arch9wavefront6targetE1EEEvT1_.uses_vcc, 0
	.set _ZN7rocprim17ROCPRIM_400000_NS6detail17trampoline_kernelINS0_14default_configENS1_29reduce_by_key_config_selectorIilN6thrust23THRUST_200600_302600_NS4plusIlEEEEZZNS1_33reduce_by_key_impl_wrapped_configILNS1_25lookback_scan_determinismE0ES3_S9_PiNS6_17constant_iteratorIiNS6_11use_defaultESE_EENS6_10device_ptrIiEENSG_IlEEPmS8_NS6_8equal_toIiEEEE10hipError_tPvRmT2_T3_mT4_T5_T6_T7_T8_P12ihipStream_tbENKUlT_T0_E_clISt17integral_constantIbLb1EES13_EEDaSY_SZ_EUlSY_E_NS1_11comp_targetILNS1_3genE10ELNS1_11target_archE1201ELNS1_3gpuE5ELNS1_3repE0EEENS1_30default_config_static_selectorELNS0_4arch9wavefront6targetE1EEEvT1_.uses_flat_scratch, 0
	.set _ZN7rocprim17ROCPRIM_400000_NS6detail17trampoline_kernelINS0_14default_configENS1_29reduce_by_key_config_selectorIilN6thrust23THRUST_200600_302600_NS4plusIlEEEEZZNS1_33reduce_by_key_impl_wrapped_configILNS1_25lookback_scan_determinismE0ES3_S9_PiNS6_17constant_iteratorIiNS6_11use_defaultESE_EENS6_10device_ptrIiEENSG_IlEEPmS8_NS6_8equal_toIiEEEE10hipError_tPvRmT2_T3_mT4_T5_T6_T7_T8_P12ihipStream_tbENKUlT_T0_E_clISt17integral_constantIbLb1EES13_EEDaSY_SZ_EUlSY_E_NS1_11comp_targetILNS1_3genE10ELNS1_11target_archE1201ELNS1_3gpuE5ELNS1_3repE0EEENS1_30default_config_static_selectorELNS0_4arch9wavefront6targetE1EEEvT1_.has_dyn_sized_stack, 0
	.set _ZN7rocprim17ROCPRIM_400000_NS6detail17trampoline_kernelINS0_14default_configENS1_29reduce_by_key_config_selectorIilN6thrust23THRUST_200600_302600_NS4plusIlEEEEZZNS1_33reduce_by_key_impl_wrapped_configILNS1_25lookback_scan_determinismE0ES3_S9_PiNS6_17constant_iteratorIiNS6_11use_defaultESE_EENS6_10device_ptrIiEENSG_IlEEPmS8_NS6_8equal_toIiEEEE10hipError_tPvRmT2_T3_mT4_T5_T6_T7_T8_P12ihipStream_tbENKUlT_T0_E_clISt17integral_constantIbLb1EES13_EEDaSY_SZ_EUlSY_E_NS1_11comp_targetILNS1_3genE10ELNS1_11target_archE1201ELNS1_3gpuE5ELNS1_3repE0EEENS1_30default_config_static_selectorELNS0_4arch9wavefront6targetE1EEEvT1_.has_recursion, 0
	.set _ZN7rocprim17ROCPRIM_400000_NS6detail17trampoline_kernelINS0_14default_configENS1_29reduce_by_key_config_selectorIilN6thrust23THRUST_200600_302600_NS4plusIlEEEEZZNS1_33reduce_by_key_impl_wrapped_configILNS1_25lookback_scan_determinismE0ES3_S9_PiNS6_17constant_iteratorIiNS6_11use_defaultESE_EENS6_10device_ptrIiEENSG_IlEEPmS8_NS6_8equal_toIiEEEE10hipError_tPvRmT2_T3_mT4_T5_T6_T7_T8_P12ihipStream_tbENKUlT_T0_E_clISt17integral_constantIbLb1EES13_EEDaSY_SZ_EUlSY_E_NS1_11comp_targetILNS1_3genE10ELNS1_11target_archE1201ELNS1_3gpuE5ELNS1_3repE0EEENS1_30default_config_static_selectorELNS0_4arch9wavefront6targetE1EEEvT1_.has_indirect_call, 0
	.section	.AMDGPU.csdata,"",@progbits
; Kernel info:
; codeLenInByte = 0
; TotalNumSgprs: 4
; NumVgprs: 0
; ScratchSize: 0
; MemoryBound: 0
; FloatMode: 240
; IeeeMode: 1
; LDSByteSize: 0 bytes/workgroup (compile time only)
; SGPRBlocks: 0
; VGPRBlocks: 0
; NumSGPRsForWavesPerEU: 4
; NumVGPRsForWavesPerEU: 1
; Occupancy: 10
; WaveLimiterHint : 0
; COMPUTE_PGM_RSRC2:SCRATCH_EN: 0
; COMPUTE_PGM_RSRC2:USER_SGPR: 6
; COMPUTE_PGM_RSRC2:TRAP_HANDLER: 0
; COMPUTE_PGM_RSRC2:TGID_X_EN: 1
; COMPUTE_PGM_RSRC2:TGID_Y_EN: 0
; COMPUTE_PGM_RSRC2:TGID_Z_EN: 0
; COMPUTE_PGM_RSRC2:TIDIG_COMP_CNT: 0
	.section	.text._ZN7rocprim17ROCPRIM_400000_NS6detail17trampoline_kernelINS0_14default_configENS1_29reduce_by_key_config_selectorIilN6thrust23THRUST_200600_302600_NS4plusIlEEEEZZNS1_33reduce_by_key_impl_wrapped_configILNS1_25lookback_scan_determinismE0ES3_S9_PiNS6_17constant_iteratorIiNS6_11use_defaultESE_EENS6_10device_ptrIiEENSG_IlEEPmS8_NS6_8equal_toIiEEEE10hipError_tPvRmT2_T3_mT4_T5_T6_T7_T8_P12ihipStream_tbENKUlT_T0_E_clISt17integral_constantIbLb1EES13_EEDaSY_SZ_EUlSY_E_NS1_11comp_targetILNS1_3genE10ELNS1_11target_archE1200ELNS1_3gpuE4ELNS1_3repE0EEENS1_30default_config_static_selectorELNS0_4arch9wavefront6targetE1EEEvT1_,"axG",@progbits,_ZN7rocprim17ROCPRIM_400000_NS6detail17trampoline_kernelINS0_14default_configENS1_29reduce_by_key_config_selectorIilN6thrust23THRUST_200600_302600_NS4plusIlEEEEZZNS1_33reduce_by_key_impl_wrapped_configILNS1_25lookback_scan_determinismE0ES3_S9_PiNS6_17constant_iteratorIiNS6_11use_defaultESE_EENS6_10device_ptrIiEENSG_IlEEPmS8_NS6_8equal_toIiEEEE10hipError_tPvRmT2_T3_mT4_T5_T6_T7_T8_P12ihipStream_tbENKUlT_T0_E_clISt17integral_constantIbLb1EES13_EEDaSY_SZ_EUlSY_E_NS1_11comp_targetILNS1_3genE10ELNS1_11target_archE1200ELNS1_3gpuE4ELNS1_3repE0EEENS1_30default_config_static_selectorELNS0_4arch9wavefront6targetE1EEEvT1_,comdat
	.protected	_ZN7rocprim17ROCPRIM_400000_NS6detail17trampoline_kernelINS0_14default_configENS1_29reduce_by_key_config_selectorIilN6thrust23THRUST_200600_302600_NS4plusIlEEEEZZNS1_33reduce_by_key_impl_wrapped_configILNS1_25lookback_scan_determinismE0ES3_S9_PiNS6_17constant_iteratorIiNS6_11use_defaultESE_EENS6_10device_ptrIiEENSG_IlEEPmS8_NS6_8equal_toIiEEEE10hipError_tPvRmT2_T3_mT4_T5_T6_T7_T8_P12ihipStream_tbENKUlT_T0_E_clISt17integral_constantIbLb1EES13_EEDaSY_SZ_EUlSY_E_NS1_11comp_targetILNS1_3genE10ELNS1_11target_archE1200ELNS1_3gpuE4ELNS1_3repE0EEENS1_30default_config_static_selectorELNS0_4arch9wavefront6targetE1EEEvT1_ ; -- Begin function _ZN7rocprim17ROCPRIM_400000_NS6detail17trampoline_kernelINS0_14default_configENS1_29reduce_by_key_config_selectorIilN6thrust23THRUST_200600_302600_NS4plusIlEEEEZZNS1_33reduce_by_key_impl_wrapped_configILNS1_25lookback_scan_determinismE0ES3_S9_PiNS6_17constant_iteratorIiNS6_11use_defaultESE_EENS6_10device_ptrIiEENSG_IlEEPmS8_NS6_8equal_toIiEEEE10hipError_tPvRmT2_T3_mT4_T5_T6_T7_T8_P12ihipStream_tbENKUlT_T0_E_clISt17integral_constantIbLb1EES13_EEDaSY_SZ_EUlSY_E_NS1_11comp_targetILNS1_3genE10ELNS1_11target_archE1200ELNS1_3gpuE4ELNS1_3repE0EEENS1_30default_config_static_selectorELNS0_4arch9wavefront6targetE1EEEvT1_
	.globl	_ZN7rocprim17ROCPRIM_400000_NS6detail17trampoline_kernelINS0_14default_configENS1_29reduce_by_key_config_selectorIilN6thrust23THRUST_200600_302600_NS4plusIlEEEEZZNS1_33reduce_by_key_impl_wrapped_configILNS1_25lookback_scan_determinismE0ES3_S9_PiNS6_17constant_iteratorIiNS6_11use_defaultESE_EENS6_10device_ptrIiEENSG_IlEEPmS8_NS6_8equal_toIiEEEE10hipError_tPvRmT2_T3_mT4_T5_T6_T7_T8_P12ihipStream_tbENKUlT_T0_E_clISt17integral_constantIbLb1EES13_EEDaSY_SZ_EUlSY_E_NS1_11comp_targetILNS1_3genE10ELNS1_11target_archE1200ELNS1_3gpuE4ELNS1_3repE0EEENS1_30default_config_static_selectorELNS0_4arch9wavefront6targetE1EEEvT1_
	.p2align	8
	.type	_ZN7rocprim17ROCPRIM_400000_NS6detail17trampoline_kernelINS0_14default_configENS1_29reduce_by_key_config_selectorIilN6thrust23THRUST_200600_302600_NS4plusIlEEEEZZNS1_33reduce_by_key_impl_wrapped_configILNS1_25lookback_scan_determinismE0ES3_S9_PiNS6_17constant_iteratorIiNS6_11use_defaultESE_EENS6_10device_ptrIiEENSG_IlEEPmS8_NS6_8equal_toIiEEEE10hipError_tPvRmT2_T3_mT4_T5_T6_T7_T8_P12ihipStream_tbENKUlT_T0_E_clISt17integral_constantIbLb1EES13_EEDaSY_SZ_EUlSY_E_NS1_11comp_targetILNS1_3genE10ELNS1_11target_archE1200ELNS1_3gpuE4ELNS1_3repE0EEENS1_30default_config_static_selectorELNS0_4arch9wavefront6targetE1EEEvT1_,@function
_ZN7rocprim17ROCPRIM_400000_NS6detail17trampoline_kernelINS0_14default_configENS1_29reduce_by_key_config_selectorIilN6thrust23THRUST_200600_302600_NS4plusIlEEEEZZNS1_33reduce_by_key_impl_wrapped_configILNS1_25lookback_scan_determinismE0ES3_S9_PiNS6_17constant_iteratorIiNS6_11use_defaultESE_EENS6_10device_ptrIiEENSG_IlEEPmS8_NS6_8equal_toIiEEEE10hipError_tPvRmT2_T3_mT4_T5_T6_T7_T8_P12ihipStream_tbENKUlT_T0_E_clISt17integral_constantIbLb1EES13_EEDaSY_SZ_EUlSY_E_NS1_11comp_targetILNS1_3genE10ELNS1_11target_archE1200ELNS1_3gpuE4ELNS1_3repE0EEENS1_30default_config_static_selectorELNS0_4arch9wavefront6targetE1EEEvT1_: ; @_ZN7rocprim17ROCPRIM_400000_NS6detail17trampoline_kernelINS0_14default_configENS1_29reduce_by_key_config_selectorIilN6thrust23THRUST_200600_302600_NS4plusIlEEEEZZNS1_33reduce_by_key_impl_wrapped_configILNS1_25lookback_scan_determinismE0ES3_S9_PiNS6_17constant_iteratorIiNS6_11use_defaultESE_EENS6_10device_ptrIiEENSG_IlEEPmS8_NS6_8equal_toIiEEEE10hipError_tPvRmT2_T3_mT4_T5_T6_T7_T8_P12ihipStream_tbENKUlT_T0_E_clISt17integral_constantIbLb1EES13_EEDaSY_SZ_EUlSY_E_NS1_11comp_targetILNS1_3genE10ELNS1_11target_archE1200ELNS1_3gpuE4ELNS1_3repE0EEENS1_30default_config_static_selectorELNS0_4arch9wavefront6targetE1EEEvT1_
; %bb.0:
	.section	.rodata,"a",@progbits
	.p2align	6, 0x0
	.amdhsa_kernel _ZN7rocprim17ROCPRIM_400000_NS6detail17trampoline_kernelINS0_14default_configENS1_29reduce_by_key_config_selectorIilN6thrust23THRUST_200600_302600_NS4plusIlEEEEZZNS1_33reduce_by_key_impl_wrapped_configILNS1_25lookback_scan_determinismE0ES3_S9_PiNS6_17constant_iteratorIiNS6_11use_defaultESE_EENS6_10device_ptrIiEENSG_IlEEPmS8_NS6_8equal_toIiEEEE10hipError_tPvRmT2_T3_mT4_T5_T6_T7_T8_P12ihipStream_tbENKUlT_T0_E_clISt17integral_constantIbLb1EES13_EEDaSY_SZ_EUlSY_E_NS1_11comp_targetILNS1_3genE10ELNS1_11target_archE1200ELNS1_3gpuE4ELNS1_3repE0EEENS1_30default_config_static_selectorELNS0_4arch9wavefront6targetE1EEEvT1_
		.amdhsa_group_segment_fixed_size 0
		.amdhsa_private_segment_fixed_size 0
		.amdhsa_kernarg_size 144
		.amdhsa_user_sgpr_count 6
		.amdhsa_user_sgpr_private_segment_buffer 1
		.amdhsa_user_sgpr_dispatch_ptr 0
		.amdhsa_user_sgpr_queue_ptr 0
		.amdhsa_user_sgpr_kernarg_segment_ptr 1
		.amdhsa_user_sgpr_dispatch_id 0
		.amdhsa_user_sgpr_flat_scratch_init 0
		.amdhsa_user_sgpr_private_segment_size 0
		.amdhsa_uses_dynamic_stack 0
		.amdhsa_system_sgpr_private_segment_wavefront_offset 0
		.amdhsa_system_sgpr_workgroup_id_x 1
		.amdhsa_system_sgpr_workgroup_id_y 0
		.amdhsa_system_sgpr_workgroup_id_z 0
		.amdhsa_system_sgpr_workgroup_info 0
		.amdhsa_system_vgpr_workitem_id 0
		.amdhsa_next_free_vgpr 1
		.amdhsa_next_free_sgpr 0
		.amdhsa_reserve_vcc 0
		.amdhsa_reserve_flat_scratch 0
		.amdhsa_float_round_mode_32 0
		.amdhsa_float_round_mode_16_64 0
		.amdhsa_float_denorm_mode_32 3
		.amdhsa_float_denorm_mode_16_64 3
		.amdhsa_dx10_clamp 1
		.amdhsa_ieee_mode 1
		.amdhsa_fp16_overflow 0
		.amdhsa_exception_fp_ieee_invalid_op 0
		.amdhsa_exception_fp_denorm_src 0
		.amdhsa_exception_fp_ieee_div_zero 0
		.amdhsa_exception_fp_ieee_overflow 0
		.amdhsa_exception_fp_ieee_underflow 0
		.amdhsa_exception_fp_ieee_inexact 0
		.amdhsa_exception_int_div_zero 0
	.end_amdhsa_kernel
	.section	.text._ZN7rocprim17ROCPRIM_400000_NS6detail17trampoline_kernelINS0_14default_configENS1_29reduce_by_key_config_selectorIilN6thrust23THRUST_200600_302600_NS4plusIlEEEEZZNS1_33reduce_by_key_impl_wrapped_configILNS1_25lookback_scan_determinismE0ES3_S9_PiNS6_17constant_iteratorIiNS6_11use_defaultESE_EENS6_10device_ptrIiEENSG_IlEEPmS8_NS6_8equal_toIiEEEE10hipError_tPvRmT2_T3_mT4_T5_T6_T7_T8_P12ihipStream_tbENKUlT_T0_E_clISt17integral_constantIbLb1EES13_EEDaSY_SZ_EUlSY_E_NS1_11comp_targetILNS1_3genE10ELNS1_11target_archE1200ELNS1_3gpuE4ELNS1_3repE0EEENS1_30default_config_static_selectorELNS0_4arch9wavefront6targetE1EEEvT1_,"axG",@progbits,_ZN7rocprim17ROCPRIM_400000_NS6detail17trampoline_kernelINS0_14default_configENS1_29reduce_by_key_config_selectorIilN6thrust23THRUST_200600_302600_NS4plusIlEEEEZZNS1_33reduce_by_key_impl_wrapped_configILNS1_25lookback_scan_determinismE0ES3_S9_PiNS6_17constant_iteratorIiNS6_11use_defaultESE_EENS6_10device_ptrIiEENSG_IlEEPmS8_NS6_8equal_toIiEEEE10hipError_tPvRmT2_T3_mT4_T5_T6_T7_T8_P12ihipStream_tbENKUlT_T0_E_clISt17integral_constantIbLb1EES13_EEDaSY_SZ_EUlSY_E_NS1_11comp_targetILNS1_3genE10ELNS1_11target_archE1200ELNS1_3gpuE4ELNS1_3repE0EEENS1_30default_config_static_selectorELNS0_4arch9wavefront6targetE1EEEvT1_,comdat
.Lfunc_end953:
	.size	_ZN7rocprim17ROCPRIM_400000_NS6detail17trampoline_kernelINS0_14default_configENS1_29reduce_by_key_config_selectorIilN6thrust23THRUST_200600_302600_NS4plusIlEEEEZZNS1_33reduce_by_key_impl_wrapped_configILNS1_25lookback_scan_determinismE0ES3_S9_PiNS6_17constant_iteratorIiNS6_11use_defaultESE_EENS6_10device_ptrIiEENSG_IlEEPmS8_NS6_8equal_toIiEEEE10hipError_tPvRmT2_T3_mT4_T5_T6_T7_T8_P12ihipStream_tbENKUlT_T0_E_clISt17integral_constantIbLb1EES13_EEDaSY_SZ_EUlSY_E_NS1_11comp_targetILNS1_3genE10ELNS1_11target_archE1200ELNS1_3gpuE4ELNS1_3repE0EEENS1_30default_config_static_selectorELNS0_4arch9wavefront6targetE1EEEvT1_, .Lfunc_end953-_ZN7rocprim17ROCPRIM_400000_NS6detail17trampoline_kernelINS0_14default_configENS1_29reduce_by_key_config_selectorIilN6thrust23THRUST_200600_302600_NS4plusIlEEEEZZNS1_33reduce_by_key_impl_wrapped_configILNS1_25lookback_scan_determinismE0ES3_S9_PiNS6_17constant_iteratorIiNS6_11use_defaultESE_EENS6_10device_ptrIiEENSG_IlEEPmS8_NS6_8equal_toIiEEEE10hipError_tPvRmT2_T3_mT4_T5_T6_T7_T8_P12ihipStream_tbENKUlT_T0_E_clISt17integral_constantIbLb1EES13_EEDaSY_SZ_EUlSY_E_NS1_11comp_targetILNS1_3genE10ELNS1_11target_archE1200ELNS1_3gpuE4ELNS1_3repE0EEENS1_30default_config_static_selectorELNS0_4arch9wavefront6targetE1EEEvT1_
                                        ; -- End function
	.set _ZN7rocprim17ROCPRIM_400000_NS6detail17trampoline_kernelINS0_14default_configENS1_29reduce_by_key_config_selectorIilN6thrust23THRUST_200600_302600_NS4plusIlEEEEZZNS1_33reduce_by_key_impl_wrapped_configILNS1_25lookback_scan_determinismE0ES3_S9_PiNS6_17constant_iteratorIiNS6_11use_defaultESE_EENS6_10device_ptrIiEENSG_IlEEPmS8_NS6_8equal_toIiEEEE10hipError_tPvRmT2_T3_mT4_T5_T6_T7_T8_P12ihipStream_tbENKUlT_T0_E_clISt17integral_constantIbLb1EES13_EEDaSY_SZ_EUlSY_E_NS1_11comp_targetILNS1_3genE10ELNS1_11target_archE1200ELNS1_3gpuE4ELNS1_3repE0EEENS1_30default_config_static_selectorELNS0_4arch9wavefront6targetE1EEEvT1_.num_vgpr, 0
	.set _ZN7rocprim17ROCPRIM_400000_NS6detail17trampoline_kernelINS0_14default_configENS1_29reduce_by_key_config_selectorIilN6thrust23THRUST_200600_302600_NS4plusIlEEEEZZNS1_33reduce_by_key_impl_wrapped_configILNS1_25lookback_scan_determinismE0ES3_S9_PiNS6_17constant_iteratorIiNS6_11use_defaultESE_EENS6_10device_ptrIiEENSG_IlEEPmS8_NS6_8equal_toIiEEEE10hipError_tPvRmT2_T3_mT4_T5_T6_T7_T8_P12ihipStream_tbENKUlT_T0_E_clISt17integral_constantIbLb1EES13_EEDaSY_SZ_EUlSY_E_NS1_11comp_targetILNS1_3genE10ELNS1_11target_archE1200ELNS1_3gpuE4ELNS1_3repE0EEENS1_30default_config_static_selectorELNS0_4arch9wavefront6targetE1EEEvT1_.num_agpr, 0
	.set _ZN7rocprim17ROCPRIM_400000_NS6detail17trampoline_kernelINS0_14default_configENS1_29reduce_by_key_config_selectorIilN6thrust23THRUST_200600_302600_NS4plusIlEEEEZZNS1_33reduce_by_key_impl_wrapped_configILNS1_25lookback_scan_determinismE0ES3_S9_PiNS6_17constant_iteratorIiNS6_11use_defaultESE_EENS6_10device_ptrIiEENSG_IlEEPmS8_NS6_8equal_toIiEEEE10hipError_tPvRmT2_T3_mT4_T5_T6_T7_T8_P12ihipStream_tbENKUlT_T0_E_clISt17integral_constantIbLb1EES13_EEDaSY_SZ_EUlSY_E_NS1_11comp_targetILNS1_3genE10ELNS1_11target_archE1200ELNS1_3gpuE4ELNS1_3repE0EEENS1_30default_config_static_selectorELNS0_4arch9wavefront6targetE1EEEvT1_.numbered_sgpr, 0
	.set _ZN7rocprim17ROCPRIM_400000_NS6detail17trampoline_kernelINS0_14default_configENS1_29reduce_by_key_config_selectorIilN6thrust23THRUST_200600_302600_NS4plusIlEEEEZZNS1_33reduce_by_key_impl_wrapped_configILNS1_25lookback_scan_determinismE0ES3_S9_PiNS6_17constant_iteratorIiNS6_11use_defaultESE_EENS6_10device_ptrIiEENSG_IlEEPmS8_NS6_8equal_toIiEEEE10hipError_tPvRmT2_T3_mT4_T5_T6_T7_T8_P12ihipStream_tbENKUlT_T0_E_clISt17integral_constantIbLb1EES13_EEDaSY_SZ_EUlSY_E_NS1_11comp_targetILNS1_3genE10ELNS1_11target_archE1200ELNS1_3gpuE4ELNS1_3repE0EEENS1_30default_config_static_selectorELNS0_4arch9wavefront6targetE1EEEvT1_.num_named_barrier, 0
	.set _ZN7rocprim17ROCPRIM_400000_NS6detail17trampoline_kernelINS0_14default_configENS1_29reduce_by_key_config_selectorIilN6thrust23THRUST_200600_302600_NS4plusIlEEEEZZNS1_33reduce_by_key_impl_wrapped_configILNS1_25lookback_scan_determinismE0ES3_S9_PiNS6_17constant_iteratorIiNS6_11use_defaultESE_EENS6_10device_ptrIiEENSG_IlEEPmS8_NS6_8equal_toIiEEEE10hipError_tPvRmT2_T3_mT4_T5_T6_T7_T8_P12ihipStream_tbENKUlT_T0_E_clISt17integral_constantIbLb1EES13_EEDaSY_SZ_EUlSY_E_NS1_11comp_targetILNS1_3genE10ELNS1_11target_archE1200ELNS1_3gpuE4ELNS1_3repE0EEENS1_30default_config_static_selectorELNS0_4arch9wavefront6targetE1EEEvT1_.private_seg_size, 0
	.set _ZN7rocprim17ROCPRIM_400000_NS6detail17trampoline_kernelINS0_14default_configENS1_29reduce_by_key_config_selectorIilN6thrust23THRUST_200600_302600_NS4plusIlEEEEZZNS1_33reduce_by_key_impl_wrapped_configILNS1_25lookback_scan_determinismE0ES3_S9_PiNS6_17constant_iteratorIiNS6_11use_defaultESE_EENS6_10device_ptrIiEENSG_IlEEPmS8_NS6_8equal_toIiEEEE10hipError_tPvRmT2_T3_mT4_T5_T6_T7_T8_P12ihipStream_tbENKUlT_T0_E_clISt17integral_constantIbLb1EES13_EEDaSY_SZ_EUlSY_E_NS1_11comp_targetILNS1_3genE10ELNS1_11target_archE1200ELNS1_3gpuE4ELNS1_3repE0EEENS1_30default_config_static_selectorELNS0_4arch9wavefront6targetE1EEEvT1_.uses_vcc, 0
	.set _ZN7rocprim17ROCPRIM_400000_NS6detail17trampoline_kernelINS0_14default_configENS1_29reduce_by_key_config_selectorIilN6thrust23THRUST_200600_302600_NS4plusIlEEEEZZNS1_33reduce_by_key_impl_wrapped_configILNS1_25lookback_scan_determinismE0ES3_S9_PiNS6_17constant_iteratorIiNS6_11use_defaultESE_EENS6_10device_ptrIiEENSG_IlEEPmS8_NS6_8equal_toIiEEEE10hipError_tPvRmT2_T3_mT4_T5_T6_T7_T8_P12ihipStream_tbENKUlT_T0_E_clISt17integral_constantIbLb1EES13_EEDaSY_SZ_EUlSY_E_NS1_11comp_targetILNS1_3genE10ELNS1_11target_archE1200ELNS1_3gpuE4ELNS1_3repE0EEENS1_30default_config_static_selectorELNS0_4arch9wavefront6targetE1EEEvT1_.uses_flat_scratch, 0
	.set _ZN7rocprim17ROCPRIM_400000_NS6detail17trampoline_kernelINS0_14default_configENS1_29reduce_by_key_config_selectorIilN6thrust23THRUST_200600_302600_NS4plusIlEEEEZZNS1_33reduce_by_key_impl_wrapped_configILNS1_25lookback_scan_determinismE0ES3_S9_PiNS6_17constant_iteratorIiNS6_11use_defaultESE_EENS6_10device_ptrIiEENSG_IlEEPmS8_NS6_8equal_toIiEEEE10hipError_tPvRmT2_T3_mT4_T5_T6_T7_T8_P12ihipStream_tbENKUlT_T0_E_clISt17integral_constantIbLb1EES13_EEDaSY_SZ_EUlSY_E_NS1_11comp_targetILNS1_3genE10ELNS1_11target_archE1200ELNS1_3gpuE4ELNS1_3repE0EEENS1_30default_config_static_selectorELNS0_4arch9wavefront6targetE1EEEvT1_.has_dyn_sized_stack, 0
	.set _ZN7rocprim17ROCPRIM_400000_NS6detail17trampoline_kernelINS0_14default_configENS1_29reduce_by_key_config_selectorIilN6thrust23THRUST_200600_302600_NS4plusIlEEEEZZNS1_33reduce_by_key_impl_wrapped_configILNS1_25lookback_scan_determinismE0ES3_S9_PiNS6_17constant_iteratorIiNS6_11use_defaultESE_EENS6_10device_ptrIiEENSG_IlEEPmS8_NS6_8equal_toIiEEEE10hipError_tPvRmT2_T3_mT4_T5_T6_T7_T8_P12ihipStream_tbENKUlT_T0_E_clISt17integral_constantIbLb1EES13_EEDaSY_SZ_EUlSY_E_NS1_11comp_targetILNS1_3genE10ELNS1_11target_archE1200ELNS1_3gpuE4ELNS1_3repE0EEENS1_30default_config_static_selectorELNS0_4arch9wavefront6targetE1EEEvT1_.has_recursion, 0
	.set _ZN7rocprim17ROCPRIM_400000_NS6detail17trampoline_kernelINS0_14default_configENS1_29reduce_by_key_config_selectorIilN6thrust23THRUST_200600_302600_NS4plusIlEEEEZZNS1_33reduce_by_key_impl_wrapped_configILNS1_25lookback_scan_determinismE0ES3_S9_PiNS6_17constant_iteratorIiNS6_11use_defaultESE_EENS6_10device_ptrIiEENSG_IlEEPmS8_NS6_8equal_toIiEEEE10hipError_tPvRmT2_T3_mT4_T5_T6_T7_T8_P12ihipStream_tbENKUlT_T0_E_clISt17integral_constantIbLb1EES13_EEDaSY_SZ_EUlSY_E_NS1_11comp_targetILNS1_3genE10ELNS1_11target_archE1200ELNS1_3gpuE4ELNS1_3repE0EEENS1_30default_config_static_selectorELNS0_4arch9wavefront6targetE1EEEvT1_.has_indirect_call, 0
	.section	.AMDGPU.csdata,"",@progbits
; Kernel info:
; codeLenInByte = 0
; TotalNumSgprs: 4
; NumVgprs: 0
; ScratchSize: 0
; MemoryBound: 0
; FloatMode: 240
; IeeeMode: 1
; LDSByteSize: 0 bytes/workgroup (compile time only)
; SGPRBlocks: 0
; VGPRBlocks: 0
; NumSGPRsForWavesPerEU: 4
; NumVGPRsForWavesPerEU: 1
; Occupancy: 10
; WaveLimiterHint : 0
; COMPUTE_PGM_RSRC2:SCRATCH_EN: 0
; COMPUTE_PGM_RSRC2:USER_SGPR: 6
; COMPUTE_PGM_RSRC2:TRAP_HANDLER: 0
; COMPUTE_PGM_RSRC2:TGID_X_EN: 1
; COMPUTE_PGM_RSRC2:TGID_Y_EN: 0
; COMPUTE_PGM_RSRC2:TGID_Z_EN: 0
; COMPUTE_PGM_RSRC2:TIDIG_COMP_CNT: 0
	.section	.text._ZN7rocprim17ROCPRIM_400000_NS6detail17trampoline_kernelINS0_14default_configENS1_29reduce_by_key_config_selectorIilN6thrust23THRUST_200600_302600_NS4plusIlEEEEZZNS1_33reduce_by_key_impl_wrapped_configILNS1_25lookback_scan_determinismE0ES3_S9_PiNS6_17constant_iteratorIiNS6_11use_defaultESE_EENS6_10device_ptrIiEENSG_IlEEPmS8_NS6_8equal_toIiEEEE10hipError_tPvRmT2_T3_mT4_T5_T6_T7_T8_P12ihipStream_tbENKUlT_T0_E_clISt17integral_constantIbLb1EES13_EEDaSY_SZ_EUlSY_E_NS1_11comp_targetILNS1_3genE9ELNS1_11target_archE1100ELNS1_3gpuE3ELNS1_3repE0EEENS1_30default_config_static_selectorELNS0_4arch9wavefront6targetE1EEEvT1_,"axG",@progbits,_ZN7rocprim17ROCPRIM_400000_NS6detail17trampoline_kernelINS0_14default_configENS1_29reduce_by_key_config_selectorIilN6thrust23THRUST_200600_302600_NS4plusIlEEEEZZNS1_33reduce_by_key_impl_wrapped_configILNS1_25lookback_scan_determinismE0ES3_S9_PiNS6_17constant_iteratorIiNS6_11use_defaultESE_EENS6_10device_ptrIiEENSG_IlEEPmS8_NS6_8equal_toIiEEEE10hipError_tPvRmT2_T3_mT4_T5_T6_T7_T8_P12ihipStream_tbENKUlT_T0_E_clISt17integral_constantIbLb1EES13_EEDaSY_SZ_EUlSY_E_NS1_11comp_targetILNS1_3genE9ELNS1_11target_archE1100ELNS1_3gpuE3ELNS1_3repE0EEENS1_30default_config_static_selectorELNS0_4arch9wavefront6targetE1EEEvT1_,comdat
	.protected	_ZN7rocprim17ROCPRIM_400000_NS6detail17trampoline_kernelINS0_14default_configENS1_29reduce_by_key_config_selectorIilN6thrust23THRUST_200600_302600_NS4plusIlEEEEZZNS1_33reduce_by_key_impl_wrapped_configILNS1_25lookback_scan_determinismE0ES3_S9_PiNS6_17constant_iteratorIiNS6_11use_defaultESE_EENS6_10device_ptrIiEENSG_IlEEPmS8_NS6_8equal_toIiEEEE10hipError_tPvRmT2_T3_mT4_T5_T6_T7_T8_P12ihipStream_tbENKUlT_T0_E_clISt17integral_constantIbLb1EES13_EEDaSY_SZ_EUlSY_E_NS1_11comp_targetILNS1_3genE9ELNS1_11target_archE1100ELNS1_3gpuE3ELNS1_3repE0EEENS1_30default_config_static_selectorELNS0_4arch9wavefront6targetE1EEEvT1_ ; -- Begin function _ZN7rocprim17ROCPRIM_400000_NS6detail17trampoline_kernelINS0_14default_configENS1_29reduce_by_key_config_selectorIilN6thrust23THRUST_200600_302600_NS4plusIlEEEEZZNS1_33reduce_by_key_impl_wrapped_configILNS1_25lookback_scan_determinismE0ES3_S9_PiNS6_17constant_iteratorIiNS6_11use_defaultESE_EENS6_10device_ptrIiEENSG_IlEEPmS8_NS6_8equal_toIiEEEE10hipError_tPvRmT2_T3_mT4_T5_T6_T7_T8_P12ihipStream_tbENKUlT_T0_E_clISt17integral_constantIbLb1EES13_EEDaSY_SZ_EUlSY_E_NS1_11comp_targetILNS1_3genE9ELNS1_11target_archE1100ELNS1_3gpuE3ELNS1_3repE0EEENS1_30default_config_static_selectorELNS0_4arch9wavefront6targetE1EEEvT1_
	.globl	_ZN7rocprim17ROCPRIM_400000_NS6detail17trampoline_kernelINS0_14default_configENS1_29reduce_by_key_config_selectorIilN6thrust23THRUST_200600_302600_NS4plusIlEEEEZZNS1_33reduce_by_key_impl_wrapped_configILNS1_25lookback_scan_determinismE0ES3_S9_PiNS6_17constant_iteratorIiNS6_11use_defaultESE_EENS6_10device_ptrIiEENSG_IlEEPmS8_NS6_8equal_toIiEEEE10hipError_tPvRmT2_T3_mT4_T5_T6_T7_T8_P12ihipStream_tbENKUlT_T0_E_clISt17integral_constantIbLb1EES13_EEDaSY_SZ_EUlSY_E_NS1_11comp_targetILNS1_3genE9ELNS1_11target_archE1100ELNS1_3gpuE3ELNS1_3repE0EEENS1_30default_config_static_selectorELNS0_4arch9wavefront6targetE1EEEvT1_
	.p2align	8
	.type	_ZN7rocprim17ROCPRIM_400000_NS6detail17trampoline_kernelINS0_14default_configENS1_29reduce_by_key_config_selectorIilN6thrust23THRUST_200600_302600_NS4plusIlEEEEZZNS1_33reduce_by_key_impl_wrapped_configILNS1_25lookback_scan_determinismE0ES3_S9_PiNS6_17constant_iteratorIiNS6_11use_defaultESE_EENS6_10device_ptrIiEENSG_IlEEPmS8_NS6_8equal_toIiEEEE10hipError_tPvRmT2_T3_mT4_T5_T6_T7_T8_P12ihipStream_tbENKUlT_T0_E_clISt17integral_constantIbLb1EES13_EEDaSY_SZ_EUlSY_E_NS1_11comp_targetILNS1_3genE9ELNS1_11target_archE1100ELNS1_3gpuE3ELNS1_3repE0EEENS1_30default_config_static_selectorELNS0_4arch9wavefront6targetE1EEEvT1_,@function
_ZN7rocprim17ROCPRIM_400000_NS6detail17trampoline_kernelINS0_14default_configENS1_29reduce_by_key_config_selectorIilN6thrust23THRUST_200600_302600_NS4plusIlEEEEZZNS1_33reduce_by_key_impl_wrapped_configILNS1_25lookback_scan_determinismE0ES3_S9_PiNS6_17constant_iteratorIiNS6_11use_defaultESE_EENS6_10device_ptrIiEENSG_IlEEPmS8_NS6_8equal_toIiEEEE10hipError_tPvRmT2_T3_mT4_T5_T6_T7_T8_P12ihipStream_tbENKUlT_T0_E_clISt17integral_constantIbLb1EES13_EEDaSY_SZ_EUlSY_E_NS1_11comp_targetILNS1_3genE9ELNS1_11target_archE1100ELNS1_3gpuE3ELNS1_3repE0EEENS1_30default_config_static_selectorELNS0_4arch9wavefront6targetE1EEEvT1_: ; @_ZN7rocprim17ROCPRIM_400000_NS6detail17trampoline_kernelINS0_14default_configENS1_29reduce_by_key_config_selectorIilN6thrust23THRUST_200600_302600_NS4plusIlEEEEZZNS1_33reduce_by_key_impl_wrapped_configILNS1_25lookback_scan_determinismE0ES3_S9_PiNS6_17constant_iteratorIiNS6_11use_defaultESE_EENS6_10device_ptrIiEENSG_IlEEPmS8_NS6_8equal_toIiEEEE10hipError_tPvRmT2_T3_mT4_T5_T6_T7_T8_P12ihipStream_tbENKUlT_T0_E_clISt17integral_constantIbLb1EES13_EEDaSY_SZ_EUlSY_E_NS1_11comp_targetILNS1_3genE9ELNS1_11target_archE1100ELNS1_3gpuE3ELNS1_3repE0EEENS1_30default_config_static_selectorELNS0_4arch9wavefront6targetE1EEEvT1_
; %bb.0:
	.section	.rodata,"a",@progbits
	.p2align	6, 0x0
	.amdhsa_kernel _ZN7rocprim17ROCPRIM_400000_NS6detail17trampoline_kernelINS0_14default_configENS1_29reduce_by_key_config_selectorIilN6thrust23THRUST_200600_302600_NS4plusIlEEEEZZNS1_33reduce_by_key_impl_wrapped_configILNS1_25lookback_scan_determinismE0ES3_S9_PiNS6_17constant_iteratorIiNS6_11use_defaultESE_EENS6_10device_ptrIiEENSG_IlEEPmS8_NS6_8equal_toIiEEEE10hipError_tPvRmT2_T3_mT4_T5_T6_T7_T8_P12ihipStream_tbENKUlT_T0_E_clISt17integral_constantIbLb1EES13_EEDaSY_SZ_EUlSY_E_NS1_11comp_targetILNS1_3genE9ELNS1_11target_archE1100ELNS1_3gpuE3ELNS1_3repE0EEENS1_30default_config_static_selectorELNS0_4arch9wavefront6targetE1EEEvT1_
		.amdhsa_group_segment_fixed_size 0
		.amdhsa_private_segment_fixed_size 0
		.amdhsa_kernarg_size 144
		.amdhsa_user_sgpr_count 6
		.amdhsa_user_sgpr_private_segment_buffer 1
		.amdhsa_user_sgpr_dispatch_ptr 0
		.amdhsa_user_sgpr_queue_ptr 0
		.amdhsa_user_sgpr_kernarg_segment_ptr 1
		.amdhsa_user_sgpr_dispatch_id 0
		.amdhsa_user_sgpr_flat_scratch_init 0
		.amdhsa_user_sgpr_private_segment_size 0
		.amdhsa_uses_dynamic_stack 0
		.amdhsa_system_sgpr_private_segment_wavefront_offset 0
		.amdhsa_system_sgpr_workgroup_id_x 1
		.amdhsa_system_sgpr_workgroup_id_y 0
		.amdhsa_system_sgpr_workgroup_id_z 0
		.amdhsa_system_sgpr_workgroup_info 0
		.amdhsa_system_vgpr_workitem_id 0
		.amdhsa_next_free_vgpr 1
		.amdhsa_next_free_sgpr 0
		.amdhsa_reserve_vcc 0
		.amdhsa_reserve_flat_scratch 0
		.amdhsa_float_round_mode_32 0
		.amdhsa_float_round_mode_16_64 0
		.amdhsa_float_denorm_mode_32 3
		.amdhsa_float_denorm_mode_16_64 3
		.amdhsa_dx10_clamp 1
		.amdhsa_ieee_mode 1
		.amdhsa_fp16_overflow 0
		.amdhsa_exception_fp_ieee_invalid_op 0
		.amdhsa_exception_fp_denorm_src 0
		.amdhsa_exception_fp_ieee_div_zero 0
		.amdhsa_exception_fp_ieee_overflow 0
		.amdhsa_exception_fp_ieee_underflow 0
		.amdhsa_exception_fp_ieee_inexact 0
		.amdhsa_exception_int_div_zero 0
	.end_amdhsa_kernel
	.section	.text._ZN7rocprim17ROCPRIM_400000_NS6detail17trampoline_kernelINS0_14default_configENS1_29reduce_by_key_config_selectorIilN6thrust23THRUST_200600_302600_NS4plusIlEEEEZZNS1_33reduce_by_key_impl_wrapped_configILNS1_25lookback_scan_determinismE0ES3_S9_PiNS6_17constant_iteratorIiNS6_11use_defaultESE_EENS6_10device_ptrIiEENSG_IlEEPmS8_NS6_8equal_toIiEEEE10hipError_tPvRmT2_T3_mT4_T5_T6_T7_T8_P12ihipStream_tbENKUlT_T0_E_clISt17integral_constantIbLb1EES13_EEDaSY_SZ_EUlSY_E_NS1_11comp_targetILNS1_3genE9ELNS1_11target_archE1100ELNS1_3gpuE3ELNS1_3repE0EEENS1_30default_config_static_selectorELNS0_4arch9wavefront6targetE1EEEvT1_,"axG",@progbits,_ZN7rocprim17ROCPRIM_400000_NS6detail17trampoline_kernelINS0_14default_configENS1_29reduce_by_key_config_selectorIilN6thrust23THRUST_200600_302600_NS4plusIlEEEEZZNS1_33reduce_by_key_impl_wrapped_configILNS1_25lookback_scan_determinismE0ES3_S9_PiNS6_17constant_iteratorIiNS6_11use_defaultESE_EENS6_10device_ptrIiEENSG_IlEEPmS8_NS6_8equal_toIiEEEE10hipError_tPvRmT2_T3_mT4_T5_T6_T7_T8_P12ihipStream_tbENKUlT_T0_E_clISt17integral_constantIbLb1EES13_EEDaSY_SZ_EUlSY_E_NS1_11comp_targetILNS1_3genE9ELNS1_11target_archE1100ELNS1_3gpuE3ELNS1_3repE0EEENS1_30default_config_static_selectorELNS0_4arch9wavefront6targetE1EEEvT1_,comdat
.Lfunc_end954:
	.size	_ZN7rocprim17ROCPRIM_400000_NS6detail17trampoline_kernelINS0_14default_configENS1_29reduce_by_key_config_selectorIilN6thrust23THRUST_200600_302600_NS4plusIlEEEEZZNS1_33reduce_by_key_impl_wrapped_configILNS1_25lookback_scan_determinismE0ES3_S9_PiNS6_17constant_iteratorIiNS6_11use_defaultESE_EENS6_10device_ptrIiEENSG_IlEEPmS8_NS6_8equal_toIiEEEE10hipError_tPvRmT2_T3_mT4_T5_T6_T7_T8_P12ihipStream_tbENKUlT_T0_E_clISt17integral_constantIbLb1EES13_EEDaSY_SZ_EUlSY_E_NS1_11comp_targetILNS1_3genE9ELNS1_11target_archE1100ELNS1_3gpuE3ELNS1_3repE0EEENS1_30default_config_static_selectorELNS0_4arch9wavefront6targetE1EEEvT1_, .Lfunc_end954-_ZN7rocprim17ROCPRIM_400000_NS6detail17trampoline_kernelINS0_14default_configENS1_29reduce_by_key_config_selectorIilN6thrust23THRUST_200600_302600_NS4plusIlEEEEZZNS1_33reduce_by_key_impl_wrapped_configILNS1_25lookback_scan_determinismE0ES3_S9_PiNS6_17constant_iteratorIiNS6_11use_defaultESE_EENS6_10device_ptrIiEENSG_IlEEPmS8_NS6_8equal_toIiEEEE10hipError_tPvRmT2_T3_mT4_T5_T6_T7_T8_P12ihipStream_tbENKUlT_T0_E_clISt17integral_constantIbLb1EES13_EEDaSY_SZ_EUlSY_E_NS1_11comp_targetILNS1_3genE9ELNS1_11target_archE1100ELNS1_3gpuE3ELNS1_3repE0EEENS1_30default_config_static_selectorELNS0_4arch9wavefront6targetE1EEEvT1_
                                        ; -- End function
	.set _ZN7rocprim17ROCPRIM_400000_NS6detail17trampoline_kernelINS0_14default_configENS1_29reduce_by_key_config_selectorIilN6thrust23THRUST_200600_302600_NS4plusIlEEEEZZNS1_33reduce_by_key_impl_wrapped_configILNS1_25lookback_scan_determinismE0ES3_S9_PiNS6_17constant_iteratorIiNS6_11use_defaultESE_EENS6_10device_ptrIiEENSG_IlEEPmS8_NS6_8equal_toIiEEEE10hipError_tPvRmT2_T3_mT4_T5_T6_T7_T8_P12ihipStream_tbENKUlT_T0_E_clISt17integral_constantIbLb1EES13_EEDaSY_SZ_EUlSY_E_NS1_11comp_targetILNS1_3genE9ELNS1_11target_archE1100ELNS1_3gpuE3ELNS1_3repE0EEENS1_30default_config_static_selectorELNS0_4arch9wavefront6targetE1EEEvT1_.num_vgpr, 0
	.set _ZN7rocprim17ROCPRIM_400000_NS6detail17trampoline_kernelINS0_14default_configENS1_29reduce_by_key_config_selectorIilN6thrust23THRUST_200600_302600_NS4plusIlEEEEZZNS1_33reduce_by_key_impl_wrapped_configILNS1_25lookback_scan_determinismE0ES3_S9_PiNS6_17constant_iteratorIiNS6_11use_defaultESE_EENS6_10device_ptrIiEENSG_IlEEPmS8_NS6_8equal_toIiEEEE10hipError_tPvRmT2_T3_mT4_T5_T6_T7_T8_P12ihipStream_tbENKUlT_T0_E_clISt17integral_constantIbLb1EES13_EEDaSY_SZ_EUlSY_E_NS1_11comp_targetILNS1_3genE9ELNS1_11target_archE1100ELNS1_3gpuE3ELNS1_3repE0EEENS1_30default_config_static_selectorELNS0_4arch9wavefront6targetE1EEEvT1_.num_agpr, 0
	.set _ZN7rocprim17ROCPRIM_400000_NS6detail17trampoline_kernelINS0_14default_configENS1_29reduce_by_key_config_selectorIilN6thrust23THRUST_200600_302600_NS4plusIlEEEEZZNS1_33reduce_by_key_impl_wrapped_configILNS1_25lookback_scan_determinismE0ES3_S9_PiNS6_17constant_iteratorIiNS6_11use_defaultESE_EENS6_10device_ptrIiEENSG_IlEEPmS8_NS6_8equal_toIiEEEE10hipError_tPvRmT2_T3_mT4_T5_T6_T7_T8_P12ihipStream_tbENKUlT_T0_E_clISt17integral_constantIbLb1EES13_EEDaSY_SZ_EUlSY_E_NS1_11comp_targetILNS1_3genE9ELNS1_11target_archE1100ELNS1_3gpuE3ELNS1_3repE0EEENS1_30default_config_static_selectorELNS0_4arch9wavefront6targetE1EEEvT1_.numbered_sgpr, 0
	.set _ZN7rocprim17ROCPRIM_400000_NS6detail17trampoline_kernelINS0_14default_configENS1_29reduce_by_key_config_selectorIilN6thrust23THRUST_200600_302600_NS4plusIlEEEEZZNS1_33reduce_by_key_impl_wrapped_configILNS1_25lookback_scan_determinismE0ES3_S9_PiNS6_17constant_iteratorIiNS6_11use_defaultESE_EENS6_10device_ptrIiEENSG_IlEEPmS8_NS6_8equal_toIiEEEE10hipError_tPvRmT2_T3_mT4_T5_T6_T7_T8_P12ihipStream_tbENKUlT_T0_E_clISt17integral_constantIbLb1EES13_EEDaSY_SZ_EUlSY_E_NS1_11comp_targetILNS1_3genE9ELNS1_11target_archE1100ELNS1_3gpuE3ELNS1_3repE0EEENS1_30default_config_static_selectorELNS0_4arch9wavefront6targetE1EEEvT1_.num_named_barrier, 0
	.set _ZN7rocprim17ROCPRIM_400000_NS6detail17trampoline_kernelINS0_14default_configENS1_29reduce_by_key_config_selectorIilN6thrust23THRUST_200600_302600_NS4plusIlEEEEZZNS1_33reduce_by_key_impl_wrapped_configILNS1_25lookback_scan_determinismE0ES3_S9_PiNS6_17constant_iteratorIiNS6_11use_defaultESE_EENS6_10device_ptrIiEENSG_IlEEPmS8_NS6_8equal_toIiEEEE10hipError_tPvRmT2_T3_mT4_T5_T6_T7_T8_P12ihipStream_tbENKUlT_T0_E_clISt17integral_constantIbLb1EES13_EEDaSY_SZ_EUlSY_E_NS1_11comp_targetILNS1_3genE9ELNS1_11target_archE1100ELNS1_3gpuE3ELNS1_3repE0EEENS1_30default_config_static_selectorELNS0_4arch9wavefront6targetE1EEEvT1_.private_seg_size, 0
	.set _ZN7rocprim17ROCPRIM_400000_NS6detail17trampoline_kernelINS0_14default_configENS1_29reduce_by_key_config_selectorIilN6thrust23THRUST_200600_302600_NS4plusIlEEEEZZNS1_33reduce_by_key_impl_wrapped_configILNS1_25lookback_scan_determinismE0ES3_S9_PiNS6_17constant_iteratorIiNS6_11use_defaultESE_EENS6_10device_ptrIiEENSG_IlEEPmS8_NS6_8equal_toIiEEEE10hipError_tPvRmT2_T3_mT4_T5_T6_T7_T8_P12ihipStream_tbENKUlT_T0_E_clISt17integral_constantIbLb1EES13_EEDaSY_SZ_EUlSY_E_NS1_11comp_targetILNS1_3genE9ELNS1_11target_archE1100ELNS1_3gpuE3ELNS1_3repE0EEENS1_30default_config_static_selectorELNS0_4arch9wavefront6targetE1EEEvT1_.uses_vcc, 0
	.set _ZN7rocprim17ROCPRIM_400000_NS6detail17trampoline_kernelINS0_14default_configENS1_29reduce_by_key_config_selectorIilN6thrust23THRUST_200600_302600_NS4plusIlEEEEZZNS1_33reduce_by_key_impl_wrapped_configILNS1_25lookback_scan_determinismE0ES3_S9_PiNS6_17constant_iteratorIiNS6_11use_defaultESE_EENS6_10device_ptrIiEENSG_IlEEPmS8_NS6_8equal_toIiEEEE10hipError_tPvRmT2_T3_mT4_T5_T6_T7_T8_P12ihipStream_tbENKUlT_T0_E_clISt17integral_constantIbLb1EES13_EEDaSY_SZ_EUlSY_E_NS1_11comp_targetILNS1_3genE9ELNS1_11target_archE1100ELNS1_3gpuE3ELNS1_3repE0EEENS1_30default_config_static_selectorELNS0_4arch9wavefront6targetE1EEEvT1_.uses_flat_scratch, 0
	.set _ZN7rocprim17ROCPRIM_400000_NS6detail17trampoline_kernelINS0_14default_configENS1_29reduce_by_key_config_selectorIilN6thrust23THRUST_200600_302600_NS4plusIlEEEEZZNS1_33reduce_by_key_impl_wrapped_configILNS1_25lookback_scan_determinismE0ES3_S9_PiNS6_17constant_iteratorIiNS6_11use_defaultESE_EENS6_10device_ptrIiEENSG_IlEEPmS8_NS6_8equal_toIiEEEE10hipError_tPvRmT2_T3_mT4_T5_T6_T7_T8_P12ihipStream_tbENKUlT_T0_E_clISt17integral_constantIbLb1EES13_EEDaSY_SZ_EUlSY_E_NS1_11comp_targetILNS1_3genE9ELNS1_11target_archE1100ELNS1_3gpuE3ELNS1_3repE0EEENS1_30default_config_static_selectorELNS0_4arch9wavefront6targetE1EEEvT1_.has_dyn_sized_stack, 0
	.set _ZN7rocprim17ROCPRIM_400000_NS6detail17trampoline_kernelINS0_14default_configENS1_29reduce_by_key_config_selectorIilN6thrust23THRUST_200600_302600_NS4plusIlEEEEZZNS1_33reduce_by_key_impl_wrapped_configILNS1_25lookback_scan_determinismE0ES3_S9_PiNS6_17constant_iteratorIiNS6_11use_defaultESE_EENS6_10device_ptrIiEENSG_IlEEPmS8_NS6_8equal_toIiEEEE10hipError_tPvRmT2_T3_mT4_T5_T6_T7_T8_P12ihipStream_tbENKUlT_T0_E_clISt17integral_constantIbLb1EES13_EEDaSY_SZ_EUlSY_E_NS1_11comp_targetILNS1_3genE9ELNS1_11target_archE1100ELNS1_3gpuE3ELNS1_3repE0EEENS1_30default_config_static_selectorELNS0_4arch9wavefront6targetE1EEEvT1_.has_recursion, 0
	.set _ZN7rocprim17ROCPRIM_400000_NS6detail17trampoline_kernelINS0_14default_configENS1_29reduce_by_key_config_selectorIilN6thrust23THRUST_200600_302600_NS4plusIlEEEEZZNS1_33reduce_by_key_impl_wrapped_configILNS1_25lookback_scan_determinismE0ES3_S9_PiNS6_17constant_iteratorIiNS6_11use_defaultESE_EENS6_10device_ptrIiEENSG_IlEEPmS8_NS6_8equal_toIiEEEE10hipError_tPvRmT2_T3_mT4_T5_T6_T7_T8_P12ihipStream_tbENKUlT_T0_E_clISt17integral_constantIbLb1EES13_EEDaSY_SZ_EUlSY_E_NS1_11comp_targetILNS1_3genE9ELNS1_11target_archE1100ELNS1_3gpuE3ELNS1_3repE0EEENS1_30default_config_static_selectorELNS0_4arch9wavefront6targetE1EEEvT1_.has_indirect_call, 0
	.section	.AMDGPU.csdata,"",@progbits
; Kernel info:
; codeLenInByte = 0
; TotalNumSgprs: 4
; NumVgprs: 0
; ScratchSize: 0
; MemoryBound: 0
; FloatMode: 240
; IeeeMode: 1
; LDSByteSize: 0 bytes/workgroup (compile time only)
; SGPRBlocks: 0
; VGPRBlocks: 0
; NumSGPRsForWavesPerEU: 4
; NumVGPRsForWavesPerEU: 1
; Occupancy: 10
; WaveLimiterHint : 0
; COMPUTE_PGM_RSRC2:SCRATCH_EN: 0
; COMPUTE_PGM_RSRC2:USER_SGPR: 6
; COMPUTE_PGM_RSRC2:TRAP_HANDLER: 0
; COMPUTE_PGM_RSRC2:TGID_X_EN: 1
; COMPUTE_PGM_RSRC2:TGID_Y_EN: 0
; COMPUTE_PGM_RSRC2:TGID_Z_EN: 0
; COMPUTE_PGM_RSRC2:TIDIG_COMP_CNT: 0
	.section	.text._ZN7rocprim17ROCPRIM_400000_NS6detail17trampoline_kernelINS0_14default_configENS1_29reduce_by_key_config_selectorIilN6thrust23THRUST_200600_302600_NS4plusIlEEEEZZNS1_33reduce_by_key_impl_wrapped_configILNS1_25lookback_scan_determinismE0ES3_S9_PiNS6_17constant_iteratorIiNS6_11use_defaultESE_EENS6_10device_ptrIiEENSG_IlEEPmS8_NS6_8equal_toIiEEEE10hipError_tPvRmT2_T3_mT4_T5_T6_T7_T8_P12ihipStream_tbENKUlT_T0_E_clISt17integral_constantIbLb1EES13_EEDaSY_SZ_EUlSY_E_NS1_11comp_targetILNS1_3genE8ELNS1_11target_archE1030ELNS1_3gpuE2ELNS1_3repE0EEENS1_30default_config_static_selectorELNS0_4arch9wavefront6targetE1EEEvT1_,"axG",@progbits,_ZN7rocprim17ROCPRIM_400000_NS6detail17trampoline_kernelINS0_14default_configENS1_29reduce_by_key_config_selectorIilN6thrust23THRUST_200600_302600_NS4plusIlEEEEZZNS1_33reduce_by_key_impl_wrapped_configILNS1_25lookback_scan_determinismE0ES3_S9_PiNS6_17constant_iteratorIiNS6_11use_defaultESE_EENS6_10device_ptrIiEENSG_IlEEPmS8_NS6_8equal_toIiEEEE10hipError_tPvRmT2_T3_mT4_T5_T6_T7_T8_P12ihipStream_tbENKUlT_T0_E_clISt17integral_constantIbLb1EES13_EEDaSY_SZ_EUlSY_E_NS1_11comp_targetILNS1_3genE8ELNS1_11target_archE1030ELNS1_3gpuE2ELNS1_3repE0EEENS1_30default_config_static_selectorELNS0_4arch9wavefront6targetE1EEEvT1_,comdat
	.protected	_ZN7rocprim17ROCPRIM_400000_NS6detail17trampoline_kernelINS0_14default_configENS1_29reduce_by_key_config_selectorIilN6thrust23THRUST_200600_302600_NS4plusIlEEEEZZNS1_33reduce_by_key_impl_wrapped_configILNS1_25lookback_scan_determinismE0ES3_S9_PiNS6_17constant_iteratorIiNS6_11use_defaultESE_EENS6_10device_ptrIiEENSG_IlEEPmS8_NS6_8equal_toIiEEEE10hipError_tPvRmT2_T3_mT4_T5_T6_T7_T8_P12ihipStream_tbENKUlT_T0_E_clISt17integral_constantIbLb1EES13_EEDaSY_SZ_EUlSY_E_NS1_11comp_targetILNS1_3genE8ELNS1_11target_archE1030ELNS1_3gpuE2ELNS1_3repE0EEENS1_30default_config_static_selectorELNS0_4arch9wavefront6targetE1EEEvT1_ ; -- Begin function _ZN7rocprim17ROCPRIM_400000_NS6detail17trampoline_kernelINS0_14default_configENS1_29reduce_by_key_config_selectorIilN6thrust23THRUST_200600_302600_NS4plusIlEEEEZZNS1_33reduce_by_key_impl_wrapped_configILNS1_25lookback_scan_determinismE0ES3_S9_PiNS6_17constant_iteratorIiNS6_11use_defaultESE_EENS6_10device_ptrIiEENSG_IlEEPmS8_NS6_8equal_toIiEEEE10hipError_tPvRmT2_T3_mT4_T5_T6_T7_T8_P12ihipStream_tbENKUlT_T0_E_clISt17integral_constantIbLb1EES13_EEDaSY_SZ_EUlSY_E_NS1_11comp_targetILNS1_3genE8ELNS1_11target_archE1030ELNS1_3gpuE2ELNS1_3repE0EEENS1_30default_config_static_selectorELNS0_4arch9wavefront6targetE1EEEvT1_
	.globl	_ZN7rocprim17ROCPRIM_400000_NS6detail17trampoline_kernelINS0_14default_configENS1_29reduce_by_key_config_selectorIilN6thrust23THRUST_200600_302600_NS4plusIlEEEEZZNS1_33reduce_by_key_impl_wrapped_configILNS1_25lookback_scan_determinismE0ES3_S9_PiNS6_17constant_iteratorIiNS6_11use_defaultESE_EENS6_10device_ptrIiEENSG_IlEEPmS8_NS6_8equal_toIiEEEE10hipError_tPvRmT2_T3_mT4_T5_T6_T7_T8_P12ihipStream_tbENKUlT_T0_E_clISt17integral_constantIbLb1EES13_EEDaSY_SZ_EUlSY_E_NS1_11comp_targetILNS1_3genE8ELNS1_11target_archE1030ELNS1_3gpuE2ELNS1_3repE0EEENS1_30default_config_static_selectorELNS0_4arch9wavefront6targetE1EEEvT1_
	.p2align	8
	.type	_ZN7rocprim17ROCPRIM_400000_NS6detail17trampoline_kernelINS0_14default_configENS1_29reduce_by_key_config_selectorIilN6thrust23THRUST_200600_302600_NS4plusIlEEEEZZNS1_33reduce_by_key_impl_wrapped_configILNS1_25lookback_scan_determinismE0ES3_S9_PiNS6_17constant_iteratorIiNS6_11use_defaultESE_EENS6_10device_ptrIiEENSG_IlEEPmS8_NS6_8equal_toIiEEEE10hipError_tPvRmT2_T3_mT4_T5_T6_T7_T8_P12ihipStream_tbENKUlT_T0_E_clISt17integral_constantIbLb1EES13_EEDaSY_SZ_EUlSY_E_NS1_11comp_targetILNS1_3genE8ELNS1_11target_archE1030ELNS1_3gpuE2ELNS1_3repE0EEENS1_30default_config_static_selectorELNS0_4arch9wavefront6targetE1EEEvT1_,@function
_ZN7rocprim17ROCPRIM_400000_NS6detail17trampoline_kernelINS0_14default_configENS1_29reduce_by_key_config_selectorIilN6thrust23THRUST_200600_302600_NS4plusIlEEEEZZNS1_33reduce_by_key_impl_wrapped_configILNS1_25lookback_scan_determinismE0ES3_S9_PiNS6_17constant_iteratorIiNS6_11use_defaultESE_EENS6_10device_ptrIiEENSG_IlEEPmS8_NS6_8equal_toIiEEEE10hipError_tPvRmT2_T3_mT4_T5_T6_T7_T8_P12ihipStream_tbENKUlT_T0_E_clISt17integral_constantIbLb1EES13_EEDaSY_SZ_EUlSY_E_NS1_11comp_targetILNS1_3genE8ELNS1_11target_archE1030ELNS1_3gpuE2ELNS1_3repE0EEENS1_30default_config_static_selectorELNS0_4arch9wavefront6targetE1EEEvT1_: ; @_ZN7rocprim17ROCPRIM_400000_NS6detail17trampoline_kernelINS0_14default_configENS1_29reduce_by_key_config_selectorIilN6thrust23THRUST_200600_302600_NS4plusIlEEEEZZNS1_33reduce_by_key_impl_wrapped_configILNS1_25lookback_scan_determinismE0ES3_S9_PiNS6_17constant_iteratorIiNS6_11use_defaultESE_EENS6_10device_ptrIiEENSG_IlEEPmS8_NS6_8equal_toIiEEEE10hipError_tPvRmT2_T3_mT4_T5_T6_T7_T8_P12ihipStream_tbENKUlT_T0_E_clISt17integral_constantIbLb1EES13_EEDaSY_SZ_EUlSY_E_NS1_11comp_targetILNS1_3genE8ELNS1_11target_archE1030ELNS1_3gpuE2ELNS1_3repE0EEENS1_30default_config_static_selectorELNS0_4arch9wavefront6targetE1EEEvT1_
; %bb.0:
	.section	.rodata,"a",@progbits
	.p2align	6, 0x0
	.amdhsa_kernel _ZN7rocprim17ROCPRIM_400000_NS6detail17trampoline_kernelINS0_14default_configENS1_29reduce_by_key_config_selectorIilN6thrust23THRUST_200600_302600_NS4plusIlEEEEZZNS1_33reduce_by_key_impl_wrapped_configILNS1_25lookback_scan_determinismE0ES3_S9_PiNS6_17constant_iteratorIiNS6_11use_defaultESE_EENS6_10device_ptrIiEENSG_IlEEPmS8_NS6_8equal_toIiEEEE10hipError_tPvRmT2_T3_mT4_T5_T6_T7_T8_P12ihipStream_tbENKUlT_T0_E_clISt17integral_constantIbLb1EES13_EEDaSY_SZ_EUlSY_E_NS1_11comp_targetILNS1_3genE8ELNS1_11target_archE1030ELNS1_3gpuE2ELNS1_3repE0EEENS1_30default_config_static_selectorELNS0_4arch9wavefront6targetE1EEEvT1_
		.amdhsa_group_segment_fixed_size 0
		.amdhsa_private_segment_fixed_size 0
		.amdhsa_kernarg_size 144
		.amdhsa_user_sgpr_count 6
		.amdhsa_user_sgpr_private_segment_buffer 1
		.amdhsa_user_sgpr_dispatch_ptr 0
		.amdhsa_user_sgpr_queue_ptr 0
		.amdhsa_user_sgpr_kernarg_segment_ptr 1
		.amdhsa_user_sgpr_dispatch_id 0
		.amdhsa_user_sgpr_flat_scratch_init 0
		.amdhsa_user_sgpr_private_segment_size 0
		.amdhsa_uses_dynamic_stack 0
		.amdhsa_system_sgpr_private_segment_wavefront_offset 0
		.amdhsa_system_sgpr_workgroup_id_x 1
		.amdhsa_system_sgpr_workgroup_id_y 0
		.amdhsa_system_sgpr_workgroup_id_z 0
		.amdhsa_system_sgpr_workgroup_info 0
		.amdhsa_system_vgpr_workitem_id 0
		.amdhsa_next_free_vgpr 1
		.amdhsa_next_free_sgpr 0
		.amdhsa_reserve_vcc 0
		.amdhsa_reserve_flat_scratch 0
		.amdhsa_float_round_mode_32 0
		.amdhsa_float_round_mode_16_64 0
		.amdhsa_float_denorm_mode_32 3
		.amdhsa_float_denorm_mode_16_64 3
		.amdhsa_dx10_clamp 1
		.amdhsa_ieee_mode 1
		.amdhsa_fp16_overflow 0
		.amdhsa_exception_fp_ieee_invalid_op 0
		.amdhsa_exception_fp_denorm_src 0
		.amdhsa_exception_fp_ieee_div_zero 0
		.amdhsa_exception_fp_ieee_overflow 0
		.amdhsa_exception_fp_ieee_underflow 0
		.amdhsa_exception_fp_ieee_inexact 0
		.amdhsa_exception_int_div_zero 0
	.end_amdhsa_kernel
	.section	.text._ZN7rocprim17ROCPRIM_400000_NS6detail17trampoline_kernelINS0_14default_configENS1_29reduce_by_key_config_selectorIilN6thrust23THRUST_200600_302600_NS4plusIlEEEEZZNS1_33reduce_by_key_impl_wrapped_configILNS1_25lookback_scan_determinismE0ES3_S9_PiNS6_17constant_iteratorIiNS6_11use_defaultESE_EENS6_10device_ptrIiEENSG_IlEEPmS8_NS6_8equal_toIiEEEE10hipError_tPvRmT2_T3_mT4_T5_T6_T7_T8_P12ihipStream_tbENKUlT_T0_E_clISt17integral_constantIbLb1EES13_EEDaSY_SZ_EUlSY_E_NS1_11comp_targetILNS1_3genE8ELNS1_11target_archE1030ELNS1_3gpuE2ELNS1_3repE0EEENS1_30default_config_static_selectorELNS0_4arch9wavefront6targetE1EEEvT1_,"axG",@progbits,_ZN7rocprim17ROCPRIM_400000_NS6detail17trampoline_kernelINS0_14default_configENS1_29reduce_by_key_config_selectorIilN6thrust23THRUST_200600_302600_NS4plusIlEEEEZZNS1_33reduce_by_key_impl_wrapped_configILNS1_25lookback_scan_determinismE0ES3_S9_PiNS6_17constant_iteratorIiNS6_11use_defaultESE_EENS6_10device_ptrIiEENSG_IlEEPmS8_NS6_8equal_toIiEEEE10hipError_tPvRmT2_T3_mT4_T5_T6_T7_T8_P12ihipStream_tbENKUlT_T0_E_clISt17integral_constantIbLb1EES13_EEDaSY_SZ_EUlSY_E_NS1_11comp_targetILNS1_3genE8ELNS1_11target_archE1030ELNS1_3gpuE2ELNS1_3repE0EEENS1_30default_config_static_selectorELNS0_4arch9wavefront6targetE1EEEvT1_,comdat
.Lfunc_end955:
	.size	_ZN7rocprim17ROCPRIM_400000_NS6detail17trampoline_kernelINS0_14default_configENS1_29reduce_by_key_config_selectorIilN6thrust23THRUST_200600_302600_NS4plusIlEEEEZZNS1_33reduce_by_key_impl_wrapped_configILNS1_25lookback_scan_determinismE0ES3_S9_PiNS6_17constant_iteratorIiNS6_11use_defaultESE_EENS6_10device_ptrIiEENSG_IlEEPmS8_NS6_8equal_toIiEEEE10hipError_tPvRmT2_T3_mT4_T5_T6_T7_T8_P12ihipStream_tbENKUlT_T0_E_clISt17integral_constantIbLb1EES13_EEDaSY_SZ_EUlSY_E_NS1_11comp_targetILNS1_3genE8ELNS1_11target_archE1030ELNS1_3gpuE2ELNS1_3repE0EEENS1_30default_config_static_selectorELNS0_4arch9wavefront6targetE1EEEvT1_, .Lfunc_end955-_ZN7rocprim17ROCPRIM_400000_NS6detail17trampoline_kernelINS0_14default_configENS1_29reduce_by_key_config_selectorIilN6thrust23THRUST_200600_302600_NS4plusIlEEEEZZNS1_33reduce_by_key_impl_wrapped_configILNS1_25lookback_scan_determinismE0ES3_S9_PiNS6_17constant_iteratorIiNS6_11use_defaultESE_EENS6_10device_ptrIiEENSG_IlEEPmS8_NS6_8equal_toIiEEEE10hipError_tPvRmT2_T3_mT4_T5_T6_T7_T8_P12ihipStream_tbENKUlT_T0_E_clISt17integral_constantIbLb1EES13_EEDaSY_SZ_EUlSY_E_NS1_11comp_targetILNS1_3genE8ELNS1_11target_archE1030ELNS1_3gpuE2ELNS1_3repE0EEENS1_30default_config_static_selectorELNS0_4arch9wavefront6targetE1EEEvT1_
                                        ; -- End function
	.set _ZN7rocprim17ROCPRIM_400000_NS6detail17trampoline_kernelINS0_14default_configENS1_29reduce_by_key_config_selectorIilN6thrust23THRUST_200600_302600_NS4plusIlEEEEZZNS1_33reduce_by_key_impl_wrapped_configILNS1_25lookback_scan_determinismE0ES3_S9_PiNS6_17constant_iteratorIiNS6_11use_defaultESE_EENS6_10device_ptrIiEENSG_IlEEPmS8_NS6_8equal_toIiEEEE10hipError_tPvRmT2_T3_mT4_T5_T6_T7_T8_P12ihipStream_tbENKUlT_T0_E_clISt17integral_constantIbLb1EES13_EEDaSY_SZ_EUlSY_E_NS1_11comp_targetILNS1_3genE8ELNS1_11target_archE1030ELNS1_3gpuE2ELNS1_3repE0EEENS1_30default_config_static_selectorELNS0_4arch9wavefront6targetE1EEEvT1_.num_vgpr, 0
	.set _ZN7rocprim17ROCPRIM_400000_NS6detail17trampoline_kernelINS0_14default_configENS1_29reduce_by_key_config_selectorIilN6thrust23THRUST_200600_302600_NS4plusIlEEEEZZNS1_33reduce_by_key_impl_wrapped_configILNS1_25lookback_scan_determinismE0ES3_S9_PiNS6_17constant_iteratorIiNS6_11use_defaultESE_EENS6_10device_ptrIiEENSG_IlEEPmS8_NS6_8equal_toIiEEEE10hipError_tPvRmT2_T3_mT4_T5_T6_T7_T8_P12ihipStream_tbENKUlT_T0_E_clISt17integral_constantIbLb1EES13_EEDaSY_SZ_EUlSY_E_NS1_11comp_targetILNS1_3genE8ELNS1_11target_archE1030ELNS1_3gpuE2ELNS1_3repE0EEENS1_30default_config_static_selectorELNS0_4arch9wavefront6targetE1EEEvT1_.num_agpr, 0
	.set _ZN7rocprim17ROCPRIM_400000_NS6detail17trampoline_kernelINS0_14default_configENS1_29reduce_by_key_config_selectorIilN6thrust23THRUST_200600_302600_NS4plusIlEEEEZZNS1_33reduce_by_key_impl_wrapped_configILNS1_25lookback_scan_determinismE0ES3_S9_PiNS6_17constant_iteratorIiNS6_11use_defaultESE_EENS6_10device_ptrIiEENSG_IlEEPmS8_NS6_8equal_toIiEEEE10hipError_tPvRmT2_T3_mT4_T5_T6_T7_T8_P12ihipStream_tbENKUlT_T0_E_clISt17integral_constantIbLb1EES13_EEDaSY_SZ_EUlSY_E_NS1_11comp_targetILNS1_3genE8ELNS1_11target_archE1030ELNS1_3gpuE2ELNS1_3repE0EEENS1_30default_config_static_selectorELNS0_4arch9wavefront6targetE1EEEvT1_.numbered_sgpr, 0
	.set _ZN7rocprim17ROCPRIM_400000_NS6detail17trampoline_kernelINS0_14default_configENS1_29reduce_by_key_config_selectorIilN6thrust23THRUST_200600_302600_NS4plusIlEEEEZZNS1_33reduce_by_key_impl_wrapped_configILNS1_25lookback_scan_determinismE0ES3_S9_PiNS6_17constant_iteratorIiNS6_11use_defaultESE_EENS6_10device_ptrIiEENSG_IlEEPmS8_NS6_8equal_toIiEEEE10hipError_tPvRmT2_T3_mT4_T5_T6_T7_T8_P12ihipStream_tbENKUlT_T0_E_clISt17integral_constantIbLb1EES13_EEDaSY_SZ_EUlSY_E_NS1_11comp_targetILNS1_3genE8ELNS1_11target_archE1030ELNS1_3gpuE2ELNS1_3repE0EEENS1_30default_config_static_selectorELNS0_4arch9wavefront6targetE1EEEvT1_.num_named_barrier, 0
	.set _ZN7rocprim17ROCPRIM_400000_NS6detail17trampoline_kernelINS0_14default_configENS1_29reduce_by_key_config_selectorIilN6thrust23THRUST_200600_302600_NS4plusIlEEEEZZNS1_33reduce_by_key_impl_wrapped_configILNS1_25lookback_scan_determinismE0ES3_S9_PiNS6_17constant_iteratorIiNS6_11use_defaultESE_EENS6_10device_ptrIiEENSG_IlEEPmS8_NS6_8equal_toIiEEEE10hipError_tPvRmT2_T3_mT4_T5_T6_T7_T8_P12ihipStream_tbENKUlT_T0_E_clISt17integral_constantIbLb1EES13_EEDaSY_SZ_EUlSY_E_NS1_11comp_targetILNS1_3genE8ELNS1_11target_archE1030ELNS1_3gpuE2ELNS1_3repE0EEENS1_30default_config_static_selectorELNS0_4arch9wavefront6targetE1EEEvT1_.private_seg_size, 0
	.set _ZN7rocprim17ROCPRIM_400000_NS6detail17trampoline_kernelINS0_14default_configENS1_29reduce_by_key_config_selectorIilN6thrust23THRUST_200600_302600_NS4plusIlEEEEZZNS1_33reduce_by_key_impl_wrapped_configILNS1_25lookback_scan_determinismE0ES3_S9_PiNS6_17constant_iteratorIiNS6_11use_defaultESE_EENS6_10device_ptrIiEENSG_IlEEPmS8_NS6_8equal_toIiEEEE10hipError_tPvRmT2_T3_mT4_T5_T6_T7_T8_P12ihipStream_tbENKUlT_T0_E_clISt17integral_constantIbLb1EES13_EEDaSY_SZ_EUlSY_E_NS1_11comp_targetILNS1_3genE8ELNS1_11target_archE1030ELNS1_3gpuE2ELNS1_3repE0EEENS1_30default_config_static_selectorELNS0_4arch9wavefront6targetE1EEEvT1_.uses_vcc, 0
	.set _ZN7rocprim17ROCPRIM_400000_NS6detail17trampoline_kernelINS0_14default_configENS1_29reduce_by_key_config_selectorIilN6thrust23THRUST_200600_302600_NS4plusIlEEEEZZNS1_33reduce_by_key_impl_wrapped_configILNS1_25lookback_scan_determinismE0ES3_S9_PiNS6_17constant_iteratorIiNS6_11use_defaultESE_EENS6_10device_ptrIiEENSG_IlEEPmS8_NS6_8equal_toIiEEEE10hipError_tPvRmT2_T3_mT4_T5_T6_T7_T8_P12ihipStream_tbENKUlT_T0_E_clISt17integral_constantIbLb1EES13_EEDaSY_SZ_EUlSY_E_NS1_11comp_targetILNS1_3genE8ELNS1_11target_archE1030ELNS1_3gpuE2ELNS1_3repE0EEENS1_30default_config_static_selectorELNS0_4arch9wavefront6targetE1EEEvT1_.uses_flat_scratch, 0
	.set _ZN7rocprim17ROCPRIM_400000_NS6detail17trampoline_kernelINS0_14default_configENS1_29reduce_by_key_config_selectorIilN6thrust23THRUST_200600_302600_NS4plusIlEEEEZZNS1_33reduce_by_key_impl_wrapped_configILNS1_25lookback_scan_determinismE0ES3_S9_PiNS6_17constant_iteratorIiNS6_11use_defaultESE_EENS6_10device_ptrIiEENSG_IlEEPmS8_NS6_8equal_toIiEEEE10hipError_tPvRmT2_T3_mT4_T5_T6_T7_T8_P12ihipStream_tbENKUlT_T0_E_clISt17integral_constantIbLb1EES13_EEDaSY_SZ_EUlSY_E_NS1_11comp_targetILNS1_3genE8ELNS1_11target_archE1030ELNS1_3gpuE2ELNS1_3repE0EEENS1_30default_config_static_selectorELNS0_4arch9wavefront6targetE1EEEvT1_.has_dyn_sized_stack, 0
	.set _ZN7rocprim17ROCPRIM_400000_NS6detail17trampoline_kernelINS0_14default_configENS1_29reduce_by_key_config_selectorIilN6thrust23THRUST_200600_302600_NS4plusIlEEEEZZNS1_33reduce_by_key_impl_wrapped_configILNS1_25lookback_scan_determinismE0ES3_S9_PiNS6_17constant_iteratorIiNS6_11use_defaultESE_EENS6_10device_ptrIiEENSG_IlEEPmS8_NS6_8equal_toIiEEEE10hipError_tPvRmT2_T3_mT4_T5_T6_T7_T8_P12ihipStream_tbENKUlT_T0_E_clISt17integral_constantIbLb1EES13_EEDaSY_SZ_EUlSY_E_NS1_11comp_targetILNS1_3genE8ELNS1_11target_archE1030ELNS1_3gpuE2ELNS1_3repE0EEENS1_30default_config_static_selectorELNS0_4arch9wavefront6targetE1EEEvT1_.has_recursion, 0
	.set _ZN7rocprim17ROCPRIM_400000_NS6detail17trampoline_kernelINS0_14default_configENS1_29reduce_by_key_config_selectorIilN6thrust23THRUST_200600_302600_NS4plusIlEEEEZZNS1_33reduce_by_key_impl_wrapped_configILNS1_25lookback_scan_determinismE0ES3_S9_PiNS6_17constant_iteratorIiNS6_11use_defaultESE_EENS6_10device_ptrIiEENSG_IlEEPmS8_NS6_8equal_toIiEEEE10hipError_tPvRmT2_T3_mT4_T5_T6_T7_T8_P12ihipStream_tbENKUlT_T0_E_clISt17integral_constantIbLb1EES13_EEDaSY_SZ_EUlSY_E_NS1_11comp_targetILNS1_3genE8ELNS1_11target_archE1030ELNS1_3gpuE2ELNS1_3repE0EEENS1_30default_config_static_selectorELNS0_4arch9wavefront6targetE1EEEvT1_.has_indirect_call, 0
	.section	.AMDGPU.csdata,"",@progbits
; Kernel info:
; codeLenInByte = 0
; TotalNumSgprs: 4
; NumVgprs: 0
; ScratchSize: 0
; MemoryBound: 0
; FloatMode: 240
; IeeeMode: 1
; LDSByteSize: 0 bytes/workgroup (compile time only)
; SGPRBlocks: 0
; VGPRBlocks: 0
; NumSGPRsForWavesPerEU: 4
; NumVGPRsForWavesPerEU: 1
; Occupancy: 10
; WaveLimiterHint : 0
; COMPUTE_PGM_RSRC2:SCRATCH_EN: 0
; COMPUTE_PGM_RSRC2:USER_SGPR: 6
; COMPUTE_PGM_RSRC2:TRAP_HANDLER: 0
; COMPUTE_PGM_RSRC2:TGID_X_EN: 1
; COMPUTE_PGM_RSRC2:TGID_Y_EN: 0
; COMPUTE_PGM_RSRC2:TGID_Z_EN: 0
; COMPUTE_PGM_RSRC2:TIDIG_COMP_CNT: 0
	.section	.text._ZN7rocprim17ROCPRIM_400000_NS6detail17trampoline_kernelINS0_14default_configENS1_29reduce_by_key_config_selectorIilN6thrust23THRUST_200600_302600_NS4plusIlEEEEZZNS1_33reduce_by_key_impl_wrapped_configILNS1_25lookback_scan_determinismE0ES3_S9_PiNS6_17constant_iteratorIiNS6_11use_defaultESE_EENS6_10device_ptrIiEENSG_IlEEPmS8_NS6_8equal_toIiEEEE10hipError_tPvRmT2_T3_mT4_T5_T6_T7_T8_P12ihipStream_tbENKUlT_T0_E_clISt17integral_constantIbLb1EES12_IbLb0EEEEDaSY_SZ_EUlSY_E_NS1_11comp_targetILNS1_3genE0ELNS1_11target_archE4294967295ELNS1_3gpuE0ELNS1_3repE0EEENS1_30default_config_static_selectorELNS0_4arch9wavefront6targetE1EEEvT1_,"axG",@progbits,_ZN7rocprim17ROCPRIM_400000_NS6detail17trampoline_kernelINS0_14default_configENS1_29reduce_by_key_config_selectorIilN6thrust23THRUST_200600_302600_NS4plusIlEEEEZZNS1_33reduce_by_key_impl_wrapped_configILNS1_25lookback_scan_determinismE0ES3_S9_PiNS6_17constant_iteratorIiNS6_11use_defaultESE_EENS6_10device_ptrIiEENSG_IlEEPmS8_NS6_8equal_toIiEEEE10hipError_tPvRmT2_T3_mT4_T5_T6_T7_T8_P12ihipStream_tbENKUlT_T0_E_clISt17integral_constantIbLb1EES12_IbLb0EEEEDaSY_SZ_EUlSY_E_NS1_11comp_targetILNS1_3genE0ELNS1_11target_archE4294967295ELNS1_3gpuE0ELNS1_3repE0EEENS1_30default_config_static_selectorELNS0_4arch9wavefront6targetE1EEEvT1_,comdat
	.protected	_ZN7rocprim17ROCPRIM_400000_NS6detail17trampoline_kernelINS0_14default_configENS1_29reduce_by_key_config_selectorIilN6thrust23THRUST_200600_302600_NS4plusIlEEEEZZNS1_33reduce_by_key_impl_wrapped_configILNS1_25lookback_scan_determinismE0ES3_S9_PiNS6_17constant_iteratorIiNS6_11use_defaultESE_EENS6_10device_ptrIiEENSG_IlEEPmS8_NS6_8equal_toIiEEEE10hipError_tPvRmT2_T3_mT4_T5_T6_T7_T8_P12ihipStream_tbENKUlT_T0_E_clISt17integral_constantIbLb1EES12_IbLb0EEEEDaSY_SZ_EUlSY_E_NS1_11comp_targetILNS1_3genE0ELNS1_11target_archE4294967295ELNS1_3gpuE0ELNS1_3repE0EEENS1_30default_config_static_selectorELNS0_4arch9wavefront6targetE1EEEvT1_ ; -- Begin function _ZN7rocprim17ROCPRIM_400000_NS6detail17trampoline_kernelINS0_14default_configENS1_29reduce_by_key_config_selectorIilN6thrust23THRUST_200600_302600_NS4plusIlEEEEZZNS1_33reduce_by_key_impl_wrapped_configILNS1_25lookback_scan_determinismE0ES3_S9_PiNS6_17constant_iteratorIiNS6_11use_defaultESE_EENS6_10device_ptrIiEENSG_IlEEPmS8_NS6_8equal_toIiEEEE10hipError_tPvRmT2_T3_mT4_T5_T6_T7_T8_P12ihipStream_tbENKUlT_T0_E_clISt17integral_constantIbLb1EES12_IbLb0EEEEDaSY_SZ_EUlSY_E_NS1_11comp_targetILNS1_3genE0ELNS1_11target_archE4294967295ELNS1_3gpuE0ELNS1_3repE0EEENS1_30default_config_static_selectorELNS0_4arch9wavefront6targetE1EEEvT1_
	.globl	_ZN7rocprim17ROCPRIM_400000_NS6detail17trampoline_kernelINS0_14default_configENS1_29reduce_by_key_config_selectorIilN6thrust23THRUST_200600_302600_NS4plusIlEEEEZZNS1_33reduce_by_key_impl_wrapped_configILNS1_25lookback_scan_determinismE0ES3_S9_PiNS6_17constant_iteratorIiNS6_11use_defaultESE_EENS6_10device_ptrIiEENSG_IlEEPmS8_NS6_8equal_toIiEEEE10hipError_tPvRmT2_T3_mT4_T5_T6_T7_T8_P12ihipStream_tbENKUlT_T0_E_clISt17integral_constantIbLb1EES12_IbLb0EEEEDaSY_SZ_EUlSY_E_NS1_11comp_targetILNS1_3genE0ELNS1_11target_archE4294967295ELNS1_3gpuE0ELNS1_3repE0EEENS1_30default_config_static_selectorELNS0_4arch9wavefront6targetE1EEEvT1_
	.p2align	8
	.type	_ZN7rocprim17ROCPRIM_400000_NS6detail17trampoline_kernelINS0_14default_configENS1_29reduce_by_key_config_selectorIilN6thrust23THRUST_200600_302600_NS4plusIlEEEEZZNS1_33reduce_by_key_impl_wrapped_configILNS1_25lookback_scan_determinismE0ES3_S9_PiNS6_17constant_iteratorIiNS6_11use_defaultESE_EENS6_10device_ptrIiEENSG_IlEEPmS8_NS6_8equal_toIiEEEE10hipError_tPvRmT2_T3_mT4_T5_T6_T7_T8_P12ihipStream_tbENKUlT_T0_E_clISt17integral_constantIbLb1EES12_IbLb0EEEEDaSY_SZ_EUlSY_E_NS1_11comp_targetILNS1_3genE0ELNS1_11target_archE4294967295ELNS1_3gpuE0ELNS1_3repE0EEENS1_30default_config_static_selectorELNS0_4arch9wavefront6targetE1EEEvT1_,@function
_ZN7rocprim17ROCPRIM_400000_NS6detail17trampoline_kernelINS0_14default_configENS1_29reduce_by_key_config_selectorIilN6thrust23THRUST_200600_302600_NS4plusIlEEEEZZNS1_33reduce_by_key_impl_wrapped_configILNS1_25lookback_scan_determinismE0ES3_S9_PiNS6_17constant_iteratorIiNS6_11use_defaultESE_EENS6_10device_ptrIiEENSG_IlEEPmS8_NS6_8equal_toIiEEEE10hipError_tPvRmT2_T3_mT4_T5_T6_T7_T8_P12ihipStream_tbENKUlT_T0_E_clISt17integral_constantIbLb1EES12_IbLb0EEEEDaSY_SZ_EUlSY_E_NS1_11comp_targetILNS1_3genE0ELNS1_11target_archE4294967295ELNS1_3gpuE0ELNS1_3repE0EEENS1_30default_config_static_selectorELNS0_4arch9wavefront6targetE1EEEvT1_: ; @_ZN7rocprim17ROCPRIM_400000_NS6detail17trampoline_kernelINS0_14default_configENS1_29reduce_by_key_config_selectorIilN6thrust23THRUST_200600_302600_NS4plusIlEEEEZZNS1_33reduce_by_key_impl_wrapped_configILNS1_25lookback_scan_determinismE0ES3_S9_PiNS6_17constant_iteratorIiNS6_11use_defaultESE_EENS6_10device_ptrIiEENSG_IlEEPmS8_NS6_8equal_toIiEEEE10hipError_tPvRmT2_T3_mT4_T5_T6_T7_T8_P12ihipStream_tbENKUlT_T0_E_clISt17integral_constantIbLb1EES12_IbLb0EEEEDaSY_SZ_EUlSY_E_NS1_11comp_targetILNS1_3genE0ELNS1_11target_archE4294967295ELNS1_3gpuE0ELNS1_3repE0EEENS1_30default_config_static_selectorELNS0_4arch9wavefront6targetE1EEEvT1_
; %bb.0:
	.section	.rodata,"a",@progbits
	.p2align	6, 0x0
	.amdhsa_kernel _ZN7rocprim17ROCPRIM_400000_NS6detail17trampoline_kernelINS0_14default_configENS1_29reduce_by_key_config_selectorIilN6thrust23THRUST_200600_302600_NS4plusIlEEEEZZNS1_33reduce_by_key_impl_wrapped_configILNS1_25lookback_scan_determinismE0ES3_S9_PiNS6_17constant_iteratorIiNS6_11use_defaultESE_EENS6_10device_ptrIiEENSG_IlEEPmS8_NS6_8equal_toIiEEEE10hipError_tPvRmT2_T3_mT4_T5_T6_T7_T8_P12ihipStream_tbENKUlT_T0_E_clISt17integral_constantIbLb1EES12_IbLb0EEEEDaSY_SZ_EUlSY_E_NS1_11comp_targetILNS1_3genE0ELNS1_11target_archE4294967295ELNS1_3gpuE0ELNS1_3repE0EEENS1_30default_config_static_selectorELNS0_4arch9wavefront6targetE1EEEvT1_
		.amdhsa_group_segment_fixed_size 0
		.amdhsa_private_segment_fixed_size 0
		.amdhsa_kernarg_size 144
		.amdhsa_user_sgpr_count 6
		.amdhsa_user_sgpr_private_segment_buffer 1
		.amdhsa_user_sgpr_dispatch_ptr 0
		.amdhsa_user_sgpr_queue_ptr 0
		.amdhsa_user_sgpr_kernarg_segment_ptr 1
		.amdhsa_user_sgpr_dispatch_id 0
		.amdhsa_user_sgpr_flat_scratch_init 0
		.amdhsa_user_sgpr_private_segment_size 0
		.amdhsa_uses_dynamic_stack 0
		.amdhsa_system_sgpr_private_segment_wavefront_offset 0
		.amdhsa_system_sgpr_workgroup_id_x 1
		.amdhsa_system_sgpr_workgroup_id_y 0
		.amdhsa_system_sgpr_workgroup_id_z 0
		.amdhsa_system_sgpr_workgroup_info 0
		.amdhsa_system_vgpr_workitem_id 0
		.amdhsa_next_free_vgpr 1
		.amdhsa_next_free_sgpr 0
		.amdhsa_reserve_vcc 0
		.amdhsa_reserve_flat_scratch 0
		.amdhsa_float_round_mode_32 0
		.amdhsa_float_round_mode_16_64 0
		.amdhsa_float_denorm_mode_32 3
		.amdhsa_float_denorm_mode_16_64 3
		.amdhsa_dx10_clamp 1
		.amdhsa_ieee_mode 1
		.amdhsa_fp16_overflow 0
		.amdhsa_exception_fp_ieee_invalid_op 0
		.amdhsa_exception_fp_denorm_src 0
		.amdhsa_exception_fp_ieee_div_zero 0
		.amdhsa_exception_fp_ieee_overflow 0
		.amdhsa_exception_fp_ieee_underflow 0
		.amdhsa_exception_fp_ieee_inexact 0
		.amdhsa_exception_int_div_zero 0
	.end_amdhsa_kernel
	.section	.text._ZN7rocprim17ROCPRIM_400000_NS6detail17trampoline_kernelINS0_14default_configENS1_29reduce_by_key_config_selectorIilN6thrust23THRUST_200600_302600_NS4plusIlEEEEZZNS1_33reduce_by_key_impl_wrapped_configILNS1_25lookback_scan_determinismE0ES3_S9_PiNS6_17constant_iteratorIiNS6_11use_defaultESE_EENS6_10device_ptrIiEENSG_IlEEPmS8_NS6_8equal_toIiEEEE10hipError_tPvRmT2_T3_mT4_T5_T6_T7_T8_P12ihipStream_tbENKUlT_T0_E_clISt17integral_constantIbLb1EES12_IbLb0EEEEDaSY_SZ_EUlSY_E_NS1_11comp_targetILNS1_3genE0ELNS1_11target_archE4294967295ELNS1_3gpuE0ELNS1_3repE0EEENS1_30default_config_static_selectorELNS0_4arch9wavefront6targetE1EEEvT1_,"axG",@progbits,_ZN7rocprim17ROCPRIM_400000_NS6detail17trampoline_kernelINS0_14default_configENS1_29reduce_by_key_config_selectorIilN6thrust23THRUST_200600_302600_NS4plusIlEEEEZZNS1_33reduce_by_key_impl_wrapped_configILNS1_25lookback_scan_determinismE0ES3_S9_PiNS6_17constant_iteratorIiNS6_11use_defaultESE_EENS6_10device_ptrIiEENSG_IlEEPmS8_NS6_8equal_toIiEEEE10hipError_tPvRmT2_T3_mT4_T5_T6_T7_T8_P12ihipStream_tbENKUlT_T0_E_clISt17integral_constantIbLb1EES12_IbLb0EEEEDaSY_SZ_EUlSY_E_NS1_11comp_targetILNS1_3genE0ELNS1_11target_archE4294967295ELNS1_3gpuE0ELNS1_3repE0EEENS1_30default_config_static_selectorELNS0_4arch9wavefront6targetE1EEEvT1_,comdat
.Lfunc_end956:
	.size	_ZN7rocprim17ROCPRIM_400000_NS6detail17trampoline_kernelINS0_14default_configENS1_29reduce_by_key_config_selectorIilN6thrust23THRUST_200600_302600_NS4plusIlEEEEZZNS1_33reduce_by_key_impl_wrapped_configILNS1_25lookback_scan_determinismE0ES3_S9_PiNS6_17constant_iteratorIiNS6_11use_defaultESE_EENS6_10device_ptrIiEENSG_IlEEPmS8_NS6_8equal_toIiEEEE10hipError_tPvRmT2_T3_mT4_T5_T6_T7_T8_P12ihipStream_tbENKUlT_T0_E_clISt17integral_constantIbLb1EES12_IbLb0EEEEDaSY_SZ_EUlSY_E_NS1_11comp_targetILNS1_3genE0ELNS1_11target_archE4294967295ELNS1_3gpuE0ELNS1_3repE0EEENS1_30default_config_static_selectorELNS0_4arch9wavefront6targetE1EEEvT1_, .Lfunc_end956-_ZN7rocprim17ROCPRIM_400000_NS6detail17trampoline_kernelINS0_14default_configENS1_29reduce_by_key_config_selectorIilN6thrust23THRUST_200600_302600_NS4plusIlEEEEZZNS1_33reduce_by_key_impl_wrapped_configILNS1_25lookback_scan_determinismE0ES3_S9_PiNS6_17constant_iteratorIiNS6_11use_defaultESE_EENS6_10device_ptrIiEENSG_IlEEPmS8_NS6_8equal_toIiEEEE10hipError_tPvRmT2_T3_mT4_T5_T6_T7_T8_P12ihipStream_tbENKUlT_T0_E_clISt17integral_constantIbLb1EES12_IbLb0EEEEDaSY_SZ_EUlSY_E_NS1_11comp_targetILNS1_3genE0ELNS1_11target_archE4294967295ELNS1_3gpuE0ELNS1_3repE0EEENS1_30default_config_static_selectorELNS0_4arch9wavefront6targetE1EEEvT1_
                                        ; -- End function
	.set _ZN7rocprim17ROCPRIM_400000_NS6detail17trampoline_kernelINS0_14default_configENS1_29reduce_by_key_config_selectorIilN6thrust23THRUST_200600_302600_NS4plusIlEEEEZZNS1_33reduce_by_key_impl_wrapped_configILNS1_25lookback_scan_determinismE0ES3_S9_PiNS6_17constant_iteratorIiNS6_11use_defaultESE_EENS6_10device_ptrIiEENSG_IlEEPmS8_NS6_8equal_toIiEEEE10hipError_tPvRmT2_T3_mT4_T5_T6_T7_T8_P12ihipStream_tbENKUlT_T0_E_clISt17integral_constantIbLb1EES12_IbLb0EEEEDaSY_SZ_EUlSY_E_NS1_11comp_targetILNS1_3genE0ELNS1_11target_archE4294967295ELNS1_3gpuE0ELNS1_3repE0EEENS1_30default_config_static_selectorELNS0_4arch9wavefront6targetE1EEEvT1_.num_vgpr, 0
	.set _ZN7rocprim17ROCPRIM_400000_NS6detail17trampoline_kernelINS0_14default_configENS1_29reduce_by_key_config_selectorIilN6thrust23THRUST_200600_302600_NS4plusIlEEEEZZNS1_33reduce_by_key_impl_wrapped_configILNS1_25lookback_scan_determinismE0ES3_S9_PiNS6_17constant_iteratorIiNS6_11use_defaultESE_EENS6_10device_ptrIiEENSG_IlEEPmS8_NS6_8equal_toIiEEEE10hipError_tPvRmT2_T3_mT4_T5_T6_T7_T8_P12ihipStream_tbENKUlT_T0_E_clISt17integral_constantIbLb1EES12_IbLb0EEEEDaSY_SZ_EUlSY_E_NS1_11comp_targetILNS1_3genE0ELNS1_11target_archE4294967295ELNS1_3gpuE0ELNS1_3repE0EEENS1_30default_config_static_selectorELNS0_4arch9wavefront6targetE1EEEvT1_.num_agpr, 0
	.set _ZN7rocprim17ROCPRIM_400000_NS6detail17trampoline_kernelINS0_14default_configENS1_29reduce_by_key_config_selectorIilN6thrust23THRUST_200600_302600_NS4plusIlEEEEZZNS1_33reduce_by_key_impl_wrapped_configILNS1_25lookback_scan_determinismE0ES3_S9_PiNS6_17constant_iteratorIiNS6_11use_defaultESE_EENS6_10device_ptrIiEENSG_IlEEPmS8_NS6_8equal_toIiEEEE10hipError_tPvRmT2_T3_mT4_T5_T6_T7_T8_P12ihipStream_tbENKUlT_T0_E_clISt17integral_constantIbLb1EES12_IbLb0EEEEDaSY_SZ_EUlSY_E_NS1_11comp_targetILNS1_3genE0ELNS1_11target_archE4294967295ELNS1_3gpuE0ELNS1_3repE0EEENS1_30default_config_static_selectorELNS0_4arch9wavefront6targetE1EEEvT1_.numbered_sgpr, 0
	.set _ZN7rocprim17ROCPRIM_400000_NS6detail17trampoline_kernelINS0_14default_configENS1_29reduce_by_key_config_selectorIilN6thrust23THRUST_200600_302600_NS4plusIlEEEEZZNS1_33reduce_by_key_impl_wrapped_configILNS1_25lookback_scan_determinismE0ES3_S9_PiNS6_17constant_iteratorIiNS6_11use_defaultESE_EENS6_10device_ptrIiEENSG_IlEEPmS8_NS6_8equal_toIiEEEE10hipError_tPvRmT2_T3_mT4_T5_T6_T7_T8_P12ihipStream_tbENKUlT_T0_E_clISt17integral_constantIbLb1EES12_IbLb0EEEEDaSY_SZ_EUlSY_E_NS1_11comp_targetILNS1_3genE0ELNS1_11target_archE4294967295ELNS1_3gpuE0ELNS1_3repE0EEENS1_30default_config_static_selectorELNS0_4arch9wavefront6targetE1EEEvT1_.num_named_barrier, 0
	.set _ZN7rocprim17ROCPRIM_400000_NS6detail17trampoline_kernelINS0_14default_configENS1_29reduce_by_key_config_selectorIilN6thrust23THRUST_200600_302600_NS4plusIlEEEEZZNS1_33reduce_by_key_impl_wrapped_configILNS1_25lookback_scan_determinismE0ES3_S9_PiNS6_17constant_iteratorIiNS6_11use_defaultESE_EENS6_10device_ptrIiEENSG_IlEEPmS8_NS6_8equal_toIiEEEE10hipError_tPvRmT2_T3_mT4_T5_T6_T7_T8_P12ihipStream_tbENKUlT_T0_E_clISt17integral_constantIbLb1EES12_IbLb0EEEEDaSY_SZ_EUlSY_E_NS1_11comp_targetILNS1_3genE0ELNS1_11target_archE4294967295ELNS1_3gpuE0ELNS1_3repE0EEENS1_30default_config_static_selectorELNS0_4arch9wavefront6targetE1EEEvT1_.private_seg_size, 0
	.set _ZN7rocprim17ROCPRIM_400000_NS6detail17trampoline_kernelINS0_14default_configENS1_29reduce_by_key_config_selectorIilN6thrust23THRUST_200600_302600_NS4plusIlEEEEZZNS1_33reduce_by_key_impl_wrapped_configILNS1_25lookback_scan_determinismE0ES3_S9_PiNS6_17constant_iteratorIiNS6_11use_defaultESE_EENS6_10device_ptrIiEENSG_IlEEPmS8_NS6_8equal_toIiEEEE10hipError_tPvRmT2_T3_mT4_T5_T6_T7_T8_P12ihipStream_tbENKUlT_T0_E_clISt17integral_constantIbLb1EES12_IbLb0EEEEDaSY_SZ_EUlSY_E_NS1_11comp_targetILNS1_3genE0ELNS1_11target_archE4294967295ELNS1_3gpuE0ELNS1_3repE0EEENS1_30default_config_static_selectorELNS0_4arch9wavefront6targetE1EEEvT1_.uses_vcc, 0
	.set _ZN7rocprim17ROCPRIM_400000_NS6detail17trampoline_kernelINS0_14default_configENS1_29reduce_by_key_config_selectorIilN6thrust23THRUST_200600_302600_NS4plusIlEEEEZZNS1_33reduce_by_key_impl_wrapped_configILNS1_25lookback_scan_determinismE0ES3_S9_PiNS6_17constant_iteratorIiNS6_11use_defaultESE_EENS6_10device_ptrIiEENSG_IlEEPmS8_NS6_8equal_toIiEEEE10hipError_tPvRmT2_T3_mT4_T5_T6_T7_T8_P12ihipStream_tbENKUlT_T0_E_clISt17integral_constantIbLb1EES12_IbLb0EEEEDaSY_SZ_EUlSY_E_NS1_11comp_targetILNS1_3genE0ELNS1_11target_archE4294967295ELNS1_3gpuE0ELNS1_3repE0EEENS1_30default_config_static_selectorELNS0_4arch9wavefront6targetE1EEEvT1_.uses_flat_scratch, 0
	.set _ZN7rocprim17ROCPRIM_400000_NS6detail17trampoline_kernelINS0_14default_configENS1_29reduce_by_key_config_selectorIilN6thrust23THRUST_200600_302600_NS4plusIlEEEEZZNS1_33reduce_by_key_impl_wrapped_configILNS1_25lookback_scan_determinismE0ES3_S9_PiNS6_17constant_iteratorIiNS6_11use_defaultESE_EENS6_10device_ptrIiEENSG_IlEEPmS8_NS6_8equal_toIiEEEE10hipError_tPvRmT2_T3_mT4_T5_T6_T7_T8_P12ihipStream_tbENKUlT_T0_E_clISt17integral_constantIbLb1EES12_IbLb0EEEEDaSY_SZ_EUlSY_E_NS1_11comp_targetILNS1_3genE0ELNS1_11target_archE4294967295ELNS1_3gpuE0ELNS1_3repE0EEENS1_30default_config_static_selectorELNS0_4arch9wavefront6targetE1EEEvT1_.has_dyn_sized_stack, 0
	.set _ZN7rocprim17ROCPRIM_400000_NS6detail17trampoline_kernelINS0_14default_configENS1_29reduce_by_key_config_selectorIilN6thrust23THRUST_200600_302600_NS4plusIlEEEEZZNS1_33reduce_by_key_impl_wrapped_configILNS1_25lookback_scan_determinismE0ES3_S9_PiNS6_17constant_iteratorIiNS6_11use_defaultESE_EENS6_10device_ptrIiEENSG_IlEEPmS8_NS6_8equal_toIiEEEE10hipError_tPvRmT2_T3_mT4_T5_T6_T7_T8_P12ihipStream_tbENKUlT_T0_E_clISt17integral_constantIbLb1EES12_IbLb0EEEEDaSY_SZ_EUlSY_E_NS1_11comp_targetILNS1_3genE0ELNS1_11target_archE4294967295ELNS1_3gpuE0ELNS1_3repE0EEENS1_30default_config_static_selectorELNS0_4arch9wavefront6targetE1EEEvT1_.has_recursion, 0
	.set _ZN7rocprim17ROCPRIM_400000_NS6detail17trampoline_kernelINS0_14default_configENS1_29reduce_by_key_config_selectorIilN6thrust23THRUST_200600_302600_NS4plusIlEEEEZZNS1_33reduce_by_key_impl_wrapped_configILNS1_25lookback_scan_determinismE0ES3_S9_PiNS6_17constant_iteratorIiNS6_11use_defaultESE_EENS6_10device_ptrIiEENSG_IlEEPmS8_NS6_8equal_toIiEEEE10hipError_tPvRmT2_T3_mT4_T5_T6_T7_T8_P12ihipStream_tbENKUlT_T0_E_clISt17integral_constantIbLb1EES12_IbLb0EEEEDaSY_SZ_EUlSY_E_NS1_11comp_targetILNS1_3genE0ELNS1_11target_archE4294967295ELNS1_3gpuE0ELNS1_3repE0EEENS1_30default_config_static_selectorELNS0_4arch9wavefront6targetE1EEEvT1_.has_indirect_call, 0
	.section	.AMDGPU.csdata,"",@progbits
; Kernel info:
; codeLenInByte = 0
; TotalNumSgprs: 4
; NumVgprs: 0
; ScratchSize: 0
; MemoryBound: 0
; FloatMode: 240
; IeeeMode: 1
; LDSByteSize: 0 bytes/workgroup (compile time only)
; SGPRBlocks: 0
; VGPRBlocks: 0
; NumSGPRsForWavesPerEU: 4
; NumVGPRsForWavesPerEU: 1
; Occupancy: 10
; WaveLimiterHint : 0
; COMPUTE_PGM_RSRC2:SCRATCH_EN: 0
; COMPUTE_PGM_RSRC2:USER_SGPR: 6
; COMPUTE_PGM_RSRC2:TRAP_HANDLER: 0
; COMPUTE_PGM_RSRC2:TGID_X_EN: 1
; COMPUTE_PGM_RSRC2:TGID_Y_EN: 0
; COMPUTE_PGM_RSRC2:TGID_Z_EN: 0
; COMPUTE_PGM_RSRC2:TIDIG_COMP_CNT: 0
	.section	.text._ZN7rocprim17ROCPRIM_400000_NS6detail17trampoline_kernelINS0_14default_configENS1_29reduce_by_key_config_selectorIilN6thrust23THRUST_200600_302600_NS4plusIlEEEEZZNS1_33reduce_by_key_impl_wrapped_configILNS1_25lookback_scan_determinismE0ES3_S9_PiNS6_17constant_iteratorIiNS6_11use_defaultESE_EENS6_10device_ptrIiEENSG_IlEEPmS8_NS6_8equal_toIiEEEE10hipError_tPvRmT2_T3_mT4_T5_T6_T7_T8_P12ihipStream_tbENKUlT_T0_E_clISt17integral_constantIbLb1EES12_IbLb0EEEEDaSY_SZ_EUlSY_E_NS1_11comp_targetILNS1_3genE5ELNS1_11target_archE942ELNS1_3gpuE9ELNS1_3repE0EEENS1_30default_config_static_selectorELNS0_4arch9wavefront6targetE1EEEvT1_,"axG",@progbits,_ZN7rocprim17ROCPRIM_400000_NS6detail17trampoline_kernelINS0_14default_configENS1_29reduce_by_key_config_selectorIilN6thrust23THRUST_200600_302600_NS4plusIlEEEEZZNS1_33reduce_by_key_impl_wrapped_configILNS1_25lookback_scan_determinismE0ES3_S9_PiNS6_17constant_iteratorIiNS6_11use_defaultESE_EENS6_10device_ptrIiEENSG_IlEEPmS8_NS6_8equal_toIiEEEE10hipError_tPvRmT2_T3_mT4_T5_T6_T7_T8_P12ihipStream_tbENKUlT_T0_E_clISt17integral_constantIbLb1EES12_IbLb0EEEEDaSY_SZ_EUlSY_E_NS1_11comp_targetILNS1_3genE5ELNS1_11target_archE942ELNS1_3gpuE9ELNS1_3repE0EEENS1_30default_config_static_selectorELNS0_4arch9wavefront6targetE1EEEvT1_,comdat
	.protected	_ZN7rocprim17ROCPRIM_400000_NS6detail17trampoline_kernelINS0_14default_configENS1_29reduce_by_key_config_selectorIilN6thrust23THRUST_200600_302600_NS4plusIlEEEEZZNS1_33reduce_by_key_impl_wrapped_configILNS1_25lookback_scan_determinismE0ES3_S9_PiNS6_17constant_iteratorIiNS6_11use_defaultESE_EENS6_10device_ptrIiEENSG_IlEEPmS8_NS6_8equal_toIiEEEE10hipError_tPvRmT2_T3_mT4_T5_T6_T7_T8_P12ihipStream_tbENKUlT_T0_E_clISt17integral_constantIbLb1EES12_IbLb0EEEEDaSY_SZ_EUlSY_E_NS1_11comp_targetILNS1_3genE5ELNS1_11target_archE942ELNS1_3gpuE9ELNS1_3repE0EEENS1_30default_config_static_selectorELNS0_4arch9wavefront6targetE1EEEvT1_ ; -- Begin function _ZN7rocprim17ROCPRIM_400000_NS6detail17trampoline_kernelINS0_14default_configENS1_29reduce_by_key_config_selectorIilN6thrust23THRUST_200600_302600_NS4plusIlEEEEZZNS1_33reduce_by_key_impl_wrapped_configILNS1_25lookback_scan_determinismE0ES3_S9_PiNS6_17constant_iteratorIiNS6_11use_defaultESE_EENS6_10device_ptrIiEENSG_IlEEPmS8_NS6_8equal_toIiEEEE10hipError_tPvRmT2_T3_mT4_T5_T6_T7_T8_P12ihipStream_tbENKUlT_T0_E_clISt17integral_constantIbLb1EES12_IbLb0EEEEDaSY_SZ_EUlSY_E_NS1_11comp_targetILNS1_3genE5ELNS1_11target_archE942ELNS1_3gpuE9ELNS1_3repE0EEENS1_30default_config_static_selectorELNS0_4arch9wavefront6targetE1EEEvT1_
	.globl	_ZN7rocprim17ROCPRIM_400000_NS6detail17trampoline_kernelINS0_14default_configENS1_29reduce_by_key_config_selectorIilN6thrust23THRUST_200600_302600_NS4plusIlEEEEZZNS1_33reduce_by_key_impl_wrapped_configILNS1_25lookback_scan_determinismE0ES3_S9_PiNS6_17constant_iteratorIiNS6_11use_defaultESE_EENS6_10device_ptrIiEENSG_IlEEPmS8_NS6_8equal_toIiEEEE10hipError_tPvRmT2_T3_mT4_T5_T6_T7_T8_P12ihipStream_tbENKUlT_T0_E_clISt17integral_constantIbLb1EES12_IbLb0EEEEDaSY_SZ_EUlSY_E_NS1_11comp_targetILNS1_3genE5ELNS1_11target_archE942ELNS1_3gpuE9ELNS1_3repE0EEENS1_30default_config_static_selectorELNS0_4arch9wavefront6targetE1EEEvT1_
	.p2align	8
	.type	_ZN7rocprim17ROCPRIM_400000_NS6detail17trampoline_kernelINS0_14default_configENS1_29reduce_by_key_config_selectorIilN6thrust23THRUST_200600_302600_NS4plusIlEEEEZZNS1_33reduce_by_key_impl_wrapped_configILNS1_25lookback_scan_determinismE0ES3_S9_PiNS6_17constant_iteratorIiNS6_11use_defaultESE_EENS6_10device_ptrIiEENSG_IlEEPmS8_NS6_8equal_toIiEEEE10hipError_tPvRmT2_T3_mT4_T5_T6_T7_T8_P12ihipStream_tbENKUlT_T0_E_clISt17integral_constantIbLb1EES12_IbLb0EEEEDaSY_SZ_EUlSY_E_NS1_11comp_targetILNS1_3genE5ELNS1_11target_archE942ELNS1_3gpuE9ELNS1_3repE0EEENS1_30default_config_static_selectorELNS0_4arch9wavefront6targetE1EEEvT1_,@function
_ZN7rocprim17ROCPRIM_400000_NS6detail17trampoline_kernelINS0_14default_configENS1_29reduce_by_key_config_selectorIilN6thrust23THRUST_200600_302600_NS4plusIlEEEEZZNS1_33reduce_by_key_impl_wrapped_configILNS1_25lookback_scan_determinismE0ES3_S9_PiNS6_17constant_iteratorIiNS6_11use_defaultESE_EENS6_10device_ptrIiEENSG_IlEEPmS8_NS6_8equal_toIiEEEE10hipError_tPvRmT2_T3_mT4_T5_T6_T7_T8_P12ihipStream_tbENKUlT_T0_E_clISt17integral_constantIbLb1EES12_IbLb0EEEEDaSY_SZ_EUlSY_E_NS1_11comp_targetILNS1_3genE5ELNS1_11target_archE942ELNS1_3gpuE9ELNS1_3repE0EEENS1_30default_config_static_selectorELNS0_4arch9wavefront6targetE1EEEvT1_: ; @_ZN7rocprim17ROCPRIM_400000_NS6detail17trampoline_kernelINS0_14default_configENS1_29reduce_by_key_config_selectorIilN6thrust23THRUST_200600_302600_NS4plusIlEEEEZZNS1_33reduce_by_key_impl_wrapped_configILNS1_25lookback_scan_determinismE0ES3_S9_PiNS6_17constant_iteratorIiNS6_11use_defaultESE_EENS6_10device_ptrIiEENSG_IlEEPmS8_NS6_8equal_toIiEEEE10hipError_tPvRmT2_T3_mT4_T5_T6_T7_T8_P12ihipStream_tbENKUlT_T0_E_clISt17integral_constantIbLb1EES12_IbLb0EEEEDaSY_SZ_EUlSY_E_NS1_11comp_targetILNS1_3genE5ELNS1_11target_archE942ELNS1_3gpuE9ELNS1_3repE0EEENS1_30default_config_static_selectorELNS0_4arch9wavefront6targetE1EEEvT1_
; %bb.0:
	.section	.rodata,"a",@progbits
	.p2align	6, 0x0
	.amdhsa_kernel _ZN7rocprim17ROCPRIM_400000_NS6detail17trampoline_kernelINS0_14default_configENS1_29reduce_by_key_config_selectorIilN6thrust23THRUST_200600_302600_NS4plusIlEEEEZZNS1_33reduce_by_key_impl_wrapped_configILNS1_25lookback_scan_determinismE0ES3_S9_PiNS6_17constant_iteratorIiNS6_11use_defaultESE_EENS6_10device_ptrIiEENSG_IlEEPmS8_NS6_8equal_toIiEEEE10hipError_tPvRmT2_T3_mT4_T5_T6_T7_T8_P12ihipStream_tbENKUlT_T0_E_clISt17integral_constantIbLb1EES12_IbLb0EEEEDaSY_SZ_EUlSY_E_NS1_11comp_targetILNS1_3genE5ELNS1_11target_archE942ELNS1_3gpuE9ELNS1_3repE0EEENS1_30default_config_static_selectorELNS0_4arch9wavefront6targetE1EEEvT1_
		.amdhsa_group_segment_fixed_size 0
		.amdhsa_private_segment_fixed_size 0
		.amdhsa_kernarg_size 144
		.amdhsa_user_sgpr_count 6
		.amdhsa_user_sgpr_private_segment_buffer 1
		.amdhsa_user_sgpr_dispatch_ptr 0
		.amdhsa_user_sgpr_queue_ptr 0
		.amdhsa_user_sgpr_kernarg_segment_ptr 1
		.amdhsa_user_sgpr_dispatch_id 0
		.amdhsa_user_sgpr_flat_scratch_init 0
		.amdhsa_user_sgpr_private_segment_size 0
		.amdhsa_uses_dynamic_stack 0
		.amdhsa_system_sgpr_private_segment_wavefront_offset 0
		.amdhsa_system_sgpr_workgroup_id_x 1
		.amdhsa_system_sgpr_workgroup_id_y 0
		.amdhsa_system_sgpr_workgroup_id_z 0
		.amdhsa_system_sgpr_workgroup_info 0
		.amdhsa_system_vgpr_workitem_id 0
		.amdhsa_next_free_vgpr 1
		.amdhsa_next_free_sgpr 0
		.amdhsa_reserve_vcc 0
		.amdhsa_reserve_flat_scratch 0
		.amdhsa_float_round_mode_32 0
		.amdhsa_float_round_mode_16_64 0
		.amdhsa_float_denorm_mode_32 3
		.amdhsa_float_denorm_mode_16_64 3
		.amdhsa_dx10_clamp 1
		.amdhsa_ieee_mode 1
		.amdhsa_fp16_overflow 0
		.amdhsa_exception_fp_ieee_invalid_op 0
		.amdhsa_exception_fp_denorm_src 0
		.amdhsa_exception_fp_ieee_div_zero 0
		.amdhsa_exception_fp_ieee_overflow 0
		.amdhsa_exception_fp_ieee_underflow 0
		.amdhsa_exception_fp_ieee_inexact 0
		.amdhsa_exception_int_div_zero 0
	.end_amdhsa_kernel
	.section	.text._ZN7rocprim17ROCPRIM_400000_NS6detail17trampoline_kernelINS0_14default_configENS1_29reduce_by_key_config_selectorIilN6thrust23THRUST_200600_302600_NS4plusIlEEEEZZNS1_33reduce_by_key_impl_wrapped_configILNS1_25lookback_scan_determinismE0ES3_S9_PiNS6_17constant_iteratorIiNS6_11use_defaultESE_EENS6_10device_ptrIiEENSG_IlEEPmS8_NS6_8equal_toIiEEEE10hipError_tPvRmT2_T3_mT4_T5_T6_T7_T8_P12ihipStream_tbENKUlT_T0_E_clISt17integral_constantIbLb1EES12_IbLb0EEEEDaSY_SZ_EUlSY_E_NS1_11comp_targetILNS1_3genE5ELNS1_11target_archE942ELNS1_3gpuE9ELNS1_3repE0EEENS1_30default_config_static_selectorELNS0_4arch9wavefront6targetE1EEEvT1_,"axG",@progbits,_ZN7rocprim17ROCPRIM_400000_NS6detail17trampoline_kernelINS0_14default_configENS1_29reduce_by_key_config_selectorIilN6thrust23THRUST_200600_302600_NS4plusIlEEEEZZNS1_33reduce_by_key_impl_wrapped_configILNS1_25lookback_scan_determinismE0ES3_S9_PiNS6_17constant_iteratorIiNS6_11use_defaultESE_EENS6_10device_ptrIiEENSG_IlEEPmS8_NS6_8equal_toIiEEEE10hipError_tPvRmT2_T3_mT4_T5_T6_T7_T8_P12ihipStream_tbENKUlT_T0_E_clISt17integral_constantIbLb1EES12_IbLb0EEEEDaSY_SZ_EUlSY_E_NS1_11comp_targetILNS1_3genE5ELNS1_11target_archE942ELNS1_3gpuE9ELNS1_3repE0EEENS1_30default_config_static_selectorELNS0_4arch9wavefront6targetE1EEEvT1_,comdat
.Lfunc_end957:
	.size	_ZN7rocprim17ROCPRIM_400000_NS6detail17trampoline_kernelINS0_14default_configENS1_29reduce_by_key_config_selectorIilN6thrust23THRUST_200600_302600_NS4plusIlEEEEZZNS1_33reduce_by_key_impl_wrapped_configILNS1_25lookback_scan_determinismE0ES3_S9_PiNS6_17constant_iteratorIiNS6_11use_defaultESE_EENS6_10device_ptrIiEENSG_IlEEPmS8_NS6_8equal_toIiEEEE10hipError_tPvRmT2_T3_mT4_T5_T6_T7_T8_P12ihipStream_tbENKUlT_T0_E_clISt17integral_constantIbLb1EES12_IbLb0EEEEDaSY_SZ_EUlSY_E_NS1_11comp_targetILNS1_3genE5ELNS1_11target_archE942ELNS1_3gpuE9ELNS1_3repE0EEENS1_30default_config_static_selectorELNS0_4arch9wavefront6targetE1EEEvT1_, .Lfunc_end957-_ZN7rocprim17ROCPRIM_400000_NS6detail17trampoline_kernelINS0_14default_configENS1_29reduce_by_key_config_selectorIilN6thrust23THRUST_200600_302600_NS4plusIlEEEEZZNS1_33reduce_by_key_impl_wrapped_configILNS1_25lookback_scan_determinismE0ES3_S9_PiNS6_17constant_iteratorIiNS6_11use_defaultESE_EENS6_10device_ptrIiEENSG_IlEEPmS8_NS6_8equal_toIiEEEE10hipError_tPvRmT2_T3_mT4_T5_T6_T7_T8_P12ihipStream_tbENKUlT_T0_E_clISt17integral_constantIbLb1EES12_IbLb0EEEEDaSY_SZ_EUlSY_E_NS1_11comp_targetILNS1_3genE5ELNS1_11target_archE942ELNS1_3gpuE9ELNS1_3repE0EEENS1_30default_config_static_selectorELNS0_4arch9wavefront6targetE1EEEvT1_
                                        ; -- End function
	.set _ZN7rocprim17ROCPRIM_400000_NS6detail17trampoline_kernelINS0_14default_configENS1_29reduce_by_key_config_selectorIilN6thrust23THRUST_200600_302600_NS4plusIlEEEEZZNS1_33reduce_by_key_impl_wrapped_configILNS1_25lookback_scan_determinismE0ES3_S9_PiNS6_17constant_iteratorIiNS6_11use_defaultESE_EENS6_10device_ptrIiEENSG_IlEEPmS8_NS6_8equal_toIiEEEE10hipError_tPvRmT2_T3_mT4_T5_T6_T7_T8_P12ihipStream_tbENKUlT_T0_E_clISt17integral_constantIbLb1EES12_IbLb0EEEEDaSY_SZ_EUlSY_E_NS1_11comp_targetILNS1_3genE5ELNS1_11target_archE942ELNS1_3gpuE9ELNS1_3repE0EEENS1_30default_config_static_selectorELNS0_4arch9wavefront6targetE1EEEvT1_.num_vgpr, 0
	.set _ZN7rocprim17ROCPRIM_400000_NS6detail17trampoline_kernelINS0_14default_configENS1_29reduce_by_key_config_selectorIilN6thrust23THRUST_200600_302600_NS4plusIlEEEEZZNS1_33reduce_by_key_impl_wrapped_configILNS1_25lookback_scan_determinismE0ES3_S9_PiNS6_17constant_iteratorIiNS6_11use_defaultESE_EENS6_10device_ptrIiEENSG_IlEEPmS8_NS6_8equal_toIiEEEE10hipError_tPvRmT2_T3_mT4_T5_T6_T7_T8_P12ihipStream_tbENKUlT_T0_E_clISt17integral_constantIbLb1EES12_IbLb0EEEEDaSY_SZ_EUlSY_E_NS1_11comp_targetILNS1_3genE5ELNS1_11target_archE942ELNS1_3gpuE9ELNS1_3repE0EEENS1_30default_config_static_selectorELNS0_4arch9wavefront6targetE1EEEvT1_.num_agpr, 0
	.set _ZN7rocprim17ROCPRIM_400000_NS6detail17trampoline_kernelINS0_14default_configENS1_29reduce_by_key_config_selectorIilN6thrust23THRUST_200600_302600_NS4plusIlEEEEZZNS1_33reduce_by_key_impl_wrapped_configILNS1_25lookback_scan_determinismE0ES3_S9_PiNS6_17constant_iteratorIiNS6_11use_defaultESE_EENS6_10device_ptrIiEENSG_IlEEPmS8_NS6_8equal_toIiEEEE10hipError_tPvRmT2_T3_mT4_T5_T6_T7_T8_P12ihipStream_tbENKUlT_T0_E_clISt17integral_constantIbLb1EES12_IbLb0EEEEDaSY_SZ_EUlSY_E_NS1_11comp_targetILNS1_3genE5ELNS1_11target_archE942ELNS1_3gpuE9ELNS1_3repE0EEENS1_30default_config_static_selectorELNS0_4arch9wavefront6targetE1EEEvT1_.numbered_sgpr, 0
	.set _ZN7rocprim17ROCPRIM_400000_NS6detail17trampoline_kernelINS0_14default_configENS1_29reduce_by_key_config_selectorIilN6thrust23THRUST_200600_302600_NS4plusIlEEEEZZNS1_33reduce_by_key_impl_wrapped_configILNS1_25lookback_scan_determinismE0ES3_S9_PiNS6_17constant_iteratorIiNS6_11use_defaultESE_EENS6_10device_ptrIiEENSG_IlEEPmS8_NS6_8equal_toIiEEEE10hipError_tPvRmT2_T3_mT4_T5_T6_T7_T8_P12ihipStream_tbENKUlT_T0_E_clISt17integral_constantIbLb1EES12_IbLb0EEEEDaSY_SZ_EUlSY_E_NS1_11comp_targetILNS1_3genE5ELNS1_11target_archE942ELNS1_3gpuE9ELNS1_3repE0EEENS1_30default_config_static_selectorELNS0_4arch9wavefront6targetE1EEEvT1_.num_named_barrier, 0
	.set _ZN7rocprim17ROCPRIM_400000_NS6detail17trampoline_kernelINS0_14default_configENS1_29reduce_by_key_config_selectorIilN6thrust23THRUST_200600_302600_NS4plusIlEEEEZZNS1_33reduce_by_key_impl_wrapped_configILNS1_25lookback_scan_determinismE0ES3_S9_PiNS6_17constant_iteratorIiNS6_11use_defaultESE_EENS6_10device_ptrIiEENSG_IlEEPmS8_NS6_8equal_toIiEEEE10hipError_tPvRmT2_T3_mT4_T5_T6_T7_T8_P12ihipStream_tbENKUlT_T0_E_clISt17integral_constantIbLb1EES12_IbLb0EEEEDaSY_SZ_EUlSY_E_NS1_11comp_targetILNS1_3genE5ELNS1_11target_archE942ELNS1_3gpuE9ELNS1_3repE0EEENS1_30default_config_static_selectorELNS0_4arch9wavefront6targetE1EEEvT1_.private_seg_size, 0
	.set _ZN7rocprim17ROCPRIM_400000_NS6detail17trampoline_kernelINS0_14default_configENS1_29reduce_by_key_config_selectorIilN6thrust23THRUST_200600_302600_NS4plusIlEEEEZZNS1_33reduce_by_key_impl_wrapped_configILNS1_25lookback_scan_determinismE0ES3_S9_PiNS6_17constant_iteratorIiNS6_11use_defaultESE_EENS6_10device_ptrIiEENSG_IlEEPmS8_NS6_8equal_toIiEEEE10hipError_tPvRmT2_T3_mT4_T5_T6_T7_T8_P12ihipStream_tbENKUlT_T0_E_clISt17integral_constantIbLb1EES12_IbLb0EEEEDaSY_SZ_EUlSY_E_NS1_11comp_targetILNS1_3genE5ELNS1_11target_archE942ELNS1_3gpuE9ELNS1_3repE0EEENS1_30default_config_static_selectorELNS0_4arch9wavefront6targetE1EEEvT1_.uses_vcc, 0
	.set _ZN7rocprim17ROCPRIM_400000_NS6detail17trampoline_kernelINS0_14default_configENS1_29reduce_by_key_config_selectorIilN6thrust23THRUST_200600_302600_NS4plusIlEEEEZZNS1_33reduce_by_key_impl_wrapped_configILNS1_25lookback_scan_determinismE0ES3_S9_PiNS6_17constant_iteratorIiNS6_11use_defaultESE_EENS6_10device_ptrIiEENSG_IlEEPmS8_NS6_8equal_toIiEEEE10hipError_tPvRmT2_T3_mT4_T5_T6_T7_T8_P12ihipStream_tbENKUlT_T0_E_clISt17integral_constantIbLb1EES12_IbLb0EEEEDaSY_SZ_EUlSY_E_NS1_11comp_targetILNS1_3genE5ELNS1_11target_archE942ELNS1_3gpuE9ELNS1_3repE0EEENS1_30default_config_static_selectorELNS0_4arch9wavefront6targetE1EEEvT1_.uses_flat_scratch, 0
	.set _ZN7rocprim17ROCPRIM_400000_NS6detail17trampoline_kernelINS0_14default_configENS1_29reduce_by_key_config_selectorIilN6thrust23THRUST_200600_302600_NS4plusIlEEEEZZNS1_33reduce_by_key_impl_wrapped_configILNS1_25lookback_scan_determinismE0ES3_S9_PiNS6_17constant_iteratorIiNS6_11use_defaultESE_EENS6_10device_ptrIiEENSG_IlEEPmS8_NS6_8equal_toIiEEEE10hipError_tPvRmT2_T3_mT4_T5_T6_T7_T8_P12ihipStream_tbENKUlT_T0_E_clISt17integral_constantIbLb1EES12_IbLb0EEEEDaSY_SZ_EUlSY_E_NS1_11comp_targetILNS1_3genE5ELNS1_11target_archE942ELNS1_3gpuE9ELNS1_3repE0EEENS1_30default_config_static_selectorELNS0_4arch9wavefront6targetE1EEEvT1_.has_dyn_sized_stack, 0
	.set _ZN7rocprim17ROCPRIM_400000_NS6detail17trampoline_kernelINS0_14default_configENS1_29reduce_by_key_config_selectorIilN6thrust23THRUST_200600_302600_NS4plusIlEEEEZZNS1_33reduce_by_key_impl_wrapped_configILNS1_25lookback_scan_determinismE0ES3_S9_PiNS6_17constant_iteratorIiNS6_11use_defaultESE_EENS6_10device_ptrIiEENSG_IlEEPmS8_NS6_8equal_toIiEEEE10hipError_tPvRmT2_T3_mT4_T5_T6_T7_T8_P12ihipStream_tbENKUlT_T0_E_clISt17integral_constantIbLb1EES12_IbLb0EEEEDaSY_SZ_EUlSY_E_NS1_11comp_targetILNS1_3genE5ELNS1_11target_archE942ELNS1_3gpuE9ELNS1_3repE0EEENS1_30default_config_static_selectorELNS0_4arch9wavefront6targetE1EEEvT1_.has_recursion, 0
	.set _ZN7rocprim17ROCPRIM_400000_NS6detail17trampoline_kernelINS0_14default_configENS1_29reduce_by_key_config_selectorIilN6thrust23THRUST_200600_302600_NS4plusIlEEEEZZNS1_33reduce_by_key_impl_wrapped_configILNS1_25lookback_scan_determinismE0ES3_S9_PiNS6_17constant_iteratorIiNS6_11use_defaultESE_EENS6_10device_ptrIiEENSG_IlEEPmS8_NS6_8equal_toIiEEEE10hipError_tPvRmT2_T3_mT4_T5_T6_T7_T8_P12ihipStream_tbENKUlT_T0_E_clISt17integral_constantIbLb1EES12_IbLb0EEEEDaSY_SZ_EUlSY_E_NS1_11comp_targetILNS1_3genE5ELNS1_11target_archE942ELNS1_3gpuE9ELNS1_3repE0EEENS1_30default_config_static_selectorELNS0_4arch9wavefront6targetE1EEEvT1_.has_indirect_call, 0
	.section	.AMDGPU.csdata,"",@progbits
; Kernel info:
; codeLenInByte = 0
; TotalNumSgprs: 4
; NumVgprs: 0
; ScratchSize: 0
; MemoryBound: 0
; FloatMode: 240
; IeeeMode: 1
; LDSByteSize: 0 bytes/workgroup (compile time only)
; SGPRBlocks: 0
; VGPRBlocks: 0
; NumSGPRsForWavesPerEU: 4
; NumVGPRsForWavesPerEU: 1
; Occupancy: 10
; WaveLimiterHint : 0
; COMPUTE_PGM_RSRC2:SCRATCH_EN: 0
; COMPUTE_PGM_RSRC2:USER_SGPR: 6
; COMPUTE_PGM_RSRC2:TRAP_HANDLER: 0
; COMPUTE_PGM_RSRC2:TGID_X_EN: 1
; COMPUTE_PGM_RSRC2:TGID_Y_EN: 0
; COMPUTE_PGM_RSRC2:TGID_Z_EN: 0
; COMPUTE_PGM_RSRC2:TIDIG_COMP_CNT: 0
	.section	.text._ZN7rocprim17ROCPRIM_400000_NS6detail17trampoline_kernelINS0_14default_configENS1_29reduce_by_key_config_selectorIilN6thrust23THRUST_200600_302600_NS4plusIlEEEEZZNS1_33reduce_by_key_impl_wrapped_configILNS1_25lookback_scan_determinismE0ES3_S9_PiNS6_17constant_iteratorIiNS6_11use_defaultESE_EENS6_10device_ptrIiEENSG_IlEEPmS8_NS6_8equal_toIiEEEE10hipError_tPvRmT2_T3_mT4_T5_T6_T7_T8_P12ihipStream_tbENKUlT_T0_E_clISt17integral_constantIbLb1EES12_IbLb0EEEEDaSY_SZ_EUlSY_E_NS1_11comp_targetILNS1_3genE4ELNS1_11target_archE910ELNS1_3gpuE8ELNS1_3repE0EEENS1_30default_config_static_selectorELNS0_4arch9wavefront6targetE1EEEvT1_,"axG",@progbits,_ZN7rocprim17ROCPRIM_400000_NS6detail17trampoline_kernelINS0_14default_configENS1_29reduce_by_key_config_selectorIilN6thrust23THRUST_200600_302600_NS4plusIlEEEEZZNS1_33reduce_by_key_impl_wrapped_configILNS1_25lookback_scan_determinismE0ES3_S9_PiNS6_17constant_iteratorIiNS6_11use_defaultESE_EENS6_10device_ptrIiEENSG_IlEEPmS8_NS6_8equal_toIiEEEE10hipError_tPvRmT2_T3_mT4_T5_T6_T7_T8_P12ihipStream_tbENKUlT_T0_E_clISt17integral_constantIbLb1EES12_IbLb0EEEEDaSY_SZ_EUlSY_E_NS1_11comp_targetILNS1_3genE4ELNS1_11target_archE910ELNS1_3gpuE8ELNS1_3repE0EEENS1_30default_config_static_selectorELNS0_4arch9wavefront6targetE1EEEvT1_,comdat
	.protected	_ZN7rocprim17ROCPRIM_400000_NS6detail17trampoline_kernelINS0_14default_configENS1_29reduce_by_key_config_selectorIilN6thrust23THRUST_200600_302600_NS4plusIlEEEEZZNS1_33reduce_by_key_impl_wrapped_configILNS1_25lookback_scan_determinismE0ES3_S9_PiNS6_17constant_iteratorIiNS6_11use_defaultESE_EENS6_10device_ptrIiEENSG_IlEEPmS8_NS6_8equal_toIiEEEE10hipError_tPvRmT2_T3_mT4_T5_T6_T7_T8_P12ihipStream_tbENKUlT_T0_E_clISt17integral_constantIbLb1EES12_IbLb0EEEEDaSY_SZ_EUlSY_E_NS1_11comp_targetILNS1_3genE4ELNS1_11target_archE910ELNS1_3gpuE8ELNS1_3repE0EEENS1_30default_config_static_selectorELNS0_4arch9wavefront6targetE1EEEvT1_ ; -- Begin function _ZN7rocprim17ROCPRIM_400000_NS6detail17trampoline_kernelINS0_14default_configENS1_29reduce_by_key_config_selectorIilN6thrust23THRUST_200600_302600_NS4plusIlEEEEZZNS1_33reduce_by_key_impl_wrapped_configILNS1_25lookback_scan_determinismE0ES3_S9_PiNS6_17constant_iteratorIiNS6_11use_defaultESE_EENS6_10device_ptrIiEENSG_IlEEPmS8_NS6_8equal_toIiEEEE10hipError_tPvRmT2_T3_mT4_T5_T6_T7_T8_P12ihipStream_tbENKUlT_T0_E_clISt17integral_constantIbLb1EES12_IbLb0EEEEDaSY_SZ_EUlSY_E_NS1_11comp_targetILNS1_3genE4ELNS1_11target_archE910ELNS1_3gpuE8ELNS1_3repE0EEENS1_30default_config_static_selectorELNS0_4arch9wavefront6targetE1EEEvT1_
	.globl	_ZN7rocprim17ROCPRIM_400000_NS6detail17trampoline_kernelINS0_14default_configENS1_29reduce_by_key_config_selectorIilN6thrust23THRUST_200600_302600_NS4plusIlEEEEZZNS1_33reduce_by_key_impl_wrapped_configILNS1_25lookback_scan_determinismE0ES3_S9_PiNS6_17constant_iteratorIiNS6_11use_defaultESE_EENS6_10device_ptrIiEENSG_IlEEPmS8_NS6_8equal_toIiEEEE10hipError_tPvRmT2_T3_mT4_T5_T6_T7_T8_P12ihipStream_tbENKUlT_T0_E_clISt17integral_constantIbLb1EES12_IbLb0EEEEDaSY_SZ_EUlSY_E_NS1_11comp_targetILNS1_3genE4ELNS1_11target_archE910ELNS1_3gpuE8ELNS1_3repE0EEENS1_30default_config_static_selectorELNS0_4arch9wavefront6targetE1EEEvT1_
	.p2align	8
	.type	_ZN7rocprim17ROCPRIM_400000_NS6detail17trampoline_kernelINS0_14default_configENS1_29reduce_by_key_config_selectorIilN6thrust23THRUST_200600_302600_NS4plusIlEEEEZZNS1_33reduce_by_key_impl_wrapped_configILNS1_25lookback_scan_determinismE0ES3_S9_PiNS6_17constant_iteratorIiNS6_11use_defaultESE_EENS6_10device_ptrIiEENSG_IlEEPmS8_NS6_8equal_toIiEEEE10hipError_tPvRmT2_T3_mT4_T5_T6_T7_T8_P12ihipStream_tbENKUlT_T0_E_clISt17integral_constantIbLb1EES12_IbLb0EEEEDaSY_SZ_EUlSY_E_NS1_11comp_targetILNS1_3genE4ELNS1_11target_archE910ELNS1_3gpuE8ELNS1_3repE0EEENS1_30default_config_static_selectorELNS0_4arch9wavefront6targetE1EEEvT1_,@function
_ZN7rocprim17ROCPRIM_400000_NS6detail17trampoline_kernelINS0_14default_configENS1_29reduce_by_key_config_selectorIilN6thrust23THRUST_200600_302600_NS4plusIlEEEEZZNS1_33reduce_by_key_impl_wrapped_configILNS1_25lookback_scan_determinismE0ES3_S9_PiNS6_17constant_iteratorIiNS6_11use_defaultESE_EENS6_10device_ptrIiEENSG_IlEEPmS8_NS6_8equal_toIiEEEE10hipError_tPvRmT2_T3_mT4_T5_T6_T7_T8_P12ihipStream_tbENKUlT_T0_E_clISt17integral_constantIbLb1EES12_IbLb0EEEEDaSY_SZ_EUlSY_E_NS1_11comp_targetILNS1_3genE4ELNS1_11target_archE910ELNS1_3gpuE8ELNS1_3repE0EEENS1_30default_config_static_selectorELNS0_4arch9wavefront6targetE1EEEvT1_: ; @_ZN7rocprim17ROCPRIM_400000_NS6detail17trampoline_kernelINS0_14default_configENS1_29reduce_by_key_config_selectorIilN6thrust23THRUST_200600_302600_NS4plusIlEEEEZZNS1_33reduce_by_key_impl_wrapped_configILNS1_25lookback_scan_determinismE0ES3_S9_PiNS6_17constant_iteratorIiNS6_11use_defaultESE_EENS6_10device_ptrIiEENSG_IlEEPmS8_NS6_8equal_toIiEEEE10hipError_tPvRmT2_T3_mT4_T5_T6_T7_T8_P12ihipStream_tbENKUlT_T0_E_clISt17integral_constantIbLb1EES12_IbLb0EEEEDaSY_SZ_EUlSY_E_NS1_11comp_targetILNS1_3genE4ELNS1_11target_archE910ELNS1_3gpuE8ELNS1_3repE0EEENS1_30default_config_static_selectorELNS0_4arch9wavefront6targetE1EEEvT1_
; %bb.0:
	.section	.rodata,"a",@progbits
	.p2align	6, 0x0
	.amdhsa_kernel _ZN7rocprim17ROCPRIM_400000_NS6detail17trampoline_kernelINS0_14default_configENS1_29reduce_by_key_config_selectorIilN6thrust23THRUST_200600_302600_NS4plusIlEEEEZZNS1_33reduce_by_key_impl_wrapped_configILNS1_25lookback_scan_determinismE0ES3_S9_PiNS6_17constant_iteratorIiNS6_11use_defaultESE_EENS6_10device_ptrIiEENSG_IlEEPmS8_NS6_8equal_toIiEEEE10hipError_tPvRmT2_T3_mT4_T5_T6_T7_T8_P12ihipStream_tbENKUlT_T0_E_clISt17integral_constantIbLb1EES12_IbLb0EEEEDaSY_SZ_EUlSY_E_NS1_11comp_targetILNS1_3genE4ELNS1_11target_archE910ELNS1_3gpuE8ELNS1_3repE0EEENS1_30default_config_static_selectorELNS0_4arch9wavefront6targetE1EEEvT1_
		.amdhsa_group_segment_fixed_size 0
		.amdhsa_private_segment_fixed_size 0
		.amdhsa_kernarg_size 144
		.amdhsa_user_sgpr_count 6
		.amdhsa_user_sgpr_private_segment_buffer 1
		.amdhsa_user_sgpr_dispatch_ptr 0
		.amdhsa_user_sgpr_queue_ptr 0
		.amdhsa_user_sgpr_kernarg_segment_ptr 1
		.amdhsa_user_sgpr_dispatch_id 0
		.amdhsa_user_sgpr_flat_scratch_init 0
		.amdhsa_user_sgpr_private_segment_size 0
		.amdhsa_uses_dynamic_stack 0
		.amdhsa_system_sgpr_private_segment_wavefront_offset 0
		.amdhsa_system_sgpr_workgroup_id_x 1
		.amdhsa_system_sgpr_workgroup_id_y 0
		.amdhsa_system_sgpr_workgroup_id_z 0
		.amdhsa_system_sgpr_workgroup_info 0
		.amdhsa_system_vgpr_workitem_id 0
		.amdhsa_next_free_vgpr 1
		.amdhsa_next_free_sgpr 0
		.amdhsa_reserve_vcc 0
		.amdhsa_reserve_flat_scratch 0
		.amdhsa_float_round_mode_32 0
		.amdhsa_float_round_mode_16_64 0
		.amdhsa_float_denorm_mode_32 3
		.amdhsa_float_denorm_mode_16_64 3
		.amdhsa_dx10_clamp 1
		.amdhsa_ieee_mode 1
		.amdhsa_fp16_overflow 0
		.amdhsa_exception_fp_ieee_invalid_op 0
		.amdhsa_exception_fp_denorm_src 0
		.amdhsa_exception_fp_ieee_div_zero 0
		.amdhsa_exception_fp_ieee_overflow 0
		.amdhsa_exception_fp_ieee_underflow 0
		.amdhsa_exception_fp_ieee_inexact 0
		.amdhsa_exception_int_div_zero 0
	.end_amdhsa_kernel
	.section	.text._ZN7rocprim17ROCPRIM_400000_NS6detail17trampoline_kernelINS0_14default_configENS1_29reduce_by_key_config_selectorIilN6thrust23THRUST_200600_302600_NS4plusIlEEEEZZNS1_33reduce_by_key_impl_wrapped_configILNS1_25lookback_scan_determinismE0ES3_S9_PiNS6_17constant_iteratorIiNS6_11use_defaultESE_EENS6_10device_ptrIiEENSG_IlEEPmS8_NS6_8equal_toIiEEEE10hipError_tPvRmT2_T3_mT4_T5_T6_T7_T8_P12ihipStream_tbENKUlT_T0_E_clISt17integral_constantIbLb1EES12_IbLb0EEEEDaSY_SZ_EUlSY_E_NS1_11comp_targetILNS1_3genE4ELNS1_11target_archE910ELNS1_3gpuE8ELNS1_3repE0EEENS1_30default_config_static_selectorELNS0_4arch9wavefront6targetE1EEEvT1_,"axG",@progbits,_ZN7rocprim17ROCPRIM_400000_NS6detail17trampoline_kernelINS0_14default_configENS1_29reduce_by_key_config_selectorIilN6thrust23THRUST_200600_302600_NS4plusIlEEEEZZNS1_33reduce_by_key_impl_wrapped_configILNS1_25lookback_scan_determinismE0ES3_S9_PiNS6_17constant_iteratorIiNS6_11use_defaultESE_EENS6_10device_ptrIiEENSG_IlEEPmS8_NS6_8equal_toIiEEEE10hipError_tPvRmT2_T3_mT4_T5_T6_T7_T8_P12ihipStream_tbENKUlT_T0_E_clISt17integral_constantIbLb1EES12_IbLb0EEEEDaSY_SZ_EUlSY_E_NS1_11comp_targetILNS1_3genE4ELNS1_11target_archE910ELNS1_3gpuE8ELNS1_3repE0EEENS1_30default_config_static_selectorELNS0_4arch9wavefront6targetE1EEEvT1_,comdat
.Lfunc_end958:
	.size	_ZN7rocprim17ROCPRIM_400000_NS6detail17trampoline_kernelINS0_14default_configENS1_29reduce_by_key_config_selectorIilN6thrust23THRUST_200600_302600_NS4plusIlEEEEZZNS1_33reduce_by_key_impl_wrapped_configILNS1_25lookback_scan_determinismE0ES3_S9_PiNS6_17constant_iteratorIiNS6_11use_defaultESE_EENS6_10device_ptrIiEENSG_IlEEPmS8_NS6_8equal_toIiEEEE10hipError_tPvRmT2_T3_mT4_T5_T6_T7_T8_P12ihipStream_tbENKUlT_T0_E_clISt17integral_constantIbLb1EES12_IbLb0EEEEDaSY_SZ_EUlSY_E_NS1_11comp_targetILNS1_3genE4ELNS1_11target_archE910ELNS1_3gpuE8ELNS1_3repE0EEENS1_30default_config_static_selectorELNS0_4arch9wavefront6targetE1EEEvT1_, .Lfunc_end958-_ZN7rocprim17ROCPRIM_400000_NS6detail17trampoline_kernelINS0_14default_configENS1_29reduce_by_key_config_selectorIilN6thrust23THRUST_200600_302600_NS4plusIlEEEEZZNS1_33reduce_by_key_impl_wrapped_configILNS1_25lookback_scan_determinismE0ES3_S9_PiNS6_17constant_iteratorIiNS6_11use_defaultESE_EENS6_10device_ptrIiEENSG_IlEEPmS8_NS6_8equal_toIiEEEE10hipError_tPvRmT2_T3_mT4_T5_T6_T7_T8_P12ihipStream_tbENKUlT_T0_E_clISt17integral_constantIbLb1EES12_IbLb0EEEEDaSY_SZ_EUlSY_E_NS1_11comp_targetILNS1_3genE4ELNS1_11target_archE910ELNS1_3gpuE8ELNS1_3repE0EEENS1_30default_config_static_selectorELNS0_4arch9wavefront6targetE1EEEvT1_
                                        ; -- End function
	.set _ZN7rocprim17ROCPRIM_400000_NS6detail17trampoline_kernelINS0_14default_configENS1_29reduce_by_key_config_selectorIilN6thrust23THRUST_200600_302600_NS4plusIlEEEEZZNS1_33reduce_by_key_impl_wrapped_configILNS1_25lookback_scan_determinismE0ES3_S9_PiNS6_17constant_iteratorIiNS6_11use_defaultESE_EENS6_10device_ptrIiEENSG_IlEEPmS8_NS6_8equal_toIiEEEE10hipError_tPvRmT2_T3_mT4_T5_T6_T7_T8_P12ihipStream_tbENKUlT_T0_E_clISt17integral_constantIbLb1EES12_IbLb0EEEEDaSY_SZ_EUlSY_E_NS1_11comp_targetILNS1_3genE4ELNS1_11target_archE910ELNS1_3gpuE8ELNS1_3repE0EEENS1_30default_config_static_selectorELNS0_4arch9wavefront6targetE1EEEvT1_.num_vgpr, 0
	.set _ZN7rocprim17ROCPRIM_400000_NS6detail17trampoline_kernelINS0_14default_configENS1_29reduce_by_key_config_selectorIilN6thrust23THRUST_200600_302600_NS4plusIlEEEEZZNS1_33reduce_by_key_impl_wrapped_configILNS1_25lookback_scan_determinismE0ES3_S9_PiNS6_17constant_iteratorIiNS6_11use_defaultESE_EENS6_10device_ptrIiEENSG_IlEEPmS8_NS6_8equal_toIiEEEE10hipError_tPvRmT2_T3_mT4_T5_T6_T7_T8_P12ihipStream_tbENKUlT_T0_E_clISt17integral_constantIbLb1EES12_IbLb0EEEEDaSY_SZ_EUlSY_E_NS1_11comp_targetILNS1_3genE4ELNS1_11target_archE910ELNS1_3gpuE8ELNS1_3repE0EEENS1_30default_config_static_selectorELNS0_4arch9wavefront6targetE1EEEvT1_.num_agpr, 0
	.set _ZN7rocprim17ROCPRIM_400000_NS6detail17trampoline_kernelINS0_14default_configENS1_29reduce_by_key_config_selectorIilN6thrust23THRUST_200600_302600_NS4plusIlEEEEZZNS1_33reduce_by_key_impl_wrapped_configILNS1_25lookback_scan_determinismE0ES3_S9_PiNS6_17constant_iteratorIiNS6_11use_defaultESE_EENS6_10device_ptrIiEENSG_IlEEPmS8_NS6_8equal_toIiEEEE10hipError_tPvRmT2_T3_mT4_T5_T6_T7_T8_P12ihipStream_tbENKUlT_T0_E_clISt17integral_constantIbLb1EES12_IbLb0EEEEDaSY_SZ_EUlSY_E_NS1_11comp_targetILNS1_3genE4ELNS1_11target_archE910ELNS1_3gpuE8ELNS1_3repE0EEENS1_30default_config_static_selectorELNS0_4arch9wavefront6targetE1EEEvT1_.numbered_sgpr, 0
	.set _ZN7rocprim17ROCPRIM_400000_NS6detail17trampoline_kernelINS0_14default_configENS1_29reduce_by_key_config_selectorIilN6thrust23THRUST_200600_302600_NS4plusIlEEEEZZNS1_33reduce_by_key_impl_wrapped_configILNS1_25lookback_scan_determinismE0ES3_S9_PiNS6_17constant_iteratorIiNS6_11use_defaultESE_EENS6_10device_ptrIiEENSG_IlEEPmS8_NS6_8equal_toIiEEEE10hipError_tPvRmT2_T3_mT4_T5_T6_T7_T8_P12ihipStream_tbENKUlT_T0_E_clISt17integral_constantIbLb1EES12_IbLb0EEEEDaSY_SZ_EUlSY_E_NS1_11comp_targetILNS1_3genE4ELNS1_11target_archE910ELNS1_3gpuE8ELNS1_3repE0EEENS1_30default_config_static_selectorELNS0_4arch9wavefront6targetE1EEEvT1_.num_named_barrier, 0
	.set _ZN7rocprim17ROCPRIM_400000_NS6detail17trampoline_kernelINS0_14default_configENS1_29reduce_by_key_config_selectorIilN6thrust23THRUST_200600_302600_NS4plusIlEEEEZZNS1_33reduce_by_key_impl_wrapped_configILNS1_25lookback_scan_determinismE0ES3_S9_PiNS6_17constant_iteratorIiNS6_11use_defaultESE_EENS6_10device_ptrIiEENSG_IlEEPmS8_NS6_8equal_toIiEEEE10hipError_tPvRmT2_T3_mT4_T5_T6_T7_T8_P12ihipStream_tbENKUlT_T0_E_clISt17integral_constantIbLb1EES12_IbLb0EEEEDaSY_SZ_EUlSY_E_NS1_11comp_targetILNS1_3genE4ELNS1_11target_archE910ELNS1_3gpuE8ELNS1_3repE0EEENS1_30default_config_static_selectorELNS0_4arch9wavefront6targetE1EEEvT1_.private_seg_size, 0
	.set _ZN7rocprim17ROCPRIM_400000_NS6detail17trampoline_kernelINS0_14default_configENS1_29reduce_by_key_config_selectorIilN6thrust23THRUST_200600_302600_NS4plusIlEEEEZZNS1_33reduce_by_key_impl_wrapped_configILNS1_25lookback_scan_determinismE0ES3_S9_PiNS6_17constant_iteratorIiNS6_11use_defaultESE_EENS6_10device_ptrIiEENSG_IlEEPmS8_NS6_8equal_toIiEEEE10hipError_tPvRmT2_T3_mT4_T5_T6_T7_T8_P12ihipStream_tbENKUlT_T0_E_clISt17integral_constantIbLb1EES12_IbLb0EEEEDaSY_SZ_EUlSY_E_NS1_11comp_targetILNS1_3genE4ELNS1_11target_archE910ELNS1_3gpuE8ELNS1_3repE0EEENS1_30default_config_static_selectorELNS0_4arch9wavefront6targetE1EEEvT1_.uses_vcc, 0
	.set _ZN7rocprim17ROCPRIM_400000_NS6detail17trampoline_kernelINS0_14default_configENS1_29reduce_by_key_config_selectorIilN6thrust23THRUST_200600_302600_NS4plusIlEEEEZZNS1_33reduce_by_key_impl_wrapped_configILNS1_25lookback_scan_determinismE0ES3_S9_PiNS6_17constant_iteratorIiNS6_11use_defaultESE_EENS6_10device_ptrIiEENSG_IlEEPmS8_NS6_8equal_toIiEEEE10hipError_tPvRmT2_T3_mT4_T5_T6_T7_T8_P12ihipStream_tbENKUlT_T0_E_clISt17integral_constantIbLb1EES12_IbLb0EEEEDaSY_SZ_EUlSY_E_NS1_11comp_targetILNS1_3genE4ELNS1_11target_archE910ELNS1_3gpuE8ELNS1_3repE0EEENS1_30default_config_static_selectorELNS0_4arch9wavefront6targetE1EEEvT1_.uses_flat_scratch, 0
	.set _ZN7rocprim17ROCPRIM_400000_NS6detail17trampoline_kernelINS0_14default_configENS1_29reduce_by_key_config_selectorIilN6thrust23THRUST_200600_302600_NS4plusIlEEEEZZNS1_33reduce_by_key_impl_wrapped_configILNS1_25lookback_scan_determinismE0ES3_S9_PiNS6_17constant_iteratorIiNS6_11use_defaultESE_EENS6_10device_ptrIiEENSG_IlEEPmS8_NS6_8equal_toIiEEEE10hipError_tPvRmT2_T3_mT4_T5_T6_T7_T8_P12ihipStream_tbENKUlT_T0_E_clISt17integral_constantIbLb1EES12_IbLb0EEEEDaSY_SZ_EUlSY_E_NS1_11comp_targetILNS1_3genE4ELNS1_11target_archE910ELNS1_3gpuE8ELNS1_3repE0EEENS1_30default_config_static_selectorELNS0_4arch9wavefront6targetE1EEEvT1_.has_dyn_sized_stack, 0
	.set _ZN7rocprim17ROCPRIM_400000_NS6detail17trampoline_kernelINS0_14default_configENS1_29reduce_by_key_config_selectorIilN6thrust23THRUST_200600_302600_NS4plusIlEEEEZZNS1_33reduce_by_key_impl_wrapped_configILNS1_25lookback_scan_determinismE0ES3_S9_PiNS6_17constant_iteratorIiNS6_11use_defaultESE_EENS6_10device_ptrIiEENSG_IlEEPmS8_NS6_8equal_toIiEEEE10hipError_tPvRmT2_T3_mT4_T5_T6_T7_T8_P12ihipStream_tbENKUlT_T0_E_clISt17integral_constantIbLb1EES12_IbLb0EEEEDaSY_SZ_EUlSY_E_NS1_11comp_targetILNS1_3genE4ELNS1_11target_archE910ELNS1_3gpuE8ELNS1_3repE0EEENS1_30default_config_static_selectorELNS0_4arch9wavefront6targetE1EEEvT1_.has_recursion, 0
	.set _ZN7rocprim17ROCPRIM_400000_NS6detail17trampoline_kernelINS0_14default_configENS1_29reduce_by_key_config_selectorIilN6thrust23THRUST_200600_302600_NS4plusIlEEEEZZNS1_33reduce_by_key_impl_wrapped_configILNS1_25lookback_scan_determinismE0ES3_S9_PiNS6_17constant_iteratorIiNS6_11use_defaultESE_EENS6_10device_ptrIiEENSG_IlEEPmS8_NS6_8equal_toIiEEEE10hipError_tPvRmT2_T3_mT4_T5_T6_T7_T8_P12ihipStream_tbENKUlT_T0_E_clISt17integral_constantIbLb1EES12_IbLb0EEEEDaSY_SZ_EUlSY_E_NS1_11comp_targetILNS1_3genE4ELNS1_11target_archE910ELNS1_3gpuE8ELNS1_3repE0EEENS1_30default_config_static_selectorELNS0_4arch9wavefront6targetE1EEEvT1_.has_indirect_call, 0
	.section	.AMDGPU.csdata,"",@progbits
; Kernel info:
; codeLenInByte = 0
; TotalNumSgprs: 4
; NumVgprs: 0
; ScratchSize: 0
; MemoryBound: 0
; FloatMode: 240
; IeeeMode: 1
; LDSByteSize: 0 bytes/workgroup (compile time only)
; SGPRBlocks: 0
; VGPRBlocks: 0
; NumSGPRsForWavesPerEU: 4
; NumVGPRsForWavesPerEU: 1
; Occupancy: 10
; WaveLimiterHint : 0
; COMPUTE_PGM_RSRC2:SCRATCH_EN: 0
; COMPUTE_PGM_RSRC2:USER_SGPR: 6
; COMPUTE_PGM_RSRC2:TRAP_HANDLER: 0
; COMPUTE_PGM_RSRC2:TGID_X_EN: 1
; COMPUTE_PGM_RSRC2:TGID_Y_EN: 0
; COMPUTE_PGM_RSRC2:TGID_Z_EN: 0
; COMPUTE_PGM_RSRC2:TIDIG_COMP_CNT: 0
	.section	.text._ZN7rocprim17ROCPRIM_400000_NS6detail17trampoline_kernelINS0_14default_configENS1_29reduce_by_key_config_selectorIilN6thrust23THRUST_200600_302600_NS4plusIlEEEEZZNS1_33reduce_by_key_impl_wrapped_configILNS1_25lookback_scan_determinismE0ES3_S9_PiNS6_17constant_iteratorIiNS6_11use_defaultESE_EENS6_10device_ptrIiEENSG_IlEEPmS8_NS6_8equal_toIiEEEE10hipError_tPvRmT2_T3_mT4_T5_T6_T7_T8_P12ihipStream_tbENKUlT_T0_E_clISt17integral_constantIbLb1EES12_IbLb0EEEEDaSY_SZ_EUlSY_E_NS1_11comp_targetILNS1_3genE3ELNS1_11target_archE908ELNS1_3gpuE7ELNS1_3repE0EEENS1_30default_config_static_selectorELNS0_4arch9wavefront6targetE1EEEvT1_,"axG",@progbits,_ZN7rocprim17ROCPRIM_400000_NS6detail17trampoline_kernelINS0_14default_configENS1_29reduce_by_key_config_selectorIilN6thrust23THRUST_200600_302600_NS4plusIlEEEEZZNS1_33reduce_by_key_impl_wrapped_configILNS1_25lookback_scan_determinismE0ES3_S9_PiNS6_17constant_iteratorIiNS6_11use_defaultESE_EENS6_10device_ptrIiEENSG_IlEEPmS8_NS6_8equal_toIiEEEE10hipError_tPvRmT2_T3_mT4_T5_T6_T7_T8_P12ihipStream_tbENKUlT_T0_E_clISt17integral_constantIbLb1EES12_IbLb0EEEEDaSY_SZ_EUlSY_E_NS1_11comp_targetILNS1_3genE3ELNS1_11target_archE908ELNS1_3gpuE7ELNS1_3repE0EEENS1_30default_config_static_selectorELNS0_4arch9wavefront6targetE1EEEvT1_,comdat
	.protected	_ZN7rocprim17ROCPRIM_400000_NS6detail17trampoline_kernelINS0_14default_configENS1_29reduce_by_key_config_selectorIilN6thrust23THRUST_200600_302600_NS4plusIlEEEEZZNS1_33reduce_by_key_impl_wrapped_configILNS1_25lookback_scan_determinismE0ES3_S9_PiNS6_17constant_iteratorIiNS6_11use_defaultESE_EENS6_10device_ptrIiEENSG_IlEEPmS8_NS6_8equal_toIiEEEE10hipError_tPvRmT2_T3_mT4_T5_T6_T7_T8_P12ihipStream_tbENKUlT_T0_E_clISt17integral_constantIbLb1EES12_IbLb0EEEEDaSY_SZ_EUlSY_E_NS1_11comp_targetILNS1_3genE3ELNS1_11target_archE908ELNS1_3gpuE7ELNS1_3repE0EEENS1_30default_config_static_selectorELNS0_4arch9wavefront6targetE1EEEvT1_ ; -- Begin function _ZN7rocprim17ROCPRIM_400000_NS6detail17trampoline_kernelINS0_14default_configENS1_29reduce_by_key_config_selectorIilN6thrust23THRUST_200600_302600_NS4plusIlEEEEZZNS1_33reduce_by_key_impl_wrapped_configILNS1_25lookback_scan_determinismE0ES3_S9_PiNS6_17constant_iteratorIiNS6_11use_defaultESE_EENS6_10device_ptrIiEENSG_IlEEPmS8_NS6_8equal_toIiEEEE10hipError_tPvRmT2_T3_mT4_T5_T6_T7_T8_P12ihipStream_tbENKUlT_T0_E_clISt17integral_constantIbLb1EES12_IbLb0EEEEDaSY_SZ_EUlSY_E_NS1_11comp_targetILNS1_3genE3ELNS1_11target_archE908ELNS1_3gpuE7ELNS1_3repE0EEENS1_30default_config_static_selectorELNS0_4arch9wavefront6targetE1EEEvT1_
	.globl	_ZN7rocprim17ROCPRIM_400000_NS6detail17trampoline_kernelINS0_14default_configENS1_29reduce_by_key_config_selectorIilN6thrust23THRUST_200600_302600_NS4plusIlEEEEZZNS1_33reduce_by_key_impl_wrapped_configILNS1_25lookback_scan_determinismE0ES3_S9_PiNS6_17constant_iteratorIiNS6_11use_defaultESE_EENS6_10device_ptrIiEENSG_IlEEPmS8_NS6_8equal_toIiEEEE10hipError_tPvRmT2_T3_mT4_T5_T6_T7_T8_P12ihipStream_tbENKUlT_T0_E_clISt17integral_constantIbLb1EES12_IbLb0EEEEDaSY_SZ_EUlSY_E_NS1_11comp_targetILNS1_3genE3ELNS1_11target_archE908ELNS1_3gpuE7ELNS1_3repE0EEENS1_30default_config_static_selectorELNS0_4arch9wavefront6targetE1EEEvT1_
	.p2align	8
	.type	_ZN7rocprim17ROCPRIM_400000_NS6detail17trampoline_kernelINS0_14default_configENS1_29reduce_by_key_config_selectorIilN6thrust23THRUST_200600_302600_NS4plusIlEEEEZZNS1_33reduce_by_key_impl_wrapped_configILNS1_25lookback_scan_determinismE0ES3_S9_PiNS6_17constant_iteratorIiNS6_11use_defaultESE_EENS6_10device_ptrIiEENSG_IlEEPmS8_NS6_8equal_toIiEEEE10hipError_tPvRmT2_T3_mT4_T5_T6_T7_T8_P12ihipStream_tbENKUlT_T0_E_clISt17integral_constantIbLb1EES12_IbLb0EEEEDaSY_SZ_EUlSY_E_NS1_11comp_targetILNS1_3genE3ELNS1_11target_archE908ELNS1_3gpuE7ELNS1_3repE0EEENS1_30default_config_static_selectorELNS0_4arch9wavefront6targetE1EEEvT1_,@function
_ZN7rocprim17ROCPRIM_400000_NS6detail17trampoline_kernelINS0_14default_configENS1_29reduce_by_key_config_selectorIilN6thrust23THRUST_200600_302600_NS4plusIlEEEEZZNS1_33reduce_by_key_impl_wrapped_configILNS1_25lookback_scan_determinismE0ES3_S9_PiNS6_17constant_iteratorIiNS6_11use_defaultESE_EENS6_10device_ptrIiEENSG_IlEEPmS8_NS6_8equal_toIiEEEE10hipError_tPvRmT2_T3_mT4_T5_T6_T7_T8_P12ihipStream_tbENKUlT_T0_E_clISt17integral_constantIbLb1EES12_IbLb0EEEEDaSY_SZ_EUlSY_E_NS1_11comp_targetILNS1_3genE3ELNS1_11target_archE908ELNS1_3gpuE7ELNS1_3repE0EEENS1_30default_config_static_selectorELNS0_4arch9wavefront6targetE1EEEvT1_: ; @_ZN7rocprim17ROCPRIM_400000_NS6detail17trampoline_kernelINS0_14default_configENS1_29reduce_by_key_config_selectorIilN6thrust23THRUST_200600_302600_NS4plusIlEEEEZZNS1_33reduce_by_key_impl_wrapped_configILNS1_25lookback_scan_determinismE0ES3_S9_PiNS6_17constant_iteratorIiNS6_11use_defaultESE_EENS6_10device_ptrIiEENSG_IlEEPmS8_NS6_8equal_toIiEEEE10hipError_tPvRmT2_T3_mT4_T5_T6_T7_T8_P12ihipStream_tbENKUlT_T0_E_clISt17integral_constantIbLb1EES12_IbLb0EEEEDaSY_SZ_EUlSY_E_NS1_11comp_targetILNS1_3genE3ELNS1_11target_archE908ELNS1_3gpuE7ELNS1_3repE0EEENS1_30default_config_static_selectorELNS0_4arch9wavefront6targetE1EEEvT1_
; %bb.0:
	.section	.rodata,"a",@progbits
	.p2align	6, 0x0
	.amdhsa_kernel _ZN7rocprim17ROCPRIM_400000_NS6detail17trampoline_kernelINS0_14default_configENS1_29reduce_by_key_config_selectorIilN6thrust23THRUST_200600_302600_NS4plusIlEEEEZZNS1_33reduce_by_key_impl_wrapped_configILNS1_25lookback_scan_determinismE0ES3_S9_PiNS6_17constant_iteratorIiNS6_11use_defaultESE_EENS6_10device_ptrIiEENSG_IlEEPmS8_NS6_8equal_toIiEEEE10hipError_tPvRmT2_T3_mT4_T5_T6_T7_T8_P12ihipStream_tbENKUlT_T0_E_clISt17integral_constantIbLb1EES12_IbLb0EEEEDaSY_SZ_EUlSY_E_NS1_11comp_targetILNS1_3genE3ELNS1_11target_archE908ELNS1_3gpuE7ELNS1_3repE0EEENS1_30default_config_static_selectorELNS0_4arch9wavefront6targetE1EEEvT1_
		.amdhsa_group_segment_fixed_size 0
		.amdhsa_private_segment_fixed_size 0
		.amdhsa_kernarg_size 144
		.amdhsa_user_sgpr_count 6
		.amdhsa_user_sgpr_private_segment_buffer 1
		.amdhsa_user_sgpr_dispatch_ptr 0
		.amdhsa_user_sgpr_queue_ptr 0
		.amdhsa_user_sgpr_kernarg_segment_ptr 1
		.amdhsa_user_sgpr_dispatch_id 0
		.amdhsa_user_sgpr_flat_scratch_init 0
		.amdhsa_user_sgpr_private_segment_size 0
		.amdhsa_uses_dynamic_stack 0
		.amdhsa_system_sgpr_private_segment_wavefront_offset 0
		.amdhsa_system_sgpr_workgroup_id_x 1
		.amdhsa_system_sgpr_workgroup_id_y 0
		.amdhsa_system_sgpr_workgroup_id_z 0
		.amdhsa_system_sgpr_workgroup_info 0
		.amdhsa_system_vgpr_workitem_id 0
		.amdhsa_next_free_vgpr 1
		.amdhsa_next_free_sgpr 0
		.amdhsa_reserve_vcc 0
		.amdhsa_reserve_flat_scratch 0
		.amdhsa_float_round_mode_32 0
		.amdhsa_float_round_mode_16_64 0
		.amdhsa_float_denorm_mode_32 3
		.amdhsa_float_denorm_mode_16_64 3
		.amdhsa_dx10_clamp 1
		.amdhsa_ieee_mode 1
		.amdhsa_fp16_overflow 0
		.amdhsa_exception_fp_ieee_invalid_op 0
		.amdhsa_exception_fp_denorm_src 0
		.amdhsa_exception_fp_ieee_div_zero 0
		.amdhsa_exception_fp_ieee_overflow 0
		.amdhsa_exception_fp_ieee_underflow 0
		.amdhsa_exception_fp_ieee_inexact 0
		.amdhsa_exception_int_div_zero 0
	.end_amdhsa_kernel
	.section	.text._ZN7rocprim17ROCPRIM_400000_NS6detail17trampoline_kernelINS0_14default_configENS1_29reduce_by_key_config_selectorIilN6thrust23THRUST_200600_302600_NS4plusIlEEEEZZNS1_33reduce_by_key_impl_wrapped_configILNS1_25lookback_scan_determinismE0ES3_S9_PiNS6_17constant_iteratorIiNS6_11use_defaultESE_EENS6_10device_ptrIiEENSG_IlEEPmS8_NS6_8equal_toIiEEEE10hipError_tPvRmT2_T3_mT4_T5_T6_T7_T8_P12ihipStream_tbENKUlT_T0_E_clISt17integral_constantIbLb1EES12_IbLb0EEEEDaSY_SZ_EUlSY_E_NS1_11comp_targetILNS1_3genE3ELNS1_11target_archE908ELNS1_3gpuE7ELNS1_3repE0EEENS1_30default_config_static_selectorELNS0_4arch9wavefront6targetE1EEEvT1_,"axG",@progbits,_ZN7rocprim17ROCPRIM_400000_NS6detail17trampoline_kernelINS0_14default_configENS1_29reduce_by_key_config_selectorIilN6thrust23THRUST_200600_302600_NS4plusIlEEEEZZNS1_33reduce_by_key_impl_wrapped_configILNS1_25lookback_scan_determinismE0ES3_S9_PiNS6_17constant_iteratorIiNS6_11use_defaultESE_EENS6_10device_ptrIiEENSG_IlEEPmS8_NS6_8equal_toIiEEEE10hipError_tPvRmT2_T3_mT4_T5_T6_T7_T8_P12ihipStream_tbENKUlT_T0_E_clISt17integral_constantIbLb1EES12_IbLb0EEEEDaSY_SZ_EUlSY_E_NS1_11comp_targetILNS1_3genE3ELNS1_11target_archE908ELNS1_3gpuE7ELNS1_3repE0EEENS1_30default_config_static_selectorELNS0_4arch9wavefront6targetE1EEEvT1_,comdat
.Lfunc_end959:
	.size	_ZN7rocprim17ROCPRIM_400000_NS6detail17trampoline_kernelINS0_14default_configENS1_29reduce_by_key_config_selectorIilN6thrust23THRUST_200600_302600_NS4plusIlEEEEZZNS1_33reduce_by_key_impl_wrapped_configILNS1_25lookback_scan_determinismE0ES3_S9_PiNS6_17constant_iteratorIiNS6_11use_defaultESE_EENS6_10device_ptrIiEENSG_IlEEPmS8_NS6_8equal_toIiEEEE10hipError_tPvRmT2_T3_mT4_T5_T6_T7_T8_P12ihipStream_tbENKUlT_T0_E_clISt17integral_constantIbLb1EES12_IbLb0EEEEDaSY_SZ_EUlSY_E_NS1_11comp_targetILNS1_3genE3ELNS1_11target_archE908ELNS1_3gpuE7ELNS1_3repE0EEENS1_30default_config_static_selectorELNS0_4arch9wavefront6targetE1EEEvT1_, .Lfunc_end959-_ZN7rocprim17ROCPRIM_400000_NS6detail17trampoline_kernelINS0_14default_configENS1_29reduce_by_key_config_selectorIilN6thrust23THRUST_200600_302600_NS4plusIlEEEEZZNS1_33reduce_by_key_impl_wrapped_configILNS1_25lookback_scan_determinismE0ES3_S9_PiNS6_17constant_iteratorIiNS6_11use_defaultESE_EENS6_10device_ptrIiEENSG_IlEEPmS8_NS6_8equal_toIiEEEE10hipError_tPvRmT2_T3_mT4_T5_T6_T7_T8_P12ihipStream_tbENKUlT_T0_E_clISt17integral_constantIbLb1EES12_IbLb0EEEEDaSY_SZ_EUlSY_E_NS1_11comp_targetILNS1_3genE3ELNS1_11target_archE908ELNS1_3gpuE7ELNS1_3repE0EEENS1_30default_config_static_selectorELNS0_4arch9wavefront6targetE1EEEvT1_
                                        ; -- End function
	.set _ZN7rocprim17ROCPRIM_400000_NS6detail17trampoline_kernelINS0_14default_configENS1_29reduce_by_key_config_selectorIilN6thrust23THRUST_200600_302600_NS4plusIlEEEEZZNS1_33reduce_by_key_impl_wrapped_configILNS1_25lookback_scan_determinismE0ES3_S9_PiNS6_17constant_iteratorIiNS6_11use_defaultESE_EENS6_10device_ptrIiEENSG_IlEEPmS8_NS6_8equal_toIiEEEE10hipError_tPvRmT2_T3_mT4_T5_T6_T7_T8_P12ihipStream_tbENKUlT_T0_E_clISt17integral_constantIbLb1EES12_IbLb0EEEEDaSY_SZ_EUlSY_E_NS1_11comp_targetILNS1_3genE3ELNS1_11target_archE908ELNS1_3gpuE7ELNS1_3repE0EEENS1_30default_config_static_selectorELNS0_4arch9wavefront6targetE1EEEvT1_.num_vgpr, 0
	.set _ZN7rocprim17ROCPRIM_400000_NS6detail17trampoline_kernelINS0_14default_configENS1_29reduce_by_key_config_selectorIilN6thrust23THRUST_200600_302600_NS4plusIlEEEEZZNS1_33reduce_by_key_impl_wrapped_configILNS1_25lookback_scan_determinismE0ES3_S9_PiNS6_17constant_iteratorIiNS6_11use_defaultESE_EENS6_10device_ptrIiEENSG_IlEEPmS8_NS6_8equal_toIiEEEE10hipError_tPvRmT2_T3_mT4_T5_T6_T7_T8_P12ihipStream_tbENKUlT_T0_E_clISt17integral_constantIbLb1EES12_IbLb0EEEEDaSY_SZ_EUlSY_E_NS1_11comp_targetILNS1_3genE3ELNS1_11target_archE908ELNS1_3gpuE7ELNS1_3repE0EEENS1_30default_config_static_selectorELNS0_4arch9wavefront6targetE1EEEvT1_.num_agpr, 0
	.set _ZN7rocprim17ROCPRIM_400000_NS6detail17trampoline_kernelINS0_14default_configENS1_29reduce_by_key_config_selectorIilN6thrust23THRUST_200600_302600_NS4plusIlEEEEZZNS1_33reduce_by_key_impl_wrapped_configILNS1_25lookback_scan_determinismE0ES3_S9_PiNS6_17constant_iteratorIiNS6_11use_defaultESE_EENS6_10device_ptrIiEENSG_IlEEPmS8_NS6_8equal_toIiEEEE10hipError_tPvRmT2_T3_mT4_T5_T6_T7_T8_P12ihipStream_tbENKUlT_T0_E_clISt17integral_constantIbLb1EES12_IbLb0EEEEDaSY_SZ_EUlSY_E_NS1_11comp_targetILNS1_3genE3ELNS1_11target_archE908ELNS1_3gpuE7ELNS1_3repE0EEENS1_30default_config_static_selectorELNS0_4arch9wavefront6targetE1EEEvT1_.numbered_sgpr, 0
	.set _ZN7rocprim17ROCPRIM_400000_NS6detail17trampoline_kernelINS0_14default_configENS1_29reduce_by_key_config_selectorIilN6thrust23THRUST_200600_302600_NS4plusIlEEEEZZNS1_33reduce_by_key_impl_wrapped_configILNS1_25lookback_scan_determinismE0ES3_S9_PiNS6_17constant_iteratorIiNS6_11use_defaultESE_EENS6_10device_ptrIiEENSG_IlEEPmS8_NS6_8equal_toIiEEEE10hipError_tPvRmT2_T3_mT4_T5_T6_T7_T8_P12ihipStream_tbENKUlT_T0_E_clISt17integral_constantIbLb1EES12_IbLb0EEEEDaSY_SZ_EUlSY_E_NS1_11comp_targetILNS1_3genE3ELNS1_11target_archE908ELNS1_3gpuE7ELNS1_3repE0EEENS1_30default_config_static_selectorELNS0_4arch9wavefront6targetE1EEEvT1_.num_named_barrier, 0
	.set _ZN7rocprim17ROCPRIM_400000_NS6detail17trampoline_kernelINS0_14default_configENS1_29reduce_by_key_config_selectorIilN6thrust23THRUST_200600_302600_NS4plusIlEEEEZZNS1_33reduce_by_key_impl_wrapped_configILNS1_25lookback_scan_determinismE0ES3_S9_PiNS6_17constant_iteratorIiNS6_11use_defaultESE_EENS6_10device_ptrIiEENSG_IlEEPmS8_NS6_8equal_toIiEEEE10hipError_tPvRmT2_T3_mT4_T5_T6_T7_T8_P12ihipStream_tbENKUlT_T0_E_clISt17integral_constantIbLb1EES12_IbLb0EEEEDaSY_SZ_EUlSY_E_NS1_11comp_targetILNS1_3genE3ELNS1_11target_archE908ELNS1_3gpuE7ELNS1_3repE0EEENS1_30default_config_static_selectorELNS0_4arch9wavefront6targetE1EEEvT1_.private_seg_size, 0
	.set _ZN7rocprim17ROCPRIM_400000_NS6detail17trampoline_kernelINS0_14default_configENS1_29reduce_by_key_config_selectorIilN6thrust23THRUST_200600_302600_NS4plusIlEEEEZZNS1_33reduce_by_key_impl_wrapped_configILNS1_25lookback_scan_determinismE0ES3_S9_PiNS6_17constant_iteratorIiNS6_11use_defaultESE_EENS6_10device_ptrIiEENSG_IlEEPmS8_NS6_8equal_toIiEEEE10hipError_tPvRmT2_T3_mT4_T5_T6_T7_T8_P12ihipStream_tbENKUlT_T0_E_clISt17integral_constantIbLb1EES12_IbLb0EEEEDaSY_SZ_EUlSY_E_NS1_11comp_targetILNS1_3genE3ELNS1_11target_archE908ELNS1_3gpuE7ELNS1_3repE0EEENS1_30default_config_static_selectorELNS0_4arch9wavefront6targetE1EEEvT1_.uses_vcc, 0
	.set _ZN7rocprim17ROCPRIM_400000_NS6detail17trampoline_kernelINS0_14default_configENS1_29reduce_by_key_config_selectorIilN6thrust23THRUST_200600_302600_NS4plusIlEEEEZZNS1_33reduce_by_key_impl_wrapped_configILNS1_25lookback_scan_determinismE0ES3_S9_PiNS6_17constant_iteratorIiNS6_11use_defaultESE_EENS6_10device_ptrIiEENSG_IlEEPmS8_NS6_8equal_toIiEEEE10hipError_tPvRmT2_T3_mT4_T5_T6_T7_T8_P12ihipStream_tbENKUlT_T0_E_clISt17integral_constantIbLb1EES12_IbLb0EEEEDaSY_SZ_EUlSY_E_NS1_11comp_targetILNS1_3genE3ELNS1_11target_archE908ELNS1_3gpuE7ELNS1_3repE0EEENS1_30default_config_static_selectorELNS0_4arch9wavefront6targetE1EEEvT1_.uses_flat_scratch, 0
	.set _ZN7rocprim17ROCPRIM_400000_NS6detail17trampoline_kernelINS0_14default_configENS1_29reduce_by_key_config_selectorIilN6thrust23THRUST_200600_302600_NS4plusIlEEEEZZNS1_33reduce_by_key_impl_wrapped_configILNS1_25lookback_scan_determinismE0ES3_S9_PiNS6_17constant_iteratorIiNS6_11use_defaultESE_EENS6_10device_ptrIiEENSG_IlEEPmS8_NS6_8equal_toIiEEEE10hipError_tPvRmT2_T3_mT4_T5_T6_T7_T8_P12ihipStream_tbENKUlT_T0_E_clISt17integral_constantIbLb1EES12_IbLb0EEEEDaSY_SZ_EUlSY_E_NS1_11comp_targetILNS1_3genE3ELNS1_11target_archE908ELNS1_3gpuE7ELNS1_3repE0EEENS1_30default_config_static_selectorELNS0_4arch9wavefront6targetE1EEEvT1_.has_dyn_sized_stack, 0
	.set _ZN7rocprim17ROCPRIM_400000_NS6detail17trampoline_kernelINS0_14default_configENS1_29reduce_by_key_config_selectorIilN6thrust23THRUST_200600_302600_NS4plusIlEEEEZZNS1_33reduce_by_key_impl_wrapped_configILNS1_25lookback_scan_determinismE0ES3_S9_PiNS6_17constant_iteratorIiNS6_11use_defaultESE_EENS6_10device_ptrIiEENSG_IlEEPmS8_NS6_8equal_toIiEEEE10hipError_tPvRmT2_T3_mT4_T5_T6_T7_T8_P12ihipStream_tbENKUlT_T0_E_clISt17integral_constantIbLb1EES12_IbLb0EEEEDaSY_SZ_EUlSY_E_NS1_11comp_targetILNS1_3genE3ELNS1_11target_archE908ELNS1_3gpuE7ELNS1_3repE0EEENS1_30default_config_static_selectorELNS0_4arch9wavefront6targetE1EEEvT1_.has_recursion, 0
	.set _ZN7rocprim17ROCPRIM_400000_NS6detail17trampoline_kernelINS0_14default_configENS1_29reduce_by_key_config_selectorIilN6thrust23THRUST_200600_302600_NS4plusIlEEEEZZNS1_33reduce_by_key_impl_wrapped_configILNS1_25lookback_scan_determinismE0ES3_S9_PiNS6_17constant_iteratorIiNS6_11use_defaultESE_EENS6_10device_ptrIiEENSG_IlEEPmS8_NS6_8equal_toIiEEEE10hipError_tPvRmT2_T3_mT4_T5_T6_T7_T8_P12ihipStream_tbENKUlT_T0_E_clISt17integral_constantIbLb1EES12_IbLb0EEEEDaSY_SZ_EUlSY_E_NS1_11comp_targetILNS1_3genE3ELNS1_11target_archE908ELNS1_3gpuE7ELNS1_3repE0EEENS1_30default_config_static_selectorELNS0_4arch9wavefront6targetE1EEEvT1_.has_indirect_call, 0
	.section	.AMDGPU.csdata,"",@progbits
; Kernel info:
; codeLenInByte = 0
; TotalNumSgprs: 4
; NumVgprs: 0
; ScratchSize: 0
; MemoryBound: 0
; FloatMode: 240
; IeeeMode: 1
; LDSByteSize: 0 bytes/workgroup (compile time only)
; SGPRBlocks: 0
; VGPRBlocks: 0
; NumSGPRsForWavesPerEU: 4
; NumVGPRsForWavesPerEU: 1
; Occupancy: 10
; WaveLimiterHint : 0
; COMPUTE_PGM_RSRC2:SCRATCH_EN: 0
; COMPUTE_PGM_RSRC2:USER_SGPR: 6
; COMPUTE_PGM_RSRC2:TRAP_HANDLER: 0
; COMPUTE_PGM_RSRC2:TGID_X_EN: 1
; COMPUTE_PGM_RSRC2:TGID_Y_EN: 0
; COMPUTE_PGM_RSRC2:TGID_Z_EN: 0
; COMPUTE_PGM_RSRC2:TIDIG_COMP_CNT: 0
	.section	.text._ZN7rocprim17ROCPRIM_400000_NS6detail17trampoline_kernelINS0_14default_configENS1_29reduce_by_key_config_selectorIilN6thrust23THRUST_200600_302600_NS4plusIlEEEEZZNS1_33reduce_by_key_impl_wrapped_configILNS1_25lookback_scan_determinismE0ES3_S9_PiNS6_17constant_iteratorIiNS6_11use_defaultESE_EENS6_10device_ptrIiEENSG_IlEEPmS8_NS6_8equal_toIiEEEE10hipError_tPvRmT2_T3_mT4_T5_T6_T7_T8_P12ihipStream_tbENKUlT_T0_E_clISt17integral_constantIbLb1EES12_IbLb0EEEEDaSY_SZ_EUlSY_E_NS1_11comp_targetILNS1_3genE2ELNS1_11target_archE906ELNS1_3gpuE6ELNS1_3repE0EEENS1_30default_config_static_selectorELNS0_4arch9wavefront6targetE1EEEvT1_,"axG",@progbits,_ZN7rocprim17ROCPRIM_400000_NS6detail17trampoline_kernelINS0_14default_configENS1_29reduce_by_key_config_selectorIilN6thrust23THRUST_200600_302600_NS4plusIlEEEEZZNS1_33reduce_by_key_impl_wrapped_configILNS1_25lookback_scan_determinismE0ES3_S9_PiNS6_17constant_iteratorIiNS6_11use_defaultESE_EENS6_10device_ptrIiEENSG_IlEEPmS8_NS6_8equal_toIiEEEE10hipError_tPvRmT2_T3_mT4_T5_T6_T7_T8_P12ihipStream_tbENKUlT_T0_E_clISt17integral_constantIbLb1EES12_IbLb0EEEEDaSY_SZ_EUlSY_E_NS1_11comp_targetILNS1_3genE2ELNS1_11target_archE906ELNS1_3gpuE6ELNS1_3repE0EEENS1_30default_config_static_selectorELNS0_4arch9wavefront6targetE1EEEvT1_,comdat
	.protected	_ZN7rocprim17ROCPRIM_400000_NS6detail17trampoline_kernelINS0_14default_configENS1_29reduce_by_key_config_selectorIilN6thrust23THRUST_200600_302600_NS4plusIlEEEEZZNS1_33reduce_by_key_impl_wrapped_configILNS1_25lookback_scan_determinismE0ES3_S9_PiNS6_17constant_iteratorIiNS6_11use_defaultESE_EENS6_10device_ptrIiEENSG_IlEEPmS8_NS6_8equal_toIiEEEE10hipError_tPvRmT2_T3_mT4_T5_T6_T7_T8_P12ihipStream_tbENKUlT_T0_E_clISt17integral_constantIbLb1EES12_IbLb0EEEEDaSY_SZ_EUlSY_E_NS1_11comp_targetILNS1_3genE2ELNS1_11target_archE906ELNS1_3gpuE6ELNS1_3repE0EEENS1_30default_config_static_selectorELNS0_4arch9wavefront6targetE1EEEvT1_ ; -- Begin function _ZN7rocprim17ROCPRIM_400000_NS6detail17trampoline_kernelINS0_14default_configENS1_29reduce_by_key_config_selectorIilN6thrust23THRUST_200600_302600_NS4plusIlEEEEZZNS1_33reduce_by_key_impl_wrapped_configILNS1_25lookback_scan_determinismE0ES3_S9_PiNS6_17constant_iteratorIiNS6_11use_defaultESE_EENS6_10device_ptrIiEENSG_IlEEPmS8_NS6_8equal_toIiEEEE10hipError_tPvRmT2_T3_mT4_T5_T6_T7_T8_P12ihipStream_tbENKUlT_T0_E_clISt17integral_constantIbLb1EES12_IbLb0EEEEDaSY_SZ_EUlSY_E_NS1_11comp_targetILNS1_3genE2ELNS1_11target_archE906ELNS1_3gpuE6ELNS1_3repE0EEENS1_30default_config_static_selectorELNS0_4arch9wavefront6targetE1EEEvT1_
	.globl	_ZN7rocprim17ROCPRIM_400000_NS6detail17trampoline_kernelINS0_14default_configENS1_29reduce_by_key_config_selectorIilN6thrust23THRUST_200600_302600_NS4plusIlEEEEZZNS1_33reduce_by_key_impl_wrapped_configILNS1_25lookback_scan_determinismE0ES3_S9_PiNS6_17constant_iteratorIiNS6_11use_defaultESE_EENS6_10device_ptrIiEENSG_IlEEPmS8_NS6_8equal_toIiEEEE10hipError_tPvRmT2_T3_mT4_T5_T6_T7_T8_P12ihipStream_tbENKUlT_T0_E_clISt17integral_constantIbLb1EES12_IbLb0EEEEDaSY_SZ_EUlSY_E_NS1_11comp_targetILNS1_3genE2ELNS1_11target_archE906ELNS1_3gpuE6ELNS1_3repE0EEENS1_30default_config_static_selectorELNS0_4arch9wavefront6targetE1EEEvT1_
	.p2align	8
	.type	_ZN7rocprim17ROCPRIM_400000_NS6detail17trampoline_kernelINS0_14default_configENS1_29reduce_by_key_config_selectorIilN6thrust23THRUST_200600_302600_NS4plusIlEEEEZZNS1_33reduce_by_key_impl_wrapped_configILNS1_25lookback_scan_determinismE0ES3_S9_PiNS6_17constant_iteratorIiNS6_11use_defaultESE_EENS6_10device_ptrIiEENSG_IlEEPmS8_NS6_8equal_toIiEEEE10hipError_tPvRmT2_T3_mT4_T5_T6_T7_T8_P12ihipStream_tbENKUlT_T0_E_clISt17integral_constantIbLb1EES12_IbLb0EEEEDaSY_SZ_EUlSY_E_NS1_11comp_targetILNS1_3genE2ELNS1_11target_archE906ELNS1_3gpuE6ELNS1_3repE0EEENS1_30default_config_static_selectorELNS0_4arch9wavefront6targetE1EEEvT1_,@function
_ZN7rocprim17ROCPRIM_400000_NS6detail17trampoline_kernelINS0_14default_configENS1_29reduce_by_key_config_selectorIilN6thrust23THRUST_200600_302600_NS4plusIlEEEEZZNS1_33reduce_by_key_impl_wrapped_configILNS1_25lookback_scan_determinismE0ES3_S9_PiNS6_17constant_iteratorIiNS6_11use_defaultESE_EENS6_10device_ptrIiEENSG_IlEEPmS8_NS6_8equal_toIiEEEE10hipError_tPvRmT2_T3_mT4_T5_T6_T7_T8_P12ihipStream_tbENKUlT_T0_E_clISt17integral_constantIbLb1EES12_IbLb0EEEEDaSY_SZ_EUlSY_E_NS1_11comp_targetILNS1_3genE2ELNS1_11target_archE906ELNS1_3gpuE6ELNS1_3repE0EEENS1_30default_config_static_selectorELNS0_4arch9wavefront6targetE1EEEvT1_: ; @_ZN7rocprim17ROCPRIM_400000_NS6detail17trampoline_kernelINS0_14default_configENS1_29reduce_by_key_config_selectorIilN6thrust23THRUST_200600_302600_NS4plusIlEEEEZZNS1_33reduce_by_key_impl_wrapped_configILNS1_25lookback_scan_determinismE0ES3_S9_PiNS6_17constant_iteratorIiNS6_11use_defaultESE_EENS6_10device_ptrIiEENSG_IlEEPmS8_NS6_8equal_toIiEEEE10hipError_tPvRmT2_T3_mT4_T5_T6_T7_T8_P12ihipStream_tbENKUlT_T0_E_clISt17integral_constantIbLb1EES12_IbLb0EEEEDaSY_SZ_EUlSY_E_NS1_11comp_targetILNS1_3genE2ELNS1_11target_archE906ELNS1_3gpuE6ELNS1_3repE0EEENS1_30default_config_static_selectorELNS0_4arch9wavefront6targetE1EEEvT1_
; %bb.0:
	s_endpgm
	.section	.rodata,"a",@progbits
	.p2align	6, 0x0
	.amdhsa_kernel _ZN7rocprim17ROCPRIM_400000_NS6detail17trampoline_kernelINS0_14default_configENS1_29reduce_by_key_config_selectorIilN6thrust23THRUST_200600_302600_NS4plusIlEEEEZZNS1_33reduce_by_key_impl_wrapped_configILNS1_25lookback_scan_determinismE0ES3_S9_PiNS6_17constant_iteratorIiNS6_11use_defaultESE_EENS6_10device_ptrIiEENSG_IlEEPmS8_NS6_8equal_toIiEEEE10hipError_tPvRmT2_T3_mT4_T5_T6_T7_T8_P12ihipStream_tbENKUlT_T0_E_clISt17integral_constantIbLb1EES12_IbLb0EEEEDaSY_SZ_EUlSY_E_NS1_11comp_targetILNS1_3genE2ELNS1_11target_archE906ELNS1_3gpuE6ELNS1_3repE0EEENS1_30default_config_static_selectorELNS0_4arch9wavefront6targetE1EEEvT1_
		.amdhsa_group_segment_fixed_size 0
		.amdhsa_private_segment_fixed_size 0
		.amdhsa_kernarg_size 144
		.amdhsa_user_sgpr_count 6
		.amdhsa_user_sgpr_private_segment_buffer 1
		.amdhsa_user_sgpr_dispatch_ptr 0
		.amdhsa_user_sgpr_queue_ptr 0
		.amdhsa_user_sgpr_kernarg_segment_ptr 1
		.amdhsa_user_sgpr_dispatch_id 0
		.amdhsa_user_sgpr_flat_scratch_init 0
		.amdhsa_user_sgpr_private_segment_size 0
		.amdhsa_uses_dynamic_stack 0
		.amdhsa_system_sgpr_private_segment_wavefront_offset 0
		.amdhsa_system_sgpr_workgroup_id_x 1
		.amdhsa_system_sgpr_workgroup_id_y 0
		.amdhsa_system_sgpr_workgroup_id_z 0
		.amdhsa_system_sgpr_workgroup_info 0
		.amdhsa_system_vgpr_workitem_id 0
		.amdhsa_next_free_vgpr 1
		.amdhsa_next_free_sgpr 0
		.amdhsa_reserve_vcc 0
		.amdhsa_reserve_flat_scratch 0
		.amdhsa_float_round_mode_32 0
		.amdhsa_float_round_mode_16_64 0
		.amdhsa_float_denorm_mode_32 3
		.amdhsa_float_denorm_mode_16_64 3
		.amdhsa_dx10_clamp 1
		.amdhsa_ieee_mode 1
		.amdhsa_fp16_overflow 0
		.amdhsa_exception_fp_ieee_invalid_op 0
		.amdhsa_exception_fp_denorm_src 0
		.amdhsa_exception_fp_ieee_div_zero 0
		.amdhsa_exception_fp_ieee_overflow 0
		.amdhsa_exception_fp_ieee_underflow 0
		.amdhsa_exception_fp_ieee_inexact 0
		.amdhsa_exception_int_div_zero 0
	.end_amdhsa_kernel
	.section	.text._ZN7rocprim17ROCPRIM_400000_NS6detail17trampoline_kernelINS0_14default_configENS1_29reduce_by_key_config_selectorIilN6thrust23THRUST_200600_302600_NS4plusIlEEEEZZNS1_33reduce_by_key_impl_wrapped_configILNS1_25lookback_scan_determinismE0ES3_S9_PiNS6_17constant_iteratorIiNS6_11use_defaultESE_EENS6_10device_ptrIiEENSG_IlEEPmS8_NS6_8equal_toIiEEEE10hipError_tPvRmT2_T3_mT4_T5_T6_T7_T8_P12ihipStream_tbENKUlT_T0_E_clISt17integral_constantIbLb1EES12_IbLb0EEEEDaSY_SZ_EUlSY_E_NS1_11comp_targetILNS1_3genE2ELNS1_11target_archE906ELNS1_3gpuE6ELNS1_3repE0EEENS1_30default_config_static_selectorELNS0_4arch9wavefront6targetE1EEEvT1_,"axG",@progbits,_ZN7rocprim17ROCPRIM_400000_NS6detail17trampoline_kernelINS0_14default_configENS1_29reduce_by_key_config_selectorIilN6thrust23THRUST_200600_302600_NS4plusIlEEEEZZNS1_33reduce_by_key_impl_wrapped_configILNS1_25lookback_scan_determinismE0ES3_S9_PiNS6_17constant_iteratorIiNS6_11use_defaultESE_EENS6_10device_ptrIiEENSG_IlEEPmS8_NS6_8equal_toIiEEEE10hipError_tPvRmT2_T3_mT4_T5_T6_T7_T8_P12ihipStream_tbENKUlT_T0_E_clISt17integral_constantIbLb1EES12_IbLb0EEEEDaSY_SZ_EUlSY_E_NS1_11comp_targetILNS1_3genE2ELNS1_11target_archE906ELNS1_3gpuE6ELNS1_3repE0EEENS1_30default_config_static_selectorELNS0_4arch9wavefront6targetE1EEEvT1_,comdat
.Lfunc_end960:
	.size	_ZN7rocprim17ROCPRIM_400000_NS6detail17trampoline_kernelINS0_14default_configENS1_29reduce_by_key_config_selectorIilN6thrust23THRUST_200600_302600_NS4plusIlEEEEZZNS1_33reduce_by_key_impl_wrapped_configILNS1_25lookback_scan_determinismE0ES3_S9_PiNS6_17constant_iteratorIiNS6_11use_defaultESE_EENS6_10device_ptrIiEENSG_IlEEPmS8_NS6_8equal_toIiEEEE10hipError_tPvRmT2_T3_mT4_T5_T6_T7_T8_P12ihipStream_tbENKUlT_T0_E_clISt17integral_constantIbLb1EES12_IbLb0EEEEDaSY_SZ_EUlSY_E_NS1_11comp_targetILNS1_3genE2ELNS1_11target_archE906ELNS1_3gpuE6ELNS1_3repE0EEENS1_30default_config_static_selectorELNS0_4arch9wavefront6targetE1EEEvT1_, .Lfunc_end960-_ZN7rocprim17ROCPRIM_400000_NS6detail17trampoline_kernelINS0_14default_configENS1_29reduce_by_key_config_selectorIilN6thrust23THRUST_200600_302600_NS4plusIlEEEEZZNS1_33reduce_by_key_impl_wrapped_configILNS1_25lookback_scan_determinismE0ES3_S9_PiNS6_17constant_iteratorIiNS6_11use_defaultESE_EENS6_10device_ptrIiEENSG_IlEEPmS8_NS6_8equal_toIiEEEE10hipError_tPvRmT2_T3_mT4_T5_T6_T7_T8_P12ihipStream_tbENKUlT_T0_E_clISt17integral_constantIbLb1EES12_IbLb0EEEEDaSY_SZ_EUlSY_E_NS1_11comp_targetILNS1_3genE2ELNS1_11target_archE906ELNS1_3gpuE6ELNS1_3repE0EEENS1_30default_config_static_selectorELNS0_4arch9wavefront6targetE1EEEvT1_
                                        ; -- End function
	.set _ZN7rocprim17ROCPRIM_400000_NS6detail17trampoline_kernelINS0_14default_configENS1_29reduce_by_key_config_selectorIilN6thrust23THRUST_200600_302600_NS4plusIlEEEEZZNS1_33reduce_by_key_impl_wrapped_configILNS1_25lookback_scan_determinismE0ES3_S9_PiNS6_17constant_iteratorIiNS6_11use_defaultESE_EENS6_10device_ptrIiEENSG_IlEEPmS8_NS6_8equal_toIiEEEE10hipError_tPvRmT2_T3_mT4_T5_T6_T7_T8_P12ihipStream_tbENKUlT_T0_E_clISt17integral_constantIbLb1EES12_IbLb0EEEEDaSY_SZ_EUlSY_E_NS1_11comp_targetILNS1_3genE2ELNS1_11target_archE906ELNS1_3gpuE6ELNS1_3repE0EEENS1_30default_config_static_selectorELNS0_4arch9wavefront6targetE1EEEvT1_.num_vgpr, 0
	.set _ZN7rocprim17ROCPRIM_400000_NS6detail17trampoline_kernelINS0_14default_configENS1_29reduce_by_key_config_selectorIilN6thrust23THRUST_200600_302600_NS4plusIlEEEEZZNS1_33reduce_by_key_impl_wrapped_configILNS1_25lookback_scan_determinismE0ES3_S9_PiNS6_17constant_iteratorIiNS6_11use_defaultESE_EENS6_10device_ptrIiEENSG_IlEEPmS8_NS6_8equal_toIiEEEE10hipError_tPvRmT2_T3_mT4_T5_T6_T7_T8_P12ihipStream_tbENKUlT_T0_E_clISt17integral_constantIbLb1EES12_IbLb0EEEEDaSY_SZ_EUlSY_E_NS1_11comp_targetILNS1_3genE2ELNS1_11target_archE906ELNS1_3gpuE6ELNS1_3repE0EEENS1_30default_config_static_selectorELNS0_4arch9wavefront6targetE1EEEvT1_.num_agpr, 0
	.set _ZN7rocprim17ROCPRIM_400000_NS6detail17trampoline_kernelINS0_14default_configENS1_29reduce_by_key_config_selectorIilN6thrust23THRUST_200600_302600_NS4plusIlEEEEZZNS1_33reduce_by_key_impl_wrapped_configILNS1_25lookback_scan_determinismE0ES3_S9_PiNS6_17constant_iteratorIiNS6_11use_defaultESE_EENS6_10device_ptrIiEENSG_IlEEPmS8_NS6_8equal_toIiEEEE10hipError_tPvRmT2_T3_mT4_T5_T6_T7_T8_P12ihipStream_tbENKUlT_T0_E_clISt17integral_constantIbLb1EES12_IbLb0EEEEDaSY_SZ_EUlSY_E_NS1_11comp_targetILNS1_3genE2ELNS1_11target_archE906ELNS1_3gpuE6ELNS1_3repE0EEENS1_30default_config_static_selectorELNS0_4arch9wavefront6targetE1EEEvT1_.numbered_sgpr, 0
	.set _ZN7rocprim17ROCPRIM_400000_NS6detail17trampoline_kernelINS0_14default_configENS1_29reduce_by_key_config_selectorIilN6thrust23THRUST_200600_302600_NS4plusIlEEEEZZNS1_33reduce_by_key_impl_wrapped_configILNS1_25lookback_scan_determinismE0ES3_S9_PiNS6_17constant_iteratorIiNS6_11use_defaultESE_EENS6_10device_ptrIiEENSG_IlEEPmS8_NS6_8equal_toIiEEEE10hipError_tPvRmT2_T3_mT4_T5_T6_T7_T8_P12ihipStream_tbENKUlT_T0_E_clISt17integral_constantIbLb1EES12_IbLb0EEEEDaSY_SZ_EUlSY_E_NS1_11comp_targetILNS1_3genE2ELNS1_11target_archE906ELNS1_3gpuE6ELNS1_3repE0EEENS1_30default_config_static_selectorELNS0_4arch9wavefront6targetE1EEEvT1_.num_named_barrier, 0
	.set _ZN7rocprim17ROCPRIM_400000_NS6detail17trampoline_kernelINS0_14default_configENS1_29reduce_by_key_config_selectorIilN6thrust23THRUST_200600_302600_NS4plusIlEEEEZZNS1_33reduce_by_key_impl_wrapped_configILNS1_25lookback_scan_determinismE0ES3_S9_PiNS6_17constant_iteratorIiNS6_11use_defaultESE_EENS6_10device_ptrIiEENSG_IlEEPmS8_NS6_8equal_toIiEEEE10hipError_tPvRmT2_T3_mT4_T5_T6_T7_T8_P12ihipStream_tbENKUlT_T0_E_clISt17integral_constantIbLb1EES12_IbLb0EEEEDaSY_SZ_EUlSY_E_NS1_11comp_targetILNS1_3genE2ELNS1_11target_archE906ELNS1_3gpuE6ELNS1_3repE0EEENS1_30default_config_static_selectorELNS0_4arch9wavefront6targetE1EEEvT1_.private_seg_size, 0
	.set _ZN7rocprim17ROCPRIM_400000_NS6detail17trampoline_kernelINS0_14default_configENS1_29reduce_by_key_config_selectorIilN6thrust23THRUST_200600_302600_NS4plusIlEEEEZZNS1_33reduce_by_key_impl_wrapped_configILNS1_25lookback_scan_determinismE0ES3_S9_PiNS6_17constant_iteratorIiNS6_11use_defaultESE_EENS6_10device_ptrIiEENSG_IlEEPmS8_NS6_8equal_toIiEEEE10hipError_tPvRmT2_T3_mT4_T5_T6_T7_T8_P12ihipStream_tbENKUlT_T0_E_clISt17integral_constantIbLb1EES12_IbLb0EEEEDaSY_SZ_EUlSY_E_NS1_11comp_targetILNS1_3genE2ELNS1_11target_archE906ELNS1_3gpuE6ELNS1_3repE0EEENS1_30default_config_static_selectorELNS0_4arch9wavefront6targetE1EEEvT1_.uses_vcc, 0
	.set _ZN7rocprim17ROCPRIM_400000_NS6detail17trampoline_kernelINS0_14default_configENS1_29reduce_by_key_config_selectorIilN6thrust23THRUST_200600_302600_NS4plusIlEEEEZZNS1_33reduce_by_key_impl_wrapped_configILNS1_25lookback_scan_determinismE0ES3_S9_PiNS6_17constant_iteratorIiNS6_11use_defaultESE_EENS6_10device_ptrIiEENSG_IlEEPmS8_NS6_8equal_toIiEEEE10hipError_tPvRmT2_T3_mT4_T5_T6_T7_T8_P12ihipStream_tbENKUlT_T0_E_clISt17integral_constantIbLb1EES12_IbLb0EEEEDaSY_SZ_EUlSY_E_NS1_11comp_targetILNS1_3genE2ELNS1_11target_archE906ELNS1_3gpuE6ELNS1_3repE0EEENS1_30default_config_static_selectorELNS0_4arch9wavefront6targetE1EEEvT1_.uses_flat_scratch, 0
	.set _ZN7rocprim17ROCPRIM_400000_NS6detail17trampoline_kernelINS0_14default_configENS1_29reduce_by_key_config_selectorIilN6thrust23THRUST_200600_302600_NS4plusIlEEEEZZNS1_33reduce_by_key_impl_wrapped_configILNS1_25lookback_scan_determinismE0ES3_S9_PiNS6_17constant_iteratorIiNS6_11use_defaultESE_EENS6_10device_ptrIiEENSG_IlEEPmS8_NS6_8equal_toIiEEEE10hipError_tPvRmT2_T3_mT4_T5_T6_T7_T8_P12ihipStream_tbENKUlT_T0_E_clISt17integral_constantIbLb1EES12_IbLb0EEEEDaSY_SZ_EUlSY_E_NS1_11comp_targetILNS1_3genE2ELNS1_11target_archE906ELNS1_3gpuE6ELNS1_3repE0EEENS1_30default_config_static_selectorELNS0_4arch9wavefront6targetE1EEEvT1_.has_dyn_sized_stack, 0
	.set _ZN7rocprim17ROCPRIM_400000_NS6detail17trampoline_kernelINS0_14default_configENS1_29reduce_by_key_config_selectorIilN6thrust23THRUST_200600_302600_NS4plusIlEEEEZZNS1_33reduce_by_key_impl_wrapped_configILNS1_25lookback_scan_determinismE0ES3_S9_PiNS6_17constant_iteratorIiNS6_11use_defaultESE_EENS6_10device_ptrIiEENSG_IlEEPmS8_NS6_8equal_toIiEEEE10hipError_tPvRmT2_T3_mT4_T5_T6_T7_T8_P12ihipStream_tbENKUlT_T0_E_clISt17integral_constantIbLb1EES12_IbLb0EEEEDaSY_SZ_EUlSY_E_NS1_11comp_targetILNS1_3genE2ELNS1_11target_archE906ELNS1_3gpuE6ELNS1_3repE0EEENS1_30default_config_static_selectorELNS0_4arch9wavefront6targetE1EEEvT1_.has_recursion, 0
	.set _ZN7rocprim17ROCPRIM_400000_NS6detail17trampoline_kernelINS0_14default_configENS1_29reduce_by_key_config_selectorIilN6thrust23THRUST_200600_302600_NS4plusIlEEEEZZNS1_33reduce_by_key_impl_wrapped_configILNS1_25lookback_scan_determinismE0ES3_S9_PiNS6_17constant_iteratorIiNS6_11use_defaultESE_EENS6_10device_ptrIiEENSG_IlEEPmS8_NS6_8equal_toIiEEEE10hipError_tPvRmT2_T3_mT4_T5_T6_T7_T8_P12ihipStream_tbENKUlT_T0_E_clISt17integral_constantIbLb1EES12_IbLb0EEEEDaSY_SZ_EUlSY_E_NS1_11comp_targetILNS1_3genE2ELNS1_11target_archE906ELNS1_3gpuE6ELNS1_3repE0EEENS1_30default_config_static_selectorELNS0_4arch9wavefront6targetE1EEEvT1_.has_indirect_call, 0
	.section	.AMDGPU.csdata,"",@progbits
; Kernel info:
; codeLenInByte = 4
; TotalNumSgprs: 4
; NumVgprs: 0
; ScratchSize: 0
; MemoryBound: 0
; FloatMode: 240
; IeeeMode: 1
; LDSByteSize: 0 bytes/workgroup (compile time only)
; SGPRBlocks: 0
; VGPRBlocks: 0
; NumSGPRsForWavesPerEU: 4
; NumVGPRsForWavesPerEU: 1
; Occupancy: 10
; WaveLimiterHint : 0
; COMPUTE_PGM_RSRC2:SCRATCH_EN: 0
; COMPUTE_PGM_RSRC2:USER_SGPR: 6
; COMPUTE_PGM_RSRC2:TRAP_HANDLER: 0
; COMPUTE_PGM_RSRC2:TGID_X_EN: 1
; COMPUTE_PGM_RSRC2:TGID_Y_EN: 0
; COMPUTE_PGM_RSRC2:TGID_Z_EN: 0
; COMPUTE_PGM_RSRC2:TIDIG_COMP_CNT: 0
	.section	.text._ZN7rocprim17ROCPRIM_400000_NS6detail17trampoline_kernelINS0_14default_configENS1_29reduce_by_key_config_selectorIilN6thrust23THRUST_200600_302600_NS4plusIlEEEEZZNS1_33reduce_by_key_impl_wrapped_configILNS1_25lookback_scan_determinismE0ES3_S9_PiNS6_17constant_iteratorIiNS6_11use_defaultESE_EENS6_10device_ptrIiEENSG_IlEEPmS8_NS6_8equal_toIiEEEE10hipError_tPvRmT2_T3_mT4_T5_T6_T7_T8_P12ihipStream_tbENKUlT_T0_E_clISt17integral_constantIbLb1EES12_IbLb0EEEEDaSY_SZ_EUlSY_E_NS1_11comp_targetILNS1_3genE10ELNS1_11target_archE1201ELNS1_3gpuE5ELNS1_3repE0EEENS1_30default_config_static_selectorELNS0_4arch9wavefront6targetE1EEEvT1_,"axG",@progbits,_ZN7rocprim17ROCPRIM_400000_NS6detail17trampoline_kernelINS0_14default_configENS1_29reduce_by_key_config_selectorIilN6thrust23THRUST_200600_302600_NS4plusIlEEEEZZNS1_33reduce_by_key_impl_wrapped_configILNS1_25lookback_scan_determinismE0ES3_S9_PiNS6_17constant_iteratorIiNS6_11use_defaultESE_EENS6_10device_ptrIiEENSG_IlEEPmS8_NS6_8equal_toIiEEEE10hipError_tPvRmT2_T3_mT4_T5_T6_T7_T8_P12ihipStream_tbENKUlT_T0_E_clISt17integral_constantIbLb1EES12_IbLb0EEEEDaSY_SZ_EUlSY_E_NS1_11comp_targetILNS1_3genE10ELNS1_11target_archE1201ELNS1_3gpuE5ELNS1_3repE0EEENS1_30default_config_static_selectorELNS0_4arch9wavefront6targetE1EEEvT1_,comdat
	.protected	_ZN7rocprim17ROCPRIM_400000_NS6detail17trampoline_kernelINS0_14default_configENS1_29reduce_by_key_config_selectorIilN6thrust23THRUST_200600_302600_NS4plusIlEEEEZZNS1_33reduce_by_key_impl_wrapped_configILNS1_25lookback_scan_determinismE0ES3_S9_PiNS6_17constant_iteratorIiNS6_11use_defaultESE_EENS6_10device_ptrIiEENSG_IlEEPmS8_NS6_8equal_toIiEEEE10hipError_tPvRmT2_T3_mT4_T5_T6_T7_T8_P12ihipStream_tbENKUlT_T0_E_clISt17integral_constantIbLb1EES12_IbLb0EEEEDaSY_SZ_EUlSY_E_NS1_11comp_targetILNS1_3genE10ELNS1_11target_archE1201ELNS1_3gpuE5ELNS1_3repE0EEENS1_30default_config_static_selectorELNS0_4arch9wavefront6targetE1EEEvT1_ ; -- Begin function _ZN7rocprim17ROCPRIM_400000_NS6detail17trampoline_kernelINS0_14default_configENS1_29reduce_by_key_config_selectorIilN6thrust23THRUST_200600_302600_NS4plusIlEEEEZZNS1_33reduce_by_key_impl_wrapped_configILNS1_25lookback_scan_determinismE0ES3_S9_PiNS6_17constant_iteratorIiNS6_11use_defaultESE_EENS6_10device_ptrIiEENSG_IlEEPmS8_NS6_8equal_toIiEEEE10hipError_tPvRmT2_T3_mT4_T5_T6_T7_T8_P12ihipStream_tbENKUlT_T0_E_clISt17integral_constantIbLb1EES12_IbLb0EEEEDaSY_SZ_EUlSY_E_NS1_11comp_targetILNS1_3genE10ELNS1_11target_archE1201ELNS1_3gpuE5ELNS1_3repE0EEENS1_30default_config_static_selectorELNS0_4arch9wavefront6targetE1EEEvT1_
	.globl	_ZN7rocprim17ROCPRIM_400000_NS6detail17trampoline_kernelINS0_14default_configENS1_29reduce_by_key_config_selectorIilN6thrust23THRUST_200600_302600_NS4plusIlEEEEZZNS1_33reduce_by_key_impl_wrapped_configILNS1_25lookback_scan_determinismE0ES3_S9_PiNS6_17constant_iteratorIiNS6_11use_defaultESE_EENS6_10device_ptrIiEENSG_IlEEPmS8_NS6_8equal_toIiEEEE10hipError_tPvRmT2_T3_mT4_T5_T6_T7_T8_P12ihipStream_tbENKUlT_T0_E_clISt17integral_constantIbLb1EES12_IbLb0EEEEDaSY_SZ_EUlSY_E_NS1_11comp_targetILNS1_3genE10ELNS1_11target_archE1201ELNS1_3gpuE5ELNS1_3repE0EEENS1_30default_config_static_selectorELNS0_4arch9wavefront6targetE1EEEvT1_
	.p2align	8
	.type	_ZN7rocprim17ROCPRIM_400000_NS6detail17trampoline_kernelINS0_14default_configENS1_29reduce_by_key_config_selectorIilN6thrust23THRUST_200600_302600_NS4plusIlEEEEZZNS1_33reduce_by_key_impl_wrapped_configILNS1_25lookback_scan_determinismE0ES3_S9_PiNS6_17constant_iteratorIiNS6_11use_defaultESE_EENS6_10device_ptrIiEENSG_IlEEPmS8_NS6_8equal_toIiEEEE10hipError_tPvRmT2_T3_mT4_T5_T6_T7_T8_P12ihipStream_tbENKUlT_T0_E_clISt17integral_constantIbLb1EES12_IbLb0EEEEDaSY_SZ_EUlSY_E_NS1_11comp_targetILNS1_3genE10ELNS1_11target_archE1201ELNS1_3gpuE5ELNS1_3repE0EEENS1_30default_config_static_selectorELNS0_4arch9wavefront6targetE1EEEvT1_,@function
_ZN7rocprim17ROCPRIM_400000_NS6detail17trampoline_kernelINS0_14default_configENS1_29reduce_by_key_config_selectorIilN6thrust23THRUST_200600_302600_NS4plusIlEEEEZZNS1_33reduce_by_key_impl_wrapped_configILNS1_25lookback_scan_determinismE0ES3_S9_PiNS6_17constant_iteratorIiNS6_11use_defaultESE_EENS6_10device_ptrIiEENSG_IlEEPmS8_NS6_8equal_toIiEEEE10hipError_tPvRmT2_T3_mT4_T5_T6_T7_T8_P12ihipStream_tbENKUlT_T0_E_clISt17integral_constantIbLb1EES12_IbLb0EEEEDaSY_SZ_EUlSY_E_NS1_11comp_targetILNS1_3genE10ELNS1_11target_archE1201ELNS1_3gpuE5ELNS1_3repE0EEENS1_30default_config_static_selectorELNS0_4arch9wavefront6targetE1EEEvT1_: ; @_ZN7rocprim17ROCPRIM_400000_NS6detail17trampoline_kernelINS0_14default_configENS1_29reduce_by_key_config_selectorIilN6thrust23THRUST_200600_302600_NS4plusIlEEEEZZNS1_33reduce_by_key_impl_wrapped_configILNS1_25lookback_scan_determinismE0ES3_S9_PiNS6_17constant_iteratorIiNS6_11use_defaultESE_EENS6_10device_ptrIiEENSG_IlEEPmS8_NS6_8equal_toIiEEEE10hipError_tPvRmT2_T3_mT4_T5_T6_T7_T8_P12ihipStream_tbENKUlT_T0_E_clISt17integral_constantIbLb1EES12_IbLb0EEEEDaSY_SZ_EUlSY_E_NS1_11comp_targetILNS1_3genE10ELNS1_11target_archE1201ELNS1_3gpuE5ELNS1_3repE0EEENS1_30default_config_static_selectorELNS0_4arch9wavefront6targetE1EEEvT1_
; %bb.0:
	.section	.rodata,"a",@progbits
	.p2align	6, 0x0
	.amdhsa_kernel _ZN7rocprim17ROCPRIM_400000_NS6detail17trampoline_kernelINS0_14default_configENS1_29reduce_by_key_config_selectorIilN6thrust23THRUST_200600_302600_NS4plusIlEEEEZZNS1_33reduce_by_key_impl_wrapped_configILNS1_25lookback_scan_determinismE0ES3_S9_PiNS6_17constant_iteratorIiNS6_11use_defaultESE_EENS6_10device_ptrIiEENSG_IlEEPmS8_NS6_8equal_toIiEEEE10hipError_tPvRmT2_T3_mT4_T5_T6_T7_T8_P12ihipStream_tbENKUlT_T0_E_clISt17integral_constantIbLb1EES12_IbLb0EEEEDaSY_SZ_EUlSY_E_NS1_11comp_targetILNS1_3genE10ELNS1_11target_archE1201ELNS1_3gpuE5ELNS1_3repE0EEENS1_30default_config_static_selectorELNS0_4arch9wavefront6targetE1EEEvT1_
		.amdhsa_group_segment_fixed_size 0
		.amdhsa_private_segment_fixed_size 0
		.amdhsa_kernarg_size 144
		.amdhsa_user_sgpr_count 6
		.amdhsa_user_sgpr_private_segment_buffer 1
		.amdhsa_user_sgpr_dispatch_ptr 0
		.amdhsa_user_sgpr_queue_ptr 0
		.amdhsa_user_sgpr_kernarg_segment_ptr 1
		.amdhsa_user_sgpr_dispatch_id 0
		.amdhsa_user_sgpr_flat_scratch_init 0
		.amdhsa_user_sgpr_private_segment_size 0
		.amdhsa_uses_dynamic_stack 0
		.amdhsa_system_sgpr_private_segment_wavefront_offset 0
		.amdhsa_system_sgpr_workgroup_id_x 1
		.amdhsa_system_sgpr_workgroup_id_y 0
		.amdhsa_system_sgpr_workgroup_id_z 0
		.amdhsa_system_sgpr_workgroup_info 0
		.amdhsa_system_vgpr_workitem_id 0
		.amdhsa_next_free_vgpr 1
		.amdhsa_next_free_sgpr 0
		.amdhsa_reserve_vcc 0
		.amdhsa_reserve_flat_scratch 0
		.amdhsa_float_round_mode_32 0
		.amdhsa_float_round_mode_16_64 0
		.amdhsa_float_denorm_mode_32 3
		.amdhsa_float_denorm_mode_16_64 3
		.amdhsa_dx10_clamp 1
		.amdhsa_ieee_mode 1
		.amdhsa_fp16_overflow 0
		.amdhsa_exception_fp_ieee_invalid_op 0
		.amdhsa_exception_fp_denorm_src 0
		.amdhsa_exception_fp_ieee_div_zero 0
		.amdhsa_exception_fp_ieee_overflow 0
		.amdhsa_exception_fp_ieee_underflow 0
		.amdhsa_exception_fp_ieee_inexact 0
		.amdhsa_exception_int_div_zero 0
	.end_amdhsa_kernel
	.section	.text._ZN7rocprim17ROCPRIM_400000_NS6detail17trampoline_kernelINS0_14default_configENS1_29reduce_by_key_config_selectorIilN6thrust23THRUST_200600_302600_NS4plusIlEEEEZZNS1_33reduce_by_key_impl_wrapped_configILNS1_25lookback_scan_determinismE0ES3_S9_PiNS6_17constant_iteratorIiNS6_11use_defaultESE_EENS6_10device_ptrIiEENSG_IlEEPmS8_NS6_8equal_toIiEEEE10hipError_tPvRmT2_T3_mT4_T5_T6_T7_T8_P12ihipStream_tbENKUlT_T0_E_clISt17integral_constantIbLb1EES12_IbLb0EEEEDaSY_SZ_EUlSY_E_NS1_11comp_targetILNS1_3genE10ELNS1_11target_archE1201ELNS1_3gpuE5ELNS1_3repE0EEENS1_30default_config_static_selectorELNS0_4arch9wavefront6targetE1EEEvT1_,"axG",@progbits,_ZN7rocprim17ROCPRIM_400000_NS6detail17trampoline_kernelINS0_14default_configENS1_29reduce_by_key_config_selectorIilN6thrust23THRUST_200600_302600_NS4plusIlEEEEZZNS1_33reduce_by_key_impl_wrapped_configILNS1_25lookback_scan_determinismE0ES3_S9_PiNS6_17constant_iteratorIiNS6_11use_defaultESE_EENS6_10device_ptrIiEENSG_IlEEPmS8_NS6_8equal_toIiEEEE10hipError_tPvRmT2_T3_mT4_T5_T6_T7_T8_P12ihipStream_tbENKUlT_T0_E_clISt17integral_constantIbLb1EES12_IbLb0EEEEDaSY_SZ_EUlSY_E_NS1_11comp_targetILNS1_3genE10ELNS1_11target_archE1201ELNS1_3gpuE5ELNS1_3repE0EEENS1_30default_config_static_selectorELNS0_4arch9wavefront6targetE1EEEvT1_,comdat
.Lfunc_end961:
	.size	_ZN7rocprim17ROCPRIM_400000_NS6detail17trampoline_kernelINS0_14default_configENS1_29reduce_by_key_config_selectorIilN6thrust23THRUST_200600_302600_NS4plusIlEEEEZZNS1_33reduce_by_key_impl_wrapped_configILNS1_25lookback_scan_determinismE0ES3_S9_PiNS6_17constant_iteratorIiNS6_11use_defaultESE_EENS6_10device_ptrIiEENSG_IlEEPmS8_NS6_8equal_toIiEEEE10hipError_tPvRmT2_T3_mT4_T5_T6_T7_T8_P12ihipStream_tbENKUlT_T0_E_clISt17integral_constantIbLb1EES12_IbLb0EEEEDaSY_SZ_EUlSY_E_NS1_11comp_targetILNS1_3genE10ELNS1_11target_archE1201ELNS1_3gpuE5ELNS1_3repE0EEENS1_30default_config_static_selectorELNS0_4arch9wavefront6targetE1EEEvT1_, .Lfunc_end961-_ZN7rocprim17ROCPRIM_400000_NS6detail17trampoline_kernelINS0_14default_configENS1_29reduce_by_key_config_selectorIilN6thrust23THRUST_200600_302600_NS4plusIlEEEEZZNS1_33reduce_by_key_impl_wrapped_configILNS1_25lookback_scan_determinismE0ES3_S9_PiNS6_17constant_iteratorIiNS6_11use_defaultESE_EENS6_10device_ptrIiEENSG_IlEEPmS8_NS6_8equal_toIiEEEE10hipError_tPvRmT2_T3_mT4_T5_T6_T7_T8_P12ihipStream_tbENKUlT_T0_E_clISt17integral_constantIbLb1EES12_IbLb0EEEEDaSY_SZ_EUlSY_E_NS1_11comp_targetILNS1_3genE10ELNS1_11target_archE1201ELNS1_3gpuE5ELNS1_3repE0EEENS1_30default_config_static_selectorELNS0_4arch9wavefront6targetE1EEEvT1_
                                        ; -- End function
	.set _ZN7rocprim17ROCPRIM_400000_NS6detail17trampoline_kernelINS0_14default_configENS1_29reduce_by_key_config_selectorIilN6thrust23THRUST_200600_302600_NS4plusIlEEEEZZNS1_33reduce_by_key_impl_wrapped_configILNS1_25lookback_scan_determinismE0ES3_S9_PiNS6_17constant_iteratorIiNS6_11use_defaultESE_EENS6_10device_ptrIiEENSG_IlEEPmS8_NS6_8equal_toIiEEEE10hipError_tPvRmT2_T3_mT4_T5_T6_T7_T8_P12ihipStream_tbENKUlT_T0_E_clISt17integral_constantIbLb1EES12_IbLb0EEEEDaSY_SZ_EUlSY_E_NS1_11comp_targetILNS1_3genE10ELNS1_11target_archE1201ELNS1_3gpuE5ELNS1_3repE0EEENS1_30default_config_static_selectorELNS0_4arch9wavefront6targetE1EEEvT1_.num_vgpr, 0
	.set _ZN7rocprim17ROCPRIM_400000_NS6detail17trampoline_kernelINS0_14default_configENS1_29reduce_by_key_config_selectorIilN6thrust23THRUST_200600_302600_NS4plusIlEEEEZZNS1_33reduce_by_key_impl_wrapped_configILNS1_25lookback_scan_determinismE0ES3_S9_PiNS6_17constant_iteratorIiNS6_11use_defaultESE_EENS6_10device_ptrIiEENSG_IlEEPmS8_NS6_8equal_toIiEEEE10hipError_tPvRmT2_T3_mT4_T5_T6_T7_T8_P12ihipStream_tbENKUlT_T0_E_clISt17integral_constantIbLb1EES12_IbLb0EEEEDaSY_SZ_EUlSY_E_NS1_11comp_targetILNS1_3genE10ELNS1_11target_archE1201ELNS1_3gpuE5ELNS1_3repE0EEENS1_30default_config_static_selectorELNS0_4arch9wavefront6targetE1EEEvT1_.num_agpr, 0
	.set _ZN7rocprim17ROCPRIM_400000_NS6detail17trampoline_kernelINS0_14default_configENS1_29reduce_by_key_config_selectorIilN6thrust23THRUST_200600_302600_NS4plusIlEEEEZZNS1_33reduce_by_key_impl_wrapped_configILNS1_25lookback_scan_determinismE0ES3_S9_PiNS6_17constant_iteratorIiNS6_11use_defaultESE_EENS6_10device_ptrIiEENSG_IlEEPmS8_NS6_8equal_toIiEEEE10hipError_tPvRmT2_T3_mT4_T5_T6_T7_T8_P12ihipStream_tbENKUlT_T0_E_clISt17integral_constantIbLb1EES12_IbLb0EEEEDaSY_SZ_EUlSY_E_NS1_11comp_targetILNS1_3genE10ELNS1_11target_archE1201ELNS1_3gpuE5ELNS1_3repE0EEENS1_30default_config_static_selectorELNS0_4arch9wavefront6targetE1EEEvT1_.numbered_sgpr, 0
	.set _ZN7rocprim17ROCPRIM_400000_NS6detail17trampoline_kernelINS0_14default_configENS1_29reduce_by_key_config_selectorIilN6thrust23THRUST_200600_302600_NS4plusIlEEEEZZNS1_33reduce_by_key_impl_wrapped_configILNS1_25lookback_scan_determinismE0ES3_S9_PiNS6_17constant_iteratorIiNS6_11use_defaultESE_EENS6_10device_ptrIiEENSG_IlEEPmS8_NS6_8equal_toIiEEEE10hipError_tPvRmT2_T3_mT4_T5_T6_T7_T8_P12ihipStream_tbENKUlT_T0_E_clISt17integral_constantIbLb1EES12_IbLb0EEEEDaSY_SZ_EUlSY_E_NS1_11comp_targetILNS1_3genE10ELNS1_11target_archE1201ELNS1_3gpuE5ELNS1_3repE0EEENS1_30default_config_static_selectorELNS0_4arch9wavefront6targetE1EEEvT1_.num_named_barrier, 0
	.set _ZN7rocprim17ROCPRIM_400000_NS6detail17trampoline_kernelINS0_14default_configENS1_29reduce_by_key_config_selectorIilN6thrust23THRUST_200600_302600_NS4plusIlEEEEZZNS1_33reduce_by_key_impl_wrapped_configILNS1_25lookback_scan_determinismE0ES3_S9_PiNS6_17constant_iteratorIiNS6_11use_defaultESE_EENS6_10device_ptrIiEENSG_IlEEPmS8_NS6_8equal_toIiEEEE10hipError_tPvRmT2_T3_mT4_T5_T6_T7_T8_P12ihipStream_tbENKUlT_T0_E_clISt17integral_constantIbLb1EES12_IbLb0EEEEDaSY_SZ_EUlSY_E_NS1_11comp_targetILNS1_3genE10ELNS1_11target_archE1201ELNS1_3gpuE5ELNS1_3repE0EEENS1_30default_config_static_selectorELNS0_4arch9wavefront6targetE1EEEvT1_.private_seg_size, 0
	.set _ZN7rocprim17ROCPRIM_400000_NS6detail17trampoline_kernelINS0_14default_configENS1_29reduce_by_key_config_selectorIilN6thrust23THRUST_200600_302600_NS4plusIlEEEEZZNS1_33reduce_by_key_impl_wrapped_configILNS1_25lookback_scan_determinismE0ES3_S9_PiNS6_17constant_iteratorIiNS6_11use_defaultESE_EENS6_10device_ptrIiEENSG_IlEEPmS8_NS6_8equal_toIiEEEE10hipError_tPvRmT2_T3_mT4_T5_T6_T7_T8_P12ihipStream_tbENKUlT_T0_E_clISt17integral_constantIbLb1EES12_IbLb0EEEEDaSY_SZ_EUlSY_E_NS1_11comp_targetILNS1_3genE10ELNS1_11target_archE1201ELNS1_3gpuE5ELNS1_3repE0EEENS1_30default_config_static_selectorELNS0_4arch9wavefront6targetE1EEEvT1_.uses_vcc, 0
	.set _ZN7rocprim17ROCPRIM_400000_NS6detail17trampoline_kernelINS0_14default_configENS1_29reduce_by_key_config_selectorIilN6thrust23THRUST_200600_302600_NS4plusIlEEEEZZNS1_33reduce_by_key_impl_wrapped_configILNS1_25lookback_scan_determinismE0ES3_S9_PiNS6_17constant_iteratorIiNS6_11use_defaultESE_EENS6_10device_ptrIiEENSG_IlEEPmS8_NS6_8equal_toIiEEEE10hipError_tPvRmT2_T3_mT4_T5_T6_T7_T8_P12ihipStream_tbENKUlT_T0_E_clISt17integral_constantIbLb1EES12_IbLb0EEEEDaSY_SZ_EUlSY_E_NS1_11comp_targetILNS1_3genE10ELNS1_11target_archE1201ELNS1_3gpuE5ELNS1_3repE0EEENS1_30default_config_static_selectorELNS0_4arch9wavefront6targetE1EEEvT1_.uses_flat_scratch, 0
	.set _ZN7rocprim17ROCPRIM_400000_NS6detail17trampoline_kernelINS0_14default_configENS1_29reduce_by_key_config_selectorIilN6thrust23THRUST_200600_302600_NS4plusIlEEEEZZNS1_33reduce_by_key_impl_wrapped_configILNS1_25lookback_scan_determinismE0ES3_S9_PiNS6_17constant_iteratorIiNS6_11use_defaultESE_EENS6_10device_ptrIiEENSG_IlEEPmS8_NS6_8equal_toIiEEEE10hipError_tPvRmT2_T3_mT4_T5_T6_T7_T8_P12ihipStream_tbENKUlT_T0_E_clISt17integral_constantIbLb1EES12_IbLb0EEEEDaSY_SZ_EUlSY_E_NS1_11comp_targetILNS1_3genE10ELNS1_11target_archE1201ELNS1_3gpuE5ELNS1_3repE0EEENS1_30default_config_static_selectorELNS0_4arch9wavefront6targetE1EEEvT1_.has_dyn_sized_stack, 0
	.set _ZN7rocprim17ROCPRIM_400000_NS6detail17trampoline_kernelINS0_14default_configENS1_29reduce_by_key_config_selectorIilN6thrust23THRUST_200600_302600_NS4plusIlEEEEZZNS1_33reduce_by_key_impl_wrapped_configILNS1_25lookback_scan_determinismE0ES3_S9_PiNS6_17constant_iteratorIiNS6_11use_defaultESE_EENS6_10device_ptrIiEENSG_IlEEPmS8_NS6_8equal_toIiEEEE10hipError_tPvRmT2_T3_mT4_T5_T6_T7_T8_P12ihipStream_tbENKUlT_T0_E_clISt17integral_constantIbLb1EES12_IbLb0EEEEDaSY_SZ_EUlSY_E_NS1_11comp_targetILNS1_3genE10ELNS1_11target_archE1201ELNS1_3gpuE5ELNS1_3repE0EEENS1_30default_config_static_selectorELNS0_4arch9wavefront6targetE1EEEvT1_.has_recursion, 0
	.set _ZN7rocprim17ROCPRIM_400000_NS6detail17trampoline_kernelINS0_14default_configENS1_29reduce_by_key_config_selectorIilN6thrust23THRUST_200600_302600_NS4plusIlEEEEZZNS1_33reduce_by_key_impl_wrapped_configILNS1_25lookback_scan_determinismE0ES3_S9_PiNS6_17constant_iteratorIiNS6_11use_defaultESE_EENS6_10device_ptrIiEENSG_IlEEPmS8_NS6_8equal_toIiEEEE10hipError_tPvRmT2_T3_mT4_T5_T6_T7_T8_P12ihipStream_tbENKUlT_T0_E_clISt17integral_constantIbLb1EES12_IbLb0EEEEDaSY_SZ_EUlSY_E_NS1_11comp_targetILNS1_3genE10ELNS1_11target_archE1201ELNS1_3gpuE5ELNS1_3repE0EEENS1_30default_config_static_selectorELNS0_4arch9wavefront6targetE1EEEvT1_.has_indirect_call, 0
	.section	.AMDGPU.csdata,"",@progbits
; Kernel info:
; codeLenInByte = 0
; TotalNumSgprs: 4
; NumVgprs: 0
; ScratchSize: 0
; MemoryBound: 0
; FloatMode: 240
; IeeeMode: 1
; LDSByteSize: 0 bytes/workgroup (compile time only)
; SGPRBlocks: 0
; VGPRBlocks: 0
; NumSGPRsForWavesPerEU: 4
; NumVGPRsForWavesPerEU: 1
; Occupancy: 10
; WaveLimiterHint : 0
; COMPUTE_PGM_RSRC2:SCRATCH_EN: 0
; COMPUTE_PGM_RSRC2:USER_SGPR: 6
; COMPUTE_PGM_RSRC2:TRAP_HANDLER: 0
; COMPUTE_PGM_RSRC2:TGID_X_EN: 1
; COMPUTE_PGM_RSRC2:TGID_Y_EN: 0
; COMPUTE_PGM_RSRC2:TGID_Z_EN: 0
; COMPUTE_PGM_RSRC2:TIDIG_COMP_CNT: 0
	.section	.text._ZN7rocprim17ROCPRIM_400000_NS6detail17trampoline_kernelINS0_14default_configENS1_29reduce_by_key_config_selectorIilN6thrust23THRUST_200600_302600_NS4plusIlEEEEZZNS1_33reduce_by_key_impl_wrapped_configILNS1_25lookback_scan_determinismE0ES3_S9_PiNS6_17constant_iteratorIiNS6_11use_defaultESE_EENS6_10device_ptrIiEENSG_IlEEPmS8_NS6_8equal_toIiEEEE10hipError_tPvRmT2_T3_mT4_T5_T6_T7_T8_P12ihipStream_tbENKUlT_T0_E_clISt17integral_constantIbLb1EES12_IbLb0EEEEDaSY_SZ_EUlSY_E_NS1_11comp_targetILNS1_3genE10ELNS1_11target_archE1200ELNS1_3gpuE4ELNS1_3repE0EEENS1_30default_config_static_selectorELNS0_4arch9wavefront6targetE1EEEvT1_,"axG",@progbits,_ZN7rocprim17ROCPRIM_400000_NS6detail17trampoline_kernelINS0_14default_configENS1_29reduce_by_key_config_selectorIilN6thrust23THRUST_200600_302600_NS4plusIlEEEEZZNS1_33reduce_by_key_impl_wrapped_configILNS1_25lookback_scan_determinismE0ES3_S9_PiNS6_17constant_iteratorIiNS6_11use_defaultESE_EENS6_10device_ptrIiEENSG_IlEEPmS8_NS6_8equal_toIiEEEE10hipError_tPvRmT2_T3_mT4_T5_T6_T7_T8_P12ihipStream_tbENKUlT_T0_E_clISt17integral_constantIbLb1EES12_IbLb0EEEEDaSY_SZ_EUlSY_E_NS1_11comp_targetILNS1_3genE10ELNS1_11target_archE1200ELNS1_3gpuE4ELNS1_3repE0EEENS1_30default_config_static_selectorELNS0_4arch9wavefront6targetE1EEEvT1_,comdat
	.protected	_ZN7rocprim17ROCPRIM_400000_NS6detail17trampoline_kernelINS0_14default_configENS1_29reduce_by_key_config_selectorIilN6thrust23THRUST_200600_302600_NS4plusIlEEEEZZNS1_33reduce_by_key_impl_wrapped_configILNS1_25lookback_scan_determinismE0ES3_S9_PiNS6_17constant_iteratorIiNS6_11use_defaultESE_EENS6_10device_ptrIiEENSG_IlEEPmS8_NS6_8equal_toIiEEEE10hipError_tPvRmT2_T3_mT4_T5_T6_T7_T8_P12ihipStream_tbENKUlT_T0_E_clISt17integral_constantIbLb1EES12_IbLb0EEEEDaSY_SZ_EUlSY_E_NS1_11comp_targetILNS1_3genE10ELNS1_11target_archE1200ELNS1_3gpuE4ELNS1_3repE0EEENS1_30default_config_static_selectorELNS0_4arch9wavefront6targetE1EEEvT1_ ; -- Begin function _ZN7rocprim17ROCPRIM_400000_NS6detail17trampoline_kernelINS0_14default_configENS1_29reduce_by_key_config_selectorIilN6thrust23THRUST_200600_302600_NS4plusIlEEEEZZNS1_33reduce_by_key_impl_wrapped_configILNS1_25lookback_scan_determinismE0ES3_S9_PiNS6_17constant_iteratorIiNS6_11use_defaultESE_EENS6_10device_ptrIiEENSG_IlEEPmS8_NS6_8equal_toIiEEEE10hipError_tPvRmT2_T3_mT4_T5_T6_T7_T8_P12ihipStream_tbENKUlT_T0_E_clISt17integral_constantIbLb1EES12_IbLb0EEEEDaSY_SZ_EUlSY_E_NS1_11comp_targetILNS1_3genE10ELNS1_11target_archE1200ELNS1_3gpuE4ELNS1_3repE0EEENS1_30default_config_static_selectorELNS0_4arch9wavefront6targetE1EEEvT1_
	.globl	_ZN7rocprim17ROCPRIM_400000_NS6detail17trampoline_kernelINS0_14default_configENS1_29reduce_by_key_config_selectorIilN6thrust23THRUST_200600_302600_NS4plusIlEEEEZZNS1_33reduce_by_key_impl_wrapped_configILNS1_25lookback_scan_determinismE0ES3_S9_PiNS6_17constant_iteratorIiNS6_11use_defaultESE_EENS6_10device_ptrIiEENSG_IlEEPmS8_NS6_8equal_toIiEEEE10hipError_tPvRmT2_T3_mT4_T5_T6_T7_T8_P12ihipStream_tbENKUlT_T0_E_clISt17integral_constantIbLb1EES12_IbLb0EEEEDaSY_SZ_EUlSY_E_NS1_11comp_targetILNS1_3genE10ELNS1_11target_archE1200ELNS1_3gpuE4ELNS1_3repE0EEENS1_30default_config_static_selectorELNS0_4arch9wavefront6targetE1EEEvT1_
	.p2align	8
	.type	_ZN7rocprim17ROCPRIM_400000_NS6detail17trampoline_kernelINS0_14default_configENS1_29reduce_by_key_config_selectorIilN6thrust23THRUST_200600_302600_NS4plusIlEEEEZZNS1_33reduce_by_key_impl_wrapped_configILNS1_25lookback_scan_determinismE0ES3_S9_PiNS6_17constant_iteratorIiNS6_11use_defaultESE_EENS6_10device_ptrIiEENSG_IlEEPmS8_NS6_8equal_toIiEEEE10hipError_tPvRmT2_T3_mT4_T5_T6_T7_T8_P12ihipStream_tbENKUlT_T0_E_clISt17integral_constantIbLb1EES12_IbLb0EEEEDaSY_SZ_EUlSY_E_NS1_11comp_targetILNS1_3genE10ELNS1_11target_archE1200ELNS1_3gpuE4ELNS1_3repE0EEENS1_30default_config_static_selectorELNS0_4arch9wavefront6targetE1EEEvT1_,@function
_ZN7rocprim17ROCPRIM_400000_NS6detail17trampoline_kernelINS0_14default_configENS1_29reduce_by_key_config_selectorIilN6thrust23THRUST_200600_302600_NS4plusIlEEEEZZNS1_33reduce_by_key_impl_wrapped_configILNS1_25lookback_scan_determinismE0ES3_S9_PiNS6_17constant_iteratorIiNS6_11use_defaultESE_EENS6_10device_ptrIiEENSG_IlEEPmS8_NS6_8equal_toIiEEEE10hipError_tPvRmT2_T3_mT4_T5_T6_T7_T8_P12ihipStream_tbENKUlT_T0_E_clISt17integral_constantIbLb1EES12_IbLb0EEEEDaSY_SZ_EUlSY_E_NS1_11comp_targetILNS1_3genE10ELNS1_11target_archE1200ELNS1_3gpuE4ELNS1_3repE0EEENS1_30default_config_static_selectorELNS0_4arch9wavefront6targetE1EEEvT1_: ; @_ZN7rocprim17ROCPRIM_400000_NS6detail17trampoline_kernelINS0_14default_configENS1_29reduce_by_key_config_selectorIilN6thrust23THRUST_200600_302600_NS4plusIlEEEEZZNS1_33reduce_by_key_impl_wrapped_configILNS1_25lookback_scan_determinismE0ES3_S9_PiNS6_17constant_iteratorIiNS6_11use_defaultESE_EENS6_10device_ptrIiEENSG_IlEEPmS8_NS6_8equal_toIiEEEE10hipError_tPvRmT2_T3_mT4_T5_T6_T7_T8_P12ihipStream_tbENKUlT_T0_E_clISt17integral_constantIbLb1EES12_IbLb0EEEEDaSY_SZ_EUlSY_E_NS1_11comp_targetILNS1_3genE10ELNS1_11target_archE1200ELNS1_3gpuE4ELNS1_3repE0EEENS1_30default_config_static_selectorELNS0_4arch9wavefront6targetE1EEEvT1_
; %bb.0:
	.section	.rodata,"a",@progbits
	.p2align	6, 0x0
	.amdhsa_kernel _ZN7rocprim17ROCPRIM_400000_NS6detail17trampoline_kernelINS0_14default_configENS1_29reduce_by_key_config_selectorIilN6thrust23THRUST_200600_302600_NS4plusIlEEEEZZNS1_33reduce_by_key_impl_wrapped_configILNS1_25lookback_scan_determinismE0ES3_S9_PiNS6_17constant_iteratorIiNS6_11use_defaultESE_EENS6_10device_ptrIiEENSG_IlEEPmS8_NS6_8equal_toIiEEEE10hipError_tPvRmT2_T3_mT4_T5_T6_T7_T8_P12ihipStream_tbENKUlT_T0_E_clISt17integral_constantIbLb1EES12_IbLb0EEEEDaSY_SZ_EUlSY_E_NS1_11comp_targetILNS1_3genE10ELNS1_11target_archE1200ELNS1_3gpuE4ELNS1_3repE0EEENS1_30default_config_static_selectorELNS0_4arch9wavefront6targetE1EEEvT1_
		.amdhsa_group_segment_fixed_size 0
		.amdhsa_private_segment_fixed_size 0
		.amdhsa_kernarg_size 144
		.amdhsa_user_sgpr_count 6
		.amdhsa_user_sgpr_private_segment_buffer 1
		.amdhsa_user_sgpr_dispatch_ptr 0
		.amdhsa_user_sgpr_queue_ptr 0
		.amdhsa_user_sgpr_kernarg_segment_ptr 1
		.amdhsa_user_sgpr_dispatch_id 0
		.amdhsa_user_sgpr_flat_scratch_init 0
		.amdhsa_user_sgpr_private_segment_size 0
		.amdhsa_uses_dynamic_stack 0
		.amdhsa_system_sgpr_private_segment_wavefront_offset 0
		.amdhsa_system_sgpr_workgroup_id_x 1
		.amdhsa_system_sgpr_workgroup_id_y 0
		.amdhsa_system_sgpr_workgroup_id_z 0
		.amdhsa_system_sgpr_workgroup_info 0
		.amdhsa_system_vgpr_workitem_id 0
		.amdhsa_next_free_vgpr 1
		.amdhsa_next_free_sgpr 0
		.amdhsa_reserve_vcc 0
		.amdhsa_reserve_flat_scratch 0
		.amdhsa_float_round_mode_32 0
		.amdhsa_float_round_mode_16_64 0
		.amdhsa_float_denorm_mode_32 3
		.amdhsa_float_denorm_mode_16_64 3
		.amdhsa_dx10_clamp 1
		.amdhsa_ieee_mode 1
		.amdhsa_fp16_overflow 0
		.amdhsa_exception_fp_ieee_invalid_op 0
		.amdhsa_exception_fp_denorm_src 0
		.amdhsa_exception_fp_ieee_div_zero 0
		.amdhsa_exception_fp_ieee_overflow 0
		.amdhsa_exception_fp_ieee_underflow 0
		.amdhsa_exception_fp_ieee_inexact 0
		.amdhsa_exception_int_div_zero 0
	.end_amdhsa_kernel
	.section	.text._ZN7rocprim17ROCPRIM_400000_NS6detail17trampoline_kernelINS0_14default_configENS1_29reduce_by_key_config_selectorIilN6thrust23THRUST_200600_302600_NS4plusIlEEEEZZNS1_33reduce_by_key_impl_wrapped_configILNS1_25lookback_scan_determinismE0ES3_S9_PiNS6_17constant_iteratorIiNS6_11use_defaultESE_EENS6_10device_ptrIiEENSG_IlEEPmS8_NS6_8equal_toIiEEEE10hipError_tPvRmT2_T3_mT4_T5_T6_T7_T8_P12ihipStream_tbENKUlT_T0_E_clISt17integral_constantIbLb1EES12_IbLb0EEEEDaSY_SZ_EUlSY_E_NS1_11comp_targetILNS1_3genE10ELNS1_11target_archE1200ELNS1_3gpuE4ELNS1_3repE0EEENS1_30default_config_static_selectorELNS0_4arch9wavefront6targetE1EEEvT1_,"axG",@progbits,_ZN7rocprim17ROCPRIM_400000_NS6detail17trampoline_kernelINS0_14default_configENS1_29reduce_by_key_config_selectorIilN6thrust23THRUST_200600_302600_NS4plusIlEEEEZZNS1_33reduce_by_key_impl_wrapped_configILNS1_25lookback_scan_determinismE0ES3_S9_PiNS6_17constant_iteratorIiNS6_11use_defaultESE_EENS6_10device_ptrIiEENSG_IlEEPmS8_NS6_8equal_toIiEEEE10hipError_tPvRmT2_T3_mT4_T5_T6_T7_T8_P12ihipStream_tbENKUlT_T0_E_clISt17integral_constantIbLb1EES12_IbLb0EEEEDaSY_SZ_EUlSY_E_NS1_11comp_targetILNS1_3genE10ELNS1_11target_archE1200ELNS1_3gpuE4ELNS1_3repE0EEENS1_30default_config_static_selectorELNS0_4arch9wavefront6targetE1EEEvT1_,comdat
.Lfunc_end962:
	.size	_ZN7rocprim17ROCPRIM_400000_NS6detail17trampoline_kernelINS0_14default_configENS1_29reduce_by_key_config_selectorIilN6thrust23THRUST_200600_302600_NS4plusIlEEEEZZNS1_33reduce_by_key_impl_wrapped_configILNS1_25lookback_scan_determinismE0ES3_S9_PiNS6_17constant_iteratorIiNS6_11use_defaultESE_EENS6_10device_ptrIiEENSG_IlEEPmS8_NS6_8equal_toIiEEEE10hipError_tPvRmT2_T3_mT4_T5_T6_T7_T8_P12ihipStream_tbENKUlT_T0_E_clISt17integral_constantIbLb1EES12_IbLb0EEEEDaSY_SZ_EUlSY_E_NS1_11comp_targetILNS1_3genE10ELNS1_11target_archE1200ELNS1_3gpuE4ELNS1_3repE0EEENS1_30default_config_static_selectorELNS0_4arch9wavefront6targetE1EEEvT1_, .Lfunc_end962-_ZN7rocprim17ROCPRIM_400000_NS6detail17trampoline_kernelINS0_14default_configENS1_29reduce_by_key_config_selectorIilN6thrust23THRUST_200600_302600_NS4plusIlEEEEZZNS1_33reduce_by_key_impl_wrapped_configILNS1_25lookback_scan_determinismE0ES3_S9_PiNS6_17constant_iteratorIiNS6_11use_defaultESE_EENS6_10device_ptrIiEENSG_IlEEPmS8_NS6_8equal_toIiEEEE10hipError_tPvRmT2_T3_mT4_T5_T6_T7_T8_P12ihipStream_tbENKUlT_T0_E_clISt17integral_constantIbLb1EES12_IbLb0EEEEDaSY_SZ_EUlSY_E_NS1_11comp_targetILNS1_3genE10ELNS1_11target_archE1200ELNS1_3gpuE4ELNS1_3repE0EEENS1_30default_config_static_selectorELNS0_4arch9wavefront6targetE1EEEvT1_
                                        ; -- End function
	.set _ZN7rocprim17ROCPRIM_400000_NS6detail17trampoline_kernelINS0_14default_configENS1_29reduce_by_key_config_selectorIilN6thrust23THRUST_200600_302600_NS4plusIlEEEEZZNS1_33reduce_by_key_impl_wrapped_configILNS1_25lookback_scan_determinismE0ES3_S9_PiNS6_17constant_iteratorIiNS6_11use_defaultESE_EENS6_10device_ptrIiEENSG_IlEEPmS8_NS6_8equal_toIiEEEE10hipError_tPvRmT2_T3_mT4_T5_T6_T7_T8_P12ihipStream_tbENKUlT_T0_E_clISt17integral_constantIbLb1EES12_IbLb0EEEEDaSY_SZ_EUlSY_E_NS1_11comp_targetILNS1_3genE10ELNS1_11target_archE1200ELNS1_3gpuE4ELNS1_3repE0EEENS1_30default_config_static_selectorELNS0_4arch9wavefront6targetE1EEEvT1_.num_vgpr, 0
	.set _ZN7rocprim17ROCPRIM_400000_NS6detail17trampoline_kernelINS0_14default_configENS1_29reduce_by_key_config_selectorIilN6thrust23THRUST_200600_302600_NS4plusIlEEEEZZNS1_33reduce_by_key_impl_wrapped_configILNS1_25lookback_scan_determinismE0ES3_S9_PiNS6_17constant_iteratorIiNS6_11use_defaultESE_EENS6_10device_ptrIiEENSG_IlEEPmS8_NS6_8equal_toIiEEEE10hipError_tPvRmT2_T3_mT4_T5_T6_T7_T8_P12ihipStream_tbENKUlT_T0_E_clISt17integral_constantIbLb1EES12_IbLb0EEEEDaSY_SZ_EUlSY_E_NS1_11comp_targetILNS1_3genE10ELNS1_11target_archE1200ELNS1_3gpuE4ELNS1_3repE0EEENS1_30default_config_static_selectorELNS0_4arch9wavefront6targetE1EEEvT1_.num_agpr, 0
	.set _ZN7rocprim17ROCPRIM_400000_NS6detail17trampoline_kernelINS0_14default_configENS1_29reduce_by_key_config_selectorIilN6thrust23THRUST_200600_302600_NS4plusIlEEEEZZNS1_33reduce_by_key_impl_wrapped_configILNS1_25lookback_scan_determinismE0ES3_S9_PiNS6_17constant_iteratorIiNS6_11use_defaultESE_EENS6_10device_ptrIiEENSG_IlEEPmS8_NS6_8equal_toIiEEEE10hipError_tPvRmT2_T3_mT4_T5_T6_T7_T8_P12ihipStream_tbENKUlT_T0_E_clISt17integral_constantIbLb1EES12_IbLb0EEEEDaSY_SZ_EUlSY_E_NS1_11comp_targetILNS1_3genE10ELNS1_11target_archE1200ELNS1_3gpuE4ELNS1_3repE0EEENS1_30default_config_static_selectorELNS0_4arch9wavefront6targetE1EEEvT1_.numbered_sgpr, 0
	.set _ZN7rocprim17ROCPRIM_400000_NS6detail17trampoline_kernelINS0_14default_configENS1_29reduce_by_key_config_selectorIilN6thrust23THRUST_200600_302600_NS4plusIlEEEEZZNS1_33reduce_by_key_impl_wrapped_configILNS1_25lookback_scan_determinismE0ES3_S9_PiNS6_17constant_iteratorIiNS6_11use_defaultESE_EENS6_10device_ptrIiEENSG_IlEEPmS8_NS6_8equal_toIiEEEE10hipError_tPvRmT2_T3_mT4_T5_T6_T7_T8_P12ihipStream_tbENKUlT_T0_E_clISt17integral_constantIbLb1EES12_IbLb0EEEEDaSY_SZ_EUlSY_E_NS1_11comp_targetILNS1_3genE10ELNS1_11target_archE1200ELNS1_3gpuE4ELNS1_3repE0EEENS1_30default_config_static_selectorELNS0_4arch9wavefront6targetE1EEEvT1_.num_named_barrier, 0
	.set _ZN7rocprim17ROCPRIM_400000_NS6detail17trampoline_kernelINS0_14default_configENS1_29reduce_by_key_config_selectorIilN6thrust23THRUST_200600_302600_NS4plusIlEEEEZZNS1_33reduce_by_key_impl_wrapped_configILNS1_25lookback_scan_determinismE0ES3_S9_PiNS6_17constant_iteratorIiNS6_11use_defaultESE_EENS6_10device_ptrIiEENSG_IlEEPmS8_NS6_8equal_toIiEEEE10hipError_tPvRmT2_T3_mT4_T5_T6_T7_T8_P12ihipStream_tbENKUlT_T0_E_clISt17integral_constantIbLb1EES12_IbLb0EEEEDaSY_SZ_EUlSY_E_NS1_11comp_targetILNS1_3genE10ELNS1_11target_archE1200ELNS1_3gpuE4ELNS1_3repE0EEENS1_30default_config_static_selectorELNS0_4arch9wavefront6targetE1EEEvT1_.private_seg_size, 0
	.set _ZN7rocprim17ROCPRIM_400000_NS6detail17trampoline_kernelINS0_14default_configENS1_29reduce_by_key_config_selectorIilN6thrust23THRUST_200600_302600_NS4plusIlEEEEZZNS1_33reduce_by_key_impl_wrapped_configILNS1_25lookback_scan_determinismE0ES3_S9_PiNS6_17constant_iteratorIiNS6_11use_defaultESE_EENS6_10device_ptrIiEENSG_IlEEPmS8_NS6_8equal_toIiEEEE10hipError_tPvRmT2_T3_mT4_T5_T6_T7_T8_P12ihipStream_tbENKUlT_T0_E_clISt17integral_constantIbLb1EES12_IbLb0EEEEDaSY_SZ_EUlSY_E_NS1_11comp_targetILNS1_3genE10ELNS1_11target_archE1200ELNS1_3gpuE4ELNS1_3repE0EEENS1_30default_config_static_selectorELNS0_4arch9wavefront6targetE1EEEvT1_.uses_vcc, 0
	.set _ZN7rocprim17ROCPRIM_400000_NS6detail17trampoline_kernelINS0_14default_configENS1_29reduce_by_key_config_selectorIilN6thrust23THRUST_200600_302600_NS4plusIlEEEEZZNS1_33reduce_by_key_impl_wrapped_configILNS1_25lookback_scan_determinismE0ES3_S9_PiNS6_17constant_iteratorIiNS6_11use_defaultESE_EENS6_10device_ptrIiEENSG_IlEEPmS8_NS6_8equal_toIiEEEE10hipError_tPvRmT2_T3_mT4_T5_T6_T7_T8_P12ihipStream_tbENKUlT_T0_E_clISt17integral_constantIbLb1EES12_IbLb0EEEEDaSY_SZ_EUlSY_E_NS1_11comp_targetILNS1_3genE10ELNS1_11target_archE1200ELNS1_3gpuE4ELNS1_3repE0EEENS1_30default_config_static_selectorELNS0_4arch9wavefront6targetE1EEEvT1_.uses_flat_scratch, 0
	.set _ZN7rocprim17ROCPRIM_400000_NS6detail17trampoline_kernelINS0_14default_configENS1_29reduce_by_key_config_selectorIilN6thrust23THRUST_200600_302600_NS4plusIlEEEEZZNS1_33reduce_by_key_impl_wrapped_configILNS1_25lookback_scan_determinismE0ES3_S9_PiNS6_17constant_iteratorIiNS6_11use_defaultESE_EENS6_10device_ptrIiEENSG_IlEEPmS8_NS6_8equal_toIiEEEE10hipError_tPvRmT2_T3_mT4_T5_T6_T7_T8_P12ihipStream_tbENKUlT_T0_E_clISt17integral_constantIbLb1EES12_IbLb0EEEEDaSY_SZ_EUlSY_E_NS1_11comp_targetILNS1_3genE10ELNS1_11target_archE1200ELNS1_3gpuE4ELNS1_3repE0EEENS1_30default_config_static_selectorELNS0_4arch9wavefront6targetE1EEEvT1_.has_dyn_sized_stack, 0
	.set _ZN7rocprim17ROCPRIM_400000_NS6detail17trampoline_kernelINS0_14default_configENS1_29reduce_by_key_config_selectorIilN6thrust23THRUST_200600_302600_NS4plusIlEEEEZZNS1_33reduce_by_key_impl_wrapped_configILNS1_25lookback_scan_determinismE0ES3_S9_PiNS6_17constant_iteratorIiNS6_11use_defaultESE_EENS6_10device_ptrIiEENSG_IlEEPmS8_NS6_8equal_toIiEEEE10hipError_tPvRmT2_T3_mT4_T5_T6_T7_T8_P12ihipStream_tbENKUlT_T0_E_clISt17integral_constantIbLb1EES12_IbLb0EEEEDaSY_SZ_EUlSY_E_NS1_11comp_targetILNS1_3genE10ELNS1_11target_archE1200ELNS1_3gpuE4ELNS1_3repE0EEENS1_30default_config_static_selectorELNS0_4arch9wavefront6targetE1EEEvT1_.has_recursion, 0
	.set _ZN7rocprim17ROCPRIM_400000_NS6detail17trampoline_kernelINS0_14default_configENS1_29reduce_by_key_config_selectorIilN6thrust23THRUST_200600_302600_NS4plusIlEEEEZZNS1_33reduce_by_key_impl_wrapped_configILNS1_25lookback_scan_determinismE0ES3_S9_PiNS6_17constant_iteratorIiNS6_11use_defaultESE_EENS6_10device_ptrIiEENSG_IlEEPmS8_NS6_8equal_toIiEEEE10hipError_tPvRmT2_T3_mT4_T5_T6_T7_T8_P12ihipStream_tbENKUlT_T0_E_clISt17integral_constantIbLb1EES12_IbLb0EEEEDaSY_SZ_EUlSY_E_NS1_11comp_targetILNS1_3genE10ELNS1_11target_archE1200ELNS1_3gpuE4ELNS1_3repE0EEENS1_30default_config_static_selectorELNS0_4arch9wavefront6targetE1EEEvT1_.has_indirect_call, 0
	.section	.AMDGPU.csdata,"",@progbits
; Kernel info:
; codeLenInByte = 0
; TotalNumSgprs: 4
; NumVgprs: 0
; ScratchSize: 0
; MemoryBound: 0
; FloatMode: 240
; IeeeMode: 1
; LDSByteSize: 0 bytes/workgroup (compile time only)
; SGPRBlocks: 0
; VGPRBlocks: 0
; NumSGPRsForWavesPerEU: 4
; NumVGPRsForWavesPerEU: 1
; Occupancy: 10
; WaveLimiterHint : 0
; COMPUTE_PGM_RSRC2:SCRATCH_EN: 0
; COMPUTE_PGM_RSRC2:USER_SGPR: 6
; COMPUTE_PGM_RSRC2:TRAP_HANDLER: 0
; COMPUTE_PGM_RSRC2:TGID_X_EN: 1
; COMPUTE_PGM_RSRC2:TGID_Y_EN: 0
; COMPUTE_PGM_RSRC2:TGID_Z_EN: 0
; COMPUTE_PGM_RSRC2:TIDIG_COMP_CNT: 0
	.section	.text._ZN7rocprim17ROCPRIM_400000_NS6detail17trampoline_kernelINS0_14default_configENS1_29reduce_by_key_config_selectorIilN6thrust23THRUST_200600_302600_NS4plusIlEEEEZZNS1_33reduce_by_key_impl_wrapped_configILNS1_25lookback_scan_determinismE0ES3_S9_PiNS6_17constant_iteratorIiNS6_11use_defaultESE_EENS6_10device_ptrIiEENSG_IlEEPmS8_NS6_8equal_toIiEEEE10hipError_tPvRmT2_T3_mT4_T5_T6_T7_T8_P12ihipStream_tbENKUlT_T0_E_clISt17integral_constantIbLb1EES12_IbLb0EEEEDaSY_SZ_EUlSY_E_NS1_11comp_targetILNS1_3genE9ELNS1_11target_archE1100ELNS1_3gpuE3ELNS1_3repE0EEENS1_30default_config_static_selectorELNS0_4arch9wavefront6targetE1EEEvT1_,"axG",@progbits,_ZN7rocprim17ROCPRIM_400000_NS6detail17trampoline_kernelINS0_14default_configENS1_29reduce_by_key_config_selectorIilN6thrust23THRUST_200600_302600_NS4plusIlEEEEZZNS1_33reduce_by_key_impl_wrapped_configILNS1_25lookback_scan_determinismE0ES3_S9_PiNS6_17constant_iteratorIiNS6_11use_defaultESE_EENS6_10device_ptrIiEENSG_IlEEPmS8_NS6_8equal_toIiEEEE10hipError_tPvRmT2_T3_mT4_T5_T6_T7_T8_P12ihipStream_tbENKUlT_T0_E_clISt17integral_constantIbLb1EES12_IbLb0EEEEDaSY_SZ_EUlSY_E_NS1_11comp_targetILNS1_3genE9ELNS1_11target_archE1100ELNS1_3gpuE3ELNS1_3repE0EEENS1_30default_config_static_selectorELNS0_4arch9wavefront6targetE1EEEvT1_,comdat
	.protected	_ZN7rocprim17ROCPRIM_400000_NS6detail17trampoline_kernelINS0_14default_configENS1_29reduce_by_key_config_selectorIilN6thrust23THRUST_200600_302600_NS4plusIlEEEEZZNS1_33reduce_by_key_impl_wrapped_configILNS1_25lookback_scan_determinismE0ES3_S9_PiNS6_17constant_iteratorIiNS6_11use_defaultESE_EENS6_10device_ptrIiEENSG_IlEEPmS8_NS6_8equal_toIiEEEE10hipError_tPvRmT2_T3_mT4_T5_T6_T7_T8_P12ihipStream_tbENKUlT_T0_E_clISt17integral_constantIbLb1EES12_IbLb0EEEEDaSY_SZ_EUlSY_E_NS1_11comp_targetILNS1_3genE9ELNS1_11target_archE1100ELNS1_3gpuE3ELNS1_3repE0EEENS1_30default_config_static_selectorELNS0_4arch9wavefront6targetE1EEEvT1_ ; -- Begin function _ZN7rocprim17ROCPRIM_400000_NS6detail17trampoline_kernelINS0_14default_configENS1_29reduce_by_key_config_selectorIilN6thrust23THRUST_200600_302600_NS4plusIlEEEEZZNS1_33reduce_by_key_impl_wrapped_configILNS1_25lookback_scan_determinismE0ES3_S9_PiNS6_17constant_iteratorIiNS6_11use_defaultESE_EENS6_10device_ptrIiEENSG_IlEEPmS8_NS6_8equal_toIiEEEE10hipError_tPvRmT2_T3_mT4_T5_T6_T7_T8_P12ihipStream_tbENKUlT_T0_E_clISt17integral_constantIbLb1EES12_IbLb0EEEEDaSY_SZ_EUlSY_E_NS1_11comp_targetILNS1_3genE9ELNS1_11target_archE1100ELNS1_3gpuE3ELNS1_3repE0EEENS1_30default_config_static_selectorELNS0_4arch9wavefront6targetE1EEEvT1_
	.globl	_ZN7rocprim17ROCPRIM_400000_NS6detail17trampoline_kernelINS0_14default_configENS1_29reduce_by_key_config_selectorIilN6thrust23THRUST_200600_302600_NS4plusIlEEEEZZNS1_33reduce_by_key_impl_wrapped_configILNS1_25lookback_scan_determinismE0ES3_S9_PiNS6_17constant_iteratorIiNS6_11use_defaultESE_EENS6_10device_ptrIiEENSG_IlEEPmS8_NS6_8equal_toIiEEEE10hipError_tPvRmT2_T3_mT4_T5_T6_T7_T8_P12ihipStream_tbENKUlT_T0_E_clISt17integral_constantIbLb1EES12_IbLb0EEEEDaSY_SZ_EUlSY_E_NS1_11comp_targetILNS1_3genE9ELNS1_11target_archE1100ELNS1_3gpuE3ELNS1_3repE0EEENS1_30default_config_static_selectorELNS0_4arch9wavefront6targetE1EEEvT1_
	.p2align	8
	.type	_ZN7rocprim17ROCPRIM_400000_NS6detail17trampoline_kernelINS0_14default_configENS1_29reduce_by_key_config_selectorIilN6thrust23THRUST_200600_302600_NS4plusIlEEEEZZNS1_33reduce_by_key_impl_wrapped_configILNS1_25lookback_scan_determinismE0ES3_S9_PiNS6_17constant_iteratorIiNS6_11use_defaultESE_EENS6_10device_ptrIiEENSG_IlEEPmS8_NS6_8equal_toIiEEEE10hipError_tPvRmT2_T3_mT4_T5_T6_T7_T8_P12ihipStream_tbENKUlT_T0_E_clISt17integral_constantIbLb1EES12_IbLb0EEEEDaSY_SZ_EUlSY_E_NS1_11comp_targetILNS1_3genE9ELNS1_11target_archE1100ELNS1_3gpuE3ELNS1_3repE0EEENS1_30default_config_static_selectorELNS0_4arch9wavefront6targetE1EEEvT1_,@function
_ZN7rocprim17ROCPRIM_400000_NS6detail17trampoline_kernelINS0_14default_configENS1_29reduce_by_key_config_selectorIilN6thrust23THRUST_200600_302600_NS4plusIlEEEEZZNS1_33reduce_by_key_impl_wrapped_configILNS1_25lookback_scan_determinismE0ES3_S9_PiNS6_17constant_iteratorIiNS6_11use_defaultESE_EENS6_10device_ptrIiEENSG_IlEEPmS8_NS6_8equal_toIiEEEE10hipError_tPvRmT2_T3_mT4_T5_T6_T7_T8_P12ihipStream_tbENKUlT_T0_E_clISt17integral_constantIbLb1EES12_IbLb0EEEEDaSY_SZ_EUlSY_E_NS1_11comp_targetILNS1_3genE9ELNS1_11target_archE1100ELNS1_3gpuE3ELNS1_3repE0EEENS1_30default_config_static_selectorELNS0_4arch9wavefront6targetE1EEEvT1_: ; @_ZN7rocprim17ROCPRIM_400000_NS6detail17trampoline_kernelINS0_14default_configENS1_29reduce_by_key_config_selectorIilN6thrust23THRUST_200600_302600_NS4plusIlEEEEZZNS1_33reduce_by_key_impl_wrapped_configILNS1_25lookback_scan_determinismE0ES3_S9_PiNS6_17constant_iteratorIiNS6_11use_defaultESE_EENS6_10device_ptrIiEENSG_IlEEPmS8_NS6_8equal_toIiEEEE10hipError_tPvRmT2_T3_mT4_T5_T6_T7_T8_P12ihipStream_tbENKUlT_T0_E_clISt17integral_constantIbLb1EES12_IbLb0EEEEDaSY_SZ_EUlSY_E_NS1_11comp_targetILNS1_3genE9ELNS1_11target_archE1100ELNS1_3gpuE3ELNS1_3repE0EEENS1_30default_config_static_selectorELNS0_4arch9wavefront6targetE1EEEvT1_
; %bb.0:
	.section	.rodata,"a",@progbits
	.p2align	6, 0x0
	.amdhsa_kernel _ZN7rocprim17ROCPRIM_400000_NS6detail17trampoline_kernelINS0_14default_configENS1_29reduce_by_key_config_selectorIilN6thrust23THRUST_200600_302600_NS4plusIlEEEEZZNS1_33reduce_by_key_impl_wrapped_configILNS1_25lookback_scan_determinismE0ES3_S9_PiNS6_17constant_iteratorIiNS6_11use_defaultESE_EENS6_10device_ptrIiEENSG_IlEEPmS8_NS6_8equal_toIiEEEE10hipError_tPvRmT2_T3_mT4_T5_T6_T7_T8_P12ihipStream_tbENKUlT_T0_E_clISt17integral_constantIbLb1EES12_IbLb0EEEEDaSY_SZ_EUlSY_E_NS1_11comp_targetILNS1_3genE9ELNS1_11target_archE1100ELNS1_3gpuE3ELNS1_3repE0EEENS1_30default_config_static_selectorELNS0_4arch9wavefront6targetE1EEEvT1_
		.amdhsa_group_segment_fixed_size 0
		.amdhsa_private_segment_fixed_size 0
		.amdhsa_kernarg_size 144
		.amdhsa_user_sgpr_count 6
		.amdhsa_user_sgpr_private_segment_buffer 1
		.amdhsa_user_sgpr_dispatch_ptr 0
		.amdhsa_user_sgpr_queue_ptr 0
		.amdhsa_user_sgpr_kernarg_segment_ptr 1
		.amdhsa_user_sgpr_dispatch_id 0
		.amdhsa_user_sgpr_flat_scratch_init 0
		.amdhsa_user_sgpr_private_segment_size 0
		.amdhsa_uses_dynamic_stack 0
		.amdhsa_system_sgpr_private_segment_wavefront_offset 0
		.amdhsa_system_sgpr_workgroup_id_x 1
		.amdhsa_system_sgpr_workgroup_id_y 0
		.amdhsa_system_sgpr_workgroup_id_z 0
		.amdhsa_system_sgpr_workgroup_info 0
		.amdhsa_system_vgpr_workitem_id 0
		.amdhsa_next_free_vgpr 1
		.amdhsa_next_free_sgpr 0
		.amdhsa_reserve_vcc 0
		.amdhsa_reserve_flat_scratch 0
		.amdhsa_float_round_mode_32 0
		.amdhsa_float_round_mode_16_64 0
		.amdhsa_float_denorm_mode_32 3
		.amdhsa_float_denorm_mode_16_64 3
		.amdhsa_dx10_clamp 1
		.amdhsa_ieee_mode 1
		.amdhsa_fp16_overflow 0
		.amdhsa_exception_fp_ieee_invalid_op 0
		.amdhsa_exception_fp_denorm_src 0
		.amdhsa_exception_fp_ieee_div_zero 0
		.amdhsa_exception_fp_ieee_overflow 0
		.amdhsa_exception_fp_ieee_underflow 0
		.amdhsa_exception_fp_ieee_inexact 0
		.amdhsa_exception_int_div_zero 0
	.end_amdhsa_kernel
	.section	.text._ZN7rocprim17ROCPRIM_400000_NS6detail17trampoline_kernelINS0_14default_configENS1_29reduce_by_key_config_selectorIilN6thrust23THRUST_200600_302600_NS4plusIlEEEEZZNS1_33reduce_by_key_impl_wrapped_configILNS1_25lookback_scan_determinismE0ES3_S9_PiNS6_17constant_iteratorIiNS6_11use_defaultESE_EENS6_10device_ptrIiEENSG_IlEEPmS8_NS6_8equal_toIiEEEE10hipError_tPvRmT2_T3_mT4_T5_T6_T7_T8_P12ihipStream_tbENKUlT_T0_E_clISt17integral_constantIbLb1EES12_IbLb0EEEEDaSY_SZ_EUlSY_E_NS1_11comp_targetILNS1_3genE9ELNS1_11target_archE1100ELNS1_3gpuE3ELNS1_3repE0EEENS1_30default_config_static_selectorELNS0_4arch9wavefront6targetE1EEEvT1_,"axG",@progbits,_ZN7rocprim17ROCPRIM_400000_NS6detail17trampoline_kernelINS0_14default_configENS1_29reduce_by_key_config_selectorIilN6thrust23THRUST_200600_302600_NS4plusIlEEEEZZNS1_33reduce_by_key_impl_wrapped_configILNS1_25lookback_scan_determinismE0ES3_S9_PiNS6_17constant_iteratorIiNS6_11use_defaultESE_EENS6_10device_ptrIiEENSG_IlEEPmS8_NS6_8equal_toIiEEEE10hipError_tPvRmT2_T3_mT4_T5_T6_T7_T8_P12ihipStream_tbENKUlT_T0_E_clISt17integral_constantIbLb1EES12_IbLb0EEEEDaSY_SZ_EUlSY_E_NS1_11comp_targetILNS1_3genE9ELNS1_11target_archE1100ELNS1_3gpuE3ELNS1_3repE0EEENS1_30default_config_static_selectorELNS0_4arch9wavefront6targetE1EEEvT1_,comdat
.Lfunc_end963:
	.size	_ZN7rocprim17ROCPRIM_400000_NS6detail17trampoline_kernelINS0_14default_configENS1_29reduce_by_key_config_selectorIilN6thrust23THRUST_200600_302600_NS4plusIlEEEEZZNS1_33reduce_by_key_impl_wrapped_configILNS1_25lookback_scan_determinismE0ES3_S9_PiNS6_17constant_iteratorIiNS6_11use_defaultESE_EENS6_10device_ptrIiEENSG_IlEEPmS8_NS6_8equal_toIiEEEE10hipError_tPvRmT2_T3_mT4_T5_T6_T7_T8_P12ihipStream_tbENKUlT_T0_E_clISt17integral_constantIbLb1EES12_IbLb0EEEEDaSY_SZ_EUlSY_E_NS1_11comp_targetILNS1_3genE9ELNS1_11target_archE1100ELNS1_3gpuE3ELNS1_3repE0EEENS1_30default_config_static_selectorELNS0_4arch9wavefront6targetE1EEEvT1_, .Lfunc_end963-_ZN7rocprim17ROCPRIM_400000_NS6detail17trampoline_kernelINS0_14default_configENS1_29reduce_by_key_config_selectorIilN6thrust23THRUST_200600_302600_NS4plusIlEEEEZZNS1_33reduce_by_key_impl_wrapped_configILNS1_25lookback_scan_determinismE0ES3_S9_PiNS6_17constant_iteratorIiNS6_11use_defaultESE_EENS6_10device_ptrIiEENSG_IlEEPmS8_NS6_8equal_toIiEEEE10hipError_tPvRmT2_T3_mT4_T5_T6_T7_T8_P12ihipStream_tbENKUlT_T0_E_clISt17integral_constantIbLb1EES12_IbLb0EEEEDaSY_SZ_EUlSY_E_NS1_11comp_targetILNS1_3genE9ELNS1_11target_archE1100ELNS1_3gpuE3ELNS1_3repE0EEENS1_30default_config_static_selectorELNS0_4arch9wavefront6targetE1EEEvT1_
                                        ; -- End function
	.set _ZN7rocprim17ROCPRIM_400000_NS6detail17trampoline_kernelINS0_14default_configENS1_29reduce_by_key_config_selectorIilN6thrust23THRUST_200600_302600_NS4plusIlEEEEZZNS1_33reduce_by_key_impl_wrapped_configILNS1_25lookback_scan_determinismE0ES3_S9_PiNS6_17constant_iteratorIiNS6_11use_defaultESE_EENS6_10device_ptrIiEENSG_IlEEPmS8_NS6_8equal_toIiEEEE10hipError_tPvRmT2_T3_mT4_T5_T6_T7_T8_P12ihipStream_tbENKUlT_T0_E_clISt17integral_constantIbLb1EES12_IbLb0EEEEDaSY_SZ_EUlSY_E_NS1_11comp_targetILNS1_3genE9ELNS1_11target_archE1100ELNS1_3gpuE3ELNS1_3repE0EEENS1_30default_config_static_selectorELNS0_4arch9wavefront6targetE1EEEvT1_.num_vgpr, 0
	.set _ZN7rocprim17ROCPRIM_400000_NS6detail17trampoline_kernelINS0_14default_configENS1_29reduce_by_key_config_selectorIilN6thrust23THRUST_200600_302600_NS4plusIlEEEEZZNS1_33reduce_by_key_impl_wrapped_configILNS1_25lookback_scan_determinismE0ES3_S9_PiNS6_17constant_iteratorIiNS6_11use_defaultESE_EENS6_10device_ptrIiEENSG_IlEEPmS8_NS6_8equal_toIiEEEE10hipError_tPvRmT2_T3_mT4_T5_T6_T7_T8_P12ihipStream_tbENKUlT_T0_E_clISt17integral_constantIbLb1EES12_IbLb0EEEEDaSY_SZ_EUlSY_E_NS1_11comp_targetILNS1_3genE9ELNS1_11target_archE1100ELNS1_3gpuE3ELNS1_3repE0EEENS1_30default_config_static_selectorELNS0_4arch9wavefront6targetE1EEEvT1_.num_agpr, 0
	.set _ZN7rocprim17ROCPRIM_400000_NS6detail17trampoline_kernelINS0_14default_configENS1_29reduce_by_key_config_selectorIilN6thrust23THRUST_200600_302600_NS4plusIlEEEEZZNS1_33reduce_by_key_impl_wrapped_configILNS1_25lookback_scan_determinismE0ES3_S9_PiNS6_17constant_iteratorIiNS6_11use_defaultESE_EENS6_10device_ptrIiEENSG_IlEEPmS8_NS6_8equal_toIiEEEE10hipError_tPvRmT2_T3_mT4_T5_T6_T7_T8_P12ihipStream_tbENKUlT_T0_E_clISt17integral_constantIbLb1EES12_IbLb0EEEEDaSY_SZ_EUlSY_E_NS1_11comp_targetILNS1_3genE9ELNS1_11target_archE1100ELNS1_3gpuE3ELNS1_3repE0EEENS1_30default_config_static_selectorELNS0_4arch9wavefront6targetE1EEEvT1_.numbered_sgpr, 0
	.set _ZN7rocprim17ROCPRIM_400000_NS6detail17trampoline_kernelINS0_14default_configENS1_29reduce_by_key_config_selectorIilN6thrust23THRUST_200600_302600_NS4plusIlEEEEZZNS1_33reduce_by_key_impl_wrapped_configILNS1_25lookback_scan_determinismE0ES3_S9_PiNS6_17constant_iteratorIiNS6_11use_defaultESE_EENS6_10device_ptrIiEENSG_IlEEPmS8_NS6_8equal_toIiEEEE10hipError_tPvRmT2_T3_mT4_T5_T6_T7_T8_P12ihipStream_tbENKUlT_T0_E_clISt17integral_constantIbLb1EES12_IbLb0EEEEDaSY_SZ_EUlSY_E_NS1_11comp_targetILNS1_3genE9ELNS1_11target_archE1100ELNS1_3gpuE3ELNS1_3repE0EEENS1_30default_config_static_selectorELNS0_4arch9wavefront6targetE1EEEvT1_.num_named_barrier, 0
	.set _ZN7rocprim17ROCPRIM_400000_NS6detail17trampoline_kernelINS0_14default_configENS1_29reduce_by_key_config_selectorIilN6thrust23THRUST_200600_302600_NS4plusIlEEEEZZNS1_33reduce_by_key_impl_wrapped_configILNS1_25lookback_scan_determinismE0ES3_S9_PiNS6_17constant_iteratorIiNS6_11use_defaultESE_EENS6_10device_ptrIiEENSG_IlEEPmS8_NS6_8equal_toIiEEEE10hipError_tPvRmT2_T3_mT4_T5_T6_T7_T8_P12ihipStream_tbENKUlT_T0_E_clISt17integral_constantIbLb1EES12_IbLb0EEEEDaSY_SZ_EUlSY_E_NS1_11comp_targetILNS1_3genE9ELNS1_11target_archE1100ELNS1_3gpuE3ELNS1_3repE0EEENS1_30default_config_static_selectorELNS0_4arch9wavefront6targetE1EEEvT1_.private_seg_size, 0
	.set _ZN7rocprim17ROCPRIM_400000_NS6detail17trampoline_kernelINS0_14default_configENS1_29reduce_by_key_config_selectorIilN6thrust23THRUST_200600_302600_NS4plusIlEEEEZZNS1_33reduce_by_key_impl_wrapped_configILNS1_25lookback_scan_determinismE0ES3_S9_PiNS6_17constant_iteratorIiNS6_11use_defaultESE_EENS6_10device_ptrIiEENSG_IlEEPmS8_NS6_8equal_toIiEEEE10hipError_tPvRmT2_T3_mT4_T5_T6_T7_T8_P12ihipStream_tbENKUlT_T0_E_clISt17integral_constantIbLb1EES12_IbLb0EEEEDaSY_SZ_EUlSY_E_NS1_11comp_targetILNS1_3genE9ELNS1_11target_archE1100ELNS1_3gpuE3ELNS1_3repE0EEENS1_30default_config_static_selectorELNS0_4arch9wavefront6targetE1EEEvT1_.uses_vcc, 0
	.set _ZN7rocprim17ROCPRIM_400000_NS6detail17trampoline_kernelINS0_14default_configENS1_29reduce_by_key_config_selectorIilN6thrust23THRUST_200600_302600_NS4plusIlEEEEZZNS1_33reduce_by_key_impl_wrapped_configILNS1_25lookback_scan_determinismE0ES3_S9_PiNS6_17constant_iteratorIiNS6_11use_defaultESE_EENS6_10device_ptrIiEENSG_IlEEPmS8_NS6_8equal_toIiEEEE10hipError_tPvRmT2_T3_mT4_T5_T6_T7_T8_P12ihipStream_tbENKUlT_T0_E_clISt17integral_constantIbLb1EES12_IbLb0EEEEDaSY_SZ_EUlSY_E_NS1_11comp_targetILNS1_3genE9ELNS1_11target_archE1100ELNS1_3gpuE3ELNS1_3repE0EEENS1_30default_config_static_selectorELNS0_4arch9wavefront6targetE1EEEvT1_.uses_flat_scratch, 0
	.set _ZN7rocprim17ROCPRIM_400000_NS6detail17trampoline_kernelINS0_14default_configENS1_29reduce_by_key_config_selectorIilN6thrust23THRUST_200600_302600_NS4plusIlEEEEZZNS1_33reduce_by_key_impl_wrapped_configILNS1_25lookback_scan_determinismE0ES3_S9_PiNS6_17constant_iteratorIiNS6_11use_defaultESE_EENS6_10device_ptrIiEENSG_IlEEPmS8_NS6_8equal_toIiEEEE10hipError_tPvRmT2_T3_mT4_T5_T6_T7_T8_P12ihipStream_tbENKUlT_T0_E_clISt17integral_constantIbLb1EES12_IbLb0EEEEDaSY_SZ_EUlSY_E_NS1_11comp_targetILNS1_3genE9ELNS1_11target_archE1100ELNS1_3gpuE3ELNS1_3repE0EEENS1_30default_config_static_selectorELNS0_4arch9wavefront6targetE1EEEvT1_.has_dyn_sized_stack, 0
	.set _ZN7rocprim17ROCPRIM_400000_NS6detail17trampoline_kernelINS0_14default_configENS1_29reduce_by_key_config_selectorIilN6thrust23THRUST_200600_302600_NS4plusIlEEEEZZNS1_33reduce_by_key_impl_wrapped_configILNS1_25lookback_scan_determinismE0ES3_S9_PiNS6_17constant_iteratorIiNS6_11use_defaultESE_EENS6_10device_ptrIiEENSG_IlEEPmS8_NS6_8equal_toIiEEEE10hipError_tPvRmT2_T3_mT4_T5_T6_T7_T8_P12ihipStream_tbENKUlT_T0_E_clISt17integral_constantIbLb1EES12_IbLb0EEEEDaSY_SZ_EUlSY_E_NS1_11comp_targetILNS1_3genE9ELNS1_11target_archE1100ELNS1_3gpuE3ELNS1_3repE0EEENS1_30default_config_static_selectorELNS0_4arch9wavefront6targetE1EEEvT1_.has_recursion, 0
	.set _ZN7rocprim17ROCPRIM_400000_NS6detail17trampoline_kernelINS0_14default_configENS1_29reduce_by_key_config_selectorIilN6thrust23THRUST_200600_302600_NS4plusIlEEEEZZNS1_33reduce_by_key_impl_wrapped_configILNS1_25lookback_scan_determinismE0ES3_S9_PiNS6_17constant_iteratorIiNS6_11use_defaultESE_EENS6_10device_ptrIiEENSG_IlEEPmS8_NS6_8equal_toIiEEEE10hipError_tPvRmT2_T3_mT4_T5_T6_T7_T8_P12ihipStream_tbENKUlT_T0_E_clISt17integral_constantIbLb1EES12_IbLb0EEEEDaSY_SZ_EUlSY_E_NS1_11comp_targetILNS1_3genE9ELNS1_11target_archE1100ELNS1_3gpuE3ELNS1_3repE0EEENS1_30default_config_static_selectorELNS0_4arch9wavefront6targetE1EEEvT1_.has_indirect_call, 0
	.section	.AMDGPU.csdata,"",@progbits
; Kernel info:
; codeLenInByte = 0
; TotalNumSgprs: 4
; NumVgprs: 0
; ScratchSize: 0
; MemoryBound: 0
; FloatMode: 240
; IeeeMode: 1
; LDSByteSize: 0 bytes/workgroup (compile time only)
; SGPRBlocks: 0
; VGPRBlocks: 0
; NumSGPRsForWavesPerEU: 4
; NumVGPRsForWavesPerEU: 1
; Occupancy: 10
; WaveLimiterHint : 0
; COMPUTE_PGM_RSRC2:SCRATCH_EN: 0
; COMPUTE_PGM_RSRC2:USER_SGPR: 6
; COMPUTE_PGM_RSRC2:TRAP_HANDLER: 0
; COMPUTE_PGM_RSRC2:TGID_X_EN: 1
; COMPUTE_PGM_RSRC2:TGID_Y_EN: 0
; COMPUTE_PGM_RSRC2:TGID_Z_EN: 0
; COMPUTE_PGM_RSRC2:TIDIG_COMP_CNT: 0
	.section	.text._ZN7rocprim17ROCPRIM_400000_NS6detail17trampoline_kernelINS0_14default_configENS1_29reduce_by_key_config_selectorIilN6thrust23THRUST_200600_302600_NS4plusIlEEEEZZNS1_33reduce_by_key_impl_wrapped_configILNS1_25lookback_scan_determinismE0ES3_S9_PiNS6_17constant_iteratorIiNS6_11use_defaultESE_EENS6_10device_ptrIiEENSG_IlEEPmS8_NS6_8equal_toIiEEEE10hipError_tPvRmT2_T3_mT4_T5_T6_T7_T8_P12ihipStream_tbENKUlT_T0_E_clISt17integral_constantIbLb1EES12_IbLb0EEEEDaSY_SZ_EUlSY_E_NS1_11comp_targetILNS1_3genE8ELNS1_11target_archE1030ELNS1_3gpuE2ELNS1_3repE0EEENS1_30default_config_static_selectorELNS0_4arch9wavefront6targetE1EEEvT1_,"axG",@progbits,_ZN7rocprim17ROCPRIM_400000_NS6detail17trampoline_kernelINS0_14default_configENS1_29reduce_by_key_config_selectorIilN6thrust23THRUST_200600_302600_NS4plusIlEEEEZZNS1_33reduce_by_key_impl_wrapped_configILNS1_25lookback_scan_determinismE0ES3_S9_PiNS6_17constant_iteratorIiNS6_11use_defaultESE_EENS6_10device_ptrIiEENSG_IlEEPmS8_NS6_8equal_toIiEEEE10hipError_tPvRmT2_T3_mT4_T5_T6_T7_T8_P12ihipStream_tbENKUlT_T0_E_clISt17integral_constantIbLb1EES12_IbLb0EEEEDaSY_SZ_EUlSY_E_NS1_11comp_targetILNS1_3genE8ELNS1_11target_archE1030ELNS1_3gpuE2ELNS1_3repE0EEENS1_30default_config_static_selectorELNS0_4arch9wavefront6targetE1EEEvT1_,comdat
	.protected	_ZN7rocprim17ROCPRIM_400000_NS6detail17trampoline_kernelINS0_14default_configENS1_29reduce_by_key_config_selectorIilN6thrust23THRUST_200600_302600_NS4plusIlEEEEZZNS1_33reduce_by_key_impl_wrapped_configILNS1_25lookback_scan_determinismE0ES3_S9_PiNS6_17constant_iteratorIiNS6_11use_defaultESE_EENS6_10device_ptrIiEENSG_IlEEPmS8_NS6_8equal_toIiEEEE10hipError_tPvRmT2_T3_mT4_T5_T6_T7_T8_P12ihipStream_tbENKUlT_T0_E_clISt17integral_constantIbLb1EES12_IbLb0EEEEDaSY_SZ_EUlSY_E_NS1_11comp_targetILNS1_3genE8ELNS1_11target_archE1030ELNS1_3gpuE2ELNS1_3repE0EEENS1_30default_config_static_selectorELNS0_4arch9wavefront6targetE1EEEvT1_ ; -- Begin function _ZN7rocprim17ROCPRIM_400000_NS6detail17trampoline_kernelINS0_14default_configENS1_29reduce_by_key_config_selectorIilN6thrust23THRUST_200600_302600_NS4plusIlEEEEZZNS1_33reduce_by_key_impl_wrapped_configILNS1_25lookback_scan_determinismE0ES3_S9_PiNS6_17constant_iteratorIiNS6_11use_defaultESE_EENS6_10device_ptrIiEENSG_IlEEPmS8_NS6_8equal_toIiEEEE10hipError_tPvRmT2_T3_mT4_T5_T6_T7_T8_P12ihipStream_tbENKUlT_T0_E_clISt17integral_constantIbLb1EES12_IbLb0EEEEDaSY_SZ_EUlSY_E_NS1_11comp_targetILNS1_3genE8ELNS1_11target_archE1030ELNS1_3gpuE2ELNS1_3repE0EEENS1_30default_config_static_selectorELNS0_4arch9wavefront6targetE1EEEvT1_
	.globl	_ZN7rocprim17ROCPRIM_400000_NS6detail17trampoline_kernelINS0_14default_configENS1_29reduce_by_key_config_selectorIilN6thrust23THRUST_200600_302600_NS4plusIlEEEEZZNS1_33reduce_by_key_impl_wrapped_configILNS1_25lookback_scan_determinismE0ES3_S9_PiNS6_17constant_iteratorIiNS6_11use_defaultESE_EENS6_10device_ptrIiEENSG_IlEEPmS8_NS6_8equal_toIiEEEE10hipError_tPvRmT2_T3_mT4_T5_T6_T7_T8_P12ihipStream_tbENKUlT_T0_E_clISt17integral_constantIbLb1EES12_IbLb0EEEEDaSY_SZ_EUlSY_E_NS1_11comp_targetILNS1_3genE8ELNS1_11target_archE1030ELNS1_3gpuE2ELNS1_3repE0EEENS1_30default_config_static_selectorELNS0_4arch9wavefront6targetE1EEEvT1_
	.p2align	8
	.type	_ZN7rocprim17ROCPRIM_400000_NS6detail17trampoline_kernelINS0_14default_configENS1_29reduce_by_key_config_selectorIilN6thrust23THRUST_200600_302600_NS4plusIlEEEEZZNS1_33reduce_by_key_impl_wrapped_configILNS1_25lookback_scan_determinismE0ES3_S9_PiNS6_17constant_iteratorIiNS6_11use_defaultESE_EENS6_10device_ptrIiEENSG_IlEEPmS8_NS6_8equal_toIiEEEE10hipError_tPvRmT2_T3_mT4_T5_T6_T7_T8_P12ihipStream_tbENKUlT_T0_E_clISt17integral_constantIbLb1EES12_IbLb0EEEEDaSY_SZ_EUlSY_E_NS1_11comp_targetILNS1_3genE8ELNS1_11target_archE1030ELNS1_3gpuE2ELNS1_3repE0EEENS1_30default_config_static_selectorELNS0_4arch9wavefront6targetE1EEEvT1_,@function
_ZN7rocprim17ROCPRIM_400000_NS6detail17trampoline_kernelINS0_14default_configENS1_29reduce_by_key_config_selectorIilN6thrust23THRUST_200600_302600_NS4plusIlEEEEZZNS1_33reduce_by_key_impl_wrapped_configILNS1_25lookback_scan_determinismE0ES3_S9_PiNS6_17constant_iteratorIiNS6_11use_defaultESE_EENS6_10device_ptrIiEENSG_IlEEPmS8_NS6_8equal_toIiEEEE10hipError_tPvRmT2_T3_mT4_T5_T6_T7_T8_P12ihipStream_tbENKUlT_T0_E_clISt17integral_constantIbLb1EES12_IbLb0EEEEDaSY_SZ_EUlSY_E_NS1_11comp_targetILNS1_3genE8ELNS1_11target_archE1030ELNS1_3gpuE2ELNS1_3repE0EEENS1_30default_config_static_selectorELNS0_4arch9wavefront6targetE1EEEvT1_: ; @_ZN7rocprim17ROCPRIM_400000_NS6detail17trampoline_kernelINS0_14default_configENS1_29reduce_by_key_config_selectorIilN6thrust23THRUST_200600_302600_NS4plusIlEEEEZZNS1_33reduce_by_key_impl_wrapped_configILNS1_25lookback_scan_determinismE0ES3_S9_PiNS6_17constant_iteratorIiNS6_11use_defaultESE_EENS6_10device_ptrIiEENSG_IlEEPmS8_NS6_8equal_toIiEEEE10hipError_tPvRmT2_T3_mT4_T5_T6_T7_T8_P12ihipStream_tbENKUlT_T0_E_clISt17integral_constantIbLb1EES12_IbLb0EEEEDaSY_SZ_EUlSY_E_NS1_11comp_targetILNS1_3genE8ELNS1_11target_archE1030ELNS1_3gpuE2ELNS1_3repE0EEENS1_30default_config_static_selectorELNS0_4arch9wavefront6targetE1EEEvT1_
; %bb.0:
	.section	.rodata,"a",@progbits
	.p2align	6, 0x0
	.amdhsa_kernel _ZN7rocprim17ROCPRIM_400000_NS6detail17trampoline_kernelINS0_14default_configENS1_29reduce_by_key_config_selectorIilN6thrust23THRUST_200600_302600_NS4plusIlEEEEZZNS1_33reduce_by_key_impl_wrapped_configILNS1_25lookback_scan_determinismE0ES3_S9_PiNS6_17constant_iteratorIiNS6_11use_defaultESE_EENS6_10device_ptrIiEENSG_IlEEPmS8_NS6_8equal_toIiEEEE10hipError_tPvRmT2_T3_mT4_T5_T6_T7_T8_P12ihipStream_tbENKUlT_T0_E_clISt17integral_constantIbLb1EES12_IbLb0EEEEDaSY_SZ_EUlSY_E_NS1_11comp_targetILNS1_3genE8ELNS1_11target_archE1030ELNS1_3gpuE2ELNS1_3repE0EEENS1_30default_config_static_selectorELNS0_4arch9wavefront6targetE1EEEvT1_
		.amdhsa_group_segment_fixed_size 0
		.amdhsa_private_segment_fixed_size 0
		.amdhsa_kernarg_size 144
		.amdhsa_user_sgpr_count 6
		.amdhsa_user_sgpr_private_segment_buffer 1
		.amdhsa_user_sgpr_dispatch_ptr 0
		.amdhsa_user_sgpr_queue_ptr 0
		.amdhsa_user_sgpr_kernarg_segment_ptr 1
		.amdhsa_user_sgpr_dispatch_id 0
		.amdhsa_user_sgpr_flat_scratch_init 0
		.amdhsa_user_sgpr_private_segment_size 0
		.amdhsa_uses_dynamic_stack 0
		.amdhsa_system_sgpr_private_segment_wavefront_offset 0
		.amdhsa_system_sgpr_workgroup_id_x 1
		.amdhsa_system_sgpr_workgroup_id_y 0
		.amdhsa_system_sgpr_workgroup_id_z 0
		.amdhsa_system_sgpr_workgroup_info 0
		.amdhsa_system_vgpr_workitem_id 0
		.amdhsa_next_free_vgpr 1
		.amdhsa_next_free_sgpr 0
		.amdhsa_reserve_vcc 0
		.amdhsa_reserve_flat_scratch 0
		.amdhsa_float_round_mode_32 0
		.amdhsa_float_round_mode_16_64 0
		.amdhsa_float_denorm_mode_32 3
		.amdhsa_float_denorm_mode_16_64 3
		.amdhsa_dx10_clamp 1
		.amdhsa_ieee_mode 1
		.amdhsa_fp16_overflow 0
		.amdhsa_exception_fp_ieee_invalid_op 0
		.amdhsa_exception_fp_denorm_src 0
		.amdhsa_exception_fp_ieee_div_zero 0
		.amdhsa_exception_fp_ieee_overflow 0
		.amdhsa_exception_fp_ieee_underflow 0
		.amdhsa_exception_fp_ieee_inexact 0
		.amdhsa_exception_int_div_zero 0
	.end_amdhsa_kernel
	.section	.text._ZN7rocprim17ROCPRIM_400000_NS6detail17trampoline_kernelINS0_14default_configENS1_29reduce_by_key_config_selectorIilN6thrust23THRUST_200600_302600_NS4plusIlEEEEZZNS1_33reduce_by_key_impl_wrapped_configILNS1_25lookback_scan_determinismE0ES3_S9_PiNS6_17constant_iteratorIiNS6_11use_defaultESE_EENS6_10device_ptrIiEENSG_IlEEPmS8_NS6_8equal_toIiEEEE10hipError_tPvRmT2_T3_mT4_T5_T6_T7_T8_P12ihipStream_tbENKUlT_T0_E_clISt17integral_constantIbLb1EES12_IbLb0EEEEDaSY_SZ_EUlSY_E_NS1_11comp_targetILNS1_3genE8ELNS1_11target_archE1030ELNS1_3gpuE2ELNS1_3repE0EEENS1_30default_config_static_selectorELNS0_4arch9wavefront6targetE1EEEvT1_,"axG",@progbits,_ZN7rocprim17ROCPRIM_400000_NS6detail17trampoline_kernelINS0_14default_configENS1_29reduce_by_key_config_selectorIilN6thrust23THRUST_200600_302600_NS4plusIlEEEEZZNS1_33reduce_by_key_impl_wrapped_configILNS1_25lookback_scan_determinismE0ES3_S9_PiNS6_17constant_iteratorIiNS6_11use_defaultESE_EENS6_10device_ptrIiEENSG_IlEEPmS8_NS6_8equal_toIiEEEE10hipError_tPvRmT2_T3_mT4_T5_T6_T7_T8_P12ihipStream_tbENKUlT_T0_E_clISt17integral_constantIbLb1EES12_IbLb0EEEEDaSY_SZ_EUlSY_E_NS1_11comp_targetILNS1_3genE8ELNS1_11target_archE1030ELNS1_3gpuE2ELNS1_3repE0EEENS1_30default_config_static_selectorELNS0_4arch9wavefront6targetE1EEEvT1_,comdat
.Lfunc_end964:
	.size	_ZN7rocprim17ROCPRIM_400000_NS6detail17trampoline_kernelINS0_14default_configENS1_29reduce_by_key_config_selectorIilN6thrust23THRUST_200600_302600_NS4plusIlEEEEZZNS1_33reduce_by_key_impl_wrapped_configILNS1_25lookback_scan_determinismE0ES3_S9_PiNS6_17constant_iteratorIiNS6_11use_defaultESE_EENS6_10device_ptrIiEENSG_IlEEPmS8_NS6_8equal_toIiEEEE10hipError_tPvRmT2_T3_mT4_T5_T6_T7_T8_P12ihipStream_tbENKUlT_T0_E_clISt17integral_constantIbLb1EES12_IbLb0EEEEDaSY_SZ_EUlSY_E_NS1_11comp_targetILNS1_3genE8ELNS1_11target_archE1030ELNS1_3gpuE2ELNS1_3repE0EEENS1_30default_config_static_selectorELNS0_4arch9wavefront6targetE1EEEvT1_, .Lfunc_end964-_ZN7rocprim17ROCPRIM_400000_NS6detail17trampoline_kernelINS0_14default_configENS1_29reduce_by_key_config_selectorIilN6thrust23THRUST_200600_302600_NS4plusIlEEEEZZNS1_33reduce_by_key_impl_wrapped_configILNS1_25lookback_scan_determinismE0ES3_S9_PiNS6_17constant_iteratorIiNS6_11use_defaultESE_EENS6_10device_ptrIiEENSG_IlEEPmS8_NS6_8equal_toIiEEEE10hipError_tPvRmT2_T3_mT4_T5_T6_T7_T8_P12ihipStream_tbENKUlT_T0_E_clISt17integral_constantIbLb1EES12_IbLb0EEEEDaSY_SZ_EUlSY_E_NS1_11comp_targetILNS1_3genE8ELNS1_11target_archE1030ELNS1_3gpuE2ELNS1_3repE0EEENS1_30default_config_static_selectorELNS0_4arch9wavefront6targetE1EEEvT1_
                                        ; -- End function
	.set _ZN7rocprim17ROCPRIM_400000_NS6detail17trampoline_kernelINS0_14default_configENS1_29reduce_by_key_config_selectorIilN6thrust23THRUST_200600_302600_NS4plusIlEEEEZZNS1_33reduce_by_key_impl_wrapped_configILNS1_25lookback_scan_determinismE0ES3_S9_PiNS6_17constant_iteratorIiNS6_11use_defaultESE_EENS6_10device_ptrIiEENSG_IlEEPmS8_NS6_8equal_toIiEEEE10hipError_tPvRmT2_T3_mT4_T5_T6_T7_T8_P12ihipStream_tbENKUlT_T0_E_clISt17integral_constantIbLb1EES12_IbLb0EEEEDaSY_SZ_EUlSY_E_NS1_11comp_targetILNS1_3genE8ELNS1_11target_archE1030ELNS1_3gpuE2ELNS1_3repE0EEENS1_30default_config_static_selectorELNS0_4arch9wavefront6targetE1EEEvT1_.num_vgpr, 0
	.set _ZN7rocprim17ROCPRIM_400000_NS6detail17trampoline_kernelINS0_14default_configENS1_29reduce_by_key_config_selectorIilN6thrust23THRUST_200600_302600_NS4plusIlEEEEZZNS1_33reduce_by_key_impl_wrapped_configILNS1_25lookback_scan_determinismE0ES3_S9_PiNS6_17constant_iteratorIiNS6_11use_defaultESE_EENS6_10device_ptrIiEENSG_IlEEPmS8_NS6_8equal_toIiEEEE10hipError_tPvRmT2_T3_mT4_T5_T6_T7_T8_P12ihipStream_tbENKUlT_T0_E_clISt17integral_constantIbLb1EES12_IbLb0EEEEDaSY_SZ_EUlSY_E_NS1_11comp_targetILNS1_3genE8ELNS1_11target_archE1030ELNS1_3gpuE2ELNS1_3repE0EEENS1_30default_config_static_selectorELNS0_4arch9wavefront6targetE1EEEvT1_.num_agpr, 0
	.set _ZN7rocprim17ROCPRIM_400000_NS6detail17trampoline_kernelINS0_14default_configENS1_29reduce_by_key_config_selectorIilN6thrust23THRUST_200600_302600_NS4plusIlEEEEZZNS1_33reduce_by_key_impl_wrapped_configILNS1_25lookback_scan_determinismE0ES3_S9_PiNS6_17constant_iteratorIiNS6_11use_defaultESE_EENS6_10device_ptrIiEENSG_IlEEPmS8_NS6_8equal_toIiEEEE10hipError_tPvRmT2_T3_mT4_T5_T6_T7_T8_P12ihipStream_tbENKUlT_T0_E_clISt17integral_constantIbLb1EES12_IbLb0EEEEDaSY_SZ_EUlSY_E_NS1_11comp_targetILNS1_3genE8ELNS1_11target_archE1030ELNS1_3gpuE2ELNS1_3repE0EEENS1_30default_config_static_selectorELNS0_4arch9wavefront6targetE1EEEvT1_.numbered_sgpr, 0
	.set _ZN7rocprim17ROCPRIM_400000_NS6detail17trampoline_kernelINS0_14default_configENS1_29reduce_by_key_config_selectorIilN6thrust23THRUST_200600_302600_NS4plusIlEEEEZZNS1_33reduce_by_key_impl_wrapped_configILNS1_25lookback_scan_determinismE0ES3_S9_PiNS6_17constant_iteratorIiNS6_11use_defaultESE_EENS6_10device_ptrIiEENSG_IlEEPmS8_NS6_8equal_toIiEEEE10hipError_tPvRmT2_T3_mT4_T5_T6_T7_T8_P12ihipStream_tbENKUlT_T0_E_clISt17integral_constantIbLb1EES12_IbLb0EEEEDaSY_SZ_EUlSY_E_NS1_11comp_targetILNS1_3genE8ELNS1_11target_archE1030ELNS1_3gpuE2ELNS1_3repE0EEENS1_30default_config_static_selectorELNS0_4arch9wavefront6targetE1EEEvT1_.num_named_barrier, 0
	.set _ZN7rocprim17ROCPRIM_400000_NS6detail17trampoline_kernelINS0_14default_configENS1_29reduce_by_key_config_selectorIilN6thrust23THRUST_200600_302600_NS4plusIlEEEEZZNS1_33reduce_by_key_impl_wrapped_configILNS1_25lookback_scan_determinismE0ES3_S9_PiNS6_17constant_iteratorIiNS6_11use_defaultESE_EENS6_10device_ptrIiEENSG_IlEEPmS8_NS6_8equal_toIiEEEE10hipError_tPvRmT2_T3_mT4_T5_T6_T7_T8_P12ihipStream_tbENKUlT_T0_E_clISt17integral_constantIbLb1EES12_IbLb0EEEEDaSY_SZ_EUlSY_E_NS1_11comp_targetILNS1_3genE8ELNS1_11target_archE1030ELNS1_3gpuE2ELNS1_3repE0EEENS1_30default_config_static_selectorELNS0_4arch9wavefront6targetE1EEEvT1_.private_seg_size, 0
	.set _ZN7rocprim17ROCPRIM_400000_NS6detail17trampoline_kernelINS0_14default_configENS1_29reduce_by_key_config_selectorIilN6thrust23THRUST_200600_302600_NS4plusIlEEEEZZNS1_33reduce_by_key_impl_wrapped_configILNS1_25lookback_scan_determinismE0ES3_S9_PiNS6_17constant_iteratorIiNS6_11use_defaultESE_EENS6_10device_ptrIiEENSG_IlEEPmS8_NS6_8equal_toIiEEEE10hipError_tPvRmT2_T3_mT4_T5_T6_T7_T8_P12ihipStream_tbENKUlT_T0_E_clISt17integral_constantIbLb1EES12_IbLb0EEEEDaSY_SZ_EUlSY_E_NS1_11comp_targetILNS1_3genE8ELNS1_11target_archE1030ELNS1_3gpuE2ELNS1_3repE0EEENS1_30default_config_static_selectorELNS0_4arch9wavefront6targetE1EEEvT1_.uses_vcc, 0
	.set _ZN7rocprim17ROCPRIM_400000_NS6detail17trampoline_kernelINS0_14default_configENS1_29reduce_by_key_config_selectorIilN6thrust23THRUST_200600_302600_NS4plusIlEEEEZZNS1_33reduce_by_key_impl_wrapped_configILNS1_25lookback_scan_determinismE0ES3_S9_PiNS6_17constant_iteratorIiNS6_11use_defaultESE_EENS6_10device_ptrIiEENSG_IlEEPmS8_NS6_8equal_toIiEEEE10hipError_tPvRmT2_T3_mT4_T5_T6_T7_T8_P12ihipStream_tbENKUlT_T0_E_clISt17integral_constantIbLb1EES12_IbLb0EEEEDaSY_SZ_EUlSY_E_NS1_11comp_targetILNS1_3genE8ELNS1_11target_archE1030ELNS1_3gpuE2ELNS1_3repE0EEENS1_30default_config_static_selectorELNS0_4arch9wavefront6targetE1EEEvT1_.uses_flat_scratch, 0
	.set _ZN7rocprim17ROCPRIM_400000_NS6detail17trampoline_kernelINS0_14default_configENS1_29reduce_by_key_config_selectorIilN6thrust23THRUST_200600_302600_NS4plusIlEEEEZZNS1_33reduce_by_key_impl_wrapped_configILNS1_25lookback_scan_determinismE0ES3_S9_PiNS6_17constant_iteratorIiNS6_11use_defaultESE_EENS6_10device_ptrIiEENSG_IlEEPmS8_NS6_8equal_toIiEEEE10hipError_tPvRmT2_T3_mT4_T5_T6_T7_T8_P12ihipStream_tbENKUlT_T0_E_clISt17integral_constantIbLb1EES12_IbLb0EEEEDaSY_SZ_EUlSY_E_NS1_11comp_targetILNS1_3genE8ELNS1_11target_archE1030ELNS1_3gpuE2ELNS1_3repE0EEENS1_30default_config_static_selectorELNS0_4arch9wavefront6targetE1EEEvT1_.has_dyn_sized_stack, 0
	.set _ZN7rocprim17ROCPRIM_400000_NS6detail17trampoline_kernelINS0_14default_configENS1_29reduce_by_key_config_selectorIilN6thrust23THRUST_200600_302600_NS4plusIlEEEEZZNS1_33reduce_by_key_impl_wrapped_configILNS1_25lookback_scan_determinismE0ES3_S9_PiNS6_17constant_iteratorIiNS6_11use_defaultESE_EENS6_10device_ptrIiEENSG_IlEEPmS8_NS6_8equal_toIiEEEE10hipError_tPvRmT2_T3_mT4_T5_T6_T7_T8_P12ihipStream_tbENKUlT_T0_E_clISt17integral_constantIbLb1EES12_IbLb0EEEEDaSY_SZ_EUlSY_E_NS1_11comp_targetILNS1_3genE8ELNS1_11target_archE1030ELNS1_3gpuE2ELNS1_3repE0EEENS1_30default_config_static_selectorELNS0_4arch9wavefront6targetE1EEEvT1_.has_recursion, 0
	.set _ZN7rocprim17ROCPRIM_400000_NS6detail17trampoline_kernelINS0_14default_configENS1_29reduce_by_key_config_selectorIilN6thrust23THRUST_200600_302600_NS4plusIlEEEEZZNS1_33reduce_by_key_impl_wrapped_configILNS1_25lookback_scan_determinismE0ES3_S9_PiNS6_17constant_iteratorIiNS6_11use_defaultESE_EENS6_10device_ptrIiEENSG_IlEEPmS8_NS6_8equal_toIiEEEE10hipError_tPvRmT2_T3_mT4_T5_T6_T7_T8_P12ihipStream_tbENKUlT_T0_E_clISt17integral_constantIbLb1EES12_IbLb0EEEEDaSY_SZ_EUlSY_E_NS1_11comp_targetILNS1_3genE8ELNS1_11target_archE1030ELNS1_3gpuE2ELNS1_3repE0EEENS1_30default_config_static_selectorELNS0_4arch9wavefront6targetE1EEEvT1_.has_indirect_call, 0
	.section	.AMDGPU.csdata,"",@progbits
; Kernel info:
; codeLenInByte = 0
; TotalNumSgprs: 4
; NumVgprs: 0
; ScratchSize: 0
; MemoryBound: 0
; FloatMode: 240
; IeeeMode: 1
; LDSByteSize: 0 bytes/workgroup (compile time only)
; SGPRBlocks: 0
; VGPRBlocks: 0
; NumSGPRsForWavesPerEU: 4
; NumVGPRsForWavesPerEU: 1
; Occupancy: 10
; WaveLimiterHint : 0
; COMPUTE_PGM_RSRC2:SCRATCH_EN: 0
; COMPUTE_PGM_RSRC2:USER_SGPR: 6
; COMPUTE_PGM_RSRC2:TRAP_HANDLER: 0
; COMPUTE_PGM_RSRC2:TGID_X_EN: 1
; COMPUTE_PGM_RSRC2:TGID_Y_EN: 0
; COMPUTE_PGM_RSRC2:TGID_Z_EN: 0
; COMPUTE_PGM_RSRC2:TIDIG_COMP_CNT: 0
	.section	.text._ZN7rocprim17ROCPRIM_400000_NS6detail17trampoline_kernelINS0_14default_configENS1_29reduce_by_key_config_selectorIilN6thrust23THRUST_200600_302600_NS4plusIlEEEEZZNS1_33reduce_by_key_impl_wrapped_configILNS1_25lookback_scan_determinismE0ES3_S9_PiNS6_17constant_iteratorIiNS6_11use_defaultESE_EENS6_10device_ptrIiEENSG_IlEEPmS8_NS6_8equal_toIiEEEE10hipError_tPvRmT2_T3_mT4_T5_T6_T7_T8_P12ihipStream_tbENKUlT_T0_E_clISt17integral_constantIbLb0EES12_IbLb1EEEEDaSY_SZ_EUlSY_E_NS1_11comp_targetILNS1_3genE0ELNS1_11target_archE4294967295ELNS1_3gpuE0ELNS1_3repE0EEENS1_30default_config_static_selectorELNS0_4arch9wavefront6targetE1EEEvT1_,"axG",@progbits,_ZN7rocprim17ROCPRIM_400000_NS6detail17trampoline_kernelINS0_14default_configENS1_29reduce_by_key_config_selectorIilN6thrust23THRUST_200600_302600_NS4plusIlEEEEZZNS1_33reduce_by_key_impl_wrapped_configILNS1_25lookback_scan_determinismE0ES3_S9_PiNS6_17constant_iteratorIiNS6_11use_defaultESE_EENS6_10device_ptrIiEENSG_IlEEPmS8_NS6_8equal_toIiEEEE10hipError_tPvRmT2_T3_mT4_T5_T6_T7_T8_P12ihipStream_tbENKUlT_T0_E_clISt17integral_constantIbLb0EES12_IbLb1EEEEDaSY_SZ_EUlSY_E_NS1_11comp_targetILNS1_3genE0ELNS1_11target_archE4294967295ELNS1_3gpuE0ELNS1_3repE0EEENS1_30default_config_static_selectorELNS0_4arch9wavefront6targetE1EEEvT1_,comdat
	.protected	_ZN7rocprim17ROCPRIM_400000_NS6detail17trampoline_kernelINS0_14default_configENS1_29reduce_by_key_config_selectorIilN6thrust23THRUST_200600_302600_NS4plusIlEEEEZZNS1_33reduce_by_key_impl_wrapped_configILNS1_25lookback_scan_determinismE0ES3_S9_PiNS6_17constant_iteratorIiNS6_11use_defaultESE_EENS6_10device_ptrIiEENSG_IlEEPmS8_NS6_8equal_toIiEEEE10hipError_tPvRmT2_T3_mT4_T5_T6_T7_T8_P12ihipStream_tbENKUlT_T0_E_clISt17integral_constantIbLb0EES12_IbLb1EEEEDaSY_SZ_EUlSY_E_NS1_11comp_targetILNS1_3genE0ELNS1_11target_archE4294967295ELNS1_3gpuE0ELNS1_3repE0EEENS1_30default_config_static_selectorELNS0_4arch9wavefront6targetE1EEEvT1_ ; -- Begin function _ZN7rocprim17ROCPRIM_400000_NS6detail17trampoline_kernelINS0_14default_configENS1_29reduce_by_key_config_selectorIilN6thrust23THRUST_200600_302600_NS4plusIlEEEEZZNS1_33reduce_by_key_impl_wrapped_configILNS1_25lookback_scan_determinismE0ES3_S9_PiNS6_17constant_iteratorIiNS6_11use_defaultESE_EENS6_10device_ptrIiEENSG_IlEEPmS8_NS6_8equal_toIiEEEE10hipError_tPvRmT2_T3_mT4_T5_T6_T7_T8_P12ihipStream_tbENKUlT_T0_E_clISt17integral_constantIbLb0EES12_IbLb1EEEEDaSY_SZ_EUlSY_E_NS1_11comp_targetILNS1_3genE0ELNS1_11target_archE4294967295ELNS1_3gpuE0ELNS1_3repE0EEENS1_30default_config_static_selectorELNS0_4arch9wavefront6targetE1EEEvT1_
	.globl	_ZN7rocprim17ROCPRIM_400000_NS6detail17trampoline_kernelINS0_14default_configENS1_29reduce_by_key_config_selectorIilN6thrust23THRUST_200600_302600_NS4plusIlEEEEZZNS1_33reduce_by_key_impl_wrapped_configILNS1_25lookback_scan_determinismE0ES3_S9_PiNS6_17constant_iteratorIiNS6_11use_defaultESE_EENS6_10device_ptrIiEENSG_IlEEPmS8_NS6_8equal_toIiEEEE10hipError_tPvRmT2_T3_mT4_T5_T6_T7_T8_P12ihipStream_tbENKUlT_T0_E_clISt17integral_constantIbLb0EES12_IbLb1EEEEDaSY_SZ_EUlSY_E_NS1_11comp_targetILNS1_3genE0ELNS1_11target_archE4294967295ELNS1_3gpuE0ELNS1_3repE0EEENS1_30default_config_static_selectorELNS0_4arch9wavefront6targetE1EEEvT1_
	.p2align	8
	.type	_ZN7rocprim17ROCPRIM_400000_NS6detail17trampoline_kernelINS0_14default_configENS1_29reduce_by_key_config_selectorIilN6thrust23THRUST_200600_302600_NS4plusIlEEEEZZNS1_33reduce_by_key_impl_wrapped_configILNS1_25lookback_scan_determinismE0ES3_S9_PiNS6_17constant_iteratorIiNS6_11use_defaultESE_EENS6_10device_ptrIiEENSG_IlEEPmS8_NS6_8equal_toIiEEEE10hipError_tPvRmT2_T3_mT4_T5_T6_T7_T8_P12ihipStream_tbENKUlT_T0_E_clISt17integral_constantIbLb0EES12_IbLb1EEEEDaSY_SZ_EUlSY_E_NS1_11comp_targetILNS1_3genE0ELNS1_11target_archE4294967295ELNS1_3gpuE0ELNS1_3repE0EEENS1_30default_config_static_selectorELNS0_4arch9wavefront6targetE1EEEvT1_,@function
_ZN7rocprim17ROCPRIM_400000_NS6detail17trampoline_kernelINS0_14default_configENS1_29reduce_by_key_config_selectorIilN6thrust23THRUST_200600_302600_NS4plusIlEEEEZZNS1_33reduce_by_key_impl_wrapped_configILNS1_25lookback_scan_determinismE0ES3_S9_PiNS6_17constant_iteratorIiNS6_11use_defaultESE_EENS6_10device_ptrIiEENSG_IlEEPmS8_NS6_8equal_toIiEEEE10hipError_tPvRmT2_T3_mT4_T5_T6_T7_T8_P12ihipStream_tbENKUlT_T0_E_clISt17integral_constantIbLb0EES12_IbLb1EEEEDaSY_SZ_EUlSY_E_NS1_11comp_targetILNS1_3genE0ELNS1_11target_archE4294967295ELNS1_3gpuE0ELNS1_3repE0EEENS1_30default_config_static_selectorELNS0_4arch9wavefront6targetE1EEEvT1_: ; @_ZN7rocprim17ROCPRIM_400000_NS6detail17trampoline_kernelINS0_14default_configENS1_29reduce_by_key_config_selectorIilN6thrust23THRUST_200600_302600_NS4plusIlEEEEZZNS1_33reduce_by_key_impl_wrapped_configILNS1_25lookback_scan_determinismE0ES3_S9_PiNS6_17constant_iteratorIiNS6_11use_defaultESE_EENS6_10device_ptrIiEENSG_IlEEPmS8_NS6_8equal_toIiEEEE10hipError_tPvRmT2_T3_mT4_T5_T6_T7_T8_P12ihipStream_tbENKUlT_T0_E_clISt17integral_constantIbLb0EES12_IbLb1EEEEDaSY_SZ_EUlSY_E_NS1_11comp_targetILNS1_3genE0ELNS1_11target_archE4294967295ELNS1_3gpuE0ELNS1_3repE0EEENS1_30default_config_static_selectorELNS0_4arch9wavefront6targetE1EEEvT1_
; %bb.0:
	.section	.rodata,"a",@progbits
	.p2align	6, 0x0
	.amdhsa_kernel _ZN7rocprim17ROCPRIM_400000_NS6detail17trampoline_kernelINS0_14default_configENS1_29reduce_by_key_config_selectorIilN6thrust23THRUST_200600_302600_NS4plusIlEEEEZZNS1_33reduce_by_key_impl_wrapped_configILNS1_25lookback_scan_determinismE0ES3_S9_PiNS6_17constant_iteratorIiNS6_11use_defaultESE_EENS6_10device_ptrIiEENSG_IlEEPmS8_NS6_8equal_toIiEEEE10hipError_tPvRmT2_T3_mT4_T5_T6_T7_T8_P12ihipStream_tbENKUlT_T0_E_clISt17integral_constantIbLb0EES12_IbLb1EEEEDaSY_SZ_EUlSY_E_NS1_11comp_targetILNS1_3genE0ELNS1_11target_archE4294967295ELNS1_3gpuE0ELNS1_3repE0EEENS1_30default_config_static_selectorELNS0_4arch9wavefront6targetE1EEEvT1_
		.amdhsa_group_segment_fixed_size 0
		.amdhsa_private_segment_fixed_size 0
		.amdhsa_kernarg_size 144
		.amdhsa_user_sgpr_count 6
		.amdhsa_user_sgpr_private_segment_buffer 1
		.amdhsa_user_sgpr_dispatch_ptr 0
		.amdhsa_user_sgpr_queue_ptr 0
		.amdhsa_user_sgpr_kernarg_segment_ptr 1
		.amdhsa_user_sgpr_dispatch_id 0
		.amdhsa_user_sgpr_flat_scratch_init 0
		.amdhsa_user_sgpr_private_segment_size 0
		.amdhsa_uses_dynamic_stack 0
		.amdhsa_system_sgpr_private_segment_wavefront_offset 0
		.amdhsa_system_sgpr_workgroup_id_x 1
		.amdhsa_system_sgpr_workgroup_id_y 0
		.amdhsa_system_sgpr_workgroup_id_z 0
		.amdhsa_system_sgpr_workgroup_info 0
		.amdhsa_system_vgpr_workitem_id 0
		.amdhsa_next_free_vgpr 1
		.amdhsa_next_free_sgpr 0
		.amdhsa_reserve_vcc 0
		.amdhsa_reserve_flat_scratch 0
		.amdhsa_float_round_mode_32 0
		.amdhsa_float_round_mode_16_64 0
		.amdhsa_float_denorm_mode_32 3
		.amdhsa_float_denorm_mode_16_64 3
		.amdhsa_dx10_clamp 1
		.amdhsa_ieee_mode 1
		.amdhsa_fp16_overflow 0
		.amdhsa_exception_fp_ieee_invalid_op 0
		.amdhsa_exception_fp_denorm_src 0
		.amdhsa_exception_fp_ieee_div_zero 0
		.amdhsa_exception_fp_ieee_overflow 0
		.amdhsa_exception_fp_ieee_underflow 0
		.amdhsa_exception_fp_ieee_inexact 0
		.amdhsa_exception_int_div_zero 0
	.end_amdhsa_kernel
	.section	.text._ZN7rocprim17ROCPRIM_400000_NS6detail17trampoline_kernelINS0_14default_configENS1_29reduce_by_key_config_selectorIilN6thrust23THRUST_200600_302600_NS4plusIlEEEEZZNS1_33reduce_by_key_impl_wrapped_configILNS1_25lookback_scan_determinismE0ES3_S9_PiNS6_17constant_iteratorIiNS6_11use_defaultESE_EENS6_10device_ptrIiEENSG_IlEEPmS8_NS6_8equal_toIiEEEE10hipError_tPvRmT2_T3_mT4_T5_T6_T7_T8_P12ihipStream_tbENKUlT_T0_E_clISt17integral_constantIbLb0EES12_IbLb1EEEEDaSY_SZ_EUlSY_E_NS1_11comp_targetILNS1_3genE0ELNS1_11target_archE4294967295ELNS1_3gpuE0ELNS1_3repE0EEENS1_30default_config_static_selectorELNS0_4arch9wavefront6targetE1EEEvT1_,"axG",@progbits,_ZN7rocprim17ROCPRIM_400000_NS6detail17trampoline_kernelINS0_14default_configENS1_29reduce_by_key_config_selectorIilN6thrust23THRUST_200600_302600_NS4plusIlEEEEZZNS1_33reduce_by_key_impl_wrapped_configILNS1_25lookback_scan_determinismE0ES3_S9_PiNS6_17constant_iteratorIiNS6_11use_defaultESE_EENS6_10device_ptrIiEENSG_IlEEPmS8_NS6_8equal_toIiEEEE10hipError_tPvRmT2_T3_mT4_T5_T6_T7_T8_P12ihipStream_tbENKUlT_T0_E_clISt17integral_constantIbLb0EES12_IbLb1EEEEDaSY_SZ_EUlSY_E_NS1_11comp_targetILNS1_3genE0ELNS1_11target_archE4294967295ELNS1_3gpuE0ELNS1_3repE0EEENS1_30default_config_static_selectorELNS0_4arch9wavefront6targetE1EEEvT1_,comdat
.Lfunc_end965:
	.size	_ZN7rocprim17ROCPRIM_400000_NS6detail17trampoline_kernelINS0_14default_configENS1_29reduce_by_key_config_selectorIilN6thrust23THRUST_200600_302600_NS4plusIlEEEEZZNS1_33reduce_by_key_impl_wrapped_configILNS1_25lookback_scan_determinismE0ES3_S9_PiNS6_17constant_iteratorIiNS6_11use_defaultESE_EENS6_10device_ptrIiEENSG_IlEEPmS8_NS6_8equal_toIiEEEE10hipError_tPvRmT2_T3_mT4_T5_T6_T7_T8_P12ihipStream_tbENKUlT_T0_E_clISt17integral_constantIbLb0EES12_IbLb1EEEEDaSY_SZ_EUlSY_E_NS1_11comp_targetILNS1_3genE0ELNS1_11target_archE4294967295ELNS1_3gpuE0ELNS1_3repE0EEENS1_30default_config_static_selectorELNS0_4arch9wavefront6targetE1EEEvT1_, .Lfunc_end965-_ZN7rocprim17ROCPRIM_400000_NS6detail17trampoline_kernelINS0_14default_configENS1_29reduce_by_key_config_selectorIilN6thrust23THRUST_200600_302600_NS4plusIlEEEEZZNS1_33reduce_by_key_impl_wrapped_configILNS1_25lookback_scan_determinismE0ES3_S9_PiNS6_17constant_iteratorIiNS6_11use_defaultESE_EENS6_10device_ptrIiEENSG_IlEEPmS8_NS6_8equal_toIiEEEE10hipError_tPvRmT2_T3_mT4_T5_T6_T7_T8_P12ihipStream_tbENKUlT_T0_E_clISt17integral_constantIbLb0EES12_IbLb1EEEEDaSY_SZ_EUlSY_E_NS1_11comp_targetILNS1_3genE0ELNS1_11target_archE4294967295ELNS1_3gpuE0ELNS1_3repE0EEENS1_30default_config_static_selectorELNS0_4arch9wavefront6targetE1EEEvT1_
                                        ; -- End function
	.set _ZN7rocprim17ROCPRIM_400000_NS6detail17trampoline_kernelINS0_14default_configENS1_29reduce_by_key_config_selectorIilN6thrust23THRUST_200600_302600_NS4plusIlEEEEZZNS1_33reduce_by_key_impl_wrapped_configILNS1_25lookback_scan_determinismE0ES3_S9_PiNS6_17constant_iteratorIiNS6_11use_defaultESE_EENS6_10device_ptrIiEENSG_IlEEPmS8_NS6_8equal_toIiEEEE10hipError_tPvRmT2_T3_mT4_T5_T6_T7_T8_P12ihipStream_tbENKUlT_T0_E_clISt17integral_constantIbLb0EES12_IbLb1EEEEDaSY_SZ_EUlSY_E_NS1_11comp_targetILNS1_3genE0ELNS1_11target_archE4294967295ELNS1_3gpuE0ELNS1_3repE0EEENS1_30default_config_static_selectorELNS0_4arch9wavefront6targetE1EEEvT1_.num_vgpr, 0
	.set _ZN7rocprim17ROCPRIM_400000_NS6detail17trampoline_kernelINS0_14default_configENS1_29reduce_by_key_config_selectorIilN6thrust23THRUST_200600_302600_NS4plusIlEEEEZZNS1_33reduce_by_key_impl_wrapped_configILNS1_25lookback_scan_determinismE0ES3_S9_PiNS6_17constant_iteratorIiNS6_11use_defaultESE_EENS6_10device_ptrIiEENSG_IlEEPmS8_NS6_8equal_toIiEEEE10hipError_tPvRmT2_T3_mT4_T5_T6_T7_T8_P12ihipStream_tbENKUlT_T0_E_clISt17integral_constantIbLb0EES12_IbLb1EEEEDaSY_SZ_EUlSY_E_NS1_11comp_targetILNS1_3genE0ELNS1_11target_archE4294967295ELNS1_3gpuE0ELNS1_3repE0EEENS1_30default_config_static_selectorELNS0_4arch9wavefront6targetE1EEEvT1_.num_agpr, 0
	.set _ZN7rocprim17ROCPRIM_400000_NS6detail17trampoline_kernelINS0_14default_configENS1_29reduce_by_key_config_selectorIilN6thrust23THRUST_200600_302600_NS4plusIlEEEEZZNS1_33reduce_by_key_impl_wrapped_configILNS1_25lookback_scan_determinismE0ES3_S9_PiNS6_17constant_iteratorIiNS6_11use_defaultESE_EENS6_10device_ptrIiEENSG_IlEEPmS8_NS6_8equal_toIiEEEE10hipError_tPvRmT2_T3_mT4_T5_T6_T7_T8_P12ihipStream_tbENKUlT_T0_E_clISt17integral_constantIbLb0EES12_IbLb1EEEEDaSY_SZ_EUlSY_E_NS1_11comp_targetILNS1_3genE0ELNS1_11target_archE4294967295ELNS1_3gpuE0ELNS1_3repE0EEENS1_30default_config_static_selectorELNS0_4arch9wavefront6targetE1EEEvT1_.numbered_sgpr, 0
	.set _ZN7rocprim17ROCPRIM_400000_NS6detail17trampoline_kernelINS0_14default_configENS1_29reduce_by_key_config_selectorIilN6thrust23THRUST_200600_302600_NS4plusIlEEEEZZNS1_33reduce_by_key_impl_wrapped_configILNS1_25lookback_scan_determinismE0ES3_S9_PiNS6_17constant_iteratorIiNS6_11use_defaultESE_EENS6_10device_ptrIiEENSG_IlEEPmS8_NS6_8equal_toIiEEEE10hipError_tPvRmT2_T3_mT4_T5_T6_T7_T8_P12ihipStream_tbENKUlT_T0_E_clISt17integral_constantIbLb0EES12_IbLb1EEEEDaSY_SZ_EUlSY_E_NS1_11comp_targetILNS1_3genE0ELNS1_11target_archE4294967295ELNS1_3gpuE0ELNS1_3repE0EEENS1_30default_config_static_selectorELNS0_4arch9wavefront6targetE1EEEvT1_.num_named_barrier, 0
	.set _ZN7rocprim17ROCPRIM_400000_NS6detail17trampoline_kernelINS0_14default_configENS1_29reduce_by_key_config_selectorIilN6thrust23THRUST_200600_302600_NS4plusIlEEEEZZNS1_33reduce_by_key_impl_wrapped_configILNS1_25lookback_scan_determinismE0ES3_S9_PiNS6_17constant_iteratorIiNS6_11use_defaultESE_EENS6_10device_ptrIiEENSG_IlEEPmS8_NS6_8equal_toIiEEEE10hipError_tPvRmT2_T3_mT4_T5_T6_T7_T8_P12ihipStream_tbENKUlT_T0_E_clISt17integral_constantIbLb0EES12_IbLb1EEEEDaSY_SZ_EUlSY_E_NS1_11comp_targetILNS1_3genE0ELNS1_11target_archE4294967295ELNS1_3gpuE0ELNS1_3repE0EEENS1_30default_config_static_selectorELNS0_4arch9wavefront6targetE1EEEvT1_.private_seg_size, 0
	.set _ZN7rocprim17ROCPRIM_400000_NS6detail17trampoline_kernelINS0_14default_configENS1_29reduce_by_key_config_selectorIilN6thrust23THRUST_200600_302600_NS4plusIlEEEEZZNS1_33reduce_by_key_impl_wrapped_configILNS1_25lookback_scan_determinismE0ES3_S9_PiNS6_17constant_iteratorIiNS6_11use_defaultESE_EENS6_10device_ptrIiEENSG_IlEEPmS8_NS6_8equal_toIiEEEE10hipError_tPvRmT2_T3_mT4_T5_T6_T7_T8_P12ihipStream_tbENKUlT_T0_E_clISt17integral_constantIbLb0EES12_IbLb1EEEEDaSY_SZ_EUlSY_E_NS1_11comp_targetILNS1_3genE0ELNS1_11target_archE4294967295ELNS1_3gpuE0ELNS1_3repE0EEENS1_30default_config_static_selectorELNS0_4arch9wavefront6targetE1EEEvT1_.uses_vcc, 0
	.set _ZN7rocprim17ROCPRIM_400000_NS6detail17trampoline_kernelINS0_14default_configENS1_29reduce_by_key_config_selectorIilN6thrust23THRUST_200600_302600_NS4plusIlEEEEZZNS1_33reduce_by_key_impl_wrapped_configILNS1_25lookback_scan_determinismE0ES3_S9_PiNS6_17constant_iteratorIiNS6_11use_defaultESE_EENS6_10device_ptrIiEENSG_IlEEPmS8_NS6_8equal_toIiEEEE10hipError_tPvRmT2_T3_mT4_T5_T6_T7_T8_P12ihipStream_tbENKUlT_T0_E_clISt17integral_constantIbLb0EES12_IbLb1EEEEDaSY_SZ_EUlSY_E_NS1_11comp_targetILNS1_3genE0ELNS1_11target_archE4294967295ELNS1_3gpuE0ELNS1_3repE0EEENS1_30default_config_static_selectorELNS0_4arch9wavefront6targetE1EEEvT1_.uses_flat_scratch, 0
	.set _ZN7rocprim17ROCPRIM_400000_NS6detail17trampoline_kernelINS0_14default_configENS1_29reduce_by_key_config_selectorIilN6thrust23THRUST_200600_302600_NS4plusIlEEEEZZNS1_33reduce_by_key_impl_wrapped_configILNS1_25lookback_scan_determinismE0ES3_S9_PiNS6_17constant_iteratorIiNS6_11use_defaultESE_EENS6_10device_ptrIiEENSG_IlEEPmS8_NS6_8equal_toIiEEEE10hipError_tPvRmT2_T3_mT4_T5_T6_T7_T8_P12ihipStream_tbENKUlT_T0_E_clISt17integral_constantIbLb0EES12_IbLb1EEEEDaSY_SZ_EUlSY_E_NS1_11comp_targetILNS1_3genE0ELNS1_11target_archE4294967295ELNS1_3gpuE0ELNS1_3repE0EEENS1_30default_config_static_selectorELNS0_4arch9wavefront6targetE1EEEvT1_.has_dyn_sized_stack, 0
	.set _ZN7rocprim17ROCPRIM_400000_NS6detail17trampoline_kernelINS0_14default_configENS1_29reduce_by_key_config_selectorIilN6thrust23THRUST_200600_302600_NS4plusIlEEEEZZNS1_33reduce_by_key_impl_wrapped_configILNS1_25lookback_scan_determinismE0ES3_S9_PiNS6_17constant_iteratorIiNS6_11use_defaultESE_EENS6_10device_ptrIiEENSG_IlEEPmS8_NS6_8equal_toIiEEEE10hipError_tPvRmT2_T3_mT4_T5_T6_T7_T8_P12ihipStream_tbENKUlT_T0_E_clISt17integral_constantIbLb0EES12_IbLb1EEEEDaSY_SZ_EUlSY_E_NS1_11comp_targetILNS1_3genE0ELNS1_11target_archE4294967295ELNS1_3gpuE0ELNS1_3repE0EEENS1_30default_config_static_selectorELNS0_4arch9wavefront6targetE1EEEvT1_.has_recursion, 0
	.set _ZN7rocprim17ROCPRIM_400000_NS6detail17trampoline_kernelINS0_14default_configENS1_29reduce_by_key_config_selectorIilN6thrust23THRUST_200600_302600_NS4plusIlEEEEZZNS1_33reduce_by_key_impl_wrapped_configILNS1_25lookback_scan_determinismE0ES3_S9_PiNS6_17constant_iteratorIiNS6_11use_defaultESE_EENS6_10device_ptrIiEENSG_IlEEPmS8_NS6_8equal_toIiEEEE10hipError_tPvRmT2_T3_mT4_T5_T6_T7_T8_P12ihipStream_tbENKUlT_T0_E_clISt17integral_constantIbLb0EES12_IbLb1EEEEDaSY_SZ_EUlSY_E_NS1_11comp_targetILNS1_3genE0ELNS1_11target_archE4294967295ELNS1_3gpuE0ELNS1_3repE0EEENS1_30default_config_static_selectorELNS0_4arch9wavefront6targetE1EEEvT1_.has_indirect_call, 0
	.section	.AMDGPU.csdata,"",@progbits
; Kernel info:
; codeLenInByte = 0
; TotalNumSgprs: 4
; NumVgprs: 0
; ScratchSize: 0
; MemoryBound: 0
; FloatMode: 240
; IeeeMode: 1
; LDSByteSize: 0 bytes/workgroup (compile time only)
; SGPRBlocks: 0
; VGPRBlocks: 0
; NumSGPRsForWavesPerEU: 4
; NumVGPRsForWavesPerEU: 1
; Occupancy: 10
; WaveLimiterHint : 0
; COMPUTE_PGM_RSRC2:SCRATCH_EN: 0
; COMPUTE_PGM_RSRC2:USER_SGPR: 6
; COMPUTE_PGM_RSRC2:TRAP_HANDLER: 0
; COMPUTE_PGM_RSRC2:TGID_X_EN: 1
; COMPUTE_PGM_RSRC2:TGID_Y_EN: 0
; COMPUTE_PGM_RSRC2:TGID_Z_EN: 0
; COMPUTE_PGM_RSRC2:TIDIG_COMP_CNT: 0
	.section	.text._ZN7rocprim17ROCPRIM_400000_NS6detail17trampoline_kernelINS0_14default_configENS1_29reduce_by_key_config_selectorIilN6thrust23THRUST_200600_302600_NS4plusIlEEEEZZNS1_33reduce_by_key_impl_wrapped_configILNS1_25lookback_scan_determinismE0ES3_S9_PiNS6_17constant_iteratorIiNS6_11use_defaultESE_EENS6_10device_ptrIiEENSG_IlEEPmS8_NS6_8equal_toIiEEEE10hipError_tPvRmT2_T3_mT4_T5_T6_T7_T8_P12ihipStream_tbENKUlT_T0_E_clISt17integral_constantIbLb0EES12_IbLb1EEEEDaSY_SZ_EUlSY_E_NS1_11comp_targetILNS1_3genE5ELNS1_11target_archE942ELNS1_3gpuE9ELNS1_3repE0EEENS1_30default_config_static_selectorELNS0_4arch9wavefront6targetE1EEEvT1_,"axG",@progbits,_ZN7rocprim17ROCPRIM_400000_NS6detail17trampoline_kernelINS0_14default_configENS1_29reduce_by_key_config_selectorIilN6thrust23THRUST_200600_302600_NS4plusIlEEEEZZNS1_33reduce_by_key_impl_wrapped_configILNS1_25lookback_scan_determinismE0ES3_S9_PiNS6_17constant_iteratorIiNS6_11use_defaultESE_EENS6_10device_ptrIiEENSG_IlEEPmS8_NS6_8equal_toIiEEEE10hipError_tPvRmT2_T3_mT4_T5_T6_T7_T8_P12ihipStream_tbENKUlT_T0_E_clISt17integral_constantIbLb0EES12_IbLb1EEEEDaSY_SZ_EUlSY_E_NS1_11comp_targetILNS1_3genE5ELNS1_11target_archE942ELNS1_3gpuE9ELNS1_3repE0EEENS1_30default_config_static_selectorELNS0_4arch9wavefront6targetE1EEEvT1_,comdat
	.protected	_ZN7rocprim17ROCPRIM_400000_NS6detail17trampoline_kernelINS0_14default_configENS1_29reduce_by_key_config_selectorIilN6thrust23THRUST_200600_302600_NS4plusIlEEEEZZNS1_33reduce_by_key_impl_wrapped_configILNS1_25lookback_scan_determinismE0ES3_S9_PiNS6_17constant_iteratorIiNS6_11use_defaultESE_EENS6_10device_ptrIiEENSG_IlEEPmS8_NS6_8equal_toIiEEEE10hipError_tPvRmT2_T3_mT4_T5_T6_T7_T8_P12ihipStream_tbENKUlT_T0_E_clISt17integral_constantIbLb0EES12_IbLb1EEEEDaSY_SZ_EUlSY_E_NS1_11comp_targetILNS1_3genE5ELNS1_11target_archE942ELNS1_3gpuE9ELNS1_3repE0EEENS1_30default_config_static_selectorELNS0_4arch9wavefront6targetE1EEEvT1_ ; -- Begin function _ZN7rocprim17ROCPRIM_400000_NS6detail17trampoline_kernelINS0_14default_configENS1_29reduce_by_key_config_selectorIilN6thrust23THRUST_200600_302600_NS4plusIlEEEEZZNS1_33reduce_by_key_impl_wrapped_configILNS1_25lookback_scan_determinismE0ES3_S9_PiNS6_17constant_iteratorIiNS6_11use_defaultESE_EENS6_10device_ptrIiEENSG_IlEEPmS8_NS6_8equal_toIiEEEE10hipError_tPvRmT2_T3_mT4_T5_T6_T7_T8_P12ihipStream_tbENKUlT_T0_E_clISt17integral_constantIbLb0EES12_IbLb1EEEEDaSY_SZ_EUlSY_E_NS1_11comp_targetILNS1_3genE5ELNS1_11target_archE942ELNS1_3gpuE9ELNS1_3repE0EEENS1_30default_config_static_selectorELNS0_4arch9wavefront6targetE1EEEvT1_
	.globl	_ZN7rocprim17ROCPRIM_400000_NS6detail17trampoline_kernelINS0_14default_configENS1_29reduce_by_key_config_selectorIilN6thrust23THRUST_200600_302600_NS4plusIlEEEEZZNS1_33reduce_by_key_impl_wrapped_configILNS1_25lookback_scan_determinismE0ES3_S9_PiNS6_17constant_iteratorIiNS6_11use_defaultESE_EENS6_10device_ptrIiEENSG_IlEEPmS8_NS6_8equal_toIiEEEE10hipError_tPvRmT2_T3_mT4_T5_T6_T7_T8_P12ihipStream_tbENKUlT_T0_E_clISt17integral_constantIbLb0EES12_IbLb1EEEEDaSY_SZ_EUlSY_E_NS1_11comp_targetILNS1_3genE5ELNS1_11target_archE942ELNS1_3gpuE9ELNS1_3repE0EEENS1_30default_config_static_selectorELNS0_4arch9wavefront6targetE1EEEvT1_
	.p2align	8
	.type	_ZN7rocprim17ROCPRIM_400000_NS6detail17trampoline_kernelINS0_14default_configENS1_29reduce_by_key_config_selectorIilN6thrust23THRUST_200600_302600_NS4plusIlEEEEZZNS1_33reduce_by_key_impl_wrapped_configILNS1_25lookback_scan_determinismE0ES3_S9_PiNS6_17constant_iteratorIiNS6_11use_defaultESE_EENS6_10device_ptrIiEENSG_IlEEPmS8_NS6_8equal_toIiEEEE10hipError_tPvRmT2_T3_mT4_T5_T6_T7_T8_P12ihipStream_tbENKUlT_T0_E_clISt17integral_constantIbLb0EES12_IbLb1EEEEDaSY_SZ_EUlSY_E_NS1_11comp_targetILNS1_3genE5ELNS1_11target_archE942ELNS1_3gpuE9ELNS1_3repE0EEENS1_30default_config_static_selectorELNS0_4arch9wavefront6targetE1EEEvT1_,@function
_ZN7rocprim17ROCPRIM_400000_NS6detail17trampoline_kernelINS0_14default_configENS1_29reduce_by_key_config_selectorIilN6thrust23THRUST_200600_302600_NS4plusIlEEEEZZNS1_33reduce_by_key_impl_wrapped_configILNS1_25lookback_scan_determinismE0ES3_S9_PiNS6_17constant_iteratorIiNS6_11use_defaultESE_EENS6_10device_ptrIiEENSG_IlEEPmS8_NS6_8equal_toIiEEEE10hipError_tPvRmT2_T3_mT4_T5_T6_T7_T8_P12ihipStream_tbENKUlT_T0_E_clISt17integral_constantIbLb0EES12_IbLb1EEEEDaSY_SZ_EUlSY_E_NS1_11comp_targetILNS1_3genE5ELNS1_11target_archE942ELNS1_3gpuE9ELNS1_3repE0EEENS1_30default_config_static_selectorELNS0_4arch9wavefront6targetE1EEEvT1_: ; @_ZN7rocprim17ROCPRIM_400000_NS6detail17trampoline_kernelINS0_14default_configENS1_29reduce_by_key_config_selectorIilN6thrust23THRUST_200600_302600_NS4plusIlEEEEZZNS1_33reduce_by_key_impl_wrapped_configILNS1_25lookback_scan_determinismE0ES3_S9_PiNS6_17constant_iteratorIiNS6_11use_defaultESE_EENS6_10device_ptrIiEENSG_IlEEPmS8_NS6_8equal_toIiEEEE10hipError_tPvRmT2_T3_mT4_T5_T6_T7_T8_P12ihipStream_tbENKUlT_T0_E_clISt17integral_constantIbLb0EES12_IbLb1EEEEDaSY_SZ_EUlSY_E_NS1_11comp_targetILNS1_3genE5ELNS1_11target_archE942ELNS1_3gpuE9ELNS1_3repE0EEENS1_30default_config_static_selectorELNS0_4arch9wavefront6targetE1EEEvT1_
; %bb.0:
	.section	.rodata,"a",@progbits
	.p2align	6, 0x0
	.amdhsa_kernel _ZN7rocprim17ROCPRIM_400000_NS6detail17trampoline_kernelINS0_14default_configENS1_29reduce_by_key_config_selectorIilN6thrust23THRUST_200600_302600_NS4plusIlEEEEZZNS1_33reduce_by_key_impl_wrapped_configILNS1_25lookback_scan_determinismE0ES3_S9_PiNS6_17constant_iteratorIiNS6_11use_defaultESE_EENS6_10device_ptrIiEENSG_IlEEPmS8_NS6_8equal_toIiEEEE10hipError_tPvRmT2_T3_mT4_T5_T6_T7_T8_P12ihipStream_tbENKUlT_T0_E_clISt17integral_constantIbLb0EES12_IbLb1EEEEDaSY_SZ_EUlSY_E_NS1_11comp_targetILNS1_3genE5ELNS1_11target_archE942ELNS1_3gpuE9ELNS1_3repE0EEENS1_30default_config_static_selectorELNS0_4arch9wavefront6targetE1EEEvT1_
		.amdhsa_group_segment_fixed_size 0
		.amdhsa_private_segment_fixed_size 0
		.amdhsa_kernarg_size 144
		.amdhsa_user_sgpr_count 6
		.amdhsa_user_sgpr_private_segment_buffer 1
		.amdhsa_user_sgpr_dispatch_ptr 0
		.amdhsa_user_sgpr_queue_ptr 0
		.amdhsa_user_sgpr_kernarg_segment_ptr 1
		.amdhsa_user_sgpr_dispatch_id 0
		.amdhsa_user_sgpr_flat_scratch_init 0
		.amdhsa_user_sgpr_private_segment_size 0
		.amdhsa_uses_dynamic_stack 0
		.amdhsa_system_sgpr_private_segment_wavefront_offset 0
		.amdhsa_system_sgpr_workgroup_id_x 1
		.amdhsa_system_sgpr_workgroup_id_y 0
		.amdhsa_system_sgpr_workgroup_id_z 0
		.amdhsa_system_sgpr_workgroup_info 0
		.amdhsa_system_vgpr_workitem_id 0
		.amdhsa_next_free_vgpr 1
		.amdhsa_next_free_sgpr 0
		.amdhsa_reserve_vcc 0
		.amdhsa_reserve_flat_scratch 0
		.amdhsa_float_round_mode_32 0
		.amdhsa_float_round_mode_16_64 0
		.amdhsa_float_denorm_mode_32 3
		.amdhsa_float_denorm_mode_16_64 3
		.amdhsa_dx10_clamp 1
		.amdhsa_ieee_mode 1
		.amdhsa_fp16_overflow 0
		.amdhsa_exception_fp_ieee_invalid_op 0
		.amdhsa_exception_fp_denorm_src 0
		.amdhsa_exception_fp_ieee_div_zero 0
		.amdhsa_exception_fp_ieee_overflow 0
		.amdhsa_exception_fp_ieee_underflow 0
		.amdhsa_exception_fp_ieee_inexact 0
		.amdhsa_exception_int_div_zero 0
	.end_amdhsa_kernel
	.section	.text._ZN7rocprim17ROCPRIM_400000_NS6detail17trampoline_kernelINS0_14default_configENS1_29reduce_by_key_config_selectorIilN6thrust23THRUST_200600_302600_NS4plusIlEEEEZZNS1_33reduce_by_key_impl_wrapped_configILNS1_25lookback_scan_determinismE0ES3_S9_PiNS6_17constant_iteratorIiNS6_11use_defaultESE_EENS6_10device_ptrIiEENSG_IlEEPmS8_NS6_8equal_toIiEEEE10hipError_tPvRmT2_T3_mT4_T5_T6_T7_T8_P12ihipStream_tbENKUlT_T0_E_clISt17integral_constantIbLb0EES12_IbLb1EEEEDaSY_SZ_EUlSY_E_NS1_11comp_targetILNS1_3genE5ELNS1_11target_archE942ELNS1_3gpuE9ELNS1_3repE0EEENS1_30default_config_static_selectorELNS0_4arch9wavefront6targetE1EEEvT1_,"axG",@progbits,_ZN7rocprim17ROCPRIM_400000_NS6detail17trampoline_kernelINS0_14default_configENS1_29reduce_by_key_config_selectorIilN6thrust23THRUST_200600_302600_NS4plusIlEEEEZZNS1_33reduce_by_key_impl_wrapped_configILNS1_25lookback_scan_determinismE0ES3_S9_PiNS6_17constant_iteratorIiNS6_11use_defaultESE_EENS6_10device_ptrIiEENSG_IlEEPmS8_NS6_8equal_toIiEEEE10hipError_tPvRmT2_T3_mT4_T5_T6_T7_T8_P12ihipStream_tbENKUlT_T0_E_clISt17integral_constantIbLb0EES12_IbLb1EEEEDaSY_SZ_EUlSY_E_NS1_11comp_targetILNS1_3genE5ELNS1_11target_archE942ELNS1_3gpuE9ELNS1_3repE0EEENS1_30default_config_static_selectorELNS0_4arch9wavefront6targetE1EEEvT1_,comdat
.Lfunc_end966:
	.size	_ZN7rocprim17ROCPRIM_400000_NS6detail17trampoline_kernelINS0_14default_configENS1_29reduce_by_key_config_selectorIilN6thrust23THRUST_200600_302600_NS4plusIlEEEEZZNS1_33reduce_by_key_impl_wrapped_configILNS1_25lookback_scan_determinismE0ES3_S9_PiNS6_17constant_iteratorIiNS6_11use_defaultESE_EENS6_10device_ptrIiEENSG_IlEEPmS8_NS6_8equal_toIiEEEE10hipError_tPvRmT2_T3_mT4_T5_T6_T7_T8_P12ihipStream_tbENKUlT_T0_E_clISt17integral_constantIbLb0EES12_IbLb1EEEEDaSY_SZ_EUlSY_E_NS1_11comp_targetILNS1_3genE5ELNS1_11target_archE942ELNS1_3gpuE9ELNS1_3repE0EEENS1_30default_config_static_selectorELNS0_4arch9wavefront6targetE1EEEvT1_, .Lfunc_end966-_ZN7rocprim17ROCPRIM_400000_NS6detail17trampoline_kernelINS0_14default_configENS1_29reduce_by_key_config_selectorIilN6thrust23THRUST_200600_302600_NS4plusIlEEEEZZNS1_33reduce_by_key_impl_wrapped_configILNS1_25lookback_scan_determinismE0ES3_S9_PiNS6_17constant_iteratorIiNS6_11use_defaultESE_EENS6_10device_ptrIiEENSG_IlEEPmS8_NS6_8equal_toIiEEEE10hipError_tPvRmT2_T3_mT4_T5_T6_T7_T8_P12ihipStream_tbENKUlT_T0_E_clISt17integral_constantIbLb0EES12_IbLb1EEEEDaSY_SZ_EUlSY_E_NS1_11comp_targetILNS1_3genE5ELNS1_11target_archE942ELNS1_3gpuE9ELNS1_3repE0EEENS1_30default_config_static_selectorELNS0_4arch9wavefront6targetE1EEEvT1_
                                        ; -- End function
	.set _ZN7rocprim17ROCPRIM_400000_NS6detail17trampoline_kernelINS0_14default_configENS1_29reduce_by_key_config_selectorIilN6thrust23THRUST_200600_302600_NS4plusIlEEEEZZNS1_33reduce_by_key_impl_wrapped_configILNS1_25lookback_scan_determinismE0ES3_S9_PiNS6_17constant_iteratorIiNS6_11use_defaultESE_EENS6_10device_ptrIiEENSG_IlEEPmS8_NS6_8equal_toIiEEEE10hipError_tPvRmT2_T3_mT4_T5_T6_T7_T8_P12ihipStream_tbENKUlT_T0_E_clISt17integral_constantIbLb0EES12_IbLb1EEEEDaSY_SZ_EUlSY_E_NS1_11comp_targetILNS1_3genE5ELNS1_11target_archE942ELNS1_3gpuE9ELNS1_3repE0EEENS1_30default_config_static_selectorELNS0_4arch9wavefront6targetE1EEEvT1_.num_vgpr, 0
	.set _ZN7rocprim17ROCPRIM_400000_NS6detail17trampoline_kernelINS0_14default_configENS1_29reduce_by_key_config_selectorIilN6thrust23THRUST_200600_302600_NS4plusIlEEEEZZNS1_33reduce_by_key_impl_wrapped_configILNS1_25lookback_scan_determinismE0ES3_S9_PiNS6_17constant_iteratorIiNS6_11use_defaultESE_EENS6_10device_ptrIiEENSG_IlEEPmS8_NS6_8equal_toIiEEEE10hipError_tPvRmT2_T3_mT4_T5_T6_T7_T8_P12ihipStream_tbENKUlT_T0_E_clISt17integral_constantIbLb0EES12_IbLb1EEEEDaSY_SZ_EUlSY_E_NS1_11comp_targetILNS1_3genE5ELNS1_11target_archE942ELNS1_3gpuE9ELNS1_3repE0EEENS1_30default_config_static_selectorELNS0_4arch9wavefront6targetE1EEEvT1_.num_agpr, 0
	.set _ZN7rocprim17ROCPRIM_400000_NS6detail17trampoline_kernelINS0_14default_configENS1_29reduce_by_key_config_selectorIilN6thrust23THRUST_200600_302600_NS4plusIlEEEEZZNS1_33reduce_by_key_impl_wrapped_configILNS1_25lookback_scan_determinismE0ES3_S9_PiNS6_17constant_iteratorIiNS6_11use_defaultESE_EENS6_10device_ptrIiEENSG_IlEEPmS8_NS6_8equal_toIiEEEE10hipError_tPvRmT2_T3_mT4_T5_T6_T7_T8_P12ihipStream_tbENKUlT_T0_E_clISt17integral_constantIbLb0EES12_IbLb1EEEEDaSY_SZ_EUlSY_E_NS1_11comp_targetILNS1_3genE5ELNS1_11target_archE942ELNS1_3gpuE9ELNS1_3repE0EEENS1_30default_config_static_selectorELNS0_4arch9wavefront6targetE1EEEvT1_.numbered_sgpr, 0
	.set _ZN7rocprim17ROCPRIM_400000_NS6detail17trampoline_kernelINS0_14default_configENS1_29reduce_by_key_config_selectorIilN6thrust23THRUST_200600_302600_NS4plusIlEEEEZZNS1_33reduce_by_key_impl_wrapped_configILNS1_25lookback_scan_determinismE0ES3_S9_PiNS6_17constant_iteratorIiNS6_11use_defaultESE_EENS6_10device_ptrIiEENSG_IlEEPmS8_NS6_8equal_toIiEEEE10hipError_tPvRmT2_T3_mT4_T5_T6_T7_T8_P12ihipStream_tbENKUlT_T0_E_clISt17integral_constantIbLb0EES12_IbLb1EEEEDaSY_SZ_EUlSY_E_NS1_11comp_targetILNS1_3genE5ELNS1_11target_archE942ELNS1_3gpuE9ELNS1_3repE0EEENS1_30default_config_static_selectorELNS0_4arch9wavefront6targetE1EEEvT1_.num_named_barrier, 0
	.set _ZN7rocprim17ROCPRIM_400000_NS6detail17trampoline_kernelINS0_14default_configENS1_29reduce_by_key_config_selectorIilN6thrust23THRUST_200600_302600_NS4plusIlEEEEZZNS1_33reduce_by_key_impl_wrapped_configILNS1_25lookback_scan_determinismE0ES3_S9_PiNS6_17constant_iteratorIiNS6_11use_defaultESE_EENS6_10device_ptrIiEENSG_IlEEPmS8_NS6_8equal_toIiEEEE10hipError_tPvRmT2_T3_mT4_T5_T6_T7_T8_P12ihipStream_tbENKUlT_T0_E_clISt17integral_constantIbLb0EES12_IbLb1EEEEDaSY_SZ_EUlSY_E_NS1_11comp_targetILNS1_3genE5ELNS1_11target_archE942ELNS1_3gpuE9ELNS1_3repE0EEENS1_30default_config_static_selectorELNS0_4arch9wavefront6targetE1EEEvT1_.private_seg_size, 0
	.set _ZN7rocprim17ROCPRIM_400000_NS6detail17trampoline_kernelINS0_14default_configENS1_29reduce_by_key_config_selectorIilN6thrust23THRUST_200600_302600_NS4plusIlEEEEZZNS1_33reduce_by_key_impl_wrapped_configILNS1_25lookback_scan_determinismE0ES3_S9_PiNS6_17constant_iteratorIiNS6_11use_defaultESE_EENS6_10device_ptrIiEENSG_IlEEPmS8_NS6_8equal_toIiEEEE10hipError_tPvRmT2_T3_mT4_T5_T6_T7_T8_P12ihipStream_tbENKUlT_T0_E_clISt17integral_constantIbLb0EES12_IbLb1EEEEDaSY_SZ_EUlSY_E_NS1_11comp_targetILNS1_3genE5ELNS1_11target_archE942ELNS1_3gpuE9ELNS1_3repE0EEENS1_30default_config_static_selectorELNS0_4arch9wavefront6targetE1EEEvT1_.uses_vcc, 0
	.set _ZN7rocprim17ROCPRIM_400000_NS6detail17trampoline_kernelINS0_14default_configENS1_29reduce_by_key_config_selectorIilN6thrust23THRUST_200600_302600_NS4plusIlEEEEZZNS1_33reduce_by_key_impl_wrapped_configILNS1_25lookback_scan_determinismE0ES3_S9_PiNS6_17constant_iteratorIiNS6_11use_defaultESE_EENS6_10device_ptrIiEENSG_IlEEPmS8_NS6_8equal_toIiEEEE10hipError_tPvRmT2_T3_mT4_T5_T6_T7_T8_P12ihipStream_tbENKUlT_T0_E_clISt17integral_constantIbLb0EES12_IbLb1EEEEDaSY_SZ_EUlSY_E_NS1_11comp_targetILNS1_3genE5ELNS1_11target_archE942ELNS1_3gpuE9ELNS1_3repE0EEENS1_30default_config_static_selectorELNS0_4arch9wavefront6targetE1EEEvT1_.uses_flat_scratch, 0
	.set _ZN7rocprim17ROCPRIM_400000_NS6detail17trampoline_kernelINS0_14default_configENS1_29reduce_by_key_config_selectorIilN6thrust23THRUST_200600_302600_NS4plusIlEEEEZZNS1_33reduce_by_key_impl_wrapped_configILNS1_25lookback_scan_determinismE0ES3_S9_PiNS6_17constant_iteratorIiNS6_11use_defaultESE_EENS6_10device_ptrIiEENSG_IlEEPmS8_NS6_8equal_toIiEEEE10hipError_tPvRmT2_T3_mT4_T5_T6_T7_T8_P12ihipStream_tbENKUlT_T0_E_clISt17integral_constantIbLb0EES12_IbLb1EEEEDaSY_SZ_EUlSY_E_NS1_11comp_targetILNS1_3genE5ELNS1_11target_archE942ELNS1_3gpuE9ELNS1_3repE0EEENS1_30default_config_static_selectorELNS0_4arch9wavefront6targetE1EEEvT1_.has_dyn_sized_stack, 0
	.set _ZN7rocprim17ROCPRIM_400000_NS6detail17trampoline_kernelINS0_14default_configENS1_29reduce_by_key_config_selectorIilN6thrust23THRUST_200600_302600_NS4plusIlEEEEZZNS1_33reduce_by_key_impl_wrapped_configILNS1_25lookback_scan_determinismE0ES3_S9_PiNS6_17constant_iteratorIiNS6_11use_defaultESE_EENS6_10device_ptrIiEENSG_IlEEPmS8_NS6_8equal_toIiEEEE10hipError_tPvRmT2_T3_mT4_T5_T6_T7_T8_P12ihipStream_tbENKUlT_T0_E_clISt17integral_constantIbLb0EES12_IbLb1EEEEDaSY_SZ_EUlSY_E_NS1_11comp_targetILNS1_3genE5ELNS1_11target_archE942ELNS1_3gpuE9ELNS1_3repE0EEENS1_30default_config_static_selectorELNS0_4arch9wavefront6targetE1EEEvT1_.has_recursion, 0
	.set _ZN7rocprim17ROCPRIM_400000_NS6detail17trampoline_kernelINS0_14default_configENS1_29reduce_by_key_config_selectorIilN6thrust23THRUST_200600_302600_NS4plusIlEEEEZZNS1_33reduce_by_key_impl_wrapped_configILNS1_25lookback_scan_determinismE0ES3_S9_PiNS6_17constant_iteratorIiNS6_11use_defaultESE_EENS6_10device_ptrIiEENSG_IlEEPmS8_NS6_8equal_toIiEEEE10hipError_tPvRmT2_T3_mT4_T5_T6_T7_T8_P12ihipStream_tbENKUlT_T0_E_clISt17integral_constantIbLb0EES12_IbLb1EEEEDaSY_SZ_EUlSY_E_NS1_11comp_targetILNS1_3genE5ELNS1_11target_archE942ELNS1_3gpuE9ELNS1_3repE0EEENS1_30default_config_static_selectorELNS0_4arch9wavefront6targetE1EEEvT1_.has_indirect_call, 0
	.section	.AMDGPU.csdata,"",@progbits
; Kernel info:
; codeLenInByte = 0
; TotalNumSgprs: 4
; NumVgprs: 0
; ScratchSize: 0
; MemoryBound: 0
; FloatMode: 240
; IeeeMode: 1
; LDSByteSize: 0 bytes/workgroup (compile time only)
; SGPRBlocks: 0
; VGPRBlocks: 0
; NumSGPRsForWavesPerEU: 4
; NumVGPRsForWavesPerEU: 1
; Occupancy: 10
; WaveLimiterHint : 0
; COMPUTE_PGM_RSRC2:SCRATCH_EN: 0
; COMPUTE_PGM_RSRC2:USER_SGPR: 6
; COMPUTE_PGM_RSRC2:TRAP_HANDLER: 0
; COMPUTE_PGM_RSRC2:TGID_X_EN: 1
; COMPUTE_PGM_RSRC2:TGID_Y_EN: 0
; COMPUTE_PGM_RSRC2:TGID_Z_EN: 0
; COMPUTE_PGM_RSRC2:TIDIG_COMP_CNT: 0
	.section	.text._ZN7rocprim17ROCPRIM_400000_NS6detail17trampoline_kernelINS0_14default_configENS1_29reduce_by_key_config_selectorIilN6thrust23THRUST_200600_302600_NS4plusIlEEEEZZNS1_33reduce_by_key_impl_wrapped_configILNS1_25lookback_scan_determinismE0ES3_S9_PiNS6_17constant_iteratorIiNS6_11use_defaultESE_EENS6_10device_ptrIiEENSG_IlEEPmS8_NS6_8equal_toIiEEEE10hipError_tPvRmT2_T3_mT4_T5_T6_T7_T8_P12ihipStream_tbENKUlT_T0_E_clISt17integral_constantIbLb0EES12_IbLb1EEEEDaSY_SZ_EUlSY_E_NS1_11comp_targetILNS1_3genE4ELNS1_11target_archE910ELNS1_3gpuE8ELNS1_3repE0EEENS1_30default_config_static_selectorELNS0_4arch9wavefront6targetE1EEEvT1_,"axG",@progbits,_ZN7rocprim17ROCPRIM_400000_NS6detail17trampoline_kernelINS0_14default_configENS1_29reduce_by_key_config_selectorIilN6thrust23THRUST_200600_302600_NS4plusIlEEEEZZNS1_33reduce_by_key_impl_wrapped_configILNS1_25lookback_scan_determinismE0ES3_S9_PiNS6_17constant_iteratorIiNS6_11use_defaultESE_EENS6_10device_ptrIiEENSG_IlEEPmS8_NS6_8equal_toIiEEEE10hipError_tPvRmT2_T3_mT4_T5_T6_T7_T8_P12ihipStream_tbENKUlT_T0_E_clISt17integral_constantIbLb0EES12_IbLb1EEEEDaSY_SZ_EUlSY_E_NS1_11comp_targetILNS1_3genE4ELNS1_11target_archE910ELNS1_3gpuE8ELNS1_3repE0EEENS1_30default_config_static_selectorELNS0_4arch9wavefront6targetE1EEEvT1_,comdat
	.protected	_ZN7rocprim17ROCPRIM_400000_NS6detail17trampoline_kernelINS0_14default_configENS1_29reduce_by_key_config_selectorIilN6thrust23THRUST_200600_302600_NS4plusIlEEEEZZNS1_33reduce_by_key_impl_wrapped_configILNS1_25lookback_scan_determinismE0ES3_S9_PiNS6_17constant_iteratorIiNS6_11use_defaultESE_EENS6_10device_ptrIiEENSG_IlEEPmS8_NS6_8equal_toIiEEEE10hipError_tPvRmT2_T3_mT4_T5_T6_T7_T8_P12ihipStream_tbENKUlT_T0_E_clISt17integral_constantIbLb0EES12_IbLb1EEEEDaSY_SZ_EUlSY_E_NS1_11comp_targetILNS1_3genE4ELNS1_11target_archE910ELNS1_3gpuE8ELNS1_3repE0EEENS1_30default_config_static_selectorELNS0_4arch9wavefront6targetE1EEEvT1_ ; -- Begin function _ZN7rocprim17ROCPRIM_400000_NS6detail17trampoline_kernelINS0_14default_configENS1_29reduce_by_key_config_selectorIilN6thrust23THRUST_200600_302600_NS4plusIlEEEEZZNS1_33reduce_by_key_impl_wrapped_configILNS1_25lookback_scan_determinismE0ES3_S9_PiNS6_17constant_iteratorIiNS6_11use_defaultESE_EENS6_10device_ptrIiEENSG_IlEEPmS8_NS6_8equal_toIiEEEE10hipError_tPvRmT2_T3_mT4_T5_T6_T7_T8_P12ihipStream_tbENKUlT_T0_E_clISt17integral_constantIbLb0EES12_IbLb1EEEEDaSY_SZ_EUlSY_E_NS1_11comp_targetILNS1_3genE4ELNS1_11target_archE910ELNS1_3gpuE8ELNS1_3repE0EEENS1_30default_config_static_selectorELNS0_4arch9wavefront6targetE1EEEvT1_
	.globl	_ZN7rocprim17ROCPRIM_400000_NS6detail17trampoline_kernelINS0_14default_configENS1_29reduce_by_key_config_selectorIilN6thrust23THRUST_200600_302600_NS4plusIlEEEEZZNS1_33reduce_by_key_impl_wrapped_configILNS1_25lookback_scan_determinismE0ES3_S9_PiNS6_17constant_iteratorIiNS6_11use_defaultESE_EENS6_10device_ptrIiEENSG_IlEEPmS8_NS6_8equal_toIiEEEE10hipError_tPvRmT2_T3_mT4_T5_T6_T7_T8_P12ihipStream_tbENKUlT_T0_E_clISt17integral_constantIbLb0EES12_IbLb1EEEEDaSY_SZ_EUlSY_E_NS1_11comp_targetILNS1_3genE4ELNS1_11target_archE910ELNS1_3gpuE8ELNS1_3repE0EEENS1_30default_config_static_selectorELNS0_4arch9wavefront6targetE1EEEvT1_
	.p2align	8
	.type	_ZN7rocprim17ROCPRIM_400000_NS6detail17trampoline_kernelINS0_14default_configENS1_29reduce_by_key_config_selectorIilN6thrust23THRUST_200600_302600_NS4plusIlEEEEZZNS1_33reduce_by_key_impl_wrapped_configILNS1_25lookback_scan_determinismE0ES3_S9_PiNS6_17constant_iteratorIiNS6_11use_defaultESE_EENS6_10device_ptrIiEENSG_IlEEPmS8_NS6_8equal_toIiEEEE10hipError_tPvRmT2_T3_mT4_T5_T6_T7_T8_P12ihipStream_tbENKUlT_T0_E_clISt17integral_constantIbLb0EES12_IbLb1EEEEDaSY_SZ_EUlSY_E_NS1_11comp_targetILNS1_3genE4ELNS1_11target_archE910ELNS1_3gpuE8ELNS1_3repE0EEENS1_30default_config_static_selectorELNS0_4arch9wavefront6targetE1EEEvT1_,@function
_ZN7rocprim17ROCPRIM_400000_NS6detail17trampoline_kernelINS0_14default_configENS1_29reduce_by_key_config_selectorIilN6thrust23THRUST_200600_302600_NS4plusIlEEEEZZNS1_33reduce_by_key_impl_wrapped_configILNS1_25lookback_scan_determinismE0ES3_S9_PiNS6_17constant_iteratorIiNS6_11use_defaultESE_EENS6_10device_ptrIiEENSG_IlEEPmS8_NS6_8equal_toIiEEEE10hipError_tPvRmT2_T3_mT4_T5_T6_T7_T8_P12ihipStream_tbENKUlT_T0_E_clISt17integral_constantIbLb0EES12_IbLb1EEEEDaSY_SZ_EUlSY_E_NS1_11comp_targetILNS1_3genE4ELNS1_11target_archE910ELNS1_3gpuE8ELNS1_3repE0EEENS1_30default_config_static_selectorELNS0_4arch9wavefront6targetE1EEEvT1_: ; @_ZN7rocprim17ROCPRIM_400000_NS6detail17trampoline_kernelINS0_14default_configENS1_29reduce_by_key_config_selectorIilN6thrust23THRUST_200600_302600_NS4plusIlEEEEZZNS1_33reduce_by_key_impl_wrapped_configILNS1_25lookback_scan_determinismE0ES3_S9_PiNS6_17constant_iteratorIiNS6_11use_defaultESE_EENS6_10device_ptrIiEENSG_IlEEPmS8_NS6_8equal_toIiEEEE10hipError_tPvRmT2_T3_mT4_T5_T6_T7_T8_P12ihipStream_tbENKUlT_T0_E_clISt17integral_constantIbLb0EES12_IbLb1EEEEDaSY_SZ_EUlSY_E_NS1_11comp_targetILNS1_3genE4ELNS1_11target_archE910ELNS1_3gpuE8ELNS1_3repE0EEENS1_30default_config_static_selectorELNS0_4arch9wavefront6targetE1EEEvT1_
; %bb.0:
	.section	.rodata,"a",@progbits
	.p2align	6, 0x0
	.amdhsa_kernel _ZN7rocprim17ROCPRIM_400000_NS6detail17trampoline_kernelINS0_14default_configENS1_29reduce_by_key_config_selectorIilN6thrust23THRUST_200600_302600_NS4plusIlEEEEZZNS1_33reduce_by_key_impl_wrapped_configILNS1_25lookback_scan_determinismE0ES3_S9_PiNS6_17constant_iteratorIiNS6_11use_defaultESE_EENS6_10device_ptrIiEENSG_IlEEPmS8_NS6_8equal_toIiEEEE10hipError_tPvRmT2_T3_mT4_T5_T6_T7_T8_P12ihipStream_tbENKUlT_T0_E_clISt17integral_constantIbLb0EES12_IbLb1EEEEDaSY_SZ_EUlSY_E_NS1_11comp_targetILNS1_3genE4ELNS1_11target_archE910ELNS1_3gpuE8ELNS1_3repE0EEENS1_30default_config_static_selectorELNS0_4arch9wavefront6targetE1EEEvT1_
		.amdhsa_group_segment_fixed_size 0
		.amdhsa_private_segment_fixed_size 0
		.amdhsa_kernarg_size 144
		.amdhsa_user_sgpr_count 6
		.amdhsa_user_sgpr_private_segment_buffer 1
		.amdhsa_user_sgpr_dispatch_ptr 0
		.amdhsa_user_sgpr_queue_ptr 0
		.amdhsa_user_sgpr_kernarg_segment_ptr 1
		.amdhsa_user_sgpr_dispatch_id 0
		.amdhsa_user_sgpr_flat_scratch_init 0
		.amdhsa_user_sgpr_private_segment_size 0
		.amdhsa_uses_dynamic_stack 0
		.amdhsa_system_sgpr_private_segment_wavefront_offset 0
		.amdhsa_system_sgpr_workgroup_id_x 1
		.amdhsa_system_sgpr_workgroup_id_y 0
		.amdhsa_system_sgpr_workgroup_id_z 0
		.amdhsa_system_sgpr_workgroup_info 0
		.amdhsa_system_vgpr_workitem_id 0
		.amdhsa_next_free_vgpr 1
		.amdhsa_next_free_sgpr 0
		.amdhsa_reserve_vcc 0
		.amdhsa_reserve_flat_scratch 0
		.amdhsa_float_round_mode_32 0
		.amdhsa_float_round_mode_16_64 0
		.amdhsa_float_denorm_mode_32 3
		.amdhsa_float_denorm_mode_16_64 3
		.amdhsa_dx10_clamp 1
		.amdhsa_ieee_mode 1
		.amdhsa_fp16_overflow 0
		.amdhsa_exception_fp_ieee_invalid_op 0
		.amdhsa_exception_fp_denorm_src 0
		.amdhsa_exception_fp_ieee_div_zero 0
		.amdhsa_exception_fp_ieee_overflow 0
		.amdhsa_exception_fp_ieee_underflow 0
		.amdhsa_exception_fp_ieee_inexact 0
		.amdhsa_exception_int_div_zero 0
	.end_amdhsa_kernel
	.section	.text._ZN7rocprim17ROCPRIM_400000_NS6detail17trampoline_kernelINS0_14default_configENS1_29reduce_by_key_config_selectorIilN6thrust23THRUST_200600_302600_NS4plusIlEEEEZZNS1_33reduce_by_key_impl_wrapped_configILNS1_25lookback_scan_determinismE0ES3_S9_PiNS6_17constant_iteratorIiNS6_11use_defaultESE_EENS6_10device_ptrIiEENSG_IlEEPmS8_NS6_8equal_toIiEEEE10hipError_tPvRmT2_T3_mT4_T5_T6_T7_T8_P12ihipStream_tbENKUlT_T0_E_clISt17integral_constantIbLb0EES12_IbLb1EEEEDaSY_SZ_EUlSY_E_NS1_11comp_targetILNS1_3genE4ELNS1_11target_archE910ELNS1_3gpuE8ELNS1_3repE0EEENS1_30default_config_static_selectorELNS0_4arch9wavefront6targetE1EEEvT1_,"axG",@progbits,_ZN7rocprim17ROCPRIM_400000_NS6detail17trampoline_kernelINS0_14default_configENS1_29reduce_by_key_config_selectorIilN6thrust23THRUST_200600_302600_NS4plusIlEEEEZZNS1_33reduce_by_key_impl_wrapped_configILNS1_25lookback_scan_determinismE0ES3_S9_PiNS6_17constant_iteratorIiNS6_11use_defaultESE_EENS6_10device_ptrIiEENSG_IlEEPmS8_NS6_8equal_toIiEEEE10hipError_tPvRmT2_T3_mT4_T5_T6_T7_T8_P12ihipStream_tbENKUlT_T0_E_clISt17integral_constantIbLb0EES12_IbLb1EEEEDaSY_SZ_EUlSY_E_NS1_11comp_targetILNS1_3genE4ELNS1_11target_archE910ELNS1_3gpuE8ELNS1_3repE0EEENS1_30default_config_static_selectorELNS0_4arch9wavefront6targetE1EEEvT1_,comdat
.Lfunc_end967:
	.size	_ZN7rocprim17ROCPRIM_400000_NS6detail17trampoline_kernelINS0_14default_configENS1_29reduce_by_key_config_selectorIilN6thrust23THRUST_200600_302600_NS4plusIlEEEEZZNS1_33reduce_by_key_impl_wrapped_configILNS1_25lookback_scan_determinismE0ES3_S9_PiNS6_17constant_iteratorIiNS6_11use_defaultESE_EENS6_10device_ptrIiEENSG_IlEEPmS8_NS6_8equal_toIiEEEE10hipError_tPvRmT2_T3_mT4_T5_T6_T7_T8_P12ihipStream_tbENKUlT_T0_E_clISt17integral_constantIbLb0EES12_IbLb1EEEEDaSY_SZ_EUlSY_E_NS1_11comp_targetILNS1_3genE4ELNS1_11target_archE910ELNS1_3gpuE8ELNS1_3repE0EEENS1_30default_config_static_selectorELNS0_4arch9wavefront6targetE1EEEvT1_, .Lfunc_end967-_ZN7rocprim17ROCPRIM_400000_NS6detail17trampoline_kernelINS0_14default_configENS1_29reduce_by_key_config_selectorIilN6thrust23THRUST_200600_302600_NS4plusIlEEEEZZNS1_33reduce_by_key_impl_wrapped_configILNS1_25lookback_scan_determinismE0ES3_S9_PiNS6_17constant_iteratorIiNS6_11use_defaultESE_EENS6_10device_ptrIiEENSG_IlEEPmS8_NS6_8equal_toIiEEEE10hipError_tPvRmT2_T3_mT4_T5_T6_T7_T8_P12ihipStream_tbENKUlT_T0_E_clISt17integral_constantIbLb0EES12_IbLb1EEEEDaSY_SZ_EUlSY_E_NS1_11comp_targetILNS1_3genE4ELNS1_11target_archE910ELNS1_3gpuE8ELNS1_3repE0EEENS1_30default_config_static_selectorELNS0_4arch9wavefront6targetE1EEEvT1_
                                        ; -- End function
	.set _ZN7rocprim17ROCPRIM_400000_NS6detail17trampoline_kernelINS0_14default_configENS1_29reduce_by_key_config_selectorIilN6thrust23THRUST_200600_302600_NS4plusIlEEEEZZNS1_33reduce_by_key_impl_wrapped_configILNS1_25lookback_scan_determinismE0ES3_S9_PiNS6_17constant_iteratorIiNS6_11use_defaultESE_EENS6_10device_ptrIiEENSG_IlEEPmS8_NS6_8equal_toIiEEEE10hipError_tPvRmT2_T3_mT4_T5_T6_T7_T8_P12ihipStream_tbENKUlT_T0_E_clISt17integral_constantIbLb0EES12_IbLb1EEEEDaSY_SZ_EUlSY_E_NS1_11comp_targetILNS1_3genE4ELNS1_11target_archE910ELNS1_3gpuE8ELNS1_3repE0EEENS1_30default_config_static_selectorELNS0_4arch9wavefront6targetE1EEEvT1_.num_vgpr, 0
	.set _ZN7rocprim17ROCPRIM_400000_NS6detail17trampoline_kernelINS0_14default_configENS1_29reduce_by_key_config_selectorIilN6thrust23THRUST_200600_302600_NS4plusIlEEEEZZNS1_33reduce_by_key_impl_wrapped_configILNS1_25lookback_scan_determinismE0ES3_S9_PiNS6_17constant_iteratorIiNS6_11use_defaultESE_EENS6_10device_ptrIiEENSG_IlEEPmS8_NS6_8equal_toIiEEEE10hipError_tPvRmT2_T3_mT4_T5_T6_T7_T8_P12ihipStream_tbENKUlT_T0_E_clISt17integral_constantIbLb0EES12_IbLb1EEEEDaSY_SZ_EUlSY_E_NS1_11comp_targetILNS1_3genE4ELNS1_11target_archE910ELNS1_3gpuE8ELNS1_3repE0EEENS1_30default_config_static_selectorELNS0_4arch9wavefront6targetE1EEEvT1_.num_agpr, 0
	.set _ZN7rocprim17ROCPRIM_400000_NS6detail17trampoline_kernelINS0_14default_configENS1_29reduce_by_key_config_selectorIilN6thrust23THRUST_200600_302600_NS4plusIlEEEEZZNS1_33reduce_by_key_impl_wrapped_configILNS1_25lookback_scan_determinismE0ES3_S9_PiNS6_17constant_iteratorIiNS6_11use_defaultESE_EENS6_10device_ptrIiEENSG_IlEEPmS8_NS6_8equal_toIiEEEE10hipError_tPvRmT2_T3_mT4_T5_T6_T7_T8_P12ihipStream_tbENKUlT_T0_E_clISt17integral_constantIbLb0EES12_IbLb1EEEEDaSY_SZ_EUlSY_E_NS1_11comp_targetILNS1_3genE4ELNS1_11target_archE910ELNS1_3gpuE8ELNS1_3repE0EEENS1_30default_config_static_selectorELNS0_4arch9wavefront6targetE1EEEvT1_.numbered_sgpr, 0
	.set _ZN7rocprim17ROCPRIM_400000_NS6detail17trampoline_kernelINS0_14default_configENS1_29reduce_by_key_config_selectorIilN6thrust23THRUST_200600_302600_NS4plusIlEEEEZZNS1_33reduce_by_key_impl_wrapped_configILNS1_25lookback_scan_determinismE0ES3_S9_PiNS6_17constant_iteratorIiNS6_11use_defaultESE_EENS6_10device_ptrIiEENSG_IlEEPmS8_NS6_8equal_toIiEEEE10hipError_tPvRmT2_T3_mT4_T5_T6_T7_T8_P12ihipStream_tbENKUlT_T0_E_clISt17integral_constantIbLb0EES12_IbLb1EEEEDaSY_SZ_EUlSY_E_NS1_11comp_targetILNS1_3genE4ELNS1_11target_archE910ELNS1_3gpuE8ELNS1_3repE0EEENS1_30default_config_static_selectorELNS0_4arch9wavefront6targetE1EEEvT1_.num_named_barrier, 0
	.set _ZN7rocprim17ROCPRIM_400000_NS6detail17trampoline_kernelINS0_14default_configENS1_29reduce_by_key_config_selectorIilN6thrust23THRUST_200600_302600_NS4plusIlEEEEZZNS1_33reduce_by_key_impl_wrapped_configILNS1_25lookback_scan_determinismE0ES3_S9_PiNS6_17constant_iteratorIiNS6_11use_defaultESE_EENS6_10device_ptrIiEENSG_IlEEPmS8_NS6_8equal_toIiEEEE10hipError_tPvRmT2_T3_mT4_T5_T6_T7_T8_P12ihipStream_tbENKUlT_T0_E_clISt17integral_constantIbLb0EES12_IbLb1EEEEDaSY_SZ_EUlSY_E_NS1_11comp_targetILNS1_3genE4ELNS1_11target_archE910ELNS1_3gpuE8ELNS1_3repE0EEENS1_30default_config_static_selectorELNS0_4arch9wavefront6targetE1EEEvT1_.private_seg_size, 0
	.set _ZN7rocprim17ROCPRIM_400000_NS6detail17trampoline_kernelINS0_14default_configENS1_29reduce_by_key_config_selectorIilN6thrust23THRUST_200600_302600_NS4plusIlEEEEZZNS1_33reduce_by_key_impl_wrapped_configILNS1_25lookback_scan_determinismE0ES3_S9_PiNS6_17constant_iteratorIiNS6_11use_defaultESE_EENS6_10device_ptrIiEENSG_IlEEPmS8_NS6_8equal_toIiEEEE10hipError_tPvRmT2_T3_mT4_T5_T6_T7_T8_P12ihipStream_tbENKUlT_T0_E_clISt17integral_constantIbLb0EES12_IbLb1EEEEDaSY_SZ_EUlSY_E_NS1_11comp_targetILNS1_3genE4ELNS1_11target_archE910ELNS1_3gpuE8ELNS1_3repE0EEENS1_30default_config_static_selectorELNS0_4arch9wavefront6targetE1EEEvT1_.uses_vcc, 0
	.set _ZN7rocprim17ROCPRIM_400000_NS6detail17trampoline_kernelINS0_14default_configENS1_29reduce_by_key_config_selectorIilN6thrust23THRUST_200600_302600_NS4plusIlEEEEZZNS1_33reduce_by_key_impl_wrapped_configILNS1_25lookback_scan_determinismE0ES3_S9_PiNS6_17constant_iteratorIiNS6_11use_defaultESE_EENS6_10device_ptrIiEENSG_IlEEPmS8_NS6_8equal_toIiEEEE10hipError_tPvRmT2_T3_mT4_T5_T6_T7_T8_P12ihipStream_tbENKUlT_T0_E_clISt17integral_constantIbLb0EES12_IbLb1EEEEDaSY_SZ_EUlSY_E_NS1_11comp_targetILNS1_3genE4ELNS1_11target_archE910ELNS1_3gpuE8ELNS1_3repE0EEENS1_30default_config_static_selectorELNS0_4arch9wavefront6targetE1EEEvT1_.uses_flat_scratch, 0
	.set _ZN7rocprim17ROCPRIM_400000_NS6detail17trampoline_kernelINS0_14default_configENS1_29reduce_by_key_config_selectorIilN6thrust23THRUST_200600_302600_NS4plusIlEEEEZZNS1_33reduce_by_key_impl_wrapped_configILNS1_25lookback_scan_determinismE0ES3_S9_PiNS6_17constant_iteratorIiNS6_11use_defaultESE_EENS6_10device_ptrIiEENSG_IlEEPmS8_NS6_8equal_toIiEEEE10hipError_tPvRmT2_T3_mT4_T5_T6_T7_T8_P12ihipStream_tbENKUlT_T0_E_clISt17integral_constantIbLb0EES12_IbLb1EEEEDaSY_SZ_EUlSY_E_NS1_11comp_targetILNS1_3genE4ELNS1_11target_archE910ELNS1_3gpuE8ELNS1_3repE0EEENS1_30default_config_static_selectorELNS0_4arch9wavefront6targetE1EEEvT1_.has_dyn_sized_stack, 0
	.set _ZN7rocprim17ROCPRIM_400000_NS6detail17trampoline_kernelINS0_14default_configENS1_29reduce_by_key_config_selectorIilN6thrust23THRUST_200600_302600_NS4plusIlEEEEZZNS1_33reduce_by_key_impl_wrapped_configILNS1_25lookback_scan_determinismE0ES3_S9_PiNS6_17constant_iteratorIiNS6_11use_defaultESE_EENS6_10device_ptrIiEENSG_IlEEPmS8_NS6_8equal_toIiEEEE10hipError_tPvRmT2_T3_mT4_T5_T6_T7_T8_P12ihipStream_tbENKUlT_T0_E_clISt17integral_constantIbLb0EES12_IbLb1EEEEDaSY_SZ_EUlSY_E_NS1_11comp_targetILNS1_3genE4ELNS1_11target_archE910ELNS1_3gpuE8ELNS1_3repE0EEENS1_30default_config_static_selectorELNS0_4arch9wavefront6targetE1EEEvT1_.has_recursion, 0
	.set _ZN7rocprim17ROCPRIM_400000_NS6detail17trampoline_kernelINS0_14default_configENS1_29reduce_by_key_config_selectorIilN6thrust23THRUST_200600_302600_NS4plusIlEEEEZZNS1_33reduce_by_key_impl_wrapped_configILNS1_25lookback_scan_determinismE0ES3_S9_PiNS6_17constant_iteratorIiNS6_11use_defaultESE_EENS6_10device_ptrIiEENSG_IlEEPmS8_NS6_8equal_toIiEEEE10hipError_tPvRmT2_T3_mT4_T5_T6_T7_T8_P12ihipStream_tbENKUlT_T0_E_clISt17integral_constantIbLb0EES12_IbLb1EEEEDaSY_SZ_EUlSY_E_NS1_11comp_targetILNS1_3genE4ELNS1_11target_archE910ELNS1_3gpuE8ELNS1_3repE0EEENS1_30default_config_static_selectorELNS0_4arch9wavefront6targetE1EEEvT1_.has_indirect_call, 0
	.section	.AMDGPU.csdata,"",@progbits
; Kernel info:
; codeLenInByte = 0
; TotalNumSgprs: 4
; NumVgprs: 0
; ScratchSize: 0
; MemoryBound: 0
; FloatMode: 240
; IeeeMode: 1
; LDSByteSize: 0 bytes/workgroup (compile time only)
; SGPRBlocks: 0
; VGPRBlocks: 0
; NumSGPRsForWavesPerEU: 4
; NumVGPRsForWavesPerEU: 1
; Occupancy: 10
; WaveLimiterHint : 0
; COMPUTE_PGM_RSRC2:SCRATCH_EN: 0
; COMPUTE_PGM_RSRC2:USER_SGPR: 6
; COMPUTE_PGM_RSRC2:TRAP_HANDLER: 0
; COMPUTE_PGM_RSRC2:TGID_X_EN: 1
; COMPUTE_PGM_RSRC2:TGID_Y_EN: 0
; COMPUTE_PGM_RSRC2:TGID_Z_EN: 0
; COMPUTE_PGM_RSRC2:TIDIG_COMP_CNT: 0
	.section	.text._ZN7rocprim17ROCPRIM_400000_NS6detail17trampoline_kernelINS0_14default_configENS1_29reduce_by_key_config_selectorIilN6thrust23THRUST_200600_302600_NS4plusIlEEEEZZNS1_33reduce_by_key_impl_wrapped_configILNS1_25lookback_scan_determinismE0ES3_S9_PiNS6_17constant_iteratorIiNS6_11use_defaultESE_EENS6_10device_ptrIiEENSG_IlEEPmS8_NS6_8equal_toIiEEEE10hipError_tPvRmT2_T3_mT4_T5_T6_T7_T8_P12ihipStream_tbENKUlT_T0_E_clISt17integral_constantIbLb0EES12_IbLb1EEEEDaSY_SZ_EUlSY_E_NS1_11comp_targetILNS1_3genE3ELNS1_11target_archE908ELNS1_3gpuE7ELNS1_3repE0EEENS1_30default_config_static_selectorELNS0_4arch9wavefront6targetE1EEEvT1_,"axG",@progbits,_ZN7rocprim17ROCPRIM_400000_NS6detail17trampoline_kernelINS0_14default_configENS1_29reduce_by_key_config_selectorIilN6thrust23THRUST_200600_302600_NS4plusIlEEEEZZNS1_33reduce_by_key_impl_wrapped_configILNS1_25lookback_scan_determinismE0ES3_S9_PiNS6_17constant_iteratorIiNS6_11use_defaultESE_EENS6_10device_ptrIiEENSG_IlEEPmS8_NS6_8equal_toIiEEEE10hipError_tPvRmT2_T3_mT4_T5_T6_T7_T8_P12ihipStream_tbENKUlT_T0_E_clISt17integral_constantIbLb0EES12_IbLb1EEEEDaSY_SZ_EUlSY_E_NS1_11comp_targetILNS1_3genE3ELNS1_11target_archE908ELNS1_3gpuE7ELNS1_3repE0EEENS1_30default_config_static_selectorELNS0_4arch9wavefront6targetE1EEEvT1_,comdat
	.protected	_ZN7rocprim17ROCPRIM_400000_NS6detail17trampoline_kernelINS0_14default_configENS1_29reduce_by_key_config_selectorIilN6thrust23THRUST_200600_302600_NS4plusIlEEEEZZNS1_33reduce_by_key_impl_wrapped_configILNS1_25lookback_scan_determinismE0ES3_S9_PiNS6_17constant_iteratorIiNS6_11use_defaultESE_EENS6_10device_ptrIiEENSG_IlEEPmS8_NS6_8equal_toIiEEEE10hipError_tPvRmT2_T3_mT4_T5_T6_T7_T8_P12ihipStream_tbENKUlT_T0_E_clISt17integral_constantIbLb0EES12_IbLb1EEEEDaSY_SZ_EUlSY_E_NS1_11comp_targetILNS1_3genE3ELNS1_11target_archE908ELNS1_3gpuE7ELNS1_3repE0EEENS1_30default_config_static_selectorELNS0_4arch9wavefront6targetE1EEEvT1_ ; -- Begin function _ZN7rocprim17ROCPRIM_400000_NS6detail17trampoline_kernelINS0_14default_configENS1_29reduce_by_key_config_selectorIilN6thrust23THRUST_200600_302600_NS4plusIlEEEEZZNS1_33reduce_by_key_impl_wrapped_configILNS1_25lookback_scan_determinismE0ES3_S9_PiNS6_17constant_iteratorIiNS6_11use_defaultESE_EENS6_10device_ptrIiEENSG_IlEEPmS8_NS6_8equal_toIiEEEE10hipError_tPvRmT2_T3_mT4_T5_T6_T7_T8_P12ihipStream_tbENKUlT_T0_E_clISt17integral_constantIbLb0EES12_IbLb1EEEEDaSY_SZ_EUlSY_E_NS1_11comp_targetILNS1_3genE3ELNS1_11target_archE908ELNS1_3gpuE7ELNS1_3repE0EEENS1_30default_config_static_selectorELNS0_4arch9wavefront6targetE1EEEvT1_
	.globl	_ZN7rocprim17ROCPRIM_400000_NS6detail17trampoline_kernelINS0_14default_configENS1_29reduce_by_key_config_selectorIilN6thrust23THRUST_200600_302600_NS4plusIlEEEEZZNS1_33reduce_by_key_impl_wrapped_configILNS1_25lookback_scan_determinismE0ES3_S9_PiNS6_17constant_iteratorIiNS6_11use_defaultESE_EENS6_10device_ptrIiEENSG_IlEEPmS8_NS6_8equal_toIiEEEE10hipError_tPvRmT2_T3_mT4_T5_T6_T7_T8_P12ihipStream_tbENKUlT_T0_E_clISt17integral_constantIbLb0EES12_IbLb1EEEEDaSY_SZ_EUlSY_E_NS1_11comp_targetILNS1_3genE3ELNS1_11target_archE908ELNS1_3gpuE7ELNS1_3repE0EEENS1_30default_config_static_selectorELNS0_4arch9wavefront6targetE1EEEvT1_
	.p2align	8
	.type	_ZN7rocprim17ROCPRIM_400000_NS6detail17trampoline_kernelINS0_14default_configENS1_29reduce_by_key_config_selectorIilN6thrust23THRUST_200600_302600_NS4plusIlEEEEZZNS1_33reduce_by_key_impl_wrapped_configILNS1_25lookback_scan_determinismE0ES3_S9_PiNS6_17constant_iteratorIiNS6_11use_defaultESE_EENS6_10device_ptrIiEENSG_IlEEPmS8_NS6_8equal_toIiEEEE10hipError_tPvRmT2_T3_mT4_T5_T6_T7_T8_P12ihipStream_tbENKUlT_T0_E_clISt17integral_constantIbLb0EES12_IbLb1EEEEDaSY_SZ_EUlSY_E_NS1_11comp_targetILNS1_3genE3ELNS1_11target_archE908ELNS1_3gpuE7ELNS1_3repE0EEENS1_30default_config_static_selectorELNS0_4arch9wavefront6targetE1EEEvT1_,@function
_ZN7rocprim17ROCPRIM_400000_NS6detail17trampoline_kernelINS0_14default_configENS1_29reduce_by_key_config_selectorIilN6thrust23THRUST_200600_302600_NS4plusIlEEEEZZNS1_33reduce_by_key_impl_wrapped_configILNS1_25lookback_scan_determinismE0ES3_S9_PiNS6_17constant_iteratorIiNS6_11use_defaultESE_EENS6_10device_ptrIiEENSG_IlEEPmS8_NS6_8equal_toIiEEEE10hipError_tPvRmT2_T3_mT4_T5_T6_T7_T8_P12ihipStream_tbENKUlT_T0_E_clISt17integral_constantIbLb0EES12_IbLb1EEEEDaSY_SZ_EUlSY_E_NS1_11comp_targetILNS1_3genE3ELNS1_11target_archE908ELNS1_3gpuE7ELNS1_3repE0EEENS1_30default_config_static_selectorELNS0_4arch9wavefront6targetE1EEEvT1_: ; @_ZN7rocprim17ROCPRIM_400000_NS6detail17trampoline_kernelINS0_14default_configENS1_29reduce_by_key_config_selectorIilN6thrust23THRUST_200600_302600_NS4plusIlEEEEZZNS1_33reduce_by_key_impl_wrapped_configILNS1_25lookback_scan_determinismE0ES3_S9_PiNS6_17constant_iteratorIiNS6_11use_defaultESE_EENS6_10device_ptrIiEENSG_IlEEPmS8_NS6_8equal_toIiEEEE10hipError_tPvRmT2_T3_mT4_T5_T6_T7_T8_P12ihipStream_tbENKUlT_T0_E_clISt17integral_constantIbLb0EES12_IbLb1EEEEDaSY_SZ_EUlSY_E_NS1_11comp_targetILNS1_3genE3ELNS1_11target_archE908ELNS1_3gpuE7ELNS1_3repE0EEENS1_30default_config_static_selectorELNS0_4arch9wavefront6targetE1EEEvT1_
; %bb.0:
	.section	.rodata,"a",@progbits
	.p2align	6, 0x0
	.amdhsa_kernel _ZN7rocprim17ROCPRIM_400000_NS6detail17trampoline_kernelINS0_14default_configENS1_29reduce_by_key_config_selectorIilN6thrust23THRUST_200600_302600_NS4plusIlEEEEZZNS1_33reduce_by_key_impl_wrapped_configILNS1_25lookback_scan_determinismE0ES3_S9_PiNS6_17constant_iteratorIiNS6_11use_defaultESE_EENS6_10device_ptrIiEENSG_IlEEPmS8_NS6_8equal_toIiEEEE10hipError_tPvRmT2_T3_mT4_T5_T6_T7_T8_P12ihipStream_tbENKUlT_T0_E_clISt17integral_constantIbLb0EES12_IbLb1EEEEDaSY_SZ_EUlSY_E_NS1_11comp_targetILNS1_3genE3ELNS1_11target_archE908ELNS1_3gpuE7ELNS1_3repE0EEENS1_30default_config_static_selectorELNS0_4arch9wavefront6targetE1EEEvT1_
		.amdhsa_group_segment_fixed_size 0
		.amdhsa_private_segment_fixed_size 0
		.amdhsa_kernarg_size 144
		.amdhsa_user_sgpr_count 6
		.amdhsa_user_sgpr_private_segment_buffer 1
		.amdhsa_user_sgpr_dispatch_ptr 0
		.amdhsa_user_sgpr_queue_ptr 0
		.amdhsa_user_sgpr_kernarg_segment_ptr 1
		.amdhsa_user_sgpr_dispatch_id 0
		.amdhsa_user_sgpr_flat_scratch_init 0
		.amdhsa_user_sgpr_private_segment_size 0
		.amdhsa_uses_dynamic_stack 0
		.amdhsa_system_sgpr_private_segment_wavefront_offset 0
		.amdhsa_system_sgpr_workgroup_id_x 1
		.amdhsa_system_sgpr_workgroup_id_y 0
		.amdhsa_system_sgpr_workgroup_id_z 0
		.amdhsa_system_sgpr_workgroup_info 0
		.amdhsa_system_vgpr_workitem_id 0
		.amdhsa_next_free_vgpr 1
		.amdhsa_next_free_sgpr 0
		.amdhsa_reserve_vcc 0
		.amdhsa_reserve_flat_scratch 0
		.amdhsa_float_round_mode_32 0
		.amdhsa_float_round_mode_16_64 0
		.amdhsa_float_denorm_mode_32 3
		.amdhsa_float_denorm_mode_16_64 3
		.amdhsa_dx10_clamp 1
		.amdhsa_ieee_mode 1
		.amdhsa_fp16_overflow 0
		.amdhsa_exception_fp_ieee_invalid_op 0
		.amdhsa_exception_fp_denorm_src 0
		.amdhsa_exception_fp_ieee_div_zero 0
		.amdhsa_exception_fp_ieee_overflow 0
		.amdhsa_exception_fp_ieee_underflow 0
		.amdhsa_exception_fp_ieee_inexact 0
		.amdhsa_exception_int_div_zero 0
	.end_amdhsa_kernel
	.section	.text._ZN7rocprim17ROCPRIM_400000_NS6detail17trampoline_kernelINS0_14default_configENS1_29reduce_by_key_config_selectorIilN6thrust23THRUST_200600_302600_NS4plusIlEEEEZZNS1_33reduce_by_key_impl_wrapped_configILNS1_25lookback_scan_determinismE0ES3_S9_PiNS6_17constant_iteratorIiNS6_11use_defaultESE_EENS6_10device_ptrIiEENSG_IlEEPmS8_NS6_8equal_toIiEEEE10hipError_tPvRmT2_T3_mT4_T5_T6_T7_T8_P12ihipStream_tbENKUlT_T0_E_clISt17integral_constantIbLb0EES12_IbLb1EEEEDaSY_SZ_EUlSY_E_NS1_11comp_targetILNS1_3genE3ELNS1_11target_archE908ELNS1_3gpuE7ELNS1_3repE0EEENS1_30default_config_static_selectorELNS0_4arch9wavefront6targetE1EEEvT1_,"axG",@progbits,_ZN7rocprim17ROCPRIM_400000_NS6detail17trampoline_kernelINS0_14default_configENS1_29reduce_by_key_config_selectorIilN6thrust23THRUST_200600_302600_NS4plusIlEEEEZZNS1_33reduce_by_key_impl_wrapped_configILNS1_25lookback_scan_determinismE0ES3_S9_PiNS6_17constant_iteratorIiNS6_11use_defaultESE_EENS6_10device_ptrIiEENSG_IlEEPmS8_NS6_8equal_toIiEEEE10hipError_tPvRmT2_T3_mT4_T5_T6_T7_T8_P12ihipStream_tbENKUlT_T0_E_clISt17integral_constantIbLb0EES12_IbLb1EEEEDaSY_SZ_EUlSY_E_NS1_11comp_targetILNS1_3genE3ELNS1_11target_archE908ELNS1_3gpuE7ELNS1_3repE0EEENS1_30default_config_static_selectorELNS0_4arch9wavefront6targetE1EEEvT1_,comdat
.Lfunc_end968:
	.size	_ZN7rocprim17ROCPRIM_400000_NS6detail17trampoline_kernelINS0_14default_configENS1_29reduce_by_key_config_selectorIilN6thrust23THRUST_200600_302600_NS4plusIlEEEEZZNS1_33reduce_by_key_impl_wrapped_configILNS1_25lookback_scan_determinismE0ES3_S9_PiNS6_17constant_iteratorIiNS6_11use_defaultESE_EENS6_10device_ptrIiEENSG_IlEEPmS8_NS6_8equal_toIiEEEE10hipError_tPvRmT2_T3_mT4_T5_T6_T7_T8_P12ihipStream_tbENKUlT_T0_E_clISt17integral_constantIbLb0EES12_IbLb1EEEEDaSY_SZ_EUlSY_E_NS1_11comp_targetILNS1_3genE3ELNS1_11target_archE908ELNS1_3gpuE7ELNS1_3repE0EEENS1_30default_config_static_selectorELNS0_4arch9wavefront6targetE1EEEvT1_, .Lfunc_end968-_ZN7rocprim17ROCPRIM_400000_NS6detail17trampoline_kernelINS0_14default_configENS1_29reduce_by_key_config_selectorIilN6thrust23THRUST_200600_302600_NS4plusIlEEEEZZNS1_33reduce_by_key_impl_wrapped_configILNS1_25lookback_scan_determinismE0ES3_S9_PiNS6_17constant_iteratorIiNS6_11use_defaultESE_EENS6_10device_ptrIiEENSG_IlEEPmS8_NS6_8equal_toIiEEEE10hipError_tPvRmT2_T3_mT4_T5_T6_T7_T8_P12ihipStream_tbENKUlT_T0_E_clISt17integral_constantIbLb0EES12_IbLb1EEEEDaSY_SZ_EUlSY_E_NS1_11comp_targetILNS1_3genE3ELNS1_11target_archE908ELNS1_3gpuE7ELNS1_3repE0EEENS1_30default_config_static_selectorELNS0_4arch9wavefront6targetE1EEEvT1_
                                        ; -- End function
	.set _ZN7rocprim17ROCPRIM_400000_NS6detail17trampoline_kernelINS0_14default_configENS1_29reduce_by_key_config_selectorIilN6thrust23THRUST_200600_302600_NS4plusIlEEEEZZNS1_33reduce_by_key_impl_wrapped_configILNS1_25lookback_scan_determinismE0ES3_S9_PiNS6_17constant_iteratorIiNS6_11use_defaultESE_EENS6_10device_ptrIiEENSG_IlEEPmS8_NS6_8equal_toIiEEEE10hipError_tPvRmT2_T3_mT4_T5_T6_T7_T8_P12ihipStream_tbENKUlT_T0_E_clISt17integral_constantIbLb0EES12_IbLb1EEEEDaSY_SZ_EUlSY_E_NS1_11comp_targetILNS1_3genE3ELNS1_11target_archE908ELNS1_3gpuE7ELNS1_3repE0EEENS1_30default_config_static_selectorELNS0_4arch9wavefront6targetE1EEEvT1_.num_vgpr, 0
	.set _ZN7rocprim17ROCPRIM_400000_NS6detail17trampoline_kernelINS0_14default_configENS1_29reduce_by_key_config_selectorIilN6thrust23THRUST_200600_302600_NS4plusIlEEEEZZNS1_33reduce_by_key_impl_wrapped_configILNS1_25lookback_scan_determinismE0ES3_S9_PiNS6_17constant_iteratorIiNS6_11use_defaultESE_EENS6_10device_ptrIiEENSG_IlEEPmS8_NS6_8equal_toIiEEEE10hipError_tPvRmT2_T3_mT4_T5_T6_T7_T8_P12ihipStream_tbENKUlT_T0_E_clISt17integral_constantIbLb0EES12_IbLb1EEEEDaSY_SZ_EUlSY_E_NS1_11comp_targetILNS1_3genE3ELNS1_11target_archE908ELNS1_3gpuE7ELNS1_3repE0EEENS1_30default_config_static_selectorELNS0_4arch9wavefront6targetE1EEEvT1_.num_agpr, 0
	.set _ZN7rocprim17ROCPRIM_400000_NS6detail17trampoline_kernelINS0_14default_configENS1_29reduce_by_key_config_selectorIilN6thrust23THRUST_200600_302600_NS4plusIlEEEEZZNS1_33reduce_by_key_impl_wrapped_configILNS1_25lookback_scan_determinismE0ES3_S9_PiNS6_17constant_iteratorIiNS6_11use_defaultESE_EENS6_10device_ptrIiEENSG_IlEEPmS8_NS6_8equal_toIiEEEE10hipError_tPvRmT2_T3_mT4_T5_T6_T7_T8_P12ihipStream_tbENKUlT_T0_E_clISt17integral_constantIbLb0EES12_IbLb1EEEEDaSY_SZ_EUlSY_E_NS1_11comp_targetILNS1_3genE3ELNS1_11target_archE908ELNS1_3gpuE7ELNS1_3repE0EEENS1_30default_config_static_selectorELNS0_4arch9wavefront6targetE1EEEvT1_.numbered_sgpr, 0
	.set _ZN7rocprim17ROCPRIM_400000_NS6detail17trampoline_kernelINS0_14default_configENS1_29reduce_by_key_config_selectorIilN6thrust23THRUST_200600_302600_NS4plusIlEEEEZZNS1_33reduce_by_key_impl_wrapped_configILNS1_25lookback_scan_determinismE0ES3_S9_PiNS6_17constant_iteratorIiNS6_11use_defaultESE_EENS6_10device_ptrIiEENSG_IlEEPmS8_NS6_8equal_toIiEEEE10hipError_tPvRmT2_T3_mT4_T5_T6_T7_T8_P12ihipStream_tbENKUlT_T0_E_clISt17integral_constantIbLb0EES12_IbLb1EEEEDaSY_SZ_EUlSY_E_NS1_11comp_targetILNS1_3genE3ELNS1_11target_archE908ELNS1_3gpuE7ELNS1_3repE0EEENS1_30default_config_static_selectorELNS0_4arch9wavefront6targetE1EEEvT1_.num_named_barrier, 0
	.set _ZN7rocprim17ROCPRIM_400000_NS6detail17trampoline_kernelINS0_14default_configENS1_29reduce_by_key_config_selectorIilN6thrust23THRUST_200600_302600_NS4plusIlEEEEZZNS1_33reduce_by_key_impl_wrapped_configILNS1_25lookback_scan_determinismE0ES3_S9_PiNS6_17constant_iteratorIiNS6_11use_defaultESE_EENS6_10device_ptrIiEENSG_IlEEPmS8_NS6_8equal_toIiEEEE10hipError_tPvRmT2_T3_mT4_T5_T6_T7_T8_P12ihipStream_tbENKUlT_T0_E_clISt17integral_constantIbLb0EES12_IbLb1EEEEDaSY_SZ_EUlSY_E_NS1_11comp_targetILNS1_3genE3ELNS1_11target_archE908ELNS1_3gpuE7ELNS1_3repE0EEENS1_30default_config_static_selectorELNS0_4arch9wavefront6targetE1EEEvT1_.private_seg_size, 0
	.set _ZN7rocprim17ROCPRIM_400000_NS6detail17trampoline_kernelINS0_14default_configENS1_29reduce_by_key_config_selectorIilN6thrust23THRUST_200600_302600_NS4plusIlEEEEZZNS1_33reduce_by_key_impl_wrapped_configILNS1_25lookback_scan_determinismE0ES3_S9_PiNS6_17constant_iteratorIiNS6_11use_defaultESE_EENS6_10device_ptrIiEENSG_IlEEPmS8_NS6_8equal_toIiEEEE10hipError_tPvRmT2_T3_mT4_T5_T6_T7_T8_P12ihipStream_tbENKUlT_T0_E_clISt17integral_constantIbLb0EES12_IbLb1EEEEDaSY_SZ_EUlSY_E_NS1_11comp_targetILNS1_3genE3ELNS1_11target_archE908ELNS1_3gpuE7ELNS1_3repE0EEENS1_30default_config_static_selectorELNS0_4arch9wavefront6targetE1EEEvT1_.uses_vcc, 0
	.set _ZN7rocprim17ROCPRIM_400000_NS6detail17trampoline_kernelINS0_14default_configENS1_29reduce_by_key_config_selectorIilN6thrust23THRUST_200600_302600_NS4plusIlEEEEZZNS1_33reduce_by_key_impl_wrapped_configILNS1_25lookback_scan_determinismE0ES3_S9_PiNS6_17constant_iteratorIiNS6_11use_defaultESE_EENS6_10device_ptrIiEENSG_IlEEPmS8_NS6_8equal_toIiEEEE10hipError_tPvRmT2_T3_mT4_T5_T6_T7_T8_P12ihipStream_tbENKUlT_T0_E_clISt17integral_constantIbLb0EES12_IbLb1EEEEDaSY_SZ_EUlSY_E_NS1_11comp_targetILNS1_3genE3ELNS1_11target_archE908ELNS1_3gpuE7ELNS1_3repE0EEENS1_30default_config_static_selectorELNS0_4arch9wavefront6targetE1EEEvT1_.uses_flat_scratch, 0
	.set _ZN7rocprim17ROCPRIM_400000_NS6detail17trampoline_kernelINS0_14default_configENS1_29reduce_by_key_config_selectorIilN6thrust23THRUST_200600_302600_NS4plusIlEEEEZZNS1_33reduce_by_key_impl_wrapped_configILNS1_25lookback_scan_determinismE0ES3_S9_PiNS6_17constant_iteratorIiNS6_11use_defaultESE_EENS6_10device_ptrIiEENSG_IlEEPmS8_NS6_8equal_toIiEEEE10hipError_tPvRmT2_T3_mT4_T5_T6_T7_T8_P12ihipStream_tbENKUlT_T0_E_clISt17integral_constantIbLb0EES12_IbLb1EEEEDaSY_SZ_EUlSY_E_NS1_11comp_targetILNS1_3genE3ELNS1_11target_archE908ELNS1_3gpuE7ELNS1_3repE0EEENS1_30default_config_static_selectorELNS0_4arch9wavefront6targetE1EEEvT1_.has_dyn_sized_stack, 0
	.set _ZN7rocprim17ROCPRIM_400000_NS6detail17trampoline_kernelINS0_14default_configENS1_29reduce_by_key_config_selectorIilN6thrust23THRUST_200600_302600_NS4plusIlEEEEZZNS1_33reduce_by_key_impl_wrapped_configILNS1_25lookback_scan_determinismE0ES3_S9_PiNS6_17constant_iteratorIiNS6_11use_defaultESE_EENS6_10device_ptrIiEENSG_IlEEPmS8_NS6_8equal_toIiEEEE10hipError_tPvRmT2_T3_mT4_T5_T6_T7_T8_P12ihipStream_tbENKUlT_T0_E_clISt17integral_constantIbLb0EES12_IbLb1EEEEDaSY_SZ_EUlSY_E_NS1_11comp_targetILNS1_3genE3ELNS1_11target_archE908ELNS1_3gpuE7ELNS1_3repE0EEENS1_30default_config_static_selectorELNS0_4arch9wavefront6targetE1EEEvT1_.has_recursion, 0
	.set _ZN7rocprim17ROCPRIM_400000_NS6detail17trampoline_kernelINS0_14default_configENS1_29reduce_by_key_config_selectorIilN6thrust23THRUST_200600_302600_NS4plusIlEEEEZZNS1_33reduce_by_key_impl_wrapped_configILNS1_25lookback_scan_determinismE0ES3_S9_PiNS6_17constant_iteratorIiNS6_11use_defaultESE_EENS6_10device_ptrIiEENSG_IlEEPmS8_NS6_8equal_toIiEEEE10hipError_tPvRmT2_T3_mT4_T5_T6_T7_T8_P12ihipStream_tbENKUlT_T0_E_clISt17integral_constantIbLb0EES12_IbLb1EEEEDaSY_SZ_EUlSY_E_NS1_11comp_targetILNS1_3genE3ELNS1_11target_archE908ELNS1_3gpuE7ELNS1_3repE0EEENS1_30default_config_static_selectorELNS0_4arch9wavefront6targetE1EEEvT1_.has_indirect_call, 0
	.section	.AMDGPU.csdata,"",@progbits
; Kernel info:
; codeLenInByte = 0
; TotalNumSgprs: 4
; NumVgprs: 0
; ScratchSize: 0
; MemoryBound: 0
; FloatMode: 240
; IeeeMode: 1
; LDSByteSize: 0 bytes/workgroup (compile time only)
; SGPRBlocks: 0
; VGPRBlocks: 0
; NumSGPRsForWavesPerEU: 4
; NumVGPRsForWavesPerEU: 1
; Occupancy: 10
; WaveLimiterHint : 0
; COMPUTE_PGM_RSRC2:SCRATCH_EN: 0
; COMPUTE_PGM_RSRC2:USER_SGPR: 6
; COMPUTE_PGM_RSRC2:TRAP_HANDLER: 0
; COMPUTE_PGM_RSRC2:TGID_X_EN: 1
; COMPUTE_PGM_RSRC2:TGID_Y_EN: 0
; COMPUTE_PGM_RSRC2:TGID_Z_EN: 0
; COMPUTE_PGM_RSRC2:TIDIG_COMP_CNT: 0
	.section	.text._ZN7rocprim17ROCPRIM_400000_NS6detail17trampoline_kernelINS0_14default_configENS1_29reduce_by_key_config_selectorIilN6thrust23THRUST_200600_302600_NS4plusIlEEEEZZNS1_33reduce_by_key_impl_wrapped_configILNS1_25lookback_scan_determinismE0ES3_S9_PiNS6_17constant_iteratorIiNS6_11use_defaultESE_EENS6_10device_ptrIiEENSG_IlEEPmS8_NS6_8equal_toIiEEEE10hipError_tPvRmT2_T3_mT4_T5_T6_T7_T8_P12ihipStream_tbENKUlT_T0_E_clISt17integral_constantIbLb0EES12_IbLb1EEEEDaSY_SZ_EUlSY_E_NS1_11comp_targetILNS1_3genE2ELNS1_11target_archE906ELNS1_3gpuE6ELNS1_3repE0EEENS1_30default_config_static_selectorELNS0_4arch9wavefront6targetE1EEEvT1_,"axG",@progbits,_ZN7rocprim17ROCPRIM_400000_NS6detail17trampoline_kernelINS0_14default_configENS1_29reduce_by_key_config_selectorIilN6thrust23THRUST_200600_302600_NS4plusIlEEEEZZNS1_33reduce_by_key_impl_wrapped_configILNS1_25lookback_scan_determinismE0ES3_S9_PiNS6_17constant_iteratorIiNS6_11use_defaultESE_EENS6_10device_ptrIiEENSG_IlEEPmS8_NS6_8equal_toIiEEEE10hipError_tPvRmT2_T3_mT4_T5_T6_T7_T8_P12ihipStream_tbENKUlT_T0_E_clISt17integral_constantIbLb0EES12_IbLb1EEEEDaSY_SZ_EUlSY_E_NS1_11comp_targetILNS1_3genE2ELNS1_11target_archE906ELNS1_3gpuE6ELNS1_3repE0EEENS1_30default_config_static_selectorELNS0_4arch9wavefront6targetE1EEEvT1_,comdat
	.protected	_ZN7rocprim17ROCPRIM_400000_NS6detail17trampoline_kernelINS0_14default_configENS1_29reduce_by_key_config_selectorIilN6thrust23THRUST_200600_302600_NS4plusIlEEEEZZNS1_33reduce_by_key_impl_wrapped_configILNS1_25lookback_scan_determinismE0ES3_S9_PiNS6_17constant_iteratorIiNS6_11use_defaultESE_EENS6_10device_ptrIiEENSG_IlEEPmS8_NS6_8equal_toIiEEEE10hipError_tPvRmT2_T3_mT4_T5_T6_T7_T8_P12ihipStream_tbENKUlT_T0_E_clISt17integral_constantIbLb0EES12_IbLb1EEEEDaSY_SZ_EUlSY_E_NS1_11comp_targetILNS1_3genE2ELNS1_11target_archE906ELNS1_3gpuE6ELNS1_3repE0EEENS1_30default_config_static_selectorELNS0_4arch9wavefront6targetE1EEEvT1_ ; -- Begin function _ZN7rocprim17ROCPRIM_400000_NS6detail17trampoline_kernelINS0_14default_configENS1_29reduce_by_key_config_selectorIilN6thrust23THRUST_200600_302600_NS4plusIlEEEEZZNS1_33reduce_by_key_impl_wrapped_configILNS1_25lookback_scan_determinismE0ES3_S9_PiNS6_17constant_iteratorIiNS6_11use_defaultESE_EENS6_10device_ptrIiEENSG_IlEEPmS8_NS6_8equal_toIiEEEE10hipError_tPvRmT2_T3_mT4_T5_T6_T7_T8_P12ihipStream_tbENKUlT_T0_E_clISt17integral_constantIbLb0EES12_IbLb1EEEEDaSY_SZ_EUlSY_E_NS1_11comp_targetILNS1_3genE2ELNS1_11target_archE906ELNS1_3gpuE6ELNS1_3repE0EEENS1_30default_config_static_selectorELNS0_4arch9wavefront6targetE1EEEvT1_
	.globl	_ZN7rocprim17ROCPRIM_400000_NS6detail17trampoline_kernelINS0_14default_configENS1_29reduce_by_key_config_selectorIilN6thrust23THRUST_200600_302600_NS4plusIlEEEEZZNS1_33reduce_by_key_impl_wrapped_configILNS1_25lookback_scan_determinismE0ES3_S9_PiNS6_17constant_iteratorIiNS6_11use_defaultESE_EENS6_10device_ptrIiEENSG_IlEEPmS8_NS6_8equal_toIiEEEE10hipError_tPvRmT2_T3_mT4_T5_T6_T7_T8_P12ihipStream_tbENKUlT_T0_E_clISt17integral_constantIbLb0EES12_IbLb1EEEEDaSY_SZ_EUlSY_E_NS1_11comp_targetILNS1_3genE2ELNS1_11target_archE906ELNS1_3gpuE6ELNS1_3repE0EEENS1_30default_config_static_selectorELNS0_4arch9wavefront6targetE1EEEvT1_
	.p2align	8
	.type	_ZN7rocprim17ROCPRIM_400000_NS6detail17trampoline_kernelINS0_14default_configENS1_29reduce_by_key_config_selectorIilN6thrust23THRUST_200600_302600_NS4plusIlEEEEZZNS1_33reduce_by_key_impl_wrapped_configILNS1_25lookback_scan_determinismE0ES3_S9_PiNS6_17constant_iteratorIiNS6_11use_defaultESE_EENS6_10device_ptrIiEENSG_IlEEPmS8_NS6_8equal_toIiEEEE10hipError_tPvRmT2_T3_mT4_T5_T6_T7_T8_P12ihipStream_tbENKUlT_T0_E_clISt17integral_constantIbLb0EES12_IbLb1EEEEDaSY_SZ_EUlSY_E_NS1_11comp_targetILNS1_3genE2ELNS1_11target_archE906ELNS1_3gpuE6ELNS1_3repE0EEENS1_30default_config_static_selectorELNS0_4arch9wavefront6targetE1EEEvT1_,@function
_ZN7rocprim17ROCPRIM_400000_NS6detail17trampoline_kernelINS0_14default_configENS1_29reduce_by_key_config_selectorIilN6thrust23THRUST_200600_302600_NS4plusIlEEEEZZNS1_33reduce_by_key_impl_wrapped_configILNS1_25lookback_scan_determinismE0ES3_S9_PiNS6_17constant_iteratorIiNS6_11use_defaultESE_EENS6_10device_ptrIiEENSG_IlEEPmS8_NS6_8equal_toIiEEEE10hipError_tPvRmT2_T3_mT4_T5_T6_T7_T8_P12ihipStream_tbENKUlT_T0_E_clISt17integral_constantIbLb0EES12_IbLb1EEEEDaSY_SZ_EUlSY_E_NS1_11comp_targetILNS1_3genE2ELNS1_11target_archE906ELNS1_3gpuE6ELNS1_3repE0EEENS1_30default_config_static_selectorELNS0_4arch9wavefront6targetE1EEEvT1_: ; @_ZN7rocprim17ROCPRIM_400000_NS6detail17trampoline_kernelINS0_14default_configENS1_29reduce_by_key_config_selectorIilN6thrust23THRUST_200600_302600_NS4plusIlEEEEZZNS1_33reduce_by_key_impl_wrapped_configILNS1_25lookback_scan_determinismE0ES3_S9_PiNS6_17constant_iteratorIiNS6_11use_defaultESE_EENS6_10device_ptrIiEENSG_IlEEPmS8_NS6_8equal_toIiEEEE10hipError_tPvRmT2_T3_mT4_T5_T6_T7_T8_P12ihipStream_tbENKUlT_T0_E_clISt17integral_constantIbLb0EES12_IbLb1EEEEDaSY_SZ_EUlSY_E_NS1_11comp_targetILNS1_3genE2ELNS1_11target_archE906ELNS1_3gpuE6ELNS1_3repE0EEENS1_30default_config_static_selectorELNS0_4arch9wavefront6targetE1EEEvT1_
; %bb.0:
	s_load_dwordx4 s[56:59], s[4:5], 0x20
	s_load_dwordx2 s[60:61], s[4:5], 0x30
	s_load_dwordx2 s[36:37], s[4:5], 0x80
	s_add_u32 s0, s0, s7
	s_addc_u32 s1, s1, 0
	v_cmp_ne_u32_e64 s[6:7], 0, v0
	v_cmp_eq_u32_e64 s[38:39], 0, v0
	s_and_saveexec_b64 s[8:9], s[38:39]
	s_cbranch_execz .LBB969_4
; %bb.1:
	s_mov_b64 s[12:13], exec
	v_mbcnt_lo_u32_b32 v1, s12, 0
	v_mbcnt_hi_u32_b32 v1, s13, v1
	v_cmp_eq_u32_e32 vcc, 0, v1
                                        ; implicit-def: $vgpr2
	s_and_saveexec_b64 s[10:11], vcc
	s_cbranch_execz .LBB969_3
; %bb.2:
	s_load_dwordx2 s[14:15], s[4:5], 0x88
	s_bcnt1_i32_b64 s12, s[12:13]
	v_mov_b32_e32 v2, 0
	v_mov_b32_e32 v3, s12
	s_waitcnt lgkmcnt(0)
	global_atomic_add v2, v2, v3, s[14:15] glc
.LBB969_3:
	s_or_b64 exec, exec, s[10:11]
	s_waitcnt vmcnt(0)
	v_readfirstlane_b32 s10, v2
	v_add_u32_e32 v1, s10, v1
	v_mov_b32_e32 v2, 0
	ds_write_b32 v2, v1
.LBB969_4:
	s_or_b64 exec, exec, s[8:9]
	s_load_dwordx4 s[8:11], s[4:5], 0x0
	s_load_dword s12, s[4:5], 0x18
	s_load_dwordx16 s[40:55], s[4:5], 0x40
	v_mov_b32_e32 v2, 0
	s_waitcnt lgkmcnt(0)
	s_barrier
	ds_read_b32 v1, v2
	s_mul_i32 s4, s48, s47
	s_mul_hi_u32 s5, s48, s46
	s_add_i32 s4, s5, s4
	s_mul_i32 s5, s49, s46
	s_add_i32 s13, s4, s5
	s_lshl_b64 s[4:5], s[10:11], 2
	s_add_u32 s4, s8, s4
	s_movk_i32 s8, 0xf00
	s_waitcnt lgkmcnt(0)
	v_readfirstlane_b32 s64, v1
	v_mul_lo_u32 v1, v1, s8
	s_mul_i32 s14, s48, s46
	s_addc_u32 s5, s9, s5
	v_mov_b32_e32 v3, s5
	v_lshlrev_b64 v[1:2], 2, v[1:2]
	s_mov_b64 s[10:11], -1
	v_add_co_u32_e32 v43, vcc, s4, v1
	s_add_u32 s4, s14, s64
	s_addc_u32 s5, s13, 0
	s_add_u32 s14, s50, -1
	s_addc_u32 s15, s51, -1
	s_cmp_eq_u64 s[4:5], s[14:15]
	v_addc_co_u32_e32 v44, vcc, v3, v2, vcc
	s_cselect_b64 s[48:49], -1, 0
	s_cmp_lg_u64 s[4:5], s[14:15]
	s_cselect_b64 s[8:9], -1, 0
	s_mul_i32 s33, s14, 0xfffff100
	s_and_b64 vcc, exec, s[48:49]
	s_barrier
                                        ; implicit-def: $vgpr41
                                        ; implicit-def: $vgpr39
                                        ; implicit-def: $vgpr37
                                        ; implicit-def: $vgpr35
                                        ; implicit-def: $vgpr33
                                        ; implicit-def: $vgpr31
                                        ; implicit-def: $vgpr29
                                        ; implicit-def: $vgpr81
                                        ; implicit-def: $vgpr1
	s_cbranch_vccnz .LBB969_6
; %bb.5:
	v_lshlrev_b32_e32 v5, 2, v0
	v_add_co_u32_e32 v3, vcc, v43, v5
	v_addc_co_u32_e32 v4, vcc, 0, v44, vcc
	v_add_co_u32_e32 v1, vcc, 0x1000, v3
	v_readfirstlane_b32 s10, v43
	v_readfirstlane_b32 s11, v44
	v_addc_co_u32_e32 v2, vcc, 0, v4, vcc
	s_nop 3
	global_load_dword v6, v5, s[10:11]
	global_load_dword v7, v5, s[10:11] offset:1024
	global_load_dword v8, v5, s[10:11] offset:2048
	;; [unrolled: 1-line block ×3, first 2 shown]
	global_load_dword v10, v[1:2], off
	global_load_dword v11, v[1:2], off offset:1024
	global_load_dword v12, v[1:2], off offset:2048
	;; [unrolled: 1-line block ×3, first 2 shown]
	v_add_co_u32_e32 v1, vcc, 0x2000, v3
	v_addc_co_u32_e32 v2, vcc, 0, v4, vcc
	v_add_co_u32_e32 v3, vcc, 0x3000, v3
	v_addc_co_u32_e32 v4, vcc, 0, v4, vcc
	global_load_dword v14, v[1:2], off
	global_load_dword v15, v[1:2], off offset:1024
	global_load_dword v16, v[1:2], off offset:2048
	;; [unrolled: 1-line block ×3, first 2 shown]
	global_load_dword v18, v[3:4], off
	global_load_dword v19, v[3:4], off offset:1024
	global_load_dword v20, v[3:4], off offset:2048
	v_mad_u32_u24 v4, v0, 56, v5
	s_ashr_i32 s13, s12, 31
	s_movk_i32 s10, 0xffcc
	v_mov_b32_e32 v2, s12
	v_mul_u32_u24_e32 v1, 15, v0
	v_mov_b32_e32 v3, s13
	v_mad_i32_i24 v21, v0, s10, v4
	s_mov_b64 s[10:11], 0
	s_waitcnt vmcnt(13)
	ds_write2st64_b32 v5, v6, v7 offset1:4
	s_waitcnt vmcnt(11)
	ds_write2st64_b32 v5, v8, v9 offset0:8 offset1:12
	s_waitcnt vmcnt(9)
	ds_write2st64_b32 v5, v10, v11 offset0:16 offset1:20
	;; [unrolled: 2-line block ×6, first 2 shown]
	s_waitcnt vmcnt(0)
	ds_write_b32 v5, v20 offset:14336
	s_waitcnt lgkmcnt(0)
	s_barrier
	ds_read2_b32 v[41:42], v4 offset1:1
	ds_read2_b32 v[39:40], v4 offset0:2 offset1:3
	ds_read2_b32 v[37:38], v4 offset0:4 offset1:5
	;; [unrolled: 1-line block ×6, first 2 shown]
	ds_read_b32 v81, v4 offset:56
	s_waitcnt lgkmcnt(0)
	s_barrier
	ds_write2st64_b64 v21, v[2:3], v[2:3] offset1:4
	ds_write2st64_b64 v21, v[2:3], v[2:3] offset0:8 offset1:12
	ds_write2st64_b64 v21, v[2:3], v[2:3] offset0:16 offset1:20
	;; [unrolled: 1-line block ×6, first 2 shown]
	ds_write_b64 v21, v[2:3] offset:28672
	s_waitcnt lgkmcnt(0)
	s_barrier
.LBB969_6:
	s_andn2_b64 vcc, exec, s[10:11]
	s_add_i32 s33, s33, s52
	s_cbranch_vccnz .LBB969_38
; %bb.7:
	v_cmp_gt_u32_e32 vcc, s33, v0
                                        ; implicit-def: $vgpr1
	s_and_saveexec_b64 s[10:11], vcc
	s_cbranch_execz .LBB969_9
; %bb.8:
	v_lshlrev_b32_e32 v1, 2, v0
	v_readfirstlane_b32 s14, v43
	v_readfirstlane_b32 s15, v44
	s_nop 4
	global_load_dword v1, v1, s[14:15]
.LBB969_9:
	s_or_b64 exec, exec, s[10:11]
	v_or_b32_e32 v2, 0x100, v0
	v_cmp_gt_u32_e32 vcc, s33, v2
                                        ; implicit-def: $vgpr2
	s_and_saveexec_b64 s[10:11], vcc
	s_cbranch_execz .LBB969_11
; %bb.10:
	v_lshlrev_b32_e32 v2, 2, v0
	v_readfirstlane_b32 s14, v43
	v_readfirstlane_b32 s15, v44
	s_nop 4
	global_load_dword v2, v2, s[14:15] offset:1024
.LBB969_11:
	s_or_b64 exec, exec, s[10:11]
	v_or_b32_e32 v3, 0x200, v0
	v_cmp_gt_u32_e32 vcc, s33, v3
                                        ; implicit-def: $vgpr3
	s_and_saveexec_b64 s[10:11], vcc
	s_cbranch_execz .LBB969_13
; %bb.12:
	v_lshlrev_b32_e32 v3, 2, v0
	v_readfirstlane_b32 s14, v43
	v_readfirstlane_b32 s15, v44
	s_nop 4
	global_load_dword v3, v3, s[14:15] offset:2048
.LBB969_13:
	s_or_b64 exec, exec, s[10:11]
	v_or_b32_e32 v4, 0x300, v0
	v_cmp_gt_u32_e32 vcc, s33, v4
                                        ; implicit-def: $vgpr4
	s_and_saveexec_b64 s[10:11], vcc
	s_cbranch_execz .LBB969_15
; %bb.14:
	v_lshlrev_b32_e32 v4, 2, v0
	v_readfirstlane_b32 s14, v43
	v_readfirstlane_b32 s15, v44
	s_nop 4
	global_load_dword v4, v4, s[14:15] offset:3072
.LBB969_15:
	s_or_b64 exec, exec, s[10:11]
	v_or_b32_e32 v6, 0x400, v0
	v_cmp_gt_u32_e32 vcc, s33, v6
                                        ; implicit-def: $vgpr5
	s_and_saveexec_b64 s[10:11], vcc
	s_cbranch_execz .LBB969_17
; %bb.16:
	v_lshlrev_b32_e32 v5, 2, v6
	v_readfirstlane_b32 s14, v43
	v_readfirstlane_b32 s15, v44
	s_nop 4
	global_load_dword v5, v5, s[14:15]
.LBB969_17:
	s_or_b64 exec, exec, s[10:11]
	v_or_b32_e32 v7, 0x500, v0
	v_cmp_gt_u32_e32 vcc, s33, v7
                                        ; implicit-def: $vgpr6
	s_and_saveexec_b64 s[10:11], vcc
	s_cbranch_execz .LBB969_19
; %bb.18:
	v_lshlrev_b32_e32 v6, 2, v7
	v_readfirstlane_b32 s14, v43
	v_readfirstlane_b32 s15, v44
	s_nop 4
	global_load_dword v6, v6, s[14:15]
.LBB969_19:
	s_or_b64 exec, exec, s[10:11]
	v_or_b32_e32 v8, 0x600, v0
	v_cmp_gt_u32_e32 vcc, s33, v8
                                        ; implicit-def: $vgpr7
	s_and_saveexec_b64 s[10:11], vcc
	s_cbranch_execz .LBB969_21
; %bb.20:
	v_lshlrev_b32_e32 v7, 2, v8
	v_readfirstlane_b32 s14, v43
	v_readfirstlane_b32 s15, v44
	s_nop 4
	global_load_dword v7, v7, s[14:15]
.LBB969_21:
	s_or_b64 exec, exec, s[10:11]
	v_or_b32_e32 v9, 0x700, v0
	v_cmp_gt_u32_e32 vcc, s33, v9
                                        ; implicit-def: $vgpr8
	s_and_saveexec_b64 s[10:11], vcc
	s_cbranch_execz .LBB969_23
; %bb.22:
	v_lshlrev_b32_e32 v8, 2, v9
	v_readfirstlane_b32 s14, v43
	v_readfirstlane_b32 s15, v44
	s_nop 4
	global_load_dword v8, v8, s[14:15]
.LBB969_23:
	s_or_b64 exec, exec, s[10:11]
	v_or_b32_e32 v10, 0x800, v0
	v_cmp_gt_u32_e32 vcc, s33, v10
                                        ; implicit-def: $vgpr9
	s_and_saveexec_b64 s[10:11], vcc
	s_cbranch_execz .LBB969_25
; %bb.24:
	v_lshlrev_b32_e32 v9, 2, v10
	v_readfirstlane_b32 s14, v43
	v_readfirstlane_b32 s15, v44
	s_nop 4
	global_load_dword v9, v9, s[14:15]
.LBB969_25:
	s_or_b64 exec, exec, s[10:11]
	v_or_b32_e32 v11, 0x900, v0
	v_cmp_gt_u32_e32 vcc, s33, v11
                                        ; implicit-def: $vgpr10
	s_and_saveexec_b64 s[10:11], vcc
	s_cbranch_execz .LBB969_27
; %bb.26:
	v_lshlrev_b32_e32 v10, 2, v11
	v_readfirstlane_b32 s14, v43
	v_readfirstlane_b32 s15, v44
	s_nop 4
	global_load_dword v10, v10, s[14:15]
.LBB969_27:
	s_or_b64 exec, exec, s[10:11]
	v_or_b32_e32 v12, 0xa00, v0
	v_cmp_gt_u32_e32 vcc, s33, v12
                                        ; implicit-def: $vgpr11
	s_and_saveexec_b64 s[10:11], vcc
	s_cbranch_execz .LBB969_29
; %bb.28:
	v_lshlrev_b32_e32 v11, 2, v12
	v_readfirstlane_b32 s14, v43
	v_readfirstlane_b32 s15, v44
	s_nop 4
	global_load_dword v11, v11, s[14:15]
.LBB969_29:
	s_or_b64 exec, exec, s[10:11]
	v_or_b32_e32 v13, 0xb00, v0
	v_cmp_gt_u32_e32 vcc, s33, v13
                                        ; implicit-def: $vgpr12
	s_and_saveexec_b64 s[10:11], vcc
	s_cbranch_execz .LBB969_31
; %bb.30:
	v_lshlrev_b32_e32 v12, 2, v13
	v_readfirstlane_b32 s14, v43
	v_readfirstlane_b32 s15, v44
	s_nop 4
	global_load_dword v12, v12, s[14:15]
.LBB969_31:
	s_or_b64 exec, exec, s[10:11]
	v_or_b32_e32 v14, 0xc00, v0
	v_cmp_gt_u32_e32 vcc, s33, v14
                                        ; implicit-def: $vgpr13
	s_and_saveexec_b64 s[10:11], vcc
	s_cbranch_execz .LBB969_33
; %bb.32:
	v_lshlrev_b32_e32 v13, 2, v14
	v_readfirstlane_b32 s14, v43
	v_readfirstlane_b32 s15, v44
	s_nop 4
	global_load_dword v13, v13, s[14:15]
.LBB969_33:
	s_or_b64 exec, exec, s[10:11]
	v_or_b32_e32 v15, 0xd00, v0
	v_cmp_gt_u32_e32 vcc, s33, v15
                                        ; implicit-def: $vgpr14
	s_and_saveexec_b64 s[10:11], vcc
	s_cbranch_execz .LBB969_35
; %bb.34:
	v_lshlrev_b32_e32 v14, 2, v15
	v_readfirstlane_b32 s14, v43
	v_readfirstlane_b32 s15, v44
	s_nop 4
	global_load_dword v14, v14, s[14:15]
.LBB969_35:
	s_or_b64 exec, exec, s[10:11]
	v_or_b32_e32 v16, 0xe00, v0
	v_cmp_gt_u32_e32 vcc, s33, v16
                                        ; implicit-def: $vgpr15
	s_and_saveexec_b64 s[10:11], vcc
	s_cbranch_execz .LBB969_37
; %bb.36:
	v_lshlrev_b32_e32 v15, 2, v16
	v_readfirstlane_b32 s14, v43
	v_readfirstlane_b32 s15, v44
	s_nop 4
	global_load_dword v15, v15, s[14:15]
.LBB969_37:
	s_or_b64 exec, exec, s[10:11]
	v_lshlrev_b32_e32 v16, 2, v0
	s_waitcnt vmcnt(0)
	ds_write2st64_b32 v16, v1, v2 offset1:4
	ds_write2st64_b32 v16, v3, v4 offset0:8 offset1:12
	ds_write2st64_b32 v16, v5, v6 offset0:16 offset1:20
	;; [unrolled: 1-line block ×6, first 2 shown]
	ds_write_b32 v16, v15 offset:14336
	v_mad_u32_u24 v2, v0, 56, v16
	s_waitcnt lgkmcnt(0)
	s_barrier
	ds_read2_b32 v[41:42], v2 offset1:1
	ds_read2_b32 v[39:40], v2 offset0:2 offset1:3
	ds_read2_b32 v[37:38], v2 offset0:4 offset1:5
	ds_read2_b32 v[35:36], v2 offset0:6 offset1:7
	ds_read2_b32 v[33:34], v2 offset0:8 offset1:9
	ds_read2_b32 v[31:32], v2 offset0:10 offset1:11
	ds_read2_b32 v[29:30], v2 offset0:12 offset1:13
	ds_read_b32 v81, v2 offset:56
	s_movk_i32 s10, 0xffcc
	s_ashr_i32 s13, s12, 31
	v_mad_i32_i24 v4, v0, s10, v2
	v_mov_b32_e32 v2, s12
	v_mul_u32_u24_e32 v1, 15, v0
	v_mov_b32_e32 v3, s13
	s_waitcnt lgkmcnt(0)
	s_barrier
	ds_write2st64_b64 v4, v[2:3], v[2:3] offset1:4
	ds_write2st64_b64 v4, v[2:3], v[2:3] offset0:8 offset1:12
	ds_write2st64_b64 v4, v[2:3], v[2:3] offset0:16 offset1:20
	;; [unrolled: 1-line block ×6, first 2 shown]
	ds_write_b64 v4, v[2:3] offset:28672
	s_waitcnt lgkmcnt(0)
	s_barrier
.LBB969_38:
	v_lshlrev_b32_e32 v25, 3, v1
	ds_read_b64 v[75:76], v25 offset:112
	ds_read2_b64 v[1:4], v25 offset0:12 offset1:13
	ds_read2_b64 v[5:8], v25 offset0:10 offset1:11
	ds_read2_b64 v[9:12], v25 offset0:8 offset1:9
	ds_read2_b64 v[13:16], v25 offset0:6 offset1:7
	ds_read2_b64 v[17:20], v25 offset0:4 offset1:5
	ds_read2_b64 v[21:24], v25 offset0:2 offset1:3
	ds_read2_b64 v[25:28], v25 offset1:1
	s_cmp_eq_u64 s[4:5], 0
	s_cselect_b64 s[50:51], -1, 0
	s_cmp_lg_u64 s[4:5], 0
	s_mov_b64 s[62:63], 0
	s_cselect_b64 s[10:11], -1, 0
	s_and_b64 vcc, exec, s[8:9]
	s_waitcnt lgkmcnt(0)
	s_barrier
	s_cbranch_vccz .LBB969_43
; %bb.39:
	s_and_b64 vcc, exec, s[10:11]
	s_cbranch_vccz .LBB969_44
; %bb.40:
	global_load_dword v45, v[43:44], off offset:-4
	v_cmp_ne_u32_e32 vcc, v30, v81
	v_cndmask_b32_e64 v47, 0, 1, vcc
	v_cmp_ne_u32_e32 vcc, v29, v30
	buffer_store_dword v47, off, s[0:3], 0 offset:56
	v_cndmask_b32_e64 v47, 0, 1, vcc
	v_cmp_ne_u32_e32 vcc, v32, v29
	buffer_store_dword v47, off, s[0:3], 0 offset:52
	;; [unrolled: 3-line block ×12, first 2 shown]
	v_cndmask_b32_e64 v47, 0, 1, vcc
	v_cmp_ne_u32_e32 vcc, v41, v42
	v_lshlrev_b32_e32 v46, 2, v0
	buffer_store_dword v47, off, s[0:3], 0 offset:8
	v_cndmask_b32_e64 v47, 0, 1, vcc
	ds_write_b32 v46, v81
	buffer_store_dword v47, off, s[0:3], 0 offset:4
	s_waitcnt vmcnt(0) lgkmcnt(0)
	s_barrier
	s_and_saveexec_b64 s[8:9], s[6:7]
; %bb.41:
	v_add_u32_e32 v45, -4, v46
	ds_read_b32 v45, v45
; %bb.42:
	s_or_b64 exec, exec, s[8:9]
	s_waitcnt lgkmcnt(0)
	v_cmp_ne_u32_e64 s[8:9], v45, v41
	s_mov_b64 s[62:63], -1
	s_branch .LBB969_48
.LBB969_43:
                                        ; implicit-def: $sgpr8_sgpr9
	s_cbranch_execnz .LBB969_49
	s_branch .LBB969_57
.LBB969_44:
                                        ; implicit-def: $sgpr8_sgpr9
	s_cbranch_execz .LBB969_48
; %bb.45:
	v_cmp_ne_u32_e32 vcc, v30, v81
	v_cndmask_b32_e64 v46, 0, 1, vcc
	v_cmp_ne_u32_e32 vcc, v29, v30
	buffer_store_dword v46, off, s[0:3], 0 offset:56
	v_cndmask_b32_e64 v46, 0, 1, vcc
	v_cmp_ne_u32_e32 vcc, v32, v29
	buffer_store_dword v46, off, s[0:3], 0 offset:52
	;; [unrolled: 3-line block ×13, first 2 shown]
	v_cndmask_b32_e64 v46, 0, 1, vcc
	v_lshlrev_b32_e32 v45, 2, v0
	buffer_store_dword v46, off, s[0:3], 0 offset:4
	v_mov_b32_e32 v46, 1
	ds_write_b32 v45, v81
	s_waitcnt vmcnt(0) lgkmcnt(0)
	s_barrier
	buffer_store_dword v46, off, s[0:3], 0
                                        ; implicit-def: $sgpr8_sgpr9
	s_and_saveexec_b64 s[12:13], s[6:7]
	s_xor_b64 s[12:13], exec, s[12:13]
	s_cbranch_execz .LBB969_47
; %bb.46:
	v_add_u32_e32 v45, -4, v45
	ds_read_b32 v45, v45
	s_or_b64 s[62:63], s[62:63], exec
	s_waitcnt lgkmcnt(0)
	v_cmp_ne_u32_e64 s[8:9], v45, v41
.LBB969_47:
	s_or_b64 exec, exec, s[12:13]
.LBB969_48:
	s_branch .LBB969_57
.LBB969_49:
	s_mul_hi_u32 s8, s4, 0xfffff100
	s_mulk_i32 s5, 0xf100
	s_sub_i32 s8, s8, s4
	s_add_i32 s8, s8, s5
	s_mulk_i32 s4, 0xf100
	s_add_u32 s52, s4, s52
	s_addc_u32 s53, s8, s53
	s_and_b64 vcc, exec, s[10:11]
	v_cmp_ne_u32_e64 s[4:5], v30, v81
	v_cmp_ne_u32_e64 s[34:35], v29, v30
	;; [unrolled: 1-line block ×14, first 2 shown]
	v_mad_u32_u24 v45, v0, 15, 14
	v_mad_u32_u24 v71, v0, 15, 13
	;; [unrolled: 1-line block ×14, first 2 shown]
	s_cbranch_vccz .LBB969_53
; %bb.50:
	global_load_dword v73, v[43:44], off offset:-4
	v_mov_b32_e32 v46, 0
	v_cmp_gt_u64_e32 vcc, s[52:53], v[45:46]
	v_mov_b32_e32 v72, v46
	s_and_b64 s[4:5], vcc, s[4:5]
	v_cmp_gt_u64_e32 vcc, s[52:53], v[71:72]
	v_mov_b32_e32 v70, v46
	v_cndmask_b32_e64 v48, 0, 1, s[4:5]
	s_and_b64 s[4:5], vcc, s[34:35]
	v_cmp_gt_u64_e32 vcc, s[52:53], v[69:70]
	v_mov_b32_e32 v68, v46
	buffer_store_dword v48, off, s[0:3], 0 offset:56
	v_cndmask_b32_e64 v48, 0, 1, s[4:5]
	s_and_b64 s[4:5], vcc, s[30:31]
	v_cmp_gt_u64_e32 vcc, s[52:53], v[67:68]
	v_mov_b32_e32 v66, v46
	buffer_store_dword v48, off, s[0:3], 0 offset:52
	;; [unrolled: 5-line block ×9, first 2 shown]
	v_cndmask_b32_e64 v48, 0, 1, s[4:5]
	s_and_b64 s[4:5], vcc, s[14:15]
	v_cmp_gt_u64_e32 vcc, s[52:53], v[51:52]
	buffer_store_dword v48, off, s[0:3], 0 offset:20
	v_cndmask_b32_e64 v48, 0, 1, s[4:5]
	s_and_b64 s[4:5], vcc, s[12:13]
	v_mov_b32_e32 v50, v46
	buffer_store_dword v48, off, s[0:3], 0 offset:16
	v_cndmask_b32_e64 v48, 0, 1, s[4:5]
	v_cmp_gt_u64_e32 vcc, s[52:53], v[49:50]
	buffer_store_dword v48, off, s[0:3], 0 offset:12
	v_mov_b32_e32 v48, v46
	s_and_b64 s[4:5], vcc, s[10:11]
	v_cmp_gt_u64_e32 vcc, s[52:53], v[47:48]
	v_cndmask_b32_e64 v50, 0, 1, s[4:5]
	s_and_b64 s[4:5], vcc, s[8:9]
	v_lshlrev_b32_e32 v44, 2, v0
	v_mul_u32_u24_e32 v43, 15, v0
	v_cndmask_b32_e64 v48, 0, 1, s[4:5]
	ds_write_b32 v44, v81
	buffer_store_dword v50, off, s[0:3], 0 offset:8
	buffer_store_dword v48, off, s[0:3], 0 offset:4
	s_waitcnt vmcnt(0) lgkmcnt(0)
	s_barrier
	s_and_saveexec_b64 s[4:5], s[6:7]
; %bb.51:
	v_add_u32_e32 v44, -4, v44
	ds_read_b32 v73, v44
; %bb.52:
	s_or_b64 exec, exec, s[4:5]
	v_mov_b32_e32 v44, v46
	v_cmp_gt_u64_e32 vcc, s[52:53], v[43:44]
	s_waitcnt lgkmcnt(0)
	v_cmp_ne_u32_e64 s[4:5], v73, v41
	s_and_b64 s[8:9], vcc, s[4:5]
	s_mov_b64 s[62:63], -1
	s_branch .LBB969_57
.LBB969_53:
                                        ; implicit-def: $sgpr8_sgpr9
	s_cbranch_execz .LBB969_57
; %bb.54:
	v_mov_b32_e32 v46, 0
	v_cmp_gt_u64_e32 vcc, s[52:53], v[45:46]
	v_cmp_ne_u32_e64 s[4:5], v30, v81
	v_mov_b32_e32 v72, v46
	s_and_b64 s[4:5], vcc, s[4:5]
	v_cmp_gt_u64_e32 vcc, s[52:53], v[71:72]
	v_cndmask_b32_e64 v44, 0, 1, s[4:5]
	v_cmp_ne_u32_e64 s[4:5], v29, v30
	v_mov_b32_e32 v70, v46
	s_and_b64 s[4:5], vcc, s[4:5]
	v_cmp_gt_u64_e32 vcc, s[52:53], v[69:70]
	buffer_store_dword v44, off, s[0:3], 0 offset:56
	v_cndmask_b32_e64 v44, 0, 1, s[4:5]
	v_cmp_ne_u32_e64 s[4:5], v32, v29
	v_mov_b32_e32 v68, v46
	s_and_b64 s[4:5], vcc, s[4:5]
	v_cmp_gt_u64_e32 vcc, s[52:53], v[67:68]
	buffer_store_dword v44, off, s[0:3], 0 offset:52
	;; [unrolled: 6-line block ×12, first 2 shown]
	v_cndmask_b32_e64 v44, 0, 1, s[4:5]
	v_cmp_ne_u32_e64 s[4:5], v41, v42
	s_and_b64 s[4:5], vcc, s[4:5]
	v_lshlrev_b32_e32 v43, 2, v0
	buffer_store_dword v44, off, s[0:3], 0 offset:8
	v_mov_b32_e32 v44, 1
	v_cndmask_b32_e64 v45, 0, 1, s[4:5]
	ds_write_b32 v43, v81
	buffer_store_dword v45, off, s[0:3], 0 offset:4
	s_waitcnt vmcnt(0) lgkmcnt(0)
	s_barrier
	buffer_store_dword v44, off, s[0:3], 0
                                        ; implicit-def: $sgpr8_sgpr9
	s_and_saveexec_b64 s[10:11], s[6:7]
	s_cbranch_execz .LBB969_56
; %bb.55:
	v_add_u32_e32 v43, -4, v43
	ds_read_b32 v43, v43
	v_mul_u32_u24_e32 v45, 15, v0
	v_cmp_gt_u64_e32 vcc, s[52:53], v[45:46]
	s_or_b64 s[62:63], s[62:63], exec
	s_waitcnt lgkmcnt(0)
	v_cmp_ne_u32_e64 s[4:5], v43, v41
	s_and_b64 s[8:9], vcc, s[4:5]
.LBB969_56:
	s_or_b64 exec, exec, s[10:11]
.LBB969_57:
	v_mov_b32_e32 v82, 1
	s_and_saveexec_b64 s[4:5], s[62:63]
	s_cbranch_execz .LBB969_59
; %bb.58:
	v_cndmask_b32_e64 v82, 0, 1, s[8:9]
	buffer_store_dword v82, off, s[0:3], 0
.LBB969_59:
	s_or_b64 exec, exec, s[4:5]
	buffer_load_dword v95, off, s[0:3], 0 offset:4
	buffer_load_dword v94, off, s[0:3], 0 offset:8
	;; [unrolled: 1-line block ×14, first 2 shown]
	s_cmp_eq_u64 s[46:47], 0
	s_cselect_b64 s[46:47], -1, 0
	s_cmp_lg_u32 s64, 0
	v_mbcnt_lo_u32_b32 v97, -1, 0
	s_waitcnt vmcnt(13)
	v_cmp_eq_u32_e64 s[30:31], 0, v95
	s_waitcnt vmcnt(12)
	v_add3_u32 v43, v95, v82, v94
	v_cmp_eq_u32_e64 s[28:29], 0, v94
	s_waitcnt vmcnt(11)
	v_cmp_eq_u32_e64 s[26:27], 0, v93
	s_waitcnt vmcnt(10)
	;; [unrolled: 2-line block ×12, first 2 shown]
	v_cmp_eq_u32_e32 vcc, 0, v96
	v_add3_u32 v98, v43, v93, v83
	s_cbranch_scc0 .LBB969_121
; %bb.60:
	v_cndmask_b32_e64 v44, 0, v25, s[30:31]
	v_cndmask_b32_e64 v43, 0, v26, s[30:31]
	v_add_co_u32_e64 v44, s[4:5], v44, v27
	v_addc_co_u32_e64 v43, s[4:5], v43, v28, s[4:5]
	v_cndmask_b32_e64 v44, 0, v44, s[28:29]
	v_cndmask_b32_e64 v43, 0, v43, s[28:29]
	v_add_co_u32_e64 v44, s[4:5], v44, v21
	v_addc_co_u32_e64 v43, s[4:5], v43, v22, s[4:5]
	;; [unrolled: 4-line block ×11, first 2 shown]
	v_cndmask_b32_e64 v44, 0, v44, s[8:9]
	v_add3_u32 v45, v98, v84, v85
	v_cndmask_b32_e64 v43, 0, v43, s[8:9]
	v_add_co_u32_e64 v44, s[4:5], v44, v1
	v_add3_u32 v45, v45, v86, v87
	v_addc_co_u32_e64 v43, s[4:5], v43, v2, s[4:5]
	v_cndmask_b32_e64 v44, 0, v44, s[6:7]
	v_add3_u32 v45, v45, v88, v89
	v_cndmask_b32_e64 v43, 0, v43, s[6:7]
	v_add_co_u32_e64 v44, s[4:5], v44, v3
	v_add3_u32 v45, v45, v90, v91
	v_addc_co_u32_e64 v43, s[4:5], v43, v4, s[4:5]
	v_cndmask_b32_e32 v44, 0, v44, vcc
	v_add3_u32 v47, v45, v92, v96
	v_cndmask_b32_e32 v43, 0, v43, vcc
	v_add_co_u32_e32 v45, vcc, v44, v75
	v_mbcnt_hi_u32_b32 v52, -1, v97
	v_addc_co_u32_e32 v46, vcc, v43, v76, vcc
	v_and_b32_e32 v43, 15, v52
	v_mov_b32_dpp v48, v47 row_shr:1 row_mask:0xf bank_mask:0xf
	v_mov_b32_dpp v44, v45 row_shr:1 row_mask:0xf bank_mask:0xf
	;; [unrolled: 1-line block ×3, first 2 shown]
	v_cmp_ne_u32_e32 vcc, 0, v43
	s_and_saveexec_b64 s[4:5], vcc
; %bb.61:
	v_cmp_eq_u32_e32 vcc, 0, v47
	v_cndmask_b32_e32 v44, 0, v44, vcc
	v_add_u32_e32 v48, v48, v47
	v_cndmask_b32_e32 v47, 0, v49, vcc
	v_add_co_u32_e32 v45, vcc, v44, v45
	v_addc_co_u32_e32 v46, vcc, v47, v46, vcc
	v_mov_b32_e32 v47, v48
; %bb.62:
	s_or_b64 exec, exec, s[4:5]
	s_nop 0
	v_mov_b32_dpp v48, v47 row_shr:2 row_mask:0xf bank_mask:0xf
	v_mov_b32_dpp v44, v45 row_shr:2 row_mask:0xf bank_mask:0xf
	v_mov_b32_dpp v49, v46 row_shr:2 row_mask:0xf bank_mask:0xf
	v_cmp_lt_u32_e32 vcc, 1, v43
	s_and_saveexec_b64 s[4:5], vcc
; %bb.63:
	v_cmp_eq_u32_e32 vcc, 0, v47
	v_cndmask_b32_e32 v44, 0, v44, vcc
	v_add_u32_e32 v48, v48, v47
	v_cndmask_b32_e32 v47, 0, v49, vcc
	v_add_co_u32_e32 v45, vcc, v44, v45
	v_addc_co_u32_e32 v46, vcc, v47, v46, vcc
	v_mov_b32_e32 v47, v48
; %bb.64:
	s_or_b64 exec, exec, s[4:5]
	s_nop 0
	v_mov_b32_dpp v48, v47 row_shr:4 row_mask:0xf bank_mask:0xf
	v_mov_b32_dpp v44, v45 row_shr:4 row_mask:0xf bank_mask:0xf
	v_mov_b32_dpp v49, v46 row_shr:4 row_mask:0xf bank_mask:0xf
	v_cmp_lt_u32_e32 vcc, 3, v43
	;; [unrolled: 16-line block ×3, first 2 shown]
	s_and_saveexec_b64 s[4:5], vcc
; %bb.67:
	v_cmp_eq_u32_e32 vcc, 0, v47
	v_cndmask_b32_e32 v44, 0, v44, vcc
	v_add_u32_e32 v43, v48, v47
	v_cndmask_b32_e32 v47, 0, v49, vcc
	v_add_co_u32_e32 v45, vcc, v44, v45
	v_addc_co_u32_e32 v46, vcc, v47, v46, vcc
	v_mov_b32_e32 v47, v43
; %bb.68:
	s_or_b64 exec, exec, s[4:5]
	v_and_b32_e32 v49, 16, v52
	v_mov_b32_dpp v44, v47 row_bcast:15 row_mask:0xf bank_mask:0xf
	v_mov_b32_dpp v43, v45 row_bcast:15 row_mask:0xf bank_mask:0xf
	;; [unrolled: 1-line block ×3, first 2 shown]
	v_cmp_ne_u32_e32 vcc, 0, v49
	s_and_saveexec_b64 s[4:5], vcc
; %bb.69:
	v_cmp_eq_u32_e32 vcc, 0, v47
	v_cndmask_b32_e32 v43, 0, v43, vcc
	v_add_u32_e32 v44, v44, v47
	v_cndmask_b32_e32 v47, 0, v48, vcc
	v_add_co_u32_e32 v45, vcc, v43, v45
	v_addc_co_u32_e32 v46, vcc, v47, v46, vcc
	v_mov_b32_e32 v47, v44
; %bb.70:
	s_or_b64 exec, exec, s[4:5]
	s_nop 0
	v_mov_b32_dpp v44, v47 row_bcast:31 row_mask:0xf bank_mask:0xf
	v_mov_b32_dpp v43, v45 row_bcast:31 row_mask:0xf bank_mask:0xf
	v_mov_b32_dpp v48, v46 row_bcast:31 row_mask:0xf bank_mask:0xf
	v_cmp_lt_u32_e32 vcc, 31, v52
	s_and_saveexec_b64 s[4:5], vcc
; %bb.71:
	v_cmp_eq_u32_e32 vcc, 0, v47
	v_cndmask_b32_e32 v43, 0, v43, vcc
	v_add_u32_e32 v44, v44, v47
	v_cndmask_b32_e32 v47, 0, v48, vcc
	v_add_co_u32_e32 v45, vcc, v43, v45
	v_addc_co_u32_e32 v46, vcc, v47, v46, vcc
	v_mov_b32_e32 v47, v44
; %bb.72:
	s_or_b64 exec, exec, s[4:5]
	v_lshrrev_b32_e32 v43, 6, v0
	v_or_b32_e32 v44, 63, v0
	v_cmp_eq_u32_e32 vcc, v0, v44
	v_lshlrev_b32_e32 v48, 4, v43
	s_and_saveexec_b64 s[4:5], vcc
	s_cbranch_execz .LBB969_74
; %bb.73:
	ds_write_b32 v48, v47 offset:2080
	ds_write_b64 v48, v[45:46] offset:2088
.LBB969_74:
	s_or_b64 exec, exec, s[4:5]
	v_cmp_gt_u32_e32 vcc, 4, v0
	s_waitcnt lgkmcnt(0)
	s_barrier
	s_and_saveexec_b64 s[4:5], vcc
	s_cbranch_execz .LBB969_80
; %bb.75:
	v_lshlrev_b32_e32 v49, 4, v0
	ds_read_b32 v50, v49 offset:2080
	ds_read_b64 v[43:44], v49 offset:2088
	v_and_b32_e32 v51, 3, v52
	v_cmp_ne_u32_e32 vcc, 0, v51
	s_waitcnt lgkmcnt(1)
	v_mov_b32_dpp v54, v50 row_shr:1 row_mask:0xf bank_mask:0xf
	s_waitcnt lgkmcnt(0)
	v_mov_b32_dpp v53, v43 row_shr:1 row_mask:0xf bank_mask:0xf
	v_mov_b32_dpp v55, v44 row_shr:1 row_mask:0xf bank_mask:0xf
	s_and_saveexec_b64 s[34:35], vcc
; %bb.76:
	v_cmp_eq_u32_e32 vcc, 0, v50
	v_cndmask_b32_e32 v53, 0, v53, vcc
	v_add_u32_e32 v54, v54, v50
	v_cndmask_b32_e32 v50, 0, v55, vcc
	v_add_co_u32_e32 v43, vcc, v53, v43
	v_addc_co_u32_e32 v44, vcc, v50, v44, vcc
	v_mov_b32_e32 v50, v54
; %bb.77:
	s_or_b64 exec, exec, s[34:35]
	s_nop 0
	v_mov_b32_dpp v54, v50 row_shr:2 row_mask:0xf bank_mask:0xf
	v_mov_b32_dpp v53, v43 row_shr:2 row_mask:0xf bank_mask:0xf
	;; [unrolled: 1-line block ×3, first 2 shown]
	v_cmp_lt_u32_e32 vcc, 1, v51
	s_and_saveexec_b64 s[34:35], vcc
; %bb.78:
	v_cmp_eq_u32_e32 vcc, 0, v50
	v_cndmask_b32_e32 v53, 0, v53, vcc
	v_add_u32_e32 v51, v54, v50
	v_cndmask_b32_e32 v50, 0, v55, vcc
	v_add_co_u32_e32 v43, vcc, v53, v43
	v_addc_co_u32_e32 v44, vcc, v50, v44, vcc
	v_mov_b32_e32 v50, v51
; %bb.79:
	s_or_b64 exec, exec, s[34:35]
	ds_write_b32 v49, v50 offset:2080
	ds_write_b64 v49, v[43:44] offset:2088
.LBB969_80:
	s_or_b64 exec, exec, s[4:5]
	v_mov_b32_e32 v43, 0
	v_cmp_gt_u32_e32 vcc, 64, v0
	v_cmp_lt_u32_e64 s[4:5], 63, v0
	v_mov_b32_e32 v44, 0
	v_mov_b32_e32 v55, 0
	s_waitcnt lgkmcnt(0)
	s_barrier
	s_and_saveexec_b64 s[34:35], s[4:5]
	s_cbranch_execz .LBB969_82
; %bb.81:
	ds_read_b32 v55, v48 offset:2064
	ds_read_b64 v[43:44], v48 offset:2072
	v_cmp_eq_u32_e64 s[4:5], 0, v47
	s_waitcnt lgkmcnt(1)
	v_add_u32_e32 v48, v55, v47
	s_waitcnt lgkmcnt(0)
	v_cndmask_b32_e64 v49, 0, v43, s[4:5]
	v_cndmask_b32_e64 v47, 0, v44, s[4:5]
	v_add_co_u32_e64 v45, s[4:5], v49, v45
	v_addc_co_u32_e64 v46, s[4:5], v47, v46, s[4:5]
	v_mov_b32_e32 v47, v48
.LBB969_82:
	s_or_b64 exec, exec, s[34:35]
	v_subrev_co_u32_e64 v48, s[34:35], 1, v52
	v_and_b32_e32 v49, 64, v52
	v_cmp_lt_i32_e64 s[4:5], v48, v49
	v_cndmask_b32_e64 v48, v48, v52, s[4:5]
	v_lshlrev_b32_e32 v48, 2, v48
	ds_bpermute_b32 v56, v48, v47
	ds_bpermute_b32 v57, v48, v45
	;; [unrolled: 1-line block ×3, first 2 shown]
	s_and_saveexec_b64 s[52:53], vcc
	s_cbranch_execz .LBB969_126
; %bb.83:
	v_mov_b32_e32 v49, 0
	ds_read_b32 v59, v49 offset:2128
	ds_read_b64 v[45:46], v49 offset:2136
	s_and_saveexec_b64 s[4:5], s[34:35]
	s_cbranch_execz .LBB969_85
; %bb.84:
	s_add_i32 s62, s64, 64
	s_mov_b32 s63, 0
	s_lshl_b64 s[66:67], s[62:63], 4
	s_add_u32 s66, s40, s66
	s_addc_u32 s67, s41, s67
	v_mov_b32_e32 v47, 1
	v_mov_b32_e32 v48, s62
	s_waitcnt lgkmcnt(1)
	global_store_dword v49, v59, s[66:67]
	s_waitcnt lgkmcnt(0)
	global_store_dwordx2 v49, v[45:46], s[66:67] offset:8
	s_waitcnt vmcnt(0)
	buffer_wbinvl1_vol
	global_store_byte v48, v47, s[44:45]
.LBB969_85:
	s_or_b64 exec, exec, s[4:5]
	v_xad_u32 v47, v52, -1, s64
	v_add_u32_e32 v48, 64, v47
	global_load_ubyte v60, v48, s[44:45] glc
	s_waitcnt vmcnt(0)
	v_cmp_eq_u16_e32 vcc, 0, v60
	s_and_saveexec_b64 s[4:5], vcc
	s_cbranch_execz .LBB969_89
; %bb.86:
	v_mov_b32_e32 v51, s45
	v_add_co_u32_e32 v50, vcc, s44, v48
	v_addc_co_u32_e32 v51, vcc, 0, v51, vcc
	s_mov_b64 s[62:63], 0
.LBB969_87:                             ; =>This Inner Loop Header: Depth=1
	global_load_ubyte v60, v[50:51], off glc
	s_waitcnt vmcnt(0)
	v_cmp_ne_u16_e32 vcc, 0, v60
	s_or_b64 s[62:63], vcc, s[62:63]
	s_andn2_b64 exec, exec, s[62:63]
	s_cbranch_execnz .LBB969_87
; %bb.88:
	s_or_b64 exec, exec, s[62:63]
.LBB969_89:
	s_or_b64 exec, exec, s[4:5]
	v_mov_b32_e32 v50, s43
	v_mov_b32_e32 v51, s41
	v_cmp_eq_u16_e32 vcc, 1, v60
	v_cndmask_b32_e32 v50, v50, v51, vcc
	v_mov_b32_e32 v51, s42
	v_mov_b32_e32 v53, s40
	v_lshlrev_b64 v[48:49], 4, v[48:49]
	v_cndmask_b32_e32 v51, v51, v53, vcc
	v_add_co_u32_e32 v48, vcc, v51, v48
	v_addc_co_u32_e32 v49, vcc, v50, v49, vcc
	s_waitcnt lgkmcnt(0)
	buffer_wbinvl1_vol
	global_load_dword v77, v[48:49], off
	global_load_dwordx2 v[53:54], v[48:49], off offset:8
	v_and_b32_e32 v61, 63, v52
	v_lshlrev_b64 v[49:50], v52, -1
	v_cmp_ne_u32_e64 s[4:5], 63, v61
	v_cmp_eq_u16_e32 vcc, 2, v60
	v_addc_co_u32_e64 v48, s[4:5], 0, v52, s[4:5]
	v_and_b32_e32 v51, vcc_hi, v50
	v_lshlrev_b32_e32 v62, 2, v48
	v_or_b32_e32 v48, 0x80000000, v51
	v_and_b32_e32 v65, vcc_lo, v49
	v_ffbl_b32_e32 v48, v48
	v_add_u32_e32 v48, 32, v48
	v_ffbl_b32_e32 v65, v65
	v_min_u32_e32 v48, v65, v48
	v_cmp_lt_u32_e32 vcc, v61, v48
	s_waitcnt vmcnt(1)
	ds_bpermute_b32 v63, v62, v77
	s_waitcnt vmcnt(0)
	ds_bpermute_b32 v51, v62, v53
	ds_bpermute_b32 v64, v62, v54
	s_and_saveexec_b64 s[4:5], vcc
	s_cbranch_execz .LBB969_91
; %bb.90:
	v_cmp_eq_u32_e32 vcc, 0, v77
	s_waitcnt lgkmcnt(1)
	v_cndmask_b32_e32 v51, 0, v51, vcc
	v_add_u32_e32 v63, v63, v77
	s_waitcnt lgkmcnt(0)
	v_cndmask_b32_e32 v64, 0, v64, vcc
	v_add_co_u32_e32 v53, vcc, v51, v53
	v_addc_co_u32_e32 v54, vcc, v64, v54, vcc
	v_mov_b32_e32 v77, v63
.LBB969_91:
	s_or_b64 exec, exec, s[4:5]
	v_cmp_gt_u32_e32 vcc, 62, v61
	s_waitcnt lgkmcnt(1)
	v_cndmask_b32_e64 v51, 0, 2, vcc
	v_add_lshl_u32 v63, v51, v52, 2
	ds_bpermute_b32 v65, v63, v77
	ds_bpermute_b32 v51, v63, v53
	ds_bpermute_b32 v66, v63, v54
	s_waitcnt lgkmcnt(3)
	v_add_u32_e32 v64, 2, v61
	v_cmp_le_u32_e32 vcc, v64, v48
	s_and_saveexec_b64 s[4:5], vcc
	s_cbranch_execz .LBB969_93
; %bb.92:
	v_cmp_eq_u32_e32 vcc, 0, v77
	s_waitcnt lgkmcnt(1)
	v_cndmask_b32_e32 v51, 0, v51, vcc
	v_add_u32_e32 v65, v65, v77
	s_waitcnt lgkmcnt(0)
	v_cndmask_b32_e32 v66, 0, v66, vcc
	v_add_co_u32_e32 v53, vcc, v51, v53
	v_addc_co_u32_e32 v54, vcc, v66, v54, vcc
	v_mov_b32_e32 v77, v65
.LBB969_93:
	s_or_b64 exec, exec, s[4:5]
	v_cmp_gt_u32_e32 vcc, 60, v61
	s_waitcnt lgkmcnt(1)
	v_cndmask_b32_e64 v51, 0, 4, vcc
	v_add_lshl_u32 v65, v51, v52, 2
	ds_bpermute_b32 v67, v65, v77
	ds_bpermute_b32 v51, v65, v53
	ds_bpermute_b32 v68, v65, v54
	s_waitcnt lgkmcnt(3)
	v_add_u32_e32 v66, 4, v61
	v_cmp_le_u32_e32 vcc, v66, v48
	;; [unrolled: 24-line block ×4, first 2 shown]
	s_and_saveexec_b64 s[4:5], vcc
	s_cbranch_execz .LBB969_99
; %bb.98:
	v_cmp_eq_u32_e32 vcc, 0, v77
	s_waitcnt lgkmcnt(1)
	v_cndmask_b32_e32 v51, 0, v51, vcc
	v_add_u32_e32 v71, v71, v77
	s_waitcnt lgkmcnt(0)
	v_cndmask_b32_e32 v72, 0, v72, vcc
	v_add_co_u32_e32 v53, vcc, v51, v53
	v_addc_co_u32_e32 v54, vcc, v72, v54, vcc
	v_mov_b32_e32 v77, v71
.LBB969_99:
	s_or_b64 exec, exec, s[4:5]
	s_waitcnt lgkmcnt(1)
	v_mov_b32_e32 v51, 0x80
	s_waitcnt lgkmcnt(0)
	v_lshl_or_b32 v72, v52, 2, v51
	ds_bpermute_b32 v52, v72, v77
	ds_bpermute_b32 v51, v72, v53
	;; [unrolled: 1-line block ×3, first 2 shown]
	v_add_u32_e32 v73, 32, v61
	v_cmp_le_u32_e32 vcc, v73, v48
	s_and_saveexec_b64 s[4:5], vcc
	s_cbranch_execz .LBB969_101
; %bb.100:
	v_cmp_eq_u32_e32 vcc, 0, v77
	s_waitcnt lgkmcnt(1)
	v_cndmask_b32_e32 v51, 0, v51, vcc
	v_add_u32_e32 v48, v52, v77
	s_waitcnt lgkmcnt(0)
	v_cndmask_b32_e32 v52, 0, v71, vcc
	v_add_co_u32_e32 v53, vcc, v51, v53
	v_addc_co_u32_e32 v54, vcc, v52, v54, vcc
	v_mov_b32_e32 v77, v48
.LBB969_101:
	s_or_b64 exec, exec, s[4:5]
	v_mov_b32_e32 v48, 0
	v_mov_b32_e32 v74, 2
	s_branch .LBB969_104
.LBB969_102:                            ;   in Loop: Header=BB969_104 Depth=1
	s_or_b64 exec, exec, s[4:5]
	v_cmp_eq_u32_e32 vcc, 0, v71
	v_cndmask_b32_e32 v53, 0, v53, vcc
	v_cndmask_b32_e32 v54, 0, v54, vcc
	v_add_co_u32_e32 v53, vcc, v53, v51
	v_subrev_u32_e32 v47, 64, v47
	v_add_u32_e32 v77, v78, v71
	v_addc_co_u32_e32 v54, vcc, v54, v52, vcc
	s_mov_b64 s[4:5], 0
.LBB969_103:                            ;   in Loop: Header=BB969_104 Depth=1
	s_and_b64 vcc, exec, s[4:5]
	s_cbranch_vccnz .LBB969_122
.LBB969_104:                            ; =>This Loop Header: Depth=1
                                        ;     Child Loop BB969_107 Depth 2
	s_waitcnt lgkmcnt(1)
	v_mov_b32_e32 v51, v53
	v_cmp_ne_u16_sdwa s[4:5], v60, v74 src0_sel:BYTE_0 src1_sel:DWORD
	v_mov_b32_e32 v52, v54
	s_waitcnt lgkmcnt(0)
	v_mov_b32_e32 v71, v77
	s_cmp_lg_u64 s[4:5], exec
	s_mov_b64 s[4:5], -1
                                        ; implicit-def: $vgpr53_vgpr54
                                        ; implicit-def: $vgpr77
                                        ; implicit-def: $vgpr60
	s_cbranch_scc1 .LBB969_103
; %bb.105:                              ;   in Loop: Header=BB969_104 Depth=1
	global_load_ubyte v60, v47, s[44:45] glc
	s_waitcnt vmcnt(0)
	v_cmp_eq_u16_e32 vcc, 0, v60
	s_and_saveexec_b64 s[4:5], vcc
	s_cbranch_execz .LBB969_109
; %bb.106:                              ;   in Loop: Header=BB969_104 Depth=1
	v_mov_b32_e32 v54, s45
	v_add_co_u32_e32 v53, vcc, s44, v47
	v_addc_co_u32_e32 v54, vcc, 0, v54, vcc
	s_mov_b64 s[62:63], 0
.LBB969_107:                            ;   Parent Loop BB969_104 Depth=1
                                        ; =>  This Inner Loop Header: Depth=2
	global_load_ubyte v60, v[53:54], off glc
	s_waitcnt vmcnt(0)
	v_cmp_ne_u16_e32 vcc, 0, v60
	s_or_b64 s[62:63], vcc, s[62:63]
	s_andn2_b64 exec, exec, s[62:63]
	s_cbranch_execnz .LBB969_107
; %bb.108:                              ;   in Loop: Header=BB969_104 Depth=1
	s_or_b64 exec, exec, s[62:63]
.LBB969_109:                            ;   in Loop: Header=BB969_104 Depth=1
	s_or_b64 exec, exec, s[4:5]
	v_mov_b32_e32 v53, s43
	v_mov_b32_e32 v54, s41
	v_cmp_eq_u16_e32 vcc, 1, v60
	v_cndmask_b32_e32 v77, v53, v54, vcc
	v_mov_b32_e32 v53, s42
	v_mov_b32_e32 v54, s40
	v_cndmask_b32_e32 v78, v53, v54, vcc
	v_lshlrev_b64 v[53:54], 4, v[47:48]
	buffer_wbinvl1_vol
	v_add_co_u32_e32 v53, vcc, v78, v53
	v_addc_co_u32_e32 v54, vcc, v77, v54, vcc
	global_load_dword v78, v[53:54], off
	s_nop 0
	global_load_dwordx2 v[53:54], v[53:54], off offset:8
	v_cmp_eq_u16_e32 vcc, 2, v60
	v_and_b32_e32 v77, vcc_hi, v50
	v_or_b32_e32 v77, 0x80000000, v77
	v_and_b32_e32 v100, vcc_lo, v49
	v_ffbl_b32_e32 v77, v77
	v_add_u32_e32 v77, 32, v77
	v_ffbl_b32_e32 v100, v100
	v_min_u32_e32 v77, v100, v77
	v_cmp_lt_u32_e32 vcc, v61, v77
	s_waitcnt vmcnt(1)
	ds_bpermute_b32 v80, v62, v78
	s_waitcnt vmcnt(0)
	ds_bpermute_b32 v79, v62, v53
	ds_bpermute_b32 v99, v62, v54
	s_and_saveexec_b64 s[4:5], vcc
	s_cbranch_execz .LBB969_111
; %bb.110:                              ;   in Loop: Header=BB969_104 Depth=1
	v_cmp_eq_u32_e32 vcc, 0, v78
	s_waitcnt lgkmcnt(1)
	v_cndmask_b32_e32 v79, 0, v79, vcc
	v_add_u32_e32 v80, v80, v78
	s_waitcnt lgkmcnt(0)
	v_cndmask_b32_e32 v78, 0, v99, vcc
	v_add_co_u32_e32 v53, vcc, v79, v53
	v_addc_co_u32_e32 v54, vcc, v78, v54, vcc
	v_mov_b32_e32 v78, v80
.LBB969_111:                            ;   in Loop: Header=BB969_104 Depth=1
	s_or_b64 exec, exec, s[4:5]
	s_waitcnt lgkmcnt(2)
	ds_bpermute_b32 v80, v63, v78
	s_waitcnt lgkmcnt(2)
	ds_bpermute_b32 v79, v63, v53
	s_waitcnt lgkmcnt(2)
	ds_bpermute_b32 v99, v63, v54
	v_cmp_le_u32_e32 vcc, v64, v77
	s_and_saveexec_b64 s[4:5], vcc
	s_cbranch_execz .LBB969_113
; %bb.112:                              ;   in Loop: Header=BB969_104 Depth=1
	v_cmp_eq_u32_e32 vcc, 0, v78
	s_waitcnt lgkmcnt(1)
	v_cndmask_b32_e32 v79, 0, v79, vcc
	v_add_u32_e32 v80, v80, v78
	s_waitcnt lgkmcnt(0)
	v_cndmask_b32_e32 v78, 0, v99, vcc
	v_add_co_u32_e32 v53, vcc, v79, v53
	v_addc_co_u32_e32 v54, vcc, v78, v54, vcc
	v_mov_b32_e32 v78, v80
.LBB969_113:                            ;   in Loop: Header=BB969_104 Depth=1
	s_or_b64 exec, exec, s[4:5]
	s_waitcnt lgkmcnt(2)
	ds_bpermute_b32 v80, v65, v78
	s_waitcnt lgkmcnt(2)
	ds_bpermute_b32 v79, v65, v53
	s_waitcnt lgkmcnt(2)
	ds_bpermute_b32 v99, v65, v54
	v_cmp_le_u32_e32 vcc, v66, v77
	;; [unrolled: 21-line block ×5, first 2 shown]
	s_and_saveexec_b64 s[4:5], vcc
	s_cbranch_execz .LBB969_102
; %bb.120:                              ;   in Loop: Header=BB969_104 Depth=1
	v_cmp_eq_u32_e32 vcc, 0, v78
	s_waitcnt lgkmcnt(1)
	v_cndmask_b32_e32 v79, 0, v79, vcc
	v_add_u32_e32 v77, v80, v78
	s_waitcnt lgkmcnt(0)
	v_cndmask_b32_e32 v78, 0, v99, vcc
	v_add_co_u32_e32 v53, vcc, v79, v53
	v_addc_co_u32_e32 v54, vcc, v78, v54, vcc
	v_mov_b32_e32 v78, v77
	s_branch .LBB969_102
.LBB969_121:
                                        ; implicit-def: $vgpr43
                                        ; implicit-def: $vgpr45_vgpr46
                                        ; implicit-def: $vgpr47
                                        ; implicit-def: $vgpr73_vgpr74
                                        ; implicit-def: $vgpr49_vgpr50
                                        ; implicit-def: $vgpr51_vgpr52
                                        ; implicit-def: $vgpr53_vgpr54
                                        ; implicit-def: $vgpr55_vgpr56
                                        ; implicit-def: $vgpr57_vgpr58
                                        ; implicit-def: $vgpr59_vgpr60
                                        ; implicit-def: $vgpr61_vgpr62
                                        ; implicit-def: $vgpr63_vgpr64
                                        ; implicit-def: $vgpr65_vgpr66
                                        ; implicit-def: $vgpr67_vgpr68
                                        ; implicit-def: $vgpr69_vgpr70
                                        ; implicit-def: $vgpr71_vgpr72
                                        ; implicit-def: $vgpr77_vgpr78
                                        ; implicit-def: $vgpr79_vgpr80
                                        ; implicit-def: $vgpr44
	s_cbranch_execnz .LBB969_127
	s_branch .LBB969_154
.LBB969_122:
	s_and_saveexec_b64 s[4:5], s[34:35]
	s_cbranch_execz .LBB969_124
; %bb.123:
	s_mov_b32 s41, 0
	v_cmp_eq_u32_e32 vcc, 0, v59
	s_add_i32 s40, s64, 64
	v_cndmask_b32_e32 v47, 0, v51, vcc
	s_lshl_b64 s[62:63], s[40:41], 4
	v_cndmask_b32_e32 v48, 0, v52, vcc
	v_add_co_u32_e32 v47, vcc, v47, v45
	s_add_u32 s62, s42, s62
	v_add_u32_e32 v49, v71, v59
	v_addc_co_u32_e32 v48, vcc, v48, v46, vcc
	s_addc_u32 s63, s43, s63
	v_mov_b32_e32 v50, 0
	global_store_dword v50, v49, s[62:63]
	global_store_dwordx2 v50, v[47:48], s[62:63] offset:8
	v_mov_b32_e32 v47, 2
	v_mov_b32_e32 v48, s40
	s_waitcnt vmcnt(0) lgkmcnt(0)
	buffer_wbinvl1_vol
	global_store_byte v48, v47, s[44:45]
	ds_write_b32 v50, v59 offset:2048
	ds_write_b64 v50, v[45:46] offset:2056
	ds_write_b32 v50, v71 offset:2064
	ds_write_b64 v50, v[51:52] offset:2072
.LBB969_124:
	s_or_b64 exec, exec, s[4:5]
	s_and_b64 exec, exec, s[38:39]
	s_cbranch_execz .LBB969_126
; %bb.125:
	v_mov_b32_e32 v45, 0
	ds_write_b32 v45, v71 offset:2128
	ds_write_b64 v45, v[51:52] offset:2136
.LBB969_126:
	s_or_b64 exec, exec, s[52:53]
	v_mov_b32_e32 v48, 0
	s_waitcnt vmcnt(0) lgkmcnt(0)
	s_barrier
	ds_read_b32 v47, v48 offset:2128
	ds_read_b64 v[45:46], v48 offset:2136
	v_cndmask_b32_e64 v49, v56, v55, s[34:35]
	v_cmp_eq_u32_e32 vcc, 0, v49
	v_cndmask_b32_e64 v43, v57, v43, s[34:35]
	v_cndmask_b32_e64 v44, v58, v44, s[34:35]
	s_waitcnt lgkmcnt(0)
	v_cndmask_b32_e32 v51, 0, v45, vcc
	v_cndmask_b32_e32 v50, 0, v46, vcc
	v_add_co_u32_e32 v43, vcc, v51, v43
	v_addc_co_u32_e32 v50, vcc, v50, v44, vcc
	v_cndmask_b32_e64 v73, v43, v45, s[38:39]
	v_cmp_eq_u32_e32 vcc, 0, v82
	v_cndmask_b32_e64 v74, v50, v46, s[38:39]
	v_cndmask_b32_e32 v45, 0, v73, vcc
	v_cndmask_b32_e64 v44, v49, 0, s[38:39]
	v_cndmask_b32_e32 v43, 0, v74, vcc
	v_add_co_u32_e32 v49, vcc, v45, v25
	v_addc_co_u32_e32 v50, vcc, v43, v26, vcc
	v_cndmask_b32_e64 v45, 0, v49, s[30:31]
	v_cndmask_b32_e64 v43, 0, v50, s[30:31]
	v_add_co_u32_e32 v51, vcc, v45, v27
	v_addc_co_u32_e32 v52, vcc, v43, v28, vcc
	v_cndmask_b32_e64 v45, 0, v51, s[28:29]
	v_cndmask_b32_e64 v43, 0, v52, s[28:29]
	;; [unrolled: 4-line block ×11, first 2 shown]
	v_add_co_u32_e32 v71, vcc, v45, v7
	v_add_u32_e32 v44, v47, v44
	v_addc_co_u32_e32 v72, vcc, v43, v8, vcc
	s_barrier
	ds_read_b32 v43, v48 offset:2048
	ds_read_b64 v[45:46], v48 offset:2056
	ds_read_b32 v47, v48 offset:2064
	ds_read_b64 v[99:100], v48 offset:2072
	v_cndmask_b32_e64 v77, 0, v71, s[8:9]
	v_cndmask_b32_e64 v78, 0, v72, s[8:9]
	v_add_co_u32_e32 v77, vcc, v77, v1
	v_addc_co_u32_e32 v78, vcc, v78, v2, vcc
	s_waitcnt lgkmcnt(3)
	v_cmp_eq_u32_e32 vcc, 0, v43
	s_waitcnt lgkmcnt(0)
	v_cndmask_b32_e32 v99, 0, v99, vcc
	v_cndmask_b32_e32 v48, 0, v100, vcc
	v_add_co_u32_e32 v45, vcc, v99, v45
	v_cndmask_b32_e64 v80, 0, v78, s[6:7]
	v_cndmask_b32_e64 v79, 0, v77, s[6:7]
	v_addc_co_u32_e32 v46, vcc, v48, v46, vcc
	s_branch .LBB969_154
.LBB969_127:
	s_cmp_eq_u64 s[36:37], 0
	s_cselect_b64 s[4:5], -1, 0
	s_or_b64 s[4:5], s[46:47], s[4:5]
	v_mov_b32_e32 v48, v26
	s_and_b64 vcc, exec, s[4:5]
	v_mov_b32_e32 v47, v25
	s_cbranch_vccnz .LBB969_129
; %bb.128:
	v_mov_b32_e32 v43, 0
	global_load_dwordx2 v[47:48], v43, s[36:37]
.LBB969_129:
	v_cmp_eq_u32_e64 s[28:29], 0, v95
	v_cndmask_b32_e64 v44, 0, v25, s[28:29]
	v_cndmask_b32_e64 v43, 0, v26, s[28:29]
	v_add_co_u32_e32 v44, vcc, v44, v27
	v_cmp_eq_u32_e64 s[26:27], 0, v94
	v_addc_co_u32_e32 v43, vcc, v43, v28, vcc
	v_cndmask_b32_e64 v44, 0, v44, s[26:27]
	v_cndmask_b32_e64 v43, 0, v43, s[26:27]
	v_add_co_u32_e32 v44, vcc, v44, v21
	v_cmp_eq_u32_e64 s[24:25], 0, v93
	v_addc_co_u32_e32 v43, vcc, v43, v22, vcc
	;; [unrolled: 5-line block ×11, first 2 shown]
	v_cndmask_b32_e64 v44, 0, v44, s[8:9]
	v_cndmask_b32_e64 v43, 0, v43, s[8:9]
	v_add_co_u32_e32 v44, vcc, v44, v1
	v_addc_co_u32_e32 v43, vcc, v43, v2, vcc
	v_cmp_eq_u32_e32 vcc, 0, v92
	v_add3_u32 v45, v98, v84, v85
	v_cndmask_b32_e32 v44, 0, v44, vcc
	v_add3_u32 v45, v45, v86, v87
	v_cndmask_b32_e32 v43, 0, v43, vcc
	v_add_co_u32_e64 v44, s[4:5], v44, v3
	v_add3_u32 v45, v45, v88, v89
	v_addc_co_u32_e64 v43, s[4:5], v43, v4, s[4:5]
	v_add3_u32 v45, v45, v90, v91
	v_cmp_eq_u32_e64 s[4:5], 0, v96
	v_add3_u32 v50, v45, v92, v96
	v_cndmask_b32_e64 v45, 0, v43, s[4:5]
	v_cndmask_b32_e64 v43, 0, v44, s[4:5]
	v_add_co_u32_e64 v43, s[4:5], v43, v75
	v_mbcnt_hi_u32_b32 v49, -1, v97
	v_addc_co_u32_e64 v44, s[4:5], v45, v76, s[4:5]
	v_and_b32_e32 v45, 15, v49
	v_mov_b32_dpp v51, v50 row_shr:1 row_mask:0xf bank_mask:0xf
	v_mov_b32_dpp v46, v43 row_shr:1 row_mask:0xf bank_mask:0xf
	;; [unrolled: 1-line block ×3, first 2 shown]
	v_cmp_ne_u32_e64 s[4:5], 0, v45
	s_and_saveexec_b64 s[30:31], s[4:5]
; %bb.130:
	v_cmp_eq_u32_e64 s[4:5], 0, v50
	v_cndmask_b32_e64 v46, 0, v46, s[4:5]
	v_add_u32_e32 v51, v51, v50
	v_cndmask_b32_e64 v50, 0, v52, s[4:5]
	v_add_co_u32_e64 v43, s[4:5], v46, v43
	v_addc_co_u32_e64 v44, s[4:5], v50, v44, s[4:5]
	v_mov_b32_e32 v50, v51
; %bb.131:
	s_or_b64 exec, exec, s[30:31]
	s_nop 0
	v_mov_b32_dpp v51, v50 row_shr:2 row_mask:0xf bank_mask:0xf
	v_mov_b32_dpp v46, v43 row_shr:2 row_mask:0xf bank_mask:0xf
	v_mov_b32_dpp v52, v44 row_shr:2 row_mask:0xf bank_mask:0xf
	v_cmp_lt_u32_e64 s[4:5], 1, v45
	s_and_saveexec_b64 s[30:31], s[4:5]
; %bb.132:
	v_cmp_eq_u32_e64 s[4:5], 0, v50
	v_cndmask_b32_e64 v46, 0, v46, s[4:5]
	v_add_u32_e32 v51, v51, v50
	v_cndmask_b32_e64 v50, 0, v52, s[4:5]
	v_add_co_u32_e64 v43, s[4:5], v46, v43
	v_addc_co_u32_e64 v44, s[4:5], v50, v44, s[4:5]
	v_mov_b32_e32 v50, v51
; %bb.133:
	s_or_b64 exec, exec, s[30:31]
	s_nop 0
	v_mov_b32_dpp v51, v50 row_shr:4 row_mask:0xf bank_mask:0xf
	v_mov_b32_dpp v46, v43 row_shr:4 row_mask:0xf bank_mask:0xf
	v_mov_b32_dpp v52, v44 row_shr:4 row_mask:0xf bank_mask:0xf
	v_cmp_lt_u32_e64 s[4:5], 3, v45
	;; [unrolled: 16-line block ×3, first 2 shown]
	s_and_saveexec_b64 s[30:31], s[4:5]
; %bb.136:
	v_cmp_eq_u32_e64 s[4:5], 0, v50
	v_cndmask_b32_e64 v46, 0, v46, s[4:5]
	v_add_u32_e32 v45, v51, v50
	v_cndmask_b32_e64 v50, 0, v52, s[4:5]
	v_add_co_u32_e64 v43, s[4:5], v46, v43
	v_addc_co_u32_e64 v44, s[4:5], v50, v44, s[4:5]
	v_mov_b32_e32 v50, v45
; %bb.137:
	s_or_b64 exec, exec, s[30:31]
	v_and_b32_e32 v52, 16, v49
	v_mov_b32_dpp v46, v50 row_bcast:15 row_mask:0xf bank_mask:0xf
	v_mov_b32_dpp v45, v43 row_bcast:15 row_mask:0xf bank_mask:0xf
	;; [unrolled: 1-line block ×3, first 2 shown]
	v_cmp_ne_u32_e64 s[4:5], 0, v52
	s_and_saveexec_b64 s[30:31], s[4:5]
; %bb.138:
	v_cmp_eq_u32_e64 s[4:5], 0, v50
	v_cndmask_b32_e64 v45, 0, v45, s[4:5]
	v_add_u32_e32 v46, v46, v50
	v_cndmask_b32_e64 v50, 0, v51, s[4:5]
	v_add_co_u32_e64 v43, s[4:5], v45, v43
	v_addc_co_u32_e64 v44, s[4:5], v50, v44, s[4:5]
	v_mov_b32_e32 v50, v46
; %bb.139:
	s_or_b64 exec, exec, s[30:31]
	s_nop 0
	v_mov_b32_dpp v46, v50 row_bcast:31 row_mask:0xf bank_mask:0xf
	v_mov_b32_dpp v45, v43 row_bcast:31 row_mask:0xf bank_mask:0xf
	;; [unrolled: 1-line block ×3, first 2 shown]
	v_cmp_lt_u32_e64 s[4:5], 31, v49
	s_and_saveexec_b64 s[30:31], s[4:5]
; %bb.140:
	v_cmp_eq_u32_e64 s[4:5], 0, v50
	v_cndmask_b32_e64 v45, 0, v45, s[4:5]
	v_add_u32_e32 v46, v46, v50
	v_cndmask_b32_e64 v50, 0, v51, s[4:5]
	v_add_co_u32_e64 v43, s[4:5], v45, v43
	v_addc_co_u32_e64 v44, s[4:5], v50, v44, s[4:5]
	v_mov_b32_e32 v50, v46
; %bb.141:
	s_or_b64 exec, exec, s[30:31]
	v_lshrrev_b32_e32 v45, 6, v0
	v_or_b32_e32 v46, 63, v0
	v_cmp_eq_u32_e64 s[4:5], v0, v46
	v_lshlrev_b32_e32 v51, 4, v45
	s_and_saveexec_b64 s[30:31], s[4:5]
	s_cbranch_execz .LBB969_143
; %bb.142:
	ds_write_b32 v51, v50 offset:2080
	ds_write_b64 v51, v[43:44] offset:2088
.LBB969_143:
	s_or_b64 exec, exec, s[30:31]
	v_cmp_gt_u32_e64 s[4:5], 4, v0
	s_waitcnt vmcnt(0) lgkmcnt(0)
	s_barrier
	s_and_saveexec_b64 s[30:31], s[4:5]
	s_cbranch_execz .LBB969_149
; %bb.144:
	v_lshlrev_b32_e32 v52, 4, v0
	ds_read_b32 v53, v52 offset:2080
	ds_read_b64 v[45:46], v52 offset:2088
	v_and_b32_e32 v54, 3, v49
	v_cmp_ne_u32_e64 s[4:5], 0, v54
	s_waitcnt lgkmcnt(1)
	v_mov_b32_dpp v56, v53 row_shr:1 row_mask:0xf bank_mask:0xf
	s_waitcnt lgkmcnt(0)
	v_mov_b32_dpp v55, v45 row_shr:1 row_mask:0xf bank_mask:0xf
	v_mov_b32_dpp v57, v46 row_shr:1 row_mask:0xf bank_mask:0xf
	s_and_saveexec_b64 s[34:35], s[4:5]
; %bb.145:
	v_cmp_eq_u32_e64 s[4:5], 0, v53
	v_cndmask_b32_e64 v55, 0, v55, s[4:5]
	v_add_u32_e32 v56, v56, v53
	v_cndmask_b32_e64 v53, 0, v57, s[4:5]
	v_add_co_u32_e64 v45, s[4:5], v55, v45
	v_addc_co_u32_e64 v46, s[4:5], v53, v46, s[4:5]
	v_mov_b32_e32 v53, v56
; %bb.146:
	s_or_b64 exec, exec, s[34:35]
	s_nop 0
	v_mov_b32_dpp v56, v53 row_shr:2 row_mask:0xf bank_mask:0xf
	v_mov_b32_dpp v55, v45 row_shr:2 row_mask:0xf bank_mask:0xf
	;; [unrolled: 1-line block ×3, first 2 shown]
	v_cmp_lt_u32_e64 s[4:5], 1, v54
	s_and_saveexec_b64 s[34:35], s[4:5]
; %bb.147:
	v_cmp_eq_u32_e64 s[4:5], 0, v53
	v_cndmask_b32_e64 v55, 0, v55, s[4:5]
	v_add_u32_e32 v54, v56, v53
	v_cndmask_b32_e64 v53, 0, v57, s[4:5]
	v_add_co_u32_e64 v45, s[4:5], v55, v45
	v_addc_co_u32_e64 v46, s[4:5], v53, v46, s[4:5]
	v_mov_b32_e32 v53, v54
; %bb.148:
	s_or_b64 exec, exec, s[34:35]
	ds_write_b32 v52, v53 offset:2080
	ds_write_b64 v52, v[45:46] offset:2088
.LBB969_149:
	s_or_b64 exec, exec, s[30:31]
	v_mov_b32_e32 v45, v47
	v_cmp_lt_u32_e64 s[4:5], 63, v0
	v_mov_b32_e32 v75, 0
	v_mov_b32_e32 v52, 0
	v_mov_b32_e32 v46, v48
	s_waitcnt lgkmcnt(0)
	s_barrier
	s_and_saveexec_b64 s[30:31], s[4:5]
	s_cbranch_execz .LBB969_151
; %bb.150:
	ds_read_b32 v52, v51 offset:2064
	ds_read_b64 v[45:46], v51 offset:2072
	s_waitcnt lgkmcnt(1)
	v_cmp_eq_u32_e64 s[4:5], 0, v52
	v_cndmask_b32_e64 v53, 0, v47, s[4:5]
	v_cndmask_b32_e64 v51, 0, v48, s[4:5]
	s_waitcnt lgkmcnt(0)
	v_add_co_u32_e64 v45, s[4:5], v53, v45
	v_addc_co_u32_e64 v46, s[4:5], v51, v46, s[4:5]
.LBB969_151:
	s_or_b64 exec, exec, s[30:31]
	v_cmp_eq_u32_e64 s[4:5], 0, v50
	v_cndmask_b32_e64 v53, 0, v45, s[4:5]
	v_add_u32_e32 v51, v52, v50
	v_cndmask_b32_e64 v50, 0, v46, s[4:5]
	v_add_co_u32_e64 v43, s[4:5], v53, v43
	v_addc_co_u32_e64 v44, s[4:5], v50, v44, s[4:5]
	v_subrev_co_u32_e64 v50, s[4:5], 1, v49
	v_and_b32_e32 v53, 64, v49
	v_cmp_lt_i32_e64 s[30:31], v50, v53
	v_cndmask_b32_e64 v49, v50, v49, s[30:31]
	v_lshlrev_b32_e32 v49, 2, v49
	ds_bpermute_b32 v43, v49, v43
	ds_bpermute_b32 v50, v49, v51
	;; [unrolled: 1-line block ×3, first 2 shown]
	s_waitcnt lgkmcnt(2)
	v_cndmask_b32_e64 v73, v43, v45, s[4:5]
	s_waitcnt lgkmcnt(1)
	v_cndmask_b32_e64 v44, v50, v52, s[4:5]
	;; [unrolled: 2-line block ×3, first 2 shown]
	v_cndmask_b32_e64 v43, v73, v47, s[38:39]
	v_cmp_eq_u32_e64 s[4:5], 0, v82
	v_cndmask_b32_e64 v45, v74, v48, s[38:39]
	v_cndmask_b32_e64 v43, 0, v43, s[4:5]
	;; [unrolled: 1-line block ×3, first 2 shown]
	v_add_co_u32_e64 v49, s[4:5], v43, v25
	v_addc_co_u32_e64 v50, s[4:5], v45, v26, s[4:5]
	v_cndmask_b32_e64 v26, 0, v49, s[28:29]
	v_cndmask_b32_e64 v25, 0, v50, s[28:29]
	v_add_co_u32_e64 v51, s[4:5], v26, v27
	v_addc_co_u32_e64 v52, s[4:5], v25, v28, s[4:5]
	v_cndmask_b32_e64 v26, 0, v51, s[26:27]
	v_cndmask_b32_e64 v25, 0, v52, s[26:27]
	;; [unrolled: 4-line block ×11, first 2 shown]
	v_add_co_u32_e64 v71, s[4:5], v6, v7
	v_addc_co_u32_e64 v72, s[4:5], v5, v8, s[4:5]
	v_cndmask_b32_e64 v6, 0, v71, s[8:9]
	ds_read_b32 v43, v75 offset:2128
	v_cndmask_b32_e64 v5, 0, v72, s[8:9]
	v_add_co_u32_e64 v77, s[4:5], v6, v1
	v_addc_co_u32_e64 v78, s[4:5], v5, v2, s[4:5]
	ds_read_b64 v[1:2], v75 offset:2136
	v_cndmask_b32_e32 v80, 0, v78, vcc
	v_cndmask_b32_e32 v79, 0, v77, vcc
	s_waitcnt lgkmcnt(1)
	v_cmp_eq_u32_e32 vcc, 0, v43
	v_cndmask_b32_e32 v6, 0, v47, vcc
	v_cndmask_b32_e32 v5, 0, v48, vcc
	s_waitcnt lgkmcnt(0)
	v_add_co_u32_e32 v45, vcc, v6, v1
	v_addc_co_u32_e32 v46, vcc, v5, v2, vcc
	s_and_saveexec_b64 s[4:5], s[38:39]
	s_cbranch_execz .LBB969_153
; %bb.152:
	v_mov_b32_e32 v74, v48
	v_mov_b32_e32 v44, 0
	v_mov_b32_e32 v1, 2
	v_mov_b32_e32 v73, v47
	global_store_dword v44, v43, s[42:43] offset:1024
	global_store_dwordx2 v44, v[45:46], s[42:43] offset:1032
	s_waitcnt vmcnt(0)
	buffer_wbinvl1_vol
	global_store_byte v44, v1, s[44:45] offset:64
.LBB969_153:
	s_or_b64 exec, exec, s[4:5]
	v_mov_b32_e32 v47, 0
.LBB969_154:
	s_cmp_eq_u64 s[54:55], 0
	s_cselect_b64 s[4:5], -1, 0
	s_or_b64 s[4:5], s[46:47], s[4:5]
	v_mov_b32_e32 v1, 0
	s_and_b64 vcc, exec, s[4:5]
	v_mov_b32_e32 v2, 0
	s_waitcnt vmcnt(0)
	s_barrier
	s_cbranch_vccnz .LBB969_156
; %bb.155:
	v_mov_b32_e32 v1, 0
	global_load_dwordx2 v[1:2], v1, s[54:55]
.LBB969_156:
	s_nop 0
	buffer_load_dword v23, off, s[0:3], 0
	buffer_load_dword v24, off, s[0:3], 0 offset:4
	buffer_load_dword v25, off, s[0:3], 0 offset:8
	;; [unrolled: 1-line block ×13, first 2 shown]
	v_add_u32_e32 v20, v44, v82
	buffer_load_dword v82, off, s[0:3], 0 offset:56
	s_waitcnt vmcnt(15)
	v_lshlrev_b64 v[5:6], 2, v[1:2]
	v_mov_b32_e32 v48, 0
	v_mov_b32_e32 v9, s57
	v_lshlrev_b64 v[7:8], 2, v[47:48]
	v_add_co_u32_e32 v5, vcc, s56, v5
	v_addc_co_u32_e32 v6, vcc, v9, v6, vcc
	v_add_co_u32_e32 v21, vcc, v5, v7
	v_addc_co_u32_e32 v22, vcc, v6, v8, vcc
	v_add_u32_e32 v19, v20, v95
	v_add_u32_e32 v18, v19, v94
	;; [unrolled: 1-line block ×11, first 2 shown]
	s_movk_i32 s4, 0x100
	v_add_u32_e32 v8, v9, v91
	v_add_u32_e32 v7, v8, v92
	s_mov_b64 s[40:41], -1
	s_waitcnt vmcnt(14)
	v_cmp_eq_u32_e32 vcc, 0, v23
	v_cndmask_b32_e64 v5, 1, 2, vcc
	s_waitcnt vmcnt(13)
	v_cmp_eq_u32_e32 vcc, 0, v24
	v_cndmask_b32_e64 v6, 1, 2, vcc
	s_waitcnt vmcnt(12)
	v_cmp_eq_u32_e32 vcc, 0, v25
	v_cmp_ne_u32_e64 s[36:37], 0, v23
	v_cndmask_b32_e64 v23, 1, 2, vcc
	s_waitcnt vmcnt(11)
	v_cmp_eq_u32_e32 vcc, 0, v26
	v_and_b32_e32 v5, v6, v5
	v_cmp_ne_u32_e64 s[34:35], 0, v24
	v_cndmask_b32_e64 v24, 1, 2, vcc
	s_waitcnt vmcnt(10)
	v_cmp_eq_u32_e32 vcc, 0, v27
	v_and_b32_e32 v5, v5, v23
	;; [unrolled: 5-line block ×8, first 2 shown]
	v_cndmask_b32_e64 v83, 1, 2, vcc
	s_waitcnt vmcnt(3)
	v_cmp_eq_u32_e32 vcc, 0, v99
	v_and_b32_e32 v5, v5, v76
	v_cndmask_b32_e64 v84, 1, 2, vcc
	s_waitcnt vmcnt(2)
	v_cmp_eq_u32_e32 vcc, 0, v100
	v_and_b32_e32 v5, v5, v83
	v_cndmask_b32_e64 v85, 1, 2, vcc
	v_and_b32_e32 v5, v5, v84
	s_waitcnt vmcnt(1)
	v_cmp_eq_u32_e32 vcc, 0, v101
	v_and_b32_e32 v5, v5, v85
	v_cndmask_b32_e64 v6, 1, 2, vcc
	s_waitcnt vmcnt(0)
	v_cmp_eq_u32_e32 vcc, 0, v82
	v_and_b32_e32 v5, v5, v6
	v_cndmask_b32_e64 v6, 1, 2, vcc
	v_and_b32_e32 v5, v5, v6
	v_cmp_gt_u32_e32 vcc, s4, v43
	v_cmp_ne_u32_e64 s[18:19], 0, v96
	v_cmp_ne_u32_e64 s[16:17], 0, v97
	;; [unrolled: 1-line block ×7, first 2 shown]
	v_cmp_gt_i16_e64 s[4:5], 2, v5
	s_cbranch_vccz .LBB969_163
; %bb.157:
	s_and_saveexec_b64 s[40:41], s[4:5]
	s_cbranch_execz .LBB969_162
; %bb.158:
	v_cmp_ne_u16_e32 vcc, 1, v5
	s_mov_b64 s[42:43], 0
	s_and_saveexec_b64 s[4:5], vcc
	s_xor_b64 s[4:5], exec, s[4:5]
	s_cbranch_execnz .LBB969_198
; %bb.159:
	s_andn2_saveexec_b64 s[4:5], s[4:5]
	s_cbranch_execnz .LBB969_214
.LBB969_160:
	s_or_b64 exec, exec, s[4:5]
	s_and_b64 exec, exec, s[42:43]
	s_cbranch_execz .LBB969_162
.LBB969_161:
	v_sub_u32_e32 v23, v7, v47
	v_mov_b32_e32 v24, 0
	v_lshlrev_b64 v[23:24], 2, v[23:24]
	v_add_co_u32_e32 v23, vcc, v21, v23
	v_addc_co_u32_e32 v24, vcc, v22, v24, vcc
	global_store_dword v[23:24], v81, off
.LBB969_162:
	s_or_b64 exec, exec, s[40:41]
	s_mov_b64 s[40:41], 0
.LBB969_163:
	s_and_b64 vcc, exec, s[40:41]
	s_cbranch_vccz .LBB969_173
; %bb.164:
	v_cmp_gt_i16_e32 vcc, 2, v5
	s_and_saveexec_b64 s[4:5], vcc
	s_cbranch_execz .LBB969_169
; %bb.165:
	v_cmp_ne_u16_e32 vcc, 1, v5
	s_mov_b64 s[42:43], 0
	s_and_saveexec_b64 s[40:41], vcc
	s_xor_b64 s[40:41], exec, s[40:41]
	s_cbranch_execnz .LBB969_215
; %bb.166:
	s_andn2_saveexec_b64 s[6:7], s[40:41]
	s_cbranch_execnz .LBB969_231
.LBB969_167:
	s_or_b64 exec, exec, s[6:7]
	s_and_b64 exec, exec, s[42:43]
.LBB969_168:
	v_sub_u32_e32 v5, v7, v47
	v_lshlrev_b32_e32 v5, 2, v5
	ds_write_b32 v5, v81
.LBB969_169:
	s_or_b64 exec, exec, s[4:5]
	v_cmp_lt_u32_e32 vcc, v0, v43
	s_waitcnt vmcnt(0) lgkmcnt(0)
	s_barrier
	s_and_saveexec_b64 s[6:7], vcc
	s_cbranch_execz .LBB969_172
; %bb.170:
	v_lshlrev_b32_e32 v23, 2, v0
	s_mov_b64 s[8:9], 0
	v_mov_b32_e32 v6, 0
	v_mov_b32_e32 v5, v0
.LBB969_171:                            ; =>This Inner Loop Header: Depth=1
	ds_read_b32 v26, v23
	v_lshlrev_b64 v[24:25], 2, v[5:6]
	v_add_u32_e32 v5, 0x100, v5
	v_cmp_ge_u32_e32 vcc, v5, v43
	v_add_co_u32_e64 v24, s[4:5], v21, v24
	v_add_u32_e32 v23, 0x400, v23
	v_addc_co_u32_e64 v25, s[4:5], v22, v25, s[4:5]
	s_or_b64 s[8:9], vcc, s[8:9]
	s_waitcnt lgkmcnt(0)
	global_store_dword v[24:25], v26, off
	s_andn2_b64 exec, exec, s[8:9]
	s_cbranch_execnz .LBB969_171
.LBB969_172:
	s_or_b64 exec, exec, s[6:7]
.LBB969_173:
	s_and_b64 s[6:7], s[38:39], s[50:51]
	s_waitcnt vmcnt(0)
	s_barrier
	s_and_saveexec_b64 s[4:5], s[6:7]
	s_cbranch_execz .LBB969_175
; %bb.174:
	v_mov_b32_e32 v5, 0
	buffer_store_dword v5, off, s[0:3], 0
.LBB969_175:
	s_or_b64 exec, exec, s[4:5]
	s_mul_hi_u32 s4, s33, 0x88888889
	s_lshr_b32 s4, s4, 3
	v_cmp_eq_u32_e32 vcc, s4, v0
	s_and_b64 s[6:7], vcc, s[48:49]
	s_and_saveexec_b64 s[4:5], s[6:7]
	s_cbranch_execz .LBB969_177
; %bb.176:
	s_lshl_b32 s6, s33, 2
	v_mov_b32_e32 v5, s6
	s_movk_i32 s6, 0xffc4
	v_mad_i32_i24 v5, v0, s6, v5
	v_mov_b32_e32 v6, 1
	buffer_store_dword v6, v5, s[0:3], 0 offen
.LBB969_177:
	s_or_b64 exec, exec, s[4:5]
	buffer_load_dword v25, off, s[0:3], 0
	buffer_load_dword v26, off, s[0:3], 0 offset:4
	buffer_load_dword v27, off, s[0:3], 0 offset:8
	;; [unrolled: 1-line block ×14, first 2 shown]
	v_add_co_u32_e32 v3, vcc, v79, v3
	v_lshlrev_b64 v[5:6], 3, v[1:2]
	v_addc_co_u32_e32 v4, vcc, v80, v4, vcc
	v_mov_b32_e32 v39, s59
	v_lshlrev_b64 v[22:23], 3, v[47:48]
	v_add_co_u32_e32 v5, vcc, s58, v5
	v_addc_co_u32_e32 v6, vcc, v39, v6, vcc
	v_cndmask_b32_e64 v21, 0, 1, s[50:51]
	v_add_co_u32_e32 v5, vcc, v5, v22
	v_lshlrev_b32_e32 v42, 3, v21
	v_addc_co_u32_e32 v6, vcc, v6, v23, vcc
	v_add_co_u32_e32 v22, vcc, v5, v42
	v_addc_co_u32_e32 v23, vcc, 0, v6, vcc
	v_add_co_u32_e32 v22, vcc, -8, v22
	v_addc_co_u32_e32 v23, vcc, -1, v23, vcc
	s_cmpk_lg_i32 s33, 0xf00
	s_cselect_b64 s[4:5], -1, 0
	s_and_b64 s[4:5], s[4:5], s[48:49]
	v_sub_u32_e32 v41, v43, v21
	v_add_u32_e32 v24, v47, v21
	v_cndmask_b32_e64 v21, 0, 1, s[4:5]
	v_add_u32_e32 v21, v41, v21
	s_movk_i32 s36, 0x100
	s_mov_b64 s[38:39], -1
	s_waitcnt vmcnt(14)
	v_cmp_eq_u32_e32 vcc, 0, v25
	v_cmp_ne_u32_e64 s[34:35], 0, v25
	v_cndmask_b32_e64 v25, 1, 2, vcc
	s_waitcnt vmcnt(13)
	v_cmp_eq_u32_e32 vcc, 0, v26
	v_cmp_ne_u32_e64 s[30:31], 0, v26
	v_cndmask_b32_e64 v26, 1, 2, vcc
	;; [unrolled: 4-line block ×3, first 2 shown]
	s_waitcnt vmcnt(11)
	v_cmp_eq_u32_e32 vcc, 0, v28
	v_and_b32_e32 v25, v26, v25
	v_cmp_ne_u32_e64 s[26:27], 0, v28
	v_cndmask_b32_e64 v28, 1, 2, vcc
	s_waitcnt vmcnt(10)
	v_cmp_eq_u32_e32 vcc, 0, v29
	v_and_b32_e32 v25, v25, v27
	v_cmp_ne_u32_e64 s[24:25], 0, v29
	v_cndmask_b32_e64 v29, 1, 2, vcc
	;; [unrolled: 5-line block ×8, first 2 shown]
	v_and_b32_e32 v25, v25, v34
	s_waitcnt vmcnt(3)
	v_cmp_eq_u32_e32 vcc, 0, v36
	v_and_b32_e32 v25, v25, v35
	v_cndmask_b32_e64 v26, 1, 2, vcc
	s_waitcnt vmcnt(2)
	v_cmp_eq_u32_e32 vcc, 0, v37
	v_and_b32_e32 v25, v25, v26
	v_cndmask_b32_e64 v26, 1, 2, vcc
	;; [unrolled: 4-line block ×4, first 2 shown]
	v_and_b32_e32 v25, v25, v26
	v_cmp_gt_u32_e32 vcc, s36, v21
	v_cmp_ne_u32_e64 s[8:9], 0, v36
	v_cmp_ne_u32_e64 s[10:11], 0, v37
	;; [unrolled: 1-line block ×4, first 2 shown]
	v_cmp_gt_i16_e64 s[36:37], 2, v25
	s_cbranch_vccz .LBB969_184
; %bb.178:
	s_and_saveexec_b64 s[38:39], s[36:37]
	s_cbranch_execz .LBB969_183
; %bb.179:
	v_cmp_ne_u16_e32 vcc, 1, v25
	s_mov_b64 s[40:41], 0
	s_and_saveexec_b64 s[36:37], vcc
	s_xor_b64 s[36:37], exec, s[36:37]
	s_cbranch_execnz .LBB969_232
; %bb.180:
	s_andn2_saveexec_b64 s[36:37], s[36:37]
	s_cbranch_execnz .LBB969_248
.LBB969_181:
	s_or_b64 exec, exec, s[36:37]
	s_and_b64 exec, exec, s[40:41]
	s_cbranch_execz .LBB969_183
.LBB969_182:
	v_sub_u32_e32 v26, v7, v24
	v_mov_b32_e32 v27, 0
	v_lshlrev_b64 v[26:27], 3, v[26:27]
	v_add_co_u32_e32 v26, vcc, v22, v26
	v_addc_co_u32_e32 v27, vcc, v23, v27, vcc
	global_store_dwordx2 v[26:27], v[3:4], off
.LBB969_183:
	s_or_b64 exec, exec, s[38:39]
	s_mov_b64 s[38:39], 0
.LBB969_184:
	s_and_b64 vcc, exec, s[38:39]
	s_cbranch_vccz .LBB969_194
; %bb.185:
	v_cmp_gt_i16_e32 vcc, 2, v25
	s_and_saveexec_b64 s[36:37], vcc
	s_cbranch_execz .LBB969_190
; %bb.186:
	v_cmp_ne_u16_e32 vcc, 1, v25
	s_mov_b64 s[40:41], 0
	s_and_saveexec_b64 s[38:39], vcc
	s_xor_b64 s[38:39], exec, s[38:39]
	s_cbranch_execnz .LBB969_249
; %bb.187:
	s_andn2_saveexec_b64 s[4:5], s[38:39]
	s_cbranch_execnz .LBB969_265
.LBB969_188:
	s_or_b64 exec, exec, s[4:5]
	s_and_b64 exec, exec, s[40:41]
.LBB969_189:
	v_sub_u32_e32 v7, v7, v24
	v_lshlrev_b32_e32 v7, 3, v7
	ds_write_b64 v7, v[3:4]
.LBB969_190:
	s_or_b64 exec, exec, s[36:37]
	v_cmp_lt_u32_e32 vcc, v0, v21
	s_waitcnt vmcnt(0) lgkmcnt(0)
	s_barrier
	s_and_saveexec_b64 s[6:7], vcc
	s_cbranch_execz .LBB969_193
; %bb.191:
	v_lshlrev_b32_e32 v7, 3, v0
	s_mov_b64 s[8:9], 0
	v_mov_b32_e32 v4, 0
	v_mov_b32_e32 v3, v0
.LBB969_192:                            ; =>This Inner Loop Header: Depth=1
	ds_read_b64 v[10:11], v7
	v_lshlrev_b64 v[8:9], 3, v[3:4]
	v_add_u32_e32 v3, 0x100, v3
	v_cmp_ge_u32_e32 vcc, v3, v21
	v_add_co_u32_e64 v8, s[4:5], v22, v8
	v_add_u32_e32 v7, 0x800, v7
	v_addc_co_u32_e64 v9, s[4:5], v23, v9, s[4:5]
	s_or_b64 s[8:9], vcc, s[8:9]
	s_waitcnt lgkmcnt(0)
	global_store_dwordx2 v[8:9], v[10:11], off
	s_andn2_b64 exec, exec, s[8:9]
	s_cbranch_execnz .LBB969_192
.LBB969_193:
	s_or_b64 exec, exec, s[6:7]
.LBB969_194:
	s_movk_i32 s4, 0xff
	v_cmp_eq_u32_e32 vcc, s4, v0
	s_and_b64 s[4:5], vcc, s[48:49]
	s_and_saveexec_b64 s[6:7], s[4:5]
	s_cbranch_execz .LBB969_197
; %bb.195:
	v_add_co_u32_e32 v0, vcc, v43, v47
	v_addc_co_u32_e64 v3, s[4:5], 0, 0, vcc
	v_add_co_u32_e32 v0, vcc, v0, v1
	v_mov_b32_e32 v44, 0
	v_addc_co_u32_e32 v1, vcc, v3, v2, vcc
	s_cmpk_lg_i32 s33, 0xf00
	global_store_dwordx2 v44, v[0:1], s[60:61]
	s_cbranch_scc1 .LBB969_197
; %bb.196:
	v_lshlrev_b64 v[0:1], 3, v[43:44]
	v_add_co_u32_e32 v0, vcc, v5, v0
	v_addc_co_u32_e32 v1, vcc, v6, v1, vcc
	global_store_dwordx2 v[0:1], v[45:46], off offset:-8
.LBB969_197:
	s_endpgm
.LBB969_198:
	s_and_saveexec_b64 s[42:43], s[36:37]
	s_cbranch_execnz .LBB969_266
; %bb.199:
	s_or_b64 exec, exec, s[42:43]
	s_and_saveexec_b64 s[42:43], s[34:35]
	s_cbranch_execnz .LBB969_267
.LBB969_200:
	s_or_b64 exec, exec, s[42:43]
	s_and_saveexec_b64 s[42:43], s[30:31]
	s_cbranch_execnz .LBB969_268
.LBB969_201:
	s_or_b64 exec, exec, s[42:43]
	s_and_saveexec_b64 s[42:43], s[28:29]
	s_cbranch_execnz .LBB969_269
.LBB969_202:
	s_or_b64 exec, exec, s[42:43]
	s_and_saveexec_b64 s[42:43], s[26:27]
	s_cbranch_execnz .LBB969_270
.LBB969_203:
	s_or_b64 exec, exec, s[42:43]
	s_and_saveexec_b64 s[42:43], s[24:25]
	s_cbranch_execnz .LBB969_271
.LBB969_204:
	s_or_b64 exec, exec, s[42:43]
	s_and_saveexec_b64 s[42:43], s[22:23]
	s_cbranch_execnz .LBB969_272
.LBB969_205:
	s_or_b64 exec, exec, s[42:43]
	s_and_saveexec_b64 s[42:43], s[20:21]
	s_cbranch_execnz .LBB969_273
.LBB969_206:
	s_or_b64 exec, exec, s[42:43]
	s_and_saveexec_b64 s[42:43], s[18:19]
	s_cbranch_execnz .LBB969_274
.LBB969_207:
	s_or_b64 exec, exec, s[42:43]
	s_and_saveexec_b64 s[42:43], s[16:17]
	s_cbranch_execnz .LBB969_275
.LBB969_208:
	s_or_b64 exec, exec, s[42:43]
	s_and_saveexec_b64 s[42:43], s[14:15]
	s_cbranch_execnz .LBB969_276
.LBB969_209:
	s_or_b64 exec, exec, s[42:43]
	s_and_saveexec_b64 s[42:43], s[12:13]
	s_cbranch_execnz .LBB969_277
.LBB969_210:
	s_or_b64 exec, exec, s[42:43]
	s_and_saveexec_b64 s[42:43], s[10:11]
	s_cbranch_execnz .LBB969_278
.LBB969_211:
	s_or_b64 exec, exec, s[42:43]
	s_and_saveexec_b64 s[42:43], s[6:7]
	s_cbranch_execz .LBB969_213
.LBB969_212:
	v_sub_u32_e32 v23, v8, v47
	v_mov_b32_e32 v24, 0
	v_lshlrev_b64 v[23:24], 2, v[23:24]
	v_add_co_u32_e32 v23, vcc, v21, v23
	v_addc_co_u32_e32 v24, vcc, v22, v24, vcc
	global_store_dword v[23:24], v30, off
.LBB969_213:
	s_or_b64 exec, exec, s[42:43]
	s_and_b64 s[42:43], s[8:9], exec
	s_andn2_saveexec_b64 s[4:5], s[4:5]
	s_cbranch_execz .LBB969_160
.LBB969_214:
	v_sub_u32_e32 v23, v44, v47
	v_mov_b32_e32 v24, 0
	v_lshlrev_b64 v[25:26], 2, v[23:24]
	v_sub_u32_e32 v23, v20, v47
	v_add_co_u32_e32 v25, vcc, v21, v25
	v_addc_co_u32_e32 v26, vcc, v22, v26, vcc
	global_store_dword v[25:26], v41, off
	v_lshlrev_b64 v[25:26], 2, v[23:24]
	v_sub_u32_e32 v23, v19, v47
	v_add_co_u32_e32 v25, vcc, v21, v25
	v_addc_co_u32_e32 v26, vcc, v22, v26, vcc
	global_store_dword v[25:26], v42, off
	;; [unrolled: 5-line block ×12, first 2 shown]
	v_lshlrev_b64 v[25:26], 2, v[23:24]
	v_sub_u32_e32 v23, v8, v47
	v_add_co_u32_e32 v25, vcc, v21, v25
	v_lshlrev_b64 v[23:24], 2, v[23:24]
	v_addc_co_u32_e32 v26, vcc, v22, v26, vcc
	v_add_co_u32_e32 v23, vcc, v21, v23
	v_addc_co_u32_e32 v24, vcc, v22, v24, vcc
	s_or_b64 s[42:43], s[42:43], exec
	global_store_dword v[25:26], v29, off
	global_store_dword v[23:24], v30, off
	s_or_b64 exec, exec, s[4:5]
	s_and_b64 exec, exec, s[42:43]
	s_cbranch_execnz .LBB969_161
	s_branch .LBB969_162
.LBB969_215:
	s_and_saveexec_b64 s[42:43], s[36:37]
	s_cbranch_execnz .LBB969_279
; %bb.216:
	s_or_b64 exec, exec, s[42:43]
	s_and_saveexec_b64 s[36:37], s[34:35]
	s_cbranch_execnz .LBB969_280
.LBB969_217:
	s_or_b64 exec, exec, s[36:37]
	s_and_saveexec_b64 s[34:35], s[30:31]
	s_cbranch_execnz .LBB969_281
.LBB969_218:
	s_or_b64 exec, exec, s[34:35]
	s_and_saveexec_b64 s[30:31], s[28:29]
	s_cbranch_execnz .LBB969_282
.LBB969_219:
	s_or_b64 exec, exec, s[30:31]
	s_and_saveexec_b64 s[28:29], s[26:27]
	s_cbranch_execnz .LBB969_283
.LBB969_220:
	s_or_b64 exec, exec, s[28:29]
	s_and_saveexec_b64 s[26:27], s[24:25]
	s_cbranch_execnz .LBB969_284
.LBB969_221:
	s_or_b64 exec, exec, s[26:27]
	s_and_saveexec_b64 s[24:25], s[22:23]
	s_cbranch_execnz .LBB969_285
.LBB969_222:
	s_or_b64 exec, exec, s[24:25]
	s_and_saveexec_b64 s[22:23], s[20:21]
	s_cbranch_execnz .LBB969_286
.LBB969_223:
	s_or_b64 exec, exec, s[22:23]
	s_and_saveexec_b64 s[20:21], s[18:19]
	s_cbranch_execnz .LBB969_287
.LBB969_224:
	s_or_b64 exec, exec, s[20:21]
	s_and_saveexec_b64 s[18:19], s[16:17]
	s_cbranch_execnz .LBB969_288
.LBB969_225:
	s_or_b64 exec, exec, s[18:19]
	s_and_saveexec_b64 s[16:17], s[14:15]
	s_cbranch_execnz .LBB969_289
.LBB969_226:
	s_or_b64 exec, exec, s[16:17]
	s_and_saveexec_b64 s[14:15], s[12:13]
	s_cbranch_execnz .LBB969_290
.LBB969_227:
	s_or_b64 exec, exec, s[14:15]
	s_and_saveexec_b64 s[12:13], s[10:11]
	s_cbranch_execnz .LBB969_291
.LBB969_228:
	s_or_b64 exec, exec, s[12:13]
	s_and_saveexec_b64 s[10:11], s[6:7]
.LBB969_229:
	v_sub_u32_e32 v5, v8, v47
	v_lshlrev_b32_e32 v5, 2, v5
	ds_write_b32 v5, v30
.LBB969_230:
	s_or_b64 exec, exec, s[10:11]
	s_and_b64 s[42:43], s[8:9], exec
                                        ; implicit-def: $vgpr41
                                        ; implicit-def: $vgpr39
                                        ; implicit-def: $vgpr37
                                        ; implicit-def: $vgpr35
                                        ; implicit-def: $vgpr33
                                        ; implicit-def: $vgpr31
                                        ; implicit-def: $vgpr29
	s_andn2_saveexec_b64 s[6:7], s[40:41]
	s_cbranch_execz .LBB969_167
.LBB969_231:
	v_sub_u32_e32 v5, v44, v47
	v_lshlrev_b32_e32 v5, 2, v5
	ds_write_b32 v5, v41
	v_sub_u32_e32 v5, v20, v47
	v_lshlrev_b32_e32 v5, 2, v5
	ds_write_b32 v5, v42
	;; [unrolled: 3-line block ×13, first 2 shown]
	v_sub_u32_e32 v5, v8, v47
	v_lshlrev_b32_e32 v5, 2, v5
	s_or_b64 s[42:43], s[42:43], exec
	ds_write_b32 v5, v30
	s_or_b64 exec, exec, s[6:7]
	s_and_b64 exec, exec, s[42:43]
	s_cbranch_execnz .LBB969_168
	s_branch .LBB969_169
.LBB969_232:
	s_and_saveexec_b64 s[40:41], s[34:35]
	s_cbranch_execnz .LBB969_292
; %bb.233:
	s_or_b64 exec, exec, s[40:41]
	s_and_saveexec_b64 s[40:41], s[30:31]
	s_cbranch_execnz .LBB969_293
.LBB969_234:
	s_or_b64 exec, exec, s[40:41]
	s_and_saveexec_b64 s[40:41], s[28:29]
	s_cbranch_execnz .LBB969_294
.LBB969_235:
	s_or_b64 exec, exec, s[40:41]
	s_and_saveexec_b64 s[40:41], s[26:27]
	s_cbranch_execnz .LBB969_295
.LBB969_236:
	s_or_b64 exec, exec, s[40:41]
	s_and_saveexec_b64 s[40:41], s[24:25]
	s_cbranch_execnz .LBB969_296
.LBB969_237:
	s_or_b64 exec, exec, s[40:41]
	s_and_saveexec_b64 s[40:41], s[22:23]
	s_cbranch_execnz .LBB969_297
.LBB969_238:
	s_or_b64 exec, exec, s[40:41]
	s_and_saveexec_b64 s[40:41], s[20:21]
	s_cbranch_execnz .LBB969_298
.LBB969_239:
	s_or_b64 exec, exec, s[40:41]
	s_and_saveexec_b64 s[40:41], s[18:19]
	s_cbranch_execnz .LBB969_299
.LBB969_240:
	s_or_b64 exec, exec, s[40:41]
	s_and_saveexec_b64 s[40:41], s[16:17]
	s_cbranch_execnz .LBB969_300
.LBB969_241:
	s_or_b64 exec, exec, s[40:41]
	s_and_saveexec_b64 s[40:41], s[14:15]
	s_cbranch_execnz .LBB969_301
.LBB969_242:
	s_or_b64 exec, exec, s[40:41]
	s_and_saveexec_b64 s[40:41], s[12:13]
	s_cbranch_execnz .LBB969_302
.LBB969_243:
	s_or_b64 exec, exec, s[40:41]
	s_and_saveexec_b64 s[40:41], s[8:9]
	s_cbranch_execnz .LBB969_303
.LBB969_244:
	s_or_b64 exec, exec, s[40:41]
	s_and_saveexec_b64 s[40:41], s[10:11]
	s_cbranch_execnz .LBB969_304
.LBB969_245:
	s_or_b64 exec, exec, s[40:41]
	s_and_saveexec_b64 s[40:41], s[6:7]
	s_cbranch_execz .LBB969_247
.LBB969_246:
	v_sub_u32_e32 v26, v8, v24
	v_mov_b32_e32 v27, 0
	v_lshlrev_b64 v[26:27], 3, v[26:27]
	v_add_co_u32_e32 v26, vcc, v22, v26
	v_addc_co_u32_e32 v27, vcc, v23, v27, vcc
	global_store_dwordx2 v[26:27], v[77:78], off
.LBB969_247:
	s_or_b64 exec, exec, s[40:41]
	s_and_b64 s[40:41], s[4:5], exec
	s_andn2_saveexec_b64 s[36:37], s[36:37]
	s_cbranch_execz .LBB969_181
.LBB969_248:
	v_sub_u32_e32 v26, v44, v24
	v_mov_b32_e32 v27, 0
	v_lshlrev_b64 v[28:29], 3, v[26:27]
	v_sub_u32_e32 v26, v20, v24
	v_add_co_u32_e32 v28, vcc, v22, v28
	v_addc_co_u32_e32 v29, vcc, v23, v29, vcc
	global_store_dwordx2 v[28:29], v[73:74], off
	v_lshlrev_b64 v[28:29], 3, v[26:27]
	v_sub_u32_e32 v26, v19, v24
	v_add_co_u32_e32 v28, vcc, v22, v28
	v_addc_co_u32_e32 v29, vcc, v23, v29, vcc
	global_store_dwordx2 v[28:29], v[49:50], off
	;; [unrolled: 5-line block ×12, first 2 shown]
	v_lshlrev_b64 v[28:29], 3, v[26:27]
	v_sub_u32_e32 v26, v8, v24
	v_add_co_u32_e32 v28, vcc, v22, v28
	v_lshlrev_b64 v[26:27], 3, v[26:27]
	v_addc_co_u32_e32 v29, vcc, v23, v29, vcc
	v_add_co_u32_e32 v26, vcc, v22, v26
	v_addc_co_u32_e32 v27, vcc, v23, v27, vcc
	s_or_b64 s[40:41], s[40:41], exec
	global_store_dwordx2 v[28:29], v[71:72], off
	global_store_dwordx2 v[26:27], v[77:78], off
	s_or_b64 exec, exec, s[36:37]
	s_and_b64 exec, exec, s[40:41]
	s_cbranch_execnz .LBB969_182
	s_branch .LBB969_183
.LBB969_249:
	s_and_saveexec_b64 s[40:41], s[34:35]
	s_cbranch_execnz .LBB969_305
; %bb.250:
	s_or_b64 exec, exec, s[40:41]
	s_and_saveexec_b64 s[34:35], s[30:31]
	s_cbranch_execnz .LBB969_306
.LBB969_251:
	s_or_b64 exec, exec, s[34:35]
	s_and_saveexec_b64 s[30:31], s[28:29]
	s_cbranch_execnz .LBB969_307
.LBB969_252:
	s_or_b64 exec, exec, s[30:31]
	s_and_saveexec_b64 s[28:29], s[26:27]
	s_cbranch_execnz .LBB969_308
.LBB969_253:
	s_or_b64 exec, exec, s[28:29]
	s_and_saveexec_b64 s[26:27], s[24:25]
	s_cbranch_execnz .LBB969_309
.LBB969_254:
	s_or_b64 exec, exec, s[26:27]
	s_and_saveexec_b64 s[24:25], s[22:23]
	s_cbranch_execnz .LBB969_310
.LBB969_255:
	s_or_b64 exec, exec, s[24:25]
	s_and_saveexec_b64 s[22:23], s[20:21]
	s_cbranch_execnz .LBB969_311
.LBB969_256:
	s_or_b64 exec, exec, s[22:23]
	s_and_saveexec_b64 s[20:21], s[18:19]
	s_cbranch_execnz .LBB969_312
.LBB969_257:
	s_or_b64 exec, exec, s[20:21]
	s_and_saveexec_b64 s[18:19], s[16:17]
	s_cbranch_execnz .LBB969_313
.LBB969_258:
	s_or_b64 exec, exec, s[18:19]
	s_and_saveexec_b64 s[16:17], s[14:15]
	s_cbranch_execnz .LBB969_314
.LBB969_259:
	s_or_b64 exec, exec, s[16:17]
	s_and_saveexec_b64 s[14:15], s[12:13]
	s_cbranch_execnz .LBB969_315
.LBB969_260:
	s_or_b64 exec, exec, s[14:15]
	s_and_saveexec_b64 s[12:13], s[8:9]
	s_cbranch_execnz .LBB969_316
.LBB969_261:
	s_or_b64 exec, exec, s[12:13]
	s_and_saveexec_b64 s[8:9], s[10:11]
	s_cbranch_execnz .LBB969_317
.LBB969_262:
	s_or_b64 exec, exec, s[8:9]
	s_and_saveexec_b64 s[8:9], s[6:7]
.LBB969_263:
	v_sub_u32_e32 v8, v8, v24
	v_lshlrev_b32_e32 v8, 3, v8
	ds_write_b64 v8, v[77:78]
.LBB969_264:
	s_or_b64 exec, exec, s[8:9]
	s_and_b64 s[40:41], s[4:5], exec
                                        ; implicit-def: $vgpr73_vgpr74
                                        ; implicit-def: $vgpr49_vgpr50
                                        ; implicit-def: $vgpr51_vgpr52
                                        ; implicit-def: $vgpr53_vgpr54
                                        ; implicit-def: $vgpr55_vgpr56
                                        ; implicit-def: $vgpr57_vgpr58
                                        ; implicit-def: $vgpr59_vgpr60
                                        ; implicit-def: $vgpr61_vgpr62
                                        ; implicit-def: $vgpr63_vgpr64
                                        ; implicit-def: $vgpr65_vgpr66
                                        ; implicit-def: $vgpr67_vgpr68
                                        ; implicit-def: $vgpr69_vgpr70
                                        ; implicit-def: $vgpr71_vgpr72
                                        ; implicit-def: $vgpr77_vgpr78
                                        ; implicit-def: $vgpr44
                                        ; implicit-def: $vgpr20
                                        ; implicit-def: $vgpr19
                                        ; implicit-def: $vgpr18
                                        ; implicit-def: $vgpr17
                                        ; implicit-def: $vgpr16
                                        ; implicit-def: $vgpr15
                                        ; implicit-def: $vgpr14
                                        ; implicit-def: $vgpr13
                                        ; implicit-def: $vgpr12
                                        ; implicit-def: $vgpr11
                                        ; implicit-def: $vgpr10
                                        ; implicit-def: $vgpr9
                                        ; implicit-def: $vgpr8
	s_andn2_saveexec_b64 s[4:5], s[38:39]
	s_cbranch_execz .LBB969_188
.LBB969_265:
	v_sub_u32_e32 v25, v44, v24
	v_sub_u32_e32 v20, v20, v24
	v_sub_u32_e32 v19, v19, v24
	v_sub_u32_e32 v18, v18, v24
	v_sub_u32_e32 v17, v17, v24
	v_sub_u32_e32 v16, v16, v24
	v_sub_u32_e32 v15, v15, v24
	v_sub_u32_e32 v14, v14, v24
	v_sub_u32_e32 v13, v13, v24
	v_sub_u32_e32 v12, v12, v24
	v_sub_u32_e32 v11, v11, v24
	v_sub_u32_e32 v10, v10, v24
	v_sub_u32_e32 v9, v9, v24
	v_sub_u32_e32 v8, v8, v24
	v_lshlrev_b32_e32 v25, 3, v25
	v_lshlrev_b32_e32 v20, 3, v20
	;; [unrolled: 1-line block ×14, first 2 shown]
	s_or_b64 s[40:41], s[40:41], exec
	ds_write_b64 v25, v[73:74]
	ds_write_b64 v20, v[49:50]
	;; [unrolled: 1-line block ×14, first 2 shown]
	s_or_b64 exec, exec, s[4:5]
	s_and_b64 exec, exec, s[40:41]
	s_cbranch_execnz .LBB969_189
	s_branch .LBB969_190
.LBB969_266:
	v_sub_u32_e32 v23, v44, v47
	v_mov_b32_e32 v24, 0
	v_lshlrev_b64 v[23:24], 2, v[23:24]
	v_add_co_u32_e32 v23, vcc, v21, v23
	v_addc_co_u32_e32 v24, vcc, v22, v24, vcc
	global_store_dword v[23:24], v41, off
	s_or_b64 exec, exec, s[42:43]
	s_and_saveexec_b64 s[42:43], s[34:35]
	s_cbranch_execz .LBB969_200
.LBB969_267:
	v_sub_u32_e32 v23, v20, v47
	v_mov_b32_e32 v24, 0
	v_lshlrev_b64 v[23:24], 2, v[23:24]
	v_add_co_u32_e32 v23, vcc, v21, v23
	v_addc_co_u32_e32 v24, vcc, v22, v24, vcc
	global_store_dword v[23:24], v42, off
	s_or_b64 exec, exec, s[42:43]
	s_and_saveexec_b64 s[42:43], s[30:31]
	s_cbranch_execz .LBB969_201
.LBB969_268:
	v_sub_u32_e32 v23, v19, v47
	v_mov_b32_e32 v24, 0
	v_lshlrev_b64 v[23:24], 2, v[23:24]
	v_add_co_u32_e32 v23, vcc, v21, v23
	v_addc_co_u32_e32 v24, vcc, v22, v24, vcc
	global_store_dword v[23:24], v39, off
	s_or_b64 exec, exec, s[42:43]
	s_and_saveexec_b64 s[42:43], s[28:29]
	s_cbranch_execz .LBB969_202
.LBB969_269:
	v_sub_u32_e32 v23, v18, v47
	v_mov_b32_e32 v24, 0
	v_lshlrev_b64 v[23:24], 2, v[23:24]
	v_add_co_u32_e32 v23, vcc, v21, v23
	v_addc_co_u32_e32 v24, vcc, v22, v24, vcc
	global_store_dword v[23:24], v40, off
	s_or_b64 exec, exec, s[42:43]
	s_and_saveexec_b64 s[42:43], s[26:27]
	s_cbranch_execz .LBB969_203
.LBB969_270:
	v_sub_u32_e32 v23, v17, v47
	v_mov_b32_e32 v24, 0
	v_lshlrev_b64 v[23:24], 2, v[23:24]
	v_add_co_u32_e32 v23, vcc, v21, v23
	v_addc_co_u32_e32 v24, vcc, v22, v24, vcc
	global_store_dword v[23:24], v37, off
	s_or_b64 exec, exec, s[42:43]
	s_and_saveexec_b64 s[42:43], s[24:25]
	s_cbranch_execz .LBB969_204
.LBB969_271:
	v_sub_u32_e32 v23, v16, v47
	v_mov_b32_e32 v24, 0
	v_lshlrev_b64 v[23:24], 2, v[23:24]
	v_add_co_u32_e32 v23, vcc, v21, v23
	v_addc_co_u32_e32 v24, vcc, v22, v24, vcc
	global_store_dword v[23:24], v38, off
	s_or_b64 exec, exec, s[42:43]
	s_and_saveexec_b64 s[42:43], s[22:23]
	s_cbranch_execz .LBB969_205
.LBB969_272:
	v_sub_u32_e32 v23, v15, v47
	v_mov_b32_e32 v24, 0
	v_lshlrev_b64 v[23:24], 2, v[23:24]
	v_add_co_u32_e32 v23, vcc, v21, v23
	v_addc_co_u32_e32 v24, vcc, v22, v24, vcc
	global_store_dword v[23:24], v35, off
	s_or_b64 exec, exec, s[42:43]
	s_and_saveexec_b64 s[42:43], s[20:21]
	s_cbranch_execz .LBB969_206
.LBB969_273:
	v_sub_u32_e32 v23, v14, v47
	v_mov_b32_e32 v24, 0
	v_lshlrev_b64 v[23:24], 2, v[23:24]
	v_add_co_u32_e32 v23, vcc, v21, v23
	v_addc_co_u32_e32 v24, vcc, v22, v24, vcc
	global_store_dword v[23:24], v36, off
	s_or_b64 exec, exec, s[42:43]
	s_and_saveexec_b64 s[42:43], s[18:19]
	s_cbranch_execz .LBB969_207
.LBB969_274:
	v_sub_u32_e32 v23, v13, v47
	v_mov_b32_e32 v24, 0
	v_lshlrev_b64 v[23:24], 2, v[23:24]
	v_add_co_u32_e32 v23, vcc, v21, v23
	v_addc_co_u32_e32 v24, vcc, v22, v24, vcc
	global_store_dword v[23:24], v33, off
	s_or_b64 exec, exec, s[42:43]
	s_and_saveexec_b64 s[42:43], s[16:17]
	s_cbranch_execz .LBB969_208
.LBB969_275:
	v_sub_u32_e32 v23, v12, v47
	v_mov_b32_e32 v24, 0
	v_lshlrev_b64 v[23:24], 2, v[23:24]
	v_add_co_u32_e32 v23, vcc, v21, v23
	v_addc_co_u32_e32 v24, vcc, v22, v24, vcc
	global_store_dword v[23:24], v34, off
	s_or_b64 exec, exec, s[42:43]
	s_and_saveexec_b64 s[42:43], s[14:15]
	s_cbranch_execz .LBB969_209
.LBB969_276:
	v_sub_u32_e32 v23, v11, v47
	v_mov_b32_e32 v24, 0
	v_lshlrev_b64 v[23:24], 2, v[23:24]
	v_add_co_u32_e32 v23, vcc, v21, v23
	v_addc_co_u32_e32 v24, vcc, v22, v24, vcc
	global_store_dword v[23:24], v31, off
	s_or_b64 exec, exec, s[42:43]
	s_and_saveexec_b64 s[42:43], s[12:13]
	s_cbranch_execz .LBB969_210
.LBB969_277:
	v_sub_u32_e32 v23, v10, v47
	v_mov_b32_e32 v24, 0
	v_lshlrev_b64 v[23:24], 2, v[23:24]
	v_add_co_u32_e32 v23, vcc, v21, v23
	v_addc_co_u32_e32 v24, vcc, v22, v24, vcc
	global_store_dword v[23:24], v32, off
	s_or_b64 exec, exec, s[42:43]
	s_and_saveexec_b64 s[42:43], s[10:11]
	s_cbranch_execz .LBB969_211
.LBB969_278:
	v_sub_u32_e32 v23, v9, v47
	v_mov_b32_e32 v24, 0
	v_lshlrev_b64 v[23:24], 2, v[23:24]
	v_add_co_u32_e32 v23, vcc, v21, v23
	v_addc_co_u32_e32 v24, vcc, v22, v24, vcc
	global_store_dword v[23:24], v29, off
	s_or_b64 exec, exec, s[42:43]
	s_and_saveexec_b64 s[42:43], s[6:7]
	s_cbranch_execnz .LBB969_212
	s_branch .LBB969_213
.LBB969_279:
	v_sub_u32_e32 v5, v44, v47
	v_lshlrev_b32_e32 v5, 2, v5
	ds_write_b32 v5, v41
	s_or_b64 exec, exec, s[42:43]
	s_and_saveexec_b64 s[36:37], s[34:35]
	s_cbranch_execz .LBB969_217
.LBB969_280:
	v_sub_u32_e32 v5, v20, v47
	v_lshlrev_b32_e32 v5, 2, v5
	ds_write_b32 v5, v42
	s_or_b64 exec, exec, s[36:37]
	s_and_saveexec_b64 s[34:35], s[30:31]
	s_cbranch_execz .LBB969_218
.LBB969_281:
	v_sub_u32_e32 v5, v19, v47
	v_lshlrev_b32_e32 v5, 2, v5
	ds_write_b32 v5, v39
	s_or_b64 exec, exec, s[34:35]
	s_and_saveexec_b64 s[30:31], s[28:29]
	s_cbranch_execz .LBB969_219
.LBB969_282:
	v_sub_u32_e32 v5, v18, v47
	v_lshlrev_b32_e32 v5, 2, v5
	ds_write_b32 v5, v40
	s_or_b64 exec, exec, s[30:31]
	s_and_saveexec_b64 s[28:29], s[26:27]
	s_cbranch_execz .LBB969_220
.LBB969_283:
	v_sub_u32_e32 v5, v17, v47
	v_lshlrev_b32_e32 v5, 2, v5
	ds_write_b32 v5, v37
	s_or_b64 exec, exec, s[28:29]
	s_and_saveexec_b64 s[26:27], s[24:25]
	s_cbranch_execz .LBB969_221
.LBB969_284:
	v_sub_u32_e32 v5, v16, v47
	v_lshlrev_b32_e32 v5, 2, v5
	ds_write_b32 v5, v38
	s_or_b64 exec, exec, s[26:27]
	s_and_saveexec_b64 s[24:25], s[22:23]
	s_cbranch_execz .LBB969_222
.LBB969_285:
	v_sub_u32_e32 v5, v15, v47
	v_lshlrev_b32_e32 v5, 2, v5
	ds_write_b32 v5, v35
	s_or_b64 exec, exec, s[24:25]
	s_and_saveexec_b64 s[22:23], s[20:21]
	s_cbranch_execz .LBB969_223
.LBB969_286:
	v_sub_u32_e32 v5, v14, v47
	v_lshlrev_b32_e32 v5, 2, v5
	ds_write_b32 v5, v36
	s_or_b64 exec, exec, s[22:23]
	s_and_saveexec_b64 s[20:21], s[18:19]
	s_cbranch_execz .LBB969_224
.LBB969_287:
	v_sub_u32_e32 v5, v13, v47
	v_lshlrev_b32_e32 v5, 2, v5
	ds_write_b32 v5, v33
	s_or_b64 exec, exec, s[20:21]
	s_and_saveexec_b64 s[18:19], s[16:17]
	s_cbranch_execz .LBB969_225
.LBB969_288:
	v_sub_u32_e32 v5, v12, v47
	v_lshlrev_b32_e32 v5, 2, v5
	ds_write_b32 v5, v34
	s_or_b64 exec, exec, s[18:19]
	s_and_saveexec_b64 s[16:17], s[14:15]
	s_cbranch_execz .LBB969_226
.LBB969_289:
	v_sub_u32_e32 v5, v11, v47
	v_lshlrev_b32_e32 v5, 2, v5
	ds_write_b32 v5, v31
	s_or_b64 exec, exec, s[16:17]
	s_and_saveexec_b64 s[14:15], s[12:13]
	s_cbranch_execz .LBB969_227
.LBB969_290:
	v_sub_u32_e32 v5, v10, v47
	v_lshlrev_b32_e32 v5, 2, v5
	ds_write_b32 v5, v32
	s_or_b64 exec, exec, s[14:15]
	s_and_saveexec_b64 s[12:13], s[10:11]
	s_cbranch_execz .LBB969_228
.LBB969_291:
	v_sub_u32_e32 v5, v9, v47
	v_lshlrev_b32_e32 v5, 2, v5
	ds_write_b32 v5, v29
	s_or_b64 exec, exec, s[12:13]
	s_and_saveexec_b64 s[10:11], s[6:7]
	s_cbranch_execnz .LBB969_229
	s_branch .LBB969_230
.LBB969_292:
	v_sub_u32_e32 v26, v44, v24
	v_mov_b32_e32 v27, 0
	v_lshlrev_b64 v[26:27], 3, v[26:27]
	v_add_co_u32_e32 v26, vcc, v22, v26
	v_addc_co_u32_e32 v27, vcc, v23, v27, vcc
	global_store_dwordx2 v[26:27], v[73:74], off
	s_or_b64 exec, exec, s[40:41]
	s_and_saveexec_b64 s[40:41], s[30:31]
	s_cbranch_execz .LBB969_234
.LBB969_293:
	v_sub_u32_e32 v26, v20, v24
	v_mov_b32_e32 v27, 0
	v_lshlrev_b64 v[26:27], 3, v[26:27]
	v_add_co_u32_e32 v26, vcc, v22, v26
	v_addc_co_u32_e32 v27, vcc, v23, v27, vcc
	global_store_dwordx2 v[26:27], v[49:50], off
	s_or_b64 exec, exec, s[40:41]
	s_and_saveexec_b64 s[40:41], s[28:29]
	s_cbranch_execz .LBB969_235
.LBB969_294:
	v_sub_u32_e32 v26, v19, v24
	v_mov_b32_e32 v27, 0
	v_lshlrev_b64 v[26:27], 3, v[26:27]
	v_add_co_u32_e32 v26, vcc, v22, v26
	v_addc_co_u32_e32 v27, vcc, v23, v27, vcc
	global_store_dwordx2 v[26:27], v[51:52], off
	s_or_b64 exec, exec, s[40:41]
	s_and_saveexec_b64 s[40:41], s[26:27]
	s_cbranch_execz .LBB969_236
.LBB969_295:
	v_sub_u32_e32 v26, v18, v24
	v_mov_b32_e32 v27, 0
	v_lshlrev_b64 v[26:27], 3, v[26:27]
	v_add_co_u32_e32 v26, vcc, v22, v26
	v_addc_co_u32_e32 v27, vcc, v23, v27, vcc
	global_store_dwordx2 v[26:27], v[53:54], off
	s_or_b64 exec, exec, s[40:41]
	s_and_saveexec_b64 s[40:41], s[24:25]
	s_cbranch_execz .LBB969_237
.LBB969_296:
	v_sub_u32_e32 v26, v17, v24
	v_mov_b32_e32 v27, 0
	v_lshlrev_b64 v[26:27], 3, v[26:27]
	v_add_co_u32_e32 v26, vcc, v22, v26
	v_addc_co_u32_e32 v27, vcc, v23, v27, vcc
	global_store_dwordx2 v[26:27], v[55:56], off
	s_or_b64 exec, exec, s[40:41]
	s_and_saveexec_b64 s[40:41], s[22:23]
	s_cbranch_execz .LBB969_238
.LBB969_297:
	v_sub_u32_e32 v26, v16, v24
	v_mov_b32_e32 v27, 0
	v_lshlrev_b64 v[26:27], 3, v[26:27]
	v_add_co_u32_e32 v26, vcc, v22, v26
	v_addc_co_u32_e32 v27, vcc, v23, v27, vcc
	global_store_dwordx2 v[26:27], v[57:58], off
	s_or_b64 exec, exec, s[40:41]
	s_and_saveexec_b64 s[40:41], s[20:21]
	s_cbranch_execz .LBB969_239
.LBB969_298:
	v_sub_u32_e32 v26, v15, v24
	v_mov_b32_e32 v27, 0
	v_lshlrev_b64 v[26:27], 3, v[26:27]
	v_add_co_u32_e32 v26, vcc, v22, v26
	v_addc_co_u32_e32 v27, vcc, v23, v27, vcc
	global_store_dwordx2 v[26:27], v[59:60], off
	s_or_b64 exec, exec, s[40:41]
	s_and_saveexec_b64 s[40:41], s[18:19]
	s_cbranch_execz .LBB969_240
.LBB969_299:
	v_sub_u32_e32 v26, v14, v24
	v_mov_b32_e32 v27, 0
	v_lshlrev_b64 v[26:27], 3, v[26:27]
	v_add_co_u32_e32 v26, vcc, v22, v26
	v_addc_co_u32_e32 v27, vcc, v23, v27, vcc
	global_store_dwordx2 v[26:27], v[61:62], off
	s_or_b64 exec, exec, s[40:41]
	s_and_saveexec_b64 s[40:41], s[16:17]
	s_cbranch_execz .LBB969_241
.LBB969_300:
	v_sub_u32_e32 v26, v13, v24
	v_mov_b32_e32 v27, 0
	v_lshlrev_b64 v[26:27], 3, v[26:27]
	v_add_co_u32_e32 v26, vcc, v22, v26
	v_addc_co_u32_e32 v27, vcc, v23, v27, vcc
	global_store_dwordx2 v[26:27], v[63:64], off
	s_or_b64 exec, exec, s[40:41]
	s_and_saveexec_b64 s[40:41], s[14:15]
	s_cbranch_execz .LBB969_242
.LBB969_301:
	v_sub_u32_e32 v26, v12, v24
	v_mov_b32_e32 v27, 0
	v_lshlrev_b64 v[26:27], 3, v[26:27]
	v_add_co_u32_e32 v26, vcc, v22, v26
	v_addc_co_u32_e32 v27, vcc, v23, v27, vcc
	global_store_dwordx2 v[26:27], v[65:66], off
	s_or_b64 exec, exec, s[40:41]
	s_and_saveexec_b64 s[40:41], s[12:13]
	s_cbranch_execz .LBB969_243
.LBB969_302:
	v_sub_u32_e32 v26, v11, v24
	v_mov_b32_e32 v27, 0
	v_lshlrev_b64 v[26:27], 3, v[26:27]
	v_add_co_u32_e32 v26, vcc, v22, v26
	v_addc_co_u32_e32 v27, vcc, v23, v27, vcc
	global_store_dwordx2 v[26:27], v[67:68], off
	s_or_b64 exec, exec, s[40:41]
	s_and_saveexec_b64 s[40:41], s[8:9]
	s_cbranch_execz .LBB969_244
.LBB969_303:
	v_sub_u32_e32 v26, v10, v24
	v_mov_b32_e32 v27, 0
	v_lshlrev_b64 v[26:27], 3, v[26:27]
	v_add_co_u32_e32 v26, vcc, v22, v26
	v_addc_co_u32_e32 v27, vcc, v23, v27, vcc
	global_store_dwordx2 v[26:27], v[69:70], off
	s_or_b64 exec, exec, s[40:41]
	s_and_saveexec_b64 s[40:41], s[10:11]
	s_cbranch_execz .LBB969_245
.LBB969_304:
	v_sub_u32_e32 v26, v9, v24
	v_mov_b32_e32 v27, 0
	v_lshlrev_b64 v[26:27], 3, v[26:27]
	v_add_co_u32_e32 v26, vcc, v22, v26
	v_addc_co_u32_e32 v27, vcc, v23, v27, vcc
	global_store_dwordx2 v[26:27], v[71:72], off
	s_or_b64 exec, exec, s[40:41]
	s_and_saveexec_b64 s[40:41], s[6:7]
	s_cbranch_execnz .LBB969_246
	s_branch .LBB969_247
.LBB969_305:
	v_sub_u32_e32 v25, v44, v24
	v_lshlrev_b32_e32 v25, 3, v25
	ds_write_b64 v25, v[73:74]
	s_or_b64 exec, exec, s[40:41]
	s_and_saveexec_b64 s[34:35], s[30:31]
	s_cbranch_execz .LBB969_251
.LBB969_306:
	v_sub_u32_e32 v20, v20, v24
	v_lshlrev_b32_e32 v20, 3, v20
	ds_write_b64 v20, v[49:50]
	s_or_b64 exec, exec, s[34:35]
	s_and_saveexec_b64 s[30:31], s[28:29]
	s_cbranch_execz .LBB969_252
.LBB969_307:
	v_sub_u32_e32 v19, v19, v24
	v_lshlrev_b32_e32 v19, 3, v19
	ds_write_b64 v19, v[51:52]
	s_or_b64 exec, exec, s[30:31]
	s_and_saveexec_b64 s[28:29], s[26:27]
	s_cbranch_execz .LBB969_253
.LBB969_308:
	v_sub_u32_e32 v18, v18, v24
	v_lshlrev_b32_e32 v18, 3, v18
	ds_write_b64 v18, v[53:54]
	s_or_b64 exec, exec, s[28:29]
	s_and_saveexec_b64 s[26:27], s[24:25]
	s_cbranch_execz .LBB969_254
.LBB969_309:
	v_sub_u32_e32 v17, v17, v24
	v_lshlrev_b32_e32 v17, 3, v17
	ds_write_b64 v17, v[55:56]
	s_or_b64 exec, exec, s[26:27]
	s_and_saveexec_b64 s[24:25], s[22:23]
	s_cbranch_execz .LBB969_255
.LBB969_310:
	v_sub_u32_e32 v16, v16, v24
	v_lshlrev_b32_e32 v16, 3, v16
	ds_write_b64 v16, v[57:58]
	s_or_b64 exec, exec, s[24:25]
	s_and_saveexec_b64 s[22:23], s[20:21]
	s_cbranch_execz .LBB969_256
.LBB969_311:
	v_sub_u32_e32 v15, v15, v24
	v_lshlrev_b32_e32 v15, 3, v15
	ds_write_b64 v15, v[59:60]
	s_or_b64 exec, exec, s[22:23]
	s_and_saveexec_b64 s[20:21], s[18:19]
	s_cbranch_execz .LBB969_257
.LBB969_312:
	v_sub_u32_e32 v14, v14, v24
	v_lshlrev_b32_e32 v14, 3, v14
	ds_write_b64 v14, v[61:62]
	s_or_b64 exec, exec, s[20:21]
	s_and_saveexec_b64 s[18:19], s[16:17]
	s_cbranch_execz .LBB969_258
.LBB969_313:
	v_sub_u32_e32 v13, v13, v24
	v_lshlrev_b32_e32 v13, 3, v13
	ds_write_b64 v13, v[63:64]
	s_or_b64 exec, exec, s[18:19]
	s_and_saveexec_b64 s[16:17], s[14:15]
	s_cbranch_execz .LBB969_259
.LBB969_314:
	v_sub_u32_e32 v12, v12, v24
	v_lshlrev_b32_e32 v12, 3, v12
	ds_write_b64 v12, v[65:66]
	s_or_b64 exec, exec, s[16:17]
	s_and_saveexec_b64 s[14:15], s[12:13]
	s_cbranch_execz .LBB969_260
.LBB969_315:
	v_sub_u32_e32 v11, v11, v24
	v_lshlrev_b32_e32 v11, 3, v11
	ds_write_b64 v11, v[67:68]
	s_or_b64 exec, exec, s[14:15]
	s_and_saveexec_b64 s[12:13], s[8:9]
	s_cbranch_execz .LBB969_261
.LBB969_316:
	v_sub_u32_e32 v10, v10, v24
	v_lshlrev_b32_e32 v10, 3, v10
	ds_write_b64 v10, v[69:70]
	s_or_b64 exec, exec, s[12:13]
	s_and_saveexec_b64 s[8:9], s[10:11]
	s_cbranch_execz .LBB969_262
.LBB969_317:
	v_sub_u32_e32 v9, v9, v24
	v_lshlrev_b32_e32 v9, 3, v9
	ds_write_b64 v9, v[71:72]
	s_or_b64 exec, exec, s[8:9]
	s_and_saveexec_b64 s[8:9], s[6:7]
	s_cbranch_execnz .LBB969_263
	s_branch .LBB969_264
	.section	.rodata,"a",@progbits
	.p2align	6, 0x0
	.amdhsa_kernel _ZN7rocprim17ROCPRIM_400000_NS6detail17trampoline_kernelINS0_14default_configENS1_29reduce_by_key_config_selectorIilN6thrust23THRUST_200600_302600_NS4plusIlEEEEZZNS1_33reduce_by_key_impl_wrapped_configILNS1_25lookback_scan_determinismE0ES3_S9_PiNS6_17constant_iteratorIiNS6_11use_defaultESE_EENS6_10device_ptrIiEENSG_IlEEPmS8_NS6_8equal_toIiEEEE10hipError_tPvRmT2_T3_mT4_T5_T6_T7_T8_P12ihipStream_tbENKUlT_T0_E_clISt17integral_constantIbLb0EES12_IbLb1EEEEDaSY_SZ_EUlSY_E_NS1_11comp_targetILNS1_3genE2ELNS1_11target_archE906ELNS1_3gpuE6ELNS1_3repE0EEENS1_30default_config_static_selectorELNS0_4arch9wavefront6targetE1EEEvT1_
		.amdhsa_group_segment_fixed_size 30720
		.amdhsa_private_segment_fixed_size 64
		.amdhsa_kernarg_size 144
		.amdhsa_user_sgpr_count 6
		.amdhsa_user_sgpr_private_segment_buffer 1
		.amdhsa_user_sgpr_dispatch_ptr 0
		.amdhsa_user_sgpr_queue_ptr 0
		.amdhsa_user_sgpr_kernarg_segment_ptr 1
		.amdhsa_user_sgpr_dispatch_id 0
		.amdhsa_user_sgpr_flat_scratch_init 0
		.amdhsa_user_sgpr_private_segment_size 0
		.amdhsa_uses_dynamic_stack 0
		.amdhsa_system_sgpr_private_segment_wavefront_offset 1
		.amdhsa_system_sgpr_workgroup_id_x 1
		.amdhsa_system_sgpr_workgroup_id_y 0
		.amdhsa_system_sgpr_workgroup_id_z 0
		.amdhsa_system_sgpr_workgroup_info 0
		.amdhsa_system_vgpr_workitem_id 0
		.amdhsa_next_free_vgpr 102
		.amdhsa_next_free_sgpr 98
		.amdhsa_reserve_vcc 1
		.amdhsa_reserve_flat_scratch 0
		.amdhsa_float_round_mode_32 0
		.amdhsa_float_round_mode_16_64 0
		.amdhsa_float_denorm_mode_32 3
		.amdhsa_float_denorm_mode_16_64 3
		.amdhsa_dx10_clamp 1
		.amdhsa_ieee_mode 1
		.amdhsa_fp16_overflow 0
		.amdhsa_exception_fp_ieee_invalid_op 0
		.amdhsa_exception_fp_denorm_src 0
		.amdhsa_exception_fp_ieee_div_zero 0
		.amdhsa_exception_fp_ieee_overflow 0
		.amdhsa_exception_fp_ieee_underflow 0
		.amdhsa_exception_fp_ieee_inexact 0
		.amdhsa_exception_int_div_zero 0
	.end_amdhsa_kernel
	.section	.text._ZN7rocprim17ROCPRIM_400000_NS6detail17trampoline_kernelINS0_14default_configENS1_29reduce_by_key_config_selectorIilN6thrust23THRUST_200600_302600_NS4plusIlEEEEZZNS1_33reduce_by_key_impl_wrapped_configILNS1_25lookback_scan_determinismE0ES3_S9_PiNS6_17constant_iteratorIiNS6_11use_defaultESE_EENS6_10device_ptrIiEENSG_IlEEPmS8_NS6_8equal_toIiEEEE10hipError_tPvRmT2_T3_mT4_T5_T6_T7_T8_P12ihipStream_tbENKUlT_T0_E_clISt17integral_constantIbLb0EES12_IbLb1EEEEDaSY_SZ_EUlSY_E_NS1_11comp_targetILNS1_3genE2ELNS1_11target_archE906ELNS1_3gpuE6ELNS1_3repE0EEENS1_30default_config_static_selectorELNS0_4arch9wavefront6targetE1EEEvT1_,"axG",@progbits,_ZN7rocprim17ROCPRIM_400000_NS6detail17trampoline_kernelINS0_14default_configENS1_29reduce_by_key_config_selectorIilN6thrust23THRUST_200600_302600_NS4plusIlEEEEZZNS1_33reduce_by_key_impl_wrapped_configILNS1_25lookback_scan_determinismE0ES3_S9_PiNS6_17constant_iteratorIiNS6_11use_defaultESE_EENS6_10device_ptrIiEENSG_IlEEPmS8_NS6_8equal_toIiEEEE10hipError_tPvRmT2_T3_mT4_T5_T6_T7_T8_P12ihipStream_tbENKUlT_T0_E_clISt17integral_constantIbLb0EES12_IbLb1EEEEDaSY_SZ_EUlSY_E_NS1_11comp_targetILNS1_3genE2ELNS1_11target_archE906ELNS1_3gpuE6ELNS1_3repE0EEENS1_30default_config_static_selectorELNS0_4arch9wavefront6targetE1EEEvT1_,comdat
.Lfunc_end969:
	.size	_ZN7rocprim17ROCPRIM_400000_NS6detail17trampoline_kernelINS0_14default_configENS1_29reduce_by_key_config_selectorIilN6thrust23THRUST_200600_302600_NS4plusIlEEEEZZNS1_33reduce_by_key_impl_wrapped_configILNS1_25lookback_scan_determinismE0ES3_S9_PiNS6_17constant_iteratorIiNS6_11use_defaultESE_EENS6_10device_ptrIiEENSG_IlEEPmS8_NS6_8equal_toIiEEEE10hipError_tPvRmT2_T3_mT4_T5_T6_T7_T8_P12ihipStream_tbENKUlT_T0_E_clISt17integral_constantIbLb0EES12_IbLb1EEEEDaSY_SZ_EUlSY_E_NS1_11comp_targetILNS1_3genE2ELNS1_11target_archE906ELNS1_3gpuE6ELNS1_3repE0EEENS1_30default_config_static_selectorELNS0_4arch9wavefront6targetE1EEEvT1_, .Lfunc_end969-_ZN7rocprim17ROCPRIM_400000_NS6detail17trampoline_kernelINS0_14default_configENS1_29reduce_by_key_config_selectorIilN6thrust23THRUST_200600_302600_NS4plusIlEEEEZZNS1_33reduce_by_key_impl_wrapped_configILNS1_25lookback_scan_determinismE0ES3_S9_PiNS6_17constant_iteratorIiNS6_11use_defaultESE_EENS6_10device_ptrIiEENSG_IlEEPmS8_NS6_8equal_toIiEEEE10hipError_tPvRmT2_T3_mT4_T5_T6_T7_T8_P12ihipStream_tbENKUlT_T0_E_clISt17integral_constantIbLb0EES12_IbLb1EEEEDaSY_SZ_EUlSY_E_NS1_11comp_targetILNS1_3genE2ELNS1_11target_archE906ELNS1_3gpuE6ELNS1_3repE0EEENS1_30default_config_static_selectorELNS0_4arch9wavefront6targetE1EEEvT1_
                                        ; -- End function
	.set _ZN7rocprim17ROCPRIM_400000_NS6detail17trampoline_kernelINS0_14default_configENS1_29reduce_by_key_config_selectorIilN6thrust23THRUST_200600_302600_NS4plusIlEEEEZZNS1_33reduce_by_key_impl_wrapped_configILNS1_25lookback_scan_determinismE0ES3_S9_PiNS6_17constant_iteratorIiNS6_11use_defaultESE_EENS6_10device_ptrIiEENSG_IlEEPmS8_NS6_8equal_toIiEEEE10hipError_tPvRmT2_T3_mT4_T5_T6_T7_T8_P12ihipStream_tbENKUlT_T0_E_clISt17integral_constantIbLb0EES12_IbLb1EEEEDaSY_SZ_EUlSY_E_NS1_11comp_targetILNS1_3genE2ELNS1_11target_archE906ELNS1_3gpuE6ELNS1_3repE0EEENS1_30default_config_static_selectorELNS0_4arch9wavefront6targetE1EEEvT1_.num_vgpr, 102
	.set _ZN7rocprim17ROCPRIM_400000_NS6detail17trampoline_kernelINS0_14default_configENS1_29reduce_by_key_config_selectorIilN6thrust23THRUST_200600_302600_NS4plusIlEEEEZZNS1_33reduce_by_key_impl_wrapped_configILNS1_25lookback_scan_determinismE0ES3_S9_PiNS6_17constant_iteratorIiNS6_11use_defaultESE_EENS6_10device_ptrIiEENSG_IlEEPmS8_NS6_8equal_toIiEEEE10hipError_tPvRmT2_T3_mT4_T5_T6_T7_T8_P12ihipStream_tbENKUlT_T0_E_clISt17integral_constantIbLb0EES12_IbLb1EEEEDaSY_SZ_EUlSY_E_NS1_11comp_targetILNS1_3genE2ELNS1_11target_archE906ELNS1_3gpuE6ELNS1_3repE0EEENS1_30default_config_static_selectorELNS0_4arch9wavefront6targetE1EEEvT1_.num_agpr, 0
	.set _ZN7rocprim17ROCPRIM_400000_NS6detail17trampoline_kernelINS0_14default_configENS1_29reduce_by_key_config_selectorIilN6thrust23THRUST_200600_302600_NS4plusIlEEEEZZNS1_33reduce_by_key_impl_wrapped_configILNS1_25lookback_scan_determinismE0ES3_S9_PiNS6_17constant_iteratorIiNS6_11use_defaultESE_EENS6_10device_ptrIiEENSG_IlEEPmS8_NS6_8equal_toIiEEEE10hipError_tPvRmT2_T3_mT4_T5_T6_T7_T8_P12ihipStream_tbENKUlT_T0_E_clISt17integral_constantIbLb0EES12_IbLb1EEEEDaSY_SZ_EUlSY_E_NS1_11comp_targetILNS1_3genE2ELNS1_11target_archE906ELNS1_3gpuE6ELNS1_3repE0EEENS1_30default_config_static_selectorELNS0_4arch9wavefront6targetE1EEEvT1_.numbered_sgpr, 68
	.set _ZN7rocprim17ROCPRIM_400000_NS6detail17trampoline_kernelINS0_14default_configENS1_29reduce_by_key_config_selectorIilN6thrust23THRUST_200600_302600_NS4plusIlEEEEZZNS1_33reduce_by_key_impl_wrapped_configILNS1_25lookback_scan_determinismE0ES3_S9_PiNS6_17constant_iteratorIiNS6_11use_defaultESE_EENS6_10device_ptrIiEENSG_IlEEPmS8_NS6_8equal_toIiEEEE10hipError_tPvRmT2_T3_mT4_T5_T6_T7_T8_P12ihipStream_tbENKUlT_T0_E_clISt17integral_constantIbLb0EES12_IbLb1EEEEDaSY_SZ_EUlSY_E_NS1_11comp_targetILNS1_3genE2ELNS1_11target_archE906ELNS1_3gpuE6ELNS1_3repE0EEENS1_30default_config_static_selectorELNS0_4arch9wavefront6targetE1EEEvT1_.num_named_barrier, 0
	.set _ZN7rocprim17ROCPRIM_400000_NS6detail17trampoline_kernelINS0_14default_configENS1_29reduce_by_key_config_selectorIilN6thrust23THRUST_200600_302600_NS4plusIlEEEEZZNS1_33reduce_by_key_impl_wrapped_configILNS1_25lookback_scan_determinismE0ES3_S9_PiNS6_17constant_iteratorIiNS6_11use_defaultESE_EENS6_10device_ptrIiEENSG_IlEEPmS8_NS6_8equal_toIiEEEE10hipError_tPvRmT2_T3_mT4_T5_T6_T7_T8_P12ihipStream_tbENKUlT_T0_E_clISt17integral_constantIbLb0EES12_IbLb1EEEEDaSY_SZ_EUlSY_E_NS1_11comp_targetILNS1_3genE2ELNS1_11target_archE906ELNS1_3gpuE6ELNS1_3repE0EEENS1_30default_config_static_selectorELNS0_4arch9wavefront6targetE1EEEvT1_.private_seg_size, 64
	.set _ZN7rocprim17ROCPRIM_400000_NS6detail17trampoline_kernelINS0_14default_configENS1_29reduce_by_key_config_selectorIilN6thrust23THRUST_200600_302600_NS4plusIlEEEEZZNS1_33reduce_by_key_impl_wrapped_configILNS1_25lookback_scan_determinismE0ES3_S9_PiNS6_17constant_iteratorIiNS6_11use_defaultESE_EENS6_10device_ptrIiEENSG_IlEEPmS8_NS6_8equal_toIiEEEE10hipError_tPvRmT2_T3_mT4_T5_T6_T7_T8_P12ihipStream_tbENKUlT_T0_E_clISt17integral_constantIbLb0EES12_IbLb1EEEEDaSY_SZ_EUlSY_E_NS1_11comp_targetILNS1_3genE2ELNS1_11target_archE906ELNS1_3gpuE6ELNS1_3repE0EEENS1_30default_config_static_selectorELNS0_4arch9wavefront6targetE1EEEvT1_.uses_vcc, 1
	.set _ZN7rocprim17ROCPRIM_400000_NS6detail17trampoline_kernelINS0_14default_configENS1_29reduce_by_key_config_selectorIilN6thrust23THRUST_200600_302600_NS4plusIlEEEEZZNS1_33reduce_by_key_impl_wrapped_configILNS1_25lookback_scan_determinismE0ES3_S9_PiNS6_17constant_iteratorIiNS6_11use_defaultESE_EENS6_10device_ptrIiEENSG_IlEEPmS8_NS6_8equal_toIiEEEE10hipError_tPvRmT2_T3_mT4_T5_T6_T7_T8_P12ihipStream_tbENKUlT_T0_E_clISt17integral_constantIbLb0EES12_IbLb1EEEEDaSY_SZ_EUlSY_E_NS1_11comp_targetILNS1_3genE2ELNS1_11target_archE906ELNS1_3gpuE6ELNS1_3repE0EEENS1_30default_config_static_selectorELNS0_4arch9wavefront6targetE1EEEvT1_.uses_flat_scratch, 0
	.set _ZN7rocprim17ROCPRIM_400000_NS6detail17trampoline_kernelINS0_14default_configENS1_29reduce_by_key_config_selectorIilN6thrust23THRUST_200600_302600_NS4plusIlEEEEZZNS1_33reduce_by_key_impl_wrapped_configILNS1_25lookback_scan_determinismE0ES3_S9_PiNS6_17constant_iteratorIiNS6_11use_defaultESE_EENS6_10device_ptrIiEENSG_IlEEPmS8_NS6_8equal_toIiEEEE10hipError_tPvRmT2_T3_mT4_T5_T6_T7_T8_P12ihipStream_tbENKUlT_T0_E_clISt17integral_constantIbLb0EES12_IbLb1EEEEDaSY_SZ_EUlSY_E_NS1_11comp_targetILNS1_3genE2ELNS1_11target_archE906ELNS1_3gpuE6ELNS1_3repE0EEENS1_30default_config_static_selectorELNS0_4arch9wavefront6targetE1EEEvT1_.has_dyn_sized_stack, 0
	.set _ZN7rocprim17ROCPRIM_400000_NS6detail17trampoline_kernelINS0_14default_configENS1_29reduce_by_key_config_selectorIilN6thrust23THRUST_200600_302600_NS4plusIlEEEEZZNS1_33reduce_by_key_impl_wrapped_configILNS1_25lookback_scan_determinismE0ES3_S9_PiNS6_17constant_iteratorIiNS6_11use_defaultESE_EENS6_10device_ptrIiEENSG_IlEEPmS8_NS6_8equal_toIiEEEE10hipError_tPvRmT2_T3_mT4_T5_T6_T7_T8_P12ihipStream_tbENKUlT_T0_E_clISt17integral_constantIbLb0EES12_IbLb1EEEEDaSY_SZ_EUlSY_E_NS1_11comp_targetILNS1_3genE2ELNS1_11target_archE906ELNS1_3gpuE6ELNS1_3repE0EEENS1_30default_config_static_selectorELNS0_4arch9wavefront6targetE1EEEvT1_.has_recursion, 0
	.set _ZN7rocprim17ROCPRIM_400000_NS6detail17trampoline_kernelINS0_14default_configENS1_29reduce_by_key_config_selectorIilN6thrust23THRUST_200600_302600_NS4plusIlEEEEZZNS1_33reduce_by_key_impl_wrapped_configILNS1_25lookback_scan_determinismE0ES3_S9_PiNS6_17constant_iteratorIiNS6_11use_defaultESE_EENS6_10device_ptrIiEENSG_IlEEPmS8_NS6_8equal_toIiEEEE10hipError_tPvRmT2_T3_mT4_T5_T6_T7_T8_P12ihipStream_tbENKUlT_T0_E_clISt17integral_constantIbLb0EES12_IbLb1EEEEDaSY_SZ_EUlSY_E_NS1_11comp_targetILNS1_3genE2ELNS1_11target_archE906ELNS1_3gpuE6ELNS1_3repE0EEENS1_30default_config_static_selectorELNS0_4arch9wavefront6targetE1EEEvT1_.has_indirect_call, 0
	.section	.AMDGPU.csdata,"",@progbits
; Kernel info:
; codeLenInByte = 16376
; TotalNumSgprs: 72
; NumVgprs: 102
; ScratchSize: 64
; MemoryBound: 0
; FloatMode: 240
; IeeeMode: 1
; LDSByteSize: 30720 bytes/workgroup (compile time only)
; SGPRBlocks: 12
; VGPRBlocks: 25
; NumSGPRsForWavesPerEU: 102
; NumVGPRsForWavesPerEU: 102
; Occupancy: 2
; WaveLimiterHint : 1
; COMPUTE_PGM_RSRC2:SCRATCH_EN: 1
; COMPUTE_PGM_RSRC2:USER_SGPR: 6
; COMPUTE_PGM_RSRC2:TRAP_HANDLER: 0
; COMPUTE_PGM_RSRC2:TGID_X_EN: 1
; COMPUTE_PGM_RSRC2:TGID_Y_EN: 0
; COMPUTE_PGM_RSRC2:TGID_Z_EN: 0
; COMPUTE_PGM_RSRC2:TIDIG_COMP_CNT: 0
	.section	.text._ZN7rocprim17ROCPRIM_400000_NS6detail17trampoline_kernelINS0_14default_configENS1_29reduce_by_key_config_selectorIilN6thrust23THRUST_200600_302600_NS4plusIlEEEEZZNS1_33reduce_by_key_impl_wrapped_configILNS1_25lookback_scan_determinismE0ES3_S9_PiNS6_17constant_iteratorIiNS6_11use_defaultESE_EENS6_10device_ptrIiEENSG_IlEEPmS8_NS6_8equal_toIiEEEE10hipError_tPvRmT2_T3_mT4_T5_T6_T7_T8_P12ihipStream_tbENKUlT_T0_E_clISt17integral_constantIbLb0EES12_IbLb1EEEEDaSY_SZ_EUlSY_E_NS1_11comp_targetILNS1_3genE10ELNS1_11target_archE1201ELNS1_3gpuE5ELNS1_3repE0EEENS1_30default_config_static_selectorELNS0_4arch9wavefront6targetE1EEEvT1_,"axG",@progbits,_ZN7rocprim17ROCPRIM_400000_NS6detail17trampoline_kernelINS0_14default_configENS1_29reduce_by_key_config_selectorIilN6thrust23THRUST_200600_302600_NS4plusIlEEEEZZNS1_33reduce_by_key_impl_wrapped_configILNS1_25lookback_scan_determinismE0ES3_S9_PiNS6_17constant_iteratorIiNS6_11use_defaultESE_EENS6_10device_ptrIiEENSG_IlEEPmS8_NS6_8equal_toIiEEEE10hipError_tPvRmT2_T3_mT4_T5_T6_T7_T8_P12ihipStream_tbENKUlT_T0_E_clISt17integral_constantIbLb0EES12_IbLb1EEEEDaSY_SZ_EUlSY_E_NS1_11comp_targetILNS1_3genE10ELNS1_11target_archE1201ELNS1_3gpuE5ELNS1_3repE0EEENS1_30default_config_static_selectorELNS0_4arch9wavefront6targetE1EEEvT1_,comdat
	.protected	_ZN7rocprim17ROCPRIM_400000_NS6detail17trampoline_kernelINS0_14default_configENS1_29reduce_by_key_config_selectorIilN6thrust23THRUST_200600_302600_NS4plusIlEEEEZZNS1_33reduce_by_key_impl_wrapped_configILNS1_25lookback_scan_determinismE0ES3_S9_PiNS6_17constant_iteratorIiNS6_11use_defaultESE_EENS6_10device_ptrIiEENSG_IlEEPmS8_NS6_8equal_toIiEEEE10hipError_tPvRmT2_T3_mT4_T5_T6_T7_T8_P12ihipStream_tbENKUlT_T0_E_clISt17integral_constantIbLb0EES12_IbLb1EEEEDaSY_SZ_EUlSY_E_NS1_11comp_targetILNS1_3genE10ELNS1_11target_archE1201ELNS1_3gpuE5ELNS1_3repE0EEENS1_30default_config_static_selectorELNS0_4arch9wavefront6targetE1EEEvT1_ ; -- Begin function _ZN7rocprim17ROCPRIM_400000_NS6detail17trampoline_kernelINS0_14default_configENS1_29reduce_by_key_config_selectorIilN6thrust23THRUST_200600_302600_NS4plusIlEEEEZZNS1_33reduce_by_key_impl_wrapped_configILNS1_25lookback_scan_determinismE0ES3_S9_PiNS6_17constant_iteratorIiNS6_11use_defaultESE_EENS6_10device_ptrIiEENSG_IlEEPmS8_NS6_8equal_toIiEEEE10hipError_tPvRmT2_T3_mT4_T5_T6_T7_T8_P12ihipStream_tbENKUlT_T0_E_clISt17integral_constantIbLb0EES12_IbLb1EEEEDaSY_SZ_EUlSY_E_NS1_11comp_targetILNS1_3genE10ELNS1_11target_archE1201ELNS1_3gpuE5ELNS1_3repE0EEENS1_30default_config_static_selectorELNS0_4arch9wavefront6targetE1EEEvT1_
	.globl	_ZN7rocprim17ROCPRIM_400000_NS6detail17trampoline_kernelINS0_14default_configENS1_29reduce_by_key_config_selectorIilN6thrust23THRUST_200600_302600_NS4plusIlEEEEZZNS1_33reduce_by_key_impl_wrapped_configILNS1_25lookback_scan_determinismE0ES3_S9_PiNS6_17constant_iteratorIiNS6_11use_defaultESE_EENS6_10device_ptrIiEENSG_IlEEPmS8_NS6_8equal_toIiEEEE10hipError_tPvRmT2_T3_mT4_T5_T6_T7_T8_P12ihipStream_tbENKUlT_T0_E_clISt17integral_constantIbLb0EES12_IbLb1EEEEDaSY_SZ_EUlSY_E_NS1_11comp_targetILNS1_3genE10ELNS1_11target_archE1201ELNS1_3gpuE5ELNS1_3repE0EEENS1_30default_config_static_selectorELNS0_4arch9wavefront6targetE1EEEvT1_
	.p2align	8
	.type	_ZN7rocprim17ROCPRIM_400000_NS6detail17trampoline_kernelINS0_14default_configENS1_29reduce_by_key_config_selectorIilN6thrust23THRUST_200600_302600_NS4plusIlEEEEZZNS1_33reduce_by_key_impl_wrapped_configILNS1_25lookback_scan_determinismE0ES3_S9_PiNS6_17constant_iteratorIiNS6_11use_defaultESE_EENS6_10device_ptrIiEENSG_IlEEPmS8_NS6_8equal_toIiEEEE10hipError_tPvRmT2_T3_mT4_T5_T6_T7_T8_P12ihipStream_tbENKUlT_T0_E_clISt17integral_constantIbLb0EES12_IbLb1EEEEDaSY_SZ_EUlSY_E_NS1_11comp_targetILNS1_3genE10ELNS1_11target_archE1201ELNS1_3gpuE5ELNS1_3repE0EEENS1_30default_config_static_selectorELNS0_4arch9wavefront6targetE1EEEvT1_,@function
_ZN7rocprim17ROCPRIM_400000_NS6detail17trampoline_kernelINS0_14default_configENS1_29reduce_by_key_config_selectorIilN6thrust23THRUST_200600_302600_NS4plusIlEEEEZZNS1_33reduce_by_key_impl_wrapped_configILNS1_25lookback_scan_determinismE0ES3_S9_PiNS6_17constant_iteratorIiNS6_11use_defaultESE_EENS6_10device_ptrIiEENSG_IlEEPmS8_NS6_8equal_toIiEEEE10hipError_tPvRmT2_T3_mT4_T5_T6_T7_T8_P12ihipStream_tbENKUlT_T0_E_clISt17integral_constantIbLb0EES12_IbLb1EEEEDaSY_SZ_EUlSY_E_NS1_11comp_targetILNS1_3genE10ELNS1_11target_archE1201ELNS1_3gpuE5ELNS1_3repE0EEENS1_30default_config_static_selectorELNS0_4arch9wavefront6targetE1EEEvT1_: ; @_ZN7rocprim17ROCPRIM_400000_NS6detail17trampoline_kernelINS0_14default_configENS1_29reduce_by_key_config_selectorIilN6thrust23THRUST_200600_302600_NS4plusIlEEEEZZNS1_33reduce_by_key_impl_wrapped_configILNS1_25lookback_scan_determinismE0ES3_S9_PiNS6_17constant_iteratorIiNS6_11use_defaultESE_EENS6_10device_ptrIiEENSG_IlEEPmS8_NS6_8equal_toIiEEEE10hipError_tPvRmT2_T3_mT4_T5_T6_T7_T8_P12ihipStream_tbENKUlT_T0_E_clISt17integral_constantIbLb0EES12_IbLb1EEEEDaSY_SZ_EUlSY_E_NS1_11comp_targetILNS1_3genE10ELNS1_11target_archE1201ELNS1_3gpuE5ELNS1_3repE0EEENS1_30default_config_static_selectorELNS0_4arch9wavefront6targetE1EEEvT1_
; %bb.0:
	.section	.rodata,"a",@progbits
	.p2align	6, 0x0
	.amdhsa_kernel _ZN7rocprim17ROCPRIM_400000_NS6detail17trampoline_kernelINS0_14default_configENS1_29reduce_by_key_config_selectorIilN6thrust23THRUST_200600_302600_NS4plusIlEEEEZZNS1_33reduce_by_key_impl_wrapped_configILNS1_25lookback_scan_determinismE0ES3_S9_PiNS6_17constant_iteratorIiNS6_11use_defaultESE_EENS6_10device_ptrIiEENSG_IlEEPmS8_NS6_8equal_toIiEEEE10hipError_tPvRmT2_T3_mT4_T5_T6_T7_T8_P12ihipStream_tbENKUlT_T0_E_clISt17integral_constantIbLb0EES12_IbLb1EEEEDaSY_SZ_EUlSY_E_NS1_11comp_targetILNS1_3genE10ELNS1_11target_archE1201ELNS1_3gpuE5ELNS1_3repE0EEENS1_30default_config_static_selectorELNS0_4arch9wavefront6targetE1EEEvT1_
		.amdhsa_group_segment_fixed_size 0
		.amdhsa_private_segment_fixed_size 0
		.amdhsa_kernarg_size 144
		.amdhsa_user_sgpr_count 6
		.amdhsa_user_sgpr_private_segment_buffer 1
		.amdhsa_user_sgpr_dispatch_ptr 0
		.amdhsa_user_sgpr_queue_ptr 0
		.amdhsa_user_sgpr_kernarg_segment_ptr 1
		.amdhsa_user_sgpr_dispatch_id 0
		.amdhsa_user_sgpr_flat_scratch_init 0
		.amdhsa_user_sgpr_private_segment_size 0
		.amdhsa_uses_dynamic_stack 0
		.amdhsa_system_sgpr_private_segment_wavefront_offset 0
		.amdhsa_system_sgpr_workgroup_id_x 1
		.amdhsa_system_sgpr_workgroup_id_y 0
		.amdhsa_system_sgpr_workgroup_id_z 0
		.amdhsa_system_sgpr_workgroup_info 0
		.amdhsa_system_vgpr_workitem_id 0
		.amdhsa_next_free_vgpr 1
		.amdhsa_next_free_sgpr 0
		.amdhsa_reserve_vcc 0
		.amdhsa_reserve_flat_scratch 0
		.amdhsa_float_round_mode_32 0
		.amdhsa_float_round_mode_16_64 0
		.amdhsa_float_denorm_mode_32 3
		.amdhsa_float_denorm_mode_16_64 3
		.amdhsa_dx10_clamp 1
		.amdhsa_ieee_mode 1
		.amdhsa_fp16_overflow 0
		.amdhsa_exception_fp_ieee_invalid_op 0
		.amdhsa_exception_fp_denorm_src 0
		.amdhsa_exception_fp_ieee_div_zero 0
		.amdhsa_exception_fp_ieee_overflow 0
		.amdhsa_exception_fp_ieee_underflow 0
		.amdhsa_exception_fp_ieee_inexact 0
		.amdhsa_exception_int_div_zero 0
	.end_amdhsa_kernel
	.section	.text._ZN7rocprim17ROCPRIM_400000_NS6detail17trampoline_kernelINS0_14default_configENS1_29reduce_by_key_config_selectorIilN6thrust23THRUST_200600_302600_NS4plusIlEEEEZZNS1_33reduce_by_key_impl_wrapped_configILNS1_25lookback_scan_determinismE0ES3_S9_PiNS6_17constant_iteratorIiNS6_11use_defaultESE_EENS6_10device_ptrIiEENSG_IlEEPmS8_NS6_8equal_toIiEEEE10hipError_tPvRmT2_T3_mT4_T5_T6_T7_T8_P12ihipStream_tbENKUlT_T0_E_clISt17integral_constantIbLb0EES12_IbLb1EEEEDaSY_SZ_EUlSY_E_NS1_11comp_targetILNS1_3genE10ELNS1_11target_archE1201ELNS1_3gpuE5ELNS1_3repE0EEENS1_30default_config_static_selectorELNS0_4arch9wavefront6targetE1EEEvT1_,"axG",@progbits,_ZN7rocprim17ROCPRIM_400000_NS6detail17trampoline_kernelINS0_14default_configENS1_29reduce_by_key_config_selectorIilN6thrust23THRUST_200600_302600_NS4plusIlEEEEZZNS1_33reduce_by_key_impl_wrapped_configILNS1_25lookback_scan_determinismE0ES3_S9_PiNS6_17constant_iteratorIiNS6_11use_defaultESE_EENS6_10device_ptrIiEENSG_IlEEPmS8_NS6_8equal_toIiEEEE10hipError_tPvRmT2_T3_mT4_T5_T6_T7_T8_P12ihipStream_tbENKUlT_T0_E_clISt17integral_constantIbLb0EES12_IbLb1EEEEDaSY_SZ_EUlSY_E_NS1_11comp_targetILNS1_3genE10ELNS1_11target_archE1201ELNS1_3gpuE5ELNS1_3repE0EEENS1_30default_config_static_selectorELNS0_4arch9wavefront6targetE1EEEvT1_,comdat
.Lfunc_end970:
	.size	_ZN7rocprim17ROCPRIM_400000_NS6detail17trampoline_kernelINS0_14default_configENS1_29reduce_by_key_config_selectorIilN6thrust23THRUST_200600_302600_NS4plusIlEEEEZZNS1_33reduce_by_key_impl_wrapped_configILNS1_25lookback_scan_determinismE0ES3_S9_PiNS6_17constant_iteratorIiNS6_11use_defaultESE_EENS6_10device_ptrIiEENSG_IlEEPmS8_NS6_8equal_toIiEEEE10hipError_tPvRmT2_T3_mT4_T5_T6_T7_T8_P12ihipStream_tbENKUlT_T0_E_clISt17integral_constantIbLb0EES12_IbLb1EEEEDaSY_SZ_EUlSY_E_NS1_11comp_targetILNS1_3genE10ELNS1_11target_archE1201ELNS1_3gpuE5ELNS1_3repE0EEENS1_30default_config_static_selectorELNS0_4arch9wavefront6targetE1EEEvT1_, .Lfunc_end970-_ZN7rocprim17ROCPRIM_400000_NS6detail17trampoline_kernelINS0_14default_configENS1_29reduce_by_key_config_selectorIilN6thrust23THRUST_200600_302600_NS4plusIlEEEEZZNS1_33reduce_by_key_impl_wrapped_configILNS1_25lookback_scan_determinismE0ES3_S9_PiNS6_17constant_iteratorIiNS6_11use_defaultESE_EENS6_10device_ptrIiEENSG_IlEEPmS8_NS6_8equal_toIiEEEE10hipError_tPvRmT2_T3_mT4_T5_T6_T7_T8_P12ihipStream_tbENKUlT_T0_E_clISt17integral_constantIbLb0EES12_IbLb1EEEEDaSY_SZ_EUlSY_E_NS1_11comp_targetILNS1_3genE10ELNS1_11target_archE1201ELNS1_3gpuE5ELNS1_3repE0EEENS1_30default_config_static_selectorELNS0_4arch9wavefront6targetE1EEEvT1_
                                        ; -- End function
	.set _ZN7rocprim17ROCPRIM_400000_NS6detail17trampoline_kernelINS0_14default_configENS1_29reduce_by_key_config_selectorIilN6thrust23THRUST_200600_302600_NS4plusIlEEEEZZNS1_33reduce_by_key_impl_wrapped_configILNS1_25lookback_scan_determinismE0ES3_S9_PiNS6_17constant_iteratorIiNS6_11use_defaultESE_EENS6_10device_ptrIiEENSG_IlEEPmS8_NS6_8equal_toIiEEEE10hipError_tPvRmT2_T3_mT4_T5_T6_T7_T8_P12ihipStream_tbENKUlT_T0_E_clISt17integral_constantIbLb0EES12_IbLb1EEEEDaSY_SZ_EUlSY_E_NS1_11comp_targetILNS1_3genE10ELNS1_11target_archE1201ELNS1_3gpuE5ELNS1_3repE0EEENS1_30default_config_static_selectorELNS0_4arch9wavefront6targetE1EEEvT1_.num_vgpr, 0
	.set _ZN7rocprim17ROCPRIM_400000_NS6detail17trampoline_kernelINS0_14default_configENS1_29reduce_by_key_config_selectorIilN6thrust23THRUST_200600_302600_NS4plusIlEEEEZZNS1_33reduce_by_key_impl_wrapped_configILNS1_25lookback_scan_determinismE0ES3_S9_PiNS6_17constant_iteratorIiNS6_11use_defaultESE_EENS6_10device_ptrIiEENSG_IlEEPmS8_NS6_8equal_toIiEEEE10hipError_tPvRmT2_T3_mT4_T5_T6_T7_T8_P12ihipStream_tbENKUlT_T0_E_clISt17integral_constantIbLb0EES12_IbLb1EEEEDaSY_SZ_EUlSY_E_NS1_11comp_targetILNS1_3genE10ELNS1_11target_archE1201ELNS1_3gpuE5ELNS1_3repE0EEENS1_30default_config_static_selectorELNS0_4arch9wavefront6targetE1EEEvT1_.num_agpr, 0
	.set _ZN7rocprim17ROCPRIM_400000_NS6detail17trampoline_kernelINS0_14default_configENS1_29reduce_by_key_config_selectorIilN6thrust23THRUST_200600_302600_NS4plusIlEEEEZZNS1_33reduce_by_key_impl_wrapped_configILNS1_25lookback_scan_determinismE0ES3_S9_PiNS6_17constant_iteratorIiNS6_11use_defaultESE_EENS6_10device_ptrIiEENSG_IlEEPmS8_NS6_8equal_toIiEEEE10hipError_tPvRmT2_T3_mT4_T5_T6_T7_T8_P12ihipStream_tbENKUlT_T0_E_clISt17integral_constantIbLb0EES12_IbLb1EEEEDaSY_SZ_EUlSY_E_NS1_11comp_targetILNS1_3genE10ELNS1_11target_archE1201ELNS1_3gpuE5ELNS1_3repE0EEENS1_30default_config_static_selectorELNS0_4arch9wavefront6targetE1EEEvT1_.numbered_sgpr, 0
	.set _ZN7rocprim17ROCPRIM_400000_NS6detail17trampoline_kernelINS0_14default_configENS1_29reduce_by_key_config_selectorIilN6thrust23THRUST_200600_302600_NS4plusIlEEEEZZNS1_33reduce_by_key_impl_wrapped_configILNS1_25lookback_scan_determinismE0ES3_S9_PiNS6_17constant_iteratorIiNS6_11use_defaultESE_EENS6_10device_ptrIiEENSG_IlEEPmS8_NS6_8equal_toIiEEEE10hipError_tPvRmT2_T3_mT4_T5_T6_T7_T8_P12ihipStream_tbENKUlT_T0_E_clISt17integral_constantIbLb0EES12_IbLb1EEEEDaSY_SZ_EUlSY_E_NS1_11comp_targetILNS1_3genE10ELNS1_11target_archE1201ELNS1_3gpuE5ELNS1_3repE0EEENS1_30default_config_static_selectorELNS0_4arch9wavefront6targetE1EEEvT1_.num_named_barrier, 0
	.set _ZN7rocprim17ROCPRIM_400000_NS6detail17trampoline_kernelINS0_14default_configENS1_29reduce_by_key_config_selectorIilN6thrust23THRUST_200600_302600_NS4plusIlEEEEZZNS1_33reduce_by_key_impl_wrapped_configILNS1_25lookback_scan_determinismE0ES3_S9_PiNS6_17constant_iteratorIiNS6_11use_defaultESE_EENS6_10device_ptrIiEENSG_IlEEPmS8_NS6_8equal_toIiEEEE10hipError_tPvRmT2_T3_mT4_T5_T6_T7_T8_P12ihipStream_tbENKUlT_T0_E_clISt17integral_constantIbLb0EES12_IbLb1EEEEDaSY_SZ_EUlSY_E_NS1_11comp_targetILNS1_3genE10ELNS1_11target_archE1201ELNS1_3gpuE5ELNS1_3repE0EEENS1_30default_config_static_selectorELNS0_4arch9wavefront6targetE1EEEvT1_.private_seg_size, 0
	.set _ZN7rocprim17ROCPRIM_400000_NS6detail17trampoline_kernelINS0_14default_configENS1_29reduce_by_key_config_selectorIilN6thrust23THRUST_200600_302600_NS4plusIlEEEEZZNS1_33reduce_by_key_impl_wrapped_configILNS1_25lookback_scan_determinismE0ES3_S9_PiNS6_17constant_iteratorIiNS6_11use_defaultESE_EENS6_10device_ptrIiEENSG_IlEEPmS8_NS6_8equal_toIiEEEE10hipError_tPvRmT2_T3_mT4_T5_T6_T7_T8_P12ihipStream_tbENKUlT_T0_E_clISt17integral_constantIbLb0EES12_IbLb1EEEEDaSY_SZ_EUlSY_E_NS1_11comp_targetILNS1_3genE10ELNS1_11target_archE1201ELNS1_3gpuE5ELNS1_3repE0EEENS1_30default_config_static_selectorELNS0_4arch9wavefront6targetE1EEEvT1_.uses_vcc, 0
	.set _ZN7rocprim17ROCPRIM_400000_NS6detail17trampoline_kernelINS0_14default_configENS1_29reduce_by_key_config_selectorIilN6thrust23THRUST_200600_302600_NS4plusIlEEEEZZNS1_33reduce_by_key_impl_wrapped_configILNS1_25lookback_scan_determinismE0ES3_S9_PiNS6_17constant_iteratorIiNS6_11use_defaultESE_EENS6_10device_ptrIiEENSG_IlEEPmS8_NS6_8equal_toIiEEEE10hipError_tPvRmT2_T3_mT4_T5_T6_T7_T8_P12ihipStream_tbENKUlT_T0_E_clISt17integral_constantIbLb0EES12_IbLb1EEEEDaSY_SZ_EUlSY_E_NS1_11comp_targetILNS1_3genE10ELNS1_11target_archE1201ELNS1_3gpuE5ELNS1_3repE0EEENS1_30default_config_static_selectorELNS0_4arch9wavefront6targetE1EEEvT1_.uses_flat_scratch, 0
	.set _ZN7rocprim17ROCPRIM_400000_NS6detail17trampoline_kernelINS0_14default_configENS1_29reduce_by_key_config_selectorIilN6thrust23THRUST_200600_302600_NS4plusIlEEEEZZNS1_33reduce_by_key_impl_wrapped_configILNS1_25lookback_scan_determinismE0ES3_S9_PiNS6_17constant_iteratorIiNS6_11use_defaultESE_EENS6_10device_ptrIiEENSG_IlEEPmS8_NS6_8equal_toIiEEEE10hipError_tPvRmT2_T3_mT4_T5_T6_T7_T8_P12ihipStream_tbENKUlT_T0_E_clISt17integral_constantIbLb0EES12_IbLb1EEEEDaSY_SZ_EUlSY_E_NS1_11comp_targetILNS1_3genE10ELNS1_11target_archE1201ELNS1_3gpuE5ELNS1_3repE0EEENS1_30default_config_static_selectorELNS0_4arch9wavefront6targetE1EEEvT1_.has_dyn_sized_stack, 0
	.set _ZN7rocprim17ROCPRIM_400000_NS6detail17trampoline_kernelINS0_14default_configENS1_29reduce_by_key_config_selectorIilN6thrust23THRUST_200600_302600_NS4plusIlEEEEZZNS1_33reduce_by_key_impl_wrapped_configILNS1_25lookback_scan_determinismE0ES3_S9_PiNS6_17constant_iteratorIiNS6_11use_defaultESE_EENS6_10device_ptrIiEENSG_IlEEPmS8_NS6_8equal_toIiEEEE10hipError_tPvRmT2_T3_mT4_T5_T6_T7_T8_P12ihipStream_tbENKUlT_T0_E_clISt17integral_constantIbLb0EES12_IbLb1EEEEDaSY_SZ_EUlSY_E_NS1_11comp_targetILNS1_3genE10ELNS1_11target_archE1201ELNS1_3gpuE5ELNS1_3repE0EEENS1_30default_config_static_selectorELNS0_4arch9wavefront6targetE1EEEvT1_.has_recursion, 0
	.set _ZN7rocprim17ROCPRIM_400000_NS6detail17trampoline_kernelINS0_14default_configENS1_29reduce_by_key_config_selectorIilN6thrust23THRUST_200600_302600_NS4plusIlEEEEZZNS1_33reduce_by_key_impl_wrapped_configILNS1_25lookback_scan_determinismE0ES3_S9_PiNS6_17constant_iteratorIiNS6_11use_defaultESE_EENS6_10device_ptrIiEENSG_IlEEPmS8_NS6_8equal_toIiEEEE10hipError_tPvRmT2_T3_mT4_T5_T6_T7_T8_P12ihipStream_tbENKUlT_T0_E_clISt17integral_constantIbLb0EES12_IbLb1EEEEDaSY_SZ_EUlSY_E_NS1_11comp_targetILNS1_3genE10ELNS1_11target_archE1201ELNS1_3gpuE5ELNS1_3repE0EEENS1_30default_config_static_selectorELNS0_4arch9wavefront6targetE1EEEvT1_.has_indirect_call, 0
	.section	.AMDGPU.csdata,"",@progbits
; Kernel info:
; codeLenInByte = 0
; TotalNumSgprs: 4
; NumVgprs: 0
; ScratchSize: 0
; MemoryBound: 0
; FloatMode: 240
; IeeeMode: 1
; LDSByteSize: 0 bytes/workgroup (compile time only)
; SGPRBlocks: 0
; VGPRBlocks: 0
; NumSGPRsForWavesPerEU: 4
; NumVGPRsForWavesPerEU: 1
; Occupancy: 10
; WaveLimiterHint : 0
; COMPUTE_PGM_RSRC2:SCRATCH_EN: 0
; COMPUTE_PGM_RSRC2:USER_SGPR: 6
; COMPUTE_PGM_RSRC2:TRAP_HANDLER: 0
; COMPUTE_PGM_RSRC2:TGID_X_EN: 1
; COMPUTE_PGM_RSRC2:TGID_Y_EN: 0
; COMPUTE_PGM_RSRC2:TGID_Z_EN: 0
; COMPUTE_PGM_RSRC2:TIDIG_COMP_CNT: 0
	.section	.text._ZN7rocprim17ROCPRIM_400000_NS6detail17trampoline_kernelINS0_14default_configENS1_29reduce_by_key_config_selectorIilN6thrust23THRUST_200600_302600_NS4plusIlEEEEZZNS1_33reduce_by_key_impl_wrapped_configILNS1_25lookback_scan_determinismE0ES3_S9_PiNS6_17constant_iteratorIiNS6_11use_defaultESE_EENS6_10device_ptrIiEENSG_IlEEPmS8_NS6_8equal_toIiEEEE10hipError_tPvRmT2_T3_mT4_T5_T6_T7_T8_P12ihipStream_tbENKUlT_T0_E_clISt17integral_constantIbLb0EES12_IbLb1EEEEDaSY_SZ_EUlSY_E_NS1_11comp_targetILNS1_3genE10ELNS1_11target_archE1200ELNS1_3gpuE4ELNS1_3repE0EEENS1_30default_config_static_selectorELNS0_4arch9wavefront6targetE1EEEvT1_,"axG",@progbits,_ZN7rocprim17ROCPRIM_400000_NS6detail17trampoline_kernelINS0_14default_configENS1_29reduce_by_key_config_selectorIilN6thrust23THRUST_200600_302600_NS4plusIlEEEEZZNS1_33reduce_by_key_impl_wrapped_configILNS1_25lookback_scan_determinismE0ES3_S9_PiNS6_17constant_iteratorIiNS6_11use_defaultESE_EENS6_10device_ptrIiEENSG_IlEEPmS8_NS6_8equal_toIiEEEE10hipError_tPvRmT2_T3_mT4_T5_T6_T7_T8_P12ihipStream_tbENKUlT_T0_E_clISt17integral_constantIbLb0EES12_IbLb1EEEEDaSY_SZ_EUlSY_E_NS1_11comp_targetILNS1_3genE10ELNS1_11target_archE1200ELNS1_3gpuE4ELNS1_3repE0EEENS1_30default_config_static_selectorELNS0_4arch9wavefront6targetE1EEEvT1_,comdat
	.protected	_ZN7rocprim17ROCPRIM_400000_NS6detail17trampoline_kernelINS0_14default_configENS1_29reduce_by_key_config_selectorIilN6thrust23THRUST_200600_302600_NS4plusIlEEEEZZNS1_33reduce_by_key_impl_wrapped_configILNS1_25lookback_scan_determinismE0ES3_S9_PiNS6_17constant_iteratorIiNS6_11use_defaultESE_EENS6_10device_ptrIiEENSG_IlEEPmS8_NS6_8equal_toIiEEEE10hipError_tPvRmT2_T3_mT4_T5_T6_T7_T8_P12ihipStream_tbENKUlT_T0_E_clISt17integral_constantIbLb0EES12_IbLb1EEEEDaSY_SZ_EUlSY_E_NS1_11comp_targetILNS1_3genE10ELNS1_11target_archE1200ELNS1_3gpuE4ELNS1_3repE0EEENS1_30default_config_static_selectorELNS0_4arch9wavefront6targetE1EEEvT1_ ; -- Begin function _ZN7rocprim17ROCPRIM_400000_NS6detail17trampoline_kernelINS0_14default_configENS1_29reduce_by_key_config_selectorIilN6thrust23THRUST_200600_302600_NS4plusIlEEEEZZNS1_33reduce_by_key_impl_wrapped_configILNS1_25lookback_scan_determinismE0ES3_S9_PiNS6_17constant_iteratorIiNS6_11use_defaultESE_EENS6_10device_ptrIiEENSG_IlEEPmS8_NS6_8equal_toIiEEEE10hipError_tPvRmT2_T3_mT4_T5_T6_T7_T8_P12ihipStream_tbENKUlT_T0_E_clISt17integral_constantIbLb0EES12_IbLb1EEEEDaSY_SZ_EUlSY_E_NS1_11comp_targetILNS1_3genE10ELNS1_11target_archE1200ELNS1_3gpuE4ELNS1_3repE0EEENS1_30default_config_static_selectorELNS0_4arch9wavefront6targetE1EEEvT1_
	.globl	_ZN7rocprim17ROCPRIM_400000_NS6detail17trampoline_kernelINS0_14default_configENS1_29reduce_by_key_config_selectorIilN6thrust23THRUST_200600_302600_NS4plusIlEEEEZZNS1_33reduce_by_key_impl_wrapped_configILNS1_25lookback_scan_determinismE0ES3_S9_PiNS6_17constant_iteratorIiNS6_11use_defaultESE_EENS6_10device_ptrIiEENSG_IlEEPmS8_NS6_8equal_toIiEEEE10hipError_tPvRmT2_T3_mT4_T5_T6_T7_T8_P12ihipStream_tbENKUlT_T0_E_clISt17integral_constantIbLb0EES12_IbLb1EEEEDaSY_SZ_EUlSY_E_NS1_11comp_targetILNS1_3genE10ELNS1_11target_archE1200ELNS1_3gpuE4ELNS1_3repE0EEENS1_30default_config_static_selectorELNS0_4arch9wavefront6targetE1EEEvT1_
	.p2align	8
	.type	_ZN7rocprim17ROCPRIM_400000_NS6detail17trampoline_kernelINS0_14default_configENS1_29reduce_by_key_config_selectorIilN6thrust23THRUST_200600_302600_NS4plusIlEEEEZZNS1_33reduce_by_key_impl_wrapped_configILNS1_25lookback_scan_determinismE0ES3_S9_PiNS6_17constant_iteratorIiNS6_11use_defaultESE_EENS6_10device_ptrIiEENSG_IlEEPmS8_NS6_8equal_toIiEEEE10hipError_tPvRmT2_T3_mT4_T5_T6_T7_T8_P12ihipStream_tbENKUlT_T0_E_clISt17integral_constantIbLb0EES12_IbLb1EEEEDaSY_SZ_EUlSY_E_NS1_11comp_targetILNS1_3genE10ELNS1_11target_archE1200ELNS1_3gpuE4ELNS1_3repE0EEENS1_30default_config_static_selectorELNS0_4arch9wavefront6targetE1EEEvT1_,@function
_ZN7rocprim17ROCPRIM_400000_NS6detail17trampoline_kernelINS0_14default_configENS1_29reduce_by_key_config_selectorIilN6thrust23THRUST_200600_302600_NS4plusIlEEEEZZNS1_33reduce_by_key_impl_wrapped_configILNS1_25lookback_scan_determinismE0ES3_S9_PiNS6_17constant_iteratorIiNS6_11use_defaultESE_EENS6_10device_ptrIiEENSG_IlEEPmS8_NS6_8equal_toIiEEEE10hipError_tPvRmT2_T3_mT4_T5_T6_T7_T8_P12ihipStream_tbENKUlT_T0_E_clISt17integral_constantIbLb0EES12_IbLb1EEEEDaSY_SZ_EUlSY_E_NS1_11comp_targetILNS1_3genE10ELNS1_11target_archE1200ELNS1_3gpuE4ELNS1_3repE0EEENS1_30default_config_static_selectorELNS0_4arch9wavefront6targetE1EEEvT1_: ; @_ZN7rocprim17ROCPRIM_400000_NS6detail17trampoline_kernelINS0_14default_configENS1_29reduce_by_key_config_selectorIilN6thrust23THRUST_200600_302600_NS4plusIlEEEEZZNS1_33reduce_by_key_impl_wrapped_configILNS1_25lookback_scan_determinismE0ES3_S9_PiNS6_17constant_iteratorIiNS6_11use_defaultESE_EENS6_10device_ptrIiEENSG_IlEEPmS8_NS6_8equal_toIiEEEE10hipError_tPvRmT2_T3_mT4_T5_T6_T7_T8_P12ihipStream_tbENKUlT_T0_E_clISt17integral_constantIbLb0EES12_IbLb1EEEEDaSY_SZ_EUlSY_E_NS1_11comp_targetILNS1_3genE10ELNS1_11target_archE1200ELNS1_3gpuE4ELNS1_3repE0EEENS1_30default_config_static_selectorELNS0_4arch9wavefront6targetE1EEEvT1_
; %bb.0:
	.section	.rodata,"a",@progbits
	.p2align	6, 0x0
	.amdhsa_kernel _ZN7rocprim17ROCPRIM_400000_NS6detail17trampoline_kernelINS0_14default_configENS1_29reduce_by_key_config_selectorIilN6thrust23THRUST_200600_302600_NS4plusIlEEEEZZNS1_33reduce_by_key_impl_wrapped_configILNS1_25lookback_scan_determinismE0ES3_S9_PiNS6_17constant_iteratorIiNS6_11use_defaultESE_EENS6_10device_ptrIiEENSG_IlEEPmS8_NS6_8equal_toIiEEEE10hipError_tPvRmT2_T3_mT4_T5_T6_T7_T8_P12ihipStream_tbENKUlT_T0_E_clISt17integral_constantIbLb0EES12_IbLb1EEEEDaSY_SZ_EUlSY_E_NS1_11comp_targetILNS1_3genE10ELNS1_11target_archE1200ELNS1_3gpuE4ELNS1_3repE0EEENS1_30default_config_static_selectorELNS0_4arch9wavefront6targetE1EEEvT1_
		.amdhsa_group_segment_fixed_size 0
		.amdhsa_private_segment_fixed_size 0
		.amdhsa_kernarg_size 144
		.amdhsa_user_sgpr_count 6
		.amdhsa_user_sgpr_private_segment_buffer 1
		.amdhsa_user_sgpr_dispatch_ptr 0
		.amdhsa_user_sgpr_queue_ptr 0
		.amdhsa_user_sgpr_kernarg_segment_ptr 1
		.amdhsa_user_sgpr_dispatch_id 0
		.amdhsa_user_sgpr_flat_scratch_init 0
		.amdhsa_user_sgpr_private_segment_size 0
		.amdhsa_uses_dynamic_stack 0
		.amdhsa_system_sgpr_private_segment_wavefront_offset 0
		.amdhsa_system_sgpr_workgroup_id_x 1
		.amdhsa_system_sgpr_workgroup_id_y 0
		.amdhsa_system_sgpr_workgroup_id_z 0
		.amdhsa_system_sgpr_workgroup_info 0
		.amdhsa_system_vgpr_workitem_id 0
		.amdhsa_next_free_vgpr 1
		.amdhsa_next_free_sgpr 0
		.amdhsa_reserve_vcc 0
		.amdhsa_reserve_flat_scratch 0
		.amdhsa_float_round_mode_32 0
		.amdhsa_float_round_mode_16_64 0
		.amdhsa_float_denorm_mode_32 3
		.amdhsa_float_denorm_mode_16_64 3
		.amdhsa_dx10_clamp 1
		.amdhsa_ieee_mode 1
		.amdhsa_fp16_overflow 0
		.amdhsa_exception_fp_ieee_invalid_op 0
		.amdhsa_exception_fp_denorm_src 0
		.amdhsa_exception_fp_ieee_div_zero 0
		.amdhsa_exception_fp_ieee_overflow 0
		.amdhsa_exception_fp_ieee_underflow 0
		.amdhsa_exception_fp_ieee_inexact 0
		.amdhsa_exception_int_div_zero 0
	.end_amdhsa_kernel
	.section	.text._ZN7rocprim17ROCPRIM_400000_NS6detail17trampoline_kernelINS0_14default_configENS1_29reduce_by_key_config_selectorIilN6thrust23THRUST_200600_302600_NS4plusIlEEEEZZNS1_33reduce_by_key_impl_wrapped_configILNS1_25lookback_scan_determinismE0ES3_S9_PiNS6_17constant_iteratorIiNS6_11use_defaultESE_EENS6_10device_ptrIiEENSG_IlEEPmS8_NS6_8equal_toIiEEEE10hipError_tPvRmT2_T3_mT4_T5_T6_T7_T8_P12ihipStream_tbENKUlT_T0_E_clISt17integral_constantIbLb0EES12_IbLb1EEEEDaSY_SZ_EUlSY_E_NS1_11comp_targetILNS1_3genE10ELNS1_11target_archE1200ELNS1_3gpuE4ELNS1_3repE0EEENS1_30default_config_static_selectorELNS0_4arch9wavefront6targetE1EEEvT1_,"axG",@progbits,_ZN7rocprim17ROCPRIM_400000_NS6detail17trampoline_kernelINS0_14default_configENS1_29reduce_by_key_config_selectorIilN6thrust23THRUST_200600_302600_NS4plusIlEEEEZZNS1_33reduce_by_key_impl_wrapped_configILNS1_25lookback_scan_determinismE0ES3_S9_PiNS6_17constant_iteratorIiNS6_11use_defaultESE_EENS6_10device_ptrIiEENSG_IlEEPmS8_NS6_8equal_toIiEEEE10hipError_tPvRmT2_T3_mT4_T5_T6_T7_T8_P12ihipStream_tbENKUlT_T0_E_clISt17integral_constantIbLb0EES12_IbLb1EEEEDaSY_SZ_EUlSY_E_NS1_11comp_targetILNS1_3genE10ELNS1_11target_archE1200ELNS1_3gpuE4ELNS1_3repE0EEENS1_30default_config_static_selectorELNS0_4arch9wavefront6targetE1EEEvT1_,comdat
.Lfunc_end971:
	.size	_ZN7rocprim17ROCPRIM_400000_NS6detail17trampoline_kernelINS0_14default_configENS1_29reduce_by_key_config_selectorIilN6thrust23THRUST_200600_302600_NS4plusIlEEEEZZNS1_33reduce_by_key_impl_wrapped_configILNS1_25lookback_scan_determinismE0ES3_S9_PiNS6_17constant_iteratorIiNS6_11use_defaultESE_EENS6_10device_ptrIiEENSG_IlEEPmS8_NS6_8equal_toIiEEEE10hipError_tPvRmT2_T3_mT4_T5_T6_T7_T8_P12ihipStream_tbENKUlT_T0_E_clISt17integral_constantIbLb0EES12_IbLb1EEEEDaSY_SZ_EUlSY_E_NS1_11comp_targetILNS1_3genE10ELNS1_11target_archE1200ELNS1_3gpuE4ELNS1_3repE0EEENS1_30default_config_static_selectorELNS0_4arch9wavefront6targetE1EEEvT1_, .Lfunc_end971-_ZN7rocprim17ROCPRIM_400000_NS6detail17trampoline_kernelINS0_14default_configENS1_29reduce_by_key_config_selectorIilN6thrust23THRUST_200600_302600_NS4plusIlEEEEZZNS1_33reduce_by_key_impl_wrapped_configILNS1_25lookback_scan_determinismE0ES3_S9_PiNS6_17constant_iteratorIiNS6_11use_defaultESE_EENS6_10device_ptrIiEENSG_IlEEPmS8_NS6_8equal_toIiEEEE10hipError_tPvRmT2_T3_mT4_T5_T6_T7_T8_P12ihipStream_tbENKUlT_T0_E_clISt17integral_constantIbLb0EES12_IbLb1EEEEDaSY_SZ_EUlSY_E_NS1_11comp_targetILNS1_3genE10ELNS1_11target_archE1200ELNS1_3gpuE4ELNS1_3repE0EEENS1_30default_config_static_selectorELNS0_4arch9wavefront6targetE1EEEvT1_
                                        ; -- End function
	.set _ZN7rocprim17ROCPRIM_400000_NS6detail17trampoline_kernelINS0_14default_configENS1_29reduce_by_key_config_selectorIilN6thrust23THRUST_200600_302600_NS4plusIlEEEEZZNS1_33reduce_by_key_impl_wrapped_configILNS1_25lookback_scan_determinismE0ES3_S9_PiNS6_17constant_iteratorIiNS6_11use_defaultESE_EENS6_10device_ptrIiEENSG_IlEEPmS8_NS6_8equal_toIiEEEE10hipError_tPvRmT2_T3_mT4_T5_T6_T7_T8_P12ihipStream_tbENKUlT_T0_E_clISt17integral_constantIbLb0EES12_IbLb1EEEEDaSY_SZ_EUlSY_E_NS1_11comp_targetILNS1_3genE10ELNS1_11target_archE1200ELNS1_3gpuE4ELNS1_3repE0EEENS1_30default_config_static_selectorELNS0_4arch9wavefront6targetE1EEEvT1_.num_vgpr, 0
	.set _ZN7rocprim17ROCPRIM_400000_NS6detail17trampoline_kernelINS0_14default_configENS1_29reduce_by_key_config_selectorIilN6thrust23THRUST_200600_302600_NS4plusIlEEEEZZNS1_33reduce_by_key_impl_wrapped_configILNS1_25lookback_scan_determinismE0ES3_S9_PiNS6_17constant_iteratorIiNS6_11use_defaultESE_EENS6_10device_ptrIiEENSG_IlEEPmS8_NS6_8equal_toIiEEEE10hipError_tPvRmT2_T3_mT4_T5_T6_T7_T8_P12ihipStream_tbENKUlT_T0_E_clISt17integral_constantIbLb0EES12_IbLb1EEEEDaSY_SZ_EUlSY_E_NS1_11comp_targetILNS1_3genE10ELNS1_11target_archE1200ELNS1_3gpuE4ELNS1_3repE0EEENS1_30default_config_static_selectorELNS0_4arch9wavefront6targetE1EEEvT1_.num_agpr, 0
	.set _ZN7rocprim17ROCPRIM_400000_NS6detail17trampoline_kernelINS0_14default_configENS1_29reduce_by_key_config_selectorIilN6thrust23THRUST_200600_302600_NS4plusIlEEEEZZNS1_33reduce_by_key_impl_wrapped_configILNS1_25lookback_scan_determinismE0ES3_S9_PiNS6_17constant_iteratorIiNS6_11use_defaultESE_EENS6_10device_ptrIiEENSG_IlEEPmS8_NS6_8equal_toIiEEEE10hipError_tPvRmT2_T3_mT4_T5_T6_T7_T8_P12ihipStream_tbENKUlT_T0_E_clISt17integral_constantIbLb0EES12_IbLb1EEEEDaSY_SZ_EUlSY_E_NS1_11comp_targetILNS1_3genE10ELNS1_11target_archE1200ELNS1_3gpuE4ELNS1_3repE0EEENS1_30default_config_static_selectorELNS0_4arch9wavefront6targetE1EEEvT1_.numbered_sgpr, 0
	.set _ZN7rocprim17ROCPRIM_400000_NS6detail17trampoline_kernelINS0_14default_configENS1_29reduce_by_key_config_selectorIilN6thrust23THRUST_200600_302600_NS4plusIlEEEEZZNS1_33reduce_by_key_impl_wrapped_configILNS1_25lookback_scan_determinismE0ES3_S9_PiNS6_17constant_iteratorIiNS6_11use_defaultESE_EENS6_10device_ptrIiEENSG_IlEEPmS8_NS6_8equal_toIiEEEE10hipError_tPvRmT2_T3_mT4_T5_T6_T7_T8_P12ihipStream_tbENKUlT_T0_E_clISt17integral_constantIbLb0EES12_IbLb1EEEEDaSY_SZ_EUlSY_E_NS1_11comp_targetILNS1_3genE10ELNS1_11target_archE1200ELNS1_3gpuE4ELNS1_3repE0EEENS1_30default_config_static_selectorELNS0_4arch9wavefront6targetE1EEEvT1_.num_named_barrier, 0
	.set _ZN7rocprim17ROCPRIM_400000_NS6detail17trampoline_kernelINS0_14default_configENS1_29reduce_by_key_config_selectorIilN6thrust23THRUST_200600_302600_NS4plusIlEEEEZZNS1_33reduce_by_key_impl_wrapped_configILNS1_25lookback_scan_determinismE0ES3_S9_PiNS6_17constant_iteratorIiNS6_11use_defaultESE_EENS6_10device_ptrIiEENSG_IlEEPmS8_NS6_8equal_toIiEEEE10hipError_tPvRmT2_T3_mT4_T5_T6_T7_T8_P12ihipStream_tbENKUlT_T0_E_clISt17integral_constantIbLb0EES12_IbLb1EEEEDaSY_SZ_EUlSY_E_NS1_11comp_targetILNS1_3genE10ELNS1_11target_archE1200ELNS1_3gpuE4ELNS1_3repE0EEENS1_30default_config_static_selectorELNS0_4arch9wavefront6targetE1EEEvT1_.private_seg_size, 0
	.set _ZN7rocprim17ROCPRIM_400000_NS6detail17trampoline_kernelINS0_14default_configENS1_29reduce_by_key_config_selectorIilN6thrust23THRUST_200600_302600_NS4plusIlEEEEZZNS1_33reduce_by_key_impl_wrapped_configILNS1_25lookback_scan_determinismE0ES3_S9_PiNS6_17constant_iteratorIiNS6_11use_defaultESE_EENS6_10device_ptrIiEENSG_IlEEPmS8_NS6_8equal_toIiEEEE10hipError_tPvRmT2_T3_mT4_T5_T6_T7_T8_P12ihipStream_tbENKUlT_T0_E_clISt17integral_constantIbLb0EES12_IbLb1EEEEDaSY_SZ_EUlSY_E_NS1_11comp_targetILNS1_3genE10ELNS1_11target_archE1200ELNS1_3gpuE4ELNS1_3repE0EEENS1_30default_config_static_selectorELNS0_4arch9wavefront6targetE1EEEvT1_.uses_vcc, 0
	.set _ZN7rocprim17ROCPRIM_400000_NS6detail17trampoline_kernelINS0_14default_configENS1_29reduce_by_key_config_selectorIilN6thrust23THRUST_200600_302600_NS4plusIlEEEEZZNS1_33reduce_by_key_impl_wrapped_configILNS1_25lookback_scan_determinismE0ES3_S9_PiNS6_17constant_iteratorIiNS6_11use_defaultESE_EENS6_10device_ptrIiEENSG_IlEEPmS8_NS6_8equal_toIiEEEE10hipError_tPvRmT2_T3_mT4_T5_T6_T7_T8_P12ihipStream_tbENKUlT_T0_E_clISt17integral_constantIbLb0EES12_IbLb1EEEEDaSY_SZ_EUlSY_E_NS1_11comp_targetILNS1_3genE10ELNS1_11target_archE1200ELNS1_3gpuE4ELNS1_3repE0EEENS1_30default_config_static_selectorELNS0_4arch9wavefront6targetE1EEEvT1_.uses_flat_scratch, 0
	.set _ZN7rocprim17ROCPRIM_400000_NS6detail17trampoline_kernelINS0_14default_configENS1_29reduce_by_key_config_selectorIilN6thrust23THRUST_200600_302600_NS4plusIlEEEEZZNS1_33reduce_by_key_impl_wrapped_configILNS1_25lookback_scan_determinismE0ES3_S9_PiNS6_17constant_iteratorIiNS6_11use_defaultESE_EENS6_10device_ptrIiEENSG_IlEEPmS8_NS6_8equal_toIiEEEE10hipError_tPvRmT2_T3_mT4_T5_T6_T7_T8_P12ihipStream_tbENKUlT_T0_E_clISt17integral_constantIbLb0EES12_IbLb1EEEEDaSY_SZ_EUlSY_E_NS1_11comp_targetILNS1_3genE10ELNS1_11target_archE1200ELNS1_3gpuE4ELNS1_3repE0EEENS1_30default_config_static_selectorELNS0_4arch9wavefront6targetE1EEEvT1_.has_dyn_sized_stack, 0
	.set _ZN7rocprim17ROCPRIM_400000_NS6detail17trampoline_kernelINS0_14default_configENS1_29reduce_by_key_config_selectorIilN6thrust23THRUST_200600_302600_NS4plusIlEEEEZZNS1_33reduce_by_key_impl_wrapped_configILNS1_25lookback_scan_determinismE0ES3_S9_PiNS6_17constant_iteratorIiNS6_11use_defaultESE_EENS6_10device_ptrIiEENSG_IlEEPmS8_NS6_8equal_toIiEEEE10hipError_tPvRmT2_T3_mT4_T5_T6_T7_T8_P12ihipStream_tbENKUlT_T0_E_clISt17integral_constantIbLb0EES12_IbLb1EEEEDaSY_SZ_EUlSY_E_NS1_11comp_targetILNS1_3genE10ELNS1_11target_archE1200ELNS1_3gpuE4ELNS1_3repE0EEENS1_30default_config_static_selectorELNS0_4arch9wavefront6targetE1EEEvT1_.has_recursion, 0
	.set _ZN7rocprim17ROCPRIM_400000_NS6detail17trampoline_kernelINS0_14default_configENS1_29reduce_by_key_config_selectorIilN6thrust23THRUST_200600_302600_NS4plusIlEEEEZZNS1_33reduce_by_key_impl_wrapped_configILNS1_25lookback_scan_determinismE0ES3_S9_PiNS6_17constant_iteratorIiNS6_11use_defaultESE_EENS6_10device_ptrIiEENSG_IlEEPmS8_NS6_8equal_toIiEEEE10hipError_tPvRmT2_T3_mT4_T5_T6_T7_T8_P12ihipStream_tbENKUlT_T0_E_clISt17integral_constantIbLb0EES12_IbLb1EEEEDaSY_SZ_EUlSY_E_NS1_11comp_targetILNS1_3genE10ELNS1_11target_archE1200ELNS1_3gpuE4ELNS1_3repE0EEENS1_30default_config_static_selectorELNS0_4arch9wavefront6targetE1EEEvT1_.has_indirect_call, 0
	.section	.AMDGPU.csdata,"",@progbits
; Kernel info:
; codeLenInByte = 0
; TotalNumSgprs: 4
; NumVgprs: 0
; ScratchSize: 0
; MemoryBound: 0
; FloatMode: 240
; IeeeMode: 1
; LDSByteSize: 0 bytes/workgroup (compile time only)
; SGPRBlocks: 0
; VGPRBlocks: 0
; NumSGPRsForWavesPerEU: 4
; NumVGPRsForWavesPerEU: 1
; Occupancy: 10
; WaveLimiterHint : 0
; COMPUTE_PGM_RSRC2:SCRATCH_EN: 0
; COMPUTE_PGM_RSRC2:USER_SGPR: 6
; COMPUTE_PGM_RSRC2:TRAP_HANDLER: 0
; COMPUTE_PGM_RSRC2:TGID_X_EN: 1
; COMPUTE_PGM_RSRC2:TGID_Y_EN: 0
; COMPUTE_PGM_RSRC2:TGID_Z_EN: 0
; COMPUTE_PGM_RSRC2:TIDIG_COMP_CNT: 0
	.section	.text._ZN7rocprim17ROCPRIM_400000_NS6detail17trampoline_kernelINS0_14default_configENS1_29reduce_by_key_config_selectorIilN6thrust23THRUST_200600_302600_NS4plusIlEEEEZZNS1_33reduce_by_key_impl_wrapped_configILNS1_25lookback_scan_determinismE0ES3_S9_PiNS6_17constant_iteratorIiNS6_11use_defaultESE_EENS6_10device_ptrIiEENSG_IlEEPmS8_NS6_8equal_toIiEEEE10hipError_tPvRmT2_T3_mT4_T5_T6_T7_T8_P12ihipStream_tbENKUlT_T0_E_clISt17integral_constantIbLb0EES12_IbLb1EEEEDaSY_SZ_EUlSY_E_NS1_11comp_targetILNS1_3genE9ELNS1_11target_archE1100ELNS1_3gpuE3ELNS1_3repE0EEENS1_30default_config_static_selectorELNS0_4arch9wavefront6targetE1EEEvT1_,"axG",@progbits,_ZN7rocprim17ROCPRIM_400000_NS6detail17trampoline_kernelINS0_14default_configENS1_29reduce_by_key_config_selectorIilN6thrust23THRUST_200600_302600_NS4plusIlEEEEZZNS1_33reduce_by_key_impl_wrapped_configILNS1_25lookback_scan_determinismE0ES3_S9_PiNS6_17constant_iteratorIiNS6_11use_defaultESE_EENS6_10device_ptrIiEENSG_IlEEPmS8_NS6_8equal_toIiEEEE10hipError_tPvRmT2_T3_mT4_T5_T6_T7_T8_P12ihipStream_tbENKUlT_T0_E_clISt17integral_constantIbLb0EES12_IbLb1EEEEDaSY_SZ_EUlSY_E_NS1_11comp_targetILNS1_3genE9ELNS1_11target_archE1100ELNS1_3gpuE3ELNS1_3repE0EEENS1_30default_config_static_selectorELNS0_4arch9wavefront6targetE1EEEvT1_,comdat
	.protected	_ZN7rocprim17ROCPRIM_400000_NS6detail17trampoline_kernelINS0_14default_configENS1_29reduce_by_key_config_selectorIilN6thrust23THRUST_200600_302600_NS4plusIlEEEEZZNS1_33reduce_by_key_impl_wrapped_configILNS1_25lookback_scan_determinismE0ES3_S9_PiNS6_17constant_iteratorIiNS6_11use_defaultESE_EENS6_10device_ptrIiEENSG_IlEEPmS8_NS6_8equal_toIiEEEE10hipError_tPvRmT2_T3_mT4_T5_T6_T7_T8_P12ihipStream_tbENKUlT_T0_E_clISt17integral_constantIbLb0EES12_IbLb1EEEEDaSY_SZ_EUlSY_E_NS1_11comp_targetILNS1_3genE9ELNS1_11target_archE1100ELNS1_3gpuE3ELNS1_3repE0EEENS1_30default_config_static_selectorELNS0_4arch9wavefront6targetE1EEEvT1_ ; -- Begin function _ZN7rocprim17ROCPRIM_400000_NS6detail17trampoline_kernelINS0_14default_configENS1_29reduce_by_key_config_selectorIilN6thrust23THRUST_200600_302600_NS4plusIlEEEEZZNS1_33reduce_by_key_impl_wrapped_configILNS1_25lookback_scan_determinismE0ES3_S9_PiNS6_17constant_iteratorIiNS6_11use_defaultESE_EENS6_10device_ptrIiEENSG_IlEEPmS8_NS6_8equal_toIiEEEE10hipError_tPvRmT2_T3_mT4_T5_T6_T7_T8_P12ihipStream_tbENKUlT_T0_E_clISt17integral_constantIbLb0EES12_IbLb1EEEEDaSY_SZ_EUlSY_E_NS1_11comp_targetILNS1_3genE9ELNS1_11target_archE1100ELNS1_3gpuE3ELNS1_3repE0EEENS1_30default_config_static_selectorELNS0_4arch9wavefront6targetE1EEEvT1_
	.globl	_ZN7rocprim17ROCPRIM_400000_NS6detail17trampoline_kernelINS0_14default_configENS1_29reduce_by_key_config_selectorIilN6thrust23THRUST_200600_302600_NS4plusIlEEEEZZNS1_33reduce_by_key_impl_wrapped_configILNS1_25lookback_scan_determinismE0ES3_S9_PiNS6_17constant_iteratorIiNS6_11use_defaultESE_EENS6_10device_ptrIiEENSG_IlEEPmS8_NS6_8equal_toIiEEEE10hipError_tPvRmT2_T3_mT4_T5_T6_T7_T8_P12ihipStream_tbENKUlT_T0_E_clISt17integral_constantIbLb0EES12_IbLb1EEEEDaSY_SZ_EUlSY_E_NS1_11comp_targetILNS1_3genE9ELNS1_11target_archE1100ELNS1_3gpuE3ELNS1_3repE0EEENS1_30default_config_static_selectorELNS0_4arch9wavefront6targetE1EEEvT1_
	.p2align	8
	.type	_ZN7rocprim17ROCPRIM_400000_NS6detail17trampoline_kernelINS0_14default_configENS1_29reduce_by_key_config_selectorIilN6thrust23THRUST_200600_302600_NS4plusIlEEEEZZNS1_33reduce_by_key_impl_wrapped_configILNS1_25lookback_scan_determinismE0ES3_S9_PiNS6_17constant_iteratorIiNS6_11use_defaultESE_EENS6_10device_ptrIiEENSG_IlEEPmS8_NS6_8equal_toIiEEEE10hipError_tPvRmT2_T3_mT4_T5_T6_T7_T8_P12ihipStream_tbENKUlT_T0_E_clISt17integral_constantIbLb0EES12_IbLb1EEEEDaSY_SZ_EUlSY_E_NS1_11comp_targetILNS1_3genE9ELNS1_11target_archE1100ELNS1_3gpuE3ELNS1_3repE0EEENS1_30default_config_static_selectorELNS0_4arch9wavefront6targetE1EEEvT1_,@function
_ZN7rocprim17ROCPRIM_400000_NS6detail17trampoline_kernelINS0_14default_configENS1_29reduce_by_key_config_selectorIilN6thrust23THRUST_200600_302600_NS4plusIlEEEEZZNS1_33reduce_by_key_impl_wrapped_configILNS1_25lookback_scan_determinismE0ES3_S9_PiNS6_17constant_iteratorIiNS6_11use_defaultESE_EENS6_10device_ptrIiEENSG_IlEEPmS8_NS6_8equal_toIiEEEE10hipError_tPvRmT2_T3_mT4_T5_T6_T7_T8_P12ihipStream_tbENKUlT_T0_E_clISt17integral_constantIbLb0EES12_IbLb1EEEEDaSY_SZ_EUlSY_E_NS1_11comp_targetILNS1_3genE9ELNS1_11target_archE1100ELNS1_3gpuE3ELNS1_3repE0EEENS1_30default_config_static_selectorELNS0_4arch9wavefront6targetE1EEEvT1_: ; @_ZN7rocprim17ROCPRIM_400000_NS6detail17trampoline_kernelINS0_14default_configENS1_29reduce_by_key_config_selectorIilN6thrust23THRUST_200600_302600_NS4plusIlEEEEZZNS1_33reduce_by_key_impl_wrapped_configILNS1_25lookback_scan_determinismE0ES3_S9_PiNS6_17constant_iteratorIiNS6_11use_defaultESE_EENS6_10device_ptrIiEENSG_IlEEPmS8_NS6_8equal_toIiEEEE10hipError_tPvRmT2_T3_mT4_T5_T6_T7_T8_P12ihipStream_tbENKUlT_T0_E_clISt17integral_constantIbLb0EES12_IbLb1EEEEDaSY_SZ_EUlSY_E_NS1_11comp_targetILNS1_3genE9ELNS1_11target_archE1100ELNS1_3gpuE3ELNS1_3repE0EEENS1_30default_config_static_selectorELNS0_4arch9wavefront6targetE1EEEvT1_
; %bb.0:
	.section	.rodata,"a",@progbits
	.p2align	6, 0x0
	.amdhsa_kernel _ZN7rocprim17ROCPRIM_400000_NS6detail17trampoline_kernelINS0_14default_configENS1_29reduce_by_key_config_selectorIilN6thrust23THRUST_200600_302600_NS4plusIlEEEEZZNS1_33reduce_by_key_impl_wrapped_configILNS1_25lookback_scan_determinismE0ES3_S9_PiNS6_17constant_iteratorIiNS6_11use_defaultESE_EENS6_10device_ptrIiEENSG_IlEEPmS8_NS6_8equal_toIiEEEE10hipError_tPvRmT2_T3_mT4_T5_T6_T7_T8_P12ihipStream_tbENKUlT_T0_E_clISt17integral_constantIbLb0EES12_IbLb1EEEEDaSY_SZ_EUlSY_E_NS1_11comp_targetILNS1_3genE9ELNS1_11target_archE1100ELNS1_3gpuE3ELNS1_3repE0EEENS1_30default_config_static_selectorELNS0_4arch9wavefront6targetE1EEEvT1_
		.amdhsa_group_segment_fixed_size 0
		.amdhsa_private_segment_fixed_size 0
		.amdhsa_kernarg_size 144
		.amdhsa_user_sgpr_count 6
		.amdhsa_user_sgpr_private_segment_buffer 1
		.amdhsa_user_sgpr_dispatch_ptr 0
		.amdhsa_user_sgpr_queue_ptr 0
		.amdhsa_user_sgpr_kernarg_segment_ptr 1
		.amdhsa_user_sgpr_dispatch_id 0
		.amdhsa_user_sgpr_flat_scratch_init 0
		.amdhsa_user_sgpr_private_segment_size 0
		.amdhsa_uses_dynamic_stack 0
		.amdhsa_system_sgpr_private_segment_wavefront_offset 0
		.amdhsa_system_sgpr_workgroup_id_x 1
		.amdhsa_system_sgpr_workgroup_id_y 0
		.amdhsa_system_sgpr_workgroup_id_z 0
		.amdhsa_system_sgpr_workgroup_info 0
		.amdhsa_system_vgpr_workitem_id 0
		.amdhsa_next_free_vgpr 1
		.amdhsa_next_free_sgpr 0
		.amdhsa_reserve_vcc 0
		.amdhsa_reserve_flat_scratch 0
		.amdhsa_float_round_mode_32 0
		.amdhsa_float_round_mode_16_64 0
		.amdhsa_float_denorm_mode_32 3
		.amdhsa_float_denorm_mode_16_64 3
		.amdhsa_dx10_clamp 1
		.amdhsa_ieee_mode 1
		.amdhsa_fp16_overflow 0
		.amdhsa_exception_fp_ieee_invalid_op 0
		.amdhsa_exception_fp_denorm_src 0
		.amdhsa_exception_fp_ieee_div_zero 0
		.amdhsa_exception_fp_ieee_overflow 0
		.amdhsa_exception_fp_ieee_underflow 0
		.amdhsa_exception_fp_ieee_inexact 0
		.amdhsa_exception_int_div_zero 0
	.end_amdhsa_kernel
	.section	.text._ZN7rocprim17ROCPRIM_400000_NS6detail17trampoline_kernelINS0_14default_configENS1_29reduce_by_key_config_selectorIilN6thrust23THRUST_200600_302600_NS4plusIlEEEEZZNS1_33reduce_by_key_impl_wrapped_configILNS1_25lookback_scan_determinismE0ES3_S9_PiNS6_17constant_iteratorIiNS6_11use_defaultESE_EENS6_10device_ptrIiEENSG_IlEEPmS8_NS6_8equal_toIiEEEE10hipError_tPvRmT2_T3_mT4_T5_T6_T7_T8_P12ihipStream_tbENKUlT_T0_E_clISt17integral_constantIbLb0EES12_IbLb1EEEEDaSY_SZ_EUlSY_E_NS1_11comp_targetILNS1_3genE9ELNS1_11target_archE1100ELNS1_3gpuE3ELNS1_3repE0EEENS1_30default_config_static_selectorELNS0_4arch9wavefront6targetE1EEEvT1_,"axG",@progbits,_ZN7rocprim17ROCPRIM_400000_NS6detail17trampoline_kernelINS0_14default_configENS1_29reduce_by_key_config_selectorIilN6thrust23THRUST_200600_302600_NS4plusIlEEEEZZNS1_33reduce_by_key_impl_wrapped_configILNS1_25lookback_scan_determinismE0ES3_S9_PiNS6_17constant_iteratorIiNS6_11use_defaultESE_EENS6_10device_ptrIiEENSG_IlEEPmS8_NS6_8equal_toIiEEEE10hipError_tPvRmT2_T3_mT4_T5_T6_T7_T8_P12ihipStream_tbENKUlT_T0_E_clISt17integral_constantIbLb0EES12_IbLb1EEEEDaSY_SZ_EUlSY_E_NS1_11comp_targetILNS1_3genE9ELNS1_11target_archE1100ELNS1_3gpuE3ELNS1_3repE0EEENS1_30default_config_static_selectorELNS0_4arch9wavefront6targetE1EEEvT1_,comdat
.Lfunc_end972:
	.size	_ZN7rocprim17ROCPRIM_400000_NS6detail17trampoline_kernelINS0_14default_configENS1_29reduce_by_key_config_selectorIilN6thrust23THRUST_200600_302600_NS4plusIlEEEEZZNS1_33reduce_by_key_impl_wrapped_configILNS1_25lookback_scan_determinismE0ES3_S9_PiNS6_17constant_iteratorIiNS6_11use_defaultESE_EENS6_10device_ptrIiEENSG_IlEEPmS8_NS6_8equal_toIiEEEE10hipError_tPvRmT2_T3_mT4_T5_T6_T7_T8_P12ihipStream_tbENKUlT_T0_E_clISt17integral_constantIbLb0EES12_IbLb1EEEEDaSY_SZ_EUlSY_E_NS1_11comp_targetILNS1_3genE9ELNS1_11target_archE1100ELNS1_3gpuE3ELNS1_3repE0EEENS1_30default_config_static_selectorELNS0_4arch9wavefront6targetE1EEEvT1_, .Lfunc_end972-_ZN7rocprim17ROCPRIM_400000_NS6detail17trampoline_kernelINS0_14default_configENS1_29reduce_by_key_config_selectorIilN6thrust23THRUST_200600_302600_NS4plusIlEEEEZZNS1_33reduce_by_key_impl_wrapped_configILNS1_25lookback_scan_determinismE0ES3_S9_PiNS6_17constant_iteratorIiNS6_11use_defaultESE_EENS6_10device_ptrIiEENSG_IlEEPmS8_NS6_8equal_toIiEEEE10hipError_tPvRmT2_T3_mT4_T5_T6_T7_T8_P12ihipStream_tbENKUlT_T0_E_clISt17integral_constantIbLb0EES12_IbLb1EEEEDaSY_SZ_EUlSY_E_NS1_11comp_targetILNS1_3genE9ELNS1_11target_archE1100ELNS1_3gpuE3ELNS1_3repE0EEENS1_30default_config_static_selectorELNS0_4arch9wavefront6targetE1EEEvT1_
                                        ; -- End function
	.set _ZN7rocprim17ROCPRIM_400000_NS6detail17trampoline_kernelINS0_14default_configENS1_29reduce_by_key_config_selectorIilN6thrust23THRUST_200600_302600_NS4plusIlEEEEZZNS1_33reduce_by_key_impl_wrapped_configILNS1_25lookback_scan_determinismE0ES3_S9_PiNS6_17constant_iteratorIiNS6_11use_defaultESE_EENS6_10device_ptrIiEENSG_IlEEPmS8_NS6_8equal_toIiEEEE10hipError_tPvRmT2_T3_mT4_T5_T6_T7_T8_P12ihipStream_tbENKUlT_T0_E_clISt17integral_constantIbLb0EES12_IbLb1EEEEDaSY_SZ_EUlSY_E_NS1_11comp_targetILNS1_3genE9ELNS1_11target_archE1100ELNS1_3gpuE3ELNS1_3repE0EEENS1_30default_config_static_selectorELNS0_4arch9wavefront6targetE1EEEvT1_.num_vgpr, 0
	.set _ZN7rocprim17ROCPRIM_400000_NS6detail17trampoline_kernelINS0_14default_configENS1_29reduce_by_key_config_selectorIilN6thrust23THRUST_200600_302600_NS4plusIlEEEEZZNS1_33reduce_by_key_impl_wrapped_configILNS1_25lookback_scan_determinismE0ES3_S9_PiNS6_17constant_iteratorIiNS6_11use_defaultESE_EENS6_10device_ptrIiEENSG_IlEEPmS8_NS6_8equal_toIiEEEE10hipError_tPvRmT2_T3_mT4_T5_T6_T7_T8_P12ihipStream_tbENKUlT_T0_E_clISt17integral_constantIbLb0EES12_IbLb1EEEEDaSY_SZ_EUlSY_E_NS1_11comp_targetILNS1_3genE9ELNS1_11target_archE1100ELNS1_3gpuE3ELNS1_3repE0EEENS1_30default_config_static_selectorELNS0_4arch9wavefront6targetE1EEEvT1_.num_agpr, 0
	.set _ZN7rocprim17ROCPRIM_400000_NS6detail17trampoline_kernelINS0_14default_configENS1_29reduce_by_key_config_selectorIilN6thrust23THRUST_200600_302600_NS4plusIlEEEEZZNS1_33reduce_by_key_impl_wrapped_configILNS1_25lookback_scan_determinismE0ES3_S9_PiNS6_17constant_iteratorIiNS6_11use_defaultESE_EENS6_10device_ptrIiEENSG_IlEEPmS8_NS6_8equal_toIiEEEE10hipError_tPvRmT2_T3_mT4_T5_T6_T7_T8_P12ihipStream_tbENKUlT_T0_E_clISt17integral_constantIbLb0EES12_IbLb1EEEEDaSY_SZ_EUlSY_E_NS1_11comp_targetILNS1_3genE9ELNS1_11target_archE1100ELNS1_3gpuE3ELNS1_3repE0EEENS1_30default_config_static_selectorELNS0_4arch9wavefront6targetE1EEEvT1_.numbered_sgpr, 0
	.set _ZN7rocprim17ROCPRIM_400000_NS6detail17trampoline_kernelINS0_14default_configENS1_29reduce_by_key_config_selectorIilN6thrust23THRUST_200600_302600_NS4plusIlEEEEZZNS1_33reduce_by_key_impl_wrapped_configILNS1_25lookback_scan_determinismE0ES3_S9_PiNS6_17constant_iteratorIiNS6_11use_defaultESE_EENS6_10device_ptrIiEENSG_IlEEPmS8_NS6_8equal_toIiEEEE10hipError_tPvRmT2_T3_mT4_T5_T6_T7_T8_P12ihipStream_tbENKUlT_T0_E_clISt17integral_constantIbLb0EES12_IbLb1EEEEDaSY_SZ_EUlSY_E_NS1_11comp_targetILNS1_3genE9ELNS1_11target_archE1100ELNS1_3gpuE3ELNS1_3repE0EEENS1_30default_config_static_selectorELNS0_4arch9wavefront6targetE1EEEvT1_.num_named_barrier, 0
	.set _ZN7rocprim17ROCPRIM_400000_NS6detail17trampoline_kernelINS0_14default_configENS1_29reduce_by_key_config_selectorIilN6thrust23THRUST_200600_302600_NS4plusIlEEEEZZNS1_33reduce_by_key_impl_wrapped_configILNS1_25lookback_scan_determinismE0ES3_S9_PiNS6_17constant_iteratorIiNS6_11use_defaultESE_EENS6_10device_ptrIiEENSG_IlEEPmS8_NS6_8equal_toIiEEEE10hipError_tPvRmT2_T3_mT4_T5_T6_T7_T8_P12ihipStream_tbENKUlT_T0_E_clISt17integral_constantIbLb0EES12_IbLb1EEEEDaSY_SZ_EUlSY_E_NS1_11comp_targetILNS1_3genE9ELNS1_11target_archE1100ELNS1_3gpuE3ELNS1_3repE0EEENS1_30default_config_static_selectorELNS0_4arch9wavefront6targetE1EEEvT1_.private_seg_size, 0
	.set _ZN7rocprim17ROCPRIM_400000_NS6detail17trampoline_kernelINS0_14default_configENS1_29reduce_by_key_config_selectorIilN6thrust23THRUST_200600_302600_NS4plusIlEEEEZZNS1_33reduce_by_key_impl_wrapped_configILNS1_25lookback_scan_determinismE0ES3_S9_PiNS6_17constant_iteratorIiNS6_11use_defaultESE_EENS6_10device_ptrIiEENSG_IlEEPmS8_NS6_8equal_toIiEEEE10hipError_tPvRmT2_T3_mT4_T5_T6_T7_T8_P12ihipStream_tbENKUlT_T0_E_clISt17integral_constantIbLb0EES12_IbLb1EEEEDaSY_SZ_EUlSY_E_NS1_11comp_targetILNS1_3genE9ELNS1_11target_archE1100ELNS1_3gpuE3ELNS1_3repE0EEENS1_30default_config_static_selectorELNS0_4arch9wavefront6targetE1EEEvT1_.uses_vcc, 0
	.set _ZN7rocprim17ROCPRIM_400000_NS6detail17trampoline_kernelINS0_14default_configENS1_29reduce_by_key_config_selectorIilN6thrust23THRUST_200600_302600_NS4plusIlEEEEZZNS1_33reduce_by_key_impl_wrapped_configILNS1_25lookback_scan_determinismE0ES3_S9_PiNS6_17constant_iteratorIiNS6_11use_defaultESE_EENS6_10device_ptrIiEENSG_IlEEPmS8_NS6_8equal_toIiEEEE10hipError_tPvRmT2_T3_mT4_T5_T6_T7_T8_P12ihipStream_tbENKUlT_T0_E_clISt17integral_constantIbLb0EES12_IbLb1EEEEDaSY_SZ_EUlSY_E_NS1_11comp_targetILNS1_3genE9ELNS1_11target_archE1100ELNS1_3gpuE3ELNS1_3repE0EEENS1_30default_config_static_selectorELNS0_4arch9wavefront6targetE1EEEvT1_.uses_flat_scratch, 0
	.set _ZN7rocprim17ROCPRIM_400000_NS6detail17trampoline_kernelINS0_14default_configENS1_29reduce_by_key_config_selectorIilN6thrust23THRUST_200600_302600_NS4plusIlEEEEZZNS1_33reduce_by_key_impl_wrapped_configILNS1_25lookback_scan_determinismE0ES3_S9_PiNS6_17constant_iteratorIiNS6_11use_defaultESE_EENS6_10device_ptrIiEENSG_IlEEPmS8_NS6_8equal_toIiEEEE10hipError_tPvRmT2_T3_mT4_T5_T6_T7_T8_P12ihipStream_tbENKUlT_T0_E_clISt17integral_constantIbLb0EES12_IbLb1EEEEDaSY_SZ_EUlSY_E_NS1_11comp_targetILNS1_3genE9ELNS1_11target_archE1100ELNS1_3gpuE3ELNS1_3repE0EEENS1_30default_config_static_selectorELNS0_4arch9wavefront6targetE1EEEvT1_.has_dyn_sized_stack, 0
	.set _ZN7rocprim17ROCPRIM_400000_NS6detail17trampoline_kernelINS0_14default_configENS1_29reduce_by_key_config_selectorIilN6thrust23THRUST_200600_302600_NS4plusIlEEEEZZNS1_33reduce_by_key_impl_wrapped_configILNS1_25lookback_scan_determinismE0ES3_S9_PiNS6_17constant_iteratorIiNS6_11use_defaultESE_EENS6_10device_ptrIiEENSG_IlEEPmS8_NS6_8equal_toIiEEEE10hipError_tPvRmT2_T3_mT4_T5_T6_T7_T8_P12ihipStream_tbENKUlT_T0_E_clISt17integral_constantIbLb0EES12_IbLb1EEEEDaSY_SZ_EUlSY_E_NS1_11comp_targetILNS1_3genE9ELNS1_11target_archE1100ELNS1_3gpuE3ELNS1_3repE0EEENS1_30default_config_static_selectorELNS0_4arch9wavefront6targetE1EEEvT1_.has_recursion, 0
	.set _ZN7rocprim17ROCPRIM_400000_NS6detail17trampoline_kernelINS0_14default_configENS1_29reduce_by_key_config_selectorIilN6thrust23THRUST_200600_302600_NS4plusIlEEEEZZNS1_33reduce_by_key_impl_wrapped_configILNS1_25lookback_scan_determinismE0ES3_S9_PiNS6_17constant_iteratorIiNS6_11use_defaultESE_EENS6_10device_ptrIiEENSG_IlEEPmS8_NS6_8equal_toIiEEEE10hipError_tPvRmT2_T3_mT4_T5_T6_T7_T8_P12ihipStream_tbENKUlT_T0_E_clISt17integral_constantIbLb0EES12_IbLb1EEEEDaSY_SZ_EUlSY_E_NS1_11comp_targetILNS1_3genE9ELNS1_11target_archE1100ELNS1_3gpuE3ELNS1_3repE0EEENS1_30default_config_static_selectorELNS0_4arch9wavefront6targetE1EEEvT1_.has_indirect_call, 0
	.section	.AMDGPU.csdata,"",@progbits
; Kernel info:
; codeLenInByte = 0
; TotalNumSgprs: 4
; NumVgprs: 0
; ScratchSize: 0
; MemoryBound: 0
; FloatMode: 240
; IeeeMode: 1
; LDSByteSize: 0 bytes/workgroup (compile time only)
; SGPRBlocks: 0
; VGPRBlocks: 0
; NumSGPRsForWavesPerEU: 4
; NumVGPRsForWavesPerEU: 1
; Occupancy: 10
; WaveLimiterHint : 0
; COMPUTE_PGM_RSRC2:SCRATCH_EN: 0
; COMPUTE_PGM_RSRC2:USER_SGPR: 6
; COMPUTE_PGM_RSRC2:TRAP_HANDLER: 0
; COMPUTE_PGM_RSRC2:TGID_X_EN: 1
; COMPUTE_PGM_RSRC2:TGID_Y_EN: 0
; COMPUTE_PGM_RSRC2:TGID_Z_EN: 0
; COMPUTE_PGM_RSRC2:TIDIG_COMP_CNT: 0
	.section	.text._ZN7rocprim17ROCPRIM_400000_NS6detail17trampoline_kernelINS0_14default_configENS1_29reduce_by_key_config_selectorIilN6thrust23THRUST_200600_302600_NS4plusIlEEEEZZNS1_33reduce_by_key_impl_wrapped_configILNS1_25lookback_scan_determinismE0ES3_S9_PiNS6_17constant_iteratorIiNS6_11use_defaultESE_EENS6_10device_ptrIiEENSG_IlEEPmS8_NS6_8equal_toIiEEEE10hipError_tPvRmT2_T3_mT4_T5_T6_T7_T8_P12ihipStream_tbENKUlT_T0_E_clISt17integral_constantIbLb0EES12_IbLb1EEEEDaSY_SZ_EUlSY_E_NS1_11comp_targetILNS1_3genE8ELNS1_11target_archE1030ELNS1_3gpuE2ELNS1_3repE0EEENS1_30default_config_static_selectorELNS0_4arch9wavefront6targetE1EEEvT1_,"axG",@progbits,_ZN7rocprim17ROCPRIM_400000_NS6detail17trampoline_kernelINS0_14default_configENS1_29reduce_by_key_config_selectorIilN6thrust23THRUST_200600_302600_NS4plusIlEEEEZZNS1_33reduce_by_key_impl_wrapped_configILNS1_25lookback_scan_determinismE0ES3_S9_PiNS6_17constant_iteratorIiNS6_11use_defaultESE_EENS6_10device_ptrIiEENSG_IlEEPmS8_NS6_8equal_toIiEEEE10hipError_tPvRmT2_T3_mT4_T5_T6_T7_T8_P12ihipStream_tbENKUlT_T0_E_clISt17integral_constantIbLb0EES12_IbLb1EEEEDaSY_SZ_EUlSY_E_NS1_11comp_targetILNS1_3genE8ELNS1_11target_archE1030ELNS1_3gpuE2ELNS1_3repE0EEENS1_30default_config_static_selectorELNS0_4arch9wavefront6targetE1EEEvT1_,comdat
	.protected	_ZN7rocprim17ROCPRIM_400000_NS6detail17trampoline_kernelINS0_14default_configENS1_29reduce_by_key_config_selectorIilN6thrust23THRUST_200600_302600_NS4plusIlEEEEZZNS1_33reduce_by_key_impl_wrapped_configILNS1_25lookback_scan_determinismE0ES3_S9_PiNS6_17constant_iteratorIiNS6_11use_defaultESE_EENS6_10device_ptrIiEENSG_IlEEPmS8_NS6_8equal_toIiEEEE10hipError_tPvRmT2_T3_mT4_T5_T6_T7_T8_P12ihipStream_tbENKUlT_T0_E_clISt17integral_constantIbLb0EES12_IbLb1EEEEDaSY_SZ_EUlSY_E_NS1_11comp_targetILNS1_3genE8ELNS1_11target_archE1030ELNS1_3gpuE2ELNS1_3repE0EEENS1_30default_config_static_selectorELNS0_4arch9wavefront6targetE1EEEvT1_ ; -- Begin function _ZN7rocprim17ROCPRIM_400000_NS6detail17trampoline_kernelINS0_14default_configENS1_29reduce_by_key_config_selectorIilN6thrust23THRUST_200600_302600_NS4plusIlEEEEZZNS1_33reduce_by_key_impl_wrapped_configILNS1_25lookback_scan_determinismE0ES3_S9_PiNS6_17constant_iteratorIiNS6_11use_defaultESE_EENS6_10device_ptrIiEENSG_IlEEPmS8_NS6_8equal_toIiEEEE10hipError_tPvRmT2_T3_mT4_T5_T6_T7_T8_P12ihipStream_tbENKUlT_T0_E_clISt17integral_constantIbLb0EES12_IbLb1EEEEDaSY_SZ_EUlSY_E_NS1_11comp_targetILNS1_3genE8ELNS1_11target_archE1030ELNS1_3gpuE2ELNS1_3repE0EEENS1_30default_config_static_selectorELNS0_4arch9wavefront6targetE1EEEvT1_
	.globl	_ZN7rocprim17ROCPRIM_400000_NS6detail17trampoline_kernelINS0_14default_configENS1_29reduce_by_key_config_selectorIilN6thrust23THRUST_200600_302600_NS4plusIlEEEEZZNS1_33reduce_by_key_impl_wrapped_configILNS1_25lookback_scan_determinismE0ES3_S9_PiNS6_17constant_iteratorIiNS6_11use_defaultESE_EENS6_10device_ptrIiEENSG_IlEEPmS8_NS6_8equal_toIiEEEE10hipError_tPvRmT2_T3_mT4_T5_T6_T7_T8_P12ihipStream_tbENKUlT_T0_E_clISt17integral_constantIbLb0EES12_IbLb1EEEEDaSY_SZ_EUlSY_E_NS1_11comp_targetILNS1_3genE8ELNS1_11target_archE1030ELNS1_3gpuE2ELNS1_3repE0EEENS1_30default_config_static_selectorELNS0_4arch9wavefront6targetE1EEEvT1_
	.p2align	8
	.type	_ZN7rocprim17ROCPRIM_400000_NS6detail17trampoline_kernelINS0_14default_configENS1_29reduce_by_key_config_selectorIilN6thrust23THRUST_200600_302600_NS4plusIlEEEEZZNS1_33reduce_by_key_impl_wrapped_configILNS1_25lookback_scan_determinismE0ES3_S9_PiNS6_17constant_iteratorIiNS6_11use_defaultESE_EENS6_10device_ptrIiEENSG_IlEEPmS8_NS6_8equal_toIiEEEE10hipError_tPvRmT2_T3_mT4_T5_T6_T7_T8_P12ihipStream_tbENKUlT_T0_E_clISt17integral_constantIbLb0EES12_IbLb1EEEEDaSY_SZ_EUlSY_E_NS1_11comp_targetILNS1_3genE8ELNS1_11target_archE1030ELNS1_3gpuE2ELNS1_3repE0EEENS1_30default_config_static_selectorELNS0_4arch9wavefront6targetE1EEEvT1_,@function
_ZN7rocprim17ROCPRIM_400000_NS6detail17trampoline_kernelINS0_14default_configENS1_29reduce_by_key_config_selectorIilN6thrust23THRUST_200600_302600_NS4plusIlEEEEZZNS1_33reduce_by_key_impl_wrapped_configILNS1_25lookback_scan_determinismE0ES3_S9_PiNS6_17constant_iteratorIiNS6_11use_defaultESE_EENS6_10device_ptrIiEENSG_IlEEPmS8_NS6_8equal_toIiEEEE10hipError_tPvRmT2_T3_mT4_T5_T6_T7_T8_P12ihipStream_tbENKUlT_T0_E_clISt17integral_constantIbLb0EES12_IbLb1EEEEDaSY_SZ_EUlSY_E_NS1_11comp_targetILNS1_3genE8ELNS1_11target_archE1030ELNS1_3gpuE2ELNS1_3repE0EEENS1_30default_config_static_selectorELNS0_4arch9wavefront6targetE1EEEvT1_: ; @_ZN7rocprim17ROCPRIM_400000_NS6detail17trampoline_kernelINS0_14default_configENS1_29reduce_by_key_config_selectorIilN6thrust23THRUST_200600_302600_NS4plusIlEEEEZZNS1_33reduce_by_key_impl_wrapped_configILNS1_25lookback_scan_determinismE0ES3_S9_PiNS6_17constant_iteratorIiNS6_11use_defaultESE_EENS6_10device_ptrIiEENSG_IlEEPmS8_NS6_8equal_toIiEEEE10hipError_tPvRmT2_T3_mT4_T5_T6_T7_T8_P12ihipStream_tbENKUlT_T0_E_clISt17integral_constantIbLb0EES12_IbLb1EEEEDaSY_SZ_EUlSY_E_NS1_11comp_targetILNS1_3genE8ELNS1_11target_archE1030ELNS1_3gpuE2ELNS1_3repE0EEENS1_30default_config_static_selectorELNS0_4arch9wavefront6targetE1EEEvT1_
; %bb.0:
	.section	.rodata,"a",@progbits
	.p2align	6, 0x0
	.amdhsa_kernel _ZN7rocprim17ROCPRIM_400000_NS6detail17trampoline_kernelINS0_14default_configENS1_29reduce_by_key_config_selectorIilN6thrust23THRUST_200600_302600_NS4plusIlEEEEZZNS1_33reduce_by_key_impl_wrapped_configILNS1_25lookback_scan_determinismE0ES3_S9_PiNS6_17constant_iteratorIiNS6_11use_defaultESE_EENS6_10device_ptrIiEENSG_IlEEPmS8_NS6_8equal_toIiEEEE10hipError_tPvRmT2_T3_mT4_T5_T6_T7_T8_P12ihipStream_tbENKUlT_T0_E_clISt17integral_constantIbLb0EES12_IbLb1EEEEDaSY_SZ_EUlSY_E_NS1_11comp_targetILNS1_3genE8ELNS1_11target_archE1030ELNS1_3gpuE2ELNS1_3repE0EEENS1_30default_config_static_selectorELNS0_4arch9wavefront6targetE1EEEvT1_
		.amdhsa_group_segment_fixed_size 0
		.amdhsa_private_segment_fixed_size 0
		.amdhsa_kernarg_size 144
		.amdhsa_user_sgpr_count 6
		.amdhsa_user_sgpr_private_segment_buffer 1
		.amdhsa_user_sgpr_dispatch_ptr 0
		.amdhsa_user_sgpr_queue_ptr 0
		.amdhsa_user_sgpr_kernarg_segment_ptr 1
		.amdhsa_user_sgpr_dispatch_id 0
		.amdhsa_user_sgpr_flat_scratch_init 0
		.amdhsa_user_sgpr_private_segment_size 0
		.amdhsa_uses_dynamic_stack 0
		.amdhsa_system_sgpr_private_segment_wavefront_offset 0
		.amdhsa_system_sgpr_workgroup_id_x 1
		.amdhsa_system_sgpr_workgroup_id_y 0
		.amdhsa_system_sgpr_workgroup_id_z 0
		.amdhsa_system_sgpr_workgroup_info 0
		.amdhsa_system_vgpr_workitem_id 0
		.amdhsa_next_free_vgpr 1
		.amdhsa_next_free_sgpr 0
		.amdhsa_reserve_vcc 0
		.amdhsa_reserve_flat_scratch 0
		.amdhsa_float_round_mode_32 0
		.amdhsa_float_round_mode_16_64 0
		.amdhsa_float_denorm_mode_32 3
		.amdhsa_float_denorm_mode_16_64 3
		.amdhsa_dx10_clamp 1
		.amdhsa_ieee_mode 1
		.amdhsa_fp16_overflow 0
		.amdhsa_exception_fp_ieee_invalid_op 0
		.amdhsa_exception_fp_denorm_src 0
		.amdhsa_exception_fp_ieee_div_zero 0
		.amdhsa_exception_fp_ieee_overflow 0
		.amdhsa_exception_fp_ieee_underflow 0
		.amdhsa_exception_fp_ieee_inexact 0
		.amdhsa_exception_int_div_zero 0
	.end_amdhsa_kernel
	.section	.text._ZN7rocprim17ROCPRIM_400000_NS6detail17trampoline_kernelINS0_14default_configENS1_29reduce_by_key_config_selectorIilN6thrust23THRUST_200600_302600_NS4plusIlEEEEZZNS1_33reduce_by_key_impl_wrapped_configILNS1_25lookback_scan_determinismE0ES3_S9_PiNS6_17constant_iteratorIiNS6_11use_defaultESE_EENS6_10device_ptrIiEENSG_IlEEPmS8_NS6_8equal_toIiEEEE10hipError_tPvRmT2_T3_mT4_T5_T6_T7_T8_P12ihipStream_tbENKUlT_T0_E_clISt17integral_constantIbLb0EES12_IbLb1EEEEDaSY_SZ_EUlSY_E_NS1_11comp_targetILNS1_3genE8ELNS1_11target_archE1030ELNS1_3gpuE2ELNS1_3repE0EEENS1_30default_config_static_selectorELNS0_4arch9wavefront6targetE1EEEvT1_,"axG",@progbits,_ZN7rocprim17ROCPRIM_400000_NS6detail17trampoline_kernelINS0_14default_configENS1_29reduce_by_key_config_selectorIilN6thrust23THRUST_200600_302600_NS4plusIlEEEEZZNS1_33reduce_by_key_impl_wrapped_configILNS1_25lookback_scan_determinismE0ES3_S9_PiNS6_17constant_iteratorIiNS6_11use_defaultESE_EENS6_10device_ptrIiEENSG_IlEEPmS8_NS6_8equal_toIiEEEE10hipError_tPvRmT2_T3_mT4_T5_T6_T7_T8_P12ihipStream_tbENKUlT_T0_E_clISt17integral_constantIbLb0EES12_IbLb1EEEEDaSY_SZ_EUlSY_E_NS1_11comp_targetILNS1_3genE8ELNS1_11target_archE1030ELNS1_3gpuE2ELNS1_3repE0EEENS1_30default_config_static_selectorELNS0_4arch9wavefront6targetE1EEEvT1_,comdat
.Lfunc_end973:
	.size	_ZN7rocprim17ROCPRIM_400000_NS6detail17trampoline_kernelINS0_14default_configENS1_29reduce_by_key_config_selectorIilN6thrust23THRUST_200600_302600_NS4plusIlEEEEZZNS1_33reduce_by_key_impl_wrapped_configILNS1_25lookback_scan_determinismE0ES3_S9_PiNS6_17constant_iteratorIiNS6_11use_defaultESE_EENS6_10device_ptrIiEENSG_IlEEPmS8_NS6_8equal_toIiEEEE10hipError_tPvRmT2_T3_mT4_T5_T6_T7_T8_P12ihipStream_tbENKUlT_T0_E_clISt17integral_constantIbLb0EES12_IbLb1EEEEDaSY_SZ_EUlSY_E_NS1_11comp_targetILNS1_3genE8ELNS1_11target_archE1030ELNS1_3gpuE2ELNS1_3repE0EEENS1_30default_config_static_selectorELNS0_4arch9wavefront6targetE1EEEvT1_, .Lfunc_end973-_ZN7rocprim17ROCPRIM_400000_NS6detail17trampoline_kernelINS0_14default_configENS1_29reduce_by_key_config_selectorIilN6thrust23THRUST_200600_302600_NS4plusIlEEEEZZNS1_33reduce_by_key_impl_wrapped_configILNS1_25lookback_scan_determinismE0ES3_S9_PiNS6_17constant_iteratorIiNS6_11use_defaultESE_EENS6_10device_ptrIiEENSG_IlEEPmS8_NS6_8equal_toIiEEEE10hipError_tPvRmT2_T3_mT4_T5_T6_T7_T8_P12ihipStream_tbENKUlT_T0_E_clISt17integral_constantIbLb0EES12_IbLb1EEEEDaSY_SZ_EUlSY_E_NS1_11comp_targetILNS1_3genE8ELNS1_11target_archE1030ELNS1_3gpuE2ELNS1_3repE0EEENS1_30default_config_static_selectorELNS0_4arch9wavefront6targetE1EEEvT1_
                                        ; -- End function
	.set _ZN7rocprim17ROCPRIM_400000_NS6detail17trampoline_kernelINS0_14default_configENS1_29reduce_by_key_config_selectorIilN6thrust23THRUST_200600_302600_NS4plusIlEEEEZZNS1_33reduce_by_key_impl_wrapped_configILNS1_25lookback_scan_determinismE0ES3_S9_PiNS6_17constant_iteratorIiNS6_11use_defaultESE_EENS6_10device_ptrIiEENSG_IlEEPmS8_NS6_8equal_toIiEEEE10hipError_tPvRmT2_T3_mT4_T5_T6_T7_T8_P12ihipStream_tbENKUlT_T0_E_clISt17integral_constantIbLb0EES12_IbLb1EEEEDaSY_SZ_EUlSY_E_NS1_11comp_targetILNS1_3genE8ELNS1_11target_archE1030ELNS1_3gpuE2ELNS1_3repE0EEENS1_30default_config_static_selectorELNS0_4arch9wavefront6targetE1EEEvT1_.num_vgpr, 0
	.set _ZN7rocprim17ROCPRIM_400000_NS6detail17trampoline_kernelINS0_14default_configENS1_29reduce_by_key_config_selectorIilN6thrust23THRUST_200600_302600_NS4plusIlEEEEZZNS1_33reduce_by_key_impl_wrapped_configILNS1_25lookback_scan_determinismE0ES3_S9_PiNS6_17constant_iteratorIiNS6_11use_defaultESE_EENS6_10device_ptrIiEENSG_IlEEPmS8_NS6_8equal_toIiEEEE10hipError_tPvRmT2_T3_mT4_T5_T6_T7_T8_P12ihipStream_tbENKUlT_T0_E_clISt17integral_constantIbLb0EES12_IbLb1EEEEDaSY_SZ_EUlSY_E_NS1_11comp_targetILNS1_3genE8ELNS1_11target_archE1030ELNS1_3gpuE2ELNS1_3repE0EEENS1_30default_config_static_selectorELNS0_4arch9wavefront6targetE1EEEvT1_.num_agpr, 0
	.set _ZN7rocprim17ROCPRIM_400000_NS6detail17trampoline_kernelINS0_14default_configENS1_29reduce_by_key_config_selectorIilN6thrust23THRUST_200600_302600_NS4plusIlEEEEZZNS1_33reduce_by_key_impl_wrapped_configILNS1_25lookback_scan_determinismE0ES3_S9_PiNS6_17constant_iteratorIiNS6_11use_defaultESE_EENS6_10device_ptrIiEENSG_IlEEPmS8_NS6_8equal_toIiEEEE10hipError_tPvRmT2_T3_mT4_T5_T6_T7_T8_P12ihipStream_tbENKUlT_T0_E_clISt17integral_constantIbLb0EES12_IbLb1EEEEDaSY_SZ_EUlSY_E_NS1_11comp_targetILNS1_3genE8ELNS1_11target_archE1030ELNS1_3gpuE2ELNS1_3repE0EEENS1_30default_config_static_selectorELNS0_4arch9wavefront6targetE1EEEvT1_.numbered_sgpr, 0
	.set _ZN7rocprim17ROCPRIM_400000_NS6detail17trampoline_kernelINS0_14default_configENS1_29reduce_by_key_config_selectorIilN6thrust23THRUST_200600_302600_NS4plusIlEEEEZZNS1_33reduce_by_key_impl_wrapped_configILNS1_25lookback_scan_determinismE0ES3_S9_PiNS6_17constant_iteratorIiNS6_11use_defaultESE_EENS6_10device_ptrIiEENSG_IlEEPmS8_NS6_8equal_toIiEEEE10hipError_tPvRmT2_T3_mT4_T5_T6_T7_T8_P12ihipStream_tbENKUlT_T0_E_clISt17integral_constantIbLb0EES12_IbLb1EEEEDaSY_SZ_EUlSY_E_NS1_11comp_targetILNS1_3genE8ELNS1_11target_archE1030ELNS1_3gpuE2ELNS1_3repE0EEENS1_30default_config_static_selectorELNS0_4arch9wavefront6targetE1EEEvT1_.num_named_barrier, 0
	.set _ZN7rocprim17ROCPRIM_400000_NS6detail17trampoline_kernelINS0_14default_configENS1_29reduce_by_key_config_selectorIilN6thrust23THRUST_200600_302600_NS4plusIlEEEEZZNS1_33reduce_by_key_impl_wrapped_configILNS1_25lookback_scan_determinismE0ES3_S9_PiNS6_17constant_iteratorIiNS6_11use_defaultESE_EENS6_10device_ptrIiEENSG_IlEEPmS8_NS6_8equal_toIiEEEE10hipError_tPvRmT2_T3_mT4_T5_T6_T7_T8_P12ihipStream_tbENKUlT_T0_E_clISt17integral_constantIbLb0EES12_IbLb1EEEEDaSY_SZ_EUlSY_E_NS1_11comp_targetILNS1_3genE8ELNS1_11target_archE1030ELNS1_3gpuE2ELNS1_3repE0EEENS1_30default_config_static_selectorELNS0_4arch9wavefront6targetE1EEEvT1_.private_seg_size, 0
	.set _ZN7rocprim17ROCPRIM_400000_NS6detail17trampoline_kernelINS0_14default_configENS1_29reduce_by_key_config_selectorIilN6thrust23THRUST_200600_302600_NS4plusIlEEEEZZNS1_33reduce_by_key_impl_wrapped_configILNS1_25lookback_scan_determinismE0ES3_S9_PiNS6_17constant_iteratorIiNS6_11use_defaultESE_EENS6_10device_ptrIiEENSG_IlEEPmS8_NS6_8equal_toIiEEEE10hipError_tPvRmT2_T3_mT4_T5_T6_T7_T8_P12ihipStream_tbENKUlT_T0_E_clISt17integral_constantIbLb0EES12_IbLb1EEEEDaSY_SZ_EUlSY_E_NS1_11comp_targetILNS1_3genE8ELNS1_11target_archE1030ELNS1_3gpuE2ELNS1_3repE0EEENS1_30default_config_static_selectorELNS0_4arch9wavefront6targetE1EEEvT1_.uses_vcc, 0
	.set _ZN7rocprim17ROCPRIM_400000_NS6detail17trampoline_kernelINS0_14default_configENS1_29reduce_by_key_config_selectorIilN6thrust23THRUST_200600_302600_NS4plusIlEEEEZZNS1_33reduce_by_key_impl_wrapped_configILNS1_25lookback_scan_determinismE0ES3_S9_PiNS6_17constant_iteratorIiNS6_11use_defaultESE_EENS6_10device_ptrIiEENSG_IlEEPmS8_NS6_8equal_toIiEEEE10hipError_tPvRmT2_T3_mT4_T5_T6_T7_T8_P12ihipStream_tbENKUlT_T0_E_clISt17integral_constantIbLb0EES12_IbLb1EEEEDaSY_SZ_EUlSY_E_NS1_11comp_targetILNS1_3genE8ELNS1_11target_archE1030ELNS1_3gpuE2ELNS1_3repE0EEENS1_30default_config_static_selectorELNS0_4arch9wavefront6targetE1EEEvT1_.uses_flat_scratch, 0
	.set _ZN7rocprim17ROCPRIM_400000_NS6detail17trampoline_kernelINS0_14default_configENS1_29reduce_by_key_config_selectorIilN6thrust23THRUST_200600_302600_NS4plusIlEEEEZZNS1_33reduce_by_key_impl_wrapped_configILNS1_25lookback_scan_determinismE0ES3_S9_PiNS6_17constant_iteratorIiNS6_11use_defaultESE_EENS6_10device_ptrIiEENSG_IlEEPmS8_NS6_8equal_toIiEEEE10hipError_tPvRmT2_T3_mT4_T5_T6_T7_T8_P12ihipStream_tbENKUlT_T0_E_clISt17integral_constantIbLb0EES12_IbLb1EEEEDaSY_SZ_EUlSY_E_NS1_11comp_targetILNS1_3genE8ELNS1_11target_archE1030ELNS1_3gpuE2ELNS1_3repE0EEENS1_30default_config_static_selectorELNS0_4arch9wavefront6targetE1EEEvT1_.has_dyn_sized_stack, 0
	.set _ZN7rocprim17ROCPRIM_400000_NS6detail17trampoline_kernelINS0_14default_configENS1_29reduce_by_key_config_selectorIilN6thrust23THRUST_200600_302600_NS4plusIlEEEEZZNS1_33reduce_by_key_impl_wrapped_configILNS1_25lookback_scan_determinismE0ES3_S9_PiNS6_17constant_iteratorIiNS6_11use_defaultESE_EENS6_10device_ptrIiEENSG_IlEEPmS8_NS6_8equal_toIiEEEE10hipError_tPvRmT2_T3_mT4_T5_T6_T7_T8_P12ihipStream_tbENKUlT_T0_E_clISt17integral_constantIbLb0EES12_IbLb1EEEEDaSY_SZ_EUlSY_E_NS1_11comp_targetILNS1_3genE8ELNS1_11target_archE1030ELNS1_3gpuE2ELNS1_3repE0EEENS1_30default_config_static_selectorELNS0_4arch9wavefront6targetE1EEEvT1_.has_recursion, 0
	.set _ZN7rocprim17ROCPRIM_400000_NS6detail17trampoline_kernelINS0_14default_configENS1_29reduce_by_key_config_selectorIilN6thrust23THRUST_200600_302600_NS4plusIlEEEEZZNS1_33reduce_by_key_impl_wrapped_configILNS1_25lookback_scan_determinismE0ES3_S9_PiNS6_17constant_iteratorIiNS6_11use_defaultESE_EENS6_10device_ptrIiEENSG_IlEEPmS8_NS6_8equal_toIiEEEE10hipError_tPvRmT2_T3_mT4_T5_T6_T7_T8_P12ihipStream_tbENKUlT_T0_E_clISt17integral_constantIbLb0EES12_IbLb1EEEEDaSY_SZ_EUlSY_E_NS1_11comp_targetILNS1_3genE8ELNS1_11target_archE1030ELNS1_3gpuE2ELNS1_3repE0EEENS1_30default_config_static_selectorELNS0_4arch9wavefront6targetE1EEEvT1_.has_indirect_call, 0
	.section	.AMDGPU.csdata,"",@progbits
; Kernel info:
; codeLenInByte = 0
; TotalNumSgprs: 4
; NumVgprs: 0
; ScratchSize: 0
; MemoryBound: 0
; FloatMode: 240
; IeeeMode: 1
; LDSByteSize: 0 bytes/workgroup (compile time only)
; SGPRBlocks: 0
; VGPRBlocks: 0
; NumSGPRsForWavesPerEU: 4
; NumVGPRsForWavesPerEU: 1
; Occupancy: 10
; WaveLimiterHint : 0
; COMPUTE_PGM_RSRC2:SCRATCH_EN: 0
; COMPUTE_PGM_RSRC2:USER_SGPR: 6
; COMPUTE_PGM_RSRC2:TRAP_HANDLER: 0
; COMPUTE_PGM_RSRC2:TGID_X_EN: 1
; COMPUTE_PGM_RSRC2:TGID_Y_EN: 0
; COMPUTE_PGM_RSRC2:TGID_Z_EN: 0
; COMPUTE_PGM_RSRC2:TIDIG_COMP_CNT: 0
	.section	.text._ZN7rocprim17ROCPRIM_400000_NS6detail17trampoline_kernelINS0_14default_configENS1_22reduce_config_selectorIN6thrust23THRUST_200600_302600_NS5tupleIblNS6_9null_typeES8_S8_S8_S8_S8_S8_S8_EEEEZNS1_11reduce_implILb1ES3_NS6_12zip_iteratorINS7_INS6_11hip_rocprim26transform_input_iterator_tIbPiNS6_6detail10functional5actorINSH_9compositeIJNSH_27transparent_binary_operatorINS6_8equal_toIvEEEENSI_INSH_8argumentILj0EEEEENSH_5valueIiEEEEEEEEENSD_19counting_iterator_tIlEES8_S8_S8_S8_S8_S8_S8_S8_EEEEPS9_S9_NSD_9__find_if7functorIS9_EEEE10hipError_tPvRmT1_T2_T3_mT4_P12ihipStream_tbEUlT_E0_NS1_11comp_targetILNS1_3genE0ELNS1_11target_archE4294967295ELNS1_3gpuE0ELNS1_3repE0EEENS1_30default_config_static_selectorELNS0_4arch9wavefront6targetE1EEEvS17_,"axG",@progbits,_ZN7rocprim17ROCPRIM_400000_NS6detail17trampoline_kernelINS0_14default_configENS1_22reduce_config_selectorIN6thrust23THRUST_200600_302600_NS5tupleIblNS6_9null_typeES8_S8_S8_S8_S8_S8_S8_EEEEZNS1_11reduce_implILb1ES3_NS6_12zip_iteratorINS7_INS6_11hip_rocprim26transform_input_iterator_tIbPiNS6_6detail10functional5actorINSH_9compositeIJNSH_27transparent_binary_operatorINS6_8equal_toIvEEEENSI_INSH_8argumentILj0EEEEENSH_5valueIiEEEEEEEEENSD_19counting_iterator_tIlEES8_S8_S8_S8_S8_S8_S8_S8_EEEEPS9_S9_NSD_9__find_if7functorIS9_EEEE10hipError_tPvRmT1_T2_T3_mT4_P12ihipStream_tbEUlT_E0_NS1_11comp_targetILNS1_3genE0ELNS1_11target_archE4294967295ELNS1_3gpuE0ELNS1_3repE0EEENS1_30default_config_static_selectorELNS0_4arch9wavefront6targetE1EEEvS17_,comdat
	.protected	_ZN7rocprim17ROCPRIM_400000_NS6detail17trampoline_kernelINS0_14default_configENS1_22reduce_config_selectorIN6thrust23THRUST_200600_302600_NS5tupleIblNS6_9null_typeES8_S8_S8_S8_S8_S8_S8_EEEEZNS1_11reduce_implILb1ES3_NS6_12zip_iteratorINS7_INS6_11hip_rocprim26transform_input_iterator_tIbPiNS6_6detail10functional5actorINSH_9compositeIJNSH_27transparent_binary_operatorINS6_8equal_toIvEEEENSI_INSH_8argumentILj0EEEEENSH_5valueIiEEEEEEEEENSD_19counting_iterator_tIlEES8_S8_S8_S8_S8_S8_S8_S8_EEEEPS9_S9_NSD_9__find_if7functorIS9_EEEE10hipError_tPvRmT1_T2_T3_mT4_P12ihipStream_tbEUlT_E0_NS1_11comp_targetILNS1_3genE0ELNS1_11target_archE4294967295ELNS1_3gpuE0ELNS1_3repE0EEENS1_30default_config_static_selectorELNS0_4arch9wavefront6targetE1EEEvS17_ ; -- Begin function _ZN7rocprim17ROCPRIM_400000_NS6detail17trampoline_kernelINS0_14default_configENS1_22reduce_config_selectorIN6thrust23THRUST_200600_302600_NS5tupleIblNS6_9null_typeES8_S8_S8_S8_S8_S8_S8_EEEEZNS1_11reduce_implILb1ES3_NS6_12zip_iteratorINS7_INS6_11hip_rocprim26transform_input_iterator_tIbPiNS6_6detail10functional5actorINSH_9compositeIJNSH_27transparent_binary_operatorINS6_8equal_toIvEEEENSI_INSH_8argumentILj0EEEEENSH_5valueIiEEEEEEEEENSD_19counting_iterator_tIlEES8_S8_S8_S8_S8_S8_S8_S8_EEEEPS9_S9_NSD_9__find_if7functorIS9_EEEE10hipError_tPvRmT1_T2_T3_mT4_P12ihipStream_tbEUlT_E0_NS1_11comp_targetILNS1_3genE0ELNS1_11target_archE4294967295ELNS1_3gpuE0ELNS1_3repE0EEENS1_30default_config_static_selectorELNS0_4arch9wavefront6targetE1EEEvS17_
	.globl	_ZN7rocprim17ROCPRIM_400000_NS6detail17trampoline_kernelINS0_14default_configENS1_22reduce_config_selectorIN6thrust23THRUST_200600_302600_NS5tupleIblNS6_9null_typeES8_S8_S8_S8_S8_S8_S8_EEEEZNS1_11reduce_implILb1ES3_NS6_12zip_iteratorINS7_INS6_11hip_rocprim26transform_input_iterator_tIbPiNS6_6detail10functional5actorINSH_9compositeIJNSH_27transparent_binary_operatorINS6_8equal_toIvEEEENSI_INSH_8argumentILj0EEEEENSH_5valueIiEEEEEEEEENSD_19counting_iterator_tIlEES8_S8_S8_S8_S8_S8_S8_S8_EEEEPS9_S9_NSD_9__find_if7functorIS9_EEEE10hipError_tPvRmT1_T2_T3_mT4_P12ihipStream_tbEUlT_E0_NS1_11comp_targetILNS1_3genE0ELNS1_11target_archE4294967295ELNS1_3gpuE0ELNS1_3repE0EEENS1_30default_config_static_selectorELNS0_4arch9wavefront6targetE1EEEvS17_
	.p2align	8
	.type	_ZN7rocprim17ROCPRIM_400000_NS6detail17trampoline_kernelINS0_14default_configENS1_22reduce_config_selectorIN6thrust23THRUST_200600_302600_NS5tupleIblNS6_9null_typeES8_S8_S8_S8_S8_S8_S8_EEEEZNS1_11reduce_implILb1ES3_NS6_12zip_iteratorINS7_INS6_11hip_rocprim26transform_input_iterator_tIbPiNS6_6detail10functional5actorINSH_9compositeIJNSH_27transparent_binary_operatorINS6_8equal_toIvEEEENSI_INSH_8argumentILj0EEEEENSH_5valueIiEEEEEEEEENSD_19counting_iterator_tIlEES8_S8_S8_S8_S8_S8_S8_S8_EEEEPS9_S9_NSD_9__find_if7functorIS9_EEEE10hipError_tPvRmT1_T2_T3_mT4_P12ihipStream_tbEUlT_E0_NS1_11comp_targetILNS1_3genE0ELNS1_11target_archE4294967295ELNS1_3gpuE0ELNS1_3repE0EEENS1_30default_config_static_selectorELNS0_4arch9wavefront6targetE1EEEvS17_,@function
_ZN7rocprim17ROCPRIM_400000_NS6detail17trampoline_kernelINS0_14default_configENS1_22reduce_config_selectorIN6thrust23THRUST_200600_302600_NS5tupleIblNS6_9null_typeES8_S8_S8_S8_S8_S8_S8_EEEEZNS1_11reduce_implILb1ES3_NS6_12zip_iteratorINS7_INS6_11hip_rocprim26transform_input_iterator_tIbPiNS6_6detail10functional5actorINSH_9compositeIJNSH_27transparent_binary_operatorINS6_8equal_toIvEEEENSI_INSH_8argumentILj0EEEEENSH_5valueIiEEEEEEEEENSD_19counting_iterator_tIlEES8_S8_S8_S8_S8_S8_S8_S8_EEEEPS9_S9_NSD_9__find_if7functorIS9_EEEE10hipError_tPvRmT1_T2_T3_mT4_P12ihipStream_tbEUlT_E0_NS1_11comp_targetILNS1_3genE0ELNS1_11target_archE4294967295ELNS1_3gpuE0ELNS1_3repE0EEENS1_30default_config_static_selectorELNS0_4arch9wavefront6targetE1EEEvS17_: ; @_ZN7rocprim17ROCPRIM_400000_NS6detail17trampoline_kernelINS0_14default_configENS1_22reduce_config_selectorIN6thrust23THRUST_200600_302600_NS5tupleIblNS6_9null_typeES8_S8_S8_S8_S8_S8_S8_EEEEZNS1_11reduce_implILb1ES3_NS6_12zip_iteratorINS7_INS6_11hip_rocprim26transform_input_iterator_tIbPiNS6_6detail10functional5actorINSH_9compositeIJNSH_27transparent_binary_operatorINS6_8equal_toIvEEEENSI_INSH_8argumentILj0EEEEENSH_5valueIiEEEEEEEEENSD_19counting_iterator_tIlEES8_S8_S8_S8_S8_S8_S8_S8_EEEEPS9_S9_NSD_9__find_if7functorIS9_EEEE10hipError_tPvRmT1_T2_T3_mT4_P12ihipStream_tbEUlT_E0_NS1_11comp_targetILNS1_3genE0ELNS1_11target_archE4294967295ELNS1_3gpuE0ELNS1_3repE0EEENS1_30default_config_static_selectorELNS0_4arch9wavefront6targetE1EEEvS17_
; %bb.0:
	.section	.rodata,"a",@progbits
	.p2align	6, 0x0
	.amdhsa_kernel _ZN7rocprim17ROCPRIM_400000_NS6detail17trampoline_kernelINS0_14default_configENS1_22reduce_config_selectorIN6thrust23THRUST_200600_302600_NS5tupleIblNS6_9null_typeES8_S8_S8_S8_S8_S8_S8_EEEEZNS1_11reduce_implILb1ES3_NS6_12zip_iteratorINS7_INS6_11hip_rocprim26transform_input_iterator_tIbPiNS6_6detail10functional5actorINSH_9compositeIJNSH_27transparent_binary_operatorINS6_8equal_toIvEEEENSI_INSH_8argumentILj0EEEEENSH_5valueIiEEEEEEEEENSD_19counting_iterator_tIlEES8_S8_S8_S8_S8_S8_S8_S8_EEEEPS9_S9_NSD_9__find_if7functorIS9_EEEE10hipError_tPvRmT1_T2_T3_mT4_P12ihipStream_tbEUlT_E0_NS1_11comp_targetILNS1_3genE0ELNS1_11target_archE4294967295ELNS1_3gpuE0ELNS1_3repE0EEENS1_30default_config_static_selectorELNS0_4arch9wavefront6targetE1EEEvS17_
		.amdhsa_group_segment_fixed_size 0
		.amdhsa_private_segment_fixed_size 0
		.amdhsa_kernarg_size 88
		.amdhsa_user_sgpr_count 6
		.amdhsa_user_sgpr_private_segment_buffer 1
		.amdhsa_user_sgpr_dispatch_ptr 0
		.amdhsa_user_sgpr_queue_ptr 0
		.amdhsa_user_sgpr_kernarg_segment_ptr 1
		.amdhsa_user_sgpr_dispatch_id 0
		.amdhsa_user_sgpr_flat_scratch_init 0
		.amdhsa_user_sgpr_private_segment_size 0
		.amdhsa_uses_dynamic_stack 0
		.amdhsa_system_sgpr_private_segment_wavefront_offset 0
		.amdhsa_system_sgpr_workgroup_id_x 1
		.amdhsa_system_sgpr_workgroup_id_y 0
		.amdhsa_system_sgpr_workgroup_id_z 0
		.amdhsa_system_sgpr_workgroup_info 0
		.amdhsa_system_vgpr_workitem_id 0
		.amdhsa_next_free_vgpr 1
		.amdhsa_next_free_sgpr 0
		.amdhsa_reserve_vcc 0
		.amdhsa_reserve_flat_scratch 0
		.amdhsa_float_round_mode_32 0
		.amdhsa_float_round_mode_16_64 0
		.amdhsa_float_denorm_mode_32 3
		.amdhsa_float_denorm_mode_16_64 3
		.amdhsa_dx10_clamp 1
		.amdhsa_ieee_mode 1
		.amdhsa_fp16_overflow 0
		.amdhsa_exception_fp_ieee_invalid_op 0
		.amdhsa_exception_fp_denorm_src 0
		.amdhsa_exception_fp_ieee_div_zero 0
		.amdhsa_exception_fp_ieee_overflow 0
		.amdhsa_exception_fp_ieee_underflow 0
		.amdhsa_exception_fp_ieee_inexact 0
		.amdhsa_exception_int_div_zero 0
	.end_amdhsa_kernel
	.section	.text._ZN7rocprim17ROCPRIM_400000_NS6detail17trampoline_kernelINS0_14default_configENS1_22reduce_config_selectorIN6thrust23THRUST_200600_302600_NS5tupleIblNS6_9null_typeES8_S8_S8_S8_S8_S8_S8_EEEEZNS1_11reduce_implILb1ES3_NS6_12zip_iteratorINS7_INS6_11hip_rocprim26transform_input_iterator_tIbPiNS6_6detail10functional5actorINSH_9compositeIJNSH_27transparent_binary_operatorINS6_8equal_toIvEEEENSI_INSH_8argumentILj0EEEEENSH_5valueIiEEEEEEEEENSD_19counting_iterator_tIlEES8_S8_S8_S8_S8_S8_S8_S8_EEEEPS9_S9_NSD_9__find_if7functorIS9_EEEE10hipError_tPvRmT1_T2_T3_mT4_P12ihipStream_tbEUlT_E0_NS1_11comp_targetILNS1_3genE0ELNS1_11target_archE4294967295ELNS1_3gpuE0ELNS1_3repE0EEENS1_30default_config_static_selectorELNS0_4arch9wavefront6targetE1EEEvS17_,"axG",@progbits,_ZN7rocprim17ROCPRIM_400000_NS6detail17trampoline_kernelINS0_14default_configENS1_22reduce_config_selectorIN6thrust23THRUST_200600_302600_NS5tupleIblNS6_9null_typeES8_S8_S8_S8_S8_S8_S8_EEEEZNS1_11reduce_implILb1ES3_NS6_12zip_iteratorINS7_INS6_11hip_rocprim26transform_input_iterator_tIbPiNS6_6detail10functional5actorINSH_9compositeIJNSH_27transparent_binary_operatorINS6_8equal_toIvEEEENSI_INSH_8argumentILj0EEEEENSH_5valueIiEEEEEEEEENSD_19counting_iterator_tIlEES8_S8_S8_S8_S8_S8_S8_S8_EEEEPS9_S9_NSD_9__find_if7functorIS9_EEEE10hipError_tPvRmT1_T2_T3_mT4_P12ihipStream_tbEUlT_E0_NS1_11comp_targetILNS1_3genE0ELNS1_11target_archE4294967295ELNS1_3gpuE0ELNS1_3repE0EEENS1_30default_config_static_selectorELNS0_4arch9wavefront6targetE1EEEvS17_,comdat
.Lfunc_end974:
	.size	_ZN7rocprim17ROCPRIM_400000_NS6detail17trampoline_kernelINS0_14default_configENS1_22reduce_config_selectorIN6thrust23THRUST_200600_302600_NS5tupleIblNS6_9null_typeES8_S8_S8_S8_S8_S8_S8_EEEEZNS1_11reduce_implILb1ES3_NS6_12zip_iteratorINS7_INS6_11hip_rocprim26transform_input_iterator_tIbPiNS6_6detail10functional5actorINSH_9compositeIJNSH_27transparent_binary_operatorINS6_8equal_toIvEEEENSI_INSH_8argumentILj0EEEEENSH_5valueIiEEEEEEEEENSD_19counting_iterator_tIlEES8_S8_S8_S8_S8_S8_S8_S8_EEEEPS9_S9_NSD_9__find_if7functorIS9_EEEE10hipError_tPvRmT1_T2_T3_mT4_P12ihipStream_tbEUlT_E0_NS1_11comp_targetILNS1_3genE0ELNS1_11target_archE4294967295ELNS1_3gpuE0ELNS1_3repE0EEENS1_30default_config_static_selectorELNS0_4arch9wavefront6targetE1EEEvS17_, .Lfunc_end974-_ZN7rocprim17ROCPRIM_400000_NS6detail17trampoline_kernelINS0_14default_configENS1_22reduce_config_selectorIN6thrust23THRUST_200600_302600_NS5tupleIblNS6_9null_typeES8_S8_S8_S8_S8_S8_S8_EEEEZNS1_11reduce_implILb1ES3_NS6_12zip_iteratorINS7_INS6_11hip_rocprim26transform_input_iterator_tIbPiNS6_6detail10functional5actorINSH_9compositeIJNSH_27transparent_binary_operatorINS6_8equal_toIvEEEENSI_INSH_8argumentILj0EEEEENSH_5valueIiEEEEEEEEENSD_19counting_iterator_tIlEES8_S8_S8_S8_S8_S8_S8_S8_EEEEPS9_S9_NSD_9__find_if7functorIS9_EEEE10hipError_tPvRmT1_T2_T3_mT4_P12ihipStream_tbEUlT_E0_NS1_11comp_targetILNS1_3genE0ELNS1_11target_archE4294967295ELNS1_3gpuE0ELNS1_3repE0EEENS1_30default_config_static_selectorELNS0_4arch9wavefront6targetE1EEEvS17_
                                        ; -- End function
	.set _ZN7rocprim17ROCPRIM_400000_NS6detail17trampoline_kernelINS0_14default_configENS1_22reduce_config_selectorIN6thrust23THRUST_200600_302600_NS5tupleIblNS6_9null_typeES8_S8_S8_S8_S8_S8_S8_EEEEZNS1_11reduce_implILb1ES3_NS6_12zip_iteratorINS7_INS6_11hip_rocprim26transform_input_iterator_tIbPiNS6_6detail10functional5actorINSH_9compositeIJNSH_27transparent_binary_operatorINS6_8equal_toIvEEEENSI_INSH_8argumentILj0EEEEENSH_5valueIiEEEEEEEEENSD_19counting_iterator_tIlEES8_S8_S8_S8_S8_S8_S8_S8_EEEEPS9_S9_NSD_9__find_if7functorIS9_EEEE10hipError_tPvRmT1_T2_T3_mT4_P12ihipStream_tbEUlT_E0_NS1_11comp_targetILNS1_3genE0ELNS1_11target_archE4294967295ELNS1_3gpuE0ELNS1_3repE0EEENS1_30default_config_static_selectorELNS0_4arch9wavefront6targetE1EEEvS17_.num_vgpr, 0
	.set _ZN7rocprim17ROCPRIM_400000_NS6detail17trampoline_kernelINS0_14default_configENS1_22reduce_config_selectorIN6thrust23THRUST_200600_302600_NS5tupleIblNS6_9null_typeES8_S8_S8_S8_S8_S8_S8_EEEEZNS1_11reduce_implILb1ES3_NS6_12zip_iteratorINS7_INS6_11hip_rocprim26transform_input_iterator_tIbPiNS6_6detail10functional5actorINSH_9compositeIJNSH_27transparent_binary_operatorINS6_8equal_toIvEEEENSI_INSH_8argumentILj0EEEEENSH_5valueIiEEEEEEEEENSD_19counting_iterator_tIlEES8_S8_S8_S8_S8_S8_S8_S8_EEEEPS9_S9_NSD_9__find_if7functorIS9_EEEE10hipError_tPvRmT1_T2_T3_mT4_P12ihipStream_tbEUlT_E0_NS1_11comp_targetILNS1_3genE0ELNS1_11target_archE4294967295ELNS1_3gpuE0ELNS1_3repE0EEENS1_30default_config_static_selectorELNS0_4arch9wavefront6targetE1EEEvS17_.num_agpr, 0
	.set _ZN7rocprim17ROCPRIM_400000_NS6detail17trampoline_kernelINS0_14default_configENS1_22reduce_config_selectorIN6thrust23THRUST_200600_302600_NS5tupleIblNS6_9null_typeES8_S8_S8_S8_S8_S8_S8_EEEEZNS1_11reduce_implILb1ES3_NS6_12zip_iteratorINS7_INS6_11hip_rocprim26transform_input_iterator_tIbPiNS6_6detail10functional5actorINSH_9compositeIJNSH_27transparent_binary_operatorINS6_8equal_toIvEEEENSI_INSH_8argumentILj0EEEEENSH_5valueIiEEEEEEEEENSD_19counting_iterator_tIlEES8_S8_S8_S8_S8_S8_S8_S8_EEEEPS9_S9_NSD_9__find_if7functorIS9_EEEE10hipError_tPvRmT1_T2_T3_mT4_P12ihipStream_tbEUlT_E0_NS1_11comp_targetILNS1_3genE0ELNS1_11target_archE4294967295ELNS1_3gpuE0ELNS1_3repE0EEENS1_30default_config_static_selectorELNS0_4arch9wavefront6targetE1EEEvS17_.numbered_sgpr, 0
	.set _ZN7rocprim17ROCPRIM_400000_NS6detail17trampoline_kernelINS0_14default_configENS1_22reduce_config_selectorIN6thrust23THRUST_200600_302600_NS5tupleIblNS6_9null_typeES8_S8_S8_S8_S8_S8_S8_EEEEZNS1_11reduce_implILb1ES3_NS6_12zip_iteratorINS7_INS6_11hip_rocprim26transform_input_iterator_tIbPiNS6_6detail10functional5actorINSH_9compositeIJNSH_27transparent_binary_operatorINS6_8equal_toIvEEEENSI_INSH_8argumentILj0EEEEENSH_5valueIiEEEEEEEEENSD_19counting_iterator_tIlEES8_S8_S8_S8_S8_S8_S8_S8_EEEEPS9_S9_NSD_9__find_if7functorIS9_EEEE10hipError_tPvRmT1_T2_T3_mT4_P12ihipStream_tbEUlT_E0_NS1_11comp_targetILNS1_3genE0ELNS1_11target_archE4294967295ELNS1_3gpuE0ELNS1_3repE0EEENS1_30default_config_static_selectorELNS0_4arch9wavefront6targetE1EEEvS17_.num_named_barrier, 0
	.set _ZN7rocprim17ROCPRIM_400000_NS6detail17trampoline_kernelINS0_14default_configENS1_22reduce_config_selectorIN6thrust23THRUST_200600_302600_NS5tupleIblNS6_9null_typeES8_S8_S8_S8_S8_S8_S8_EEEEZNS1_11reduce_implILb1ES3_NS6_12zip_iteratorINS7_INS6_11hip_rocprim26transform_input_iterator_tIbPiNS6_6detail10functional5actorINSH_9compositeIJNSH_27transparent_binary_operatorINS6_8equal_toIvEEEENSI_INSH_8argumentILj0EEEEENSH_5valueIiEEEEEEEEENSD_19counting_iterator_tIlEES8_S8_S8_S8_S8_S8_S8_S8_EEEEPS9_S9_NSD_9__find_if7functorIS9_EEEE10hipError_tPvRmT1_T2_T3_mT4_P12ihipStream_tbEUlT_E0_NS1_11comp_targetILNS1_3genE0ELNS1_11target_archE4294967295ELNS1_3gpuE0ELNS1_3repE0EEENS1_30default_config_static_selectorELNS0_4arch9wavefront6targetE1EEEvS17_.private_seg_size, 0
	.set _ZN7rocprim17ROCPRIM_400000_NS6detail17trampoline_kernelINS0_14default_configENS1_22reduce_config_selectorIN6thrust23THRUST_200600_302600_NS5tupleIblNS6_9null_typeES8_S8_S8_S8_S8_S8_S8_EEEEZNS1_11reduce_implILb1ES3_NS6_12zip_iteratorINS7_INS6_11hip_rocprim26transform_input_iterator_tIbPiNS6_6detail10functional5actorINSH_9compositeIJNSH_27transparent_binary_operatorINS6_8equal_toIvEEEENSI_INSH_8argumentILj0EEEEENSH_5valueIiEEEEEEEEENSD_19counting_iterator_tIlEES8_S8_S8_S8_S8_S8_S8_S8_EEEEPS9_S9_NSD_9__find_if7functorIS9_EEEE10hipError_tPvRmT1_T2_T3_mT4_P12ihipStream_tbEUlT_E0_NS1_11comp_targetILNS1_3genE0ELNS1_11target_archE4294967295ELNS1_3gpuE0ELNS1_3repE0EEENS1_30default_config_static_selectorELNS0_4arch9wavefront6targetE1EEEvS17_.uses_vcc, 0
	.set _ZN7rocprim17ROCPRIM_400000_NS6detail17trampoline_kernelINS0_14default_configENS1_22reduce_config_selectorIN6thrust23THRUST_200600_302600_NS5tupleIblNS6_9null_typeES8_S8_S8_S8_S8_S8_S8_EEEEZNS1_11reduce_implILb1ES3_NS6_12zip_iteratorINS7_INS6_11hip_rocprim26transform_input_iterator_tIbPiNS6_6detail10functional5actorINSH_9compositeIJNSH_27transparent_binary_operatorINS6_8equal_toIvEEEENSI_INSH_8argumentILj0EEEEENSH_5valueIiEEEEEEEEENSD_19counting_iterator_tIlEES8_S8_S8_S8_S8_S8_S8_S8_EEEEPS9_S9_NSD_9__find_if7functorIS9_EEEE10hipError_tPvRmT1_T2_T3_mT4_P12ihipStream_tbEUlT_E0_NS1_11comp_targetILNS1_3genE0ELNS1_11target_archE4294967295ELNS1_3gpuE0ELNS1_3repE0EEENS1_30default_config_static_selectorELNS0_4arch9wavefront6targetE1EEEvS17_.uses_flat_scratch, 0
	.set _ZN7rocprim17ROCPRIM_400000_NS6detail17trampoline_kernelINS0_14default_configENS1_22reduce_config_selectorIN6thrust23THRUST_200600_302600_NS5tupleIblNS6_9null_typeES8_S8_S8_S8_S8_S8_S8_EEEEZNS1_11reduce_implILb1ES3_NS6_12zip_iteratorINS7_INS6_11hip_rocprim26transform_input_iterator_tIbPiNS6_6detail10functional5actorINSH_9compositeIJNSH_27transparent_binary_operatorINS6_8equal_toIvEEEENSI_INSH_8argumentILj0EEEEENSH_5valueIiEEEEEEEEENSD_19counting_iterator_tIlEES8_S8_S8_S8_S8_S8_S8_S8_EEEEPS9_S9_NSD_9__find_if7functorIS9_EEEE10hipError_tPvRmT1_T2_T3_mT4_P12ihipStream_tbEUlT_E0_NS1_11comp_targetILNS1_3genE0ELNS1_11target_archE4294967295ELNS1_3gpuE0ELNS1_3repE0EEENS1_30default_config_static_selectorELNS0_4arch9wavefront6targetE1EEEvS17_.has_dyn_sized_stack, 0
	.set _ZN7rocprim17ROCPRIM_400000_NS6detail17trampoline_kernelINS0_14default_configENS1_22reduce_config_selectorIN6thrust23THRUST_200600_302600_NS5tupleIblNS6_9null_typeES8_S8_S8_S8_S8_S8_S8_EEEEZNS1_11reduce_implILb1ES3_NS6_12zip_iteratorINS7_INS6_11hip_rocprim26transform_input_iterator_tIbPiNS6_6detail10functional5actorINSH_9compositeIJNSH_27transparent_binary_operatorINS6_8equal_toIvEEEENSI_INSH_8argumentILj0EEEEENSH_5valueIiEEEEEEEEENSD_19counting_iterator_tIlEES8_S8_S8_S8_S8_S8_S8_S8_EEEEPS9_S9_NSD_9__find_if7functorIS9_EEEE10hipError_tPvRmT1_T2_T3_mT4_P12ihipStream_tbEUlT_E0_NS1_11comp_targetILNS1_3genE0ELNS1_11target_archE4294967295ELNS1_3gpuE0ELNS1_3repE0EEENS1_30default_config_static_selectorELNS0_4arch9wavefront6targetE1EEEvS17_.has_recursion, 0
	.set _ZN7rocprim17ROCPRIM_400000_NS6detail17trampoline_kernelINS0_14default_configENS1_22reduce_config_selectorIN6thrust23THRUST_200600_302600_NS5tupleIblNS6_9null_typeES8_S8_S8_S8_S8_S8_S8_EEEEZNS1_11reduce_implILb1ES3_NS6_12zip_iteratorINS7_INS6_11hip_rocprim26transform_input_iterator_tIbPiNS6_6detail10functional5actorINSH_9compositeIJNSH_27transparent_binary_operatorINS6_8equal_toIvEEEENSI_INSH_8argumentILj0EEEEENSH_5valueIiEEEEEEEEENSD_19counting_iterator_tIlEES8_S8_S8_S8_S8_S8_S8_S8_EEEEPS9_S9_NSD_9__find_if7functorIS9_EEEE10hipError_tPvRmT1_T2_T3_mT4_P12ihipStream_tbEUlT_E0_NS1_11comp_targetILNS1_3genE0ELNS1_11target_archE4294967295ELNS1_3gpuE0ELNS1_3repE0EEENS1_30default_config_static_selectorELNS0_4arch9wavefront6targetE1EEEvS17_.has_indirect_call, 0
	.section	.AMDGPU.csdata,"",@progbits
; Kernel info:
; codeLenInByte = 0
; TotalNumSgprs: 4
; NumVgprs: 0
; ScratchSize: 0
; MemoryBound: 0
; FloatMode: 240
; IeeeMode: 1
; LDSByteSize: 0 bytes/workgroup (compile time only)
; SGPRBlocks: 0
; VGPRBlocks: 0
; NumSGPRsForWavesPerEU: 4
; NumVGPRsForWavesPerEU: 1
; Occupancy: 10
; WaveLimiterHint : 0
; COMPUTE_PGM_RSRC2:SCRATCH_EN: 0
; COMPUTE_PGM_RSRC2:USER_SGPR: 6
; COMPUTE_PGM_RSRC2:TRAP_HANDLER: 0
; COMPUTE_PGM_RSRC2:TGID_X_EN: 1
; COMPUTE_PGM_RSRC2:TGID_Y_EN: 0
; COMPUTE_PGM_RSRC2:TGID_Z_EN: 0
; COMPUTE_PGM_RSRC2:TIDIG_COMP_CNT: 0
	.section	.text._ZN7rocprim17ROCPRIM_400000_NS6detail17trampoline_kernelINS0_14default_configENS1_22reduce_config_selectorIN6thrust23THRUST_200600_302600_NS5tupleIblNS6_9null_typeES8_S8_S8_S8_S8_S8_S8_EEEEZNS1_11reduce_implILb1ES3_NS6_12zip_iteratorINS7_INS6_11hip_rocprim26transform_input_iterator_tIbPiNS6_6detail10functional5actorINSH_9compositeIJNSH_27transparent_binary_operatorINS6_8equal_toIvEEEENSI_INSH_8argumentILj0EEEEENSH_5valueIiEEEEEEEEENSD_19counting_iterator_tIlEES8_S8_S8_S8_S8_S8_S8_S8_EEEEPS9_S9_NSD_9__find_if7functorIS9_EEEE10hipError_tPvRmT1_T2_T3_mT4_P12ihipStream_tbEUlT_E0_NS1_11comp_targetILNS1_3genE5ELNS1_11target_archE942ELNS1_3gpuE9ELNS1_3repE0EEENS1_30default_config_static_selectorELNS0_4arch9wavefront6targetE1EEEvS17_,"axG",@progbits,_ZN7rocprim17ROCPRIM_400000_NS6detail17trampoline_kernelINS0_14default_configENS1_22reduce_config_selectorIN6thrust23THRUST_200600_302600_NS5tupleIblNS6_9null_typeES8_S8_S8_S8_S8_S8_S8_EEEEZNS1_11reduce_implILb1ES3_NS6_12zip_iteratorINS7_INS6_11hip_rocprim26transform_input_iterator_tIbPiNS6_6detail10functional5actorINSH_9compositeIJNSH_27transparent_binary_operatorINS6_8equal_toIvEEEENSI_INSH_8argumentILj0EEEEENSH_5valueIiEEEEEEEEENSD_19counting_iterator_tIlEES8_S8_S8_S8_S8_S8_S8_S8_EEEEPS9_S9_NSD_9__find_if7functorIS9_EEEE10hipError_tPvRmT1_T2_T3_mT4_P12ihipStream_tbEUlT_E0_NS1_11comp_targetILNS1_3genE5ELNS1_11target_archE942ELNS1_3gpuE9ELNS1_3repE0EEENS1_30default_config_static_selectorELNS0_4arch9wavefront6targetE1EEEvS17_,comdat
	.protected	_ZN7rocprim17ROCPRIM_400000_NS6detail17trampoline_kernelINS0_14default_configENS1_22reduce_config_selectorIN6thrust23THRUST_200600_302600_NS5tupleIblNS6_9null_typeES8_S8_S8_S8_S8_S8_S8_EEEEZNS1_11reduce_implILb1ES3_NS6_12zip_iteratorINS7_INS6_11hip_rocprim26transform_input_iterator_tIbPiNS6_6detail10functional5actorINSH_9compositeIJNSH_27transparent_binary_operatorINS6_8equal_toIvEEEENSI_INSH_8argumentILj0EEEEENSH_5valueIiEEEEEEEEENSD_19counting_iterator_tIlEES8_S8_S8_S8_S8_S8_S8_S8_EEEEPS9_S9_NSD_9__find_if7functorIS9_EEEE10hipError_tPvRmT1_T2_T3_mT4_P12ihipStream_tbEUlT_E0_NS1_11comp_targetILNS1_3genE5ELNS1_11target_archE942ELNS1_3gpuE9ELNS1_3repE0EEENS1_30default_config_static_selectorELNS0_4arch9wavefront6targetE1EEEvS17_ ; -- Begin function _ZN7rocprim17ROCPRIM_400000_NS6detail17trampoline_kernelINS0_14default_configENS1_22reduce_config_selectorIN6thrust23THRUST_200600_302600_NS5tupleIblNS6_9null_typeES8_S8_S8_S8_S8_S8_S8_EEEEZNS1_11reduce_implILb1ES3_NS6_12zip_iteratorINS7_INS6_11hip_rocprim26transform_input_iterator_tIbPiNS6_6detail10functional5actorINSH_9compositeIJNSH_27transparent_binary_operatorINS6_8equal_toIvEEEENSI_INSH_8argumentILj0EEEEENSH_5valueIiEEEEEEEEENSD_19counting_iterator_tIlEES8_S8_S8_S8_S8_S8_S8_S8_EEEEPS9_S9_NSD_9__find_if7functorIS9_EEEE10hipError_tPvRmT1_T2_T3_mT4_P12ihipStream_tbEUlT_E0_NS1_11comp_targetILNS1_3genE5ELNS1_11target_archE942ELNS1_3gpuE9ELNS1_3repE0EEENS1_30default_config_static_selectorELNS0_4arch9wavefront6targetE1EEEvS17_
	.globl	_ZN7rocprim17ROCPRIM_400000_NS6detail17trampoline_kernelINS0_14default_configENS1_22reduce_config_selectorIN6thrust23THRUST_200600_302600_NS5tupleIblNS6_9null_typeES8_S8_S8_S8_S8_S8_S8_EEEEZNS1_11reduce_implILb1ES3_NS6_12zip_iteratorINS7_INS6_11hip_rocprim26transform_input_iterator_tIbPiNS6_6detail10functional5actorINSH_9compositeIJNSH_27transparent_binary_operatorINS6_8equal_toIvEEEENSI_INSH_8argumentILj0EEEEENSH_5valueIiEEEEEEEEENSD_19counting_iterator_tIlEES8_S8_S8_S8_S8_S8_S8_S8_EEEEPS9_S9_NSD_9__find_if7functorIS9_EEEE10hipError_tPvRmT1_T2_T3_mT4_P12ihipStream_tbEUlT_E0_NS1_11comp_targetILNS1_3genE5ELNS1_11target_archE942ELNS1_3gpuE9ELNS1_3repE0EEENS1_30default_config_static_selectorELNS0_4arch9wavefront6targetE1EEEvS17_
	.p2align	8
	.type	_ZN7rocprim17ROCPRIM_400000_NS6detail17trampoline_kernelINS0_14default_configENS1_22reduce_config_selectorIN6thrust23THRUST_200600_302600_NS5tupleIblNS6_9null_typeES8_S8_S8_S8_S8_S8_S8_EEEEZNS1_11reduce_implILb1ES3_NS6_12zip_iteratorINS7_INS6_11hip_rocprim26transform_input_iterator_tIbPiNS6_6detail10functional5actorINSH_9compositeIJNSH_27transparent_binary_operatorINS6_8equal_toIvEEEENSI_INSH_8argumentILj0EEEEENSH_5valueIiEEEEEEEEENSD_19counting_iterator_tIlEES8_S8_S8_S8_S8_S8_S8_S8_EEEEPS9_S9_NSD_9__find_if7functorIS9_EEEE10hipError_tPvRmT1_T2_T3_mT4_P12ihipStream_tbEUlT_E0_NS1_11comp_targetILNS1_3genE5ELNS1_11target_archE942ELNS1_3gpuE9ELNS1_3repE0EEENS1_30default_config_static_selectorELNS0_4arch9wavefront6targetE1EEEvS17_,@function
_ZN7rocprim17ROCPRIM_400000_NS6detail17trampoline_kernelINS0_14default_configENS1_22reduce_config_selectorIN6thrust23THRUST_200600_302600_NS5tupleIblNS6_9null_typeES8_S8_S8_S8_S8_S8_S8_EEEEZNS1_11reduce_implILb1ES3_NS6_12zip_iteratorINS7_INS6_11hip_rocprim26transform_input_iterator_tIbPiNS6_6detail10functional5actorINSH_9compositeIJNSH_27transparent_binary_operatorINS6_8equal_toIvEEEENSI_INSH_8argumentILj0EEEEENSH_5valueIiEEEEEEEEENSD_19counting_iterator_tIlEES8_S8_S8_S8_S8_S8_S8_S8_EEEEPS9_S9_NSD_9__find_if7functorIS9_EEEE10hipError_tPvRmT1_T2_T3_mT4_P12ihipStream_tbEUlT_E0_NS1_11comp_targetILNS1_3genE5ELNS1_11target_archE942ELNS1_3gpuE9ELNS1_3repE0EEENS1_30default_config_static_selectorELNS0_4arch9wavefront6targetE1EEEvS17_: ; @_ZN7rocprim17ROCPRIM_400000_NS6detail17trampoline_kernelINS0_14default_configENS1_22reduce_config_selectorIN6thrust23THRUST_200600_302600_NS5tupleIblNS6_9null_typeES8_S8_S8_S8_S8_S8_S8_EEEEZNS1_11reduce_implILb1ES3_NS6_12zip_iteratorINS7_INS6_11hip_rocprim26transform_input_iterator_tIbPiNS6_6detail10functional5actorINSH_9compositeIJNSH_27transparent_binary_operatorINS6_8equal_toIvEEEENSI_INSH_8argumentILj0EEEEENSH_5valueIiEEEEEEEEENSD_19counting_iterator_tIlEES8_S8_S8_S8_S8_S8_S8_S8_EEEEPS9_S9_NSD_9__find_if7functorIS9_EEEE10hipError_tPvRmT1_T2_T3_mT4_P12ihipStream_tbEUlT_E0_NS1_11comp_targetILNS1_3genE5ELNS1_11target_archE942ELNS1_3gpuE9ELNS1_3repE0EEENS1_30default_config_static_selectorELNS0_4arch9wavefront6targetE1EEEvS17_
; %bb.0:
	.section	.rodata,"a",@progbits
	.p2align	6, 0x0
	.amdhsa_kernel _ZN7rocprim17ROCPRIM_400000_NS6detail17trampoline_kernelINS0_14default_configENS1_22reduce_config_selectorIN6thrust23THRUST_200600_302600_NS5tupleIblNS6_9null_typeES8_S8_S8_S8_S8_S8_S8_EEEEZNS1_11reduce_implILb1ES3_NS6_12zip_iteratorINS7_INS6_11hip_rocprim26transform_input_iterator_tIbPiNS6_6detail10functional5actorINSH_9compositeIJNSH_27transparent_binary_operatorINS6_8equal_toIvEEEENSI_INSH_8argumentILj0EEEEENSH_5valueIiEEEEEEEEENSD_19counting_iterator_tIlEES8_S8_S8_S8_S8_S8_S8_S8_EEEEPS9_S9_NSD_9__find_if7functorIS9_EEEE10hipError_tPvRmT1_T2_T3_mT4_P12ihipStream_tbEUlT_E0_NS1_11comp_targetILNS1_3genE5ELNS1_11target_archE942ELNS1_3gpuE9ELNS1_3repE0EEENS1_30default_config_static_selectorELNS0_4arch9wavefront6targetE1EEEvS17_
		.amdhsa_group_segment_fixed_size 0
		.amdhsa_private_segment_fixed_size 0
		.amdhsa_kernarg_size 88
		.amdhsa_user_sgpr_count 6
		.amdhsa_user_sgpr_private_segment_buffer 1
		.amdhsa_user_sgpr_dispatch_ptr 0
		.amdhsa_user_sgpr_queue_ptr 0
		.amdhsa_user_sgpr_kernarg_segment_ptr 1
		.amdhsa_user_sgpr_dispatch_id 0
		.amdhsa_user_sgpr_flat_scratch_init 0
		.amdhsa_user_sgpr_private_segment_size 0
		.amdhsa_uses_dynamic_stack 0
		.amdhsa_system_sgpr_private_segment_wavefront_offset 0
		.amdhsa_system_sgpr_workgroup_id_x 1
		.amdhsa_system_sgpr_workgroup_id_y 0
		.amdhsa_system_sgpr_workgroup_id_z 0
		.amdhsa_system_sgpr_workgroup_info 0
		.amdhsa_system_vgpr_workitem_id 0
		.amdhsa_next_free_vgpr 1
		.amdhsa_next_free_sgpr 0
		.amdhsa_reserve_vcc 0
		.amdhsa_reserve_flat_scratch 0
		.amdhsa_float_round_mode_32 0
		.amdhsa_float_round_mode_16_64 0
		.amdhsa_float_denorm_mode_32 3
		.amdhsa_float_denorm_mode_16_64 3
		.amdhsa_dx10_clamp 1
		.amdhsa_ieee_mode 1
		.amdhsa_fp16_overflow 0
		.amdhsa_exception_fp_ieee_invalid_op 0
		.amdhsa_exception_fp_denorm_src 0
		.amdhsa_exception_fp_ieee_div_zero 0
		.amdhsa_exception_fp_ieee_overflow 0
		.amdhsa_exception_fp_ieee_underflow 0
		.amdhsa_exception_fp_ieee_inexact 0
		.amdhsa_exception_int_div_zero 0
	.end_amdhsa_kernel
	.section	.text._ZN7rocprim17ROCPRIM_400000_NS6detail17trampoline_kernelINS0_14default_configENS1_22reduce_config_selectorIN6thrust23THRUST_200600_302600_NS5tupleIblNS6_9null_typeES8_S8_S8_S8_S8_S8_S8_EEEEZNS1_11reduce_implILb1ES3_NS6_12zip_iteratorINS7_INS6_11hip_rocprim26transform_input_iterator_tIbPiNS6_6detail10functional5actorINSH_9compositeIJNSH_27transparent_binary_operatorINS6_8equal_toIvEEEENSI_INSH_8argumentILj0EEEEENSH_5valueIiEEEEEEEEENSD_19counting_iterator_tIlEES8_S8_S8_S8_S8_S8_S8_S8_EEEEPS9_S9_NSD_9__find_if7functorIS9_EEEE10hipError_tPvRmT1_T2_T3_mT4_P12ihipStream_tbEUlT_E0_NS1_11comp_targetILNS1_3genE5ELNS1_11target_archE942ELNS1_3gpuE9ELNS1_3repE0EEENS1_30default_config_static_selectorELNS0_4arch9wavefront6targetE1EEEvS17_,"axG",@progbits,_ZN7rocprim17ROCPRIM_400000_NS6detail17trampoline_kernelINS0_14default_configENS1_22reduce_config_selectorIN6thrust23THRUST_200600_302600_NS5tupleIblNS6_9null_typeES8_S8_S8_S8_S8_S8_S8_EEEEZNS1_11reduce_implILb1ES3_NS6_12zip_iteratorINS7_INS6_11hip_rocprim26transform_input_iterator_tIbPiNS6_6detail10functional5actorINSH_9compositeIJNSH_27transparent_binary_operatorINS6_8equal_toIvEEEENSI_INSH_8argumentILj0EEEEENSH_5valueIiEEEEEEEEENSD_19counting_iterator_tIlEES8_S8_S8_S8_S8_S8_S8_S8_EEEEPS9_S9_NSD_9__find_if7functorIS9_EEEE10hipError_tPvRmT1_T2_T3_mT4_P12ihipStream_tbEUlT_E0_NS1_11comp_targetILNS1_3genE5ELNS1_11target_archE942ELNS1_3gpuE9ELNS1_3repE0EEENS1_30default_config_static_selectorELNS0_4arch9wavefront6targetE1EEEvS17_,comdat
.Lfunc_end975:
	.size	_ZN7rocprim17ROCPRIM_400000_NS6detail17trampoline_kernelINS0_14default_configENS1_22reduce_config_selectorIN6thrust23THRUST_200600_302600_NS5tupleIblNS6_9null_typeES8_S8_S8_S8_S8_S8_S8_EEEEZNS1_11reduce_implILb1ES3_NS6_12zip_iteratorINS7_INS6_11hip_rocprim26transform_input_iterator_tIbPiNS6_6detail10functional5actorINSH_9compositeIJNSH_27transparent_binary_operatorINS6_8equal_toIvEEEENSI_INSH_8argumentILj0EEEEENSH_5valueIiEEEEEEEEENSD_19counting_iterator_tIlEES8_S8_S8_S8_S8_S8_S8_S8_EEEEPS9_S9_NSD_9__find_if7functorIS9_EEEE10hipError_tPvRmT1_T2_T3_mT4_P12ihipStream_tbEUlT_E0_NS1_11comp_targetILNS1_3genE5ELNS1_11target_archE942ELNS1_3gpuE9ELNS1_3repE0EEENS1_30default_config_static_selectorELNS0_4arch9wavefront6targetE1EEEvS17_, .Lfunc_end975-_ZN7rocprim17ROCPRIM_400000_NS6detail17trampoline_kernelINS0_14default_configENS1_22reduce_config_selectorIN6thrust23THRUST_200600_302600_NS5tupleIblNS6_9null_typeES8_S8_S8_S8_S8_S8_S8_EEEEZNS1_11reduce_implILb1ES3_NS6_12zip_iteratorINS7_INS6_11hip_rocprim26transform_input_iterator_tIbPiNS6_6detail10functional5actorINSH_9compositeIJNSH_27transparent_binary_operatorINS6_8equal_toIvEEEENSI_INSH_8argumentILj0EEEEENSH_5valueIiEEEEEEEEENSD_19counting_iterator_tIlEES8_S8_S8_S8_S8_S8_S8_S8_EEEEPS9_S9_NSD_9__find_if7functorIS9_EEEE10hipError_tPvRmT1_T2_T3_mT4_P12ihipStream_tbEUlT_E0_NS1_11comp_targetILNS1_3genE5ELNS1_11target_archE942ELNS1_3gpuE9ELNS1_3repE0EEENS1_30default_config_static_selectorELNS0_4arch9wavefront6targetE1EEEvS17_
                                        ; -- End function
	.set _ZN7rocprim17ROCPRIM_400000_NS6detail17trampoline_kernelINS0_14default_configENS1_22reduce_config_selectorIN6thrust23THRUST_200600_302600_NS5tupleIblNS6_9null_typeES8_S8_S8_S8_S8_S8_S8_EEEEZNS1_11reduce_implILb1ES3_NS6_12zip_iteratorINS7_INS6_11hip_rocprim26transform_input_iterator_tIbPiNS6_6detail10functional5actorINSH_9compositeIJNSH_27transparent_binary_operatorINS6_8equal_toIvEEEENSI_INSH_8argumentILj0EEEEENSH_5valueIiEEEEEEEEENSD_19counting_iterator_tIlEES8_S8_S8_S8_S8_S8_S8_S8_EEEEPS9_S9_NSD_9__find_if7functorIS9_EEEE10hipError_tPvRmT1_T2_T3_mT4_P12ihipStream_tbEUlT_E0_NS1_11comp_targetILNS1_3genE5ELNS1_11target_archE942ELNS1_3gpuE9ELNS1_3repE0EEENS1_30default_config_static_selectorELNS0_4arch9wavefront6targetE1EEEvS17_.num_vgpr, 0
	.set _ZN7rocprim17ROCPRIM_400000_NS6detail17trampoline_kernelINS0_14default_configENS1_22reduce_config_selectorIN6thrust23THRUST_200600_302600_NS5tupleIblNS6_9null_typeES8_S8_S8_S8_S8_S8_S8_EEEEZNS1_11reduce_implILb1ES3_NS6_12zip_iteratorINS7_INS6_11hip_rocprim26transform_input_iterator_tIbPiNS6_6detail10functional5actorINSH_9compositeIJNSH_27transparent_binary_operatorINS6_8equal_toIvEEEENSI_INSH_8argumentILj0EEEEENSH_5valueIiEEEEEEEEENSD_19counting_iterator_tIlEES8_S8_S8_S8_S8_S8_S8_S8_EEEEPS9_S9_NSD_9__find_if7functorIS9_EEEE10hipError_tPvRmT1_T2_T3_mT4_P12ihipStream_tbEUlT_E0_NS1_11comp_targetILNS1_3genE5ELNS1_11target_archE942ELNS1_3gpuE9ELNS1_3repE0EEENS1_30default_config_static_selectorELNS0_4arch9wavefront6targetE1EEEvS17_.num_agpr, 0
	.set _ZN7rocprim17ROCPRIM_400000_NS6detail17trampoline_kernelINS0_14default_configENS1_22reduce_config_selectorIN6thrust23THRUST_200600_302600_NS5tupleIblNS6_9null_typeES8_S8_S8_S8_S8_S8_S8_EEEEZNS1_11reduce_implILb1ES3_NS6_12zip_iteratorINS7_INS6_11hip_rocprim26transform_input_iterator_tIbPiNS6_6detail10functional5actorINSH_9compositeIJNSH_27transparent_binary_operatorINS6_8equal_toIvEEEENSI_INSH_8argumentILj0EEEEENSH_5valueIiEEEEEEEEENSD_19counting_iterator_tIlEES8_S8_S8_S8_S8_S8_S8_S8_EEEEPS9_S9_NSD_9__find_if7functorIS9_EEEE10hipError_tPvRmT1_T2_T3_mT4_P12ihipStream_tbEUlT_E0_NS1_11comp_targetILNS1_3genE5ELNS1_11target_archE942ELNS1_3gpuE9ELNS1_3repE0EEENS1_30default_config_static_selectorELNS0_4arch9wavefront6targetE1EEEvS17_.numbered_sgpr, 0
	.set _ZN7rocprim17ROCPRIM_400000_NS6detail17trampoline_kernelINS0_14default_configENS1_22reduce_config_selectorIN6thrust23THRUST_200600_302600_NS5tupleIblNS6_9null_typeES8_S8_S8_S8_S8_S8_S8_EEEEZNS1_11reduce_implILb1ES3_NS6_12zip_iteratorINS7_INS6_11hip_rocprim26transform_input_iterator_tIbPiNS6_6detail10functional5actorINSH_9compositeIJNSH_27transparent_binary_operatorINS6_8equal_toIvEEEENSI_INSH_8argumentILj0EEEEENSH_5valueIiEEEEEEEEENSD_19counting_iterator_tIlEES8_S8_S8_S8_S8_S8_S8_S8_EEEEPS9_S9_NSD_9__find_if7functorIS9_EEEE10hipError_tPvRmT1_T2_T3_mT4_P12ihipStream_tbEUlT_E0_NS1_11comp_targetILNS1_3genE5ELNS1_11target_archE942ELNS1_3gpuE9ELNS1_3repE0EEENS1_30default_config_static_selectorELNS0_4arch9wavefront6targetE1EEEvS17_.num_named_barrier, 0
	.set _ZN7rocprim17ROCPRIM_400000_NS6detail17trampoline_kernelINS0_14default_configENS1_22reduce_config_selectorIN6thrust23THRUST_200600_302600_NS5tupleIblNS6_9null_typeES8_S8_S8_S8_S8_S8_S8_EEEEZNS1_11reduce_implILb1ES3_NS6_12zip_iteratorINS7_INS6_11hip_rocprim26transform_input_iterator_tIbPiNS6_6detail10functional5actorINSH_9compositeIJNSH_27transparent_binary_operatorINS6_8equal_toIvEEEENSI_INSH_8argumentILj0EEEEENSH_5valueIiEEEEEEEEENSD_19counting_iterator_tIlEES8_S8_S8_S8_S8_S8_S8_S8_EEEEPS9_S9_NSD_9__find_if7functorIS9_EEEE10hipError_tPvRmT1_T2_T3_mT4_P12ihipStream_tbEUlT_E0_NS1_11comp_targetILNS1_3genE5ELNS1_11target_archE942ELNS1_3gpuE9ELNS1_3repE0EEENS1_30default_config_static_selectorELNS0_4arch9wavefront6targetE1EEEvS17_.private_seg_size, 0
	.set _ZN7rocprim17ROCPRIM_400000_NS6detail17trampoline_kernelINS0_14default_configENS1_22reduce_config_selectorIN6thrust23THRUST_200600_302600_NS5tupleIblNS6_9null_typeES8_S8_S8_S8_S8_S8_S8_EEEEZNS1_11reduce_implILb1ES3_NS6_12zip_iteratorINS7_INS6_11hip_rocprim26transform_input_iterator_tIbPiNS6_6detail10functional5actorINSH_9compositeIJNSH_27transparent_binary_operatorINS6_8equal_toIvEEEENSI_INSH_8argumentILj0EEEEENSH_5valueIiEEEEEEEEENSD_19counting_iterator_tIlEES8_S8_S8_S8_S8_S8_S8_S8_EEEEPS9_S9_NSD_9__find_if7functorIS9_EEEE10hipError_tPvRmT1_T2_T3_mT4_P12ihipStream_tbEUlT_E0_NS1_11comp_targetILNS1_3genE5ELNS1_11target_archE942ELNS1_3gpuE9ELNS1_3repE0EEENS1_30default_config_static_selectorELNS0_4arch9wavefront6targetE1EEEvS17_.uses_vcc, 0
	.set _ZN7rocprim17ROCPRIM_400000_NS6detail17trampoline_kernelINS0_14default_configENS1_22reduce_config_selectorIN6thrust23THRUST_200600_302600_NS5tupleIblNS6_9null_typeES8_S8_S8_S8_S8_S8_S8_EEEEZNS1_11reduce_implILb1ES3_NS6_12zip_iteratorINS7_INS6_11hip_rocprim26transform_input_iterator_tIbPiNS6_6detail10functional5actorINSH_9compositeIJNSH_27transparent_binary_operatorINS6_8equal_toIvEEEENSI_INSH_8argumentILj0EEEEENSH_5valueIiEEEEEEEEENSD_19counting_iterator_tIlEES8_S8_S8_S8_S8_S8_S8_S8_EEEEPS9_S9_NSD_9__find_if7functorIS9_EEEE10hipError_tPvRmT1_T2_T3_mT4_P12ihipStream_tbEUlT_E0_NS1_11comp_targetILNS1_3genE5ELNS1_11target_archE942ELNS1_3gpuE9ELNS1_3repE0EEENS1_30default_config_static_selectorELNS0_4arch9wavefront6targetE1EEEvS17_.uses_flat_scratch, 0
	.set _ZN7rocprim17ROCPRIM_400000_NS6detail17trampoline_kernelINS0_14default_configENS1_22reduce_config_selectorIN6thrust23THRUST_200600_302600_NS5tupleIblNS6_9null_typeES8_S8_S8_S8_S8_S8_S8_EEEEZNS1_11reduce_implILb1ES3_NS6_12zip_iteratorINS7_INS6_11hip_rocprim26transform_input_iterator_tIbPiNS6_6detail10functional5actorINSH_9compositeIJNSH_27transparent_binary_operatorINS6_8equal_toIvEEEENSI_INSH_8argumentILj0EEEEENSH_5valueIiEEEEEEEEENSD_19counting_iterator_tIlEES8_S8_S8_S8_S8_S8_S8_S8_EEEEPS9_S9_NSD_9__find_if7functorIS9_EEEE10hipError_tPvRmT1_T2_T3_mT4_P12ihipStream_tbEUlT_E0_NS1_11comp_targetILNS1_3genE5ELNS1_11target_archE942ELNS1_3gpuE9ELNS1_3repE0EEENS1_30default_config_static_selectorELNS0_4arch9wavefront6targetE1EEEvS17_.has_dyn_sized_stack, 0
	.set _ZN7rocprim17ROCPRIM_400000_NS6detail17trampoline_kernelINS0_14default_configENS1_22reduce_config_selectorIN6thrust23THRUST_200600_302600_NS5tupleIblNS6_9null_typeES8_S8_S8_S8_S8_S8_S8_EEEEZNS1_11reduce_implILb1ES3_NS6_12zip_iteratorINS7_INS6_11hip_rocprim26transform_input_iterator_tIbPiNS6_6detail10functional5actorINSH_9compositeIJNSH_27transparent_binary_operatorINS6_8equal_toIvEEEENSI_INSH_8argumentILj0EEEEENSH_5valueIiEEEEEEEEENSD_19counting_iterator_tIlEES8_S8_S8_S8_S8_S8_S8_S8_EEEEPS9_S9_NSD_9__find_if7functorIS9_EEEE10hipError_tPvRmT1_T2_T3_mT4_P12ihipStream_tbEUlT_E0_NS1_11comp_targetILNS1_3genE5ELNS1_11target_archE942ELNS1_3gpuE9ELNS1_3repE0EEENS1_30default_config_static_selectorELNS0_4arch9wavefront6targetE1EEEvS17_.has_recursion, 0
	.set _ZN7rocprim17ROCPRIM_400000_NS6detail17trampoline_kernelINS0_14default_configENS1_22reduce_config_selectorIN6thrust23THRUST_200600_302600_NS5tupleIblNS6_9null_typeES8_S8_S8_S8_S8_S8_S8_EEEEZNS1_11reduce_implILb1ES3_NS6_12zip_iteratorINS7_INS6_11hip_rocprim26transform_input_iterator_tIbPiNS6_6detail10functional5actorINSH_9compositeIJNSH_27transparent_binary_operatorINS6_8equal_toIvEEEENSI_INSH_8argumentILj0EEEEENSH_5valueIiEEEEEEEEENSD_19counting_iterator_tIlEES8_S8_S8_S8_S8_S8_S8_S8_EEEEPS9_S9_NSD_9__find_if7functorIS9_EEEE10hipError_tPvRmT1_T2_T3_mT4_P12ihipStream_tbEUlT_E0_NS1_11comp_targetILNS1_3genE5ELNS1_11target_archE942ELNS1_3gpuE9ELNS1_3repE0EEENS1_30default_config_static_selectorELNS0_4arch9wavefront6targetE1EEEvS17_.has_indirect_call, 0
	.section	.AMDGPU.csdata,"",@progbits
; Kernel info:
; codeLenInByte = 0
; TotalNumSgprs: 4
; NumVgprs: 0
; ScratchSize: 0
; MemoryBound: 0
; FloatMode: 240
; IeeeMode: 1
; LDSByteSize: 0 bytes/workgroup (compile time only)
; SGPRBlocks: 0
; VGPRBlocks: 0
; NumSGPRsForWavesPerEU: 4
; NumVGPRsForWavesPerEU: 1
; Occupancy: 10
; WaveLimiterHint : 0
; COMPUTE_PGM_RSRC2:SCRATCH_EN: 0
; COMPUTE_PGM_RSRC2:USER_SGPR: 6
; COMPUTE_PGM_RSRC2:TRAP_HANDLER: 0
; COMPUTE_PGM_RSRC2:TGID_X_EN: 1
; COMPUTE_PGM_RSRC2:TGID_Y_EN: 0
; COMPUTE_PGM_RSRC2:TGID_Z_EN: 0
; COMPUTE_PGM_RSRC2:TIDIG_COMP_CNT: 0
	.section	.text._ZN7rocprim17ROCPRIM_400000_NS6detail17trampoline_kernelINS0_14default_configENS1_22reduce_config_selectorIN6thrust23THRUST_200600_302600_NS5tupleIblNS6_9null_typeES8_S8_S8_S8_S8_S8_S8_EEEEZNS1_11reduce_implILb1ES3_NS6_12zip_iteratorINS7_INS6_11hip_rocprim26transform_input_iterator_tIbPiNS6_6detail10functional5actorINSH_9compositeIJNSH_27transparent_binary_operatorINS6_8equal_toIvEEEENSI_INSH_8argumentILj0EEEEENSH_5valueIiEEEEEEEEENSD_19counting_iterator_tIlEES8_S8_S8_S8_S8_S8_S8_S8_EEEEPS9_S9_NSD_9__find_if7functorIS9_EEEE10hipError_tPvRmT1_T2_T3_mT4_P12ihipStream_tbEUlT_E0_NS1_11comp_targetILNS1_3genE4ELNS1_11target_archE910ELNS1_3gpuE8ELNS1_3repE0EEENS1_30default_config_static_selectorELNS0_4arch9wavefront6targetE1EEEvS17_,"axG",@progbits,_ZN7rocprim17ROCPRIM_400000_NS6detail17trampoline_kernelINS0_14default_configENS1_22reduce_config_selectorIN6thrust23THRUST_200600_302600_NS5tupleIblNS6_9null_typeES8_S8_S8_S8_S8_S8_S8_EEEEZNS1_11reduce_implILb1ES3_NS6_12zip_iteratorINS7_INS6_11hip_rocprim26transform_input_iterator_tIbPiNS6_6detail10functional5actorINSH_9compositeIJNSH_27transparent_binary_operatorINS6_8equal_toIvEEEENSI_INSH_8argumentILj0EEEEENSH_5valueIiEEEEEEEEENSD_19counting_iterator_tIlEES8_S8_S8_S8_S8_S8_S8_S8_EEEEPS9_S9_NSD_9__find_if7functorIS9_EEEE10hipError_tPvRmT1_T2_T3_mT4_P12ihipStream_tbEUlT_E0_NS1_11comp_targetILNS1_3genE4ELNS1_11target_archE910ELNS1_3gpuE8ELNS1_3repE0EEENS1_30default_config_static_selectorELNS0_4arch9wavefront6targetE1EEEvS17_,comdat
	.protected	_ZN7rocprim17ROCPRIM_400000_NS6detail17trampoline_kernelINS0_14default_configENS1_22reduce_config_selectorIN6thrust23THRUST_200600_302600_NS5tupleIblNS6_9null_typeES8_S8_S8_S8_S8_S8_S8_EEEEZNS1_11reduce_implILb1ES3_NS6_12zip_iteratorINS7_INS6_11hip_rocprim26transform_input_iterator_tIbPiNS6_6detail10functional5actorINSH_9compositeIJNSH_27transparent_binary_operatorINS6_8equal_toIvEEEENSI_INSH_8argumentILj0EEEEENSH_5valueIiEEEEEEEEENSD_19counting_iterator_tIlEES8_S8_S8_S8_S8_S8_S8_S8_EEEEPS9_S9_NSD_9__find_if7functorIS9_EEEE10hipError_tPvRmT1_T2_T3_mT4_P12ihipStream_tbEUlT_E0_NS1_11comp_targetILNS1_3genE4ELNS1_11target_archE910ELNS1_3gpuE8ELNS1_3repE0EEENS1_30default_config_static_selectorELNS0_4arch9wavefront6targetE1EEEvS17_ ; -- Begin function _ZN7rocprim17ROCPRIM_400000_NS6detail17trampoline_kernelINS0_14default_configENS1_22reduce_config_selectorIN6thrust23THRUST_200600_302600_NS5tupleIblNS6_9null_typeES8_S8_S8_S8_S8_S8_S8_EEEEZNS1_11reduce_implILb1ES3_NS6_12zip_iteratorINS7_INS6_11hip_rocprim26transform_input_iterator_tIbPiNS6_6detail10functional5actorINSH_9compositeIJNSH_27transparent_binary_operatorINS6_8equal_toIvEEEENSI_INSH_8argumentILj0EEEEENSH_5valueIiEEEEEEEEENSD_19counting_iterator_tIlEES8_S8_S8_S8_S8_S8_S8_S8_EEEEPS9_S9_NSD_9__find_if7functorIS9_EEEE10hipError_tPvRmT1_T2_T3_mT4_P12ihipStream_tbEUlT_E0_NS1_11comp_targetILNS1_3genE4ELNS1_11target_archE910ELNS1_3gpuE8ELNS1_3repE0EEENS1_30default_config_static_selectorELNS0_4arch9wavefront6targetE1EEEvS17_
	.globl	_ZN7rocprim17ROCPRIM_400000_NS6detail17trampoline_kernelINS0_14default_configENS1_22reduce_config_selectorIN6thrust23THRUST_200600_302600_NS5tupleIblNS6_9null_typeES8_S8_S8_S8_S8_S8_S8_EEEEZNS1_11reduce_implILb1ES3_NS6_12zip_iteratorINS7_INS6_11hip_rocprim26transform_input_iterator_tIbPiNS6_6detail10functional5actorINSH_9compositeIJNSH_27transparent_binary_operatorINS6_8equal_toIvEEEENSI_INSH_8argumentILj0EEEEENSH_5valueIiEEEEEEEEENSD_19counting_iterator_tIlEES8_S8_S8_S8_S8_S8_S8_S8_EEEEPS9_S9_NSD_9__find_if7functorIS9_EEEE10hipError_tPvRmT1_T2_T3_mT4_P12ihipStream_tbEUlT_E0_NS1_11comp_targetILNS1_3genE4ELNS1_11target_archE910ELNS1_3gpuE8ELNS1_3repE0EEENS1_30default_config_static_selectorELNS0_4arch9wavefront6targetE1EEEvS17_
	.p2align	8
	.type	_ZN7rocprim17ROCPRIM_400000_NS6detail17trampoline_kernelINS0_14default_configENS1_22reduce_config_selectorIN6thrust23THRUST_200600_302600_NS5tupleIblNS6_9null_typeES8_S8_S8_S8_S8_S8_S8_EEEEZNS1_11reduce_implILb1ES3_NS6_12zip_iteratorINS7_INS6_11hip_rocprim26transform_input_iterator_tIbPiNS6_6detail10functional5actorINSH_9compositeIJNSH_27transparent_binary_operatorINS6_8equal_toIvEEEENSI_INSH_8argumentILj0EEEEENSH_5valueIiEEEEEEEEENSD_19counting_iterator_tIlEES8_S8_S8_S8_S8_S8_S8_S8_EEEEPS9_S9_NSD_9__find_if7functorIS9_EEEE10hipError_tPvRmT1_T2_T3_mT4_P12ihipStream_tbEUlT_E0_NS1_11comp_targetILNS1_3genE4ELNS1_11target_archE910ELNS1_3gpuE8ELNS1_3repE0EEENS1_30default_config_static_selectorELNS0_4arch9wavefront6targetE1EEEvS17_,@function
_ZN7rocprim17ROCPRIM_400000_NS6detail17trampoline_kernelINS0_14default_configENS1_22reduce_config_selectorIN6thrust23THRUST_200600_302600_NS5tupleIblNS6_9null_typeES8_S8_S8_S8_S8_S8_S8_EEEEZNS1_11reduce_implILb1ES3_NS6_12zip_iteratorINS7_INS6_11hip_rocprim26transform_input_iterator_tIbPiNS6_6detail10functional5actorINSH_9compositeIJNSH_27transparent_binary_operatorINS6_8equal_toIvEEEENSI_INSH_8argumentILj0EEEEENSH_5valueIiEEEEEEEEENSD_19counting_iterator_tIlEES8_S8_S8_S8_S8_S8_S8_S8_EEEEPS9_S9_NSD_9__find_if7functorIS9_EEEE10hipError_tPvRmT1_T2_T3_mT4_P12ihipStream_tbEUlT_E0_NS1_11comp_targetILNS1_3genE4ELNS1_11target_archE910ELNS1_3gpuE8ELNS1_3repE0EEENS1_30default_config_static_selectorELNS0_4arch9wavefront6targetE1EEEvS17_: ; @_ZN7rocprim17ROCPRIM_400000_NS6detail17trampoline_kernelINS0_14default_configENS1_22reduce_config_selectorIN6thrust23THRUST_200600_302600_NS5tupleIblNS6_9null_typeES8_S8_S8_S8_S8_S8_S8_EEEEZNS1_11reduce_implILb1ES3_NS6_12zip_iteratorINS7_INS6_11hip_rocprim26transform_input_iterator_tIbPiNS6_6detail10functional5actorINSH_9compositeIJNSH_27transparent_binary_operatorINS6_8equal_toIvEEEENSI_INSH_8argumentILj0EEEEENSH_5valueIiEEEEEEEEENSD_19counting_iterator_tIlEES8_S8_S8_S8_S8_S8_S8_S8_EEEEPS9_S9_NSD_9__find_if7functorIS9_EEEE10hipError_tPvRmT1_T2_T3_mT4_P12ihipStream_tbEUlT_E0_NS1_11comp_targetILNS1_3genE4ELNS1_11target_archE910ELNS1_3gpuE8ELNS1_3repE0EEENS1_30default_config_static_selectorELNS0_4arch9wavefront6targetE1EEEvS17_
; %bb.0:
	.section	.rodata,"a",@progbits
	.p2align	6, 0x0
	.amdhsa_kernel _ZN7rocprim17ROCPRIM_400000_NS6detail17trampoline_kernelINS0_14default_configENS1_22reduce_config_selectorIN6thrust23THRUST_200600_302600_NS5tupleIblNS6_9null_typeES8_S8_S8_S8_S8_S8_S8_EEEEZNS1_11reduce_implILb1ES3_NS6_12zip_iteratorINS7_INS6_11hip_rocprim26transform_input_iterator_tIbPiNS6_6detail10functional5actorINSH_9compositeIJNSH_27transparent_binary_operatorINS6_8equal_toIvEEEENSI_INSH_8argumentILj0EEEEENSH_5valueIiEEEEEEEEENSD_19counting_iterator_tIlEES8_S8_S8_S8_S8_S8_S8_S8_EEEEPS9_S9_NSD_9__find_if7functorIS9_EEEE10hipError_tPvRmT1_T2_T3_mT4_P12ihipStream_tbEUlT_E0_NS1_11comp_targetILNS1_3genE4ELNS1_11target_archE910ELNS1_3gpuE8ELNS1_3repE0EEENS1_30default_config_static_selectorELNS0_4arch9wavefront6targetE1EEEvS17_
		.amdhsa_group_segment_fixed_size 0
		.amdhsa_private_segment_fixed_size 0
		.amdhsa_kernarg_size 88
		.amdhsa_user_sgpr_count 6
		.amdhsa_user_sgpr_private_segment_buffer 1
		.amdhsa_user_sgpr_dispatch_ptr 0
		.amdhsa_user_sgpr_queue_ptr 0
		.amdhsa_user_sgpr_kernarg_segment_ptr 1
		.amdhsa_user_sgpr_dispatch_id 0
		.amdhsa_user_sgpr_flat_scratch_init 0
		.amdhsa_user_sgpr_private_segment_size 0
		.amdhsa_uses_dynamic_stack 0
		.amdhsa_system_sgpr_private_segment_wavefront_offset 0
		.amdhsa_system_sgpr_workgroup_id_x 1
		.amdhsa_system_sgpr_workgroup_id_y 0
		.amdhsa_system_sgpr_workgroup_id_z 0
		.amdhsa_system_sgpr_workgroup_info 0
		.amdhsa_system_vgpr_workitem_id 0
		.amdhsa_next_free_vgpr 1
		.amdhsa_next_free_sgpr 0
		.amdhsa_reserve_vcc 0
		.amdhsa_reserve_flat_scratch 0
		.amdhsa_float_round_mode_32 0
		.amdhsa_float_round_mode_16_64 0
		.amdhsa_float_denorm_mode_32 3
		.amdhsa_float_denorm_mode_16_64 3
		.amdhsa_dx10_clamp 1
		.amdhsa_ieee_mode 1
		.amdhsa_fp16_overflow 0
		.amdhsa_exception_fp_ieee_invalid_op 0
		.amdhsa_exception_fp_denorm_src 0
		.amdhsa_exception_fp_ieee_div_zero 0
		.amdhsa_exception_fp_ieee_overflow 0
		.amdhsa_exception_fp_ieee_underflow 0
		.amdhsa_exception_fp_ieee_inexact 0
		.amdhsa_exception_int_div_zero 0
	.end_amdhsa_kernel
	.section	.text._ZN7rocprim17ROCPRIM_400000_NS6detail17trampoline_kernelINS0_14default_configENS1_22reduce_config_selectorIN6thrust23THRUST_200600_302600_NS5tupleIblNS6_9null_typeES8_S8_S8_S8_S8_S8_S8_EEEEZNS1_11reduce_implILb1ES3_NS6_12zip_iteratorINS7_INS6_11hip_rocprim26transform_input_iterator_tIbPiNS6_6detail10functional5actorINSH_9compositeIJNSH_27transparent_binary_operatorINS6_8equal_toIvEEEENSI_INSH_8argumentILj0EEEEENSH_5valueIiEEEEEEEEENSD_19counting_iterator_tIlEES8_S8_S8_S8_S8_S8_S8_S8_EEEEPS9_S9_NSD_9__find_if7functorIS9_EEEE10hipError_tPvRmT1_T2_T3_mT4_P12ihipStream_tbEUlT_E0_NS1_11comp_targetILNS1_3genE4ELNS1_11target_archE910ELNS1_3gpuE8ELNS1_3repE0EEENS1_30default_config_static_selectorELNS0_4arch9wavefront6targetE1EEEvS17_,"axG",@progbits,_ZN7rocprim17ROCPRIM_400000_NS6detail17trampoline_kernelINS0_14default_configENS1_22reduce_config_selectorIN6thrust23THRUST_200600_302600_NS5tupleIblNS6_9null_typeES8_S8_S8_S8_S8_S8_S8_EEEEZNS1_11reduce_implILb1ES3_NS6_12zip_iteratorINS7_INS6_11hip_rocprim26transform_input_iterator_tIbPiNS6_6detail10functional5actorINSH_9compositeIJNSH_27transparent_binary_operatorINS6_8equal_toIvEEEENSI_INSH_8argumentILj0EEEEENSH_5valueIiEEEEEEEEENSD_19counting_iterator_tIlEES8_S8_S8_S8_S8_S8_S8_S8_EEEEPS9_S9_NSD_9__find_if7functorIS9_EEEE10hipError_tPvRmT1_T2_T3_mT4_P12ihipStream_tbEUlT_E0_NS1_11comp_targetILNS1_3genE4ELNS1_11target_archE910ELNS1_3gpuE8ELNS1_3repE0EEENS1_30default_config_static_selectorELNS0_4arch9wavefront6targetE1EEEvS17_,comdat
.Lfunc_end976:
	.size	_ZN7rocprim17ROCPRIM_400000_NS6detail17trampoline_kernelINS0_14default_configENS1_22reduce_config_selectorIN6thrust23THRUST_200600_302600_NS5tupleIblNS6_9null_typeES8_S8_S8_S8_S8_S8_S8_EEEEZNS1_11reduce_implILb1ES3_NS6_12zip_iteratorINS7_INS6_11hip_rocprim26transform_input_iterator_tIbPiNS6_6detail10functional5actorINSH_9compositeIJNSH_27transparent_binary_operatorINS6_8equal_toIvEEEENSI_INSH_8argumentILj0EEEEENSH_5valueIiEEEEEEEEENSD_19counting_iterator_tIlEES8_S8_S8_S8_S8_S8_S8_S8_EEEEPS9_S9_NSD_9__find_if7functorIS9_EEEE10hipError_tPvRmT1_T2_T3_mT4_P12ihipStream_tbEUlT_E0_NS1_11comp_targetILNS1_3genE4ELNS1_11target_archE910ELNS1_3gpuE8ELNS1_3repE0EEENS1_30default_config_static_selectorELNS0_4arch9wavefront6targetE1EEEvS17_, .Lfunc_end976-_ZN7rocprim17ROCPRIM_400000_NS6detail17trampoline_kernelINS0_14default_configENS1_22reduce_config_selectorIN6thrust23THRUST_200600_302600_NS5tupleIblNS6_9null_typeES8_S8_S8_S8_S8_S8_S8_EEEEZNS1_11reduce_implILb1ES3_NS6_12zip_iteratorINS7_INS6_11hip_rocprim26transform_input_iterator_tIbPiNS6_6detail10functional5actorINSH_9compositeIJNSH_27transparent_binary_operatorINS6_8equal_toIvEEEENSI_INSH_8argumentILj0EEEEENSH_5valueIiEEEEEEEEENSD_19counting_iterator_tIlEES8_S8_S8_S8_S8_S8_S8_S8_EEEEPS9_S9_NSD_9__find_if7functorIS9_EEEE10hipError_tPvRmT1_T2_T3_mT4_P12ihipStream_tbEUlT_E0_NS1_11comp_targetILNS1_3genE4ELNS1_11target_archE910ELNS1_3gpuE8ELNS1_3repE0EEENS1_30default_config_static_selectorELNS0_4arch9wavefront6targetE1EEEvS17_
                                        ; -- End function
	.set _ZN7rocprim17ROCPRIM_400000_NS6detail17trampoline_kernelINS0_14default_configENS1_22reduce_config_selectorIN6thrust23THRUST_200600_302600_NS5tupleIblNS6_9null_typeES8_S8_S8_S8_S8_S8_S8_EEEEZNS1_11reduce_implILb1ES3_NS6_12zip_iteratorINS7_INS6_11hip_rocprim26transform_input_iterator_tIbPiNS6_6detail10functional5actorINSH_9compositeIJNSH_27transparent_binary_operatorINS6_8equal_toIvEEEENSI_INSH_8argumentILj0EEEEENSH_5valueIiEEEEEEEEENSD_19counting_iterator_tIlEES8_S8_S8_S8_S8_S8_S8_S8_EEEEPS9_S9_NSD_9__find_if7functorIS9_EEEE10hipError_tPvRmT1_T2_T3_mT4_P12ihipStream_tbEUlT_E0_NS1_11comp_targetILNS1_3genE4ELNS1_11target_archE910ELNS1_3gpuE8ELNS1_3repE0EEENS1_30default_config_static_selectorELNS0_4arch9wavefront6targetE1EEEvS17_.num_vgpr, 0
	.set _ZN7rocprim17ROCPRIM_400000_NS6detail17trampoline_kernelINS0_14default_configENS1_22reduce_config_selectorIN6thrust23THRUST_200600_302600_NS5tupleIblNS6_9null_typeES8_S8_S8_S8_S8_S8_S8_EEEEZNS1_11reduce_implILb1ES3_NS6_12zip_iteratorINS7_INS6_11hip_rocprim26transform_input_iterator_tIbPiNS6_6detail10functional5actorINSH_9compositeIJNSH_27transparent_binary_operatorINS6_8equal_toIvEEEENSI_INSH_8argumentILj0EEEEENSH_5valueIiEEEEEEEEENSD_19counting_iterator_tIlEES8_S8_S8_S8_S8_S8_S8_S8_EEEEPS9_S9_NSD_9__find_if7functorIS9_EEEE10hipError_tPvRmT1_T2_T3_mT4_P12ihipStream_tbEUlT_E0_NS1_11comp_targetILNS1_3genE4ELNS1_11target_archE910ELNS1_3gpuE8ELNS1_3repE0EEENS1_30default_config_static_selectorELNS0_4arch9wavefront6targetE1EEEvS17_.num_agpr, 0
	.set _ZN7rocprim17ROCPRIM_400000_NS6detail17trampoline_kernelINS0_14default_configENS1_22reduce_config_selectorIN6thrust23THRUST_200600_302600_NS5tupleIblNS6_9null_typeES8_S8_S8_S8_S8_S8_S8_EEEEZNS1_11reduce_implILb1ES3_NS6_12zip_iteratorINS7_INS6_11hip_rocprim26transform_input_iterator_tIbPiNS6_6detail10functional5actorINSH_9compositeIJNSH_27transparent_binary_operatorINS6_8equal_toIvEEEENSI_INSH_8argumentILj0EEEEENSH_5valueIiEEEEEEEEENSD_19counting_iterator_tIlEES8_S8_S8_S8_S8_S8_S8_S8_EEEEPS9_S9_NSD_9__find_if7functorIS9_EEEE10hipError_tPvRmT1_T2_T3_mT4_P12ihipStream_tbEUlT_E0_NS1_11comp_targetILNS1_3genE4ELNS1_11target_archE910ELNS1_3gpuE8ELNS1_3repE0EEENS1_30default_config_static_selectorELNS0_4arch9wavefront6targetE1EEEvS17_.numbered_sgpr, 0
	.set _ZN7rocprim17ROCPRIM_400000_NS6detail17trampoline_kernelINS0_14default_configENS1_22reduce_config_selectorIN6thrust23THRUST_200600_302600_NS5tupleIblNS6_9null_typeES8_S8_S8_S8_S8_S8_S8_EEEEZNS1_11reduce_implILb1ES3_NS6_12zip_iteratorINS7_INS6_11hip_rocprim26transform_input_iterator_tIbPiNS6_6detail10functional5actorINSH_9compositeIJNSH_27transparent_binary_operatorINS6_8equal_toIvEEEENSI_INSH_8argumentILj0EEEEENSH_5valueIiEEEEEEEEENSD_19counting_iterator_tIlEES8_S8_S8_S8_S8_S8_S8_S8_EEEEPS9_S9_NSD_9__find_if7functorIS9_EEEE10hipError_tPvRmT1_T2_T3_mT4_P12ihipStream_tbEUlT_E0_NS1_11comp_targetILNS1_3genE4ELNS1_11target_archE910ELNS1_3gpuE8ELNS1_3repE0EEENS1_30default_config_static_selectorELNS0_4arch9wavefront6targetE1EEEvS17_.num_named_barrier, 0
	.set _ZN7rocprim17ROCPRIM_400000_NS6detail17trampoline_kernelINS0_14default_configENS1_22reduce_config_selectorIN6thrust23THRUST_200600_302600_NS5tupleIblNS6_9null_typeES8_S8_S8_S8_S8_S8_S8_EEEEZNS1_11reduce_implILb1ES3_NS6_12zip_iteratorINS7_INS6_11hip_rocprim26transform_input_iterator_tIbPiNS6_6detail10functional5actorINSH_9compositeIJNSH_27transparent_binary_operatorINS6_8equal_toIvEEEENSI_INSH_8argumentILj0EEEEENSH_5valueIiEEEEEEEEENSD_19counting_iterator_tIlEES8_S8_S8_S8_S8_S8_S8_S8_EEEEPS9_S9_NSD_9__find_if7functorIS9_EEEE10hipError_tPvRmT1_T2_T3_mT4_P12ihipStream_tbEUlT_E0_NS1_11comp_targetILNS1_3genE4ELNS1_11target_archE910ELNS1_3gpuE8ELNS1_3repE0EEENS1_30default_config_static_selectorELNS0_4arch9wavefront6targetE1EEEvS17_.private_seg_size, 0
	.set _ZN7rocprim17ROCPRIM_400000_NS6detail17trampoline_kernelINS0_14default_configENS1_22reduce_config_selectorIN6thrust23THRUST_200600_302600_NS5tupleIblNS6_9null_typeES8_S8_S8_S8_S8_S8_S8_EEEEZNS1_11reduce_implILb1ES3_NS6_12zip_iteratorINS7_INS6_11hip_rocprim26transform_input_iterator_tIbPiNS6_6detail10functional5actorINSH_9compositeIJNSH_27transparent_binary_operatorINS6_8equal_toIvEEEENSI_INSH_8argumentILj0EEEEENSH_5valueIiEEEEEEEEENSD_19counting_iterator_tIlEES8_S8_S8_S8_S8_S8_S8_S8_EEEEPS9_S9_NSD_9__find_if7functorIS9_EEEE10hipError_tPvRmT1_T2_T3_mT4_P12ihipStream_tbEUlT_E0_NS1_11comp_targetILNS1_3genE4ELNS1_11target_archE910ELNS1_3gpuE8ELNS1_3repE0EEENS1_30default_config_static_selectorELNS0_4arch9wavefront6targetE1EEEvS17_.uses_vcc, 0
	.set _ZN7rocprim17ROCPRIM_400000_NS6detail17trampoline_kernelINS0_14default_configENS1_22reduce_config_selectorIN6thrust23THRUST_200600_302600_NS5tupleIblNS6_9null_typeES8_S8_S8_S8_S8_S8_S8_EEEEZNS1_11reduce_implILb1ES3_NS6_12zip_iteratorINS7_INS6_11hip_rocprim26transform_input_iterator_tIbPiNS6_6detail10functional5actorINSH_9compositeIJNSH_27transparent_binary_operatorINS6_8equal_toIvEEEENSI_INSH_8argumentILj0EEEEENSH_5valueIiEEEEEEEEENSD_19counting_iterator_tIlEES8_S8_S8_S8_S8_S8_S8_S8_EEEEPS9_S9_NSD_9__find_if7functorIS9_EEEE10hipError_tPvRmT1_T2_T3_mT4_P12ihipStream_tbEUlT_E0_NS1_11comp_targetILNS1_3genE4ELNS1_11target_archE910ELNS1_3gpuE8ELNS1_3repE0EEENS1_30default_config_static_selectorELNS0_4arch9wavefront6targetE1EEEvS17_.uses_flat_scratch, 0
	.set _ZN7rocprim17ROCPRIM_400000_NS6detail17trampoline_kernelINS0_14default_configENS1_22reduce_config_selectorIN6thrust23THRUST_200600_302600_NS5tupleIblNS6_9null_typeES8_S8_S8_S8_S8_S8_S8_EEEEZNS1_11reduce_implILb1ES3_NS6_12zip_iteratorINS7_INS6_11hip_rocprim26transform_input_iterator_tIbPiNS6_6detail10functional5actorINSH_9compositeIJNSH_27transparent_binary_operatorINS6_8equal_toIvEEEENSI_INSH_8argumentILj0EEEEENSH_5valueIiEEEEEEEEENSD_19counting_iterator_tIlEES8_S8_S8_S8_S8_S8_S8_S8_EEEEPS9_S9_NSD_9__find_if7functorIS9_EEEE10hipError_tPvRmT1_T2_T3_mT4_P12ihipStream_tbEUlT_E0_NS1_11comp_targetILNS1_3genE4ELNS1_11target_archE910ELNS1_3gpuE8ELNS1_3repE0EEENS1_30default_config_static_selectorELNS0_4arch9wavefront6targetE1EEEvS17_.has_dyn_sized_stack, 0
	.set _ZN7rocprim17ROCPRIM_400000_NS6detail17trampoline_kernelINS0_14default_configENS1_22reduce_config_selectorIN6thrust23THRUST_200600_302600_NS5tupleIblNS6_9null_typeES8_S8_S8_S8_S8_S8_S8_EEEEZNS1_11reduce_implILb1ES3_NS6_12zip_iteratorINS7_INS6_11hip_rocprim26transform_input_iterator_tIbPiNS6_6detail10functional5actorINSH_9compositeIJNSH_27transparent_binary_operatorINS6_8equal_toIvEEEENSI_INSH_8argumentILj0EEEEENSH_5valueIiEEEEEEEEENSD_19counting_iterator_tIlEES8_S8_S8_S8_S8_S8_S8_S8_EEEEPS9_S9_NSD_9__find_if7functorIS9_EEEE10hipError_tPvRmT1_T2_T3_mT4_P12ihipStream_tbEUlT_E0_NS1_11comp_targetILNS1_3genE4ELNS1_11target_archE910ELNS1_3gpuE8ELNS1_3repE0EEENS1_30default_config_static_selectorELNS0_4arch9wavefront6targetE1EEEvS17_.has_recursion, 0
	.set _ZN7rocprim17ROCPRIM_400000_NS6detail17trampoline_kernelINS0_14default_configENS1_22reduce_config_selectorIN6thrust23THRUST_200600_302600_NS5tupleIblNS6_9null_typeES8_S8_S8_S8_S8_S8_S8_EEEEZNS1_11reduce_implILb1ES3_NS6_12zip_iteratorINS7_INS6_11hip_rocprim26transform_input_iterator_tIbPiNS6_6detail10functional5actorINSH_9compositeIJNSH_27transparent_binary_operatorINS6_8equal_toIvEEEENSI_INSH_8argumentILj0EEEEENSH_5valueIiEEEEEEEEENSD_19counting_iterator_tIlEES8_S8_S8_S8_S8_S8_S8_S8_EEEEPS9_S9_NSD_9__find_if7functorIS9_EEEE10hipError_tPvRmT1_T2_T3_mT4_P12ihipStream_tbEUlT_E0_NS1_11comp_targetILNS1_3genE4ELNS1_11target_archE910ELNS1_3gpuE8ELNS1_3repE0EEENS1_30default_config_static_selectorELNS0_4arch9wavefront6targetE1EEEvS17_.has_indirect_call, 0
	.section	.AMDGPU.csdata,"",@progbits
; Kernel info:
; codeLenInByte = 0
; TotalNumSgprs: 4
; NumVgprs: 0
; ScratchSize: 0
; MemoryBound: 0
; FloatMode: 240
; IeeeMode: 1
; LDSByteSize: 0 bytes/workgroup (compile time only)
; SGPRBlocks: 0
; VGPRBlocks: 0
; NumSGPRsForWavesPerEU: 4
; NumVGPRsForWavesPerEU: 1
; Occupancy: 10
; WaveLimiterHint : 0
; COMPUTE_PGM_RSRC2:SCRATCH_EN: 0
; COMPUTE_PGM_RSRC2:USER_SGPR: 6
; COMPUTE_PGM_RSRC2:TRAP_HANDLER: 0
; COMPUTE_PGM_RSRC2:TGID_X_EN: 1
; COMPUTE_PGM_RSRC2:TGID_Y_EN: 0
; COMPUTE_PGM_RSRC2:TGID_Z_EN: 0
; COMPUTE_PGM_RSRC2:TIDIG_COMP_CNT: 0
	.section	.text._ZN7rocprim17ROCPRIM_400000_NS6detail17trampoline_kernelINS0_14default_configENS1_22reduce_config_selectorIN6thrust23THRUST_200600_302600_NS5tupleIblNS6_9null_typeES8_S8_S8_S8_S8_S8_S8_EEEEZNS1_11reduce_implILb1ES3_NS6_12zip_iteratorINS7_INS6_11hip_rocprim26transform_input_iterator_tIbPiNS6_6detail10functional5actorINSH_9compositeIJNSH_27transparent_binary_operatorINS6_8equal_toIvEEEENSI_INSH_8argumentILj0EEEEENSH_5valueIiEEEEEEEEENSD_19counting_iterator_tIlEES8_S8_S8_S8_S8_S8_S8_S8_EEEEPS9_S9_NSD_9__find_if7functorIS9_EEEE10hipError_tPvRmT1_T2_T3_mT4_P12ihipStream_tbEUlT_E0_NS1_11comp_targetILNS1_3genE3ELNS1_11target_archE908ELNS1_3gpuE7ELNS1_3repE0EEENS1_30default_config_static_selectorELNS0_4arch9wavefront6targetE1EEEvS17_,"axG",@progbits,_ZN7rocprim17ROCPRIM_400000_NS6detail17trampoline_kernelINS0_14default_configENS1_22reduce_config_selectorIN6thrust23THRUST_200600_302600_NS5tupleIblNS6_9null_typeES8_S8_S8_S8_S8_S8_S8_EEEEZNS1_11reduce_implILb1ES3_NS6_12zip_iteratorINS7_INS6_11hip_rocprim26transform_input_iterator_tIbPiNS6_6detail10functional5actorINSH_9compositeIJNSH_27transparent_binary_operatorINS6_8equal_toIvEEEENSI_INSH_8argumentILj0EEEEENSH_5valueIiEEEEEEEEENSD_19counting_iterator_tIlEES8_S8_S8_S8_S8_S8_S8_S8_EEEEPS9_S9_NSD_9__find_if7functorIS9_EEEE10hipError_tPvRmT1_T2_T3_mT4_P12ihipStream_tbEUlT_E0_NS1_11comp_targetILNS1_3genE3ELNS1_11target_archE908ELNS1_3gpuE7ELNS1_3repE0EEENS1_30default_config_static_selectorELNS0_4arch9wavefront6targetE1EEEvS17_,comdat
	.protected	_ZN7rocprim17ROCPRIM_400000_NS6detail17trampoline_kernelINS0_14default_configENS1_22reduce_config_selectorIN6thrust23THRUST_200600_302600_NS5tupleIblNS6_9null_typeES8_S8_S8_S8_S8_S8_S8_EEEEZNS1_11reduce_implILb1ES3_NS6_12zip_iteratorINS7_INS6_11hip_rocprim26transform_input_iterator_tIbPiNS6_6detail10functional5actorINSH_9compositeIJNSH_27transparent_binary_operatorINS6_8equal_toIvEEEENSI_INSH_8argumentILj0EEEEENSH_5valueIiEEEEEEEEENSD_19counting_iterator_tIlEES8_S8_S8_S8_S8_S8_S8_S8_EEEEPS9_S9_NSD_9__find_if7functorIS9_EEEE10hipError_tPvRmT1_T2_T3_mT4_P12ihipStream_tbEUlT_E0_NS1_11comp_targetILNS1_3genE3ELNS1_11target_archE908ELNS1_3gpuE7ELNS1_3repE0EEENS1_30default_config_static_selectorELNS0_4arch9wavefront6targetE1EEEvS17_ ; -- Begin function _ZN7rocprim17ROCPRIM_400000_NS6detail17trampoline_kernelINS0_14default_configENS1_22reduce_config_selectorIN6thrust23THRUST_200600_302600_NS5tupleIblNS6_9null_typeES8_S8_S8_S8_S8_S8_S8_EEEEZNS1_11reduce_implILb1ES3_NS6_12zip_iteratorINS7_INS6_11hip_rocprim26transform_input_iterator_tIbPiNS6_6detail10functional5actorINSH_9compositeIJNSH_27transparent_binary_operatorINS6_8equal_toIvEEEENSI_INSH_8argumentILj0EEEEENSH_5valueIiEEEEEEEEENSD_19counting_iterator_tIlEES8_S8_S8_S8_S8_S8_S8_S8_EEEEPS9_S9_NSD_9__find_if7functorIS9_EEEE10hipError_tPvRmT1_T2_T3_mT4_P12ihipStream_tbEUlT_E0_NS1_11comp_targetILNS1_3genE3ELNS1_11target_archE908ELNS1_3gpuE7ELNS1_3repE0EEENS1_30default_config_static_selectorELNS0_4arch9wavefront6targetE1EEEvS17_
	.globl	_ZN7rocprim17ROCPRIM_400000_NS6detail17trampoline_kernelINS0_14default_configENS1_22reduce_config_selectorIN6thrust23THRUST_200600_302600_NS5tupleIblNS6_9null_typeES8_S8_S8_S8_S8_S8_S8_EEEEZNS1_11reduce_implILb1ES3_NS6_12zip_iteratorINS7_INS6_11hip_rocprim26transform_input_iterator_tIbPiNS6_6detail10functional5actorINSH_9compositeIJNSH_27transparent_binary_operatorINS6_8equal_toIvEEEENSI_INSH_8argumentILj0EEEEENSH_5valueIiEEEEEEEEENSD_19counting_iterator_tIlEES8_S8_S8_S8_S8_S8_S8_S8_EEEEPS9_S9_NSD_9__find_if7functorIS9_EEEE10hipError_tPvRmT1_T2_T3_mT4_P12ihipStream_tbEUlT_E0_NS1_11comp_targetILNS1_3genE3ELNS1_11target_archE908ELNS1_3gpuE7ELNS1_3repE0EEENS1_30default_config_static_selectorELNS0_4arch9wavefront6targetE1EEEvS17_
	.p2align	8
	.type	_ZN7rocprim17ROCPRIM_400000_NS6detail17trampoline_kernelINS0_14default_configENS1_22reduce_config_selectorIN6thrust23THRUST_200600_302600_NS5tupleIblNS6_9null_typeES8_S8_S8_S8_S8_S8_S8_EEEEZNS1_11reduce_implILb1ES3_NS6_12zip_iteratorINS7_INS6_11hip_rocprim26transform_input_iterator_tIbPiNS6_6detail10functional5actorINSH_9compositeIJNSH_27transparent_binary_operatorINS6_8equal_toIvEEEENSI_INSH_8argumentILj0EEEEENSH_5valueIiEEEEEEEEENSD_19counting_iterator_tIlEES8_S8_S8_S8_S8_S8_S8_S8_EEEEPS9_S9_NSD_9__find_if7functorIS9_EEEE10hipError_tPvRmT1_T2_T3_mT4_P12ihipStream_tbEUlT_E0_NS1_11comp_targetILNS1_3genE3ELNS1_11target_archE908ELNS1_3gpuE7ELNS1_3repE0EEENS1_30default_config_static_selectorELNS0_4arch9wavefront6targetE1EEEvS17_,@function
_ZN7rocprim17ROCPRIM_400000_NS6detail17trampoline_kernelINS0_14default_configENS1_22reduce_config_selectorIN6thrust23THRUST_200600_302600_NS5tupleIblNS6_9null_typeES8_S8_S8_S8_S8_S8_S8_EEEEZNS1_11reduce_implILb1ES3_NS6_12zip_iteratorINS7_INS6_11hip_rocprim26transform_input_iterator_tIbPiNS6_6detail10functional5actorINSH_9compositeIJNSH_27transparent_binary_operatorINS6_8equal_toIvEEEENSI_INSH_8argumentILj0EEEEENSH_5valueIiEEEEEEEEENSD_19counting_iterator_tIlEES8_S8_S8_S8_S8_S8_S8_S8_EEEEPS9_S9_NSD_9__find_if7functorIS9_EEEE10hipError_tPvRmT1_T2_T3_mT4_P12ihipStream_tbEUlT_E0_NS1_11comp_targetILNS1_3genE3ELNS1_11target_archE908ELNS1_3gpuE7ELNS1_3repE0EEENS1_30default_config_static_selectorELNS0_4arch9wavefront6targetE1EEEvS17_: ; @_ZN7rocprim17ROCPRIM_400000_NS6detail17trampoline_kernelINS0_14default_configENS1_22reduce_config_selectorIN6thrust23THRUST_200600_302600_NS5tupleIblNS6_9null_typeES8_S8_S8_S8_S8_S8_S8_EEEEZNS1_11reduce_implILb1ES3_NS6_12zip_iteratorINS7_INS6_11hip_rocprim26transform_input_iterator_tIbPiNS6_6detail10functional5actorINSH_9compositeIJNSH_27transparent_binary_operatorINS6_8equal_toIvEEEENSI_INSH_8argumentILj0EEEEENSH_5valueIiEEEEEEEEENSD_19counting_iterator_tIlEES8_S8_S8_S8_S8_S8_S8_S8_EEEEPS9_S9_NSD_9__find_if7functorIS9_EEEE10hipError_tPvRmT1_T2_T3_mT4_P12ihipStream_tbEUlT_E0_NS1_11comp_targetILNS1_3genE3ELNS1_11target_archE908ELNS1_3gpuE7ELNS1_3repE0EEENS1_30default_config_static_selectorELNS0_4arch9wavefront6targetE1EEEvS17_
; %bb.0:
	.section	.rodata,"a",@progbits
	.p2align	6, 0x0
	.amdhsa_kernel _ZN7rocprim17ROCPRIM_400000_NS6detail17trampoline_kernelINS0_14default_configENS1_22reduce_config_selectorIN6thrust23THRUST_200600_302600_NS5tupleIblNS6_9null_typeES8_S8_S8_S8_S8_S8_S8_EEEEZNS1_11reduce_implILb1ES3_NS6_12zip_iteratorINS7_INS6_11hip_rocprim26transform_input_iterator_tIbPiNS6_6detail10functional5actorINSH_9compositeIJNSH_27transparent_binary_operatorINS6_8equal_toIvEEEENSI_INSH_8argumentILj0EEEEENSH_5valueIiEEEEEEEEENSD_19counting_iterator_tIlEES8_S8_S8_S8_S8_S8_S8_S8_EEEEPS9_S9_NSD_9__find_if7functorIS9_EEEE10hipError_tPvRmT1_T2_T3_mT4_P12ihipStream_tbEUlT_E0_NS1_11comp_targetILNS1_3genE3ELNS1_11target_archE908ELNS1_3gpuE7ELNS1_3repE0EEENS1_30default_config_static_selectorELNS0_4arch9wavefront6targetE1EEEvS17_
		.amdhsa_group_segment_fixed_size 0
		.amdhsa_private_segment_fixed_size 0
		.amdhsa_kernarg_size 88
		.amdhsa_user_sgpr_count 6
		.amdhsa_user_sgpr_private_segment_buffer 1
		.amdhsa_user_sgpr_dispatch_ptr 0
		.amdhsa_user_sgpr_queue_ptr 0
		.amdhsa_user_sgpr_kernarg_segment_ptr 1
		.amdhsa_user_sgpr_dispatch_id 0
		.amdhsa_user_sgpr_flat_scratch_init 0
		.amdhsa_user_sgpr_private_segment_size 0
		.amdhsa_uses_dynamic_stack 0
		.amdhsa_system_sgpr_private_segment_wavefront_offset 0
		.amdhsa_system_sgpr_workgroup_id_x 1
		.amdhsa_system_sgpr_workgroup_id_y 0
		.amdhsa_system_sgpr_workgroup_id_z 0
		.amdhsa_system_sgpr_workgroup_info 0
		.amdhsa_system_vgpr_workitem_id 0
		.amdhsa_next_free_vgpr 1
		.amdhsa_next_free_sgpr 0
		.amdhsa_reserve_vcc 0
		.amdhsa_reserve_flat_scratch 0
		.amdhsa_float_round_mode_32 0
		.amdhsa_float_round_mode_16_64 0
		.amdhsa_float_denorm_mode_32 3
		.amdhsa_float_denorm_mode_16_64 3
		.amdhsa_dx10_clamp 1
		.amdhsa_ieee_mode 1
		.amdhsa_fp16_overflow 0
		.amdhsa_exception_fp_ieee_invalid_op 0
		.amdhsa_exception_fp_denorm_src 0
		.amdhsa_exception_fp_ieee_div_zero 0
		.amdhsa_exception_fp_ieee_overflow 0
		.amdhsa_exception_fp_ieee_underflow 0
		.amdhsa_exception_fp_ieee_inexact 0
		.amdhsa_exception_int_div_zero 0
	.end_amdhsa_kernel
	.section	.text._ZN7rocprim17ROCPRIM_400000_NS6detail17trampoline_kernelINS0_14default_configENS1_22reduce_config_selectorIN6thrust23THRUST_200600_302600_NS5tupleIblNS6_9null_typeES8_S8_S8_S8_S8_S8_S8_EEEEZNS1_11reduce_implILb1ES3_NS6_12zip_iteratorINS7_INS6_11hip_rocprim26transform_input_iterator_tIbPiNS6_6detail10functional5actorINSH_9compositeIJNSH_27transparent_binary_operatorINS6_8equal_toIvEEEENSI_INSH_8argumentILj0EEEEENSH_5valueIiEEEEEEEEENSD_19counting_iterator_tIlEES8_S8_S8_S8_S8_S8_S8_S8_EEEEPS9_S9_NSD_9__find_if7functorIS9_EEEE10hipError_tPvRmT1_T2_T3_mT4_P12ihipStream_tbEUlT_E0_NS1_11comp_targetILNS1_3genE3ELNS1_11target_archE908ELNS1_3gpuE7ELNS1_3repE0EEENS1_30default_config_static_selectorELNS0_4arch9wavefront6targetE1EEEvS17_,"axG",@progbits,_ZN7rocprim17ROCPRIM_400000_NS6detail17trampoline_kernelINS0_14default_configENS1_22reduce_config_selectorIN6thrust23THRUST_200600_302600_NS5tupleIblNS6_9null_typeES8_S8_S8_S8_S8_S8_S8_EEEEZNS1_11reduce_implILb1ES3_NS6_12zip_iteratorINS7_INS6_11hip_rocprim26transform_input_iterator_tIbPiNS6_6detail10functional5actorINSH_9compositeIJNSH_27transparent_binary_operatorINS6_8equal_toIvEEEENSI_INSH_8argumentILj0EEEEENSH_5valueIiEEEEEEEEENSD_19counting_iterator_tIlEES8_S8_S8_S8_S8_S8_S8_S8_EEEEPS9_S9_NSD_9__find_if7functorIS9_EEEE10hipError_tPvRmT1_T2_T3_mT4_P12ihipStream_tbEUlT_E0_NS1_11comp_targetILNS1_3genE3ELNS1_11target_archE908ELNS1_3gpuE7ELNS1_3repE0EEENS1_30default_config_static_selectorELNS0_4arch9wavefront6targetE1EEEvS17_,comdat
.Lfunc_end977:
	.size	_ZN7rocprim17ROCPRIM_400000_NS6detail17trampoline_kernelINS0_14default_configENS1_22reduce_config_selectorIN6thrust23THRUST_200600_302600_NS5tupleIblNS6_9null_typeES8_S8_S8_S8_S8_S8_S8_EEEEZNS1_11reduce_implILb1ES3_NS6_12zip_iteratorINS7_INS6_11hip_rocprim26transform_input_iterator_tIbPiNS6_6detail10functional5actorINSH_9compositeIJNSH_27transparent_binary_operatorINS6_8equal_toIvEEEENSI_INSH_8argumentILj0EEEEENSH_5valueIiEEEEEEEEENSD_19counting_iterator_tIlEES8_S8_S8_S8_S8_S8_S8_S8_EEEEPS9_S9_NSD_9__find_if7functorIS9_EEEE10hipError_tPvRmT1_T2_T3_mT4_P12ihipStream_tbEUlT_E0_NS1_11comp_targetILNS1_3genE3ELNS1_11target_archE908ELNS1_3gpuE7ELNS1_3repE0EEENS1_30default_config_static_selectorELNS0_4arch9wavefront6targetE1EEEvS17_, .Lfunc_end977-_ZN7rocprim17ROCPRIM_400000_NS6detail17trampoline_kernelINS0_14default_configENS1_22reduce_config_selectorIN6thrust23THRUST_200600_302600_NS5tupleIblNS6_9null_typeES8_S8_S8_S8_S8_S8_S8_EEEEZNS1_11reduce_implILb1ES3_NS6_12zip_iteratorINS7_INS6_11hip_rocprim26transform_input_iterator_tIbPiNS6_6detail10functional5actorINSH_9compositeIJNSH_27transparent_binary_operatorINS6_8equal_toIvEEEENSI_INSH_8argumentILj0EEEEENSH_5valueIiEEEEEEEEENSD_19counting_iterator_tIlEES8_S8_S8_S8_S8_S8_S8_S8_EEEEPS9_S9_NSD_9__find_if7functorIS9_EEEE10hipError_tPvRmT1_T2_T3_mT4_P12ihipStream_tbEUlT_E0_NS1_11comp_targetILNS1_3genE3ELNS1_11target_archE908ELNS1_3gpuE7ELNS1_3repE0EEENS1_30default_config_static_selectorELNS0_4arch9wavefront6targetE1EEEvS17_
                                        ; -- End function
	.set _ZN7rocprim17ROCPRIM_400000_NS6detail17trampoline_kernelINS0_14default_configENS1_22reduce_config_selectorIN6thrust23THRUST_200600_302600_NS5tupleIblNS6_9null_typeES8_S8_S8_S8_S8_S8_S8_EEEEZNS1_11reduce_implILb1ES3_NS6_12zip_iteratorINS7_INS6_11hip_rocprim26transform_input_iterator_tIbPiNS6_6detail10functional5actorINSH_9compositeIJNSH_27transparent_binary_operatorINS6_8equal_toIvEEEENSI_INSH_8argumentILj0EEEEENSH_5valueIiEEEEEEEEENSD_19counting_iterator_tIlEES8_S8_S8_S8_S8_S8_S8_S8_EEEEPS9_S9_NSD_9__find_if7functorIS9_EEEE10hipError_tPvRmT1_T2_T3_mT4_P12ihipStream_tbEUlT_E0_NS1_11comp_targetILNS1_3genE3ELNS1_11target_archE908ELNS1_3gpuE7ELNS1_3repE0EEENS1_30default_config_static_selectorELNS0_4arch9wavefront6targetE1EEEvS17_.num_vgpr, 0
	.set _ZN7rocprim17ROCPRIM_400000_NS6detail17trampoline_kernelINS0_14default_configENS1_22reduce_config_selectorIN6thrust23THRUST_200600_302600_NS5tupleIblNS6_9null_typeES8_S8_S8_S8_S8_S8_S8_EEEEZNS1_11reduce_implILb1ES3_NS6_12zip_iteratorINS7_INS6_11hip_rocprim26transform_input_iterator_tIbPiNS6_6detail10functional5actorINSH_9compositeIJNSH_27transparent_binary_operatorINS6_8equal_toIvEEEENSI_INSH_8argumentILj0EEEEENSH_5valueIiEEEEEEEEENSD_19counting_iterator_tIlEES8_S8_S8_S8_S8_S8_S8_S8_EEEEPS9_S9_NSD_9__find_if7functorIS9_EEEE10hipError_tPvRmT1_T2_T3_mT4_P12ihipStream_tbEUlT_E0_NS1_11comp_targetILNS1_3genE3ELNS1_11target_archE908ELNS1_3gpuE7ELNS1_3repE0EEENS1_30default_config_static_selectorELNS0_4arch9wavefront6targetE1EEEvS17_.num_agpr, 0
	.set _ZN7rocprim17ROCPRIM_400000_NS6detail17trampoline_kernelINS0_14default_configENS1_22reduce_config_selectorIN6thrust23THRUST_200600_302600_NS5tupleIblNS6_9null_typeES8_S8_S8_S8_S8_S8_S8_EEEEZNS1_11reduce_implILb1ES3_NS6_12zip_iteratorINS7_INS6_11hip_rocprim26transform_input_iterator_tIbPiNS6_6detail10functional5actorINSH_9compositeIJNSH_27transparent_binary_operatorINS6_8equal_toIvEEEENSI_INSH_8argumentILj0EEEEENSH_5valueIiEEEEEEEEENSD_19counting_iterator_tIlEES8_S8_S8_S8_S8_S8_S8_S8_EEEEPS9_S9_NSD_9__find_if7functorIS9_EEEE10hipError_tPvRmT1_T2_T3_mT4_P12ihipStream_tbEUlT_E0_NS1_11comp_targetILNS1_3genE3ELNS1_11target_archE908ELNS1_3gpuE7ELNS1_3repE0EEENS1_30default_config_static_selectorELNS0_4arch9wavefront6targetE1EEEvS17_.numbered_sgpr, 0
	.set _ZN7rocprim17ROCPRIM_400000_NS6detail17trampoline_kernelINS0_14default_configENS1_22reduce_config_selectorIN6thrust23THRUST_200600_302600_NS5tupleIblNS6_9null_typeES8_S8_S8_S8_S8_S8_S8_EEEEZNS1_11reduce_implILb1ES3_NS6_12zip_iteratorINS7_INS6_11hip_rocprim26transform_input_iterator_tIbPiNS6_6detail10functional5actorINSH_9compositeIJNSH_27transparent_binary_operatorINS6_8equal_toIvEEEENSI_INSH_8argumentILj0EEEEENSH_5valueIiEEEEEEEEENSD_19counting_iterator_tIlEES8_S8_S8_S8_S8_S8_S8_S8_EEEEPS9_S9_NSD_9__find_if7functorIS9_EEEE10hipError_tPvRmT1_T2_T3_mT4_P12ihipStream_tbEUlT_E0_NS1_11comp_targetILNS1_3genE3ELNS1_11target_archE908ELNS1_3gpuE7ELNS1_3repE0EEENS1_30default_config_static_selectorELNS0_4arch9wavefront6targetE1EEEvS17_.num_named_barrier, 0
	.set _ZN7rocprim17ROCPRIM_400000_NS6detail17trampoline_kernelINS0_14default_configENS1_22reduce_config_selectorIN6thrust23THRUST_200600_302600_NS5tupleIblNS6_9null_typeES8_S8_S8_S8_S8_S8_S8_EEEEZNS1_11reduce_implILb1ES3_NS6_12zip_iteratorINS7_INS6_11hip_rocprim26transform_input_iterator_tIbPiNS6_6detail10functional5actorINSH_9compositeIJNSH_27transparent_binary_operatorINS6_8equal_toIvEEEENSI_INSH_8argumentILj0EEEEENSH_5valueIiEEEEEEEEENSD_19counting_iterator_tIlEES8_S8_S8_S8_S8_S8_S8_S8_EEEEPS9_S9_NSD_9__find_if7functorIS9_EEEE10hipError_tPvRmT1_T2_T3_mT4_P12ihipStream_tbEUlT_E0_NS1_11comp_targetILNS1_3genE3ELNS1_11target_archE908ELNS1_3gpuE7ELNS1_3repE0EEENS1_30default_config_static_selectorELNS0_4arch9wavefront6targetE1EEEvS17_.private_seg_size, 0
	.set _ZN7rocprim17ROCPRIM_400000_NS6detail17trampoline_kernelINS0_14default_configENS1_22reduce_config_selectorIN6thrust23THRUST_200600_302600_NS5tupleIblNS6_9null_typeES8_S8_S8_S8_S8_S8_S8_EEEEZNS1_11reduce_implILb1ES3_NS6_12zip_iteratorINS7_INS6_11hip_rocprim26transform_input_iterator_tIbPiNS6_6detail10functional5actorINSH_9compositeIJNSH_27transparent_binary_operatorINS6_8equal_toIvEEEENSI_INSH_8argumentILj0EEEEENSH_5valueIiEEEEEEEEENSD_19counting_iterator_tIlEES8_S8_S8_S8_S8_S8_S8_S8_EEEEPS9_S9_NSD_9__find_if7functorIS9_EEEE10hipError_tPvRmT1_T2_T3_mT4_P12ihipStream_tbEUlT_E0_NS1_11comp_targetILNS1_3genE3ELNS1_11target_archE908ELNS1_3gpuE7ELNS1_3repE0EEENS1_30default_config_static_selectorELNS0_4arch9wavefront6targetE1EEEvS17_.uses_vcc, 0
	.set _ZN7rocprim17ROCPRIM_400000_NS6detail17trampoline_kernelINS0_14default_configENS1_22reduce_config_selectorIN6thrust23THRUST_200600_302600_NS5tupleIblNS6_9null_typeES8_S8_S8_S8_S8_S8_S8_EEEEZNS1_11reduce_implILb1ES3_NS6_12zip_iteratorINS7_INS6_11hip_rocprim26transform_input_iterator_tIbPiNS6_6detail10functional5actorINSH_9compositeIJNSH_27transparent_binary_operatorINS6_8equal_toIvEEEENSI_INSH_8argumentILj0EEEEENSH_5valueIiEEEEEEEEENSD_19counting_iterator_tIlEES8_S8_S8_S8_S8_S8_S8_S8_EEEEPS9_S9_NSD_9__find_if7functorIS9_EEEE10hipError_tPvRmT1_T2_T3_mT4_P12ihipStream_tbEUlT_E0_NS1_11comp_targetILNS1_3genE3ELNS1_11target_archE908ELNS1_3gpuE7ELNS1_3repE0EEENS1_30default_config_static_selectorELNS0_4arch9wavefront6targetE1EEEvS17_.uses_flat_scratch, 0
	.set _ZN7rocprim17ROCPRIM_400000_NS6detail17trampoline_kernelINS0_14default_configENS1_22reduce_config_selectorIN6thrust23THRUST_200600_302600_NS5tupleIblNS6_9null_typeES8_S8_S8_S8_S8_S8_S8_EEEEZNS1_11reduce_implILb1ES3_NS6_12zip_iteratorINS7_INS6_11hip_rocprim26transform_input_iterator_tIbPiNS6_6detail10functional5actorINSH_9compositeIJNSH_27transparent_binary_operatorINS6_8equal_toIvEEEENSI_INSH_8argumentILj0EEEEENSH_5valueIiEEEEEEEEENSD_19counting_iterator_tIlEES8_S8_S8_S8_S8_S8_S8_S8_EEEEPS9_S9_NSD_9__find_if7functorIS9_EEEE10hipError_tPvRmT1_T2_T3_mT4_P12ihipStream_tbEUlT_E0_NS1_11comp_targetILNS1_3genE3ELNS1_11target_archE908ELNS1_3gpuE7ELNS1_3repE0EEENS1_30default_config_static_selectorELNS0_4arch9wavefront6targetE1EEEvS17_.has_dyn_sized_stack, 0
	.set _ZN7rocprim17ROCPRIM_400000_NS6detail17trampoline_kernelINS0_14default_configENS1_22reduce_config_selectorIN6thrust23THRUST_200600_302600_NS5tupleIblNS6_9null_typeES8_S8_S8_S8_S8_S8_S8_EEEEZNS1_11reduce_implILb1ES3_NS6_12zip_iteratorINS7_INS6_11hip_rocprim26transform_input_iterator_tIbPiNS6_6detail10functional5actorINSH_9compositeIJNSH_27transparent_binary_operatorINS6_8equal_toIvEEEENSI_INSH_8argumentILj0EEEEENSH_5valueIiEEEEEEEEENSD_19counting_iterator_tIlEES8_S8_S8_S8_S8_S8_S8_S8_EEEEPS9_S9_NSD_9__find_if7functorIS9_EEEE10hipError_tPvRmT1_T2_T3_mT4_P12ihipStream_tbEUlT_E0_NS1_11comp_targetILNS1_3genE3ELNS1_11target_archE908ELNS1_3gpuE7ELNS1_3repE0EEENS1_30default_config_static_selectorELNS0_4arch9wavefront6targetE1EEEvS17_.has_recursion, 0
	.set _ZN7rocprim17ROCPRIM_400000_NS6detail17trampoline_kernelINS0_14default_configENS1_22reduce_config_selectorIN6thrust23THRUST_200600_302600_NS5tupleIblNS6_9null_typeES8_S8_S8_S8_S8_S8_S8_EEEEZNS1_11reduce_implILb1ES3_NS6_12zip_iteratorINS7_INS6_11hip_rocprim26transform_input_iterator_tIbPiNS6_6detail10functional5actorINSH_9compositeIJNSH_27transparent_binary_operatorINS6_8equal_toIvEEEENSI_INSH_8argumentILj0EEEEENSH_5valueIiEEEEEEEEENSD_19counting_iterator_tIlEES8_S8_S8_S8_S8_S8_S8_S8_EEEEPS9_S9_NSD_9__find_if7functorIS9_EEEE10hipError_tPvRmT1_T2_T3_mT4_P12ihipStream_tbEUlT_E0_NS1_11comp_targetILNS1_3genE3ELNS1_11target_archE908ELNS1_3gpuE7ELNS1_3repE0EEENS1_30default_config_static_selectorELNS0_4arch9wavefront6targetE1EEEvS17_.has_indirect_call, 0
	.section	.AMDGPU.csdata,"",@progbits
; Kernel info:
; codeLenInByte = 0
; TotalNumSgprs: 4
; NumVgprs: 0
; ScratchSize: 0
; MemoryBound: 0
; FloatMode: 240
; IeeeMode: 1
; LDSByteSize: 0 bytes/workgroup (compile time only)
; SGPRBlocks: 0
; VGPRBlocks: 0
; NumSGPRsForWavesPerEU: 4
; NumVGPRsForWavesPerEU: 1
; Occupancy: 10
; WaveLimiterHint : 0
; COMPUTE_PGM_RSRC2:SCRATCH_EN: 0
; COMPUTE_PGM_RSRC2:USER_SGPR: 6
; COMPUTE_PGM_RSRC2:TRAP_HANDLER: 0
; COMPUTE_PGM_RSRC2:TGID_X_EN: 1
; COMPUTE_PGM_RSRC2:TGID_Y_EN: 0
; COMPUTE_PGM_RSRC2:TGID_Z_EN: 0
; COMPUTE_PGM_RSRC2:TIDIG_COMP_CNT: 0
	.section	.text._ZN7rocprim17ROCPRIM_400000_NS6detail17trampoline_kernelINS0_14default_configENS1_22reduce_config_selectorIN6thrust23THRUST_200600_302600_NS5tupleIblNS6_9null_typeES8_S8_S8_S8_S8_S8_S8_EEEEZNS1_11reduce_implILb1ES3_NS6_12zip_iteratorINS7_INS6_11hip_rocprim26transform_input_iterator_tIbPiNS6_6detail10functional5actorINSH_9compositeIJNSH_27transparent_binary_operatorINS6_8equal_toIvEEEENSI_INSH_8argumentILj0EEEEENSH_5valueIiEEEEEEEEENSD_19counting_iterator_tIlEES8_S8_S8_S8_S8_S8_S8_S8_EEEEPS9_S9_NSD_9__find_if7functorIS9_EEEE10hipError_tPvRmT1_T2_T3_mT4_P12ihipStream_tbEUlT_E0_NS1_11comp_targetILNS1_3genE2ELNS1_11target_archE906ELNS1_3gpuE6ELNS1_3repE0EEENS1_30default_config_static_selectorELNS0_4arch9wavefront6targetE1EEEvS17_,"axG",@progbits,_ZN7rocprim17ROCPRIM_400000_NS6detail17trampoline_kernelINS0_14default_configENS1_22reduce_config_selectorIN6thrust23THRUST_200600_302600_NS5tupleIblNS6_9null_typeES8_S8_S8_S8_S8_S8_S8_EEEEZNS1_11reduce_implILb1ES3_NS6_12zip_iteratorINS7_INS6_11hip_rocprim26transform_input_iterator_tIbPiNS6_6detail10functional5actorINSH_9compositeIJNSH_27transparent_binary_operatorINS6_8equal_toIvEEEENSI_INSH_8argumentILj0EEEEENSH_5valueIiEEEEEEEEENSD_19counting_iterator_tIlEES8_S8_S8_S8_S8_S8_S8_S8_EEEEPS9_S9_NSD_9__find_if7functorIS9_EEEE10hipError_tPvRmT1_T2_T3_mT4_P12ihipStream_tbEUlT_E0_NS1_11comp_targetILNS1_3genE2ELNS1_11target_archE906ELNS1_3gpuE6ELNS1_3repE0EEENS1_30default_config_static_selectorELNS0_4arch9wavefront6targetE1EEEvS17_,comdat
	.protected	_ZN7rocprim17ROCPRIM_400000_NS6detail17trampoline_kernelINS0_14default_configENS1_22reduce_config_selectorIN6thrust23THRUST_200600_302600_NS5tupleIblNS6_9null_typeES8_S8_S8_S8_S8_S8_S8_EEEEZNS1_11reduce_implILb1ES3_NS6_12zip_iteratorINS7_INS6_11hip_rocprim26transform_input_iterator_tIbPiNS6_6detail10functional5actorINSH_9compositeIJNSH_27transparent_binary_operatorINS6_8equal_toIvEEEENSI_INSH_8argumentILj0EEEEENSH_5valueIiEEEEEEEEENSD_19counting_iterator_tIlEES8_S8_S8_S8_S8_S8_S8_S8_EEEEPS9_S9_NSD_9__find_if7functorIS9_EEEE10hipError_tPvRmT1_T2_T3_mT4_P12ihipStream_tbEUlT_E0_NS1_11comp_targetILNS1_3genE2ELNS1_11target_archE906ELNS1_3gpuE6ELNS1_3repE0EEENS1_30default_config_static_selectorELNS0_4arch9wavefront6targetE1EEEvS17_ ; -- Begin function _ZN7rocprim17ROCPRIM_400000_NS6detail17trampoline_kernelINS0_14default_configENS1_22reduce_config_selectorIN6thrust23THRUST_200600_302600_NS5tupleIblNS6_9null_typeES8_S8_S8_S8_S8_S8_S8_EEEEZNS1_11reduce_implILb1ES3_NS6_12zip_iteratorINS7_INS6_11hip_rocprim26transform_input_iterator_tIbPiNS6_6detail10functional5actorINSH_9compositeIJNSH_27transparent_binary_operatorINS6_8equal_toIvEEEENSI_INSH_8argumentILj0EEEEENSH_5valueIiEEEEEEEEENSD_19counting_iterator_tIlEES8_S8_S8_S8_S8_S8_S8_S8_EEEEPS9_S9_NSD_9__find_if7functorIS9_EEEE10hipError_tPvRmT1_T2_T3_mT4_P12ihipStream_tbEUlT_E0_NS1_11comp_targetILNS1_3genE2ELNS1_11target_archE906ELNS1_3gpuE6ELNS1_3repE0EEENS1_30default_config_static_selectorELNS0_4arch9wavefront6targetE1EEEvS17_
	.globl	_ZN7rocprim17ROCPRIM_400000_NS6detail17trampoline_kernelINS0_14default_configENS1_22reduce_config_selectorIN6thrust23THRUST_200600_302600_NS5tupleIblNS6_9null_typeES8_S8_S8_S8_S8_S8_S8_EEEEZNS1_11reduce_implILb1ES3_NS6_12zip_iteratorINS7_INS6_11hip_rocprim26transform_input_iterator_tIbPiNS6_6detail10functional5actorINSH_9compositeIJNSH_27transparent_binary_operatorINS6_8equal_toIvEEEENSI_INSH_8argumentILj0EEEEENSH_5valueIiEEEEEEEEENSD_19counting_iterator_tIlEES8_S8_S8_S8_S8_S8_S8_S8_EEEEPS9_S9_NSD_9__find_if7functorIS9_EEEE10hipError_tPvRmT1_T2_T3_mT4_P12ihipStream_tbEUlT_E0_NS1_11comp_targetILNS1_3genE2ELNS1_11target_archE906ELNS1_3gpuE6ELNS1_3repE0EEENS1_30default_config_static_selectorELNS0_4arch9wavefront6targetE1EEEvS17_
	.p2align	8
	.type	_ZN7rocprim17ROCPRIM_400000_NS6detail17trampoline_kernelINS0_14default_configENS1_22reduce_config_selectorIN6thrust23THRUST_200600_302600_NS5tupleIblNS6_9null_typeES8_S8_S8_S8_S8_S8_S8_EEEEZNS1_11reduce_implILb1ES3_NS6_12zip_iteratorINS7_INS6_11hip_rocprim26transform_input_iterator_tIbPiNS6_6detail10functional5actorINSH_9compositeIJNSH_27transparent_binary_operatorINS6_8equal_toIvEEEENSI_INSH_8argumentILj0EEEEENSH_5valueIiEEEEEEEEENSD_19counting_iterator_tIlEES8_S8_S8_S8_S8_S8_S8_S8_EEEEPS9_S9_NSD_9__find_if7functorIS9_EEEE10hipError_tPvRmT1_T2_T3_mT4_P12ihipStream_tbEUlT_E0_NS1_11comp_targetILNS1_3genE2ELNS1_11target_archE906ELNS1_3gpuE6ELNS1_3repE0EEENS1_30default_config_static_selectorELNS0_4arch9wavefront6targetE1EEEvS17_,@function
_ZN7rocprim17ROCPRIM_400000_NS6detail17trampoline_kernelINS0_14default_configENS1_22reduce_config_selectorIN6thrust23THRUST_200600_302600_NS5tupleIblNS6_9null_typeES8_S8_S8_S8_S8_S8_S8_EEEEZNS1_11reduce_implILb1ES3_NS6_12zip_iteratorINS7_INS6_11hip_rocprim26transform_input_iterator_tIbPiNS6_6detail10functional5actorINSH_9compositeIJNSH_27transparent_binary_operatorINS6_8equal_toIvEEEENSI_INSH_8argumentILj0EEEEENSH_5valueIiEEEEEEEEENSD_19counting_iterator_tIlEES8_S8_S8_S8_S8_S8_S8_S8_EEEEPS9_S9_NSD_9__find_if7functorIS9_EEEE10hipError_tPvRmT1_T2_T3_mT4_P12ihipStream_tbEUlT_E0_NS1_11comp_targetILNS1_3genE2ELNS1_11target_archE906ELNS1_3gpuE6ELNS1_3repE0EEENS1_30default_config_static_selectorELNS0_4arch9wavefront6targetE1EEEvS17_: ; @_ZN7rocprim17ROCPRIM_400000_NS6detail17trampoline_kernelINS0_14default_configENS1_22reduce_config_selectorIN6thrust23THRUST_200600_302600_NS5tupleIblNS6_9null_typeES8_S8_S8_S8_S8_S8_S8_EEEEZNS1_11reduce_implILb1ES3_NS6_12zip_iteratorINS7_INS6_11hip_rocprim26transform_input_iterator_tIbPiNS6_6detail10functional5actorINSH_9compositeIJNSH_27transparent_binary_operatorINS6_8equal_toIvEEEENSI_INSH_8argumentILj0EEEEENSH_5valueIiEEEEEEEEENSD_19counting_iterator_tIlEES8_S8_S8_S8_S8_S8_S8_S8_EEEEPS9_S9_NSD_9__find_if7functorIS9_EEEE10hipError_tPvRmT1_T2_T3_mT4_P12ihipStream_tbEUlT_E0_NS1_11comp_targetILNS1_3genE2ELNS1_11target_archE906ELNS1_3gpuE6ELNS1_3repE0EEENS1_30default_config_static_selectorELNS0_4arch9wavefront6targetE1EEEvS17_
; %bb.0:
	s_load_dwordx8 s[12:19], s[4:5], 0x10
	s_load_dwordx2 s[0:1], s[4:5], 0x0
	s_load_dword s28, s[4:5], 0xc
	s_load_dwordx4 s[20:23], s[4:5], 0x30
	s_mov_b32 s27, 0
	s_waitcnt lgkmcnt(0)
	s_lshl_b64 s[2:3], s[14:15], 2
	s_add_u32 s8, s0, s2
	s_addc_u32 s9, s1, s3
	s_lshl_b32 s26, s6, 8
	s_lshr_b64 s[0:1], s[16:17], 8
	s_lshl_b64 s[2:3], s[26:27], 2
	s_add_u32 s24, s8, s2
	s_addc_u32 s25, s9, s3
	s_add_u32 s2, s12, s26
	s_addc_u32 s3, s13, 0
	s_add_u32 s14, s2, s14
	s_mov_b32 s7, s27
	s_addc_u32 s15, s3, s15
	s_cmp_lg_u64 s[0:1], s[6:7]
	v_lshlrev_b32_e32 v9, 2, v0
	v_mbcnt_lo_u32_b32 v8, -1, 0
	s_cbranch_scc0 .LBB978_10
; %bb.1:
	global_load_dword v1, v9, s[24:25] offset:512
	global_load_dword v2, v9, s[24:25]
	v_mov_b32_e32 v4, s15
	v_add_co_u32_e32 v6, vcc, s14, v0
	v_addc_co_u32_e32 v4, vcc, 0, v4, vcc
	v_add_co_u32_e32 v7, vcc, 0x80, v6
	v_addc_co_u32_e32 v10, vcc, 0, v4, vcc
	v_mbcnt_hi_u32_b32 v3, -1, v8
	v_lshlrev_b32_e32 v5, 2, v3
	v_or_b32_e32 v12, 0xfc, v5
	s_waitcnt vmcnt(1)
	v_cmp_eq_u32_e32 vcc, s28, v1
	s_waitcnt vmcnt(0)
	v_cmp_eq_u32_e64 s[0:1], s28, v2
	v_cndmask_b32_e64 v2, v10, v4, s[0:1]
	v_cndmask_b32_e64 v1, v7, v6, s[0:1]
	s_or_b64 s[0:1], s[0:1], vcc
	v_mov_b32_dpp v7, v2 quad_perm:[1,0,3,2] row_mask:0xf bank_mask:0xf bound_ctrl:1
	v_mov_b32_dpp v6, v1 quad_perm:[1,0,3,2] row_mask:0xf bank_mask:0xf bound_ctrl:1
	v_cndmask_b32_e64 v4, 0, 1, s[0:1]
	v_cmp_lt_i64_e32 vcc, v[1:2], v[6:7]
	s_and_b64 vcc, s[0:1], vcc
	v_mov_b32_dpp v10, v4 quad_perm:[1,0,3,2] row_mask:0xf bank_mask:0xf bound_ctrl:1
	v_and_b32_e32 v10, 1, v10
	v_cndmask_b32_e32 v6, v6, v1, vcc
	v_cndmask_b32_e32 v7, v7, v2, vcc
	v_cmp_eq_u32_e32 vcc, 1, v10
	v_cndmask_b32_e32 v2, v2, v7, vcc
	v_cndmask_b32_e32 v1, v1, v6, vcc
	v_cndmask_b32_e64 v4, v4, 1, vcc
	v_mov_b32_dpp v7, v2 quad_perm:[2,3,0,1] row_mask:0xf bank_mask:0xf bound_ctrl:1
	v_mov_b32_dpp v6, v1 quad_perm:[2,3,0,1] row_mask:0xf bank_mask:0xf bound_ctrl:1
	v_and_b32_e32 v11, 1, v4
	v_cmp_lt_i64_e64 s[0:1], v[1:2], v[6:7]
	v_mov_b32_dpp v10, v4 quad_perm:[2,3,0,1] row_mask:0xf bank_mask:0xf bound_ctrl:1
	v_cmp_eq_u32_e32 vcc, 1, v11
	v_and_b32_e32 v10, 1, v10
	s_and_b64 vcc, vcc, s[0:1]
	v_cmp_eq_u32_e64 s[2:3], 1, v10
	v_cndmask_b32_e32 v6, v6, v1, vcc
	v_cndmask_b32_e32 v7, v7, v2, vcc
	v_cndmask_b32_e64 v1, v1, v6, s[2:3]
	v_cndmask_b32_e64 v2, v2, v7, s[2:3]
	;; [unrolled: 1-line block ×3, first 2 shown]
	v_mov_b32_dpp v6, v1 row_ror:4 row_mask:0xf bank_mask:0xf bound_ctrl:1
	v_mov_b32_dpp v7, v2 row_ror:4 row_mask:0xf bank_mask:0xf bound_ctrl:1
	v_and_b32_e32 v11, 1, v4
	v_cmp_lt_i64_e64 s[2:3], v[1:2], v[6:7]
	v_mov_b32_dpp v10, v4 row_ror:4 row_mask:0xf bank_mask:0xf bound_ctrl:1
	v_cmp_eq_u32_e32 vcc, 1, v11
	v_and_b32_e32 v10, 1, v10
	s_and_b64 vcc, vcc, s[2:3]
	v_cmp_eq_u32_e64 s[0:1], 1, v10
	v_cndmask_b32_e32 v6, v6, v1, vcc
	v_cndmask_b32_e32 v7, v7, v2, vcc
	v_cndmask_b32_e64 v1, v1, v6, s[0:1]
	v_cndmask_b32_e64 v2, v2, v7, s[0:1]
	;; [unrolled: 1-line block ×3, first 2 shown]
	v_mov_b32_dpp v6, v1 row_ror:8 row_mask:0xf bank_mask:0xf bound_ctrl:1
	v_mov_b32_dpp v7, v2 row_ror:8 row_mask:0xf bank_mask:0xf bound_ctrl:1
	v_and_b32_e32 v11, 1, v4
	v_cmp_lt_i64_e64 s[2:3], v[1:2], v[6:7]
	v_mov_b32_dpp v10, v4 row_ror:8 row_mask:0xf bank_mask:0xf bound_ctrl:1
	v_cmp_eq_u32_e64 s[8:9], 1, v11
	v_and_b32_e32 v10, 1, v10
	s_and_b64 s[2:3], s[8:9], s[2:3]
	v_cmp_eq_u32_e64 s[10:11], 1, v10
	v_cndmask_b32_e64 v6, v6, v1, s[2:3]
	v_cndmask_b32_e64 v7, v7, v2, s[2:3]
	;; [unrolled: 1-line block ×5, first 2 shown]
	v_mov_b32_dpp v10, v4 row_bcast:15 row_mask:0xf bank_mask:0xf bound_ctrl:1
	v_mov_b32_dpp v6, v1 row_bcast:15 row_mask:0xf bank_mask:0xf bound_ctrl:1
	;; [unrolled: 1-line block ×3, first 2 shown]
	v_and_b32_e32 v11, 1, v4
	v_and_b32_e32 v10, 1, v10
	v_cmp_lt_i64_e64 s[2:3], v[1:2], v[6:7]
	v_cmp_eq_u32_e32 vcc, 1, v11
	v_cmp_eq_u32_e64 s[0:1], 1, v10
	v_cndmask_b32_e64 v4, v4, 1, s[0:1]
	s_and_b64 vcc, vcc, s[2:3]
	v_cndmask_b32_e32 v6, v6, v1, vcc
	v_mov_b32_dpp v10, v4 row_bcast:31 row_mask:0xf bank_mask:0xf bound_ctrl:1
	v_cndmask_b32_e32 v7, v7, v2, vcc
	v_and_b32_e32 v11, 1, v4
	v_and_b32_e32 v10, 1, v10
	v_cndmask_b32_e64 v1, v1, v6, s[0:1]
	v_cndmask_b32_e64 v2, v2, v7, s[0:1]
	v_cmp_eq_u32_e64 s[12:13], 1, v11
	v_cmp_eq_u32_e64 s[8:9], 1, v10
	v_mov_b32_dpp v10, v1 row_bcast:31 row_mask:0xf bank_mask:0xf bound_ctrl:1
	v_mov_b32_dpp v11, v2 row_bcast:31 row_mask:0xf bank_mask:0xf bound_ctrl:1
	v_cmp_lt_i64_e32 vcc, v[1:2], v[10:11]
	v_cndmask_b32_e64 v4, v4, 1, s[8:9]
	s_and_b64 vcc, s[12:13], vcc
	ds_bpermute_b32 v7, v12, v4
	v_cndmask_b32_e32 v4, v10, v1, vcc
	v_cndmask_b32_e32 v6, v11, v2, vcc
	v_cndmask_b32_e64 v1, v1, v4, s[8:9]
	v_cndmask_b32_e64 v2, v2, v6, s[8:9]
	ds_bpermute_b32 v1, v12, v1
	ds_bpermute_b32 v2, v12, v2
	v_cmp_eq_u32_e32 vcc, 0, v3
	s_and_saveexec_b64 s[0:1], vcc
	s_cbranch_execz .LBB978_3
; %bb.2:
	v_lshrrev_b32_e32 v4, 2, v0
	v_and_b32_e32 v4, 16, v4
	s_waitcnt lgkmcnt(2)
	ds_write_b8 v4, v7
	s_waitcnt lgkmcnt(1)
	ds_write_b64 v4, v[1:2] offset:8
.LBB978_3:
	s_or_b64 exec, exec, s[0:1]
	v_cmp_gt_u32_e32 vcc, 64, v0
	s_waitcnt lgkmcnt(0)
	s_barrier
	s_and_saveexec_b64 s[0:1], vcc
	s_cbranch_execz .LBB978_9
; %bb.4:
	v_and_b32_e32 v1, 1, v3
	v_lshlrev_b32_e32 v1, 4, v1
	ds_read_u8 v10, v1
	ds_read_b64 v[3:4], v1 offset:8
	v_or_b32_e32 v2, 4, v5
	s_waitcnt lgkmcnt(1)
	v_and_b32_e32 v1, 0xff, v10
	ds_bpermute_b32 v11, v2, v1
	s_waitcnt lgkmcnt(1)
	ds_bpermute_b32 v5, v2, v3
	ds_bpermute_b32 v6, v2, v4
	s_waitcnt lgkmcnt(2)
	v_and_b32_e32 v1, v10, v11
	v_and_b32_e32 v1, 1, v1
	v_cmp_eq_u32_e32 vcc, 1, v1
                                        ; implicit-def: $vgpr1_vgpr2
	s_and_saveexec_b64 s[2:3], vcc
	s_xor_b64 s[2:3], exec, s[2:3]
	s_cbranch_execz .LBB978_6
; %bb.5:
	s_waitcnt lgkmcnt(0)
	v_cmp_lt_i64_e32 vcc, v[5:6], v[3:4]
                                        ; implicit-def: $vgpr10
                                        ; implicit-def: $vgpr11
	v_cndmask_b32_e32 v2, v4, v6, vcc
	v_cndmask_b32_e32 v1, v3, v5, vcc
                                        ; implicit-def: $vgpr5_vgpr6
                                        ; implicit-def: $vgpr3_vgpr4
.LBB978_6:
	s_or_saveexec_b64 s[2:3], s[2:3]
	v_mov_b32_e32 v7, 1
	s_xor_b64 exec, exec, s[2:3]
	s_cbranch_execz .LBB978_8
; %bb.7:
	v_and_b32_e32 v1, 1, v10
	v_cmp_eq_u32_e32 vcc, 1, v1
	s_waitcnt lgkmcnt(0)
	v_cndmask_b32_e32 v2, v6, v4, vcc
	v_cndmask_b32_e32 v1, v5, v3, vcc
	v_cndmask_b32_e64 v7, v11, 1, vcc
.LBB978_8:
	s_or_b64 exec, exec, s[2:3]
.LBB978_9:
	s_or_b64 exec, exec, s[0:1]
	s_load_dword s10, s[4:5], 0x40
	s_load_dwordx2 s[8:9], s[4:5], 0x48
	s_branch .LBB978_62
.LBB978_10:
                                        ; implicit-def: $vgpr1_vgpr2
                                        ; implicit-def: $vgpr7
	s_load_dword s10, s[4:5], 0x40
	s_load_dwordx2 s[8:9], s[4:5], 0x48
	s_cbranch_execz .LBB978_62
; %bb.11:
	s_sub_i32 s11, s16, s26
	v_mov_b32_e32 v3, 0
	v_mov_b32_e32 v1, 0
	v_cmp_gt_u32_e32 vcc, s11, v0
	s_waitcnt lgkmcnt(0)
	v_mov_b32_e32 v5, 0
	v_mov_b32_e32 v4, 0
	;; [unrolled: 1-line block ×4, first 2 shown]
	s_and_saveexec_b64 s[0:1], vcc
	s_cbranch_execz .LBB978_13
; %bb.12:
	global_load_dword v6, v9, s[24:25]
	v_mov_b32_e32 v2, s15
	v_add_co_u32_e32 v1, vcc, s14, v0
	v_addc_co_u32_e32 v2, vcc, 0, v2, vcc
	s_waitcnt vmcnt(0)
	v_cmp_eq_u32_e32 vcc, s28, v6
	v_cndmask_b32_e64 v6, 0, 1, vcc
.LBB978_13:
	s_or_b64 exec, exec, s[0:1]
	v_or_b32_e32 v7, 0x80, v0
	v_cmp_gt_u32_e32 vcc, s11, v7
	s_and_saveexec_b64 s[2:3], vcc
	s_cbranch_execz .LBB978_15
; %bb.14:
	global_load_dword v5, v9, s[24:25] offset:512
	v_mov_b32_e32 v4, s15
	v_add_co_u32_e64 v3, s[0:1], s14, v7
	v_addc_co_u32_e64 v4, s[0:1], 0, v4, s[0:1]
	s_waitcnt vmcnt(0)
	v_cmp_eq_u32_e64 s[0:1], s28, v5
	v_cndmask_b32_e64 v5, 0, 1, s[0:1]
.LBB978_15:
	s_or_b64 exec, exec, s[2:3]
	v_and_b32_e32 v9, 0xffff, v5
	v_and_b32_e32 v5, 1, v5
	v_cmp_eq_u32_e64 s[0:1], 1, v5
	v_and_b32_e32 v5, 1, v6
	v_cmp_lt_i64_e64 s[2:3], v[3:4], v[1:2]
	v_cmp_eq_u32_e64 s[4:5], 1, v5
	v_and_b32_e32 v7, 0xffff, v6
	v_cndmask_b32_e64 v5, v9, 1, s[4:5]
	s_and_b64 s[0:1], s[0:1], s[2:3]
	v_cndmask_b32_e64 v6, v2, v4, s[0:1]
	v_cndmask_b32_e64 v9, v1, v3, s[0:1]
	v_cndmask_b32_e32 v7, v7, v5, vcc
	v_mbcnt_hi_u32_b32 v5, -1, v8
	v_cndmask_b32_e64 v3, v3, v9, s[4:5]
	v_cndmask_b32_e64 v4, v4, v6, s[4:5]
	v_and_b32_e32 v6, 63, v5
	v_cndmask_b32_e32 v2, v2, v4, vcc
	v_cndmask_b32_e32 v1, v1, v3, vcc
	v_cmp_ne_u32_e32 vcc, 63, v6
	v_addc_co_u32_e32 v3, vcc, 0, v5, vcc
	v_lshlrev_b32_e32 v4, 2, v3
	ds_bpermute_b32 v9, v4, v7
	ds_bpermute_b32 v3, v4, v1
	;; [unrolled: 1-line block ×3, first 2 shown]
	s_min_u32 s4, s11, 0x80
	v_and_b32_e32 v8, 64, v0
	v_sub_u32_e64 v8, s4, v8 clamp
	v_add_u32_e32 v10, 1, v6
	v_cmp_lt_u32_e32 vcc, v10, v8
	s_and_saveexec_b64 s[0:1], vcc
	s_cbranch_execz .LBB978_21
; %bb.16:
	s_waitcnt lgkmcnt(2)
	v_and_b32_e32 v10, v9, v7
	v_cmp_ne_u32_e32 vcc, 0, v10
	s_and_saveexec_b64 s[2:3], vcc
	s_xor_b64 s[2:3], exec, s[2:3]
	s_cbranch_execz .LBB978_18
; %bb.17:
	s_waitcnt lgkmcnt(0)
	v_cmp_lt_i64_e32 vcc, v[3:4], v[1:2]
                                        ; implicit-def: $vgpr7
                                        ; implicit-def: $vgpr9
	v_cndmask_b32_e32 v2, v2, v4, vcc
	v_cndmask_b32_e32 v1, v1, v3, vcc
                                        ; implicit-def: $vgpr3_vgpr4
.LBB978_18:
	s_or_saveexec_b64 s[2:3], s[2:3]
	v_mov_b32_e32 v10, 1
	s_xor_b64 exec, exec, s[2:3]
	s_cbranch_execz .LBB978_20
; %bb.19:
	v_and_b32_e32 v7, 1, v7
	v_cmp_eq_u32_e32 vcc, 1, v7
	s_waitcnt lgkmcnt(1)
	v_cndmask_b32_e32 v1, v3, v1, vcc
	v_and_b32_e32 v3, 0xff, v9
	s_waitcnt lgkmcnt(0)
	v_cndmask_b32_e32 v2, v4, v2, vcc
	v_cndmask_b32_e64 v10, v3, 1, vcc
.LBB978_20:
	s_or_b64 exec, exec, s[2:3]
	v_mov_b32_e32 v7, v10
.LBB978_21:
	s_or_b64 exec, exec, s[0:1]
	v_cmp_gt_u32_e32 vcc, 62, v6
	s_waitcnt lgkmcnt(1)
	v_cndmask_b32_e64 v3, 0, 2, vcc
	s_waitcnt lgkmcnt(0)
	v_add_lshl_u32 v4, v3, v5, 2
	ds_bpermute_b32 v9, v4, v7
	ds_bpermute_b32 v3, v4, v1
	ds_bpermute_b32 v4, v4, v2
	v_add_u32_e32 v10, 2, v6
	v_cmp_lt_u32_e32 vcc, v10, v8
	s_and_saveexec_b64 s[0:1], vcc
	s_cbranch_execz .LBB978_27
; %bb.22:
	s_waitcnt lgkmcnt(2)
	v_and_b32_e32 v10, v7, v9
	v_and_b32_e32 v10, 1, v10
	v_cmp_eq_u32_e32 vcc, 1, v10
	s_and_saveexec_b64 s[2:3], vcc
	s_xor_b64 s[2:3], exec, s[2:3]
	s_cbranch_execz .LBB978_24
; %bb.23:
	s_waitcnt lgkmcnt(0)
	v_cmp_lt_i64_e32 vcc, v[3:4], v[1:2]
                                        ; implicit-def: $vgpr7
                                        ; implicit-def: $vgpr9
	v_cndmask_b32_e32 v2, v2, v4, vcc
	v_cndmask_b32_e32 v1, v1, v3, vcc
                                        ; implicit-def: $vgpr3_vgpr4
.LBB978_24:
	s_or_saveexec_b64 s[2:3], s[2:3]
	v_mov_b32_e32 v10, 1
	s_xor_b64 exec, exec, s[2:3]
	s_cbranch_execz .LBB978_26
; %bb.25:
	v_and_b32_e32 v7, 1, v7
	v_cmp_eq_u32_e32 vcc, 1, v7
	s_waitcnt lgkmcnt(1)
	v_cndmask_b32_e32 v1, v3, v1, vcc
	v_and_b32_e32 v3, 0xff, v9
	s_waitcnt lgkmcnt(0)
	v_cndmask_b32_e32 v2, v4, v2, vcc
	v_cndmask_b32_e64 v10, v3, 1, vcc
.LBB978_26:
	s_or_b64 exec, exec, s[2:3]
	v_mov_b32_e32 v7, v10
.LBB978_27:
	s_or_b64 exec, exec, s[0:1]
	v_cmp_gt_u32_e32 vcc, 60, v6
	s_waitcnt lgkmcnt(1)
	v_cndmask_b32_e64 v3, 0, 4, vcc
	s_waitcnt lgkmcnt(0)
	v_add_lshl_u32 v4, v3, v5, 2
	ds_bpermute_b32 v9, v4, v7
	ds_bpermute_b32 v3, v4, v1
	ds_bpermute_b32 v4, v4, v2
	v_add_u32_e32 v10, 4, v6
	v_cmp_lt_u32_e32 vcc, v10, v8
	s_and_saveexec_b64 s[0:1], vcc
	s_cbranch_execz .LBB978_33
; %bb.28:
	s_waitcnt lgkmcnt(2)
	v_and_b32_e32 v10, v7, v9
	v_and_b32_e32 v10, 1, v10
	v_cmp_eq_u32_e32 vcc, 1, v10
	s_and_saveexec_b64 s[2:3], vcc
	s_xor_b64 s[2:3], exec, s[2:3]
	s_cbranch_execz .LBB978_30
; %bb.29:
	s_waitcnt lgkmcnt(0)
	v_cmp_lt_i64_e32 vcc, v[3:4], v[1:2]
                                        ; implicit-def: $vgpr7
                                        ; implicit-def: $vgpr9
	v_cndmask_b32_e32 v2, v2, v4, vcc
	v_cndmask_b32_e32 v1, v1, v3, vcc
                                        ; implicit-def: $vgpr3_vgpr4
.LBB978_30:
	s_or_saveexec_b64 s[2:3], s[2:3]
	v_mov_b32_e32 v10, 1
	s_xor_b64 exec, exec, s[2:3]
	s_cbranch_execz .LBB978_32
; %bb.31:
	v_and_b32_e32 v7, 1, v7
	v_cmp_eq_u32_e32 vcc, 1, v7
	s_waitcnt lgkmcnt(1)
	v_cndmask_b32_e32 v1, v3, v1, vcc
	v_and_b32_e32 v3, 0xff, v9
	s_waitcnt lgkmcnt(0)
	v_cndmask_b32_e32 v2, v4, v2, vcc
	v_cndmask_b32_e64 v10, v3, 1, vcc
.LBB978_32:
	s_or_b64 exec, exec, s[2:3]
	v_mov_b32_e32 v7, v10
.LBB978_33:
	s_or_b64 exec, exec, s[0:1]
	v_cmp_gt_u32_e32 vcc, 56, v6
	s_waitcnt lgkmcnt(1)
	v_cndmask_b32_e64 v3, 0, 8, vcc
	s_waitcnt lgkmcnt(0)
	v_add_lshl_u32 v4, v3, v5, 2
	ds_bpermute_b32 v9, v4, v7
	ds_bpermute_b32 v3, v4, v1
	ds_bpermute_b32 v4, v4, v2
	v_add_u32_e32 v10, 8, v6
	v_cmp_lt_u32_e32 vcc, v10, v8
	s_and_saveexec_b64 s[0:1], vcc
	s_cbranch_execz .LBB978_39
; %bb.34:
	s_waitcnt lgkmcnt(2)
	v_and_b32_e32 v10, v7, v9
	v_and_b32_e32 v10, 1, v10
	v_cmp_eq_u32_e32 vcc, 1, v10
	s_and_saveexec_b64 s[2:3], vcc
	s_xor_b64 s[2:3], exec, s[2:3]
	s_cbranch_execz .LBB978_36
; %bb.35:
	s_waitcnt lgkmcnt(0)
	v_cmp_lt_i64_e32 vcc, v[3:4], v[1:2]
                                        ; implicit-def: $vgpr7
                                        ; implicit-def: $vgpr9
	v_cndmask_b32_e32 v2, v2, v4, vcc
	v_cndmask_b32_e32 v1, v1, v3, vcc
                                        ; implicit-def: $vgpr3_vgpr4
.LBB978_36:
	s_or_saveexec_b64 s[2:3], s[2:3]
	v_mov_b32_e32 v10, 1
	s_xor_b64 exec, exec, s[2:3]
	s_cbranch_execz .LBB978_38
; %bb.37:
	v_and_b32_e32 v7, 1, v7
	v_cmp_eq_u32_e32 vcc, 1, v7
	s_waitcnt lgkmcnt(1)
	v_cndmask_b32_e32 v1, v3, v1, vcc
	v_and_b32_e32 v3, 0xff, v9
	s_waitcnt lgkmcnt(0)
	v_cndmask_b32_e32 v2, v4, v2, vcc
	v_cndmask_b32_e64 v10, v3, 1, vcc
.LBB978_38:
	s_or_b64 exec, exec, s[2:3]
	v_mov_b32_e32 v7, v10
.LBB978_39:
	s_or_b64 exec, exec, s[0:1]
	v_cmp_gt_u32_e32 vcc, 48, v6
	s_waitcnt lgkmcnt(1)
	v_cndmask_b32_e64 v3, 0, 16, vcc
	s_waitcnt lgkmcnt(0)
	v_add_lshl_u32 v4, v3, v5, 2
	ds_bpermute_b32 v9, v4, v7
	ds_bpermute_b32 v3, v4, v1
	ds_bpermute_b32 v4, v4, v2
	v_add_u32_e32 v10, 16, v6
	v_cmp_lt_u32_e32 vcc, v10, v8
	s_and_saveexec_b64 s[0:1], vcc
	s_cbranch_execz .LBB978_45
; %bb.40:
	s_waitcnt lgkmcnt(2)
	v_and_b32_e32 v10, v7, v9
	v_and_b32_e32 v10, 1, v10
	v_cmp_eq_u32_e32 vcc, 1, v10
	s_and_saveexec_b64 s[2:3], vcc
	s_xor_b64 s[2:3], exec, s[2:3]
	s_cbranch_execz .LBB978_42
; %bb.41:
	s_waitcnt lgkmcnt(0)
	v_cmp_lt_i64_e32 vcc, v[3:4], v[1:2]
                                        ; implicit-def: $vgpr7
                                        ; implicit-def: $vgpr9
	v_cndmask_b32_e32 v2, v2, v4, vcc
	v_cndmask_b32_e32 v1, v1, v3, vcc
                                        ; implicit-def: $vgpr3_vgpr4
.LBB978_42:
	s_or_saveexec_b64 s[2:3], s[2:3]
	v_mov_b32_e32 v10, 1
	s_xor_b64 exec, exec, s[2:3]
	s_cbranch_execz .LBB978_44
; %bb.43:
	v_and_b32_e32 v7, 1, v7
	v_cmp_eq_u32_e32 vcc, 1, v7
	s_waitcnt lgkmcnt(1)
	v_cndmask_b32_e32 v1, v3, v1, vcc
	v_and_b32_e32 v3, 0xff, v9
	s_waitcnt lgkmcnt(0)
	v_cndmask_b32_e32 v2, v4, v2, vcc
	v_cndmask_b32_e64 v10, v3, 1, vcc
.LBB978_44:
	s_or_b64 exec, exec, s[2:3]
	v_mov_b32_e32 v7, v10
.LBB978_45:
	s_or_b64 exec, exec, s[0:1]
	s_waitcnt lgkmcnt(2)
	v_lshlrev_b32_e32 v9, 2, v5
	s_waitcnt lgkmcnt(0)
	v_or_b32_e32 v4, 0x80, v9
	ds_bpermute_b32 v10, v4, v7
	ds_bpermute_b32 v3, v4, v1
	;; [unrolled: 1-line block ×3, first 2 shown]
	v_add_u32_e32 v6, 32, v6
	v_cmp_lt_u32_e32 vcc, v6, v8
	v_mov_b32_e32 v6, v7
	s_and_saveexec_b64 s[0:1], vcc
	s_cbranch_execz .LBB978_51
; %bb.46:
	s_waitcnt lgkmcnt(2)
	v_and_b32_e32 v6, v7, v10
	v_and_b32_e32 v6, 1, v6
	v_cmp_eq_u32_e32 vcc, 1, v6
	s_and_saveexec_b64 s[2:3], vcc
	s_xor_b64 s[2:3], exec, s[2:3]
	s_cbranch_execz .LBB978_48
; %bb.47:
	s_waitcnt lgkmcnt(0)
	v_cmp_lt_i64_e32 vcc, v[3:4], v[1:2]
                                        ; implicit-def: $vgpr7
                                        ; implicit-def: $vgpr10
	v_cndmask_b32_e32 v2, v2, v4, vcc
	v_cndmask_b32_e32 v1, v1, v3, vcc
                                        ; implicit-def: $vgpr3_vgpr4
.LBB978_48:
	s_or_saveexec_b64 s[2:3], s[2:3]
	v_mov_b32_e32 v6, 1
	s_xor_b64 exec, exec, s[2:3]
	s_cbranch_execz .LBB978_50
; %bb.49:
	v_and_b32_e32 v6, 1, v7
	v_cmp_eq_u32_e32 vcc, 1, v6
	v_cndmask_b32_e64 v6, v10, 1, vcc
	s_waitcnt lgkmcnt(0)
	v_cndmask_b32_e32 v2, v4, v2, vcc
	v_cndmask_b32_e32 v1, v3, v1, vcc
.LBB978_50:
	s_or_b64 exec, exec, s[2:3]
	v_and_b32_e32 v7, 0xff, v6
.LBB978_51:
	s_or_b64 exec, exec, s[0:1]
	v_cmp_eq_u32_e32 vcc, 0, v5
	s_and_saveexec_b64 s[0:1], vcc
	s_cbranch_execz .LBB978_53
; %bb.52:
	s_waitcnt lgkmcnt(1)
	v_lshrrev_b32_e32 v3, 2, v0
	v_and_b32_e32 v3, 16, v3
	ds_write_b8 v3, v6 offset:32
	ds_write_b64 v3, v[1:2] offset:40
.LBB978_53:
	s_or_b64 exec, exec, s[0:1]
	v_cmp_gt_u32_e32 vcc, 2, v0
	s_waitcnt lgkmcnt(0)
	s_barrier
	s_and_saveexec_b64 s[0:1], vcc
	s_cbranch_execz .LBB978_61
; %bb.54:
	v_lshlrev_b32_e32 v1, 4, v5
	ds_read_u8 v6, v1 offset:32
	ds_read_b64 v[1:2], v1 offset:40
	v_or_b32_e32 v4, 4, v9
	s_add_i32 s4, s4, 63
	v_and_b32_e32 v5, 1, v5
	s_waitcnt lgkmcnt(1)
	v_and_b32_e32 v7, 0xff, v6
	s_waitcnt lgkmcnt(0)
	ds_bpermute_b32 v3, v4, v1
	ds_bpermute_b32 v8, v4, v7
	;; [unrolled: 1-line block ×3, first 2 shown]
	s_lshr_b32 s2, s4, 6
	v_add_u32_e32 v5, 1, v5
	v_cmp_gt_u32_e32 vcc, s2, v5
	s_and_saveexec_b64 s[2:3], vcc
	s_cbranch_execz .LBB978_60
; %bb.55:
	s_waitcnt lgkmcnt(1)
	v_and_b32_e32 v5, v7, v8
	v_and_b32_e32 v5, 1, v5
	v_cmp_eq_u32_e32 vcc, 1, v5
	s_and_saveexec_b64 s[4:5], vcc
	s_xor_b64 s[4:5], exec, s[4:5]
	s_cbranch_execz .LBB978_57
; %bb.56:
	s_waitcnt lgkmcnt(0)
	v_cmp_lt_i64_e32 vcc, v[3:4], v[1:2]
                                        ; implicit-def: $vgpr6
                                        ; implicit-def: $vgpr8
	v_cndmask_b32_e32 v2, v2, v4, vcc
	v_cndmask_b32_e32 v1, v1, v3, vcc
                                        ; implicit-def: $vgpr3_vgpr4
.LBB978_57:
	s_or_saveexec_b64 s[4:5], s[4:5]
	v_mov_b32_e32 v7, 1
	s_xor_b64 exec, exec, s[4:5]
	s_cbranch_execz .LBB978_59
; %bb.58:
	v_and_b32_e32 v5, 1, v6
	v_cmp_eq_u32_e32 vcc, 1, v5
	s_waitcnt lgkmcnt(0)
	v_cndmask_b32_e32 v2, v4, v2, vcc
	v_cndmask_b32_e32 v1, v3, v1, vcc
	v_cndmask_b32_e64 v7, v8, 1, vcc
.LBB978_59:
	s_or_b64 exec, exec, s[4:5]
.LBB978_60:
	s_or_b64 exec, exec, s[2:3]
.LBB978_61:
	s_or_b64 exec, exec, s[0:1]
.LBB978_62:
	v_cmp_eq_u32_e32 vcc, 0, v0
	s_and_saveexec_b64 s[0:1], vcc
	s_cbranch_execnz .LBB978_64
; %bb.63:
	s_endpgm
.LBB978_64:
	s_mul_i32 s0, s22, s21
	s_mul_hi_u32 s1, s22, s20
	s_add_i32 s0, s1, s0
	s_mul_i32 s1, s23, s20
	s_add_i32 s1, s0, s1
	s_mul_i32 s0, s22, s20
	s_lshl_b64 s[0:1], s[0:1], 4
	s_add_u32 s2, s18, s0
	s_addc_u32 s3, s19, s1
	s_cmp_eq_u64 s[16:17], 0
	s_waitcnt lgkmcnt(0)
	v_mov_b32_e32 v0, s9
	s_cselect_b64 vcc, -1, 0
	v_cndmask_b32_e32 v2, v2, v0, vcc
	v_mov_b32_e32 v0, s8
	s_lshl_b64 s[0:1], s[6:7], 4
	v_cndmask_b32_e32 v1, v1, v0, vcc
	v_mov_b32_e32 v0, s10
	s_add_u32 s0, s2, s0
	v_cndmask_b32_e32 v0, v7, v0, vcc
	s_addc_u32 s1, s3, s1
	v_mov_b32_e32 v3, 0
	global_store_byte v3, v0, s[0:1]
	global_store_dwordx2 v3, v[1:2], s[0:1] offset:8
	s_endpgm
	.section	.rodata,"a",@progbits
	.p2align	6, 0x0
	.amdhsa_kernel _ZN7rocprim17ROCPRIM_400000_NS6detail17trampoline_kernelINS0_14default_configENS1_22reduce_config_selectorIN6thrust23THRUST_200600_302600_NS5tupleIblNS6_9null_typeES8_S8_S8_S8_S8_S8_S8_EEEEZNS1_11reduce_implILb1ES3_NS6_12zip_iteratorINS7_INS6_11hip_rocprim26transform_input_iterator_tIbPiNS6_6detail10functional5actorINSH_9compositeIJNSH_27transparent_binary_operatorINS6_8equal_toIvEEEENSI_INSH_8argumentILj0EEEEENSH_5valueIiEEEEEEEEENSD_19counting_iterator_tIlEES8_S8_S8_S8_S8_S8_S8_S8_EEEEPS9_S9_NSD_9__find_if7functorIS9_EEEE10hipError_tPvRmT1_T2_T3_mT4_P12ihipStream_tbEUlT_E0_NS1_11comp_targetILNS1_3genE2ELNS1_11target_archE906ELNS1_3gpuE6ELNS1_3repE0EEENS1_30default_config_static_selectorELNS0_4arch9wavefront6targetE1EEEvS17_
		.amdhsa_group_segment_fixed_size 64
		.amdhsa_private_segment_fixed_size 0
		.amdhsa_kernarg_size 88
		.amdhsa_user_sgpr_count 6
		.amdhsa_user_sgpr_private_segment_buffer 1
		.amdhsa_user_sgpr_dispatch_ptr 0
		.amdhsa_user_sgpr_queue_ptr 0
		.amdhsa_user_sgpr_kernarg_segment_ptr 1
		.amdhsa_user_sgpr_dispatch_id 0
		.amdhsa_user_sgpr_flat_scratch_init 0
		.amdhsa_user_sgpr_private_segment_size 0
		.amdhsa_uses_dynamic_stack 0
		.amdhsa_system_sgpr_private_segment_wavefront_offset 0
		.amdhsa_system_sgpr_workgroup_id_x 1
		.amdhsa_system_sgpr_workgroup_id_y 0
		.amdhsa_system_sgpr_workgroup_id_z 0
		.amdhsa_system_sgpr_workgroup_info 0
		.amdhsa_system_vgpr_workitem_id 0
		.amdhsa_next_free_vgpr 13
		.amdhsa_next_free_sgpr 29
		.amdhsa_reserve_vcc 1
		.amdhsa_reserve_flat_scratch 0
		.amdhsa_float_round_mode_32 0
		.amdhsa_float_round_mode_16_64 0
		.amdhsa_float_denorm_mode_32 3
		.amdhsa_float_denorm_mode_16_64 3
		.amdhsa_dx10_clamp 1
		.amdhsa_ieee_mode 1
		.amdhsa_fp16_overflow 0
		.amdhsa_exception_fp_ieee_invalid_op 0
		.amdhsa_exception_fp_denorm_src 0
		.amdhsa_exception_fp_ieee_div_zero 0
		.amdhsa_exception_fp_ieee_overflow 0
		.amdhsa_exception_fp_ieee_underflow 0
		.amdhsa_exception_fp_ieee_inexact 0
		.amdhsa_exception_int_div_zero 0
	.end_amdhsa_kernel
	.section	.text._ZN7rocprim17ROCPRIM_400000_NS6detail17trampoline_kernelINS0_14default_configENS1_22reduce_config_selectorIN6thrust23THRUST_200600_302600_NS5tupleIblNS6_9null_typeES8_S8_S8_S8_S8_S8_S8_EEEEZNS1_11reduce_implILb1ES3_NS6_12zip_iteratorINS7_INS6_11hip_rocprim26transform_input_iterator_tIbPiNS6_6detail10functional5actorINSH_9compositeIJNSH_27transparent_binary_operatorINS6_8equal_toIvEEEENSI_INSH_8argumentILj0EEEEENSH_5valueIiEEEEEEEEENSD_19counting_iterator_tIlEES8_S8_S8_S8_S8_S8_S8_S8_EEEEPS9_S9_NSD_9__find_if7functorIS9_EEEE10hipError_tPvRmT1_T2_T3_mT4_P12ihipStream_tbEUlT_E0_NS1_11comp_targetILNS1_3genE2ELNS1_11target_archE906ELNS1_3gpuE6ELNS1_3repE0EEENS1_30default_config_static_selectorELNS0_4arch9wavefront6targetE1EEEvS17_,"axG",@progbits,_ZN7rocprim17ROCPRIM_400000_NS6detail17trampoline_kernelINS0_14default_configENS1_22reduce_config_selectorIN6thrust23THRUST_200600_302600_NS5tupleIblNS6_9null_typeES8_S8_S8_S8_S8_S8_S8_EEEEZNS1_11reduce_implILb1ES3_NS6_12zip_iteratorINS7_INS6_11hip_rocprim26transform_input_iterator_tIbPiNS6_6detail10functional5actorINSH_9compositeIJNSH_27transparent_binary_operatorINS6_8equal_toIvEEEENSI_INSH_8argumentILj0EEEEENSH_5valueIiEEEEEEEEENSD_19counting_iterator_tIlEES8_S8_S8_S8_S8_S8_S8_S8_EEEEPS9_S9_NSD_9__find_if7functorIS9_EEEE10hipError_tPvRmT1_T2_T3_mT4_P12ihipStream_tbEUlT_E0_NS1_11comp_targetILNS1_3genE2ELNS1_11target_archE906ELNS1_3gpuE6ELNS1_3repE0EEENS1_30default_config_static_selectorELNS0_4arch9wavefront6targetE1EEEvS17_,comdat
.Lfunc_end978:
	.size	_ZN7rocprim17ROCPRIM_400000_NS6detail17trampoline_kernelINS0_14default_configENS1_22reduce_config_selectorIN6thrust23THRUST_200600_302600_NS5tupleIblNS6_9null_typeES8_S8_S8_S8_S8_S8_S8_EEEEZNS1_11reduce_implILb1ES3_NS6_12zip_iteratorINS7_INS6_11hip_rocprim26transform_input_iterator_tIbPiNS6_6detail10functional5actorINSH_9compositeIJNSH_27transparent_binary_operatorINS6_8equal_toIvEEEENSI_INSH_8argumentILj0EEEEENSH_5valueIiEEEEEEEEENSD_19counting_iterator_tIlEES8_S8_S8_S8_S8_S8_S8_S8_EEEEPS9_S9_NSD_9__find_if7functorIS9_EEEE10hipError_tPvRmT1_T2_T3_mT4_P12ihipStream_tbEUlT_E0_NS1_11comp_targetILNS1_3genE2ELNS1_11target_archE906ELNS1_3gpuE6ELNS1_3repE0EEENS1_30default_config_static_selectorELNS0_4arch9wavefront6targetE1EEEvS17_, .Lfunc_end978-_ZN7rocprim17ROCPRIM_400000_NS6detail17trampoline_kernelINS0_14default_configENS1_22reduce_config_selectorIN6thrust23THRUST_200600_302600_NS5tupleIblNS6_9null_typeES8_S8_S8_S8_S8_S8_S8_EEEEZNS1_11reduce_implILb1ES3_NS6_12zip_iteratorINS7_INS6_11hip_rocprim26transform_input_iterator_tIbPiNS6_6detail10functional5actorINSH_9compositeIJNSH_27transparent_binary_operatorINS6_8equal_toIvEEEENSI_INSH_8argumentILj0EEEEENSH_5valueIiEEEEEEEEENSD_19counting_iterator_tIlEES8_S8_S8_S8_S8_S8_S8_S8_EEEEPS9_S9_NSD_9__find_if7functorIS9_EEEE10hipError_tPvRmT1_T2_T3_mT4_P12ihipStream_tbEUlT_E0_NS1_11comp_targetILNS1_3genE2ELNS1_11target_archE906ELNS1_3gpuE6ELNS1_3repE0EEENS1_30default_config_static_selectorELNS0_4arch9wavefront6targetE1EEEvS17_
                                        ; -- End function
	.set _ZN7rocprim17ROCPRIM_400000_NS6detail17trampoline_kernelINS0_14default_configENS1_22reduce_config_selectorIN6thrust23THRUST_200600_302600_NS5tupleIblNS6_9null_typeES8_S8_S8_S8_S8_S8_S8_EEEEZNS1_11reduce_implILb1ES3_NS6_12zip_iteratorINS7_INS6_11hip_rocprim26transform_input_iterator_tIbPiNS6_6detail10functional5actorINSH_9compositeIJNSH_27transparent_binary_operatorINS6_8equal_toIvEEEENSI_INSH_8argumentILj0EEEEENSH_5valueIiEEEEEEEEENSD_19counting_iterator_tIlEES8_S8_S8_S8_S8_S8_S8_S8_EEEEPS9_S9_NSD_9__find_if7functorIS9_EEEE10hipError_tPvRmT1_T2_T3_mT4_P12ihipStream_tbEUlT_E0_NS1_11comp_targetILNS1_3genE2ELNS1_11target_archE906ELNS1_3gpuE6ELNS1_3repE0EEENS1_30default_config_static_selectorELNS0_4arch9wavefront6targetE1EEEvS17_.num_vgpr, 13
	.set _ZN7rocprim17ROCPRIM_400000_NS6detail17trampoline_kernelINS0_14default_configENS1_22reduce_config_selectorIN6thrust23THRUST_200600_302600_NS5tupleIblNS6_9null_typeES8_S8_S8_S8_S8_S8_S8_EEEEZNS1_11reduce_implILb1ES3_NS6_12zip_iteratorINS7_INS6_11hip_rocprim26transform_input_iterator_tIbPiNS6_6detail10functional5actorINSH_9compositeIJNSH_27transparent_binary_operatorINS6_8equal_toIvEEEENSI_INSH_8argumentILj0EEEEENSH_5valueIiEEEEEEEEENSD_19counting_iterator_tIlEES8_S8_S8_S8_S8_S8_S8_S8_EEEEPS9_S9_NSD_9__find_if7functorIS9_EEEE10hipError_tPvRmT1_T2_T3_mT4_P12ihipStream_tbEUlT_E0_NS1_11comp_targetILNS1_3genE2ELNS1_11target_archE906ELNS1_3gpuE6ELNS1_3repE0EEENS1_30default_config_static_selectorELNS0_4arch9wavefront6targetE1EEEvS17_.num_agpr, 0
	.set _ZN7rocprim17ROCPRIM_400000_NS6detail17trampoline_kernelINS0_14default_configENS1_22reduce_config_selectorIN6thrust23THRUST_200600_302600_NS5tupleIblNS6_9null_typeES8_S8_S8_S8_S8_S8_S8_EEEEZNS1_11reduce_implILb1ES3_NS6_12zip_iteratorINS7_INS6_11hip_rocprim26transform_input_iterator_tIbPiNS6_6detail10functional5actorINSH_9compositeIJNSH_27transparent_binary_operatorINS6_8equal_toIvEEEENSI_INSH_8argumentILj0EEEEENSH_5valueIiEEEEEEEEENSD_19counting_iterator_tIlEES8_S8_S8_S8_S8_S8_S8_S8_EEEEPS9_S9_NSD_9__find_if7functorIS9_EEEE10hipError_tPvRmT1_T2_T3_mT4_P12ihipStream_tbEUlT_E0_NS1_11comp_targetILNS1_3genE2ELNS1_11target_archE906ELNS1_3gpuE6ELNS1_3repE0EEENS1_30default_config_static_selectorELNS0_4arch9wavefront6targetE1EEEvS17_.numbered_sgpr, 29
	.set _ZN7rocprim17ROCPRIM_400000_NS6detail17trampoline_kernelINS0_14default_configENS1_22reduce_config_selectorIN6thrust23THRUST_200600_302600_NS5tupleIblNS6_9null_typeES8_S8_S8_S8_S8_S8_S8_EEEEZNS1_11reduce_implILb1ES3_NS6_12zip_iteratorINS7_INS6_11hip_rocprim26transform_input_iterator_tIbPiNS6_6detail10functional5actorINSH_9compositeIJNSH_27transparent_binary_operatorINS6_8equal_toIvEEEENSI_INSH_8argumentILj0EEEEENSH_5valueIiEEEEEEEEENSD_19counting_iterator_tIlEES8_S8_S8_S8_S8_S8_S8_S8_EEEEPS9_S9_NSD_9__find_if7functorIS9_EEEE10hipError_tPvRmT1_T2_T3_mT4_P12ihipStream_tbEUlT_E0_NS1_11comp_targetILNS1_3genE2ELNS1_11target_archE906ELNS1_3gpuE6ELNS1_3repE0EEENS1_30default_config_static_selectorELNS0_4arch9wavefront6targetE1EEEvS17_.num_named_barrier, 0
	.set _ZN7rocprim17ROCPRIM_400000_NS6detail17trampoline_kernelINS0_14default_configENS1_22reduce_config_selectorIN6thrust23THRUST_200600_302600_NS5tupleIblNS6_9null_typeES8_S8_S8_S8_S8_S8_S8_EEEEZNS1_11reduce_implILb1ES3_NS6_12zip_iteratorINS7_INS6_11hip_rocprim26transform_input_iterator_tIbPiNS6_6detail10functional5actorINSH_9compositeIJNSH_27transparent_binary_operatorINS6_8equal_toIvEEEENSI_INSH_8argumentILj0EEEEENSH_5valueIiEEEEEEEEENSD_19counting_iterator_tIlEES8_S8_S8_S8_S8_S8_S8_S8_EEEEPS9_S9_NSD_9__find_if7functorIS9_EEEE10hipError_tPvRmT1_T2_T3_mT4_P12ihipStream_tbEUlT_E0_NS1_11comp_targetILNS1_3genE2ELNS1_11target_archE906ELNS1_3gpuE6ELNS1_3repE0EEENS1_30default_config_static_selectorELNS0_4arch9wavefront6targetE1EEEvS17_.private_seg_size, 0
	.set _ZN7rocprim17ROCPRIM_400000_NS6detail17trampoline_kernelINS0_14default_configENS1_22reduce_config_selectorIN6thrust23THRUST_200600_302600_NS5tupleIblNS6_9null_typeES8_S8_S8_S8_S8_S8_S8_EEEEZNS1_11reduce_implILb1ES3_NS6_12zip_iteratorINS7_INS6_11hip_rocprim26transform_input_iterator_tIbPiNS6_6detail10functional5actorINSH_9compositeIJNSH_27transparent_binary_operatorINS6_8equal_toIvEEEENSI_INSH_8argumentILj0EEEEENSH_5valueIiEEEEEEEEENSD_19counting_iterator_tIlEES8_S8_S8_S8_S8_S8_S8_S8_EEEEPS9_S9_NSD_9__find_if7functorIS9_EEEE10hipError_tPvRmT1_T2_T3_mT4_P12ihipStream_tbEUlT_E0_NS1_11comp_targetILNS1_3genE2ELNS1_11target_archE906ELNS1_3gpuE6ELNS1_3repE0EEENS1_30default_config_static_selectorELNS0_4arch9wavefront6targetE1EEEvS17_.uses_vcc, 1
	.set _ZN7rocprim17ROCPRIM_400000_NS6detail17trampoline_kernelINS0_14default_configENS1_22reduce_config_selectorIN6thrust23THRUST_200600_302600_NS5tupleIblNS6_9null_typeES8_S8_S8_S8_S8_S8_S8_EEEEZNS1_11reduce_implILb1ES3_NS6_12zip_iteratorINS7_INS6_11hip_rocprim26transform_input_iterator_tIbPiNS6_6detail10functional5actorINSH_9compositeIJNSH_27transparent_binary_operatorINS6_8equal_toIvEEEENSI_INSH_8argumentILj0EEEEENSH_5valueIiEEEEEEEEENSD_19counting_iterator_tIlEES8_S8_S8_S8_S8_S8_S8_S8_EEEEPS9_S9_NSD_9__find_if7functorIS9_EEEE10hipError_tPvRmT1_T2_T3_mT4_P12ihipStream_tbEUlT_E0_NS1_11comp_targetILNS1_3genE2ELNS1_11target_archE906ELNS1_3gpuE6ELNS1_3repE0EEENS1_30default_config_static_selectorELNS0_4arch9wavefront6targetE1EEEvS17_.uses_flat_scratch, 0
	.set _ZN7rocprim17ROCPRIM_400000_NS6detail17trampoline_kernelINS0_14default_configENS1_22reduce_config_selectorIN6thrust23THRUST_200600_302600_NS5tupleIblNS6_9null_typeES8_S8_S8_S8_S8_S8_S8_EEEEZNS1_11reduce_implILb1ES3_NS6_12zip_iteratorINS7_INS6_11hip_rocprim26transform_input_iterator_tIbPiNS6_6detail10functional5actorINSH_9compositeIJNSH_27transparent_binary_operatorINS6_8equal_toIvEEEENSI_INSH_8argumentILj0EEEEENSH_5valueIiEEEEEEEEENSD_19counting_iterator_tIlEES8_S8_S8_S8_S8_S8_S8_S8_EEEEPS9_S9_NSD_9__find_if7functorIS9_EEEE10hipError_tPvRmT1_T2_T3_mT4_P12ihipStream_tbEUlT_E0_NS1_11comp_targetILNS1_3genE2ELNS1_11target_archE906ELNS1_3gpuE6ELNS1_3repE0EEENS1_30default_config_static_selectorELNS0_4arch9wavefront6targetE1EEEvS17_.has_dyn_sized_stack, 0
	.set _ZN7rocprim17ROCPRIM_400000_NS6detail17trampoline_kernelINS0_14default_configENS1_22reduce_config_selectorIN6thrust23THRUST_200600_302600_NS5tupleIblNS6_9null_typeES8_S8_S8_S8_S8_S8_S8_EEEEZNS1_11reduce_implILb1ES3_NS6_12zip_iteratorINS7_INS6_11hip_rocprim26transform_input_iterator_tIbPiNS6_6detail10functional5actorINSH_9compositeIJNSH_27transparent_binary_operatorINS6_8equal_toIvEEEENSI_INSH_8argumentILj0EEEEENSH_5valueIiEEEEEEEEENSD_19counting_iterator_tIlEES8_S8_S8_S8_S8_S8_S8_S8_EEEEPS9_S9_NSD_9__find_if7functorIS9_EEEE10hipError_tPvRmT1_T2_T3_mT4_P12ihipStream_tbEUlT_E0_NS1_11comp_targetILNS1_3genE2ELNS1_11target_archE906ELNS1_3gpuE6ELNS1_3repE0EEENS1_30default_config_static_selectorELNS0_4arch9wavefront6targetE1EEEvS17_.has_recursion, 0
	.set _ZN7rocprim17ROCPRIM_400000_NS6detail17trampoline_kernelINS0_14default_configENS1_22reduce_config_selectorIN6thrust23THRUST_200600_302600_NS5tupleIblNS6_9null_typeES8_S8_S8_S8_S8_S8_S8_EEEEZNS1_11reduce_implILb1ES3_NS6_12zip_iteratorINS7_INS6_11hip_rocprim26transform_input_iterator_tIbPiNS6_6detail10functional5actorINSH_9compositeIJNSH_27transparent_binary_operatorINS6_8equal_toIvEEEENSI_INSH_8argumentILj0EEEEENSH_5valueIiEEEEEEEEENSD_19counting_iterator_tIlEES8_S8_S8_S8_S8_S8_S8_S8_EEEEPS9_S9_NSD_9__find_if7functorIS9_EEEE10hipError_tPvRmT1_T2_T3_mT4_P12ihipStream_tbEUlT_E0_NS1_11comp_targetILNS1_3genE2ELNS1_11target_archE906ELNS1_3gpuE6ELNS1_3repE0EEENS1_30default_config_static_selectorELNS0_4arch9wavefront6targetE1EEEvS17_.has_indirect_call, 0
	.section	.AMDGPU.csdata,"",@progbits
; Kernel info:
; codeLenInByte = 2752
; TotalNumSgprs: 33
; NumVgprs: 13
; ScratchSize: 0
; MemoryBound: 0
; FloatMode: 240
; IeeeMode: 1
; LDSByteSize: 64 bytes/workgroup (compile time only)
; SGPRBlocks: 4
; VGPRBlocks: 3
; NumSGPRsForWavesPerEU: 33
; NumVGPRsForWavesPerEU: 13
; Occupancy: 10
; WaveLimiterHint : 1
; COMPUTE_PGM_RSRC2:SCRATCH_EN: 0
; COMPUTE_PGM_RSRC2:USER_SGPR: 6
; COMPUTE_PGM_RSRC2:TRAP_HANDLER: 0
; COMPUTE_PGM_RSRC2:TGID_X_EN: 1
; COMPUTE_PGM_RSRC2:TGID_Y_EN: 0
; COMPUTE_PGM_RSRC2:TGID_Z_EN: 0
; COMPUTE_PGM_RSRC2:TIDIG_COMP_CNT: 0
	.section	.text._ZN7rocprim17ROCPRIM_400000_NS6detail17trampoline_kernelINS0_14default_configENS1_22reduce_config_selectorIN6thrust23THRUST_200600_302600_NS5tupleIblNS6_9null_typeES8_S8_S8_S8_S8_S8_S8_EEEEZNS1_11reduce_implILb1ES3_NS6_12zip_iteratorINS7_INS6_11hip_rocprim26transform_input_iterator_tIbPiNS6_6detail10functional5actorINSH_9compositeIJNSH_27transparent_binary_operatorINS6_8equal_toIvEEEENSI_INSH_8argumentILj0EEEEENSH_5valueIiEEEEEEEEENSD_19counting_iterator_tIlEES8_S8_S8_S8_S8_S8_S8_S8_EEEEPS9_S9_NSD_9__find_if7functorIS9_EEEE10hipError_tPvRmT1_T2_T3_mT4_P12ihipStream_tbEUlT_E0_NS1_11comp_targetILNS1_3genE10ELNS1_11target_archE1201ELNS1_3gpuE5ELNS1_3repE0EEENS1_30default_config_static_selectorELNS0_4arch9wavefront6targetE1EEEvS17_,"axG",@progbits,_ZN7rocprim17ROCPRIM_400000_NS6detail17trampoline_kernelINS0_14default_configENS1_22reduce_config_selectorIN6thrust23THRUST_200600_302600_NS5tupleIblNS6_9null_typeES8_S8_S8_S8_S8_S8_S8_EEEEZNS1_11reduce_implILb1ES3_NS6_12zip_iteratorINS7_INS6_11hip_rocprim26transform_input_iterator_tIbPiNS6_6detail10functional5actorINSH_9compositeIJNSH_27transparent_binary_operatorINS6_8equal_toIvEEEENSI_INSH_8argumentILj0EEEEENSH_5valueIiEEEEEEEEENSD_19counting_iterator_tIlEES8_S8_S8_S8_S8_S8_S8_S8_EEEEPS9_S9_NSD_9__find_if7functorIS9_EEEE10hipError_tPvRmT1_T2_T3_mT4_P12ihipStream_tbEUlT_E0_NS1_11comp_targetILNS1_3genE10ELNS1_11target_archE1201ELNS1_3gpuE5ELNS1_3repE0EEENS1_30default_config_static_selectorELNS0_4arch9wavefront6targetE1EEEvS17_,comdat
	.protected	_ZN7rocprim17ROCPRIM_400000_NS6detail17trampoline_kernelINS0_14default_configENS1_22reduce_config_selectorIN6thrust23THRUST_200600_302600_NS5tupleIblNS6_9null_typeES8_S8_S8_S8_S8_S8_S8_EEEEZNS1_11reduce_implILb1ES3_NS6_12zip_iteratorINS7_INS6_11hip_rocprim26transform_input_iterator_tIbPiNS6_6detail10functional5actorINSH_9compositeIJNSH_27transparent_binary_operatorINS6_8equal_toIvEEEENSI_INSH_8argumentILj0EEEEENSH_5valueIiEEEEEEEEENSD_19counting_iterator_tIlEES8_S8_S8_S8_S8_S8_S8_S8_EEEEPS9_S9_NSD_9__find_if7functorIS9_EEEE10hipError_tPvRmT1_T2_T3_mT4_P12ihipStream_tbEUlT_E0_NS1_11comp_targetILNS1_3genE10ELNS1_11target_archE1201ELNS1_3gpuE5ELNS1_3repE0EEENS1_30default_config_static_selectorELNS0_4arch9wavefront6targetE1EEEvS17_ ; -- Begin function _ZN7rocprim17ROCPRIM_400000_NS6detail17trampoline_kernelINS0_14default_configENS1_22reduce_config_selectorIN6thrust23THRUST_200600_302600_NS5tupleIblNS6_9null_typeES8_S8_S8_S8_S8_S8_S8_EEEEZNS1_11reduce_implILb1ES3_NS6_12zip_iteratorINS7_INS6_11hip_rocprim26transform_input_iterator_tIbPiNS6_6detail10functional5actorINSH_9compositeIJNSH_27transparent_binary_operatorINS6_8equal_toIvEEEENSI_INSH_8argumentILj0EEEEENSH_5valueIiEEEEEEEEENSD_19counting_iterator_tIlEES8_S8_S8_S8_S8_S8_S8_S8_EEEEPS9_S9_NSD_9__find_if7functorIS9_EEEE10hipError_tPvRmT1_T2_T3_mT4_P12ihipStream_tbEUlT_E0_NS1_11comp_targetILNS1_3genE10ELNS1_11target_archE1201ELNS1_3gpuE5ELNS1_3repE0EEENS1_30default_config_static_selectorELNS0_4arch9wavefront6targetE1EEEvS17_
	.globl	_ZN7rocprim17ROCPRIM_400000_NS6detail17trampoline_kernelINS0_14default_configENS1_22reduce_config_selectorIN6thrust23THRUST_200600_302600_NS5tupleIblNS6_9null_typeES8_S8_S8_S8_S8_S8_S8_EEEEZNS1_11reduce_implILb1ES3_NS6_12zip_iteratorINS7_INS6_11hip_rocprim26transform_input_iterator_tIbPiNS6_6detail10functional5actorINSH_9compositeIJNSH_27transparent_binary_operatorINS6_8equal_toIvEEEENSI_INSH_8argumentILj0EEEEENSH_5valueIiEEEEEEEEENSD_19counting_iterator_tIlEES8_S8_S8_S8_S8_S8_S8_S8_EEEEPS9_S9_NSD_9__find_if7functorIS9_EEEE10hipError_tPvRmT1_T2_T3_mT4_P12ihipStream_tbEUlT_E0_NS1_11comp_targetILNS1_3genE10ELNS1_11target_archE1201ELNS1_3gpuE5ELNS1_3repE0EEENS1_30default_config_static_selectorELNS0_4arch9wavefront6targetE1EEEvS17_
	.p2align	8
	.type	_ZN7rocprim17ROCPRIM_400000_NS6detail17trampoline_kernelINS0_14default_configENS1_22reduce_config_selectorIN6thrust23THRUST_200600_302600_NS5tupleIblNS6_9null_typeES8_S8_S8_S8_S8_S8_S8_EEEEZNS1_11reduce_implILb1ES3_NS6_12zip_iteratorINS7_INS6_11hip_rocprim26transform_input_iterator_tIbPiNS6_6detail10functional5actorINSH_9compositeIJNSH_27transparent_binary_operatorINS6_8equal_toIvEEEENSI_INSH_8argumentILj0EEEEENSH_5valueIiEEEEEEEEENSD_19counting_iterator_tIlEES8_S8_S8_S8_S8_S8_S8_S8_EEEEPS9_S9_NSD_9__find_if7functorIS9_EEEE10hipError_tPvRmT1_T2_T3_mT4_P12ihipStream_tbEUlT_E0_NS1_11comp_targetILNS1_3genE10ELNS1_11target_archE1201ELNS1_3gpuE5ELNS1_3repE0EEENS1_30default_config_static_selectorELNS0_4arch9wavefront6targetE1EEEvS17_,@function
_ZN7rocprim17ROCPRIM_400000_NS6detail17trampoline_kernelINS0_14default_configENS1_22reduce_config_selectorIN6thrust23THRUST_200600_302600_NS5tupleIblNS6_9null_typeES8_S8_S8_S8_S8_S8_S8_EEEEZNS1_11reduce_implILb1ES3_NS6_12zip_iteratorINS7_INS6_11hip_rocprim26transform_input_iterator_tIbPiNS6_6detail10functional5actorINSH_9compositeIJNSH_27transparent_binary_operatorINS6_8equal_toIvEEEENSI_INSH_8argumentILj0EEEEENSH_5valueIiEEEEEEEEENSD_19counting_iterator_tIlEES8_S8_S8_S8_S8_S8_S8_S8_EEEEPS9_S9_NSD_9__find_if7functorIS9_EEEE10hipError_tPvRmT1_T2_T3_mT4_P12ihipStream_tbEUlT_E0_NS1_11comp_targetILNS1_3genE10ELNS1_11target_archE1201ELNS1_3gpuE5ELNS1_3repE0EEENS1_30default_config_static_selectorELNS0_4arch9wavefront6targetE1EEEvS17_: ; @_ZN7rocprim17ROCPRIM_400000_NS6detail17trampoline_kernelINS0_14default_configENS1_22reduce_config_selectorIN6thrust23THRUST_200600_302600_NS5tupleIblNS6_9null_typeES8_S8_S8_S8_S8_S8_S8_EEEEZNS1_11reduce_implILb1ES3_NS6_12zip_iteratorINS7_INS6_11hip_rocprim26transform_input_iterator_tIbPiNS6_6detail10functional5actorINSH_9compositeIJNSH_27transparent_binary_operatorINS6_8equal_toIvEEEENSI_INSH_8argumentILj0EEEEENSH_5valueIiEEEEEEEEENSD_19counting_iterator_tIlEES8_S8_S8_S8_S8_S8_S8_S8_EEEEPS9_S9_NSD_9__find_if7functorIS9_EEEE10hipError_tPvRmT1_T2_T3_mT4_P12ihipStream_tbEUlT_E0_NS1_11comp_targetILNS1_3genE10ELNS1_11target_archE1201ELNS1_3gpuE5ELNS1_3repE0EEENS1_30default_config_static_selectorELNS0_4arch9wavefront6targetE1EEEvS17_
; %bb.0:
	.section	.rodata,"a",@progbits
	.p2align	6, 0x0
	.amdhsa_kernel _ZN7rocprim17ROCPRIM_400000_NS6detail17trampoline_kernelINS0_14default_configENS1_22reduce_config_selectorIN6thrust23THRUST_200600_302600_NS5tupleIblNS6_9null_typeES8_S8_S8_S8_S8_S8_S8_EEEEZNS1_11reduce_implILb1ES3_NS6_12zip_iteratorINS7_INS6_11hip_rocprim26transform_input_iterator_tIbPiNS6_6detail10functional5actorINSH_9compositeIJNSH_27transparent_binary_operatorINS6_8equal_toIvEEEENSI_INSH_8argumentILj0EEEEENSH_5valueIiEEEEEEEEENSD_19counting_iterator_tIlEES8_S8_S8_S8_S8_S8_S8_S8_EEEEPS9_S9_NSD_9__find_if7functorIS9_EEEE10hipError_tPvRmT1_T2_T3_mT4_P12ihipStream_tbEUlT_E0_NS1_11comp_targetILNS1_3genE10ELNS1_11target_archE1201ELNS1_3gpuE5ELNS1_3repE0EEENS1_30default_config_static_selectorELNS0_4arch9wavefront6targetE1EEEvS17_
		.amdhsa_group_segment_fixed_size 0
		.amdhsa_private_segment_fixed_size 0
		.amdhsa_kernarg_size 88
		.amdhsa_user_sgpr_count 6
		.amdhsa_user_sgpr_private_segment_buffer 1
		.amdhsa_user_sgpr_dispatch_ptr 0
		.amdhsa_user_sgpr_queue_ptr 0
		.amdhsa_user_sgpr_kernarg_segment_ptr 1
		.amdhsa_user_sgpr_dispatch_id 0
		.amdhsa_user_sgpr_flat_scratch_init 0
		.amdhsa_user_sgpr_private_segment_size 0
		.amdhsa_uses_dynamic_stack 0
		.amdhsa_system_sgpr_private_segment_wavefront_offset 0
		.amdhsa_system_sgpr_workgroup_id_x 1
		.amdhsa_system_sgpr_workgroup_id_y 0
		.amdhsa_system_sgpr_workgroup_id_z 0
		.amdhsa_system_sgpr_workgroup_info 0
		.amdhsa_system_vgpr_workitem_id 0
		.amdhsa_next_free_vgpr 1
		.amdhsa_next_free_sgpr 0
		.amdhsa_reserve_vcc 0
		.amdhsa_reserve_flat_scratch 0
		.amdhsa_float_round_mode_32 0
		.amdhsa_float_round_mode_16_64 0
		.amdhsa_float_denorm_mode_32 3
		.amdhsa_float_denorm_mode_16_64 3
		.amdhsa_dx10_clamp 1
		.amdhsa_ieee_mode 1
		.amdhsa_fp16_overflow 0
		.amdhsa_exception_fp_ieee_invalid_op 0
		.amdhsa_exception_fp_denorm_src 0
		.amdhsa_exception_fp_ieee_div_zero 0
		.amdhsa_exception_fp_ieee_overflow 0
		.amdhsa_exception_fp_ieee_underflow 0
		.amdhsa_exception_fp_ieee_inexact 0
		.amdhsa_exception_int_div_zero 0
	.end_amdhsa_kernel
	.section	.text._ZN7rocprim17ROCPRIM_400000_NS6detail17trampoline_kernelINS0_14default_configENS1_22reduce_config_selectorIN6thrust23THRUST_200600_302600_NS5tupleIblNS6_9null_typeES8_S8_S8_S8_S8_S8_S8_EEEEZNS1_11reduce_implILb1ES3_NS6_12zip_iteratorINS7_INS6_11hip_rocprim26transform_input_iterator_tIbPiNS6_6detail10functional5actorINSH_9compositeIJNSH_27transparent_binary_operatorINS6_8equal_toIvEEEENSI_INSH_8argumentILj0EEEEENSH_5valueIiEEEEEEEEENSD_19counting_iterator_tIlEES8_S8_S8_S8_S8_S8_S8_S8_EEEEPS9_S9_NSD_9__find_if7functorIS9_EEEE10hipError_tPvRmT1_T2_T3_mT4_P12ihipStream_tbEUlT_E0_NS1_11comp_targetILNS1_3genE10ELNS1_11target_archE1201ELNS1_3gpuE5ELNS1_3repE0EEENS1_30default_config_static_selectorELNS0_4arch9wavefront6targetE1EEEvS17_,"axG",@progbits,_ZN7rocprim17ROCPRIM_400000_NS6detail17trampoline_kernelINS0_14default_configENS1_22reduce_config_selectorIN6thrust23THRUST_200600_302600_NS5tupleIblNS6_9null_typeES8_S8_S8_S8_S8_S8_S8_EEEEZNS1_11reduce_implILb1ES3_NS6_12zip_iteratorINS7_INS6_11hip_rocprim26transform_input_iterator_tIbPiNS6_6detail10functional5actorINSH_9compositeIJNSH_27transparent_binary_operatorINS6_8equal_toIvEEEENSI_INSH_8argumentILj0EEEEENSH_5valueIiEEEEEEEEENSD_19counting_iterator_tIlEES8_S8_S8_S8_S8_S8_S8_S8_EEEEPS9_S9_NSD_9__find_if7functorIS9_EEEE10hipError_tPvRmT1_T2_T3_mT4_P12ihipStream_tbEUlT_E0_NS1_11comp_targetILNS1_3genE10ELNS1_11target_archE1201ELNS1_3gpuE5ELNS1_3repE0EEENS1_30default_config_static_selectorELNS0_4arch9wavefront6targetE1EEEvS17_,comdat
.Lfunc_end979:
	.size	_ZN7rocprim17ROCPRIM_400000_NS6detail17trampoline_kernelINS0_14default_configENS1_22reduce_config_selectorIN6thrust23THRUST_200600_302600_NS5tupleIblNS6_9null_typeES8_S8_S8_S8_S8_S8_S8_EEEEZNS1_11reduce_implILb1ES3_NS6_12zip_iteratorINS7_INS6_11hip_rocprim26transform_input_iterator_tIbPiNS6_6detail10functional5actorINSH_9compositeIJNSH_27transparent_binary_operatorINS6_8equal_toIvEEEENSI_INSH_8argumentILj0EEEEENSH_5valueIiEEEEEEEEENSD_19counting_iterator_tIlEES8_S8_S8_S8_S8_S8_S8_S8_EEEEPS9_S9_NSD_9__find_if7functorIS9_EEEE10hipError_tPvRmT1_T2_T3_mT4_P12ihipStream_tbEUlT_E0_NS1_11comp_targetILNS1_3genE10ELNS1_11target_archE1201ELNS1_3gpuE5ELNS1_3repE0EEENS1_30default_config_static_selectorELNS0_4arch9wavefront6targetE1EEEvS17_, .Lfunc_end979-_ZN7rocprim17ROCPRIM_400000_NS6detail17trampoline_kernelINS0_14default_configENS1_22reduce_config_selectorIN6thrust23THRUST_200600_302600_NS5tupleIblNS6_9null_typeES8_S8_S8_S8_S8_S8_S8_EEEEZNS1_11reduce_implILb1ES3_NS6_12zip_iteratorINS7_INS6_11hip_rocprim26transform_input_iterator_tIbPiNS6_6detail10functional5actorINSH_9compositeIJNSH_27transparent_binary_operatorINS6_8equal_toIvEEEENSI_INSH_8argumentILj0EEEEENSH_5valueIiEEEEEEEEENSD_19counting_iterator_tIlEES8_S8_S8_S8_S8_S8_S8_S8_EEEEPS9_S9_NSD_9__find_if7functorIS9_EEEE10hipError_tPvRmT1_T2_T3_mT4_P12ihipStream_tbEUlT_E0_NS1_11comp_targetILNS1_3genE10ELNS1_11target_archE1201ELNS1_3gpuE5ELNS1_3repE0EEENS1_30default_config_static_selectorELNS0_4arch9wavefront6targetE1EEEvS17_
                                        ; -- End function
	.set _ZN7rocprim17ROCPRIM_400000_NS6detail17trampoline_kernelINS0_14default_configENS1_22reduce_config_selectorIN6thrust23THRUST_200600_302600_NS5tupleIblNS6_9null_typeES8_S8_S8_S8_S8_S8_S8_EEEEZNS1_11reduce_implILb1ES3_NS6_12zip_iteratorINS7_INS6_11hip_rocprim26transform_input_iterator_tIbPiNS6_6detail10functional5actorINSH_9compositeIJNSH_27transparent_binary_operatorINS6_8equal_toIvEEEENSI_INSH_8argumentILj0EEEEENSH_5valueIiEEEEEEEEENSD_19counting_iterator_tIlEES8_S8_S8_S8_S8_S8_S8_S8_EEEEPS9_S9_NSD_9__find_if7functorIS9_EEEE10hipError_tPvRmT1_T2_T3_mT4_P12ihipStream_tbEUlT_E0_NS1_11comp_targetILNS1_3genE10ELNS1_11target_archE1201ELNS1_3gpuE5ELNS1_3repE0EEENS1_30default_config_static_selectorELNS0_4arch9wavefront6targetE1EEEvS17_.num_vgpr, 0
	.set _ZN7rocprim17ROCPRIM_400000_NS6detail17trampoline_kernelINS0_14default_configENS1_22reduce_config_selectorIN6thrust23THRUST_200600_302600_NS5tupleIblNS6_9null_typeES8_S8_S8_S8_S8_S8_S8_EEEEZNS1_11reduce_implILb1ES3_NS6_12zip_iteratorINS7_INS6_11hip_rocprim26transform_input_iterator_tIbPiNS6_6detail10functional5actorINSH_9compositeIJNSH_27transparent_binary_operatorINS6_8equal_toIvEEEENSI_INSH_8argumentILj0EEEEENSH_5valueIiEEEEEEEEENSD_19counting_iterator_tIlEES8_S8_S8_S8_S8_S8_S8_S8_EEEEPS9_S9_NSD_9__find_if7functorIS9_EEEE10hipError_tPvRmT1_T2_T3_mT4_P12ihipStream_tbEUlT_E0_NS1_11comp_targetILNS1_3genE10ELNS1_11target_archE1201ELNS1_3gpuE5ELNS1_3repE0EEENS1_30default_config_static_selectorELNS0_4arch9wavefront6targetE1EEEvS17_.num_agpr, 0
	.set _ZN7rocprim17ROCPRIM_400000_NS6detail17trampoline_kernelINS0_14default_configENS1_22reduce_config_selectorIN6thrust23THRUST_200600_302600_NS5tupleIblNS6_9null_typeES8_S8_S8_S8_S8_S8_S8_EEEEZNS1_11reduce_implILb1ES3_NS6_12zip_iteratorINS7_INS6_11hip_rocprim26transform_input_iterator_tIbPiNS6_6detail10functional5actorINSH_9compositeIJNSH_27transparent_binary_operatorINS6_8equal_toIvEEEENSI_INSH_8argumentILj0EEEEENSH_5valueIiEEEEEEEEENSD_19counting_iterator_tIlEES8_S8_S8_S8_S8_S8_S8_S8_EEEEPS9_S9_NSD_9__find_if7functorIS9_EEEE10hipError_tPvRmT1_T2_T3_mT4_P12ihipStream_tbEUlT_E0_NS1_11comp_targetILNS1_3genE10ELNS1_11target_archE1201ELNS1_3gpuE5ELNS1_3repE0EEENS1_30default_config_static_selectorELNS0_4arch9wavefront6targetE1EEEvS17_.numbered_sgpr, 0
	.set _ZN7rocprim17ROCPRIM_400000_NS6detail17trampoline_kernelINS0_14default_configENS1_22reduce_config_selectorIN6thrust23THRUST_200600_302600_NS5tupleIblNS6_9null_typeES8_S8_S8_S8_S8_S8_S8_EEEEZNS1_11reduce_implILb1ES3_NS6_12zip_iteratorINS7_INS6_11hip_rocprim26transform_input_iterator_tIbPiNS6_6detail10functional5actorINSH_9compositeIJNSH_27transparent_binary_operatorINS6_8equal_toIvEEEENSI_INSH_8argumentILj0EEEEENSH_5valueIiEEEEEEEEENSD_19counting_iterator_tIlEES8_S8_S8_S8_S8_S8_S8_S8_EEEEPS9_S9_NSD_9__find_if7functorIS9_EEEE10hipError_tPvRmT1_T2_T3_mT4_P12ihipStream_tbEUlT_E0_NS1_11comp_targetILNS1_3genE10ELNS1_11target_archE1201ELNS1_3gpuE5ELNS1_3repE0EEENS1_30default_config_static_selectorELNS0_4arch9wavefront6targetE1EEEvS17_.num_named_barrier, 0
	.set _ZN7rocprim17ROCPRIM_400000_NS6detail17trampoline_kernelINS0_14default_configENS1_22reduce_config_selectorIN6thrust23THRUST_200600_302600_NS5tupleIblNS6_9null_typeES8_S8_S8_S8_S8_S8_S8_EEEEZNS1_11reduce_implILb1ES3_NS6_12zip_iteratorINS7_INS6_11hip_rocprim26transform_input_iterator_tIbPiNS6_6detail10functional5actorINSH_9compositeIJNSH_27transparent_binary_operatorINS6_8equal_toIvEEEENSI_INSH_8argumentILj0EEEEENSH_5valueIiEEEEEEEEENSD_19counting_iterator_tIlEES8_S8_S8_S8_S8_S8_S8_S8_EEEEPS9_S9_NSD_9__find_if7functorIS9_EEEE10hipError_tPvRmT1_T2_T3_mT4_P12ihipStream_tbEUlT_E0_NS1_11comp_targetILNS1_3genE10ELNS1_11target_archE1201ELNS1_3gpuE5ELNS1_3repE0EEENS1_30default_config_static_selectorELNS0_4arch9wavefront6targetE1EEEvS17_.private_seg_size, 0
	.set _ZN7rocprim17ROCPRIM_400000_NS6detail17trampoline_kernelINS0_14default_configENS1_22reduce_config_selectorIN6thrust23THRUST_200600_302600_NS5tupleIblNS6_9null_typeES8_S8_S8_S8_S8_S8_S8_EEEEZNS1_11reduce_implILb1ES3_NS6_12zip_iteratorINS7_INS6_11hip_rocprim26transform_input_iterator_tIbPiNS6_6detail10functional5actorINSH_9compositeIJNSH_27transparent_binary_operatorINS6_8equal_toIvEEEENSI_INSH_8argumentILj0EEEEENSH_5valueIiEEEEEEEEENSD_19counting_iterator_tIlEES8_S8_S8_S8_S8_S8_S8_S8_EEEEPS9_S9_NSD_9__find_if7functorIS9_EEEE10hipError_tPvRmT1_T2_T3_mT4_P12ihipStream_tbEUlT_E0_NS1_11comp_targetILNS1_3genE10ELNS1_11target_archE1201ELNS1_3gpuE5ELNS1_3repE0EEENS1_30default_config_static_selectorELNS0_4arch9wavefront6targetE1EEEvS17_.uses_vcc, 0
	.set _ZN7rocprim17ROCPRIM_400000_NS6detail17trampoline_kernelINS0_14default_configENS1_22reduce_config_selectorIN6thrust23THRUST_200600_302600_NS5tupleIblNS6_9null_typeES8_S8_S8_S8_S8_S8_S8_EEEEZNS1_11reduce_implILb1ES3_NS6_12zip_iteratorINS7_INS6_11hip_rocprim26transform_input_iterator_tIbPiNS6_6detail10functional5actorINSH_9compositeIJNSH_27transparent_binary_operatorINS6_8equal_toIvEEEENSI_INSH_8argumentILj0EEEEENSH_5valueIiEEEEEEEEENSD_19counting_iterator_tIlEES8_S8_S8_S8_S8_S8_S8_S8_EEEEPS9_S9_NSD_9__find_if7functorIS9_EEEE10hipError_tPvRmT1_T2_T3_mT4_P12ihipStream_tbEUlT_E0_NS1_11comp_targetILNS1_3genE10ELNS1_11target_archE1201ELNS1_3gpuE5ELNS1_3repE0EEENS1_30default_config_static_selectorELNS0_4arch9wavefront6targetE1EEEvS17_.uses_flat_scratch, 0
	.set _ZN7rocprim17ROCPRIM_400000_NS6detail17trampoline_kernelINS0_14default_configENS1_22reduce_config_selectorIN6thrust23THRUST_200600_302600_NS5tupleIblNS6_9null_typeES8_S8_S8_S8_S8_S8_S8_EEEEZNS1_11reduce_implILb1ES3_NS6_12zip_iteratorINS7_INS6_11hip_rocprim26transform_input_iterator_tIbPiNS6_6detail10functional5actorINSH_9compositeIJNSH_27transparent_binary_operatorINS6_8equal_toIvEEEENSI_INSH_8argumentILj0EEEEENSH_5valueIiEEEEEEEEENSD_19counting_iterator_tIlEES8_S8_S8_S8_S8_S8_S8_S8_EEEEPS9_S9_NSD_9__find_if7functorIS9_EEEE10hipError_tPvRmT1_T2_T3_mT4_P12ihipStream_tbEUlT_E0_NS1_11comp_targetILNS1_3genE10ELNS1_11target_archE1201ELNS1_3gpuE5ELNS1_3repE0EEENS1_30default_config_static_selectorELNS0_4arch9wavefront6targetE1EEEvS17_.has_dyn_sized_stack, 0
	.set _ZN7rocprim17ROCPRIM_400000_NS6detail17trampoline_kernelINS0_14default_configENS1_22reduce_config_selectorIN6thrust23THRUST_200600_302600_NS5tupleIblNS6_9null_typeES8_S8_S8_S8_S8_S8_S8_EEEEZNS1_11reduce_implILb1ES3_NS6_12zip_iteratorINS7_INS6_11hip_rocprim26transform_input_iterator_tIbPiNS6_6detail10functional5actorINSH_9compositeIJNSH_27transparent_binary_operatorINS6_8equal_toIvEEEENSI_INSH_8argumentILj0EEEEENSH_5valueIiEEEEEEEEENSD_19counting_iterator_tIlEES8_S8_S8_S8_S8_S8_S8_S8_EEEEPS9_S9_NSD_9__find_if7functorIS9_EEEE10hipError_tPvRmT1_T2_T3_mT4_P12ihipStream_tbEUlT_E0_NS1_11comp_targetILNS1_3genE10ELNS1_11target_archE1201ELNS1_3gpuE5ELNS1_3repE0EEENS1_30default_config_static_selectorELNS0_4arch9wavefront6targetE1EEEvS17_.has_recursion, 0
	.set _ZN7rocprim17ROCPRIM_400000_NS6detail17trampoline_kernelINS0_14default_configENS1_22reduce_config_selectorIN6thrust23THRUST_200600_302600_NS5tupleIblNS6_9null_typeES8_S8_S8_S8_S8_S8_S8_EEEEZNS1_11reduce_implILb1ES3_NS6_12zip_iteratorINS7_INS6_11hip_rocprim26transform_input_iterator_tIbPiNS6_6detail10functional5actorINSH_9compositeIJNSH_27transparent_binary_operatorINS6_8equal_toIvEEEENSI_INSH_8argumentILj0EEEEENSH_5valueIiEEEEEEEEENSD_19counting_iterator_tIlEES8_S8_S8_S8_S8_S8_S8_S8_EEEEPS9_S9_NSD_9__find_if7functorIS9_EEEE10hipError_tPvRmT1_T2_T3_mT4_P12ihipStream_tbEUlT_E0_NS1_11comp_targetILNS1_3genE10ELNS1_11target_archE1201ELNS1_3gpuE5ELNS1_3repE0EEENS1_30default_config_static_selectorELNS0_4arch9wavefront6targetE1EEEvS17_.has_indirect_call, 0
	.section	.AMDGPU.csdata,"",@progbits
; Kernel info:
; codeLenInByte = 0
; TotalNumSgprs: 4
; NumVgprs: 0
; ScratchSize: 0
; MemoryBound: 0
; FloatMode: 240
; IeeeMode: 1
; LDSByteSize: 0 bytes/workgroup (compile time only)
; SGPRBlocks: 0
; VGPRBlocks: 0
; NumSGPRsForWavesPerEU: 4
; NumVGPRsForWavesPerEU: 1
; Occupancy: 10
; WaveLimiterHint : 0
; COMPUTE_PGM_RSRC2:SCRATCH_EN: 0
; COMPUTE_PGM_RSRC2:USER_SGPR: 6
; COMPUTE_PGM_RSRC2:TRAP_HANDLER: 0
; COMPUTE_PGM_RSRC2:TGID_X_EN: 1
; COMPUTE_PGM_RSRC2:TGID_Y_EN: 0
; COMPUTE_PGM_RSRC2:TGID_Z_EN: 0
; COMPUTE_PGM_RSRC2:TIDIG_COMP_CNT: 0
	.section	.text._ZN7rocprim17ROCPRIM_400000_NS6detail17trampoline_kernelINS0_14default_configENS1_22reduce_config_selectorIN6thrust23THRUST_200600_302600_NS5tupleIblNS6_9null_typeES8_S8_S8_S8_S8_S8_S8_EEEEZNS1_11reduce_implILb1ES3_NS6_12zip_iteratorINS7_INS6_11hip_rocprim26transform_input_iterator_tIbPiNS6_6detail10functional5actorINSH_9compositeIJNSH_27transparent_binary_operatorINS6_8equal_toIvEEEENSI_INSH_8argumentILj0EEEEENSH_5valueIiEEEEEEEEENSD_19counting_iterator_tIlEES8_S8_S8_S8_S8_S8_S8_S8_EEEEPS9_S9_NSD_9__find_if7functorIS9_EEEE10hipError_tPvRmT1_T2_T3_mT4_P12ihipStream_tbEUlT_E0_NS1_11comp_targetILNS1_3genE10ELNS1_11target_archE1200ELNS1_3gpuE4ELNS1_3repE0EEENS1_30default_config_static_selectorELNS0_4arch9wavefront6targetE1EEEvS17_,"axG",@progbits,_ZN7rocprim17ROCPRIM_400000_NS6detail17trampoline_kernelINS0_14default_configENS1_22reduce_config_selectorIN6thrust23THRUST_200600_302600_NS5tupleIblNS6_9null_typeES8_S8_S8_S8_S8_S8_S8_EEEEZNS1_11reduce_implILb1ES3_NS6_12zip_iteratorINS7_INS6_11hip_rocprim26transform_input_iterator_tIbPiNS6_6detail10functional5actorINSH_9compositeIJNSH_27transparent_binary_operatorINS6_8equal_toIvEEEENSI_INSH_8argumentILj0EEEEENSH_5valueIiEEEEEEEEENSD_19counting_iterator_tIlEES8_S8_S8_S8_S8_S8_S8_S8_EEEEPS9_S9_NSD_9__find_if7functorIS9_EEEE10hipError_tPvRmT1_T2_T3_mT4_P12ihipStream_tbEUlT_E0_NS1_11comp_targetILNS1_3genE10ELNS1_11target_archE1200ELNS1_3gpuE4ELNS1_3repE0EEENS1_30default_config_static_selectorELNS0_4arch9wavefront6targetE1EEEvS17_,comdat
	.protected	_ZN7rocprim17ROCPRIM_400000_NS6detail17trampoline_kernelINS0_14default_configENS1_22reduce_config_selectorIN6thrust23THRUST_200600_302600_NS5tupleIblNS6_9null_typeES8_S8_S8_S8_S8_S8_S8_EEEEZNS1_11reduce_implILb1ES3_NS6_12zip_iteratorINS7_INS6_11hip_rocprim26transform_input_iterator_tIbPiNS6_6detail10functional5actorINSH_9compositeIJNSH_27transparent_binary_operatorINS6_8equal_toIvEEEENSI_INSH_8argumentILj0EEEEENSH_5valueIiEEEEEEEEENSD_19counting_iterator_tIlEES8_S8_S8_S8_S8_S8_S8_S8_EEEEPS9_S9_NSD_9__find_if7functorIS9_EEEE10hipError_tPvRmT1_T2_T3_mT4_P12ihipStream_tbEUlT_E0_NS1_11comp_targetILNS1_3genE10ELNS1_11target_archE1200ELNS1_3gpuE4ELNS1_3repE0EEENS1_30default_config_static_selectorELNS0_4arch9wavefront6targetE1EEEvS17_ ; -- Begin function _ZN7rocprim17ROCPRIM_400000_NS6detail17trampoline_kernelINS0_14default_configENS1_22reduce_config_selectorIN6thrust23THRUST_200600_302600_NS5tupleIblNS6_9null_typeES8_S8_S8_S8_S8_S8_S8_EEEEZNS1_11reduce_implILb1ES3_NS6_12zip_iteratorINS7_INS6_11hip_rocprim26transform_input_iterator_tIbPiNS6_6detail10functional5actorINSH_9compositeIJNSH_27transparent_binary_operatorINS6_8equal_toIvEEEENSI_INSH_8argumentILj0EEEEENSH_5valueIiEEEEEEEEENSD_19counting_iterator_tIlEES8_S8_S8_S8_S8_S8_S8_S8_EEEEPS9_S9_NSD_9__find_if7functorIS9_EEEE10hipError_tPvRmT1_T2_T3_mT4_P12ihipStream_tbEUlT_E0_NS1_11comp_targetILNS1_3genE10ELNS1_11target_archE1200ELNS1_3gpuE4ELNS1_3repE0EEENS1_30default_config_static_selectorELNS0_4arch9wavefront6targetE1EEEvS17_
	.globl	_ZN7rocprim17ROCPRIM_400000_NS6detail17trampoline_kernelINS0_14default_configENS1_22reduce_config_selectorIN6thrust23THRUST_200600_302600_NS5tupleIblNS6_9null_typeES8_S8_S8_S8_S8_S8_S8_EEEEZNS1_11reduce_implILb1ES3_NS6_12zip_iteratorINS7_INS6_11hip_rocprim26transform_input_iterator_tIbPiNS6_6detail10functional5actorINSH_9compositeIJNSH_27transparent_binary_operatorINS6_8equal_toIvEEEENSI_INSH_8argumentILj0EEEEENSH_5valueIiEEEEEEEEENSD_19counting_iterator_tIlEES8_S8_S8_S8_S8_S8_S8_S8_EEEEPS9_S9_NSD_9__find_if7functorIS9_EEEE10hipError_tPvRmT1_T2_T3_mT4_P12ihipStream_tbEUlT_E0_NS1_11comp_targetILNS1_3genE10ELNS1_11target_archE1200ELNS1_3gpuE4ELNS1_3repE0EEENS1_30default_config_static_selectorELNS0_4arch9wavefront6targetE1EEEvS17_
	.p2align	8
	.type	_ZN7rocprim17ROCPRIM_400000_NS6detail17trampoline_kernelINS0_14default_configENS1_22reduce_config_selectorIN6thrust23THRUST_200600_302600_NS5tupleIblNS6_9null_typeES8_S8_S8_S8_S8_S8_S8_EEEEZNS1_11reduce_implILb1ES3_NS6_12zip_iteratorINS7_INS6_11hip_rocprim26transform_input_iterator_tIbPiNS6_6detail10functional5actorINSH_9compositeIJNSH_27transparent_binary_operatorINS6_8equal_toIvEEEENSI_INSH_8argumentILj0EEEEENSH_5valueIiEEEEEEEEENSD_19counting_iterator_tIlEES8_S8_S8_S8_S8_S8_S8_S8_EEEEPS9_S9_NSD_9__find_if7functorIS9_EEEE10hipError_tPvRmT1_T2_T3_mT4_P12ihipStream_tbEUlT_E0_NS1_11comp_targetILNS1_3genE10ELNS1_11target_archE1200ELNS1_3gpuE4ELNS1_3repE0EEENS1_30default_config_static_selectorELNS0_4arch9wavefront6targetE1EEEvS17_,@function
_ZN7rocprim17ROCPRIM_400000_NS6detail17trampoline_kernelINS0_14default_configENS1_22reduce_config_selectorIN6thrust23THRUST_200600_302600_NS5tupleIblNS6_9null_typeES8_S8_S8_S8_S8_S8_S8_EEEEZNS1_11reduce_implILb1ES3_NS6_12zip_iteratorINS7_INS6_11hip_rocprim26transform_input_iterator_tIbPiNS6_6detail10functional5actorINSH_9compositeIJNSH_27transparent_binary_operatorINS6_8equal_toIvEEEENSI_INSH_8argumentILj0EEEEENSH_5valueIiEEEEEEEEENSD_19counting_iterator_tIlEES8_S8_S8_S8_S8_S8_S8_S8_EEEEPS9_S9_NSD_9__find_if7functorIS9_EEEE10hipError_tPvRmT1_T2_T3_mT4_P12ihipStream_tbEUlT_E0_NS1_11comp_targetILNS1_3genE10ELNS1_11target_archE1200ELNS1_3gpuE4ELNS1_3repE0EEENS1_30default_config_static_selectorELNS0_4arch9wavefront6targetE1EEEvS17_: ; @_ZN7rocprim17ROCPRIM_400000_NS6detail17trampoline_kernelINS0_14default_configENS1_22reduce_config_selectorIN6thrust23THRUST_200600_302600_NS5tupleIblNS6_9null_typeES8_S8_S8_S8_S8_S8_S8_EEEEZNS1_11reduce_implILb1ES3_NS6_12zip_iteratorINS7_INS6_11hip_rocprim26transform_input_iterator_tIbPiNS6_6detail10functional5actorINSH_9compositeIJNSH_27transparent_binary_operatorINS6_8equal_toIvEEEENSI_INSH_8argumentILj0EEEEENSH_5valueIiEEEEEEEEENSD_19counting_iterator_tIlEES8_S8_S8_S8_S8_S8_S8_S8_EEEEPS9_S9_NSD_9__find_if7functorIS9_EEEE10hipError_tPvRmT1_T2_T3_mT4_P12ihipStream_tbEUlT_E0_NS1_11comp_targetILNS1_3genE10ELNS1_11target_archE1200ELNS1_3gpuE4ELNS1_3repE0EEENS1_30default_config_static_selectorELNS0_4arch9wavefront6targetE1EEEvS17_
; %bb.0:
	.section	.rodata,"a",@progbits
	.p2align	6, 0x0
	.amdhsa_kernel _ZN7rocprim17ROCPRIM_400000_NS6detail17trampoline_kernelINS0_14default_configENS1_22reduce_config_selectorIN6thrust23THRUST_200600_302600_NS5tupleIblNS6_9null_typeES8_S8_S8_S8_S8_S8_S8_EEEEZNS1_11reduce_implILb1ES3_NS6_12zip_iteratorINS7_INS6_11hip_rocprim26transform_input_iterator_tIbPiNS6_6detail10functional5actorINSH_9compositeIJNSH_27transparent_binary_operatorINS6_8equal_toIvEEEENSI_INSH_8argumentILj0EEEEENSH_5valueIiEEEEEEEEENSD_19counting_iterator_tIlEES8_S8_S8_S8_S8_S8_S8_S8_EEEEPS9_S9_NSD_9__find_if7functorIS9_EEEE10hipError_tPvRmT1_T2_T3_mT4_P12ihipStream_tbEUlT_E0_NS1_11comp_targetILNS1_3genE10ELNS1_11target_archE1200ELNS1_3gpuE4ELNS1_3repE0EEENS1_30default_config_static_selectorELNS0_4arch9wavefront6targetE1EEEvS17_
		.amdhsa_group_segment_fixed_size 0
		.amdhsa_private_segment_fixed_size 0
		.amdhsa_kernarg_size 88
		.amdhsa_user_sgpr_count 6
		.amdhsa_user_sgpr_private_segment_buffer 1
		.amdhsa_user_sgpr_dispatch_ptr 0
		.amdhsa_user_sgpr_queue_ptr 0
		.amdhsa_user_sgpr_kernarg_segment_ptr 1
		.amdhsa_user_sgpr_dispatch_id 0
		.amdhsa_user_sgpr_flat_scratch_init 0
		.amdhsa_user_sgpr_private_segment_size 0
		.amdhsa_uses_dynamic_stack 0
		.amdhsa_system_sgpr_private_segment_wavefront_offset 0
		.amdhsa_system_sgpr_workgroup_id_x 1
		.amdhsa_system_sgpr_workgroup_id_y 0
		.amdhsa_system_sgpr_workgroup_id_z 0
		.amdhsa_system_sgpr_workgroup_info 0
		.amdhsa_system_vgpr_workitem_id 0
		.amdhsa_next_free_vgpr 1
		.amdhsa_next_free_sgpr 0
		.amdhsa_reserve_vcc 0
		.amdhsa_reserve_flat_scratch 0
		.amdhsa_float_round_mode_32 0
		.amdhsa_float_round_mode_16_64 0
		.amdhsa_float_denorm_mode_32 3
		.amdhsa_float_denorm_mode_16_64 3
		.amdhsa_dx10_clamp 1
		.amdhsa_ieee_mode 1
		.amdhsa_fp16_overflow 0
		.amdhsa_exception_fp_ieee_invalid_op 0
		.amdhsa_exception_fp_denorm_src 0
		.amdhsa_exception_fp_ieee_div_zero 0
		.amdhsa_exception_fp_ieee_overflow 0
		.amdhsa_exception_fp_ieee_underflow 0
		.amdhsa_exception_fp_ieee_inexact 0
		.amdhsa_exception_int_div_zero 0
	.end_amdhsa_kernel
	.section	.text._ZN7rocprim17ROCPRIM_400000_NS6detail17trampoline_kernelINS0_14default_configENS1_22reduce_config_selectorIN6thrust23THRUST_200600_302600_NS5tupleIblNS6_9null_typeES8_S8_S8_S8_S8_S8_S8_EEEEZNS1_11reduce_implILb1ES3_NS6_12zip_iteratorINS7_INS6_11hip_rocprim26transform_input_iterator_tIbPiNS6_6detail10functional5actorINSH_9compositeIJNSH_27transparent_binary_operatorINS6_8equal_toIvEEEENSI_INSH_8argumentILj0EEEEENSH_5valueIiEEEEEEEEENSD_19counting_iterator_tIlEES8_S8_S8_S8_S8_S8_S8_S8_EEEEPS9_S9_NSD_9__find_if7functorIS9_EEEE10hipError_tPvRmT1_T2_T3_mT4_P12ihipStream_tbEUlT_E0_NS1_11comp_targetILNS1_3genE10ELNS1_11target_archE1200ELNS1_3gpuE4ELNS1_3repE0EEENS1_30default_config_static_selectorELNS0_4arch9wavefront6targetE1EEEvS17_,"axG",@progbits,_ZN7rocprim17ROCPRIM_400000_NS6detail17trampoline_kernelINS0_14default_configENS1_22reduce_config_selectorIN6thrust23THRUST_200600_302600_NS5tupleIblNS6_9null_typeES8_S8_S8_S8_S8_S8_S8_EEEEZNS1_11reduce_implILb1ES3_NS6_12zip_iteratorINS7_INS6_11hip_rocprim26transform_input_iterator_tIbPiNS6_6detail10functional5actorINSH_9compositeIJNSH_27transparent_binary_operatorINS6_8equal_toIvEEEENSI_INSH_8argumentILj0EEEEENSH_5valueIiEEEEEEEEENSD_19counting_iterator_tIlEES8_S8_S8_S8_S8_S8_S8_S8_EEEEPS9_S9_NSD_9__find_if7functorIS9_EEEE10hipError_tPvRmT1_T2_T3_mT4_P12ihipStream_tbEUlT_E0_NS1_11comp_targetILNS1_3genE10ELNS1_11target_archE1200ELNS1_3gpuE4ELNS1_3repE0EEENS1_30default_config_static_selectorELNS0_4arch9wavefront6targetE1EEEvS17_,comdat
.Lfunc_end980:
	.size	_ZN7rocprim17ROCPRIM_400000_NS6detail17trampoline_kernelINS0_14default_configENS1_22reduce_config_selectorIN6thrust23THRUST_200600_302600_NS5tupleIblNS6_9null_typeES8_S8_S8_S8_S8_S8_S8_EEEEZNS1_11reduce_implILb1ES3_NS6_12zip_iteratorINS7_INS6_11hip_rocprim26transform_input_iterator_tIbPiNS6_6detail10functional5actorINSH_9compositeIJNSH_27transparent_binary_operatorINS6_8equal_toIvEEEENSI_INSH_8argumentILj0EEEEENSH_5valueIiEEEEEEEEENSD_19counting_iterator_tIlEES8_S8_S8_S8_S8_S8_S8_S8_EEEEPS9_S9_NSD_9__find_if7functorIS9_EEEE10hipError_tPvRmT1_T2_T3_mT4_P12ihipStream_tbEUlT_E0_NS1_11comp_targetILNS1_3genE10ELNS1_11target_archE1200ELNS1_3gpuE4ELNS1_3repE0EEENS1_30default_config_static_selectorELNS0_4arch9wavefront6targetE1EEEvS17_, .Lfunc_end980-_ZN7rocprim17ROCPRIM_400000_NS6detail17trampoline_kernelINS0_14default_configENS1_22reduce_config_selectorIN6thrust23THRUST_200600_302600_NS5tupleIblNS6_9null_typeES8_S8_S8_S8_S8_S8_S8_EEEEZNS1_11reduce_implILb1ES3_NS6_12zip_iteratorINS7_INS6_11hip_rocprim26transform_input_iterator_tIbPiNS6_6detail10functional5actorINSH_9compositeIJNSH_27transparent_binary_operatorINS6_8equal_toIvEEEENSI_INSH_8argumentILj0EEEEENSH_5valueIiEEEEEEEEENSD_19counting_iterator_tIlEES8_S8_S8_S8_S8_S8_S8_S8_EEEEPS9_S9_NSD_9__find_if7functorIS9_EEEE10hipError_tPvRmT1_T2_T3_mT4_P12ihipStream_tbEUlT_E0_NS1_11comp_targetILNS1_3genE10ELNS1_11target_archE1200ELNS1_3gpuE4ELNS1_3repE0EEENS1_30default_config_static_selectorELNS0_4arch9wavefront6targetE1EEEvS17_
                                        ; -- End function
	.set _ZN7rocprim17ROCPRIM_400000_NS6detail17trampoline_kernelINS0_14default_configENS1_22reduce_config_selectorIN6thrust23THRUST_200600_302600_NS5tupleIblNS6_9null_typeES8_S8_S8_S8_S8_S8_S8_EEEEZNS1_11reduce_implILb1ES3_NS6_12zip_iteratorINS7_INS6_11hip_rocprim26transform_input_iterator_tIbPiNS6_6detail10functional5actorINSH_9compositeIJNSH_27transparent_binary_operatorINS6_8equal_toIvEEEENSI_INSH_8argumentILj0EEEEENSH_5valueIiEEEEEEEEENSD_19counting_iterator_tIlEES8_S8_S8_S8_S8_S8_S8_S8_EEEEPS9_S9_NSD_9__find_if7functorIS9_EEEE10hipError_tPvRmT1_T2_T3_mT4_P12ihipStream_tbEUlT_E0_NS1_11comp_targetILNS1_3genE10ELNS1_11target_archE1200ELNS1_3gpuE4ELNS1_3repE0EEENS1_30default_config_static_selectorELNS0_4arch9wavefront6targetE1EEEvS17_.num_vgpr, 0
	.set _ZN7rocprim17ROCPRIM_400000_NS6detail17trampoline_kernelINS0_14default_configENS1_22reduce_config_selectorIN6thrust23THRUST_200600_302600_NS5tupleIblNS6_9null_typeES8_S8_S8_S8_S8_S8_S8_EEEEZNS1_11reduce_implILb1ES3_NS6_12zip_iteratorINS7_INS6_11hip_rocprim26transform_input_iterator_tIbPiNS6_6detail10functional5actorINSH_9compositeIJNSH_27transparent_binary_operatorINS6_8equal_toIvEEEENSI_INSH_8argumentILj0EEEEENSH_5valueIiEEEEEEEEENSD_19counting_iterator_tIlEES8_S8_S8_S8_S8_S8_S8_S8_EEEEPS9_S9_NSD_9__find_if7functorIS9_EEEE10hipError_tPvRmT1_T2_T3_mT4_P12ihipStream_tbEUlT_E0_NS1_11comp_targetILNS1_3genE10ELNS1_11target_archE1200ELNS1_3gpuE4ELNS1_3repE0EEENS1_30default_config_static_selectorELNS0_4arch9wavefront6targetE1EEEvS17_.num_agpr, 0
	.set _ZN7rocprim17ROCPRIM_400000_NS6detail17trampoline_kernelINS0_14default_configENS1_22reduce_config_selectorIN6thrust23THRUST_200600_302600_NS5tupleIblNS6_9null_typeES8_S8_S8_S8_S8_S8_S8_EEEEZNS1_11reduce_implILb1ES3_NS6_12zip_iteratorINS7_INS6_11hip_rocprim26transform_input_iterator_tIbPiNS6_6detail10functional5actorINSH_9compositeIJNSH_27transparent_binary_operatorINS6_8equal_toIvEEEENSI_INSH_8argumentILj0EEEEENSH_5valueIiEEEEEEEEENSD_19counting_iterator_tIlEES8_S8_S8_S8_S8_S8_S8_S8_EEEEPS9_S9_NSD_9__find_if7functorIS9_EEEE10hipError_tPvRmT1_T2_T3_mT4_P12ihipStream_tbEUlT_E0_NS1_11comp_targetILNS1_3genE10ELNS1_11target_archE1200ELNS1_3gpuE4ELNS1_3repE0EEENS1_30default_config_static_selectorELNS0_4arch9wavefront6targetE1EEEvS17_.numbered_sgpr, 0
	.set _ZN7rocprim17ROCPRIM_400000_NS6detail17trampoline_kernelINS0_14default_configENS1_22reduce_config_selectorIN6thrust23THRUST_200600_302600_NS5tupleIblNS6_9null_typeES8_S8_S8_S8_S8_S8_S8_EEEEZNS1_11reduce_implILb1ES3_NS6_12zip_iteratorINS7_INS6_11hip_rocprim26transform_input_iterator_tIbPiNS6_6detail10functional5actorINSH_9compositeIJNSH_27transparent_binary_operatorINS6_8equal_toIvEEEENSI_INSH_8argumentILj0EEEEENSH_5valueIiEEEEEEEEENSD_19counting_iterator_tIlEES8_S8_S8_S8_S8_S8_S8_S8_EEEEPS9_S9_NSD_9__find_if7functorIS9_EEEE10hipError_tPvRmT1_T2_T3_mT4_P12ihipStream_tbEUlT_E0_NS1_11comp_targetILNS1_3genE10ELNS1_11target_archE1200ELNS1_3gpuE4ELNS1_3repE0EEENS1_30default_config_static_selectorELNS0_4arch9wavefront6targetE1EEEvS17_.num_named_barrier, 0
	.set _ZN7rocprim17ROCPRIM_400000_NS6detail17trampoline_kernelINS0_14default_configENS1_22reduce_config_selectorIN6thrust23THRUST_200600_302600_NS5tupleIblNS6_9null_typeES8_S8_S8_S8_S8_S8_S8_EEEEZNS1_11reduce_implILb1ES3_NS6_12zip_iteratorINS7_INS6_11hip_rocprim26transform_input_iterator_tIbPiNS6_6detail10functional5actorINSH_9compositeIJNSH_27transparent_binary_operatorINS6_8equal_toIvEEEENSI_INSH_8argumentILj0EEEEENSH_5valueIiEEEEEEEEENSD_19counting_iterator_tIlEES8_S8_S8_S8_S8_S8_S8_S8_EEEEPS9_S9_NSD_9__find_if7functorIS9_EEEE10hipError_tPvRmT1_T2_T3_mT4_P12ihipStream_tbEUlT_E0_NS1_11comp_targetILNS1_3genE10ELNS1_11target_archE1200ELNS1_3gpuE4ELNS1_3repE0EEENS1_30default_config_static_selectorELNS0_4arch9wavefront6targetE1EEEvS17_.private_seg_size, 0
	.set _ZN7rocprim17ROCPRIM_400000_NS6detail17trampoline_kernelINS0_14default_configENS1_22reduce_config_selectorIN6thrust23THRUST_200600_302600_NS5tupleIblNS6_9null_typeES8_S8_S8_S8_S8_S8_S8_EEEEZNS1_11reduce_implILb1ES3_NS6_12zip_iteratorINS7_INS6_11hip_rocprim26transform_input_iterator_tIbPiNS6_6detail10functional5actorINSH_9compositeIJNSH_27transparent_binary_operatorINS6_8equal_toIvEEEENSI_INSH_8argumentILj0EEEEENSH_5valueIiEEEEEEEEENSD_19counting_iterator_tIlEES8_S8_S8_S8_S8_S8_S8_S8_EEEEPS9_S9_NSD_9__find_if7functorIS9_EEEE10hipError_tPvRmT1_T2_T3_mT4_P12ihipStream_tbEUlT_E0_NS1_11comp_targetILNS1_3genE10ELNS1_11target_archE1200ELNS1_3gpuE4ELNS1_3repE0EEENS1_30default_config_static_selectorELNS0_4arch9wavefront6targetE1EEEvS17_.uses_vcc, 0
	.set _ZN7rocprim17ROCPRIM_400000_NS6detail17trampoline_kernelINS0_14default_configENS1_22reduce_config_selectorIN6thrust23THRUST_200600_302600_NS5tupleIblNS6_9null_typeES8_S8_S8_S8_S8_S8_S8_EEEEZNS1_11reduce_implILb1ES3_NS6_12zip_iteratorINS7_INS6_11hip_rocprim26transform_input_iterator_tIbPiNS6_6detail10functional5actorINSH_9compositeIJNSH_27transparent_binary_operatorINS6_8equal_toIvEEEENSI_INSH_8argumentILj0EEEEENSH_5valueIiEEEEEEEEENSD_19counting_iterator_tIlEES8_S8_S8_S8_S8_S8_S8_S8_EEEEPS9_S9_NSD_9__find_if7functorIS9_EEEE10hipError_tPvRmT1_T2_T3_mT4_P12ihipStream_tbEUlT_E0_NS1_11comp_targetILNS1_3genE10ELNS1_11target_archE1200ELNS1_3gpuE4ELNS1_3repE0EEENS1_30default_config_static_selectorELNS0_4arch9wavefront6targetE1EEEvS17_.uses_flat_scratch, 0
	.set _ZN7rocprim17ROCPRIM_400000_NS6detail17trampoline_kernelINS0_14default_configENS1_22reduce_config_selectorIN6thrust23THRUST_200600_302600_NS5tupleIblNS6_9null_typeES8_S8_S8_S8_S8_S8_S8_EEEEZNS1_11reduce_implILb1ES3_NS6_12zip_iteratorINS7_INS6_11hip_rocprim26transform_input_iterator_tIbPiNS6_6detail10functional5actorINSH_9compositeIJNSH_27transparent_binary_operatorINS6_8equal_toIvEEEENSI_INSH_8argumentILj0EEEEENSH_5valueIiEEEEEEEEENSD_19counting_iterator_tIlEES8_S8_S8_S8_S8_S8_S8_S8_EEEEPS9_S9_NSD_9__find_if7functorIS9_EEEE10hipError_tPvRmT1_T2_T3_mT4_P12ihipStream_tbEUlT_E0_NS1_11comp_targetILNS1_3genE10ELNS1_11target_archE1200ELNS1_3gpuE4ELNS1_3repE0EEENS1_30default_config_static_selectorELNS0_4arch9wavefront6targetE1EEEvS17_.has_dyn_sized_stack, 0
	.set _ZN7rocprim17ROCPRIM_400000_NS6detail17trampoline_kernelINS0_14default_configENS1_22reduce_config_selectorIN6thrust23THRUST_200600_302600_NS5tupleIblNS6_9null_typeES8_S8_S8_S8_S8_S8_S8_EEEEZNS1_11reduce_implILb1ES3_NS6_12zip_iteratorINS7_INS6_11hip_rocprim26transform_input_iterator_tIbPiNS6_6detail10functional5actorINSH_9compositeIJNSH_27transparent_binary_operatorINS6_8equal_toIvEEEENSI_INSH_8argumentILj0EEEEENSH_5valueIiEEEEEEEEENSD_19counting_iterator_tIlEES8_S8_S8_S8_S8_S8_S8_S8_EEEEPS9_S9_NSD_9__find_if7functorIS9_EEEE10hipError_tPvRmT1_T2_T3_mT4_P12ihipStream_tbEUlT_E0_NS1_11comp_targetILNS1_3genE10ELNS1_11target_archE1200ELNS1_3gpuE4ELNS1_3repE0EEENS1_30default_config_static_selectorELNS0_4arch9wavefront6targetE1EEEvS17_.has_recursion, 0
	.set _ZN7rocprim17ROCPRIM_400000_NS6detail17trampoline_kernelINS0_14default_configENS1_22reduce_config_selectorIN6thrust23THRUST_200600_302600_NS5tupleIblNS6_9null_typeES8_S8_S8_S8_S8_S8_S8_EEEEZNS1_11reduce_implILb1ES3_NS6_12zip_iteratorINS7_INS6_11hip_rocprim26transform_input_iterator_tIbPiNS6_6detail10functional5actorINSH_9compositeIJNSH_27transparent_binary_operatorINS6_8equal_toIvEEEENSI_INSH_8argumentILj0EEEEENSH_5valueIiEEEEEEEEENSD_19counting_iterator_tIlEES8_S8_S8_S8_S8_S8_S8_S8_EEEEPS9_S9_NSD_9__find_if7functorIS9_EEEE10hipError_tPvRmT1_T2_T3_mT4_P12ihipStream_tbEUlT_E0_NS1_11comp_targetILNS1_3genE10ELNS1_11target_archE1200ELNS1_3gpuE4ELNS1_3repE0EEENS1_30default_config_static_selectorELNS0_4arch9wavefront6targetE1EEEvS17_.has_indirect_call, 0
	.section	.AMDGPU.csdata,"",@progbits
; Kernel info:
; codeLenInByte = 0
; TotalNumSgprs: 4
; NumVgprs: 0
; ScratchSize: 0
; MemoryBound: 0
; FloatMode: 240
; IeeeMode: 1
; LDSByteSize: 0 bytes/workgroup (compile time only)
; SGPRBlocks: 0
; VGPRBlocks: 0
; NumSGPRsForWavesPerEU: 4
; NumVGPRsForWavesPerEU: 1
; Occupancy: 10
; WaveLimiterHint : 0
; COMPUTE_PGM_RSRC2:SCRATCH_EN: 0
; COMPUTE_PGM_RSRC2:USER_SGPR: 6
; COMPUTE_PGM_RSRC2:TRAP_HANDLER: 0
; COMPUTE_PGM_RSRC2:TGID_X_EN: 1
; COMPUTE_PGM_RSRC2:TGID_Y_EN: 0
; COMPUTE_PGM_RSRC2:TGID_Z_EN: 0
; COMPUTE_PGM_RSRC2:TIDIG_COMP_CNT: 0
	.section	.text._ZN7rocprim17ROCPRIM_400000_NS6detail17trampoline_kernelINS0_14default_configENS1_22reduce_config_selectorIN6thrust23THRUST_200600_302600_NS5tupleIblNS6_9null_typeES8_S8_S8_S8_S8_S8_S8_EEEEZNS1_11reduce_implILb1ES3_NS6_12zip_iteratorINS7_INS6_11hip_rocprim26transform_input_iterator_tIbPiNS6_6detail10functional5actorINSH_9compositeIJNSH_27transparent_binary_operatorINS6_8equal_toIvEEEENSI_INSH_8argumentILj0EEEEENSH_5valueIiEEEEEEEEENSD_19counting_iterator_tIlEES8_S8_S8_S8_S8_S8_S8_S8_EEEEPS9_S9_NSD_9__find_if7functorIS9_EEEE10hipError_tPvRmT1_T2_T3_mT4_P12ihipStream_tbEUlT_E0_NS1_11comp_targetILNS1_3genE9ELNS1_11target_archE1100ELNS1_3gpuE3ELNS1_3repE0EEENS1_30default_config_static_selectorELNS0_4arch9wavefront6targetE1EEEvS17_,"axG",@progbits,_ZN7rocprim17ROCPRIM_400000_NS6detail17trampoline_kernelINS0_14default_configENS1_22reduce_config_selectorIN6thrust23THRUST_200600_302600_NS5tupleIblNS6_9null_typeES8_S8_S8_S8_S8_S8_S8_EEEEZNS1_11reduce_implILb1ES3_NS6_12zip_iteratorINS7_INS6_11hip_rocprim26transform_input_iterator_tIbPiNS6_6detail10functional5actorINSH_9compositeIJNSH_27transparent_binary_operatorINS6_8equal_toIvEEEENSI_INSH_8argumentILj0EEEEENSH_5valueIiEEEEEEEEENSD_19counting_iterator_tIlEES8_S8_S8_S8_S8_S8_S8_S8_EEEEPS9_S9_NSD_9__find_if7functorIS9_EEEE10hipError_tPvRmT1_T2_T3_mT4_P12ihipStream_tbEUlT_E0_NS1_11comp_targetILNS1_3genE9ELNS1_11target_archE1100ELNS1_3gpuE3ELNS1_3repE0EEENS1_30default_config_static_selectorELNS0_4arch9wavefront6targetE1EEEvS17_,comdat
	.protected	_ZN7rocprim17ROCPRIM_400000_NS6detail17trampoline_kernelINS0_14default_configENS1_22reduce_config_selectorIN6thrust23THRUST_200600_302600_NS5tupleIblNS6_9null_typeES8_S8_S8_S8_S8_S8_S8_EEEEZNS1_11reduce_implILb1ES3_NS6_12zip_iteratorINS7_INS6_11hip_rocprim26transform_input_iterator_tIbPiNS6_6detail10functional5actorINSH_9compositeIJNSH_27transparent_binary_operatorINS6_8equal_toIvEEEENSI_INSH_8argumentILj0EEEEENSH_5valueIiEEEEEEEEENSD_19counting_iterator_tIlEES8_S8_S8_S8_S8_S8_S8_S8_EEEEPS9_S9_NSD_9__find_if7functorIS9_EEEE10hipError_tPvRmT1_T2_T3_mT4_P12ihipStream_tbEUlT_E0_NS1_11comp_targetILNS1_3genE9ELNS1_11target_archE1100ELNS1_3gpuE3ELNS1_3repE0EEENS1_30default_config_static_selectorELNS0_4arch9wavefront6targetE1EEEvS17_ ; -- Begin function _ZN7rocprim17ROCPRIM_400000_NS6detail17trampoline_kernelINS0_14default_configENS1_22reduce_config_selectorIN6thrust23THRUST_200600_302600_NS5tupleIblNS6_9null_typeES8_S8_S8_S8_S8_S8_S8_EEEEZNS1_11reduce_implILb1ES3_NS6_12zip_iteratorINS7_INS6_11hip_rocprim26transform_input_iterator_tIbPiNS6_6detail10functional5actorINSH_9compositeIJNSH_27transparent_binary_operatorINS6_8equal_toIvEEEENSI_INSH_8argumentILj0EEEEENSH_5valueIiEEEEEEEEENSD_19counting_iterator_tIlEES8_S8_S8_S8_S8_S8_S8_S8_EEEEPS9_S9_NSD_9__find_if7functorIS9_EEEE10hipError_tPvRmT1_T2_T3_mT4_P12ihipStream_tbEUlT_E0_NS1_11comp_targetILNS1_3genE9ELNS1_11target_archE1100ELNS1_3gpuE3ELNS1_3repE0EEENS1_30default_config_static_selectorELNS0_4arch9wavefront6targetE1EEEvS17_
	.globl	_ZN7rocprim17ROCPRIM_400000_NS6detail17trampoline_kernelINS0_14default_configENS1_22reduce_config_selectorIN6thrust23THRUST_200600_302600_NS5tupleIblNS6_9null_typeES8_S8_S8_S8_S8_S8_S8_EEEEZNS1_11reduce_implILb1ES3_NS6_12zip_iteratorINS7_INS6_11hip_rocprim26transform_input_iterator_tIbPiNS6_6detail10functional5actorINSH_9compositeIJNSH_27transparent_binary_operatorINS6_8equal_toIvEEEENSI_INSH_8argumentILj0EEEEENSH_5valueIiEEEEEEEEENSD_19counting_iterator_tIlEES8_S8_S8_S8_S8_S8_S8_S8_EEEEPS9_S9_NSD_9__find_if7functorIS9_EEEE10hipError_tPvRmT1_T2_T3_mT4_P12ihipStream_tbEUlT_E0_NS1_11comp_targetILNS1_3genE9ELNS1_11target_archE1100ELNS1_3gpuE3ELNS1_3repE0EEENS1_30default_config_static_selectorELNS0_4arch9wavefront6targetE1EEEvS17_
	.p2align	8
	.type	_ZN7rocprim17ROCPRIM_400000_NS6detail17trampoline_kernelINS0_14default_configENS1_22reduce_config_selectorIN6thrust23THRUST_200600_302600_NS5tupleIblNS6_9null_typeES8_S8_S8_S8_S8_S8_S8_EEEEZNS1_11reduce_implILb1ES3_NS6_12zip_iteratorINS7_INS6_11hip_rocprim26transform_input_iterator_tIbPiNS6_6detail10functional5actorINSH_9compositeIJNSH_27transparent_binary_operatorINS6_8equal_toIvEEEENSI_INSH_8argumentILj0EEEEENSH_5valueIiEEEEEEEEENSD_19counting_iterator_tIlEES8_S8_S8_S8_S8_S8_S8_S8_EEEEPS9_S9_NSD_9__find_if7functorIS9_EEEE10hipError_tPvRmT1_T2_T3_mT4_P12ihipStream_tbEUlT_E0_NS1_11comp_targetILNS1_3genE9ELNS1_11target_archE1100ELNS1_3gpuE3ELNS1_3repE0EEENS1_30default_config_static_selectorELNS0_4arch9wavefront6targetE1EEEvS17_,@function
_ZN7rocprim17ROCPRIM_400000_NS6detail17trampoline_kernelINS0_14default_configENS1_22reduce_config_selectorIN6thrust23THRUST_200600_302600_NS5tupleIblNS6_9null_typeES8_S8_S8_S8_S8_S8_S8_EEEEZNS1_11reduce_implILb1ES3_NS6_12zip_iteratorINS7_INS6_11hip_rocprim26transform_input_iterator_tIbPiNS6_6detail10functional5actorINSH_9compositeIJNSH_27transparent_binary_operatorINS6_8equal_toIvEEEENSI_INSH_8argumentILj0EEEEENSH_5valueIiEEEEEEEEENSD_19counting_iterator_tIlEES8_S8_S8_S8_S8_S8_S8_S8_EEEEPS9_S9_NSD_9__find_if7functorIS9_EEEE10hipError_tPvRmT1_T2_T3_mT4_P12ihipStream_tbEUlT_E0_NS1_11comp_targetILNS1_3genE9ELNS1_11target_archE1100ELNS1_3gpuE3ELNS1_3repE0EEENS1_30default_config_static_selectorELNS0_4arch9wavefront6targetE1EEEvS17_: ; @_ZN7rocprim17ROCPRIM_400000_NS6detail17trampoline_kernelINS0_14default_configENS1_22reduce_config_selectorIN6thrust23THRUST_200600_302600_NS5tupleIblNS6_9null_typeES8_S8_S8_S8_S8_S8_S8_EEEEZNS1_11reduce_implILb1ES3_NS6_12zip_iteratorINS7_INS6_11hip_rocprim26transform_input_iterator_tIbPiNS6_6detail10functional5actorINSH_9compositeIJNSH_27transparent_binary_operatorINS6_8equal_toIvEEEENSI_INSH_8argumentILj0EEEEENSH_5valueIiEEEEEEEEENSD_19counting_iterator_tIlEES8_S8_S8_S8_S8_S8_S8_S8_EEEEPS9_S9_NSD_9__find_if7functorIS9_EEEE10hipError_tPvRmT1_T2_T3_mT4_P12ihipStream_tbEUlT_E0_NS1_11comp_targetILNS1_3genE9ELNS1_11target_archE1100ELNS1_3gpuE3ELNS1_3repE0EEENS1_30default_config_static_selectorELNS0_4arch9wavefront6targetE1EEEvS17_
; %bb.0:
	.section	.rodata,"a",@progbits
	.p2align	6, 0x0
	.amdhsa_kernel _ZN7rocprim17ROCPRIM_400000_NS6detail17trampoline_kernelINS0_14default_configENS1_22reduce_config_selectorIN6thrust23THRUST_200600_302600_NS5tupleIblNS6_9null_typeES8_S8_S8_S8_S8_S8_S8_EEEEZNS1_11reduce_implILb1ES3_NS6_12zip_iteratorINS7_INS6_11hip_rocprim26transform_input_iterator_tIbPiNS6_6detail10functional5actorINSH_9compositeIJNSH_27transparent_binary_operatorINS6_8equal_toIvEEEENSI_INSH_8argumentILj0EEEEENSH_5valueIiEEEEEEEEENSD_19counting_iterator_tIlEES8_S8_S8_S8_S8_S8_S8_S8_EEEEPS9_S9_NSD_9__find_if7functorIS9_EEEE10hipError_tPvRmT1_T2_T3_mT4_P12ihipStream_tbEUlT_E0_NS1_11comp_targetILNS1_3genE9ELNS1_11target_archE1100ELNS1_3gpuE3ELNS1_3repE0EEENS1_30default_config_static_selectorELNS0_4arch9wavefront6targetE1EEEvS17_
		.amdhsa_group_segment_fixed_size 0
		.amdhsa_private_segment_fixed_size 0
		.amdhsa_kernarg_size 88
		.amdhsa_user_sgpr_count 6
		.amdhsa_user_sgpr_private_segment_buffer 1
		.amdhsa_user_sgpr_dispatch_ptr 0
		.amdhsa_user_sgpr_queue_ptr 0
		.amdhsa_user_sgpr_kernarg_segment_ptr 1
		.amdhsa_user_sgpr_dispatch_id 0
		.amdhsa_user_sgpr_flat_scratch_init 0
		.amdhsa_user_sgpr_private_segment_size 0
		.amdhsa_uses_dynamic_stack 0
		.amdhsa_system_sgpr_private_segment_wavefront_offset 0
		.amdhsa_system_sgpr_workgroup_id_x 1
		.amdhsa_system_sgpr_workgroup_id_y 0
		.amdhsa_system_sgpr_workgroup_id_z 0
		.amdhsa_system_sgpr_workgroup_info 0
		.amdhsa_system_vgpr_workitem_id 0
		.amdhsa_next_free_vgpr 1
		.amdhsa_next_free_sgpr 0
		.amdhsa_reserve_vcc 0
		.amdhsa_reserve_flat_scratch 0
		.amdhsa_float_round_mode_32 0
		.amdhsa_float_round_mode_16_64 0
		.amdhsa_float_denorm_mode_32 3
		.amdhsa_float_denorm_mode_16_64 3
		.amdhsa_dx10_clamp 1
		.amdhsa_ieee_mode 1
		.amdhsa_fp16_overflow 0
		.amdhsa_exception_fp_ieee_invalid_op 0
		.amdhsa_exception_fp_denorm_src 0
		.amdhsa_exception_fp_ieee_div_zero 0
		.amdhsa_exception_fp_ieee_overflow 0
		.amdhsa_exception_fp_ieee_underflow 0
		.amdhsa_exception_fp_ieee_inexact 0
		.amdhsa_exception_int_div_zero 0
	.end_amdhsa_kernel
	.section	.text._ZN7rocprim17ROCPRIM_400000_NS6detail17trampoline_kernelINS0_14default_configENS1_22reduce_config_selectorIN6thrust23THRUST_200600_302600_NS5tupleIblNS6_9null_typeES8_S8_S8_S8_S8_S8_S8_EEEEZNS1_11reduce_implILb1ES3_NS6_12zip_iteratorINS7_INS6_11hip_rocprim26transform_input_iterator_tIbPiNS6_6detail10functional5actorINSH_9compositeIJNSH_27transparent_binary_operatorINS6_8equal_toIvEEEENSI_INSH_8argumentILj0EEEEENSH_5valueIiEEEEEEEEENSD_19counting_iterator_tIlEES8_S8_S8_S8_S8_S8_S8_S8_EEEEPS9_S9_NSD_9__find_if7functorIS9_EEEE10hipError_tPvRmT1_T2_T3_mT4_P12ihipStream_tbEUlT_E0_NS1_11comp_targetILNS1_3genE9ELNS1_11target_archE1100ELNS1_3gpuE3ELNS1_3repE0EEENS1_30default_config_static_selectorELNS0_4arch9wavefront6targetE1EEEvS17_,"axG",@progbits,_ZN7rocprim17ROCPRIM_400000_NS6detail17trampoline_kernelINS0_14default_configENS1_22reduce_config_selectorIN6thrust23THRUST_200600_302600_NS5tupleIblNS6_9null_typeES8_S8_S8_S8_S8_S8_S8_EEEEZNS1_11reduce_implILb1ES3_NS6_12zip_iteratorINS7_INS6_11hip_rocprim26transform_input_iterator_tIbPiNS6_6detail10functional5actorINSH_9compositeIJNSH_27transparent_binary_operatorINS6_8equal_toIvEEEENSI_INSH_8argumentILj0EEEEENSH_5valueIiEEEEEEEEENSD_19counting_iterator_tIlEES8_S8_S8_S8_S8_S8_S8_S8_EEEEPS9_S9_NSD_9__find_if7functorIS9_EEEE10hipError_tPvRmT1_T2_T3_mT4_P12ihipStream_tbEUlT_E0_NS1_11comp_targetILNS1_3genE9ELNS1_11target_archE1100ELNS1_3gpuE3ELNS1_3repE0EEENS1_30default_config_static_selectorELNS0_4arch9wavefront6targetE1EEEvS17_,comdat
.Lfunc_end981:
	.size	_ZN7rocprim17ROCPRIM_400000_NS6detail17trampoline_kernelINS0_14default_configENS1_22reduce_config_selectorIN6thrust23THRUST_200600_302600_NS5tupleIblNS6_9null_typeES8_S8_S8_S8_S8_S8_S8_EEEEZNS1_11reduce_implILb1ES3_NS6_12zip_iteratorINS7_INS6_11hip_rocprim26transform_input_iterator_tIbPiNS6_6detail10functional5actorINSH_9compositeIJNSH_27transparent_binary_operatorINS6_8equal_toIvEEEENSI_INSH_8argumentILj0EEEEENSH_5valueIiEEEEEEEEENSD_19counting_iterator_tIlEES8_S8_S8_S8_S8_S8_S8_S8_EEEEPS9_S9_NSD_9__find_if7functorIS9_EEEE10hipError_tPvRmT1_T2_T3_mT4_P12ihipStream_tbEUlT_E0_NS1_11comp_targetILNS1_3genE9ELNS1_11target_archE1100ELNS1_3gpuE3ELNS1_3repE0EEENS1_30default_config_static_selectorELNS0_4arch9wavefront6targetE1EEEvS17_, .Lfunc_end981-_ZN7rocprim17ROCPRIM_400000_NS6detail17trampoline_kernelINS0_14default_configENS1_22reduce_config_selectorIN6thrust23THRUST_200600_302600_NS5tupleIblNS6_9null_typeES8_S8_S8_S8_S8_S8_S8_EEEEZNS1_11reduce_implILb1ES3_NS6_12zip_iteratorINS7_INS6_11hip_rocprim26transform_input_iterator_tIbPiNS6_6detail10functional5actorINSH_9compositeIJNSH_27transparent_binary_operatorINS6_8equal_toIvEEEENSI_INSH_8argumentILj0EEEEENSH_5valueIiEEEEEEEEENSD_19counting_iterator_tIlEES8_S8_S8_S8_S8_S8_S8_S8_EEEEPS9_S9_NSD_9__find_if7functorIS9_EEEE10hipError_tPvRmT1_T2_T3_mT4_P12ihipStream_tbEUlT_E0_NS1_11comp_targetILNS1_3genE9ELNS1_11target_archE1100ELNS1_3gpuE3ELNS1_3repE0EEENS1_30default_config_static_selectorELNS0_4arch9wavefront6targetE1EEEvS17_
                                        ; -- End function
	.set _ZN7rocprim17ROCPRIM_400000_NS6detail17trampoline_kernelINS0_14default_configENS1_22reduce_config_selectorIN6thrust23THRUST_200600_302600_NS5tupleIblNS6_9null_typeES8_S8_S8_S8_S8_S8_S8_EEEEZNS1_11reduce_implILb1ES3_NS6_12zip_iteratorINS7_INS6_11hip_rocprim26transform_input_iterator_tIbPiNS6_6detail10functional5actorINSH_9compositeIJNSH_27transparent_binary_operatorINS6_8equal_toIvEEEENSI_INSH_8argumentILj0EEEEENSH_5valueIiEEEEEEEEENSD_19counting_iterator_tIlEES8_S8_S8_S8_S8_S8_S8_S8_EEEEPS9_S9_NSD_9__find_if7functorIS9_EEEE10hipError_tPvRmT1_T2_T3_mT4_P12ihipStream_tbEUlT_E0_NS1_11comp_targetILNS1_3genE9ELNS1_11target_archE1100ELNS1_3gpuE3ELNS1_3repE0EEENS1_30default_config_static_selectorELNS0_4arch9wavefront6targetE1EEEvS17_.num_vgpr, 0
	.set _ZN7rocprim17ROCPRIM_400000_NS6detail17trampoline_kernelINS0_14default_configENS1_22reduce_config_selectorIN6thrust23THRUST_200600_302600_NS5tupleIblNS6_9null_typeES8_S8_S8_S8_S8_S8_S8_EEEEZNS1_11reduce_implILb1ES3_NS6_12zip_iteratorINS7_INS6_11hip_rocprim26transform_input_iterator_tIbPiNS6_6detail10functional5actorINSH_9compositeIJNSH_27transparent_binary_operatorINS6_8equal_toIvEEEENSI_INSH_8argumentILj0EEEEENSH_5valueIiEEEEEEEEENSD_19counting_iterator_tIlEES8_S8_S8_S8_S8_S8_S8_S8_EEEEPS9_S9_NSD_9__find_if7functorIS9_EEEE10hipError_tPvRmT1_T2_T3_mT4_P12ihipStream_tbEUlT_E0_NS1_11comp_targetILNS1_3genE9ELNS1_11target_archE1100ELNS1_3gpuE3ELNS1_3repE0EEENS1_30default_config_static_selectorELNS0_4arch9wavefront6targetE1EEEvS17_.num_agpr, 0
	.set _ZN7rocprim17ROCPRIM_400000_NS6detail17trampoline_kernelINS0_14default_configENS1_22reduce_config_selectorIN6thrust23THRUST_200600_302600_NS5tupleIblNS6_9null_typeES8_S8_S8_S8_S8_S8_S8_EEEEZNS1_11reduce_implILb1ES3_NS6_12zip_iteratorINS7_INS6_11hip_rocprim26transform_input_iterator_tIbPiNS6_6detail10functional5actorINSH_9compositeIJNSH_27transparent_binary_operatorINS6_8equal_toIvEEEENSI_INSH_8argumentILj0EEEEENSH_5valueIiEEEEEEEEENSD_19counting_iterator_tIlEES8_S8_S8_S8_S8_S8_S8_S8_EEEEPS9_S9_NSD_9__find_if7functorIS9_EEEE10hipError_tPvRmT1_T2_T3_mT4_P12ihipStream_tbEUlT_E0_NS1_11comp_targetILNS1_3genE9ELNS1_11target_archE1100ELNS1_3gpuE3ELNS1_3repE0EEENS1_30default_config_static_selectorELNS0_4arch9wavefront6targetE1EEEvS17_.numbered_sgpr, 0
	.set _ZN7rocprim17ROCPRIM_400000_NS6detail17trampoline_kernelINS0_14default_configENS1_22reduce_config_selectorIN6thrust23THRUST_200600_302600_NS5tupleIblNS6_9null_typeES8_S8_S8_S8_S8_S8_S8_EEEEZNS1_11reduce_implILb1ES3_NS6_12zip_iteratorINS7_INS6_11hip_rocprim26transform_input_iterator_tIbPiNS6_6detail10functional5actorINSH_9compositeIJNSH_27transparent_binary_operatorINS6_8equal_toIvEEEENSI_INSH_8argumentILj0EEEEENSH_5valueIiEEEEEEEEENSD_19counting_iterator_tIlEES8_S8_S8_S8_S8_S8_S8_S8_EEEEPS9_S9_NSD_9__find_if7functorIS9_EEEE10hipError_tPvRmT1_T2_T3_mT4_P12ihipStream_tbEUlT_E0_NS1_11comp_targetILNS1_3genE9ELNS1_11target_archE1100ELNS1_3gpuE3ELNS1_3repE0EEENS1_30default_config_static_selectorELNS0_4arch9wavefront6targetE1EEEvS17_.num_named_barrier, 0
	.set _ZN7rocprim17ROCPRIM_400000_NS6detail17trampoline_kernelINS0_14default_configENS1_22reduce_config_selectorIN6thrust23THRUST_200600_302600_NS5tupleIblNS6_9null_typeES8_S8_S8_S8_S8_S8_S8_EEEEZNS1_11reduce_implILb1ES3_NS6_12zip_iteratorINS7_INS6_11hip_rocprim26transform_input_iterator_tIbPiNS6_6detail10functional5actorINSH_9compositeIJNSH_27transparent_binary_operatorINS6_8equal_toIvEEEENSI_INSH_8argumentILj0EEEEENSH_5valueIiEEEEEEEEENSD_19counting_iterator_tIlEES8_S8_S8_S8_S8_S8_S8_S8_EEEEPS9_S9_NSD_9__find_if7functorIS9_EEEE10hipError_tPvRmT1_T2_T3_mT4_P12ihipStream_tbEUlT_E0_NS1_11comp_targetILNS1_3genE9ELNS1_11target_archE1100ELNS1_3gpuE3ELNS1_3repE0EEENS1_30default_config_static_selectorELNS0_4arch9wavefront6targetE1EEEvS17_.private_seg_size, 0
	.set _ZN7rocprim17ROCPRIM_400000_NS6detail17trampoline_kernelINS0_14default_configENS1_22reduce_config_selectorIN6thrust23THRUST_200600_302600_NS5tupleIblNS6_9null_typeES8_S8_S8_S8_S8_S8_S8_EEEEZNS1_11reduce_implILb1ES3_NS6_12zip_iteratorINS7_INS6_11hip_rocprim26transform_input_iterator_tIbPiNS6_6detail10functional5actorINSH_9compositeIJNSH_27transparent_binary_operatorINS6_8equal_toIvEEEENSI_INSH_8argumentILj0EEEEENSH_5valueIiEEEEEEEEENSD_19counting_iterator_tIlEES8_S8_S8_S8_S8_S8_S8_S8_EEEEPS9_S9_NSD_9__find_if7functorIS9_EEEE10hipError_tPvRmT1_T2_T3_mT4_P12ihipStream_tbEUlT_E0_NS1_11comp_targetILNS1_3genE9ELNS1_11target_archE1100ELNS1_3gpuE3ELNS1_3repE0EEENS1_30default_config_static_selectorELNS0_4arch9wavefront6targetE1EEEvS17_.uses_vcc, 0
	.set _ZN7rocprim17ROCPRIM_400000_NS6detail17trampoline_kernelINS0_14default_configENS1_22reduce_config_selectorIN6thrust23THRUST_200600_302600_NS5tupleIblNS6_9null_typeES8_S8_S8_S8_S8_S8_S8_EEEEZNS1_11reduce_implILb1ES3_NS6_12zip_iteratorINS7_INS6_11hip_rocprim26transform_input_iterator_tIbPiNS6_6detail10functional5actorINSH_9compositeIJNSH_27transparent_binary_operatorINS6_8equal_toIvEEEENSI_INSH_8argumentILj0EEEEENSH_5valueIiEEEEEEEEENSD_19counting_iterator_tIlEES8_S8_S8_S8_S8_S8_S8_S8_EEEEPS9_S9_NSD_9__find_if7functorIS9_EEEE10hipError_tPvRmT1_T2_T3_mT4_P12ihipStream_tbEUlT_E0_NS1_11comp_targetILNS1_3genE9ELNS1_11target_archE1100ELNS1_3gpuE3ELNS1_3repE0EEENS1_30default_config_static_selectorELNS0_4arch9wavefront6targetE1EEEvS17_.uses_flat_scratch, 0
	.set _ZN7rocprim17ROCPRIM_400000_NS6detail17trampoline_kernelINS0_14default_configENS1_22reduce_config_selectorIN6thrust23THRUST_200600_302600_NS5tupleIblNS6_9null_typeES8_S8_S8_S8_S8_S8_S8_EEEEZNS1_11reduce_implILb1ES3_NS6_12zip_iteratorINS7_INS6_11hip_rocprim26transform_input_iterator_tIbPiNS6_6detail10functional5actorINSH_9compositeIJNSH_27transparent_binary_operatorINS6_8equal_toIvEEEENSI_INSH_8argumentILj0EEEEENSH_5valueIiEEEEEEEEENSD_19counting_iterator_tIlEES8_S8_S8_S8_S8_S8_S8_S8_EEEEPS9_S9_NSD_9__find_if7functorIS9_EEEE10hipError_tPvRmT1_T2_T3_mT4_P12ihipStream_tbEUlT_E0_NS1_11comp_targetILNS1_3genE9ELNS1_11target_archE1100ELNS1_3gpuE3ELNS1_3repE0EEENS1_30default_config_static_selectorELNS0_4arch9wavefront6targetE1EEEvS17_.has_dyn_sized_stack, 0
	.set _ZN7rocprim17ROCPRIM_400000_NS6detail17trampoline_kernelINS0_14default_configENS1_22reduce_config_selectorIN6thrust23THRUST_200600_302600_NS5tupleIblNS6_9null_typeES8_S8_S8_S8_S8_S8_S8_EEEEZNS1_11reduce_implILb1ES3_NS6_12zip_iteratorINS7_INS6_11hip_rocprim26transform_input_iterator_tIbPiNS6_6detail10functional5actorINSH_9compositeIJNSH_27transparent_binary_operatorINS6_8equal_toIvEEEENSI_INSH_8argumentILj0EEEEENSH_5valueIiEEEEEEEEENSD_19counting_iterator_tIlEES8_S8_S8_S8_S8_S8_S8_S8_EEEEPS9_S9_NSD_9__find_if7functorIS9_EEEE10hipError_tPvRmT1_T2_T3_mT4_P12ihipStream_tbEUlT_E0_NS1_11comp_targetILNS1_3genE9ELNS1_11target_archE1100ELNS1_3gpuE3ELNS1_3repE0EEENS1_30default_config_static_selectorELNS0_4arch9wavefront6targetE1EEEvS17_.has_recursion, 0
	.set _ZN7rocprim17ROCPRIM_400000_NS6detail17trampoline_kernelINS0_14default_configENS1_22reduce_config_selectorIN6thrust23THRUST_200600_302600_NS5tupleIblNS6_9null_typeES8_S8_S8_S8_S8_S8_S8_EEEEZNS1_11reduce_implILb1ES3_NS6_12zip_iteratorINS7_INS6_11hip_rocprim26transform_input_iterator_tIbPiNS6_6detail10functional5actorINSH_9compositeIJNSH_27transparent_binary_operatorINS6_8equal_toIvEEEENSI_INSH_8argumentILj0EEEEENSH_5valueIiEEEEEEEEENSD_19counting_iterator_tIlEES8_S8_S8_S8_S8_S8_S8_S8_EEEEPS9_S9_NSD_9__find_if7functorIS9_EEEE10hipError_tPvRmT1_T2_T3_mT4_P12ihipStream_tbEUlT_E0_NS1_11comp_targetILNS1_3genE9ELNS1_11target_archE1100ELNS1_3gpuE3ELNS1_3repE0EEENS1_30default_config_static_selectorELNS0_4arch9wavefront6targetE1EEEvS17_.has_indirect_call, 0
	.section	.AMDGPU.csdata,"",@progbits
; Kernel info:
; codeLenInByte = 0
; TotalNumSgprs: 4
; NumVgprs: 0
; ScratchSize: 0
; MemoryBound: 0
; FloatMode: 240
; IeeeMode: 1
; LDSByteSize: 0 bytes/workgroup (compile time only)
; SGPRBlocks: 0
; VGPRBlocks: 0
; NumSGPRsForWavesPerEU: 4
; NumVGPRsForWavesPerEU: 1
; Occupancy: 10
; WaveLimiterHint : 0
; COMPUTE_PGM_RSRC2:SCRATCH_EN: 0
; COMPUTE_PGM_RSRC2:USER_SGPR: 6
; COMPUTE_PGM_RSRC2:TRAP_HANDLER: 0
; COMPUTE_PGM_RSRC2:TGID_X_EN: 1
; COMPUTE_PGM_RSRC2:TGID_Y_EN: 0
; COMPUTE_PGM_RSRC2:TGID_Z_EN: 0
; COMPUTE_PGM_RSRC2:TIDIG_COMP_CNT: 0
	.section	.text._ZN7rocprim17ROCPRIM_400000_NS6detail17trampoline_kernelINS0_14default_configENS1_22reduce_config_selectorIN6thrust23THRUST_200600_302600_NS5tupleIblNS6_9null_typeES8_S8_S8_S8_S8_S8_S8_EEEEZNS1_11reduce_implILb1ES3_NS6_12zip_iteratorINS7_INS6_11hip_rocprim26transform_input_iterator_tIbPiNS6_6detail10functional5actorINSH_9compositeIJNSH_27transparent_binary_operatorINS6_8equal_toIvEEEENSI_INSH_8argumentILj0EEEEENSH_5valueIiEEEEEEEEENSD_19counting_iterator_tIlEES8_S8_S8_S8_S8_S8_S8_S8_EEEEPS9_S9_NSD_9__find_if7functorIS9_EEEE10hipError_tPvRmT1_T2_T3_mT4_P12ihipStream_tbEUlT_E0_NS1_11comp_targetILNS1_3genE8ELNS1_11target_archE1030ELNS1_3gpuE2ELNS1_3repE0EEENS1_30default_config_static_selectorELNS0_4arch9wavefront6targetE1EEEvS17_,"axG",@progbits,_ZN7rocprim17ROCPRIM_400000_NS6detail17trampoline_kernelINS0_14default_configENS1_22reduce_config_selectorIN6thrust23THRUST_200600_302600_NS5tupleIblNS6_9null_typeES8_S8_S8_S8_S8_S8_S8_EEEEZNS1_11reduce_implILb1ES3_NS6_12zip_iteratorINS7_INS6_11hip_rocprim26transform_input_iterator_tIbPiNS6_6detail10functional5actorINSH_9compositeIJNSH_27transparent_binary_operatorINS6_8equal_toIvEEEENSI_INSH_8argumentILj0EEEEENSH_5valueIiEEEEEEEEENSD_19counting_iterator_tIlEES8_S8_S8_S8_S8_S8_S8_S8_EEEEPS9_S9_NSD_9__find_if7functorIS9_EEEE10hipError_tPvRmT1_T2_T3_mT4_P12ihipStream_tbEUlT_E0_NS1_11comp_targetILNS1_3genE8ELNS1_11target_archE1030ELNS1_3gpuE2ELNS1_3repE0EEENS1_30default_config_static_selectorELNS0_4arch9wavefront6targetE1EEEvS17_,comdat
	.protected	_ZN7rocprim17ROCPRIM_400000_NS6detail17trampoline_kernelINS0_14default_configENS1_22reduce_config_selectorIN6thrust23THRUST_200600_302600_NS5tupleIblNS6_9null_typeES8_S8_S8_S8_S8_S8_S8_EEEEZNS1_11reduce_implILb1ES3_NS6_12zip_iteratorINS7_INS6_11hip_rocprim26transform_input_iterator_tIbPiNS6_6detail10functional5actorINSH_9compositeIJNSH_27transparent_binary_operatorINS6_8equal_toIvEEEENSI_INSH_8argumentILj0EEEEENSH_5valueIiEEEEEEEEENSD_19counting_iterator_tIlEES8_S8_S8_S8_S8_S8_S8_S8_EEEEPS9_S9_NSD_9__find_if7functorIS9_EEEE10hipError_tPvRmT1_T2_T3_mT4_P12ihipStream_tbEUlT_E0_NS1_11comp_targetILNS1_3genE8ELNS1_11target_archE1030ELNS1_3gpuE2ELNS1_3repE0EEENS1_30default_config_static_selectorELNS0_4arch9wavefront6targetE1EEEvS17_ ; -- Begin function _ZN7rocprim17ROCPRIM_400000_NS6detail17trampoline_kernelINS0_14default_configENS1_22reduce_config_selectorIN6thrust23THRUST_200600_302600_NS5tupleIblNS6_9null_typeES8_S8_S8_S8_S8_S8_S8_EEEEZNS1_11reduce_implILb1ES3_NS6_12zip_iteratorINS7_INS6_11hip_rocprim26transform_input_iterator_tIbPiNS6_6detail10functional5actorINSH_9compositeIJNSH_27transparent_binary_operatorINS6_8equal_toIvEEEENSI_INSH_8argumentILj0EEEEENSH_5valueIiEEEEEEEEENSD_19counting_iterator_tIlEES8_S8_S8_S8_S8_S8_S8_S8_EEEEPS9_S9_NSD_9__find_if7functorIS9_EEEE10hipError_tPvRmT1_T2_T3_mT4_P12ihipStream_tbEUlT_E0_NS1_11comp_targetILNS1_3genE8ELNS1_11target_archE1030ELNS1_3gpuE2ELNS1_3repE0EEENS1_30default_config_static_selectorELNS0_4arch9wavefront6targetE1EEEvS17_
	.globl	_ZN7rocprim17ROCPRIM_400000_NS6detail17trampoline_kernelINS0_14default_configENS1_22reduce_config_selectorIN6thrust23THRUST_200600_302600_NS5tupleIblNS6_9null_typeES8_S8_S8_S8_S8_S8_S8_EEEEZNS1_11reduce_implILb1ES3_NS6_12zip_iteratorINS7_INS6_11hip_rocprim26transform_input_iterator_tIbPiNS6_6detail10functional5actorINSH_9compositeIJNSH_27transparent_binary_operatorINS6_8equal_toIvEEEENSI_INSH_8argumentILj0EEEEENSH_5valueIiEEEEEEEEENSD_19counting_iterator_tIlEES8_S8_S8_S8_S8_S8_S8_S8_EEEEPS9_S9_NSD_9__find_if7functorIS9_EEEE10hipError_tPvRmT1_T2_T3_mT4_P12ihipStream_tbEUlT_E0_NS1_11comp_targetILNS1_3genE8ELNS1_11target_archE1030ELNS1_3gpuE2ELNS1_3repE0EEENS1_30default_config_static_selectorELNS0_4arch9wavefront6targetE1EEEvS17_
	.p2align	8
	.type	_ZN7rocprim17ROCPRIM_400000_NS6detail17trampoline_kernelINS0_14default_configENS1_22reduce_config_selectorIN6thrust23THRUST_200600_302600_NS5tupleIblNS6_9null_typeES8_S8_S8_S8_S8_S8_S8_EEEEZNS1_11reduce_implILb1ES3_NS6_12zip_iteratorINS7_INS6_11hip_rocprim26transform_input_iterator_tIbPiNS6_6detail10functional5actorINSH_9compositeIJNSH_27transparent_binary_operatorINS6_8equal_toIvEEEENSI_INSH_8argumentILj0EEEEENSH_5valueIiEEEEEEEEENSD_19counting_iterator_tIlEES8_S8_S8_S8_S8_S8_S8_S8_EEEEPS9_S9_NSD_9__find_if7functorIS9_EEEE10hipError_tPvRmT1_T2_T3_mT4_P12ihipStream_tbEUlT_E0_NS1_11comp_targetILNS1_3genE8ELNS1_11target_archE1030ELNS1_3gpuE2ELNS1_3repE0EEENS1_30default_config_static_selectorELNS0_4arch9wavefront6targetE1EEEvS17_,@function
_ZN7rocprim17ROCPRIM_400000_NS6detail17trampoline_kernelINS0_14default_configENS1_22reduce_config_selectorIN6thrust23THRUST_200600_302600_NS5tupleIblNS6_9null_typeES8_S8_S8_S8_S8_S8_S8_EEEEZNS1_11reduce_implILb1ES3_NS6_12zip_iteratorINS7_INS6_11hip_rocprim26transform_input_iterator_tIbPiNS6_6detail10functional5actorINSH_9compositeIJNSH_27transparent_binary_operatorINS6_8equal_toIvEEEENSI_INSH_8argumentILj0EEEEENSH_5valueIiEEEEEEEEENSD_19counting_iterator_tIlEES8_S8_S8_S8_S8_S8_S8_S8_EEEEPS9_S9_NSD_9__find_if7functorIS9_EEEE10hipError_tPvRmT1_T2_T3_mT4_P12ihipStream_tbEUlT_E0_NS1_11comp_targetILNS1_3genE8ELNS1_11target_archE1030ELNS1_3gpuE2ELNS1_3repE0EEENS1_30default_config_static_selectorELNS0_4arch9wavefront6targetE1EEEvS17_: ; @_ZN7rocprim17ROCPRIM_400000_NS6detail17trampoline_kernelINS0_14default_configENS1_22reduce_config_selectorIN6thrust23THRUST_200600_302600_NS5tupleIblNS6_9null_typeES8_S8_S8_S8_S8_S8_S8_EEEEZNS1_11reduce_implILb1ES3_NS6_12zip_iteratorINS7_INS6_11hip_rocprim26transform_input_iterator_tIbPiNS6_6detail10functional5actorINSH_9compositeIJNSH_27transparent_binary_operatorINS6_8equal_toIvEEEENSI_INSH_8argumentILj0EEEEENSH_5valueIiEEEEEEEEENSD_19counting_iterator_tIlEES8_S8_S8_S8_S8_S8_S8_S8_EEEEPS9_S9_NSD_9__find_if7functorIS9_EEEE10hipError_tPvRmT1_T2_T3_mT4_P12ihipStream_tbEUlT_E0_NS1_11comp_targetILNS1_3genE8ELNS1_11target_archE1030ELNS1_3gpuE2ELNS1_3repE0EEENS1_30default_config_static_selectorELNS0_4arch9wavefront6targetE1EEEvS17_
; %bb.0:
	.section	.rodata,"a",@progbits
	.p2align	6, 0x0
	.amdhsa_kernel _ZN7rocprim17ROCPRIM_400000_NS6detail17trampoline_kernelINS0_14default_configENS1_22reduce_config_selectorIN6thrust23THRUST_200600_302600_NS5tupleIblNS6_9null_typeES8_S8_S8_S8_S8_S8_S8_EEEEZNS1_11reduce_implILb1ES3_NS6_12zip_iteratorINS7_INS6_11hip_rocprim26transform_input_iterator_tIbPiNS6_6detail10functional5actorINSH_9compositeIJNSH_27transparent_binary_operatorINS6_8equal_toIvEEEENSI_INSH_8argumentILj0EEEEENSH_5valueIiEEEEEEEEENSD_19counting_iterator_tIlEES8_S8_S8_S8_S8_S8_S8_S8_EEEEPS9_S9_NSD_9__find_if7functorIS9_EEEE10hipError_tPvRmT1_T2_T3_mT4_P12ihipStream_tbEUlT_E0_NS1_11comp_targetILNS1_3genE8ELNS1_11target_archE1030ELNS1_3gpuE2ELNS1_3repE0EEENS1_30default_config_static_selectorELNS0_4arch9wavefront6targetE1EEEvS17_
		.amdhsa_group_segment_fixed_size 0
		.amdhsa_private_segment_fixed_size 0
		.amdhsa_kernarg_size 88
		.amdhsa_user_sgpr_count 6
		.amdhsa_user_sgpr_private_segment_buffer 1
		.amdhsa_user_sgpr_dispatch_ptr 0
		.amdhsa_user_sgpr_queue_ptr 0
		.amdhsa_user_sgpr_kernarg_segment_ptr 1
		.amdhsa_user_sgpr_dispatch_id 0
		.amdhsa_user_sgpr_flat_scratch_init 0
		.amdhsa_user_sgpr_private_segment_size 0
		.amdhsa_uses_dynamic_stack 0
		.amdhsa_system_sgpr_private_segment_wavefront_offset 0
		.amdhsa_system_sgpr_workgroup_id_x 1
		.amdhsa_system_sgpr_workgroup_id_y 0
		.amdhsa_system_sgpr_workgroup_id_z 0
		.amdhsa_system_sgpr_workgroup_info 0
		.amdhsa_system_vgpr_workitem_id 0
		.amdhsa_next_free_vgpr 1
		.amdhsa_next_free_sgpr 0
		.amdhsa_reserve_vcc 0
		.amdhsa_reserve_flat_scratch 0
		.amdhsa_float_round_mode_32 0
		.amdhsa_float_round_mode_16_64 0
		.amdhsa_float_denorm_mode_32 3
		.amdhsa_float_denorm_mode_16_64 3
		.amdhsa_dx10_clamp 1
		.amdhsa_ieee_mode 1
		.amdhsa_fp16_overflow 0
		.amdhsa_exception_fp_ieee_invalid_op 0
		.amdhsa_exception_fp_denorm_src 0
		.amdhsa_exception_fp_ieee_div_zero 0
		.amdhsa_exception_fp_ieee_overflow 0
		.amdhsa_exception_fp_ieee_underflow 0
		.amdhsa_exception_fp_ieee_inexact 0
		.amdhsa_exception_int_div_zero 0
	.end_amdhsa_kernel
	.section	.text._ZN7rocprim17ROCPRIM_400000_NS6detail17trampoline_kernelINS0_14default_configENS1_22reduce_config_selectorIN6thrust23THRUST_200600_302600_NS5tupleIblNS6_9null_typeES8_S8_S8_S8_S8_S8_S8_EEEEZNS1_11reduce_implILb1ES3_NS6_12zip_iteratorINS7_INS6_11hip_rocprim26transform_input_iterator_tIbPiNS6_6detail10functional5actorINSH_9compositeIJNSH_27transparent_binary_operatorINS6_8equal_toIvEEEENSI_INSH_8argumentILj0EEEEENSH_5valueIiEEEEEEEEENSD_19counting_iterator_tIlEES8_S8_S8_S8_S8_S8_S8_S8_EEEEPS9_S9_NSD_9__find_if7functorIS9_EEEE10hipError_tPvRmT1_T2_T3_mT4_P12ihipStream_tbEUlT_E0_NS1_11comp_targetILNS1_3genE8ELNS1_11target_archE1030ELNS1_3gpuE2ELNS1_3repE0EEENS1_30default_config_static_selectorELNS0_4arch9wavefront6targetE1EEEvS17_,"axG",@progbits,_ZN7rocprim17ROCPRIM_400000_NS6detail17trampoline_kernelINS0_14default_configENS1_22reduce_config_selectorIN6thrust23THRUST_200600_302600_NS5tupleIblNS6_9null_typeES8_S8_S8_S8_S8_S8_S8_EEEEZNS1_11reduce_implILb1ES3_NS6_12zip_iteratorINS7_INS6_11hip_rocprim26transform_input_iterator_tIbPiNS6_6detail10functional5actorINSH_9compositeIJNSH_27transparent_binary_operatorINS6_8equal_toIvEEEENSI_INSH_8argumentILj0EEEEENSH_5valueIiEEEEEEEEENSD_19counting_iterator_tIlEES8_S8_S8_S8_S8_S8_S8_S8_EEEEPS9_S9_NSD_9__find_if7functorIS9_EEEE10hipError_tPvRmT1_T2_T3_mT4_P12ihipStream_tbEUlT_E0_NS1_11comp_targetILNS1_3genE8ELNS1_11target_archE1030ELNS1_3gpuE2ELNS1_3repE0EEENS1_30default_config_static_selectorELNS0_4arch9wavefront6targetE1EEEvS17_,comdat
.Lfunc_end982:
	.size	_ZN7rocprim17ROCPRIM_400000_NS6detail17trampoline_kernelINS0_14default_configENS1_22reduce_config_selectorIN6thrust23THRUST_200600_302600_NS5tupleIblNS6_9null_typeES8_S8_S8_S8_S8_S8_S8_EEEEZNS1_11reduce_implILb1ES3_NS6_12zip_iteratorINS7_INS6_11hip_rocprim26transform_input_iterator_tIbPiNS6_6detail10functional5actorINSH_9compositeIJNSH_27transparent_binary_operatorINS6_8equal_toIvEEEENSI_INSH_8argumentILj0EEEEENSH_5valueIiEEEEEEEEENSD_19counting_iterator_tIlEES8_S8_S8_S8_S8_S8_S8_S8_EEEEPS9_S9_NSD_9__find_if7functorIS9_EEEE10hipError_tPvRmT1_T2_T3_mT4_P12ihipStream_tbEUlT_E0_NS1_11comp_targetILNS1_3genE8ELNS1_11target_archE1030ELNS1_3gpuE2ELNS1_3repE0EEENS1_30default_config_static_selectorELNS0_4arch9wavefront6targetE1EEEvS17_, .Lfunc_end982-_ZN7rocprim17ROCPRIM_400000_NS6detail17trampoline_kernelINS0_14default_configENS1_22reduce_config_selectorIN6thrust23THRUST_200600_302600_NS5tupleIblNS6_9null_typeES8_S8_S8_S8_S8_S8_S8_EEEEZNS1_11reduce_implILb1ES3_NS6_12zip_iteratorINS7_INS6_11hip_rocprim26transform_input_iterator_tIbPiNS6_6detail10functional5actorINSH_9compositeIJNSH_27transparent_binary_operatorINS6_8equal_toIvEEEENSI_INSH_8argumentILj0EEEEENSH_5valueIiEEEEEEEEENSD_19counting_iterator_tIlEES8_S8_S8_S8_S8_S8_S8_S8_EEEEPS9_S9_NSD_9__find_if7functorIS9_EEEE10hipError_tPvRmT1_T2_T3_mT4_P12ihipStream_tbEUlT_E0_NS1_11comp_targetILNS1_3genE8ELNS1_11target_archE1030ELNS1_3gpuE2ELNS1_3repE0EEENS1_30default_config_static_selectorELNS0_4arch9wavefront6targetE1EEEvS17_
                                        ; -- End function
	.set _ZN7rocprim17ROCPRIM_400000_NS6detail17trampoline_kernelINS0_14default_configENS1_22reduce_config_selectorIN6thrust23THRUST_200600_302600_NS5tupleIblNS6_9null_typeES8_S8_S8_S8_S8_S8_S8_EEEEZNS1_11reduce_implILb1ES3_NS6_12zip_iteratorINS7_INS6_11hip_rocprim26transform_input_iterator_tIbPiNS6_6detail10functional5actorINSH_9compositeIJNSH_27transparent_binary_operatorINS6_8equal_toIvEEEENSI_INSH_8argumentILj0EEEEENSH_5valueIiEEEEEEEEENSD_19counting_iterator_tIlEES8_S8_S8_S8_S8_S8_S8_S8_EEEEPS9_S9_NSD_9__find_if7functorIS9_EEEE10hipError_tPvRmT1_T2_T3_mT4_P12ihipStream_tbEUlT_E0_NS1_11comp_targetILNS1_3genE8ELNS1_11target_archE1030ELNS1_3gpuE2ELNS1_3repE0EEENS1_30default_config_static_selectorELNS0_4arch9wavefront6targetE1EEEvS17_.num_vgpr, 0
	.set _ZN7rocprim17ROCPRIM_400000_NS6detail17trampoline_kernelINS0_14default_configENS1_22reduce_config_selectorIN6thrust23THRUST_200600_302600_NS5tupleIblNS6_9null_typeES8_S8_S8_S8_S8_S8_S8_EEEEZNS1_11reduce_implILb1ES3_NS6_12zip_iteratorINS7_INS6_11hip_rocprim26transform_input_iterator_tIbPiNS6_6detail10functional5actorINSH_9compositeIJNSH_27transparent_binary_operatorINS6_8equal_toIvEEEENSI_INSH_8argumentILj0EEEEENSH_5valueIiEEEEEEEEENSD_19counting_iterator_tIlEES8_S8_S8_S8_S8_S8_S8_S8_EEEEPS9_S9_NSD_9__find_if7functorIS9_EEEE10hipError_tPvRmT1_T2_T3_mT4_P12ihipStream_tbEUlT_E0_NS1_11comp_targetILNS1_3genE8ELNS1_11target_archE1030ELNS1_3gpuE2ELNS1_3repE0EEENS1_30default_config_static_selectorELNS0_4arch9wavefront6targetE1EEEvS17_.num_agpr, 0
	.set _ZN7rocprim17ROCPRIM_400000_NS6detail17trampoline_kernelINS0_14default_configENS1_22reduce_config_selectorIN6thrust23THRUST_200600_302600_NS5tupleIblNS6_9null_typeES8_S8_S8_S8_S8_S8_S8_EEEEZNS1_11reduce_implILb1ES3_NS6_12zip_iteratorINS7_INS6_11hip_rocprim26transform_input_iterator_tIbPiNS6_6detail10functional5actorINSH_9compositeIJNSH_27transparent_binary_operatorINS6_8equal_toIvEEEENSI_INSH_8argumentILj0EEEEENSH_5valueIiEEEEEEEEENSD_19counting_iterator_tIlEES8_S8_S8_S8_S8_S8_S8_S8_EEEEPS9_S9_NSD_9__find_if7functorIS9_EEEE10hipError_tPvRmT1_T2_T3_mT4_P12ihipStream_tbEUlT_E0_NS1_11comp_targetILNS1_3genE8ELNS1_11target_archE1030ELNS1_3gpuE2ELNS1_3repE0EEENS1_30default_config_static_selectorELNS0_4arch9wavefront6targetE1EEEvS17_.numbered_sgpr, 0
	.set _ZN7rocprim17ROCPRIM_400000_NS6detail17trampoline_kernelINS0_14default_configENS1_22reduce_config_selectorIN6thrust23THRUST_200600_302600_NS5tupleIblNS6_9null_typeES8_S8_S8_S8_S8_S8_S8_EEEEZNS1_11reduce_implILb1ES3_NS6_12zip_iteratorINS7_INS6_11hip_rocprim26transform_input_iterator_tIbPiNS6_6detail10functional5actorINSH_9compositeIJNSH_27transparent_binary_operatorINS6_8equal_toIvEEEENSI_INSH_8argumentILj0EEEEENSH_5valueIiEEEEEEEEENSD_19counting_iterator_tIlEES8_S8_S8_S8_S8_S8_S8_S8_EEEEPS9_S9_NSD_9__find_if7functorIS9_EEEE10hipError_tPvRmT1_T2_T3_mT4_P12ihipStream_tbEUlT_E0_NS1_11comp_targetILNS1_3genE8ELNS1_11target_archE1030ELNS1_3gpuE2ELNS1_3repE0EEENS1_30default_config_static_selectorELNS0_4arch9wavefront6targetE1EEEvS17_.num_named_barrier, 0
	.set _ZN7rocprim17ROCPRIM_400000_NS6detail17trampoline_kernelINS0_14default_configENS1_22reduce_config_selectorIN6thrust23THRUST_200600_302600_NS5tupleIblNS6_9null_typeES8_S8_S8_S8_S8_S8_S8_EEEEZNS1_11reduce_implILb1ES3_NS6_12zip_iteratorINS7_INS6_11hip_rocprim26transform_input_iterator_tIbPiNS6_6detail10functional5actorINSH_9compositeIJNSH_27transparent_binary_operatorINS6_8equal_toIvEEEENSI_INSH_8argumentILj0EEEEENSH_5valueIiEEEEEEEEENSD_19counting_iterator_tIlEES8_S8_S8_S8_S8_S8_S8_S8_EEEEPS9_S9_NSD_9__find_if7functorIS9_EEEE10hipError_tPvRmT1_T2_T3_mT4_P12ihipStream_tbEUlT_E0_NS1_11comp_targetILNS1_3genE8ELNS1_11target_archE1030ELNS1_3gpuE2ELNS1_3repE0EEENS1_30default_config_static_selectorELNS0_4arch9wavefront6targetE1EEEvS17_.private_seg_size, 0
	.set _ZN7rocprim17ROCPRIM_400000_NS6detail17trampoline_kernelINS0_14default_configENS1_22reduce_config_selectorIN6thrust23THRUST_200600_302600_NS5tupleIblNS6_9null_typeES8_S8_S8_S8_S8_S8_S8_EEEEZNS1_11reduce_implILb1ES3_NS6_12zip_iteratorINS7_INS6_11hip_rocprim26transform_input_iterator_tIbPiNS6_6detail10functional5actorINSH_9compositeIJNSH_27transparent_binary_operatorINS6_8equal_toIvEEEENSI_INSH_8argumentILj0EEEEENSH_5valueIiEEEEEEEEENSD_19counting_iterator_tIlEES8_S8_S8_S8_S8_S8_S8_S8_EEEEPS9_S9_NSD_9__find_if7functorIS9_EEEE10hipError_tPvRmT1_T2_T3_mT4_P12ihipStream_tbEUlT_E0_NS1_11comp_targetILNS1_3genE8ELNS1_11target_archE1030ELNS1_3gpuE2ELNS1_3repE0EEENS1_30default_config_static_selectorELNS0_4arch9wavefront6targetE1EEEvS17_.uses_vcc, 0
	.set _ZN7rocprim17ROCPRIM_400000_NS6detail17trampoline_kernelINS0_14default_configENS1_22reduce_config_selectorIN6thrust23THRUST_200600_302600_NS5tupleIblNS6_9null_typeES8_S8_S8_S8_S8_S8_S8_EEEEZNS1_11reduce_implILb1ES3_NS6_12zip_iteratorINS7_INS6_11hip_rocprim26transform_input_iterator_tIbPiNS6_6detail10functional5actorINSH_9compositeIJNSH_27transparent_binary_operatorINS6_8equal_toIvEEEENSI_INSH_8argumentILj0EEEEENSH_5valueIiEEEEEEEEENSD_19counting_iterator_tIlEES8_S8_S8_S8_S8_S8_S8_S8_EEEEPS9_S9_NSD_9__find_if7functorIS9_EEEE10hipError_tPvRmT1_T2_T3_mT4_P12ihipStream_tbEUlT_E0_NS1_11comp_targetILNS1_3genE8ELNS1_11target_archE1030ELNS1_3gpuE2ELNS1_3repE0EEENS1_30default_config_static_selectorELNS0_4arch9wavefront6targetE1EEEvS17_.uses_flat_scratch, 0
	.set _ZN7rocprim17ROCPRIM_400000_NS6detail17trampoline_kernelINS0_14default_configENS1_22reduce_config_selectorIN6thrust23THRUST_200600_302600_NS5tupleIblNS6_9null_typeES8_S8_S8_S8_S8_S8_S8_EEEEZNS1_11reduce_implILb1ES3_NS6_12zip_iteratorINS7_INS6_11hip_rocprim26transform_input_iterator_tIbPiNS6_6detail10functional5actorINSH_9compositeIJNSH_27transparent_binary_operatorINS6_8equal_toIvEEEENSI_INSH_8argumentILj0EEEEENSH_5valueIiEEEEEEEEENSD_19counting_iterator_tIlEES8_S8_S8_S8_S8_S8_S8_S8_EEEEPS9_S9_NSD_9__find_if7functorIS9_EEEE10hipError_tPvRmT1_T2_T3_mT4_P12ihipStream_tbEUlT_E0_NS1_11comp_targetILNS1_3genE8ELNS1_11target_archE1030ELNS1_3gpuE2ELNS1_3repE0EEENS1_30default_config_static_selectorELNS0_4arch9wavefront6targetE1EEEvS17_.has_dyn_sized_stack, 0
	.set _ZN7rocprim17ROCPRIM_400000_NS6detail17trampoline_kernelINS0_14default_configENS1_22reduce_config_selectorIN6thrust23THRUST_200600_302600_NS5tupleIblNS6_9null_typeES8_S8_S8_S8_S8_S8_S8_EEEEZNS1_11reduce_implILb1ES3_NS6_12zip_iteratorINS7_INS6_11hip_rocprim26transform_input_iterator_tIbPiNS6_6detail10functional5actorINSH_9compositeIJNSH_27transparent_binary_operatorINS6_8equal_toIvEEEENSI_INSH_8argumentILj0EEEEENSH_5valueIiEEEEEEEEENSD_19counting_iterator_tIlEES8_S8_S8_S8_S8_S8_S8_S8_EEEEPS9_S9_NSD_9__find_if7functorIS9_EEEE10hipError_tPvRmT1_T2_T3_mT4_P12ihipStream_tbEUlT_E0_NS1_11comp_targetILNS1_3genE8ELNS1_11target_archE1030ELNS1_3gpuE2ELNS1_3repE0EEENS1_30default_config_static_selectorELNS0_4arch9wavefront6targetE1EEEvS17_.has_recursion, 0
	.set _ZN7rocprim17ROCPRIM_400000_NS6detail17trampoline_kernelINS0_14default_configENS1_22reduce_config_selectorIN6thrust23THRUST_200600_302600_NS5tupleIblNS6_9null_typeES8_S8_S8_S8_S8_S8_S8_EEEEZNS1_11reduce_implILb1ES3_NS6_12zip_iteratorINS7_INS6_11hip_rocprim26transform_input_iterator_tIbPiNS6_6detail10functional5actorINSH_9compositeIJNSH_27transparent_binary_operatorINS6_8equal_toIvEEEENSI_INSH_8argumentILj0EEEEENSH_5valueIiEEEEEEEEENSD_19counting_iterator_tIlEES8_S8_S8_S8_S8_S8_S8_S8_EEEEPS9_S9_NSD_9__find_if7functorIS9_EEEE10hipError_tPvRmT1_T2_T3_mT4_P12ihipStream_tbEUlT_E0_NS1_11comp_targetILNS1_3genE8ELNS1_11target_archE1030ELNS1_3gpuE2ELNS1_3repE0EEENS1_30default_config_static_selectorELNS0_4arch9wavefront6targetE1EEEvS17_.has_indirect_call, 0
	.section	.AMDGPU.csdata,"",@progbits
; Kernel info:
; codeLenInByte = 0
; TotalNumSgprs: 4
; NumVgprs: 0
; ScratchSize: 0
; MemoryBound: 0
; FloatMode: 240
; IeeeMode: 1
; LDSByteSize: 0 bytes/workgroup (compile time only)
; SGPRBlocks: 0
; VGPRBlocks: 0
; NumSGPRsForWavesPerEU: 4
; NumVGPRsForWavesPerEU: 1
; Occupancy: 10
; WaveLimiterHint : 0
; COMPUTE_PGM_RSRC2:SCRATCH_EN: 0
; COMPUTE_PGM_RSRC2:USER_SGPR: 6
; COMPUTE_PGM_RSRC2:TRAP_HANDLER: 0
; COMPUTE_PGM_RSRC2:TGID_X_EN: 1
; COMPUTE_PGM_RSRC2:TGID_Y_EN: 0
; COMPUTE_PGM_RSRC2:TGID_Z_EN: 0
; COMPUTE_PGM_RSRC2:TIDIG_COMP_CNT: 0
	.section	.text._ZN7rocprim17ROCPRIM_400000_NS6detail17trampoline_kernelINS0_14default_configENS1_22reduce_config_selectorIN6thrust23THRUST_200600_302600_NS5tupleIblNS6_9null_typeES8_S8_S8_S8_S8_S8_S8_EEEEZNS1_11reduce_implILb1ES3_NS6_12zip_iteratorINS7_INS6_11hip_rocprim26transform_input_iterator_tIbPiNS6_6detail10functional5actorINSH_9compositeIJNSH_27transparent_binary_operatorINS6_8equal_toIvEEEENSI_INSH_8argumentILj0EEEEENSH_5valueIiEEEEEEEEENSD_19counting_iterator_tIlEES8_S8_S8_S8_S8_S8_S8_S8_EEEEPS9_S9_NSD_9__find_if7functorIS9_EEEE10hipError_tPvRmT1_T2_T3_mT4_P12ihipStream_tbEUlT_E1_NS1_11comp_targetILNS1_3genE0ELNS1_11target_archE4294967295ELNS1_3gpuE0ELNS1_3repE0EEENS1_30default_config_static_selectorELNS0_4arch9wavefront6targetE1EEEvS17_,"axG",@progbits,_ZN7rocprim17ROCPRIM_400000_NS6detail17trampoline_kernelINS0_14default_configENS1_22reduce_config_selectorIN6thrust23THRUST_200600_302600_NS5tupleIblNS6_9null_typeES8_S8_S8_S8_S8_S8_S8_EEEEZNS1_11reduce_implILb1ES3_NS6_12zip_iteratorINS7_INS6_11hip_rocprim26transform_input_iterator_tIbPiNS6_6detail10functional5actorINSH_9compositeIJNSH_27transparent_binary_operatorINS6_8equal_toIvEEEENSI_INSH_8argumentILj0EEEEENSH_5valueIiEEEEEEEEENSD_19counting_iterator_tIlEES8_S8_S8_S8_S8_S8_S8_S8_EEEEPS9_S9_NSD_9__find_if7functorIS9_EEEE10hipError_tPvRmT1_T2_T3_mT4_P12ihipStream_tbEUlT_E1_NS1_11comp_targetILNS1_3genE0ELNS1_11target_archE4294967295ELNS1_3gpuE0ELNS1_3repE0EEENS1_30default_config_static_selectorELNS0_4arch9wavefront6targetE1EEEvS17_,comdat
	.protected	_ZN7rocprim17ROCPRIM_400000_NS6detail17trampoline_kernelINS0_14default_configENS1_22reduce_config_selectorIN6thrust23THRUST_200600_302600_NS5tupleIblNS6_9null_typeES8_S8_S8_S8_S8_S8_S8_EEEEZNS1_11reduce_implILb1ES3_NS6_12zip_iteratorINS7_INS6_11hip_rocprim26transform_input_iterator_tIbPiNS6_6detail10functional5actorINSH_9compositeIJNSH_27transparent_binary_operatorINS6_8equal_toIvEEEENSI_INSH_8argumentILj0EEEEENSH_5valueIiEEEEEEEEENSD_19counting_iterator_tIlEES8_S8_S8_S8_S8_S8_S8_S8_EEEEPS9_S9_NSD_9__find_if7functorIS9_EEEE10hipError_tPvRmT1_T2_T3_mT4_P12ihipStream_tbEUlT_E1_NS1_11comp_targetILNS1_3genE0ELNS1_11target_archE4294967295ELNS1_3gpuE0ELNS1_3repE0EEENS1_30default_config_static_selectorELNS0_4arch9wavefront6targetE1EEEvS17_ ; -- Begin function _ZN7rocprim17ROCPRIM_400000_NS6detail17trampoline_kernelINS0_14default_configENS1_22reduce_config_selectorIN6thrust23THRUST_200600_302600_NS5tupleIblNS6_9null_typeES8_S8_S8_S8_S8_S8_S8_EEEEZNS1_11reduce_implILb1ES3_NS6_12zip_iteratorINS7_INS6_11hip_rocprim26transform_input_iterator_tIbPiNS6_6detail10functional5actorINSH_9compositeIJNSH_27transparent_binary_operatorINS6_8equal_toIvEEEENSI_INSH_8argumentILj0EEEEENSH_5valueIiEEEEEEEEENSD_19counting_iterator_tIlEES8_S8_S8_S8_S8_S8_S8_S8_EEEEPS9_S9_NSD_9__find_if7functorIS9_EEEE10hipError_tPvRmT1_T2_T3_mT4_P12ihipStream_tbEUlT_E1_NS1_11comp_targetILNS1_3genE0ELNS1_11target_archE4294967295ELNS1_3gpuE0ELNS1_3repE0EEENS1_30default_config_static_selectorELNS0_4arch9wavefront6targetE1EEEvS17_
	.globl	_ZN7rocprim17ROCPRIM_400000_NS6detail17trampoline_kernelINS0_14default_configENS1_22reduce_config_selectorIN6thrust23THRUST_200600_302600_NS5tupleIblNS6_9null_typeES8_S8_S8_S8_S8_S8_S8_EEEEZNS1_11reduce_implILb1ES3_NS6_12zip_iteratorINS7_INS6_11hip_rocprim26transform_input_iterator_tIbPiNS6_6detail10functional5actorINSH_9compositeIJNSH_27transparent_binary_operatorINS6_8equal_toIvEEEENSI_INSH_8argumentILj0EEEEENSH_5valueIiEEEEEEEEENSD_19counting_iterator_tIlEES8_S8_S8_S8_S8_S8_S8_S8_EEEEPS9_S9_NSD_9__find_if7functorIS9_EEEE10hipError_tPvRmT1_T2_T3_mT4_P12ihipStream_tbEUlT_E1_NS1_11comp_targetILNS1_3genE0ELNS1_11target_archE4294967295ELNS1_3gpuE0ELNS1_3repE0EEENS1_30default_config_static_selectorELNS0_4arch9wavefront6targetE1EEEvS17_
	.p2align	8
	.type	_ZN7rocprim17ROCPRIM_400000_NS6detail17trampoline_kernelINS0_14default_configENS1_22reduce_config_selectorIN6thrust23THRUST_200600_302600_NS5tupleIblNS6_9null_typeES8_S8_S8_S8_S8_S8_S8_EEEEZNS1_11reduce_implILb1ES3_NS6_12zip_iteratorINS7_INS6_11hip_rocprim26transform_input_iterator_tIbPiNS6_6detail10functional5actorINSH_9compositeIJNSH_27transparent_binary_operatorINS6_8equal_toIvEEEENSI_INSH_8argumentILj0EEEEENSH_5valueIiEEEEEEEEENSD_19counting_iterator_tIlEES8_S8_S8_S8_S8_S8_S8_S8_EEEEPS9_S9_NSD_9__find_if7functorIS9_EEEE10hipError_tPvRmT1_T2_T3_mT4_P12ihipStream_tbEUlT_E1_NS1_11comp_targetILNS1_3genE0ELNS1_11target_archE4294967295ELNS1_3gpuE0ELNS1_3repE0EEENS1_30default_config_static_selectorELNS0_4arch9wavefront6targetE1EEEvS17_,@function
_ZN7rocprim17ROCPRIM_400000_NS6detail17trampoline_kernelINS0_14default_configENS1_22reduce_config_selectorIN6thrust23THRUST_200600_302600_NS5tupleIblNS6_9null_typeES8_S8_S8_S8_S8_S8_S8_EEEEZNS1_11reduce_implILb1ES3_NS6_12zip_iteratorINS7_INS6_11hip_rocprim26transform_input_iterator_tIbPiNS6_6detail10functional5actorINSH_9compositeIJNSH_27transparent_binary_operatorINS6_8equal_toIvEEEENSI_INSH_8argumentILj0EEEEENSH_5valueIiEEEEEEEEENSD_19counting_iterator_tIlEES8_S8_S8_S8_S8_S8_S8_S8_EEEEPS9_S9_NSD_9__find_if7functorIS9_EEEE10hipError_tPvRmT1_T2_T3_mT4_P12ihipStream_tbEUlT_E1_NS1_11comp_targetILNS1_3genE0ELNS1_11target_archE4294967295ELNS1_3gpuE0ELNS1_3repE0EEENS1_30default_config_static_selectorELNS0_4arch9wavefront6targetE1EEEvS17_: ; @_ZN7rocprim17ROCPRIM_400000_NS6detail17trampoline_kernelINS0_14default_configENS1_22reduce_config_selectorIN6thrust23THRUST_200600_302600_NS5tupleIblNS6_9null_typeES8_S8_S8_S8_S8_S8_S8_EEEEZNS1_11reduce_implILb1ES3_NS6_12zip_iteratorINS7_INS6_11hip_rocprim26transform_input_iterator_tIbPiNS6_6detail10functional5actorINSH_9compositeIJNSH_27transparent_binary_operatorINS6_8equal_toIvEEEENSI_INSH_8argumentILj0EEEEENSH_5valueIiEEEEEEEEENSD_19counting_iterator_tIlEES8_S8_S8_S8_S8_S8_S8_S8_EEEEPS9_S9_NSD_9__find_if7functorIS9_EEEE10hipError_tPvRmT1_T2_T3_mT4_P12ihipStream_tbEUlT_E1_NS1_11comp_targetILNS1_3genE0ELNS1_11target_archE4294967295ELNS1_3gpuE0ELNS1_3repE0EEENS1_30default_config_static_selectorELNS0_4arch9wavefront6targetE1EEEvS17_
; %bb.0:
	.section	.rodata,"a",@progbits
	.p2align	6, 0x0
	.amdhsa_kernel _ZN7rocprim17ROCPRIM_400000_NS6detail17trampoline_kernelINS0_14default_configENS1_22reduce_config_selectorIN6thrust23THRUST_200600_302600_NS5tupleIblNS6_9null_typeES8_S8_S8_S8_S8_S8_S8_EEEEZNS1_11reduce_implILb1ES3_NS6_12zip_iteratorINS7_INS6_11hip_rocprim26transform_input_iterator_tIbPiNS6_6detail10functional5actorINSH_9compositeIJNSH_27transparent_binary_operatorINS6_8equal_toIvEEEENSI_INSH_8argumentILj0EEEEENSH_5valueIiEEEEEEEEENSD_19counting_iterator_tIlEES8_S8_S8_S8_S8_S8_S8_S8_EEEEPS9_S9_NSD_9__find_if7functorIS9_EEEE10hipError_tPvRmT1_T2_T3_mT4_P12ihipStream_tbEUlT_E1_NS1_11comp_targetILNS1_3genE0ELNS1_11target_archE4294967295ELNS1_3gpuE0ELNS1_3repE0EEENS1_30default_config_static_selectorELNS0_4arch9wavefront6targetE1EEEvS17_
		.amdhsa_group_segment_fixed_size 0
		.amdhsa_private_segment_fixed_size 0
		.amdhsa_kernarg_size 72
		.amdhsa_user_sgpr_count 6
		.amdhsa_user_sgpr_private_segment_buffer 1
		.amdhsa_user_sgpr_dispatch_ptr 0
		.amdhsa_user_sgpr_queue_ptr 0
		.amdhsa_user_sgpr_kernarg_segment_ptr 1
		.amdhsa_user_sgpr_dispatch_id 0
		.amdhsa_user_sgpr_flat_scratch_init 0
		.amdhsa_user_sgpr_private_segment_size 0
		.amdhsa_uses_dynamic_stack 0
		.amdhsa_system_sgpr_private_segment_wavefront_offset 0
		.amdhsa_system_sgpr_workgroup_id_x 1
		.amdhsa_system_sgpr_workgroup_id_y 0
		.amdhsa_system_sgpr_workgroup_id_z 0
		.amdhsa_system_sgpr_workgroup_info 0
		.amdhsa_system_vgpr_workitem_id 0
		.amdhsa_next_free_vgpr 1
		.amdhsa_next_free_sgpr 0
		.amdhsa_reserve_vcc 0
		.amdhsa_reserve_flat_scratch 0
		.amdhsa_float_round_mode_32 0
		.amdhsa_float_round_mode_16_64 0
		.amdhsa_float_denorm_mode_32 3
		.amdhsa_float_denorm_mode_16_64 3
		.amdhsa_dx10_clamp 1
		.amdhsa_ieee_mode 1
		.amdhsa_fp16_overflow 0
		.amdhsa_exception_fp_ieee_invalid_op 0
		.amdhsa_exception_fp_denorm_src 0
		.amdhsa_exception_fp_ieee_div_zero 0
		.amdhsa_exception_fp_ieee_overflow 0
		.amdhsa_exception_fp_ieee_underflow 0
		.amdhsa_exception_fp_ieee_inexact 0
		.amdhsa_exception_int_div_zero 0
	.end_amdhsa_kernel
	.section	.text._ZN7rocprim17ROCPRIM_400000_NS6detail17trampoline_kernelINS0_14default_configENS1_22reduce_config_selectorIN6thrust23THRUST_200600_302600_NS5tupleIblNS6_9null_typeES8_S8_S8_S8_S8_S8_S8_EEEEZNS1_11reduce_implILb1ES3_NS6_12zip_iteratorINS7_INS6_11hip_rocprim26transform_input_iterator_tIbPiNS6_6detail10functional5actorINSH_9compositeIJNSH_27transparent_binary_operatorINS6_8equal_toIvEEEENSI_INSH_8argumentILj0EEEEENSH_5valueIiEEEEEEEEENSD_19counting_iterator_tIlEES8_S8_S8_S8_S8_S8_S8_S8_EEEEPS9_S9_NSD_9__find_if7functorIS9_EEEE10hipError_tPvRmT1_T2_T3_mT4_P12ihipStream_tbEUlT_E1_NS1_11comp_targetILNS1_3genE0ELNS1_11target_archE4294967295ELNS1_3gpuE0ELNS1_3repE0EEENS1_30default_config_static_selectorELNS0_4arch9wavefront6targetE1EEEvS17_,"axG",@progbits,_ZN7rocprim17ROCPRIM_400000_NS6detail17trampoline_kernelINS0_14default_configENS1_22reduce_config_selectorIN6thrust23THRUST_200600_302600_NS5tupleIblNS6_9null_typeES8_S8_S8_S8_S8_S8_S8_EEEEZNS1_11reduce_implILb1ES3_NS6_12zip_iteratorINS7_INS6_11hip_rocprim26transform_input_iterator_tIbPiNS6_6detail10functional5actorINSH_9compositeIJNSH_27transparent_binary_operatorINS6_8equal_toIvEEEENSI_INSH_8argumentILj0EEEEENSH_5valueIiEEEEEEEEENSD_19counting_iterator_tIlEES8_S8_S8_S8_S8_S8_S8_S8_EEEEPS9_S9_NSD_9__find_if7functorIS9_EEEE10hipError_tPvRmT1_T2_T3_mT4_P12ihipStream_tbEUlT_E1_NS1_11comp_targetILNS1_3genE0ELNS1_11target_archE4294967295ELNS1_3gpuE0ELNS1_3repE0EEENS1_30default_config_static_selectorELNS0_4arch9wavefront6targetE1EEEvS17_,comdat
.Lfunc_end983:
	.size	_ZN7rocprim17ROCPRIM_400000_NS6detail17trampoline_kernelINS0_14default_configENS1_22reduce_config_selectorIN6thrust23THRUST_200600_302600_NS5tupleIblNS6_9null_typeES8_S8_S8_S8_S8_S8_S8_EEEEZNS1_11reduce_implILb1ES3_NS6_12zip_iteratorINS7_INS6_11hip_rocprim26transform_input_iterator_tIbPiNS6_6detail10functional5actorINSH_9compositeIJNSH_27transparent_binary_operatorINS6_8equal_toIvEEEENSI_INSH_8argumentILj0EEEEENSH_5valueIiEEEEEEEEENSD_19counting_iterator_tIlEES8_S8_S8_S8_S8_S8_S8_S8_EEEEPS9_S9_NSD_9__find_if7functorIS9_EEEE10hipError_tPvRmT1_T2_T3_mT4_P12ihipStream_tbEUlT_E1_NS1_11comp_targetILNS1_3genE0ELNS1_11target_archE4294967295ELNS1_3gpuE0ELNS1_3repE0EEENS1_30default_config_static_selectorELNS0_4arch9wavefront6targetE1EEEvS17_, .Lfunc_end983-_ZN7rocprim17ROCPRIM_400000_NS6detail17trampoline_kernelINS0_14default_configENS1_22reduce_config_selectorIN6thrust23THRUST_200600_302600_NS5tupleIblNS6_9null_typeES8_S8_S8_S8_S8_S8_S8_EEEEZNS1_11reduce_implILb1ES3_NS6_12zip_iteratorINS7_INS6_11hip_rocprim26transform_input_iterator_tIbPiNS6_6detail10functional5actorINSH_9compositeIJNSH_27transparent_binary_operatorINS6_8equal_toIvEEEENSI_INSH_8argumentILj0EEEEENSH_5valueIiEEEEEEEEENSD_19counting_iterator_tIlEES8_S8_S8_S8_S8_S8_S8_S8_EEEEPS9_S9_NSD_9__find_if7functorIS9_EEEE10hipError_tPvRmT1_T2_T3_mT4_P12ihipStream_tbEUlT_E1_NS1_11comp_targetILNS1_3genE0ELNS1_11target_archE4294967295ELNS1_3gpuE0ELNS1_3repE0EEENS1_30default_config_static_selectorELNS0_4arch9wavefront6targetE1EEEvS17_
                                        ; -- End function
	.set _ZN7rocprim17ROCPRIM_400000_NS6detail17trampoline_kernelINS0_14default_configENS1_22reduce_config_selectorIN6thrust23THRUST_200600_302600_NS5tupleIblNS6_9null_typeES8_S8_S8_S8_S8_S8_S8_EEEEZNS1_11reduce_implILb1ES3_NS6_12zip_iteratorINS7_INS6_11hip_rocprim26transform_input_iterator_tIbPiNS6_6detail10functional5actorINSH_9compositeIJNSH_27transparent_binary_operatorINS6_8equal_toIvEEEENSI_INSH_8argumentILj0EEEEENSH_5valueIiEEEEEEEEENSD_19counting_iterator_tIlEES8_S8_S8_S8_S8_S8_S8_S8_EEEEPS9_S9_NSD_9__find_if7functorIS9_EEEE10hipError_tPvRmT1_T2_T3_mT4_P12ihipStream_tbEUlT_E1_NS1_11comp_targetILNS1_3genE0ELNS1_11target_archE4294967295ELNS1_3gpuE0ELNS1_3repE0EEENS1_30default_config_static_selectorELNS0_4arch9wavefront6targetE1EEEvS17_.num_vgpr, 0
	.set _ZN7rocprim17ROCPRIM_400000_NS6detail17trampoline_kernelINS0_14default_configENS1_22reduce_config_selectorIN6thrust23THRUST_200600_302600_NS5tupleIblNS6_9null_typeES8_S8_S8_S8_S8_S8_S8_EEEEZNS1_11reduce_implILb1ES3_NS6_12zip_iteratorINS7_INS6_11hip_rocprim26transform_input_iterator_tIbPiNS6_6detail10functional5actorINSH_9compositeIJNSH_27transparent_binary_operatorINS6_8equal_toIvEEEENSI_INSH_8argumentILj0EEEEENSH_5valueIiEEEEEEEEENSD_19counting_iterator_tIlEES8_S8_S8_S8_S8_S8_S8_S8_EEEEPS9_S9_NSD_9__find_if7functorIS9_EEEE10hipError_tPvRmT1_T2_T3_mT4_P12ihipStream_tbEUlT_E1_NS1_11comp_targetILNS1_3genE0ELNS1_11target_archE4294967295ELNS1_3gpuE0ELNS1_3repE0EEENS1_30default_config_static_selectorELNS0_4arch9wavefront6targetE1EEEvS17_.num_agpr, 0
	.set _ZN7rocprim17ROCPRIM_400000_NS6detail17trampoline_kernelINS0_14default_configENS1_22reduce_config_selectorIN6thrust23THRUST_200600_302600_NS5tupleIblNS6_9null_typeES8_S8_S8_S8_S8_S8_S8_EEEEZNS1_11reduce_implILb1ES3_NS6_12zip_iteratorINS7_INS6_11hip_rocprim26transform_input_iterator_tIbPiNS6_6detail10functional5actorINSH_9compositeIJNSH_27transparent_binary_operatorINS6_8equal_toIvEEEENSI_INSH_8argumentILj0EEEEENSH_5valueIiEEEEEEEEENSD_19counting_iterator_tIlEES8_S8_S8_S8_S8_S8_S8_S8_EEEEPS9_S9_NSD_9__find_if7functorIS9_EEEE10hipError_tPvRmT1_T2_T3_mT4_P12ihipStream_tbEUlT_E1_NS1_11comp_targetILNS1_3genE0ELNS1_11target_archE4294967295ELNS1_3gpuE0ELNS1_3repE0EEENS1_30default_config_static_selectorELNS0_4arch9wavefront6targetE1EEEvS17_.numbered_sgpr, 0
	.set _ZN7rocprim17ROCPRIM_400000_NS6detail17trampoline_kernelINS0_14default_configENS1_22reduce_config_selectorIN6thrust23THRUST_200600_302600_NS5tupleIblNS6_9null_typeES8_S8_S8_S8_S8_S8_S8_EEEEZNS1_11reduce_implILb1ES3_NS6_12zip_iteratorINS7_INS6_11hip_rocprim26transform_input_iterator_tIbPiNS6_6detail10functional5actorINSH_9compositeIJNSH_27transparent_binary_operatorINS6_8equal_toIvEEEENSI_INSH_8argumentILj0EEEEENSH_5valueIiEEEEEEEEENSD_19counting_iterator_tIlEES8_S8_S8_S8_S8_S8_S8_S8_EEEEPS9_S9_NSD_9__find_if7functorIS9_EEEE10hipError_tPvRmT1_T2_T3_mT4_P12ihipStream_tbEUlT_E1_NS1_11comp_targetILNS1_3genE0ELNS1_11target_archE4294967295ELNS1_3gpuE0ELNS1_3repE0EEENS1_30default_config_static_selectorELNS0_4arch9wavefront6targetE1EEEvS17_.num_named_barrier, 0
	.set _ZN7rocprim17ROCPRIM_400000_NS6detail17trampoline_kernelINS0_14default_configENS1_22reduce_config_selectorIN6thrust23THRUST_200600_302600_NS5tupleIblNS6_9null_typeES8_S8_S8_S8_S8_S8_S8_EEEEZNS1_11reduce_implILb1ES3_NS6_12zip_iteratorINS7_INS6_11hip_rocprim26transform_input_iterator_tIbPiNS6_6detail10functional5actorINSH_9compositeIJNSH_27transparent_binary_operatorINS6_8equal_toIvEEEENSI_INSH_8argumentILj0EEEEENSH_5valueIiEEEEEEEEENSD_19counting_iterator_tIlEES8_S8_S8_S8_S8_S8_S8_S8_EEEEPS9_S9_NSD_9__find_if7functorIS9_EEEE10hipError_tPvRmT1_T2_T3_mT4_P12ihipStream_tbEUlT_E1_NS1_11comp_targetILNS1_3genE0ELNS1_11target_archE4294967295ELNS1_3gpuE0ELNS1_3repE0EEENS1_30default_config_static_selectorELNS0_4arch9wavefront6targetE1EEEvS17_.private_seg_size, 0
	.set _ZN7rocprim17ROCPRIM_400000_NS6detail17trampoline_kernelINS0_14default_configENS1_22reduce_config_selectorIN6thrust23THRUST_200600_302600_NS5tupleIblNS6_9null_typeES8_S8_S8_S8_S8_S8_S8_EEEEZNS1_11reduce_implILb1ES3_NS6_12zip_iteratorINS7_INS6_11hip_rocprim26transform_input_iterator_tIbPiNS6_6detail10functional5actorINSH_9compositeIJNSH_27transparent_binary_operatorINS6_8equal_toIvEEEENSI_INSH_8argumentILj0EEEEENSH_5valueIiEEEEEEEEENSD_19counting_iterator_tIlEES8_S8_S8_S8_S8_S8_S8_S8_EEEEPS9_S9_NSD_9__find_if7functorIS9_EEEE10hipError_tPvRmT1_T2_T3_mT4_P12ihipStream_tbEUlT_E1_NS1_11comp_targetILNS1_3genE0ELNS1_11target_archE4294967295ELNS1_3gpuE0ELNS1_3repE0EEENS1_30default_config_static_selectorELNS0_4arch9wavefront6targetE1EEEvS17_.uses_vcc, 0
	.set _ZN7rocprim17ROCPRIM_400000_NS6detail17trampoline_kernelINS0_14default_configENS1_22reduce_config_selectorIN6thrust23THRUST_200600_302600_NS5tupleIblNS6_9null_typeES8_S8_S8_S8_S8_S8_S8_EEEEZNS1_11reduce_implILb1ES3_NS6_12zip_iteratorINS7_INS6_11hip_rocprim26transform_input_iterator_tIbPiNS6_6detail10functional5actorINSH_9compositeIJNSH_27transparent_binary_operatorINS6_8equal_toIvEEEENSI_INSH_8argumentILj0EEEEENSH_5valueIiEEEEEEEEENSD_19counting_iterator_tIlEES8_S8_S8_S8_S8_S8_S8_S8_EEEEPS9_S9_NSD_9__find_if7functorIS9_EEEE10hipError_tPvRmT1_T2_T3_mT4_P12ihipStream_tbEUlT_E1_NS1_11comp_targetILNS1_3genE0ELNS1_11target_archE4294967295ELNS1_3gpuE0ELNS1_3repE0EEENS1_30default_config_static_selectorELNS0_4arch9wavefront6targetE1EEEvS17_.uses_flat_scratch, 0
	.set _ZN7rocprim17ROCPRIM_400000_NS6detail17trampoline_kernelINS0_14default_configENS1_22reduce_config_selectorIN6thrust23THRUST_200600_302600_NS5tupleIblNS6_9null_typeES8_S8_S8_S8_S8_S8_S8_EEEEZNS1_11reduce_implILb1ES3_NS6_12zip_iteratorINS7_INS6_11hip_rocprim26transform_input_iterator_tIbPiNS6_6detail10functional5actorINSH_9compositeIJNSH_27transparent_binary_operatorINS6_8equal_toIvEEEENSI_INSH_8argumentILj0EEEEENSH_5valueIiEEEEEEEEENSD_19counting_iterator_tIlEES8_S8_S8_S8_S8_S8_S8_S8_EEEEPS9_S9_NSD_9__find_if7functorIS9_EEEE10hipError_tPvRmT1_T2_T3_mT4_P12ihipStream_tbEUlT_E1_NS1_11comp_targetILNS1_3genE0ELNS1_11target_archE4294967295ELNS1_3gpuE0ELNS1_3repE0EEENS1_30default_config_static_selectorELNS0_4arch9wavefront6targetE1EEEvS17_.has_dyn_sized_stack, 0
	.set _ZN7rocprim17ROCPRIM_400000_NS6detail17trampoline_kernelINS0_14default_configENS1_22reduce_config_selectorIN6thrust23THRUST_200600_302600_NS5tupleIblNS6_9null_typeES8_S8_S8_S8_S8_S8_S8_EEEEZNS1_11reduce_implILb1ES3_NS6_12zip_iteratorINS7_INS6_11hip_rocprim26transform_input_iterator_tIbPiNS6_6detail10functional5actorINSH_9compositeIJNSH_27transparent_binary_operatorINS6_8equal_toIvEEEENSI_INSH_8argumentILj0EEEEENSH_5valueIiEEEEEEEEENSD_19counting_iterator_tIlEES8_S8_S8_S8_S8_S8_S8_S8_EEEEPS9_S9_NSD_9__find_if7functorIS9_EEEE10hipError_tPvRmT1_T2_T3_mT4_P12ihipStream_tbEUlT_E1_NS1_11comp_targetILNS1_3genE0ELNS1_11target_archE4294967295ELNS1_3gpuE0ELNS1_3repE0EEENS1_30default_config_static_selectorELNS0_4arch9wavefront6targetE1EEEvS17_.has_recursion, 0
	.set _ZN7rocprim17ROCPRIM_400000_NS6detail17trampoline_kernelINS0_14default_configENS1_22reduce_config_selectorIN6thrust23THRUST_200600_302600_NS5tupleIblNS6_9null_typeES8_S8_S8_S8_S8_S8_S8_EEEEZNS1_11reduce_implILb1ES3_NS6_12zip_iteratorINS7_INS6_11hip_rocprim26transform_input_iterator_tIbPiNS6_6detail10functional5actorINSH_9compositeIJNSH_27transparent_binary_operatorINS6_8equal_toIvEEEENSI_INSH_8argumentILj0EEEEENSH_5valueIiEEEEEEEEENSD_19counting_iterator_tIlEES8_S8_S8_S8_S8_S8_S8_S8_EEEEPS9_S9_NSD_9__find_if7functorIS9_EEEE10hipError_tPvRmT1_T2_T3_mT4_P12ihipStream_tbEUlT_E1_NS1_11comp_targetILNS1_3genE0ELNS1_11target_archE4294967295ELNS1_3gpuE0ELNS1_3repE0EEENS1_30default_config_static_selectorELNS0_4arch9wavefront6targetE1EEEvS17_.has_indirect_call, 0
	.section	.AMDGPU.csdata,"",@progbits
; Kernel info:
; codeLenInByte = 0
; TotalNumSgprs: 4
; NumVgprs: 0
; ScratchSize: 0
; MemoryBound: 0
; FloatMode: 240
; IeeeMode: 1
; LDSByteSize: 0 bytes/workgroup (compile time only)
; SGPRBlocks: 0
; VGPRBlocks: 0
; NumSGPRsForWavesPerEU: 4
; NumVGPRsForWavesPerEU: 1
; Occupancy: 10
; WaveLimiterHint : 0
; COMPUTE_PGM_RSRC2:SCRATCH_EN: 0
; COMPUTE_PGM_RSRC2:USER_SGPR: 6
; COMPUTE_PGM_RSRC2:TRAP_HANDLER: 0
; COMPUTE_PGM_RSRC2:TGID_X_EN: 1
; COMPUTE_PGM_RSRC2:TGID_Y_EN: 0
; COMPUTE_PGM_RSRC2:TGID_Z_EN: 0
; COMPUTE_PGM_RSRC2:TIDIG_COMP_CNT: 0
	.section	.text._ZN7rocprim17ROCPRIM_400000_NS6detail17trampoline_kernelINS0_14default_configENS1_22reduce_config_selectorIN6thrust23THRUST_200600_302600_NS5tupleIblNS6_9null_typeES8_S8_S8_S8_S8_S8_S8_EEEEZNS1_11reduce_implILb1ES3_NS6_12zip_iteratorINS7_INS6_11hip_rocprim26transform_input_iterator_tIbPiNS6_6detail10functional5actorINSH_9compositeIJNSH_27transparent_binary_operatorINS6_8equal_toIvEEEENSI_INSH_8argumentILj0EEEEENSH_5valueIiEEEEEEEEENSD_19counting_iterator_tIlEES8_S8_S8_S8_S8_S8_S8_S8_EEEEPS9_S9_NSD_9__find_if7functorIS9_EEEE10hipError_tPvRmT1_T2_T3_mT4_P12ihipStream_tbEUlT_E1_NS1_11comp_targetILNS1_3genE5ELNS1_11target_archE942ELNS1_3gpuE9ELNS1_3repE0EEENS1_30default_config_static_selectorELNS0_4arch9wavefront6targetE1EEEvS17_,"axG",@progbits,_ZN7rocprim17ROCPRIM_400000_NS6detail17trampoline_kernelINS0_14default_configENS1_22reduce_config_selectorIN6thrust23THRUST_200600_302600_NS5tupleIblNS6_9null_typeES8_S8_S8_S8_S8_S8_S8_EEEEZNS1_11reduce_implILb1ES3_NS6_12zip_iteratorINS7_INS6_11hip_rocprim26transform_input_iterator_tIbPiNS6_6detail10functional5actorINSH_9compositeIJNSH_27transparent_binary_operatorINS6_8equal_toIvEEEENSI_INSH_8argumentILj0EEEEENSH_5valueIiEEEEEEEEENSD_19counting_iterator_tIlEES8_S8_S8_S8_S8_S8_S8_S8_EEEEPS9_S9_NSD_9__find_if7functorIS9_EEEE10hipError_tPvRmT1_T2_T3_mT4_P12ihipStream_tbEUlT_E1_NS1_11comp_targetILNS1_3genE5ELNS1_11target_archE942ELNS1_3gpuE9ELNS1_3repE0EEENS1_30default_config_static_selectorELNS0_4arch9wavefront6targetE1EEEvS17_,comdat
	.protected	_ZN7rocprim17ROCPRIM_400000_NS6detail17trampoline_kernelINS0_14default_configENS1_22reduce_config_selectorIN6thrust23THRUST_200600_302600_NS5tupleIblNS6_9null_typeES8_S8_S8_S8_S8_S8_S8_EEEEZNS1_11reduce_implILb1ES3_NS6_12zip_iteratorINS7_INS6_11hip_rocprim26transform_input_iterator_tIbPiNS6_6detail10functional5actorINSH_9compositeIJNSH_27transparent_binary_operatorINS6_8equal_toIvEEEENSI_INSH_8argumentILj0EEEEENSH_5valueIiEEEEEEEEENSD_19counting_iterator_tIlEES8_S8_S8_S8_S8_S8_S8_S8_EEEEPS9_S9_NSD_9__find_if7functorIS9_EEEE10hipError_tPvRmT1_T2_T3_mT4_P12ihipStream_tbEUlT_E1_NS1_11comp_targetILNS1_3genE5ELNS1_11target_archE942ELNS1_3gpuE9ELNS1_3repE0EEENS1_30default_config_static_selectorELNS0_4arch9wavefront6targetE1EEEvS17_ ; -- Begin function _ZN7rocprim17ROCPRIM_400000_NS6detail17trampoline_kernelINS0_14default_configENS1_22reduce_config_selectorIN6thrust23THRUST_200600_302600_NS5tupleIblNS6_9null_typeES8_S8_S8_S8_S8_S8_S8_EEEEZNS1_11reduce_implILb1ES3_NS6_12zip_iteratorINS7_INS6_11hip_rocprim26transform_input_iterator_tIbPiNS6_6detail10functional5actorINSH_9compositeIJNSH_27transparent_binary_operatorINS6_8equal_toIvEEEENSI_INSH_8argumentILj0EEEEENSH_5valueIiEEEEEEEEENSD_19counting_iterator_tIlEES8_S8_S8_S8_S8_S8_S8_S8_EEEEPS9_S9_NSD_9__find_if7functorIS9_EEEE10hipError_tPvRmT1_T2_T3_mT4_P12ihipStream_tbEUlT_E1_NS1_11comp_targetILNS1_3genE5ELNS1_11target_archE942ELNS1_3gpuE9ELNS1_3repE0EEENS1_30default_config_static_selectorELNS0_4arch9wavefront6targetE1EEEvS17_
	.globl	_ZN7rocprim17ROCPRIM_400000_NS6detail17trampoline_kernelINS0_14default_configENS1_22reduce_config_selectorIN6thrust23THRUST_200600_302600_NS5tupleIblNS6_9null_typeES8_S8_S8_S8_S8_S8_S8_EEEEZNS1_11reduce_implILb1ES3_NS6_12zip_iteratorINS7_INS6_11hip_rocprim26transform_input_iterator_tIbPiNS6_6detail10functional5actorINSH_9compositeIJNSH_27transparent_binary_operatorINS6_8equal_toIvEEEENSI_INSH_8argumentILj0EEEEENSH_5valueIiEEEEEEEEENSD_19counting_iterator_tIlEES8_S8_S8_S8_S8_S8_S8_S8_EEEEPS9_S9_NSD_9__find_if7functorIS9_EEEE10hipError_tPvRmT1_T2_T3_mT4_P12ihipStream_tbEUlT_E1_NS1_11comp_targetILNS1_3genE5ELNS1_11target_archE942ELNS1_3gpuE9ELNS1_3repE0EEENS1_30default_config_static_selectorELNS0_4arch9wavefront6targetE1EEEvS17_
	.p2align	8
	.type	_ZN7rocprim17ROCPRIM_400000_NS6detail17trampoline_kernelINS0_14default_configENS1_22reduce_config_selectorIN6thrust23THRUST_200600_302600_NS5tupleIblNS6_9null_typeES8_S8_S8_S8_S8_S8_S8_EEEEZNS1_11reduce_implILb1ES3_NS6_12zip_iteratorINS7_INS6_11hip_rocprim26transform_input_iterator_tIbPiNS6_6detail10functional5actorINSH_9compositeIJNSH_27transparent_binary_operatorINS6_8equal_toIvEEEENSI_INSH_8argumentILj0EEEEENSH_5valueIiEEEEEEEEENSD_19counting_iterator_tIlEES8_S8_S8_S8_S8_S8_S8_S8_EEEEPS9_S9_NSD_9__find_if7functorIS9_EEEE10hipError_tPvRmT1_T2_T3_mT4_P12ihipStream_tbEUlT_E1_NS1_11comp_targetILNS1_3genE5ELNS1_11target_archE942ELNS1_3gpuE9ELNS1_3repE0EEENS1_30default_config_static_selectorELNS0_4arch9wavefront6targetE1EEEvS17_,@function
_ZN7rocprim17ROCPRIM_400000_NS6detail17trampoline_kernelINS0_14default_configENS1_22reduce_config_selectorIN6thrust23THRUST_200600_302600_NS5tupleIblNS6_9null_typeES8_S8_S8_S8_S8_S8_S8_EEEEZNS1_11reduce_implILb1ES3_NS6_12zip_iteratorINS7_INS6_11hip_rocprim26transform_input_iterator_tIbPiNS6_6detail10functional5actorINSH_9compositeIJNSH_27transparent_binary_operatorINS6_8equal_toIvEEEENSI_INSH_8argumentILj0EEEEENSH_5valueIiEEEEEEEEENSD_19counting_iterator_tIlEES8_S8_S8_S8_S8_S8_S8_S8_EEEEPS9_S9_NSD_9__find_if7functorIS9_EEEE10hipError_tPvRmT1_T2_T3_mT4_P12ihipStream_tbEUlT_E1_NS1_11comp_targetILNS1_3genE5ELNS1_11target_archE942ELNS1_3gpuE9ELNS1_3repE0EEENS1_30default_config_static_selectorELNS0_4arch9wavefront6targetE1EEEvS17_: ; @_ZN7rocprim17ROCPRIM_400000_NS6detail17trampoline_kernelINS0_14default_configENS1_22reduce_config_selectorIN6thrust23THRUST_200600_302600_NS5tupleIblNS6_9null_typeES8_S8_S8_S8_S8_S8_S8_EEEEZNS1_11reduce_implILb1ES3_NS6_12zip_iteratorINS7_INS6_11hip_rocprim26transform_input_iterator_tIbPiNS6_6detail10functional5actorINSH_9compositeIJNSH_27transparent_binary_operatorINS6_8equal_toIvEEEENSI_INSH_8argumentILj0EEEEENSH_5valueIiEEEEEEEEENSD_19counting_iterator_tIlEES8_S8_S8_S8_S8_S8_S8_S8_EEEEPS9_S9_NSD_9__find_if7functorIS9_EEEE10hipError_tPvRmT1_T2_T3_mT4_P12ihipStream_tbEUlT_E1_NS1_11comp_targetILNS1_3genE5ELNS1_11target_archE942ELNS1_3gpuE9ELNS1_3repE0EEENS1_30default_config_static_selectorELNS0_4arch9wavefront6targetE1EEEvS17_
; %bb.0:
	.section	.rodata,"a",@progbits
	.p2align	6, 0x0
	.amdhsa_kernel _ZN7rocprim17ROCPRIM_400000_NS6detail17trampoline_kernelINS0_14default_configENS1_22reduce_config_selectorIN6thrust23THRUST_200600_302600_NS5tupleIblNS6_9null_typeES8_S8_S8_S8_S8_S8_S8_EEEEZNS1_11reduce_implILb1ES3_NS6_12zip_iteratorINS7_INS6_11hip_rocprim26transform_input_iterator_tIbPiNS6_6detail10functional5actorINSH_9compositeIJNSH_27transparent_binary_operatorINS6_8equal_toIvEEEENSI_INSH_8argumentILj0EEEEENSH_5valueIiEEEEEEEEENSD_19counting_iterator_tIlEES8_S8_S8_S8_S8_S8_S8_S8_EEEEPS9_S9_NSD_9__find_if7functorIS9_EEEE10hipError_tPvRmT1_T2_T3_mT4_P12ihipStream_tbEUlT_E1_NS1_11comp_targetILNS1_3genE5ELNS1_11target_archE942ELNS1_3gpuE9ELNS1_3repE0EEENS1_30default_config_static_selectorELNS0_4arch9wavefront6targetE1EEEvS17_
		.amdhsa_group_segment_fixed_size 0
		.amdhsa_private_segment_fixed_size 0
		.amdhsa_kernarg_size 72
		.amdhsa_user_sgpr_count 6
		.amdhsa_user_sgpr_private_segment_buffer 1
		.amdhsa_user_sgpr_dispatch_ptr 0
		.amdhsa_user_sgpr_queue_ptr 0
		.amdhsa_user_sgpr_kernarg_segment_ptr 1
		.amdhsa_user_sgpr_dispatch_id 0
		.amdhsa_user_sgpr_flat_scratch_init 0
		.amdhsa_user_sgpr_private_segment_size 0
		.amdhsa_uses_dynamic_stack 0
		.amdhsa_system_sgpr_private_segment_wavefront_offset 0
		.amdhsa_system_sgpr_workgroup_id_x 1
		.amdhsa_system_sgpr_workgroup_id_y 0
		.amdhsa_system_sgpr_workgroup_id_z 0
		.amdhsa_system_sgpr_workgroup_info 0
		.amdhsa_system_vgpr_workitem_id 0
		.amdhsa_next_free_vgpr 1
		.amdhsa_next_free_sgpr 0
		.amdhsa_reserve_vcc 0
		.amdhsa_reserve_flat_scratch 0
		.amdhsa_float_round_mode_32 0
		.amdhsa_float_round_mode_16_64 0
		.amdhsa_float_denorm_mode_32 3
		.amdhsa_float_denorm_mode_16_64 3
		.amdhsa_dx10_clamp 1
		.amdhsa_ieee_mode 1
		.amdhsa_fp16_overflow 0
		.amdhsa_exception_fp_ieee_invalid_op 0
		.amdhsa_exception_fp_denorm_src 0
		.amdhsa_exception_fp_ieee_div_zero 0
		.amdhsa_exception_fp_ieee_overflow 0
		.amdhsa_exception_fp_ieee_underflow 0
		.amdhsa_exception_fp_ieee_inexact 0
		.amdhsa_exception_int_div_zero 0
	.end_amdhsa_kernel
	.section	.text._ZN7rocprim17ROCPRIM_400000_NS6detail17trampoline_kernelINS0_14default_configENS1_22reduce_config_selectorIN6thrust23THRUST_200600_302600_NS5tupleIblNS6_9null_typeES8_S8_S8_S8_S8_S8_S8_EEEEZNS1_11reduce_implILb1ES3_NS6_12zip_iteratorINS7_INS6_11hip_rocprim26transform_input_iterator_tIbPiNS6_6detail10functional5actorINSH_9compositeIJNSH_27transparent_binary_operatorINS6_8equal_toIvEEEENSI_INSH_8argumentILj0EEEEENSH_5valueIiEEEEEEEEENSD_19counting_iterator_tIlEES8_S8_S8_S8_S8_S8_S8_S8_EEEEPS9_S9_NSD_9__find_if7functorIS9_EEEE10hipError_tPvRmT1_T2_T3_mT4_P12ihipStream_tbEUlT_E1_NS1_11comp_targetILNS1_3genE5ELNS1_11target_archE942ELNS1_3gpuE9ELNS1_3repE0EEENS1_30default_config_static_selectorELNS0_4arch9wavefront6targetE1EEEvS17_,"axG",@progbits,_ZN7rocprim17ROCPRIM_400000_NS6detail17trampoline_kernelINS0_14default_configENS1_22reduce_config_selectorIN6thrust23THRUST_200600_302600_NS5tupleIblNS6_9null_typeES8_S8_S8_S8_S8_S8_S8_EEEEZNS1_11reduce_implILb1ES3_NS6_12zip_iteratorINS7_INS6_11hip_rocprim26transform_input_iterator_tIbPiNS6_6detail10functional5actorINSH_9compositeIJNSH_27transparent_binary_operatorINS6_8equal_toIvEEEENSI_INSH_8argumentILj0EEEEENSH_5valueIiEEEEEEEEENSD_19counting_iterator_tIlEES8_S8_S8_S8_S8_S8_S8_S8_EEEEPS9_S9_NSD_9__find_if7functorIS9_EEEE10hipError_tPvRmT1_T2_T3_mT4_P12ihipStream_tbEUlT_E1_NS1_11comp_targetILNS1_3genE5ELNS1_11target_archE942ELNS1_3gpuE9ELNS1_3repE0EEENS1_30default_config_static_selectorELNS0_4arch9wavefront6targetE1EEEvS17_,comdat
.Lfunc_end984:
	.size	_ZN7rocprim17ROCPRIM_400000_NS6detail17trampoline_kernelINS0_14default_configENS1_22reduce_config_selectorIN6thrust23THRUST_200600_302600_NS5tupleIblNS6_9null_typeES8_S8_S8_S8_S8_S8_S8_EEEEZNS1_11reduce_implILb1ES3_NS6_12zip_iteratorINS7_INS6_11hip_rocprim26transform_input_iterator_tIbPiNS6_6detail10functional5actorINSH_9compositeIJNSH_27transparent_binary_operatorINS6_8equal_toIvEEEENSI_INSH_8argumentILj0EEEEENSH_5valueIiEEEEEEEEENSD_19counting_iterator_tIlEES8_S8_S8_S8_S8_S8_S8_S8_EEEEPS9_S9_NSD_9__find_if7functorIS9_EEEE10hipError_tPvRmT1_T2_T3_mT4_P12ihipStream_tbEUlT_E1_NS1_11comp_targetILNS1_3genE5ELNS1_11target_archE942ELNS1_3gpuE9ELNS1_3repE0EEENS1_30default_config_static_selectorELNS0_4arch9wavefront6targetE1EEEvS17_, .Lfunc_end984-_ZN7rocprim17ROCPRIM_400000_NS6detail17trampoline_kernelINS0_14default_configENS1_22reduce_config_selectorIN6thrust23THRUST_200600_302600_NS5tupleIblNS6_9null_typeES8_S8_S8_S8_S8_S8_S8_EEEEZNS1_11reduce_implILb1ES3_NS6_12zip_iteratorINS7_INS6_11hip_rocprim26transform_input_iterator_tIbPiNS6_6detail10functional5actorINSH_9compositeIJNSH_27transparent_binary_operatorINS6_8equal_toIvEEEENSI_INSH_8argumentILj0EEEEENSH_5valueIiEEEEEEEEENSD_19counting_iterator_tIlEES8_S8_S8_S8_S8_S8_S8_S8_EEEEPS9_S9_NSD_9__find_if7functorIS9_EEEE10hipError_tPvRmT1_T2_T3_mT4_P12ihipStream_tbEUlT_E1_NS1_11comp_targetILNS1_3genE5ELNS1_11target_archE942ELNS1_3gpuE9ELNS1_3repE0EEENS1_30default_config_static_selectorELNS0_4arch9wavefront6targetE1EEEvS17_
                                        ; -- End function
	.set _ZN7rocprim17ROCPRIM_400000_NS6detail17trampoline_kernelINS0_14default_configENS1_22reduce_config_selectorIN6thrust23THRUST_200600_302600_NS5tupleIblNS6_9null_typeES8_S8_S8_S8_S8_S8_S8_EEEEZNS1_11reduce_implILb1ES3_NS6_12zip_iteratorINS7_INS6_11hip_rocprim26transform_input_iterator_tIbPiNS6_6detail10functional5actorINSH_9compositeIJNSH_27transparent_binary_operatorINS6_8equal_toIvEEEENSI_INSH_8argumentILj0EEEEENSH_5valueIiEEEEEEEEENSD_19counting_iterator_tIlEES8_S8_S8_S8_S8_S8_S8_S8_EEEEPS9_S9_NSD_9__find_if7functorIS9_EEEE10hipError_tPvRmT1_T2_T3_mT4_P12ihipStream_tbEUlT_E1_NS1_11comp_targetILNS1_3genE5ELNS1_11target_archE942ELNS1_3gpuE9ELNS1_3repE0EEENS1_30default_config_static_selectorELNS0_4arch9wavefront6targetE1EEEvS17_.num_vgpr, 0
	.set _ZN7rocprim17ROCPRIM_400000_NS6detail17trampoline_kernelINS0_14default_configENS1_22reduce_config_selectorIN6thrust23THRUST_200600_302600_NS5tupleIblNS6_9null_typeES8_S8_S8_S8_S8_S8_S8_EEEEZNS1_11reduce_implILb1ES3_NS6_12zip_iteratorINS7_INS6_11hip_rocprim26transform_input_iterator_tIbPiNS6_6detail10functional5actorINSH_9compositeIJNSH_27transparent_binary_operatorINS6_8equal_toIvEEEENSI_INSH_8argumentILj0EEEEENSH_5valueIiEEEEEEEEENSD_19counting_iterator_tIlEES8_S8_S8_S8_S8_S8_S8_S8_EEEEPS9_S9_NSD_9__find_if7functorIS9_EEEE10hipError_tPvRmT1_T2_T3_mT4_P12ihipStream_tbEUlT_E1_NS1_11comp_targetILNS1_3genE5ELNS1_11target_archE942ELNS1_3gpuE9ELNS1_3repE0EEENS1_30default_config_static_selectorELNS0_4arch9wavefront6targetE1EEEvS17_.num_agpr, 0
	.set _ZN7rocprim17ROCPRIM_400000_NS6detail17trampoline_kernelINS0_14default_configENS1_22reduce_config_selectorIN6thrust23THRUST_200600_302600_NS5tupleIblNS6_9null_typeES8_S8_S8_S8_S8_S8_S8_EEEEZNS1_11reduce_implILb1ES3_NS6_12zip_iteratorINS7_INS6_11hip_rocprim26transform_input_iterator_tIbPiNS6_6detail10functional5actorINSH_9compositeIJNSH_27transparent_binary_operatorINS6_8equal_toIvEEEENSI_INSH_8argumentILj0EEEEENSH_5valueIiEEEEEEEEENSD_19counting_iterator_tIlEES8_S8_S8_S8_S8_S8_S8_S8_EEEEPS9_S9_NSD_9__find_if7functorIS9_EEEE10hipError_tPvRmT1_T2_T3_mT4_P12ihipStream_tbEUlT_E1_NS1_11comp_targetILNS1_3genE5ELNS1_11target_archE942ELNS1_3gpuE9ELNS1_3repE0EEENS1_30default_config_static_selectorELNS0_4arch9wavefront6targetE1EEEvS17_.numbered_sgpr, 0
	.set _ZN7rocprim17ROCPRIM_400000_NS6detail17trampoline_kernelINS0_14default_configENS1_22reduce_config_selectorIN6thrust23THRUST_200600_302600_NS5tupleIblNS6_9null_typeES8_S8_S8_S8_S8_S8_S8_EEEEZNS1_11reduce_implILb1ES3_NS6_12zip_iteratorINS7_INS6_11hip_rocprim26transform_input_iterator_tIbPiNS6_6detail10functional5actorINSH_9compositeIJNSH_27transparent_binary_operatorINS6_8equal_toIvEEEENSI_INSH_8argumentILj0EEEEENSH_5valueIiEEEEEEEEENSD_19counting_iterator_tIlEES8_S8_S8_S8_S8_S8_S8_S8_EEEEPS9_S9_NSD_9__find_if7functorIS9_EEEE10hipError_tPvRmT1_T2_T3_mT4_P12ihipStream_tbEUlT_E1_NS1_11comp_targetILNS1_3genE5ELNS1_11target_archE942ELNS1_3gpuE9ELNS1_3repE0EEENS1_30default_config_static_selectorELNS0_4arch9wavefront6targetE1EEEvS17_.num_named_barrier, 0
	.set _ZN7rocprim17ROCPRIM_400000_NS6detail17trampoline_kernelINS0_14default_configENS1_22reduce_config_selectorIN6thrust23THRUST_200600_302600_NS5tupleIblNS6_9null_typeES8_S8_S8_S8_S8_S8_S8_EEEEZNS1_11reduce_implILb1ES3_NS6_12zip_iteratorINS7_INS6_11hip_rocprim26transform_input_iterator_tIbPiNS6_6detail10functional5actorINSH_9compositeIJNSH_27transparent_binary_operatorINS6_8equal_toIvEEEENSI_INSH_8argumentILj0EEEEENSH_5valueIiEEEEEEEEENSD_19counting_iterator_tIlEES8_S8_S8_S8_S8_S8_S8_S8_EEEEPS9_S9_NSD_9__find_if7functorIS9_EEEE10hipError_tPvRmT1_T2_T3_mT4_P12ihipStream_tbEUlT_E1_NS1_11comp_targetILNS1_3genE5ELNS1_11target_archE942ELNS1_3gpuE9ELNS1_3repE0EEENS1_30default_config_static_selectorELNS0_4arch9wavefront6targetE1EEEvS17_.private_seg_size, 0
	.set _ZN7rocprim17ROCPRIM_400000_NS6detail17trampoline_kernelINS0_14default_configENS1_22reduce_config_selectorIN6thrust23THRUST_200600_302600_NS5tupleIblNS6_9null_typeES8_S8_S8_S8_S8_S8_S8_EEEEZNS1_11reduce_implILb1ES3_NS6_12zip_iteratorINS7_INS6_11hip_rocprim26transform_input_iterator_tIbPiNS6_6detail10functional5actorINSH_9compositeIJNSH_27transparent_binary_operatorINS6_8equal_toIvEEEENSI_INSH_8argumentILj0EEEEENSH_5valueIiEEEEEEEEENSD_19counting_iterator_tIlEES8_S8_S8_S8_S8_S8_S8_S8_EEEEPS9_S9_NSD_9__find_if7functorIS9_EEEE10hipError_tPvRmT1_T2_T3_mT4_P12ihipStream_tbEUlT_E1_NS1_11comp_targetILNS1_3genE5ELNS1_11target_archE942ELNS1_3gpuE9ELNS1_3repE0EEENS1_30default_config_static_selectorELNS0_4arch9wavefront6targetE1EEEvS17_.uses_vcc, 0
	.set _ZN7rocprim17ROCPRIM_400000_NS6detail17trampoline_kernelINS0_14default_configENS1_22reduce_config_selectorIN6thrust23THRUST_200600_302600_NS5tupleIblNS6_9null_typeES8_S8_S8_S8_S8_S8_S8_EEEEZNS1_11reduce_implILb1ES3_NS6_12zip_iteratorINS7_INS6_11hip_rocprim26transform_input_iterator_tIbPiNS6_6detail10functional5actorINSH_9compositeIJNSH_27transparent_binary_operatorINS6_8equal_toIvEEEENSI_INSH_8argumentILj0EEEEENSH_5valueIiEEEEEEEEENSD_19counting_iterator_tIlEES8_S8_S8_S8_S8_S8_S8_S8_EEEEPS9_S9_NSD_9__find_if7functorIS9_EEEE10hipError_tPvRmT1_T2_T3_mT4_P12ihipStream_tbEUlT_E1_NS1_11comp_targetILNS1_3genE5ELNS1_11target_archE942ELNS1_3gpuE9ELNS1_3repE0EEENS1_30default_config_static_selectorELNS0_4arch9wavefront6targetE1EEEvS17_.uses_flat_scratch, 0
	.set _ZN7rocprim17ROCPRIM_400000_NS6detail17trampoline_kernelINS0_14default_configENS1_22reduce_config_selectorIN6thrust23THRUST_200600_302600_NS5tupleIblNS6_9null_typeES8_S8_S8_S8_S8_S8_S8_EEEEZNS1_11reduce_implILb1ES3_NS6_12zip_iteratorINS7_INS6_11hip_rocprim26transform_input_iterator_tIbPiNS6_6detail10functional5actorINSH_9compositeIJNSH_27transparent_binary_operatorINS6_8equal_toIvEEEENSI_INSH_8argumentILj0EEEEENSH_5valueIiEEEEEEEEENSD_19counting_iterator_tIlEES8_S8_S8_S8_S8_S8_S8_S8_EEEEPS9_S9_NSD_9__find_if7functorIS9_EEEE10hipError_tPvRmT1_T2_T3_mT4_P12ihipStream_tbEUlT_E1_NS1_11comp_targetILNS1_3genE5ELNS1_11target_archE942ELNS1_3gpuE9ELNS1_3repE0EEENS1_30default_config_static_selectorELNS0_4arch9wavefront6targetE1EEEvS17_.has_dyn_sized_stack, 0
	.set _ZN7rocprim17ROCPRIM_400000_NS6detail17trampoline_kernelINS0_14default_configENS1_22reduce_config_selectorIN6thrust23THRUST_200600_302600_NS5tupleIblNS6_9null_typeES8_S8_S8_S8_S8_S8_S8_EEEEZNS1_11reduce_implILb1ES3_NS6_12zip_iteratorINS7_INS6_11hip_rocprim26transform_input_iterator_tIbPiNS6_6detail10functional5actorINSH_9compositeIJNSH_27transparent_binary_operatorINS6_8equal_toIvEEEENSI_INSH_8argumentILj0EEEEENSH_5valueIiEEEEEEEEENSD_19counting_iterator_tIlEES8_S8_S8_S8_S8_S8_S8_S8_EEEEPS9_S9_NSD_9__find_if7functorIS9_EEEE10hipError_tPvRmT1_T2_T3_mT4_P12ihipStream_tbEUlT_E1_NS1_11comp_targetILNS1_3genE5ELNS1_11target_archE942ELNS1_3gpuE9ELNS1_3repE0EEENS1_30default_config_static_selectorELNS0_4arch9wavefront6targetE1EEEvS17_.has_recursion, 0
	.set _ZN7rocprim17ROCPRIM_400000_NS6detail17trampoline_kernelINS0_14default_configENS1_22reduce_config_selectorIN6thrust23THRUST_200600_302600_NS5tupleIblNS6_9null_typeES8_S8_S8_S8_S8_S8_S8_EEEEZNS1_11reduce_implILb1ES3_NS6_12zip_iteratorINS7_INS6_11hip_rocprim26transform_input_iterator_tIbPiNS6_6detail10functional5actorINSH_9compositeIJNSH_27transparent_binary_operatorINS6_8equal_toIvEEEENSI_INSH_8argumentILj0EEEEENSH_5valueIiEEEEEEEEENSD_19counting_iterator_tIlEES8_S8_S8_S8_S8_S8_S8_S8_EEEEPS9_S9_NSD_9__find_if7functorIS9_EEEE10hipError_tPvRmT1_T2_T3_mT4_P12ihipStream_tbEUlT_E1_NS1_11comp_targetILNS1_3genE5ELNS1_11target_archE942ELNS1_3gpuE9ELNS1_3repE0EEENS1_30default_config_static_selectorELNS0_4arch9wavefront6targetE1EEEvS17_.has_indirect_call, 0
	.section	.AMDGPU.csdata,"",@progbits
; Kernel info:
; codeLenInByte = 0
; TotalNumSgprs: 4
; NumVgprs: 0
; ScratchSize: 0
; MemoryBound: 0
; FloatMode: 240
; IeeeMode: 1
; LDSByteSize: 0 bytes/workgroup (compile time only)
; SGPRBlocks: 0
; VGPRBlocks: 0
; NumSGPRsForWavesPerEU: 4
; NumVGPRsForWavesPerEU: 1
; Occupancy: 10
; WaveLimiterHint : 0
; COMPUTE_PGM_RSRC2:SCRATCH_EN: 0
; COMPUTE_PGM_RSRC2:USER_SGPR: 6
; COMPUTE_PGM_RSRC2:TRAP_HANDLER: 0
; COMPUTE_PGM_RSRC2:TGID_X_EN: 1
; COMPUTE_PGM_RSRC2:TGID_Y_EN: 0
; COMPUTE_PGM_RSRC2:TGID_Z_EN: 0
; COMPUTE_PGM_RSRC2:TIDIG_COMP_CNT: 0
	.section	.text._ZN7rocprim17ROCPRIM_400000_NS6detail17trampoline_kernelINS0_14default_configENS1_22reduce_config_selectorIN6thrust23THRUST_200600_302600_NS5tupleIblNS6_9null_typeES8_S8_S8_S8_S8_S8_S8_EEEEZNS1_11reduce_implILb1ES3_NS6_12zip_iteratorINS7_INS6_11hip_rocprim26transform_input_iterator_tIbPiNS6_6detail10functional5actorINSH_9compositeIJNSH_27transparent_binary_operatorINS6_8equal_toIvEEEENSI_INSH_8argumentILj0EEEEENSH_5valueIiEEEEEEEEENSD_19counting_iterator_tIlEES8_S8_S8_S8_S8_S8_S8_S8_EEEEPS9_S9_NSD_9__find_if7functorIS9_EEEE10hipError_tPvRmT1_T2_T3_mT4_P12ihipStream_tbEUlT_E1_NS1_11comp_targetILNS1_3genE4ELNS1_11target_archE910ELNS1_3gpuE8ELNS1_3repE0EEENS1_30default_config_static_selectorELNS0_4arch9wavefront6targetE1EEEvS17_,"axG",@progbits,_ZN7rocprim17ROCPRIM_400000_NS6detail17trampoline_kernelINS0_14default_configENS1_22reduce_config_selectorIN6thrust23THRUST_200600_302600_NS5tupleIblNS6_9null_typeES8_S8_S8_S8_S8_S8_S8_EEEEZNS1_11reduce_implILb1ES3_NS6_12zip_iteratorINS7_INS6_11hip_rocprim26transform_input_iterator_tIbPiNS6_6detail10functional5actorINSH_9compositeIJNSH_27transparent_binary_operatorINS6_8equal_toIvEEEENSI_INSH_8argumentILj0EEEEENSH_5valueIiEEEEEEEEENSD_19counting_iterator_tIlEES8_S8_S8_S8_S8_S8_S8_S8_EEEEPS9_S9_NSD_9__find_if7functorIS9_EEEE10hipError_tPvRmT1_T2_T3_mT4_P12ihipStream_tbEUlT_E1_NS1_11comp_targetILNS1_3genE4ELNS1_11target_archE910ELNS1_3gpuE8ELNS1_3repE0EEENS1_30default_config_static_selectorELNS0_4arch9wavefront6targetE1EEEvS17_,comdat
	.protected	_ZN7rocprim17ROCPRIM_400000_NS6detail17trampoline_kernelINS0_14default_configENS1_22reduce_config_selectorIN6thrust23THRUST_200600_302600_NS5tupleIblNS6_9null_typeES8_S8_S8_S8_S8_S8_S8_EEEEZNS1_11reduce_implILb1ES3_NS6_12zip_iteratorINS7_INS6_11hip_rocprim26transform_input_iterator_tIbPiNS6_6detail10functional5actorINSH_9compositeIJNSH_27transparent_binary_operatorINS6_8equal_toIvEEEENSI_INSH_8argumentILj0EEEEENSH_5valueIiEEEEEEEEENSD_19counting_iterator_tIlEES8_S8_S8_S8_S8_S8_S8_S8_EEEEPS9_S9_NSD_9__find_if7functorIS9_EEEE10hipError_tPvRmT1_T2_T3_mT4_P12ihipStream_tbEUlT_E1_NS1_11comp_targetILNS1_3genE4ELNS1_11target_archE910ELNS1_3gpuE8ELNS1_3repE0EEENS1_30default_config_static_selectorELNS0_4arch9wavefront6targetE1EEEvS17_ ; -- Begin function _ZN7rocprim17ROCPRIM_400000_NS6detail17trampoline_kernelINS0_14default_configENS1_22reduce_config_selectorIN6thrust23THRUST_200600_302600_NS5tupleIblNS6_9null_typeES8_S8_S8_S8_S8_S8_S8_EEEEZNS1_11reduce_implILb1ES3_NS6_12zip_iteratorINS7_INS6_11hip_rocprim26transform_input_iterator_tIbPiNS6_6detail10functional5actorINSH_9compositeIJNSH_27transparent_binary_operatorINS6_8equal_toIvEEEENSI_INSH_8argumentILj0EEEEENSH_5valueIiEEEEEEEEENSD_19counting_iterator_tIlEES8_S8_S8_S8_S8_S8_S8_S8_EEEEPS9_S9_NSD_9__find_if7functorIS9_EEEE10hipError_tPvRmT1_T2_T3_mT4_P12ihipStream_tbEUlT_E1_NS1_11comp_targetILNS1_3genE4ELNS1_11target_archE910ELNS1_3gpuE8ELNS1_3repE0EEENS1_30default_config_static_selectorELNS0_4arch9wavefront6targetE1EEEvS17_
	.globl	_ZN7rocprim17ROCPRIM_400000_NS6detail17trampoline_kernelINS0_14default_configENS1_22reduce_config_selectorIN6thrust23THRUST_200600_302600_NS5tupleIblNS6_9null_typeES8_S8_S8_S8_S8_S8_S8_EEEEZNS1_11reduce_implILb1ES3_NS6_12zip_iteratorINS7_INS6_11hip_rocprim26transform_input_iterator_tIbPiNS6_6detail10functional5actorINSH_9compositeIJNSH_27transparent_binary_operatorINS6_8equal_toIvEEEENSI_INSH_8argumentILj0EEEEENSH_5valueIiEEEEEEEEENSD_19counting_iterator_tIlEES8_S8_S8_S8_S8_S8_S8_S8_EEEEPS9_S9_NSD_9__find_if7functorIS9_EEEE10hipError_tPvRmT1_T2_T3_mT4_P12ihipStream_tbEUlT_E1_NS1_11comp_targetILNS1_3genE4ELNS1_11target_archE910ELNS1_3gpuE8ELNS1_3repE0EEENS1_30default_config_static_selectorELNS0_4arch9wavefront6targetE1EEEvS17_
	.p2align	8
	.type	_ZN7rocprim17ROCPRIM_400000_NS6detail17trampoline_kernelINS0_14default_configENS1_22reduce_config_selectorIN6thrust23THRUST_200600_302600_NS5tupleIblNS6_9null_typeES8_S8_S8_S8_S8_S8_S8_EEEEZNS1_11reduce_implILb1ES3_NS6_12zip_iteratorINS7_INS6_11hip_rocprim26transform_input_iterator_tIbPiNS6_6detail10functional5actorINSH_9compositeIJNSH_27transparent_binary_operatorINS6_8equal_toIvEEEENSI_INSH_8argumentILj0EEEEENSH_5valueIiEEEEEEEEENSD_19counting_iterator_tIlEES8_S8_S8_S8_S8_S8_S8_S8_EEEEPS9_S9_NSD_9__find_if7functorIS9_EEEE10hipError_tPvRmT1_T2_T3_mT4_P12ihipStream_tbEUlT_E1_NS1_11comp_targetILNS1_3genE4ELNS1_11target_archE910ELNS1_3gpuE8ELNS1_3repE0EEENS1_30default_config_static_selectorELNS0_4arch9wavefront6targetE1EEEvS17_,@function
_ZN7rocprim17ROCPRIM_400000_NS6detail17trampoline_kernelINS0_14default_configENS1_22reduce_config_selectorIN6thrust23THRUST_200600_302600_NS5tupleIblNS6_9null_typeES8_S8_S8_S8_S8_S8_S8_EEEEZNS1_11reduce_implILb1ES3_NS6_12zip_iteratorINS7_INS6_11hip_rocprim26transform_input_iterator_tIbPiNS6_6detail10functional5actorINSH_9compositeIJNSH_27transparent_binary_operatorINS6_8equal_toIvEEEENSI_INSH_8argumentILj0EEEEENSH_5valueIiEEEEEEEEENSD_19counting_iterator_tIlEES8_S8_S8_S8_S8_S8_S8_S8_EEEEPS9_S9_NSD_9__find_if7functorIS9_EEEE10hipError_tPvRmT1_T2_T3_mT4_P12ihipStream_tbEUlT_E1_NS1_11comp_targetILNS1_3genE4ELNS1_11target_archE910ELNS1_3gpuE8ELNS1_3repE0EEENS1_30default_config_static_selectorELNS0_4arch9wavefront6targetE1EEEvS17_: ; @_ZN7rocprim17ROCPRIM_400000_NS6detail17trampoline_kernelINS0_14default_configENS1_22reduce_config_selectorIN6thrust23THRUST_200600_302600_NS5tupleIblNS6_9null_typeES8_S8_S8_S8_S8_S8_S8_EEEEZNS1_11reduce_implILb1ES3_NS6_12zip_iteratorINS7_INS6_11hip_rocprim26transform_input_iterator_tIbPiNS6_6detail10functional5actorINSH_9compositeIJNSH_27transparent_binary_operatorINS6_8equal_toIvEEEENSI_INSH_8argumentILj0EEEEENSH_5valueIiEEEEEEEEENSD_19counting_iterator_tIlEES8_S8_S8_S8_S8_S8_S8_S8_EEEEPS9_S9_NSD_9__find_if7functorIS9_EEEE10hipError_tPvRmT1_T2_T3_mT4_P12ihipStream_tbEUlT_E1_NS1_11comp_targetILNS1_3genE4ELNS1_11target_archE910ELNS1_3gpuE8ELNS1_3repE0EEENS1_30default_config_static_selectorELNS0_4arch9wavefront6targetE1EEEvS17_
; %bb.0:
	.section	.rodata,"a",@progbits
	.p2align	6, 0x0
	.amdhsa_kernel _ZN7rocprim17ROCPRIM_400000_NS6detail17trampoline_kernelINS0_14default_configENS1_22reduce_config_selectorIN6thrust23THRUST_200600_302600_NS5tupleIblNS6_9null_typeES8_S8_S8_S8_S8_S8_S8_EEEEZNS1_11reduce_implILb1ES3_NS6_12zip_iteratorINS7_INS6_11hip_rocprim26transform_input_iterator_tIbPiNS6_6detail10functional5actorINSH_9compositeIJNSH_27transparent_binary_operatorINS6_8equal_toIvEEEENSI_INSH_8argumentILj0EEEEENSH_5valueIiEEEEEEEEENSD_19counting_iterator_tIlEES8_S8_S8_S8_S8_S8_S8_S8_EEEEPS9_S9_NSD_9__find_if7functorIS9_EEEE10hipError_tPvRmT1_T2_T3_mT4_P12ihipStream_tbEUlT_E1_NS1_11comp_targetILNS1_3genE4ELNS1_11target_archE910ELNS1_3gpuE8ELNS1_3repE0EEENS1_30default_config_static_selectorELNS0_4arch9wavefront6targetE1EEEvS17_
		.amdhsa_group_segment_fixed_size 0
		.amdhsa_private_segment_fixed_size 0
		.amdhsa_kernarg_size 72
		.amdhsa_user_sgpr_count 6
		.amdhsa_user_sgpr_private_segment_buffer 1
		.amdhsa_user_sgpr_dispatch_ptr 0
		.amdhsa_user_sgpr_queue_ptr 0
		.amdhsa_user_sgpr_kernarg_segment_ptr 1
		.amdhsa_user_sgpr_dispatch_id 0
		.amdhsa_user_sgpr_flat_scratch_init 0
		.amdhsa_user_sgpr_private_segment_size 0
		.amdhsa_uses_dynamic_stack 0
		.amdhsa_system_sgpr_private_segment_wavefront_offset 0
		.amdhsa_system_sgpr_workgroup_id_x 1
		.amdhsa_system_sgpr_workgroup_id_y 0
		.amdhsa_system_sgpr_workgroup_id_z 0
		.amdhsa_system_sgpr_workgroup_info 0
		.amdhsa_system_vgpr_workitem_id 0
		.amdhsa_next_free_vgpr 1
		.amdhsa_next_free_sgpr 0
		.amdhsa_reserve_vcc 0
		.amdhsa_reserve_flat_scratch 0
		.amdhsa_float_round_mode_32 0
		.amdhsa_float_round_mode_16_64 0
		.amdhsa_float_denorm_mode_32 3
		.amdhsa_float_denorm_mode_16_64 3
		.amdhsa_dx10_clamp 1
		.amdhsa_ieee_mode 1
		.amdhsa_fp16_overflow 0
		.amdhsa_exception_fp_ieee_invalid_op 0
		.amdhsa_exception_fp_denorm_src 0
		.amdhsa_exception_fp_ieee_div_zero 0
		.amdhsa_exception_fp_ieee_overflow 0
		.amdhsa_exception_fp_ieee_underflow 0
		.amdhsa_exception_fp_ieee_inexact 0
		.amdhsa_exception_int_div_zero 0
	.end_amdhsa_kernel
	.section	.text._ZN7rocprim17ROCPRIM_400000_NS6detail17trampoline_kernelINS0_14default_configENS1_22reduce_config_selectorIN6thrust23THRUST_200600_302600_NS5tupleIblNS6_9null_typeES8_S8_S8_S8_S8_S8_S8_EEEEZNS1_11reduce_implILb1ES3_NS6_12zip_iteratorINS7_INS6_11hip_rocprim26transform_input_iterator_tIbPiNS6_6detail10functional5actorINSH_9compositeIJNSH_27transparent_binary_operatorINS6_8equal_toIvEEEENSI_INSH_8argumentILj0EEEEENSH_5valueIiEEEEEEEEENSD_19counting_iterator_tIlEES8_S8_S8_S8_S8_S8_S8_S8_EEEEPS9_S9_NSD_9__find_if7functorIS9_EEEE10hipError_tPvRmT1_T2_T3_mT4_P12ihipStream_tbEUlT_E1_NS1_11comp_targetILNS1_3genE4ELNS1_11target_archE910ELNS1_3gpuE8ELNS1_3repE0EEENS1_30default_config_static_selectorELNS0_4arch9wavefront6targetE1EEEvS17_,"axG",@progbits,_ZN7rocprim17ROCPRIM_400000_NS6detail17trampoline_kernelINS0_14default_configENS1_22reduce_config_selectorIN6thrust23THRUST_200600_302600_NS5tupleIblNS6_9null_typeES8_S8_S8_S8_S8_S8_S8_EEEEZNS1_11reduce_implILb1ES3_NS6_12zip_iteratorINS7_INS6_11hip_rocprim26transform_input_iterator_tIbPiNS6_6detail10functional5actorINSH_9compositeIJNSH_27transparent_binary_operatorINS6_8equal_toIvEEEENSI_INSH_8argumentILj0EEEEENSH_5valueIiEEEEEEEEENSD_19counting_iterator_tIlEES8_S8_S8_S8_S8_S8_S8_S8_EEEEPS9_S9_NSD_9__find_if7functorIS9_EEEE10hipError_tPvRmT1_T2_T3_mT4_P12ihipStream_tbEUlT_E1_NS1_11comp_targetILNS1_3genE4ELNS1_11target_archE910ELNS1_3gpuE8ELNS1_3repE0EEENS1_30default_config_static_selectorELNS0_4arch9wavefront6targetE1EEEvS17_,comdat
.Lfunc_end985:
	.size	_ZN7rocprim17ROCPRIM_400000_NS6detail17trampoline_kernelINS0_14default_configENS1_22reduce_config_selectorIN6thrust23THRUST_200600_302600_NS5tupleIblNS6_9null_typeES8_S8_S8_S8_S8_S8_S8_EEEEZNS1_11reduce_implILb1ES3_NS6_12zip_iteratorINS7_INS6_11hip_rocprim26transform_input_iterator_tIbPiNS6_6detail10functional5actorINSH_9compositeIJNSH_27transparent_binary_operatorINS6_8equal_toIvEEEENSI_INSH_8argumentILj0EEEEENSH_5valueIiEEEEEEEEENSD_19counting_iterator_tIlEES8_S8_S8_S8_S8_S8_S8_S8_EEEEPS9_S9_NSD_9__find_if7functorIS9_EEEE10hipError_tPvRmT1_T2_T3_mT4_P12ihipStream_tbEUlT_E1_NS1_11comp_targetILNS1_3genE4ELNS1_11target_archE910ELNS1_3gpuE8ELNS1_3repE0EEENS1_30default_config_static_selectorELNS0_4arch9wavefront6targetE1EEEvS17_, .Lfunc_end985-_ZN7rocprim17ROCPRIM_400000_NS6detail17trampoline_kernelINS0_14default_configENS1_22reduce_config_selectorIN6thrust23THRUST_200600_302600_NS5tupleIblNS6_9null_typeES8_S8_S8_S8_S8_S8_S8_EEEEZNS1_11reduce_implILb1ES3_NS6_12zip_iteratorINS7_INS6_11hip_rocprim26transform_input_iterator_tIbPiNS6_6detail10functional5actorINSH_9compositeIJNSH_27transparent_binary_operatorINS6_8equal_toIvEEEENSI_INSH_8argumentILj0EEEEENSH_5valueIiEEEEEEEEENSD_19counting_iterator_tIlEES8_S8_S8_S8_S8_S8_S8_S8_EEEEPS9_S9_NSD_9__find_if7functorIS9_EEEE10hipError_tPvRmT1_T2_T3_mT4_P12ihipStream_tbEUlT_E1_NS1_11comp_targetILNS1_3genE4ELNS1_11target_archE910ELNS1_3gpuE8ELNS1_3repE0EEENS1_30default_config_static_selectorELNS0_4arch9wavefront6targetE1EEEvS17_
                                        ; -- End function
	.set _ZN7rocprim17ROCPRIM_400000_NS6detail17trampoline_kernelINS0_14default_configENS1_22reduce_config_selectorIN6thrust23THRUST_200600_302600_NS5tupleIblNS6_9null_typeES8_S8_S8_S8_S8_S8_S8_EEEEZNS1_11reduce_implILb1ES3_NS6_12zip_iteratorINS7_INS6_11hip_rocprim26transform_input_iterator_tIbPiNS6_6detail10functional5actorINSH_9compositeIJNSH_27transparent_binary_operatorINS6_8equal_toIvEEEENSI_INSH_8argumentILj0EEEEENSH_5valueIiEEEEEEEEENSD_19counting_iterator_tIlEES8_S8_S8_S8_S8_S8_S8_S8_EEEEPS9_S9_NSD_9__find_if7functorIS9_EEEE10hipError_tPvRmT1_T2_T3_mT4_P12ihipStream_tbEUlT_E1_NS1_11comp_targetILNS1_3genE4ELNS1_11target_archE910ELNS1_3gpuE8ELNS1_3repE0EEENS1_30default_config_static_selectorELNS0_4arch9wavefront6targetE1EEEvS17_.num_vgpr, 0
	.set _ZN7rocprim17ROCPRIM_400000_NS6detail17trampoline_kernelINS0_14default_configENS1_22reduce_config_selectorIN6thrust23THRUST_200600_302600_NS5tupleIblNS6_9null_typeES8_S8_S8_S8_S8_S8_S8_EEEEZNS1_11reduce_implILb1ES3_NS6_12zip_iteratorINS7_INS6_11hip_rocprim26transform_input_iterator_tIbPiNS6_6detail10functional5actorINSH_9compositeIJNSH_27transparent_binary_operatorINS6_8equal_toIvEEEENSI_INSH_8argumentILj0EEEEENSH_5valueIiEEEEEEEEENSD_19counting_iterator_tIlEES8_S8_S8_S8_S8_S8_S8_S8_EEEEPS9_S9_NSD_9__find_if7functorIS9_EEEE10hipError_tPvRmT1_T2_T3_mT4_P12ihipStream_tbEUlT_E1_NS1_11comp_targetILNS1_3genE4ELNS1_11target_archE910ELNS1_3gpuE8ELNS1_3repE0EEENS1_30default_config_static_selectorELNS0_4arch9wavefront6targetE1EEEvS17_.num_agpr, 0
	.set _ZN7rocprim17ROCPRIM_400000_NS6detail17trampoline_kernelINS0_14default_configENS1_22reduce_config_selectorIN6thrust23THRUST_200600_302600_NS5tupleIblNS6_9null_typeES8_S8_S8_S8_S8_S8_S8_EEEEZNS1_11reduce_implILb1ES3_NS6_12zip_iteratorINS7_INS6_11hip_rocprim26transform_input_iterator_tIbPiNS6_6detail10functional5actorINSH_9compositeIJNSH_27transparent_binary_operatorINS6_8equal_toIvEEEENSI_INSH_8argumentILj0EEEEENSH_5valueIiEEEEEEEEENSD_19counting_iterator_tIlEES8_S8_S8_S8_S8_S8_S8_S8_EEEEPS9_S9_NSD_9__find_if7functorIS9_EEEE10hipError_tPvRmT1_T2_T3_mT4_P12ihipStream_tbEUlT_E1_NS1_11comp_targetILNS1_3genE4ELNS1_11target_archE910ELNS1_3gpuE8ELNS1_3repE0EEENS1_30default_config_static_selectorELNS0_4arch9wavefront6targetE1EEEvS17_.numbered_sgpr, 0
	.set _ZN7rocprim17ROCPRIM_400000_NS6detail17trampoline_kernelINS0_14default_configENS1_22reduce_config_selectorIN6thrust23THRUST_200600_302600_NS5tupleIblNS6_9null_typeES8_S8_S8_S8_S8_S8_S8_EEEEZNS1_11reduce_implILb1ES3_NS6_12zip_iteratorINS7_INS6_11hip_rocprim26transform_input_iterator_tIbPiNS6_6detail10functional5actorINSH_9compositeIJNSH_27transparent_binary_operatorINS6_8equal_toIvEEEENSI_INSH_8argumentILj0EEEEENSH_5valueIiEEEEEEEEENSD_19counting_iterator_tIlEES8_S8_S8_S8_S8_S8_S8_S8_EEEEPS9_S9_NSD_9__find_if7functorIS9_EEEE10hipError_tPvRmT1_T2_T3_mT4_P12ihipStream_tbEUlT_E1_NS1_11comp_targetILNS1_3genE4ELNS1_11target_archE910ELNS1_3gpuE8ELNS1_3repE0EEENS1_30default_config_static_selectorELNS0_4arch9wavefront6targetE1EEEvS17_.num_named_barrier, 0
	.set _ZN7rocprim17ROCPRIM_400000_NS6detail17trampoline_kernelINS0_14default_configENS1_22reduce_config_selectorIN6thrust23THRUST_200600_302600_NS5tupleIblNS6_9null_typeES8_S8_S8_S8_S8_S8_S8_EEEEZNS1_11reduce_implILb1ES3_NS6_12zip_iteratorINS7_INS6_11hip_rocprim26transform_input_iterator_tIbPiNS6_6detail10functional5actorINSH_9compositeIJNSH_27transparent_binary_operatorINS6_8equal_toIvEEEENSI_INSH_8argumentILj0EEEEENSH_5valueIiEEEEEEEEENSD_19counting_iterator_tIlEES8_S8_S8_S8_S8_S8_S8_S8_EEEEPS9_S9_NSD_9__find_if7functorIS9_EEEE10hipError_tPvRmT1_T2_T3_mT4_P12ihipStream_tbEUlT_E1_NS1_11comp_targetILNS1_3genE4ELNS1_11target_archE910ELNS1_3gpuE8ELNS1_3repE0EEENS1_30default_config_static_selectorELNS0_4arch9wavefront6targetE1EEEvS17_.private_seg_size, 0
	.set _ZN7rocprim17ROCPRIM_400000_NS6detail17trampoline_kernelINS0_14default_configENS1_22reduce_config_selectorIN6thrust23THRUST_200600_302600_NS5tupleIblNS6_9null_typeES8_S8_S8_S8_S8_S8_S8_EEEEZNS1_11reduce_implILb1ES3_NS6_12zip_iteratorINS7_INS6_11hip_rocprim26transform_input_iterator_tIbPiNS6_6detail10functional5actorINSH_9compositeIJNSH_27transparent_binary_operatorINS6_8equal_toIvEEEENSI_INSH_8argumentILj0EEEEENSH_5valueIiEEEEEEEEENSD_19counting_iterator_tIlEES8_S8_S8_S8_S8_S8_S8_S8_EEEEPS9_S9_NSD_9__find_if7functorIS9_EEEE10hipError_tPvRmT1_T2_T3_mT4_P12ihipStream_tbEUlT_E1_NS1_11comp_targetILNS1_3genE4ELNS1_11target_archE910ELNS1_3gpuE8ELNS1_3repE0EEENS1_30default_config_static_selectorELNS0_4arch9wavefront6targetE1EEEvS17_.uses_vcc, 0
	.set _ZN7rocprim17ROCPRIM_400000_NS6detail17trampoline_kernelINS0_14default_configENS1_22reduce_config_selectorIN6thrust23THRUST_200600_302600_NS5tupleIblNS6_9null_typeES8_S8_S8_S8_S8_S8_S8_EEEEZNS1_11reduce_implILb1ES3_NS6_12zip_iteratorINS7_INS6_11hip_rocprim26transform_input_iterator_tIbPiNS6_6detail10functional5actorINSH_9compositeIJNSH_27transparent_binary_operatorINS6_8equal_toIvEEEENSI_INSH_8argumentILj0EEEEENSH_5valueIiEEEEEEEEENSD_19counting_iterator_tIlEES8_S8_S8_S8_S8_S8_S8_S8_EEEEPS9_S9_NSD_9__find_if7functorIS9_EEEE10hipError_tPvRmT1_T2_T3_mT4_P12ihipStream_tbEUlT_E1_NS1_11comp_targetILNS1_3genE4ELNS1_11target_archE910ELNS1_3gpuE8ELNS1_3repE0EEENS1_30default_config_static_selectorELNS0_4arch9wavefront6targetE1EEEvS17_.uses_flat_scratch, 0
	.set _ZN7rocprim17ROCPRIM_400000_NS6detail17trampoline_kernelINS0_14default_configENS1_22reduce_config_selectorIN6thrust23THRUST_200600_302600_NS5tupleIblNS6_9null_typeES8_S8_S8_S8_S8_S8_S8_EEEEZNS1_11reduce_implILb1ES3_NS6_12zip_iteratorINS7_INS6_11hip_rocprim26transform_input_iterator_tIbPiNS6_6detail10functional5actorINSH_9compositeIJNSH_27transparent_binary_operatorINS6_8equal_toIvEEEENSI_INSH_8argumentILj0EEEEENSH_5valueIiEEEEEEEEENSD_19counting_iterator_tIlEES8_S8_S8_S8_S8_S8_S8_S8_EEEEPS9_S9_NSD_9__find_if7functorIS9_EEEE10hipError_tPvRmT1_T2_T3_mT4_P12ihipStream_tbEUlT_E1_NS1_11comp_targetILNS1_3genE4ELNS1_11target_archE910ELNS1_3gpuE8ELNS1_3repE0EEENS1_30default_config_static_selectorELNS0_4arch9wavefront6targetE1EEEvS17_.has_dyn_sized_stack, 0
	.set _ZN7rocprim17ROCPRIM_400000_NS6detail17trampoline_kernelINS0_14default_configENS1_22reduce_config_selectorIN6thrust23THRUST_200600_302600_NS5tupleIblNS6_9null_typeES8_S8_S8_S8_S8_S8_S8_EEEEZNS1_11reduce_implILb1ES3_NS6_12zip_iteratorINS7_INS6_11hip_rocprim26transform_input_iterator_tIbPiNS6_6detail10functional5actorINSH_9compositeIJNSH_27transparent_binary_operatorINS6_8equal_toIvEEEENSI_INSH_8argumentILj0EEEEENSH_5valueIiEEEEEEEEENSD_19counting_iterator_tIlEES8_S8_S8_S8_S8_S8_S8_S8_EEEEPS9_S9_NSD_9__find_if7functorIS9_EEEE10hipError_tPvRmT1_T2_T3_mT4_P12ihipStream_tbEUlT_E1_NS1_11comp_targetILNS1_3genE4ELNS1_11target_archE910ELNS1_3gpuE8ELNS1_3repE0EEENS1_30default_config_static_selectorELNS0_4arch9wavefront6targetE1EEEvS17_.has_recursion, 0
	.set _ZN7rocprim17ROCPRIM_400000_NS6detail17trampoline_kernelINS0_14default_configENS1_22reduce_config_selectorIN6thrust23THRUST_200600_302600_NS5tupleIblNS6_9null_typeES8_S8_S8_S8_S8_S8_S8_EEEEZNS1_11reduce_implILb1ES3_NS6_12zip_iteratorINS7_INS6_11hip_rocprim26transform_input_iterator_tIbPiNS6_6detail10functional5actorINSH_9compositeIJNSH_27transparent_binary_operatorINS6_8equal_toIvEEEENSI_INSH_8argumentILj0EEEEENSH_5valueIiEEEEEEEEENSD_19counting_iterator_tIlEES8_S8_S8_S8_S8_S8_S8_S8_EEEEPS9_S9_NSD_9__find_if7functorIS9_EEEE10hipError_tPvRmT1_T2_T3_mT4_P12ihipStream_tbEUlT_E1_NS1_11comp_targetILNS1_3genE4ELNS1_11target_archE910ELNS1_3gpuE8ELNS1_3repE0EEENS1_30default_config_static_selectorELNS0_4arch9wavefront6targetE1EEEvS17_.has_indirect_call, 0
	.section	.AMDGPU.csdata,"",@progbits
; Kernel info:
; codeLenInByte = 0
; TotalNumSgprs: 4
; NumVgprs: 0
; ScratchSize: 0
; MemoryBound: 0
; FloatMode: 240
; IeeeMode: 1
; LDSByteSize: 0 bytes/workgroup (compile time only)
; SGPRBlocks: 0
; VGPRBlocks: 0
; NumSGPRsForWavesPerEU: 4
; NumVGPRsForWavesPerEU: 1
; Occupancy: 10
; WaveLimiterHint : 0
; COMPUTE_PGM_RSRC2:SCRATCH_EN: 0
; COMPUTE_PGM_RSRC2:USER_SGPR: 6
; COMPUTE_PGM_RSRC2:TRAP_HANDLER: 0
; COMPUTE_PGM_RSRC2:TGID_X_EN: 1
; COMPUTE_PGM_RSRC2:TGID_Y_EN: 0
; COMPUTE_PGM_RSRC2:TGID_Z_EN: 0
; COMPUTE_PGM_RSRC2:TIDIG_COMP_CNT: 0
	.section	.text._ZN7rocprim17ROCPRIM_400000_NS6detail17trampoline_kernelINS0_14default_configENS1_22reduce_config_selectorIN6thrust23THRUST_200600_302600_NS5tupleIblNS6_9null_typeES8_S8_S8_S8_S8_S8_S8_EEEEZNS1_11reduce_implILb1ES3_NS6_12zip_iteratorINS7_INS6_11hip_rocprim26transform_input_iterator_tIbPiNS6_6detail10functional5actorINSH_9compositeIJNSH_27transparent_binary_operatorINS6_8equal_toIvEEEENSI_INSH_8argumentILj0EEEEENSH_5valueIiEEEEEEEEENSD_19counting_iterator_tIlEES8_S8_S8_S8_S8_S8_S8_S8_EEEEPS9_S9_NSD_9__find_if7functorIS9_EEEE10hipError_tPvRmT1_T2_T3_mT4_P12ihipStream_tbEUlT_E1_NS1_11comp_targetILNS1_3genE3ELNS1_11target_archE908ELNS1_3gpuE7ELNS1_3repE0EEENS1_30default_config_static_selectorELNS0_4arch9wavefront6targetE1EEEvS17_,"axG",@progbits,_ZN7rocprim17ROCPRIM_400000_NS6detail17trampoline_kernelINS0_14default_configENS1_22reduce_config_selectorIN6thrust23THRUST_200600_302600_NS5tupleIblNS6_9null_typeES8_S8_S8_S8_S8_S8_S8_EEEEZNS1_11reduce_implILb1ES3_NS6_12zip_iteratorINS7_INS6_11hip_rocprim26transform_input_iterator_tIbPiNS6_6detail10functional5actorINSH_9compositeIJNSH_27transparent_binary_operatorINS6_8equal_toIvEEEENSI_INSH_8argumentILj0EEEEENSH_5valueIiEEEEEEEEENSD_19counting_iterator_tIlEES8_S8_S8_S8_S8_S8_S8_S8_EEEEPS9_S9_NSD_9__find_if7functorIS9_EEEE10hipError_tPvRmT1_T2_T3_mT4_P12ihipStream_tbEUlT_E1_NS1_11comp_targetILNS1_3genE3ELNS1_11target_archE908ELNS1_3gpuE7ELNS1_3repE0EEENS1_30default_config_static_selectorELNS0_4arch9wavefront6targetE1EEEvS17_,comdat
	.protected	_ZN7rocprim17ROCPRIM_400000_NS6detail17trampoline_kernelINS0_14default_configENS1_22reduce_config_selectorIN6thrust23THRUST_200600_302600_NS5tupleIblNS6_9null_typeES8_S8_S8_S8_S8_S8_S8_EEEEZNS1_11reduce_implILb1ES3_NS6_12zip_iteratorINS7_INS6_11hip_rocprim26transform_input_iterator_tIbPiNS6_6detail10functional5actorINSH_9compositeIJNSH_27transparent_binary_operatorINS6_8equal_toIvEEEENSI_INSH_8argumentILj0EEEEENSH_5valueIiEEEEEEEEENSD_19counting_iterator_tIlEES8_S8_S8_S8_S8_S8_S8_S8_EEEEPS9_S9_NSD_9__find_if7functorIS9_EEEE10hipError_tPvRmT1_T2_T3_mT4_P12ihipStream_tbEUlT_E1_NS1_11comp_targetILNS1_3genE3ELNS1_11target_archE908ELNS1_3gpuE7ELNS1_3repE0EEENS1_30default_config_static_selectorELNS0_4arch9wavefront6targetE1EEEvS17_ ; -- Begin function _ZN7rocprim17ROCPRIM_400000_NS6detail17trampoline_kernelINS0_14default_configENS1_22reduce_config_selectorIN6thrust23THRUST_200600_302600_NS5tupleIblNS6_9null_typeES8_S8_S8_S8_S8_S8_S8_EEEEZNS1_11reduce_implILb1ES3_NS6_12zip_iteratorINS7_INS6_11hip_rocprim26transform_input_iterator_tIbPiNS6_6detail10functional5actorINSH_9compositeIJNSH_27transparent_binary_operatorINS6_8equal_toIvEEEENSI_INSH_8argumentILj0EEEEENSH_5valueIiEEEEEEEEENSD_19counting_iterator_tIlEES8_S8_S8_S8_S8_S8_S8_S8_EEEEPS9_S9_NSD_9__find_if7functorIS9_EEEE10hipError_tPvRmT1_T2_T3_mT4_P12ihipStream_tbEUlT_E1_NS1_11comp_targetILNS1_3genE3ELNS1_11target_archE908ELNS1_3gpuE7ELNS1_3repE0EEENS1_30default_config_static_selectorELNS0_4arch9wavefront6targetE1EEEvS17_
	.globl	_ZN7rocprim17ROCPRIM_400000_NS6detail17trampoline_kernelINS0_14default_configENS1_22reduce_config_selectorIN6thrust23THRUST_200600_302600_NS5tupleIblNS6_9null_typeES8_S8_S8_S8_S8_S8_S8_EEEEZNS1_11reduce_implILb1ES3_NS6_12zip_iteratorINS7_INS6_11hip_rocprim26transform_input_iterator_tIbPiNS6_6detail10functional5actorINSH_9compositeIJNSH_27transparent_binary_operatorINS6_8equal_toIvEEEENSI_INSH_8argumentILj0EEEEENSH_5valueIiEEEEEEEEENSD_19counting_iterator_tIlEES8_S8_S8_S8_S8_S8_S8_S8_EEEEPS9_S9_NSD_9__find_if7functorIS9_EEEE10hipError_tPvRmT1_T2_T3_mT4_P12ihipStream_tbEUlT_E1_NS1_11comp_targetILNS1_3genE3ELNS1_11target_archE908ELNS1_3gpuE7ELNS1_3repE0EEENS1_30default_config_static_selectorELNS0_4arch9wavefront6targetE1EEEvS17_
	.p2align	8
	.type	_ZN7rocprim17ROCPRIM_400000_NS6detail17trampoline_kernelINS0_14default_configENS1_22reduce_config_selectorIN6thrust23THRUST_200600_302600_NS5tupleIblNS6_9null_typeES8_S8_S8_S8_S8_S8_S8_EEEEZNS1_11reduce_implILb1ES3_NS6_12zip_iteratorINS7_INS6_11hip_rocprim26transform_input_iterator_tIbPiNS6_6detail10functional5actorINSH_9compositeIJNSH_27transparent_binary_operatorINS6_8equal_toIvEEEENSI_INSH_8argumentILj0EEEEENSH_5valueIiEEEEEEEEENSD_19counting_iterator_tIlEES8_S8_S8_S8_S8_S8_S8_S8_EEEEPS9_S9_NSD_9__find_if7functorIS9_EEEE10hipError_tPvRmT1_T2_T3_mT4_P12ihipStream_tbEUlT_E1_NS1_11comp_targetILNS1_3genE3ELNS1_11target_archE908ELNS1_3gpuE7ELNS1_3repE0EEENS1_30default_config_static_selectorELNS0_4arch9wavefront6targetE1EEEvS17_,@function
_ZN7rocprim17ROCPRIM_400000_NS6detail17trampoline_kernelINS0_14default_configENS1_22reduce_config_selectorIN6thrust23THRUST_200600_302600_NS5tupleIblNS6_9null_typeES8_S8_S8_S8_S8_S8_S8_EEEEZNS1_11reduce_implILb1ES3_NS6_12zip_iteratorINS7_INS6_11hip_rocprim26transform_input_iterator_tIbPiNS6_6detail10functional5actorINSH_9compositeIJNSH_27transparent_binary_operatorINS6_8equal_toIvEEEENSI_INSH_8argumentILj0EEEEENSH_5valueIiEEEEEEEEENSD_19counting_iterator_tIlEES8_S8_S8_S8_S8_S8_S8_S8_EEEEPS9_S9_NSD_9__find_if7functorIS9_EEEE10hipError_tPvRmT1_T2_T3_mT4_P12ihipStream_tbEUlT_E1_NS1_11comp_targetILNS1_3genE3ELNS1_11target_archE908ELNS1_3gpuE7ELNS1_3repE0EEENS1_30default_config_static_selectorELNS0_4arch9wavefront6targetE1EEEvS17_: ; @_ZN7rocprim17ROCPRIM_400000_NS6detail17trampoline_kernelINS0_14default_configENS1_22reduce_config_selectorIN6thrust23THRUST_200600_302600_NS5tupleIblNS6_9null_typeES8_S8_S8_S8_S8_S8_S8_EEEEZNS1_11reduce_implILb1ES3_NS6_12zip_iteratorINS7_INS6_11hip_rocprim26transform_input_iterator_tIbPiNS6_6detail10functional5actorINSH_9compositeIJNSH_27transparent_binary_operatorINS6_8equal_toIvEEEENSI_INSH_8argumentILj0EEEEENSH_5valueIiEEEEEEEEENSD_19counting_iterator_tIlEES8_S8_S8_S8_S8_S8_S8_S8_EEEEPS9_S9_NSD_9__find_if7functorIS9_EEEE10hipError_tPvRmT1_T2_T3_mT4_P12ihipStream_tbEUlT_E1_NS1_11comp_targetILNS1_3genE3ELNS1_11target_archE908ELNS1_3gpuE7ELNS1_3repE0EEENS1_30default_config_static_selectorELNS0_4arch9wavefront6targetE1EEEvS17_
; %bb.0:
	.section	.rodata,"a",@progbits
	.p2align	6, 0x0
	.amdhsa_kernel _ZN7rocprim17ROCPRIM_400000_NS6detail17trampoline_kernelINS0_14default_configENS1_22reduce_config_selectorIN6thrust23THRUST_200600_302600_NS5tupleIblNS6_9null_typeES8_S8_S8_S8_S8_S8_S8_EEEEZNS1_11reduce_implILb1ES3_NS6_12zip_iteratorINS7_INS6_11hip_rocprim26transform_input_iterator_tIbPiNS6_6detail10functional5actorINSH_9compositeIJNSH_27transparent_binary_operatorINS6_8equal_toIvEEEENSI_INSH_8argumentILj0EEEEENSH_5valueIiEEEEEEEEENSD_19counting_iterator_tIlEES8_S8_S8_S8_S8_S8_S8_S8_EEEEPS9_S9_NSD_9__find_if7functorIS9_EEEE10hipError_tPvRmT1_T2_T3_mT4_P12ihipStream_tbEUlT_E1_NS1_11comp_targetILNS1_3genE3ELNS1_11target_archE908ELNS1_3gpuE7ELNS1_3repE0EEENS1_30default_config_static_selectorELNS0_4arch9wavefront6targetE1EEEvS17_
		.amdhsa_group_segment_fixed_size 0
		.amdhsa_private_segment_fixed_size 0
		.amdhsa_kernarg_size 72
		.amdhsa_user_sgpr_count 6
		.amdhsa_user_sgpr_private_segment_buffer 1
		.amdhsa_user_sgpr_dispatch_ptr 0
		.amdhsa_user_sgpr_queue_ptr 0
		.amdhsa_user_sgpr_kernarg_segment_ptr 1
		.amdhsa_user_sgpr_dispatch_id 0
		.amdhsa_user_sgpr_flat_scratch_init 0
		.amdhsa_user_sgpr_private_segment_size 0
		.amdhsa_uses_dynamic_stack 0
		.amdhsa_system_sgpr_private_segment_wavefront_offset 0
		.amdhsa_system_sgpr_workgroup_id_x 1
		.amdhsa_system_sgpr_workgroup_id_y 0
		.amdhsa_system_sgpr_workgroup_id_z 0
		.amdhsa_system_sgpr_workgroup_info 0
		.amdhsa_system_vgpr_workitem_id 0
		.amdhsa_next_free_vgpr 1
		.amdhsa_next_free_sgpr 0
		.amdhsa_reserve_vcc 0
		.amdhsa_reserve_flat_scratch 0
		.amdhsa_float_round_mode_32 0
		.amdhsa_float_round_mode_16_64 0
		.amdhsa_float_denorm_mode_32 3
		.amdhsa_float_denorm_mode_16_64 3
		.amdhsa_dx10_clamp 1
		.amdhsa_ieee_mode 1
		.amdhsa_fp16_overflow 0
		.amdhsa_exception_fp_ieee_invalid_op 0
		.amdhsa_exception_fp_denorm_src 0
		.amdhsa_exception_fp_ieee_div_zero 0
		.amdhsa_exception_fp_ieee_overflow 0
		.amdhsa_exception_fp_ieee_underflow 0
		.amdhsa_exception_fp_ieee_inexact 0
		.amdhsa_exception_int_div_zero 0
	.end_amdhsa_kernel
	.section	.text._ZN7rocprim17ROCPRIM_400000_NS6detail17trampoline_kernelINS0_14default_configENS1_22reduce_config_selectorIN6thrust23THRUST_200600_302600_NS5tupleIblNS6_9null_typeES8_S8_S8_S8_S8_S8_S8_EEEEZNS1_11reduce_implILb1ES3_NS6_12zip_iteratorINS7_INS6_11hip_rocprim26transform_input_iterator_tIbPiNS6_6detail10functional5actorINSH_9compositeIJNSH_27transparent_binary_operatorINS6_8equal_toIvEEEENSI_INSH_8argumentILj0EEEEENSH_5valueIiEEEEEEEEENSD_19counting_iterator_tIlEES8_S8_S8_S8_S8_S8_S8_S8_EEEEPS9_S9_NSD_9__find_if7functorIS9_EEEE10hipError_tPvRmT1_T2_T3_mT4_P12ihipStream_tbEUlT_E1_NS1_11comp_targetILNS1_3genE3ELNS1_11target_archE908ELNS1_3gpuE7ELNS1_3repE0EEENS1_30default_config_static_selectorELNS0_4arch9wavefront6targetE1EEEvS17_,"axG",@progbits,_ZN7rocprim17ROCPRIM_400000_NS6detail17trampoline_kernelINS0_14default_configENS1_22reduce_config_selectorIN6thrust23THRUST_200600_302600_NS5tupleIblNS6_9null_typeES8_S8_S8_S8_S8_S8_S8_EEEEZNS1_11reduce_implILb1ES3_NS6_12zip_iteratorINS7_INS6_11hip_rocprim26transform_input_iterator_tIbPiNS6_6detail10functional5actorINSH_9compositeIJNSH_27transparent_binary_operatorINS6_8equal_toIvEEEENSI_INSH_8argumentILj0EEEEENSH_5valueIiEEEEEEEEENSD_19counting_iterator_tIlEES8_S8_S8_S8_S8_S8_S8_S8_EEEEPS9_S9_NSD_9__find_if7functorIS9_EEEE10hipError_tPvRmT1_T2_T3_mT4_P12ihipStream_tbEUlT_E1_NS1_11comp_targetILNS1_3genE3ELNS1_11target_archE908ELNS1_3gpuE7ELNS1_3repE0EEENS1_30default_config_static_selectorELNS0_4arch9wavefront6targetE1EEEvS17_,comdat
.Lfunc_end986:
	.size	_ZN7rocprim17ROCPRIM_400000_NS6detail17trampoline_kernelINS0_14default_configENS1_22reduce_config_selectorIN6thrust23THRUST_200600_302600_NS5tupleIblNS6_9null_typeES8_S8_S8_S8_S8_S8_S8_EEEEZNS1_11reduce_implILb1ES3_NS6_12zip_iteratorINS7_INS6_11hip_rocprim26transform_input_iterator_tIbPiNS6_6detail10functional5actorINSH_9compositeIJNSH_27transparent_binary_operatorINS6_8equal_toIvEEEENSI_INSH_8argumentILj0EEEEENSH_5valueIiEEEEEEEEENSD_19counting_iterator_tIlEES8_S8_S8_S8_S8_S8_S8_S8_EEEEPS9_S9_NSD_9__find_if7functorIS9_EEEE10hipError_tPvRmT1_T2_T3_mT4_P12ihipStream_tbEUlT_E1_NS1_11comp_targetILNS1_3genE3ELNS1_11target_archE908ELNS1_3gpuE7ELNS1_3repE0EEENS1_30default_config_static_selectorELNS0_4arch9wavefront6targetE1EEEvS17_, .Lfunc_end986-_ZN7rocprim17ROCPRIM_400000_NS6detail17trampoline_kernelINS0_14default_configENS1_22reduce_config_selectorIN6thrust23THRUST_200600_302600_NS5tupleIblNS6_9null_typeES8_S8_S8_S8_S8_S8_S8_EEEEZNS1_11reduce_implILb1ES3_NS6_12zip_iteratorINS7_INS6_11hip_rocprim26transform_input_iterator_tIbPiNS6_6detail10functional5actorINSH_9compositeIJNSH_27transparent_binary_operatorINS6_8equal_toIvEEEENSI_INSH_8argumentILj0EEEEENSH_5valueIiEEEEEEEEENSD_19counting_iterator_tIlEES8_S8_S8_S8_S8_S8_S8_S8_EEEEPS9_S9_NSD_9__find_if7functorIS9_EEEE10hipError_tPvRmT1_T2_T3_mT4_P12ihipStream_tbEUlT_E1_NS1_11comp_targetILNS1_3genE3ELNS1_11target_archE908ELNS1_3gpuE7ELNS1_3repE0EEENS1_30default_config_static_selectorELNS0_4arch9wavefront6targetE1EEEvS17_
                                        ; -- End function
	.set _ZN7rocprim17ROCPRIM_400000_NS6detail17trampoline_kernelINS0_14default_configENS1_22reduce_config_selectorIN6thrust23THRUST_200600_302600_NS5tupleIblNS6_9null_typeES8_S8_S8_S8_S8_S8_S8_EEEEZNS1_11reduce_implILb1ES3_NS6_12zip_iteratorINS7_INS6_11hip_rocprim26transform_input_iterator_tIbPiNS6_6detail10functional5actorINSH_9compositeIJNSH_27transparent_binary_operatorINS6_8equal_toIvEEEENSI_INSH_8argumentILj0EEEEENSH_5valueIiEEEEEEEEENSD_19counting_iterator_tIlEES8_S8_S8_S8_S8_S8_S8_S8_EEEEPS9_S9_NSD_9__find_if7functorIS9_EEEE10hipError_tPvRmT1_T2_T3_mT4_P12ihipStream_tbEUlT_E1_NS1_11comp_targetILNS1_3genE3ELNS1_11target_archE908ELNS1_3gpuE7ELNS1_3repE0EEENS1_30default_config_static_selectorELNS0_4arch9wavefront6targetE1EEEvS17_.num_vgpr, 0
	.set _ZN7rocprim17ROCPRIM_400000_NS6detail17trampoline_kernelINS0_14default_configENS1_22reduce_config_selectorIN6thrust23THRUST_200600_302600_NS5tupleIblNS6_9null_typeES8_S8_S8_S8_S8_S8_S8_EEEEZNS1_11reduce_implILb1ES3_NS6_12zip_iteratorINS7_INS6_11hip_rocprim26transform_input_iterator_tIbPiNS6_6detail10functional5actorINSH_9compositeIJNSH_27transparent_binary_operatorINS6_8equal_toIvEEEENSI_INSH_8argumentILj0EEEEENSH_5valueIiEEEEEEEEENSD_19counting_iterator_tIlEES8_S8_S8_S8_S8_S8_S8_S8_EEEEPS9_S9_NSD_9__find_if7functorIS9_EEEE10hipError_tPvRmT1_T2_T3_mT4_P12ihipStream_tbEUlT_E1_NS1_11comp_targetILNS1_3genE3ELNS1_11target_archE908ELNS1_3gpuE7ELNS1_3repE0EEENS1_30default_config_static_selectorELNS0_4arch9wavefront6targetE1EEEvS17_.num_agpr, 0
	.set _ZN7rocprim17ROCPRIM_400000_NS6detail17trampoline_kernelINS0_14default_configENS1_22reduce_config_selectorIN6thrust23THRUST_200600_302600_NS5tupleIblNS6_9null_typeES8_S8_S8_S8_S8_S8_S8_EEEEZNS1_11reduce_implILb1ES3_NS6_12zip_iteratorINS7_INS6_11hip_rocprim26transform_input_iterator_tIbPiNS6_6detail10functional5actorINSH_9compositeIJNSH_27transparent_binary_operatorINS6_8equal_toIvEEEENSI_INSH_8argumentILj0EEEEENSH_5valueIiEEEEEEEEENSD_19counting_iterator_tIlEES8_S8_S8_S8_S8_S8_S8_S8_EEEEPS9_S9_NSD_9__find_if7functorIS9_EEEE10hipError_tPvRmT1_T2_T3_mT4_P12ihipStream_tbEUlT_E1_NS1_11comp_targetILNS1_3genE3ELNS1_11target_archE908ELNS1_3gpuE7ELNS1_3repE0EEENS1_30default_config_static_selectorELNS0_4arch9wavefront6targetE1EEEvS17_.numbered_sgpr, 0
	.set _ZN7rocprim17ROCPRIM_400000_NS6detail17trampoline_kernelINS0_14default_configENS1_22reduce_config_selectorIN6thrust23THRUST_200600_302600_NS5tupleIblNS6_9null_typeES8_S8_S8_S8_S8_S8_S8_EEEEZNS1_11reduce_implILb1ES3_NS6_12zip_iteratorINS7_INS6_11hip_rocprim26transform_input_iterator_tIbPiNS6_6detail10functional5actorINSH_9compositeIJNSH_27transparent_binary_operatorINS6_8equal_toIvEEEENSI_INSH_8argumentILj0EEEEENSH_5valueIiEEEEEEEEENSD_19counting_iterator_tIlEES8_S8_S8_S8_S8_S8_S8_S8_EEEEPS9_S9_NSD_9__find_if7functorIS9_EEEE10hipError_tPvRmT1_T2_T3_mT4_P12ihipStream_tbEUlT_E1_NS1_11comp_targetILNS1_3genE3ELNS1_11target_archE908ELNS1_3gpuE7ELNS1_3repE0EEENS1_30default_config_static_selectorELNS0_4arch9wavefront6targetE1EEEvS17_.num_named_barrier, 0
	.set _ZN7rocprim17ROCPRIM_400000_NS6detail17trampoline_kernelINS0_14default_configENS1_22reduce_config_selectorIN6thrust23THRUST_200600_302600_NS5tupleIblNS6_9null_typeES8_S8_S8_S8_S8_S8_S8_EEEEZNS1_11reduce_implILb1ES3_NS6_12zip_iteratorINS7_INS6_11hip_rocprim26transform_input_iterator_tIbPiNS6_6detail10functional5actorINSH_9compositeIJNSH_27transparent_binary_operatorINS6_8equal_toIvEEEENSI_INSH_8argumentILj0EEEEENSH_5valueIiEEEEEEEEENSD_19counting_iterator_tIlEES8_S8_S8_S8_S8_S8_S8_S8_EEEEPS9_S9_NSD_9__find_if7functorIS9_EEEE10hipError_tPvRmT1_T2_T3_mT4_P12ihipStream_tbEUlT_E1_NS1_11comp_targetILNS1_3genE3ELNS1_11target_archE908ELNS1_3gpuE7ELNS1_3repE0EEENS1_30default_config_static_selectorELNS0_4arch9wavefront6targetE1EEEvS17_.private_seg_size, 0
	.set _ZN7rocprim17ROCPRIM_400000_NS6detail17trampoline_kernelINS0_14default_configENS1_22reduce_config_selectorIN6thrust23THRUST_200600_302600_NS5tupleIblNS6_9null_typeES8_S8_S8_S8_S8_S8_S8_EEEEZNS1_11reduce_implILb1ES3_NS6_12zip_iteratorINS7_INS6_11hip_rocprim26transform_input_iterator_tIbPiNS6_6detail10functional5actorINSH_9compositeIJNSH_27transparent_binary_operatorINS6_8equal_toIvEEEENSI_INSH_8argumentILj0EEEEENSH_5valueIiEEEEEEEEENSD_19counting_iterator_tIlEES8_S8_S8_S8_S8_S8_S8_S8_EEEEPS9_S9_NSD_9__find_if7functorIS9_EEEE10hipError_tPvRmT1_T2_T3_mT4_P12ihipStream_tbEUlT_E1_NS1_11comp_targetILNS1_3genE3ELNS1_11target_archE908ELNS1_3gpuE7ELNS1_3repE0EEENS1_30default_config_static_selectorELNS0_4arch9wavefront6targetE1EEEvS17_.uses_vcc, 0
	.set _ZN7rocprim17ROCPRIM_400000_NS6detail17trampoline_kernelINS0_14default_configENS1_22reduce_config_selectorIN6thrust23THRUST_200600_302600_NS5tupleIblNS6_9null_typeES8_S8_S8_S8_S8_S8_S8_EEEEZNS1_11reduce_implILb1ES3_NS6_12zip_iteratorINS7_INS6_11hip_rocprim26transform_input_iterator_tIbPiNS6_6detail10functional5actorINSH_9compositeIJNSH_27transparent_binary_operatorINS6_8equal_toIvEEEENSI_INSH_8argumentILj0EEEEENSH_5valueIiEEEEEEEEENSD_19counting_iterator_tIlEES8_S8_S8_S8_S8_S8_S8_S8_EEEEPS9_S9_NSD_9__find_if7functorIS9_EEEE10hipError_tPvRmT1_T2_T3_mT4_P12ihipStream_tbEUlT_E1_NS1_11comp_targetILNS1_3genE3ELNS1_11target_archE908ELNS1_3gpuE7ELNS1_3repE0EEENS1_30default_config_static_selectorELNS0_4arch9wavefront6targetE1EEEvS17_.uses_flat_scratch, 0
	.set _ZN7rocprim17ROCPRIM_400000_NS6detail17trampoline_kernelINS0_14default_configENS1_22reduce_config_selectorIN6thrust23THRUST_200600_302600_NS5tupleIblNS6_9null_typeES8_S8_S8_S8_S8_S8_S8_EEEEZNS1_11reduce_implILb1ES3_NS6_12zip_iteratorINS7_INS6_11hip_rocprim26transform_input_iterator_tIbPiNS6_6detail10functional5actorINSH_9compositeIJNSH_27transparent_binary_operatorINS6_8equal_toIvEEEENSI_INSH_8argumentILj0EEEEENSH_5valueIiEEEEEEEEENSD_19counting_iterator_tIlEES8_S8_S8_S8_S8_S8_S8_S8_EEEEPS9_S9_NSD_9__find_if7functorIS9_EEEE10hipError_tPvRmT1_T2_T3_mT4_P12ihipStream_tbEUlT_E1_NS1_11comp_targetILNS1_3genE3ELNS1_11target_archE908ELNS1_3gpuE7ELNS1_3repE0EEENS1_30default_config_static_selectorELNS0_4arch9wavefront6targetE1EEEvS17_.has_dyn_sized_stack, 0
	.set _ZN7rocprim17ROCPRIM_400000_NS6detail17trampoline_kernelINS0_14default_configENS1_22reduce_config_selectorIN6thrust23THRUST_200600_302600_NS5tupleIblNS6_9null_typeES8_S8_S8_S8_S8_S8_S8_EEEEZNS1_11reduce_implILb1ES3_NS6_12zip_iteratorINS7_INS6_11hip_rocprim26transform_input_iterator_tIbPiNS6_6detail10functional5actorINSH_9compositeIJNSH_27transparent_binary_operatorINS6_8equal_toIvEEEENSI_INSH_8argumentILj0EEEEENSH_5valueIiEEEEEEEEENSD_19counting_iterator_tIlEES8_S8_S8_S8_S8_S8_S8_S8_EEEEPS9_S9_NSD_9__find_if7functorIS9_EEEE10hipError_tPvRmT1_T2_T3_mT4_P12ihipStream_tbEUlT_E1_NS1_11comp_targetILNS1_3genE3ELNS1_11target_archE908ELNS1_3gpuE7ELNS1_3repE0EEENS1_30default_config_static_selectorELNS0_4arch9wavefront6targetE1EEEvS17_.has_recursion, 0
	.set _ZN7rocprim17ROCPRIM_400000_NS6detail17trampoline_kernelINS0_14default_configENS1_22reduce_config_selectorIN6thrust23THRUST_200600_302600_NS5tupleIblNS6_9null_typeES8_S8_S8_S8_S8_S8_S8_EEEEZNS1_11reduce_implILb1ES3_NS6_12zip_iteratorINS7_INS6_11hip_rocprim26transform_input_iterator_tIbPiNS6_6detail10functional5actorINSH_9compositeIJNSH_27transparent_binary_operatorINS6_8equal_toIvEEEENSI_INSH_8argumentILj0EEEEENSH_5valueIiEEEEEEEEENSD_19counting_iterator_tIlEES8_S8_S8_S8_S8_S8_S8_S8_EEEEPS9_S9_NSD_9__find_if7functorIS9_EEEE10hipError_tPvRmT1_T2_T3_mT4_P12ihipStream_tbEUlT_E1_NS1_11comp_targetILNS1_3genE3ELNS1_11target_archE908ELNS1_3gpuE7ELNS1_3repE0EEENS1_30default_config_static_selectorELNS0_4arch9wavefront6targetE1EEEvS17_.has_indirect_call, 0
	.section	.AMDGPU.csdata,"",@progbits
; Kernel info:
; codeLenInByte = 0
; TotalNumSgprs: 4
; NumVgprs: 0
; ScratchSize: 0
; MemoryBound: 0
; FloatMode: 240
; IeeeMode: 1
; LDSByteSize: 0 bytes/workgroup (compile time only)
; SGPRBlocks: 0
; VGPRBlocks: 0
; NumSGPRsForWavesPerEU: 4
; NumVGPRsForWavesPerEU: 1
; Occupancy: 10
; WaveLimiterHint : 0
; COMPUTE_PGM_RSRC2:SCRATCH_EN: 0
; COMPUTE_PGM_RSRC2:USER_SGPR: 6
; COMPUTE_PGM_RSRC2:TRAP_HANDLER: 0
; COMPUTE_PGM_RSRC2:TGID_X_EN: 1
; COMPUTE_PGM_RSRC2:TGID_Y_EN: 0
; COMPUTE_PGM_RSRC2:TGID_Z_EN: 0
; COMPUTE_PGM_RSRC2:TIDIG_COMP_CNT: 0
	.section	.text._ZN7rocprim17ROCPRIM_400000_NS6detail17trampoline_kernelINS0_14default_configENS1_22reduce_config_selectorIN6thrust23THRUST_200600_302600_NS5tupleIblNS6_9null_typeES8_S8_S8_S8_S8_S8_S8_EEEEZNS1_11reduce_implILb1ES3_NS6_12zip_iteratorINS7_INS6_11hip_rocprim26transform_input_iterator_tIbPiNS6_6detail10functional5actorINSH_9compositeIJNSH_27transparent_binary_operatorINS6_8equal_toIvEEEENSI_INSH_8argumentILj0EEEEENSH_5valueIiEEEEEEEEENSD_19counting_iterator_tIlEES8_S8_S8_S8_S8_S8_S8_S8_EEEEPS9_S9_NSD_9__find_if7functorIS9_EEEE10hipError_tPvRmT1_T2_T3_mT4_P12ihipStream_tbEUlT_E1_NS1_11comp_targetILNS1_3genE2ELNS1_11target_archE906ELNS1_3gpuE6ELNS1_3repE0EEENS1_30default_config_static_selectorELNS0_4arch9wavefront6targetE1EEEvS17_,"axG",@progbits,_ZN7rocprim17ROCPRIM_400000_NS6detail17trampoline_kernelINS0_14default_configENS1_22reduce_config_selectorIN6thrust23THRUST_200600_302600_NS5tupleIblNS6_9null_typeES8_S8_S8_S8_S8_S8_S8_EEEEZNS1_11reduce_implILb1ES3_NS6_12zip_iteratorINS7_INS6_11hip_rocprim26transform_input_iterator_tIbPiNS6_6detail10functional5actorINSH_9compositeIJNSH_27transparent_binary_operatorINS6_8equal_toIvEEEENSI_INSH_8argumentILj0EEEEENSH_5valueIiEEEEEEEEENSD_19counting_iterator_tIlEES8_S8_S8_S8_S8_S8_S8_S8_EEEEPS9_S9_NSD_9__find_if7functorIS9_EEEE10hipError_tPvRmT1_T2_T3_mT4_P12ihipStream_tbEUlT_E1_NS1_11comp_targetILNS1_3genE2ELNS1_11target_archE906ELNS1_3gpuE6ELNS1_3repE0EEENS1_30default_config_static_selectorELNS0_4arch9wavefront6targetE1EEEvS17_,comdat
	.protected	_ZN7rocprim17ROCPRIM_400000_NS6detail17trampoline_kernelINS0_14default_configENS1_22reduce_config_selectorIN6thrust23THRUST_200600_302600_NS5tupleIblNS6_9null_typeES8_S8_S8_S8_S8_S8_S8_EEEEZNS1_11reduce_implILb1ES3_NS6_12zip_iteratorINS7_INS6_11hip_rocprim26transform_input_iterator_tIbPiNS6_6detail10functional5actorINSH_9compositeIJNSH_27transparent_binary_operatorINS6_8equal_toIvEEEENSI_INSH_8argumentILj0EEEEENSH_5valueIiEEEEEEEEENSD_19counting_iterator_tIlEES8_S8_S8_S8_S8_S8_S8_S8_EEEEPS9_S9_NSD_9__find_if7functorIS9_EEEE10hipError_tPvRmT1_T2_T3_mT4_P12ihipStream_tbEUlT_E1_NS1_11comp_targetILNS1_3genE2ELNS1_11target_archE906ELNS1_3gpuE6ELNS1_3repE0EEENS1_30default_config_static_selectorELNS0_4arch9wavefront6targetE1EEEvS17_ ; -- Begin function _ZN7rocprim17ROCPRIM_400000_NS6detail17trampoline_kernelINS0_14default_configENS1_22reduce_config_selectorIN6thrust23THRUST_200600_302600_NS5tupleIblNS6_9null_typeES8_S8_S8_S8_S8_S8_S8_EEEEZNS1_11reduce_implILb1ES3_NS6_12zip_iteratorINS7_INS6_11hip_rocprim26transform_input_iterator_tIbPiNS6_6detail10functional5actorINSH_9compositeIJNSH_27transparent_binary_operatorINS6_8equal_toIvEEEENSI_INSH_8argumentILj0EEEEENSH_5valueIiEEEEEEEEENSD_19counting_iterator_tIlEES8_S8_S8_S8_S8_S8_S8_S8_EEEEPS9_S9_NSD_9__find_if7functorIS9_EEEE10hipError_tPvRmT1_T2_T3_mT4_P12ihipStream_tbEUlT_E1_NS1_11comp_targetILNS1_3genE2ELNS1_11target_archE906ELNS1_3gpuE6ELNS1_3repE0EEENS1_30default_config_static_selectorELNS0_4arch9wavefront6targetE1EEEvS17_
	.globl	_ZN7rocprim17ROCPRIM_400000_NS6detail17trampoline_kernelINS0_14default_configENS1_22reduce_config_selectorIN6thrust23THRUST_200600_302600_NS5tupleIblNS6_9null_typeES8_S8_S8_S8_S8_S8_S8_EEEEZNS1_11reduce_implILb1ES3_NS6_12zip_iteratorINS7_INS6_11hip_rocprim26transform_input_iterator_tIbPiNS6_6detail10functional5actorINSH_9compositeIJNSH_27transparent_binary_operatorINS6_8equal_toIvEEEENSI_INSH_8argumentILj0EEEEENSH_5valueIiEEEEEEEEENSD_19counting_iterator_tIlEES8_S8_S8_S8_S8_S8_S8_S8_EEEEPS9_S9_NSD_9__find_if7functorIS9_EEEE10hipError_tPvRmT1_T2_T3_mT4_P12ihipStream_tbEUlT_E1_NS1_11comp_targetILNS1_3genE2ELNS1_11target_archE906ELNS1_3gpuE6ELNS1_3repE0EEENS1_30default_config_static_selectorELNS0_4arch9wavefront6targetE1EEEvS17_
	.p2align	8
	.type	_ZN7rocprim17ROCPRIM_400000_NS6detail17trampoline_kernelINS0_14default_configENS1_22reduce_config_selectorIN6thrust23THRUST_200600_302600_NS5tupleIblNS6_9null_typeES8_S8_S8_S8_S8_S8_S8_EEEEZNS1_11reduce_implILb1ES3_NS6_12zip_iteratorINS7_INS6_11hip_rocprim26transform_input_iterator_tIbPiNS6_6detail10functional5actorINSH_9compositeIJNSH_27transparent_binary_operatorINS6_8equal_toIvEEEENSI_INSH_8argumentILj0EEEEENSH_5valueIiEEEEEEEEENSD_19counting_iterator_tIlEES8_S8_S8_S8_S8_S8_S8_S8_EEEEPS9_S9_NSD_9__find_if7functorIS9_EEEE10hipError_tPvRmT1_T2_T3_mT4_P12ihipStream_tbEUlT_E1_NS1_11comp_targetILNS1_3genE2ELNS1_11target_archE906ELNS1_3gpuE6ELNS1_3repE0EEENS1_30default_config_static_selectorELNS0_4arch9wavefront6targetE1EEEvS17_,@function
_ZN7rocprim17ROCPRIM_400000_NS6detail17trampoline_kernelINS0_14default_configENS1_22reduce_config_selectorIN6thrust23THRUST_200600_302600_NS5tupleIblNS6_9null_typeES8_S8_S8_S8_S8_S8_S8_EEEEZNS1_11reduce_implILb1ES3_NS6_12zip_iteratorINS7_INS6_11hip_rocprim26transform_input_iterator_tIbPiNS6_6detail10functional5actorINSH_9compositeIJNSH_27transparent_binary_operatorINS6_8equal_toIvEEEENSI_INSH_8argumentILj0EEEEENSH_5valueIiEEEEEEEEENSD_19counting_iterator_tIlEES8_S8_S8_S8_S8_S8_S8_S8_EEEEPS9_S9_NSD_9__find_if7functorIS9_EEEE10hipError_tPvRmT1_T2_T3_mT4_P12ihipStream_tbEUlT_E1_NS1_11comp_targetILNS1_3genE2ELNS1_11target_archE906ELNS1_3gpuE6ELNS1_3repE0EEENS1_30default_config_static_selectorELNS0_4arch9wavefront6targetE1EEEvS17_: ; @_ZN7rocprim17ROCPRIM_400000_NS6detail17trampoline_kernelINS0_14default_configENS1_22reduce_config_selectorIN6thrust23THRUST_200600_302600_NS5tupleIblNS6_9null_typeES8_S8_S8_S8_S8_S8_S8_EEEEZNS1_11reduce_implILb1ES3_NS6_12zip_iteratorINS7_INS6_11hip_rocprim26transform_input_iterator_tIbPiNS6_6detail10functional5actorINSH_9compositeIJNSH_27transparent_binary_operatorINS6_8equal_toIvEEEENSI_INSH_8argumentILj0EEEEENSH_5valueIiEEEEEEEEENSD_19counting_iterator_tIlEES8_S8_S8_S8_S8_S8_S8_S8_EEEEPS9_S9_NSD_9__find_if7functorIS9_EEEE10hipError_tPvRmT1_T2_T3_mT4_P12ihipStream_tbEUlT_E1_NS1_11comp_targetILNS1_3genE2ELNS1_11target_archE906ELNS1_3gpuE6ELNS1_3repE0EEENS1_30default_config_static_selectorELNS0_4arch9wavefront6targetE1EEEvS17_
; %bb.0:
	s_load_dword s35, s[4:5], 0x4
	s_load_dwordx2 s[24:25], s[4:5], 0x8
	s_load_dword s34, s[4:5], 0x14
	s_load_dwordx4 s[20:23], s[4:5], 0x18
	s_load_dword s33, s[4:5], 0x30
	s_load_dwordx2 s[18:19], s[4:5], 0x38
	s_waitcnt lgkmcnt(0)
	s_cmp_lt_i32 s35, 4
	s_cbranch_scc1 .LBB987_13
; %bb.1:
	s_cmp_gt_i32 s35, 7
	s_cbranch_scc0 .LBB987_14
; %bb.2:
	s_cmp_eq_u32 s35, 8
	s_mov_b64 s[26:27], 0
	s_cbranch_scc0 .LBB987_15
; %bb.3:
	s_mov_b32 s7, 0
	s_lshl_b32 s30, s6, 10
	s_mov_b32 s31, s7
	s_lshr_b64 s[0:1], s[22:23], 10
	s_lshl_b64 s[2:3], s[30:31], 2
	s_add_u32 s28, s24, s2
	s_addc_u32 s29, s25, s3
	s_add_u32 s37, s20, s30
	s_addc_u32 s38, s21, 0
	s_cmp_lg_u64 s[0:1], s[6:7]
	s_cbranch_scc0 .LBB987_28
; %bb.4:
	v_lshlrev_b32_e32 v1, 2, v0
	global_load_dword v2, v1, s[28:29] offset:1024
	global_load_dword v4, v1, s[28:29] offset:2048
	;; [unrolled: 1-line block ×7, first 2 shown]
	global_load_dword v10, v1, s[28:29]
	v_mov_b32_e32 v1, s38
	v_add_co_u32_e32 v18, vcc, s37, v0
	v_mov_b32_e32 v11, 0x100
	v_mov_b32_e32 v12, 0x80
	v_addc_co_u32_e32 v19, vcc, 0, v1, vcc
	v_mov_b32_e32 v13, 0x200
	v_mov_b32_e32 v14, 0x180
	;; [unrolled: 1-line block ×5, first 2 shown]
	v_mbcnt_lo_u32_b32 v3, -1, 0
	v_mbcnt_hi_u32_b32 v3, -1, v3
	s_waitcnt vmcnt(7)
	v_cmp_eq_u32_e32 vcc, s34, v2
	s_waitcnt vmcnt(6)
	v_cmp_eq_u32_e64 s[0:1], s34, v4
	s_waitcnt vmcnt(5)
	v_cmp_eq_u32_e64 s[2:3], s34, v5
	s_waitcnt vmcnt(4)
	v_cmp_eq_u32_e64 s[8:9], s34, v6
	s_waitcnt vmcnt(3)
	v_cmp_eq_u32_e64 s[10:11], s34, v7
	v_cndmask_b32_e64 v1, v11, v12, s[10:11]
	s_waitcnt vmcnt(2)
	v_cmp_eq_u32_e64 s[12:13], s34, v8
	s_waitcnt vmcnt(0)
	v_cmp_eq_u32_e64 s[16:17], s34, v10
	s_or_b64 s[10:11], s[16:17], s[10:11]
	s_or_b64 vcc, s[10:11], vcc
	v_cndmask_b32_e64 v2, v13, v14, s[12:13]
	v_cndmask_b32_e64 v1, v1, 0, s[16:17]
	s_or_b64 s[10:11], vcc, s[12:13]
	v_cmp_eq_u32_e64 s[14:15], s34, v9
	v_cndmask_b32_e32 v1, v2, v1, vcc
	s_or_b64 vcc, s[10:11], s[0:1]
	v_cndmask_b32_e64 v4, v15, v16, s[14:15]
	s_or_b64 s[0:1], vcc, s[14:15]
	v_cndmask_b32_e32 v1, v4, v1, vcc
	s_or_b64 vcc, s[0:1], s[2:3]
	v_cndmask_b32_e32 v1, v17, v1, vcc
	v_add_co_u32_e64 v1, s[0:1], v18, v1
	v_addc_co_u32_e64 v2, s[0:1], 0, v19, s[0:1]
	s_or_b64 s[0:1], vcc, s[8:9]
	v_mov_b32_dpp v4, v1 quad_perm:[1,0,3,2] row_mask:0xf bank_mask:0xf bound_ctrl:1
	v_mov_b32_dpp v5, v2 quad_perm:[1,0,3,2] row_mask:0xf bank_mask:0xf bound_ctrl:1
	v_cndmask_b32_e64 v6, 0, 1, s[0:1]
	v_cmp_lt_i64_e32 vcc, v[1:2], v[4:5]
	s_and_b64 vcc, s[0:1], vcc
	v_mov_b32_dpp v7, v6 quad_perm:[1,0,3,2] row_mask:0xf bank_mask:0xf bound_ctrl:1
	v_and_b32_e32 v7, 1, v7
	v_cndmask_b32_e32 v4, v4, v1, vcc
	v_cndmask_b32_e32 v5, v5, v2, vcc
	v_cmp_eq_u32_e32 vcc, 1, v7
	v_cndmask_b32_e32 v2, v2, v5, vcc
	v_cndmask_b32_e32 v1, v1, v4, vcc
	v_cndmask_b32_e64 v6, v6, 1, vcc
	v_mov_b32_dpp v5, v2 quad_perm:[2,3,0,1] row_mask:0xf bank_mask:0xf bound_ctrl:1
	v_mov_b32_dpp v4, v1 quad_perm:[2,3,0,1] row_mask:0xf bank_mask:0xf bound_ctrl:1
	v_and_b32_e32 v8, 1, v6
	v_cmp_lt_i64_e64 s[0:1], v[1:2], v[4:5]
	v_mov_b32_dpp v7, v6 quad_perm:[2,3,0,1] row_mask:0xf bank_mask:0xf bound_ctrl:1
	v_cmp_eq_u32_e32 vcc, 1, v8
	v_and_b32_e32 v7, 1, v7
	s_and_b64 vcc, vcc, s[0:1]
	v_cmp_eq_u32_e64 s[2:3], 1, v7
	v_cndmask_b32_e32 v4, v4, v1, vcc
	v_cndmask_b32_e32 v5, v5, v2, vcc
	v_cndmask_b32_e64 v1, v1, v4, s[2:3]
	v_cndmask_b32_e64 v2, v2, v5, s[2:3]
	;; [unrolled: 1-line block ×3, first 2 shown]
	v_mov_b32_dpp v4, v1 row_ror:4 row_mask:0xf bank_mask:0xf bound_ctrl:1
	v_mov_b32_dpp v5, v2 row_ror:4 row_mask:0xf bank_mask:0xf bound_ctrl:1
	v_and_b32_e32 v8, 1, v6
	v_cmp_lt_i64_e64 s[2:3], v[1:2], v[4:5]
	v_mov_b32_dpp v7, v6 row_ror:4 row_mask:0xf bank_mask:0xf bound_ctrl:1
	v_cmp_eq_u32_e32 vcc, 1, v8
	v_and_b32_e32 v7, 1, v7
	s_and_b64 vcc, vcc, s[2:3]
	v_cmp_eq_u32_e64 s[0:1], 1, v7
	v_cndmask_b32_e32 v4, v4, v1, vcc
	v_cndmask_b32_e32 v5, v5, v2, vcc
	v_cndmask_b32_e64 v1, v1, v4, s[0:1]
	v_cndmask_b32_e64 v2, v2, v5, s[0:1]
	;; [unrolled: 1-line block ×3, first 2 shown]
	v_mov_b32_dpp v4, v1 row_ror:8 row_mask:0xf bank_mask:0xf bound_ctrl:1
	v_mov_b32_dpp v5, v2 row_ror:8 row_mask:0xf bank_mask:0xf bound_ctrl:1
	v_and_b32_e32 v8, 1, v6
	v_cmp_lt_i64_e64 s[0:1], v[1:2], v[4:5]
	v_mov_b32_dpp v7, v6 row_ror:8 row_mask:0xf bank_mask:0xf bound_ctrl:1
	v_cmp_eq_u32_e64 s[8:9], 1, v8
	v_and_b32_e32 v7, 1, v7
	s_and_b64 s[0:1], s[8:9], s[0:1]
	v_cmp_eq_u32_e64 s[10:11], 1, v7
	v_cndmask_b32_e64 v4, v4, v1, s[0:1]
	v_cndmask_b32_e64 v5, v5, v2, s[0:1]
	;; [unrolled: 1-line block ×5, first 2 shown]
	v_mov_b32_dpp v4, v1 row_bcast:15 row_mask:0xf bank_mask:0xf bound_ctrl:1
	v_mov_b32_dpp v5, v2 row_bcast:15 row_mask:0xf bank_mask:0xf bound_ctrl:1
	v_and_b32_e32 v8, 1, v6
	v_cmp_lt_i64_e64 s[0:1], v[1:2], v[4:5]
	v_mov_b32_dpp v7, v6 row_bcast:15 row_mask:0xf bank_mask:0xf bound_ctrl:1
	v_cmp_eq_u32_e32 vcc, 1, v8
	v_and_b32_e32 v7, 1, v7
	s_and_b64 vcc, vcc, s[0:1]
	v_cmp_eq_u32_e64 s[2:3], 1, v7
	v_cndmask_b32_e32 v4, v4, v1, vcc
	v_cndmask_b32_e32 v5, v5, v2, vcc
	v_cndmask_b32_e64 v1, v1, v4, s[2:3]
	v_cndmask_b32_e64 v2, v2, v5, s[2:3]
	v_cndmask_b32_e64 v6, v6, 1, s[2:3]
	v_mov_b32_dpp v4, v1 row_bcast:31 row_mask:0xf bank_mask:0xf bound_ctrl:1
	v_mov_b32_dpp v5, v2 row_bcast:31 row_mask:0xf bank_mask:0xf bound_ctrl:1
	v_and_b32_e32 v8, 1, v6
	v_cmp_lt_i64_e64 s[0:1], v[1:2], v[4:5]
	v_mov_b32_dpp v7, v6 row_bcast:31 row_mask:0xf bank_mask:0xf bound_ctrl:1
	v_cmp_eq_u32_e32 vcc, 1, v8
	v_and_b32_e32 v7, 1, v7
	s_and_b64 vcc, vcc, s[0:1]
	v_cmp_eq_u32_e64 s[2:3], 1, v7
	v_cndmask_b32_e32 v5, v5, v2, vcc
	v_cndmask_b32_e32 v4, v4, v1, vcc
	v_cndmask_b32_e64 v2, v2, v5, s[2:3]
	v_lshlrev_b32_e32 v5, 2, v3
	v_cndmask_b32_e64 v6, v6, 1, s[2:3]
	v_cndmask_b32_e64 v1, v1, v4, s[2:3]
	v_or_b32_e32 v4, 0xfc, v5
	ds_bpermute_b32 v17, v4, v6
	ds_bpermute_b32 v1, v4, v1
	ds_bpermute_b32 v2, v4, v2
	v_cmp_eq_u32_e32 vcc, 0, v3
	s_and_saveexec_b64 s[0:1], vcc
	s_cbranch_execz .LBB987_6
; %bb.5:
	v_lshrrev_b32_e32 v4, 2, v0
	v_and_b32_e32 v4, 16, v4
	s_waitcnt lgkmcnt(2)
	ds_write_b8 v4, v17 offset:96
	s_waitcnt lgkmcnt(1)
	ds_write_b64 v4, v[1:2] offset:104
.LBB987_6:
	s_or_b64 exec, exec, s[0:1]
	v_cmp_gt_u32_e32 vcc, 64, v0
	s_waitcnt lgkmcnt(0)
	s_barrier
	s_and_saveexec_b64 s[0:1], vcc
	s_cbranch_execz .LBB987_12
; %bb.7:
	v_and_b32_e32 v1, 1, v3
	v_lshlrev_b32_e32 v1, 4, v1
	ds_read_u8 v7, v1 offset:96
	ds_read_b64 v[3:4], v1 offset:104
	v_or_b32_e32 v2, 4, v5
	s_waitcnt lgkmcnt(1)
	v_and_b32_e32 v1, 0xff, v7
	ds_bpermute_b32 v8, v2, v1
	s_waitcnt lgkmcnt(1)
	ds_bpermute_b32 v5, v2, v3
	ds_bpermute_b32 v6, v2, v4
	s_waitcnt lgkmcnt(2)
	v_and_b32_e32 v1, v7, v8
	v_and_b32_e32 v1, 1, v1
	v_cmp_eq_u32_e32 vcc, 1, v1
                                        ; implicit-def: $vgpr1_vgpr2
	s_and_saveexec_b64 s[2:3], vcc
	s_xor_b64 s[2:3], exec, s[2:3]
	s_cbranch_execz .LBB987_9
; %bb.8:
	s_waitcnt lgkmcnt(0)
	v_cmp_lt_i64_e32 vcc, v[5:6], v[3:4]
                                        ; implicit-def: $vgpr7
                                        ; implicit-def: $vgpr8
	v_cndmask_b32_e32 v2, v4, v6, vcc
	v_cndmask_b32_e32 v1, v3, v5, vcc
                                        ; implicit-def: $vgpr5_vgpr6
                                        ; implicit-def: $vgpr3_vgpr4
.LBB987_9:
	s_or_saveexec_b64 s[2:3], s[2:3]
	v_mov_b32_e32 v17, 1
	s_xor_b64 exec, exec, s[2:3]
	s_cbranch_execz .LBB987_11
; %bb.10:
	v_and_b32_e32 v1, 1, v7
	v_cmp_eq_u32_e32 vcc, 1, v1
	s_waitcnt lgkmcnt(0)
	v_cndmask_b32_e32 v2, v6, v4, vcc
	v_cndmask_b32_e32 v1, v5, v3, vcc
	v_cndmask_b32_e64 v17, v8, 1, vcc
.LBB987_11:
	s_or_b64 exec, exec, s[2:3]
.LBB987_12:
	s_or_b64 exec, exec, s[0:1]
	s_branch .LBB987_145
.LBB987_13:
	s_mov_b64 s[14:15], 0
                                        ; implicit-def: $vgpr3_vgpr4
                                        ; implicit-def: $vgpr5
                                        ; implicit-def: $vgpr1_vgpr2
	s_cbranch_execnz .LBB987_219
	s_branch .LBB987_306
.LBB987_14:
	s_mov_b64 s[26:27], -1
.LBB987_15:
	s_mov_b64 s[14:15], 0
                                        ; implicit-def: $vgpr3_vgpr4
                                        ; implicit-def: $vgpr5
                                        ; implicit-def: $vgpr1_vgpr2
	s_and_b64 vcc, exec, s[26:27]
	s_cbranch_vccz .LBB987_150
.LBB987_16:
	s_cmp_eq_u32 s35, 4
	s_cbranch_scc0 .LBB987_27
; %bb.17:
	s_mov_b32 s7, 0
	s_lshl_b32 s26, s6, 9
	s_mov_b32 s27, s7
	s_lshr_b64 s[0:1], s[22:23], 9
	s_lshl_b64 s[2:3], s[26:27], 2
	s_add_u32 s16, s24, s2
	s_addc_u32 s17, s25, s3
	s_add_u32 s27, s20, s26
	s_addc_u32 s28, s21, 0
	s_cmp_lg_u64 s[0:1], s[6:7]
	s_cbranch_scc0 .LBB987_51
; %bb.18:
	v_lshlrev_b32_e32 v1, 2, v0
	global_load_dword v2, v1, s[16:17] offset:1024
	s_waitcnt lgkmcnt(0)
	global_load_dword v4, v1, s[16:17] offset:1536
	global_load_dword v6, v1, s[16:17] offset:512
	global_load_dword v7, v1, s[16:17]
	v_mov_b32_e32 v1, s28
	v_add_co_u32_e32 v11, vcc, s27, v0
	v_mov_b32_e32 v8, 0x100
	v_mov_b32_e32 v9, 0x80
	v_addc_co_u32_e32 v12, vcc, 0, v1, vcc
	v_mov_b32_e32 v10, 0x180
	v_mbcnt_lo_u32_b32 v3, -1, 0
	v_mbcnt_hi_u32_b32 v3, -1, v3
	v_lshlrev_b32_e32 v5, 2, v3
	v_or_b32_e32 v13, 0xfc, v5
	s_waitcnt vmcnt(3)
	v_cmp_eq_u32_e32 vcc, s34, v2
	s_waitcnt vmcnt(2)
	v_cmp_eq_u32_e64 s[0:1], s34, v4
	s_waitcnt vmcnt(1)
	v_cmp_eq_u32_e64 s[2:3], s34, v6
	;; [unrolled: 2-line block ×3, first 2 shown]
	v_cndmask_b32_e64 v1, v8, v9, s[2:3]
	s_or_b64 s[2:3], s[8:9], s[2:3]
	v_cndmask_b32_e64 v1, v1, 0, s[8:9]
	s_or_b64 vcc, s[2:3], vcc
	v_cndmask_b32_e32 v1, v10, v1, vcc
	v_add_co_u32_e64 v1, s[2:3], v11, v1
	v_addc_co_u32_e64 v2, s[2:3], 0, v12, s[2:3]
	s_or_b64 s[0:1], vcc, s[0:1]
	v_mov_b32_dpp v6, v1 quad_perm:[1,0,3,2] row_mask:0xf bank_mask:0xf bound_ctrl:1
	v_mov_b32_dpp v7, v2 quad_perm:[1,0,3,2] row_mask:0xf bank_mask:0xf bound_ctrl:1
	v_cndmask_b32_e64 v4, 0, 1, s[0:1]
	v_cmp_lt_i64_e32 vcc, v[1:2], v[6:7]
	s_and_b64 vcc, s[0:1], vcc
	v_mov_b32_dpp v8, v4 quad_perm:[1,0,3,2] row_mask:0xf bank_mask:0xf bound_ctrl:1
	v_and_b32_e32 v8, 1, v8
	v_cndmask_b32_e32 v6, v6, v1, vcc
	v_cndmask_b32_e32 v7, v7, v2, vcc
	v_cmp_eq_u32_e32 vcc, 1, v8
	v_cndmask_b32_e32 v2, v2, v7, vcc
	v_cndmask_b32_e32 v1, v1, v6, vcc
	v_cndmask_b32_e64 v4, v4, 1, vcc
	v_mov_b32_dpp v7, v2 quad_perm:[2,3,0,1] row_mask:0xf bank_mask:0xf bound_ctrl:1
	v_mov_b32_dpp v6, v1 quad_perm:[2,3,0,1] row_mask:0xf bank_mask:0xf bound_ctrl:1
	v_and_b32_e32 v9, 1, v4
	v_cmp_lt_i64_e64 s[0:1], v[1:2], v[6:7]
	v_mov_b32_dpp v8, v4 quad_perm:[2,3,0,1] row_mask:0xf bank_mask:0xf bound_ctrl:1
	v_cmp_eq_u32_e32 vcc, 1, v9
	v_and_b32_e32 v8, 1, v8
	s_and_b64 vcc, vcc, s[0:1]
	v_cmp_eq_u32_e64 s[2:3], 1, v8
	v_cndmask_b32_e32 v6, v6, v1, vcc
	v_cndmask_b32_e32 v7, v7, v2, vcc
	v_cndmask_b32_e64 v1, v1, v6, s[2:3]
	v_cndmask_b32_e64 v2, v2, v7, s[2:3]
	;; [unrolled: 1-line block ×3, first 2 shown]
	v_mov_b32_dpp v6, v1 row_ror:4 row_mask:0xf bank_mask:0xf bound_ctrl:1
	v_mov_b32_dpp v7, v2 row_ror:4 row_mask:0xf bank_mask:0xf bound_ctrl:1
	v_and_b32_e32 v9, 1, v4
	v_cmp_lt_i64_e64 s[2:3], v[1:2], v[6:7]
	v_mov_b32_dpp v8, v4 row_ror:4 row_mask:0xf bank_mask:0xf bound_ctrl:1
	v_cmp_eq_u32_e32 vcc, 1, v9
	v_and_b32_e32 v8, 1, v8
	s_and_b64 vcc, vcc, s[2:3]
	v_cmp_eq_u32_e64 s[0:1], 1, v8
	v_cndmask_b32_e32 v6, v6, v1, vcc
	v_cndmask_b32_e32 v7, v7, v2, vcc
	v_cndmask_b32_e64 v1, v1, v6, s[0:1]
	v_cndmask_b32_e64 v2, v2, v7, s[0:1]
	;; [unrolled: 1-line block ×3, first 2 shown]
	v_mov_b32_dpp v6, v1 row_ror:8 row_mask:0xf bank_mask:0xf bound_ctrl:1
	v_mov_b32_dpp v7, v2 row_ror:8 row_mask:0xf bank_mask:0xf bound_ctrl:1
	v_and_b32_e32 v9, 1, v4
	v_cmp_lt_i64_e64 s[2:3], v[1:2], v[6:7]
	v_mov_b32_dpp v8, v4 row_ror:8 row_mask:0xf bank_mask:0xf bound_ctrl:1
	v_cmp_eq_u32_e64 s[8:9], 1, v9
	v_and_b32_e32 v8, 1, v8
	s_and_b64 s[2:3], s[8:9], s[2:3]
	v_cmp_eq_u32_e64 s[10:11], 1, v8
	v_cndmask_b32_e64 v6, v6, v1, s[2:3]
	v_cndmask_b32_e64 v7, v7, v2, s[2:3]
	;; [unrolled: 1-line block ×5, first 2 shown]
	v_mov_b32_dpp v6, v1 row_bcast:15 row_mask:0xf bank_mask:0xf bound_ctrl:1
	v_mov_b32_dpp v7, v2 row_bcast:15 row_mask:0xf bank_mask:0xf bound_ctrl:1
	v_and_b32_e32 v9, 1, v4
	v_cmp_lt_i64_e64 s[2:3], v[1:2], v[6:7]
	v_mov_b32_dpp v8, v4 row_bcast:15 row_mask:0xf bank_mask:0xf bound_ctrl:1
	v_cmp_eq_u32_e32 vcc, 1, v9
	v_and_b32_e32 v8, 1, v8
	s_and_b64 vcc, vcc, s[2:3]
	v_cmp_eq_u32_e64 s[0:1], 1, v8
	v_cndmask_b32_e32 v6, v6, v1, vcc
	v_cndmask_b32_e32 v7, v7, v2, vcc
	v_cndmask_b32_e64 v4, v4, 1, s[0:1]
	v_cndmask_b32_e64 v1, v1, v6, s[0:1]
	;; [unrolled: 1-line block ×3, first 2 shown]
	v_mov_b32_dpp v8, v4 row_bcast:31 row_mask:0xf bank_mask:0xf bound_ctrl:1
	v_mov_b32_dpp v6, v1 row_bcast:31 row_mask:0xf bank_mask:0xf bound_ctrl:1
	;; [unrolled: 1-line block ×3, first 2 shown]
	v_and_b32_e32 v9, 1, v4
	v_and_b32_e32 v8, 1, v8
	v_cmp_lt_i64_e32 vcc, v[1:2], v[6:7]
	v_cmp_eq_u32_e64 s[12:13], 1, v9
	v_cmp_eq_u32_e64 s[8:9], 1, v8
	v_cndmask_b32_e64 v4, v4, 1, s[8:9]
	s_and_b64 vcc, s[12:13], vcc
	ds_bpermute_b32 v9, v13, v4
	v_cndmask_b32_e32 v4, v6, v1, vcc
	v_cndmask_b32_e32 v6, v7, v2, vcc
	v_cndmask_b32_e64 v1, v1, v4, s[8:9]
	v_cndmask_b32_e64 v2, v2, v6, s[8:9]
	ds_bpermute_b32 v1, v13, v1
	ds_bpermute_b32 v2, v13, v2
	v_cmp_eq_u32_e32 vcc, 0, v3
	s_and_saveexec_b64 s[0:1], vcc
	s_cbranch_execz .LBB987_20
; %bb.19:
	v_lshrrev_b32_e32 v4, 2, v0
	v_and_b32_e32 v4, 16, v4
	s_waitcnt lgkmcnt(2)
	ds_write_b8 v4, v9 offset:64
	s_waitcnt lgkmcnt(1)
	ds_write_b64 v4, v[1:2] offset:72
.LBB987_20:
	s_or_b64 exec, exec, s[0:1]
	v_cmp_gt_u32_e32 vcc, 64, v0
	s_waitcnt lgkmcnt(0)
	s_barrier
	s_and_saveexec_b64 s[0:1], vcc
	s_cbranch_execz .LBB987_26
; %bb.21:
	v_and_b32_e32 v1, 1, v3
	v_lshlrev_b32_e32 v1, 4, v1
	ds_read_u8 v7, v1 offset:64
	ds_read_b64 v[3:4], v1 offset:72
	v_or_b32_e32 v2, 4, v5
	s_waitcnt lgkmcnt(1)
	v_and_b32_e32 v1, 0xff, v7
	ds_bpermute_b32 v8, v2, v1
	s_waitcnt lgkmcnt(1)
	ds_bpermute_b32 v5, v2, v3
	ds_bpermute_b32 v6, v2, v4
	s_waitcnt lgkmcnt(2)
	v_and_b32_e32 v1, v7, v8
	v_and_b32_e32 v1, 1, v1
	v_cmp_eq_u32_e32 vcc, 1, v1
                                        ; implicit-def: $vgpr1_vgpr2
	s_and_saveexec_b64 s[2:3], vcc
	s_xor_b64 s[2:3], exec, s[2:3]
	s_cbranch_execz .LBB987_23
; %bb.22:
	s_waitcnt lgkmcnt(0)
	v_cmp_lt_i64_e32 vcc, v[5:6], v[3:4]
                                        ; implicit-def: $vgpr7
                                        ; implicit-def: $vgpr8
	v_cndmask_b32_e32 v2, v4, v6, vcc
	v_cndmask_b32_e32 v1, v3, v5, vcc
                                        ; implicit-def: $vgpr5_vgpr6
                                        ; implicit-def: $vgpr3_vgpr4
.LBB987_23:
	s_or_saveexec_b64 s[2:3], s[2:3]
	v_mov_b32_e32 v9, 1
	s_xor_b64 exec, exec, s[2:3]
	s_cbranch_execz .LBB987_25
; %bb.24:
	v_and_b32_e32 v1, 1, v7
	v_cmp_eq_u32_e32 vcc, 1, v1
	s_waitcnt lgkmcnt(0)
	v_cndmask_b32_e32 v2, v6, v4, vcc
	v_cndmask_b32_e32 v1, v5, v3, vcc
	v_cndmask_b32_e64 v9, v8, 1, vcc
.LBB987_25:
	s_or_b64 exec, exec, s[2:3]
.LBB987_26:
	s_or_b64 exec, exec, s[0:1]
	s_branch .LBB987_214
.LBB987_27:
                                        ; implicit-def: $vgpr3_vgpr4
                                        ; implicit-def: $vgpr5
                                        ; implicit-def: $vgpr1_vgpr2
	s_branch .LBB987_306
.LBB987_28:
                                        ; implicit-def: $vgpr1_vgpr2
                                        ; implicit-def: $vgpr17
	s_cbranch_execz .LBB987_145
; %bb.29:
	s_sub_i32 s36, s22, s30
	v_mov_b32_e32 v15, 0
	v_mov_b32_e32 v1, 0
	v_cmp_gt_u32_e32 vcc, s36, v0
	v_mov_b32_e32 v24, 0
	v_mov_b32_e32 v16, 0
	v_mov_b32_e32 v2, 0
	v_mov_b32_e32 v17, 0
	s_and_saveexec_b64 s[0:1], vcc
	s_cbranch_execz .LBB987_31
; %bb.30:
	v_lshlrev_b32_e32 v1, 2, v0
	global_load_dword v3, v1, s[28:29]
	v_mov_b32_e32 v2, s38
	v_add_co_u32_e32 v1, vcc, s37, v0
	v_addc_co_u32_e32 v2, vcc, 0, v2, vcc
	s_waitcnt vmcnt(0)
	v_cmp_eq_u32_e32 vcc, s34, v3
	v_cndmask_b32_e64 v17, 0, 1, vcc
.LBB987_31:
	s_or_b64 exec, exec, s[0:1]
	v_or_b32_e32 v3, 0x80, v0
	v_cmp_gt_u32_e64 s[14:15], s36, v3
	s_and_saveexec_b64 s[0:1], s[14:15]
	s_cbranch_execz .LBB987_33
; %bb.32:
	v_lshlrev_b32_e32 v4, 2, v0
	global_load_dword v4, v4, s[28:29] offset:512
	s_waitcnt lgkmcnt(1)
	v_mov_b32_e32 v5, s38
	v_add_co_u32_e32 v15, vcc, s37, v3
	v_addc_co_u32_e32 v16, vcc, 0, v5, vcc
	s_waitcnt vmcnt(0)
	v_cmp_eq_u32_e32 vcc, s34, v4
	v_cndmask_b32_e64 v24, 0, 1, vcc
.LBB987_33:
	s_or_b64 exec, exec, s[0:1]
	v_or_b32_e32 v3, 0x100, v0
	v_mov_b32_e32 v11, 0
	v_mov_b32_e32 v13, 0
	v_cmp_gt_u32_e64 s[12:13], s36, v3
	v_mov_b32_e32 v22, 0
	v_mov_b32_e32 v12, 0
	;; [unrolled: 1-line block ×4, first 2 shown]
	s_and_saveexec_b64 s[0:1], s[12:13]
	s_cbranch_execz .LBB987_35
; %bb.34:
	v_lshlrev_b32_e32 v4, 2, v0
	global_load_dword v4, v4, s[28:29] offset:1024
	s_waitcnt lgkmcnt(1)
	v_mov_b32_e32 v5, s38
	v_add_co_u32_e32 v13, vcc, s37, v3
	v_addc_co_u32_e32 v14, vcc, 0, v5, vcc
	s_waitcnt vmcnt(0)
	v_cmp_eq_u32_e32 vcc, s34, v4
	v_cndmask_b32_e64 v23, 0, 1, vcc
.LBB987_35:
	s_or_b64 exec, exec, s[0:1]
	v_or_b32_e32 v3, 0x180, v0
	v_cmp_gt_u32_e64 s[10:11], s36, v3
	s_and_saveexec_b64 s[0:1], s[10:11]
	s_cbranch_execz .LBB987_37
; %bb.36:
	v_lshlrev_b32_e32 v4, 2, v0
	global_load_dword v4, v4, s[28:29] offset:1536
	s_waitcnt lgkmcnt(1)
	v_mov_b32_e32 v5, s38
	v_add_co_u32_e32 v11, vcc, s37, v3
	v_addc_co_u32_e32 v12, vcc, 0, v5, vcc
	s_waitcnt vmcnt(0)
	v_cmp_eq_u32_e32 vcc, s34, v4
	v_cndmask_b32_e64 v22, 0, 1, vcc
.LBB987_37:
	s_or_b64 exec, exec, s[0:1]
	v_or_b32_e32 v3, 0x200, v0
	v_mov_b32_e32 v7, 0
	v_mov_b32_e32 v9, 0
	v_cmp_gt_u32_e64 s[8:9], s36, v3
	v_mov_b32_e32 v20, 0
	v_mov_b32_e32 v8, 0
	;; [unrolled: 1-line block ×4, first 2 shown]
	s_and_saveexec_b64 s[0:1], s[8:9]
	s_cbranch_execz .LBB987_39
; %bb.38:
	v_lshlrev_b32_e32 v4, 2, v0
	global_load_dword v4, v4, s[28:29] offset:2048
	s_waitcnt lgkmcnt(1)
	v_mov_b32_e32 v5, s38
	v_add_co_u32_e32 v9, vcc, s37, v3
	v_addc_co_u32_e32 v10, vcc, 0, v5, vcc
	s_waitcnt vmcnt(0)
	v_cmp_eq_u32_e32 vcc, s34, v4
	v_cndmask_b32_e64 v21, 0, 1, vcc
.LBB987_39:
	s_or_b64 exec, exec, s[0:1]
	v_or_b32_e32 v3, 0x280, v0
	v_cmp_gt_u32_e64 s[2:3], s36, v3
	s_and_saveexec_b64 s[0:1], s[2:3]
	s_cbranch_execz .LBB987_41
; %bb.40:
	v_lshlrev_b32_e32 v4, 2, v0
	global_load_dword v4, v4, s[28:29] offset:2560
	s_waitcnt lgkmcnt(1)
	v_mov_b32_e32 v5, s38
	v_add_co_u32_e32 v7, vcc, s37, v3
	v_addc_co_u32_e32 v8, vcc, 0, v5, vcc
	s_waitcnt vmcnt(0)
	v_cmp_eq_u32_e32 vcc, s34, v4
	v_cndmask_b32_e64 v20, 0, 1, vcc
.LBB987_41:
	s_or_b64 exec, exec, s[0:1]
	v_or_b32_e32 v25, 0x300, v0
	v_mov_b32_e32 v3, 0
	s_waitcnt lgkmcnt(0)
	v_mov_b32_e32 v5, 0
	v_cmp_gt_u32_e64 s[0:1], s36, v25
	v_mov_b32_e32 v4, 0
	v_mov_b32_e32 v18, 0
	;; [unrolled: 1-line block ×4, first 2 shown]
	s_and_saveexec_b64 s[16:17], s[0:1]
	s_cbranch_execz .LBB987_43
; %bb.42:
	v_lshlrev_b32_e32 v5, 2, v0
	global_load_dword v19, v5, s[28:29] offset:3072
	v_mov_b32_e32 v6, s38
	v_add_co_u32_e32 v5, vcc, s37, v25
	v_addc_co_u32_e32 v6, vcc, 0, v6, vcc
	s_waitcnt vmcnt(0)
	v_cmp_eq_u32_e32 vcc, s34, v19
	v_cndmask_b32_e64 v19, 0, 1, vcc
.LBB987_43:
	s_or_b64 exec, exec, s[16:17]
	v_or_b32_e32 v25, 0x380, v0
	v_cmp_gt_u32_e32 vcc, s36, v25
	s_and_saveexec_b64 s[30:31], vcc
	s_cbranch_execnz .LBB987_62
; %bb.44:
	s_or_b64 exec, exec, s[30:31]
	s_and_saveexec_b64 s[28:29], s[14:15]
	s_cbranch_execnz .LBB987_63
.LBB987_45:
	s_or_b64 exec, exec, s[28:29]
	s_and_saveexec_b64 s[16:17], s[12:13]
	s_cbranch_execnz .LBB987_68
.LBB987_46:
	s_or_b64 exec, exec, s[16:17]
	s_and_saveexec_b64 s[14:15], s[10:11]
	s_cbranch_execnz .LBB987_73
.LBB987_47:
	s_or_b64 exec, exec, s[14:15]
	s_and_saveexec_b64 s[12:13], s[8:9]
	s_cbranch_execnz .LBB987_78
.LBB987_48:
	s_or_b64 exec, exec, s[12:13]
	s_and_saveexec_b64 s[10:11], s[2:3]
	s_cbranch_execnz .LBB987_83
.LBB987_49:
	s_or_b64 exec, exec, s[10:11]
	s_and_saveexec_b64 s[8:9], s[0:1]
	s_cbranch_execnz .LBB987_88
.LBB987_50:
	s_or_b64 exec, exec, s[8:9]
	s_and_saveexec_b64 s[2:3], vcc
	s_cbranch_execnz .LBB987_93
	s_branch .LBB987_98
.LBB987_51:
                                        ; implicit-def: $vgpr1_vgpr2
                                        ; implicit-def: $vgpr9
	s_cbranch_execz .LBB987_214
; %bb.52:
	s_sub_i32 s12, s22, s26
	s_waitcnt lgkmcnt(1)
	v_mov_b32_e32 v7, 0
	v_mov_b32_e32 v1, 0
	v_cmp_gt_u32_e32 vcc, s12, v0
	v_mov_b32_e32 v12, 0
	v_mov_b32_e32 v8, 0
	;; [unrolled: 1-line block ×4, first 2 shown]
	s_and_saveexec_b64 s[0:1], vcc
	s_cbranch_execz .LBB987_54
; %bb.53:
	v_lshlrev_b32_e32 v1, 2, v0
	global_load_dword v3, v1, s[16:17]
	v_mov_b32_e32 v2, s28
	v_add_co_u32_e32 v1, vcc, s27, v0
	v_addc_co_u32_e32 v2, vcc, 0, v2, vcc
	s_waitcnt vmcnt(0)
	v_cmp_eq_u32_e32 vcc, s34, v3
	v_cndmask_b32_e64 v9, 0, 1, vcc
.LBB987_54:
	s_or_b64 exec, exec, s[0:1]
	v_or_b32_e32 v3, 0x80, v0
	v_cmp_gt_u32_e64 s[2:3], s12, v3
	s_and_saveexec_b64 s[0:1], s[2:3]
	s_cbranch_execz .LBB987_56
; %bb.55:
	s_waitcnt lgkmcnt(0)
	v_lshlrev_b32_e32 v4, 2, v0
	global_load_dword v4, v4, s[16:17] offset:512
	v_mov_b32_e32 v5, s28
	v_add_co_u32_e32 v7, vcc, s27, v3
	v_addc_co_u32_e32 v8, vcc, 0, v5, vcc
	s_waitcnt vmcnt(0)
	v_cmp_eq_u32_e32 vcc, s34, v4
	v_cndmask_b32_e64 v12, 0, 1, vcc
.LBB987_56:
	s_or_b64 exec, exec, s[0:1]
	v_or_b32_e32 v13, 0x100, v0
	s_waitcnt lgkmcnt(0)
	v_mov_b32_e32 v3, 0
	v_mov_b32_e32 v5, 0
	v_cmp_gt_u32_e64 s[0:1], s12, v13
	v_mov_b32_e32 v10, 0
	v_mov_b32_e32 v4, 0
	;; [unrolled: 1-line block ×4, first 2 shown]
	s_and_saveexec_b64 s[8:9], s[0:1]
	s_cbranch_execz .LBB987_58
; %bb.57:
	v_lshlrev_b32_e32 v5, 2, v0
	global_load_dword v11, v5, s[16:17] offset:1024
	v_mov_b32_e32 v6, s28
	v_add_co_u32_e32 v5, vcc, s27, v13
	v_addc_co_u32_e32 v6, vcc, 0, v6, vcc
	s_waitcnt vmcnt(0)
	v_cmp_eq_u32_e32 vcc, s34, v11
	v_cndmask_b32_e64 v11, 0, 1, vcc
.LBB987_58:
	s_or_b64 exec, exec, s[8:9]
	v_or_b32_e32 v13, 0x180, v0
	v_cmp_gt_u32_e32 vcc, s12, v13
	s_and_saveexec_b64 s[10:11], vcc
	s_cbranch_execnz .LBB987_151
; %bb.59:
	s_or_b64 exec, exec, s[10:11]
	s_and_saveexec_b64 s[10:11], s[2:3]
	s_cbranch_execnz .LBB987_152
.LBB987_60:
	s_or_b64 exec, exec, s[10:11]
	s_and_saveexec_b64 s[8:9], s[0:1]
	s_cbranch_execnz .LBB987_157
.LBB987_61:
	s_or_b64 exec, exec, s[8:9]
	s_and_saveexec_b64 s[2:3], vcc
	s_cbranch_execnz .LBB987_162
	s_branch .LBB987_167
.LBB987_62:
	v_lshlrev_b32_e32 v3, 2, v0
	global_load_dword v18, v3, s[28:29] offset:3584
	v_mov_b32_e32 v4, s38
	v_add_co_u32_e64 v3, s[16:17], s37, v25
	v_addc_co_u32_e64 v4, s[16:17], 0, v4, s[16:17]
	s_waitcnt vmcnt(0)
	v_cmp_eq_u32_e64 s[16:17], s34, v18
	v_cndmask_b32_e64 v18, 0, 1, s[16:17]
	s_or_b64 exec, exec, s[30:31]
	s_and_saveexec_b64 s[28:29], s[14:15]
	s_cbranch_execz .LBB987_45
.LBB987_63:
	v_and_b32_e32 v17, 1, v17
	v_cmp_eq_u32_e64 s[14:15], 1, v17
	v_and_b32_e32 v17, 1, v24
	v_cmp_eq_u32_e64 s[16:17], 1, v17
	s_and_b64 s[16:17], s[14:15], s[16:17]
	s_xor_b64 s[16:17], s[16:17], -1
                                        ; implicit-def: $vgpr17
	s_and_saveexec_b64 s[30:31], s[16:17]
	s_xor_b64 s[16:17], exec, s[30:31]
; %bb.64:
	v_and_b32_e32 v17, 0xffff, v24
	v_cndmask_b32_e64 v17, v17, 1, s[14:15]
	v_cndmask_b32_e64 v2, v16, v2, s[14:15]
	;; [unrolled: 1-line block ×3, first 2 shown]
                                        ; implicit-def: $vgpr15_vgpr16
; %bb.65:
	s_andn2_saveexec_b64 s[16:17], s[16:17]
; %bb.66:
	v_cmp_lt_i64_e64 s[14:15], v[15:16], v[1:2]
	v_mov_b32_e32 v17, 1
	v_cndmask_b32_e64 v2, v2, v16, s[14:15]
	v_cndmask_b32_e64 v1, v1, v15, s[14:15]
; %bb.67:
	s_or_b64 exec, exec, s[16:17]
	s_or_b64 exec, exec, s[28:29]
	s_and_saveexec_b64 s[16:17], s[12:13]
	s_cbranch_execz .LBB987_46
.LBB987_68:
	v_and_b32_e32 v15, 1, v17
	v_cmp_eq_u32_e64 s[12:13], 1, v15
	v_and_b32_e32 v15, 1, v23
	v_cmp_eq_u32_e64 s[14:15], 1, v15
	s_and_b64 s[14:15], s[12:13], s[14:15]
	s_xor_b64 s[14:15], s[14:15], -1
                                        ; implicit-def: $vgpr17
	s_and_saveexec_b64 s[28:29], s[14:15]
	s_xor_b64 s[14:15], exec, s[28:29]
; %bb.69:
	v_and_b32_e32 v15, 0xffff, v23
	v_cndmask_b32_e64 v17, v15, 1, s[12:13]
	v_cndmask_b32_e64 v2, v14, v2, s[12:13]
	;; [unrolled: 1-line block ×3, first 2 shown]
                                        ; implicit-def: $vgpr13_vgpr14
; %bb.70:
	s_andn2_saveexec_b64 s[14:15], s[14:15]
; %bb.71:
	v_cmp_lt_i64_e64 s[12:13], v[13:14], v[1:2]
	v_mov_b32_e32 v17, 1
	v_cndmask_b32_e64 v2, v2, v14, s[12:13]
	v_cndmask_b32_e64 v1, v1, v13, s[12:13]
; %bb.72:
	s_or_b64 exec, exec, s[14:15]
	s_or_b64 exec, exec, s[16:17]
	s_and_saveexec_b64 s[14:15], s[10:11]
	s_cbranch_execz .LBB987_47
.LBB987_73:
	v_and_b32_e32 v13, 1, v17
	v_cmp_eq_u32_e64 s[10:11], 1, v13
	v_and_b32_e32 v13, 1, v22
	v_cmp_eq_u32_e64 s[12:13], 1, v13
	s_and_b64 s[12:13], s[10:11], s[12:13]
	s_xor_b64 s[12:13], s[12:13], -1
                                        ; implicit-def: $vgpr17
	s_and_saveexec_b64 s[16:17], s[12:13]
	s_xor_b64 s[12:13], exec, s[16:17]
; %bb.74:
	v_and_b32_e32 v13, 0xffff, v22
	v_cndmask_b32_e64 v17, v13, 1, s[10:11]
	v_cndmask_b32_e64 v2, v12, v2, s[10:11]
	;; [unrolled: 1-line block ×3, first 2 shown]
                                        ; implicit-def: $vgpr11_vgpr12
; %bb.75:
	s_andn2_saveexec_b64 s[12:13], s[12:13]
; %bb.76:
	v_cmp_lt_i64_e64 s[10:11], v[11:12], v[1:2]
	v_mov_b32_e32 v17, 1
	v_cndmask_b32_e64 v2, v2, v12, s[10:11]
	v_cndmask_b32_e64 v1, v1, v11, s[10:11]
; %bb.77:
	s_or_b64 exec, exec, s[12:13]
	s_or_b64 exec, exec, s[14:15]
	s_and_saveexec_b64 s[12:13], s[8:9]
	s_cbranch_execz .LBB987_48
.LBB987_78:
	v_and_b32_e32 v11, 1, v17
	v_cmp_eq_u32_e64 s[8:9], 1, v11
	v_and_b32_e32 v11, 1, v21
	v_cmp_eq_u32_e64 s[10:11], 1, v11
	s_and_b64 s[10:11], s[8:9], s[10:11]
	s_xor_b64 s[10:11], s[10:11], -1
                                        ; implicit-def: $vgpr17
	s_and_saveexec_b64 s[14:15], s[10:11]
	s_xor_b64 s[10:11], exec, s[14:15]
; %bb.79:
	v_and_b32_e32 v11, 0xffff, v21
	v_cndmask_b32_e64 v17, v11, 1, s[8:9]
	v_cndmask_b32_e64 v2, v10, v2, s[8:9]
	;; [unrolled: 1-line block ×3, first 2 shown]
                                        ; implicit-def: $vgpr9_vgpr10
; %bb.80:
	s_andn2_saveexec_b64 s[10:11], s[10:11]
; %bb.81:
	v_cmp_lt_i64_e64 s[8:9], v[9:10], v[1:2]
	v_mov_b32_e32 v17, 1
	v_cndmask_b32_e64 v2, v2, v10, s[8:9]
	v_cndmask_b32_e64 v1, v1, v9, s[8:9]
; %bb.82:
	s_or_b64 exec, exec, s[10:11]
	s_or_b64 exec, exec, s[12:13]
	s_and_saveexec_b64 s[10:11], s[2:3]
	s_cbranch_execz .LBB987_49
.LBB987_83:
	v_and_b32_e32 v9, 1, v17
	v_cmp_eq_u32_e64 s[2:3], 1, v9
	v_and_b32_e32 v9, 1, v20
	v_cmp_eq_u32_e64 s[8:9], 1, v9
	s_and_b64 s[8:9], s[2:3], s[8:9]
	s_xor_b64 s[8:9], s[8:9], -1
                                        ; implicit-def: $vgpr17
	s_and_saveexec_b64 s[12:13], s[8:9]
	s_xor_b64 s[8:9], exec, s[12:13]
; %bb.84:
	v_and_b32_e32 v9, 0xffff, v20
	v_cndmask_b32_e64 v17, v9, 1, s[2:3]
	v_cndmask_b32_e64 v2, v8, v2, s[2:3]
	;; [unrolled: 1-line block ×3, first 2 shown]
                                        ; implicit-def: $vgpr7_vgpr8
; %bb.85:
	s_andn2_saveexec_b64 s[8:9], s[8:9]
; %bb.86:
	v_cmp_lt_i64_e64 s[2:3], v[7:8], v[1:2]
	v_mov_b32_e32 v17, 1
	v_cndmask_b32_e64 v2, v2, v8, s[2:3]
	v_cndmask_b32_e64 v1, v1, v7, s[2:3]
; %bb.87:
	s_or_b64 exec, exec, s[8:9]
	s_or_b64 exec, exec, s[10:11]
	s_and_saveexec_b64 s[8:9], s[0:1]
	s_cbranch_execz .LBB987_50
.LBB987_88:
	v_and_b32_e32 v7, 1, v17
	v_cmp_eq_u32_e64 s[0:1], 1, v7
	v_and_b32_e32 v7, 1, v19
	v_cmp_eq_u32_e64 s[2:3], 1, v7
	s_and_b64 s[2:3], s[0:1], s[2:3]
	s_xor_b64 s[2:3], s[2:3], -1
                                        ; implicit-def: $vgpr17
	s_and_saveexec_b64 s[10:11], s[2:3]
	s_xor_b64 s[2:3], exec, s[10:11]
; %bb.89:
	v_and_b32_e32 v7, 0xffff, v19
	v_cndmask_b32_e64 v17, v7, 1, s[0:1]
	v_cndmask_b32_e64 v2, v6, v2, s[0:1]
	;; [unrolled: 1-line block ×3, first 2 shown]
                                        ; implicit-def: $vgpr5_vgpr6
; %bb.90:
	s_andn2_saveexec_b64 s[2:3], s[2:3]
; %bb.91:
	v_cmp_lt_i64_e64 s[0:1], v[5:6], v[1:2]
	v_mov_b32_e32 v17, 1
	v_cndmask_b32_e64 v2, v2, v6, s[0:1]
	v_cndmask_b32_e64 v1, v1, v5, s[0:1]
; %bb.92:
	s_or_b64 exec, exec, s[2:3]
	s_or_b64 exec, exec, s[8:9]
	s_and_saveexec_b64 s[2:3], vcc
	s_cbranch_execz .LBB987_98
.LBB987_93:
	v_and_b32_e32 v5, 1, v17
	v_cmp_eq_u32_e32 vcc, 1, v5
	v_and_b32_e32 v5, 1, v18
	v_cmp_eq_u32_e64 s[0:1], 1, v5
	s_and_b64 s[0:1], vcc, s[0:1]
	s_xor_b64 s[0:1], s[0:1], -1
                                        ; implicit-def: $vgpr17
	s_and_saveexec_b64 s[8:9], s[0:1]
	s_xor_b64 s[0:1], exec, s[8:9]
; %bb.94:
	v_and_b32_e32 v5, 0xffff, v18
	v_cndmask_b32_e64 v17, v5, 1, vcc
	v_cndmask_b32_e32 v2, v4, v2, vcc
	v_cndmask_b32_e32 v1, v3, v1, vcc
                                        ; implicit-def: $vgpr3_vgpr4
; %bb.95:
	s_andn2_saveexec_b64 s[0:1], s[0:1]
; %bb.96:
	v_cmp_lt_i64_e32 vcc, v[3:4], v[1:2]
	v_mov_b32_e32 v17, 1
	v_cndmask_b32_e32 v2, v2, v4, vcc
	v_cndmask_b32_e32 v1, v1, v3, vcc
; %bb.97:
	s_or_b64 exec, exec, s[0:1]
.LBB987_98:
	s_or_b64 exec, exec, s[2:3]
	v_mbcnt_lo_u32_b32 v3, -1, 0
	v_mbcnt_hi_u32_b32 v5, -1, v3
	v_and_b32_e32 v6, 63, v5
	v_cmp_ne_u32_e32 vcc, 63, v6
	v_addc_co_u32_e32 v3, vcc, 0, v5, vcc
	v_lshlrev_b32_e32 v4, 2, v3
	ds_bpermute_b32 v8, v4, v17
	ds_bpermute_b32 v3, v4, v1
	;; [unrolled: 1-line block ×3, first 2 shown]
	s_min_u32 s8, s36, 0x80
	v_and_b32_e32 v7, 64, v0
	v_sub_u32_e64 v7, s8, v7 clamp
	v_add_u32_e32 v9, 1, v6
	v_cmp_lt_u32_e32 vcc, v9, v7
	s_and_saveexec_b64 s[0:1], vcc
	s_xor_b64 s[0:1], exec, s[0:1]
	s_cbranch_execz .LBB987_104
; %bb.99:
	s_waitcnt lgkmcnt(2)
	v_and_b32_e32 v9, v8, v17
	v_cmp_ne_u32_e32 vcc, 0, v9
	s_and_saveexec_b64 s[2:3], vcc
	s_xor_b64 s[2:3], exec, s[2:3]
	s_cbranch_execz .LBB987_101
; %bb.100:
	s_waitcnt lgkmcnt(0)
	v_cmp_lt_i64_e32 vcc, v[3:4], v[1:2]
                                        ; implicit-def: $vgpr17
                                        ; implicit-def: $vgpr8
	v_cndmask_b32_e32 v2, v2, v4, vcc
	v_cndmask_b32_e32 v1, v1, v3, vcc
                                        ; implicit-def: $vgpr3_vgpr4
.LBB987_101:
	s_or_saveexec_b64 s[2:3], s[2:3]
	v_mov_b32_e32 v9, 1
	s_xor_b64 exec, exec, s[2:3]
	s_cbranch_execz .LBB987_103
; %bb.102:
	v_and_b32_e32 v9, 1, v17
	v_cmp_eq_u32_e32 vcc, 1, v9
	s_waitcnt lgkmcnt(1)
	v_cndmask_b32_e32 v1, v3, v1, vcc
	v_and_b32_e32 v3, 0xff, v8
	s_waitcnt lgkmcnt(0)
	v_cndmask_b32_e32 v2, v4, v2, vcc
	v_cndmask_b32_e64 v9, v3, 1, vcc
.LBB987_103:
	s_or_b64 exec, exec, s[2:3]
	v_mov_b32_e32 v17, v9
.LBB987_104:
	s_or_b64 exec, exec, s[0:1]
	v_cmp_gt_u32_e32 vcc, 62, v6
	s_waitcnt lgkmcnt(1)
	v_cndmask_b32_e64 v3, 0, 2, vcc
	s_waitcnt lgkmcnt(0)
	v_add_lshl_u32 v4, v3, v5, 2
	ds_bpermute_b32 v8, v4, v17
	ds_bpermute_b32 v3, v4, v1
	ds_bpermute_b32 v4, v4, v2
	v_add_u32_e32 v9, 2, v6
	v_cmp_lt_u32_e32 vcc, v9, v7
	s_and_saveexec_b64 s[0:1], vcc
	s_cbranch_execz .LBB987_110
; %bb.105:
	s_waitcnt lgkmcnt(2)
	v_and_b32_e32 v9, v17, v8
	v_and_b32_e32 v9, 1, v9
	v_cmp_eq_u32_e32 vcc, 1, v9
	s_and_saveexec_b64 s[2:3], vcc
	s_xor_b64 s[2:3], exec, s[2:3]
	s_cbranch_execz .LBB987_107
; %bb.106:
	s_waitcnt lgkmcnt(0)
	v_cmp_lt_i64_e32 vcc, v[3:4], v[1:2]
                                        ; implicit-def: $vgpr17
                                        ; implicit-def: $vgpr8
	v_cndmask_b32_e32 v2, v2, v4, vcc
	v_cndmask_b32_e32 v1, v1, v3, vcc
                                        ; implicit-def: $vgpr3_vgpr4
.LBB987_107:
	s_or_saveexec_b64 s[2:3], s[2:3]
	v_mov_b32_e32 v9, 1
	s_xor_b64 exec, exec, s[2:3]
	s_cbranch_execz .LBB987_109
; %bb.108:
	v_and_b32_e32 v9, 1, v17
	v_cmp_eq_u32_e32 vcc, 1, v9
	s_waitcnt lgkmcnt(1)
	v_cndmask_b32_e32 v1, v3, v1, vcc
	v_and_b32_e32 v3, 0xff, v8
	s_waitcnt lgkmcnt(0)
	v_cndmask_b32_e32 v2, v4, v2, vcc
	v_cndmask_b32_e64 v9, v3, 1, vcc
.LBB987_109:
	s_or_b64 exec, exec, s[2:3]
	v_mov_b32_e32 v17, v9
.LBB987_110:
	s_or_b64 exec, exec, s[0:1]
	v_cmp_gt_u32_e32 vcc, 60, v6
	s_waitcnt lgkmcnt(1)
	v_cndmask_b32_e64 v3, 0, 4, vcc
	s_waitcnt lgkmcnt(0)
	v_add_lshl_u32 v4, v3, v5, 2
	ds_bpermute_b32 v8, v4, v17
	ds_bpermute_b32 v3, v4, v1
	ds_bpermute_b32 v4, v4, v2
	v_add_u32_e32 v9, 4, v6
	v_cmp_lt_u32_e32 vcc, v9, v7
	s_and_saveexec_b64 s[0:1], vcc
	s_cbranch_execz .LBB987_116
; %bb.111:
	s_waitcnt lgkmcnt(2)
	v_and_b32_e32 v9, v17, v8
	v_and_b32_e32 v9, 1, v9
	v_cmp_eq_u32_e32 vcc, 1, v9
	s_and_saveexec_b64 s[2:3], vcc
	s_xor_b64 s[2:3], exec, s[2:3]
	s_cbranch_execz .LBB987_113
; %bb.112:
	s_waitcnt lgkmcnt(0)
	v_cmp_lt_i64_e32 vcc, v[3:4], v[1:2]
                                        ; implicit-def: $vgpr17
                                        ; implicit-def: $vgpr8
	v_cndmask_b32_e32 v2, v2, v4, vcc
	v_cndmask_b32_e32 v1, v1, v3, vcc
                                        ; implicit-def: $vgpr3_vgpr4
.LBB987_113:
	s_or_saveexec_b64 s[2:3], s[2:3]
	v_mov_b32_e32 v9, 1
	s_xor_b64 exec, exec, s[2:3]
	s_cbranch_execz .LBB987_115
; %bb.114:
	v_and_b32_e32 v9, 1, v17
	v_cmp_eq_u32_e32 vcc, 1, v9
	s_waitcnt lgkmcnt(1)
	v_cndmask_b32_e32 v1, v3, v1, vcc
	v_and_b32_e32 v3, 0xff, v8
	s_waitcnt lgkmcnt(0)
	v_cndmask_b32_e32 v2, v4, v2, vcc
	v_cndmask_b32_e64 v9, v3, 1, vcc
.LBB987_115:
	s_or_b64 exec, exec, s[2:3]
	v_mov_b32_e32 v17, v9
.LBB987_116:
	;; [unrolled: 47-line block ×4, first 2 shown]
	s_or_b64 exec, exec, s[0:1]
	s_waitcnt lgkmcnt(2)
	v_lshlrev_b32_e32 v8, 2, v5
	s_waitcnt lgkmcnt(0)
	v_or_b32_e32 v4, 0x80, v8
	ds_bpermute_b32 v9, v4, v17
	ds_bpermute_b32 v3, v4, v1
	;; [unrolled: 1-line block ×3, first 2 shown]
	v_add_u32_e32 v6, 32, v6
	v_cmp_lt_u32_e32 vcc, v6, v7
	v_mov_b32_e32 v6, v17
	s_and_saveexec_b64 s[0:1], vcc
	s_cbranch_execz .LBB987_134
; %bb.129:
	s_waitcnt lgkmcnt(2)
	v_and_b32_e32 v6, v17, v9
	v_and_b32_e32 v6, 1, v6
	v_cmp_eq_u32_e32 vcc, 1, v6
	s_and_saveexec_b64 s[2:3], vcc
	s_xor_b64 s[2:3], exec, s[2:3]
	s_cbranch_execz .LBB987_131
; %bb.130:
	s_waitcnt lgkmcnt(0)
	v_cmp_lt_i64_e32 vcc, v[3:4], v[1:2]
                                        ; implicit-def: $vgpr17
                                        ; implicit-def: $vgpr9
	v_cndmask_b32_e32 v2, v2, v4, vcc
	v_cndmask_b32_e32 v1, v1, v3, vcc
                                        ; implicit-def: $vgpr3_vgpr4
.LBB987_131:
	s_or_saveexec_b64 s[2:3], s[2:3]
	v_mov_b32_e32 v6, 1
	s_xor_b64 exec, exec, s[2:3]
	s_cbranch_execz .LBB987_133
; %bb.132:
	v_and_b32_e32 v6, 1, v17
	v_cmp_eq_u32_e32 vcc, 1, v6
	v_cndmask_b32_e64 v6, v9, 1, vcc
	s_waitcnt lgkmcnt(0)
	v_cndmask_b32_e32 v2, v4, v2, vcc
	v_cndmask_b32_e32 v1, v3, v1, vcc
.LBB987_133:
	s_or_b64 exec, exec, s[2:3]
	v_and_b32_e32 v17, 0xff, v6
.LBB987_134:
	s_or_b64 exec, exec, s[0:1]
	v_cmp_eq_u32_e32 vcc, 0, v5
	s_and_saveexec_b64 s[0:1], vcc
	s_cbranch_execz .LBB987_136
; %bb.135:
	s_waitcnt lgkmcnt(1)
	v_lshrrev_b32_e32 v3, 2, v0
	v_and_b32_e32 v3, 16, v3
	ds_write_b8 v3, v6 offset:128
	ds_write_b64 v3, v[1:2] offset:136
.LBB987_136:
	s_or_b64 exec, exec, s[0:1]
	v_cmp_gt_u32_e32 vcc, 2, v0
	s_waitcnt lgkmcnt(0)
	s_barrier
	s_and_saveexec_b64 s[0:1], vcc
	s_cbranch_execz .LBB987_144
; %bb.137:
	v_lshlrev_b32_e32 v1, 4, v5
	ds_read_u8 v6, v1 offset:128
	ds_read_b64 v[1:2], v1 offset:136
	v_or_b32_e32 v4, 4, v8
	s_add_i32 s8, s8, 63
	v_and_b32_e32 v5, 1, v5
	s_waitcnt lgkmcnt(1)
	v_and_b32_e32 v17, 0xff, v6
	s_waitcnt lgkmcnt(0)
	ds_bpermute_b32 v3, v4, v1
	ds_bpermute_b32 v7, v4, v17
	;; [unrolled: 1-line block ×3, first 2 shown]
	s_lshr_b32 s2, s8, 6
	v_add_u32_e32 v5, 1, v5
	v_cmp_gt_u32_e32 vcc, s2, v5
	s_and_saveexec_b64 s[2:3], vcc
	s_cbranch_execz .LBB987_143
; %bb.138:
	s_waitcnt lgkmcnt(1)
	v_and_b32_e32 v5, v17, v7
	v_and_b32_e32 v5, 1, v5
	v_cmp_eq_u32_e32 vcc, 1, v5
	s_and_saveexec_b64 s[8:9], vcc
	s_xor_b64 s[8:9], exec, s[8:9]
	s_cbranch_execz .LBB987_140
; %bb.139:
	s_waitcnt lgkmcnt(0)
	v_cmp_lt_i64_e32 vcc, v[3:4], v[1:2]
                                        ; implicit-def: $vgpr6
                                        ; implicit-def: $vgpr7
	v_cndmask_b32_e32 v2, v2, v4, vcc
	v_cndmask_b32_e32 v1, v1, v3, vcc
                                        ; implicit-def: $vgpr3_vgpr4
.LBB987_140:
	s_or_saveexec_b64 s[8:9], s[8:9]
	v_mov_b32_e32 v17, 1
	s_xor_b64 exec, exec, s[8:9]
	s_cbranch_execz .LBB987_142
; %bb.141:
	v_and_b32_e32 v5, 1, v6
	v_cmp_eq_u32_e32 vcc, 1, v5
	s_waitcnt lgkmcnt(0)
	v_cndmask_b32_e32 v2, v4, v2, vcc
	v_cndmask_b32_e32 v1, v3, v1, vcc
	v_cndmask_b32_e64 v17, v7, 1, vcc
.LBB987_142:
	s_or_b64 exec, exec, s[8:9]
.LBB987_143:
	s_or_b64 exec, exec, s[2:3]
.LBB987_144:
	s_or_b64 exec, exec, s[0:1]
.LBB987_145:
	v_cmp_eq_u32_e32 vcc, 0, v0
	s_mov_b64 s[14:15], 0
                                        ; implicit-def: $vgpr3_vgpr4
                                        ; implicit-def: $vgpr5
	s_and_saveexec_b64 s[0:1], vcc
	s_xor_b64 s[8:9], exec, s[0:1]
	s_cbranch_execz .LBB987_149
; %bb.146:
	s_waitcnt lgkmcnt(0)
	v_mov_b32_e32 v3, s18
	s_cmp_eq_u64 s[22:23], 0
	v_mov_b32_e32 v4, s19
	v_mov_b32_e32 v5, s33
	s_cbranch_scc1 .LBB987_148
; %bb.147:
	v_and_b32_e32 v3, 1, v17
	v_cmp_gt_i64_e64 s[0:1], s[18:19], v[1:2]
	s_bitcmp1_b32 s33, 0
	v_cmp_eq_u32_e32 vcc, 1, v3
	s_cselect_b64 s[2:3], -1, 0
	v_mov_b32_e32 v3, s18
	s_and_b64 vcc, vcc, s[0:1]
	v_mov_b32_e32 v4, s19
	v_cndmask_b32_e32 v3, v3, v1, vcc
	v_cndmask_b32_e32 v4, v4, v2, vcc
	v_cndmask_b32_e64 v5, v17, 1, s[2:3]
	v_cndmask_b32_e64 v4, v2, v4, s[2:3]
	;; [unrolled: 1-line block ×3, first 2 shown]
.LBB987_148:
	s_mov_b64 s[14:15], exec
.LBB987_149:
	s_or_b64 exec, exec, s[8:9]
	v_mov_b32_e32 v1, s6
	v_mov_b32_e32 v2, s7
	s_and_b64 vcc, exec, s[26:27]
	s_cbranch_vccnz .LBB987_16
.LBB987_150:
	s_branch .LBB987_306
.LBB987_151:
	v_lshlrev_b32_e32 v3, 2, v0
	global_load_dword v10, v3, s[16:17] offset:1536
	v_mov_b32_e32 v4, s28
	v_add_co_u32_e64 v3, s[8:9], s27, v13
	v_addc_co_u32_e64 v4, s[8:9], 0, v4, s[8:9]
	s_waitcnt vmcnt(0)
	v_cmp_eq_u32_e64 s[8:9], s34, v10
	v_cndmask_b32_e64 v10, 0, 1, s[8:9]
	s_or_b64 exec, exec, s[10:11]
	s_and_saveexec_b64 s[10:11], s[2:3]
	s_cbranch_execz .LBB987_60
.LBB987_152:
	v_and_b32_e32 v9, 1, v9
	v_cmp_eq_u32_e64 s[2:3], 1, v9
	v_and_b32_e32 v9, 1, v12
	v_cmp_eq_u32_e64 s[8:9], 1, v9
	s_and_b64 s[8:9], s[2:3], s[8:9]
	s_xor_b64 s[8:9], s[8:9], -1
                                        ; implicit-def: $vgpr9
	s_and_saveexec_b64 s[16:17], s[8:9]
	s_xor_b64 s[8:9], exec, s[16:17]
; %bb.153:
	v_and_b32_e32 v9, 0xffff, v12
	v_cndmask_b32_e64 v9, v9, 1, s[2:3]
	v_cndmask_b32_e64 v2, v8, v2, s[2:3]
	;; [unrolled: 1-line block ×3, first 2 shown]
                                        ; implicit-def: $vgpr7_vgpr8
; %bb.154:
	s_andn2_saveexec_b64 s[8:9], s[8:9]
; %bb.155:
	v_cmp_lt_i64_e64 s[2:3], v[7:8], v[1:2]
	v_mov_b32_e32 v9, 1
	v_cndmask_b32_e64 v2, v2, v8, s[2:3]
	v_cndmask_b32_e64 v1, v1, v7, s[2:3]
; %bb.156:
	s_or_b64 exec, exec, s[8:9]
	s_or_b64 exec, exec, s[10:11]
	s_and_saveexec_b64 s[8:9], s[0:1]
	s_cbranch_execz .LBB987_61
.LBB987_157:
	v_and_b32_e32 v7, 1, v9
	v_cmp_eq_u32_e64 s[0:1], 1, v7
	v_and_b32_e32 v7, 1, v11
	v_cmp_eq_u32_e64 s[2:3], 1, v7
	s_and_b64 s[2:3], s[0:1], s[2:3]
	s_xor_b64 s[2:3], s[2:3], -1
                                        ; implicit-def: $vgpr9
	s_and_saveexec_b64 s[10:11], s[2:3]
	s_xor_b64 s[2:3], exec, s[10:11]
; %bb.158:
	v_and_b32_e32 v7, 0xffff, v11
	v_cndmask_b32_e64 v9, v7, 1, s[0:1]
	v_cndmask_b32_e64 v2, v6, v2, s[0:1]
	;; [unrolled: 1-line block ×3, first 2 shown]
                                        ; implicit-def: $vgpr5_vgpr6
; %bb.159:
	s_andn2_saveexec_b64 s[2:3], s[2:3]
; %bb.160:
	v_cmp_lt_i64_e64 s[0:1], v[5:6], v[1:2]
	v_mov_b32_e32 v9, 1
	v_cndmask_b32_e64 v2, v2, v6, s[0:1]
	v_cndmask_b32_e64 v1, v1, v5, s[0:1]
; %bb.161:
	s_or_b64 exec, exec, s[2:3]
	s_or_b64 exec, exec, s[8:9]
	s_and_saveexec_b64 s[2:3], vcc
	s_cbranch_execz .LBB987_167
.LBB987_162:
	v_and_b32_e32 v5, 1, v9
	v_cmp_eq_u32_e32 vcc, 1, v5
	v_and_b32_e32 v5, 1, v10
	v_cmp_eq_u32_e64 s[0:1], 1, v5
	s_and_b64 s[0:1], vcc, s[0:1]
	s_xor_b64 s[0:1], s[0:1], -1
                                        ; implicit-def: $vgpr9
	s_and_saveexec_b64 s[8:9], s[0:1]
	s_xor_b64 s[0:1], exec, s[8:9]
; %bb.163:
	v_and_b32_e32 v5, 0xffff, v10
	v_cndmask_b32_e64 v9, v5, 1, vcc
	v_cndmask_b32_e32 v2, v4, v2, vcc
	v_cndmask_b32_e32 v1, v3, v1, vcc
                                        ; implicit-def: $vgpr3_vgpr4
; %bb.164:
	s_andn2_saveexec_b64 s[0:1], s[0:1]
; %bb.165:
	v_cmp_lt_i64_e32 vcc, v[3:4], v[1:2]
	v_mov_b32_e32 v9, 1
	v_cndmask_b32_e32 v2, v2, v4, vcc
	v_cndmask_b32_e32 v1, v1, v3, vcc
; %bb.166:
	s_or_b64 exec, exec, s[0:1]
.LBB987_167:
	s_or_b64 exec, exec, s[2:3]
	v_mbcnt_lo_u32_b32 v3, -1, 0
	v_mbcnt_hi_u32_b32 v5, -1, v3
	v_and_b32_e32 v6, 63, v5
	v_cmp_ne_u32_e32 vcc, 63, v6
	v_addc_co_u32_e32 v3, vcc, 0, v5, vcc
	v_lshlrev_b32_e32 v4, 2, v3
	ds_bpermute_b32 v8, v4, v9
	ds_bpermute_b32 v3, v4, v1
	;; [unrolled: 1-line block ×3, first 2 shown]
	s_min_u32 s8, s12, 0x80
	v_and_b32_e32 v7, 64, v0
	v_sub_u32_e64 v7, s8, v7 clamp
	v_add_u32_e32 v10, 1, v6
	v_cmp_lt_u32_e32 vcc, v10, v7
	s_and_saveexec_b64 s[0:1], vcc
	s_xor_b64 s[0:1], exec, s[0:1]
	s_cbranch_execz .LBB987_173
; %bb.168:
	s_waitcnt lgkmcnt(2)
	v_and_b32_e32 v10, v8, v9
	v_cmp_ne_u32_e32 vcc, 0, v10
	s_and_saveexec_b64 s[2:3], vcc
	s_xor_b64 s[2:3], exec, s[2:3]
	s_cbranch_execz .LBB987_170
; %bb.169:
	s_waitcnt lgkmcnt(0)
	v_cmp_lt_i64_e32 vcc, v[3:4], v[1:2]
                                        ; implicit-def: $vgpr9
                                        ; implicit-def: $vgpr8
	v_cndmask_b32_e32 v2, v2, v4, vcc
	v_cndmask_b32_e32 v1, v1, v3, vcc
                                        ; implicit-def: $vgpr3_vgpr4
.LBB987_170:
	s_or_saveexec_b64 s[2:3], s[2:3]
	v_mov_b32_e32 v10, 1
	s_xor_b64 exec, exec, s[2:3]
	s_cbranch_execz .LBB987_172
; %bb.171:
	v_and_b32_e32 v9, 1, v9
	v_cmp_eq_u32_e32 vcc, 1, v9
	s_waitcnt lgkmcnt(1)
	v_cndmask_b32_e32 v1, v3, v1, vcc
	v_and_b32_e32 v3, 0xff, v8
	s_waitcnt lgkmcnt(0)
	v_cndmask_b32_e32 v2, v4, v2, vcc
	v_cndmask_b32_e64 v10, v3, 1, vcc
.LBB987_172:
	s_or_b64 exec, exec, s[2:3]
	v_mov_b32_e32 v9, v10
.LBB987_173:
	s_or_b64 exec, exec, s[0:1]
	v_cmp_gt_u32_e32 vcc, 62, v6
	s_waitcnt lgkmcnt(1)
	v_cndmask_b32_e64 v3, 0, 2, vcc
	s_waitcnt lgkmcnt(0)
	v_add_lshl_u32 v4, v3, v5, 2
	ds_bpermute_b32 v8, v4, v9
	ds_bpermute_b32 v3, v4, v1
	ds_bpermute_b32 v4, v4, v2
	v_add_u32_e32 v10, 2, v6
	v_cmp_lt_u32_e32 vcc, v10, v7
	s_and_saveexec_b64 s[0:1], vcc
	s_cbranch_execz .LBB987_179
; %bb.174:
	s_waitcnt lgkmcnt(2)
	v_and_b32_e32 v10, v9, v8
	v_and_b32_e32 v10, 1, v10
	v_cmp_eq_u32_e32 vcc, 1, v10
	s_and_saveexec_b64 s[2:3], vcc
	s_xor_b64 s[2:3], exec, s[2:3]
	s_cbranch_execz .LBB987_176
; %bb.175:
	s_waitcnt lgkmcnt(0)
	v_cmp_lt_i64_e32 vcc, v[3:4], v[1:2]
                                        ; implicit-def: $vgpr9
                                        ; implicit-def: $vgpr8
	v_cndmask_b32_e32 v2, v2, v4, vcc
	v_cndmask_b32_e32 v1, v1, v3, vcc
                                        ; implicit-def: $vgpr3_vgpr4
.LBB987_176:
	s_or_saveexec_b64 s[2:3], s[2:3]
	v_mov_b32_e32 v10, 1
	s_xor_b64 exec, exec, s[2:3]
	s_cbranch_execz .LBB987_178
; %bb.177:
	v_and_b32_e32 v9, 1, v9
	v_cmp_eq_u32_e32 vcc, 1, v9
	s_waitcnt lgkmcnt(1)
	v_cndmask_b32_e32 v1, v3, v1, vcc
	v_and_b32_e32 v3, 0xff, v8
	s_waitcnt lgkmcnt(0)
	v_cndmask_b32_e32 v2, v4, v2, vcc
	v_cndmask_b32_e64 v10, v3, 1, vcc
.LBB987_178:
	s_or_b64 exec, exec, s[2:3]
	v_mov_b32_e32 v9, v10
.LBB987_179:
	s_or_b64 exec, exec, s[0:1]
	v_cmp_gt_u32_e32 vcc, 60, v6
	s_waitcnt lgkmcnt(1)
	v_cndmask_b32_e64 v3, 0, 4, vcc
	s_waitcnt lgkmcnt(0)
	v_add_lshl_u32 v4, v3, v5, 2
	ds_bpermute_b32 v8, v4, v9
	ds_bpermute_b32 v3, v4, v1
	ds_bpermute_b32 v4, v4, v2
	v_add_u32_e32 v10, 4, v6
	v_cmp_lt_u32_e32 vcc, v10, v7
	s_and_saveexec_b64 s[0:1], vcc
	s_cbranch_execz .LBB987_185
; %bb.180:
	s_waitcnt lgkmcnt(2)
	v_and_b32_e32 v10, v9, v8
	v_and_b32_e32 v10, 1, v10
	v_cmp_eq_u32_e32 vcc, 1, v10
	s_and_saveexec_b64 s[2:3], vcc
	s_xor_b64 s[2:3], exec, s[2:3]
	s_cbranch_execz .LBB987_182
; %bb.181:
	s_waitcnt lgkmcnt(0)
	v_cmp_lt_i64_e32 vcc, v[3:4], v[1:2]
                                        ; implicit-def: $vgpr9
                                        ; implicit-def: $vgpr8
	v_cndmask_b32_e32 v2, v2, v4, vcc
	v_cndmask_b32_e32 v1, v1, v3, vcc
                                        ; implicit-def: $vgpr3_vgpr4
.LBB987_182:
	s_or_saveexec_b64 s[2:3], s[2:3]
	v_mov_b32_e32 v10, 1
	s_xor_b64 exec, exec, s[2:3]
	s_cbranch_execz .LBB987_184
; %bb.183:
	v_and_b32_e32 v9, 1, v9
	v_cmp_eq_u32_e32 vcc, 1, v9
	s_waitcnt lgkmcnt(1)
	v_cndmask_b32_e32 v1, v3, v1, vcc
	v_and_b32_e32 v3, 0xff, v8
	s_waitcnt lgkmcnt(0)
	v_cndmask_b32_e32 v2, v4, v2, vcc
	v_cndmask_b32_e64 v10, v3, 1, vcc
.LBB987_184:
	s_or_b64 exec, exec, s[2:3]
	v_mov_b32_e32 v9, v10
.LBB987_185:
	;; [unrolled: 47-line block ×4, first 2 shown]
	s_or_b64 exec, exec, s[0:1]
	s_waitcnt lgkmcnt(2)
	v_lshlrev_b32_e32 v8, 2, v5
	s_waitcnt lgkmcnt(0)
	v_or_b32_e32 v4, 0x80, v8
	ds_bpermute_b32 v10, v4, v9
	ds_bpermute_b32 v3, v4, v1
	;; [unrolled: 1-line block ×3, first 2 shown]
	v_add_u32_e32 v6, 32, v6
	v_cmp_lt_u32_e32 vcc, v6, v7
	v_mov_b32_e32 v6, v9
	s_and_saveexec_b64 s[0:1], vcc
	s_cbranch_execz .LBB987_203
; %bb.198:
	s_waitcnt lgkmcnt(2)
	v_and_b32_e32 v6, v9, v10
	v_and_b32_e32 v6, 1, v6
	v_cmp_eq_u32_e32 vcc, 1, v6
	s_and_saveexec_b64 s[2:3], vcc
	s_xor_b64 s[2:3], exec, s[2:3]
	s_cbranch_execz .LBB987_200
; %bb.199:
	s_waitcnt lgkmcnt(0)
	v_cmp_lt_i64_e32 vcc, v[3:4], v[1:2]
                                        ; implicit-def: $vgpr9
                                        ; implicit-def: $vgpr10
	v_cndmask_b32_e32 v2, v2, v4, vcc
	v_cndmask_b32_e32 v1, v1, v3, vcc
                                        ; implicit-def: $vgpr3_vgpr4
.LBB987_200:
	s_or_saveexec_b64 s[2:3], s[2:3]
	v_mov_b32_e32 v6, 1
	s_xor_b64 exec, exec, s[2:3]
	s_cbranch_execz .LBB987_202
; %bb.201:
	v_and_b32_e32 v6, 1, v9
	v_cmp_eq_u32_e32 vcc, 1, v6
	v_cndmask_b32_e64 v6, v10, 1, vcc
	s_waitcnt lgkmcnt(0)
	v_cndmask_b32_e32 v2, v4, v2, vcc
	v_cndmask_b32_e32 v1, v3, v1, vcc
.LBB987_202:
	s_or_b64 exec, exec, s[2:3]
	v_and_b32_e32 v9, 0xff, v6
.LBB987_203:
	s_or_b64 exec, exec, s[0:1]
	v_cmp_eq_u32_e32 vcc, 0, v5
	s_and_saveexec_b64 s[0:1], vcc
	s_cbranch_execz .LBB987_205
; %bb.204:
	s_waitcnt lgkmcnt(1)
	v_lshrrev_b32_e32 v3, 2, v0
	v_and_b32_e32 v3, 16, v3
	ds_write_b8 v3, v6 offset:128
	ds_write_b64 v3, v[1:2] offset:136
.LBB987_205:
	s_or_b64 exec, exec, s[0:1]
	v_cmp_gt_u32_e32 vcc, 2, v0
	s_waitcnt lgkmcnt(0)
	s_barrier
	s_and_saveexec_b64 s[0:1], vcc
	s_cbranch_execz .LBB987_213
; %bb.206:
	v_lshlrev_b32_e32 v1, 4, v5
	ds_read_u8 v6, v1 offset:128
	ds_read_b64 v[1:2], v1 offset:136
	v_or_b32_e32 v4, 4, v8
	s_add_i32 s8, s8, 63
	v_and_b32_e32 v5, 1, v5
	s_waitcnt lgkmcnt(1)
	v_and_b32_e32 v9, 0xff, v6
	s_waitcnt lgkmcnt(0)
	ds_bpermute_b32 v3, v4, v1
	ds_bpermute_b32 v7, v4, v9
	;; [unrolled: 1-line block ×3, first 2 shown]
	s_lshr_b32 s2, s8, 6
	v_add_u32_e32 v5, 1, v5
	v_cmp_gt_u32_e32 vcc, s2, v5
	s_and_saveexec_b64 s[2:3], vcc
	s_cbranch_execz .LBB987_212
; %bb.207:
	s_waitcnt lgkmcnt(1)
	v_and_b32_e32 v5, v9, v7
	v_and_b32_e32 v5, 1, v5
	v_cmp_eq_u32_e32 vcc, 1, v5
	s_and_saveexec_b64 s[8:9], vcc
	s_xor_b64 s[8:9], exec, s[8:9]
	s_cbranch_execz .LBB987_209
; %bb.208:
	s_waitcnt lgkmcnt(0)
	v_cmp_lt_i64_e32 vcc, v[3:4], v[1:2]
                                        ; implicit-def: $vgpr6
                                        ; implicit-def: $vgpr7
	v_cndmask_b32_e32 v2, v2, v4, vcc
	v_cndmask_b32_e32 v1, v1, v3, vcc
                                        ; implicit-def: $vgpr3_vgpr4
.LBB987_209:
	s_or_saveexec_b64 s[8:9], s[8:9]
	v_mov_b32_e32 v9, 1
	s_xor_b64 exec, exec, s[8:9]
	s_cbranch_execz .LBB987_211
; %bb.210:
	v_and_b32_e32 v5, 1, v6
	v_cmp_eq_u32_e32 vcc, 1, v5
	s_waitcnt lgkmcnt(0)
	v_cndmask_b32_e32 v2, v4, v2, vcc
	v_cndmask_b32_e32 v1, v3, v1, vcc
	v_cndmask_b32_e64 v9, v7, 1, vcc
.LBB987_211:
	s_or_b64 exec, exec, s[8:9]
.LBB987_212:
	s_or_b64 exec, exec, s[2:3]
.LBB987_213:
	s_or_b64 exec, exec, s[0:1]
.LBB987_214:
	v_cmp_eq_u32_e32 vcc, 0, v0
                                        ; implicit-def: $vgpr3_vgpr4
                                        ; implicit-def: $vgpr5
	s_and_saveexec_b64 s[0:1], vcc
	s_xor_b64 s[8:9], exec, s[0:1]
	s_cbranch_execz .LBB987_218
; %bb.215:
	s_waitcnt lgkmcnt(0)
	v_mov_b32_e32 v3, s18
	s_cmp_eq_u64 s[22:23], 0
	v_mov_b32_e32 v4, s19
	v_mov_b32_e32 v5, s33
	s_cbranch_scc1 .LBB987_217
; %bb.216:
	v_and_b32_e32 v3, 1, v9
	v_cmp_gt_i64_e64 s[0:1], s[18:19], v[1:2]
	s_bitcmp1_b32 s33, 0
	v_cmp_eq_u32_e32 vcc, 1, v3
	s_cselect_b64 s[2:3], -1, 0
	v_mov_b32_e32 v3, s18
	s_and_b64 vcc, vcc, s[0:1]
	v_mov_b32_e32 v4, s19
	v_cndmask_b32_e32 v3, v3, v1, vcc
	v_cndmask_b32_e32 v4, v4, v2, vcc
	v_cndmask_b32_e64 v5, v9, 1, s[2:3]
	v_cndmask_b32_e64 v4, v2, v4, s[2:3]
	;; [unrolled: 1-line block ×3, first 2 shown]
.LBB987_217:
	s_or_b64 s[14:15], s[14:15], exec
.LBB987_218:
	s_or_b64 exec, exec, s[8:9]
	v_mov_b32_e32 v1, s6
	v_mov_b32_e32 v2, s7
	s_branch .LBB987_306
.LBB987_219:
	s_cmp_gt_i32 s35, 1
	s_cbranch_scc0 .LBB987_231
; %bb.220:
	s_cmp_eq_u32 s35, 2
	s_cbranch_scc0 .LBB987_232
; %bb.221:
	s_mov_b32 s7, 0
	s_lshl_b32 s26, s6, 8
	s_mov_b32 s27, s7
	s_lshr_b64 s[0:1], s[22:23], 8
	s_lshl_b64 s[2:3], s[26:27], 2
	s_add_u32 s16, s24, s2
	s_addc_u32 s17, s25, s3
	s_add_u32 s27, s20, s26
	s_addc_u32 s28, s21, 0
	s_cmp_lg_u64 s[0:1], s[6:7]
	s_cbranch_scc0 .LBB987_233
; %bb.222:
	v_lshlrev_b32_e32 v1, 2, v0
	global_load_dword v2, v1, s[16:17] offset:512
	s_waitcnt lgkmcnt(0)
	global_load_dword v4, v1, s[16:17]
	v_mov_b32_e32 v1, s28
	v_add_co_u32_e32 v6, vcc, s27, v0
	v_addc_co_u32_e32 v1, vcc, 0, v1, vcc
	v_add_co_u32_e32 v7, vcc, 0x80, v6
	v_addc_co_u32_e32 v8, vcc, 0, v1, vcc
	v_mbcnt_lo_u32_b32 v3, -1, 0
	v_mbcnt_hi_u32_b32 v3, -1, v3
	v_lshlrev_b32_e32 v5, 2, v3
	v_or_b32_e32 v10, 0xfc, v5
	s_waitcnt vmcnt(1)
	v_cmp_eq_u32_e32 vcc, s34, v2
	s_waitcnt vmcnt(0)
	v_cmp_eq_u32_e64 s[0:1], s34, v4
	v_cndmask_b32_e64 v2, v8, v1, s[0:1]
	v_cndmask_b32_e64 v1, v7, v6, s[0:1]
	s_or_b64 s[0:1], s[0:1], vcc
	v_mov_b32_dpp v7, v2 quad_perm:[1,0,3,2] row_mask:0xf bank_mask:0xf bound_ctrl:1
	v_mov_b32_dpp v6, v1 quad_perm:[1,0,3,2] row_mask:0xf bank_mask:0xf bound_ctrl:1
	v_cndmask_b32_e64 v4, 0, 1, s[0:1]
	v_cmp_lt_i64_e32 vcc, v[1:2], v[6:7]
	s_and_b64 vcc, s[0:1], vcc
	v_mov_b32_dpp v8, v4 quad_perm:[1,0,3,2] row_mask:0xf bank_mask:0xf bound_ctrl:1
	v_and_b32_e32 v8, 1, v8
	v_cndmask_b32_e32 v6, v6, v1, vcc
	v_cndmask_b32_e32 v7, v7, v2, vcc
	v_cmp_eq_u32_e32 vcc, 1, v8
	v_cndmask_b32_e32 v2, v2, v7, vcc
	v_cndmask_b32_e32 v1, v1, v6, vcc
	v_cndmask_b32_e64 v4, v4, 1, vcc
	v_mov_b32_dpp v7, v2 quad_perm:[2,3,0,1] row_mask:0xf bank_mask:0xf bound_ctrl:1
	v_mov_b32_dpp v6, v1 quad_perm:[2,3,0,1] row_mask:0xf bank_mask:0xf bound_ctrl:1
	v_and_b32_e32 v9, 1, v4
	v_cmp_lt_i64_e64 s[0:1], v[1:2], v[6:7]
	v_mov_b32_dpp v8, v4 quad_perm:[2,3,0,1] row_mask:0xf bank_mask:0xf bound_ctrl:1
	v_cmp_eq_u32_e32 vcc, 1, v9
	v_and_b32_e32 v8, 1, v8
	s_and_b64 vcc, vcc, s[0:1]
	v_cmp_eq_u32_e64 s[2:3], 1, v8
	v_cndmask_b32_e32 v6, v6, v1, vcc
	v_cndmask_b32_e32 v7, v7, v2, vcc
	v_cndmask_b32_e64 v1, v1, v6, s[2:3]
	v_cndmask_b32_e64 v2, v2, v7, s[2:3]
	;; [unrolled: 1-line block ×3, first 2 shown]
	v_mov_b32_dpp v6, v1 row_ror:4 row_mask:0xf bank_mask:0xf bound_ctrl:1
	v_mov_b32_dpp v7, v2 row_ror:4 row_mask:0xf bank_mask:0xf bound_ctrl:1
	v_and_b32_e32 v9, 1, v4
	v_cmp_lt_i64_e64 s[2:3], v[1:2], v[6:7]
	v_mov_b32_dpp v8, v4 row_ror:4 row_mask:0xf bank_mask:0xf bound_ctrl:1
	v_cmp_eq_u32_e32 vcc, 1, v9
	v_and_b32_e32 v8, 1, v8
	s_and_b64 vcc, vcc, s[2:3]
	v_cmp_eq_u32_e64 s[0:1], 1, v8
	v_cndmask_b32_e32 v6, v6, v1, vcc
	v_cndmask_b32_e32 v7, v7, v2, vcc
	v_cndmask_b32_e64 v1, v1, v6, s[0:1]
	v_cndmask_b32_e64 v2, v2, v7, s[0:1]
	;; [unrolled: 1-line block ×3, first 2 shown]
	v_mov_b32_dpp v6, v1 row_ror:8 row_mask:0xf bank_mask:0xf bound_ctrl:1
	v_mov_b32_dpp v7, v2 row_ror:8 row_mask:0xf bank_mask:0xf bound_ctrl:1
	v_and_b32_e32 v9, 1, v4
	v_cmp_lt_i64_e64 s[2:3], v[1:2], v[6:7]
	v_mov_b32_dpp v8, v4 row_ror:8 row_mask:0xf bank_mask:0xf bound_ctrl:1
	v_cmp_eq_u32_e64 s[8:9], 1, v9
	v_and_b32_e32 v8, 1, v8
	s_and_b64 s[2:3], s[8:9], s[2:3]
	v_cmp_eq_u32_e64 s[10:11], 1, v8
	v_cndmask_b32_e64 v6, v6, v1, s[2:3]
	v_cndmask_b32_e64 v7, v7, v2, s[2:3]
	;; [unrolled: 1-line block ×5, first 2 shown]
	v_mov_b32_dpp v8, v4 row_bcast:15 row_mask:0xf bank_mask:0xf bound_ctrl:1
	v_mov_b32_dpp v6, v1 row_bcast:15 row_mask:0xf bank_mask:0xf bound_ctrl:1
	;; [unrolled: 1-line block ×3, first 2 shown]
	v_and_b32_e32 v9, 1, v4
	v_and_b32_e32 v8, 1, v8
	v_cmp_lt_i64_e64 s[2:3], v[1:2], v[6:7]
	v_cmp_eq_u32_e32 vcc, 1, v9
	v_cmp_eq_u32_e64 s[0:1], 1, v8
	v_cndmask_b32_e64 v4, v4, 1, s[0:1]
	s_and_b64 vcc, vcc, s[2:3]
	v_cndmask_b32_e32 v6, v6, v1, vcc
	v_mov_b32_dpp v8, v4 row_bcast:31 row_mask:0xf bank_mask:0xf bound_ctrl:1
	v_cndmask_b32_e32 v7, v7, v2, vcc
	v_and_b32_e32 v9, 1, v4
	v_and_b32_e32 v8, 1, v8
	v_cndmask_b32_e64 v1, v1, v6, s[0:1]
	v_cndmask_b32_e64 v2, v2, v7, s[0:1]
	v_cmp_eq_u32_e64 s[12:13], 1, v9
	v_cmp_eq_u32_e64 s[8:9], 1, v8
	v_mov_b32_dpp v8, v1 row_bcast:31 row_mask:0xf bank_mask:0xf bound_ctrl:1
	v_mov_b32_dpp v9, v2 row_bcast:31 row_mask:0xf bank_mask:0xf bound_ctrl:1
	v_cmp_lt_i64_e32 vcc, v[1:2], v[8:9]
	v_cndmask_b32_e64 v4, v4, 1, s[8:9]
	s_and_b64 vcc, s[12:13], vcc
	ds_bpermute_b32 v7, v10, v4
	v_cndmask_b32_e32 v4, v8, v1, vcc
	v_cndmask_b32_e32 v6, v9, v2, vcc
	v_cndmask_b32_e64 v1, v1, v4, s[8:9]
	v_cndmask_b32_e64 v2, v2, v6, s[8:9]
	ds_bpermute_b32 v1, v10, v1
	ds_bpermute_b32 v2, v10, v2
	v_cmp_eq_u32_e32 vcc, 0, v3
	s_and_saveexec_b64 s[0:1], vcc
	s_cbranch_execz .LBB987_224
; %bb.223:
	v_lshrrev_b32_e32 v4, 2, v0
	v_and_b32_e32 v4, 16, v4
	s_waitcnt lgkmcnt(2)
	ds_write_b8 v4, v7 offset:32
	s_waitcnt lgkmcnt(1)
	ds_write_b64 v4, v[1:2] offset:40
.LBB987_224:
	s_or_b64 exec, exec, s[0:1]
	v_cmp_gt_u32_e32 vcc, 64, v0
	s_waitcnt lgkmcnt(0)
	s_barrier
	s_and_saveexec_b64 s[0:1], vcc
	s_cbranch_execz .LBB987_230
; %bb.225:
	v_and_b32_e32 v1, 1, v3
	v_lshlrev_b32_e32 v1, 4, v1
	ds_read_u8 v8, v1 offset:32
	ds_read_b64 v[3:4], v1 offset:40
	v_or_b32_e32 v2, 4, v5
	s_waitcnt lgkmcnt(1)
	v_and_b32_e32 v1, 0xff, v8
	ds_bpermute_b32 v9, v2, v1
	s_waitcnt lgkmcnt(1)
	ds_bpermute_b32 v5, v2, v3
	ds_bpermute_b32 v6, v2, v4
	s_waitcnt lgkmcnt(2)
	v_and_b32_e32 v1, v8, v9
	v_and_b32_e32 v1, 1, v1
	v_cmp_eq_u32_e32 vcc, 1, v1
                                        ; implicit-def: $vgpr1_vgpr2
	s_and_saveexec_b64 s[2:3], vcc
	s_xor_b64 s[2:3], exec, s[2:3]
	s_cbranch_execz .LBB987_227
; %bb.226:
	s_waitcnt lgkmcnt(0)
	v_cmp_lt_i64_e32 vcc, v[5:6], v[3:4]
                                        ; implicit-def: $vgpr8
                                        ; implicit-def: $vgpr9
	v_cndmask_b32_e32 v2, v4, v6, vcc
	v_cndmask_b32_e32 v1, v3, v5, vcc
                                        ; implicit-def: $vgpr5_vgpr6
                                        ; implicit-def: $vgpr3_vgpr4
.LBB987_227:
	s_or_saveexec_b64 s[2:3], s[2:3]
	v_mov_b32_e32 v7, 1
	s_xor_b64 exec, exec, s[2:3]
	s_cbranch_execz .LBB987_229
; %bb.228:
	v_and_b32_e32 v1, 1, v8
	v_cmp_eq_u32_e32 vcc, 1, v1
	s_waitcnt lgkmcnt(0)
	v_cndmask_b32_e32 v2, v6, v4, vcc
	v_cndmask_b32_e32 v1, v5, v3, vcc
	v_cndmask_b32_e64 v7, v9, 1, vcc
.LBB987_229:
	s_or_b64 exec, exec, s[2:3]
.LBB987_230:
	s_or_b64 exec, exec, s[0:1]
	s_branch .LBB987_285
.LBB987_231:
                                        ; implicit-def: $vgpr3_vgpr4
                                        ; implicit-def: $vgpr5
                                        ; implicit-def: $vgpr1_vgpr2
	s_cbranch_execnz .LBB987_290
	s_branch .LBB987_306
.LBB987_232:
                                        ; implicit-def: $vgpr3_vgpr4
                                        ; implicit-def: $vgpr5
                                        ; implicit-def: $vgpr1_vgpr2
	s_branch .LBB987_306
.LBB987_233:
                                        ; implicit-def: $vgpr1_vgpr2
                                        ; implicit-def: $vgpr7
	s_cbranch_execz .LBB987_285
; %bb.234:
	s_sub_i32 s10, s22, s26
	s_waitcnt lgkmcnt(0)
	v_mov_b32_e32 v3, 0
	v_mov_b32_e32 v1, 0
	v_cmp_gt_u32_e32 vcc, s10, v0
	v_mov_b32_e32 v5, 0
	v_mov_b32_e32 v4, 0
	v_mov_b32_e32 v2, 0
	v_mov_b32_e32 v6, 0
	s_and_saveexec_b64 s[0:1], vcc
	s_cbranch_execz .LBB987_236
; %bb.235:
	v_lshlrev_b32_e32 v1, 2, v0
	global_load_dword v6, v1, s[16:17]
	v_mov_b32_e32 v2, s28
	v_add_co_u32_e32 v1, vcc, s27, v0
	v_addc_co_u32_e32 v2, vcc, 0, v2, vcc
	s_waitcnt vmcnt(0)
	v_cmp_eq_u32_e32 vcc, s34, v6
	v_cndmask_b32_e64 v6, 0, 1, vcc
.LBB987_236:
	s_or_b64 exec, exec, s[0:1]
	v_or_b32_e32 v7, 0x80, v0
	v_cmp_gt_u32_e32 vcc, s10, v7
	s_and_saveexec_b64 s[2:3], vcc
	s_cbranch_execz .LBB987_238
; %bb.237:
	v_lshlrev_b32_e32 v3, 2, v0
	global_load_dword v5, v3, s[16:17] offset:512
	v_mov_b32_e32 v4, s28
	v_add_co_u32_e64 v3, s[0:1], s27, v7
	v_addc_co_u32_e64 v4, s[0:1], 0, v4, s[0:1]
	s_waitcnt vmcnt(0)
	v_cmp_eq_u32_e64 s[0:1], s34, v5
	v_cndmask_b32_e64 v5, 0, 1, s[0:1]
.LBB987_238:
	s_or_b64 exec, exec, s[2:3]
	v_and_b32_e32 v8, 0xffff, v5
	v_and_b32_e32 v5, 1, v5
	v_cmp_lt_i64_e64 s[2:3], v[3:4], v[1:2]
	v_cmp_eq_u32_e64 s[0:1], 1, v5
	v_and_b32_e32 v5, 1, v6
	v_cmp_eq_u32_e64 s[8:9], 1, v5
	s_and_b64 s[0:1], s[0:1], s[2:3]
	v_cndmask_b32_e64 v5, v8, 1, s[8:9]
	v_cndmask_b32_e64 v8, v1, v3, s[0:1]
	;; [unrolled: 1-line block ×3, first 2 shown]
	v_and_b32_e32 v7, 0xffff, v6
	v_cndmask_b32_e32 v1, v1, v3, vcc
	v_mbcnt_lo_u32_b32 v3, -1, 0
	v_cndmask_b32_e64 v6, v2, v4, s[0:1]
	v_cndmask_b32_e32 v7, v7, v5, vcc
	v_mbcnt_hi_u32_b32 v5, -1, v3
	v_cndmask_b32_e64 v4, v4, v6, s[8:9]
	v_and_b32_e32 v6, 63, v5
	v_cndmask_b32_e32 v2, v2, v4, vcc
	v_cmp_ne_u32_e32 vcc, 63, v6
	v_addc_co_u32_e32 v3, vcc, 0, v5, vcc
	v_lshlrev_b32_e32 v4, 2, v3
	ds_bpermute_b32 v9, v4, v7
	ds_bpermute_b32 v3, v4, v1
	;; [unrolled: 1-line block ×3, first 2 shown]
	s_min_u32 s8, s10, 0x80
	v_and_b32_e32 v8, 64, v0
	v_sub_u32_e64 v8, s8, v8 clamp
	v_add_u32_e32 v10, 1, v6
	v_cmp_lt_u32_e32 vcc, v10, v8
	s_and_saveexec_b64 s[0:1], vcc
	s_cbranch_execz .LBB987_244
; %bb.239:
	s_waitcnt lgkmcnt(2)
	v_and_b32_e32 v10, v9, v7
	v_cmp_ne_u32_e32 vcc, 0, v10
	s_and_saveexec_b64 s[2:3], vcc
	s_xor_b64 s[2:3], exec, s[2:3]
	s_cbranch_execz .LBB987_241
; %bb.240:
	s_waitcnt lgkmcnt(0)
	v_cmp_lt_i64_e32 vcc, v[3:4], v[1:2]
                                        ; implicit-def: $vgpr7
                                        ; implicit-def: $vgpr9
	v_cndmask_b32_e32 v2, v2, v4, vcc
	v_cndmask_b32_e32 v1, v1, v3, vcc
                                        ; implicit-def: $vgpr3_vgpr4
.LBB987_241:
	s_or_saveexec_b64 s[2:3], s[2:3]
	v_mov_b32_e32 v10, 1
	s_xor_b64 exec, exec, s[2:3]
	s_cbranch_execz .LBB987_243
; %bb.242:
	v_and_b32_e32 v7, 1, v7
	v_cmp_eq_u32_e32 vcc, 1, v7
	s_waitcnt lgkmcnt(1)
	v_cndmask_b32_e32 v1, v3, v1, vcc
	v_and_b32_e32 v3, 0xff, v9
	s_waitcnt lgkmcnt(0)
	v_cndmask_b32_e32 v2, v4, v2, vcc
	v_cndmask_b32_e64 v10, v3, 1, vcc
.LBB987_243:
	s_or_b64 exec, exec, s[2:3]
	v_mov_b32_e32 v7, v10
.LBB987_244:
	s_or_b64 exec, exec, s[0:1]
	v_cmp_gt_u32_e32 vcc, 62, v6
	s_waitcnt lgkmcnt(1)
	v_cndmask_b32_e64 v3, 0, 2, vcc
	s_waitcnt lgkmcnt(0)
	v_add_lshl_u32 v4, v3, v5, 2
	ds_bpermute_b32 v9, v4, v7
	ds_bpermute_b32 v3, v4, v1
	ds_bpermute_b32 v4, v4, v2
	v_add_u32_e32 v10, 2, v6
	v_cmp_lt_u32_e32 vcc, v10, v8
	s_and_saveexec_b64 s[0:1], vcc
	s_cbranch_execz .LBB987_250
; %bb.245:
	s_waitcnt lgkmcnt(2)
	v_and_b32_e32 v10, v7, v9
	v_and_b32_e32 v10, 1, v10
	v_cmp_eq_u32_e32 vcc, 1, v10
	s_and_saveexec_b64 s[2:3], vcc
	s_xor_b64 s[2:3], exec, s[2:3]
	s_cbranch_execz .LBB987_247
; %bb.246:
	s_waitcnt lgkmcnt(0)
	v_cmp_lt_i64_e32 vcc, v[3:4], v[1:2]
                                        ; implicit-def: $vgpr7
                                        ; implicit-def: $vgpr9
	v_cndmask_b32_e32 v2, v2, v4, vcc
	v_cndmask_b32_e32 v1, v1, v3, vcc
                                        ; implicit-def: $vgpr3_vgpr4
.LBB987_247:
	s_or_saveexec_b64 s[2:3], s[2:3]
	v_mov_b32_e32 v10, 1
	s_xor_b64 exec, exec, s[2:3]
	s_cbranch_execz .LBB987_249
; %bb.248:
	v_and_b32_e32 v7, 1, v7
	v_cmp_eq_u32_e32 vcc, 1, v7
	s_waitcnt lgkmcnt(1)
	v_cndmask_b32_e32 v1, v3, v1, vcc
	v_and_b32_e32 v3, 0xff, v9
	s_waitcnt lgkmcnt(0)
	v_cndmask_b32_e32 v2, v4, v2, vcc
	v_cndmask_b32_e64 v10, v3, 1, vcc
.LBB987_249:
	s_or_b64 exec, exec, s[2:3]
	v_mov_b32_e32 v7, v10
.LBB987_250:
	s_or_b64 exec, exec, s[0:1]
	v_cmp_gt_u32_e32 vcc, 60, v6
	s_waitcnt lgkmcnt(1)
	v_cndmask_b32_e64 v3, 0, 4, vcc
	s_waitcnt lgkmcnt(0)
	v_add_lshl_u32 v4, v3, v5, 2
	ds_bpermute_b32 v9, v4, v7
	ds_bpermute_b32 v3, v4, v1
	ds_bpermute_b32 v4, v4, v2
	v_add_u32_e32 v10, 4, v6
	v_cmp_lt_u32_e32 vcc, v10, v8
	s_and_saveexec_b64 s[0:1], vcc
	s_cbranch_execz .LBB987_256
; %bb.251:
	s_waitcnt lgkmcnt(2)
	v_and_b32_e32 v10, v7, v9
	v_and_b32_e32 v10, 1, v10
	v_cmp_eq_u32_e32 vcc, 1, v10
	s_and_saveexec_b64 s[2:3], vcc
	s_xor_b64 s[2:3], exec, s[2:3]
	s_cbranch_execz .LBB987_253
; %bb.252:
	s_waitcnt lgkmcnt(0)
	v_cmp_lt_i64_e32 vcc, v[3:4], v[1:2]
                                        ; implicit-def: $vgpr7
                                        ; implicit-def: $vgpr9
	v_cndmask_b32_e32 v2, v2, v4, vcc
	v_cndmask_b32_e32 v1, v1, v3, vcc
                                        ; implicit-def: $vgpr3_vgpr4
.LBB987_253:
	s_or_saveexec_b64 s[2:3], s[2:3]
	v_mov_b32_e32 v10, 1
	s_xor_b64 exec, exec, s[2:3]
	s_cbranch_execz .LBB987_255
; %bb.254:
	v_and_b32_e32 v7, 1, v7
	v_cmp_eq_u32_e32 vcc, 1, v7
	s_waitcnt lgkmcnt(1)
	v_cndmask_b32_e32 v1, v3, v1, vcc
	v_and_b32_e32 v3, 0xff, v9
	s_waitcnt lgkmcnt(0)
	v_cndmask_b32_e32 v2, v4, v2, vcc
	v_cndmask_b32_e64 v10, v3, 1, vcc
.LBB987_255:
	s_or_b64 exec, exec, s[2:3]
	v_mov_b32_e32 v7, v10
.LBB987_256:
	;; [unrolled: 47-line block ×4, first 2 shown]
	s_or_b64 exec, exec, s[0:1]
	s_waitcnt lgkmcnt(2)
	v_lshlrev_b32_e32 v9, 2, v5
	s_waitcnt lgkmcnt(0)
	v_or_b32_e32 v4, 0x80, v9
	ds_bpermute_b32 v10, v4, v7
	ds_bpermute_b32 v3, v4, v1
	;; [unrolled: 1-line block ×3, first 2 shown]
	v_add_u32_e32 v6, 32, v6
	v_cmp_lt_u32_e32 vcc, v6, v8
	v_mov_b32_e32 v6, v7
	s_and_saveexec_b64 s[0:1], vcc
	s_cbranch_execz .LBB987_274
; %bb.269:
	s_waitcnt lgkmcnt(2)
	v_and_b32_e32 v6, v7, v10
	v_and_b32_e32 v6, 1, v6
	v_cmp_eq_u32_e32 vcc, 1, v6
	s_and_saveexec_b64 s[2:3], vcc
	s_xor_b64 s[2:3], exec, s[2:3]
	s_cbranch_execz .LBB987_271
; %bb.270:
	s_waitcnt lgkmcnt(0)
	v_cmp_lt_i64_e32 vcc, v[3:4], v[1:2]
                                        ; implicit-def: $vgpr7
                                        ; implicit-def: $vgpr10
	v_cndmask_b32_e32 v2, v2, v4, vcc
	v_cndmask_b32_e32 v1, v1, v3, vcc
                                        ; implicit-def: $vgpr3_vgpr4
.LBB987_271:
	s_or_saveexec_b64 s[2:3], s[2:3]
	v_mov_b32_e32 v6, 1
	s_xor_b64 exec, exec, s[2:3]
	s_cbranch_execz .LBB987_273
; %bb.272:
	v_and_b32_e32 v6, 1, v7
	v_cmp_eq_u32_e32 vcc, 1, v6
	v_cndmask_b32_e64 v6, v10, 1, vcc
	s_waitcnt lgkmcnt(0)
	v_cndmask_b32_e32 v2, v4, v2, vcc
	v_cndmask_b32_e32 v1, v3, v1, vcc
.LBB987_273:
	s_or_b64 exec, exec, s[2:3]
	v_and_b32_e32 v7, 0xff, v6
.LBB987_274:
	s_or_b64 exec, exec, s[0:1]
	v_cmp_eq_u32_e32 vcc, 0, v5
	s_and_saveexec_b64 s[0:1], vcc
	s_cbranch_execz .LBB987_276
; %bb.275:
	s_waitcnt lgkmcnt(1)
	v_lshrrev_b32_e32 v3, 2, v0
	v_and_b32_e32 v3, 16, v3
	ds_write_b8 v3, v6 offset:128
	ds_write_b64 v3, v[1:2] offset:136
.LBB987_276:
	s_or_b64 exec, exec, s[0:1]
	v_cmp_gt_u32_e32 vcc, 2, v0
	s_waitcnt lgkmcnt(0)
	s_barrier
	s_and_saveexec_b64 s[0:1], vcc
	s_cbranch_execz .LBB987_284
; %bb.277:
	v_lshlrev_b32_e32 v1, 4, v5
	ds_read_u8 v6, v1 offset:128
	ds_read_b64 v[1:2], v1 offset:136
	v_or_b32_e32 v4, 4, v9
	s_add_i32 s8, s8, 63
	v_and_b32_e32 v5, 1, v5
	s_waitcnt lgkmcnt(1)
	v_and_b32_e32 v7, 0xff, v6
	s_waitcnt lgkmcnt(0)
	ds_bpermute_b32 v3, v4, v1
	ds_bpermute_b32 v8, v4, v7
	;; [unrolled: 1-line block ×3, first 2 shown]
	s_lshr_b32 s2, s8, 6
	v_add_u32_e32 v5, 1, v5
	v_cmp_gt_u32_e32 vcc, s2, v5
	s_and_saveexec_b64 s[2:3], vcc
	s_cbranch_execz .LBB987_283
; %bb.278:
	s_waitcnt lgkmcnt(1)
	v_and_b32_e32 v5, v7, v8
	v_and_b32_e32 v5, 1, v5
	v_cmp_eq_u32_e32 vcc, 1, v5
	s_and_saveexec_b64 s[8:9], vcc
	s_xor_b64 s[8:9], exec, s[8:9]
	s_cbranch_execz .LBB987_280
; %bb.279:
	s_waitcnt lgkmcnt(0)
	v_cmp_lt_i64_e32 vcc, v[3:4], v[1:2]
                                        ; implicit-def: $vgpr6
                                        ; implicit-def: $vgpr8
	v_cndmask_b32_e32 v2, v2, v4, vcc
	v_cndmask_b32_e32 v1, v1, v3, vcc
                                        ; implicit-def: $vgpr3_vgpr4
.LBB987_280:
	s_or_saveexec_b64 s[8:9], s[8:9]
	v_mov_b32_e32 v7, 1
	s_xor_b64 exec, exec, s[8:9]
	s_cbranch_execz .LBB987_282
; %bb.281:
	v_and_b32_e32 v5, 1, v6
	v_cmp_eq_u32_e32 vcc, 1, v5
	s_waitcnt lgkmcnt(0)
	v_cndmask_b32_e32 v2, v4, v2, vcc
	v_cndmask_b32_e32 v1, v3, v1, vcc
	v_cndmask_b32_e64 v7, v8, 1, vcc
.LBB987_282:
	s_or_b64 exec, exec, s[8:9]
.LBB987_283:
	s_or_b64 exec, exec, s[2:3]
.LBB987_284:
	s_or_b64 exec, exec, s[0:1]
.LBB987_285:
	v_cmp_eq_u32_e32 vcc, 0, v0
                                        ; implicit-def: $vgpr3_vgpr4
                                        ; implicit-def: $vgpr5
	s_and_saveexec_b64 s[0:1], vcc
	s_xor_b64 s[8:9], exec, s[0:1]
	s_cbranch_execz .LBB987_289
; %bb.286:
	s_waitcnt lgkmcnt(0)
	v_mov_b32_e32 v3, s18
	s_cmp_eq_u64 s[22:23], 0
	v_mov_b32_e32 v4, s19
	v_mov_b32_e32 v5, s33
	s_cbranch_scc1 .LBB987_288
; %bb.287:
	v_and_b32_e32 v3, 1, v7
	v_cmp_gt_i64_e64 s[0:1], s[18:19], v[1:2]
	s_bitcmp1_b32 s33, 0
	v_cmp_eq_u32_e32 vcc, 1, v3
	s_cselect_b64 s[2:3], -1, 0
	v_mov_b32_e32 v3, s18
	s_and_b64 vcc, vcc, s[0:1]
	v_mov_b32_e32 v4, s19
	v_cndmask_b32_e32 v3, v3, v1, vcc
	v_cndmask_b32_e32 v4, v4, v2, vcc
	v_cndmask_b32_e64 v5, v7, 1, s[2:3]
	v_cndmask_b32_e64 v4, v2, v4, s[2:3]
	;; [unrolled: 1-line block ×3, first 2 shown]
.LBB987_288:
	s_or_b64 s[14:15], s[14:15], exec
.LBB987_289:
	s_or_b64 exec, exec, s[8:9]
	v_mov_b32_e32 v1, s6
	v_mov_b32_e32 v2, s7
	s_branch .LBB987_306
.LBB987_290:
	s_cmp_eq_u32 s35, 1
	s_cbranch_scc0 .LBB987_305
; %bb.291:
	s_mov_b32 s9, 0
	s_lshl_b32 s8, s6, 7
	s_mov_b32 s7, s9
	s_lshr_b64 s[0:1], s[22:23], 7
	s_cmp_lg_u64 s[0:1], s[6:7]
	s_cbranch_scc0 .LBB987_309
; %bb.292:
	s_lshl_b64 s[0:1], s[8:9], 2
	s_add_u32 s0, s24, s0
	s_addc_u32 s1, s25, s1
	v_lshlrev_b32_e32 v1, 2, v0
	s_waitcnt lgkmcnt(1)
	global_load_dword v5, v1, s[0:1]
	s_add_u32 s0, s20, s8
	s_addc_u32 s1, s21, 0
	v_mov_b32_e32 v2, s1
	v_add_co_u32_e32 v1, vcc, s0, v0
	v_addc_co_u32_e32 v2, vcc, 0, v2, vcc
	s_nop 0
	v_mov_b32_dpp v3, v1 quad_perm:[1,0,3,2] row_mask:0xf bank_mask:0xf bound_ctrl:1
	s_waitcnt lgkmcnt(0)
	v_mov_b32_dpp v4, v2 quad_perm:[1,0,3,2] row_mask:0xf bank_mask:0xf bound_ctrl:1
	v_cmp_lt_i64_e32 vcc, v[1:2], v[3:4]
                                        ; implicit-def: $vgpr7
	s_waitcnt vmcnt(0)
	v_cmp_eq_u32_e64 s[0:1], s34, v5
	v_cndmask_b32_e64 v5, 0, 1, s[0:1]
	s_and_b64 vcc, s[0:1], vcc
	v_cndmask_b32_e32 v3, v3, v1, vcc
	v_mov_b32_dpp v5, v5 quad_perm:[1,0,3,2] row_mask:0xf bank_mask:0xf bound_ctrl:1
	v_and_b32_e32 v5, 1, v5
	v_cndmask_b32_e32 v4, v4, v2, vcc
	v_cmp_eq_u32_e32 vcc, 1, v5
	s_or_b64 s[0:1], vcc, s[0:1]
	v_cndmask_b32_e32 v3, v1, v3, vcc
	v_cndmask_b32_e64 v1, 0, 1, s[0:1]
	v_cndmask_b32_e32 v4, v2, v4, vcc
	v_mov_b32_dpp v5, v3 quad_perm:[2,3,0,1] row_mask:0xf bank_mask:0xf bound_ctrl:1
	v_mov_b32_dpp v1, v1 quad_perm:[2,3,0,1] row_mask:0xf bank_mask:0xf bound_ctrl:1
	v_and_b32_e32 v1, 1, v1
	v_cmp_eq_u32_e32 vcc, 1, v1
	s_and_b64 s[2:3], vcc, s[0:1]
	v_mov_b32_dpp v6, v4 quad_perm:[2,3,0,1] row_mask:0xf bank_mask:0xf bound_ctrl:1
	s_xor_b64 s[2:3], s[2:3], -1
                                        ; implicit-def: $vgpr1_vgpr2
	s_and_saveexec_b64 s[10:11], s[2:3]
	s_xor_b64 s[2:3], exec, s[10:11]
; %bb.293:
	s_or_b64 s[0:1], vcc, s[0:1]
	v_cndmask_b32_e32 v2, v4, v6, vcc
	v_cndmask_b32_e32 v1, v3, v5, vcc
	v_cndmask_b32_e64 v7, 0, 1, s[0:1]
                                        ; implicit-def: $vgpr3_vgpr4
                                        ; implicit-def: $vgpr5_vgpr6
; %bb.294:
	s_andn2_saveexec_b64 s[0:1], s[2:3]
; %bb.295:
	v_cmp_lt_i64_e32 vcc, v[3:4], v[5:6]
	v_mov_b32_e32 v7, 1
	v_cndmask_b32_e32 v2, v6, v4, vcc
	v_cndmask_b32_e32 v1, v5, v3, vcc
; %bb.296:
	s_or_b64 exec, exec, s[0:1]
	s_nop 0
	v_mov_b32_dpp v4, v1 row_ror:4 row_mask:0xf bank_mask:0xf bound_ctrl:1
	v_mov_b32_dpp v5, v2 row_ror:4 row_mask:0xf bank_mask:0xf bound_ctrl:1
	v_and_b32_e32 v8, 1, v7
	v_cmp_lt_i64_e64 s[0:1], v[1:2], v[4:5]
	v_mov_b32_dpp v6, v7 row_ror:4 row_mask:0xf bank_mask:0xf bound_ctrl:1
	v_cmp_eq_u32_e32 vcc, 1, v8
	v_and_b32_e32 v6, 1, v6
	s_and_b64 vcc, vcc, s[0:1]
	v_cmp_eq_u32_e64 s[2:3], 1, v6
	v_cndmask_b32_e32 v4, v4, v1, vcc
	v_cndmask_b32_e32 v5, v5, v2, vcc
	v_cndmask_b32_e64 v2, v2, v5, s[2:3]
	v_cndmask_b32_e64 v1, v1, v4, s[2:3]
	;; [unrolled: 1-line block ×3, first 2 shown]
	v_mov_b32_dpp v5, v2 row_ror:8 row_mask:0xf bank_mask:0xf bound_ctrl:1
	v_mov_b32_dpp v4, v1 row_ror:8 row_mask:0xf bank_mask:0xf bound_ctrl:1
	v_and_b32_e32 v8, 1, v6
	v_cmp_lt_i64_e64 s[0:1], v[1:2], v[4:5]
	v_mov_b32_dpp v7, v6 row_ror:8 row_mask:0xf bank_mask:0xf bound_ctrl:1
	v_cmp_eq_u32_e32 vcc, 1, v8
	v_and_b32_e32 v7, 1, v7
	s_and_b64 vcc, vcc, s[0:1]
	v_cmp_eq_u32_e64 s[2:3], 1, v7
	v_cndmask_b32_e32 v4, v4, v1, vcc
	v_cndmask_b32_e32 v5, v5, v2, vcc
	v_cndmask_b32_e64 v2, v2, v5, s[2:3]
	v_cndmask_b32_e64 v1, v1, v4, s[2:3]
	;; [unrolled: 1-line block ×3, first 2 shown]
	v_mov_b32_dpp v5, v2 row_bcast:15 row_mask:0xf bank_mask:0xf bound_ctrl:1
	v_mov_b32_dpp v4, v1 row_bcast:15 row_mask:0xf bank_mask:0xf bound_ctrl:1
	v_and_b32_e32 v8, 1, v6
	v_cmp_lt_i64_e64 s[0:1], v[1:2], v[4:5]
	v_mov_b32_dpp v7, v6 row_bcast:15 row_mask:0xf bank_mask:0xf bound_ctrl:1
	v_cmp_eq_u32_e32 vcc, 1, v8
	v_and_b32_e32 v7, 1, v7
	s_and_b64 vcc, vcc, s[0:1]
	v_cmp_eq_u32_e64 s[2:3], 1, v7
	v_cndmask_b32_e32 v4, v4, v1, vcc
	v_cndmask_b32_e32 v5, v5, v2, vcc
	v_cndmask_b32_e64 v2, v2, v5, s[2:3]
	v_cndmask_b32_e64 v1, v1, v4, s[2:3]
	;; [unrolled: 1-line block ×3, first 2 shown]
	v_mov_b32_dpp v5, v2 row_bcast:31 row_mask:0xf bank_mask:0xf bound_ctrl:1
	v_mov_b32_dpp v4, v1 row_bcast:31 row_mask:0xf bank_mask:0xf bound_ctrl:1
	v_and_b32_e32 v8, 1, v6
	v_cmp_lt_i64_e64 s[0:1], v[1:2], v[4:5]
	v_mov_b32_dpp v7, v6 row_bcast:31 row_mask:0xf bank_mask:0xf bound_ctrl:1
	v_cmp_eq_u32_e32 vcc, 1, v8
	v_mbcnt_lo_u32_b32 v3, -1, 0
	v_and_b32_e32 v7, 1, v7
	s_and_b64 vcc, vcc, s[0:1]
	v_mbcnt_hi_u32_b32 v3, -1, v3
	v_cmp_eq_u32_e64 s[2:3], 1, v7
	v_cndmask_b32_e32 v5, v5, v2, vcc
	v_cndmask_b32_e32 v4, v4, v1, vcc
	v_cndmask_b32_e64 v2, v2, v5, s[2:3]
	v_lshlrev_b32_e32 v5, 2, v3
	v_cndmask_b32_e64 v6, v6, 1, s[2:3]
	v_cndmask_b32_e64 v1, v1, v4, s[2:3]
	v_or_b32_e32 v4, 0xfc, v5
	ds_bpermute_b32 v7, v4, v6
	ds_bpermute_b32 v1, v4, v1
	;; [unrolled: 1-line block ×3, first 2 shown]
	v_cmp_eq_u32_e32 vcc, 0, v3
	s_and_saveexec_b64 s[0:1], vcc
	s_cbranch_execz .LBB987_298
; %bb.297:
	v_lshrrev_b32_e32 v4, 2, v0
	v_and_b32_e32 v4, 16, v4
	s_waitcnt lgkmcnt(2)
	ds_write_b8 v4, v7
	s_waitcnt lgkmcnt(1)
	ds_write_b64 v4, v[1:2] offset:8
.LBB987_298:
	s_or_b64 exec, exec, s[0:1]
	v_cmp_gt_u32_e32 vcc, 64, v0
	s_waitcnt lgkmcnt(0)
	s_barrier
	s_and_saveexec_b64 s[0:1], vcc
	s_cbranch_execz .LBB987_304
; %bb.299:
	v_and_b32_e32 v1, 1, v3
	v_lshlrev_b32_e32 v1, 4, v1
	ds_read_u8 v8, v1
	ds_read_b64 v[3:4], v1 offset:8
	v_or_b32_e32 v2, 4, v5
	s_waitcnt lgkmcnt(1)
	v_and_b32_e32 v1, 0xff, v8
	ds_bpermute_b32 v9, v2, v1
	s_waitcnt lgkmcnt(1)
	ds_bpermute_b32 v5, v2, v3
	ds_bpermute_b32 v6, v2, v4
	s_waitcnt lgkmcnt(2)
	v_and_b32_e32 v1, v8, v9
	v_and_b32_e32 v1, 1, v1
	v_cmp_eq_u32_e32 vcc, 1, v1
                                        ; implicit-def: $vgpr1_vgpr2
	s_and_saveexec_b64 s[2:3], vcc
	s_xor_b64 s[2:3], exec, s[2:3]
	s_cbranch_execz .LBB987_301
; %bb.300:
	s_waitcnt lgkmcnt(0)
	v_cmp_lt_i64_e32 vcc, v[5:6], v[3:4]
                                        ; implicit-def: $vgpr8
                                        ; implicit-def: $vgpr9
	v_cndmask_b32_e32 v2, v4, v6, vcc
	v_cndmask_b32_e32 v1, v3, v5, vcc
                                        ; implicit-def: $vgpr5_vgpr6
                                        ; implicit-def: $vgpr3_vgpr4
.LBB987_301:
	s_or_saveexec_b64 s[2:3], s[2:3]
	v_mov_b32_e32 v7, 1
	s_xor_b64 exec, exec, s[2:3]
	s_cbranch_execz .LBB987_303
; %bb.302:
	v_and_b32_e32 v1, 1, v8
	v_cmp_eq_u32_e32 vcc, 1, v1
	s_waitcnt lgkmcnt(0)
	v_cndmask_b32_e32 v2, v6, v4, vcc
	v_cndmask_b32_e32 v1, v5, v3, vcc
	v_cndmask_b32_e64 v7, v9, 1, vcc
.LBB987_303:
	s_or_b64 exec, exec, s[2:3]
.LBB987_304:
	s_or_b64 exec, exec, s[0:1]
	s_branch .LBB987_359
.LBB987_305:
                                        ; implicit-def: $vgpr3_vgpr4
                                        ; implicit-def: $vgpr5
                                        ; implicit-def: $vgpr1_vgpr2
.LBB987_306:
	s_and_saveexec_b64 s[0:1], s[14:15]
	s_cbranch_execz .LBB987_308
.LBB987_307:
	s_load_dwordx2 s[0:1], s[4:5], 0x28
	v_lshlrev_b64 v[0:1], 4, v[1:2]
	s_waitcnt lgkmcnt(0)
	v_mov_b32_e32 v2, s1
	v_add_co_u32_e32 v0, vcc, s0, v0
	v_addc_co_u32_e32 v1, vcc, v2, v1, vcc
	global_store_byte v[0:1], v5, off
	global_store_dwordx2 v[0:1], v[3:4], off offset:8
.LBB987_308:
	s_endpgm
.LBB987_309:
                                        ; implicit-def: $vgpr1_vgpr2
                                        ; implicit-def: $vgpr7
	s_cbranch_execz .LBB987_359
; %bb.310:
	s_sub_i32 s2, s22, s8
	v_mov_b32_e32 v1, 0
	v_cmp_gt_u32_e32 vcc, s2, v0
	v_mov_b32_e32 v2, 0
	v_mov_b32_e32 v9, 0
	s_and_saveexec_b64 s[0:1], vcc
	s_cbranch_execz .LBB987_312
; %bb.311:
	s_lshl_b64 s[10:11], s[8:9], 2
	s_add_u32 s10, s24, s10
	s_addc_u32 s11, s25, s11
	v_lshlrev_b32_e32 v1, 2, v0
	s_waitcnt lgkmcnt(2)
	global_load_dword v3, v1, s[10:11]
	s_add_u32 s3, s20, s8
	s_addc_u32 s8, s21, 0
	v_mov_b32_e32 v2, s8
	v_add_co_u32_e32 v1, vcc, s3, v0
	v_addc_co_u32_e32 v2, vcc, 0, v2, vcc
	s_waitcnt vmcnt(0)
	v_cmp_eq_u32_e32 vcc, s34, v3
	v_cndmask_b32_e64 v9, 0, 1, vcc
.LBB987_312:
	s_or_b64 exec, exec, s[0:1]
	s_waitcnt lgkmcnt(2)
	v_mbcnt_lo_u32_b32 v3, -1, 0
	s_waitcnt lgkmcnt(1)
	v_mbcnt_hi_u32_b32 v5, -1, v3
	s_waitcnt lgkmcnt(0)
	v_and_b32_e32 v6, 63, v5
	v_cmp_ne_u32_e32 vcc, 63, v6
	v_addc_co_u32_e32 v3, vcc, 0, v5, vcc
	v_and_b32_e32 v7, 0xffff, v9
	v_lshlrev_b32_e32 v4, 2, v3
	ds_bpermute_b32 v10, v4, v7
	ds_bpermute_b32 v3, v4, v1
	;; [unrolled: 1-line block ×3, first 2 shown]
	s_min_u32 s8, s2, 0x80
	v_and_b32_e32 v8, 64, v0
	v_sub_u32_e64 v8, s8, v8 clamp
	v_add_u32_e32 v11, 1, v6
	v_cmp_lt_u32_e32 vcc, v11, v8
	s_and_saveexec_b64 s[0:1], vcc
	s_cbranch_execz .LBB987_318
; %bb.313:
	s_waitcnt lgkmcnt(2)
	v_and_b32_e32 v7, v10, v7
	v_and_b32_e32 v7, 1, v7
	v_cmp_eq_u32_e32 vcc, 1, v7
	s_and_saveexec_b64 s[2:3], vcc
	s_xor_b64 s[2:3], exec, s[2:3]
	s_cbranch_execz .LBB987_315
; %bb.314:
	s_waitcnt lgkmcnt(0)
	v_cmp_lt_i64_e32 vcc, v[3:4], v[1:2]
                                        ; implicit-def: $vgpr9
                                        ; implicit-def: $vgpr10
	v_cndmask_b32_e32 v2, v2, v4, vcc
	v_cndmask_b32_e32 v1, v1, v3, vcc
                                        ; implicit-def: $vgpr3_vgpr4
.LBB987_315:
	s_or_saveexec_b64 s[2:3], s[2:3]
	v_mov_b32_e32 v7, 1
	s_xor_b64 exec, exec, s[2:3]
	s_cbranch_execz .LBB987_317
; %bb.316:
	v_and_b32_e32 v7, 1, v9
	v_cmp_eq_u32_e32 vcc, 1, v7
	s_waitcnt lgkmcnt(1)
	v_cndmask_b32_e32 v1, v3, v1, vcc
	v_and_b32_e32 v3, 0xff, v10
	s_waitcnt lgkmcnt(0)
	v_cndmask_b32_e32 v2, v4, v2, vcc
	v_cndmask_b32_e64 v7, v3, 1, vcc
.LBB987_317:
	s_or_b64 exec, exec, s[2:3]
.LBB987_318:
	s_or_b64 exec, exec, s[0:1]
	v_cmp_gt_u32_e32 vcc, 62, v6
	s_waitcnt lgkmcnt(1)
	v_cndmask_b32_e64 v3, 0, 2, vcc
	s_waitcnt lgkmcnt(0)
	v_add_lshl_u32 v4, v3, v5, 2
	ds_bpermute_b32 v9, v4, v7
	ds_bpermute_b32 v3, v4, v1
	ds_bpermute_b32 v4, v4, v2
	v_add_u32_e32 v10, 2, v6
	v_cmp_lt_u32_e32 vcc, v10, v8
	s_and_saveexec_b64 s[0:1], vcc
	s_cbranch_execz .LBB987_324
; %bb.319:
	s_waitcnt lgkmcnt(2)
	v_and_b32_e32 v10, v7, v9
	v_and_b32_e32 v10, 1, v10
	v_cmp_eq_u32_e32 vcc, 1, v10
	s_and_saveexec_b64 s[2:3], vcc
	s_xor_b64 s[2:3], exec, s[2:3]
	s_cbranch_execz .LBB987_321
; %bb.320:
	s_waitcnt lgkmcnt(0)
	v_cmp_lt_i64_e32 vcc, v[3:4], v[1:2]
                                        ; implicit-def: $vgpr7
                                        ; implicit-def: $vgpr9
	v_cndmask_b32_e32 v2, v2, v4, vcc
	v_cndmask_b32_e32 v1, v1, v3, vcc
                                        ; implicit-def: $vgpr3_vgpr4
.LBB987_321:
	s_or_saveexec_b64 s[2:3], s[2:3]
	v_mov_b32_e32 v10, 1
	s_xor_b64 exec, exec, s[2:3]
	s_cbranch_execz .LBB987_323
; %bb.322:
	v_and_b32_e32 v7, 1, v7
	v_cmp_eq_u32_e32 vcc, 1, v7
	s_waitcnt lgkmcnt(1)
	v_cndmask_b32_e32 v1, v3, v1, vcc
	v_and_b32_e32 v3, 0xff, v9
	s_waitcnt lgkmcnt(0)
	v_cndmask_b32_e32 v2, v4, v2, vcc
	v_cndmask_b32_e64 v10, v3, 1, vcc
.LBB987_323:
	s_or_b64 exec, exec, s[2:3]
	v_mov_b32_e32 v7, v10
.LBB987_324:
	s_or_b64 exec, exec, s[0:1]
	v_cmp_gt_u32_e32 vcc, 60, v6
	s_waitcnt lgkmcnt(1)
	v_cndmask_b32_e64 v3, 0, 4, vcc
	s_waitcnt lgkmcnt(0)
	v_add_lshl_u32 v4, v3, v5, 2
	ds_bpermute_b32 v9, v4, v7
	ds_bpermute_b32 v3, v4, v1
	ds_bpermute_b32 v4, v4, v2
	v_add_u32_e32 v10, 4, v6
	v_cmp_lt_u32_e32 vcc, v10, v8
	s_and_saveexec_b64 s[0:1], vcc
	s_cbranch_execz .LBB987_330
; %bb.325:
	s_waitcnt lgkmcnt(2)
	v_and_b32_e32 v10, v7, v9
	v_and_b32_e32 v10, 1, v10
	v_cmp_eq_u32_e32 vcc, 1, v10
	s_and_saveexec_b64 s[2:3], vcc
	s_xor_b64 s[2:3], exec, s[2:3]
	s_cbranch_execz .LBB987_327
; %bb.326:
	s_waitcnt lgkmcnt(0)
	v_cmp_lt_i64_e32 vcc, v[3:4], v[1:2]
                                        ; implicit-def: $vgpr7
                                        ; implicit-def: $vgpr9
	v_cndmask_b32_e32 v2, v2, v4, vcc
	v_cndmask_b32_e32 v1, v1, v3, vcc
                                        ; implicit-def: $vgpr3_vgpr4
.LBB987_327:
	s_or_saveexec_b64 s[2:3], s[2:3]
	v_mov_b32_e32 v10, 1
	s_xor_b64 exec, exec, s[2:3]
	s_cbranch_execz .LBB987_329
; %bb.328:
	v_and_b32_e32 v7, 1, v7
	v_cmp_eq_u32_e32 vcc, 1, v7
	s_waitcnt lgkmcnt(1)
	v_cndmask_b32_e32 v1, v3, v1, vcc
	v_and_b32_e32 v3, 0xff, v9
	s_waitcnt lgkmcnt(0)
	v_cndmask_b32_e32 v2, v4, v2, vcc
	v_cndmask_b32_e64 v10, v3, 1, vcc
.LBB987_329:
	s_or_b64 exec, exec, s[2:3]
	v_mov_b32_e32 v7, v10
.LBB987_330:
	;; [unrolled: 47-line block ×4, first 2 shown]
	s_or_b64 exec, exec, s[0:1]
	s_waitcnt lgkmcnt(2)
	v_lshlrev_b32_e32 v9, 2, v5
	s_waitcnt lgkmcnt(0)
	v_or_b32_e32 v4, 0x80, v9
	ds_bpermute_b32 v10, v4, v7
	ds_bpermute_b32 v3, v4, v1
	;; [unrolled: 1-line block ×3, first 2 shown]
	v_add_u32_e32 v6, 32, v6
	v_cmp_lt_u32_e32 vcc, v6, v8
	v_mov_b32_e32 v6, v7
	s_and_saveexec_b64 s[0:1], vcc
	s_cbranch_execz .LBB987_348
; %bb.343:
	s_waitcnt lgkmcnt(2)
	v_and_b32_e32 v6, v7, v10
	v_and_b32_e32 v6, 1, v6
	v_cmp_eq_u32_e32 vcc, 1, v6
	s_and_saveexec_b64 s[2:3], vcc
	s_xor_b64 s[2:3], exec, s[2:3]
	s_cbranch_execz .LBB987_345
; %bb.344:
	s_waitcnt lgkmcnt(0)
	v_cmp_lt_i64_e32 vcc, v[3:4], v[1:2]
                                        ; implicit-def: $vgpr7
                                        ; implicit-def: $vgpr10
	v_cndmask_b32_e32 v2, v2, v4, vcc
	v_cndmask_b32_e32 v1, v1, v3, vcc
                                        ; implicit-def: $vgpr3_vgpr4
.LBB987_345:
	s_or_saveexec_b64 s[2:3], s[2:3]
	v_mov_b32_e32 v6, 1
	s_xor_b64 exec, exec, s[2:3]
	s_cbranch_execz .LBB987_347
; %bb.346:
	v_and_b32_e32 v6, 1, v7
	v_cmp_eq_u32_e32 vcc, 1, v6
	v_cndmask_b32_e64 v6, v10, 1, vcc
	s_waitcnt lgkmcnt(0)
	v_cndmask_b32_e32 v2, v4, v2, vcc
	v_cndmask_b32_e32 v1, v3, v1, vcc
.LBB987_347:
	s_or_b64 exec, exec, s[2:3]
	v_and_b32_e32 v7, 0xff, v6
.LBB987_348:
	s_or_b64 exec, exec, s[0:1]
	v_cmp_eq_u32_e32 vcc, 0, v5
	s_and_saveexec_b64 s[0:1], vcc
	s_cbranch_execz .LBB987_350
; %bb.349:
	s_waitcnt lgkmcnt(1)
	v_lshrrev_b32_e32 v3, 2, v0
	v_and_b32_e32 v3, 16, v3
	ds_write_b8 v3, v6 offset:128
	ds_write_b64 v3, v[1:2] offset:136
.LBB987_350:
	s_or_b64 exec, exec, s[0:1]
	v_cmp_gt_u32_e32 vcc, 2, v0
	s_waitcnt lgkmcnt(0)
	s_barrier
	s_and_saveexec_b64 s[0:1], vcc
	s_cbranch_execz .LBB987_358
; %bb.351:
	v_lshlrev_b32_e32 v1, 4, v5
	ds_read_u8 v6, v1 offset:128
	ds_read_b64 v[1:2], v1 offset:136
	v_or_b32_e32 v4, 4, v9
	s_add_i32 s8, s8, 63
	v_and_b32_e32 v5, 1, v5
	s_waitcnt lgkmcnt(1)
	v_and_b32_e32 v7, 0xff, v6
	s_waitcnt lgkmcnt(0)
	ds_bpermute_b32 v3, v4, v1
	ds_bpermute_b32 v8, v4, v7
	;; [unrolled: 1-line block ×3, first 2 shown]
	s_lshr_b32 s2, s8, 6
	v_add_u32_e32 v5, 1, v5
	v_cmp_gt_u32_e32 vcc, s2, v5
	s_and_saveexec_b64 s[2:3], vcc
	s_cbranch_execz .LBB987_357
; %bb.352:
	s_waitcnt lgkmcnt(1)
	v_and_b32_e32 v5, v7, v8
	v_and_b32_e32 v5, 1, v5
	v_cmp_eq_u32_e32 vcc, 1, v5
	s_and_saveexec_b64 s[8:9], vcc
	s_xor_b64 s[8:9], exec, s[8:9]
	s_cbranch_execz .LBB987_354
; %bb.353:
	s_waitcnt lgkmcnt(0)
	v_cmp_lt_i64_e32 vcc, v[3:4], v[1:2]
                                        ; implicit-def: $vgpr6
                                        ; implicit-def: $vgpr8
	v_cndmask_b32_e32 v2, v2, v4, vcc
	v_cndmask_b32_e32 v1, v1, v3, vcc
                                        ; implicit-def: $vgpr3_vgpr4
.LBB987_354:
	s_or_saveexec_b64 s[8:9], s[8:9]
	v_mov_b32_e32 v7, 1
	s_xor_b64 exec, exec, s[8:9]
	s_cbranch_execz .LBB987_356
; %bb.355:
	v_and_b32_e32 v5, 1, v6
	v_cmp_eq_u32_e32 vcc, 1, v5
	s_waitcnt lgkmcnt(0)
	v_cndmask_b32_e32 v2, v4, v2, vcc
	v_cndmask_b32_e32 v1, v3, v1, vcc
	v_cndmask_b32_e64 v7, v8, 1, vcc
.LBB987_356:
	s_or_b64 exec, exec, s[8:9]
.LBB987_357:
	s_or_b64 exec, exec, s[2:3]
.LBB987_358:
	s_or_b64 exec, exec, s[0:1]
.LBB987_359:
	v_cmp_eq_u32_e32 vcc, 0, v0
                                        ; implicit-def: $vgpr3_vgpr4
                                        ; implicit-def: $vgpr5
	s_and_saveexec_b64 s[8:9], vcc
	s_cbranch_execz .LBB987_363
; %bb.360:
	s_waitcnt lgkmcnt(0)
	v_mov_b32_e32 v3, s18
	s_cmp_eq_u64 s[22:23], 0
	v_mov_b32_e32 v4, s19
	v_mov_b32_e32 v5, s33
	s_cbranch_scc1 .LBB987_362
; %bb.361:
	v_and_b32_e32 v0, 1, v7
	v_cmp_gt_i64_e64 s[0:1], s[18:19], v[1:2]
	s_bitcmp1_b32 s33, 0
	v_cmp_eq_u32_e32 vcc, 1, v0
	s_cselect_b64 s[2:3], -1, 0
	v_mov_b32_e32 v0, s18
	s_and_b64 vcc, vcc, s[0:1]
	v_mov_b32_e32 v3, s19
	v_cndmask_b32_e32 v0, v0, v1, vcc
	v_cndmask_b32_e32 v3, v3, v2, vcc
	v_cndmask_b32_e64 v5, v7, 1, s[2:3]
	v_cndmask_b32_e64 v4, v2, v3, s[2:3]
	;; [unrolled: 1-line block ×3, first 2 shown]
.LBB987_362:
	s_or_b64 s[14:15], s[14:15], exec
.LBB987_363:
	s_or_b64 exec, exec, s[8:9]
	v_mov_b32_e32 v1, s6
	v_mov_b32_e32 v2, s7
	s_and_saveexec_b64 s[0:1], s[14:15]
	s_cbranch_execnz .LBB987_307
	s_branch .LBB987_308
	.section	.rodata,"a",@progbits
	.p2align	6, 0x0
	.amdhsa_kernel _ZN7rocprim17ROCPRIM_400000_NS6detail17trampoline_kernelINS0_14default_configENS1_22reduce_config_selectorIN6thrust23THRUST_200600_302600_NS5tupleIblNS6_9null_typeES8_S8_S8_S8_S8_S8_S8_EEEEZNS1_11reduce_implILb1ES3_NS6_12zip_iteratorINS7_INS6_11hip_rocprim26transform_input_iterator_tIbPiNS6_6detail10functional5actorINSH_9compositeIJNSH_27transparent_binary_operatorINS6_8equal_toIvEEEENSI_INSH_8argumentILj0EEEEENSH_5valueIiEEEEEEEEENSD_19counting_iterator_tIlEES8_S8_S8_S8_S8_S8_S8_S8_EEEEPS9_S9_NSD_9__find_if7functorIS9_EEEE10hipError_tPvRmT1_T2_T3_mT4_P12ihipStream_tbEUlT_E1_NS1_11comp_targetILNS1_3genE2ELNS1_11target_archE906ELNS1_3gpuE6ELNS1_3repE0EEENS1_30default_config_static_selectorELNS0_4arch9wavefront6targetE1EEEvS17_
		.amdhsa_group_segment_fixed_size 160
		.amdhsa_private_segment_fixed_size 0
		.amdhsa_kernarg_size 72
		.amdhsa_user_sgpr_count 6
		.amdhsa_user_sgpr_private_segment_buffer 1
		.amdhsa_user_sgpr_dispatch_ptr 0
		.amdhsa_user_sgpr_queue_ptr 0
		.amdhsa_user_sgpr_kernarg_segment_ptr 1
		.amdhsa_user_sgpr_dispatch_id 0
		.amdhsa_user_sgpr_flat_scratch_init 0
		.amdhsa_user_sgpr_private_segment_size 0
		.amdhsa_uses_dynamic_stack 0
		.amdhsa_system_sgpr_private_segment_wavefront_offset 0
		.amdhsa_system_sgpr_workgroup_id_x 1
		.amdhsa_system_sgpr_workgroup_id_y 0
		.amdhsa_system_sgpr_workgroup_id_z 0
		.amdhsa_system_sgpr_workgroup_info 0
		.amdhsa_system_vgpr_workitem_id 0
		.amdhsa_next_free_vgpr 26
		.amdhsa_next_free_sgpr 39
		.amdhsa_reserve_vcc 1
		.amdhsa_reserve_flat_scratch 0
		.amdhsa_float_round_mode_32 0
		.amdhsa_float_round_mode_16_64 0
		.amdhsa_float_denorm_mode_32 3
		.amdhsa_float_denorm_mode_16_64 3
		.amdhsa_dx10_clamp 1
		.amdhsa_ieee_mode 1
		.amdhsa_fp16_overflow 0
		.amdhsa_exception_fp_ieee_invalid_op 0
		.amdhsa_exception_fp_denorm_src 0
		.amdhsa_exception_fp_ieee_div_zero 0
		.amdhsa_exception_fp_ieee_overflow 0
		.amdhsa_exception_fp_ieee_underflow 0
		.amdhsa_exception_fp_ieee_inexact 0
		.amdhsa_exception_int_div_zero 0
	.end_amdhsa_kernel
	.section	.text._ZN7rocprim17ROCPRIM_400000_NS6detail17trampoline_kernelINS0_14default_configENS1_22reduce_config_selectorIN6thrust23THRUST_200600_302600_NS5tupleIblNS6_9null_typeES8_S8_S8_S8_S8_S8_S8_EEEEZNS1_11reduce_implILb1ES3_NS6_12zip_iteratorINS7_INS6_11hip_rocprim26transform_input_iterator_tIbPiNS6_6detail10functional5actorINSH_9compositeIJNSH_27transparent_binary_operatorINS6_8equal_toIvEEEENSI_INSH_8argumentILj0EEEEENSH_5valueIiEEEEEEEEENSD_19counting_iterator_tIlEES8_S8_S8_S8_S8_S8_S8_S8_EEEEPS9_S9_NSD_9__find_if7functorIS9_EEEE10hipError_tPvRmT1_T2_T3_mT4_P12ihipStream_tbEUlT_E1_NS1_11comp_targetILNS1_3genE2ELNS1_11target_archE906ELNS1_3gpuE6ELNS1_3repE0EEENS1_30default_config_static_selectorELNS0_4arch9wavefront6targetE1EEEvS17_,"axG",@progbits,_ZN7rocprim17ROCPRIM_400000_NS6detail17trampoline_kernelINS0_14default_configENS1_22reduce_config_selectorIN6thrust23THRUST_200600_302600_NS5tupleIblNS6_9null_typeES8_S8_S8_S8_S8_S8_S8_EEEEZNS1_11reduce_implILb1ES3_NS6_12zip_iteratorINS7_INS6_11hip_rocprim26transform_input_iterator_tIbPiNS6_6detail10functional5actorINSH_9compositeIJNSH_27transparent_binary_operatorINS6_8equal_toIvEEEENSI_INSH_8argumentILj0EEEEENSH_5valueIiEEEEEEEEENSD_19counting_iterator_tIlEES8_S8_S8_S8_S8_S8_S8_S8_EEEEPS9_S9_NSD_9__find_if7functorIS9_EEEE10hipError_tPvRmT1_T2_T3_mT4_P12ihipStream_tbEUlT_E1_NS1_11comp_targetILNS1_3genE2ELNS1_11target_archE906ELNS1_3gpuE6ELNS1_3repE0EEENS1_30default_config_static_selectorELNS0_4arch9wavefront6targetE1EEEvS17_,comdat
.Lfunc_end987:
	.size	_ZN7rocprim17ROCPRIM_400000_NS6detail17trampoline_kernelINS0_14default_configENS1_22reduce_config_selectorIN6thrust23THRUST_200600_302600_NS5tupleIblNS6_9null_typeES8_S8_S8_S8_S8_S8_S8_EEEEZNS1_11reduce_implILb1ES3_NS6_12zip_iteratorINS7_INS6_11hip_rocprim26transform_input_iterator_tIbPiNS6_6detail10functional5actorINSH_9compositeIJNSH_27transparent_binary_operatorINS6_8equal_toIvEEEENSI_INSH_8argumentILj0EEEEENSH_5valueIiEEEEEEEEENSD_19counting_iterator_tIlEES8_S8_S8_S8_S8_S8_S8_S8_EEEEPS9_S9_NSD_9__find_if7functorIS9_EEEE10hipError_tPvRmT1_T2_T3_mT4_P12ihipStream_tbEUlT_E1_NS1_11comp_targetILNS1_3genE2ELNS1_11target_archE906ELNS1_3gpuE6ELNS1_3repE0EEENS1_30default_config_static_selectorELNS0_4arch9wavefront6targetE1EEEvS17_, .Lfunc_end987-_ZN7rocprim17ROCPRIM_400000_NS6detail17trampoline_kernelINS0_14default_configENS1_22reduce_config_selectorIN6thrust23THRUST_200600_302600_NS5tupleIblNS6_9null_typeES8_S8_S8_S8_S8_S8_S8_EEEEZNS1_11reduce_implILb1ES3_NS6_12zip_iteratorINS7_INS6_11hip_rocprim26transform_input_iterator_tIbPiNS6_6detail10functional5actorINSH_9compositeIJNSH_27transparent_binary_operatorINS6_8equal_toIvEEEENSI_INSH_8argumentILj0EEEEENSH_5valueIiEEEEEEEEENSD_19counting_iterator_tIlEES8_S8_S8_S8_S8_S8_S8_S8_EEEEPS9_S9_NSD_9__find_if7functorIS9_EEEE10hipError_tPvRmT1_T2_T3_mT4_P12ihipStream_tbEUlT_E1_NS1_11comp_targetILNS1_3genE2ELNS1_11target_archE906ELNS1_3gpuE6ELNS1_3repE0EEENS1_30default_config_static_selectorELNS0_4arch9wavefront6targetE1EEEvS17_
                                        ; -- End function
	.set _ZN7rocprim17ROCPRIM_400000_NS6detail17trampoline_kernelINS0_14default_configENS1_22reduce_config_selectorIN6thrust23THRUST_200600_302600_NS5tupleIblNS6_9null_typeES8_S8_S8_S8_S8_S8_S8_EEEEZNS1_11reduce_implILb1ES3_NS6_12zip_iteratorINS7_INS6_11hip_rocprim26transform_input_iterator_tIbPiNS6_6detail10functional5actorINSH_9compositeIJNSH_27transparent_binary_operatorINS6_8equal_toIvEEEENSI_INSH_8argumentILj0EEEEENSH_5valueIiEEEEEEEEENSD_19counting_iterator_tIlEES8_S8_S8_S8_S8_S8_S8_S8_EEEEPS9_S9_NSD_9__find_if7functorIS9_EEEE10hipError_tPvRmT1_T2_T3_mT4_P12ihipStream_tbEUlT_E1_NS1_11comp_targetILNS1_3genE2ELNS1_11target_archE906ELNS1_3gpuE6ELNS1_3repE0EEENS1_30default_config_static_selectorELNS0_4arch9wavefront6targetE1EEEvS17_.num_vgpr, 26
	.set _ZN7rocprim17ROCPRIM_400000_NS6detail17trampoline_kernelINS0_14default_configENS1_22reduce_config_selectorIN6thrust23THRUST_200600_302600_NS5tupleIblNS6_9null_typeES8_S8_S8_S8_S8_S8_S8_EEEEZNS1_11reduce_implILb1ES3_NS6_12zip_iteratorINS7_INS6_11hip_rocprim26transform_input_iterator_tIbPiNS6_6detail10functional5actorINSH_9compositeIJNSH_27transparent_binary_operatorINS6_8equal_toIvEEEENSI_INSH_8argumentILj0EEEEENSH_5valueIiEEEEEEEEENSD_19counting_iterator_tIlEES8_S8_S8_S8_S8_S8_S8_S8_EEEEPS9_S9_NSD_9__find_if7functorIS9_EEEE10hipError_tPvRmT1_T2_T3_mT4_P12ihipStream_tbEUlT_E1_NS1_11comp_targetILNS1_3genE2ELNS1_11target_archE906ELNS1_3gpuE6ELNS1_3repE0EEENS1_30default_config_static_selectorELNS0_4arch9wavefront6targetE1EEEvS17_.num_agpr, 0
	.set _ZN7rocprim17ROCPRIM_400000_NS6detail17trampoline_kernelINS0_14default_configENS1_22reduce_config_selectorIN6thrust23THRUST_200600_302600_NS5tupleIblNS6_9null_typeES8_S8_S8_S8_S8_S8_S8_EEEEZNS1_11reduce_implILb1ES3_NS6_12zip_iteratorINS7_INS6_11hip_rocprim26transform_input_iterator_tIbPiNS6_6detail10functional5actorINSH_9compositeIJNSH_27transparent_binary_operatorINS6_8equal_toIvEEEENSI_INSH_8argumentILj0EEEEENSH_5valueIiEEEEEEEEENSD_19counting_iterator_tIlEES8_S8_S8_S8_S8_S8_S8_S8_EEEEPS9_S9_NSD_9__find_if7functorIS9_EEEE10hipError_tPvRmT1_T2_T3_mT4_P12ihipStream_tbEUlT_E1_NS1_11comp_targetILNS1_3genE2ELNS1_11target_archE906ELNS1_3gpuE6ELNS1_3repE0EEENS1_30default_config_static_selectorELNS0_4arch9wavefront6targetE1EEEvS17_.numbered_sgpr, 39
	.set _ZN7rocprim17ROCPRIM_400000_NS6detail17trampoline_kernelINS0_14default_configENS1_22reduce_config_selectorIN6thrust23THRUST_200600_302600_NS5tupleIblNS6_9null_typeES8_S8_S8_S8_S8_S8_S8_EEEEZNS1_11reduce_implILb1ES3_NS6_12zip_iteratorINS7_INS6_11hip_rocprim26transform_input_iterator_tIbPiNS6_6detail10functional5actorINSH_9compositeIJNSH_27transparent_binary_operatorINS6_8equal_toIvEEEENSI_INSH_8argumentILj0EEEEENSH_5valueIiEEEEEEEEENSD_19counting_iterator_tIlEES8_S8_S8_S8_S8_S8_S8_S8_EEEEPS9_S9_NSD_9__find_if7functorIS9_EEEE10hipError_tPvRmT1_T2_T3_mT4_P12ihipStream_tbEUlT_E1_NS1_11comp_targetILNS1_3genE2ELNS1_11target_archE906ELNS1_3gpuE6ELNS1_3repE0EEENS1_30default_config_static_selectorELNS0_4arch9wavefront6targetE1EEEvS17_.num_named_barrier, 0
	.set _ZN7rocprim17ROCPRIM_400000_NS6detail17trampoline_kernelINS0_14default_configENS1_22reduce_config_selectorIN6thrust23THRUST_200600_302600_NS5tupleIblNS6_9null_typeES8_S8_S8_S8_S8_S8_S8_EEEEZNS1_11reduce_implILb1ES3_NS6_12zip_iteratorINS7_INS6_11hip_rocprim26transform_input_iterator_tIbPiNS6_6detail10functional5actorINSH_9compositeIJNSH_27transparent_binary_operatorINS6_8equal_toIvEEEENSI_INSH_8argumentILj0EEEEENSH_5valueIiEEEEEEEEENSD_19counting_iterator_tIlEES8_S8_S8_S8_S8_S8_S8_S8_EEEEPS9_S9_NSD_9__find_if7functorIS9_EEEE10hipError_tPvRmT1_T2_T3_mT4_P12ihipStream_tbEUlT_E1_NS1_11comp_targetILNS1_3genE2ELNS1_11target_archE906ELNS1_3gpuE6ELNS1_3repE0EEENS1_30default_config_static_selectorELNS0_4arch9wavefront6targetE1EEEvS17_.private_seg_size, 0
	.set _ZN7rocprim17ROCPRIM_400000_NS6detail17trampoline_kernelINS0_14default_configENS1_22reduce_config_selectorIN6thrust23THRUST_200600_302600_NS5tupleIblNS6_9null_typeES8_S8_S8_S8_S8_S8_S8_EEEEZNS1_11reduce_implILb1ES3_NS6_12zip_iteratorINS7_INS6_11hip_rocprim26transform_input_iterator_tIbPiNS6_6detail10functional5actorINSH_9compositeIJNSH_27transparent_binary_operatorINS6_8equal_toIvEEEENSI_INSH_8argumentILj0EEEEENSH_5valueIiEEEEEEEEENSD_19counting_iterator_tIlEES8_S8_S8_S8_S8_S8_S8_S8_EEEEPS9_S9_NSD_9__find_if7functorIS9_EEEE10hipError_tPvRmT1_T2_T3_mT4_P12ihipStream_tbEUlT_E1_NS1_11comp_targetILNS1_3genE2ELNS1_11target_archE906ELNS1_3gpuE6ELNS1_3repE0EEENS1_30default_config_static_selectorELNS0_4arch9wavefront6targetE1EEEvS17_.uses_vcc, 1
	.set _ZN7rocprim17ROCPRIM_400000_NS6detail17trampoline_kernelINS0_14default_configENS1_22reduce_config_selectorIN6thrust23THRUST_200600_302600_NS5tupleIblNS6_9null_typeES8_S8_S8_S8_S8_S8_S8_EEEEZNS1_11reduce_implILb1ES3_NS6_12zip_iteratorINS7_INS6_11hip_rocprim26transform_input_iterator_tIbPiNS6_6detail10functional5actorINSH_9compositeIJNSH_27transparent_binary_operatorINS6_8equal_toIvEEEENSI_INSH_8argumentILj0EEEEENSH_5valueIiEEEEEEEEENSD_19counting_iterator_tIlEES8_S8_S8_S8_S8_S8_S8_S8_EEEEPS9_S9_NSD_9__find_if7functorIS9_EEEE10hipError_tPvRmT1_T2_T3_mT4_P12ihipStream_tbEUlT_E1_NS1_11comp_targetILNS1_3genE2ELNS1_11target_archE906ELNS1_3gpuE6ELNS1_3repE0EEENS1_30default_config_static_selectorELNS0_4arch9wavefront6targetE1EEEvS17_.uses_flat_scratch, 0
	.set _ZN7rocprim17ROCPRIM_400000_NS6detail17trampoline_kernelINS0_14default_configENS1_22reduce_config_selectorIN6thrust23THRUST_200600_302600_NS5tupleIblNS6_9null_typeES8_S8_S8_S8_S8_S8_S8_EEEEZNS1_11reduce_implILb1ES3_NS6_12zip_iteratorINS7_INS6_11hip_rocprim26transform_input_iterator_tIbPiNS6_6detail10functional5actorINSH_9compositeIJNSH_27transparent_binary_operatorINS6_8equal_toIvEEEENSI_INSH_8argumentILj0EEEEENSH_5valueIiEEEEEEEEENSD_19counting_iterator_tIlEES8_S8_S8_S8_S8_S8_S8_S8_EEEEPS9_S9_NSD_9__find_if7functorIS9_EEEE10hipError_tPvRmT1_T2_T3_mT4_P12ihipStream_tbEUlT_E1_NS1_11comp_targetILNS1_3genE2ELNS1_11target_archE906ELNS1_3gpuE6ELNS1_3repE0EEENS1_30default_config_static_selectorELNS0_4arch9wavefront6targetE1EEEvS17_.has_dyn_sized_stack, 0
	.set _ZN7rocprim17ROCPRIM_400000_NS6detail17trampoline_kernelINS0_14default_configENS1_22reduce_config_selectorIN6thrust23THRUST_200600_302600_NS5tupleIblNS6_9null_typeES8_S8_S8_S8_S8_S8_S8_EEEEZNS1_11reduce_implILb1ES3_NS6_12zip_iteratorINS7_INS6_11hip_rocprim26transform_input_iterator_tIbPiNS6_6detail10functional5actorINSH_9compositeIJNSH_27transparent_binary_operatorINS6_8equal_toIvEEEENSI_INSH_8argumentILj0EEEEENSH_5valueIiEEEEEEEEENSD_19counting_iterator_tIlEES8_S8_S8_S8_S8_S8_S8_S8_EEEEPS9_S9_NSD_9__find_if7functorIS9_EEEE10hipError_tPvRmT1_T2_T3_mT4_P12ihipStream_tbEUlT_E1_NS1_11comp_targetILNS1_3genE2ELNS1_11target_archE906ELNS1_3gpuE6ELNS1_3repE0EEENS1_30default_config_static_selectorELNS0_4arch9wavefront6targetE1EEEvS17_.has_recursion, 0
	.set _ZN7rocprim17ROCPRIM_400000_NS6detail17trampoline_kernelINS0_14default_configENS1_22reduce_config_selectorIN6thrust23THRUST_200600_302600_NS5tupleIblNS6_9null_typeES8_S8_S8_S8_S8_S8_S8_EEEEZNS1_11reduce_implILb1ES3_NS6_12zip_iteratorINS7_INS6_11hip_rocprim26transform_input_iterator_tIbPiNS6_6detail10functional5actorINSH_9compositeIJNSH_27transparent_binary_operatorINS6_8equal_toIvEEEENSI_INSH_8argumentILj0EEEEENSH_5valueIiEEEEEEEEENSD_19counting_iterator_tIlEES8_S8_S8_S8_S8_S8_S8_S8_EEEEPS9_S9_NSD_9__find_if7functorIS9_EEEE10hipError_tPvRmT1_T2_T3_mT4_P12ihipStream_tbEUlT_E1_NS1_11comp_targetILNS1_3genE2ELNS1_11target_archE906ELNS1_3gpuE6ELNS1_3repE0EEENS1_30default_config_static_selectorELNS0_4arch9wavefront6targetE1EEEvS17_.has_indirect_call, 0
	.section	.AMDGPU.csdata,"",@progbits
; Kernel info:
; codeLenInByte = 12844
; TotalNumSgprs: 43
; NumVgprs: 26
; ScratchSize: 0
; MemoryBound: 0
; FloatMode: 240
; IeeeMode: 1
; LDSByteSize: 160 bytes/workgroup (compile time only)
; SGPRBlocks: 5
; VGPRBlocks: 6
; NumSGPRsForWavesPerEU: 43
; NumVGPRsForWavesPerEU: 26
; Occupancy: 9
; WaveLimiterHint : 1
; COMPUTE_PGM_RSRC2:SCRATCH_EN: 0
; COMPUTE_PGM_RSRC2:USER_SGPR: 6
; COMPUTE_PGM_RSRC2:TRAP_HANDLER: 0
; COMPUTE_PGM_RSRC2:TGID_X_EN: 1
; COMPUTE_PGM_RSRC2:TGID_Y_EN: 0
; COMPUTE_PGM_RSRC2:TGID_Z_EN: 0
; COMPUTE_PGM_RSRC2:TIDIG_COMP_CNT: 0
	.section	.text._ZN7rocprim17ROCPRIM_400000_NS6detail17trampoline_kernelINS0_14default_configENS1_22reduce_config_selectorIN6thrust23THRUST_200600_302600_NS5tupleIblNS6_9null_typeES8_S8_S8_S8_S8_S8_S8_EEEEZNS1_11reduce_implILb1ES3_NS6_12zip_iteratorINS7_INS6_11hip_rocprim26transform_input_iterator_tIbPiNS6_6detail10functional5actorINSH_9compositeIJNSH_27transparent_binary_operatorINS6_8equal_toIvEEEENSI_INSH_8argumentILj0EEEEENSH_5valueIiEEEEEEEEENSD_19counting_iterator_tIlEES8_S8_S8_S8_S8_S8_S8_S8_EEEEPS9_S9_NSD_9__find_if7functorIS9_EEEE10hipError_tPvRmT1_T2_T3_mT4_P12ihipStream_tbEUlT_E1_NS1_11comp_targetILNS1_3genE10ELNS1_11target_archE1201ELNS1_3gpuE5ELNS1_3repE0EEENS1_30default_config_static_selectorELNS0_4arch9wavefront6targetE1EEEvS17_,"axG",@progbits,_ZN7rocprim17ROCPRIM_400000_NS6detail17trampoline_kernelINS0_14default_configENS1_22reduce_config_selectorIN6thrust23THRUST_200600_302600_NS5tupleIblNS6_9null_typeES8_S8_S8_S8_S8_S8_S8_EEEEZNS1_11reduce_implILb1ES3_NS6_12zip_iteratorINS7_INS6_11hip_rocprim26transform_input_iterator_tIbPiNS6_6detail10functional5actorINSH_9compositeIJNSH_27transparent_binary_operatorINS6_8equal_toIvEEEENSI_INSH_8argumentILj0EEEEENSH_5valueIiEEEEEEEEENSD_19counting_iterator_tIlEES8_S8_S8_S8_S8_S8_S8_S8_EEEEPS9_S9_NSD_9__find_if7functorIS9_EEEE10hipError_tPvRmT1_T2_T3_mT4_P12ihipStream_tbEUlT_E1_NS1_11comp_targetILNS1_3genE10ELNS1_11target_archE1201ELNS1_3gpuE5ELNS1_3repE0EEENS1_30default_config_static_selectorELNS0_4arch9wavefront6targetE1EEEvS17_,comdat
	.protected	_ZN7rocprim17ROCPRIM_400000_NS6detail17trampoline_kernelINS0_14default_configENS1_22reduce_config_selectorIN6thrust23THRUST_200600_302600_NS5tupleIblNS6_9null_typeES8_S8_S8_S8_S8_S8_S8_EEEEZNS1_11reduce_implILb1ES3_NS6_12zip_iteratorINS7_INS6_11hip_rocprim26transform_input_iterator_tIbPiNS6_6detail10functional5actorINSH_9compositeIJNSH_27transparent_binary_operatorINS6_8equal_toIvEEEENSI_INSH_8argumentILj0EEEEENSH_5valueIiEEEEEEEEENSD_19counting_iterator_tIlEES8_S8_S8_S8_S8_S8_S8_S8_EEEEPS9_S9_NSD_9__find_if7functorIS9_EEEE10hipError_tPvRmT1_T2_T3_mT4_P12ihipStream_tbEUlT_E1_NS1_11comp_targetILNS1_3genE10ELNS1_11target_archE1201ELNS1_3gpuE5ELNS1_3repE0EEENS1_30default_config_static_selectorELNS0_4arch9wavefront6targetE1EEEvS17_ ; -- Begin function _ZN7rocprim17ROCPRIM_400000_NS6detail17trampoline_kernelINS0_14default_configENS1_22reduce_config_selectorIN6thrust23THRUST_200600_302600_NS5tupleIblNS6_9null_typeES8_S8_S8_S8_S8_S8_S8_EEEEZNS1_11reduce_implILb1ES3_NS6_12zip_iteratorINS7_INS6_11hip_rocprim26transform_input_iterator_tIbPiNS6_6detail10functional5actorINSH_9compositeIJNSH_27transparent_binary_operatorINS6_8equal_toIvEEEENSI_INSH_8argumentILj0EEEEENSH_5valueIiEEEEEEEEENSD_19counting_iterator_tIlEES8_S8_S8_S8_S8_S8_S8_S8_EEEEPS9_S9_NSD_9__find_if7functorIS9_EEEE10hipError_tPvRmT1_T2_T3_mT4_P12ihipStream_tbEUlT_E1_NS1_11comp_targetILNS1_3genE10ELNS1_11target_archE1201ELNS1_3gpuE5ELNS1_3repE0EEENS1_30default_config_static_selectorELNS0_4arch9wavefront6targetE1EEEvS17_
	.globl	_ZN7rocprim17ROCPRIM_400000_NS6detail17trampoline_kernelINS0_14default_configENS1_22reduce_config_selectorIN6thrust23THRUST_200600_302600_NS5tupleIblNS6_9null_typeES8_S8_S8_S8_S8_S8_S8_EEEEZNS1_11reduce_implILb1ES3_NS6_12zip_iteratorINS7_INS6_11hip_rocprim26transform_input_iterator_tIbPiNS6_6detail10functional5actorINSH_9compositeIJNSH_27transparent_binary_operatorINS6_8equal_toIvEEEENSI_INSH_8argumentILj0EEEEENSH_5valueIiEEEEEEEEENSD_19counting_iterator_tIlEES8_S8_S8_S8_S8_S8_S8_S8_EEEEPS9_S9_NSD_9__find_if7functorIS9_EEEE10hipError_tPvRmT1_T2_T3_mT4_P12ihipStream_tbEUlT_E1_NS1_11comp_targetILNS1_3genE10ELNS1_11target_archE1201ELNS1_3gpuE5ELNS1_3repE0EEENS1_30default_config_static_selectorELNS0_4arch9wavefront6targetE1EEEvS17_
	.p2align	8
	.type	_ZN7rocprim17ROCPRIM_400000_NS6detail17trampoline_kernelINS0_14default_configENS1_22reduce_config_selectorIN6thrust23THRUST_200600_302600_NS5tupleIblNS6_9null_typeES8_S8_S8_S8_S8_S8_S8_EEEEZNS1_11reduce_implILb1ES3_NS6_12zip_iteratorINS7_INS6_11hip_rocprim26transform_input_iterator_tIbPiNS6_6detail10functional5actorINSH_9compositeIJNSH_27transparent_binary_operatorINS6_8equal_toIvEEEENSI_INSH_8argumentILj0EEEEENSH_5valueIiEEEEEEEEENSD_19counting_iterator_tIlEES8_S8_S8_S8_S8_S8_S8_S8_EEEEPS9_S9_NSD_9__find_if7functorIS9_EEEE10hipError_tPvRmT1_T2_T3_mT4_P12ihipStream_tbEUlT_E1_NS1_11comp_targetILNS1_3genE10ELNS1_11target_archE1201ELNS1_3gpuE5ELNS1_3repE0EEENS1_30default_config_static_selectorELNS0_4arch9wavefront6targetE1EEEvS17_,@function
_ZN7rocprim17ROCPRIM_400000_NS6detail17trampoline_kernelINS0_14default_configENS1_22reduce_config_selectorIN6thrust23THRUST_200600_302600_NS5tupleIblNS6_9null_typeES8_S8_S8_S8_S8_S8_S8_EEEEZNS1_11reduce_implILb1ES3_NS6_12zip_iteratorINS7_INS6_11hip_rocprim26transform_input_iterator_tIbPiNS6_6detail10functional5actorINSH_9compositeIJNSH_27transparent_binary_operatorINS6_8equal_toIvEEEENSI_INSH_8argumentILj0EEEEENSH_5valueIiEEEEEEEEENSD_19counting_iterator_tIlEES8_S8_S8_S8_S8_S8_S8_S8_EEEEPS9_S9_NSD_9__find_if7functorIS9_EEEE10hipError_tPvRmT1_T2_T3_mT4_P12ihipStream_tbEUlT_E1_NS1_11comp_targetILNS1_3genE10ELNS1_11target_archE1201ELNS1_3gpuE5ELNS1_3repE0EEENS1_30default_config_static_selectorELNS0_4arch9wavefront6targetE1EEEvS17_: ; @_ZN7rocprim17ROCPRIM_400000_NS6detail17trampoline_kernelINS0_14default_configENS1_22reduce_config_selectorIN6thrust23THRUST_200600_302600_NS5tupleIblNS6_9null_typeES8_S8_S8_S8_S8_S8_S8_EEEEZNS1_11reduce_implILb1ES3_NS6_12zip_iteratorINS7_INS6_11hip_rocprim26transform_input_iterator_tIbPiNS6_6detail10functional5actorINSH_9compositeIJNSH_27transparent_binary_operatorINS6_8equal_toIvEEEENSI_INSH_8argumentILj0EEEEENSH_5valueIiEEEEEEEEENSD_19counting_iterator_tIlEES8_S8_S8_S8_S8_S8_S8_S8_EEEEPS9_S9_NSD_9__find_if7functorIS9_EEEE10hipError_tPvRmT1_T2_T3_mT4_P12ihipStream_tbEUlT_E1_NS1_11comp_targetILNS1_3genE10ELNS1_11target_archE1201ELNS1_3gpuE5ELNS1_3repE0EEENS1_30default_config_static_selectorELNS0_4arch9wavefront6targetE1EEEvS17_
; %bb.0:
	.section	.rodata,"a",@progbits
	.p2align	6, 0x0
	.amdhsa_kernel _ZN7rocprim17ROCPRIM_400000_NS6detail17trampoline_kernelINS0_14default_configENS1_22reduce_config_selectorIN6thrust23THRUST_200600_302600_NS5tupleIblNS6_9null_typeES8_S8_S8_S8_S8_S8_S8_EEEEZNS1_11reduce_implILb1ES3_NS6_12zip_iteratorINS7_INS6_11hip_rocprim26transform_input_iterator_tIbPiNS6_6detail10functional5actorINSH_9compositeIJNSH_27transparent_binary_operatorINS6_8equal_toIvEEEENSI_INSH_8argumentILj0EEEEENSH_5valueIiEEEEEEEEENSD_19counting_iterator_tIlEES8_S8_S8_S8_S8_S8_S8_S8_EEEEPS9_S9_NSD_9__find_if7functorIS9_EEEE10hipError_tPvRmT1_T2_T3_mT4_P12ihipStream_tbEUlT_E1_NS1_11comp_targetILNS1_3genE10ELNS1_11target_archE1201ELNS1_3gpuE5ELNS1_3repE0EEENS1_30default_config_static_selectorELNS0_4arch9wavefront6targetE1EEEvS17_
		.amdhsa_group_segment_fixed_size 0
		.amdhsa_private_segment_fixed_size 0
		.amdhsa_kernarg_size 72
		.amdhsa_user_sgpr_count 6
		.amdhsa_user_sgpr_private_segment_buffer 1
		.amdhsa_user_sgpr_dispatch_ptr 0
		.amdhsa_user_sgpr_queue_ptr 0
		.amdhsa_user_sgpr_kernarg_segment_ptr 1
		.amdhsa_user_sgpr_dispatch_id 0
		.amdhsa_user_sgpr_flat_scratch_init 0
		.amdhsa_user_sgpr_private_segment_size 0
		.amdhsa_uses_dynamic_stack 0
		.amdhsa_system_sgpr_private_segment_wavefront_offset 0
		.amdhsa_system_sgpr_workgroup_id_x 1
		.amdhsa_system_sgpr_workgroup_id_y 0
		.amdhsa_system_sgpr_workgroup_id_z 0
		.amdhsa_system_sgpr_workgroup_info 0
		.amdhsa_system_vgpr_workitem_id 0
		.amdhsa_next_free_vgpr 1
		.amdhsa_next_free_sgpr 0
		.amdhsa_reserve_vcc 0
		.amdhsa_reserve_flat_scratch 0
		.amdhsa_float_round_mode_32 0
		.amdhsa_float_round_mode_16_64 0
		.amdhsa_float_denorm_mode_32 3
		.amdhsa_float_denorm_mode_16_64 3
		.amdhsa_dx10_clamp 1
		.amdhsa_ieee_mode 1
		.amdhsa_fp16_overflow 0
		.amdhsa_exception_fp_ieee_invalid_op 0
		.amdhsa_exception_fp_denorm_src 0
		.amdhsa_exception_fp_ieee_div_zero 0
		.amdhsa_exception_fp_ieee_overflow 0
		.amdhsa_exception_fp_ieee_underflow 0
		.amdhsa_exception_fp_ieee_inexact 0
		.amdhsa_exception_int_div_zero 0
	.end_amdhsa_kernel
	.section	.text._ZN7rocprim17ROCPRIM_400000_NS6detail17trampoline_kernelINS0_14default_configENS1_22reduce_config_selectorIN6thrust23THRUST_200600_302600_NS5tupleIblNS6_9null_typeES8_S8_S8_S8_S8_S8_S8_EEEEZNS1_11reduce_implILb1ES3_NS6_12zip_iteratorINS7_INS6_11hip_rocprim26transform_input_iterator_tIbPiNS6_6detail10functional5actorINSH_9compositeIJNSH_27transparent_binary_operatorINS6_8equal_toIvEEEENSI_INSH_8argumentILj0EEEEENSH_5valueIiEEEEEEEEENSD_19counting_iterator_tIlEES8_S8_S8_S8_S8_S8_S8_S8_EEEEPS9_S9_NSD_9__find_if7functorIS9_EEEE10hipError_tPvRmT1_T2_T3_mT4_P12ihipStream_tbEUlT_E1_NS1_11comp_targetILNS1_3genE10ELNS1_11target_archE1201ELNS1_3gpuE5ELNS1_3repE0EEENS1_30default_config_static_selectorELNS0_4arch9wavefront6targetE1EEEvS17_,"axG",@progbits,_ZN7rocprim17ROCPRIM_400000_NS6detail17trampoline_kernelINS0_14default_configENS1_22reduce_config_selectorIN6thrust23THRUST_200600_302600_NS5tupleIblNS6_9null_typeES8_S8_S8_S8_S8_S8_S8_EEEEZNS1_11reduce_implILb1ES3_NS6_12zip_iteratorINS7_INS6_11hip_rocprim26transform_input_iterator_tIbPiNS6_6detail10functional5actorINSH_9compositeIJNSH_27transparent_binary_operatorINS6_8equal_toIvEEEENSI_INSH_8argumentILj0EEEEENSH_5valueIiEEEEEEEEENSD_19counting_iterator_tIlEES8_S8_S8_S8_S8_S8_S8_S8_EEEEPS9_S9_NSD_9__find_if7functorIS9_EEEE10hipError_tPvRmT1_T2_T3_mT4_P12ihipStream_tbEUlT_E1_NS1_11comp_targetILNS1_3genE10ELNS1_11target_archE1201ELNS1_3gpuE5ELNS1_3repE0EEENS1_30default_config_static_selectorELNS0_4arch9wavefront6targetE1EEEvS17_,comdat
.Lfunc_end988:
	.size	_ZN7rocprim17ROCPRIM_400000_NS6detail17trampoline_kernelINS0_14default_configENS1_22reduce_config_selectorIN6thrust23THRUST_200600_302600_NS5tupleIblNS6_9null_typeES8_S8_S8_S8_S8_S8_S8_EEEEZNS1_11reduce_implILb1ES3_NS6_12zip_iteratorINS7_INS6_11hip_rocprim26transform_input_iterator_tIbPiNS6_6detail10functional5actorINSH_9compositeIJNSH_27transparent_binary_operatorINS6_8equal_toIvEEEENSI_INSH_8argumentILj0EEEEENSH_5valueIiEEEEEEEEENSD_19counting_iterator_tIlEES8_S8_S8_S8_S8_S8_S8_S8_EEEEPS9_S9_NSD_9__find_if7functorIS9_EEEE10hipError_tPvRmT1_T2_T3_mT4_P12ihipStream_tbEUlT_E1_NS1_11comp_targetILNS1_3genE10ELNS1_11target_archE1201ELNS1_3gpuE5ELNS1_3repE0EEENS1_30default_config_static_selectorELNS0_4arch9wavefront6targetE1EEEvS17_, .Lfunc_end988-_ZN7rocprim17ROCPRIM_400000_NS6detail17trampoline_kernelINS0_14default_configENS1_22reduce_config_selectorIN6thrust23THRUST_200600_302600_NS5tupleIblNS6_9null_typeES8_S8_S8_S8_S8_S8_S8_EEEEZNS1_11reduce_implILb1ES3_NS6_12zip_iteratorINS7_INS6_11hip_rocprim26transform_input_iterator_tIbPiNS6_6detail10functional5actorINSH_9compositeIJNSH_27transparent_binary_operatorINS6_8equal_toIvEEEENSI_INSH_8argumentILj0EEEEENSH_5valueIiEEEEEEEEENSD_19counting_iterator_tIlEES8_S8_S8_S8_S8_S8_S8_S8_EEEEPS9_S9_NSD_9__find_if7functorIS9_EEEE10hipError_tPvRmT1_T2_T3_mT4_P12ihipStream_tbEUlT_E1_NS1_11comp_targetILNS1_3genE10ELNS1_11target_archE1201ELNS1_3gpuE5ELNS1_3repE0EEENS1_30default_config_static_selectorELNS0_4arch9wavefront6targetE1EEEvS17_
                                        ; -- End function
	.set _ZN7rocprim17ROCPRIM_400000_NS6detail17trampoline_kernelINS0_14default_configENS1_22reduce_config_selectorIN6thrust23THRUST_200600_302600_NS5tupleIblNS6_9null_typeES8_S8_S8_S8_S8_S8_S8_EEEEZNS1_11reduce_implILb1ES3_NS6_12zip_iteratorINS7_INS6_11hip_rocprim26transform_input_iterator_tIbPiNS6_6detail10functional5actorINSH_9compositeIJNSH_27transparent_binary_operatorINS6_8equal_toIvEEEENSI_INSH_8argumentILj0EEEEENSH_5valueIiEEEEEEEEENSD_19counting_iterator_tIlEES8_S8_S8_S8_S8_S8_S8_S8_EEEEPS9_S9_NSD_9__find_if7functorIS9_EEEE10hipError_tPvRmT1_T2_T3_mT4_P12ihipStream_tbEUlT_E1_NS1_11comp_targetILNS1_3genE10ELNS1_11target_archE1201ELNS1_3gpuE5ELNS1_3repE0EEENS1_30default_config_static_selectorELNS0_4arch9wavefront6targetE1EEEvS17_.num_vgpr, 0
	.set _ZN7rocprim17ROCPRIM_400000_NS6detail17trampoline_kernelINS0_14default_configENS1_22reduce_config_selectorIN6thrust23THRUST_200600_302600_NS5tupleIblNS6_9null_typeES8_S8_S8_S8_S8_S8_S8_EEEEZNS1_11reduce_implILb1ES3_NS6_12zip_iteratorINS7_INS6_11hip_rocprim26transform_input_iterator_tIbPiNS6_6detail10functional5actorINSH_9compositeIJNSH_27transparent_binary_operatorINS6_8equal_toIvEEEENSI_INSH_8argumentILj0EEEEENSH_5valueIiEEEEEEEEENSD_19counting_iterator_tIlEES8_S8_S8_S8_S8_S8_S8_S8_EEEEPS9_S9_NSD_9__find_if7functorIS9_EEEE10hipError_tPvRmT1_T2_T3_mT4_P12ihipStream_tbEUlT_E1_NS1_11comp_targetILNS1_3genE10ELNS1_11target_archE1201ELNS1_3gpuE5ELNS1_3repE0EEENS1_30default_config_static_selectorELNS0_4arch9wavefront6targetE1EEEvS17_.num_agpr, 0
	.set _ZN7rocprim17ROCPRIM_400000_NS6detail17trampoline_kernelINS0_14default_configENS1_22reduce_config_selectorIN6thrust23THRUST_200600_302600_NS5tupleIblNS6_9null_typeES8_S8_S8_S8_S8_S8_S8_EEEEZNS1_11reduce_implILb1ES3_NS6_12zip_iteratorINS7_INS6_11hip_rocprim26transform_input_iterator_tIbPiNS6_6detail10functional5actorINSH_9compositeIJNSH_27transparent_binary_operatorINS6_8equal_toIvEEEENSI_INSH_8argumentILj0EEEEENSH_5valueIiEEEEEEEEENSD_19counting_iterator_tIlEES8_S8_S8_S8_S8_S8_S8_S8_EEEEPS9_S9_NSD_9__find_if7functorIS9_EEEE10hipError_tPvRmT1_T2_T3_mT4_P12ihipStream_tbEUlT_E1_NS1_11comp_targetILNS1_3genE10ELNS1_11target_archE1201ELNS1_3gpuE5ELNS1_3repE0EEENS1_30default_config_static_selectorELNS0_4arch9wavefront6targetE1EEEvS17_.numbered_sgpr, 0
	.set _ZN7rocprim17ROCPRIM_400000_NS6detail17trampoline_kernelINS0_14default_configENS1_22reduce_config_selectorIN6thrust23THRUST_200600_302600_NS5tupleIblNS6_9null_typeES8_S8_S8_S8_S8_S8_S8_EEEEZNS1_11reduce_implILb1ES3_NS6_12zip_iteratorINS7_INS6_11hip_rocprim26transform_input_iterator_tIbPiNS6_6detail10functional5actorINSH_9compositeIJNSH_27transparent_binary_operatorINS6_8equal_toIvEEEENSI_INSH_8argumentILj0EEEEENSH_5valueIiEEEEEEEEENSD_19counting_iterator_tIlEES8_S8_S8_S8_S8_S8_S8_S8_EEEEPS9_S9_NSD_9__find_if7functorIS9_EEEE10hipError_tPvRmT1_T2_T3_mT4_P12ihipStream_tbEUlT_E1_NS1_11comp_targetILNS1_3genE10ELNS1_11target_archE1201ELNS1_3gpuE5ELNS1_3repE0EEENS1_30default_config_static_selectorELNS0_4arch9wavefront6targetE1EEEvS17_.num_named_barrier, 0
	.set _ZN7rocprim17ROCPRIM_400000_NS6detail17trampoline_kernelINS0_14default_configENS1_22reduce_config_selectorIN6thrust23THRUST_200600_302600_NS5tupleIblNS6_9null_typeES8_S8_S8_S8_S8_S8_S8_EEEEZNS1_11reduce_implILb1ES3_NS6_12zip_iteratorINS7_INS6_11hip_rocprim26transform_input_iterator_tIbPiNS6_6detail10functional5actorINSH_9compositeIJNSH_27transparent_binary_operatorINS6_8equal_toIvEEEENSI_INSH_8argumentILj0EEEEENSH_5valueIiEEEEEEEEENSD_19counting_iterator_tIlEES8_S8_S8_S8_S8_S8_S8_S8_EEEEPS9_S9_NSD_9__find_if7functorIS9_EEEE10hipError_tPvRmT1_T2_T3_mT4_P12ihipStream_tbEUlT_E1_NS1_11comp_targetILNS1_3genE10ELNS1_11target_archE1201ELNS1_3gpuE5ELNS1_3repE0EEENS1_30default_config_static_selectorELNS0_4arch9wavefront6targetE1EEEvS17_.private_seg_size, 0
	.set _ZN7rocprim17ROCPRIM_400000_NS6detail17trampoline_kernelINS0_14default_configENS1_22reduce_config_selectorIN6thrust23THRUST_200600_302600_NS5tupleIblNS6_9null_typeES8_S8_S8_S8_S8_S8_S8_EEEEZNS1_11reduce_implILb1ES3_NS6_12zip_iteratorINS7_INS6_11hip_rocprim26transform_input_iterator_tIbPiNS6_6detail10functional5actorINSH_9compositeIJNSH_27transparent_binary_operatorINS6_8equal_toIvEEEENSI_INSH_8argumentILj0EEEEENSH_5valueIiEEEEEEEEENSD_19counting_iterator_tIlEES8_S8_S8_S8_S8_S8_S8_S8_EEEEPS9_S9_NSD_9__find_if7functorIS9_EEEE10hipError_tPvRmT1_T2_T3_mT4_P12ihipStream_tbEUlT_E1_NS1_11comp_targetILNS1_3genE10ELNS1_11target_archE1201ELNS1_3gpuE5ELNS1_3repE0EEENS1_30default_config_static_selectorELNS0_4arch9wavefront6targetE1EEEvS17_.uses_vcc, 0
	.set _ZN7rocprim17ROCPRIM_400000_NS6detail17trampoline_kernelINS0_14default_configENS1_22reduce_config_selectorIN6thrust23THRUST_200600_302600_NS5tupleIblNS6_9null_typeES8_S8_S8_S8_S8_S8_S8_EEEEZNS1_11reduce_implILb1ES3_NS6_12zip_iteratorINS7_INS6_11hip_rocprim26transform_input_iterator_tIbPiNS6_6detail10functional5actorINSH_9compositeIJNSH_27transparent_binary_operatorINS6_8equal_toIvEEEENSI_INSH_8argumentILj0EEEEENSH_5valueIiEEEEEEEEENSD_19counting_iterator_tIlEES8_S8_S8_S8_S8_S8_S8_S8_EEEEPS9_S9_NSD_9__find_if7functorIS9_EEEE10hipError_tPvRmT1_T2_T3_mT4_P12ihipStream_tbEUlT_E1_NS1_11comp_targetILNS1_3genE10ELNS1_11target_archE1201ELNS1_3gpuE5ELNS1_3repE0EEENS1_30default_config_static_selectorELNS0_4arch9wavefront6targetE1EEEvS17_.uses_flat_scratch, 0
	.set _ZN7rocprim17ROCPRIM_400000_NS6detail17trampoline_kernelINS0_14default_configENS1_22reduce_config_selectorIN6thrust23THRUST_200600_302600_NS5tupleIblNS6_9null_typeES8_S8_S8_S8_S8_S8_S8_EEEEZNS1_11reduce_implILb1ES3_NS6_12zip_iteratorINS7_INS6_11hip_rocprim26transform_input_iterator_tIbPiNS6_6detail10functional5actorINSH_9compositeIJNSH_27transparent_binary_operatorINS6_8equal_toIvEEEENSI_INSH_8argumentILj0EEEEENSH_5valueIiEEEEEEEEENSD_19counting_iterator_tIlEES8_S8_S8_S8_S8_S8_S8_S8_EEEEPS9_S9_NSD_9__find_if7functorIS9_EEEE10hipError_tPvRmT1_T2_T3_mT4_P12ihipStream_tbEUlT_E1_NS1_11comp_targetILNS1_3genE10ELNS1_11target_archE1201ELNS1_3gpuE5ELNS1_3repE0EEENS1_30default_config_static_selectorELNS0_4arch9wavefront6targetE1EEEvS17_.has_dyn_sized_stack, 0
	.set _ZN7rocprim17ROCPRIM_400000_NS6detail17trampoline_kernelINS0_14default_configENS1_22reduce_config_selectorIN6thrust23THRUST_200600_302600_NS5tupleIblNS6_9null_typeES8_S8_S8_S8_S8_S8_S8_EEEEZNS1_11reduce_implILb1ES3_NS6_12zip_iteratorINS7_INS6_11hip_rocprim26transform_input_iterator_tIbPiNS6_6detail10functional5actorINSH_9compositeIJNSH_27transparent_binary_operatorINS6_8equal_toIvEEEENSI_INSH_8argumentILj0EEEEENSH_5valueIiEEEEEEEEENSD_19counting_iterator_tIlEES8_S8_S8_S8_S8_S8_S8_S8_EEEEPS9_S9_NSD_9__find_if7functorIS9_EEEE10hipError_tPvRmT1_T2_T3_mT4_P12ihipStream_tbEUlT_E1_NS1_11comp_targetILNS1_3genE10ELNS1_11target_archE1201ELNS1_3gpuE5ELNS1_3repE0EEENS1_30default_config_static_selectorELNS0_4arch9wavefront6targetE1EEEvS17_.has_recursion, 0
	.set _ZN7rocprim17ROCPRIM_400000_NS6detail17trampoline_kernelINS0_14default_configENS1_22reduce_config_selectorIN6thrust23THRUST_200600_302600_NS5tupleIblNS6_9null_typeES8_S8_S8_S8_S8_S8_S8_EEEEZNS1_11reduce_implILb1ES3_NS6_12zip_iteratorINS7_INS6_11hip_rocprim26transform_input_iterator_tIbPiNS6_6detail10functional5actorINSH_9compositeIJNSH_27transparent_binary_operatorINS6_8equal_toIvEEEENSI_INSH_8argumentILj0EEEEENSH_5valueIiEEEEEEEEENSD_19counting_iterator_tIlEES8_S8_S8_S8_S8_S8_S8_S8_EEEEPS9_S9_NSD_9__find_if7functorIS9_EEEE10hipError_tPvRmT1_T2_T3_mT4_P12ihipStream_tbEUlT_E1_NS1_11comp_targetILNS1_3genE10ELNS1_11target_archE1201ELNS1_3gpuE5ELNS1_3repE0EEENS1_30default_config_static_selectorELNS0_4arch9wavefront6targetE1EEEvS17_.has_indirect_call, 0
	.section	.AMDGPU.csdata,"",@progbits
; Kernel info:
; codeLenInByte = 0
; TotalNumSgprs: 4
; NumVgprs: 0
; ScratchSize: 0
; MemoryBound: 0
; FloatMode: 240
; IeeeMode: 1
; LDSByteSize: 0 bytes/workgroup (compile time only)
; SGPRBlocks: 0
; VGPRBlocks: 0
; NumSGPRsForWavesPerEU: 4
; NumVGPRsForWavesPerEU: 1
; Occupancy: 10
; WaveLimiterHint : 0
; COMPUTE_PGM_RSRC2:SCRATCH_EN: 0
; COMPUTE_PGM_RSRC2:USER_SGPR: 6
; COMPUTE_PGM_RSRC2:TRAP_HANDLER: 0
; COMPUTE_PGM_RSRC2:TGID_X_EN: 1
; COMPUTE_PGM_RSRC2:TGID_Y_EN: 0
; COMPUTE_PGM_RSRC2:TGID_Z_EN: 0
; COMPUTE_PGM_RSRC2:TIDIG_COMP_CNT: 0
	.section	.text._ZN7rocprim17ROCPRIM_400000_NS6detail17trampoline_kernelINS0_14default_configENS1_22reduce_config_selectorIN6thrust23THRUST_200600_302600_NS5tupleIblNS6_9null_typeES8_S8_S8_S8_S8_S8_S8_EEEEZNS1_11reduce_implILb1ES3_NS6_12zip_iteratorINS7_INS6_11hip_rocprim26transform_input_iterator_tIbPiNS6_6detail10functional5actorINSH_9compositeIJNSH_27transparent_binary_operatorINS6_8equal_toIvEEEENSI_INSH_8argumentILj0EEEEENSH_5valueIiEEEEEEEEENSD_19counting_iterator_tIlEES8_S8_S8_S8_S8_S8_S8_S8_EEEEPS9_S9_NSD_9__find_if7functorIS9_EEEE10hipError_tPvRmT1_T2_T3_mT4_P12ihipStream_tbEUlT_E1_NS1_11comp_targetILNS1_3genE10ELNS1_11target_archE1200ELNS1_3gpuE4ELNS1_3repE0EEENS1_30default_config_static_selectorELNS0_4arch9wavefront6targetE1EEEvS17_,"axG",@progbits,_ZN7rocprim17ROCPRIM_400000_NS6detail17trampoline_kernelINS0_14default_configENS1_22reduce_config_selectorIN6thrust23THRUST_200600_302600_NS5tupleIblNS6_9null_typeES8_S8_S8_S8_S8_S8_S8_EEEEZNS1_11reduce_implILb1ES3_NS6_12zip_iteratorINS7_INS6_11hip_rocprim26transform_input_iterator_tIbPiNS6_6detail10functional5actorINSH_9compositeIJNSH_27transparent_binary_operatorINS6_8equal_toIvEEEENSI_INSH_8argumentILj0EEEEENSH_5valueIiEEEEEEEEENSD_19counting_iterator_tIlEES8_S8_S8_S8_S8_S8_S8_S8_EEEEPS9_S9_NSD_9__find_if7functorIS9_EEEE10hipError_tPvRmT1_T2_T3_mT4_P12ihipStream_tbEUlT_E1_NS1_11comp_targetILNS1_3genE10ELNS1_11target_archE1200ELNS1_3gpuE4ELNS1_3repE0EEENS1_30default_config_static_selectorELNS0_4arch9wavefront6targetE1EEEvS17_,comdat
	.protected	_ZN7rocprim17ROCPRIM_400000_NS6detail17trampoline_kernelINS0_14default_configENS1_22reduce_config_selectorIN6thrust23THRUST_200600_302600_NS5tupleIblNS6_9null_typeES8_S8_S8_S8_S8_S8_S8_EEEEZNS1_11reduce_implILb1ES3_NS6_12zip_iteratorINS7_INS6_11hip_rocprim26transform_input_iterator_tIbPiNS6_6detail10functional5actorINSH_9compositeIJNSH_27transparent_binary_operatorINS6_8equal_toIvEEEENSI_INSH_8argumentILj0EEEEENSH_5valueIiEEEEEEEEENSD_19counting_iterator_tIlEES8_S8_S8_S8_S8_S8_S8_S8_EEEEPS9_S9_NSD_9__find_if7functorIS9_EEEE10hipError_tPvRmT1_T2_T3_mT4_P12ihipStream_tbEUlT_E1_NS1_11comp_targetILNS1_3genE10ELNS1_11target_archE1200ELNS1_3gpuE4ELNS1_3repE0EEENS1_30default_config_static_selectorELNS0_4arch9wavefront6targetE1EEEvS17_ ; -- Begin function _ZN7rocprim17ROCPRIM_400000_NS6detail17trampoline_kernelINS0_14default_configENS1_22reduce_config_selectorIN6thrust23THRUST_200600_302600_NS5tupleIblNS6_9null_typeES8_S8_S8_S8_S8_S8_S8_EEEEZNS1_11reduce_implILb1ES3_NS6_12zip_iteratorINS7_INS6_11hip_rocprim26transform_input_iterator_tIbPiNS6_6detail10functional5actorINSH_9compositeIJNSH_27transparent_binary_operatorINS6_8equal_toIvEEEENSI_INSH_8argumentILj0EEEEENSH_5valueIiEEEEEEEEENSD_19counting_iterator_tIlEES8_S8_S8_S8_S8_S8_S8_S8_EEEEPS9_S9_NSD_9__find_if7functorIS9_EEEE10hipError_tPvRmT1_T2_T3_mT4_P12ihipStream_tbEUlT_E1_NS1_11comp_targetILNS1_3genE10ELNS1_11target_archE1200ELNS1_3gpuE4ELNS1_3repE0EEENS1_30default_config_static_selectorELNS0_4arch9wavefront6targetE1EEEvS17_
	.globl	_ZN7rocprim17ROCPRIM_400000_NS6detail17trampoline_kernelINS0_14default_configENS1_22reduce_config_selectorIN6thrust23THRUST_200600_302600_NS5tupleIblNS6_9null_typeES8_S8_S8_S8_S8_S8_S8_EEEEZNS1_11reduce_implILb1ES3_NS6_12zip_iteratorINS7_INS6_11hip_rocprim26transform_input_iterator_tIbPiNS6_6detail10functional5actorINSH_9compositeIJNSH_27transparent_binary_operatorINS6_8equal_toIvEEEENSI_INSH_8argumentILj0EEEEENSH_5valueIiEEEEEEEEENSD_19counting_iterator_tIlEES8_S8_S8_S8_S8_S8_S8_S8_EEEEPS9_S9_NSD_9__find_if7functorIS9_EEEE10hipError_tPvRmT1_T2_T3_mT4_P12ihipStream_tbEUlT_E1_NS1_11comp_targetILNS1_3genE10ELNS1_11target_archE1200ELNS1_3gpuE4ELNS1_3repE0EEENS1_30default_config_static_selectorELNS0_4arch9wavefront6targetE1EEEvS17_
	.p2align	8
	.type	_ZN7rocprim17ROCPRIM_400000_NS6detail17trampoline_kernelINS0_14default_configENS1_22reduce_config_selectorIN6thrust23THRUST_200600_302600_NS5tupleIblNS6_9null_typeES8_S8_S8_S8_S8_S8_S8_EEEEZNS1_11reduce_implILb1ES3_NS6_12zip_iteratorINS7_INS6_11hip_rocprim26transform_input_iterator_tIbPiNS6_6detail10functional5actorINSH_9compositeIJNSH_27transparent_binary_operatorINS6_8equal_toIvEEEENSI_INSH_8argumentILj0EEEEENSH_5valueIiEEEEEEEEENSD_19counting_iterator_tIlEES8_S8_S8_S8_S8_S8_S8_S8_EEEEPS9_S9_NSD_9__find_if7functorIS9_EEEE10hipError_tPvRmT1_T2_T3_mT4_P12ihipStream_tbEUlT_E1_NS1_11comp_targetILNS1_3genE10ELNS1_11target_archE1200ELNS1_3gpuE4ELNS1_3repE0EEENS1_30default_config_static_selectorELNS0_4arch9wavefront6targetE1EEEvS17_,@function
_ZN7rocprim17ROCPRIM_400000_NS6detail17trampoline_kernelINS0_14default_configENS1_22reduce_config_selectorIN6thrust23THRUST_200600_302600_NS5tupleIblNS6_9null_typeES8_S8_S8_S8_S8_S8_S8_EEEEZNS1_11reduce_implILb1ES3_NS6_12zip_iteratorINS7_INS6_11hip_rocprim26transform_input_iterator_tIbPiNS6_6detail10functional5actorINSH_9compositeIJNSH_27transparent_binary_operatorINS6_8equal_toIvEEEENSI_INSH_8argumentILj0EEEEENSH_5valueIiEEEEEEEEENSD_19counting_iterator_tIlEES8_S8_S8_S8_S8_S8_S8_S8_EEEEPS9_S9_NSD_9__find_if7functorIS9_EEEE10hipError_tPvRmT1_T2_T3_mT4_P12ihipStream_tbEUlT_E1_NS1_11comp_targetILNS1_3genE10ELNS1_11target_archE1200ELNS1_3gpuE4ELNS1_3repE0EEENS1_30default_config_static_selectorELNS0_4arch9wavefront6targetE1EEEvS17_: ; @_ZN7rocprim17ROCPRIM_400000_NS6detail17trampoline_kernelINS0_14default_configENS1_22reduce_config_selectorIN6thrust23THRUST_200600_302600_NS5tupleIblNS6_9null_typeES8_S8_S8_S8_S8_S8_S8_EEEEZNS1_11reduce_implILb1ES3_NS6_12zip_iteratorINS7_INS6_11hip_rocprim26transform_input_iterator_tIbPiNS6_6detail10functional5actorINSH_9compositeIJNSH_27transparent_binary_operatorINS6_8equal_toIvEEEENSI_INSH_8argumentILj0EEEEENSH_5valueIiEEEEEEEEENSD_19counting_iterator_tIlEES8_S8_S8_S8_S8_S8_S8_S8_EEEEPS9_S9_NSD_9__find_if7functorIS9_EEEE10hipError_tPvRmT1_T2_T3_mT4_P12ihipStream_tbEUlT_E1_NS1_11comp_targetILNS1_3genE10ELNS1_11target_archE1200ELNS1_3gpuE4ELNS1_3repE0EEENS1_30default_config_static_selectorELNS0_4arch9wavefront6targetE1EEEvS17_
; %bb.0:
	.section	.rodata,"a",@progbits
	.p2align	6, 0x0
	.amdhsa_kernel _ZN7rocprim17ROCPRIM_400000_NS6detail17trampoline_kernelINS0_14default_configENS1_22reduce_config_selectorIN6thrust23THRUST_200600_302600_NS5tupleIblNS6_9null_typeES8_S8_S8_S8_S8_S8_S8_EEEEZNS1_11reduce_implILb1ES3_NS6_12zip_iteratorINS7_INS6_11hip_rocprim26transform_input_iterator_tIbPiNS6_6detail10functional5actorINSH_9compositeIJNSH_27transparent_binary_operatorINS6_8equal_toIvEEEENSI_INSH_8argumentILj0EEEEENSH_5valueIiEEEEEEEEENSD_19counting_iterator_tIlEES8_S8_S8_S8_S8_S8_S8_S8_EEEEPS9_S9_NSD_9__find_if7functorIS9_EEEE10hipError_tPvRmT1_T2_T3_mT4_P12ihipStream_tbEUlT_E1_NS1_11comp_targetILNS1_3genE10ELNS1_11target_archE1200ELNS1_3gpuE4ELNS1_3repE0EEENS1_30default_config_static_selectorELNS0_4arch9wavefront6targetE1EEEvS17_
		.amdhsa_group_segment_fixed_size 0
		.amdhsa_private_segment_fixed_size 0
		.amdhsa_kernarg_size 72
		.amdhsa_user_sgpr_count 6
		.amdhsa_user_sgpr_private_segment_buffer 1
		.amdhsa_user_sgpr_dispatch_ptr 0
		.amdhsa_user_sgpr_queue_ptr 0
		.amdhsa_user_sgpr_kernarg_segment_ptr 1
		.amdhsa_user_sgpr_dispatch_id 0
		.amdhsa_user_sgpr_flat_scratch_init 0
		.amdhsa_user_sgpr_private_segment_size 0
		.amdhsa_uses_dynamic_stack 0
		.amdhsa_system_sgpr_private_segment_wavefront_offset 0
		.amdhsa_system_sgpr_workgroup_id_x 1
		.amdhsa_system_sgpr_workgroup_id_y 0
		.amdhsa_system_sgpr_workgroup_id_z 0
		.amdhsa_system_sgpr_workgroup_info 0
		.amdhsa_system_vgpr_workitem_id 0
		.amdhsa_next_free_vgpr 1
		.amdhsa_next_free_sgpr 0
		.amdhsa_reserve_vcc 0
		.amdhsa_reserve_flat_scratch 0
		.amdhsa_float_round_mode_32 0
		.amdhsa_float_round_mode_16_64 0
		.amdhsa_float_denorm_mode_32 3
		.amdhsa_float_denorm_mode_16_64 3
		.amdhsa_dx10_clamp 1
		.amdhsa_ieee_mode 1
		.amdhsa_fp16_overflow 0
		.amdhsa_exception_fp_ieee_invalid_op 0
		.amdhsa_exception_fp_denorm_src 0
		.amdhsa_exception_fp_ieee_div_zero 0
		.amdhsa_exception_fp_ieee_overflow 0
		.amdhsa_exception_fp_ieee_underflow 0
		.amdhsa_exception_fp_ieee_inexact 0
		.amdhsa_exception_int_div_zero 0
	.end_amdhsa_kernel
	.section	.text._ZN7rocprim17ROCPRIM_400000_NS6detail17trampoline_kernelINS0_14default_configENS1_22reduce_config_selectorIN6thrust23THRUST_200600_302600_NS5tupleIblNS6_9null_typeES8_S8_S8_S8_S8_S8_S8_EEEEZNS1_11reduce_implILb1ES3_NS6_12zip_iteratorINS7_INS6_11hip_rocprim26transform_input_iterator_tIbPiNS6_6detail10functional5actorINSH_9compositeIJNSH_27transparent_binary_operatorINS6_8equal_toIvEEEENSI_INSH_8argumentILj0EEEEENSH_5valueIiEEEEEEEEENSD_19counting_iterator_tIlEES8_S8_S8_S8_S8_S8_S8_S8_EEEEPS9_S9_NSD_9__find_if7functorIS9_EEEE10hipError_tPvRmT1_T2_T3_mT4_P12ihipStream_tbEUlT_E1_NS1_11comp_targetILNS1_3genE10ELNS1_11target_archE1200ELNS1_3gpuE4ELNS1_3repE0EEENS1_30default_config_static_selectorELNS0_4arch9wavefront6targetE1EEEvS17_,"axG",@progbits,_ZN7rocprim17ROCPRIM_400000_NS6detail17trampoline_kernelINS0_14default_configENS1_22reduce_config_selectorIN6thrust23THRUST_200600_302600_NS5tupleIblNS6_9null_typeES8_S8_S8_S8_S8_S8_S8_EEEEZNS1_11reduce_implILb1ES3_NS6_12zip_iteratorINS7_INS6_11hip_rocprim26transform_input_iterator_tIbPiNS6_6detail10functional5actorINSH_9compositeIJNSH_27transparent_binary_operatorINS6_8equal_toIvEEEENSI_INSH_8argumentILj0EEEEENSH_5valueIiEEEEEEEEENSD_19counting_iterator_tIlEES8_S8_S8_S8_S8_S8_S8_S8_EEEEPS9_S9_NSD_9__find_if7functorIS9_EEEE10hipError_tPvRmT1_T2_T3_mT4_P12ihipStream_tbEUlT_E1_NS1_11comp_targetILNS1_3genE10ELNS1_11target_archE1200ELNS1_3gpuE4ELNS1_3repE0EEENS1_30default_config_static_selectorELNS0_4arch9wavefront6targetE1EEEvS17_,comdat
.Lfunc_end989:
	.size	_ZN7rocprim17ROCPRIM_400000_NS6detail17trampoline_kernelINS0_14default_configENS1_22reduce_config_selectorIN6thrust23THRUST_200600_302600_NS5tupleIblNS6_9null_typeES8_S8_S8_S8_S8_S8_S8_EEEEZNS1_11reduce_implILb1ES3_NS6_12zip_iteratorINS7_INS6_11hip_rocprim26transform_input_iterator_tIbPiNS6_6detail10functional5actorINSH_9compositeIJNSH_27transparent_binary_operatorINS6_8equal_toIvEEEENSI_INSH_8argumentILj0EEEEENSH_5valueIiEEEEEEEEENSD_19counting_iterator_tIlEES8_S8_S8_S8_S8_S8_S8_S8_EEEEPS9_S9_NSD_9__find_if7functorIS9_EEEE10hipError_tPvRmT1_T2_T3_mT4_P12ihipStream_tbEUlT_E1_NS1_11comp_targetILNS1_3genE10ELNS1_11target_archE1200ELNS1_3gpuE4ELNS1_3repE0EEENS1_30default_config_static_selectorELNS0_4arch9wavefront6targetE1EEEvS17_, .Lfunc_end989-_ZN7rocprim17ROCPRIM_400000_NS6detail17trampoline_kernelINS0_14default_configENS1_22reduce_config_selectorIN6thrust23THRUST_200600_302600_NS5tupleIblNS6_9null_typeES8_S8_S8_S8_S8_S8_S8_EEEEZNS1_11reduce_implILb1ES3_NS6_12zip_iteratorINS7_INS6_11hip_rocprim26transform_input_iterator_tIbPiNS6_6detail10functional5actorINSH_9compositeIJNSH_27transparent_binary_operatorINS6_8equal_toIvEEEENSI_INSH_8argumentILj0EEEEENSH_5valueIiEEEEEEEEENSD_19counting_iterator_tIlEES8_S8_S8_S8_S8_S8_S8_S8_EEEEPS9_S9_NSD_9__find_if7functorIS9_EEEE10hipError_tPvRmT1_T2_T3_mT4_P12ihipStream_tbEUlT_E1_NS1_11comp_targetILNS1_3genE10ELNS1_11target_archE1200ELNS1_3gpuE4ELNS1_3repE0EEENS1_30default_config_static_selectorELNS0_4arch9wavefront6targetE1EEEvS17_
                                        ; -- End function
	.set _ZN7rocprim17ROCPRIM_400000_NS6detail17trampoline_kernelINS0_14default_configENS1_22reduce_config_selectorIN6thrust23THRUST_200600_302600_NS5tupleIblNS6_9null_typeES8_S8_S8_S8_S8_S8_S8_EEEEZNS1_11reduce_implILb1ES3_NS6_12zip_iteratorINS7_INS6_11hip_rocprim26transform_input_iterator_tIbPiNS6_6detail10functional5actorINSH_9compositeIJNSH_27transparent_binary_operatorINS6_8equal_toIvEEEENSI_INSH_8argumentILj0EEEEENSH_5valueIiEEEEEEEEENSD_19counting_iterator_tIlEES8_S8_S8_S8_S8_S8_S8_S8_EEEEPS9_S9_NSD_9__find_if7functorIS9_EEEE10hipError_tPvRmT1_T2_T3_mT4_P12ihipStream_tbEUlT_E1_NS1_11comp_targetILNS1_3genE10ELNS1_11target_archE1200ELNS1_3gpuE4ELNS1_3repE0EEENS1_30default_config_static_selectorELNS0_4arch9wavefront6targetE1EEEvS17_.num_vgpr, 0
	.set _ZN7rocprim17ROCPRIM_400000_NS6detail17trampoline_kernelINS0_14default_configENS1_22reduce_config_selectorIN6thrust23THRUST_200600_302600_NS5tupleIblNS6_9null_typeES8_S8_S8_S8_S8_S8_S8_EEEEZNS1_11reduce_implILb1ES3_NS6_12zip_iteratorINS7_INS6_11hip_rocprim26transform_input_iterator_tIbPiNS6_6detail10functional5actorINSH_9compositeIJNSH_27transparent_binary_operatorINS6_8equal_toIvEEEENSI_INSH_8argumentILj0EEEEENSH_5valueIiEEEEEEEEENSD_19counting_iterator_tIlEES8_S8_S8_S8_S8_S8_S8_S8_EEEEPS9_S9_NSD_9__find_if7functorIS9_EEEE10hipError_tPvRmT1_T2_T3_mT4_P12ihipStream_tbEUlT_E1_NS1_11comp_targetILNS1_3genE10ELNS1_11target_archE1200ELNS1_3gpuE4ELNS1_3repE0EEENS1_30default_config_static_selectorELNS0_4arch9wavefront6targetE1EEEvS17_.num_agpr, 0
	.set _ZN7rocprim17ROCPRIM_400000_NS6detail17trampoline_kernelINS0_14default_configENS1_22reduce_config_selectorIN6thrust23THRUST_200600_302600_NS5tupleIblNS6_9null_typeES8_S8_S8_S8_S8_S8_S8_EEEEZNS1_11reduce_implILb1ES3_NS6_12zip_iteratorINS7_INS6_11hip_rocprim26transform_input_iterator_tIbPiNS6_6detail10functional5actorINSH_9compositeIJNSH_27transparent_binary_operatorINS6_8equal_toIvEEEENSI_INSH_8argumentILj0EEEEENSH_5valueIiEEEEEEEEENSD_19counting_iterator_tIlEES8_S8_S8_S8_S8_S8_S8_S8_EEEEPS9_S9_NSD_9__find_if7functorIS9_EEEE10hipError_tPvRmT1_T2_T3_mT4_P12ihipStream_tbEUlT_E1_NS1_11comp_targetILNS1_3genE10ELNS1_11target_archE1200ELNS1_3gpuE4ELNS1_3repE0EEENS1_30default_config_static_selectorELNS0_4arch9wavefront6targetE1EEEvS17_.numbered_sgpr, 0
	.set _ZN7rocprim17ROCPRIM_400000_NS6detail17trampoline_kernelINS0_14default_configENS1_22reduce_config_selectorIN6thrust23THRUST_200600_302600_NS5tupleIblNS6_9null_typeES8_S8_S8_S8_S8_S8_S8_EEEEZNS1_11reduce_implILb1ES3_NS6_12zip_iteratorINS7_INS6_11hip_rocprim26transform_input_iterator_tIbPiNS6_6detail10functional5actorINSH_9compositeIJNSH_27transparent_binary_operatorINS6_8equal_toIvEEEENSI_INSH_8argumentILj0EEEEENSH_5valueIiEEEEEEEEENSD_19counting_iterator_tIlEES8_S8_S8_S8_S8_S8_S8_S8_EEEEPS9_S9_NSD_9__find_if7functorIS9_EEEE10hipError_tPvRmT1_T2_T3_mT4_P12ihipStream_tbEUlT_E1_NS1_11comp_targetILNS1_3genE10ELNS1_11target_archE1200ELNS1_3gpuE4ELNS1_3repE0EEENS1_30default_config_static_selectorELNS0_4arch9wavefront6targetE1EEEvS17_.num_named_barrier, 0
	.set _ZN7rocprim17ROCPRIM_400000_NS6detail17trampoline_kernelINS0_14default_configENS1_22reduce_config_selectorIN6thrust23THRUST_200600_302600_NS5tupleIblNS6_9null_typeES8_S8_S8_S8_S8_S8_S8_EEEEZNS1_11reduce_implILb1ES3_NS6_12zip_iteratorINS7_INS6_11hip_rocprim26transform_input_iterator_tIbPiNS6_6detail10functional5actorINSH_9compositeIJNSH_27transparent_binary_operatorINS6_8equal_toIvEEEENSI_INSH_8argumentILj0EEEEENSH_5valueIiEEEEEEEEENSD_19counting_iterator_tIlEES8_S8_S8_S8_S8_S8_S8_S8_EEEEPS9_S9_NSD_9__find_if7functorIS9_EEEE10hipError_tPvRmT1_T2_T3_mT4_P12ihipStream_tbEUlT_E1_NS1_11comp_targetILNS1_3genE10ELNS1_11target_archE1200ELNS1_3gpuE4ELNS1_3repE0EEENS1_30default_config_static_selectorELNS0_4arch9wavefront6targetE1EEEvS17_.private_seg_size, 0
	.set _ZN7rocprim17ROCPRIM_400000_NS6detail17trampoline_kernelINS0_14default_configENS1_22reduce_config_selectorIN6thrust23THRUST_200600_302600_NS5tupleIblNS6_9null_typeES8_S8_S8_S8_S8_S8_S8_EEEEZNS1_11reduce_implILb1ES3_NS6_12zip_iteratorINS7_INS6_11hip_rocprim26transform_input_iterator_tIbPiNS6_6detail10functional5actorINSH_9compositeIJNSH_27transparent_binary_operatorINS6_8equal_toIvEEEENSI_INSH_8argumentILj0EEEEENSH_5valueIiEEEEEEEEENSD_19counting_iterator_tIlEES8_S8_S8_S8_S8_S8_S8_S8_EEEEPS9_S9_NSD_9__find_if7functorIS9_EEEE10hipError_tPvRmT1_T2_T3_mT4_P12ihipStream_tbEUlT_E1_NS1_11comp_targetILNS1_3genE10ELNS1_11target_archE1200ELNS1_3gpuE4ELNS1_3repE0EEENS1_30default_config_static_selectorELNS0_4arch9wavefront6targetE1EEEvS17_.uses_vcc, 0
	.set _ZN7rocprim17ROCPRIM_400000_NS6detail17trampoline_kernelINS0_14default_configENS1_22reduce_config_selectorIN6thrust23THRUST_200600_302600_NS5tupleIblNS6_9null_typeES8_S8_S8_S8_S8_S8_S8_EEEEZNS1_11reduce_implILb1ES3_NS6_12zip_iteratorINS7_INS6_11hip_rocprim26transform_input_iterator_tIbPiNS6_6detail10functional5actorINSH_9compositeIJNSH_27transparent_binary_operatorINS6_8equal_toIvEEEENSI_INSH_8argumentILj0EEEEENSH_5valueIiEEEEEEEEENSD_19counting_iterator_tIlEES8_S8_S8_S8_S8_S8_S8_S8_EEEEPS9_S9_NSD_9__find_if7functorIS9_EEEE10hipError_tPvRmT1_T2_T3_mT4_P12ihipStream_tbEUlT_E1_NS1_11comp_targetILNS1_3genE10ELNS1_11target_archE1200ELNS1_3gpuE4ELNS1_3repE0EEENS1_30default_config_static_selectorELNS0_4arch9wavefront6targetE1EEEvS17_.uses_flat_scratch, 0
	.set _ZN7rocprim17ROCPRIM_400000_NS6detail17trampoline_kernelINS0_14default_configENS1_22reduce_config_selectorIN6thrust23THRUST_200600_302600_NS5tupleIblNS6_9null_typeES8_S8_S8_S8_S8_S8_S8_EEEEZNS1_11reduce_implILb1ES3_NS6_12zip_iteratorINS7_INS6_11hip_rocprim26transform_input_iterator_tIbPiNS6_6detail10functional5actorINSH_9compositeIJNSH_27transparent_binary_operatorINS6_8equal_toIvEEEENSI_INSH_8argumentILj0EEEEENSH_5valueIiEEEEEEEEENSD_19counting_iterator_tIlEES8_S8_S8_S8_S8_S8_S8_S8_EEEEPS9_S9_NSD_9__find_if7functorIS9_EEEE10hipError_tPvRmT1_T2_T3_mT4_P12ihipStream_tbEUlT_E1_NS1_11comp_targetILNS1_3genE10ELNS1_11target_archE1200ELNS1_3gpuE4ELNS1_3repE0EEENS1_30default_config_static_selectorELNS0_4arch9wavefront6targetE1EEEvS17_.has_dyn_sized_stack, 0
	.set _ZN7rocprim17ROCPRIM_400000_NS6detail17trampoline_kernelINS0_14default_configENS1_22reduce_config_selectorIN6thrust23THRUST_200600_302600_NS5tupleIblNS6_9null_typeES8_S8_S8_S8_S8_S8_S8_EEEEZNS1_11reduce_implILb1ES3_NS6_12zip_iteratorINS7_INS6_11hip_rocprim26transform_input_iterator_tIbPiNS6_6detail10functional5actorINSH_9compositeIJNSH_27transparent_binary_operatorINS6_8equal_toIvEEEENSI_INSH_8argumentILj0EEEEENSH_5valueIiEEEEEEEEENSD_19counting_iterator_tIlEES8_S8_S8_S8_S8_S8_S8_S8_EEEEPS9_S9_NSD_9__find_if7functorIS9_EEEE10hipError_tPvRmT1_T2_T3_mT4_P12ihipStream_tbEUlT_E1_NS1_11comp_targetILNS1_3genE10ELNS1_11target_archE1200ELNS1_3gpuE4ELNS1_3repE0EEENS1_30default_config_static_selectorELNS0_4arch9wavefront6targetE1EEEvS17_.has_recursion, 0
	.set _ZN7rocprim17ROCPRIM_400000_NS6detail17trampoline_kernelINS0_14default_configENS1_22reduce_config_selectorIN6thrust23THRUST_200600_302600_NS5tupleIblNS6_9null_typeES8_S8_S8_S8_S8_S8_S8_EEEEZNS1_11reduce_implILb1ES3_NS6_12zip_iteratorINS7_INS6_11hip_rocprim26transform_input_iterator_tIbPiNS6_6detail10functional5actorINSH_9compositeIJNSH_27transparent_binary_operatorINS6_8equal_toIvEEEENSI_INSH_8argumentILj0EEEEENSH_5valueIiEEEEEEEEENSD_19counting_iterator_tIlEES8_S8_S8_S8_S8_S8_S8_S8_EEEEPS9_S9_NSD_9__find_if7functorIS9_EEEE10hipError_tPvRmT1_T2_T3_mT4_P12ihipStream_tbEUlT_E1_NS1_11comp_targetILNS1_3genE10ELNS1_11target_archE1200ELNS1_3gpuE4ELNS1_3repE0EEENS1_30default_config_static_selectorELNS0_4arch9wavefront6targetE1EEEvS17_.has_indirect_call, 0
	.section	.AMDGPU.csdata,"",@progbits
; Kernel info:
; codeLenInByte = 0
; TotalNumSgprs: 4
; NumVgprs: 0
; ScratchSize: 0
; MemoryBound: 0
; FloatMode: 240
; IeeeMode: 1
; LDSByteSize: 0 bytes/workgroup (compile time only)
; SGPRBlocks: 0
; VGPRBlocks: 0
; NumSGPRsForWavesPerEU: 4
; NumVGPRsForWavesPerEU: 1
; Occupancy: 10
; WaveLimiterHint : 0
; COMPUTE_PGM_RSRC2:SCRATCH_EN: 0
; COMPUTE_PGM_RSRC2:USER_SGPR: 6
; COMPUTE_PGM_RSRC2:TRAP_HANDLER: 0
; COMPUTE_PGM_RSRC2:TGID_X_EN: 1
; COMPUTE_PGM_RSRC2:TGID_Y_EN: 0
; COMPUTE_PGM_RSRC2:TGID_Z_EN: 0
; COMPUTE_PGM_RSRC2:TIDIG_COMP_CNT: 0
	.section	.text._ZN7rocprim17ROCPRIM_400000_NS6detail17trampoline_kernelINS0_14default_configENS1_22reduce_config_selectorIN6thrust23THRUST_200600_302600_NS5tupleIblNS6_9null_typeES8_S8_S8_S8_S8_S8_S8_EEEEZNS1_11reduce_implILb1ES3_NS6_12zip_iteratorINS7_INS6_11hip_rocprim26transform_input_iterator_tIbPiNS6_6detail10functional5actorINSH_9compositeIJNSH_27transparent_binary_operatorINS6_8equal_toIvEEEENSI_INSH_8argumentILj0EEEEENSH_5valueIiEEEEEEEEENSD_19counting_iterator_tIlEES8_S8_S8_S8_S8_S8_S8_S8_EEEEPS9_S9_NSD_9__find_if7functorIS9_EEEE10hipError_tPvRmT1_T2_T3_mT4_P12ihipStream_tbEUlT_E1_NS1_11comp_targetILNS1_3genE9ELNS1_11target_archE1100ELNS1_3gpuE3ELNS1_3repE0EEENS1_30default_config_static_selectorELNS0_4arch9wavefront6targetE1EEEvS17_,"axG",@progbits,_ZN7rocprim17ROCPRIM_400000_NS6detail17trampoline_kernelINS0_14default_configENS1_22reduce_config_selectorIN6thrust23THRUST_200600_302600_NS5tupleIblNS6_9null_typeES8_S8_S8_S8_S8_S8_S8_EEEEZNS1_11reduce_implILb1ES3_NS6_12zip_iteratorINS7_INS6_11hip_rocprim26transform_input_iterator_tIbPiNS6_6detail10functional5actorINSH_9compositeIJNSH_27transparent_binary_operatorINS6_8equal_toIvEEEENSI_INSH_8argumentILj0EEEEENSH_5valueIiEEEEEEEEENSD_19counting_iterator_tIlEES8_S8_S8_S8_S8_S8_S8_S8_EEEEPS9_S9_NSD_9__find_if7functorIS9_EEEE10hipError_tPvRmT1_T2_T3_mT4_P12ihipStream_tbEUlT_E1_NS1_11comp_targetILNS1_3genE9ELNS1_11target_archE1100ELNS1_3gpuE3ELNS1_3repE0EEENS1_30default_config_static_selectorELNS0_4arch9wavefront6targetE1EEEvS17_,comdat
	.protected	_ZN7rocprim17ROCPRIM_400000_NS6detail17trampoline_kernelINS0_14default_configENS1_22reduce_config_selectorIN6thrust23THRUST_200600_302600_NS5tupleIblNS6_9null_typeES8_S8_S8_S8_S8_S8_S8_EEEEZNS1_11reduce_implILb1ES3_NS6_12zip_iteratorINS7_INS6_11hip_rocprim26transform_input_iterator_tIbPiNS6_6detail10functional5actorINSH_9compositeIJNSH_27transparent_binary_operatorINS6_8equal_toIvEEEENSI_INSH_8argumentILj0EEEEENSH_5valueIiEEEEEEEEENSD_19counting_iterator_tIlEES8_S8_S8_S8_S8_S8_S8_S8_EEEEPS9_S9_NSD_9__find_if7functorIS9_EEEE10hipError_tPvRmT1_T2_T3_mT4_P12ihipStream_tbEUlT_E1_NS1_11comp_targetILNS1_3genE9ELNS1_11target_archE1100ELNS1_3gpuE3ELNS1_3repE0EEENS1_30default_config_static_selectorELNS0_4arch9wavefront6targetE1EEEvS17_ ; -- Begin function _ZN7rocprim17ROCPRIM_400000_NS6detail17trampoline_kernelINS0_14default_configENS1_22reduce_config_selectorIN6thrust23THRUST_200600_302600_NS5tupleIblNS6_9null_typeES8_S8_S8_S8_S8_S8_S8_EEEEZNS1_11reduce_implILb1ES3_NS6_12zip_iteratorINS7_INS6_11hip_rocprim26transform_input_iterator_tIbPiNS6_6detail10functional5actorINSH_9compositeIJNSH_27transparent_binary_operatorINS6_8equal_toIvEEEENSI_INSH_8argumentILj0EEEEENSH_5valueIiEEEEEEEEENSD_19counting_iterator_tIlEES8_S8_S8_S8_S8_S8_S8_S8_EEEEPS9_S9_NSD_9__find_if7functorIS9_EEEE10hipError_tPvRmT1_T2_T3_mT4_P12ihipStream_tbEUlT_E1_NS1_11comp_targetILNS1_3genE9ELNS1_11target_archE1100ELNS1_3gpuE3ELNS1_3repE0EEENS1_30default_config_static_selectorELNS0_4arch9wavefront6targetE1EEEvS17_
	.globl	_ZN7rocprim17ROCPRIM_400000_NS6detail17trampoline_kernelINS0_14default_configENS1_22reduce_config_selectorIN6thrust23THRUST_200600_302600_NS5tupleIblNS6_9null_typeES8_S8_S8_S8_S8_S8_S8_EEEEZNS1_11reduce_implILb1ES3_NS6_12zip_iteratorINS7_INS6_11hip_rocprim26transform_input_iterator_tIbPiNS6_6detail10functional5actorINSH_9compositeIJNSH_27transparent_binary_operatorINS6_8equal_toIvEEEENSI_INSH_8argumentILj0EEEEENSH_5valueIiEEEEEEEEENSD_19counting_iterator_tIlEES8_S8_S8_S8_S8_S8_S8_S8_EEEEPS9_S9_NSD_9__find_if7functorIS9_EEEE10hipError_tPvRmT1_T2_T3_mT4_P12ihipStream_tbEUlT_E1_NS1_11comp_targetILNS1_3genE9ELNS1_11target_archE1100ELNS1_3gpuE3ELNS1_3repE0EEENS1_30default_config_static_selectorELNS0_4arch9wavefront6targetE1EEEvS17_
	.p2align	8
	.type	_ZN7rocprim17ROCPRIM_400000_NS6detail17trampoline_kernelINS0_14default_configENS1_22reduce_config_selectorIN6thrust23THRUST_200600_302600_NS5tupleIblNS6_9null_typeES8_S8_S8_S8_S8_S8_S8_EEEEZNS1_11reduce_implILb1ES3_NS6_12zip_iteratorINS7_INS6_11hip_rocprim26transform_input_iterator_tIbPiNS6_6detail10functional5actorINSH_9compositeIJNSH_27transparent_binary_operatorINS6_8equal_toIvEEEENSI_INSH_8argumentILj0EEEEENSH_5valueIiEEEEEEEEENSD_19counting_iterator_tIlEES8_S8_S8_S8_S8_S8_S8_S8_EEEEPS9_S9_NSD_9__find_if7functorIS9_EEEE10hipError_tPvRmT1_T2_T3_mT4_P12ihipStream_tbEUlT_E1_NS1_11comp_targetILNS1_3genE9ELNS1_11target_archE1100ELNS1_3gpuE3ELNS1_3repE0EEENS1_30default_config_static_selectorELNS0_4arch9wavefront6targetE1EEEvS17_,@function
_ZN7rocprim17ROCPRIM_400000_NS6detail17trampoline_kernelINS0_14default_configENS1_22reduce_config_selectorIN6thrust23THRUST_200600_302600_NS5tupleIblNS6_9null_typeES8_S8_S8_S8_S8_S8_S8_EEEEZNS1_11reduce_implILb1ES3_NS6_12zip_iteratorINS7_INS6_11hip_rocprim26transform_input_iterator_tIbPiNS6_6detail10functional5actorINSH_9compositeIJNSH_27transparent_binary_operatorINS6_8equal_toIvEEEENSI_INSH_8argumentILj0EEEEENSH_5valueIiEEEEEEEEENSD_19counting_iterator_tIlEES8_S8_S8_S8_S8_S8_S8_S8_EEEEPS9_S9_NSD_9__find_if7functorIS9_EEEE10hipError_tPvRmT1_T2_T3_mT4_P12ihipStream_tbEUlT_E1_NS1_11comp_targetILNS1_3genE9ELNS1_11target_archE1100ELNS1_3gpuE3ELNS1_3repE0EEENS1_30default_config_static_selectorELNS0_4arch9wavefront6targetE1EEEvS17_: ; @_ZN7rocprim17ROCPRIM_400000_NS6detail17trampoline_kernelINS0_14default_configENS1_22reduce_config_selectorIN6thrust23THRUST_200600_302600_NS5tupleIblNS6_9null_typeES8_S8_S8_S8_S8_S8_S8_EEEEZNS1_11reduce_implILb1ES3_NS6_12zip_iteratorINS7_INS6_11hip_rocprim26transform_input_iterator_tIbPiNS6_6detail10functional5actorINSH_9compositeIJNSH_27transparent_binary_operatorINS6_8equal_toIvEEEENSI_INSH_8argumentILj0EEEEENSH_5valueIiEEEEEEEEENSD_19counting_iterator_tIlEES8_S8_S8_S8_S8_S8_S8_S8_EEEEPS9_S9_NSD_9__find_if7functorIS9_EEEE10hipError_tPvRmT1_T2_T3_mT4_P12ihipStream_tbEUlT_E1_NS1_11comp_targetILNS1_3genE9ELNS1_11target_archE1100ELNS1_3gpuE3ELNS1_3repE0EEENS1_30default_config_static_selectorELNS0_4arch9wavefront6targetE1EEEvS17_
; %bb.0:
	.section	.rodata,"a",@progbits
	.p2align	6, 0x0
	.amdhsa_kernel _ZN7rocprim17ROCPRIM_400000_NS6detail17trampoline_kernelINS0_14default_configENS1_22reduce_config_selectorIN6thrust23THRUST_200600_302600_NS5tupleIblNS6_9null_typeES8_S8_S8_S8_S8_S8_S8_EEEEZNS1_11reduce_implILb1ES3_NS6_12zip_iteratorINS7_INS6_11hip_rocprim26transform_input_iterator_tIbPiNS6_6detail10functional5actorINSH_9compositeIJNSH_27transparent_binary_operatorINS6_8equal_toIvEEEENSI_INSH_8argumentILj0EEEEENSH_5valueIiEEEEEEEEENSD_19counting_iterator_tIlEES8_S8_S8_S8_S8_S8_S8_S8_EEEEPS9_S9_NSD_9__find_if7functorIS9_EEEE10hipError_tPvRmT1_T2_T3_mT4_P12ihipStream_tbEUlT_E1_NS1_11comp_targetILNS1_3genE9ELNS1_11target_archE1100ELNS1_3gpuE3ELNS1_3repE0EEENS1_30default_config_static_selectorELNS0_4arch9wavefront6targetE1EEEvS17_
		.amdhsa_group_segment_fixed_size 0
		.amdhsa_private_segment_fixed_size 0
		.amdhsa_kernarg_size 72
		.amdhsa_user_sgpr_count 6
		.amdhsa_user_sgpr_private_segment_buffer 1
		.amdhsa_user_sgpr_dispatch_ptr 0
		.amdhsa_user_sgpr_queue_ptr 0
		.amdhsa_user_sgpr_kernarg_segment_ptr 1
		.amdhsa_user_sgpr_dispatch_id 0
		.amdhsa_user_sgpr_flat_scratch_init 0
		.amdhsa_user_sgpr_private_segment_size 0
		.amdhsa_uses_dynamic_stack 0
		.amdhsa_system_sgpr_private_segment_wavefront_offset 0
		.amdhsa_system_sgpr_workgroup_id_x 1
		.amdhsa_system_sgpr_workgroup_id_y 0
		.amdhsa_system_sgpr_workgroup_id_z 0
		.amdhsa_system_sgpr_workgroup_info 0
		.amdhsa_system_vgpr_workitem_id 0
		.amdhsa_next_free_vgpr 1
		.amdhsa_next_free_sgpr 0
		.amdhsa_reserve_vcc 0
		.amdhsa_reserve_flat_scratch 0
		.amdhsa_float_round_mode_32 0
		.amdhsa_float_round_mode_16_64 0
		.amdhsa_float_denorm_mode_32 3
		.amdhsa_float_denorm_mode_16_64 3
		.amdhsa_dx10_clamp 1
		.amdhsa_ieee_mode 1
		.amdhsa_fp16_overflow 0
		.amdhsa_exception_fp_ieee_invalid_op 0
		.amdhsa_exception_fp_denorm_src 0
		.amdhsa_exception_fp_ieee_div_zero 0
		.amdhsa_exception_fp_ieee_overflow 0
		.amdhsa_exception_fp_ieee_underflow 0
		.amdhsa_exception_fp_ieee_inexact 0
		.amdhsa_exception_int_div_zero 0
	.end_amdhsa_kernel
	.section	.text._ZN7rocprim17ROCPRIM_400000_NS6detail17trampoline_kernelINS0_14default_configENS1_22reduce_config_selectorIN6thrust23THRUST_200600_302600_NS5tupleIblNS6_9null_typeES8_S8_S8_S8_S8_S8_S8_EEEEZNS1_11reduce_implILb1ES3_NS6_12zip_iteratorINS7_INS6_11hip_rocprim26transform_input_iterator_tIbPiNS6_6detail10functional5actorINSH_9compositeIJNSH_27transparent_binary_operatorINS6_8equal_toIvEEEENSI_INSH_8argumentILj0EEEEENSH_5valueIiEEEEEEEEENSD_19counting_iterator_tIlEES8_S8_S8_S8_S8_S8_S8_S8_EEEEPS9_S9_NSD_9__find_if7functorIS9_EEEE10hipError_tPvRmT1_T2_T3_mT4_P12ihipStream_tbEUlT_E1_NS1_11comp_targetILNS1_3genE9ELNS1_11target_archE1100ELNS1_3gpuE3ELNS1_3repE0EEENS1_30default_config_static_selectorELNS0_4arch9wavefront6targetE1EEEvS17_,"axG",@progbits,_ZN7rocprim17ROCPRIM_400000_NS6detail17trampoline_kernelINS0_14default_configENS1_22reduce_config_selectorIN6thrust23THRUST_200600_302600_NS5tupleIblNS6_9null_typeES8_S8_S8_S8_S8_S8_S8_EEEEZNS1_11reduce_implILb1ES3_NS6_12zip_iteratorINS7_INS6_11hip_rocprim26transform_input_iterator_tIbPiNS6_6detail10functional5actorINSH_9compositeIJNSH_27transparent_binary_operatorINS6_8equal_toIvEEEENSI_INSH_8argumentILj0EEEEENSH_5valueIiEEEEEEEEENSD_19counting_iterator_tIlEES8_S8_S8_S8_S8_S8_S8_S8_EEEEPS9_S9_NSD_9__find_if7functorIS9_EEEE10hipError_tPvRmT1_T2_T3_mT4_P12ihipStream_tbEUlT_E1_NS1_11comp_targetILNS1_3genE9ELNS1_11target_archE1100ELNS1_3gpuE3ELNS1_3repE0EEENS1_30default_config_static_selectorELNS0_4arch9wavefront6targetE1EEEvS17_,comdat
.Lfunc_end990:
	.size	_ZN7rocprim17ROCPRIM_400000_NS6detail17trampoline_kernelINS0_14default_configENS1_22reduce_config_selectorIN6thrust23THRUST_200600_302600_NS5tupleIblNS6_9null_typeES8_S8_S8_S8_S8_S8_S8_EEEEZNS1_11reduce_implILb1ES3_NS6_12zip_iteratorINS7_INS6_11hip_rocprim26transform_input_iterator_tIbPiNS6_6detail10functional5actorINSH_9compositeIJNSH_27transparent_binary_operatorINS6_8equal_toIvEEEENSI_INSH_8argumentILj0EEEEENSH_5valueIiEEEEEEEEENSD_19counting_iterator_tIlEES8_S8_S8_S8_S8_S8_S8_S8_EEEEPS9_S9_NSD_9__find_if7functorIS9_EEEE10hipError_tPvRmT1_T2_T3_mT4_P12ihipStream_tbEUlT_E1_NS1_11comp_targetILNS1_3genE9ELNS1_11target_archE1100ELNS1_3gpuE3ELNS1_3repE0EEENS1_30default_config_static_selectorELNS0_4arch9wavefront6targetE1EEEvS17_, .Lfunc_end990-_ZN7rocprim17ROCPRIM_400000_NS6detail17trampoline_kernelINS0_14default_configENS1_22reduce_config_selectorIN6thrust23THRUST_200600_302600_NS5tupleIblNS6_9null_typeES8_S8_S8_S8_S8_S8_S8_EEEEZNS1_11reduce_implILb1ES3_NS6_12zip_iteratorINS7_INS6_11hip_rocprim26transform_input_iterator_tIbPiNS6_6detail10functional5actorINSH_9compositeIJNSH_27transparent_binary_operatorINS6_8equal_toIvEEEENSI_INSH_8argumentILj0EEEEENSH_5valueIiEEEEEEEEENSD_19counting_iterator_tIlEES8_S8_S8_S8_S8_S8_S8_S8_EEEEPS9_S9_NSD_9__find_if7functorIS9_EEEE10hipError_tPvRmT1_T2_T3_mT4_P12ihipStream_tbEUlT_E1_NS1_11comp_targetILNS1_3genE9ELNS1_11target_archE1100ELNS1_3gpuE3ELNS1_3repE0EEENS1_30default_config_static_selectorELNS0_4arch9wavefront6targetE1EEEvS17_
                                        ; -- End function
	.set _ZN7rocprim17ROCPRIM_400000_NS6detail17trampoline_kernelINS0_14default_configENS1_22reduce_config_selectorIN6thrust23THRUST_200600_302600_NS5tupleIblNS6_9null_typeES8_S8_S8_S8_S8_S8_S8_EEEEZNS1_11reduce_implILb1ES3_NS6_12zip_iteratorINS7_INS6_11hip_rocprim26transform_input_iterator_tIbPiNS6_6detail10functional5actorINSH_9compositeIJNSH_27transparent_binary_operatorINS6_8equal_toIvEEEENSI_INSH_8argumentILj0EEEEENSH_5valueIiEEEEEEEEENSD_19counting_iterator_tIlEES8_S8_S8_S8_S8_S8_S8_S8_EEEEPS9_S9_NSD_9__find_if7functorIS9_EEEE10hipError_tPvRmT1_T2_T3_mT4_P12ihipStream_tbEUlT_E1_NS1_11comp_targetILNS1_3genE9ELNS1_11target_archE1100ELNS1_3gpuE3ELNS1_3repE0EEENS1_30default_config_static_selectorELNS0_4arch9wavefront6targetE1EEEvS17_.num_vgpr, 0
	.set _ZN7rocprim17ROCPRIM_400000_NS6detail17trampoline_kernelINS0_14default_configENS1_22reduce_config_selectorIN6thrust23THRUST_200600_302600_NS5tupleIblNS6_9null_typeES8_S8_S8_S8_S8_S8_S8_EEEEZNS1_11reduce_implILb1ES3_NS6_12zip_iteratorINS7_INS6_11hip_rocprim26transform_input_iterator_tIbPiNS6_6detail10functional5actorINSH_9compositeIJNSH_27transparent_binary_operatorINS6_8equal_toIvEEEENSI_INSH_8argumentILj0EEEEENSH_5valueIiEEEEEEEEENSD_19counting_iterator_tIlEES8_S8_S8_S8_S8_S8_S8_S8_EEEEPS9_S9_NSD_9__find_if7functorIS9_EEEE10hipError_tPvRmT1_T2_T3_mT4_P12ihipStream_tbEUlT_E1_NS1_11comp_targetILNS1_3genE9ELNS1_11target_archE1100ELNS1_3gpuE3ELNS1_3repE0EEENS1_30default_config_static_selectorELNS0_4arch9wavefront6targetE1EEEvS17_.num_agpr, 0
	.set _ZN7rocprim17ROCPRIM_400000_NS6detail17trampoline_kernelINS0_14default_configENS1_22reduce_config_selectorIN6thrust23THRUST_200600_302600_NS5tupleIblNS6_9null_typeES8_S8_S8_S8_S8_S8_S8_EEEEZNS1_11reduce_implILb1ES3_NS6_12zip_iteratorINS7_INS6_11hip_rocprim26transform_input_iterator_tIbPiNS6_6detail10functional5actorINSH_9compositeIJNSH_27transparent_binary_operatorINS6_8equal_toIvEEEENSI_INSH_8argumentILj0EEEEENSH_5valueIiEEEEEEEEENSD_19counting_iterator_tIlEES8_S8_S8_S8_S8_S8_S8_S8_EEEEPS9_S9_NSD_9__find_if7functorIS9_EEEE10hipError_tPvRmT1_T2_T3_mT4_P12ihipStream_tbEUlT_E1_NS1_11comp_targetILNS1_3genE9ELNS1_11target_archE1100ELNS1_3gpuE3ELNS1_3repE0EEENS1_30default_config_static_selectorELNS0_4arch9wavefront6targetE1EEEvS17_.numbered_sgpr, 0
	.set _ZN7rocprim17ROCPRIM_400000_NS6detail17trampoline_kernelINS0_14default_configENS1_22reduce_config_selectorIN6thrust23THRUST_200600_302600_NS5tupleIblNS6_9null_typeES8_S8_S8_S8_S8_S8_S8_EEEEZNS1_11reduce_implILb1ES3_NS6_12zip_iteratorINS7_INS6_11hip_rocprim26transform_input_iterator_tIbPiNS6_6detail10functional5actorINSH_9compositeIJNSH_27transparent_binary_operatorINS6_8equal_toIvEEEENSI_INSH_8argumentILj0EEEEENSH_5valueIiEEEEEEEEENSD_19counting_iterator_tIlEES8_S8_S8_S8_S8_S8_S8_S8_EEEEPS9_S9_NSD_9__find_if7functorIS9_EEEE10hipError_tPvRmT1_T2_T3_mT4_P12ihipStream_tbEUlT_E1_NS1_11comp_targetILNS1_3genE9ELNS1_11target_archE1100ELNS1_3gpuE3ELNS1_3repE0EEENS1_30default_config_static_selectorELNS0_4arch9wavefront6targetE1EEEvS17_.num_named_barrier, 0
	.set _ZN7rocprim17ROCPRIM_400000_NS6detail17trampoline_kernelINS0_14default_configENS1_22reduce_config_selectorIN6thrust23THRUST_200600_302600_NS5tupleIblNS6_9null_typeES8_S8_S8_S8_S8_S8_S8_EEEEZNS1_11reduce_implILb1ES3_NS6_12zip_iteratorINS7_INS6_11hip_rocprim26transform_input_iterator_tIbPiNS6_6detail10functional5actorINSH_9compositeIJNSH_27transparent_binary_operatorINS6_8equal_toIvEEEENSI_INSH_8argumentILj0EEEEENSH_5valueIiEEEEEEEEENSD_19counting_iterator_tIlEES8_S8_S8_S8_S8_S8_S8_S8_EEEEPS9_S9_NSD_9__find_if7functorIS9_EEEE10hipError_tPvRmT1_T2_T3_mT4_P12ihipStream_tbEUlT_E1_NS1_11comp_targetILNS1_3genE9ELNS1_11target_archE1100ELNS1_3gpuE3ELNS1_3repE0EEENS1_30default_config_static_selectorELNS0_4arch9wavefront6targetE1EEEvS17_.private_seg_size, 0
	.set _ZN7rocprim17ROCPRIM_400000_NS6detail17trampoline_kernelINS0_14default_configENS1_22reduce_config_selectorIN6thrust23THRUST_200600_302600_NS5tupleIblNS6_9null_typeES8_S8_S8_S8_S8_S8_S8_EEEEZNS1_11reduce_implILb1ES3_NS6_12zip_iteratorINS7_INS6_11hip_rocprim26transform_input_iterator_tIbPiNS6_6detail10functional5actorINSH_9compositeIJNSH_27transparent_binary_operatorINS6_8equal_toIvEEEENSI_INSH_8argumentILj0EEEEENSH_5valueIiEEEEEEEEENSD_19counting_iterator_tIlEES8_S8_S8_S8_S8_S8_S8_S8_EEEEPS9_S9_NSD_9__find_if7functorIS9_EEEE10hipError_tPvRmT1_T2_T3_mT4_P12ihipStream_tbEUlT_E1_NS1_11comp_targetILNS1_3genE9ELNS1_11target_archE1100ELNS1_3gpuE3ELNS1_3repE0EEENS1_30default_config_static_selectorELNS0_4arch9wavefront6targetE1EEEvS17_.uses_vcc, 0
	.set _ZN7rocprim17ROCPRIM_400000_NS6detail17trampoline_kernelINS0_14default_configENS1_22reduce_config_selectorIN6thrust23THRUST_200600_302600_NS5tupleIblNS6_9null_typeES8_S8_S8_S8_S8_S8_S8_EEEEZNS1_11reduce_implILb1ES3_NS6_12zip_iteratorINS7_INS6_11hip_rocprim26transform_input_iterator_tIbPiNS6_6detail10functional5actorINSH_9compositeIJNSH_27transparent_binary_operatorINS6_8equal_toIvEEEENSI_INSH_8argumentILj0EEEEENSH_5valueIiEEEEEEEEENSD_19counting_iterator_tIlEES8_S8_S8_S8_S8_S8_S8_S8_EEEEPS9_S9_NSD_9__find_if7functorIS9_EEEE10hipError_tPvRmT1_T2_T3_mT4_P12ihipStream_tbEUlT_E1_NS1_11comp_targetILNS1_3genE9ELNS1_11target_archE1100ELNS1_3gpuE3ELNS1_3repE0EEENS1_30default_config_static_selectorELNS0_4arch9wavefront6targetE1EEEvS17_.uses_flat_scratch, 0
	.set _ZN7rocprim17ROCPRIM_400000_NS6detail17trampoline_kernelINS0_14default_configENS1_22reduce_config_selectorIN6thrust23THRUST_200600_302600_NS5tupleIblNS6_9null_typeES8_S8_S8_S8_S8_S8_S8_EEEEZNS1_11reduce_implILb1ES3_NS6_12zip_iteratorINS7_INS6_11hip_rocprim26transform_input_iterator_tIbPiNS6_6detail10functional5actorINSH_9compositeIJNSH_27transparent_binary_operatorINS6_8equal_toIvEEEENSI_INSH_8argumentILj0EEEEENSH_5valueIiEEEEEEEEENSD_19counting_iterator_tIlEES8_S8_S8_S8_S8_S8_S8_S8_EEEEPS9_S9_NSD_9__find_if7functorIS9_EEEE10hipError_tPvRmT1_T2_T3_mT4_P12ihipStream_tbEUlT_E1_NS1_11comp_targetILNS1_3genE9ELNS1_11target_archE1100ELNS1_3gpuE3ELNS1_3repE0EEENS1_30default_config_static_selectorELNS0_4arch9wavefront6targetE1EEEvS17_.has_dyn_sized_stack, 0
	.set _ZN7rocprim17ROCPRIM_400000_NS6detail17trampoline_kernelINS0_14default_configENS1_22reduce_config_selectorIN6thrust23THRUST_200600_302600_NS5tupleIblNS6_9null_typeES8_S8_S8_S8_S8_S8_S8_EEEEZNS1_11reduce_implILb1ES3_NS6_12zip_iteratorINS7_INS6_11hip_rocprim26transform_input_iterator_tIbPiNS6_6detail10functional5actorINSH_9compositeIJNSH_27transparent_binary_operatorINS6_8equal_toIvEEEENSI_INSH_8argumentILj0EEEEENSH_5valueIiEEEEEEEEENSD_19counting_iterator_tIlEES8_S8_S8_S8_S8_S8_S8_S8_EEEEPS9_S9_NSD_9__find_if7functorIS9_EEEE10hipError_tPvRmT1_T2_T3_mT4_P12ihipStream_tbEUlT_E1_NS1_11comp_targetILNS1_3genE9ELNS1_11target_archE1100ELNS1_3gpuE3ELNS1_3repE0EEENS1_30default_config_static_selectorELNS0_4arch9wavefront6targetE1EEEvS17_.has_recursion, 0
	.set _ZN7rocprim17ROCPRIM_400000_NS6detail17trampoline_kernelINS0_14default_configENS1_22reduce_config_selectorIN6thrust23THRUST_200600_302600_NS5tupleIblNS6_9null_typeES8_S8_S8_S8_S8_S8_S8_EEEEZNS1_11reduce_implILb1ES3_NS6_12zip_iteratorINS7_INS6_11hip_rocprim26transform_input_iterator_tIbPiNS6_6detail10functional5actorINSH_9compositeIJNSH_27transparent_binary_operatorINS6_8equal_toIvEEEENSI_INSH_8argumentILj0EEEEENSH_5valueIiEEEEEEEEENSD_19counting_iterator_tIlEES8_S8_S8_S8_S8_S8_S8_S8_EEEEPS9_S9_NSD_9__find_if7functorIS9_EEEE10hipError_tPvRmT1_T2_T3_mT4_P12ihipStream_tbEUlT_E1_NS1_11comp_targetILNS1_3genE9ELNS1_11target_archE1100ELNS1_3gpuE3ELNS1_3repE0EEENS1_30default_config_static_selectorELNS0_4arch9wavefront6targetE1EEEvS17_.has_indirect_call, 0
	.section	.AMDGPU.csdata,"",@progbits
; Kernel info:
; codeLenInByte = 0
; TotalNumSgprs: 4
; NumVgprs: 0
; ScratchSize: 0
; MemoryBound: 0
; FloatMode: 240
; IeeeMode: 1
; LDSByteSize: 0 bytes/workgroup (compile time only)
; SGPRBlocks: 0
; VGPRBlocks: 0
; NumSGPRsForWavesPerEU: 4
; NumVGPRsForWavesPerEU: 1
; Occupancy: 10
; WaveLimiterHint : 0
; COMPUTE_PGM_RSRC2:SCRATCH_EN: 0
; COMPUTE_PGM_RSRC2:USER_SGPR: 6
; COMPUTE_PGM_RSRC2:TRAP_HANDLER: 0
; COMPUTE_PGM_RSRC2:TGID_X_EN: 1
; COMPUTE_PGM_RSRC2:TGID_Y_EN: 0
; COMPUTE_PGM_RSRC2:TGID_Z_EN: 0
; COMPUTE_PGM_RSRC2:TIDIG_COMP_CNT: 0
	.section	.text._ZN7rocprim17ROCPRIM_400000_NS6detail17trampoline_kernelINS0_14default_configENS1_22reduce_config_selectorIN6thrust23THRUST_200600_302600_NS5tupleIblNS6_9null_typeES8_S8_S8_S8_S8_S8_S8_EEEEZNS1_11reduce_implILb1ES3_NS6_12zip_iteratorINS7_INS6_11hip_rocprim26transform_input_iterator_tIbPiNS6_6detail10functional5actorINSH_9compositeIJNSH_27transparent_binary_operatorINS6_8equal_toIvEEEENSI_INSH_8argumentILj0EEEEENSH_5valueIiEEEEEEEEENSD_19counting_iterator_tIlEES8_S8_S8_S8_S8_S8_S8_S8_EEEEPS9_S9_NSD_9__find_if7functorIS9_EEEE10hipError_tPvRmT1_T2_T3_mT4_P12ihipStream_tbEUlT_E1_NS1_11comp_targetILNS1_3genE8ELNS1_11target_archE1030ELNS1_3gpuE2ELNS1_3repE0EEENS1_30default_config_static_selectorELNS0_4arch9wavefront6targetE1EEEvS17_,"axG",@progbits,_ZN7rocprim17ROCPRIM_400000_NS6detail17trampoline_kernelINS0_14default_configENS1_22reduce_config_selectorIN6thrust23THRUST_200600_302600_NS5tupleIblNS6_9null_typeES8_S8_S8_S8_S8_S8_S8_EEEEZNS1_11reduce_implILb1ES3_NS6_12zip_iteratorINS7_INS6_11hip_rocprim26transform_input_iterator_tIbPiNS6_6detail10functional5actorINSH_9compositeIJNSH_27transparent_binary_operatorINS6_8equal_toIvEEEENSI_INSH_8argumentILj0EEEEENSH_5valueIiEEEEEEEEENSD_19counting_iterator_tIlEES8_S8_S8_S8_S8_S8_S8_S8_EEEEPS9_S9_NSD_9__find_if7functorIS9_EEEE10hipError_tPvRmT1_T2_T3_mT4_P12ihipStream_tbEUlT_E1_NS1_11comp_targetILNS1_3genE8ELNS1_11target_archE1030ELNS1_3gpuE2ELNS1_3repE0EEENS1_30default_config_static_selectorELNS0_4arch9wavefront6targetE1EEEvS17_,comdat
	.protected	_ZN7rocprim17ROCPRIM_400000_NS6detail17trampoline_kernelINS0_14default_configENS1_22reduce_config_selectorIN6thrust23THRUST_200600_302600_NS5tupleIblNS6_9null_typeES8_S8_S8_S8_S8_S8_S8_EEEEZNS1_11reduce_implILb1ES3_NS6_12zip_iteratorINS7_INS6_11hip_rocprim26transform_input_iterator_tIbPiNS6_6detail10functional5actorINSH_9compositeIJNSH_27transparent_binary_operatorINS6_8equal_toIvEEEENSI_INSH_8argumentILj0EEEEENSH_5valueIiEEEEEEEEENSD_19counting_iterator_tIlEES8_S8_S8_S8_S8_S8_S8_S8_EEEEPS9_S9_NSD_9__find_if7functorIS9_EEEE10hipError_tPvRmT1_T2_T3_mT4_P12ihipStream_tbEUlT_E1_NS1_11comp_targetILNS1_3genE8ELNS1_11target_archE1030ELNS1_3gpuE2ELNS1_3repE0EEENS1_30default_config_static_selectorELNS0_4arch9wavefront6targetE1EEEvS17_ ; -- Begin function _ZN7rocprim17ROCPRIM_400000_NS6detail17trampoline_kernelINS0_14default_configENS1_22reduce_config_selectorIN6thrust23THRUST_200600_302600_NS5tupleIblNS6_9null_typeES8_S8_S8_S8_S8_S8_S8_EEEEZNS1_11reduce_implILb1ES3_NS6_12zip_iteratorINS7_INS6_11hip_rocprim26transform_input_iterator_tIbPiNS6_6detail10functional5actorINSH_9compositeIJNSH_27transparent_binary_operatorINS6_8equal_toIvEEEENSI_INSH_8argumentILj0EEEEENSH_5valueIiEEEEEEEEENSD_19counting_iterator_tIlEES8_S8_S8_S8_S8_S8_S8_S8_EEEEPS9_S9_NSD_9__find_if7functorIS9_EEEE10hipError_tPvRmT1_T2_T3_mT4_P12ihipStream_tbEUlT_E1_NS1_11comp_targetILNS1_3genE8ELNS1_11target_archE1030ELNS1_3gpuE2ELNS1_3repE0EEENS1_30default_config_static_selectorELNS0_4arch9wavefront6targetE1EEEvS17_
	.globl	_ZN7rocprim17ROCPRIM_400000_NS6detail17trampoline_kernelINS0_14default_configENS1_22reduce_config_selectorIN6thrust23THRUST_200600_302600_NS5tupleIblNS6_9null_typeES8_S8_S8_S8_S8_S8_S8_EEEEZNS1_11reduce_implILb1ES3_NS6_12zip_iteratorINS7_INS6_11hip_rocprim26transform_input_iterator_tIbPiNS6_6detail10functional5actorINSH_9compositeIJNSH_27transparent_binary_operatorINS6_8equal_toIvEEEENSI_INSH_8argumentILj0EEEEENSH_5valueIiEEEEEEEEENSD_19counting_iterator_tIlEES8_S8_S8_S8_S8_S8_S8_S8_EEEEPS9_S9_NSD_9__find_if7functorIS9_EEEE10hipError_tPvRmT1_T2_T3_mT4_P12ihipStream_tbEUlT_E1_NS1_11comp_targetILNS1_3genE8ELNS1_11target_archE1030ELNS1_3gpuE2ELNS1_3repE0EEENS1_30default_config_static_selectorELNS0_4arch9wavefront6targetE1EEEvS17_
	.p2align	8
	.type	_ZN7rocprim17ROCPRIM_400000_NS6detail17trampoline_kernelINS0_14default_configENS1_22reduce_config_selectorIN6thrust23THRUST_200600_302600_NS5tupleIblNS6_9null_typeES8_S8_S8_S8_S8_S8_S8_EEEEZNS1_11reduce_implILb1ES3_NS6_12zip_iteratorINS7_INS6_11hip_rocprim26transform_input_iterator_tIbPiNS6_6detail10functional5actorINSH_9compositeIJNSH_27transparent_binary_operatorINS6_8equal_toIvEEEENSI_INSH_8argumentILj0EEEEENSH_5valueIiEEEEEEEEENSD_19counting_iterator_tIlEES8_S8_S8_S8_S8_S8_S8_S8_EEEEPS9_S9_NSD_9__find_if7functorIS9_EEEE10hipError_tPvRmT1_T2_T3_mT4_P12ihipStream_tbEUlT_E1_NS1_11comp_targetILNS1_3genE8ELNS1_11target_archE1030ELNS1_3gpuE2ELNS1_3repE0EEENS1_30default_config_static_selectorELNS0_4arch9wavefront6targetE1EEEvS17_,@function
_ZN7rocprim17ROCPRIM_400000_NS6detail17trampoline_kernelINS0_14default_configENS1_22reduce_config_selectorIN6thrust23THRUST_200600_302600_NS5tupleIblNS6_9null_typeES8_S8_S8_S8_S8_S8_S8_EEEEZNS1_11reduce_implILb1ES3_NS6_12zip_iteratorINS7_INS6_11hip_rocprim26transform_input_iterator_tIbPiNS6_6detail10functional5actorINSH_9compositeIJNSH_27transparent_binary_operatorINS6_8equal_toIvEEEENSI_INSH_8argumentILj0EEEEENSH_5valueIiEEEEEEEEENSD_19counting_iterator_tIlEES8_S8_S8_S8_S8_S8_S8_S8_EEEEPS9_S9_NSD_9__find_if7functorIS9_EEEE10hipError_tPvRmT1_T2_T3_mT4_P12ihipStream_tbEUlT_E1_NS1_11comp_targetILNS1_3genE8ELNS1_11target_archE1030ELNS1_3gpuE2ELNS1_3repE0EEENS1_30default_config_static_selectorELNS0_4arch9wavefront6targetE1EEEvS17_: ; @_ZN7rocprim17ROCPRIM_400000_NS6detail17trampoline_kernelINS0_14default_configENS1_22reduce_config_selectorIN6thrust23THRUST_200600_302600_NS5tupleIblNS6_9null_typeES8_S8_S8_S8_S8_S8_S8_EEEEZNS1_11reduce_implILb1ES3_NS6_12zip_iteratorINS7_INS6_11hip_rocprim26transform_input_iterator_tIbPiNS6_6detail10functional5actorINSH_9compositeIJNSH_27transparent_binary_operatorINS6_8equal_toIvEEEENSI_INSH_8argumentILj0EEEEENSH_5valueIiEEEEEEEEENSD_19counting_iterator_tIlEES8_S8_S8_S8_S8_S8_S8_S8_EEEEPS9_S9_NSD_9__find_if7functorIS9_EEEE10hipError_tPvRmT1_T2_T3_mT4_P12ihipStream_tbEUlT_E1_NS1_11comp_targetILNS1_3genE8ELNS1_11target_archE1030ELNS1_3gpuE2ELNS1_3repE0EEENS1_30default_config_static_selectorELNS0_4arch9wavefront6targetE1EEEvS17_
; %bb.0:
	.section	.rodata,"a",@progbits
	.p2align	6, 0x0
	.amdhsa_kernel _ZN7rocprim17ROCPRIM_400000_NS6detail17trampoline_kernelINS0_14default_configENS1_22reduce_config_selectorIN6thrust23THRUST_200600_302600_NS5tupleIblNS6_9null_typeES8_S8_S8_S8_S8_S8_S8_EEEEZNS1_11reduce_implILb1ES3_NS6_12zip_iteratorINS7_INS6_11hip_rocprim26transform_input_iterator_tIbPiNS6_6detail10functional5actorINSH_9compositeIJNSH_27transparent_binary_operatorINS6_8equal_toIvEEEENSI_INSH_8argumentILj0EEEEENSH_5valueIiEEEEEEEEENSD_19counting_iterator_tIlEES8_S8_S8_S8_S8_S8_S8_S8_EEEEPS9_S9_NSD_9__find_if7functorIS9_EEEE10hipError_tPvRmT1_T2_T3_mT4_P12ihipStream_tbEUlT_E1_NS1_11comp_targetILNS1_3genE8ELNS1_11target_archE1030ELNS1_3gpuE2ELNS1_3repE0EEENS1_30default_config_static_selectorELNS0_4arch9wavefront6targetE1EEEvS17_
		.amdhsa_group_segment_fixed_size 0
		.amdhsa_private_segment_fixed_size 0
		.amdhsa_kernarg_size 72
		.amdhsa_user_sgpr_count 6
		.amdhsa_user_sgpr_private_segment_buffer 1
		.amdhsa_user_sgpr_dispatch_ptr 0
		.amdhsa_user_sgpr_queue_ptr 0
		.amdhsa_user_sgpr_kernarg_segment_ptr 1
		.amdhsa_user_sgpr_dispatch_id 0
		.amdhsa_user_sgpr_flat_scratch_init 0
		.amdhsa_user_sgpr_private_segment_size 0
		.amdhsa_uses_dynamic_stack 0
		.amdhsa_system_sgpr_private_segment_wavefront_offset 0
		.amdhsa_system_sgpr_workgroup_id_x 1
		.amdhsa_system_sgpr_workgroup_id_y 0
		.amdhsa_system_sgpr_workgroup_id_z 0
		.amdhsa_system_sgpr_workgroup_info 0
		.amdhsa_system_vgpr_workitem_id 0
		.amdhsa_next_free_vgpr 1
		.amdhsa_next_free_sgpr 0
		.amdhsa_reserve_vcc 0
		.amdhsa_reserve_flat_scratch 0
		.amdhsa_float_round_mode_32 0
		.amdhsa_float_round_mode_16_64 0
		.amdhsa_float_denorm_mode_32 3
		.amdhsa_float_denorm_mode_16_64 3
		.amdhsa_dx10_clamp 1
		.amdhsa_ieee_mode 1
		.amdhsa_fp16_overflow 0
		.amdhsa_exception_fp_ieee_invalid_op 0
		.amdhsa_exception_fp_denorm_src 0
		.amdhsa_exception_fp_ieee_div_zero 0
		.amdhsa_exception_fp_ieee_overflow 0
		.amdhsa_exception_fp_ieee_underflow 0
		.amdhsa_exception_fp_ieee_inexact 0
		.amdhsa_exception_int_div_zero 0
	.end_amdhsa_kernel
	.section	.text._ZN7rocprim17ROCPRIM_400000_NS6detail17trampoline_kernelINS0_14default_configENS1_22reduce_config_selectorIN6thrust23THRUST_200600_302600_NS5tupleIblNS6_9null_typeES8_S8_S8_S8_S8_S8_S8_EEEEZNS1_11reduce_implILb1ES3_NS6_12zip_iteratorINS7_INS6_11hip_rocprim26transform_input_iterator_tIbPiNS6_6detail10functional5actorINSH_9compositeIJNSH_27transparent_binary_operatorINS6_8equal_toIvEEEENSI_INSH_8argumentILj0EEEEENSH_5valueIiEEEEEEEEENSD_19counting_iterator_tIlEES8_S8_S8_S8_S8_S8_S8_S8_EEEEPS9_S9_NSD_9__find_if7functorIS9_EEEE10hipError_tPvRmT1_T2_T3_mT4_P12ihipStream_tbEUlT_E1_NS1_11comp_targetILNS1_3genE8ELNS1_11target_archE1030ELNS1_3gpuE2ELNS1_3repE0EEENS1_30default_config_static_selectorELNS0_4arch9wavefront6targetE1EEEvS17_,"axG",@progbits,_ZN7rocprim17ROCPRIM_400000_NS6detail17trampoline_kernelINS0_14default_configENS1_22reduce_config_selectorIN6thrust23THRUST_200600_302600_NS5tupleIblNS6_9null_typeES8_S8_S8_S8_S8_S8_S8_EEEEZNS1_11reduce_implILb1ES3_NS6_12zip_iteratorINS7_INS6_11hip_rocprim26transform_input_iterator_tIbPiNS6_6detail10functional5actorINSH_9compositeIJNSH_27transparent_binary_operatorINS6_8equal_toIvEEEENSI_INSH_8argumentILj0EEEEENSH_5valueIiEEEEEEEEENSD_19counting_iterator_tIlEES8_S8_S8_S8_S8_S8_S8_S8_EEEEPS9_S9_NSD_9__find_if7functorIS9_EEEE10hipError_tPvRmT1_T2_T3_mT4_P12ihipStream_tbEUlT_E1_NS1_11comp_targetILNS1_3genE8ELNS1_11target_archE1030ELNS1_3gpuE2ELNS1_3repE0EEENS1_30default_config_static_selectorELNS0_4arch9wavefront6targetE1EEEvS17_,comdat
.Lfunc_end991:
	.size	_ZN7rocprim17ROCPRIM_400000_NS6detail17trampoline_kernelINS0_14default_configENS1_22reduce_config_selectorIN6thrust23THRUST_200600_302600_NS5tupleIblNS6_9null_typeES8_S8_S8_S8_S8_S8_S8_EEEEZNS1_11reduce_implILb1ES3_NS6_12zip_iteratorINS7_INS6_11hip_rocprim26transform_input_iterator_tIbPiNS6_6detail10functional5actorINSH_9compositeIJNSH_27transparent_binary_operatorINS6_8equal_toIvEEEENSI_INSH_8argumentILj0EEEEENSH_5valueIiEEEEEEEEENSD_19counting_iterator_tIlEES8_S8_S8_S8_S8_S8_S8_S8_EEEEPS9_S9_NSD_9__find_if7functorIS9_EEEE10hipError_tPvRmT1_T2_T3_mT4_P12ihipStream_tbEUlT_E1_NS1_11comp_targetILNS1_3genE8ELNS1_11target_archE1030ELNS1_3gpuE2ELNS1_3repE0EEENS1_30default_config_static_selectorELNS0_4arch9wavefront6targetE1EEEvS17_, .Lfunc_end991-_ZN7rocprim17ROCPRIM_400000_NS6detail17trampoline_kernelINS0_14default_configENS1_22reduce_config_selectorIN6thrust23THRUST_200600_302600_NS5tupleIblNS6_9null_typeES8_S8_S8_S8_S8_S8_S8_EEEEZNS1_11reduce_implILb1ES3_NS6_12zip_iteratorINS7_INS6_11hip_rocprim26transform_input_iterator_tIbPiNS6_6detail10functional5actorINSH_9compositeIJNSH_27transparent_binary_operatorINS6_8equal_toIvEEEENSI_INSH_8argumentILj0EEEEENSH_5valueIiEEEEEEEEENSD_19counting_iterator_tIlEES8_S8_S8_S8_S8_S8_S8_S8_EEEEPS9_S9_NSD_9__find_if7functorIS9_EEEE10hipError_tPvRmT1_T2_T3_mT4_P12ihipStream_tbEUlT_E1_NS1_11comp_targetILNS1_3genE8ELNS1_11target_archE1030ELNS1_3gpuE2ELNS1_3repE0EEENS1_30default_config_static_selectorELNS0_4arch9wavefront6targetE1EEEvS17_
                                        ; -- End function
	.set _ZN7rocprim17ROCPRIM_400000_NS6detail17trampoline_kernelINS0_14default_configENS1_22reduce_config_selectorIN6thrust23THRUST_200600_302600_NS5tupleIblNS6_9null_typeES8_S8_S8_S8_S8_S8_S8_EEEEZNS1_11reduce_implILb1ES3_NS6_12zip_iteratorINS7_INS6_11hip_rocprim26transform_input_iterator_tIbPiNS6_6detail10functional5actorINSH_9compositeIJNSH_27transparent_binary_operatorINS6_8equal_toIvEEEENSI_INSH_8argumentILj0EEEEENSH_5valueIiEEEEEEEEENSD_19counting_iterator_tIlEES8_S8_S8_S8_S8_S8_S8_S8_EEEEPS9_S9_NSD_9__find_if7functorIS9_EEEE10hipError_tPvRmT1_T2_T3_mT4_P12ihipStream_tbEUlT_E1_NS1_11comp_targetILNS1_3genE8ELNS1_11target_archE1030ELNS1_3gpuE2ELNS1_3repE0EEENS1_30default_config_static_selectorELNS0_4arch9wavefront6targetE1EEEvS17_.num_vgpr, 0
	.set _ZN7rocprim17ROCPRIM_400000_NS6detail17trampoline_kernelINS0_14default_configENS1_22reduce_config_selectorIN6thrust23THRUST_200600_302600_NS5tupleIblNS6_9null_typeES8_S8_S8_S8_S8_S8_S8_EEEEZNS1_11reduce_implILb1ES3_NS6_12zip_iteratorINS7_INS6_11hip_rocprim26transform_input_iterator_tIbPiNS6_6detail10functional5actorINSH_9compositeIJNSH_27transparent_binary_operatorINS6_8equal_toIvEEEENSI_INSH_8argumentILj0EEEEENSH_5valueIiEEEEEEEEENSD_19counting_iterator_tIlEES8_S8_S8_S8_S8_S8_S8_S8_EEEEPS9_S9_NSD_9__find_if7functorIS9_EEEE10hipError_tPvRmT1_T2_T3_mT4_P12ihipStream_tbEUlT_E1_NS1_11comp_targetILNS1_3genE8ELNS1_11target_archE1030ELNS1_3gpuE2ELNS1_3repE0EEENS1_30default_config_static_selectorELNS0_4arch9wavefront6targetE1EEEvS17_.num_agpr, 0
	.set _ZN7rocprim17ROCPRIM_400000_NS6detail17trampoline_kernelINS0_14default_configENS1_22reduce_config_selectorIN6thrust23THRUST_200600_302600_NS5tupleIblNS6_9null_typeES8_S8_S8_S8_S8_S8_S8_EEEEZNS1_11reduce_implILb1ES3_NS6_12zip_iteratorINS7_INS6_11hip_rocprim26transform_input_iterator_tIbPiNS6_6detail10functional5actorINSH_9compositeIJNSH_27transparent_binary_operatorINS6_8equal_toIvEEEENSI_INSH_8argumentILj0EEEEENSH_5valueIiEEEEEEEEENSD_19counting_iterator_tIlEES8_S8_S8_S8_S8_S8_S8_S8_EEEEPS9_S9_NSD_9__find_if7functorIS9_EEEE10hipError_tPvRmT1_T2_T3_mT4_P12ihipStream_tbEUlT_E1_NS1_11comp_targetILNS1_3genE8ELNS1_11target_archE1030ELNS1_3gpuE2ELNS1_3repE0EEENS1_30default_config_static_selectorELNS0_4arch9wavefront6targetE1EEEvS17_.numbered_sgpr, 0
	.set _ZN7rocprim17ROCPRIM_400000_NS6detail17trampoline_kernelINS0_14default_configENS1_22reduce_config_selectorIN6thrust23THRUST_200600_302600_NS5tupleIblNS6_9null_typeES8_S8_S8_S8_S8_S8_S8_EEEEZNS1_11reduce_implILb1ES3_NS6_12zip_iteratorINS7_INS6_11hip_rocprim26transform_input_iterator_tIbPiNS6_6detail10functional5actorINSH_9compositeIJNSH_27transparent_binary_operatorINS6_8equal_toIvEEEENSI_INSH_8argumentILj0EEEEENSH_5valueIiEEEEEEEEENSD_19counting_iterator_tIlEES8_S8_S8_S8_S8_S8_S8_S8_EEEEPS9_S9_NSD_9__find_if7functorIS9_EEEE10hipError_tPvRmT1_T2_T3_mT4_P12ihipStream_tbEUlT_E1_NS1_11comp_targetILNS1_3genE8ELNS1_11target_archE1030ELNS1_3gpuE2ELNS1_3repE0EEENS1_30default_config_static_selectorELNS0_4arch9wavefront6targetE1EEEvS17_.num_named_barrier, 0
	.set _ZN7rocprim17ROCPRIM_400000_NS6detail17trampoline_kernelINS0_14default_configENS1_22reduce_config_selectorIN6thrust23THRUST_200600_302600_NS5tupleIblNS6_9null_typeES8_S8_S8_S8_S8_S8_S8_EEEEZNS1_11reduce_implILb1ES3_NS6_12zip_iteratorINS7_INS6_11hip_rocprim26transform_input_iterator_tIbPiNS6_6detail10functional5actorINSH_9compositeIJNSH_27transparent_binary_operatorINS6_8equal_toIvEEEENSI_INSH_8argumentILj0EEEEENSH_5valueIiEEEEEEEEENSD_19counting_iterator_tIlEES8_S8_S8_S8_S8_S8_S8_S8_EEEEPS9_S9_NSD_9__find_if7functorIS9_EEEE10hipError_tPvRmT1_T2_T3_mT4_P12ihipStream_tbEUlT_E1_NS1_11comp_targetILNS1_3genE8ELNS1_11target_archE1030ELNS1_3gpuE2ELNS1_3repE0EEENS1_30default_config_static_selectorELNS0_4arch9wavefront6targetE1EEEvS17_.private_seg_size, 0
	.set _ZN7rocprim17ROCPRIM_400000_NS6detail17trampoline_kernelINS0_14default_configENS1_22reduce_config_selectorIN6thrust23THRUST_200600_302600_NS5tupleIblNS6_9null_typeES8_S8_S8_S8_S8_S8_S8_EEEEZNS1_11reduce_implILb1ES3_NS6_12zip_iteratorINS7_INS6_11hip_rocprim26transform_input_iterator_tIbPiNS6_6detail10functional5actorINSH_9compositeIJNSH_27transparent_binary_operatorINS6_8equal_toIvEEEENSI_INSH_8argumentILj0EEEEENSH_5valueIiEEEEEEEEENSD_19counting_iterator_tIlEES8_S8_S8_S8_S8_S8_S8_S8_EEEEPS9_S9_NSD_9__find_if7functorIS9_EEEE10hipError_tPvRmT1_T2_T3_mT4_P12ihipStream_tbEUlT_E1_NS1_11comp_targetILNS1_3genE8ELNS1_11target_archE1030ELNS1_3gpuE2ELNS1_3repE0EEENS1_30default_config_static_selectorELNS0_4arch9wavefront6targetE1EEEvS17_.uses_vcc, 0
	.set _ZN7rocprim17ROCPRIM_400000_NS6detail17trampoline_kernelINS0_14default_configENS1_22reduce_config_selectorIN6thrust23THRUST_200600_302600_NS5tupleIblNS6_9null_typeES8_S8_S8_S8_S8_S8_S8_EEEEZNS1_11reduce_implILb1ES3_NS6_12zip_iteratorINS7_INS6_11hip_rocprim26transform_input_iterator_tIbPiNS6_6detail10functional5actorINSH_9compositeIJNSH_27transparent_binary_operatorINS6_8equal_toIvEEEENSI_INSH_8argumentILj0EEEEENSH_5valueIiEEEEEEEEENSD_19counting_iterator_tIlEES8_S8_S8_S8_S8_S8_S8_S8_EEEEPS9_S9_NSD_9__find_if7functorIS9_EEEE10hipError_tPvRmT1_T2_T3_mT4_P12ihipStream_tbEUlT_E1_NS1_11comp_targetILNS1_3genE8ELNS1_11target_archE1030ELNS1_3gpuE2ELNS1_3repE0EEENS1_30default_config_static_selectorELNS0_4arch9wavefront6targetE1EEEvS17_.uses_flat_scratch, 0
	.set _ZN7rocprim17ROCPRIM_400000_NS6detail17trampoline_kernelINS0_14default_configENS1_22reduce_config_selectorIN6thrust23THRUST_200600_302600_NS5tupleIblNS6_9null_typeES8_S8_S8_S8_S8_S8_S8_EEEEZNS1_11reduce_implILb1ES3_NS6_12zip_iteratorINS7_INS6_11hip_rocprim26transform_input_iterator_tIbPiNS6_6detail10functional5actorINSH_9compositeIJNSH_27transparent_binary_operatorINS6_8equal_toIvEEEENSI_INSH_8argumentILj0EEEEENSH_5valueIiEEEEEEEEENSD_19counting_iterator_tIlEES8_S8_S8_S8_S8_S8_S8_S8_EEEEPS9_S9_NSD_9__find_if7functorIS9_EEEE10hipError_tPvRmT1_T2_T3_mT4_P12ihipStream_tbEUlT_E1_NS1_11comp_targetILNS1_3genE8ELNS1_11target_archE1030ELNS1_3gpuE2ELNS1_3repE0EEENS1_30default_config_static_selectorELNS0_4arch9wavefront6targetE1EEEvS17_.has_dyn_sized_stack, 0
	.set _ZN7rocprim17ROCPRIM_400000_NS6detail17trampoline_kernelINS0_14default_configENS1_22reduce_config_selectorIN6thrust23THRUST_200600_302600_NS5tupleIblNS6_9null_typeES8_S8_S8_S8_S8_S8_S8_EEEEZNS1_11reduce_implILb1ES3_NS6_12zip_iteratorINS7_INS6_11hip_rocprim26transform_input_iterator_tIbPiNS6_6detail10functional5actorINSH_9compositeIJNSH_27transparent_binary_operatorINS6_8equal_toIvEEEENSI_INSH_8argumentILj0EEEEENSH_5valueIiEEEEEEEEENSD_19counting_iterator_tIlEES8_S8_S8_S8_S8_S8_S8_S8_EEEEPS9_S9_NSD_9__find_if7functorIS9_EEEE10hipError_tPvRmT1_T2_T3_mT4_P12ihipStream_tbEUlT_E1_NS1_11comp_targetILNS1_3genE8ELNS1_11target_archE1030ELNS1_3gpuE2ELNS1_3repE0EEENS1_30default_config_static_selectorELNS0_4arch9wavefront6targetE1EEEvS17_.has_recursion, 0
	.set _ZN7rocprim17ROCPRIM_400000_NS6detail17trampoline_kernelINS0_14default_configENS1_22reduce_config_selectorIN6thrust23THRUST_200600_302600_NS5tupleIblNS6_9null_typeES8_S8_S8_S8_S8_S8_S8_EEEEZNS1_11reduce_implILb1ES3_NS6_12zip_iteratorINS7_INS6_11hip_rocprim26transform_input_iterator_tIbPiNS6_6detail10functional5actorINSH_9compositeIJNSH_27transparent_binary_operatorINS6_8equal_toIvEEEENSI_INSH_8argumentILj0EEEEENSH_5valueIiEEEEEEEEENSD_19counting_iterator_tIlEES8_S8_S8_S8_S8_S8_S8_S8_EEEEPS9_S9_NSD_9__find_if7functorIS9_EEEE10hipError_tPvRmT1_T2_T3_mT4_P12ihipStream_tbEUlT_E1_NS1_11comp_targetILNS1_3genE8ELNS1_11target_archE1030ELNS1_3gpuE2ELNS1_3repE0EEENS1_30default_config_static_selectorELNS0_4arch9wavefront6targetE1EEEvS17_.has_indirect_call, 0
	.section	.AMDGPU.csdata,"",@progbits
; Kernel info:
; codeLenInByte = 0
; TotalNumSgprs: 4
; NumVgprs: 0
; ScratchSize: 0
; MemoryBound: 0
; FloatMode: 240
; IeeeMode: 1
; LDSByteSize: 0 bytes/workgroup (compile time only)
; SGPRBlocks: 0
; VGPRBlocks: 0
; NumSGPRsForWavesPerEU: 4
; NumVGPRsForWavesPerEU: 1
; Occupancy: 10
; WaveLimiterHint : 0
; COMPUTE_PGM_RSRC2:SCRATCH_EN: 0
; COMPUTE_PGM_RSRC2:USER_SGPR: 6
; COMPUTE_PGM_RSRC2:TRAP_HANDLER: 0
; COMPUTE_PGM_RSRC2:TGID_X_EN: 1
; COMPUTE_PGM_RSRC2:TGID_Y_EN: 0
; COMPUTE_PGM_RSRC2:TGID_Z_EN: 0
; COMPUTE_PGM_RSRC2:TIDIG_COMP_CNT: 0
	.section	.text._ZN7rocprim17ROCPRIM_400000_NS6detail17trampoline_kernelINS0_13kernel_configILj256ELj4ELj4294967295EEENS1_37radix_sort_block_sort_config_selectorIllEEZNS1_21radix_sort_block_sortIS4_Lb0EPlS8_N6thrust23THRUST_200600_302600_NS10device_ptrIlEESC_NS0_19identity_decomposerEEE10hipError_tT1_T2_T3_T4_jRjT5_jjP12ihipStream_tbEUlT_E_NS1_11comp_targetILNS1_3genE0ELNS1_11target_archE4294967295ELNS1_3gpuE0ELNS1_3repE0EEENS1_44radix_sort_block_sort_config_static_selectorELNS0_4arch9wavefront6targetE1EEEvSF_,"axG",@progbits,_ZN7rocprim17ROCPRIM_400000_NS6detail17trampoline_kernelINS0_13kernel_configILj256ELj4ELj4294967295EEENS1_37radix_sort_block_sort_config_selectorIllEEZNS1_21radix_sort_block_sortIS4_Lb0EPlS8_N6thrust23THRUST_200600_302600_NS10device_ptrIlEESC_NS0_19identity_decomposerEEE10hipError_tT1_T2_T3_T4_jRjT5_jjP12ihipStream_tbEUlT_E_NS1_11comp_targetILNS1_3genE0ELNS1_11target_archE4294967295ELNS1_3gpuE0ELNS1_3repE0EEENS1_44radix_sort_block_sort_config_static_selectorELNS0_4arch9wavefront6targetE1EEEvSF_,comdat
	.protected	_ZN7rocprim17ROCPRIM_400000_NS6detail17trampoline_kernelINS0_13kernel_configILj256ELj4ELj4294967295EEENS1_37radix_sort_block_sort_config_selectorIllEEZNS1_21radix_sort_block_sortIS4_Lb0EPlS8_N6thrust23THRUST_200600_302600_NS10device_ptrIlEESC_NS0_19identity_decomposerEEE10hipError_tT1_T2_T3_T4_jRjT5_jjP12ihipStream_tbEUlT_E_NS1_11comp_targetILNS1_3genE0ELNS1_11target_archE4294967295ELNS1_3gpuE0ELNS1_3repE0EEENS1_44radix_sort_block_sort_config_static_selectorELNS0_4arch9wavefront6targetE1EEEvSF_ ; -- Begin function _ZN7rocprim17ROCPRIM_400000_NS6detail17trampoline_kernelINS0_13kernel_configILj256ELj4ELj4294967295EEENS1_37radix_sort_block_sort_config_selectorIllEEZNS1_21radix_sort_block_sortIS4_Lb0EPlS8_N6thrust23THRUST_200600_302600_NS10device_ptrIlEESC_NS0_19identity_decomposerEEE10hipError_tT1_T2_T3_T4_jRjT5_jjP12ihipStream_tbEUlT_E_NS1_11comp_targetILNS1_3genE0ELNS1_11target_archE4294967295ELNS1_3gpuE0ELNS1_3repE0EEENS1_44radix_sort_block_sort_config_static_selectorELNS0_4arch9wavefront6targetE1EEEvSF_
	.globl	_ZN7rocprim17ROCPRIM_400000_NS6detail17trampoline_kernelINS0_13kernel_configILj256ELj4ELj4294967295EEENS1_37radix_sort_block_sort_config_selectorIllEEZNS1_21radix_sort_block_sortIS4_Lb0EPlS8_N6thrust23THRUST_200600_302600_NS10device_ptrIlEESC_NS0_19identity_decomposerEEE10hipError_tT1_T2_T3_T4_jRjT5_jjP12ihipStream_tbEUlT_E_NS1_11comp_targetILNS1_3genE0ELNS1_11target_archE4294967295ELNS1_3gpuE0ELNS1_3repE0EEENS1_44radix_sort_block_sort_config_static_selectorELNS0_4arch9wavefront6targetE1EEEvSF_
	.p2align	8
	.type	_ZN7rocprim17ROCPRIM_400000_NS6detail17trampoline_kernelINS0_13kernel_configILj256ELj4ELj4294967295EEENS1_37radix_sort_block_sort_config_selectorIllEEZNS1_21radix_sort_block_sortIS4_Lb0EPlS8_N6thrust23THRUST_200600_302600_NS10device_ptrIlEESC_NS0_19identity_decomposerEEE10hipError_tT1_T2_T3_T4_jRjT5_jjP12ihipStream_tbEUlT_E_NS1_11comp_targetILNS1_3genE0ELNS1_11target_archE4294967295ELNS1_3gpuE0ELNS1_3repE0EEENS1_44radix_sort_block_sort_config_static_selectorELNS0_4arch9wavefront6targetE1EEEvSF_,@function
_ZN7rocprim17ROCPRIM_400000_NS6detail17trampoline_kernelINS0_13kernel_configILj256ELj4ELj4294967295EEENS1_37radix_sort_block_sort_config_selectorIllEEZNS1_21radix_sort_block_sortIS4_Lb0EPlS8_N6thrust23THRUST_200600_302600_NS10device_ptrIlEESC_NS0_19identity_decomposerEEE10hipError_tT1_T2_T3_T4_jRjT5_jjP12ihipStream_tbEUlT_E_NS1_11comp_targetILNS1_3genE0ELNS1_11target_archE4294967295ELNS1_3gpuE0ELNS1_3repE0EEENS1_44radix_sort_block_sort_config_static_selectorELNS0_4arch9wavefront6targetE1EEEvSF_: ; @_ZN7rocprim17ROCPRIM_400000_NS6detail17trampoline_kernelINS0_13kernel_configILj256ELj4ELj4294967295EEENS1_37radix_sort_block_sort_config_selectorIllEEZNS1_21radix_sort_block_sortIS4_Lb0EPlS8_N6thrust23THRUST_200600_302600_NS10device_ptrIlEESC_NS0_19identity_decomposerEEE10hipError_tT1_T2_T3_T4_jRjT5_jjP12ihipStream_tbEUlT_E_NS1_11comp_targetILNS1_3genE0ELNS1_11target_archE4294967295ELNS1_3gpuE0ELNS1_3repE0EEENS1_44radix_sort_block_sort_config_static_selectorELNS0_4arch9wavefront6targetE1EEEvSF_
; %bb.0:
	.section	.rodata,"a",@progbits
	.p2align	6, 0x0
	.amdhsa_kernel _ZN7rocprim17ROCPRIM_400000_NS6detail17trampoline_kernelINS0_13kernel_configILj256ELj4ELj4294967295EEENS1_37radix_sort_block_sort_config_selectorIllEEZNS1_21radix_sort_block_sortIS4_Lb0EPlS8_N6thrust23THRUST_200600_302600_NS10device_ptrIlEESC_NS0_19identity_decomposerEEE10hipError_tT1_T2_T3_T4_jRjT5_jjP12ihipStream_tbEUlT_E_NS1_11comp_targetILNS1_3genE0ELNS1_11target_archE4294967295ELNS1_3gpuE0ELNS1_3repE0EEENS1_44radix_sort_block_sort_config_static_selectorELNS0_4arch9wavefront6targetE1EEEvSF_
		.amdhsa_group_segment_fixed_size 0
		.amdhsa_private_segment_fixed_size 0
		.amdhsa_kernarg_size 48
		.amdhsa_user_sgpr_count 6
		.amdhsa_user_sgpr_private_segment_buffer 1
		.amdhsa_user_sgpr_dispatch_ptr 0
		.amdhsa_user_sgpr_queue_ptr 0
		.amdhsa_user_sgpr_kernarg_segment_ptr 1
		.amdhsa_user_sgpr_dispatch_id 0
		.amdhsa_user_sgpr_flat_scratch_init 0
		.amdhsa_user_sgpr_private_segment_size 0
		.amdhsa_uses_dynamic_stack 0
		.amdhsa_system_sgpr_private_segment_wavefront_offset 0
		.amdhsa_system_sgpr_workgroup_id_x 1
		.amdhsa_system_sgpr_workgroup_id_y 0
		.amdhsa_system_sgpr_workgroup_id_z 0
		.amdhsa_system_sgpr_workgroup_info 0
		.amdhsa_system_vgpr_workitem_id 0
		.amdhsa_next_free_vgpr 1
		.amdhsa_next_free_sgpr 0
		.amdhsa_reserve_vcc 0
		.amdhsa_reserve_flat_scratch 0
		.amdhsa_float_round_mode_32 0
		.amdhsa_float_round_mode_16_64 0
		.amdhsa_float_denorm_mode_32 3
		.amdhsa_float_denorm_mode_16_64 3
		.amdhsa_dx10_clamp 1
		.amdhsa_ieee_mode 1
		.amdhsa_fp16_overflow 0
		.amdhsa_exception_fp_ieee_invalid_op 0
		.amdhsa_exception_fp_denorm_src 0
		.amdhsa_exception_fp_ieee_div_zero 0
		.amdhsa_exception_fp_ieee_overflow 0
		.amdhsa_exception_fp_ieee_underflow 0
		.amdhsa_exception_fp_ieee_inexact 0
		.amdhsa_exception_int_div_zero 0
	.end_amdhsa_kernel
	.section	.text._ZN7rocprim17ROCPRIM_400000_NS6detail17trampoline_kernelINS0_13kernel_configILj256ELj4ELj4294967295EEENS1_37radix_sort_block_sort_config_selectorIllEEZNS1_21radix_sort_block_sortIS4_Lb0EPlS8_N6thrust23THRUST_200600_302600_NS10device_ptrIlEESC_NS0_19identity_decomposerEEE10hipError_tT1_T2_T3_T4_jRjT5_jjP12ihipStream_tbEUlT_E_NS1_11comp_targetILNS1_3genE0ELNS1_11target_archE4294967295ELNS1_3gpuE0ELNS1_3repE0EEENS1_44radix_sort_block_sort_config_static_selectorELNS0_4arch9wavefront6targetE1EEEvSF_,"axG",@progbits,_ZN7rocprim17ROCPRIM_400000_NS6detail17trampoline_kernelINS0_13kernel_configILj256ELj4ELj4294967295EEENS1_37radix_sort_block_sort_config_selectorIllEEZNS1_21radix_sort_block_sortIS4_Lb0EPlS8_N6thrust23THRUST_200600_302600_NS10device_ptrIlEESC_NS0_19identity_decomposerEEE10hipError_tT1_T2_T3_T4_jRjT5_jjP12ihipStream_tbEUlT_E_NS1_11comp_targetILNS1_3genE0ELNS1_11target_archE4294967295ELNS1_3gpuE0ELNS1_3repE0EEENS1_44radix_sort_block_sort_config_static_selectorELNS0_4arch9wavefront6targetE1EEEvSF_,comdat
.Lfunc_end992:
	.size	_ZN7rocprim17ROCPRIM_400000_NS6detail17trampoline_kernelINS0_13kernel_configILj256ELj4ELj4294967295EEENS1_37radix_sort_block_sort_config_selectorIllEEZNS1_21radix_sort_block_sortIS4_Lb0EPlS8_N6thrust23THRUST_200600_302600_NS10device_ptrIlEESC_NS0_19identity_decomposerEEE10hipError_tT1_T2_T3_T4_jRjT5_jjP12ihipStream_tbEUlT_E_NS1_11comp_targetILNS1_3genE0ELNS1_11target_archE4294967295ELNS1_3gpuE0ELNS1_3repE0EEENS1_44radix_sort_block_sort_config_static_selectorELNS0_4arch9wavefront6targetE1EEEvSF_, .Lfunc_end992-_ZN7rocprim17ROCPRIM_400000_NS6detail17trampoline_kernelINS0_13kernel_configILj256ELj4ELj4294967295EEENS1_37radix_sort_block_sort_config_selectorIllEEZNS1_21radix_sort_block_sortIS4_Lb0EPlS8_N6thrust23THRUST_200600_302600_NS10device_ptrIlEESC_NS0_19identity_decomposerEEE10hipError_tT1_T2_T3_T4_jRjT5_jjP12ihipStream_tbEUlT_E_NS1_11comp_targetILNS1_3genE0ELNS1_11target_archE4294967295ELNS1_3gpuE0ELNS1_3repE0EEENS1_44radix_sort_block_sort_config_static_selectorELNS0_4arch9wavefront6targetE1EEEvSF_
                                        ; -- End function
	.set _ZN7rocprim17ROCPRIM_400000_NS6detail17trampoline_kernelINS0_13kernel_configILj256ELj4ELj4294967295EEENS1_37radix_sort_block_sort_config_selectorIllEEZNS1_21radix_sort_block_sortIS4_Lb0EPlS8_N6thrust23THRUST_200600_302600_NS10device_ptrIlEESC_NS0_19identity_decomposerEEE10hipError_tT1_T2_T3_T4_jRjT5_jjP12ihipStream_tbEUlT_E_NS1_11comp_targetILNS1_3genE0ELNS1_11target_archE4294967295ELNS1_3gpuE0ELNS1_3repE0EEENS1_44radix_sort_block_sort_config_static_selectorELNS0_4arch9wavefront6targetE1EEEvSF_.num_vgpr, 0
	.set _ZN7rocprim17ROCPRIM_400000_NS6detail17trampoline_kernelINS0_13kernel_configILj256ELj4ELj4294967295EEENS1_37radix_sort_block_sort_config_selectorIllEEZNS1_21radix_sort_block_sortIS4_Lb0EPlS8_N6thrust23THRUST_200600_302600_NS10device_ptrIlEESC_NS0_19identity_decomposerEEE10hipError_tT1_T2_T3_T4_jRjT5_jjP12ihipStream_tbEUlT_E_NS1_11comp_targetILNS1_3genE0ELNS1_11target_archE4294967295ELNS1_3gpuE0ELNS1_3repE0EEENS1_44radix_sort_block_sort_config_static_selectorELNS0_4arch9wavefront6targetE1EEEvSF_.num_agpr, 0
	.set _ZN7rocprim17ROCPRIM_400000_NS6detail17trampoline_kernelINS0_13kernel_configILj256ELj4ELj4294967295EEENS1_37radix_sort_block_sort_config_selectorIllEEZNS1_21radix_sort_block_sortIS4_Lb0EPlS8_N6thrust23THRUST_200600_302600_NS10device_ptrIlEESC_NS0_19identity_decomposerEEE10hipError_tT1_T2_T3_T4_jRjT5_jjP12ihipStream_tbEUlT_E_NS1_11comp_targetILNS1_3genE0ELNS1_11target_archE4294967295ELNS1_3gpuE0ELNS1_3repE0EEENS1_44radix_sort_block_sort_config_static_selectorELNS0_4arch9wavefront6targetE1EEEvSF_.numbered_sgpr, 0
	.set _ZN7rocprim17ROCPRIM_400000_NS6detail17trampoline_kernelINS0_13kernel_configILj256ELj4ELj4294967295EEENS1_37radix_sort_block_sort_config_selectorIllEEZNS1_21radix_sort_block_sortIS4_Lb0EPlS8_N6thrust23THRUST_200600_302600_NS10device_ptrIlEESC_NS0_19identity_decomposerEEE10hipError_tT1_T2_T3_T4_jRjT5_jjP12ihipStream_tbEUlT_E_NS1_11comp_targetILNS1_3genE0ELNS1_11target_archE4294967295ELNS1_3gpuE0ELNS1_3repE0EEENS1_44radix_sort_block_sort_config_static_selectorELNS0_4arch9wavefront6targetE1EEEvSF_.num_named_barrier, 0
	.set _ZN7rocprim17ROCPRIM_400000_NS6detail17trampoline_kernelINS0_13kernel_configILj256ELj4ELj4294967295EEENS1_37radix_sort_block_sort_config_selectorIllEEZNS1_21radix_sort_block_sortIS4_Lb0EPlS8_N6thrust23THRUST_200600_302600_NS10device_ptrIlEESC_NS0_19identity_decomposerEEE10hipError_tT1_T2_T3_T4_jRjT5_jjP12ihipStream_tbEUlT_E_NS1_11comp_targetILNS1_3genE0ELNS1_11target_archE4294967295ELNS1_3gpuE0ELNS1_3repE0EEENS1_44radix_sort_block_sort_config_static_selectorELNS0_4arch9wavefront6targetE1EEEvSF_.private_seg_size, 0
	.set _ZN7rocprim17ROCPRIM_400000_NS6detail17trampoline_kernelINS0_13kernel_configILj256ELj4ELj4294967295EEENS1_37radix_sort_block_sort_config_selectorIllEEZNS1_21radix_sort_block_sortIS4_Lb0EPlS8_N6thrust23THRUST_200600_302600_NS10device_ptrIlEESC_NS0_19identity_decomposerEEE10hipError_tT1_T2_T3_T4_jRjT5_jjP12ihipStream_tbEUlT_E_NS1_11comp_targetILNS1_3genE0ELNS1_11target_archE4294967295ELNS1_3gpuE0ELNS1_3repE0EEENS1_44radix_sort_block_sort_config_static_selectorELNS0_4arch9wavefront6targetE1EEEvSF_.uses_vcc, 0
	.set _ZN7rocprim17ROCPRIM_400000_NS6detail17trampoline_kernelINS0_13kernel_configILj256ELj4ELj4294967295EEENS1_37radix_sort_block_sort_config_selectorIllEEZNS1_21radix_sort_block_sortIS4_Lb0EPlS8_N6thrust23THRUST_200600_302600_NS10device_ptrIlEESC_NS0_19identity_decomposerEEE10hipError_tT1_T2_T3_T4_jRjT5_jjP12ihipStream_tbEUlT_E_NS1_11comp_targetILNS1_3genE0ELNS1_11target_archE4294967295ELNS1_3gpuE0ELNS1_3repE0EEENS1_44radix_sort_block_sort_config_static_selectorELNS0_4arch9wavefront6targetE1EEEvSF_.uses_flat_scratch, 0
	.set _ZN7rocprim17ROCPRIM_400000_NS6detail17trampoline_kernelINS0_13kernel_configILj256ELj4ELj4294967295EEENS1_37radix_sort_block_sort_config_selectorIllEEZNS1_21radix_sort_block_sortIS4_Lb0EPlS8_N6thrust23THRUST_200600_302600_NS10device_ptrIlEESC_NS0_19identity_decomposerEEE10hipError_tT1_T2_T3_T4_jRjT5_jjP12ihipStream_tbEUlT_E_NS1_11comp_targetILNS1_3genE0ELNS1_11target_archE4294967295ELNS1_3gpuE0ELNS1_3repE0EEENS1_44radix_sort_block_sort_config_static_selectorELNS0_4arch9wavefront6targetE1EEEvSF_.has_dyn_sized_stack, 0
	.set _ZN7rocprim17ROCPRIM_400000_NS6detail17trampoline_kernelINS0_13kernel_configILj256ELj4ELj4294967295EEENS1_37radix_sort_block_sort_config_selectorIllEEZNS1_21radix_sort_block_sortIS4_Lb0EPlS8_N6thrust23THRUST_200600_302600_NS10device_ptrIlEESC_NS0_19identity_decomposerEEE10hipError_tT1_T2_T3_T4_jRjT5_jjP12ihipStream_tbEUlT_E_NS1_11comp_targetILNS1_3genE0ELNS1_11target_archE4294967295ELNS1_3gpuE0ELNS1_3repE0EEENS1_44radix_sort_block_sort_config_static_selectorELNS0_4arch9wavefront6targetE1EEEvSF_.has_recursion, 0
	.set _ZN7rocprim17ROCPRIM_400000_NS6detail17trampoline_kernelINS0_13kernel_configILj256ELj4ELj4294967295EEENS1_37radix_sort_block_sort_config_selectorIllEEZNS1_21radix_sort_block_sortIS4_Lb0EPlS8_N6thrust23THRUST_200600_302600_NS10device_ptrIlEESC_NS0_19identity_decomposerEEE10hipError_tT1_T2_T3_T4_jRjT5_jjP12ihipStream_tbEUlT_E_NS1_11comp_targetILNS1_3genE0ELNS1_11target_archE4294967295ELNS1_3gpuE0ELNS1_3repE0EEENS1_44radix_sort_block_sort_config_static_selectorELNS0_4arch9wavefront6targetE1EEEvSF_.has_indirect_call, 0
	.section	.AMDGPU.csdata,"",@progbits
; Kernel info:
; codeLenInByte = 0
; TotalNumSgprs: 4
; NumVgprs: 0
; ScratchSize: 0
; MemoryBound: 0
; FloatMode: 240
; IeeeMode: 1
; LDSByteSize: 0 bytes/workgroup (compile time only)
; SGPRBlocks: 0
; VGPRBlocks: 0
; NumSGPRsForWavesPerEU: 4
; NumVGPRsForWavesPerEU: 1
; Occupancy: 10
; WaveLimiterHint : 0
; COMPUTE_PGM_RSRC2:SCRATCH_EN: 0
; COMPUTE_PGM_RSRC2:USER_SGPR: 6
; COMPUTE_PGM_RSRC2:TRAP_HANDLER: 0
; COMPUTE_PGM_RSRC2:TGID_X_EN: 1
; COMPUTE_PGM_RSRC2:TGID_Y_EN: 0
; COMPUTE_PGM_RSRC2:TGID_Z_EN: 0
; COMPUTE_PGM_RSRC2:TIDIG_COMP_CNT: 0
	.section	.text._ZN7rocprim17ROCPRIM_400000_NS6detail17trampoline_kernelINS0_13kernel_configILj256ELj4ELj4294967295EEENS1_37radix_sort_block_sort_config_selectorIllEEZNS1_21radix_sort_block_sortIS4_Lb0EPlS8_N6thrust23THRUST_200600_302600_NS10device_ptrIlEESC_NS0_19identity_decomposerEEE10hipError_tT1_T2_T3_T4_jRjT5_jjP12ihipStream_tbEUlT_E_NS1_11comp_targetILNS1_3genE5ELNS1_11target_archE942ELNS1_3gpuE9ELNS1_3repE0EEENS1_44radix_sort_block_sort_config_static_selectorELNS0_4arch9wavefront6targetE1EEEvSF_,"axG",@progbits,_ZN7rocprim17ROCPRIM_400000_NS6detail17trampoline_kernelINS0_13kernel_configILj256ELj4ELj4294967295EEENS1_37radix_sort_block_sort_config_selectorIllEEZNS1_21radix_sort_block_sortIS4_Lb0EPlS8_N6thrust23THRUST_200600_302600_NS10device_ptrIlEESC_NS0_19identity_decomposerEEE10hipError_tT1_T2_T3_T4_jRjT5_jjP12ihipStream_tbEUlT_E_NS1_11comp_targetILNS1_3genE5ELNS1_11target_archE942ELNS1_3gpuE9ELNS1_3repE0EEENS1_44radix_sort_block_sort_config_static_selectorELNS0_4arch9wavefront6targetE1EEEvSF_,comdat
	.protected	_ZN7rocprim17ROCPRIM_400000_NS6detail17trampoline_kernelINS0_13kernel_configILj256ELj4ELj4294967295EEENS1_37radix_sort_block_sort_config_selectorIllEEZNS1_21radix_sort_block_sortIS4_Lb0EPlS8_N6thrust23THRUST_200600_302600_NS10device_ptrIlEESC_NS0_19identity_decomposerEEE10hipError_tT1_T2_T3_T4_jRjT5_jjP12ihipStream_tbEUlT_E_NS1_11comp_targetILNS1_3genE5ELNS1_11target_archE942ELNS1_3gpuE9ELNS1_3repE0EEENS1_44radix_sort_block_sort_config_static_selectorELNS0_4arch9wavefront6targetE1EEEvSF_ ; -- Begin function _ZN7rocprim17ROCPRIM_400000_NS6detail17trampoline_kernelINS0_13kernel_configILj256ELj4ELj4294967295EEENS1_37radix_sort_block_sort_config_selectorIllEEZNS1_21radix_sort_block_sortIS4_Lb0EPlS8_N6thrust23THRUST_200600_302600_NS10device_ptrIlEESC_NS0_19identity_decomposerEEE10hipError_tT1_T2_T3_T4_jRjT5_jjP12ihipStream_tbEUlT_E_NS1_11comp_targetILNS1_3genE5ELNS1_11target_archE942ELNS1_3gpuE9ELNS1_3repE0EEENS1_44radix_sort_block_sort_config_static_selectorELNS0_4arch9wavefront6targetE1EEEvSF_
	.globl	_ZN7rocprim17ROCPRIM_400000_NS6detail17trampoline_kernelINS0_13kernel_configILj256ELj4ELj4294967295EEENS1_37radix_sort_block_sort_config_selectorIllEEZNS1_21radix_sort_block_sortIS4_Lb0EPlS8_N6thrust23THRUST_200600_302600_NS10device_ptrIlEESC_NS0_19identity_decomposerEEE10hipError_tT1_T2_T3_T4_jRjT5_jjP12ihipStream_tbEUlT_E_NS1_11comp_targetILNS1_3genE5ELNS1_11target_archE942ELNS1_3gpuE9ELNS1_3repE0EEENS1_44radix_sort_block_sort_config_static_selectorELNS0_4arch9wavefront6targetE1EEEvSF_
	.p2align	8
	.type	_ZN7rocprim17ROCPRIM_400000_NS6detail17trampoline_kernelINS0_13kernel_configILj256ELj4ELj4294967295EEENS1_37radix_sort_block_sort_config_selectorIllEEZNS1_21radix_sort_block_sortIS4_Lb0EPlS8_N6thrust23THRUST_200600_302600_NS10device_ptrIlEESC_NS0_19identity_decomposerEEE10hipError_tT1_T2_T3_T4_jRjT5_jjP12ihipStream_tbEUlT_E_NS1_11comp_targetILNS1_3genE5ELNS1_11target_archE942ELNS1_3gpuE9ELNS1_3repE0EEENS1_44radix_sort_block_sort_config_static_selectorELNS0_4arch9wavefront6targetE1EEEvSF_,@function
_ZN7rocprim17ROCPRIM_400000_NS6detail17trampoline_kernelINS0_13kernel_configILj256ELj4ELj4294967295EEENS1_37radix_sort_block_sort_config_selectorIllEEZNS1_21radix_sort_block_sortIS4_Lb0EPlS8_N6thrust23THRUST_200600_302600_NS10device_ptrIlEESC_NS0_19identity_decomposerEEE10hipError_tT1_T2_T3_T4_jRjT5_jjP12ihipStream_tbEUlT_E_NS1_11comp_targetILNS1_3genE5ELNS1_11target_archE942ELNS1_3gpuE9ELNS1_3repE0EEENS1_44radix_sort_block_sort_config_static_selectorELNS0_4arch9wavefront6targetE1EEEvSF_: ; @_ZN7rocprim17ROCPRIM_400000_NS6detail17trampoline_kernelINS0_13kernel_configILj256ELj4ELj4294967295EEENS1_37radix_sort_block_sort_config_selectorIllEEZNS1_21radix_sort_block_sortIS4_Lb0EPlS8_N6thrust23THRUST_200600_302600_NS10device_ptrIlEESC_NS0_19identity_decomposerEEE10hipError_tT1_T2_T3_T4_jRjT5_jjP12ihipStream_tbEUlT_E_NS1_11comp_targetILNS1_3genE5ELNS1_11target_archE942ELNS1_3gpuE9ELNS1_3repE0EEENS1_44radix_sort_block_sort_config_static_selectorELNS0_4arch9wavefront6targetE1EEEvSF_
; %bb.0:
	.section	.rodata,"a",@progbits
	.p2align	6, 0x0
	.amdhsa_kernel _ZN7rocprim17ROCPRIM_400000_NS6detail17trampoline_kernelINS0_13kernel_configILj256ELj4ELj4294967295EEENS1_37radix_sort_block_sort_config_selectorIllEEZNS1_21radix_sort_block_sortIS4_Lb0EPlS8_N6thrust23THRUST_200600_302600_NS10device_ptrIlEESC_NS0_19identity_decomposerEEE10hipError_tT1_T2_T3_T4_jRjT5_jjP12ihipStream_tbEUlT_E_NS1_11comp_targetILNS1_3genE5ELNS1_11target_archE942ELNS1_3gpuE9ELNS1_3repE0EEENS1_44radix_sort_block_sort_config_static_selectorELNS0_4arch9wavefront6targetE1EEEvSF_
		.amdhsa_group_segment_fixed_size 0
		.amdhsa_private_segment_fixed_size 0
		.amdhsa_kernarg_size 48
		.amdhsa_user_sgpr_count 6
		.amdhsa_user_sgpr_private_segment_buffer 1
		.amdhsa_user_sgpr_dispatch_ptr 0
		.amdhsa_user_sgpr_queue_ptr 0
		.amdhsa_user_sgpr_kernarg_segment_ptr 1
		.amdhsa_user_sgpr_dispatch_id 0
		.amdhsa_user_sgpr_flat_scratch_init 0
		.amdhsa_user_sgpr_private_segment_size 0
		.amdhsa_uses_dynamic_stack 0
		.amdhsa_system_sgpr_private_segment_wavefront_offset 0
		.amdhsa_system_sgpr_workgroup_id_x 1
		.amdhsa_system_sgpr_workgroup_id_y 0
		.amdhsa_system_sgpr_workgroup_id_z 0
		.amdhsa_system_sgpr_workgroup_info 0
		.amdhsa_system_vgpr_workitem_id 0
		.amdhsa_next_free_vgpr 1
		.amdhsa_next_free_sgpr 0
		.amdhsa_reserve_vcc 0
		.amdhsa_reserve_flat_scratch 0
		.amdhsa_float_round_mode_32 0
		.amdhsa_float_round_mode_16_64 0
		.amdhsa_float_denorm_mode_32 3
		.amdhsa_float_denorm_mode_16_64 3
		.amdhsa_dx10_clamp 1
		.amdhsa_ieee_mode 1
		.amdhsa_fp16_overflow 0
		.amdhsa_exception_fp_ieee_invalid_op 0
		.amdhsa_exception_fp_denorm_src 0
		.amdhsa_exception_fp_ieee_div_zero 0
		.amdhsa_exception_fp_ieee_overflow 0
		.amdhsa_exception_fp_ieee_underflow 0
		.amdhsa_exception_fp_ieee_inexact 0
		.amdhsa_exception_int_div_zero 0
	.end_amdhsa_kernel
	.section	.text._ZN7rocprim17ROCPRIM_400000_NS6detail17trampoline_kernelINS0_13kernel_configILj256ELj4ELj4294967295EEENS1_37radix_sort_block_sort_config_selectorIllEEZNS1_21radix_sort_block_sortIS4_Lb0EPlS8_N6thrust23THRUST_200600_302600_NS10device_ptrIlEESC_NS0_19identity_decomposerEEE10hipError_tT1_T2_T3_T4_jRjT5_jjP12ihipStream_tbEUlT_E_NS1_11comp_targetILNS1_3genE5ELNS1_11target_archE942ELNS1_3gpuE9ELNS1_3repE0EEENS1_44radix_sort_block_sort_config_static_selectorELNS0_4arch9wavefront6targetE1EEEvSF_,"axG",@progbits,_ZN7rocprim17ROCPRIM_400000_NS6detail17trampoline_kernelINS0_13kernel_configILj256ELj4ELj4294967295EEENS1_37radix_sort_block_sort_config_selectorIllEEZNS1_21radix_sort_block_sortIS4_Lb0EPlS8_N6thrust23THRUST_200600_302600_NS10device_ptrIlEESC_NS0_19identity_decomposerEEE10hipError_tT1_T2_T3_T4_jRjT5_jjP12ihipStream_tbEUlT_E_NS1_11comp_targetILNS1_3genE5ELNS1_11target_archE942ELNS1_3gpuE9ELNS1_3repE0EEENS1_44radix_sort_block_sort_config_static_selectorELNS0_4arch9wavefront6targetE1EEEvSF_,comdat
.Lfunc_end993:
	.size	_ZN7rocprim17ROCPRIM_400000_NS6detail17trampoline_kernelINS0_13kernel_configILj256ELj4ELj4294967295EEENS1_37radix_sort_block_sort_config_selectorIllEEZNS1_21radix_sort_block_sortIS4_Lb0EPlS8_N6thrust23THRUST_200600_302600_NS10device_ptrIlEESC_NS0_19identity_decomposerEEE10hipError_tT1_T2_T3_T4_jRjT5_jjP12ihipStream_tbEUlT_E_NS1_11comp_targetILNS1_3genE5ELNS1_11target_archE942ELNS1_3gpuE9ELNS1_3repE0EEENS1_44radix_sort_block_sort_config_static_selectorELNS0_4arch9wavefront6targetE1EEEvSF_, .Lfunc_end993-_ZN7rocprim17ROCPRIM_400000_NS6detail17trampoline_kernelINS0_13kernel_configILj256ELj4ELj4294967295EEENS1_37radix_sort_block_sort_config_selectorIllEEZNS1_21radix_sort_block_sortIS4_Lb0EPlS8_N6thrust23THRUST_200600_302600_NS10device_ptrIlEESC_NS0_19identity_decomposerEEE10hipError_tT1_T2_T3_T4_jRjT5_jjP12ihipStream_tbEUlT_E_NS1_11comp_targetILNS1_3genE5ELNS1_11target_archE942ELNS1_3gpuE9ELNS1_3repE0EEENS1_44radix_sort_block_sort_config_static_selectorELNS0_4arch9wavefront6targetE1EEEvSF_
                                        ; -- End function
	.set _ZN7rocprim17ROCPRIM_400000_NS6detail17trampoline_kernelINS0_13kernel_configILj256ELj4ELj4294967295EEENS1_37radix_sort_block_sort_config_selectorIllEEZNS1_21radix_sort_block_sortIS4_Lb0EPlS8_N6thrust23THRUST_200600_302600_NS10device_ptrIlEESC_NS0_19identity_decomposerEEE10hipError_tT1_T2_T3_T4_jRjT5_jjP12ihipStream_tbEUlT_E_NS1_11comp_targetILNS1_3genE5ELNS1_11target_archE942ELNS1_3gpuE9ELNS1_3repE0EEENS1_44radix_sort_block_sort_config_static_selectorELNS0_4arch9wavefront6targetE1EEEvSF_.num_vgpr, 0
	.set _ZN7rocprim17ROCPRIM_400000_NS6detail17trampoline_kernelINS0_13kernel_configILj256ELj4ELj4294967295EEENS1_37radix_sort_block_sort_config_selectorIllEEZNS1_21radix_sort_block_sortIS4_Lb0EPlS8_N6thrust23THRUST_200600_302600_NS10device_ptrIlEESC_NS0_19identity_decomposerEEE10hipError_tT1_T2_T3_T4_jRjT5_jjP12ihipStream_tbEUlT_E_NS1_11comp_targetILNS1_3genE5ELNS1_11target_archE942ELNS1_3gpuE9ELNS1_3repE0EEENS1_44radix_sort_block_sort_config_static_selectorELNS0_4arch9wavefront6targetE1EEEvSF_.num_agpr, 0
	.set _ZN7rocprim17ROCPRIM_400000_NS6detail17trampoline_kernelINS0_13kernel_configILj256ELj4ELj4294967295EEENS1_37radix_sort_block_sort_config_selectorIllEEZNS1_21radix_sort_block_sortIS4_Lb0EPlS8_N6thrust23THRUST_200600_302600_NS10device_ptrIlEESC_NS0_19identity_decomposerEEE10hipError_tT1_T2_T3_T4_jRjT5_jjP12ihipStream_tbEUlT_E_NS1_11comp_targetILNS1_3genE5ELNS1_11target_archE942ELNS1_3gpuE9ELNS1_3repE0EEENS1_44radix_sort_block_sort_config_static_selectorELNS0_4arch9wavefront6targetE1EEEvSF_.numbered_sgpr, 0
	.set _ZN7rocprim17ROCPRIM_400000_NS6detail17trampoline_kernelINS0_13kernel_configILj256ELj4ELj4294967295EEENS1_37radix_sort_block_sort_config_selectorIllEEZNS1_21radix_sort_block_sortIS4_Lb0EPlS8_N6thrust23THRUST_200600_302600_NS10device_ptrIlEESC_NS0_19identity_decomposerEEE10hipError_tT1_T2_T3_T4_jRjT5_jjP12ihipStream_tbEUlT_E_NS1_11comp_targetILNS1_3genE5ELNS1_11target_archE942ELNS1_3gpuE9ELNS1_3repE0EEENS1_44radix_sort_block_sort_config_static_selectorELNS0_4arch9wavefront6targetE1EEEvSF_.num_named_barrier, 0
	.set _ZN7rocprim17ROCPRIM_400000_NS6detail17trampoline_kernelINS0_13kernel_configILj256ELj4ELj4294967295EEENS1_37radix_sort_block_sort_config_selectorIllEEZNS1_21radix_sort_block_sortIS4_Lb0EPlS8_N6thrust23THRUST_200600_302600_NS10device_ptrIlEESC_NS0_19identity_decomposerEEE10hipError_tT1_T2_T3_T4_jRjT5_jjP12ihipStream_tbEUlT_E_NS1_11comp_targetILNS1_3genE5ELNS1_11target_archE942ELNS1_3gpuE9ELNS1_3repE0EEENS1_44radix_sort_block_sort_config_static_selectorELNS0_4arch9wavefront6targetE1EEEvSF_.private_seg_size, 0
	.set _ZN7rocprim17ROCPRIM_400000_NS6detail17trampoline_kernelINS0_13kernel_configILj256ELj4ELj4294967295EEENS1_37radix_sort_block_sort_config_selectorIllEEZNS1_21radix_sort_block_sortIS4_Lb0EPlS8_N6thrust23THRUST_200600_302600_NS10device_ptrIlEESC_NS0_19identity_decomposerEEE10hipError_tT1_T2_T3_T4_jRjT5_jjP12ihipStream_tbEUlT_E_NS1_11comp_targetILNS1_3genE5ELNS1_11target_archE942ELNS1_3gpuE9ELNS1_3repE0EEENS1_44radix_sort_block_sort_config_static_selectorELNS0_4arch9wavefront6targetE1EEEvSF_.uses_vcc, 0
	.set _ZN7rocprim17ROCPRIM_400000_NS6detail17trampoline_kernelINS0_13kernel_configILj256ELj4ELj4294967295EEENS1_37radix_sort_block_sort_config_selectorIllEEZNS1_21radix_sort_block_sortIS4_Lb0EPlS8_N6thrust23THRUST_200600_302600_NS10device_ptrIlEESC_NS0_19identity_decomposerEEE10hipError_tT1_T2_T3_T4_jRjT5_jjP12ihipStream_tbEUlT_E_NS1_11comp_targetILNS1_3genE5ELNS1_11target_archE942ELNS1_3gpuE9ELNS1_3repE0EEENS1_44radix_sort_block_sort_config_static_selectorELNS0_4arch9wavefront6targetE1EEEvSF_.uses_flat_scratch, 0
	.set _ZN7rocprim17ROCPRIM_400000_NS6detail17trampoline_kernelINS0_13kernel_configILj256ELj4ELj4294967295EEENS1_37radix_sort_block_sort_config_selectorIllEEZNS1_21radix_sort_block_sortIS4_Lb0EPlS8_N6thrust23THRUST_200600_302600_NS10device_ptrIlEESC_NS0_19identity_decomposerEEE10hipError_tT1_T2_T3_T4_jRjT5_jjP12ihipStream_tbEUlT_E_NS1_11comp_targetILNS1_3genE5ELNS1_11target_archE942ELNS1_3gpuE9ELNS1_3repE0EEENS1_44radix_sort_block_sort_config_static_selectorELNS0_4arch9wavefront6targetE1EEEvSF_.has_dyn_sized_stack, 0
	.set _ZN7rocprim17ROCPRIM_400000_NS6detail17trampoline_kernelINS0_13kernel_configILj256ELj4ELj4294967295EEENS1_37radix_sort_block_sort_config_selectorIllEEZNS1_21radix_sort_block_sortIS4_Lb0EPlS8_N6thrust23THRUST_200600_302600_NS10device_ptrIlEESC_NS0_19identity_decomposerEEE10hipError_tT1_T2_T3_T4_jRjT5_jjP12ihipStream_tbEUlT_E_NS1_11comp_targetILNS1_3genE5ELNS1_11target_archE942ELNS1_3gpuE9ELNS1_3repE0EEENS1_44radix_sort_block_sort_config_static_selectorELNS0_4arch9wavefront6targetE1EEEvSF_.has_recursion, 0
	.set _ZN7rocprim17ROCPRIM_400000_NS6detail17trampoline_kernelINS0_13kernel_configILj256ELj4ELj4294967295EEENS1_37radix_sort_block_sort_config_selectorIllEEZNS1_21radix_sort_block_sortIS4_Lb0EPlS8_N6thrust23THRUST_200600_302600_NS10device_ptrIlEESC_NS0_19identity_decomposerEEE10hipError_tT1_T2_T3_T4_jRjT5_jjP12ihipStream_tbEUlT_E_NS1_11comp_targetILNS1_3genE5ELNS1_11target_archE942ELNS1_3gpuE9ELNS1_3repE0EEENS1_44radix_sort_block_sort_config_static_selectorELNS0_4arch9wavefront6targetE1EEEvSF_.has_indirect_call, 0
	.section	.AMDGPU.csdata,"",@progbits
; Kernel info:
; codeLenInByte = 0
; TotalNumSgprs: 4
; NumVgprs: 0
; ScratchSize: 0
; MemoryBound: 0
; FloatMode: 240
; IeeeMode: 1
; LDSByteSize: 0 bytes/workgroup (compile time only)
; SGPRBlocks: 0
; VGPRBlocks: 0
; NumSGPRsForWavesPerEU: 4
; NumVGPRsForWavesPerEU: 1
; Occupancy: 10
; WaveLimiterHint : 0
; COMPUTE_PGM_RSRC2:SCRATCH_EN: 0
; COMPUTE_PGM_RSRC2:USER_SGPR: 6
; COMPUTE_PGM_RSRC2:TRAP_HANDLER: 0
; COMPUTE_PGM_RSRC2:TGID_X_EN: 1
; COMPUTE_PGM_RSRC2:TGID_Y_EN: 0
; COMPUTE_PGM_RSRC2:TGID_Z_EN: 0
; COMPUTE_PGM_RSRC2:TIDIG_COMP_CNT: 0
	.section	.text._ZN7rocprim17ROCPRIM_400000_NS6detail17trampoline_kernelINS0_13kernel_configILj256ELj4ELj4294967295EEENS1_37radix_sort_block_sort_config_selectorIllEEZNS1_21radix_sort_block_sortIS4_Lb0EPlS8_N6thrust23THRUST_200600_302600_NS10device_ptrIlEESC_NS0_19identity_decomposerEEE10hipError_tT1_T2_T3_T4_jRjT5_jjP12ihipStream_tbEUlT_E_NS1_11comp_targetILNS1_3genE4ELNS1_11target_archE910ELNS1_3gpuE8ELNS1_3repE0EEENS1_44radix_sort_block_sort_config_static_selectorELNS0_4arch9wavefront6targetE1EEEvSF_,"axG",@progbits,_ZN7rocprim17ROCPRIM_400000_NS6detail17trampoline_kernelINS0_13kernel_configILj256ELj4ELj4294967295EEENS1_37radix_sort_block_sort_config_selectorIllEEZNS1_21radix_sort_block_sortIS4_Lb0EPlS8_N6thrust23THRUST_200600_302600_NS10device_ptrIlEESC_NS0_19identity_decomposerEEE10hipError_tT1_T2_T3_T4_jRjT5_jjP12ihipStream_tbEUlT_E_NS1_11comp_targetILNS1_3genE4ELNS1_11target_archE910ELNS1_3gpuE8ELNS1_3repE0EEENS1_44radix_sort_block_sort_config_static_selectorELNS0_4arch9wavefront6targetE1EEEvSF_,comdat
	.protected	_ZN7rocprim17ROCPRIM_400000_NS6detail17trampoline_kernelINS0_13kernel_configILj256ELj4ELj4294967295EEENS1_37radix_sort_block_sort_config_selectorIllEEZNS1_21radix_sort_block_sortIS4_Lb0EPlS8_N6thrust23THRUST_200600_302600_NS10device_ptrIlEESC_NS0_19identity_decomposerEEE10hipError_tT1_T2_T3_T4_jRjT5_jjP12ihipStream_tbEUlT_E_NS1_11comp_targetILNS1_3genE4ELNS1_11target_archE910ELNS1_3gpuE8ELNS1_3repE0EEENS1_44radix_sort_block_sort_config_static_selectorELNS0_4arch9wavefront6targetE1EEEvSF_ ; -- Begin function _ZN7rocprim17ROCPRIM_400000_NS6detail17trampoline_kernelINS0_13kernel_configILj256ELj4ELj4294967295EEENS1_37radix_sort_block_sort_config_selectorIllEEZNS1_21radix_sort_block_sortIS4_Lb0EPlS8_N6thrust23THRUST_200600_302600_NS10device_ptrIlEESC_NS0_19identity_decomposerEEE10hipError_tT1_T2_T3_T4_jRjT5_jjP12ihipStream_tbEUlT_E_NS1_11comp_targetILNS1_3genE4ELNS1_11target_archE910ELNS1_3gpuE8ELNS1_3repE0EEENS1_44radix_sort_block_sort_config_static_selectorELNS0_4arch9wavefront6targetE1EEEvSF_
	.globl	_ZN7rocprim17ROCPRIM_400000_NS6detail17trampoline_kernelINS0_13kernel_configILj256ELj4ELj4294967295EEENS1_37radix_sort_block_sort_config_selectorIllEEZNS1_21radix_sort_block_sortIS4_Lb0EPlS8_N6thrust23THRUST_200600_302600_NS10device_ptrIlEESC_NS0_19identity_decomposerEEE10hipError_tT1_T2_T3_T4_jRjT5_jjP12ihipStream_tbEUlT_E_NS1_11comp_targetILNS1_3genE4ELNS1_11target_archE910ELNS1_3gpuE8ELNS1_3repE0EEENS1_44radix_sort_block_sort_config_static_selectorELNS0_4arch9wavefront6targetE1EEEvSF_
	.p2align	8
	.type	_ZN7rocprim17ROCPRIM_400000_NS6detail17trampoline_kernelINS0_13kernel_configILj256ELj4ELj4294967295EEENS1_37radix_sort_block_sort_config_selectorIllEEZNS1_21radix_sort_block_sortIS4_Lb0EPlS8_N6thrust23THRUST_200600_302600_NS10device_ptrIlEESC_NS0_19identity_decomposerEEE10hipError_tT1_T2_T3_T4_jRjT5_jjP12ihipStream_tbEUlT_E_NS1_11comp_targetILNS1_3genE4ELNS1_11target_archE910ELNS1_3gpuE8ELNS1_3repE0EEENS1_44radix_sort_block_sort_config_static_selectorELNS0_4arch9wavefront6targetE1EEEvSF_,@function
_ZN7rocprim17ROCPRIM_400000_NS6detail17trampoline_kernelINS0_13kernel_configILj256ELj4ELj4294967295EEENS1_37radix_sort_block_sort_config_selectorIllEEZNS1_21radix_sort_block_sortIS4_Lb0EPlS8_N6thrust23THRUST_200600_302600_NS10device_ptrIlEESC_NS0_19identity_decomposerEEE10hipError_tT1_T2_T3_T4_jRjT5_jjP12ihipStream_tbEUlT_E_NS1_11comp_targetILNS1_3genE4ELNS1_11target_archE910ELNS1_3gpuE8ELNS1_3repE0EEENS1_44radix_sort_block_sort_config_static_selectorELNS0_4arch9wavefront6targetE1EEEvSF_: ; @_ZN7rocprim17ROCPRIM_400000_NS6detail17trampoline_kernelINS0_13kernel_configILj256ELj4ELj4294967295EEENS1_37radix_sort_block_sort_config_selectorIllEEZNS1_21radix_sort_block_sortIS4_Lb0EPlS8_N6thrust23THRUST_200600_302600_NS10device_ptrIlEESC_NS0_19identity_decomposerEEE10hipError_tT1_T2_T3_T4_jRjT5_jjP12ihipStream_tbEUlT_E_NS1_11comp_targetILNS1_3genE4ELNS1_11target_archE910ELNS1_3gpuE8ELNS1_3repE0EEENS1_44radix_sort_block_sort_config_static_selectorELNS0_4arch9wavefront6targetE1EEEvSF_
; %bb.0:
	.section	.rodata,"a",@progbits
	.p2align	6, 0x0
	.amdhsa_kernel _ZN7rocprim17ROCPRIM_400000_NS6detail17trampoline_kernelINS0_13kernel_configILj256ELj4ELj4294967295EEENS1_37radix_sort_block_sort_config_selectorIllEEZNS1_21radix_sort_block_sortIS4_Lb0EPlS8_N6thrust23THRUST_200600_302600_NS10device_ptrIlEESC_NS0_19identity_decomposerEEE10hipError_tT1_T2_T3_T4_jRjT5_jjP12ihipStream_tbEUlT_E_NS1_11comp_targetILNS1_3genE4ELNS1_11target_archE910ELNS1_3gpuE8ELNS1_3repE0EEENS1_44radix_sort_block_sort_config_static_selectorELNS0_4arch9wavefront6targetE1EEEvSF_
		.amdhsa_group_segment_fixed_size 0
		.amdhsa_private_segment_fixed_size 0
		.amdhsa_kernarg_size 48
		.amdhsa_user_sgpr_count 6
		.amdhsa_user_sgpr_private_segment_buffer 1
		.amdhsa_user_sgpr_dispatch_ptr 0
		.amdhsa_user_sgpr_queue_ptr 0
		.amdhsa_user_sgpr_kernarg_segment_ptr 1
		.amdhsa_user_sgpr_dispatch_id 0
		.amdhsa_user_sgpr_flat_scratch_init 0
		.amdhsa_user_sgpr_private_segment_size 0
		.amdhsa_uses_dynamic_stack 0
		.amdhsa_system_sgpr_private_segment_wavefront_offset 0
		.amdhsa_system_sgpr_workgroup_id_x 1
		.amdhsa_system_sgpr_workgroup_id_y 0
		.amdhsa_system_sgpr_workgroup_id_z 0
		.amdhsa_system_sgpr_workgroup_info 0
		.amdhsa_system_vgpr_workitem_id 0
		.amdhsa_next_free_vgpr 1
		.amdhsa_next_free_sgpr 0
		.amdhsa_reserve_vcc 0
		.amdhsa_reserve_flat_scratch 0
		.amdhsa_float_round_mode_32 0
		.amdhsa_float_round_mode_16_64 0
		.amdhsa_float_denorm_mode_32 3
		.amdhsa_float_denorm_mode_16_64 3
		.amdhsa_dx10_clamp 1
		.amdhsa_ieee_mode 1
		.amdhsa_fp16_overflow 0
		.amdhsa_exception_fp_ieee_invalid_op 0
		.amdhsa_exception_fp_denorm_src 0
		.amdhsa_exception_fp_ieee_div_zero 0
		.amdhsa_exception_fp_ieee_overflow 0
		.amdhsa_exception_fp_ieee_underflow 0
		.amdhsa_exception_fp_ieee_inexact 0
		.amdhsa_exception_int_div_zero 0
	.end_amdhsa_kernel
	.section	.text._ZN7rocprim17ROCPRIM_400000_NS6detail17trampoline_kernelINS0_13kernel_configILj256ELj4ELj4294967295EEENS1_37radix_sort_block_sort_config_selectorIllEEZNS1_21radix_sort_block_sortIS4_Lb0EPlS8_N6thrust23THRUST_200600_302600_NS10device_ptrIlEESC_NS0_19identity_decomposerEEE10hipError_tT1_T2_T3_T4_jRjT5_jjP12ihipStream_tbEUlT_E_NS1_11comp_targetILNS1_3genE4ELNS1_11target_archE910ELNS1_3gpuE8ELNS1_3repE0EEENS1_44radix_sort_block_sort_config_static_selectorELNS0_4arch9wavefront6targetE1EEEvSF_,"axG",@progbits,_ZN7rocprim17ROCPRIM_400000_NS6detail17trampoline_kernelINS0_13kernel_configILj256ELj4ELj4294967295EEENS1_37radix_sort_block_sort_config_selectorIllEEZNS1_21radix_sort_block_sortIS4_Lb0EPlS8_N6thrust23THRUST_200600_302600_NS10device_ptrIlEESC_NS0_19identity_decomposerEEE10hipError_tT1_T2_T3_T4_jRjT5_jjP12ihipStream_tbEUlT_E_NS1_11comp_targetILNS1_3genE4ELNS1_11target_archE910ELNS1_3gpuE8ELNS1_3repE0EEENS1_44radix_sort_block_sort_config_static_selectorELNS0_4arch9wavefront6targetE1EEEvSF_,comdat
.Lfunc_end994:
	.size	_ZN7rocprim17ROCPRIM_400000_NS6detail17trampoline_kernelINS0_13kernel_configILj256ELj4ELj4294967295EEENS1_37radix_sort_block_sort_config_selectorIllEEZNS1_21radix_sort_block_sortIS4_Lb0EPlS8_N6thrust23THRUST_200600_302600_NS10device_ptrIlEESC_NS0_19identity_decomposerEEE10hipError_tT1_T2_T3_T4_jRjT5_jjP12ihipStream_tbEUlT_E_NS1_11comp_targetILNS1_3genE4ELNS1_11target_archE910ELNS1_3gpuE8ELNS1_3repE0EEENS1_44radix_sort_block_sort_config_static_selectorELNS0_4arch9wavefront6targetE1EEEvSF_, .Lfunc_end994-_ZN7rocprim17ROCPRIM_400000_NS6detail17trampoline_kernelINS0_13kernel_configILj256ELj4ELj4294967295EEENS1_37radix_sort_block_sort_config_selectorIllEEZNS1_21radix_sort_block_sortIS4_Lb0EPlS8_N6thrust23THRUST_200600_302600_NS10device_ptrIlEESC_NS0_19identity_decomposerEEE10hipError_tT1_T2_T3_T4_jRjT5_jjP12ihipStream_tbEUlT_E_NS1_11comp_targetILNS1_3genE4ELNS1_11target_archE910ELNS1_3gpuE8ELNS1_3repE0EEENS1_44radix_sort_block_sort_config_static_selectorELNS0_4arch9wavefront6targetE1EEEvSF_
                                        ; -- End function
	.set _ZN7rocprim17ROCPRIM_400000_NS6detail17trampoline_kernelINS0_13kernel_configILj256ELj4ELj4294967295EEENS1_37radix_sort_block_sort_config_selectorIllEEZNS1_21radix_sort_block_sortIS4_Lb0EPlS8_N6thrust23THRUST_200600_302600_NS10device_ptrIlEESC_NS0_19identity_decomposerEEE10hipError_tT1_T2_T3_T4_jRjT5_jjP12ihipStream_tbEUlT_E_NS1_11comp_targetILNS1_3genE4ELNS1_11target_archE910ELNS1_3gpuE8ELNS1_3repE0EEENS1_44radix_sort_block_sort_config_static_selectorELNS0_4arch9wavefront6targetE1EEEvSF_.num_vgpr, 0
	.set _ZN7rocprim17ROCPRIM_400000_NS6detail17trampoline_kernelINS0_13kernel_configILj256ELj4ELj4294967295EEENS1_37radix_sort_block_sort_config_selectorIllEEZNS1_21radix_sort_block_sortIS4_Lb0EPlS8_N6thrust23THRUST_200600_302600_NS10device_ptrIlEESC_NS0_19identity_decomposerEEE10hipError_tT1_T2_T3_T4_jRjT5_jjP12ihipStream_tbEUlT_E_NS1_11comp_targetILNS1_3genE4ELNS1_11target_archE910ELNS1_3gpuE8ELNS1_3repE0EEENS1_44radix_sort_block_sort_config_static_selectorELNS0_4arch9wavefront6targetE1EEEvSF_.num_agpr, 0
	.set _ZN7rocprim17ROCPRIM_400000_NS6detail17trampoline_kernelINS0_13kernel_configILj256ELj4ELj4294967295EEENS1_37radix_sort_block_sort_config_selectorIllEEZNS1_21radix_sort_block_sortIS4_Lb0EPlS8_N6thrust23THRUST_200600_302600_NS10device_ptrIlEESC_NS0_19identity_decomposerEEE10hipError_tT1_T2_T3_T4_jRjT5_jjP12ihipStream_tbEUlT_E_NS1_11comp_targetILNS1_3genE4ELNS1_11target_archE910ELNS1_3gpuE8ELNS1_3repE0EEENS1_44radix_sort_block_sort_config_static_selectorELNS0_4arch9wavefront6targetE1EEEvSF_.numbered_sgpr, 0
	.set _ZN7rocprim17ROCPRIM_400000_NS6detail17trampoline_kernelINS0_13kernel_configILj256ELj4ELj4294967295EEENS1_37radix_sort_block_sort_config_selectorIllEEZNS1_21radix_sort_block_sortIS4_Lb0EPlS8_N6thrust23THRUST_200600_302600_NS10device_ptrIlEESC_NS0_19identity_decomposerEEE10hipError_tT1_T2_T3_T4_jRjT5_jjP12ihipStream_tbEUlT_E_NS1_11comp_targetILNS1_3genE4ELNS1_11target_archE910ELNS1_3gpuE8ELNS1_3repE0EEENS1_44radix_sort_block_sort_config_static_selectorELNS0_4arch9wavefront6targetE1EEEvSF_.num_named_barrier, 0
	.set _ZN7rocprim17ROCPRIM_400000_NS6detail17trampoline_kernelINS0_13kernel_configILj256ELj4ELj4294967295EEENS1_37radix_sort_block_sort_config_selectorIllEEZNS1_21radix_sort_block_sortIS4_Lb0EPlS8_N6thrust23THRUST_200600_302600_NS10device_ptrIlEESC_NS0_19identity_decomposerEEE10hipError_tT1_T2_T3_T4_jRjT5_jjP12ihipStream_tbEUlT_E_NS1_11comp_targetILNS1_3genE4ELNS1_11target_archE910ELNS1_3gpuE8ELNS1_3repE0EEENS1_44radix_sort_block_sort_config_static_selectorELNS0_4arch9wavefront6targetE1EEEvSF_.private_seg_size, 0
	.set _ZN7rocprim17ROCPRIM_400000_NS6detail17trampoline_kernelINS0_13kernel_configILj256ELj4ELj4294967295EEENS1_37radix_sort_block_sort_config_selectorIllEEZNS1_21radix_sort_block_sortIS4_Lb0EPlS8_N6thrust23THRUST_200600_302600_NS10device_ptrIlEESC_NS0_19identity_decomposerEEE10hipError_tT1_T2_T3_T4_jRjT5_jjP12ihipStream_tbEUlT_E_NS1_11comp_targetILNS1_3genE4ELNS1_11target_archE910ELNS1_3gpuE8ELNS1_3repE0EEENS1_44radix_sort_block_sort_config_static_selectorELNS0_4arch9wavefront6targetE1EEEvSF_.uses_vcc, 0
	.set _ZN7rocprim17ROCPRIM_400000_NS6detail17trampoline_kernelINS0_13kernel_configILj256ELj4ELj4294967295EEENS1_37radix_sort_block_sort_config_selectorIllEEZNS1_21radix_sort_block_sortIS4_Lb0EPlS8_N6thrust23THRUST_200600_302600_NS10device_ptrIlEESC_NS0_19identity_decomposerEEE10hipError_tT1_T2_T3_T4_jRjT5_jjP12ihipStream_tbEUlT_E_NS1_11comp_targetILNS1_3genE4ELNS1_11target_archE910ELNS1_3gpuE8ELNS1_3repE0EEENS1_44radix_sort_block_sort_config_static_selectorELNS0_4arch9wavefront6targetE1EEEvSF_.uses_flat_scratch, 0
	.set _ZN7rocprim17ROCPRIM_400000_NS6detail17trampoline_kernelINS0_13kernel_configILj256ELj4ELj4294967295EEENS1_37radix_sort_block_sort_config_selectorIllEEZNS1_21radix_sort_block_sortIS4_Lb0EPlS8_N6thrust23THRUST_200600_302600_NS10device_ptrIlEESC_NS0_19identity_decomposerEEE10hipError_tT1_T2_T3_T4_jRjT5_jjP12ihipStream_tbEUlT_E_NS1_11comp_targetILNS1_3genE4ELNS1_11target_archE910ELNS1_3gpuE8ELNS1_3repE0EEENS1_44radix_sort_block_sort_config_static_selectorELNS0_4arch9wavefront6targetE1EEEvSF_.has_dyn_sized_stack, 0
	.set _ZN7rocprim17ROCPRIM_400000_NS6detail17trampoline_kernelINS0_13kernel_configILj256ELj4ELj4294967295EEENS1_37radix_sort_block_sort_config_selectorIllEEZNS1_21radix_sort_block_sortIS4_Lb0EPlS8_N6thrust23THRUST_200600_302600_NS10device_ptrIlEESC_NS0_19identity_decomposerEEE10hipError_tT1_T2_T3_T4_jRjT5_jjP12ihipStream_tbEUlT_E_NS1_11comp_targetILNS1_3genE4ELNS1_11target_archE910ELNS1_3gpuE8ELNS1_3repE0EEENS1_44radix_sort_block_sort_config_static_selectorELNS0_4arch9wavefront6targetE1EEEvSF_.has_recursion, 0
	.set _ZN7rocprim17ROCPRIM_400000_NS6detail17trampoline_kernelINS0_13kernel_configILj256ELj4ELj4294967295EEENS1_37radix_sort_block_sort_config_selectorIllEEZNS1_21radix_sort_block_sortIS4_Lb0EPlS8_N6thrust23THRUST_200600_302600_NS10device_ptrIlEESC_NS0_19identity_decomposerEEE10hipError_tT1_T2_T3_T4_jRjT5_jjP12ihipStream_tbEUlT_E_NS1_11comp_targetILNS1_3genE4ELNS1_11target_archE910ELNS1_3gpuE8ELNS1_3repE0EEENS1_44radix_sort_block_sort_config_static_selectorELNS0_4arch9wavefront6targetE1EEEvSF_.has_indirect_call, 0
	.section	.AMDGPU.csdata,"",@progbits
; Kernel info:
; codeLenInByte = 0
; TotalNumSgprs: 4
; NumVgprs: 0
; ScratchSize: 0
; MemoryBound: 0
; FloatMode: 240
; IeeeMode: 1
; LDSByteSize: 0 bytes/workgroup (compile time only)
; SGPRBlocks: 0
; VGPRBlocks: 0
; NumSGPRsForWavesPerEU: 4
; NumVGPRsForWavesPerEU: 1
; Occupancy: 10
; WaveLimiterHint : 0
; COMPUTE_PGM_RSRC2:SCRATCH_EN: 0
; COMPUTE_PGM_RSRC2:USER_SGPR: 6
; COMPUTE_PGM_RSRC2:TRAP_HANDLER: 0
; COMPUTE_PGM_RSRC2:TGID_X_EN: 1
; COMPUTE_PGM_RSRC2:TGID_Y_EN: 0
; COMPUTE_PGM_RSRC2:TGID_Z_EN: 0
; COMPUTE_PGM_RSRC2:TIDIG_COMP_CNT: 0
	.section	.text._ZN7rocprim17ROCPRIM_400000_NS6detail17trampoline_kernelINS0_13kernel_configILj256ELj4ELj4294967295EEENS1_37radix_sort_block_sort_config_selectorIllEEZNS1_21radix_sort_block_sortIS4_Lb0EPlS8_N6thrust23THRUST_200600_302600_NS10device_ptrIlEESC_NS0_19identity_decomposerEEE10hipError_tT1_T2_T3_T4_jRjT5_jjP12ihipStream_tbEUlT_E_NS1_11comp_targetILNS1_3genE3ELNS1_11target_archE908ELNS1_3gpuE7ELNS1_3repE0EEENS1_44radix_sort_block_sort_config_static_selectorELNS0_4arch9wavefront6targetE1EEEvSF_,"axG",@progbits,_ZN7rocprim17ROCPRIM_400000_NS6detail17trampoline_kernelINS0_13kernel_configILj256ELj4ELj4294967295EEENS1_37radix_sort_block_sort_config_selectorIllEEZNS1_21radix_sort_block_sortIS4_Lb0EPlS8_N6thrust23THRUST_200600_302600_NS10device_ptrIlEESC_NS0_19identity_decomposerEEE10hipError_tT1_T2_T3_T4_jRjT5_jjP12ihipStream_tbEUlT_E_NS1_11comp_targetILNS1_3genE3ELNS1_11target_archE908ELNS1_3gpuE7ELNS1_3repE0EEENS1_44radix_sort_block_sort_config_static_selectorELNS0_4arch9wavefront6targetE1EEEvSF_,comdat
	.protected	_ZN7rocprim17ROCPRIM_400000_NS6detail17trampoline_kernelINS0_13kernel_configILj256ELj4ELj4294967295EEENS1_37radix_sort_block_sort_config_selectorIllEEZNS1_21radix_sort_block_sortIS4_Lb0EPlS8_N6thrust23THRUST_200600_302600_NS10device_ptrIlEESC_NS0_19identity_decomposerEEE10hipError_tT1_T2_T3_T4_jRjT5_jjP12ihipStream_tbEUlT_E_NS1_11comp_targetILNS1_3genE3ELNS1_11target_archE908ELNS1_3gpuE7ELNS1_3repE0EEENS1_44radix_sort_block_sort_config_static_selectorELNS0_4arch9wavefront6targetE1EEEvSF_ ; -- Begin function _ZN7rocprim17ROCPRIM_400000_NS6detail17trampoline_kernelINS0_13kernel_configILj256ELj4ELj4294967295EEENS1_37radix_sort_block_sort_config_selectorIllEEZNS1_21radix_sort_block_sortIS4_Lb0EPlS8_N6thrust23THRUST_200600_302600_NS10device_ptrIlEESC_NS0_19identity_decomposerEEE10hipError_tT1_T2_T3_T4_jRjT5_jjP12ihipStream_tbEUlT_E_NS1_11comp_targetILNS1_3genE3ELNS1_11target_archE908ELNS1_3gpuE7ELNS1_3repE0EEENS1_44radix_sort_block_sort_config_static_selectorELNS0_4arch9wavefront6targetE1EEEvSF_
	.globl	_ZN7rocprim17ROCPRIM_400000_NS6detail17trampoline_kernelINS0_13kernel_configILj256ELj4ELj4294967295EEENS1_37radix_sort_block_sort_config_selectorIllEEZNS1_21radix_sort_block_sortIS4_Lb0EPlS8_N6thrust23THRUST_200600_302600_NS10device_ptrIlEESC_NS0_19identity_decomposerEEE10hipError_tT1_T2_T3_T4_jRjT5_jjP12ihipStream_tbEUlT_E_NS1_11comp_targetILNS1_3genE3ELNS1_11target_archE908ELNS1_3gpuE7ELNS1_3repE0EEENS1_44radix_sort_block_sort_config_static_selectorELNS0_4arch9wavefront6targetE1EEEvSF_
	.p2align	8
	.type	_ZN7rocprim17ROCPRIM_400000_NS6detail17trampoline_kernelINS0_13kernel_configILj256ELj4ELj4294967295EEENS1_37radix_sort_block_sort_config_selectorIllEEZNS1_21radix_sort_block_sortIS4_Lb0EPlS8_N6thrust23THRUST_200600_302600_NS10device_ptrIlEESC_NS0_19identity_decomposerEEE10hipError_tT1_T2_T3_T4_jRjT5_jjP12ihipStream_tbEUlT_E_NS1_11comp_targetILNS1_3genE3ELNS1_11target_archE908ELNS1_3gpuE7ELNS1_3repE0EEENS1_44radix_sort_block_sort_config_static_selectorELNS0_4arch9wavefront6targetE1EEEvSF_,@function
_ZN7rocprim17ROCPRIM_400000_NS6detail17trampoline_kernelINS0_13kernel_configILj256ELj4ELj4294967295EEENS1_37radix_sort_block_sort_config_selectorIllEEZNS1_21radix_sort_block_sortIS4_Lb0EPlS8_N6thrust23THRUST_200600_302600_NS10device_ptrIlEESC_NS0_19identity_decomposerEEE10hipError_tT1_T2_T3_T4_jRjT5_jjP12ihipStream_tbEUlT_E_NS1_11comp_targetILNS1_3genE3ELNS1_11target_archE908ELNS1_3gpuE7ELNS1_3repE0EEENS1_44radix_sort_block_sort_config_static_selectorELNS0_4arch9wavefront6targetE1EEEvSF_: ; @_ZN7rocprim17ROCPRIM_400000_NS6detail17trampoline_kernelINS0_13kernel_configILj256ELj4ELj4294967295EEENS1_37radix_sort_block_sort_config_selectorIllEEZNS1_21radix_sort_block_sortIS4_Lb0EPlS8_N6thrust23THRUST_200600_302600_NS10device_ptrIlEESC_NS0_19identity_decomposerEEE10hipError_tT1_T2_T3_T4_jRjT5_jjP12ihipStream_tbEUlT_E_NS1_11comp_targetILNS1_3genE3ELNS1_11target_archE908ELNS1_3gpuE7ELNS1_3repE0EEENS1_44radix_sort_block_sort_config_static_selectorELNS0_4arch9wavefront6targetE1EEEvSF_
; %bb.0:
	.section	.rodata,"a",@progbits
	.p2align	6, 0x0
	.amdhsa_kernel _ZN7rocprim17ROCPRIM_400000_NS6detail17trampoline_kernelINS0_13kernel_configILj256ELj4ELj4294967295EEENS1_37radix_sort_block_sort_config_selectorIllEEZNS1_21radix_sort_block_sortIS4_Lb0EPlS8_N6thrust23THRUST_200600_302600_NS10device_ptrIlEESC_NS0_19identity_decomposerEEE10hipError_tT1_T2_T3_T4_jRjT5_jjP12ihipStream_tbEUlT_E_NS1_11comp_targetILNS1_3genE3ELNS1_11target_archE908ELNS1_3gpuE7ELNS1_3repE0EEENS1_44radix_sort_block_sort_config_static_selectorELNS0_4arch9wavefront6targetE1EEEvSF_
		.amdhsa_group_segment_fixed_size 0
		.amdhsa_private_segment_fixed_size 0
		.amdhsa_kernarg_size 48
		.amdhsa_user_sgpr_count 6
		.amdhsa_user_sgpr_private_segment_buffer 1
		.amdhsa_user_sgpr_dispatch_ptr 0
		.amdhsa_user_sgpr_queue_ptr 0
		.amdhsa_user_sgpr_kernarg_segment_ptr 1
		.amdhsa_user_sgpr_dispatch_id 0
		.amdhsa_user_sgpr_flat_scratch_init 0
		.amdhsa_user_sgpr_private_segment_size 0
		.amdhsa_uses_dynamic_stack 0
		.amdhsa_system_sgpr_private_segment_wavefront_offset 0
		.amdhsa_system_sgpr_workgroup_id_x 1
		.amdhsa_system_sgpr_workgroup_id_y 0
		.amdhsa_system_sgpr_workgroup_id_z 0
		.amdhsa_system_sgpr_workgroup_info 0
		.amdhsa_system_vgpr_workitem_id 0
		.amdhsa_next_free_vgpr 1
		.amdhsa_next_free_sgpr 0
		.amdhsa_reserve_vcc 0
		.amdhsa_reserve_flat_scratch 0
		.amdhsa_float_round_mode_32 0
		.amdhsa_float_round_mode_16_64 0
		.amdhsa_float_denorm_mode_32 3
		.amdhsa_float_denorm_mode_16_64 3
		.amdhsa_dx10_clamp 1
		.amdhsa_ieee_mode 1
		.amdhsa_fp16_overflow 0
		.amdhsa_exception_fp_ieee_invalid_op 0
		.amdhsa_exception_fp_denorm_src 0
		.amdhsa_exception_fp_ieee_div_zero 0
		.amdhsa_exception_fp_ieee_overflow 0
		.amdhsa_exception_fp_ieee_underflow 0
		.amdhsa_exception_fp_ieee_inexact 0
		.amdhsa_exception_int_div_zero 0
	.end_amdhsa_kernel
	.section	.text._ZN7rocprim17ROCPRIM_400000_NS6detail17trampoline_kernelINS0_13kernel_configILj256ELj4ELj4294967295EEENS1_37radix_sort_block_sort_config_selectorIllEEZNS1_21radix_sort_block_sortIS4_Lb0EPlS8_N6thrust23THRUST_200600_302600_NS10device_ptrIlEESC_NS0_19identity_decomposerEEE10hipError_tT1_T2_T3_T4_jRjT5_jjP12ihipStream_tbEUlT_E_NS1_11comp_targetILNS1_3genE3ELNS1_11target_archE908ELNS1_3gpuE7ELNS1_3repE0EEENS1_44radix_sort_block_sort_config_static_selectorELNS0_4arch9wavefront6targetE1EEEvSF_,"axG",@progbits,_ZN7rocprim17ROCPRIM_400000_NS6detail17trampoline_kernelINS0_13kernel_configILj256ELj4ELj4294967295EEENS1_37radix_sort_block_sort_config_selectorIllEEZNS1_21radix_sort_block_sortIS4_Lb0EPlS8_N6thrust23THRUST_200600_302600_NS10device_ptrIlEESC_NS0_19identity_decomposerEEE10hipError_tT1_T2_T3_T4_jRjT5_jjP12ihipStream_tbEUlT_E_NS1_11comp_targetILNS1_3genE3ELNS1_11target_archE908ELNS1_3gpuE7ELNS1_3repE0EEENS1_44radix_sort_block_sort_config_static_selectorELNS0_4arch9wavefront6targetE1EEEvSF_,comdat
.Lfunc_end995:
	.size	_ZN7rocprim17ROCPRIM_400000_NS6detail17trampoline_kernelINS0_13kernel_configILj256ELj4ELj4294967295EEENS1_37radix_sort_block_sort_config_selectorIllEEZNS1_21radix_sort_block_sortIS4_Lb0EPlS8_N6thrust23THRUST_200600_302600_NS10device_ptrIlEESC_NS0_19identity_decomposerEEE10hipError_tT1_T2_T3_T4_jRjT5_jjP12ihipStream_tbEUlT_E_NS1_11comp_targetILNS1_3genE3ELNS1_11target_archE908ELNS1_3gpuE7ELNS1_3repE0EEENS1_44radix_sort_block_sort_config_static_selectorELNS0_4arch9wavefront6targetE1EEEvSF_, .Lfunc_end995-_ZN7rocprim17ROCPRIM_400000_NS6detail17trampoline_kernelINS0_13kernel_configILj256ELj4ELj4294967295EEENS1_37radix_sort_block_sort_config_selectorIllEEZNS1_21radix_sort_block_sortIS4_Lb0EPlS8_N6thrust23THRUST_200600_302600_NS10device_ptrIlEESC_NS0_19identity_decomposerEEE10hipError_tT1_T2_T3_T4_jRjT5_jjP12ihipStream_tbEUlT_E_NS1_11comp_targetILNS1_3genE3ELNS1_11target_archE908ELNS1_3gpuE7ELNS1_3repE0EEENS1_44radix_sort_block_sort_config_static_selectorELNS0_4arch9wavefront6targetE1EEEvSF_
                                        ; -- End function
	.set _ZN7rocprim17ROCPRIM_400000_NS6detail17trampoline_kernelINS0_13kernel_configILj256ELj4ELj4294967295EEENS1_37radix_sort_block_sort_config_selectorIllEEZNS1_21radix_sort_block_sortIS4_Lb0EPlS8_N6thrust23THRUST_200600_302600_NS10device_ptrIlEESC_NS0_19identity_decomposerEEE10hipError_tT1_T2_T3_T4_jRjT5_jjP12ihipStream_tbEUlT_E_NS1_11comp_targetILNS1_3genE3ELNS1_11target_archE908ELNS1_3gpuE7ELNS1_3repE0EEENS1_44radix_sort_block_sort_config_static_selectorELNS0_4arch9wavefront6targetE1EEEvSF_.num_vgpr, 0
	.set _ZN7rocprim17ROCPRIM_400000_NS6detail17trampoline_kernelINS0_13kernel_configILj256ELj4ELj4294967295EEENS1_37radix_sort_block_sort_config_selectorIllEEZNS1_21radix_sort_block_sortIS4_Lb0EPlS8_N6thrust23THRUST_200600_302600_NS10device_ptrIlEESC_NS0_19identity_decomposerEEE10hipError_tT1_T2_T3_T4_jRjT5_jjP12ihipStream_tbEUlT_E_NS1_11comp_targetILNS1_3genE3ELNS1_11target_archE908ELNS1_3gpuE7ELNS1_3repE0EEENS1_44radix_sort_block_sort_config_static_selectorELNS0_4arch9wavefront6targetE1EEEvSF_.num_agpr, 0
	.set _ZN7rocprim17ROCPRIM_400000_NS6detail17trampoline_kernelINS0_13kernel_configILj256ELj4ELj4294967295EEENS1_37radix_sort_block_sort_config_selectorIllEEZNS1_21radix_sort_block_sortIS4_Lb0EPlS8_N6thrust23THRUST_200600_302600_NS10device_ptrIlEESC_NS0_19identity_decomposerEEE10hipError_tT1_T2_T3_T4_jRjT5_jjP12ihipStream_tbEUlT_E_NS1_11comp_targetILNS1_3genE3ELNS1_11target_archE908ELNS1_3gpuE7ELNS1_3repE0EEENS1_44radix_sort_block_sort_config_static_selectorELNS0_4arch9wavefront6targetE1EEEvSF_.numbered_sgpr, 0
	.set _ZN7rocprim17ROCPRIM_400000_NS6detail17trampoline_kernelINS0_13kernel_configILj256ELj4ELj4294967295EEENS1_37radix_sort_block_sort_config_selectorIllEEZNS1_21radix_sort_block_sortIS4_Lb0EPlS8_N6thrust23THRUST_200600_302600_NS10device_ptrIlEESC_NS0_19identity_decomposerEEE10hipError_tT1_T2_T3_T4_jRjT5_jjP12ihipStream_tbEUlT_E_NS1_11comp_targetILNS1_3genE3ELNS1_11target_archE908ELNS1_3gpuE7ELNS1_3repE0EEENS1_44radix_sort_block_sort_config_static_selectorELNS0_4arch9wavefront6targetE1EEEvSF_.num_named_barrier, 0
	.set _ZN7rocprim17ROCPRIM_400000_NS6detail17trampoline_kernelINS0_13kernel_configILj256ELj4ELj4294967295EEENS1_37radix_sort_block_sort_config_selectorIllEEZNS1_21radix_sort_block_sortIS4_Lb0EPlS8_N6thrust23THRUST_200600_302600_NS10device_ptrIlEESC_NS0_19identity_decomposerEEE10hipError_tT1_T2_T3_T4_jRjT5_jjP12ihipStream_tbEUlT_E_NS1_11comp_targetILNS1_3genE3ELNS1_11target_archE908ELNS1_3gpuE7ELNS1_3repE0EEENS1_44radix_sort_block_sort_config_static_selectorELNS0_4arch9wavefront6targetE1EEEvSF_.private_seg_size, 0
	.set _ZN7rocprim17ROCPRIM_400000_NS6detail17trampoline_kernelINS0_13kernel_configILj256ELj4ELj4294967295EEENS1_37radix_sort_block_sort_config_selectorIllEEZNS1_21radix_sort_block_sortIS4_Lb0EPlS8_N6thrust23THRUST_200600_302600_NS10device_ptrIlEESC_NS0_19identity_decomposerEEE10hipError_tT1_T2_T3_T4_jRjT5_jjP12ihipStream_tbEUlT_E_NS1_11comp_targetILNS1_3genE3ELNS1_11target_archE908ELNS1_3gpuE7ELNS1_3repE0EEENS1_44radix_sort_block_sort_config_static_selectorELNS0_4arch9wavefront6targetE1EEEvSF_.uses_vcc, 0
	.set _ZN7rocprim17ROCPRIM_400000_NS6detail17trampoline_kernelINS0_13kernel_configILj256ELj4ELj4294967295EEENS1_37radix_sort_block_sort_config_selectorIllEEZNS1_21radix_sort_block_sortIS4_Lb0EPlS8_N6thrust23THRUST_200600_302600_NS10device_ptrIlEESC_NS0_19identity_decomposerEEE10hipError_tT1_T2_T3_T4_jRjT5_jjP12ihipStream_tbEUlT_E_NS1_11comp_targetILNS1_3genE3ELNS1_11target_archE908ELNS1_3gpuE7ELNS1_3repE0EEENS1_44radix_sort_block_sort_config_static_selectorELNS0_4arch9wavefront6targetE1EEEvSF_.uses_flat_scratch, 0
	.set _ZN7rocprim17ROCPRIM_400000_NS6detail17trampoline_kernelINS0_13kernel_configILj256ELj4ELj4294967295EEENS1_37radix_sort_block_sort_config_selectorIllEEZNS1_21radix_sort_block_sortIS4_Lb0EPlS8_N6thrust23THRUST_200600_302600_NS10device_ptrIlEESC_NS0_19identity_decomposerEEE10hipError_tT1_T2_T3_T4_jRjT5_jjP12ihipStream_tbEUlT_E_NS1_11comp_targetILNS1_3genE3ELNS1_11target_archE908ELNS1_3gpuE7ELNS1_3repE0EEENS1_44radix_sort_block_sort_config_static_selectorELNS0_4arch9wavefront6targetE1EEEvSF_.has_dyn_sized_stack, 0
	.set _ZN7rocprim17ROCPRIM_400000_NS6detail17trampoline_kernelINS0_13kernel_configILj256ELj4ELj4294967295EEENS1_37radix_sort_block_sort_config_selectorIllEEZNS1_21radix_sort_block_sortIS4_Lb0EPlS8_N6thrust23THRUST_200600_302600_NS10device_ptrIlEESC_NS0_19identity_decomposerEEE10hipError_tT1_T2_T3_T4_jRjT5_jjP12ihipStream_tbEUlT_E_NS1_11comp_targetILNS1_3genE3ELNS1_11target_archE908ELNS1_3gpuE7ELNS1_3repE0EEENS1_44radix_sort_block_sort_config_static_selectorELNS0_4arch9wavefront6targetE1EEEvSF_.has_recursion, 0
	.set _ZN7rocprim17ROCPRIM_400000_NS6detail17trampoline_kernelINS0_13kernel_configILj256ELj4ELj4294967295EEENS1_37radix_sort_block_sort_config_selectorIllEEZNS1_21radix_sort_block_sortIS4_Lb0EPlS8_N6thrust23THRUST_200600_302600_NS10device_ptrIlEESC_NS0_19identity_decomposerEEE10hipError_tT1_T2_T3_T4_jRjT5_jjP12ihipStream_tbEUlT_E_NS1_11comp_targetILNS1_3genE3ELNS1_11target_archE908ELNS1_3gpuE7ELNS1_3repE0EEENS1_44radix_sort_block_sort_config_static_selectorELNS0_4arch9wavefront6targetE1EEEvSF_.has_indirect_call, 0
	.section	.AMDGPU.csdata,"",@progbits
; Kernel info:
; codeLenInByte = 0
; TotalNumSgprs: 4
; NumVgprs: 0
; ScratchSize: 0
; MemoryBound: 0
; FloatMode: 240
; IeeeMode: 1
; LDSByteSize: 0 bytes/workgroup (compile time only)
; SGPRBlocks: 0
; VGPRBlocks: 0
; NumSGPRsForWavesPerEU: 4
; NumVGPRsForWavesPerEU: 1
; Occupancy: 10
; WaveLimiterHint : 0
; COMPUTE_PGM_RSRC2:SCRATCH_EN: 0
; COMPUTE_PGM_RSRC2:USER_SGPR: 6
; COMPUTE_PGM_RSRC2:TRAP_HANDLER: 0
; COMPUTE_PGM_RSRC2:TGID_X_EN: 1
; COMPUTE_PGM_RSRC2:TGID_Y_EN: 0
; COMPUTE_PGM_RSRC2:TGID_Z_EN: 0
; COMPUTE_PGM_RSRC2:TIDIG_COMP_CNT: 0
	.section	.text._ZN7rocprim17ROCPRIM_400000_NS6detail17trampoline_kernelINS0_13kernel_configILj256ELj4ELj4294967295EEENS1_37radix_sort_block_sort_config_selectorIllEEZNS1_21radix_sort_block_sortIS4_Lb0EPlS8_N6thrust23THRUST_200600_302600_NS10device_ptrIlEESC_NS0_19identity_decomposerEEE10hipError_tT1_T2_T3_T4_jRjT5_jjP12ihipStream_tbEUlT_E_NS1_11comp_targetILNS1_3genE2ELNS1_11target_archE906ELNS1_3gpuE6ELNS1_3repE0EEENS1_44radix_sort_block_sort_config_static_selectorELNS0_4arch9wavefront6targetE1EEEvSF_,"axG",@progbits,_ZN7rocprim17ROCPRIM_400000_NS6detail17trampoline_kernelINS0_13kernel_configILj256ELj4ELj4294967295EEENS1_37radix_sort_block_sort_config_selectorIllEEZNS1_21radix_sort_block_sortIS4_Lb0EPlS8_N6thrust23THRUST_200600_302600_NS10device_ptrIlEESC_NS0_19identity_decomposerEEE10hipError_tT1_T2_T3_T4_jRjT5_jjP12ihipStream_tbEUlT_E_NS1_11comp_targetILNS1_3genE2ELNS1_11target_archE906ELNS1_3gpuE6ELNS1_3repE0EEENS1_44radix_sort_block_sort_config_static_selectorELNS0_4arch9wavefront6targetE1EEEvSF_,comdat
	.protected	_ZN7rocprim17ROCPRIM_400000_NS6detail17trampoline_kernelINS0_13kernel_configILj256ELj4ELj4294967295EEENS1_37radix_sort_block_sort_config_selectorIllEEZNS1_21radix_sort_block_sortIS4_Lb0EPlS8_N6thrust23THRUST_200600_302600_NS10device_ptrIlEESC_NS0_19identity_decomposerEEE10hipError_tT1_T2_T3_T4_jRjT5_jjP12ihipStream_tbEUlT_E_NS1_11comp_targetILNS1_3genE2ELNS1_11target_archE906ELNS1_3gpuE6ELNS1_3repE0EEENS1_44radix_sort_block_sort_config_static_selectorELNS0_4arch9wavefront6targetE1EEEvSF_ ; -- Begin function _ZN7rocprim17ROCPRIM_400000_NS6detail17trampoline_kernelINS0_13kernel_configILj256ELj4ELj4294967295EEENS1_37radix_sort_block_sort_config_selectorIllEEZNS1_21radix_sort_block_sortIS4_Lb0EPlS8_N6thrust23THRUST_200600_302600_NS10device_ptrIlEESC_NS0_19identity_decomposerEEE10hipError_tT1_T2_T3_T4_jRjT5_jjP12ihipStream_tbEUlT_E_NS1_11comp_targetILNS1_3genE2ELNS1_11target_archE906ELNS1_3gpuE6ELNS1_3repE0EEENS1_44radix_sort_block_sort_config_static_selectorELNS0_4arch9wavefront6targetE1EEEvSF_
	.globl	_ZN7rocprim17ROCPRIM_400000_NS6detail17trampoline_kernelINS0_13kernel_configILj256ELj4ELj4294967295EEENS1_37radix_sort_block_sort_config_selectorIllEEZNS1_21radix_sort_block_sortIS4_Lb0EPlS8_N6thrust23THRUST_200600_302600_NS10device_ptrIlEESC_NS0_19identity_decomposerEEE10hipError_tT1_T2_T3_T4_jRjT5_jjP12ihipStream_tbEUlT_E_NS1_11comp_targetILNS1_3genE2ELNS1_11target_archE906ELNS1_3gpuE6ELNS1_3repE0EEENS1_44radix_sort_block_sort_config_static_selectorELNS0_4arch9wavefront6targetE1EEEvSF_
	.p2align	8
	.type	_ZN7rocprim17ROCPRIM_400000_NS6detail17trampoline_kernelINS0_13kernel_configILj256ELj4ELj4294967295EEENS1_37radix_sort_block_sort_config_selectorIllEEZNS1_21radix_sort_block_sortIS4_Lb0EPlS8_N6thrust23THRUST_200600_302600_NS10device_ptrIlEESC_NS0_19identity_decomposerEEE10hipError_tT1_T2_T3_T4_jRjT5_jjP12ihipStream_tbEUlT_E_NS1_11comp_targetILNS1_3genE2ELNS1_11target_archE906ELNS1_3gpuE6ELNS1_3repE0EEENS1_44radix_sort_block_sort_config_static_selectorELNS0_4arch9wavefront6targetE1EEEvSF_,@function
_ZN7rocprim17ROCPRIM_400000_NS6detail17trampoline_kernelINS0_13kernel_configILj256ELj4ELj4294967295EEENS1_37radix_sort_block_sort_config_selectorIllEEZNS1_21radix_sort_block_sortIS4_Lb0EPlS8_N6thrust23THRUST_200600_302600_NS10device_ptrIlEESC_NS0_19identity_decomposerEEE10hipError_tT1_T2_T3_T4_jRjT5_jjP12ihipStream_tbEUlT_E_NS1_11comp_targetILNS1_3genE2ELNS1_11target_archE906ELNS1_3gpuE6ELNS1_3repE0EEENS1_44radix_sort_block_sort_config_static_selectorELNS0_4arch9wavefront6targetE1EEEvSF_: ; @_ZN7rocprim17ROCPRIM_400000_NS6detail17trampoline_kernelINS0_13kernel_configILj256ELj4ELj4294967295EEENS1_37radix_sort_block_sort_config_selectorIllEEZNS1_21radix_sort_block_sortIS4_Lb0EPlS8_N6thrust23THRUST_200600_302600_NS10device_ptrIlEESC_NS0_19identity_decomposerEEE10hipError_tT1_T2_T3_T4_jRjT5_jjP12ihipStream_tbEUlT_E_NS1_11comp_targetILNS1_3genE2ELNS1_11target_archE906ELNS1_3gpuE6ELNS1_3repE0EEENS1_44radix_sort_block_sort_config_static_selectorELNS0_4arch9wavefront6targetE1EEEvSF_
; %bb.0:
	s_load_dword s7, s[4:5], 0x20
	s_load_dwordx8 s[36:43], s[4:5], 0x0
	s_lshl_b32 s0, s6, 10
	s_mov_b32 s1, 0
	v_mbcnt_lo_u32_b32 v3, -1, 0
	s_waitcnt lgkmcnt(0)
	s_lshr_b32 s2, s7, 10
	s_cmp_lg_u32 s6, s2
	s_cselect_b64 s[30:31], -1, 0
	s_lshl_b64 s[28:29], s[0:1], 3
	v_mbcnt_hi_u32_b32 v20, -1, v3
	s_add_u32 s1, s36, s28
	v_and_b32_e32 v23, 63, v20
	s_addc_u32 s3, s37, s29
	v_lshlrev_b32_e32 v3, 2, v0
	v_lshlrev_b32_e32 v21, 3, v23
	v_and_b32_e32 v19, 0x300, v3
	v_mov_b32_e32 v3, s3
	v_add_co_u32_e32 v4, vcc, s1, v21
	v_addc_co_u32_e32 v3, vcc, 0, v3, vcc
	v_lshlrev_b32_e32 v22, 3, v19
	v_add_co_u32_e32 v17, vcc, v4, v22
	s_cmp_eq_u32 s6, s2
	v_addc_co_u32_e32 v18, vcc, 0, v3, vcc
	s_cbranch_scc1 .LBB996_2
; %bb.1:
	s_add_u32 s1, s40, s28
	s_addc_u32 s2, s41, s29
	v_mov_b32_e32 v11, s2
	v_add_co_u32_e32 v12, vcc, s1, v21
	v_addc_co_u32_e32 v11, vcc, 0, v11, vcc
	v_add_co_u32_e32 v24, vcc, v12, v22
	global_load_dwordx2 v[3:4], v[17:18], off
	global_load_dwordx2 v[5:6], v[17:18], off offset:512
	global_load_dwordx2 v[7:8], v[17:18], off offset:1024
	;; [unrolled: 1-line block ×3, first 2 shown]
	v_addc_co_u32_e32 v25, vcc, 0, v11, vcc
	global_load_dwordx2 v[11:12], v[24:25], off
	global_load_dwordx2 v[13:14], v[24:25], off offset:512
	global_load_dwordx2 v[15:16], v[24:25], off offset:1024
	s_mov_b64 s[8:9], -1
	s_load_dwordx2 s[34:35], s[4:5], 0x28
	s_sub_i32 s33, s7, s0
	s_cbranch_execz .LBB996_3
	s_branch .LBB996_16
.LBB996_2:
	s_mov_b64 s[8:9], 0
                                        ; implicit-def: $vgpr3_vgpr4_vgpr5_vgpr6_vgpr7_vgpr8_vgpr9_vgpr10
                                        ; implicit-def: $vgpr11_vgpr12
                                        ; implicit-def: $vgpr15_vgpr16
	s_load_dwordx2 s[34:35], s[4:5], 0x28
	s_sub_i32 s33, s7, s0
.LBB996_3:
	s_waitcnt vmcnt(2)
	v_or_b32_e32 v11, v23, v19
	v_mov_b32_e32 v3, -1
	v_bfrev_b32_e32 v4, -2
	v_cmp_gt_u32_e32 vcc, s33, v11
	v_mov_b32_e32 v5, v3
	v_mov_b32_e32 v6, v4
	;; [unrolled: 1-line block ×6, first 2 shown]
	s_and_saveexec_b64 s[0:1], vcc
	s_cbranch_execz .LBB996_5
; %bb.4:
	global_load_dwordx2 v[23:24], v[17:18], off
	v_mov_b32_e32 v25, v3
	v_mov_b32_e32 v26, v4
	;; [unrolled: 1-line block ×6, first 2 shown]
	s_waitcnt vmcnt(0)
	v_mov_b32_e32 v3, v23
	v_mov_b32_e32 v4, v24
	;; [unrolled: 1-line block ×8, first 2 shown]
.LBB996_5:
	s_or_b64 exec, exec, s[0:1]
	v_or_b32_e32 v12, 64, v11
	v_cmp_gt_u32_e64 s[0:1], s33, v12
	s_and_saveexec_b64 s[2:3], s[0:1]
	s_cbranch_execz .LBB996_7
; %bb.6:
	global_load_dwordx2 v[5:6], v[17:18], off offset:512
.LBB996_7:
	s_or_b64 exec, exec, s[2:3]
	v_or_b32_e32 v12, 0x80, v11
	v_cmp_gt_u32_e64 s[2:3], s33, v12
	s_and_saveexec_b64 s[6:7], s[2:3]
	s_cbranch_execz .LBB996_9
; %bb.8:
	global_load_dwordx2 v[7:8], v[17:18], off offset:1024
.LBB996_9:
	;; [unrolled: 8-line block ×3, first 2 shown]
	s_or_b64 exec, exec, s[6:7]
	s_add_u32 s6, s40, s28
	s_addc_u32 s7, s41, s29
	v_mov_b32_e32 v11, s7
	v_add_co_u32_e64 v12, s[6:7], s6, v21
	v_addc_co_u32_e64 v11, s[6:7], 0, v11, s[6:7]
	v_add_co_u32_e64 v17, s[6:7], v12, v22
	v_addc_co_u32_e64 v18, s[6:7], 0, v11, s[6:7]
                                        ; implicit-def: $vgpr11_vgpr12
	s_and_saveexec_b64 s[6:7], vcc
	s_cbranch_execnz .LBB996_55
; %bb.12:
	s_or_b64 exec, exec, s[6:7]
	s_and_saveexec_b64 s[6:7], s[0:1]
	s_cbranch_execnz .LBB996_56
.LBB996_13:
	s_or_b64 exec, exec, s[6:7]
                                        ; implicit-def: $vgpr15_vgpr16
	s_and_saveexec_b64 s[0:1], s[2:3]
	s_cbranch_execz .LBB996_15
.LBB996_14:
	global_load_dwordx2 v[15:16], v[17:18], off offset:1024
.LBB996_15:
	s_or_b64 exec, exec, s[0:1]
.LBB996_16:
	s_and_saveexec_b64 s[0:1], s[8:9]
	s_cbranch_execz .LBB996_18
; %bb.17:
	s_add_u32 s2, s40, s28
	s_addc_u32 s3, s41, s29
	v_mov_b32_e32 v17, s3
	v_add_co_u32_e32 v18, vcc, s2, v21
	v_addc_co_u32_e32 v23, vcc, 0, v17, vcc
	v_add_co_u32_e32 v17, vcc, v18, v22
	v_addc_co_u32_e32 v18, vcc, 0, v23, vcc
	global_load_dwordx2 v[17:18], v[17:18], off offset:1536
.LBB996_18:
	s_or_b64 exec, exec, s[0:1]
	s_load_dword s0, s[4:5], 0x3c
	s_waitcnt lgkmcnt(0)
	s_add_i32 s36, s35, s34
	s_mov_b32 s26, 0
	s_mov_b32 s27, s26
	;; [unrolled: 1-line block ×3, first 2 shown]
	s_lshr_b32 s1, s0, 16
	s_and_b32 s0, s0, 0xffff
	v_mad_u32_u24 v1, v2, s1, v1
	v_mad_u64_u32 v[1:2], s[0:1], v1, s0, v[0:1]
	s_getpc_b64 s[0:1]
	s_add_u32 s0, s0, _ZN7rocprim17ROCPRIM_400000_NS16block_radix_sortIlLj256ELj4ElLj1ELj1ELj0ELNS0_26block_radix_rank_algorithmE1ELNS0_18block_padding_hintE2ELNS0_4arch9wavefront6targetE1EE19radix_bits_per_passE@rel32@lo+4
	s_addc_u32 s1, s1, _ZN7rocprim17ROCPRIM_400000_NS16block_radix_sortIlLj256ELj4ElLj1ELj1ELj0ELNS0_26block_radix_rank_algorithmE1ELNS0_18block_padding_hintE2ELNS0_4arch9wavefront6targetE1EE19radix_bits_per_passE@rel32@hi+12
	s_load_dword s37, s[0:1], 0x0
	v_lshrrev_b32_e32 v1, 4, v1
	v_and_b32_e32 v42, 0xffffffc, v1
	v_and_b32_e32 v1, 15, v20
	v_cmp_eq_u32_e64 s[0:1], 0, v1
	v_cmp_lt_u32_e64 s[2:3], 1, v1
	v_cmp_lt_u32_e64 s[4:5], 3, v1
	;; [unrolled: 1-line block ×3, first 2 shown]
	v_and_b32_e32 v1, 16, v20
	v_cmp_eq_u32_e64 s[8:9], 0, v1
	v_or_b32_e32 v1, 63, v0
	v_cmp_eq_u32_e64 s[12:13], v0, v1
	v_subrev_co_u32_e64 v1, s[18:19], 1, v20
	v_and_b32_e32 v2, 64, v20
	v_cmp_lt_i32_e32 vcc, v1, v2
	v_cndmask_b32_e32 v1, v1, v20, vcc
	v_lshlrev_b32_e32 v43, 2, v1
	v_lshrrev_b32_e32 v1, 4, v0
	v_lshlrev_b32_e32 v41, 4, v0
	v_and_b32_e32 v44, 12, v1
	v_mul_i32_i24_e32 v1, -12, v0
	v_and_b32_e32 v2, 3, v20
	s_mov_b32 s41, s26
	v_mov_b32_e32 v28, s27
	v_mov_b32_e32 v29, s40
	s_waitcnt vmcnt(6)
	v_xor_b32_e32 v4, 0x80000000, v4
	s_waitcnt vmcnt(0)
	v_xor_b32_e32 v6, 0x80000000, v6
	v_xor_b32_e32 v8, 0x80000000, v8
	;; [unrolled: 1-line block ×3, first 2 shown]
	v_cmp_lt_u32_e64 s[10:11], 31, v20
	v_cmp_gt_u32_e64 s[14:15], 4, v0
	v_cmp_lt_u32_e64 s[16:17], 63, v0
	v_cmp_eq_u32_e64 s[20:21], 0, v0
	v_cmp_eq_u32_e64 s[22:23], 0, v2
	v_cmp_lt_u32_e64 s[24:25], 1, v2
	v_add_u32_e32 v45, -4, v44
	v_lshl_add_u32 v46, v19, 3, v21
	v_mov_b32_e32 v27, s26
	v_mov_b32_e32 v30, s41
	;; [unrolled: 1-line block ×3, first 2 shown]
	v_add_u32_e32 v47, v41, v1
	s_branch .LBB996_20
.LBB996_19:                             ;   in Loop: Header=BB996_20 Depth=1
	s_andn2_b64 vcc, exec, s[26:27]
	s_cbranch_vccz .LBB996_36
.LBB996_20:                             ; =>This Inner Loop Header: Depth=1
	v_mov_b32_e32 v40, v4
	v_mov_b32_e32 v39, v3
	s_waitcnt lgkmcnt(0)
	s_min_u32 s26, s37, s35
	s_lshl_b32 s26, -1, s26
	v_lshrrev_b64 v[1:2], s34, v[39:40]
	s_not_b32 s40, s26
	v_and_b32_e32 v3, s40, v1
	v_and_b32_e32 v1, 1, v3
	v_add_co_u32_e32 v2, vcc, -1, v1
	v_addc_co_u32_e64 v4, s[26:27], 0, -1, vcc
	v_cmp_ne_u32_e32 vcc, 0, v1
	v_lshlrev_b32_e32 v32, 30, v3
	v_xor_b32_e32 v1, vcc_hi, v4
	v_cmp_gt_i64_e64 s[26:27], 0, v[31:32]
	v_not_b32_e32 v4, v32
	v_mov_b32_e32 v38, v6
	v_ashrrev_i32_e32 v4, 31, v4
	v_xor_b32_e32 v2, vcc_lo, v2
	v_mov_b32_e32 v37, v5
	v_xor_b32_e32 v5, s27, v4
	v_and_b32_e32 v2, exec_lo, v2
	v_xor_b32_e32 v4, s26, v4
	v_lshlrev_b32_e32 v32, 29, v3
	v_and_b32_e32 v2, v2, v4
	v_cmp_gt_i64_e32 vcc, 0, v[31:32]
	v_not_b32_e32 v4, v32
	v_and_b32_e32 v1, exec_hi, v1
	v_ashrrev_i32_e32 v4, 31, v4
	v_and_b32_e32 v1, v1, v5
	v_xor_b32_e32 v5, vcc_hi, v4
	v_xor_b32_e32 v4, vcc_lo, v4
	v_lshlrev_b32_e32 v32, 28, v3
	v_and_b32_e32 v2, v2, v4
	v_cmp_gt_i64_e32 vcc, 0, v[31:32]
	v_not_b32_e32 v4, v32
	v_ashrrev_i32_e32 v4, 31, v4
	v_and_b32_e32 v1, v1, v5
	v_xor_b32_e32 v5, vcc_hi, v4
	v_xor_b32_e32 v4, vcc_lo, v4
	v_lshlrev_b32_e32 v32, 27, v3
	v_and_b32_e32 v2, v2, v4
	v_cmp_gt_i64_e32 vcc, 0, v[31:32]
	v_not_b32_e32 v4, v32
	;; [unrolled: 8-line block ×5, first 2 shown]
	v_ashrrev_i32_e32 v2, 31, v2
	v_and_b32_e32 v1, v1, v5
	v_xor_b32_e32 v5, vcc_hi, v2
	v_xor_b32_e32 v6, vcc_lo, v2
	v_and_b32_e32 v2, v1, v5
	v_and_b32_e32 v1, v4, v6
	v_mbcnt_lo_u32_b32 v4, v1, 0
	v_mbcnt_hi_u32_b32 v5, v2, v4
	v_cmp_ne_u64_e32 vcc, 0, v[1:2]
	v_mov_b32_e32 v34, v10
	v_mov_b32_e32 v36, v8
	;; [unrolled: 1-line block ×6, first 2 shown]
	v_lshlrev_b32_e32 v3, 4, v3
	v_cmp_eq_u32_e64 s[26:27], 0, v5
	v_mov_b32_e32 v33, v9
	v_mov_b32_e32 v35, v7
	v_mov_b32_e32 v25, v11
	v_mov_b32_e32 v23, v13
	v_mov_b32_e32 v21, v15
	v_mov_b32_e32 v19, v17
	s_and_b64 s[44:45], vcc, s[26:27]
	v_add_u32_e32 v6, v42, v3
	ds_write2_b64 v41, v[27:28], v[29:30] offset0:2 offset1:3
	s_waitcnt lgkmcnt(0)
	s_barrier
	; wave barrier
	s_and_saveexec_b64 s[26:27], s[44:45]
; %bb.21:                               ;   in Loop: Header=BB996_20 Depth=1
	v_bcnt_u32_b32 v1, v1, 0
	v_bcnt_u32_b32 v1, v2, v1
	ds_write_b32 v6, v1 offset:16
; %bb.22:                               ;   in Loop: Header=BB996_20 Depth=1
	s_or_b64 exec, exec, s[26:27]
	v_lshrrev_b64 v[1:2], s34, v[37:38]
	v_and_b32_e32 v1, s40, v1
	v_lshlrev_b32_e32 v2, 4, v1
	v_add_u32_e32 v8, v42, v2
	v_and_b32_e32 v2, 1, v1
	v_add_co_u32_e32 v3, vcc, -1, v2
	v_addc_co_u32_e64 v4, s[26:27], 0, -1, vcc
	v_cmp_ne_u32_e32 vcc, 0, v2
	v_lshlrev_b32_e32 v32, 30, v1
	v_xor_b32_e32 v2, vcc_hi, v4
	v_xor_b32_e32 v3, vcc_lo, v3
	v_cmp_gt_i64_e32 vcc, 0, v[31:32]
	v_not_b32_e32 v4, v32
	v_ashrrev_i32_e32 v4, 31, v4
	v_and_b32_e32 v3, exec_lo, v3
	v_xor_b32_e32 v9, vcc_hi, v4
	v_xor_b32_e32 v4, vcc_lo, v4
	v_lshlrev_b32_e32 v32, 29, v1
	v_and_b32_e32 v3, v3, v4
	v_cmp_gt_i64_e32 vcc, 0, v[31:32]
	v_not_b32_e32 v4, v32
	v_and_b32_e32 v2, exec_hi, v2
	v_ashrrev_i32_e32 v4, 31, v4
	v_and_b32_e32 v2, v2, v9
	v_xor_b32_e32 v9, vcc_hi, v4
	v_xor_b32_e32 v4, vcc_lo, v4
	v_lshlrev_b32_e32 v32, 28, v1
	v_and_b32_e32 v3, v3, v4
	v_cmp_gt_i64_e32 vcc, 0, v[31:32]
	v_not_b32_e32 v4, v32
	v_ashrrev_i32_e32 v4, 31, v4
	v_and_b32_e32 v2, v2, v9
	v_xor_b32_e32 v9, vcc_hi, v4
	v_xor_b32_e32 v4, vcc_lo, v4
	v_lshlrev_b32_e32 v32, 27, v1
	v_and_b32_e32 v3, v3, v4
	v_cmp_gt_i64_e32 vcc, 0, v[31:32]
	v_not_b32_e32 v4, v32
	;; [unrolled: 8-line block ×4, first 2 shown]
	v_ashrrev_i32_e32 v4, 31, v4
	v_lshlrev_b32_e32 v32, 24, v1
	v_and_b32_e32 v2, v2, v9
	v_xor_b32_e32 v9, vcc_hi, v4
	v_xor_b32_e32 v4, vcc_lo, v4
	v_cmp_gt_i64_e32 vcc, 0, v[31:32]
	v_not_b32_e32 v1, v32
	v_ashrrev_i32_e32 v1, 31, v1
	v_and_b32_e32 v3, v3, v4
	v_xor_b32_e32 v4, vcc_hi, v1
	v_xor_b32_e32 v1, vcc_lo, v1
	; wave barrier
	ds_read_b32 v7, v8 offset:16
	v_and_b32_e32 v2, v2, v9
	v_and_b32_e32 v1, v3, v1
	v_and_b32_e32 v2, v2, v4
	v_mbcnt_lo_u32_b32 v3, v1, 0
	v_mbcnt_hi_u32_b32 v9, v2, v3
	v_cmp_ne_u64_e32 vcc, 0, v[1:2]
	v_cmp_eq_u32_e64 s[26:27], 0, v9
	s_and_b64 s[44:45], vcc, s[26:27]
	; wave barrier
	s_and_saveexec_b64 s[26:27], s[44:45]
	s_cbranch_execz .LBB996_24
; %bb.23:                               ;   in Loop: Header=BB996_20 Depth=1
	v_bcnt_u32_b32 v1, v1, 0
	v_bcnt_u32_b32 v1, v2, v1
	s_waitcnt lgkmcnt(0)
	v_add_u32_e32 v1, v7, v1
	ds_write_b32 v8, v1 offset:16
.LBB996_24:                             ;   in Loop: Header=BB996_20 Depth=1
	s_or_b64 exec, exec, s[26:27]
	v_lshrrev_b64 v[1:2], s34, v[35:36]
	v_and_b32_e32 v1, s40, v1
	v_lshlrev_b32_e32 v2, 4, v1
	v_add_u32_e32 v11, v42, v2
	v_and_b32_e32 v2, 1, v1
	v_add_co_u32_e32 v3, vcc, -1, v2
	v_addc_co_u32_e64 v4, s[26:27], 0, -1, vcc
	v_cmp_ne_u32_e32 vcc, 0, v2
	v_lshlrev_b32_e32 v32, 30, v1
	v_xor_b32_e32 v2, vcc_hi, v4
	v_xor_b32_e32 v3, vcc_lo, v3
	v_cmp_gt_i64_e32 vcc, 0, v[31:32]
	v_not_b32_e32 v4, v32
	v_ashrrev_i32_e32 v4, 31, v4
	v_and_b32_e32 v3, exec_lo, v3
	v_xor_b32_e32 v12, vcc_hi, v4
	v_xor_b32_e32 v4, vcc_lo, v4
	v_lshlrev_b32_e32 v32, 29, v1
	v_and_b32_e32 v3, v3, v4
	v_cmp_gt_i64_e32 vcc, 0, v[31:32]
	v_not_b32_e32 v4, v32
	v_and_b32_e32 v2, exec_hi, v2
	v_ashrrev_i32_e32 v4, 31, v4
	v_and_b32_e32 v2, v2, v12
	v_xor_b32_e32 v12, vcc_hi, v4
	v_xor_b32_e32 v4, vcc_lo, v4
	v_lshlrev_b32_e32 v32, 28, v1
	v_and_b32_e32 v3, v3, v4
	v_cmp_gt_i64_e32 vcc, 0, v[31:32]
	v_not_b32_e32 v4, v32
	v_ashrrev_i32_e32 v4, 31, v4
	v_and_b32_e32 v2, v2, v12
	v_xor_b32_e32 v12, vcc_hi, v4
	v_xor_b32_e32 v4, vcc_lo, v4
	v_lshlrev_b32_e32 v32, 27, v1
	v_and_b32_e32 v3, v3, v4
	v_cmp_gt_i64_e32 vcc, 0, v[31:32]
	v_not_b32_e32 v4, v32
	v_ashrrev_i32_e32 v4, 31, v4
	v_and_b32_e32 v2, v2, v12
	v_xor_b32_e32 v12, vcc_hi, v4
	v_xor_b32_e32 v4, vcc_lo, v4
	v_lshlrev_b32_e32 v32, 26, v1
	v_and_b32_e32 v3, v3, v4
	v_cmp_gt_i64_e32 vcc, 0, v[31:32]
	v_not_b32_e32 v4, v32
	v_ashrrev_i32_e32 v4, 31, v4
	v_and_b32_e32 v2, v2, v12
	v_xor_b32_e32 v12, vcc_hi, v4
	v_xor_b32_e32 v4, vcc_lo, v4
	v_lshlrev_b32_e32 v32, 25, v1
	v_and_b32_e32 v3, v3, v4
	v_cmp_gt_i64_e32 vcc, 0, v[31:32]
	v_not_b32_e32 v4, v32
	v_ashrrev_i32_e32 v4, 31, v4
	v_lshlrev_b32_e32 v32, 24, v1
	v_and_b32_e32 v2, v2, v12
	v_xor_b32_e32 v12, vcc_hi, v4
	v_xor_b32_e32 v4, vcc_lo, v4
	v_cmp_gt_i64_e32 vcc, 0, v[31:32]
	v_not_b32_e32 v1, v32
	v_ashrrev_i32_e32 v1, 31, v1
	v_and_b32_e32 v3, v3, v4
	v_xor_b32_e32 v4, vcc_hi, v1
	v_xor_b32_e32 v1, vcc_lo, v1
	; wave barrier
	ds_read_b32 v10, v11 offset:16
	v_and_b32_e32 v2, v2, v12
	v_and_b32_e32 v1, v3, v1
	;; [unrolled: 1-line block ×3, first 2 shown]
	v_mbcnt_lo_u32_b32 v3, v1, 0
	v_mbcnt_hi_u32_b32 v12, v2, v3
	v_cmp_ne_u64_e32 vcc, 0, v[1:2]
	v_cmp_eq_u32_e64 s[26:27], 0, v12
	s_and_b64 s[44:45], vcc, s[26:27]
	; wave barrier
	s_and_saveexec_b64 s[26:27], s[44:45]
	s_cbranch_execz .LBB996_26
; %bb.25:                               ;   in Loop: Header=BB996_20 Depth=1
	v_bcnt_u32_b32 v1, v1, 0
	v_bcnt_u32_b32 v1, v2, v1
	s_waitcnt lgkmcnt(0)
	v_add_u32_e32 v1, v10, v1
	ds_write_b32 v11, v1 offset:16
.LBB996_26:                             ;   in Loop: Header=BB996_20 Depth=1
	s_or_b64 exec, exec, s[26:27]
	v_lshrrev_b64 v[1:2], s34, v[33:34]
	v_and_b32_e32 v1, s40, v1
	v_lshlrev_b32_e32 v2, 4, v1
	v_add_u32_e32 v14, v42, v2
	v_and_b32_e32 v2, 1, v1
	v_add_co_u32_e32 v3, vcc, -1, v2
	v_addc_co_u32_e64 v4, s[26:27], 0, -1, vcc
	v_cmp_ne_u32_e32 vcc, 0, v2
	v_lshlrev_b32_e32 v32, 30, v1
	v_xor_b32_e32 v2, vcc_hi, v4
	v_xor_b32_e32 v3, vcc_lo, v3
	v_cmp_gt_i64_e32 vcc, 0, v[31:32]
	v_not_b32_e32 v4, v32
	v_ashrrev_i32_e32 v4, 31, v4
	v_and_b32_e32 v3, exec_lo, v3
	v_xor_b32_e32 v15, vcc_hi, v4
	v_xor_b32_e32 v4, vcc_lo, v4
	v_lshlrev_b32_e32 v32, 29, v1
	v_and_b32_e32 v3, v3, v4
	v_cmp_gt_i64_e32 vcc, 0, v[31:32]
	v_not_b32_e32 v4, v32
	v_and_b32_e32 v2, exec_hi, v2
	v_ashrrev_i32_e32 v4, 31, v4
	v_and_b32_e32 v2, v2, v15
	v_xor_b32_e32 v15, vcc_hi, v4
	v_xor_b32_e32 v4, vcc_lo, v4
	v_lshlrev_b32_e32 v32, 28, v1
	v_and_b32_e32 v3, v3, v4
	v_cmp_gt_i64_e32 vcc, 0, v[31:32]
	v_not_b32_e32 v4, v32
	v_ashrrev_i32_e32 v4, 31, v4
	v_and_b32_e32 v2, v2, v15
	v_xor_b32_e32 v15, vcc_hi, v4
	v_xor_b32_e32 v4, vcc_lo, v4
	v_lshlrev_b32_e32 v32, 27, v1
	v_and_b32_e32 v3, v3, v4
	v_cmp_gt_i64_e32 vcc, 0, v[31:32]
	v_not_b32_e32 v4, v32
	;; [unrolled: 8-line block ×4, first 2 shown]
	v_ashrrev_i32_e32 v4, 31, v4
	v_lshlrev_b32_e32 v32, 24, v1
	v_and_b32_e32 v2, v2, v15
	v_xor_b32_e32 v15, vcc_hi, v4
	v_xor_b32_e32 v4, vcc_lo, v4
	v_cmp_gt_i64_e32 vcc, 0, v[31:32]
	v_not_b32_e32 v1, v32
	v_ashrrev_i32_e32 v1, 31, v1
	v_and_b32_e32 v3, v3, v4
	v_xor_b32_e32 v4, vcc_hi, v1
	v_xor_b32_e32 v1, vcc_lo, v1
	; wave barrier
	ds_read_b32 v13, v14 offset:16
	v_and_b32_e32 v2, v2, v15
	v_and_b32_e32 v1, v3, v1
	;; [unrolled: 1-line block ×3, first 2 shown]
	v_mbcnt_lo_u32_b32 v3, v1, 0
	v_mbcnt_hi_u32_b32 v15, v2, v3
	v_cmp_ne_u64_e32 vcc, 0, v[1:2]
	v_cmp_eq_u32_e64 s[26:27], 0, v15
	s_and_b64 s[40:41], vcc, s[26:27]
	; wave barrier
	s_and_saveexec_b64 s[26:27], s[40:41]
	s_cbranch_execz .LBB996_28
; %bb.27:                               ;   in Loop: Header=BB996_20 Depth=1
	v_bcnt_u32_b32 v1, v1, 0
	v_bcnt_u32_b32 v1, v2, v1
	s_waitcnt lgkmcnt(0)
	v_add_u32_e32 v1, v13, v1
	ds_write_b32 v14, v1 offset:16
.LBB996_28:                             ;   in Loop: Header=BB996_20 Depth=1
	s_or_b64 exec, exec, s[26:27]
	; wave barrier
	s_waitcnt lgkmcnt(0)
	s_barrier
	ds_read2_b64 v[1:4], v41 offset0:2 offset1:3
	s_waitcnt lgkmcnt(0)
	v_add_u32_e32 v16, v2, v1
	v_add3_u32 v4, v16, v3, v4
	s_nop 1
	v_mov_b32_dpp v16, v4 row_shr:1 row_mask:0xf bank_mask:0xf
	v_cndmask_b32_e64 v16, v16, 0, s[0:1]
	v_add_u32_e32 v4, v16, v4
	s_nop 1
	v_mov_b32_dpp v16, v4 row_shr:2 row_mask:0xf bank_mask:0xf
	v_cndmask_b32_e64 v16, 0, v16, s[2:3]
	v_add_u32_e32 v4, v4, v16
	;; [unrolled: 4-line block ×4, first 2 shown]
	s_nop 1
	v_mov_b32_dpp v16, v4 row_bcast:15 row_mask:0xf bank_mask:0xf
	v_cndmask_b32_e64 v16, v16, 0, s[8:9]
	v_add_u32_e32 v4, v4, v16
	s_nop 1
	v_mov_b32_dpp v16, v4 row_bcast:31 row_mask:0xf bank_mask:0xf
	v_cndmask_b32_e64 v16, 0, v16, s[10:11]
	v_add_u32_e32 v4, v4, v16
	s_and_saveexec_b64 s[26:27], s[12:13]
; %bb.29:                               ;   in Loop: Header=BB996_20 Depth=1
	ds_write_b32 v44, v4
; %bb.30:                               ;   in Loop: Header=BB996_20 Depth=1
	s_or_b64 exec, exec, s[26:27]
	s_waitcnt lgkmcnt(0)
	s_barrier
	s_and_saveexec_b64 s[26:27], s[14:15]
	s_cbranch_execz .LBB996_32
; %bb.31:                               ;   in Loop: Header=BB996_20 Depth=1
	ds_read_b32 v16, v47
	s_waitcnt lgkmcnt(0)
	s_nop 0
	v_mov_b32_dpp v17, v16 row_shr:1 row_mask:0xf bank_mask:0xf
	v_cndmask_b32_e64 v17, v17, 0, s[22:23]
	v_add_u32_e32 v16, v17, v16
	s_nop 1
	v_mov_b32_dpp v17, v16 row_shr:2 row_mask:0xf bank_mask:0xf
	v_cndmask_b32_e64 v17, 0, v17, s[24:25]
	v_add_u32_e32 v16, v16, v17
	ds_write_b32 v47, v16
.LBB996_32:                             ;   in Loop: Header=BB996_20 Depth=1
	s_or_b64 exec, exec, s[26:27]
	v_mov_b32_e32 v16, 0
	s_waitcnt lgkmcnt(0)
	s_barrier
	s_and_saveexec_b64 s[26:27], s[16:17]
; %bb.33:                               ;   in Loop: Header=BB996_20 Depth=1
	ds_read_b32 v16, v45
; %bb.34:                               ;   in Loop: Header=BB996_20 Depth=1
	s_or_b64 exec, exec, s[26:27]
	s_waitcnt lgkmcnt(0)
	v_add_u32_e32 v4, v16, v4
	ds_bpermute_b32 v4, v43, v4
	v_lshlrev_b32_e32 v5, 3, v5
	s_add_i32 s34, s34, 8
	s_cmp_ge_u32 s34, s36
	s_mov_b64 s[26:27], -1
	s_waitcnt lgkmcnt(0)
	v_cndmask_b32_e64 v4, v4, v16, s[18:19]
	v_cndmask_b32_e64 v16, v4, 0, s[20:21]
	v_add_u32_e32 v17, v16, v1
	v_add_u32_e32 v1, v17, v2
	;; [unrolled: 1-line block ×3, first 2 shown]
	ds_write2_b64 v41, v[16:17], v[1:2] offset0:2 offset1:3
	s_waitcnt lgkmcnt(0)
	s_barrier
	ds_read_b32 v1, v6 offset:16
	ds_read_b32 v2, v8 offset:16
	;; [unrolled: 1-line block ×4, first 2 shown]
	v_lshlrev_b32_e32 v6, 3, v7
	s_waitcnt lgkmcnt(3)
	v_lshl_add_u32 v1, v1, 3, v5
	v_lshlrev_b32_e32 v5, 3, v9
	s_waitcnt lgkmcnt(2)
	v_lshlrev_b32_e32 v2, 3, v2
	v_add3_u32 v2, v5, v6, v2
	v_lshlrev_b32_e32 v5, 3, v12
	v_lshlrev_b32_e32 v6, 3, v10
	s_waitcnt lgkmcnt(1)
	v_lshlrev_b32_e32 v3, 3, v3
	v_add3_u32 v32, v5, v6, v3
	v_lshlrev_b32_e32 v3, 3, v15
	v_lshlrev_b32_e32 v5, 3, v13
	s_waitcnt lgkmcnt(0)
	v_lshlrev_b32_e32 v4, 3, v4
	v_add3_u32 v48, v3, v5, v4
                                        ; implicit-def: $vgpr9_vgpr10
                                        ; implicit-def: $vgpr11_vgpr12
                                        ; implicit-def: $vgpr15_vgpr16
	s_cbranch_scc1 .LBB996_19
; %bb.35:                               ;   in Loop: Header=BB996_20 Depth=1
	s_barrier
	ds_write_b64 v1, v[39:40]
	ds_write_b64 v2, v[37:38]
	;; [unrolled: 1-line block ×4, first 2 shown]
	s_waitcnt lgkmcnt(0)
	s_barrier
	ds_read2st64_b64 v[3:6], v46 offset1:1
	ds_read2st64_b64 v[7:10], v46 offset0:2 offset1:3
	s_waitcnt lgkmcnt(0)
	s_barrier
	ds_write_b64 v1, v[25:26]
	ds_write_b64 v2, v[23:24]
	ds_write_b64 v32, v[21:22]
	ds_write_b64 v48, v[19:20]
	s_waitcnt lgkmcnt(0)
	s_barrier
	ds_read2st64_b64 v[11:14], v46 offset1:1
	ds_read2st64_b64 v[15:18], v46 offset0:2 offset1:3
	s_add_i32 s35, s35, -8
	s_mov_b64 s[26:27], 0
	s_waitcnt lgkmcnt(0)
	s_barrier
	s_branch .LBB996_19
.LBB996_36:
	v_lshlrev_b32_e32 v27, 3, v0
	s_barrier
	ds_write_b64 v1, v[39:40]
	ds_write_b64 v2, v[37:38]
	;; [unrolled: 1-line block ×4, first 2 shown]
	s_waitcnt lgkmcnt(0)
	s_barrier
	ds_read2st64_b64 v[13:16], v27 offset1:4
	ds_read2st64_b64 v[9:12], v27 offset0:8 offset1:12
	s_waitcnt lgkmcnt(0)
	s_barrier
	ds_write_b64 v1, v[25:26]
	ds_write_b64 v2, v[23:24]
	;; [unrolled: 1-line block ×4, first 2 shown]
	s_waitcnt lgkmcnt(0)
	s_barrier
	ds_read2st64_b64 v[5:8], v27 offset1:4
	ds_read2st64_b64 v[1:4], v27 offset0:8 offset1:12
	s_add_u32 s0, s38, s28
	s_addc_u32 s1, s39, s29
	v_mov_b32_e32 v18, s1
	v_add_co_u32_e64 v17, s[0:1], s0, v27
	v_xor_b32_e32 v14, 0x80000000, v14
	v_xor_b32_e32 v16, 0x80000000, v16
	;; [unrolled: 1-line block ×4, first 2 shown]
	s_andn2_b64 vcc, exec, s[30:31]
	v_addc_co_u32_e64 v18, s[0:1], 0, v18, s[0:1]
	s_cbranch_vccnz .LBB996_38
; %bb.37:
	v_add_co_u32_e32 v19, vcc, 0x1000, v17
	s_add_u32 s0, s42, s28
	v_addc_co_u32_e32 v20, vcc, 0, v18, vcc
	s_addc_u32 s1, s43, s29
	global_store_dwordx2 v[17:18], v[13:14], off
	global_store_dwordx2 v[17:18], v[15:16], off offset:2048
	global_store_dwordx2 v[19:20], v[9:10], off
	global_store_dwordx2 v[19:20], v[11:12], off offset:2048
	v_mov_b32_e32 v19, s1
	v_add_co_u32_e32 v20, vcc, s0, v27
	v_addc_co_u32_e32 v21, vcc, 0, v19, vcc
	v_add_co_u32_e32 v19, vcc, 0x1000, v20
	s_waitcnt lgkmcnt(1)
	global_store_dwordx2 v27, v[5:6], s[0:1]
	global_store_dwordx2 v27, v[7:8], s[0:1] offset:2048
	v_addc_co_u32_e32 v20, vcc, 0, v21, vcc
	s_mov_b64 s[6:7], -1
	s_waitcnt lgkmcnt(0)
	global_store_dwordx2 v[19:20], v[1:2], off
	s_cbranch_execz .LBB996_39
	s_branch .LBB996_52
.LBB996_38:
	s_mov_b64 s[6:7], 0
.LBB996_39:
	v_cmp_gt_u32_e64 s[0:1], s33, v0
	s_and_saveexec_b64 s[2:3], s[0:1]
	s_cbranch_execz .LBB996_41
; %bb.40:
	global_store_dwordx2 v[17:18], v[13:14], off
.LBB996_41:
	s_or_b64 exec, exec, s[2:3]
	v_or_b32_e32 v13, 0x100, v0
	v_cmp_gt_u32_e64 s[2:3], s33, v13
	s_and_saveexec_b64 s[4:5], s[2:3]
	s_cbranch_execz .LBB996_43
; %bb.42:
	global_store_dwordx2 v[17:18], v[15:16], off offset:2048
.LBB996_43:
	s_or_b64 exec, exec, s[4:5]
	v_or_b32_e32 v13, 0x200, v0
	v_cmp_gt_u32_e64 s[4:5], s33, v13
	s_and_saveexec_b64 s[6:7], s[4:5]
	s_cbranch_execz .LBB996_45
; %bb.44:
	v_add_co_u32_e32 v13, vcc, 0x1000, v17
	v_addc_co_u32_e32 v14, vcc, 0, v18, vcc
	global_store_dwordx2 v[13:14], v[9:10], off
.LBB996_45:
	s_or_b64 exec, exec, s[6:7]
	v_or_b32_e32 v0, 0x300, v0
	v_cmp_gt_u32_e64 s[6:7], s33, v0
	s_and_saveexec_b64 s[8:9], s[6:7]
	s_cbranch_execz .LBB996_47
; %bb.46:
	v_add_co_u32_e32 v9, vcc, 0x1000, v17
	v_addc_co_u32_e32 v10, vcc, 0, v18, vcc
	global_store_dwordx2 v[9:10], v[11:12], off offset:2048
.LBB996_47:
	s_or_b64 exec, exec, s[8:9]
	s_add_u32 s8, s42, s28
	s_addc_u32 s9, s43, s29
	v_mov_b32_e32 v0, s9
	v_add_co_u32_e32 v9, vcc, s8, v27
	v_addc_co_u32_e32 v10, vcc, 0, v0, vcc
	s_and_saveexec_b64 s[8:9], s[0:1]
	s_cbranch_execnz .LBB996_57
; %bb.48:
	s_or_b64 exec, exec, s[8:9]
	s_and_saveexec_b64 s[0:1], s[2:3]
	s_cbranch_execnz .LBB996_58
.LBB996_49:
	s_or_b64 exec, exec, s[0:1]
	s_and_saveexec_b64 s[0:1], s[4:5]
	s_cbranch_execz .LBB996_51
.LBB996_50:
	s_waitcnt lgkmcnt(1)
	v_add_co_u32_e32 v5, vcc, 0x1000, v9
	v_addc_co_u32_e32 v6, vcc, 0, v10, vcc
	s_waitcnt lgkmcnt(0)
	global_store_dwordx2 v[5:6], v[1:2], off
.LBB996_51:
	s_or_b64 exec, exec, s[0:1]
.LBB996_52:
	s_and_saveexec_b64 s[0:1], s[6:7]
	s_cbranch_execnz .LBB996_54
; %bb.53:
	s_endpgm
.LBB996_54:
	s_add_u32 s0, s42, s28
	s_addc_u32 s1, s43, s29
	v_mov_b32_e32 v0, s1
	s_waitcnt lgkmcnt(0)
	v_add_co_u32_e32 v1, vcc, s0, v27
	v_addc_co_u32_e32 v2, vcc, 0, v0, vcc
	v_add_co_u32_e32 v0, vcc, 0x1000, v1
	v_addc_co_u32_e32 v1, vcc, 0, v2, vcc
	global_store_dwordx2 v[0:1], v[3:4], off offset:2048
	s_endpgm
.LBB996_55:
	global_load_dwordx2 v[11:12], v[17:18], off
	s_or_b64 exec, exec, s[6:7]
	s_and_saveexec_b64 s[6:7], s[0:1]
	s_cbranch_execz .LBB996_13
.LBB996_56:
	global_load_dwordx2 v[13:14], v[17:18], off offset:512
	s_or_b64 exec, exec, s[6:7]
                                        ; implicit-def: $vgpr15_vgpr16
	s_and_saveexec_b64 s[0:1], s[2:3]
	s_cbranch_execnz .LBB996_14
	s_branch .LBB996_15
.LBB996_57:
	s_waitcnt lgkmcnt(1)
	global_store_dwordx2 v[9:10], v[5:6], off
	s_or_b64 exec, exec, s[8:9]
	s_and_saveexec_b64 s[0:1], s[2:3]
	s_cbranch_execz .LBB996_49
.LBB996_58:
	s_waitcnt lgkmcnt(1)
	global_store_dwordx2 v[9:10], v[7:8], off offset:2048
	s_or_b64 exec, exec, s[0:1]
	s_and_saveexec_b64 s[0:1], s[4:5]
	s_cbranch_execnz .LBB996_50
	s_branch .LBB996_51
	.section	.rodata,"a",@progbits
	.p2align	6, 0x0
	.amdhsa_kernel _ZN7rocprim17ROCPRIM_400000_NS6detail17trampoline_kernelINS0_13kernel_configILj256ELj4ELj4294967295EEENS1_37radix_sort_block_sort_config_selectorIllEEZNS1_21radix_sort_block_sortIS4_Lb0EPlS8_N6thrust23THRUST_200600_302600_NS10device_ptrIlEESC_NS0_19identity_decomposerEEE10hipError_tT1_T2_T3_T4_jRjT5_jjP12ihipStream_tbEUlT_E_NS1_11comp_targetILNS1_3genE2ELNS1_11target_archE906ELNS1_3gpuE6ELNS1_3repE0EEENS1_44radix_sort_block_sort_config_static_selectorELNS0_4arch9wavefront6targetE1EEEvSF_
		.amdhsa_group_segment_fixed_size 8192
		.amdhsa_private_segment_fixed_size 0
		.amdhsa_kernarg_size 304
		.amdhsa_user_sgpr_count 6
		.amdhsa_user_sgpr_private_segment_buffer 1
		.amdhsa_user_sgpr_dispatch_ptr 0
		.amdhsa_user_sgpr_queue_ptr 0
		.amdhsa_user_sgpr_kernarg_segment_ptr 1
		.amdhsa_user_sgpr_dispatch_id 0
		.amdhsa_user_sgpr_flat_scratch_init 0
		.amdhsa_user_sgpr_private_segment_size 0
		.amdhsa_uses_dynamic_stack 0
		.amdhsa_system_sgpr_private_segment_wavefront_offset 0
		.amdhsa_system_sgpr_workgroup_id_x 1
		.amdhsa_system_sgpr_workgroup_id_y 0
		.amdhsa_system_sgpr_workgroup_id_z 0
		.amdhsa_system_sgpr_workgroup_info 0
		.amdhsa_system_vgpr_workitem_id 2
		.amdhsa_next_free_vgpr 49
		.amdhsa_next_free_sgpr 61
		.amdhsa_reserve_vcc 1
		.amdhsa_reserve_flat_scratch 0
		.amdhsa_float_round_mode_32 0
		.amdhsa_float_round_mode_16_64 0
		.amdhsa_float_denorm_mode_32 3
		.amdhsa_float_denorm_mode_16_64 3
		.amdhsa_dx10_clamp 1
		.amdhsa_ieee_mode 1
		.amdhsa_fp16_overflow 0
		.amdhsa_exception_fp_ieee_invalid_op 0
		.amdhsa_exception_fp_denorm_src 0
		.amdhsa_exception_fp_ieee_div_zero 0
		.amdhsa_exception_fp_ieee_overflow 0
		.amdhsa_exception_fp_ieee_underflow 0
		.amdhsa_exception_fp_ieee_inexact 0
		.amdhsa_exception_int_div_zero 0
	.end_amdhsa_kernel
	.section	.text._ZN7rocprim17ROCPRIM_400000_NS6detail17trampoline_kernelINS0_13kernel_configILj256ELj4ELj4294967295EEENS1_37radix_sort_block_sort_config_selectorIllEEZNS1_21radix_sort_block_sortIS4_Lb0EPlS8_N6thrust23THRUST_200600_302600_NS10device_ptrIlEESC_NS0_19identity_decomposerEEE10hipError_tT1_T2_T3_T4_jRjT5_jjP12ihipStream_tbEUlT_E_NS1_11comp_targetILNS1_3genE2ELNS1_11target_archE906ELNS1_3gpuE6ELNS1_3repE0EEENS1_44radix_sort_block_sort_config_static_selectorELNS0_4arch9wavefront6targetE1EEEvSF_,"axG",@progbits,_ZN7rocprim17ROCPRIM_400000_NS6detail17trampoline_kernelINS0_13kernel_configILj256ELj4ELj4294967295EEENS1_37radix_sort_block_sort_config_selectorIllEEZNS1_21radix_sort_block_sortIS4_Lb0EPlS8_N6thrust23THRUST_200600_302600_NS10device_ptrIlEESC_NS0_19identity_decomposerEEE10hipError_tT1_T2_T3_T4_jRjT5_jjP12ihipStream_tbEUlT_E_NS1_11comp_targetILNS1_3genE2ELNS1_11target_archE906ELNS1_3gpuE6ELNS1_3repE0EEENS1_44radix_sort_block_sort_config_static_selectorELNS0_4arch9wavefront6targetE1EEEvSF_,comdat
.Lfunc_end996:
	.size	_ZN7rocprim17ROCPRIM_400000_NS6detail17trampoline_kernelINS0_13kernel_configILj256ELj4ELj4294967295EEENS1_37radix_sort_block_sort_config_selectorIllEEZNS1_21radix_sort_block_sortIS4_Lb0EPlS8_N6thrust23THRUST_200600_302600_NS10device_ptrIlEESC_NS0_19identity_decomposerEEE10hipError_tT1_T2_T3_T4_jRjT5_jjP12ihipStream_tbEUlT_E_NS1_11comp_targetILNS1_3genE2ELNS1_11target_archE906ELNS1_3gpuE6ELNS1_3repE0EEENS1_44radix_sort_block_sort_config_static_selectorELNS0_4arch9wavefront6targetE1EEEvSF_, .Lfunc_end996-_ZN7rocprim17ROCPRIM_400000_NS6detail17trampoline_kernelINS0_13kernel_configILj256ELj4ELj4294967295EEENS1_37radix_sort_block_sort_config_selectorIllEEZNS1_21radix_sort_block_sortIS4_Lb0EPlS8_N6thrust23THRUST_200600_302600_NS10device_ptrIlEESC_NS0_19identity_decomposerEEE10hipError_tT1_T2_T3_T4_jRjT5_jjP12ihipStream_tbEUlT_E_NS1_11comp_targetILNS1_3genE2ELNS1_11target_archE906ELNS1_3gpuE6ELNS1_3repE0EEENS1_44radix_sort_block_sort_config_static_selectorELNS0_4arch9wavefront6targetE1EEEvSF_
                                        ; -- End function
	.set _ZN7rocprim17ROCPRIM_400000_NS6detail17trampoline_kernelINS0_13kernel_configILj256ELj4ELj4294967295EEENS1_37radix_sort_block_sort_config_selectorIllEEZNS1_21radix_sort_block_sortIS4_Lb0EPlS8_N6thrust23THRUST_200600_302600_NS10device_ptrIlEESC_NS0_19identity_decomposerEEE10hipError_tT1_T2_T3_T4_jRjT5_jjP12ihipStream_tbEUlT_E_NS1_11comp_targetILNS1_3genE2ELNS1_11target_archE906ELNS1_3gpuE6ELNS1_3repE0EEENS1_44radix_sort_block_sort_config_static_selectorELNS0_4arch9wavefront6targetE1EEEvSF_.num_vgpr, 49
	.set _ZN7rocprim17ROCPRIM_400000_NS6detail17trampoline_kernelINS0_13kernel_configILj256ELj4ELj4294967295EEENS1_37radix_sort_block_sort_config_selectorIllEEZNS1_21radix_sort_block_sortIS4_Lb0EPlS8_N6thrust23THRUST_200600_302600_NS10device_ptrIlEESC_NS0_19identity_decomposerEEE10hipError_tT1_T2_T3_T4_jRjT5_jjP12ihipStream_tbEUlT_E_NS1_11comp_targetILNS1_3genE2ELNS1_11target_archE906ELNS1_3gpuE6ELNS1_3repE0EEENS1_44radix_sort_block_sort_config_static_selectorELNS0_4arch9wavefront6targetE1EEEvSF_.num_agpr, 0
	.set _ZN7rocprim17ROCPRIM_400000_NS6detail17trampoline_kernelINS0_13kernel_configILj256ELj4ELj4294967295EEENS1_37radix_sort_block_sort_config_selectorIllEEZNS1_21radix_sort_block_sortIS4_Lb0EPlS8_N6thrust23THRUST_200600_302600_NS10device_ptrIlEESC_NS0_19identity_decomposerEEE10hipError_tT1_T2_T3_T4_jRjT5_jjP12ihipStream_tbEUlT_E_NS1_11comp_targetILNS1_3genE2ELNS1_11target_archE906ELNS1_3gpuE6ELNS1_3repE0EEENS1_44radix_sort_block_sort_config_static_selectorELNS0_4arch9wavefront6targetE1EEEvSF_.numbered_sgpr, 46
	.set _ZN7rocprim17ROCPRIM_400000_NS6detail17trampoline_kernelINS0_13kernel_configILj256ELj4ELj4294967295EEENS1_37radix_sort_block_sort_config_selectorIllEEZNS1_21radix_sort_block_sortIS4_Lb0EPlS8_N6thrust23THRUST_200600_302600_NS10device_ptrIlEESC_NS0_19identity_decomposerEEE10hipError_tT1_T2_T3_T4_jRjT5_jjP12ihipStream_tbEUlT_E_NS1_11comp_targetILNS1_3genE2ELNS1_11target_archE906ELNS1_3gpuE6ELNS1_3repE0EEENS1_44radix_sort_block_sort_config_static_selectorELNS0_4arch9wavefront6targetE1EEEvSF_.num_named_barrier, 0
	.set _ZN7rocprim17ROCPRIM_400000_NS6detail17trampoline_kernelINS0_13kernel_configILj256ELj4ELj4294967295EEENS1_37radix_sort_block_sort_config_selectorIllEEZNS1_21radix_sort_block_sortIS4_Lb0EPlS8_N6thrust23THRUST_200600_302600_NS10device_ptrIlEESC_NS0_19identity_decomposerEEE10hipError_tT1_T2_T3_T4_jRjT5_jjP12ihipStream_tbEUlT_E_NS1_11comp_targetILNS1_3genE2ELNS1_11target_archE906ELNS1_3gpuE6ELNS1_3repE0EEENS1_44radix_sort_block_sort_config_static_selectorELNS0_4arch9wavefront6targetE1EEEvSF_.private_seg_size, 0
	.set _ZN7rocprim17ROCPRIM_400000_NS6detail17trampoline_kernelINS0_13kernel_configILj256ELj4ELj4294967295EEENS1_37radix_sort_block_sort_config_selectorIllEEZNS1_21radix_sort_block_sortIS4_Lb0EPlS8_N6thrust23THRUST_200600_302600_NS10device_ptrIlEESC_NS0_19identity_decomposerEEE10hipError_tT1_T2_T3_T4_jRjT5_jjP12ihipStream_tbEUlT_E_NS1_11comp_targetILNS1_3genE2ELNS1_11target_archE906ELNS1_3gpuE6ELNS1_3repE0EEENS1_44radix_sort_block_sort_config_static_selectorELNS0_4arch9wavefront6targetE1EEEvSF_.uses_vcc, 1
	.set _ZN7rocprim17ROCPRIM_400000_NS6detail17trampoline_kernelINS0_13kernel_configILj256ELj4ELj4294967295EEENS1_37radix_sort_block_sort_config_selectorIllEEZNS1_21radix_sort_block_sortIS4_Lb0EPlS8_N6thrust23THRUST_200600_302600_NS10device_ptrIlEESC_NS0_19identity_decomposerEEE10hipError_tT1_T2_T3_T4_jRjT5_jjP12ihipStream_tbEUlT_E_NS1_11comp_targetILNS1_3genE2ELNS1_11target_archE906ELNS1_3gpuE6ELNS1_3repE0EEENS1_44radix_sort_block_sort_config_static_selectorELNS0_4arch9wavefront6targetE1EEEvSF_.uses_flat_scratch, 0
	.set _ZN7rocprim17ROCPRIM_400000_NS6detail17trampoline_kernelINS0_13kernel_configILj256ELj4ELj4294967295EEENS1_37radix_sort_block_sort_config_selectorIllEEZNS1_21radix_sort_block_sortIS4_Lb0EPlS8_N6thrust23THRUST_200600_302600_NS10device_ptrIlEESC_NS0_19identity_decomposerEEE10hipError_tT1_T2_T3_T4_jRjT5_jjP12ihipStream_tbEUlT_E_NS1_11comp_targetILNS1_3genE2ELNS1_11target_archE906ELNS1_3gpuE6ELNS1_3repE0EEENS1_44radix_sort_block_sort_config_static_selectorELNS0_4arch9wavefront6targetE1EEEvSF_.has_dyn_sized_stack, 0
	.set _ZN7rocprim17ROCPRIM_400000_NS6detail17trampoline_kernelINS0_13kernel_configILj256ELj4ELj4294967295EEENS1_37radix_sort_block_sort_config_selectorIllEEZNS1_21radix_sort_block_sortIS4_Lb0EPlS8_N6thrust23THRUST_200600_302600_NS10device_ptrIlEESC_NS0_19identity_decomposerEEE10hipError_tT1_T2_T3_T4_jRjT5_jjP12ihipStream_tbEUlT_E_NS1_11comp_targetILNS1_3genE2ELNS1_11target_archE906ELNS1_3gpuE6ELNS1_3repE0EEENS1_44radix_sort_block_sort_config_static_selectorELNS0_4arch9wavefront6targetE1EEEvSF_.has_recursion, 0
	.set _ZN7rocprim17ROCPRIM_400000_NS6detail17trampoline_kernelINS0_13kernel_configILj256ELj4ELj4294967295EEENS1_37radix_sort_block_sort_config_selectorIllEEZNS1_21radix_sort_block_sortIS4_Lb0EPlS8_N6thrust23THRUST_200600_302600_NS10device_ptrIlEESC_NS0_19identity_decomposerEEE10hipError_tT1_T2_T3_T4_jRjT5_jjP12ihipStream_tbEUlT_E_NS1_11comp_targetILNS1_3genE2ELNS1_11target_archE906ELNS1_3gpuE6ELNS1_3repE0EEENS1_44radix_sort_block_sort_config_static_selectorELNS0_4arch9wavefront6targetE1EEEvSF_.has_indirect_call, 0
	.section	.AMDGPU.csdata,"",@progbits
; Kernel info:
; codeLenInByte = 3856
; TotalNumSgprs: 50
; NumVgprs: 49
; ScratchSize: 0
; MemoryBound: 1
; FloatMode: 240
; IeeeMode: 1
; LDSByteSize: 8192 bytes/workgroup (compile time only)
; SGPRBlocks: 8
; VGPRBlocks: 12
; NumSGPRsForWavesPerEU: 65
; NumVGPRsForWavesPerEU: 49
; Occupancy: 4
; WaveLimiterHint : 1
; COMPUTE_PGM_RSRC2:SCRATCH_EN: 0
; COMPUTE_PGM_RSRC2:USER_SGPR: 6
; COMPUTE_PGM_RSRC2:TRAP_HANDLER: 0
; COMPUTE_PGM_RSRC2:TGID_X_EN: 1
; COMPUTE_PGM_RSRC2:TGID_Y_EN: 0
; COMPUTE_PGM_RSRC2:TGID_Z_EN: 0
; COMPUTE_PGM_RSRC2:TIDIG_COMP_CNT: 2
	.section	.text._ZN7rocprim17ROCPRIM_400000_NS6detail17trampoline_kernelINS0_13kernel_configILj256ELj4ELj4294967295EEENS1_37radix_sort_block_sort_config_selectorIllEEZNS1_21radix_sort_block_sortIS4_Lb0EPlS8_N6thrust23THRUST_200600_302600_NS10device_ptrIlEESC_NS0_19identity_decomposerEEE10hipError_tT1_T2_T3_T4_jRjT5_jjP12ihipStream_tbEUlT_E_NS1_11comp_targetILNS1_3genE10ELNS1_11target_archE1201ELNS1_3gpuE5ELNS1_3repE0EEENS1_44radix_sort_block_sort_config_static_selectorELNS0_4arch9wavefront6targetE1EEEvSF_,"axG",@progbits,_ZN7rocprim17ROCPRIM_400000_NS6detail17trampoline_kernelINS0_13kernel_configILj256ELj4ELj4294967295EEENS1_37radix_sort_block_sort_config_selectorIllEEZNS1_21radix_sort_block_sortIS4_Lb0EPlS8_N6thrust23THRUST_200600_302600_NS10device_ptrIlEESC_NS0_19identity_decomposerEEE10hipError_tT1_T2_T3_T4_jRjT5_jjP12ihipStream_tbEUlT_E_NS1_11comp_targetILNS1_3genE10ELNS1_11target_archE1201ELNS1_3gpuE5ELNS1_3repE0EEENS1_44radix_sort_block_sort_config_static_selectorELNS0_4arch9wavefront6targetE1EEEvSF_,comdat
	.protected	_ZN7rocprim17ROCPRIM_400000_NS6detail17trampoline_kernelINS0_13kernel_configILj256ELj4ELj4294967295EEENS1_37radix_sort_block_sort_config_selectorIllEEZNS1_21radix_sort_block_sortIS4_Lb0EPlS8_N6thrust23THRUST_200600_302600_NS10device_ptrIlEESC_NS0_19identity_decomposerEEE10hipError_tT1_T2_T3_T4_jRjT5_jjP12ihipStream_tbEUlT_E_NS1_11comp_targetILNS1_3genE10ELNS1_11target_archE1201ELNS1_3gpuE5ELNS1_3repE0EEENS1_44radix_sort_block_sort_config_static_selectorELNS0_4arch9wavefront6targetE1EEEvSF_ ; -- Begin function _ZN7rocprim17ROCPRIM_400000_NS6detail17trampoline_kernelINS0_13kernel_configILj256ELj4ELj4294967295EEENS1_37radix_sort_block_sort_config_selectorIllEEZNS1_21radix_sort_block_sortIS4_Lb0EPlS8_N6thrust23THRUST_200600_302600_NS10device_ptrIlEESC_NS0_19identity_decomposerEEE10hipError_tT1_T2_T3_T4_jRjT5_jjP12ihipStream_tbEUlT_E_NS1_11comp_targetILNS1_3genE10ELNS1_11target_archE1201ELNS1_3gpuE5ELNS1_3repE0EEENS1_44radix_sort_block_sort_config_static_selectorELNS0_4arch9wavefront6targetE1EEEvSF_
	.globl	_ZN7rocprim17ROCPRIM_400000_NS6detail17trampoline_kernelINS0_13kernel_configILj256ELj4ELj4294967295EEENS1_37radix_sort_block_sort_config_selectorIllEEZNS1_21radix_sort_block_sortIS4_Lb0EPlS8_N6thrust23THRUST_200600_302600_NS10device_ptrIlEESC_NS0_19identity_decomposerEEE10hipError_tT1_T2_T3_T4_jRjT5_jjP12ihipStream_tbEUlT_E_NS1_11comp_targetILNS1_3genE10ELNS1_11target_archE1201ELNS1_3gpuE5ELNS1_3repE0EEENS1_44radix_sort_block_sort_config_static_selectorELNS0_4arch9wavefront6targetE1EEEvSF_
	.p2align	8
	.type	_ZN7rocprim17ROCPRIM_400000_NS6detail17trampoline_kernelINS0_13kernel_configILj256ELj4ELj4294967295EEENS1_37radix_sort_block_sort_config_selectorIllEEZNS1_21radix_sort_block_sortIS4_Lb0EPlS8_N6thrust23THRUST_200600_302600_NS10device_ptrIlEESC_NS0_19identity_decomposerEEE10hipError_tT1_T2_T3_T4_jRjT5_jjP12ihipStream_tbEUlT_E_NS1_11comp_targetILNS1_3genE10ELNS1_11target_archE1201ELNS1_3gpuE5ELNS1_3repE0EEENS1_44radix_sort_block_sort_config_static_selectorELNS0_4arch9wavefront6targetE1EEEvSF_,@function
_ZN7rocprim17ROCPRIM_400000_NS6detail17trampoline_kernelINS0_13kernel_configILj256ELj4ELj4294967295EEENS1_37radix_sort_block_sort_config_selectorIllEEZNS1_21radix_sort_block_sortIS4_Lb0EPlS8_N6thrust23THRUST_200600_302600_NS10device_ptrIlEESC_NS0_19identity_decomposerEEE10hipError_tT1_T2_T3_T4_jRjT5_jjP12ihipStream_tbEUlT_E_NS1_11comp_targetILNS1_3genE10ELNS1_11target_archE1201ELNS1_3gpuE5ELNS1_3repE0EEENS1_44radix_sort_block_sort_config_static_selectorELNS0_4arch9wavefront6targetE1EEEvSF_: ; @_ZN7rocprim17ROCPRIM_400000_NS6detail17trampoline_kernelINS0_13kernel_configILj256ELj4ELj4294967295EEENS1_37radix_sort_block_sort_config_selectorIllEEZNS1_21radix_sort_block_sortIS4_Lb0EPlS8_N6thrust23THRUST_200600_302600_NS10device_ptrIlEESC_NS0_19identity_decomposerEEE10hipError_tT1_T2_T3_T4_jRjT5_jjP12ihipStream_tbEUlT_E_NS1_11comp_targetILNS1_3genE10ELNS1_11target_archE1201ELNS1_3gpuE5ELNS1_3repE0EEENS1_44radix_sort_block_sort_config_static_selectorELNS0_4arch9wavefront6targetE1EEEvSF_
; %bb.0:
	.section	.rodata,"a",@progbits
	.p2align	6, 0x0
	.amdhsa_kernel _ZN7rocprim17ROCPRIM_400000_NS6detail17trampoline_kernelINS0_13kernel_configILj256ELj4ELj4294967295EEENS1_37radix_sort_block_sort_config_selectorIllEEZNS1_21radix_sort_block_sortIS4_Lb0EPlS8_N6thrust23THRUST_200600_302600_NS10device_ptrIlEESC_NS0_19identity_decomposerEEE10hipError_tT1_T2_T3_T4_jRjT5_jjP12ihipStream_tbEUlT_E_NS1_11comp_targetILNS1_3genE10ELNS1_11target_archE1201ELNS1_3gpuE5ELNS1_3repE0EEENS1_44radix_sort_block_sort_config_static_selectorELNS0_4arch9wavefront6targetE1EEEvSF_
		.amdhsa_group_segment_fixed_size 0
		.amdhsa_private_segment_fixed_size 0
		.amdhsa_kernarg_size 48
		.amdhsa_user_sgpr_count 6
		.amdhsa_user_sgpr_private_segment_buffer 1
		.amdhsa_user_sgpr_dispatch_ptr 0
		.amdhsa_user_sgpr_queue_ptr 0
		.amdhsa_user_sgpr_kernarg_segment_ptr 1
		.amdhsa_user_sgpr_dispatch_id 0
		.amdhsa_user_sgpr_flat_scratch_init 0
		.amdhsa_user_sgpr_private_segment_size 0
		.amdhsa_uses_dynamic_stack 0
		.amdhsa_system_sgpr_private_segment_wavefront_offset 0
		.amdhsa_system_sgpr_workgroup_id_x 1
		.amdhsa_system_sgpr_workgroup_id_y 0
		.amdhsa_system_sgpr_workgroup_id_z 0
		.amdhsa_system_sgpr_workgroup_info 0
		.amdhsa_system_vgpr_workitem_id 0
		.amdhsa_next_free_vgpr 1
		.amdhsa_next_free_sgpr 0
		.amdhsa_reserve_vcc 0
		.amdhsa_reserve_flat_scratch 0
		.amdhsa_float_round_mode_32 0
		.amdhsa_float_round_mode_16_64 0
		.amdhsa_float_denorm_mode_32 3
		.amdhsa_float_denorm_mode_16_64 3
		.amdhsa_dx10_clamp 1
		.amdhsa_ieee_mode 1
		.amdhsa_fp16_overflow 0
		.amdhsa_exception_fp_ieee_invalid_op 0
		.amdhsa_exception_fp_denorm_src 0
		.amdhsa_exception_fp_ieee_div_zero 0
		.amdhsa_exception_fp_ieee_overflow 0
		.amdhsa_exception_fp_ieee_underflow 0
		.amdhsa_exception_fp_ieee_inexact 0
		.amdhsa_exception_int_div_zero 0
	.end_amdhsa_kernel
	.section	.text._ZN7rocprim17ROCPRIM_400000_NS6detail17trampoline_kernelINS0_13kernel_configILj256ELj4ELj4294967295EEENS1_37radix_sort_block_sort_config_selectorIllEEZNS1_21radix_sort_block_sortIS4_Lb0EPlS8_N6thrust23THRUST_200600_302600_NS10device_ptrIlEESC_NS0_19identity_decomposerEEE10hipError_tT1_T2_T3_T4_jRjT5_jjP12ihipStream_tbEUlT_E_NS1_11comp_targetILNS1_3genE10ELNS1_11target_archE1201ELNS1_3gpuE5ELNS1_3repE0EEENS1_44radix_sort_block_sort_config_static_selectorELNS0_4arch9wavefront6targetE1EEEvSF_,"axG",@progbits,_ZN7rocprim17ROCPRIM_400000_NS6detail17trampoline_kernelINS0_13kernel_configILj256ELj4ELj4294967295EEENS1_37radix_sort_block_sort_config_selectorIllEEZNS1_21radix_sort_block_sortIS4_Lb0EPlS8_N6thrust23THRUST_200600_302600_NS10device_ptrIlEESC_NS0_19identity_decomposerEEE10hipError_tT1_T2_T3_T4_jRjT5_jjP12ihipStream_tbEUlT_E_NS1_11comp_targetILNS1_3genE10ELNS1_11target_archE1201ELNS1_3gpuE5ELNS1_3repE0EEENS1_44radix_sort_block_sort_config_static_selectorELNS0_4arch9wavefront6targetE1EEEvSF_,comdat
.Lfunc_end997:
	.size	_ZN7rocprim17ROCPRIM_400000_NS6detail17trampoline_kernelINS0_13kernel_configILj256ELj4ELj4294967295EEENS1_37radix_sort_block_sort_config_selectorIllEEZNS1_21radix_sort_block_sortIS4_Lb0EPlS8_N6thrust23THRUST_200600_302600_NS10device_ptrIlEESC_NS0_19identity_decomposerEEE10hipError_tT1_T2_T3_T4_jRjT5_jjP12ihipStream_tbEUlT_E_NS1_11comp_targetILNS1_3genE10ELNS1_11target_archE1201ELNS1_3gpuE5ELNS1_3repE0EEENS1_44radix_sort_block_sort_config_static_selectorELNS0_4arch9wavefront6targetE1EEEvSF_, .Lfunc_end997-_ZN7rocprim17ROCPRIM_400000_NS6detail17trampoline_kernelINS0_13kernel_configILj256ELj4ELj4294967295EEENS1_37radix_sort_block_sort_config_selectorIllEEZNS1_21radix_sort_block_sortIS4_Lb0EPlS8_N6thrust23THRUST_200600_302600_NS10device_ptrIlEESC_NS0_19identity_decomposerEEE10hipError_tT1_T2_T3_T4_jRjT5_jjP12ihipStream_tbEUlT_E_NS1_11comp_targetILNS1_3genE10ELNS1_11target_archE1201ELNS1_3gpuE5ELNS1_3repE0EEENS1_44radix_sort_block_sort_config_static_selectorELNS0_4arch9wavefront6targetE1EEEvSF_
                                        ; -- End function
	.set _ZN7rocprim17ROCPRIM_400000_NS6detail17trampoline_kernelINS0_13kernel_configILj256ELj4ELj4294967295EEENS1_37radix_sort_block_sort_config_selectorIllEEZNS1_21radix_sort_block_sortIS4_Lb0EPlS8_N6thrust23THRUST_200600_302600_NS10device_ptrIlEESC_NS0_19identity_decomposerEEE10hipError_tT1_T2_T3_T4_jRjT5_jjP12ihipStream_tbEUlT_E_NS1_11comp_targetILNS1_3genE10ELNS1_11target_archE1201ELNS1_3gpuE5ELNS1_3repE0EEENS1_44radix_sort_block_sort_config_static_selectorELNS0_4arch9wavefront6targetE1EEEvSF_.num_vgpr, 0
	.set _ZN7rocprim17ROCPRIM_400000_NS6detail17trampoline_kernelINS0_13kernel_configILj256ELj4ELj4294967295EEENS1_37radix_sort_block_sort_config_selectorIllEEZNS1_21radix_sort_block_sortIS4_Lb0EPlS8_N6thrust23THRUST_200600_302600_NS10device_ptrIlEESC_NS0_19identity_decomposerEEE10hipError_tT1_T2_T3_T4_jRjT5_jjP12ihipStream_tbEUlT_E_NS1_11comp_targetILNS1_3genE10ELNS1_11target_archE1201ELNS1_3gpuE5ELNS1_3repE0EEENS1_44radix_sort_block_sort_config_static_selectorELNS0_4arch9wavefront6targetE1EEEvSF_.num_agpr, 0
	.set _ZN7rocprim17ROCPRIM_400000_NS6detail17trampoline_kernelINS0_13kernel_configILj256ELj4ELj4294967295EEENS1_37radix_sort_block_sort_config_selectorIllEEZNS1_21radix_sort_block_sortIS4_Lb0EPlS8_N6thrust23THRUST_200600_302600_NS10device_ptrIlEESC_NS0_19identity_decomposerEEE10hipError_tT1_T2_T3_T4_jRjT5_jjP12ihipStream_tbEUlT_E_NS1_11comp_targetILNS1_3genE10ELNS1_11target_archE1201ELNS1_3gpuE5ELNS1_3repE0EEENS1_44radix_sort_block_sort_config_static_selectorELNS0_4arch9wavefront6targetE1EEEvSF_.numbered_sgpr, 0
	.set _ZN7rocprim17ROCPRIM_400000_NS6detail17trampoline_kernelINS0_13kernel_configILj256ELj4ELj4294967295EEENS1_37radix_sort_block_sort_config_selectorIllEEZNS1_21radix_sort_block_sortIS4_Lb0EPlS8_N6thrust23THRUST_200600_302600_NS10device_ptrIlEESC_NS0_19identity_decomposerEEE10hipError_tT1_T2_T3_T4_jRjT5_jjP12ihipStream_tbEUlT_E_NS1_11comp_targetILNS1_3genE10ELNS1_11target_archE1201ELNS1_3gpuE5ELNS1_3repE0EEENS1_44radix_sort_block_sort_config_static_selectorELNS0_4arch9wavefront6targetE1EEEvSF_.num_named_barrier, 0
	.set _ZN7rocprim17ROCPRIM_400000_NS6detail17trampoline_kernelINS0_13kernel_configILj256ELj4ELj4294967295EEENS1_37radix_sort_block_sort_config_selectorIllEEZNS1_21radix_sort_block_sortIS4_Lb0EPlS8_N6thrust23THRUST_200600_302600_NS10device_ptrIlEESC_NS0_19identity_decomposerEEE10hipError_tT1_T2_T3_T4_jRjT5_jjP12ihipStream_tbEUlT_E_NS1_11comp_targetILNS1_3genE10ELNS1_11target_archE1201ELNS1_3gpuE5ELNS1_3repE0EEENS1_44radix_sort_block_sort_config_static_selectorELNS0_4arch9wavefront6targetE1EEEvSF_.private_seg_size, 0
	.set _ZN7rocprim17ROCPRIM_400000_NS6detail17trampoline_kernelINS0_13kernel_configILj256ELj4ELj4294967295EEENS1_37radix_sort_block_sort_config_selectorIllEEZNS1_21radix_sort_block_sortIS4_Lb0EPlS8_N6thrust23THRUST_200600_302600_NS10device_ptrIlEESC_NS0_19identity_decomposerEEE10hipError_tT1_T2_T3_T4_jRjT5_jjP12ihipStream_tbEUlT_E_NS1_11comp_targetILNS1_3genE10ELNS1_11target_archE1201ELNS1_3gpuE5ELNS1_3repE0EEENS1_44radix_sort_block_sort_config_static_selectorELNS0_4arch9wavefront6targetE1EEEvSF_.uses_vcc, 0
	.set _ZN7rocprim17ROCPRIM_400000_NS6detail17trampoline_kernelINS0_13kernel_configILj256ELj4ELj4294967295EEENS1_37radix_sort_block_sort_config_selectorIllEEZNS1_21radix_sort_block_sortIS4_Lb0EPlS8_N6thrust23THRUST_200600_302600_NS10device_ptrIlEESC_NS0_19identity_decomposerEEE10hipError_tT1_T2_T3_T4_jRjT5_jjP12ihipStream_tbEUlT_E_NS1_11comp_targetILNS1_3genE10ELNS1_11target_archE1201ELNS1_3gpuE5ELNS1_3repE0EEENS1_44radix_sort_block_sort_config_static_selectorELNS0_4arch9wavefront6targetE1EEEvSF_.uses_flat_scratch, 0
	.set _ZN7rocprim17ROCPRIM_400000_NS6detail17trampoline_kernelINS0_13kernel_configILj256ELj4ELj4294967295EEENS1_37radix_sort_block_sort_config_selectorIllEEZNS1_21radix_sort_block_sortIS4_Lb0EPlS8_N6thrust23THRUST_200600_302600_NS10device_ptrIlEESC_NS0_19identity_decomposerEEE10hipError_tT1_T2_T3_T4_jRjT5_jjP12ihipStream_tbEUlT_E_NS1_11comp_targetILNS1_3genE10ELNS1_11target_archE1201ELNS1_3gpuE5ELNS1_3repE0EEENS1_44radix_sort_block_sort_config_static_selectorELNS0_4arch9wavefront6targetE1EEEvSF_.has_dyn_sized_stack, 0
	.set _ZN7rocprim17ROCPRIM_400000_NS6detail17trampoline_kernelINS0_13kernel_configILj256ELj4ELj4294967295EEENS1_37radix_sort_block_sort_config_selectorIllEEZNS1_21radix_sort_block_sortIS4_Lb0EPlS8_N6thrust23THRUST_200600_302600_NS10device_ptrIlEESC_NS0_19identity_decomposerEEE10hipError_tT1_T2_T3_T4_jRjT5_jjP12ihipStream_tbEUlT_E_NS1_11comp_targetILNS1_3genE10ELNS1_11target_archE1201ELNS1_3gpuE5ELNS1_3repE0EEENS1_44radix_sort_block_sort_config_static_selectorELNS0_4arch9wavefront6targetE1EEEvSF_.has_recursion, 0
	.set _ZN7rocprim17ROCPRIM_400000_NS6detail17trampoline_kernelINS0_13kernel_configILj256ELj4ELj4294967295EEENS1_37radix_sort_block_sort_config_selectorIllEEZNS1_21radix_sort_block_sortIS4_Lb0EPlS8_N6thrust23THRUST_200600_302600_NS10device_ptrIlEESC_NS0_19identity_decomposerEEE10hipError_tT1_T2_T3_T4_jRjT5_jjP12ihipStream_tbEUlT_E_NS1_11comp_targetILNS1_3genE10ELNS1_11target_archE1201ELNS1_3gpuE5ELNS1_3repE0EEENS1_44radix_sort_block_sort_config_static_selectorELNS0_4arch9wavefront6targetE1EEEvSF_.has_indirect_call, 0
	.section	.AMDGPU.csdata,"",@progbits
; Kernel info:
; codeLenInByte = 0
; TotalNumSgprs: 4
; NumVgprs: 0
; ScratchSize: 0
; MemoryBound: 0
; FloatMode: 240
; IeeeMode: 1
; LDSByteSize: 0 bytes/workgroup (compile time only)
; SGPRBlocks: 0
; VGPRBlocks: 0
; NumSGPRsForWavesPerEU: 4
; NumVGPRsForWavesPerEU: 1
; Occupancy: 10
; WaveLimiterHint : 0
; COMPUTE_PGM_RSRC2:SCRATCH_EN: 0
; COMPUTE_PGM_RSRC2:USER_SGPR: 6
; COMPUTE_PGM_RSRC2:TRAP_HANDLER: 0
; COMPUTE_PGM_RSRC2:TGID_X_EN: 1
; COMPUTE_PGM_RSRC2:TGID_Y_EN: 0
; COMPUTE_PGM_RSRC2:TGID_Z_EN: 0
; COMPUTE_PGM_RSRC2:TIDIG_COMP_CNT: 0
	.section	.text._ZN7rocprim17ROCPRIM_400000_NS6detail17trampoline_kernelINS0_13kernel_configILj256ELj4ELj4294967295EEENS1_37radix_sort_block_sort_config_selectorIllEEZNS1_21radix_sort_block_sortIS4_Lb0EPlS8_N6thrust23THRUST_200600_302600_NS10device_ptrIlEESC_NS0_19identity_decomposerEEE10hipError_tT1_T2_T3_T4_jRjT5_jjP12ihipStream_tbEUlT_E_NS1_11comp_targetILNS1_3genE10ELNS1_11target_archE1200ELNS1_3gpuE4ELNS1_3repE0EEENS1_44radix_sort_block_sort_config_static_selectorELNS0_4arch9wavefront6targetE1EEEvSF_,"axG",@progbits,_ZN7rocprim17ROCPRIM_400000_NS6detail17trampoline_kernelINS0_13kernel_configILj256ELj4ELj4294967295EEENS1_37radix_sort_block_sort_config_selectorIllEEZNS1_21radix_sort_block_sortIS4_Lb0EPlS8_N6thrust23THRUST_200600_302600_NS10device_ptrIlEESC_NS0_19identity_decomposerEEE10hipError_tT1_T2_T3_T4_jRjT5_jjP12ihipStream_tbEUlT_E_NS1_11comp_targetILNS1_3genE10ELNS1_11target_archE1200ELNS1_3gpuE4ELNS1_3repE0EEENS1_44radix_sort_block_sort_config_static_selectorELNS0_4arch9wavefront6targetE1EEEvSF_,comdat
	.protected	_ZN7rocprim17ROCPRIM_400000_NS6detail17trampoline_kernelINS0_13kernel_configILj256ELj4ELj4294967295EEENS1_37radix_sort_block_sort_config_selectorIllEEZNS1_21radix_sort_block_sortIS4_Lb0EPlS8_N6thrust23THRUST_200600_302600_NS10device_ptrIlEESC_NS0_19identity_decomposerEEE10hipError_tT1_T2_T3_T4_jRjT5_jjP12ihipStream_tbEUlT_E_NS1_11comp_targetILNS1_3genE10ELNS1_11target_archE1200ELNS1_3gpuE4ELNS1_3repE0EEENS1_44radix_sort_block_sort_config_static_selectorELNS0_4arch9wavefront6targetE1EEEvSF_ ; -- Begin function _ZN7rocprim17ROCPRIM_400000_NS6detail17trampoline_kernelINS0_13kernel_configILj256ELj4ELj4294967295EEENS1_37radix_sort_block_sort_config_selectorIllEEZNS1_21radix_sort_block_sortIS4_Lb0EPlS8_N6thrust23THRUST_200600_302600_NS10device_ptrIlEESC_NS0_19identity_decomposerEEE10hipError_tT1_T2_T3_T4_jRjT5_jjP12ihipStream_tbEUlT_E_NS1_11comp_targetILNS1_3genE10ELNS1_11target_archE1200ELNS1_3gpuE4ELNS1_3repE0EEENS1_44radix_sort_block_sort_config_static_selectorELNS0_4arch9wavefront6targetE1EEEvSF_
	.globl	_ZN7rocprim17ROCPRIM_400000_NS6detail17trampoline_kernelINS0_13kernel_configILj256ELj4ELj4294967295EEENS1_37radix_sort_block_sort_config_selectorIllEEZNS1_21radix_sort_block_sortIS4_Lb0EPlS8_N6thrust23THRUST_200600_302600_NS10device_ptrIlEESC_NS0_19identity_decomposerEEE10hipError_tT1_T2_T3_T4_jRjT5_jjP12ihipStream_tbEUlT_E_NS1_11comp_targetILNS1_3genE10ELNS1_11target_archE1200ELNS1_3gpuE4ELNS1_3repE0EEENS1_44radix_sort_block_sort_config_static_selectorELNS0_4arch9wavefront6targetE1EEEvSF_
	.p2align	8
	.type	_ZN7rocprim17ROCPRIM_400000_NS6detail17trampoline_kernelINS0_13kernel_configILj256ELj4ELj4294967295EEENS1_37radix_sort_block_sort_config_selectorIllEEZNS1_21radix_sort_block_sortIS4_Lb0EPlS8_N6thrust23THRUST_200600_302600_NS10device_ptrIlEESC_NS0_19identity_decomposerEEE10hipError_tT1_T2_T3_T4_jRjT5_jjP12ihipStream_tbEUlT_E_NS1_11comp_targetILNS1_3genE10ELNS1_11target_archE1200ELNS1_3gpuE4ELNS1_3repE0EEENS1_44radix_sort_block_sort_config_static_selectorELNS0_4arch9wavefront6targetE1EEEvSF_,@function
_ZN7rocprim17ROCPRIM_400000_NS6detail17trampoline_kernelINS0_13kernel_configILj256ELj4ELj4294967295EEENS1_37radix_sort_block_sort_config_selectorIllEEZNS1_21radix_sort_block_sortIS4_Lb0EPlS8_N6thrust23THRUST_200600_302600_NS10device_ptrIlEESC_NS0_19identity_decomposerEEE10hipError_tT1_T2_T3_T4_jRjT5_jjP12ihipStream_tbEUlT_E_NS1_11comp_targetILNS1_3genE10ELNS1_11target_archE1200ELNS1_3gpuE4ELNS1_3repE0EEENS1_44radix_sort_block_sort_config_static_selectorELNS0_4arch9wavefront6targetE1EEEvSF_: ; @_ZN7rocprim17ROCPRIM_400000_NS6detail17trampoline_kernelINS0_13kernel_configILj256ELj4ELj4294967295EEENS1_37radix_sort_block_sort_config_selectorIllEEZNS1_21radix_sort_block_sortIS4_Lb0EPlS8_N6thrust23THRUST_200600_302600_NS10device_ptrIlEESC_NS0_19identity_decomposerEEE10hipError_tT1_T2_T3_T4_jRjT5_jjP12ihipStream_tbEUlT_E_NS1_11comp_targetILNS1_3genE10ELNS1_11target_archE1200ELNS1_3gpuE4ELNS1_3repE0EEENS1_44radix_sort_block_sort_config_static_selectorELNS0_4arch9wavefront6targetE1EEEvSF_
; %bb.0:
	.section	.rodata,"a",@progbits
	.p2align	6, 0x0
	.amdhsa_kernel _ZN7rocprim17ROCPRIM_400000_NS6detail17trampoline_kernelINS0_13kernel_configILj256ELj4ELj4294967295EEENS1_37radix_sort_block_sort_config_selectorIllEEZNS1_21radix_sort_block_sortIS4_Lb0EPlS8_N6thrust23THRUST_200600_302600_NS10device_ptrIlEESC_NS0_19identity_decomposerEEE10hipError_tT1_T2_T3_T4_jRjT5_jjP12ihipStream_tbEUlT_E_NS1_11comp_targetILNS1_3genE10ELNS1_11target_archE1200ELNS1_3gpuE4ELNS1_3repE0EEENS1_44radix_sort_block_sort_config_static_selectorELNS0_4arch9wavefront6targetE1EEEvSF_
		.amdhsa_group_segment_fixed_size 0
		.amdhsa_private_segment_fixed_size 0
		.amdhsa_kernarg_size 48
		.amdhsa_user_sgpr_count 6
		.amdhsa_user_sgpr_private_segment_buffer 1
		.amdhsa_user_sgpr_dispatch_ptr 0
		.amdhsa_user_sgpr_queue_ptr 0
		.amdhsa_user_sgpr_kernarg_segment_ptr 1
		.amdhsa_user_sgpr_dispatch_id 0
		.amdhsa_user_sgpr_flat_scratch_init 0
		.amdhsa_user_sgpr_private_segment_size 0
		.amdhsa_uses_dynamic_stack 0
		.amdhsa_system_sgpr_private_segment_wavefront_offset 0
		.amdhsa_system_sgpr_workgroup_id_x 1
		.amdhsa_system_sgpr_workgroup_id_y 0
		.amdhsa_system_sgpr_workgroup_id_z 0
		.amdhsa_system_sgpr_workgroup_info 0
		.amdhsa_system_vgpr_workitem_id 0
		.amdhsa_next_free_vgpr 1
		.amdhsa_next_free_sgpr 0
		.amdhsa_reserve_vcc 0
		.amdhsa_reserve_flat_scratch 0
		.amdhsa_float_round_mode_32 0
		.amdhsa_float_round_mode_16_64 0
		.amdhsa_float_denorm_mode_32 3
		.amdhsa_float_denorm_mode_16_64 3
		.amdhsa_dx10_clamp 1
		.amdhsa_ieee_mode 1
		.amdhsa_fp16_overflow 0
		.amdhsa_exception_fp_ieee_invalid_op 0
		.amdhsa_exception_fp_denorm_src 0
		.amdhsa_exception_fp_ieee_div_zero 0
		.amdhsa_exception_fp_ieee_overflow 0
		.amdhsa_exception_fp_ieee_underflow 0
		.amdhsa_exception_fp_ieee_inexact 0
		.amdhsa_exception_int_div_zero 0
	.end_amdhsa_kernel
	.section	.text._ZN7rocprim17ROCPRIM_400000_NS6detail17trampoline_kernelINS0_13kernel_configILj256ELj4ELj4294967295EEENS1_37radix_sort_block_sort_config_selectorIllEEZNS1_21radix_sort_block_sortIS4_Lb0EPlS8_N6thrust23THRUST_200600_302600_NS10device_ptrIlEESC_NS0_19identity_decomposerEEE10hipError_tT1_T2_T3_T4_jRjT5_jjP12ihipStream_tbEUlT_E_NS1_11comp_targetILNS1_3genE10ELNS1_11target_archE1200ELNS1_3gpuE4ELNS1_3repE0EEENS1_44radix_sort_block_sort_config_static_selectorELNS0_4arch9wavefront6targetE1EEEvSF_,"axG",@progbits,_ZN7rocprim17ROCPRIM_400000_NS6detail17trampoline_kernelINS0_13kernel_configILj256ELj4ELj4294967295EEENS1_37radix_sort_block_sort_config_selectorIllEEZNS1_21radix_sort_block_sortIS4_Lb0EPlS8_N6thrust23THRUST_200600_302600_NS10device_ptrIlEESC_NS0_19identity_decomposerEEE10hipError_tT1_T2_T3_T4_jRjT5_jjP12ihipStream_tbEUlT_E_NS1_11comp_targetILNS1_3genE10ELNS1_11target_archE1200ELNS1_3gpuE4ELNS1_3repE0EEENS1_44radix_sort_block_sort_config_static_selectorELNS0_4arch9wavefront6targetE1EEEvSF_,comdat
.Lfunc_end998:
	.size	_ZN7rocprim17ROCPRIM_400000_NS6detail17trampoline_kernelINS0_13kernel_configILj256ELj4ELj4294967295EEENS1_37radix_sort_block_sort_config_selectorIllEEZNS1_21radix_sort_block_sortIS4_Lb0EPlS8_N6thrust23THRUST_200600_302600_NS10device_ptrIlEESC_NS0_19identity_decomposerEEE10hipError_tT1_T2_T3_T4_jRjT5_jjP12ihipStream_tbEUlT_E_NS1_11comp_targetILNS1_3genE10ELNS1_11target_archE1200ELNS1_3gpuE4ELNS1_3repE0EEENS1_44radix_sort_block_sort_config_static_selectorELNS0_4arch9wavefront6targetE1EEEvSF_, .Lfunc_end998-_ZN7rocprim17ROCPRIM_400000_NS6detail17trampoline_kernelINS0_13kernel_configILj256ELj4ELj4294967295EEENS1_37radix_sort_block_sort_config_selectorIllEEZNS1_21radix_sort_block_sortIS4_Lb0EPlS8_N6thrust23THRUST_200600_302600_NS10device_ptrIlEESC_NS0_19identity_decomposerEEE10hipError_tT1_T2_T3_T4_jRjT5_jjP12ihipStream_tbEUlT_E_NS1_11comp_targetILNS1_3genE10ELNS1_11target_archE1200ELNS1_3gpuE4ELNS1_3repE0EEENS1_44radix_sort_block_sort_config_static_selectorELNS0_4arch9wavefront6targetE1EEEvSF_
                                        ; -- End function
	.set _ZN7rocprim17ROCPRIM_400000_NS6detail17trampoline_kernelINS0_13kernel_configILj256ELj4ELj4294967295EEENS1_37radix_sort_block_sort_config_selectorIllEEZNS1_21radix_sort_block_sortIS4_Lb0EPlS8_N6thrust23THRUST_200600_302600_NS10device_ptrIlEESC_NS0_19identity_decomposerEEE10hipError_tT1_T2_T3_T4_jRjT5_jjP12ihipStream_tbEUlT_E_NS1_11comp_targetILNS1_3genE10ELNS1_11target_archE1200ELNS1_3gpuE4ELNS1_3repE0EEENS1_44radix_sort_block_sort_config_static_selectorELNS0_4arch9wavefront6targetE1EEEvSF_.num_vgpr, 0
	.set _ZN7rocprim17ROCPRIM_400000_NS6detail17trampoline_kernelINS0_13kernel_configILj256ELj4ELj4294967295EEENS1_37radix_sort_block_sort_config_selectorIllEEZNS1_21radix_sort_block_sortIS4_Lb0EPlS8_N6thrust23THRUST_200600_302600_NS10device_ptrIlEESC_NS0_19identity_decomposerEEE10hipError_tT1_T2_T3_T4_jRjT5_jjP12ihipStream_tbEUlT_E_NS1_11comp_targetILNS1_3genE10ELNS1_11target_archE1200ELNS1_3gpuE4ELNS1_3repE0EEENS1_44radix_sort_block_sort_config_static_selectorELNS0_4arch9wavefront6targetE1EEEvSF_.num_agpr, 0
	.set _ZN7rocprim17ROCPRIM_400000_NS6detail17trampoline_kernelINS0_13kernel_configILj256ELj4ELj4294967295EEENS1_37radix_sort_block_sort_config_selectorIllEEZNS1_21radix_sort_block_sortIS4_Lb0EPlS8_N6thrust23THRUST_200600_302600_NS10device_ptrIlEESC_NS0_19identity_decomposerEEE10hipError_tT1_T2_T3_T4_jRjT5_jjP12ihipStream_tbEUlT_E_NS1_11comp_targetILNS1_3genE10ELNS1_11target_archE1200ELNS1_3gpuE4ELNS1_3repE0EEENS1_44radix_sort_block_sort_config_static_selectorELNS0_4arch9wavefront6targetE1EEEvSF_.numbered_sgpr, 0
	.set _ZN7rocprim17ROCPRIM_400000_NS6detail17trampoline_kernelINS0_13kernel_configILj256ELj4ELj4294967295EEENS1_37radix_sort_block_sort_config_selectorIllEEZNS1_21radix_sort_block_sortIS4_Lb0EPlS8_N6thrust23THRUST_200600_302600_NS10device_ptrIlEESC_NS0_19identity_decomposerEEE10hipError_tT1_T2_T3_T4_jRjT5_jjP12ihipStream_tbEUlT_E_NS1_11comp_targetILNS1_3genE10ELNS1_11target_archE1200ELNS1_3gpuE4ELNS1_3repE0EEENS1_44radix_sort_block_sort_config_static_selectorELNS0_4arch9wavefront6targetE1EEEvSF_.num_named_barrier, 0
	.set _ZN7rocprim17ROCPRIM_400000_NS6detail17trampoline_kernelINS0_13kernel_configILj256ELj4ELj4294967295EEENS1_37radix_sort_block_sort_config_selectorIllEEZNS1_21radix_sort_block_sortIS4_Lb0EPlS8_N6thrust23THRUST_200600_302600_NS10device_ptrIlEESC_NS0_19identity_decomposerEEE10hipError_tT1_T2_T3_T4_jRjT5_jjP12ihipStream_tbEUlT_E_NS1_11comp_targetILNS1_3genE10ELNS1_11target_archE1200ELNS1_3gpuE4ELNS1_3repE0EEENS1_44radix_sort_block_sort_config_static_selectorELNS0_4arch9wavefront6targetE1EEEvSF_.private_seg_size, 0
	.set _ZN7rocprim17ROCPRIM_400000_NS6detail17trampoline_kernelINS0_13kernel_configILj256ELj4ELj4294967295EEENS1_37radix_sort_block_sort_config_selectorIllEEZNS1_21radix_sort_block_sortIS4_Lb0EPlS8_N6thrust23THRUST_200600_302600_NS10device_ptrIlEESC_NS0_19identity_decomposerEEE10hipError_tT1_T2_T3_T4_jRjT5_jjP12ihipStream_tbEUlT_E_NS1_11comp_targetILNS1_3genE10ELNS1_11target_archE1200ELNS1_3gpuE4ELNS1_3repE0EEENS1_44radix_sort_block_sort_config_static_selectorELNS0_4arch9wavefront6targetE1EEEvSF_.uses_vcc, 0
	.set _ZN7rocprim17ROCPRIM_400000_NS6detail17trampoline_kernelINS0_13kernel_configILj256ELj4ELj4294967295EEENS1_37radix_sort_block_sort_config_selectorIllEEZNS1_21radix_sort_block_sortIS4_Lb0EPlS8_N6thrust23THRUST_200600_302600_NS10device_ptrIlEESC_NS0_19identity_decomposerEEE10hipError_tT1_T2_T3_T4_jRjT5_jjP12ihipStream_tbEUlT_E_NS1_11comp_targetILNS1_3genE10ELNS1_11target_archE1200ELNS1_3gpuE4ELNS1_3repE0EEENS1_44radix_sort_block_sort_config_static_selectorELNS0_4arch9wavefront6targetE1EEEvSF_.uses_flat_scratch, 0
	.set _ZN7rocprim17ROCPRIM_400000_NS6detail17trampoline_kernelINS0_13kernel_configILj256ELj4ELj4294967295EEENS1_37radix_sort_block_sort_config_selectorIllEEZNS1_21radix_sort_block_sortIS4_Lb0EPlS8_N6thrust23THRUST_200600_302600_NS10device_ptrIlEESC_NS0_19identity_decomposerEEE10hipError_tT1_T2_T3_T4_jRjT5_jjP12ihipStream_tbEUlT_E_NS1_11comp_targetILNS1_3genE10ELNS1_11target_archE1200ELNS1_3gpuE4ELNS1_3repE0EEENS1_44radix_sort_block_sort_config_static_selectorELNS0_4arch9wavefront6targetE1EEEvSF_.has_dyn_sized_stack, 0
	.set _ZN7rocprim17ROCPRIM_400000_NS6detail17trampoline_kernelINS0_13kernel_configILj256ELj4ELj4294967295EEENS1_37radix_sort_block_sort_config_selectorIllEEZNS1_21radix_sort_block_sortIS4_Lb0EPlS8_N6thrust23THRUST_200600_302600_NS10device_ptrIlEESC_NS0_19identity_decomposerEEE10hipError_tT1_T2_T3_T4_jRjT5_jjP12ihipStream_tbEUlT_E_NS1_11comp_targetILNS1_3genE10ELNS1_11target_archE1200ELNS1_3gpuE4ELNS1_3repE0EEENS1_44radix_sort_block_sort_config_static_selectorELNS0_4arch9wavefront6targetE1EEEvSF_.has_recursion, 0
	.set _ZN7rocprim17ROCPRIM_400000_NS6detail17trampoline_kernelINS0_13kernel_configILj256ELj4ELj4294967295EEENS1_37radix_sort_block_sort_config_selectorIllEEZNS1_21radix_sort_block_sortIS4_Lb0EPlS8_N6thrust23THRUST_200600_302600_NS10device_ptrIlEESC_NS0_19identity_decomposerEEE10hipError_tT1_T2_T3_T4_jRjT5_jjP12ihipStream_tbEUlT_E_NS1_11comp_targetILNS1_3genE10ELNS1_11target_archE1200ELNS1_3gpuE4ELNS1_3repE0EEENS1_44radix_sort_block_sort_config_static_selectorELNS0_4arch9wavefront6targetE1EEEvSF_.has_indirect_call, 0
	.section	.AMDGPU.csdata,"",@progbits
; Kernel info:
; codeLenInByte = 0
; TotalNumSgprs: 4
; NumVgprs: 0
; ScratchSize: 0
; MemoryBound: 0
; FloatMode: 240
; IeeeMode: 1
; LDSByteSize: 0 bytes/workgroup (compile time only)
; SGPRBlocks: 0
; VGPRBlocks: 0
; NumSGPRsForWavesPerEU: 4
; NumVGPRsForWavesPerEU: 1
; Occupancy: 10
; WaveLimiterHint : 0
; COMPUTE_PGM_RSRC2:SCRATCH_EN: 0
; COMPUTE_PGM_RSRC2:USER_SGPR: 6
; COMPUTE_PGM_RSRC2:TRAP_HANDLER: 0
; COMPUTE_PGM_RSRC2:TGID_X_EN: 1
; COMPUTE_PGM_RSRC2:TGID_Y_EN: 0
; COMPUTE_PGM_RSRC2:TGID_Z_EN: 0
; COMPUTE_PGM_RSRC2:TIDIG_COMP_CNT: 0
	.section	.text._ZN7rocprim17ROCPRIM_400000_NS6detail17trampoline_kernelINS0_13kernel_configILj256ELj4ELj4294967295EEENS1_37radix_sort_block_sort_config_selectorIllEEZNS1_21radix_sort_block_sortIS4_Lb0EPlS8_N6thrust23THRUST_200600_302600_NS10device_ptrIlEESC_NS0_19identity_decomposerEEE10hipError_tT1_T2_T3_T4_jRjT5_jjP12ihipStream_tbEUlT_E_NS1_11comp_targetILNS1_3genE9ELNS1_11target_archE1100ELNS1_3gpuE3ELNS1_3repE0EEENS1_44radix_sort_block_sort_config_static_selectorELNS0_4arch9wavefront6targetE1EEEvSF_,"axG",@progbits,_ZN7rocprim17ROCPRIM_400000_NS6detail17trampoline_kernelINS0_13kernel_configILj256ELj4ELj4294967295EEENS1_37radix_sort_block_sort_config_selectorIllEEZNS1_21radix_sort_block_sortIS4_Lb0EPlS8_N6thrust23THRUST_200600_302600_NS10device_ptrIlEESC_NS0_19identity_decomposerEEE10hipError_tT1_T2_T3_T4_jRjT5_jjP12ihipStream_tbEUlT_E_NS1_11comp_targetILNS1_3genE9ELNS1_11target_archE1100ELNS1_3gpuE3ELNS1_3repE0EEENS1_44radix_sort_block_sort_config_static_selectorELNS0_4arch9wavefront6targetE1EEEvSF_,comdat
	.protected	_ZN7rocprim17ROCPRIM_400000_NS6detail17trampoline_kernelINS0_13kernel_configILj256ELj4ELj4294967295EEENS1_37radix_sort_block_sort_config_selectorIllEEZNS1_21radix_sort_block_sortIS4_Lb0EPlS8_N6thrust23THRUST_200600_302600_NS10device_ptrIlEESC_NS0_19identity_decomposerEEE10hipError_tT1_T2_T3_T4_jRjT5_jjP12ihipStream_tbEUlT_E_NS1_11comp_targetILNS1_3genE9ELNS1_11target_archE1100ELNS1_3gpuE3ELNS1_3repE0EEENS1_44radix_sort_block_sort_config_static_selectorELNS0_4arch9wavefront6targetE1EEEvSF_ ; -- Begin function _ZN7rocprim17ROCPRIM_400000_NS6detail17trampoline_kernelINS0_13kernel_configILj256ELj4ELj4294967295EEENS1_37radix_sort_block_sort_config_selectorIllEEZNS1_21radix_sort_block_sortIS4_Lb0EPlS8_N6thrust23THRUST_200600_302600_NS10device_ptrIlEESC_NS0_19identity_decomposerEEE10hipError_tT1_T2_T3_T4_jRjT5_jjP12ihipStream_tbEUlT_E_NS1_11comp_targetILNS1_3genE9ELNS1_11target_archE1100ELNS1_3gpuE3ELNS1_3repE0EEENS1_44radix_sort_block_sort_config_static_selectorELNS0_4arch9wavefront6targetE1EEEvSF_
	.globl	_ZN7rocprim17ROCPRIM_400000_NS6detail17trampoline_kernelINS0_13kernel_configILj256ELj4ELj4294967295EEENS1_37radix_sort_block_sort_config_selectorIllEEZNS1_21radix_sort_block_sortIS4_Lb0EPlS8_N6thrust23THRUST_200600_302600_NS10device_ptrIlEESC_NS0_19identity_decomposerEEE10hipError_tT1_T2_T3_T4_jRjT5_jjP12ihipStream_tbEUlT_E_NS1_11comp_targetILNS1_3genE9ELNS1_11target_archE1100ELNS1_3gpuE3ELNS1_3repE0EEENS1_44radix_sort_block_sort_config_static_selectorELNS0_4arch9wavefront6targetE1EEEvSF_
	.p2align	8
	.type	_ZN7rocprim17ROCPRIM_400000_NS6detail17trampoline_kernelINS0_13kernel_configILj256ELj4ELj4294967295EEENS1_37radix_sort_block_sort_config_selectorIllEEZNS1_21radix_sort_block_sortIS4_Lb0EPlS8_N6thrust23THRUST_200600_302600_NS10device_ptrIlEESC_NS0_19identity_decomposerEEE10hipError_tT1_T2_T3_T4_jRjT5_jjP12ihipStream_tbEUlT_E_NS1_11comp_targetILNS1_3genE9ELNS1_11target_archE1100ELNS1_3gpuE3ELNS1_3repE0EEENS1_44radix_sort_block_sort_config_static_selectorELNS0_4arch9wavefront6targetE1EEEvSF_,@function
_ZN7rocprim17ROCPRIM_400000_NS6detail17trampoline_kernelINS0_13kernel_configILj256ELj4ELj4294967295EEENS1_37radix_sort_block_sort_config_selectorIllEEZNS1_21radix_sort_block_sortIS4_Lb0EPlS8_N6thrust23THRUST_200600_302600_NS10device_ptrIlEESC_NS0_19identity_decomposerEEE10hipError_tT1_T2_T3_T4_jRjT5_jjP12ihipStream_tbEUlT_E_NS1_11comp_targetILNS1_3genE9ELNS1_11target_archE1100ELNS1_3gpuE3ELNS1_3repE0EEENS1_44radix_sort_block_sort_config_static_selectorELNS0_4arch9wavefront6targetE1EEEvSF_: ; @_ZN7rocprim17ROCPRIM_400000_NS6detail17trampoline_kernelINS0_13kernel_configILj256ELj4ELj4294967295EEENS1_37radix_sort_block_sort_config_selectorIllEEZNS1_21radix_sort_block_sortIS4_Lb0EPlS8_N6thrust23THRUST_200600_302600_NS10device_ptrIlEESC_NS0_19identity_decomposerEEE10hipError_tT1_T2_T3_T4_jRjT5_jjP12ihipStream_tbEUlT_E_NS1_11comp_targetILNS1_3genE9ELNS1_11target_archE1100ELNS1_3gpuE3ELNS1_3repE0EEENS1_44radix_sort_block_sort_config_static_selectorELNS0_4arch9wavefront6targetE1EEEvSF_
; %bb.0:
	.section	.rodata,"a",@progbits
	.p2align	6, 0x0
	.amdhsa_kernel _ZN7rocprim17ROCPRIM_400000_NS6detail17trampoline_kernelINS0_13kernel_configILj256ELj4ELj4294967295EEENS1_37radix_sort_block_sort_config_selectorIllEEZNS1_21radix_sort_block_sortIS4_Lb0EPlS8_N6thrust23THRUST_200600_302600_NS10device_ptrIlEESC_NS0_19identity_decomposerEEE10hipError_tT1_T2_T3_T4_jRjT5_jjP12ihipStream_tbEUlT_E_NS1_11comp_targetILNS1_3genE9ELNS1_11target_archE1100ELNS1_3gpuE3ELNS1_3repE0EEENS1_44radix_sort_block_sort_config_static_selectorELNS0_4arch9wavefront6targetE1EEEvSF_
		.amdhsa_group_segment_fixed_size 0
		.amdhsa_private_segment_fixed_size 0
		.amdhsa_kernarg_size 48
		.amdhsa_user_sgpr_count 6
		.amdhsa_user_sgpr_private_segment_buffer 1
		.amdhsa_user_sgpr_dispatch_ptr 0
		.amdhsa_user_sgpr_queue_ptr 0
		.amdhsa_user_sgpr_kernarg_segment_ptr 1
		.amdhsa_user_sgpr_dispatch_id 0
		.amdhsa_user_sgpr_flat_scratch_init 0
		.amdhsa_user_sgpr_private_segment_size 0
		.amdhsa_uses_dynamic_stack 0
		.amdhsa_system_sgpr_private_segment_wavefront_offset 0
		.amdhsa_system_sgpr_workgroup_id_x 1
		.amdhsa_system_sgpr_workgroup_id_y 0
		.amdhsa_system_sgpr_workgroup_id_z 0
		.amdhsa_system_sgpr_workgroup_info 0
		.amdhsa_system_vgpr_workitem_id 0
		.amdhsa_next_free_vgpr 1
		.amdhsa_next_free_sgpr 0
		.amdhsa_reserve_vcc 0
		.amdhsa_reserve_flat_scratch 0
		.amdhsa_float_round_mode_32 0
		.amdhsa_float_round_mode_16_64 0
		.amdhsa_float_denorm_mode_32 3
		.amdhsa_float_denorm_mode_16_64 3
		.amdhsa_dx10_clamp 1
		.amdhsa_ieee_mode 1
		.amdhsa_fp16_overflow 0
		.amdhsa_exception_fp_ieee_invalid_op 0
		.amdhsa_exception_fp_denorm_src 0
		.amdhsa_exception_fp_ieee_div_zero 0
		.amdhsa_exception_fp_ieee_overflow 0
		.amdhsa_exception_fp_ieee_underflow 0
		.amdhsa_exception_fp_ieee_inexact 0
		.amdhsa_exception_int_div_zero 0
	.end_amdhsa_kernel
	.section	.text._ZN7rocprim17ROCPRIM_400000_NS6detail17trampoline_kernelINS0_13kernel_configILj256ELj4ELj4294967295EEENS1_37radix_sort_block_sort_config_selectorIllEEZNS1_21radix_sort_block_sortIS4_Lb0EPlS8_N6thrust23THRUST_200600_302600_NS10device_ptrIlEESC_NS0_19identity_decomposerEEE10hipError_tT1_T2_T3_T4_jRjT5_jjP12ihipStream_tbEUlT_E_NS1_11comp_targetILNS1_3genE9ELNS1_11target_archE1100ELNS1_3gpuE3ELNS1_3repE0EEENS1_44radix_sort_block_sort_config_static_selectorELNS0_4arch9wavefront6targetE1EEEvSF_,"axG",@progbits,_ZN7rocprim17ROCPRIM_400000_NS6detail17trampoline_kernelINS0_13kernel_configILj256ELj4ELj4294967295EEENS1_37radix_sort_block_sort_config_selectorIllEEZNS1_21radix_sort_block_sortIS4_Lb0EPlS8_N6thrust23THRUST_200600_302600_NS10device_ptrIlEESC_NS0_19identity_decomposerEEE10hipError_tT1_T2_T3_T4_jRjT5_jjP12ihipStream_tbEUlT_E_NS1_11comp_targetILNS1_3genE9ELNS1_11target_archE1100ELNS1_3gpuE3ELNS1_3repE0EEENS1_44radix_sort_block_sort_config_static_selectorELNS0_4arch9wavefront6targetE1EEEvSF_,comdat
.Lfunc_end999:
	.size	_ZN7rocprim17ROCPRIM_400000_NS6detail17trampoline_kernelINS0_13kernel_configILj256ELj4ELj4294967295EEENS1_37radix_sort_block_sort_config_selectorIllEEZNS1_21radix_sort_block_sortIS4_Lb0EPlS8_N6thrust23THRUST_200600_302600_NS10device_ptrIlEESC_NS0_19identity_decomposerEEE10hipError_tT1_T2_T3_T4_jRjT5_jjP12ihipStream_tbEUlT_E_NS1_11comp_targetILNS1_3genE9ELNS1_11target_archE1100ELNS1_3gpuE3ELNS1_3repE0EEENS1_44radix_sort_block_sort_config_static_selectorELNS0_4arch9wavefront6targetE1EEEvSF_, .Lfunc_end999-_ZN7rocprim17ROCPRIM_400000_NS6detail17trampoline_kernelINS0_13kernel_configILj256ELj4ELj4294967295EEENS1_37radix_sort_block_sort_config_selectorIllEEZNS1_21radix_sort_block_sortIS4_Lb0EPlS8_N6thrust23THRUST_200600_302600_NS10device_ptrIlEESC_NS0_19identity_decomposerEEE10hipError_tT1_T2_T3_T4_jRjT5_jjP12ihipStream_tbEUlT_E_NS1_11comp_targetILNS1_3genE9ELNS1_11target_archE1100ELNS1_3gpuE3ELNS1_3repE0EEENS1_44radix_sort_block_sort_config_static_selectorELNS0_4arch9wavefront6targetE1EEEvSF_
                                        ; -- End function
	.set _ZN7rocprim17ROCPRIM_400000_NS6detail17trampoline_kernelINS0_13kernel_configILj256ELj4ELj4294967295EEENS1_37radix_sort_block_sort_config_selectorIllEEZNS1_21radix_sort_block_sortIS4_Lb0EPlS8_N6thrust23THRUST_200600_302600_NS10device_ptrIlEESC_NS0_19identity_decomposerEEE10hipError_tT1_T2_T3_T4_jRjT5_jjP12ihipStream_tbEUlT_E_NS1_11comp_targetILNS1_3genE9ELNS1_11target_archE1100ELNS1_3gpuE3ELNS1_3repE0EEENS1_44radix_sort_block_sort_config_static_selectorELNS0_4arch9wavefront6targetE1EEEvSF_.num_vgpr, 0
	.set _ZN7rocprim17ROCPRIM_400000_NS6detail17trampoline_kernelINS0_13kernel_configILj256ELj4ELj4294967295EEENS1_37radix_sort_block_sort_config_selectorIllEEZNS1_21radix_sort_block_sortIS4_Lb0EPlS8_N6thrust23THRUST_200600_302600_NS10device_ptrIlEESC_NS0_19identity_decomposerEEE10hipError_tT1_T2_T3_T4_jRjT5_jjP12ihipStream_tbEUlT_E_NS1_11comp_targetILNS1_3genE9ELNS1_11target_archE1100ELNS1_3gpuE3ELNS1_3repE0EEENS1_44radix_sort_block_sort_config_static_selectorELNS0_4arch9wavefront6targetE1EEEvSF_.num_agpr, 0
	.set _ZN7rocprim17ROCPRIM_400000_NS6detail17trampoline_kernelINS0_13kernel_configILj256ELj4ELj4294967295EEENS1_37radix_sort_block_sort_config_selectorIllEEZNS1_21radix_sort_block_sortIS4_Lb0EPlS8_N6thrust23THRUST_200600_302600_NS10device_ptrIlEESC_NS0_19identity_decomposerEEE10hipError_tT1_T2_T3_T4_jRjT5_jjP12ihipStream_tbEUlT_E_NS1_11comp_targetILNS1_3genE9ELNS1_11target_archE1100ELNS1_3gpuE3ELNS1_3repE0EEENS1_44radix_sort_block_sort_config_static_selectorELNS0_4arch9wavefront6targetE1EEEvSF_.numbered_sgpr, 0
	.set _ZN7rocprim17ROCPRIM_400000_NS6detail17trampoline_kernelINS0_13kernel_configILj256ELj4ELj4294967295EEENS1_37radix_sort_block_sort_config_selectorIllEEZNS1_21radix_sort_block_sortIS4_Lb0EPlS8_N6thrust23THRUST_200600_302600_NS10device_ptrIlEESC_NS0_19identity_decomposerEEE10hipError_tT1_T2_T3_T4_jRjT5_jjP12ihipStream_tbEUlT_E_NS1_11comp_targetILNS1_3genE9ELNS1_11target_archE1100ELNS1_3gpuE3ELNS1_3repE0EEENS1_44radix_sort_block_sort_config_static_selectorELNS0_4arch9wavefront6targetE1EEEvSF_.num_named_barrier, 0
	.set _ZN7rocprim17ROCPRIM_400000_NS6detail17trampoline_kernelINS0_13kernel_configILj256ELj4ELj4294967295EEENS1_37radix_sort_block_sort_config_selectorIllEEZNS1_21radix_sort_block_sortIS4_Lb0EPlS8_N6thrust23THRUST_200600_302600_NS10device_ptrIlEESC_NS0_19identity_decomposerEEE10hipError_tT1_T2_T3_T4_jRjT5_jjP12ihipStream_tbEUlT_E_NS1_11comp_targetILNS1_3genE9ELNS1_11target_archE1100ELNS1_3gpuE3ELNS1_3repE0EEENS1_44radix_sort_block_sort_config_static_selectorELNS0_4arch9wavefront6targetE1EEEvSF_.private_seg_size, 0
	.set _ZN7rocprim17ROCPRIM_400000_NS6detail17trampoline_kernelINS0_13kernel_configILj256ELj4ELj4294967295EEENS1_37radix_sort_block_sort_config_selectorIllEEZNS1_21radix_sort_block_sortIS4_Lb0EPlS8_N6thrust23THRUST_200600_302600_NS10device_ptrIlEESC_NS0_19identity_decomposerEEE10hipError_tT1_T2_T3_T4_jRjT5_jjP12ihipStream_tbEUlT_E_NS1_11comp_targetILNS1_3genE9ELNS1_11target_archE1100ELNS1_3gpuE3ELNS1_3repE0EEENS1_44radix_sort_block_sort_config_static_selectorELNS0_4arch9wavefront6targetE1EEEvSF_.uses_vcc, 0
	.set _ZN7rocprim17ROCPRIM_400000_NS6detail17trampoline_kernelINS0_13kernel_configILj256ELj4ELj4294967295EEENS1_37radix_sort_block_sort_config_selectorIllEEZNS1_21radix_sort_block_sortIS4_Lb0EPlS8_N6thrust23THRUST_200600_302600_NS10device_ptrIlEESC_NS0_19identity_decomposerEEE10hipError_tT1_T2_T3_T4_jRjT5_jjP12ihipStream_tbEUlT_E_NS1_11comp_targetILNS1_3genE9ELNS1_11target_archE1100ELNS1_3gpuE3ELNS1_3repE0EEENS1_44radix_sort_block_sort_config_static_selectorELNS0_4arch9wavefront6targetE1EEEvSF_.uses_flat_scratch, 0
	.set _ZN7rocprim17ROCPRIM_400000_NS6detail17trampoline_kernelINS0_13kernel_configILj256ELj4ELj4294967295EEENS1_37radix_sort_block_sort_config_selectorIllEEZNS1_21radix_sort_block_sortIS4_Lb0EPlS8_N6thrust23THRUST_200600_302600_NS10device_ptrIlEESC_NS0_19identity_decomposerEEE10hipError_tT1_T2_T3_T4_jRjT5_jjP12ihipStream_tbEUlT_E_NS1_11comp_targetILNS1_3genE9ELNS1_11target_archE1100ELNS1_3gpuE3ELNS1_3repE0EEENS1_44radix_sort_block_sort_config_static_selectorELNS0_4arch9wavefront6targetE1EEEvSF_.has_dyn_sized_stack, 0
	.set _ZN7rocprim17ROCPRIM_400000_NS6detail17trampoline_kernelINS0_13kernel_configILj256ELj4ELj4294967295EEENS1_37radix_sort_block_sort_config_selectorIllEEZNS1_21radix_sort_block_sortIS4_Lb0EPlS8_N6thrust23THRUST_200600_302600_NS10device_ptrIlEESC_NS0_19identity_decomposerEEE10hipError_tT1_T2_T3_T4_jRjT5_jjP12ihipStream_tbEUlT_E_NS1_11comp_targetILNS1_3genE9ELNS1_11target_archE1100ELNS1_3gpuE3ELNS1_3repE0EEENS1_44radix_sort_block_sort_config_static_selectorELNS0_4arch9wavefront6targetE1EEEvSF_.has_recursion, 0
	.set _ZN7rocprim17ROCPRIM_400000_NS6detail17trampoline_kernelINS0_13kernel_configILj256ELj4ELj4294967295EEENS1_37radix_sort_block_sort_config_selectorIllEEZNS1_21radix_sort_block_sortIS4_Lb0EPlS8_N6thrust23THRUST_200600_302600_NS10device_ptrIlEESC_NS0_19identity_decomposerEEE10hipError_tT1_T2_T3_T4_jRjT5_jjP12ihipStream_tbEUlT_E_NS1_11comp_targetILNS1_3genE9ELNS1_11target_archE1100ELNS1_3gpuE3ELNS1_3repE0EEENS1_44radix_sort_block_sort_config_static_selectorELNS0_4arch9wavefront6targetE1EEEvSF_.has_indirect_call, 0
	.section	.AMDGPU.csdata,"",@progbits
; Kernel info:
; codeLenInByte = 0
; TotalNumSgprs: 4
; NumVgprs: 0
; ScratchSize: 0
; MemoryBound: 0
; FloatMode: 240
; IeeeMode: 1
; LDSByteSize: 0 bytes/workgroup (compile time only)
; SGPRBlocks: 0
; VGPRBlocks: 0
; NumSGPRsForWavesPerEU: 4
; NumVGPRsForWavesPerEU: 1
; Occupancy: 10
; WaveLimiterHint : 0
; COMPUTE_PGM_RSRC2:SCRATCH_EN: 0
; COMPUTE_PGM_RSRC2:USER_SGPR: 6
; COMPUTE_PGM_RSRC2:TRAP_HANDLER: 0
; COMPUTE_PGM_RSRC2:TGID_X_EN: 1
; COMPUTE_PGM_RSRC2:TGID_Y_EN: 0
; COMPUTE_PGM_RSRC2:TGID_Z_EN: 0
; COMPUTE_PGM_RSRC2:TIDIG_COMP_CNT: 0
	.section	.text._ZN7rocprim17ROCPRIM_400000_NS6detail17trampoline_kernelINS0_13kernel_configILj256ELj4ELj4294967295EEENS1_37radix_sort_block_sort_config_selectorIllEEZNS1_21radix_sort_block_sortIS4_Lb0EPlS8_N6thrust23THRUST_200600_302600_NS10device_ptrIlEESC_NS0_19identity_decomposerEEE10hipError_tT1_T2_T3_T4_jRjT5_jjP12ihipStream_tbEUlT_E_NS1_11comp_targetILNS1_3genE8ELNS1_11target_archE1030ELNS1_3gpuE2ELNS1_3repE0EEENS1_44radix_sort_block_sort_config_static_selectorELNS0_4arch9wavefront6targetE1EEEvSF_,"axG",@progbits,_ZN7rocprim17ROCPRIM_400000_NS6detail17trampoline_kernelINS0_13kernel_configILj256ELj4ELj4294967295EEENS1_37radix_sort_block_sort_config_selectorIllEEZNS1_21radix_sort_block_sortIS4_Lb0EPlS8_N6thrust23THRUST_200600_302600_NS10device_ptrIlEESC_NS0_19identity_decomposerEEE10hipError_tT1_T2_T3_T4_jRjT5_jjP12ihipStream_tbEUlT_E_NS1_11comp_targetILNS1_3genE8ELNS1_11target_archE1030ELNS1_3gpuE2ELNS1_3repE0EEENS1_44radix_sort_block_sort_config_static_selectorELNS0_4arch9wavefront6targetE1EEEvSF_,comdat
	.protected	_ZN7rocprim17ROCPRIM_400000_NS6detail17trampoline_kernelINS0_13kernel_configILj256ELj4ELj4294967295EEENS1_37radix_sort_block_sort_config_selectorIllEEZNS1_21radix_sort_block_sortIS4_Lb0EPlS8_N6thrust23THRUST_200600_302600_NS10device_ptrIlEESC_NS0_19identity_decomposerEEE10hipError_tT1_T2_T3_T4_jRjT5_jjP12ihipStream_tbEUlT_E_NS1_11comp_targetILNS1_3genE8ELNS1_11target_archE1030ELNS1_3gpuE2ELNS1_3repE0EEENS1_44radix_sort_block_sort_config_static_selectorELNS0_4arch9wavefront6targetE1EEEvSF_ ; -- Begin function _ZN7rocprim17ROCPRIM_400000_NS6detail17trampoline_kernelINS0_13kernel_configILj256ELj4ELj4294967295EEENS1_37radix_sort_block_sort_config_selectorIllEEZNS1_21radix_sort_block_sortIS4_Lb0EPlS8_N6thrust23THRUST_200600_302600_NS10device_ptrIlEESC_NS0_19identity_decomposerEEE10hipError_tT1_T2_T3_T4_jRjT5_jjP12ihipStream_tbEUlT_E_NS1_11comp_targetILNS1_3genE8ELNS1_11target_archE1030ELNS1_3gpuE2ELNS1_3repE0EEENS1_44radix_sort_block_sort_config_static_selectorELNS0_4arch9wavefront6targetE1EEEvSF_
	.globl	_ZN7rocprim17ROCPRIM_400000_NS6detail17trampoline_kernelINS0_13kernel_configILj256ELj4ELj4294967295EEENS1_37radix_sort_block_sort_config_selectorIllEEZNS1_21radix_sort_block_sortIS4_Lb0EPlS8_N6thrust23THRUST_200600_302600_NS10device_ptrIlEESC_NS0_19identity_decomposerEEE10hipError_tT1_T2_T3_T4_jRjT5_jjP12ihipStream_tbEUlT_E_NS1_11comp_targetILNS1_3genE8ELNS1_11target_archE1030ELNS1_3gpuE2ELNS1_3repE0EEENS1_44radix_sort_block_sort_config_static_selectorELNS0_4arch9wavefront6targetE1EEEvSF_
	.p2align	8
	.type	_ZN7rocprim17ROCPRIM_400000_NS6detail17trampoline_kernelINS0_13kernel_configILj256ELj4ELj4294967295EEENS1_37radix_sort_block_sort_config_selectorIllEEZNS1_21radix_sort_block_sortIS4_Lb0EPlS8_N6thrust23THRUST_200600_302600_NS10device_ptrIlEESC_NS0_19identity_decomposerEEE10hipError_tT1_T2_T3_T4_jRjT5_jjP12ihipStream_tbEUlT_E_NS1_11comp_targetILNS1_3genE8ELNS1_11target_archE1030ELNS1_3gpuE2ELNS1_3repE0EEENS1_44radix_sort_block_sort_config_static_selectorELNS0_4arch9wavefront6targetE1EEEvSF_,@function
_ZN7rocprim17ROCPRIM_400000_NS6detail17trampoline_kernelINS0_13kernel_configILj256ELj4ELj4294967295EEENS1_37radix_sort_block_sort_config_selectorIllEEZNS1_21radix_sort_block_sortIS4_Lb0EPlS8_N6thrust23THRUST_200600_302600_NS10device_ptrIlEESC_NS0_19identity_decomposerEEE10hipError_tT1_T2_T3_T4_jRjT5_jjP12ihipStream_tbEUlT_E_NS1_11comp_targetILNS1_3genE8ELNS1_11target_archE1030ELNS1_3gpuE2ELNS1_3repE0EEENS1_44radix_sort_block_sort_config_static_selectorELNS0_4arch9wavefront6targetE1EEEvSF_: ; @_ZN7rocprim17ROCPRIM_400000_NS6detail17trampoline_kernelINS0_13kernel_configILj256ELj4ELj4294967295EEENS1_37radix_sort_block_sort_config_selectorIllEEZNS1_21radix_sort_block_sortIS4_Lb0EPlS8_N6thrust23THRUST_200600_302600_NS10device_ptrIlEESC_NS0_19identity_decomposerEEE10hipError_tT1_T2_T3_T4_jRjT5_jjP12ihipStream_tbEUlT_E_NS1_11comp_targetILNS1_3genE8ELNS1_11target_archE1030ELNS1_3gpuE2ELNS1_3repE0EEENS1_44radix_sort_block_sort_config_static_selectorELNS0_4arch9wavefront6targetE1EEEvSF_
; %bb.0:
	.section	.rodata,"a",@progbits
	.p2align	6, 0x0
	.amdhsa_kernel _ZN7rocprim17ROCPRIM_400000_NS6detail17trampoline_kernelINS0_13kernel_configILj256ELj4ELj4294967295EEENS1_37radix_sort_block_sort_config_selectorIllEEZNS1_21radix_sort_block_sortIS4_Lb0EPlS8_N6thrust23THRUST_200600_302600_NS10device_ptrIlEESC_NS0_19identity_decomposerEEE10hipError_tT1_T2_T3_T4_jRjT5_jjP12ihipStream_tbEUlT_E_NS1_11comp_targetILNS1_3genE8ELNS1_11target_archE1030ELNS1_3gpuE2ELNS1_3repE0EEENS1_44radix_sort_block_sort_config_static_selectorELNS0_4arch9wavefront6targetE1EEEvSF_
		.amdhsa_group_segment_fixed_size 0
		.amdhsa_private_segment_fixed_size 0
		.amdhsa_kernarg_size 48
		.amdhsa_user_sgpr_count 6
		.amdhsa_user_sgpr_private_segment_buffer 1
		.amdhsa_user_sgpr_dispatch_ptr 0
		.amdhsa_user_sgpr_queue_ptr 0
		.amdhsa_user_sgpr_kernarg_segment_ptr 1
		.amdhsa_user_sgpr_dispatch_id 0
		.amdhsa_user_sgpr_flat_scratch_init 0
		.amdhsa_user_sgpr_private_segment_size 0
		.amdhsa_uses_dynamic_stack 0
		.amdhsa_system_sgpr_private_segment_wavefront_offset 0
		.amdhsa_system_sgpr_workgroup_id_x 1
		.amdhsa_system_sgpr_workgroup_id_y 0
		.amdhsa_system_sgpr_workgroup_id_z 0
		.amdhsa_system_sgpr_workgroup_info 0
		.amdhsa_system_vgpr_workitem_id 0
		.amdhsa_next_free_vgpr 1
		.amdhsa_next_free_sgpr 0
		.amdhsa_reserve_vcc 0
		.amdhsa_reserve_flat_scratch 0
		.amdhsa_float_round_mode_32 0
		.amdhsa_float_round_mode_16_64 0
		.amdhsa_float_denorm_mode_32 3
		.amdhsa_float_denorm_mode_16_64 3
		.amdhsa_dx10_clamp 1
		.amdhsa_ieee_mode 1
		.amdhsa_fp16_overflow 0
		.amdhsa_exception_fp_ieee_invalid_op 0
		.amdhsa_exception_fp_denorm_src 0
		.amdhsa_exception_fp_ieee_div_zero 0
		.amdhsa_exception_fp_ieee_overflow 0
		.amdhsa_exception_fp_ieee_underflow 0
		.amdhsa_exception_fp_ieee_inexact 0
		.amdhsa_exception_int_div_zero 0
	.end_amdhsa_kernel
	.section	.text._ZN7rocprim17ROCPRIM_400000_NS6detail17trampoline_kernelINS0_13kernel_configILj256ELj4ELj4294967295EEENS1_37radix_sort_block_sort_config_selectorIllEEZNS1_21radix_sort_block_sortIS4_Lb0EPlS8_N6thrust23THRUST_200600_302600_NS10device_ptrIlEESC_NS0_19identity_decomposerEEE10hipError_tT1_T2_T3_T4_jRjT5_jjP12ihipStream_tbEUlT_E_NS1_11comp_targetILNS1_3genE8ELNS1_11target_archE1030ELNS1_3gpuE2ELNS1_3repE0EEENS1_44radix_sort_block_sort_config_static_selectorELNS0_4arch9wavefront6targetE1EEEvSF_,"axG",@progbits,_ZN7rocprim17ROCPRIM_400000_NS6detail17trampoline_kernelINS0_13kernel_configILj256ELj4ELj4294967295EEENS1_37radix_sort_block_sort_config_selectorIllEEZNS1_21radix_sort_block_sortIS4_Lb0EPlS8_N6thrust23THRUST_200600_302600_NS10device_ptrIlEESC_NS0_19identity_decomposerEEE10hipError_tT1_T2_T3_T4_jRjT5_jjP12ihipStream_tbEUlT_E_NS1_11comp_targetILNS1_3genE8ELNS1_11target_archE1030ELNS1_3gpuE2ELNS1_3repE0EEENS1_44radix_sort_block_sort_config_static_selectorELNS0_4arch9wavefront6targetE1EEEvSF_,comdat
.Lfunc_end1000:
	.size	_ZN7rocprim17ROCPRIM_400000_NS6detail17trampoline_kernelINS0_13kernel_configILj256ELj4ELj4294967295EEENS1_37radix_sort_block_sort_config_selectorIllEEZNS1_21radix_sort_block_sortIS4_Lb0EPlS8_N6thrust23THRUST_200600_302600_NS10device_ptrIlEESC_NS0_19identity_decomposerEEE10hipError_tT1_T2_T3_T4_jRjT5_jjP12ihipStream_tbEUlT_E_NS1_11comp_targetILNS1_3genE8ELNS1_11target_archE1030ELNS1_3gpuE2ELNS1_3repE0EEENS1_44radix_sort_block_sort_config_static_selectorELNS0_4arch9wavefront6targetE1EEEvSF_, .Lfunc_end1000-_ZN7rocprim17ROCPRIM_400000_NS6detail17trampoline_kernelINS0_13kernel_configILj256ELj4ELj4294967295EEENS1_37radix_sort_block_sort_config_selectorIllEEZNS1_21radix_sort_block_sortIS4_Lb0EPlS8_N6thrust23THRUST_200600_302600_NS10device_ptrIlEESC_NS0_19identity_decomposerEEE10hipError_tT1_T2_T3_T4_jRjT5_jjP12ihipStream_tbEUlT_E_NS1_11comp_targetILNS1_3genE8ELNS1_11target_archE1030ELNS1_3gpuE2ELNS1_3repE0EEENS1_44radix_sort_block_sort_config_static_selectorELNS0_4arch9wavefront6targetE1EEEvSF_
                                        ; -- End function
	.set _ZN7rocprim17ROCPRIM_400000_NS6detail17trampoline_kernelINS0_13kernel_configILj256ELj4ELj4294967295EEENS1_37radix_sort_block_sort_config_selectorIllEEZNS1_21radix_sort_block_sortIS4_Lb0EPlS8_N6thrust23THRUST_200600_302600_NS10device_ptrIlEESC_NS0_19identity_decomposerEEE10hipError_tT1_T2_T3_T4_jRjT5_jjP12ihipStream_tbEUlT_E_NS1_11comp_targetILNS1_3genE8ELNS1_11target_archE1030ELNS1_3gpuE2ELNS1_3repE0EEENS1_44radix_sort_block_sort_config_static_selectorELNS0_4arch9wavefront6targetE1EEEvSF_.num_vgpr, 0
	.set _ZN7rocprim17ROCPRIM_400000_NS6detail17trampoline_kernelINS0_13kernel_configILj256ELj4ELj4294967295EEENS1_37radix_sort_block_sort_config_selectorIllEEZNS1_21radix_sort_block_sortIS4_Lb0EPlS8_N6thrust23THRUST_200600_302600_NS10device_ptrIlEESC_NS0_19identity_decomposerEEE10hipError_tT1_T2_T3_T4_jRjT5_jjP12ihipStream_tbEUlT_E_NS1_11comp_targetILNS1_3genE8ELNS1_11target_archE1030ELNS1_3gpuE2ELNS1_3repE0EEENS1_44radix_sort_block_sort_config_static_selectorELNS0_4arch9wavefront6targetE1EEEvSF_.num_agpr, 0
	.set _ZN7rocprim17ROCPRIM_400000_NS6detail17trampoline_kernelINS0_13kernel_configILj256ELj4ELj4294967295EEENS1_37radix_sort_block_sort_config_selectorIllEEZNS1_21radix_sort_block_sortIS4_Lb0EPlS8_N6thrust23THRUST_200600_302600_NS10device_ptrIlEESC_NS0_19identity_decomposerEEE10hipError_tT1_T2_T3_T4_jRjT5_jjP12ihipStream_tbEUlT_E_NS1_11comp_targetILNS1_3genE8ELNS1_11target_archE1030ELNS1_3gpuE2ELNS1_3repE0EEENS1_44radix_sort_block_sort_config_static_selectorELNS0_4arch9wavefront6targetE1EEEvSF_.numbered_sgpr, 0
	.set _ZN7rocprim17ROCPRIM_400000_NS6detail17trampoline_kernelINS0_13kernel_configILj256ELj4ELj4294967295EEENS1_37radix_sort_block_sort_config_selectorIllEEZNS1_21radix_sort_block_sortIS4_Lb0EPlS8_N6thrust23THRUST_200600_302600_NS10device_ptrIlEESC_NS0_19identity_decomposerEEE10hipError_tT1_T2_T3_T4_jRjT5_jjP12ihipStream_tbEUlT_E_NS1_11comp_targetILNS1_3genE8ELNS1_11target_archE1030ELNS1_3gpuE2ELNS1_3repE0EEENS1_44radix_sort_block_sort_config_static_selectorELNS0_4arch9wavefront6targetE1EEEvSF_.num_named_barrier, 0
	.set _ZN7rocprim17ROCPRIM_400000_NS6detail17trampoline_kernelINS0_13kernel_configILj256ELj4ELj4294967295EEENS1_37radix_sort_block_sort_config_selectorIllEEZNS1_21radix_sort_block_sortIS4_Lb0EPlS8_N6thrust23THRUST_200600_302600_NS10device_ptrIlEESC_NS0_19identity_decomposerEEE10hipError_tT1_T2_T3_T4_jRjT5_jjP12ihipStream_tbEUlT_E_NS1_11comp_targetILNS1_3genE8ELNS1_11target_archE1030ELNS1_3gpuE2ELNS1_3repE0EEENS1_44radix_sort_block_sort_config_static_selectorELNS0_4arch9wavefront6targetE1EEEvSF_.private_seg_size, 0
	.set _ZN7rocprim17ROCPRIM_400000_NS6detail17trampoline_kernelINS0_13kernel_configILj256ELj4ELj4294967295EEENS1_37radix_sort_block_sort_config_selectorIllEEZNS1_21radix_sort_block_sortIS4_Lb0EPlS8_N6thrust23THRUST_200600_302600_NS10device_ptrIlEESC_NS0_19identity_decomposerEEE10hipError_tT1_T2_T3_T4_jRjT5_jjP12ihipStream_tbEUlT_E_NS1_11comp_targetILNS1_3genE8ELNS1_11target_archE1030ELNS1_3gpuE2ELNS1_3repE0EEENS1_44radix_sort_block_sort_config_static_selectorELNS0_4arch9wavefront6targetE1EEEvSF_.uses_vcc, 0
	.set _ZN7rocprim17ROCPRIM_400000_NS6detail17trampoline_kernelINS0_13kernel_configILj256ELj4ELj4294967295EEENS1_37radix_sort_block_sort_config_selectorIllEEZNS1_21radix_sort_block_sortIS4_Lb0EPlS8_N6thrust23THRUST_200600_302600_NS10device_ptrIlEESC_NS0_19identity_decomposerEEE10hipError_tT1_T2_T3_T4_jRjT5_jjP12ihipStream_tbEUlT_E_NS1_11comp_targetILNS1_3genE8ELNS1_11target_archE1030ELNS1_3gpuE2ELNS1_3repE0EEENS1_44radix_sort_block_sort_config_static_selectorELNS0_4arch9wavefront6targetE1EEEvSF_.uses_flat_scratch, 0
	.set _ZN7rocprim17ROCPRIM_400000_NS6detail17trampoline_kernelINS0_13kernel_configILj256ELj4ELj4294967295EEENS1_37radix_sort_block_sort_config_selectorIllEEZNS1_21radix_sort_block_sortIS4_Lb0EPlS8_N6thrust23THRUST_200600_302600_NS10device_ptrIlEESC_NS0_19identity_decomposerEEE10hipError_tT1_T2_T3_T4_jRjT5_jjP12ihipStream_tbEUlT_E_NS1_11comp_targetILNS1_3genE8ELNS1_11target_archE1030ELNS1_3gpuE2ELNS1_3repE0EEENS1_44radix_sort_block_sort_config_static_selectorELNS0_4arch9wavefront6targetE1EEEvSF_.has_dyn_sized_stack, 0
	.set _ZN7rocprim17ROCPRIM_400000_NS6detail17trampoline_kernelINS0_13kernel_configILj256ELj4ELj4294967295EEENS1_37radix_sort_block_sort_config_selectorIllEEZNS1_21radix_sort_block_sortIS4_Lb0EPlS8_N6thrust23THRUST_200600_302600_NS10device_ptrIlEESC_NS0_19identity_decomposerEEE10hipError_tT1_T2_T3_T4_jRjT5_jjP12ihipStream_tbEUlT_E_NS1_11comp_targetILNS1_3genE8ELNS1_11target_archE1030ELNS1_3gpuE2ELNS1_3repE0EEENS1_44radix_sort_block_sort_config_static_selectorELNS0_4arch9wavefront6targetE1EEEvSF_.has_recursion, 0
	.set _ZN7rocprim17ROCPRIM_400000_NS6detail17trampoline_kernelINS0_13kernel_configILj256ELj4ELj4294967295EEENS1_37radix_sort_block_sort_config_selectorIllEEZNS1_21radix_sort_block_sortIS4_Lb0EPlS8_N6thrust23THRUST_200600_302600_NS10device_ptrIlEESC_NS0_19identity_decomposerEEE10hipError_tT1_T2_T3_T4_jRjT5_jjP12ihipStream_tbEUlT_E_NS1_11comp_targetILNS1_3genE8ELNS1_11target_archE1030ELNS1_3gpuE2ELNS1_3repE0EEENS1_44radix_sort_block_sort_config_static_selectorELNS0_4arch9wavefront6targetE1EEEvSF_.has_indirect_call, 0
	.section	.AMDGPU.csdata,"",@progbits
; Kernel info:
; codeLenInByte = 0
; TotalNumSgprs: 4
; NumVgprs: 0
; ScratchSize: 0
; MemoryBound: 0
; FloatMode: 240
; IeeeMode: 1
; LDSByteSize: 0 bytes/workgroup (compile time only)
; SGPRBlocks: 0
; VGPRBlocks: 0
; NumSGPRsForWavesPerEU: 4
; NumVGPRsForWavesPerEU: 1
; Occupancy: 10
; WaveLimiterHint : 0
; COMPUTE_PGM_RSRC2:SCRATCH_EN: 0
; COMPUTE_PGM_RSRC2:USER_SGPR: 6
; COMPUTE_PGM_RSRC2:TRAP_HANDLER: 0
; COMPUTE_PGM_RSRC2:TGID_X_EN: 1
; COMPUTE_PGM_RSRC2:TGID_Y_EN: 0
; COMPUTE_PGM_RSRC2:TGID_Z_EN: 0
; COMPUTE_PGM_RSRC2:TIDIG_COMP_CNT: 0
	.section	.text._ZN7rocprim17ROCPRIM_400000_NS6detail44device_merge_sort_compile_time_verifier_archINS1_11comp_targetILNS1_3genE0ELNS1_11target_archE4294967295ELNS1_3gpuE0ELNS1_3repE0EEES8_NS1_28merge_sort_block_sort_configILj256ELj4ELNS0_20block_sort_algorithmE0EEENS0_14default_configENS1_37merge_sort_block_sort_config_selectorIllEENS1_38merge_sort_block_merge_config_selectorIllEEEEvv,"axG",@progbits,_ZN7rocprim17ROCPRIM_400000_NS6detail44device_merge_sort_compile_time_verifier_archINS1_11comp_targetILNS1_3genE0ELNS1_11target_archE4294967295ELNS1_3gpuE0ELNS1_3repE0EEES8_NS1_28merge_sort_block_sort_configILj256ELj4ELNS0_20block_sort_algorithmE0EEENS0_14default_configENS1_37merge_sort_block_sort_config_selectorIllEENS1_38merge_sort_block_merge_config_selectorIllEEEEvv,comdat
	.protected	_ZN7rocprim17ROCPRIM_400000_NS6detail44device_merge_sort_compile_time_verifier_archINS1_11comp_targetILNS1_3genE0ELNS1_11target_archE4294967295ELNS1_3gpuE0ELNS1_3repE0EEES8_NS1_28merge_sort_block_sort_configILj256ELj4ELNS0_20block_sort_algorithmE0EEENS0_14default_configENS1_37merge_sort_block_sort_config_selectorIllEENS1_38merge_sort_block_merge_config_selectorIllEEEEvv ; -- Begin function _ZN7rocprim17ROCPRIM_400000_NS6detail44device_merge_sort_compile_time_verifier_archINS1_11comp_targetILNS1_3genE0ELNS1_11target_archE4294967295ELNS1_3gpuE0ELNS1_3repE0EEES8_NS1_28merge_sort_block_sort_configILj256ELj4ELNS0_20block_sort_algorithmE0EEENS0_14default_configENS1_37merge_sort_block_sort_config_selectorIllEENS1_38merge_sort_block_merge_config_selectorIllEEEEvv
	.globl	_ZN7rocprim17ROCPRIM_400000_NS6detail44device_merge_sort_compile_time_verifier_archINS1_11comp_targetILNS1_3genE0ELNS1_11target_archE4294967295ELNS1_3gpuE0ELNS1_3repE0EEES8_NS1_28merge_sort_block_sort_configILj256ELj4ELNS0_20block_sort_algorithmE0EEENS0_14default_configENS1_37merge_sort_block_sort_config_selectorIllEENS1_38merge_sort_block_merge_config_selectorIllEEEEvv
	.p2align	8
	.type	_ZN7rocprim17ROCPRIM_400000_NS6detail44device_merge_sort_compile_time_verifier_archINS1_11comp_targetILNS1_3genE0ELNS1_11target_archE4294967295ELNS1_3gpuE0ELNS1_3repE0EEES8_NS1_28merge_sort_block_sort_configILj256ELj4ELNS0_20block_sort_algorithmE0EEENS0_14default_configENS1_37merge_sort_block_sort_config_selectorIllEENS1_38merge_sort_block_merge_config_selectorIllEEEEvv,@function
_ZN7rocprim17ROCPRIM_400000_NS6detail44device_merge_sort_compile_time_verifier_archINS1_11comp_targetILNS1_3genE0ELNS1_11target_archE4294967295ELNS1_3gpuE0ELNS1_3repE0EEES8_NS1_28merge_sort_block_sort_configILj256ELj4ELNS0_20block_sort_algorithmE0EEENS0_14default_configENS1_37merge_sort_block_sort_config_selectorIllEENS1_38merge_sort_block_merge_config_selectorIllEEEEvv: ; @_ZN7rocprim17ROCPRIM_400000_NS6detail44device_merge_sort_compile_time_verifier_archINS1_11comp_targetILNS1_3genE0ELNS1_11target_archE4294967295ELNS1_3gpuE0ELNS1_3repE0EEES8_NS1_28merge_sort_block_sort_configILj256ELj4ELNS0_20block_sort_algorithmE0EEENS0_14default_configENS1_37merge_sort_block_sort_config_selectorIllEENS1_38merge_sort_block_merge_config_selectorIllEEEEvv
; %bb.0:
	s_endpgm
	.section	.rodata,"a",@progbits
	.p2align	6, 0x0
	.amdhsa_kernel _ZN7rocprim17ROCPRIM_400000_NS6detail44device_merge_sort_compile_time_verifier_archINS1_11comp_targetILNS1_3genE0ELNS1_11target_archE4294967295ELNS1_3gpuE0ELNS1_3repE0EEES8_NS1_28merge_sort_block_sort_configILj256ELj4ELNS0_20block_sort_algorithmE0EEENS0_14default_configENS1_37merge_sort_block_sort_config_selectorIllEENS1_38merge_sort_block_merge_config_selectorIllEEEEvv
		.amdhsa_group_segment_fixed_size 0
		.amdhsa_private_segment_fixed_size 0
		.amdhsa_kernarg_size 0
		.amdhsa_user_sgpr_count 4
		.amdhsa_user_sgpr_private_segment_buffer 1
		.amdhsa_user_sgpr_dispatch_ptr 0
		.amdhsa_user_sgpr_queue_ptr 0
		.amdhsa_user_sgpr_kernarg_segment_ptr 0
		.amdhsa_user_sgpr_dispatch_id 0
		.amdhsa_user_sgpr_flat_scratch_init 0
		.amdhsa_user_sgpr_private_segment_size 0
		.amdhsa_uses_dynamic_stack 0
		.amdhsa_system_sgpr_private_segment_wavefront_offset 0
		.amdhsa_system_sgpr_workgroup_id_x 1
		.amdhsa_system_sgpr_workgroup_id_y 0
		.amdhsa_system_sgpr_workgroup_id_z 0
		.amdhsa_system_sgpr_workgroup_info 0
		.amdhsa_system_vgpr_workitem_id 0
		.amdhsa_next_free_vgpr 1
		.amdhsa_next_free_sgpr 0
		.amdhsa_reserve_vcc 0
		.amdhsa_reserve_flat_scratch 0
		.amdhsa_float_round_mode_32 0
		.amdhsa_float_round_mode_16_64 0
		.amdhsa_float_denorm_mode_32 3
		.amdhsa_float_denorm_mode_16_64 3
		.amdhsa_dx10_clamp 1
		.amdhsa_ieee_mode 1
		.amdhsa_fp16_overflow 0
		.amdhsa_exception_fp_ieee_invalid_op 0
		.amdhsa_exception_fp_denorm_src 0
		.amdhsa_exception_fp_ieee_div_zero 0
		.amdhsa_exception_fp_ieee_overflow 0
		.amdhsa_exception_fp_ieee_underflow 0
		.amdhsa_exception_fp_ieee_inexact 0
		.amdhsa_exception_int_div_zero 0
	.end_amdhsa_kernel
	.section	.text._ZN7rocprim17ROCPRIM_400000_NS6detail44device_merge_sort_compile_time_verifier_archINS1_11comp_targetILNS1_3genE0ELNS1_11target_archE4294967295ELNS1_3gpuE0ELNS1_3repE0EEES8_NS1_28merge_sort_block_sort_configILj256ELj4ELNS0_20block_sort_algorithmE0EEENS0_14default_configENS1_37merge_sort_block_sort_config_selectorIllEENS1_38merge_sort_block_merge_config_selectorIllEEEEvv,"axG",@progbits,_ZN7rocprim17ROCPRIM_400000_NS6detail44device_merge_sort_compile_time_verifier_archINS1_11comp_targetILNS1_3genE0ELNS1_11target_archE4294967295ELNS1_3gpuE0ELNS1_3repE0EEES8_NS1_28merge_sort_block_sort_configILj256ELj4ELNS0_20block_sort_algorithmE0EEENS0_14default_configENS1_37merge_sort_block_sort_config_selectorIllEENS1_38merge_sort_block_merge_config_selectorIllEEEEvv,comdat
.Lfunc_end1001:
	.size	_ZN7rocprim17ROCPRIM_400000_NS6detail44device_merge_sort_compile_time_verifier_archINS1_11comp_targetILNS1_3genE0ELNS1_11target_archE4294967295ELNS1_3gpuE0ELNS1_3repE0EEES8_NS1_28merge_sort_block_sort_configILj256ELj4ELNS0_20block_sort_algorithmE0EEENS0_14default_configENS1_37merge_sort_block_sort_config_selectorIllEENS1_38merge_sort_block_merge_config_selectorIllEEEEvv, .Lfunc_end1001-_ZN7rocprim17ROCPRIM_400000_NS6detail44device_merge_sort_compile_time_verifier_archINS1_11comp_targetILNS1_3genE0ELNS1_11target_archE4294967295ELNS1_3gpuE0ELNS1_3repE0EEES8_NS1_28merge_sort_block_sort_configILj256ELj4ELNS0_20block_sort_algorithmE0EEENS0_14default_configENS1_37merge_sort_block_sort_config_selectorIllEENS1_38merge_sort_block_merge_config_selectorIllEEEEvv
                                        ; -- End function
	.set _ZN7rocprim17ROCPRIM_400000_NS6detail44device_merge_sort_compile_time_verifier_archINS1_11comp_targetILNS1_3genE0ELNS1_11target_archE4294967295ELNS1_3gpuE0ELNS1_3repE0EEES8_NS1_28merge_sort_block_sort_configILj256ELj4ELNS0_20block_sort_algorithmE0EEENS0_14default_configENS1_37merge_sort_block_sort_config_selectorIllEENS1_38merge_sort_block_merge_config_selectorIllEEEEvv.num_vgpr, 0
	.set _ZN7rocprim17ROCPRIM_400000_NS6detail44device_merge_sort_compile_time_verifier_archINS1_11comp_targetILNS1_3genE0ELNS1_11target_archE4294967295ELNS1_3gpuE0ELNS1_3repE0EEES8_NS1_28merge_sort_block_sort_configILj256ELj4ELNS0_20block_sort_algorithmE0EEENS0_14default_configENS1_37merge_sort_block_sort_config_selectorIllEENS1_38merge_sort_block_merge_config_selectorIllEEEEvv.num_agpr, 0
	.set _ZN7rocprim17ROCPRIM_400000_NS6detail44device_merge_sort_compile_time_verifier_archINS1_11comp_targetILNS1_3genE0ELNS1_11target_archE4294967295ELNS1_3gpuE0ELNS1_3repE0EEES8_NS1_28merge_sort_block_sort_configILj256ELj4ELNS0_20block_sort_algorithmE0EEENS0_14default_configENS1_37merge_sort_block_sort_config_selectorIllEENS1_38merge_sort_block_merge_config_selectorIllEEEEvv.numbered_sgpr, 0
	.set _ZN7rocprim17ROCPRIM_400000_NS6detail44device_merge_sort_compile_time_verifier_archINS1_11comp_targetILNS1_3genE0ELNS1_11target_archE4294967295ELNS1_3gpuE0ELNS1_3repE0EEES8_NS1_28merge_sort_block_sort_configILj256ELj4ELNS0_20block_sort_algorithmE0EEENS0_14default_configENS1_37merge_sort_block_sort_config_selectorIllEENS1_38merge_sort_block_merge_config_selectorIllEEEEvv.num_named_barrier, 0
	.set _ZN7rocprim17ROCPRIM_400000_NS6detail44device_merge_sort_compile_time_verifier_archINS1_11comp_targetILNS1_3genE0ELNS1_11target_archE4294967295ELNS1_3gpuE0ELNS1_3repE0EEES8_NS1_28merge_sort_block_sort_configILj256ELj4ELNS0_20block_sort_algorithmE0EEENS0_14default_configENS1_37merge_sort_block_sort_config_selectorIllEENS1_38merge_sort_block_merge_config_selectorIllEEEEvv.private_seg_size, 0
	.set _ZN7rocprim17ROCPRIM_400000_NS6detail44device_merge_sort_compile_time_verifier_archINS1_11comp_targetILNS1_3genE0ELNS1_11target_archE4294967295ELNS1_3gpuE0ELNS1_3repE0EEES8_NS1_28merge_sort_block_sort_configILj256ELj4ELNS0_20block_sort_algorithmE0EEENS0_14default_configENS1_37merge_sort_block_sort_config_selectorIllEENS1_38merge_sort_block_merge_config_selectorIllEEEEvv.uses_vcc, 0
	.set _ZN7rocprim17ROCPRIM_400000_NS6detail44device_merge_sort_compile_time_verifier_archINS1_11comp_targetILNS1_3genE0ELNS1_11target_archE4294967295ELNS1_3gpuE0ELNS1_3repE0EEES8_NS1_28merge_sort_block_sort_configILj256ELj4ELNS0_20block_sort_algorithmE0EEENS0_14default_configENS1_37merge_sort_block_sort_config_selectorIllEENS1_38merge_sort_block_merge_config_selectorIllEEEEvv.uses_flat_scratch, 0
	.set _ZN7rocprim17ROCPRIM_400000_NS6detail44device_merge_sort_compile_time_verifier_archINS1_11comp_targetILNS1_3genE0ELNS1_11target_archE4294967295ELNS1_3gpuE0ELNS1_3repE0EEES8_NS1_28merge_sort_block_sort_configILj256ELj4ELNS0_20block_sort_algorithmE0EEENS0_14default_configENS1_37merge_sort_block_sort_config_selectorIllEENS1_38merge_sort_block_merge_config_selectorIllEEEEvv.has_dyn_sized_stack, 0
	.set _ZN7rocprim17ROCPRIM_400000_NS6detail44device_merge_sort_compile_time_verifier_archINS1_11comp_targetILNS1_3genE0ELNS1_11target_archE4294967295ELNS1_3gpuE0ELNS1_3repE0EEES8_NS1_28merge_sort_block_sort_configILj256ELj4ELNS0_20block_sort_algorithmE0EEENS0_14default_configENS1_37merge_sort_block_sort_config_selectorIllEENS1_38merge_sort_block_merge_config_selectorIllEEEEvv.has_recursion, 0
	.set _ZN7rocprim17ROCPRIM_400000_NS6detail44device_merge_sort_compile_time_verifier_archINS1_11comp_targetILNS1_3genE0ELNS1_11target_archE4294967295ELNS1_3gpuE0ELNS1_3repE0EEES8_NS1_28merge_sort_block_sort_configILj256ELj4ELNS0_20block_sort_algorithmE0EEENS0_14default_configENS1_37merge_sort_block_sort_config_selectorIllEENS1_38merge_sort_block_merge_config_selectorIllEEEEvv.has_indirect_call, 0
	.section	.AMDGPU.csdata,"",@progbits
; Kernel info:
; codeLenInByte = 4
; TotalNumSgprs: 4
; NumVgprs: 0
; ScratchSize: 0
; MemoryBound: 0
; FloatMode: 240
; IeeeMode: 1
; LDSByteSize: 0 bytes/workgroup (compile time only)
; SGPRBlocks: 0
; VGPRBlocks: 0
; NumSGPRsForWavesPerEU: 4
; NumVGPRsForWavesPerEU: 1
; Occupancy: 10
; WaveLimiterHint : 0
; COMPUTE_PGM_RSRC2:SCRATCH_EN: 0
; COMPUTE_PGM_RSRC2:USER_SGPR: 4
; COMPUTE_PGM_RSRC2:TRAP_HANDLER: 0
; COMPUTE_PGM_RSRC2:TGID_X_EN: 1
; COMPUTE_PGM_RSRC2:TGID_Y_EN: 0
; COMPUTE_PGM_RSRC2:TGID_Z_EN: 0
; COMPUTE_PGM_RSRC2:TIDIG_COMP_CNT: 0
	.section	.text._ZN7rocprim17ROCPRIM_400000_NS6detail44device_merge_sort_compile_time_verifier_archINS1_11comp_targetILNS1_3genE5ELNS1_11target_archE942ELNS1_3gpuE9ELNS1_3repE0EEES8_NS1_28merge_sort_block_sort_configILj256ELj4ELNS0_20block_sort_algorithmE0EEENS0_14default_configENS1_37merge_sort_block_sort_config_selectorIllEENS1_38merge_sort_block_merge_config_selectorIllEEEEvv,"axG",@progbits,_ZN7rocprim17ROCPRIM_400000_NS6detail44device_merge_sort_compile_time_verifier_archINS1_11comp_targetILNS1_3genE5ELNS1_11target_archE942ELNS1_3gpuE9ELNS1_3repE0EEES8_NS1_28merge_sort_block_sort_configILj256ELj4ELNS0_20block_sort_algorithmE0EEENS0_14default_configENS1_37merge_sort_block_sort_config_selectorIllEENS1_38merge_sort_block_merge_config_selectorIllEEEEvv,comdat
	.protected	_ZN7rocprim17ROCPRIM_400000_NS6detail44device_merge_sort_compile_time_verifier_archINS1_11comp_targetILNS1_3genE5ELNS1_11target_archE942ELNS1_3gpuE9ELNS1_3repE0EEES8_NS1_28merge_sort_block_sort_configILj256ELj4ELNS0_20block_sort_algorithmE0EEENS0_14default_configENS1_37merge_sort_block_sort_config_selectorIllEENS1_38merge_sort_block_merge_config_selectorIllEEEEvv ; -- Begin function _ZN7rocprim17ROCPRIM_400000_NS6detail44device_merge_sort_compile_time_verifier_archINS1_11comp_targetILNS1_3genE5ELNS1_11target_archE942ELNS1_3gpuE9ELNS1_3repE0EEES8_NS1_28merge_sort_block_sort_configILj256ELj4ELNS0_20block_sort_algorithmE0EEENS0_14default_configENS1_37merge_sort_block_sort_config_selectorIllEENS1_38merge_sort_block_merge_config_selectorIllEEEEvv
	.globl	_ZN7rocprim17ROCPRIM_400000_NS6detail44device_merge_sort_compile_time_verifier_archINS1_11comp_targetILNS1_3genE5ELNS1_11target_archE942ELNS1_3gpuE9ELNS1_3repE0EEES8_NS1_28merge_sort_block_sort_configILj256ELj4ELNS0_20block_sort_algorithmE0EEENS0_14default_configENS1_37merge_sort_block_sort_config_selectorIllEENS1_38merge_sort_block_merge_config_selectorIllEEEEvv
	.p2align	8
	.type	_ZN7rocprim17ROCPRIM_400000_NS6detail44device_merge_sort_compile_time_verifier_archINS1_11comp_targetILNS1_3genE5ELNS1_11target_archE942ELNS1_3gpuE9ELNS1_3repE0EEES8_NS1_28merge_sort_block_sort_configILj256ELj4ELNS0_20block_sort_algorithmE0EEENS0_14default_configENS1_37merge_sort_block_sort_config_selectorIllEENS1_38merge_sort_block_merge_config_selectorIllEEEEvv,@function
_ZN7rocprim17ROCPRIM_400000_NS6detail44device_merge_sort_compile_time_verifier_archINS1_11comp_targetILNS1_3genE5ELNS1_11target_archE942ELNS1_3gpuE9ELNS1_3repE0EEES8_NS1_28merge_sort_block_sort_configILj256ELj4ELNS0_20block_sort_algorithmE0EEENS0_14default_configENS1_37merge_sort_block_sort_config_selectorIllEENS1_38merge_sort_block_merge_config_selectorIllEEEEvv: ; @_ZN7rocprim17ROCPRIM_400000_NS6detail44device_merge_sort_compile_time_verifier_archINS1_11comp_targetILNS1_3genE5ELNS1_11target_archE942ELNS1_3gpuE9ELNS1_3repE0EEES8_NS1_28merge_sort_block_sort_configILj256ELj4ELNS0_20block_sort_algorithmE0EEENS0_14default_configENS1_37merge_sort_block_sort_config_selectorIllEENS1_38merge_sort_block_merge_config_selectorIllEEEEvv
; %bb.0:
	s_endpgm
	.section	.rodata,"a",@progbits
	.p2align	6, 0x0
	.amdhsa_kernel _ZN7rocprim17ROCPRIM_400000_NS6detail44device_merge_sort_compile_time_verifier_archINS1_11comp_targetILNS1_3genE5ELNS1_11target_archE942ELNS1_3gpuE9ELNS1_3repE0EEES8_NS1_28merge_sort_block_sort_configILj256ELj4ELNS0_20block_sort_algorithmE0EEENS0_14default_configENS1_37merge_sort_block_sort_config_selectorIllEENS1_38merge_sort_block_merge_config_selectorIllEEEEvv
		.amdhsa_group_segment_fixed_size 0
		.amdhsa_private_segment_fixed_size 0
		.amdhsa_kernarg_size 0
		.amdhsa_user_sgpr_count 4
		.amdhsa_user_sgpr_private_segment_buffer 1
		.amdhsa_user_sgpr_dispatch_ptr 0
		.amdhsa_user_sgpr_queue_ptr 0
		.amdhsa_user_sgpr_kernarg_segment_ptr 0
		.amdhsa_user_sgpr_dispatch_id 0
		.amdhsa_user_sgpr_flat_scratch_init 0
		.amdhsa_user_sgpr_private_segment_size 0
		.amdhsa_uses_dynamic_stack 0
		.amdhsa_system_sgpr_private_segment_wavefront_offset 0
		.amdhsa_system_sgpr_workgroup_id_x 1
		.amdhsa_system_sgpr_workgroup_id_y 0
		.amdhsa_system_sgpr_workgroup_id_z 0
		.amdhsa_system_sgpr_workgroup_info 0
		.amdhsa_system_vgpr_workitem_id 0
		.amdhsa_next_free_vgpr 1
		.amdhsa_next_free_sgpr 0
		.amdhsa_reserve_vcc 0
		.amdhsa_reserve_flat_scratch 0
		.amdhsa_float_round_mode_32 0
		.amdhsa_float_round_mode_16_64 0
		.amdhsa_float_denorm_mode_32 3
		.amdhsa_float_denorm_mode_16_64 3
		.amdhsa_dx10_clamp 1
		.amdhsa_ieee_mode 1
		.amdhsa_fp16_overflow 0
		.amdhsa_exception_fp_ieee_invalid_op 0
		.amdhsa_exception_fp_denorm_src 0
		.amdhsa_exception_fp_ieee_div_zero 0
		.amdhsa_exception_fp_ieee_overflow 0
		.amdhsa_exception_fp_ieee_underflow 0
		.amdhsa_exception_fp_ieee_inexact 0
		.amdhsa_exception_int_div_zero 0
	.end_amdhsa_kernel
	.section	.text._ZN7rocprim17ROCPRIM_400000_NS6detail44device_merge_sort_compile_time_verifier_archINS1_11comp_targetILNS1_3genE5ELNS1_11target_archE942ELNS1_3gpuE9ELNS1_3repE0EEES8_NS1_28merge_sort_block_sort_configILj256ELj4ELNS0_20block_sort_algorithmE0EEENS0_14default_configENS1_37merge_sort_block_sort_config_selectorIllEENS1_38merge_sort_block_merge_config_selectorIllEEEEvv,"axG",@progbits,_ZN7rocprim17ROCPRIM_400000_NS6detail44device_merge_sort_compile_time_verifier_archINS1_11comp_targetILNS1_3genE5ELNS1_11target_archE942ELNS1_3gpuE9ELNS1_3repE0EEES8_NS1_28merge_sort_block_sort_configILj256ELj4ELNS0_20block_sort_algorithmE0EEENS0_14default_configENS1_37merge_sort_block_sort_config_selectorIllEENS1_38merge_sort_block_merge_config_selectorIllEEEEvv,comdat
.Lfunc_end1002:
	.size	_ZN7rocprim17ROCPRIM_400000_NS6detail44device_merge_sort_compile_time_verifier_archINS1_11comp_targetILNS1_3genE5ELNS1_11target_archE942ELNS1_3gpuE9ELNS1_3repE0EEES8_NS1_28merge_sort_block_sort_configILj256ELj4ELNS0_20block_sort_algorithmE0EEENS0_14default_configENS1_37merge_sort_block_sort_config_selectorIllEENS1_38merge_sort_block_merge_config_selectorIllEEEEvv, .Lfunc_end1002-_ZN7rocprim17ROCPRIM_400000_NS6detail44device_merge_sort_compile_time_verifier_archINS1_11comp_targetILNS1_3genE5ELNS1_11target_archE942ELNS1_3gpuE9ELNS1_3repE0EEES8_NS1_28merge_sort_block_sort_configILj256ELj4ELNS0_20block_sort_algorithmE0EEENS0_14default_configENS1_37merge_sort_block_sort_config_selectorIllEENS1_38merge_sort_block_merge_config_selectorIllEEEEvv
                                        ; -- End function
	.set _ZN7rocprim17ROCPRIM_400000_NS6detail44device_merge_sort_compile_time_verifier_archINS1_11comp_targetILNS1_3genE5ELNS1_11target_archE942ELNS1_3gpuE9ELNS1_3repE0EEES8_NS1_28merge_sort_block_sort_configILj256ELj4ELNS0_20block_sort_algorithmE0EEENS0_14default_configENS1_37merge_sort_block_sort_config_selectorIllEENS1_38merge_sort_block_merge_config_selectorIllEEEEvv.num_vgpr, 0
	.set _ZN7rocprim17ROCPRIM_400000_NS6detail44device_merge_sort_compile_time_verifier_archINS1_11comp_targetILNS1_3genE5ELNS1_11target_archE942ELNS1_3gpuE9ELNS1_3repE0EEES8_NS1_28merge_sort_block_sort_configILj256ELj4ELNS0_20block_sort_algorithmE0EEENS0_14default_configENS1_37merge_sort_block_sort_config_selectorIllEENS1_38merge_sort_block_merge_config_selectorIllEEEEvv.num_agpr, 0
	.set _ZN7rocprim17ROCPRIM_400000_NS6detail44device_merge_sort_compile_time_verifier_archINS1_11comp_targetILNS1_3genE5ELNS1_11target_archE942ELNS1_3gpuE9ELNS1_3repE0EEES8_NS1_28merge_sort_block_sort_configILj256ELj4ELNS0_20block_sort_algorithmE0EEENS0_14default_configENS1_37merge_sort_block_sort_config_selectorIllEENS1_38merge_sort_block_merge_config_selectorIllEEEEvv.numbered_sgpr, 0
	.set _ZN7rocprim17ROCPRIM_400000_NS6detail44device_merge_sort_compile_time_verifier_archINS1_11comp_targetILNS1_3genE5ELNS1_11target_archE942ELNS1_3gpuE9ELNS1_3repE0EEES8_NS1_28merge_sort_block_sort_configILj256ELj4ELNS0_20block_sort_algorithmE0EEENS0_14default_configENS1_37merge_sort_block_sort_config_selectorIllEENS1_38merge_sort_block_merge_config_selectorIllEEEEvv.num_named_barrier, 0
	.set _ZN7rocprim17ROCPRIM_400000_NS6detail44device_merge_sort_compile_time_verifier_archINS1_11comp_targetILNS1_3genE5ELNS1_11target_archE942ELNS1_3gpuE9ELNS1_3repE0EEES8_NS1_28merge_sort_block_sort_configILj256ELj4ELNS0_20block_sort_algorithmE0EEENS0_14default_configENS1_37merge_sort_block_sort_config_selectorIllEENS1_38merge_sort_block_merge_config_selectorIllEEEEvv.private_seg_size, 0
	.set _ZN7rocprim17ROCPRIM_400000_NS6detail44device_merge_sort_compile_time_verifier_archINS1_11comp_targetILNS1_3genE5ELNS1_11target_archE942ELNS1_3gpuE9ELNS1_3repE0EEES8_NS1_28merge_sort_block_sort_configILj256ELj4ELNS0_20block_sort_algorithmE0EEENS0_14default_configENS1_37merge_sort_block_sort_config_selectorIllEENS1_38merge_sort_block_merge_config_selectorIllEEEEvv.uses_vcc, 0
	.set _ZN7rocprim17ROCPRIM_400000_NS6detail44device_merge_sort_compile_time_verifier_archINS1_11comp_targetILNS1_3genE5ELNS1_11target_archE942ELNS1_3gpuE9ELNS1_3repE0EEES8_NS1_28merge_sort_block_sort_configILj256ELj4ELNS0_20block_sort_algorithmE0EEENS0_14default_configENS1_37merge_sort_block_sort_config_selectorIllEENS1_38merge_sort_block_merge_config_selectorIllEEEEvv.uses_flat_scratch, 0
	.set _ZN7rocprim17ROCPRIM_400000_NS6detail44device_merge_sort_compile_time_verifier_archINS1_11comp_targetILNS1_3genE5ELNS1_11target_archE942ELNS1_3gpuE9ELNS1_3repE0EEES8_NS1_28merge_sort_block_sort_configILj256ELj4ELNS0_20block_sort_algorithmE0EEENS0_14default_configENS1_37merge_sort_block_sort_config_selectorIllEENS1_38merge_sort_block_merge_config_selectorIllEEEEvv.has_dyn_sized_stack, 0
	.set _ZN7rocprim17ROCPRIM_400000_NS6detail44device_merge_sort_compile_time_verifier_archINS1_11comp_targetILNS1_3genE5ELNS1_11target_archE942ELNS1_3gpuE9ELNS1_3repE0EEES8_NS1_28merge_sort_block_sort_configILj256ELj4ELNS0_20block_sort_algorithmE0EEENS0_14default_configENS1_37merge_sort_block_sort_config_selectorIllEENS1_38merge_sort_block_merge_config_selectorIllEEEEvv.has_recursion, 0
	.set _ZN7rocprim17ROCPRIM_400000_NS6detail44device_merge_sort_compile_time_verifier_archINS1_11comp_targetILNS1_3genE5ELNS1_11target_archE942ELNS1_3gpuE9ELNS1_3repE0EEES8_NS1_28merge_sort_block_sort_configILj256ELj4ELNS0_20block_sort_algorithmE0EEENS0_14default_configENS1_37merge_sort_block_sort_config_selectorIllEENS1_38merge_sort_block_merge_config_selectorIllEEEEvv.has_indirect_call, 0
	.section	.AMDGPU.csdata,"",@progbits
; Kernel info:
; codeLenInByte = 4
; TotalNumSgprs: 4
; NumVgprs: 0
; ScratchSize: 0
; MemoryBound: 0
; FloatMode: 240
; IeeeMode: 1
; LDSByteSize: 0 bytes/workgroup (compile time only)
; SGPRBlocks: 0
; VGPRBlocks: 0
; NumSGPRsForWavesPerEU: 4
; NumVGPRsForWavesPerEU: 1
; Occupancy: 10
; WaveLimiterHint : 0
; COMPUTE_PGM_RSRC2:SCRATCH_EN: 0
; COMPUTE_PGM_RSRC2:USER_SGPR: 4
; COMPUTE_PGM_RSRC2:TRAP_HANDLER: 0
; COMPUTE_PGM_RSRC2:TGID_X_EN: 1
; COMPUTE_PGM_RSRC2:TGID_Y_EN: 0
; COMPUTE_PGM_RSRC2:TGID_Z_EN: 0
; COMPUTE_PGM_RSRC2:TIDIG_COMP_CNT: 0
	.section	.text._ZN7rocprim17ROCPRIM_400000_NS6detail44device_merge_sort_compile_time_verifier_archINS1_11comp_targetILNS1_3genE4ELNS1_11target_archE910ELNS1_3gpuE8ELNS1_3repE0EEES8_NS1_28merge_sort_block_sort_configILj256ELj4ELNS0_20block_sort_algorithmE0EEENS0_14default_configENS1_37merge_sort_block_sort_config_selectorIllEENS1_38merge_sort_block_merge_config_selectorIllEEEEvv,"axG",@progbits,_ZN7rocprim17ROCPRIM_400000_NS6detail44device_merge_sort_compile_time_verifier_archINS1_11comp_targetILNS1_3genE4ELNS1_11target_archE910ELNS1_3gpuE8ELNS1_3repE0EEES8_NS1_28merge_sort_block_sort_configILj256ELj4ELNS0_20block_sort_algorithmE0EEENS0_14default_configENS1_37merge_sort_block_sort_config_selectorIllEENS1_38merge_sort_block_merge_config_selectorIllEEEEvv,comdat
	.protected	_ZN7rocprim17ROCPRIM_400000_NS6detail44device_merge_sort_compile_time_verifier_archINS1_11comp_targetILNS1_3genE4ELNS1_11target_archE910ELNS1_3gpuE8ELNS1_3repE0EEES8_NS1_28merge_sort_block_sort_configILj256ELj4ELNS0_20block_sort_algorithmE0EEENS0_14default_configENS1_37merge_sort_block_sort_config_selectorIllEENS1_38merge_sort_block_merge_config_selectorIllEEEEvv ; -- Begin function _ZN7rocprim17ROCPRIM_400000_NS6detail44device_merge_sort_compile_time_verifier_archINS1_11comp_targetILNS1_3genE4ELNS1_11target_archE910ELNS1_3gpuE8ELNS1_3repE0EEES8_NS1_28merge_sort_block_sort_configILj256ELj4ELNS0_20block_sort_algorithmE0EEENS0_14default_configENS1_37merge_sort_block_sort_config_selectorIllEENS1_38merge_sort_block_merge_config_selectorIllEEEEvv
	.globl	_ZN7rocprim17ROCPRIM_400000_NS6detail44device_merge_sort_compile_time_verifier_archINS1_11comp_targetILNS1_3genE4ELNS1_11target_archE910ELNS1_3gpuE8ELNS1_3repE0EEES8_NS1_28merge_sort_block_sort_configILj256ELj4ELNS0_20block_sort_algorithmE0EEENS0_14default_configENS1_37merge_sort_block_sort_config_selectorIllEENS1_38merge_sort_block_merge_config_selectorIllEEEEvv
	.p2align	8
	.type	_ZN7rocprim17ROCPRIM_400000_NS6detail44device_merge_sort_compile_time_verifier_archINS1_11comp_targetILNS1_3genE4ELNS1_11target_archE910ELNS1_3gpuE8ELNS1_3repE0EEES8_NS1_28merge_sort_block_sort_configILj256ELj4ELNS0_20block_sort_algorithmE0EEENS0_14default_configENS1_37merge_sort_block_sort_config_selectorIllEENS1_38merge_sort_block_merge_config_selectorIllEEEEvv,@function
_ZN7rocprim17ROCPRIM_400000_NS6detail44device_merge_sort_compile_time_verifier_archINS1_11comp_targetILNS1_3genE4ELNS1_11target_archE910ELNS1_3gpuE8ELNS1_3repE0EEES8_NS1_28merge_sort_block_sort_configILj256ELj4ELNS0_20block_sort_algorithmE0EEENS0_14default_configENS1_37merge_sort_block_sort_config_selectorIllEENS1_38merge_sort_block_merge_config_selectorIllEEEEvv: ; @_ZN7rocprim17ROCPRIM_400000_NS6detail44device_merge_sort_compile_time_verifier_archINS1_11comp_targetILNS1_3genE4ELNS1_11target_archE910ELNS1_3gpuE8ELNS1_3repE0EEES8_NS1_28merge_sort_block_sort_configILj256ELj4ELNS0_20block_sort_algorithmE0EEENS0_14default_configENS1_37merge_sort_block_sort_config_selectorIllEENS1_38merge_sort_block_merge_config_selectorIllEEEEvv
; %bb.0:
	s_endpgm
	.section	.rodata,"a",@progbits
	.p2align	6, 0x0
	.amdhsa_kernel _ZN7rocprim17ROCPRIM_400000_NS6detail44device_merge_sort_compile_time_verifier_archINS1_11comp_targetILNS1_3genE4ELNS1_11target_archE910ELNS1_3gpuE8ELNS1_3repE0EEES8_NS1_28merge_sort_block_sort_configILj256ELj4ELNS0_20block_sort_algorithmE0EEENS0_14default_configENS1_37merge_sort_block_sort_config_selectorIllEENS1_38merge_sort_block_merge_config_selectorIllEEEEvv
		.amdhsa_group_segment_fixed_size 0
		.amdhsa_private_segment_fixed_size 0
		.amdhsa_kernarg_size 0
		.amdhsa_user_sgpr_count 4
		.amdhsa_user_sgpr_private_segment_buffer 1
		.amdhsa_user_sgpr_dispatch_ptr 0
		.amdhsa_user_sgpr_queue_ptr 0
		.amdhsa_user_sgpr_kernarg_segment_ptr 0
		.amdhsa_user_sgpr_dispatch_id 0
		.amdhsa_user_sgpr_flat_scratch_init 0
		.amdhsa_user_sgpr_private_segment_size 0
		.amdhsa_uses_dynamic_stack 0
		.amdhsa_system_sgpr_private_segment_wavefront_offset 0
		.amdhsa_system_sgpr_workgroup_id_x 1
		.amdhsa_system_sgpr_workgroup_id_y 0
		.amdhsa_system_sgpr_workgroup_id_z 0
		.amdhsa_system_sgpr_workgroup_info 0
		.amdhsa_system_vgpr_workitem_id 0
		.amdhsa_next_free_vgpr 1
		.amdhsa_next_free_sgpr 0
		.amdhsa_reserve_vcc 0
		.amdhsa_reserve_flat_scratch 0
		.amdhsa_float_round_mode_32 0
		.amdhsa_float_round_mode_16_64 0
		.amdhsa_float_denorm_mode_32 3
		.amdhsa_float_denorm_mode_16_64 3
		.amdhsa_dx10_clamp 1
		.amdhsa_ieee_mode 1
		.amdhsa_fp16_overflow 0
		.amdhsa_exception_fp_ieee_invalid_op 0
		.amdhsa_exception_fp_denorm_src 0
		.amdhsa_exception_fp_ieee_div_zero 0
		.amdhsa_exception_fp_ieee_overflow 0
		.amdhsa_exception_fp_ieee_underflow 0
		.amdhsa_exception_fp_ieee_inexact 0
		.amdhsa_exception_int_div_zero 0
	.end_amdhsa_kernel
	.section	.text._ZN7rocprim17ROCPRIM_400000_NS6detail44device_merge_sort_compile_time_verifier_archINS1_11comp_targetILNS1_3genE4ELNS1_11target_archE910ELNS1_3gpuE8ELNS1_3repE0EEES8_NS1_28merge_sort_block_sort_configILj256ELj4ELNS0_20block_sort_algorithmE0EEENS0_14default_configENS1_37merge_sort_block_sort_config_selectorIllEENS1_38merge_sort_block_merge_config_selectorIllEEEEvv,"axG",@progbits,_ZN7rocprim17ROCPRIM_400000_NS6detail44device_merge_sort_compile_time_verifier_archINS1_11comp_targetILNS1_3genE4ELNS1_11target_archE910ELNS1_3gpuE8ELNS1_3repE0EEES8_NS1_28merge_sort_block_sort_configILj256ELj4ELNS0_20block_sort_algorithmE0EEENS0_14default_configENS1_37merge_sort_block_sort_config_selectorIllEENS1_38merge_sort_block_merge_config_selectorIllEEEEvv,comdat
.Lfunc_end1003:
	.size	_ZN7rocprim17ROCPRIM_400000_NS6detail44device_merge_sort_compile_time_verifier_archINS1_11comp_targetILNS1_3genE4ELNS1_11target_archE910ELNS1_3gpuE8ELNS1_3repE0EEES8_NS1_28merge_sort_block_sort_configILj256ELj4ELNS0_20block_sort_algorithmE0EEENS0_14default_configENS1_37merge_sort_block_sort_config_selectorIllEENS1_38merge_sort_block_merge_config_selectorIllEEEEvv, .Lfunc_end1003-_ZN7rocprim17ROCPRIM_400000_NS6detail44device_merge_sort_compile_time_verifier_archINS1_11comp_targetILNS1_3genE4ELNS1_11target_archE910ELNS1_3gpuE8ELNS1_3repE0EEES8_NS1_28merge_sort_block_sort_configILj256ELj4ELNS0_20block_sort_algorithmE0EEENS0_14default_configENS1_37merge_sort_block_sort_config_selectorIllEENS1_38merge_sort_block_merge_config_selectorIllEEEEvv
                                        ; -- End function
	.set _ZN7rocprim17ROCPRIM_400000_NS6detail44device_merge_sort_compile_time_verifier_archINS1_11comp_targetILNS1_3genE4ELNS1_11target_archE910ELNS1_3gpuE8ELNS1_3repE0EEES8_NS1_28merge_sort_block_sort_configILj256ELj4ELNS0_20block_sort_algorithmE0EEENS0_14default_configENS1_37merge_sort_block_sort_config_selectorIllEENS1_38merge_sort_block_merge_config_selectorIllEEEEvv.num_vgpr, 0
	.set _ZN7rocprim17ROCPRIM_400000_NS6detail44device_merge_sort_compile_time_verifier_archINS1_11comp_targetILNS1_3genE4ELNS1_11target_archE910ELNS1_3gpuE8ELNS1_3repE0EEES8_NS1_28merge_sort_block_sort_configILj256ELj4ELNS0_20block_sort_algorithmE0EEENS0_14default_configENS1_37merge_sort_block_sort_config_selectorIllEENS1_38merge_sort_block_merge_config_selectorIllEEEEvv.num_agpr, 0
	.set _ZN7rocprim17ROCPRIM_400000_NS6detail44device_merge_sort_compile_time_verifier_archINS1_11comp_targetILNS1_3genE4ELNS1_11target_archE910ELNS1_3gpuE8ELNS1_3repE0EEES8_NS1_28merge_sort_block_sort_configILj256ELj4ELNS0_20block_sort_algorithmE0EEENS0_14default_configENS1_37merge_sort_block_sort_config_selectorIllEENS1_38merge_sort_block_merge_config_selectorIllEEEEvv.numbered_sgpr, 0
	.set _ZN7rocprim17ROCPRIM_400000_NS6detail44device_merge_sort_compile_time_verifier_archINS1_11comp_targetILNS1_3genE4ELNS1_11target_archE910ELNS1_3gpuE8ELNS1_3repE0EEES8_NS1_28merge_sort_block_sort_configILj256ELj4ELNS0_20block_sort_algorithmE0EEENS0_14default_configENS1_37merge_sort_block_sort_config_selectorIllEENS1_38merge_sort_block_merge_config_selectorIllEEEEvv.num_named_barrier, 0
	.set _ZN7rocprim17ROCPRIM_400000_NS6detail44device_merge_sort_compile_time_verifier_archINS1_11comp_targetILNS1_3genE4ELNS1_11target_archE910ELNS1_3gpuE8ELNS1_3repE0EEES8_NS1_28merge_sort_block_sort_configILj256ELj4ELNS0_20block_sort_algorithmE0EEENS0_14default_configENS1_37merge_sort_block_sort_config_selectorIllEENS1_38merge_sort_block_merge_config_selectorIllEEEEvv.private_seg_size, 0
	.set _ZN7rocprim17ROCPRIM_400000_NS6detail44device_merge_sort_compile_time_verifier_archINS1_11comp_targetILNS1_3genE4ELNS1_11target_archE910ELNS1_3gpuE8ELNS1_3repE0EEES8_NS1_28merge_sort_block_sort_configILj256ELj4ELNS0_20block_sort_algorithmE0EEENS0_14default_configENS1_37merge_sort_block_sort_config_selectorIllEENS1_38merge_sort_block_merge_config_selectorIllEEEEvv.uses_vcc, 0
	.set _ZN7rocprim17ROCPRIM_400000_NS6detail44device_merge_sort_compile_time_verifier_archINS1_11comp_targetILNS1_3genE4ELNS1_11target_archE910ELNS1_3gpuE8ELNS1_3repE0EEES8_NS1_28merge_sort_block_sort_configILj256ELj4ELNS0_20block_sort_algorithmE0EEENS0_14default_configENS1_37merge_sort_block_sort_config_selectorIllEENS1_38merge_sort_block_merge_config_selectorIllEEEEvv.uses_flat_scratch, 0
	.set _ZN7rocprim17ROCPRIM_400000_NS6detail44device_merge_sort_compile_time_verifier_archINS1_11comp_targetILNS1_3genE4ELNS1_11target_archE910ELNS1_3gpuE8ELNS1_3repE0EEES8_NS1_28merge_sort_block_sort_configILj256ELj4ELNS0_20block_sort_algorithmE0EEENS0_14default_configENS1_37merge_sort_block_sort_config_selectorIllEENS1_38merge_sort_block_merge_config_selectorIllEEEEvv.has_dyn_sized_stack, 0
	.set _ZN7rocprim17ROCPRIM_400000_NS6detail44device_merge_sort_compile_time_verifier_archINS1_11comp_targetILNS1_3genE4ELNS1_11target_archE910ELNS1_3gpuE8ELNS1_3repE0EEES8_NS1_28merge_sort_block_sort_configILj256ELj4ELNS0_20block_sort_algorithmE0EEENS0_14default_configENS1_37merge_sort_block_sort_config_selectorIllEENS1_38merge_sort_block_merge_config_selectorIllEEEEvv.has_recursion, 0
	.set _ZN7rocprim17ROCPRIM_400000_NS6detail44device_merge_sort_compile_time_verifier_archINS1_11comp_targetILNS1_3genE4ELNS1_11target_archE910ELNS1_3gpuE8ELNS1_3repE0EEES8_NS1_28merge_sort_block_sort_configILj256ELj4ELNS0_20block_sort_algorithmE0EEENS0_14default_configENS1_37merge_sort_block_sort_config_selectorIllEENS1_38merge_sort_block_merge_config_selectorIllEEEEvv.has_indirect_call, 0
	.section	.AMDGPU.csdata,"",@progbits
; Kernel info:
; codeLenInByte = 4
; TotalNumSgprs: 4
; NumVgprs: 0
; ScratchSize: 0
; MemoryBound: 0
; FloatMode: 240
; IeeeMode: 1
; LDSByteSize: 0 bytes/workgroup (compile time only)
; SGPRBlocks: 0
; VGPRBlocks: 0
; NumSGPRsForWavesPerEU: 4
; NumVGPRsForWavesPerEU: 1
; Occupancy: 10
; WaveLimiterHint : 0
; COMPUTE_PGM_RSRC2:SCRATCH_EN: 0
; COMPUTE_PGM_RSRC2:USER_SGPR: 4
; COMPUTE_PGM_RSRC2:TRAP_HANDLER: 0
; COMPUTE_PGM_RSRC2:TGID_X_EN: 1
; COMPUTE_PGM_RSRC2:TGID_Y_EN: 0
; COMPUTE_PGM_RSRC2:TGID_Z_EN: 0
; COMPUTE_PGM_RSRC2:TIDIG_COMP_CNT: 0
	.section	.text._ZN7rocprim17ROCPRIM_400000_NS6detail44device_merge_sort_compile_time_verifier_archINS1_11comp_targetILNS1_3genE3ELNS1_11target_archE908ELNS1_3gpuE7ELNS1_3repE0EEES8_NS1_28merge_sort_block_sort_configILj256ELj4ELNS0_20block_sort_algorithmE0EEENS0_14default_configENS1_37merge_sort_block_sort_config_selectorIllEENS1_38merge_sort_block_merge_config_selectorIllEEEEvv,"axG",@progbits,_ZN7rocprim17ROCPRIM_400000_NS6detail44device_merge_sort_compile_time_verifier_archINS1_11comp_targetILNS1_3genE3ELNS1_11target_archE908ELNS1_3gpuE7ELNS1_3repE0EEES8_NS1_28merge_sort_block_sort_configILj256ELj4ELNS0_20block_sort_algorithmE0EEENS0_14default_configENS1_37merge_sort_block_sort_config_selectorIllEENS1_38merge_sort_block_merge_config_selectorIllEEEEvv,comdat
	.protected	_ZN7rocprim17ROCPRIM_400000_NS6detail44device_merge_sort_compile_time_verifier_archINS1_11comp_targetILNS1_3genE3ELNS1_11target_archE908ELNS1_3gpuE7ELNS1_3repE0EEES8_NS1_28merge_sort_block_sort_configILj256ELj4ELNS0_20block_sort_algorithmE0EEENS0_14default_configENS1_37merge_sort_block_sort_config_selectorIllEENS1_38merge_sort_block_merge_config_selectorIllEEEEvv ; -- Begin function _ZN7rocprim17ROCPRIM_400000_NS6detail44device_merge_sort_compile_time_verifier_archINS1_11comp_targetILNS1_3genE3ELNS1_11target_archE908ELNS1_3gpuE7ELNS1_3repE0EEES8_NS1_28merge_sort_block_sort_configILj256ELj4ELNS0_20block_sort_algorithmE0EEENS0_14default_configENS1_37merge_sort_block_sort_config_selectorIllEENS1_38merge_sort_block_merge_config_selectorIllEEEEvv
	.globl	_ZN7rocprim17ROCPRIM_400000_NS6detail44device_merge_sort_compile_time_verifier_archINS1_11comp_targetILNS1_3genE3ELNS1_11target_archE908ELNS1_3gpuE7ELNS1_3repE0EEES8_NS1_28merge_sort_block_sort_configILj256ELj4ELNS0_20block_sort_algorithmE0EEENS0_14default_configENS1_37merge_sort_block_sort_config_selectorIllEENS1_38merge_sort_block_merge_config_selectorIllEEEEvv
	.p2align	8
	.type	_ZN7rocprim17ROCPRIM_400000_NS6detail44device_merge_sort_compile_time_verifier_archINS1_11comp_targetILNS1_3genE3ELNS1_11target_archE908ELNS1_3gpuE7ELNS1_3repE0EEES8_NS1_28merge_sort_block_sort_configILj256ELj4ELNS0_20block_sort_algorithmE0EEENS0_14default_configENS1_37merge_sort_block_sort_config_selectorIllEENS1_38merge_sort_block_merge_config_selectorIllEEEEvv,@function
_ZN7rocprim17ROCPRIM_400000_NS6detail44device_merge_sort_compile_time_verifier_archINS1_11comp_targetILNS1_3genE3ELNS1_11target_archE908ELNS1_3gpuE7ELNS1_3repE0EEES8_NS1_28merge_sort_block_sort_configILj256ELj4ELNS0_20block_sort_algorithmE0EEENS0_14default_configENS1_37merge_sort_block_sort_config_selectorIllEENS1_38merge_sort_block_merge_config_selectorIllEEEEvv: ; @_ZN7rocprim17ROCPRIM_400000_NS6detail44device_merge_sort_compile_time_verifier_archINS1_11comp_targetILNS1_3genE3ELNS1_11target_archE908ELNS1_3gpuE7ELNS1_3repE0EEES8_NS1_28merge_sort_block_sort_configILj256ELj4ELNS0_20block_sort_algorithmE0EEENS0_14default_configENS1_37merge_sort_block_sort_config_selectorIllEENS1_38merge_sort_block_merge_config_selectorIllEEEEvv
; %bb.0:
	s_endpgm
	.section	.rodata,"a",@progbits
	.p2align	6, 0x0
	.amdhsa_kernel _ZN7rocprim17ROCPRIM_400000_NS6detail44device_merge_sort_compile_time_verifier_archINS1_11comp_targetILNS1_3genE3ELNS1_11target_archE908ELNS1_3gpuE7ELNS1_3repE0EEES8_NS1_28merge_sort_block_sort_configILj256ELj4ELNS0_20block_sort_algorithmE0EEENS0_14default_configENS1_37merge_sort_block_sort_config_selectorIllEENS1_38merge_sort_block_merge_config_selectorIllEEEEvv
		.amdhsa_group_segment_fixed_size 0
		.amdhsa_private_segment_fixed_size 0
		.amdhsa_kernarg_size 0
		.amdhsa_user_sgpr_count 4
		.amdhsa_user_sgpr_private_segment_buffer 1
		.amdhsa_user_sgpr_dispatch_ptr 0
		.amdhsa_user_sgpr_queue_ptr 0
		.amdhsa_user_sgpr_kernarg_segment_ptr 0
		.amdhsa_user_sgpr_dispatch_id 0
		.amdhsa_user_sgpr_flat_scratch_init 0
		.amdhsa_user_sgpr_private_segment_size 0
		.amdhsa_uses_dynamic_stack 0
		.amdhsa_system_sgpr_private_segment_wavefront_offset 0
		.amdhsa_system_sgpr_workgroup_id_x 1
		.amdhsa_system_sgpr_workgroup_id_y 0
		.amdhsa_system_sgpr_workgroup_id_z 0
		.amdhsa_system_sgpr_workgroup_info 0
		.amdhsa_system_vgpr_workitem_id 0
		.amdhsa_next_free_vgpr 1
		.amdhsa_next_free_sgpr 0
		.amdhsa_reserve_vcc 0
		.amdhsa_reserve_flat_scratch 0
		.amdhsa_float_round_mode_32 0
		.amdhsa_float_round_mode_16_64 0
		.amdhsa_float_denorm_mode_32 3
		.amdhsa_float_denorm_mode_16_64 3
		.amdhsa_dx10_clamp 1
		.amdhsa_ieee_mode 1
		.amdhsa_fp16_overflow 0
		.amdhsa_exception_fp_ieee_invalid_op 0
		.amdhsa_exception_fp_denorm_src 0
		.amdhsa_exception_fp_ieee_div_zero 0
		.amdhsa_exception_fp_ieee_overflow 0
		.amdhsa_exception_fp_ieee_underflow 0
		.amdhsa_exception_fp_ieee_inexact 0
		.amdhsa_exception_int_div_zero 0
	.end_amdhsa_kernel
	.section	.text._ZN7rocprim17ROCPRIM_400000_NS6detail44device_merge_sort_compile_time_verifier_archINS1_11comp_targetILNS1_3genE3ELNS1_11target_archE908ELNS1_3gpuE7ELNS1_3repE0EEES8_NS1_28merge_sort_block_sort_configILj256ELj4ELNS0_20block_sort_algorithmE0EEENS0_14default_configENS1_37merge_sort_block_sort_config_selectorIllEENS1_38merge_sort_block_merge_config_selectorIllEEEEvv,"axG",@progbits,_ZN7rocprim17ROCPRIM_400000_NS6detail44device_merge_sort_compile_time_verifier_archINS1_11comp_targetILNS1_3genE3ELNS1_11target_archE908ELNS1_3gpuE7ELNS1_3repE0EEES8_NS1_28merge_sort_block_sort_configILj256ELj4ELNS0_20block_sort_algorithmE0EEENS0_14default_configENS1_37merge_sort_block_sort_config_selectorIllEENS1_38merge_sort_block_merge_config_selectorIllEEEEvv,comdat
.Lfunc_end1004:
	.size	_ZN7rocprim17ROCPRIM_400000_NS6detail44device_merge_sort_compile_time_verifier_archINS1_11comp_targetILNS1_3genE3ELNS1_11target_archE908ELNS1_3gpuE7ELNS1_3repE0EEES8_NS1_28merge_sort_block_sort_configILj256ELj4ELNS0_20block_sort_algorithmE0EEENS0_14default_configENS1_37merge_sort_block_sort_config_selectorIllEENS1_38merge_sort_block_merge_config_selectorIllEEEEvv, .Lfunc_end1004-_ZN7rocprim17ROCPRIM_400000_NS6detail44device_merge_sort_compile_time_verifier_archINS1_11comp_targetILNS1_3genE3ELNS1_11target_archE908ELNS1_3gpuE7ELNS1_3repE0EEES8_NS1_28merge_sort_block_sort_configILj256ELj4ELNS0_20block_sort_algorithmE0EEENS0_14default_configENS1_37merge_sort_block_sort_config_selectorIllEENS1_38merge_sort_block_merge_config_selectorIllEEEEvv
                                        ; -- End function
	.set _ZN7rocprim17ROCPRIM_400000_NS6detail44device_merge_sort_compile_time_verifier_archINS1_11comp_targetILNS1_3genE3ELNS1_11target_archE908ELNS1_3gpuE7ELNS1_3repE0EEES8_NS1_28merge_sort_block_sort_configILj256ELj4ELNS0_20block_sort_algorithmE0EEENS0_14default_configENS1_37merge_sort_block_sort_config_selectorIllEENS1_38merge_sort_block_merge_config_selectorIllEEEEvv.num_vgpr, 0
	.set _ZN7rocprim17ROCPRIM_400000_NS6detail44device_merge_sort_compile_time_verifier_archINS1_11comp_targetILNS1_3genE3ELNS1_11target_archE908ELNS1_3gpuE7ELNS1_3repE0EEES8_NS1_28merge_sort_block_sort_configILj256ELj4ELNS0_20block_sort_algorithmE0EEENS0_14default_configENS1_37merge_sort_block_sort_config_selectorIllEENS1_38merge_sort_block_merge_config_selectorIllEEEEvv.num_agpr, 0
	.set _ZN7rocprim17ROCPRIM_400000_NS6detail44device_merge_sort_compile_time_verifier_archINS1_11comp_targetILNS1_3genE3ELNS1_11target_archE908ELNS1_3gpuE7ELNS1_3repE0EEES8_NS1_28merge_sort_block_sort_configILj256ELj4ELNS0_20block_sort_algorithmE0EEENS0_14default_configENS1_37merge_sort_block_sort_config_selectorIllEENS1_38merge_sort_block_merge_config_selectorIllEEEEvv.numbered_sgpr, 0
	.set _ZN7rocprim17ROCPRIM_400000_NS6detail44device_merge_sort_compile_time_verifier_archINS1_11comp_targetILNS1_3genE3ELNS1_11target_archE908ELNS1_3gpuE7ELNS1_3repE0EEES8_NS1_28merge_sort_block_sort_configILj256ELj4ELNS0_20block_sort_algorithmE0EEENS0_14default_configENS1_37merge_sort_block_sort_config_selectorIllEENS1_38merge_sort_block_merge_config_selectorIllEEEEvv.num_named_barrier, 0
	.set _ZN7rocprim17ROCPRIM_400000_NS6detail44device_merge_sort_compile_time_verifier_archINS1_11comp_targetILNS1_3genE3ELNS1_11target_archE908ELNS1_3gpuE7ELNS1_3repE0EEES8_NS1_28merge_sort_block_sort_configILj256ELj4ELNS0_20block_sort_algorithmE0EEENS0_14default_configENS1_37merge_sort_block_sort_config_selectorIllEENS1_38merge_sort_block_merge_config_selectorIllEEEEvv.private_seg_size, 0
	.set _ZN7rocprim17ROCPRIM_400000_NS6detail44device_merge_sort_compile_time_verifier_archINS1_11comp_targetILNS1_3genE3ELNS1_11target_archE908ELNS1_3gpuE7ELNS1_3repE0EEES8_NS1_28merge_sort_block_sort_configILj256ELj4ELNS0_20block_sort_algorithmE0EEENS0_14default_configENS1_37merge_sort_block_sort_config_selectorIllEENS1_38merge_sort_block_merge_config_selectorIllEEEEvv.uses_vcc, 0
	.set _ZN7rocprim17ROCPRIM_400000_NS6detail44device_merge_sort_compile_time_verifier_archINS1_11comp_targetILNS1_3genE3ELNS1_11target_archE908ELNS1_3gpuE7ELNS1_3repE0EEES8_NS1_28merge_sort_block_sort_configILj256ELj4ELNS0_20block_sort_algorithmE0EEENS0_14default_configENS1_37merge_sort_block_sort_config_selectorIllEENS1_38merge_sort_block_merge_config_selectorIllEEEEvv.uses_flat_scratch, 0
	.set _ZN7rocprim17ROCPRIM_400000_NS6detail44device_merge_sort_compile_time_verifier_archINS1_11comp_targetILNS1_3genE3ELNS1_11target_archE908ELNS1_3gpuE7ELNS1_3repE0EEES8_NS1_28merge_sort_block_sort_configILj256ELj4ELNS0_20block_sort_algorithmE0EEENS0_14default_configENS1_37merge_sort_block_sort_config_selectorIllEENS1_38merge_sort_block_merge_config_selectorIllEEEEvv.has_dyn_sized_stack, 0
	.set _ZN7rocprim17ROCPRIM_400000_NS6detail44device_merge_sort_compile_time_verifier_archINS1_11comp_targetILNS1_3genE3ELNS1_11target_archE908ELNS1_3gpuE7ELNS1_3repE0EEES8_NS1_28merge_sort_block_sort_configILj256ELj4ELNS0_20block_sort_algorithmE0EEENS0_14default_configENS1_37merge_sort_block_sort_config_selectorIllEENS1_38merge_sort_block_merge_config_selectorIllEEEEvv.has_recursion, 0
	.set _ZN7rocprim17ROCPRIM_400000_NS6detail44device_merge_sort_compile_time_verifier_archINS1_11comp_targetILNS1_3genE3ELNS1_11target_archE908ELNS1_3gpuE7ELNS1_3repE0EEES8_NS1_28merge_sort_block_sort_configILj256ELj4ELNS0_20block_sort_algorithmE0EEENS0_14default_configENS1_37merge_sort_block_sort_config_selectorIllEENS1_38merge_sort_block_merge_config_selectorIllEEEEvv.has_indirect_call, 0
	.section	.AMDGPU.csdata,"",@progbits
; Kernel info:
; codeLenInByte = 4
; TotalNumSgprs: 4
; NumVgprs: 0
; ScratchSize: 0
; MemoryBound: 0
; FloatMode: 240
; IeeeMode: 1
; LDSByteSize: 0 bytes/workgroup (compile time only)
; SGPRBlocks: 0
; VGPRBlocks: 0
; NumSGPRsForWavesPerEU: 4
; NumVGPRsForWavesPerEU: 1
; Occupancy: 10
; WaveLimiterHint : 0
; COMPUTE_PGM_RSRC2:SCRATCH_EN: 0
; COMPUTE_PGM_RSRC2:USER_SGPR: 4
; COMPUTE_PGM_RSRC2:TRAP_HANDLER: 0
; COMPUTE_PGM_RSRC2:TGID_X_EN: 1
; COMPUTE_PGM_RSRC2:TGID_Y_EN: 0
; COMPUTE_PGM_RSRC2:TGID_Z_EN: 0
; COMPUTE_PGM_RSRC2:TIDIG_COMP_CNT: 0
	.section	.text._ZN7rocprim17ROCPRIM_400000_NS6detail44device_merge_sort_compile_time_verifier_archINS1_11comp_targetILNS1_3genE2ELNS1_11target_archE906ELNS1_3gpuE6ELNS1_3repE0EEES8_NS1_28merge_sort_block_sort_configILj256ELj4ELNS0_20block_sort_algorithmE0EEENS0_14default_configENS1_37merge_sort_block_sort_config_selectorIllEENS1_38merge_sort_block_merge_config_selectorIllEEEEvv,"axG",@progbits,_ZN7rocprim17ROCPRIM_400000_NS6detail44device_merge_sort_compile_time_verifier_archINS1_11comp_targetILNS1_3genE2ELNS1_11target_archE906ELNS1_3gpuE6ELNS1_3repE0EEES8_NS1_28merge_sort_block_sort_configILj256ELj4ELNS0_20block_sort_algorithmE0EEENS0_14default_configENS1_37merge_sort_block_sort_config_selectorIllEENS1_38merge_sort_block_merge_config_selectorIllEEEEvv,comdat
	.protected	_ZN7rocprim17ROCPRIM_400000_NS6detail44device_merge_sort_compile_time_verifier_archINS1_11comp_targetILNS1_3genE2ELNS1_11target_archE906ELNS1_3gpuE6ELNS1_3repE0EEES8_NS1_28merge_sort_block_sort_configILj256ELj4ELNS0_20block_sort_algorithmE0EEENS0_14default_configENS1_37merge_sort_block_sort_config_selectorIllEENS1_38merge_sort_block_merge_config_selectorIllEEEEvv ; -- Begin function _ZN7rocprim17ROCPRIM_400000_NS6detail44device_merge_sort_compile_time_verifier_archINS1_11comp_targetILNS1_3genE2ELNS1_11target_archE906ELNS1_3gpuE6ELNS1_3repE0EEES8_NS1_28merge_sort_block_sort_configILj256ELj4ELNS0_20block_sort_algorithmE0EEENS0_14default_configENS1_37merge_sort_block_sort_config_selectorIllEENS1_38merge_sort_block_merge_config_selectorIllEEEEvv
	.globl	_ZN7rocprim17ROCPRIM_400000_NS6detail44device_merge_sort_compile_time_verifier_archINS1_11comp_targetILNS1_3genE2ELNS1_11target_archE906ELNS1_3gpuE6ELNS1_3repE0EEES8_NS1_28merge_sort_block_sort_configILj256ELj4ELNS0_20block_sort_algorithmE0EEENS0_14default_configENS1_37merge_sort_block_sort_config_selectorIllEENS1_38merge_sort_block_merge_config_selectorIllEEEEvv
	.p2align	8
	.type	_ZN7rocprim17ROCPRIM_400000_NS6detail44device_merge_sort_compile_time_verifier_archINS1_11comp_targetILNS1_3genE2ELNS1_11target_archE906ELNS1_3gpuE6ELNS1_3repE0EEES8_NS1_28merge_sort_block_sort_configILj256ELj4ELNS0_20block_sort_algorithmE0EEENS0_14default_configENS1_37merge_sort_block_sort_config_selectorIllEENS1_38merge_sort_block_merge_config_selectorIllEEEEvv,@function
_ZN7rocprim17ROCPRIM_400000_NS6detail44device_merge_sort_compile_time_verifier_archINS1_11comp_targetILNS1_3genE2ELNS1_11target_archE906ELNS1_3gpuE6ELNS1_3repE0EEES8_NS1_28merge_sort_block_sort_configILj256ELj4ELNS0_20block_sort_algorithmE0EEENS0_14default_configENS1_37merge_sort_block_sort_config_selectorIllEENS1_38merge_sort_block_merge_config_selectorIllEEEEvv: ; @_ZN7rocprim17ROCPRIM_400000_NS6detail44device_merge_sort_compile_time_verifier_archINS1_11comp_targetILNS1_3genE2ELNS1_11target_archE906ELNS1_3gpuE6ELNS1_3repE0EEES8_NS1_28merge_sort_block_sort_configILj256ELj4ELNS0_20block_sort_algorithmE0EEENS0_14default_configENS1_37merge_sort_block_sort_config_selectorIllEENS1_38merge_sort_block_merge_config_selectorIllEEEEvv
; %bb.0:
	s_endpgm
	.section	.rodata,"a",@progbits
	.p2align	6, 0x0
	.amdhsa_kernel _ZN7rocprim17ROCPRIM_400000_NS6detail44device_merge_sort_compile_time_verifier_archINS1_11comp_targetILNS1_3genE2ELNS1_11target_archE906ELNS1_3gpuE6ELNS1_3repE0EEES8_NS1_28merge_sort_block_sort_configILj256ELj4ELNS0_20block_sort_algorithmE0EEENS0_14default_configENS1_37merge_sort_block_sort_config_selectorIllEENS1_38merge_sort_block_merge_config_selectorIllEEEEvv
		.amdhsa_group_segment_fixed_size 0
		.amdhsa_private_segment_fixed_size 0
		.amdhsa_kernarg_size 0
		.amdhsa_user_sgpr_count 4
		.amdhsa_user_sgpr_private_segment_buffer 1
		.amdhsa_user_sgpr_dispatch_ptr 0
		.amdhsa_user_sgpr_queue_ptr 0
		.amdhsa_user_sgpr_kernarg_segment_ptr 0
		.amdhsa_user_sgpr_dispatch_id 0
		.amdhsa_user_sgpr_flat_scratch_init 0
		.amdhsa_user_sgpr_private_segment_size 0
		.amdhsa_uses_dynamic_stack 0
		.amdhsa_system_sgpr_private_segment_wavefront_offset 0
		.amdhsa_system_sgpr_workgroup_id_x 1
		.amdhsa_system_sgpr_workgroup_id_y 0
		.amdhsa_system_sgpr_workgroup_id_z 0
		.amdhsa_system_sgpr_workgroup_info 0
		.amdhsa_system_vgpr_workitem_id 0
		.amdhsa_next_free_vgpr 1
		.amdhsa_next_free_sgpr 0
		.amdhsa_reserve_vcc 0
		.amdhsa_reserve_flat_scratch 0
		.amdhsa_float_round_mode_32 0
		.amdhsa_float_round_mode_16_64 0
		.amdhsa_float_denorm_mode_32 3
		.amdhsa_float_denorm_mode_16_64 3
		.amdhsa_dx10_clamp 1
		.amdhsa_ieee_mode 1
		.amdhsa_fp16_overflow 0
		.amdhsa_exception_fp_ieee_invalid_op 0
		.amdhsa_exception_fp_denorm_src 0
		.amdhsa_exception_fp_ieee_div_zero 0
		.amdhsa_exception_fp_ieee_overflow 0
		.amdhsa_exception_fp_ieee_underflow 0
		.amdhsa_exception_fp_ieee_inexact 0
		.amdhsa_exception_int_div_zero 0
	.end_amdhsa_kernel
	.section	.text._ZN7rocprim17ROCPRIM_400000_NS6detail44device_merge_sort_compile_time_verifier_archINS1_11comp_targetILNS1_3genE2ELNS1_11target_archE906ELNS1_3gpuE6ELNS1_3repE0EEES8_NS1_28merge_sort_block_sort_configILj256ELj4ELNS0_20block_sort_algorithmE0EEENS0_14default_configENS1_37merge_sort_block_sort_config_selectorIllEENS1_38merge_sort_block_merge_config_selectorIllEEEEvv,"axG",@progbits,_ZN7rocprim17ROCPRIM_400000_NS6detail44device_merge_sort_compile_time_verifier_archINS1_11comp_targetILNS1_3genE2ELNS1_11target_archE906ELNS1_3gpuE6ELNS1_3repE0EEES8_NS1_28merge_sort_block_sort_configILj256ELj4ELNS0_20block_sort_algorithmE0EEENS0_14default_configENS1_37merge_sort_block_sort_config_selectorIllEENS1_38merge_sort_block_merge_config_selectorIllEEEEvv,comdat
.Lfunc_end1005:
	.size	_ZN7rocprim17ROCPRIM_400000_NS6detail44device_merge_sort_compile_time_verifier_archINS1_11comp_targetILNS1_3genE2ELNS1_11target_archE906ELNS1_3gpuE6ELNS1_3repE0EEES8_NS1_28merge_sort_block_sort_configILj256ELj4ELNS0_20block_sort_algorithmE0EEENS0_14default_configENS1_37merge_sort_block_sort_config_selectorIllEENS1_38merge_sort_block_merge_config_selectorIllEEEEvv, .Lfunc_end1005-_ZN7rocprim17ROCPRIM_400000_NS6detail44device_merge_sort_compile_time_verifier_archINS1_11comp_targetILNS1_3genE2ELNS1_11target_archE906ELNS1_3gpuE6ELNS1_3repE0EEES8_NS1_28merge_sort_block_sort_configILj256ELj4ELNS0_20block_sort_algorithmE0EEENS0_14default_configENS1_37merge_sort_block_sort_config_selectorIllEENS1_38merge_sort_block_merge_config_selectorIllEEEEvv
                                        ; -- End function
	.set _ZN7rocprim17ROCPRIM_400000_NS6detail44device_merge_sort_compile_time_verifier_archINS1_11comp_targetILNS1_3genE2ELNS1_11target_archE906ELNS1_3gpuE6ELNS1_3repE0EEES8_NS1_28merge_sort_block_sort_configILj256ELj4ELNS0_20block_sort_algorithmE0EEENS0_14default_configENS1_37merge_sort_block_sort_config_selectorIllEENS1_38merge_sort_block_merge_config_selectorIllEEEEvv.num_vgpr, 0
	.set _ZN7rocprim17ROCPRIM_400000_NS6detail44device_merge_sort_compile_time_verifier_archINS1_11comp_targetILNS1_3genE2ELNS1_11target_archE906ELNS1_3gpuE6ELNS1_3repE0EEES8_NS1_28merge_sort_block_sort_configILj256ELj4ELNS0_20block_sort_algorithmE0EEENS0_14default_configENS1_37merge_sort_block_sort_config_selectorIllEENS1_38merge_sort_block_merge_config_selectorIllEEEEvv.num_agpr, 0
	.set _ZN7rocprim17ROCPRIM_400000_NS6detail44device_merge_sort_compile_time_verifier_archINS1_11comp_targetILNS1_3genE2ELNS1_11target_archE906ELNS1_3gpuE6ELNS1_3repE0EEES8_NS1_28merge_sort_block_sort_configILj256ELj4ELNS0_20block_sort_algorithmE0EEENS0_14default_configENS1_37merge_sort_block_sort_config_selectorIllEENS1_38merge_sort_block_merge_config_selectorIllEEEEvv.numbered_sgpr, 0
	.set _ZN7rocprim17ROCPRIM_400000_NS6detail44device_merge_sort_compile_time_verifier_archINS1_11comp_targetILNS1_3genE2ELNS1_11target_archE906ELNS1_3gpuE6ELNS1_3repE0EEES8_NS1_28merge_sort_block_sort_configILj256ELj4ELNS0_20block_sort_algorithmE0EEENS0_14default_configENS1_37merge_sort_block_sort_config_selectorIllEENS1_38merge_sort_block_merge_config_selectorIllEEEEvv.num_named_barrier, 0
	.set _ZN7rocprim17ROCPRIM_400000_NS6detail44device_merge_sort_compile_time_verifier_archINS1_11comp_targetILNS1_3genE2ELNS1_11target_archE906ELNS1_3gpuE6ELNS1_3repE0EEES8_NS1_28merge_sort_block_sort_configILj256ELj4ELNS0_20block_sort_algorithmE0EEENS0_14default_configENS1_37merge_sort_block_sort_config_selectorIllEENS1_38merge_sort_block_merge_config_selectorIllEEEEvv.private_seg_size, 0
	.set _ZN7rocprim17ROCPRIM_400000_NS6detail44device_merge_sort_compile_time_verifier_archINS1_11comp_targetILNS1_3genE2ELNS1_11target_archE906ELNS1_3gpuE6ELNS1_3repE0EEES8_NS1_28merge_sort_block_sort_configILj256ELj4ELNS0_20block_sort_algorithmE0EEENS0_14default_configENS1_37merge_sort_block_sort_config_selectorIllEENS1_38merge_sort_block_merge_config_selectorIllEEEEvv.uses_vcc, 0
	.set _ZN7rocprim17ROCPRIM_400000_NS6detail44device_merge_sort_compile_time_verifier_archINS1_11comp_targetILNS1_3genE2ELNS1_11target_archE906ELNS1_3gpuE6ELNS1_3repE0EEES8_NS1_28merge_sort_block_sort_configILj256ELj4ELNS0_20block_sort_algorithmE0EEENS0_14default_configENS1_37merge_sort_block_sort_config_selectorIllEENS1_38merge_sort_block_merge_config_selectorIllEEEEvv.uses_flat_scratch, 0
	.set _ZN7rocprim17ROCPRIM_400000_NS6detail44device_merge_sort_compile_time_verifier_archINS1_11comp_targetILNS1_3genE2ELNS1_11target_archE906ELNS1_3gpuE6ELNS1_3repE0EEES8_NS1_28merge_sort_block_sort_configILj256ELj4ELNS0_20block_sort_algorithmE0EEENS0_14default_configENS1_37merge_sort_block_sort_config_selectorIllEENS1_38merge_sort_block_merge_config_selectorIllEEEEvv.has_dyn_sized_stack, 0
	.set _ZN7rocprim17ROCPRIM_400000_NS6detail44device_merge_sort_compile_time_verifier_archINS1_11comp_targetILNS1_3genE2ELNS1_11target_archE906ELNS1_3gpuE6ELNS1_3repE0EEES8_NS1_28merge_sort_block_sort_configILj256ELj4ELNS0_20block_sort_algorithmE0EEENS0_14default_configENS1_37merge_sort_block_sort_config_selectorIllEENS1_38merge_sort_block_merge_config_selectorIllEEEEvv.has_recursion, 0
	.set _ZN7rocprim17ROCPRIM_400000_NS6detail44device_merge_sort_compile_time_verifier_archINS1_11comp_targetILNS1_3genE2ELNS1_11target_archE906ELNS1_3gpuE6ELNS1_3repE0EEES8_NS1_28merge_sort_block_sort_configILj256ELj4ELNS0_20block_sort_algorithmE0EEENS0_14default_configENS1_37merge_sort_block_sort_config_selectorIllEENS1_38merge_sort_block_merge_config_selectorIllEEEEvv.has_indirect_call, 0
	.section	.AMDGPU.csdata,"",@progbits
; Kernel info:
; codeLenInByte = 4
; TotalNumSgprs: 4
; NumVgprs: 0
; ScratchSize: 0
; MemoryBound: 0
; FloatMode: 240
; IeeeMode: 1
; LDSByteSize: 0 bytes/workgroup (compile time only)
; SGPRBlocks: 0
; VGPRBlocks: 0
; NumSGPRsForWavesPerEU: 4
; NumVGPRsForWavesPerEU: 1
; Occupancy: 10
; WaveLimiterHint : 0
; COMPUTE_PGM_RSRC2:SCRATCH_EN: 0
; COMPUTE_PGM_RSRC2:USER_SGPR: 4
; COMPUTE_PGM_RSRC2:TRAP_HANDLER: 0
; COMPUTE_PGM_RSRC2:TGID_X_EN: 1
; COMPUTE_PGM_RSRC2:TGID_Y_EN: 0
; COMPUTE_PGM_RSRC2:TGID_Z_EN: 0
; COMPUTE_PGM_RSRC2:TIDIG_COMP_CNT: 0
	.section	.text._ZN7rocprim17ROCPRIM_400000_NS6detail44device_merge_sort_compile_time_verifier_archINS1_11comp_targetILNS1_3genE10ELNS1_11target_archE1201ELNS1_3gpuE5ELNS1_3repE0EEES8_NS1_28merge_sort_block_sort_configILj256ELj4ELNS0_20block_sort_algorithmE0EEENS0_14default_configENS1_37merge_sort_block_sort_config_selectorIllEENS1_38merge_sort_block_merge_config_selectorIllEEEEvv,"axG",@progbits,_ZN7rocprim17ROCPRIM_400000_NS6detail44device_merge_sort_compile_time_verifier_archINS1_11comp_targetILNS1_3genE10ELNS1_11target_archE1201ELNS1_3gpuE5ELNS1_3repE0EEES8_NS1_28merge_sort_block_sort_configILj256ELj4ELNS0_20block_sort_algorithmE0EEENS0_14default_configENS1_37merge_sort_block_sort_config_selectorIllEENS1_38merge_sort_block_merge_config_selectorIllEEEEvv,comdat
	.protected	_ZN7rocprim17ROCPRIM_400000_NS6detail44device_merge_sort_compile_time_verifier_archINS1_11comp_targetILNS1_3genE10ELNS1_11target_archE1201ELNS1_3gpuE5ELNS1_3repE0EEES8_NS1_28merge_sort_block_sort_configILj256ELj4ELNS0_20block_sort_algorithmE0EEENS0_14default_configENS1_37merge_sort_block_sort_config_selectorIllEENS1_38merge_sort_block_merge_config_selectorIllEEEEvv ; -- Begin function _ZN7rocprim17ROCPRIM_400000_NS6detail44device_merge_sort_compile_time_verifier_archINS1_11comp_targetILNS1_3genE10ELNS1_11target_archE1201ELNS1_3gpuE5ELNS1_3repE0EEES8_NS1_28merge_sort_block_sort_configILj256ELj4ELNS0_20block_sort_algorithmE0EEENS0_14default_configENS1_37merge_sort_block_sort_config_selectorIllEENS1_38merge_sort_block_merge_config_selectorIllEEEEvv
	.globl	_ZN7rocprim17ROCPRIM_400000_NS6detail44device_merge_sort_compile_time_verifier_archINS1_11comp_targetILNS1_3genE10ELNS1_11target_archE1201ELNS1_3gpuE5ELNS1_3repE0EEES8_NS1_28merge_sort_block_sort_configILj256ELj4ELNS0_20block_sort_algorithmE0EEENS0_14default_configENS1_37merge_sort_block_sort_config_selectorIllEENS1_38merge_sort_block_merge_config_selectorIllEEEEvv
	.p2align	8
	.type	_ZN7rocprim17ROCPRIM_400000_NS6detail44device_merge_sort_compile_time_verifier_archINS1_11comp_targetILNS1_3genE10ELNS1_11target_archE1201ELNS1_3gpuE5ELNS1_3repE0EEES8_NS1_28merge_sort_block_sort_configILj256ELj4ELNS0_20block_sort_algorithmE0EEENS0_14default_configENS1_37merge_sort_block_sort_config_selectorIllEENS1_38merge_sort_block_merge_config_selectorIllEEEEvv,@function
_ZN7rocprim17ROCPRIM_400000_NS6detail44device_merge_sort_compile_time_verifier_archINS1_11comp_targetILNS1_3genE10ELNS1_11target_archE1201ELNS1_3gpuE5ELNS1_3repE0EEES8_NS1_28merge_sort_block_sort_configILj256ELj4ELNS0_20block_sort_algorithmE0EEENS0_14default_configENS1_37merge_sort_block_sort_config_selectorIllEENS1_38merge_sort_block_merge_config_selectorIllEEEEvv: ; @_ZN7rocprim17ROCPRIM_400000_NS6detail44device_merge_sort_compile_time_verifier_archINS1_11comp_targetILNS1_3genE10ELNS1_11target_archE1201ELNS1_3gpuE5ELNS1_3repE0EEES8_NS1_28merge_sort_block_sort_configILj256ELj4ELNS0_20block_sort_algorithmE0EEENS0_14default_configENS1_37merge_sort_block_sort_config_selectorIllEENS1_38merge_sort_block_merge_config_selectorIllEEEEvv
; %bb.0:
	s_endpgm
	.section	.rodata,"a",@progbits
	.p2align	6, 0x0
	.amdhsa_kernel _ZN7rocprim17ROCPRIM_400000_NS6detail44device_merge_sort_compile_time_verifier_archINS1_11comp_targetILNS1_3genE10ELNS1_11target_archE1201ELNS1_3gpuE5ELNS1_3repE0EEES8_NS1_28merge_sort_block_sort_configILj256ELj4ELNS0_20block_sort_algorithmE0EEENS0_14default_configENS1_37merge_sort_block_sort_config_selectorIllEENS1_38merge_sort_block_merge_config_selectorIllEEEEvv
		.amdhsa_group_segment_fixed_size 0
		.amdhsa_private_segment_fixed_size 0
		.amdhsa_kernarg_size 0
		.amdhsa_user_sgpr_count 4
		.amdhsa_user_sgpr_private_segment_buffer 1
		.amdhsa_user_sgpr_dispatch_ptr 0
		.amdhsa_user_sgpr_queue_ptr 0
		.amdhsa_user_sgpr_kernarg_segment_ptr 0
		.amdhsa_user_sgpr_dispatch_id 0
		.amdhsa_user_sgpr_flat_scratch_init 0
		.amdhsa_user_sgpr_private_segment_size 0
		.amdhsa_uses_dynamic_stack 0
		.amdhsa_system_sgpr_private_segment_wavefront_offset 0
		.amdhsa_system_sgpr_workgroup_id_x 1
		.amdhsa_system_sgpr_workgroup_id_y 0
		.amdhsa_system_sgpr_workgroup_id_z 0
		.amdhsa_system_sgpr_workgroup_info 0
		.amdhsa_system_vgpr_workitem_id 0
		.amdhsa_next_free_vgpr 1
		.amdhsa_next_free_sgpr 0
		.amdhsa_reserve_vcc 0
		.amdhsa_reserve_flat_scratch 0
		.amdhsa_float_round_mode_32 0
		.amdhsa_float_round_mode_16_64 0
		.amdhsa_float_denorm_mode_32 3
		.amdhsa_float_denorm_mode_16_64 3
		.amdhsa_dx10_clamp 1
		.amdhsa_ieee_mode 1
		.amdhsa_fp16_overflow 0
		.amdhsa_exception_fp_ieee_invalid_op 0
		.amdhsa_exception_fp_denorm_src 0
		.amdhsa_exception_fp_ieee_div_zero 0
		.amdhsa_exception_fp_ieee_overflow 0
		.amdhsa_exception_fp_ieee_underflow 0
		.amdhsa_exception_fp_ieee_inexact 0
		.amdhsa_exception_int_div_zero 0
	.end_amdhsa_kernel
	.section	.text._ZN7rocprim17ROCPRIM_400000_NS6detail44device_merge_sort_compile_time_verifier_archINS1_11comp_targetILNS1_3genE10ELNS1_11target_archE1201ELNS1_3gpuE5ELNS1_3repE0EEES8_NS1_28merge_sort_block_sort_configILj256ELj4ELNS0_20block_sort_algorithmE0EEENS0_14default_configENS1_37merge_sort_block_sort_config_selectorIllEENS1_38merge_sort_block_merge_config_selectorIllEEEEvv,"axG",@progbits,_ZN7rocprim17ROCPRIM_400000_NS6detail44device_merge_sort_compile_time_verifier_archINS1_11comp_targetILNS1_3genE10ELNS1_11target_archE1201ELNS1_3gpuE5ELNS1_3repE0EEES8_NS1_28merge_sort_block_sort_configILj256ELj4ELNS0_20block_sort_algorithmE0EEENS0_14default_configENS1_37merge_sort_block_sort_config_selectorIllEENS1_38merge_sort_block_merge_config_selectorIllEEEEvv,comdat
.Lfunc_end1006:
	.size	_ZN7rocprim17ROCPRIM_400000_NS6detail44device_merge_sort_compile_time_verifier_archINS1_11comp_targetILNS1_3genE10ELNS1_11target_archE1201ELNS1_3gpuE5ELNS1_3repE0EEES8_NS1_28merge_sort_block_sort_configILj256ELj4ELNS0_20block_sort_algorithmE0EEENS0_14default_configENS1_37merge_sort_block_sort_config_selectorIllEENS1_38merge_sort_block_merge_config_selectorIllEEEEvv, .Lfunc_end1006-_ZN7rocprim17ROCPRIM_400000_NS6detail44device_merge_sort_compile_time_verifier_archINS1_11comp_targetILNS1_3genE10ELNS1_11target_archE1201ELNS1_3gpuE5ELNS1_3repE0EEES8_NS1_28merge_sort_block_sort_configILj256ELj4ELNS0_20block_sort_algorithmE0EEENS0_14default_configENS1_37merge_sort_block_sort_config_selectorIllEENS1_38merge_sort_block_merge_config_selectorIllEEEEvv
                                        ; -- End function
	.set _ZN7rocprim17ROCPRIM_400000_NS6detail44device_merge_sort_compile_time_verifier_archINS1_11comp_targetILNS1_3genE10ELNS1_11target_archE1201ELNS1_3gpuE5ELNS1_3repE0EEES8_NS1_28merge_sort_block_sort_configILj256ELj4ELNS0_20block_sort_algorithmE0EEENS0_14default_configENS1_37merge_sort_block_sort_config_selectorIllEENS1_38merge_sort_block_merge_config_selectorIllEEEEvv.num_vgpr, 0
	.set _ZN7rocprim17ROCPRIM_400000_NS6detail44device_merge_sort_compile_time_verifier_archINS1_11comp_targetILNS1_3genE10ELNS1_11target_archE1201ELNS1_3gpuE5ELNS1_3repE0EEES8_NS1_28merge_sort_block_sort_configILj256ELj4ELNS0_20block_sort_algorithmE0EEENS0_14default_configENS1_37merge_sort_block_sort_config_selectorIllEENS1_38merge_sort_block_merge_config_selectorIllEEEEvv.num_agpr, 0
	.set _ZN7rocprim17ROCPRIM_400000_NS6detail44device_merge_sort_compile_time_verifier_archINS1_11comp_targetILNS1_3genE10ELNS1_11target_archE1201ELNS1_3gpuE5ELNS1_3repE0EEES8_NS1_28merge_sort_block_sort_configILj256ELj4ELNS0_20block_sort_algorithmE0EEENS0_14default_configENS1_37merge_sort_block_sort_config_selectorIllEENS1_38merge_sort_block_merge_config_selectorIllEEEEvv.numbered_sgpr, 0
	.set _ZN7rocprim17ROCPRIM_400000_NS6detail44device_merge_sort_compile_time_verifier_archINS1_11comp_targetILNS1_3genE10ELNS1_11target_archE1201ELNS1_3gpuE5ELNS1_3repE0EEES8_NS1_28merge_sort_block_sort_configILj256ELj4ELNS0_20block_sort_algorithmE0EEENS0_14default_configENS1_37merge_sort_block_sort_config_selectorIllEENS1_38merge_sort_block_merge_config_selectorIllEEEEvv.num_named_barrier, 0
	.set _ZN7rocprim17ROCPRIM_400000_NS6detail44device_merge_sort_compile_time_verifier_archINS1_11comp_targetILNS1_3genE10ELNS1_11target_archE1201ELNS1_3gpuE5ELNS1_3repE0EEES8_NS1_28merge_sort_block_sort_configILj256ELj4ELNS0_20block_sort_algorithmE0EEENS0_14default_configENS1_37merge_sort_block_sort_config_selectorIllEENS1_38merge_sort_block_merge_config_selectorIllEEEEvv.private_seg_size, 0
	.set _ZN7rocprim17ROCPRIM_400000_NS6detail44device_merge_sort_compile_time_verifier_archINS1_11comp_targetILNS1_3genE10ELNS1_11target_archE1201ELNS1_3gpuE5ELNS1_3repE0EEES8_NS1_28merge_sort_block_sort_configILj256ELj4ELNS0_20block_sort_algorithmE0EEENS0_14default_configENS1_37merge_sort_block_sort_config_selectorIllEENS1_38merge_sort_block_merge_config_selectorIllEEEEvv.uses_vcc, 0
	.set _ZN7rocprim17ROCPRIM_400000_NS6detail44device_merge_sort_compile_time_verifier_archINS1_11comp_targetILNS1_3genE10ELNS1_11target_archE1201ELNS1_3gpuE5ELNS1_3repE0EEES8_NS1_28merge_sort_block_sort_configILj256ELj4ELNS0_20block_sort_algorithmE0EEENS0_14default_configENS1_37merge_sort_block_sort_config_selectorIllEENS1_38merge_sort_block_merge_config_selectorIllEEEEvv.uses_flat_scratch, 0
	.set _ZN7rocprim17ROCPRIM_400000_NS6detail44device_merge_sort_compile_time_verifier_archINS1_11comp_targetILNS1_3genE10ELNS1_11target_archE1201ELNS1_3gpuE5ELNS1_3repE0EEES8_NS1_28merge_sort_block_sort_configILj256ELj4ELNS0_20block_sort_algorithmE0EEENS0_14default_configENS1_37merge_sort_block_sort_config_selectorIllEENS1_38merge_sort_block_merge_config_selectorIllEEEEvv.has_dyn_sized_stack, 0
	.set _ZN7rocprim17ROCPRIM_400000_NS6detail44device_merge_sort_compile_time_verifier_archINS1_11comp_targetILNS1_3genE10ELNS1_11target_archE1201ELNS1_3gpuE5ELNS1_3repE0EEES8_NS1_28merge_sort_block_sort_configILj256ELj4ELNS0_20block_sort_algorithmE0EEENS0_14default_configENS1_37merge_sort_block_sort_config_selectorIllEENS1_38merge_sort_block_merge_config_selectorIllEEEEvv.has_recursion, 0
	.set _ZN7rocprim17ROCPRIM_400000_NS6detail44device_merge_sort_compile_time_verifier_archINS1_11comp_targetILNS1_3genE10ELNS1_11target_archE1201ELNS1_3gpuE5ELNS1_3repE0EEES8_NS1_28merge_sort_block_sort_configILj256ELj4ELNS0_20block_sort_algorithmE0EEENS0_14default_configENS1_37merge_sort_block_sort_config_selectorIllEENS1_38merge_sort_block_merge_config_selectorIllEEEEvv.has_indirect_call, 0
	.section	.AMDGPU.csdata,"",@progbits
; Kernel info:
; codeLenInByte = 4
; TotalNumSgprs: 4
; NumVgprs: 0
; ScratchSize: 0
; MemoryBound: 0
; FloatMode: 240
; IeeeMode: 1
; LDSByteSize: 0 bytes/workgroup (compile time only)
; SGPRBlocks: 0
; VGPRBlocks: 0
; NumSGPRsForWavesPerEU: 4
; NumVGPRsForWavesPerEU: 1
; Occupancy: 10
; WaveLimiterHint : 0
; COMPUTE_PGM_RSRC2:SCRATCH_EN: 0
; COMPUTE_PGM_RSRC2:USER_SGPR: 4
; COMPUTE_PGM_RSRC2:TRAP_HANDLER: 0
; COMPUTE_PGM_RSRC2:TGID_X_EN: 1
; COMPUTE_PGM_RSRC2:TGID_Y_EN: 0
; COMPUTE_PGM_RSRC2:TGID_Z_EN: 0
; COMPUTE_PGM_RSRC2:TIDIG_COMP_CNT: 0
	.section	.text._ZN7rocprim17ROCPRIM_400000_NS6detail44device_merge_sort_compile_time_verifier_archINS1_11comp_targetILNS1_3genE10ELNS1_11target_archE1200ELNS1_3gpuE4ELNS1_3repE0EEENS3_ILS4_10ELS5_1201ELS6_5ELS7_0EEENS1_28merge_sort_block_sort_configILj256ELj4ELNS0_20block_sort_algorithmE0EEENS0_14default_configENS1_37merge_sort_block_sort_config_selectorIllEENS1_38merge_sort_block_merge_config_selectorIllEEEEvv,"axG",@progbits,_ZN7rocprim17ROCPRIM_400000_NS6detail44device_merge_sort_compile_time_verifier_archINS1_11comp_targetILNS1_3genE10ELNS1_11target_archE1200ELNS1_3gpuE4ELNS1_3repE0EEENS3_ILS4_10ELS5_1201ELS6_5ELS7_0EEENS1_28merge_sort_block_sort_configILj256ELj4ELNS0_20block_sort_algorithmE0EEENS0_14default_configENS1_37merge_sort_block_sort_config_selectorIllEENS1_38merge_sort_block_merge_config_selectorIllEEEEvv,comdat
	.protected	_ZN7rocprim17ROCPRIM_400000_NS6detail44device_merge_sort_compile_time_verifier_archINS1_11comp_targetILNS1_3genE10ELNS1_11target_archE1200ELNS1_3gpuE4ELNS1_3repE0EEENS3_ILS4_10ELS5_1201ELS6_5ELS7_0EEENS1_28merge_sort_block_sort_configILj256ELj4ELNS0_20block_sort_algorithmE0EEENS0_14default_configENS1_37merge_sort_block_sort_config_selectorIllEENS1_38merge_sort_block_merge_config_selectorIllEEEEvv ; -- Begin function _ZN7rocprim17ROCPRIM_400000_NS6detail44device_merge_sort_compile_time_verifier_archINS1_11comp_targetILNS1_3genE10ELNS1_11target_archE1200ELNS1_3gpuE4ELNS1_3repE0EEENS3_ILS4_10ELS5_1201ELS6_5ELS7_0EEENS1_28merge_sort_block_sort_configILj256ELj4ELNS0_20block_sort_algorithmE0EEENS0_14default_configENS1_37merge_sort_block_sort_config_selectorIllEENS1_38merge_sort_block_merge_config_selectorIllEEEEvv
	.globl	_ZN7rocprim17ROCPRIM_400000_NS6detail44device_merge_sort_compile_time_verifier_archINS1_11comp_targetILNS1_3genE10ELNS1_11target_archE1200ELNS1_3gpuE4ELNS1_3repE0EEENS3_ILS4_10ELS5_1201ELS6_5ELS7_0EEENS1_28merge_sort_block_sort_configILj256ELj4ELNS0_20block_sort_algorithmE0EEENS0_14default_configENS1_37merge_sort_block_sort_config_selectorIllEENS1_38merge_sort_block_merge_config_selectorIllEEEEvv
	.p2align	8
	.type	_ZN7rocprim17ROCPRIM_400000_NS6detail44device_merge_sort_compile_time_verifier_archINS1_11comp_targetILNS1_3genE10ELNS1_11target_archE1200ELNS1_3gpuE4ELNS1_3repE0EEENS3_ILS4_10ELS5_1201ELS6_5ELS7_0EEENS1_28merge_sort_block_sort_configILj256ELj4ELNS0_20block_sort_algorithmE0EEENS0_14default_configENS1_37merge_sort_block_sort_config_selectorIllEENS1_38merge_sort_block_merge_config_selectorIllEEEEvv,@function
_ZN7rocprim17ROCPRIM_400000_NS6detail44device_merge_sort_compile_time_verifier_archINS1_11comp_targetILNS1_3genE10ELNS1_11target_archE1200ELNS1_3gpuE4ELNS1_3repE0EEENS3_ILS4_10ELS5_1201ELS6_5ELS7_0EEENS1_28merge_sort_block_sort_configILj256ELj4ELNS0_20block_sort_algorithmE0EEENS0_14default_configENS1_37merge_sort_block_sort_config_selectorIllEENS1_38merge_sort_block_merge_config_selectorIllEEEEvv: ; @_ZN7rocprim17ROCPRIM_400000_NS6detail44device_merge_sort_compile_time_verifier_archINS1_11comp_targetILNS1_3genE10ELNS1_11target_archE1200ELNS1_3gpuE4ELNS1_3repE0EEENS3_ILS4_10ELS5_1201ELS6_5ELS7_0EEENS1_28merge_sort_block_sort_configILj256ELj4ELNS0_20block_sort_algorithmE0EEENS0_14default_configENS1_37merge_sort_block_sort_config_selectorIllEENS1_38merge_sort_block_merge_config_selectorIllEEEEvv
; %bb.0:
	s_endpgm
	.section	.rodata,"a",@progbits
	.p2align	6, 0x0
	.amdhsa_kernel _ZN7rocprim17ROCPRIM_400000_NS6detail44device_merge_sort_compile_time_verifier_archINS1_11comp_targetILNS1_3genE10ELNS1_11target_archE1200ELNS1_3gpuE4ELNS1_3repE0EEENS3_ILS4_10ELS5_1201ELS6_5ELS7_0EEENS1_28merge_sort_block_sort_configILj256ELj4ELNS0_20block_sort_algorithmE0EEENS0_14default_configENS1_37merge_sort_block_sort_config_selectorIllEENS1_38merge_sort_block_merge_config_selectorIllEEEEvv
		.amdhsa_group_segment_fixed_size 0
		.amdhsa_private_segment_fixed_size 0
		.amdhsa_kernarg_size 0
		.amdhsa_user_sgpr_count 4
		.amdhsa_user_sgpr_private_segment_buffer 1
		.amdhsa_user_sgpr_dispatch_ptr 0
		.amdhsa_user_sgpr_queue_ptr 0
		.amdhsa_user_sgpr_kernarg_segment_ptr 0
		.amdhsa_user_sgpr_dispatch_id 0
		.amdhsa_user_sgpr_flat_scratch_init 0
		.amdhsa_user_sgpr_private_segment_size 0
		.amdhsa_uses_dynamic_stack 0
		.amdhsa_system_sgpr_private_segment_wavefront_offset 0
		.amdhsa_system_sgpr_workgroup_id_x 1
		.amdhsa_system_sgpr_workgroup_id_y 0
		.amdhsa_system_sgpr_workgroup_id_z 0
		.amdhsa_system_sgpr_workgroup_info 0
		.amdhsa_system_vgpr_workitem_id 0
		.amdhsa_next_free_vgpr 1
		.amdhsa_next_free_sgpr 0
		.amdhsa_reserve_vcc 0
		.amdhsa_reserve_flat_scratch 0
		.amdhsa_float_round_mode_32 0
		.amdhsa_float_round_mode_16_64 0
		.amdhsa_float_denorm_mode_32 3
		.amdhsa_float_denorm_mode_16_64 3
		.amdhsa_dx10_clamp 1
		.amdhsa_ieee_mode 1
		.amdhsa_fp16_overflow 0
		.amdhsa_exception_fp_ieee_invalid_op 0
		.amdhsa_exception_fp_denorm_src 0
		.amdhsa_exception_fp_ieee_div_zero 0
		.amdhsa_exception_fp_ieee_overflow 0
		.amdhsa_exception_fp_ieee_underflow 0
		.amdhsa_exception_fp_ieee_inexact 0
		.amdhsa_exception_int_div_zero 0
	.end_amdhsa_kernel
	.section	.text._ZN7rocprim17ROCPRIM_400000_NS6detail44device_merge_sort_compile_time_verifier_archINS1_11comp_targetILNS1_3genE10ELNS1_11target_archE1200ELNS1_3gpuE4ELNS1_3repE0EEENS3_ILS4_10ELS5_1201ELS6_5ELS7_0EEENS1_28merge_sort_block_sort_configILj256ELj4ELNS0_20block_sort_algorithmE0EEENS0_14default_configENS1_37merge_sort_block_sort_config_selectorIllEENS1_38merge_sort_block_merge_config_selectorIllEEEEvv,"axG",@progbits,_ZN7rocprim17ROCPRIM_400000_NS6detail44device_merge_sort_compile_time_verifier_archINS1_11comp_targetILNS1_3genE10ELNS1_11target_archE1200ELNS1_3gpuE4ELNS1_3repE0EEENS3_ILS4_10ELS5_1201ELS6_5ELS7_0EEENS1_28merge_sort_block_sort_configILj256ELj4ELNS0_20block_sort_algorithmE0EEENS0_14default_configENS1_37merge_sort_block_sort_config_selectorIllEENS1_38merge_sort_block_merge_config_selectorIllEEEEvv,comdat
.Lfunc_end1007:
	.size	_ZN7rocprim17ROCPRIM_400000_NS6detail44device_merge_sort_compile_time_verifier_archINS1_11comp_targetILNS1_3genE10ELNS1_11target_archE1200ELNS1_3gpuE4ELNS1_3repE0EEENS3_ILS4_10ELS5_1201ELS6_5ELS7_0EEENS1_28merge_sort_block_sort_configILj256ELj4ELNS0_20block_sort_algorithmE0EEENS0_14default_configENS1_37merge_sort_block_sort_config_selectorIllEENS1_38merge_sort_block_merge_config_selectorIllEEEEvv, .Lfunc_end1007-_ZN7rocprim17ROCPRIM_400000_NS6detail44device_merge_sort_compile_time_verifier_archINS1_11comp_targetILNS1_3genE10ELNS1_11target_archE1200ELNS1_3gpuE4ELNS1_3repE0EEENS3_ILS4_10ELS5_1201ELS6_5ELS7_0EEENS1_28merge_sort_block_sort_configILj256ELj4ELNS0_20block_sort_algorithmE0EEENS0_14default_configENS1_37merge_sort_block_sort_config_selectorIllEENS1_38merge_sort_block_merge_config_selectorIllEEEEvv
                                        ; -- End function
	.set _ZN7rocprim17ROCPRIM_400000_NS6detail44device_merge_sort_compile_time_verifier_archINS1_11comp_targetILNS1_3genE10ELNS1_11target_archE1200ELNS1_3gpuE4ELNS1_3repE0EEENS3_ILS4_10ELS5_1201ELS6_5ELS7_0EEENS1_28merge_sort_block_sort_configILj256ELj4ELNS0_20block_sort_algorithmE0EEENS0_14default_configENS1_37merge_sort_block_sort_config_selectorIllEENS1_38merge_sort_block_merge_config_selectorIllEEEEvv.num_vgpr, 0
	.set _ZN7rocprim17ROCPRIM_400000_NS6detail44device_merge_sort_compile_time_verifier_archINS1_11comp_targetILNS1_3genE10ELNS1_11target_archE1200ELNS1_3gpuE4ELNS1_3repE0EEENS3_ILS4_10ELS5_1201ELS6_5ELS7_0EEENS1_28merge_sort_block_sort_configILj256ELj4ELNS0_20block_sort_algorithmE0EEENS0_14default_configENS1_37merge_sort_block_sort_config_selectorIllEENS1_38merge_sort_block_merge_config_selectorIllEEEEvv.num_agpr, 0
	.set _ZN7rocprim17ROCPRIM_400000_NS6detail44device_merge_sort_compile_time_verifier_archINS1_11comp_targetILNS1_3genE10ELNS1_11target_archE1200ELNS1_3gpuE4ELNS1_3repE0EEENS3_ILS4_10ELS5_1201ELS6_5ELS7_0EEENS1_28merge_sort_block_sort_configILj256ELj4ELNS0_20block_sort_algorithmE0EEENS0_14default_configENS1_37merge_sort_block_sort_config_selectorIllEENS1_38merge_sort_block_merge_config_selectorIllEEEEvv.numbered_sgpr, 0
	.set _ZN7rocprim17ROCPRIM_400000_NS6detail44device_merge_sort_compile_time_verifier_archINS1_11comp_targetILNS1_3genE10ELNS1_11target_archE1200ELNS1_3gpuE4ELNS1_3repE0EEENS3_ILS4_10ELS5_1201ELS6_5ELS7_0EEENS1_28merge_sort_block_sort_configILj256ELj4ELNS0_20block_sort_algorithmE0EEENS0_14default_configENS1_37merge_sort_block_sort_config_selectorIllEENS1_38merge_sort_block_merge_config_selectorIllEEEEvv.num_named_barrier, 0
	.set _ZN7rocprim17ROCPRIM_400000_NS6detail44device_merge_sort_compile_time_verifier_archINS1_11comp_targetILNS1_3genE10ELNS1_11target_archE1200ELNS1_3gpuE4ELNS1_3repE0EEENS3_ILS4_10ELS5_1201ELS6_5ELS7_0EEENS1_28merge_sort_block_sort_configILj256ELj4ELNS0_20block_sort_algorithmE0EEENS0_14default_configENS1_37merge_sort_block_sort_config_selectorIllEENS1_38merge_sort_block_merge_config_selectorIllEEEEvv.private_seg_size, 0
	.set _ZN7rocprim17ROCPRIM_400000_NS6detail44device_merge_sort_compile_time_verifier_archINS1_11comp_targetILNS1_3genE10ELNS1_11target_archE1200ELNS1_3gpuE4ELNS1_3repE0EEENS3_ILS4_10ELS5_1201ELS6_5ELS7_0EEENS1_28merge_sort_block_sort_configILj256ELj4ELNS0_20block_sort_algorithmE0EEENS0_14default_configENS1_37merge_sort_block_sort_config_selectorIllEENS1_38merge_sort_block_merge_config_selectorIllEEEEvv.uses_vcc, 0
	.set _ZN7rocprim17ROCPRIM_400000_NS6detail44device_merge_sort_compile_time_verifier_archINS1_11comp_targetILNS1_3genE10ELNS1_11target_archE1200ELNS1_3gpuE4ELNS1_3repE0EEENS3_ILS4_10ELS5_1201ELS6_5ELS7_0EEENS1_28merge_sort_block_sort_configILj256ELj4ELNS0_20block_sort_algorithmE0EEENS0_14default_configENS1_37merge_sort_block_sort_config_selectorIllEENS1_38merge_sort_block_merge_config_selectorIllEEEEvv.uses_flat_scratch, 0
	.set _ZN7rocprim17ROCPRIM_400000_NS6detail44device_merge_sort_compile_time_verifier_archINS1_11comp_targetILNS1_3genE10ELNS1_11target_archE1200ELNS1_3gpuE4ELNS1_3repE0EEENS3_ILS4_10ELS5_1201ELS6_5ELS7_0EEENS1_28merge_sort_block_sort_configILj256ELj4ELNS0_20block_sort_algorithmE0EEENS0_14default_configENS1_37merge_sort_block_sort_config_selectorIllEENS1_38merge_sort_block_merge_config_selectorIllEEEEvv.has_dyn_sized_stack, 0
	.set _ZN7rocprim17ROCPRIM_400000_NS6detail44device_merge_sort_compile_time_verifier_archINS1_11comp_targetILNS1_3genE10ELNS1_11target_archE1200ELNS1_3gpuE4ELNS1_3repE0EEENS3_ILS4_10ELS5_1201ELS6_5ELS7_0EEENS1_28merge_sort_block_sort_configILj256ELj4ELNS0_20block_sort_algorithmE0EEENS0_14default_configENS1_37merge_sort_block_sort_config_selectorIllEENS1_38merge_sort_block_merge_config_selectorIllEEEEvv.has_recursion, 0
	.set _ZN7rocprim17ROCPRIM_400000_NS6detail44device_merge_sort_compile_time_verifier_archINS1_11comp_targetILNS1_3genE10ELNS1_11target_archE1200ELNS1_3gpuE4ELNS1_3repE0EEENS3_ILS4_10ELS5_1201ELS6_5ELS7_0EEENS1_28merge_sort_block_sort_configILj256ELj4ELNS0_20block_sort_algorithmE0EEENS0_14default_configENS1_37merge_sort_block_sort_config_selectorIllEENS1_38merge_sort_block_merge_config_selectorIllEEEEvv.has_indirect_call, 0
	.section	.AMDGPU.csdata,"",@progbits
; Kernel info:
; codeLenInByte = 4
; TotalNumSgprs: 4
; NumVgprs: 0
; ScratchSize: 0
; MemoryBound: 0
; FloatMode: 240
; IeeeMode: 1
; LDSByteSize: 0 bytes/workgroup (compile time only)
; SGPRBlocks: 0
; VGPRBlocks: 0
; NumSGPRsForWavesPerEU: 4
; NumVGPRsForWavesPerEU: 1
; Occupancy: 10
; WaveLimiterHint : 0
; COMPUTE_PGM_RSRC2:SCRATCH_EN: 0
; COMPUTE_PGM_RSRC2:USER_SGPR: 4
; COMPUTE_PGM_RSRC2:TRAP_HANDLER: 0
; COMPUTE_PGM_RSRC2:TGID_X_EN: 1
; COMPUTE_PGM_RSRC2:TGID_Y_EN: 0
; COMPUTE_PGM_RSRC2:TGID_Z_EN: 0
; COMPUTE_PGM_RSRC2:TIDIG_COMP_CNT: 0
	.section	.text._ZN7rocprim17ROCPRIM_400000_NS6detail44device_merge_sort_compile_time_verifier_archINS1_11comp_targetILNS1_3genE9ELNS1_11target_archE1100ELNS1_3gpuE3ELNS1_3repE0EEES8_NS1_28merge_sort_block_sort_configILj256ELj4ELNS0_20block_sort_algorithmE0EEENS0_14default_configENS1_37merge_sort_block_sort_config_selectorIllEENS1_38merge_sort_block_merge_config_selectorIllEEEEvv,"axG",@progbits,_ZN7rocprim17ROCPRIM_400000_NS6detail44device_merge_sort_compile_time_verifier_archINS1_11comp_targetILNS1_3genE9ELNS1_11target_archE1100ELNS1_3gpuE3ELNS1_3repE0EEES8_NS1_28merge_sort_block_sort_configILj256ELj4ELNS0_20block_sort_algorithmE0EEENS0_14default_configENS1_37merge_sort_block_sort_config_selectorIllEENS1_38merge_sort_block_merge_config_selectorIllEEEEvv,comdat
	.protected	_ZN7rocprim17ROCPRIM_400000_NS6detail44device_merge_sort_compile_time_verifier_archINS1_11comp_targetILNS1_3genE9ELNS1_11target_archE1100ELNS1_3gpuE3ELNS1_3repE0EEES8_NS1_28merge_sort_block_sort_configILj256ELj4ELNS0_20block_sort_algorithmE0EEENS0_14default_configENS1_37merge_sort_block_sort_config_selectorIllEENS1_38merge_sort_block_merge_config_selectorIllEEEEvv ; -- Begin function _ZN7rocprim17ROCPRIM_400000_NS6detail44device_merge_sort_compile_time_verifier_archINS1_11comp_targetILNS1_3genE9ELNS1_11target_archE1100ELNS1_3gpuE3ELNS1_3repE0EEES8_NS1_28merge_sort_block_sort_configILj256ELj4ELNS0_20block_sort_algorithmE0EEENS0_14default_configENS1_37merge_sort_block_sort_config_selectorIllEENS1_38merge_sort_block_merge_config_selectorIllEEEEvv
	.globl	_ZN7rocprim17ROCPRIM_400000_NS6detail44device_merge_sort_compile_time_verifier_archINS1_11comp_targetILNS1_3genE9ELNS1_11target_archE1100ELNS1_3gpuE3ELNS1_3repE0EEES8_NS1_28merge_sort_block_sort_configILj256ELj4ELNS0_20block_sort_algorithmE0EEENS0_14default_configENS1_37merge_sort_block_sort_config_selectorIllEENS1_38merge_sort_block_merge_config_selectorIllEEEEvv
	.p2align	8
	.type	_ZN7rocprim17ROCPRIM_400000_NS6detail44device_merge_sort_compile_time_verifier_archINS1_11comp_targetILNS1_3genE9ELNS1_11target_archE1100ELNS1_3gpuE3ELNS1_3repE0EEES8_NS1_28merge_sort_block_sort_configILj256ELj4ELNS0_20block_sort_algorithmE0EEENS0_14default_configENS1_37merge_sort_block_sort_config_selectorIllEENS1_38merge_sort_block_merge_config_selectorIllEEEEvv,@function
_ZN7rocprim17ROCPRIM_400000_NS6detail44device_merge_sort_compile_time_verifier_archINS1_11comp_targetILNS1_3genE9ELNS1_11target_archE1100ELNS1_3gpuE3ELNS1_3repE0EEES8_NS1_28merge_sort_block_sort_configILj256ELj4ELNS0_20block_sort_algorithmE0EEENS0_14default_configENS1_37merge_sort_block_sort_config_selectorIllEENS1_38merge_sort_block_merge_config_selectorIllEEEEvv: ; @_ZN7rocprim17ROCPRIM_400000_NS6detail44device_merge_sort_compile_time_verifier_archINS1_11comp_targetILNS1_3genE9ELNS1_11target_archE1100ELNS1_3gpuE3ELNS1_3repE0EEES8_NS1_28merge_sort_block_sort_configILj256ELj4ELNS0_20block_sort_algorithmE0EEENS0_14default_configENS1_37merge_sort_block_sort_config_selectorIllEENS1_38merge_sort_block_merge_config_selectorIllEEEEvv
; %bb.0:
	s_endpgm
	.section	.rodata,"a",@progbits
	.p2align	6, 0x0
	.amdhsa_kernel _ZN7rocprim17ROCPRIM_400000_NS6detail44device_merge_sort_compile_time_verifier_archINS1_11comp_targetILNS1_3genE9ELNS1_11target_archE1100ELNS1_3gpuE3ELNS1_3repE0EEES8_NS1_28merge_sort_block_sort_configILj256ELj4ELNS0_20block_sort_algorithmE0EEENS0_14default_configENS1_37merge_sort_block_sort_config_selectorIllEENS1_38merge_sort_block_merge_config_selectorIllEEEEvv
		.amdhsa_group_segment_fixed_size 0
		.amdhsa_private_segment_fixed_size 0
		.amdhsa_kernarg_size 0
		.amdhsa_user_sgpr_count 4
		.amdhsa_user_sgpr_private_segment_buffer 1
		.amdhsa_user_sgpr_dispatch_ptr 0
		.amdhsa_user_sgpr_queue_ptr 0
		.amdhsa_user_sgpr_kernarg_segment_ptr 0
		.amdhsa_user_sgpr_dispatch_id 0
		.amdhsa_user_sgpr_flat_scratch_init 0
		.amdhsa_user_sgpr_private_segment_size 0
		.amdhsa_uses_dynamic_stack 0
		.amdhsa_system_sgpr_private_segment_wavefront_offset 0
		.amdhsa_system_sgpr_workgroup_id_x 1
		.amdhsa_system_sgpr_workgroup_id_y 0
		.amdhsa_system_sgpr_workgroup_id_z 0
		.amdhsa_system_sgpr_workgroup_info 0
		.amdhsa_system_vgpr_workitem_id 0
		.amdhsa_next_free_vgpr 1
		.amdhsa_next_free_sgpr 0
		.amdhsa_reserve_vcc 0
		.amdhsa_reserve_flat_scratch 0
		.amdhsa_float_round_mode_32 0
		.amdhsa_float_round_mode_16_64 0
		.amdhsa_float_denorm_mode_32 3
		.amdhsa_float_denorm_mode_16_64 3
		.amdhsa_dx10_clamp 1
		.amdhsa_ieee_mode 1
		.amdhsa_fp16_overflow 0
		.amdhsa_exception_fp_ieee_invalid_op 0
		.amdhsa_exception_fp_denorm_src 0
		.amdhsa_exception_fp_ieee_div_zero 0
		.amdhsa_exception_fp_ieee_overflow 0
		.amdhsa_exception_fp_ieee_underflow 0
		.amdhsa_exception_fp_ieee_inexact 0
		.amdhsa_exception_int_div_zero 0
	.end_amdhsa_kernel
	.section	.text._ZN7rocprim17ROCPRIM_400000_NS6detail44device_merge_sort_compile_time_verifier_archINS1_11comp_targetILNS1_3genE9ELNS1_11target_archE1100ELNS1_3gpuE3ELNS1_3repE0EEES8_NS1_28merge_sort_block_sort_configILj256ELj4ELNS0_20block_sort_algorithmE0EEENS0_14default_configENS1_37merge_sort_block_sort_config_selectorIllEENS1_38merge_sort_block_merge_config_selectorIllEEEEvv,"axG",@progbits,_ZN7rocprim17ROCPRIM_400000_NS6detail44device_merge_sort_compile_time_verifier_archINS1_11comp_targetILNS1_3genE9ELNS1_11target_archE1100ELNS1_3gpuE3ELNS1_3repE0EEES8_NS1_28merge_sort_block_sort_configILj256ELj4ELNS0_20block_sort_algorithmE0EEENS0_14default_configENS1_37merge_sort_block_sort_config_selectorIllEENS1_38merge_sort_block_merge_config_selectorIllEEEEvv,comdat
.Lfunc_end1008:
	.size	_ZN7rocprim17ROCPRIM_400000_NS6detail44device_merge_sort_compile_time_verifier_archINS1_11comp_targetILNS1_3genE9ELNS1_11target_archE1100ELNS1_3gpuE3ELNS1_3repE0EEES8_NS1_28merge_sort_block_sort_configILj256ELj4ELNS0_20block_sort_algorithmE0EEENS0_14default_configENS1_37merge_sort_block_sort_config_selectorIllEENS1_38merge_sort_block_merge_config_selectorIllEEEEvv, .Lfunc_end1008-_ZN7rocprim17ROCPRIM_400000_NS6detail44device_merge_sort_compile_time_verifier_archINS1_11comp_targetILNS1_3genE9ELNS1_11target_archE1100ELNS1_3gpuE3ELNS1_3repE0EEES8_NS1_28merge_sort_block_sort_configILj256ELj4ELNS0_20block_sort_algorithmE0EEENS0_14default_configENS1_37merge_sort_block_sort_config_selectorIllEENS1_38merge_sort_block_merge_config_selectorIllEEEEvv
                                        ; -- End function
	.set _ZN7rocprim17ROCPRIM_400000_NS6detail44device_merge_sort_compile_time_verifier_archINS1_11comp_targetILNS1_3genE9ELNS1_11target_archE1100ELNS1_3gpuE3ELNS1_3repE0EEES8_NS1_28merge_sort_block_sort_configILj256ELj4ELNS0_20block_sort_algorithmE0EEENS0_14default_configENS1_37merge_sort_block_sort_config_selectorIllEENS1_38merge_sort_block_merge_config_selectorIllEEEEvv.num_vgpr, 0
	.set _ZN7rocprim17ROCPRIM_400000_NS6detail44device_merge_sort_compile_time_verifier_archINS1_11comp_targetILNS1_3genE9ELNS1_11target_archE1100ELNS1_3gpuE3ELNS1_3repE0EEES8_NS1_28merge_sort_block_sort_configILj256ELj4ELNS0_20block_sort_algorithmE0EEENS0_14default_configENS1_37merge_sort_block_sort_config_selectorIllEENS1_38merge_sort_block_merge_config_selectorIllEEEEvv.num_agpr, 0
	.set _ZN7rocprim17ROCPRIM_400000_NS6detail44device_merge_sort_compile_time_verifier_archINS1_11comp_targetILNS1_3genE9ELNS1_11target_archE1100ELNS1_3gpuE3ELNS1_3repE0EEES8_NS1_28merge_sort_block_sort_configILj256ELj4ELNS0_20block_sort_algorithmE0EEENS0_14default_configENS1_37merge_sort_block_sort_config_selectorIllEENS1_38merge_sort_block_merge_config_selectorIllEEEEvv.numbered_sgpr, 0
	.set _ZN7rocprim17ROCPRIM_400000_NS6detail44device_merge_sort_compile_time_verifier_archINS1_11comp_targetILNS1_3genE9ELNS1_11target_archE1100ELNS1_3gpuE3ELNS1_3repE0EEES8_NS1_28merge_sort_block_sort_configILj256ELj4ELNS0_20block_sort_algorithmE0EEENS0_14default_configENS1_37merge_sort_block_sort_config_selectorIllEENS1_38merge_sort_block_merge_config_selectorIllEEEEvv.num_named_barrier, 0
	.set _ZN7rocprim17ROCPRIM_400000_NS6detail44device_merge_sort_compile_time_verifier_archINS1_11comp_targetILNS1_3genE9ELNS1_11target_archE1100ELNS1_3gpuE3ELNS1_3repE0EEES8_NS1_28merge_sort_block_sort_configILj256ELj4ELNS0_20block_sort_algorithmE0EEENS0_14default_configENS1_37merge_sort_block_sort_config_selectorIllEENS1_38merge_sort_block_merge_config_selectorIllEEEEvv.private_seg_size, 0
	.set _ZN7rocprim17ROCPRIM_400000_NS6detail44device_merge_sort_compile_time_verifier_archINS1_11comp_targetILNS1_3genE9ELNS1_11target_archE1100ELNS1_3gpuE3ELNS1_3repE0EEES8_NS1_28merge_sort_block_sort_configILj256ELj4ELNS0_20block_sort_algorithmE0EEENS0_14default_configENS1_37merge_sort_block_sort_config_selectorIllEENS1_38merge_sort_block_merge_config_selectorIllEEEEvv.uses_vcc, 0
	.set _ZN7rocprim17ROCPRIM_400000_NS6detail44device_merge_sort_compile_time_verifier_archINS1_11comp_targetILNS1_3genE9ELNS1_11target_archE1100ELNS1_3gpuE3ELNS1_3repE0EEES8_NS1_28merge_sort_block_sort_configILj256ELj4ELNS0_20block_sort_algorithmE0EEENS0_14default_configENS1_37merge_sort_block_sort_config_selectorIllEENS1_38merge_sort_block_merge_config_selectorIllEEEEvv.uses_flat_scratch, 0
	.set _ZN7rocprim17ROCPRIM_400000_NS6detail44device_merge_sort_compile_time_verifier_archINS1_11comp_targetILNS1_3genE9ELNS1_11target_archE1100ELNS1_3gpuE3ELNS1_3repE0EEES8_NS1_28merge_sort_block_sort_configILj256ELj4ELNS0_20block_sort_algorithmE0EEENS0_14default_configENS1_37merge_sort_block_sort_config_selectorIllEENS1_38merge_sort_block_merge_config_selectorIllEEEEvv.has_dyn_sized_stack, 0
	.set _ZN7rocprim17ROCPRIM_400000_NS6detail44device_merge_sort_compile_time_verifier_archINS1_11comp_targetILNS1_3genE9ELNS1_11target_archE1100ELNS1_3gpuE3ELNS1_3repE0EEES8_NS1_28merge_sort_block_sort_configILj256ELj4ELNS0_20block_sort_algorithmE0EEENS0_14default_configENS1_37merge_sort_block_sort_config_selectorIllEENS1_38merge_sort_block_merge_config_selectorIllEEEEvv.has_recursion, 0
	.set _ZN7rocprim17ROCPRIM_400000_NS6detail44device_merge_sort_compile_time_verifier_archINS1_11comp_targetILNS1_3genE9ELNS1_11target_archE1100ELNS1_3gpuE3ELNS1_3repE0EEES8_NS1_28merge_sort_block_sort_configILj256ELj4ELNS0_20block_sort_algorithmE0EEENS0_14default_configENS1_37merge_sort_block_sort_config_selectorIllEENS1_38merge_sort_block_merge_config_selectorIllEEEEvv.has_indirect_call, 0
	.section	.AMDGPU.csdata,"",@progbits
; Kernel info:
; codeLenInByte = 4
; TotalNumSgprs: 4
; NumVgprs: 0
; ScratchSize: 0
; MemoryBound: 0
; FloatMode: 240
; IeeeMode: 1
; LDSByteSize: 0 bytes/workgroup (compile time only)
; SGPRBlocks: 0
; VGPRBlocks: 0
; NumSGPRsForWavesPerEU: 4
; NumVGPRsForWavesPerEU: 1
; Occupancy: 10
; WaveLimiterHint : 0
; COMPUTE_PGM_RSRC2:SCRATCH_EN: 0
; COMPUTE_PGM_RSRC2:USER_SGPR: 4
; COMPUTE_PGM_RSRC2:TRAP_HANDLER: 0
; COMPUTE_PGM_RSRC2:TGID_X_EN: 1
; COMPUTE_PGM_RSRC2:TGID_Y_EN: 0
; COMPUTE_PGM_RSRC2:TGID_Z_EN: 0
; COMPUTE_PGM_RSRC2:TIDIG_COMP_CNT: 0
	.section	.text._ZN7rocprim17ROCPRIM_400000_NS6detail44device_merge_sort_compile_time_verifier_archINS1_11comp_targetILNS1_3genE8ELNS1_11target_archE1030ELNS1_3gpuE2ELNS1_3repE0EEES8_NS1_28merge_sort_block_sort_configILj256ELj4ELNS0_20block_sort_algorithmE0EEENS0_14default_configENS1_37merge_sort_block_sort_config_selectorIllEENS1_38merge_sort_block_merge_config_selectorIllEEEEvv,"axG",@progbits,_ZN7rocprim17ROCPRIM_400000_NS6detail44device_merge_sort_compile_time_verifier_archINS1_11comp_targetILNS1_3genE8ELNS1_11target_archE1030ELNS1_3gpuE2ELNS1_3repE0EEES8_NS1_28merge_sort_block_sort_configILj256ELj4ELNS0_20block_sort_algorithmE0EEENS0_14default_configENS1_37merge_sort_block_sort_config_selectorIllEENS1_38merge_sort_block_merge_config_selectorIllEEEEvv,comdat
	.protected	_ZN7rocprim17ROCPRIM_400000_NS6detail44device_merge_sort_compile_time_verifier_archINS1_11comp_targetILNS1_3genE8ELNS1_11target_archE1030ELNS1_3gpuE2ELNS1_3repE0EEES8_NS1_28merge_sort_block_sort_configILj256ELj4ELNS0_20block_sort_algorithmE0EEENS0_14default_configENS1_37merge_sort_block_sort_config_selectorIllEENS1_38merge_sort_block_merge_config_selectorIllEEEEvv ; -- Begin function _ZN7rocprim17ROCPRIM_400000_NS6detail44device_merge_sort_compile_time_verifier_archINS1_11comp_targetILNS1_3genE8ELNS1_11target_archE1030ELNS1_3gpuE2ELNS1_3repE0EEES8_NS1_28merge_sort_block_sort_configILj256ELj4ELNS0_20block_sort_algorithmE0EEENS0_14default_configENS1_37merge_sort_block_sort_config_selectorIllEENS1_38merge_sort_block_merge_config_selectorIllEEEEvv
	.globl	_ZN7rocprim17ROCPRIM_400000_NS6detail44device_merge_sort_compile_time_verifier_archINS1_11comp_targetILNS1_3genE8ELNS1_11target_archE1030ELNS1_3gpuE2ELNS1_3repE0EEES8_NS1_28merge_sort_block_sort_configILj256ELj4ELNS0_20block_sort_algorithmE0EEENS0_14default_configENS1_37merge_sort_block_sort_config_selectorIllEENS1_38merge_sort_block_merge_config_selectorIllEEEEvv
	.p2align	8
	.type	_ZN7rocprim17ROCPRIM_400000_NS6detail44device_merge_sort_compile_time_verifier_archINS1_11comp_targetILNS1_3genE8ELNS1_11target_archE1030ELNS1_3gpuE2ELNS1_3repE0EEES8_NS1_28merge_sort_block_sort_configILj256ELj4ELNS0_20block_sort_algorithmE0EEENS0_14default_configENS1_37merge_sort_block_sort_config_selectorIllEENS1_38merge_sort_block_merge_config_selectorIllEEEEvv,@function
_ZN7rocprim17ROCPRIM_400000_NS6detail44device_merge_sort_compile_time_verifier_archINS1_11comp_targetILNS1_3genE8ELNS1_11target_archE1030ELNS1_3gpuE2ELNS1_3repE0EEES8_NS1_28merge_sort_block_sort_configILj256ELj4ELNS0_20block_sort_algorithmE0EEENS0_14default_configENS1_37merge_sort_block_sort_config_selectorIllEENS1_38merge_sort_block_merge_config_selectorIllEEEEvv: ; @_ZN7rocprim17ROCPRIM_400000_NS6detail44device_merge_sort_compile_time_verifier_archINS1_11comp_targetILNS1_3genE8ELNS1_11target_archE1030ELNS1_3gpuE2ELNS1_3repE0EEES8_NS1_28merge_sort_block_sort_configILj256ELj4ELNS0_20block_sort_algorithmE0EEENS0_14default_configENS1_37merge_sort_block_sort_config_selectorIllEENS1_38merge_sort_block_merge_config_selectorIllEEEEvv
; %bb.0:
	s_endpgm
	.section	.rodata,"a",@progbits
	.p2align	6, 0x0
	.amdhsa_kernel _ZN7rocprim17ROCPRIM_400000_NS6detail44device_merge_sort_compile_time_verifier_archINS1_11comp_targetILNS1_3genE8ELNS1_11target_archE1030ELNS1_3gpuE2ELNS1_3repE0EEES8_NS1_28merge_sort_block_sort_configILj256ELj4ELNS0_20block_sort_algorithmE0EEENS0_14default_configENS1_37merge_sort_block_sort_config_selectorIllEENS1_38merge_sort_block_merge_config_selectorIllEEEEvv
		.amdhsa_group_segment_fixed_size 0
		.amdhsa_private_segment_fixed_size 0
		.amdhsa_kernarg_size 0
		.amdhsa_user_sgpr_count 4
		.amdhsa_user_sgpr_private_segment_buffer 1
		.amdhsa_user_sgpr_dispatch_ptr 0
		.amdhsa_user_sgpr_queue_ptr 0
		.amdhsa_user_sgpr_kernarg_segment_ptr 0
		.amdhsa_user_sgpr_dispatch_id 0
		.amdhsa_user_sgpr_flat_scratch_init 0
		.amdhsa_user_sgpr_private_segment_size 0
		.amdhsa_uses_dynamic_stack 0
		.amdhsa_system_sgpr_private_segment_wavefront_offset 0
		.amdhsa_system_sgpr_workgroup_id_x 1
		.amdhsa_system_sgpr_workgroup_id_y 0
		.amdhsa_system_sgpr_workgroup_id_z 0
		.amdhsa_system_sgpr_workgroup_info 0
		.amdhsa_system_vgpr_workitem_id 0
		.amdhsa_next_free_vgpr 1
		.amdhsa_next_free_sgpr 0
		.amdhsa_reserve_vcc 0
		.amdhsa_reserve_flat_scratch 0
		.amdhsa_float_round_mode_32 0
		.amdhsa_float_round_mode_16_64 0
		.amdhsa_float_denorm_mode_32 3
		.amdhsa_float_denorm_mode_16_64 3
		.amdhsa_dx10_clamp 1
		.amdhsa_ieee_mode 1
		.amdhsa_fp16_overflow 0
		.amdhsa_exception_fp_ieee_invalid_op 0
		.amdhsa_exception_fp_denorm_src 0
		.amdhsa_exception_fp_ieee_div_zero 0
		.amdhsa_exception_fp_ieee_overflow 0
		.amdhsa_exception_fp_ieee_underflow 0
		.amdhsa_exception_fp_ieee_inexact 0
		.amdhsa_exception_int_div_zero 0
	.end_amdhsa_kernel
	.section	.text._ZN7rocprim17ROCPRIM_400000_NS6detail44device_merge_sort_compile_time_verifier_archINS1_11comp_targetILNS1_3genE8ELNS1_11target_archE1030ELNS1_3gpuE2ELNS1_3repE0EEES8_NS1_28merge_sort_block_sort_configILj256ELj4ELNS0_20block_sort_algorithmE0EEENS0_14default_configENS1_37merge_sort_block_sort_config_selectorIllEENS1_38merge_sort_block_merge_config_selectorIllEEEEvv,"axG",@progbits,_ZN7rocprim17ROCPRIM_400000_NS6detail44device_merge_sort_compile_time_verifier_archINS1_11comp_targetILNS1_3genE8ELNS1_11target_archE1030ELNS1_3gpuE2ELNS1_3repE0EEES8_NS1_28merge_sort_block_sort_configILj256ELj4ELNS0_20block_sort_algorithmE0EEENS0_14default_configENS1_37merge_sort_block_sort_config_selectorIllEENS1_38merge_sort_block_merge_config_selectorIllEEEEvv,comdat
.Lfunc_end1009:
	.size	_ZN7rocprim17ROCPRIM_400000_NS6detail44device_merge_sort_compile_time_verifier_archINS1_11comp_targetILNS1_3genE8ELNS1_11target_archE1030ELNS1_3gpuE2ELNS1_3repE0EEES8_NS1_28merge_sort_block_sort_configILj256ELj4ELNS0_20block_sort_algorithmE0EEENS0_14default_configENS1_37merge_sort_block_sort_config_selectorIllEENS1_38merge_sort_block_merge_config_selectorIllEEEEvv, .Lfunc_end1009-_ZN7rocprim17ROCPRIM_400000_NS6detail44device_merge_sort_compile_time_verifier_archINS1_11comp_targetILNS1_3genE8ELNS1_11target_archE1030ELNS1_3gpuE2ELNS1_3repE0EEES8_NS1_28merge_sort_block_sort_configILj256ELj4ELNS0_20block_sort_algorithmE0EEENS0_14default_configENS1_37merge_sort_block_sort_config_selectorIllEENS1_38merge_sort_block_merge_config_selectorIllEEEEvv
                                        ; -- End function
	.set _ZN7rocprim17ROCPRIM_400000_NS6detail44device_merge_sort_compile_time_verifier_archINS1_11comp_targetILNS1_3genE8ELNS1_11target_archE1030ELNS1_3gpuE2ELNS1_3repE0EEES8_NS1_28merge_sort_block_sort_configILj256ELj4ELNS0_20block_sort_algorithmE0EEENS0_14default_configENS1_37merge_sort_block_sort_config_selectorIllEENS1_38merge_sort_block_merge_config_selectorIllEEEEvv.num_vgpr, 0
	.set _ZN7rocprim17ROCPRIM_400000_NS6detail44device_merge_sort_compile_time_verifier_archINS1_11comp_targetILNS1_3genE8ELNS1_11target_archE1030ELNS1_3gpuE2ELNS1_3repE0EEES8_NS1_28merge_sort_block_sort_configILj256ELj4ELNS0_20block_sort_algorithmE0EEENS0_14default_configENS1_37merge_sort_block_sort_config_selectorIllEENS1_38merge_sort_block_merge_config_selectorIllEEEEvv.num_agpr, 0
	.set _ZN7rocprim17ROCPRIM_400000_NS6detail44device_merge_sort_compile_time_verifier_archINS1_11comp_targetILNS1_3genE8ELNS1_11target_archE1030ELNS1_3gpuE2ELNS1_3repE0EEES8_NS1_28merge_sort_block_sort_configILj256ELj4ELNS0_20block_sort_algorithmE0EEENS0_14default_configENS1_37merge_sort_block_sort_config_selectorIllEENS1_38merge_sort_block_merge_config_selectorIllEEEEvv.numbered_sgpr, 0
	.set _ZN7rocprim17ROCPRIM_400000_NS6detail44device_merge_sort_compile_time_verifier_archINS1_11comp_targetILNS1_3genE8ELNS1_11target_archE1030ELNS1_3gpuE2ELNS1_3repE0EEES8_NS1_28merge_sort_block_sort_configILj256ELj4ELNS0_20block_sort_algorithmE0EEENS0_14default_configENS1_37merge_sort_block_sort_config_selectorIllEENS1_38merge_sort_block_merge_config_selectorIllEEEEvv.num_named_barrier, 0
	.set _ZN7rocprim17ROCPRIM_400000_NS6detail44device_merge_sort_compile_time_verifier_archINS1_11comp_targetILNS1_3genE8ELNS1_11target_archE1030ELNS1_3gpuE2ELNS1_3repE0EEES8_NS1_28merge_sort_block_sort_configILj256ELj4ELNS0_20block_sort_algorithmE0EEENS0_14default_configENS1_37merge_sort_block_sort_config_selectorIllEENS1_38merge_sort_block_merge_config_selectorIllEEEEvv.private_seg_size, 0
	.set _ZN7rocprim17ROCPRIM_400000_NS6detail44device_merge_sort_compile_time_verifier_archINS1_11comp_targetILNS1_3genE8ELNS1_11target_archE1030ELNS1_3gpuE2ELNS1_3repE0EEES8_NS1_28merge_sort_block_sort_configILj256ELj4ELNS0_20block_sort_algorithmE0EEENS0_14default_configENS1_37merge_sort_block_sort_config_selectorIllEENS1_38merge_sort_block_merge_config_selectorIllEEEEvv.uses_vcc, 0
	.set _ZN7rocprim17ROCPRIM_400000_NS6detail44device_merge_sort_compile_time_verifier_archINS1_11comp_targetILNS1_3genE8ELNS1_11target_archE1030ELNS1_3gpuE2ELNS1_3repE0EEES8_NS1_28merge_sort_block_sort_configILj256ELj4ELNS0_20block_sort_algorithmE0EEENS0_14default_configENS1_37merge_sort_block_sort_config_selectorIllEENS1_38merge_sort_block_merge_config_selectorIllEEEEvv.uses_flat_scratch, 0
	.set _ZN7rocprim17ROCPRIM_400000_NS6detail44device_merge_sort_compile_time_verifier_archINS1_11comp_targetILNS1_3genE8ELNS1_11target_archE1030ELNS1_3gpuE2ELNS1_3repE0EEES8_NS1_28merge_sort_block_sort_configILj256ELj4ELNS0_20block_sort_algorithmE0EEENS0_14default_configENS1_37merge_sort_block_sort_config_selectorIllEENS1_38merge_sort_block_merge_config_selectorIllEEEEvv.has_dyn_sized_stack, 0
	.set _ZN7rocprim17ROCPRIM_400000_NS6detail44device_merge_sort_compile_time_verifier_archINS1_11comp_targetILNS1_3genE8ELNS1_11target_archE1030ELNS1_3gpuE2ELNS1_3repE0EEES8_NS1_28merge_sort_block_sort_configILj256ELj4ELNS0_20block_sort_algorithmE0EEENS0_14default_configENS1_37merge_sort_block_sort_config_selectorIllEENS1_38merge_sort_block_merge_config_selectorIllEEEEvv.has_recursion, 0
	.set _ZN7rocprim17ROCPRIM_400000_NS6detail44device_merge_sort_compile_time_verifier_archINS1_11comp_targetILNS1_3genE8ELNS1_11target_archE1030ELNS1_3gpuE2ELNS1_3repE0EEES8_NS1_28merge_sort_block_sort_configILj256ELj4ELNS0_20block_sort_algorithmE0EEENS0_14default_configENS1_37merge_sort_block_sort_config_selectorIllEENS1_38merge_sort_block_merge_config_selectorIllEEEEvv.has_indirect_call, 0
	.section	.AMDGPU.csdata,"",@progbits
; Kernel info:
; codeLenInByte = 4
; TotalNumSgprs: 4
; NumVgprs: 0
; ScratchSize: 0
; MemoryBound: 0
; FloatMode: 240
; IeeeMode: 1
; LDSByteSize: 0 bytes/workgroup (compile time only)
; SGPRBlocks: 0
; VGPRBlocks: 0
; NumSGPRsForWavesPerEU: 4
; NumVGPRsForWavesPerEU: 1
; Occupancy: 10
; WaveLimiterHint : 0
; COMPUTE_PGM_RSRC2:SCRATCH_EN: 0
; COMPUTE_PGM_RSRC2:USER_SGPR: 4
; COMPUTE_PGM_RSRC2:TRAP_HANDLER: 0
; COMPUTE_PGM_RSRC2:TGID_X_EN: 1
; COMPUTE_PGM_RSRC2:TGID_Y_EN: 0
; COMPUTE_PGM_RSRC2:TGID_Z_EN: 0
; COMPUTE_PGM_RSRC2:TIDIG_COMP_CNT: 0
	.section	.text._ZN7rocprim17ROCPRIM_400000_NS6detail17trampoline_kernelINS0_14default_configENS1_38merge_sort_block_merge_config_selectorIllEEZZNS1_27merge_sort_block_merge_implIS3_PlN6thrust23THRUST_200600_302600_NS10device_ptrIlEEjNS1_19radix_merge_compareILb0ELb0ElNS0_19identity_decomposerEEEEE10hipError_tT0_T1_T2_jT3_P12ihipStream_tbPNSt15iterator_traitsISG_E10value_typeEPNSM_ISH_E10value_typeEPSI_NS1_7vsmem_tEENKUlT_SG_SH_SI_E_clIS7_S7_S7_SB_EESF_SV_SG_SH_SI_EUlSV_E_NS1_11comp_targetILNS1_3genE0ELNS1_11target_archE4294967295ELNS1_3gpuE0ELNS1_3repE0EEENS1_48merge_mergepath_partition_config_static_selectorELNS0_4arch9wavefront6targetE1EEEvSH_,"axG",@progbits,_ZN7rocprim17ROCPRIM_400000_NS6detail17trampoline_kernelINS0_14default_configENS1_38merge_sort_block_merge_config_selectorIllEEZZNS1_27merge_sort_block_merge_implIS3_PlN6thrust23THRUST_200600_302600_NS10device_ptrIlEEjNS1_19radix_merge_compareILb0ELb0ElNS0_19identity_decomposerEEEEE10hipError_tT0_T1_T2_jT3_P12ihipStream_tbPNSt15iterator_traitsISG_E10value_typeEPNSM_ISH_E10value_typeEPSI_NS1_7vsmem_tEENKUlT_SG_SH_SI_E_clIS7_S7_S7_SB_EESF_SV_SG_SH_SI_EUlSV_E_NS1_11comp_targetILNS1_3genE0ELNS1_11target_archE4294967295ELNS1_3gpuE0ELNS1_3repE0EEENS1_48merge_mergepath_partition_config_static_selectorELNS0_4arch9wavefront6targetE1EEEvSH_,comdat
	.protected	_ZN7rocprim17ROCPRIM_400000_NS6detail17trampoline_kernelINS0_14default_configENS1_38merge_sort_block_merge_config_selectorIllEEZZNS1_27merge_sort_block_merge_implIS3_PlN6thrust23THRUST_200600_302600_NS10device_ptrIlEEjNS1_19radix_merge_compareILb0ELb0ElNS0_19identity_decomposerEEEEE10hipError_tT0_T1_T2_jT3_P12ihipStream_tbPNSt15iterator_traitsISG_E10value_typeEPNSM_ISH_E10value_typeEPSI_NS1_7vsmem_tEENKUlT_SG_SH_SI_E_clIS7_S7_S7_SB_EESF_SV_SG_SH_SI_EUlSV_E_NS1_11comp_targetILNS1_3genE0ELNS1_11target_archE4294967295ELNS1_3gpuE0ELNS1_3repE0EEENS1_48merge_mergepath_partition_config_static_selectorELNS0_4arch9wavefront6targetE1EEEvSH_ ; -- Begin function _ZN7rocprim17ROCPRIM_400000_NS6detail17trampoline_kernelINS0_14default_configENS1_38merge_sort_block_merge_config_selectorIllEEZZNS1_27merge_sort_block_merge_implIS3_PlN6thrust23THRUST_200600_302600_NS10device_ptrIlEEjNS1_19radix_merge_compareILb0ELb0ElNS0_19identity_decomposerEEEEE10hipError_tT0_T1_T2_jT3_P12ihipStream_tbPNSt15iterator_traitsISG_E10value_typeEPNSM_ISH_E10value_typeEPSI_NS1_7vsmem_tEENKUlT_SG_SH_SI_E_clIS7_S7_S7_SB_EESF_SV_SG_SH_SI_EUlSV_E_NS1_11comp_targetILNS1_3genE0ELNS1_11target_archE4294967295ELNS1_3gpuE0ELNS1_3repE0EEENS1_48merge_mergepath_partition_config_static_selectorELNS0_4arch9wavefront6targetE1EEEvSH_
	.globl	_ZN7rocprim17ROCPRIM_400000_NS6detail17trampoline_kernelINS0_14default_configENS1_38merge_sort_block_merge_config_selectorIllEEZZNS1_27merge_sort_block_merge_implIS3_PlN6thrust23THRUST_200600_302600_NS10device_ptrIlEEjNS1_19radix_merge_compareILb0ELb0ElNS0_19identity_decomposerEEEEE10hipError_tT0_T1_T2_jT3_P12ihipStream_tbPNSt15iterator_traitsISG_E10value_typeEPNSM_ISH_E10value_typeEPSI_NS1_7vsmem_tEENKUlT_SG_SH_SI_E_clIS7_S7_S7_SB_EESF_SV_SG_SH_SI_EUlSV_E_NS1_11comp_targetILNS1_3genE0ELNS1_11target_archE4294967295ELNS1_3gpuE0ELNS1_3repE0EEENS1_48merge_mergepath_partition_config_static_selectorELNS0_4arch9wavefront6targetE1EEEvSH_
	.p2align	8
	.type	_ZN7rocprim17ROCPRIM_400000_NS6detail17trampoline_kernelINS0_14default_configENS1_38merge_sort_block_merge_config_selectorIllEEZZNS1_27merge_sort_block_merge_implIS3_PlN6thrust23THRUST_200600_302600_NS10device_ptrIlEEjNS1_19radix_merge_compareILb0ELb0ElNS0_19identity_decomposerEEEEE10hipError_tT0_T1_T2_jT3_P12ihipStream_tbPNSt15iterator_traitsISG_E10value_typeEPNSM_ISH_E10value_typeEPSI_NS1_7vsmem_tEENKUlT_SG_SH_SI_E_clIS7_S7_S7_SB_EESF_SV_SG_SH_SI_EUlSV_E_NS1_11comp_targetILNS1_3genE0ELNS1_11target_archE4294967295ELNS1_3gpuE0ELNS1_3repE0EEENS1_48merge_mergepath_partition_config_static_selectorELNS0_4arch9wavefront6targetE1EEEvSH_,@function
_ZN7rocprim17ROCPRIM_400000_NS6detail17trampoline_kernelINS0_14default_configENS1_38merge_sort_block_merge_config_selectorIllEEZZNS1_27merge_sort_block_merge_implIS3_PlN6thrust23THRUST_200600_302600_NS10device_ptrIlEEjNS1_19radix_merge_compareILb0ELb0ElNS0_19identity_decomposerEEEEE10hipError_tT0_T1_T2_jT3_P12ihipStream_tbPNSt15iterator_traitsISG_E10value_typeEPNSM_ISH_E10value_typeEPSI_NS1_7vsmem_tEENKUlT_SG_SH_SI_E_clIS7_S7_S7_SB_EESF_SV_SG_SH_SI_EUlSV_E_NS1_11comp_targetILNS1_3genE0ELNS1_11target_archE4294967295ELNS1_3gpuE0ELNS1_3repE0EEENS1_48merge_mergepath_partition_config_static_selectorELNS0_4arch9wavefront6targetE1EEEvSH_: ; @_ZN7rocprim17ROCPRIM_400000_NS6detail17trampoline_kernelINS0_14default_configENS1_38merge_sort_block_merge_config_selectorIllEEZZNS1_27merge_sort_block_merge_implIS3_PlN6thrust23THRUST_200600_302600_NS10device_ptrIlEEjNS1_19radix_merge_compareILb0ELb0ElNS0_19identity_decomposerEEEEE10hipError_tT0_T1_T2_jT3_P12ihipStream_tbPNSt15iterator_traitsISG_E10value_typeEPNSM_ISH_E10value_typeEPSI_NS1_7vsmem_tEENKUlT_SG_SH_SI_E_clIS7_S7_S7_SB_EESF_SV_SG_SH_SI_EUlSV_E_NS1_11comp_targetILNS1_3genE0ELNS1_11target_archE4294967295ELNS1_3gpuE0ELNS1_3repE0EEENS1_48merge_mergepath_partition_config_static_selectorELNS0_4arch9wavefront6targetE1EEEvSH_
; %bb.0:
	.section	.rodata,"a",@progbits
	.p2align	6, 0x0
	.amdhsa_kernel _ZN7rocprim17ROCPRIM_400000_NS6detail17trampoline_kernelINS0_14default_configENS1_38merge_sort_block_merge_config_selectorIllEEZZNS1_27merge_sort_block_merge_implIS3_PlN6thrust23THRUST_200600_302600_NS10device_ptrIlEEjNS1_19radix_merge_compareILb0ELb0ElNS0_19identity_decomposerEEEEE10hipError_tT0_T1_T2_jT3_P12ihipStream_tbPNSt15iterator_traitsISG_E10value_typeEPNSM_ISH_E10value_typeEPSI_NS1_7vsmem_tEENKUlT_SG_SH_SI_E_clIS7_S7_S7_SB_EESF_SV_SG_SH_SI_EUlSV_E_NS1_11comp_targetILNS1_3genE0ELNS1_11target_archE4294967295ELNS1_3gpuE0ELNS1_3repE0EEENS1_48merge_mergepath_partition_config_static_selectorELNS0_4arch9wavefront6targetE1EEEvSH_
		.amdhsa_group_segment_fixed_size 0
		.amdhsa_private_segment_fixed_size 0
		.amdhsa_kernarg_size 40
		.amdhsa_user_sgpr_count 6
		.amdhsa_user_sgpr_private_segment_buffer 1
		.amdhsa_user_sgpr_dispatch_ptr 0
		.amdhsa_user_sgpr_queue_ptr 0
		.amdhsa_user_sgpr_kernarg_segment_ptr 1
		.amdhsa_user_sgpr_dispatch_id 0
		.amdhsa_user_sgpr_flat_scratch_init 0
		.amdhsa_user_sgpr_private_segment_size 0
		.amdhsa_uses_dynamic_stack 0
		.amdhsa_system_sgpr_private_segment_wavefront_offset 0
		.amdhsa_system_sgpr_workgroup_id_x 1
		.amdhsa_system_sgpr_workgroup_id_y 0
		.amdhsa_system_sgpr_workgroup_id_z 0
		.amdhsa_system_sgpr_workgroup_info 0
		.amdhsa_system_vgpr_workitem_id 0
		.amdhsa_next_free_vgpr 1
		.amdhsa_next_free_sgpr 0
		.amdhsa_reserve_vcc 0
		.amdhsa_reserve_flat_scratch 0
		.amdhsa_float_round_mode_32 0
		.amdhsa_float_round_mode_16_64 0
		.amdhsa_float_denorm_mode_32 3
		.amdhsa_float_denorm_mode_16_64 3
		.amdhsa_dx10_clamp 1
		.amdhsa_ieee_mode 1
		.amdhsa_fp16_overflow 0
		.amdhsa_exception_fp_ieee_invalid_op 0
		.amdhsa_exception_fp_denorm_src 0
		.amdhsa_exception_fp_ieee_div_zero 0
		.amdhsa_exception_fp_ieee_overflow 0
		.amdhsa_exception_fp_ieee_underflow 0
		.amdhsa_exception_fp_ieee_inexact 0
		.amdhsa_exception_int_div_zero 0
	.end_amdhsa_kernel
	.section	.text._ZN7rocprim17ROCPRIM_400000_NS6detail17trampoline_kernelINS0_14default_configENS1_38merge_sort_block_merge_config_selectorIllEEZZNS1_27merge_sort_block_merge_implIS3_PlN6thrust23THRUST_200600_302600_NS10device_ptrIlEEjNS1_19radix_merge_compareILb0ELb0ElNS0_19identity_decomposerEEEEE10hipError_tT0_T1_T2_jT3_P12ihipStream_tbPNSt15iterator_traitsISG_E10value_typeEPNSM_ISH_E10value_typeEPSI_NS1_7vsmem_tEENKUlT_SG_SH_SI_E_clIS7_S7_S7_SB_EESF_SV_SG_SH_SI_EUlSV_E_NS1_11comp_targetILNS1_3genE0ELNS1_11target_archE4294967295ELNS1_3gpuE0ELNS1_3repE0EEENS1_48merge_mergepath_partition_config_static_selectorELNS0_4arch9wavefront6targetE1EEEvSH_,"axG",@progbits,_ZN7rocprim17ROCPRIM_400000_NS6detail17trampoline_kernelINS0_14default_configENS1_38merge_sort_block_merge_config_selectorIllEEZZNS1_27merge_sort_block_merge_implIS3_PlN6thrust23THRUST_200600_302600_NS10device_ptrIlEEjNS1_19radix_merge_compareILb0ELb0ElNS0_19identity_decomposerEEEEE10hipError_tT0_T1_T2_jT3_P12ihipStream_tbPNSt15iterator_traitsISG_E10value_typeEPNSM_ISH_E10value_typeEPSI_NS1_7vsmem_tEENKUlT_SG_SH_SI_E_clIS7_S7_S7_SB_EESF_SV_SG_SH_SI_EUlSV_E_NS1_11comp_targetILNS1_3genE0ELNS1_11target_archE4294967295ELNS1_3gpuE0ELNS1_3repE0EEENS1_48merge_mergepath_partition_config_static_selectorELNS0_4arch9wavefront6targetE1EEEvSH_,comdat
.Lfunc_end1010:
	.size	_ZN7rocprim17ROCPRIM_400000_NS6detail17trampoline_kernelINS0_14default_configENS1_38merge_sort_block_merge_config_selectorIllEEZZNS1_27merge_sort_block_merge_implIS3_PlN6thrust23THRUST_200600_302600_NS10device_ptrIlEEjNS1_19radix_merge_compareILb0ELb0ElNS0_19identity_decomposerEEEEE10hipError_tT0_T1_T2_jT3_P12ihipStream_tbPNSt15iterator_traitsISG_E10value_typeEPNSM_ISH_E10value_typeEPSI_NS1_7vsmem_tEENKUlT_SG_SH_SI_E_clIS7_S7_S7_SB_EESF_SV_SG_SH_SI_EUlSV_E_NS1_11comp_targetILNS1_3genE0ELNS1_11target_archE4294967295ELNS1_3gpuE0ELNS1_3repE0EEENS1_48merge_mergepath_partition_config_static_selectorELNS0_4arch9wavefront6targetE1EEEvSH_, .Lfunc_end1010-_ZN7rocprim17ROCPRIM_400000_NS6detail17trampoline_kernelINS0_14default_configENS1_38merge_sort_block_merge_config_selectorIllEEZZNS1_27merge_sort_block_merge_implIS3_PlN6thrust23THRUST_200600_302600_NS10device_ptrIlEEjNS1_19radix_merge_compareILb0ELb0ElNS0_19identity_decomposerEEEEE10hipError_tT0_T1_T2_jT3_P12ihipStream_tbPNSt15iterator_traitsISG_E10value_typeEPNSM_ISH_E10value_typeEPSI_NS1_7vsmem_tEENKUlT_SG_SH_SI_E_clIS7_S7_S7_SB_EESF_SV_SG_SH_SI_EUlSV_E_NS1_11comp_targetILNS1_3genE0ELNS1_11target_archE4294967295ELNS1_3gpuE0ELNS1_3repE0EEENS1_48merge_mergepath_partition_config_static_selectorELNS0_4arch9wavefront6targetE1EEEvSH_
                                        ; -- End function
	.set _ZN7rocprim17ROCPRIM_400000_NS6detail17trampoline_kernelINS0_14default_configENS1_38merge_sort_block_merge_config_selectorIllEEZZNS1_27merge_sort_block_merge_implIS3_PlN6thrust23THRUST_200600_302600_NS10device_ptrIlEEjNS1_19radix_merge_compareILb0ELb0ElNS0_19identity_decomposerEEEEE10hipError_tT0_T1_T2_jT3_P12ihipStream_tbPNSt15iterator_traitsISG_E10value_typeEPNSM_ISH_E10value_typeEPSI_NS1_7vsmem_tEENKUlT_SG_SH_SI_E_clIS7_S7_S7_SB_EESF_SV_SG_SH_SI_EUlSV_E_NS1_11comp_targetILNS1_3genE0ELNS1_11target_archE4294967295ELNS1_3gpuE0ELNS1_3repE0EEENS1_48merge_mergepath_partition_config_static_selectorELNS0_4arch9wavefront6targetE1EEEvSH_.num_vgpr, 0
	.set _ZN7rocprim17ROCPRIM_400000_NS6detail17trampoline_kernelINS0_14default_configENS1_38merge_sort_block_merge_config_selectorIllEEZZNS1_27merge_sort_block_merge_implIS3_PlN6thrust23THRUST_200600_302600_NS10device_ptrIlEEjNS1_19radix_merge_compareILb0ELb0ElNS0_19identity_decomposerEEEEE10hipError_tT0_T1_T2_jT3_P12ihipStream_tbPNSt15iterator_traitsISG_E10value_typeEPNSM_ISH_E10value_typeEPSI_NS1_7vsmem_tEENKUlT_SG_SH_SI_E_clIS7_S7_S7_SB_EESF_SV_SG_SH_SI_EUlSV_E_NS1_11comp_targetILNS1_3genE0ELNS1_11target_archE4294967295ELNS1_3gpuE0ELNS1_3repE0EEENS1_48merge_mergepath_partition_config_static_selectorELNS0_4arch9wavefront6targetE1EEEvSH_.num_agpr, 0
	.set _ZN7rocprim17ROCPRIM_400000_NS6detail17trampoline_kernelINS0_14default_configENS1_38merge_sort_block_merge_config_selectorIllEEZZNS1_27merge_sort_block_merge_implIS3_PlN6thrust23THRUST_200600_302600_NS10device_ptrIlEEjNS1_19radix_merge_compareILb0ELb0ElNS0_19identity_decomposerEEEEE10hipError_tT0_T1_T2_jT3_P12ihipStream_tbPNSt15iterator_traitsISG_E10value_typeEPNSM_ISH_E10value_typeEPSI_NS1_7vsmem_tEENKUlT_SG_SH_SI_E_clIS7_S7_S7_SB_EESF_SV_SG_SH_SI_EUlSV_E_NS1_11comp_targetILNS1_3genE0ELNS1_11target_archE4294967295ELNS1_3gpuE0ELNS1_3repE0EEENS1_48merge_mergepath_partition_config_static_selectorELNS0_4arch9wavefront6targetE1EEEvSH_.numbered_sgpr, 0
	.set _ZN7rocprim17ROCPRIM_400000_NS6detail17trampoline_kernelINS0_14default_configENS1_38merge_sort_block_merge_config_selectorIllEEZZNS1_27merge_sort_block_merge_implIS3_PlN6thrust23THRUST_200600_302600_NS10device_ptrIlEEjNS1_19radix_merge_compareILb0ELb0ElNS0_19identity_decomposerEEEEE10hipError_tT0_T1_T2_jT3_P12ihipStream_tbPNSt15iterator_traitsISG_E10value_typeEPNSM_ISH_E10value_typeEPSI_NS1_7vsmem_tEENKUlT_SG_SH_SI_E_clIS7_S7_S7_SB_EESF_SV_SG_SH_SI_EUlSV_E_NS1_11comp_targetILNS1_3genE0ELNS1_11target_archE4294967295ELNS1_3gpuE0ELNS1_3repE0EEENS1_48merge_mergepath_partition_config_static_selectorELNS0_4arch9wavefront6targetE1EEEvSH_.num_named_barrier, 0
	.set _ZN7rocprim17ROCPRIM_400000_NS6detail17trampoline_kernelINS0_14default_configENS1_38merge_sort_block_merge_config_selectorIllEEZZNS1_27merge_sort_block_merge_implIS3_PlN6thrust23THRUST_200600_302600_NS10device_ptrIlEEjNS1_19radix_merge_compareILb0ELb0ElNS0_19identity_decomposerEEEEE10hipError_tT0_T1_T2_jT3_P12ihipStream_tbPNSt15iterator_traitsISG_E10value_typeEPNSM_ISH_E10value_typeEPSI_NS1_7vsmem_tEENKUlT_SG_SH_SI_E_clIS7_S7_S7_SB_EESF_SV_SG_SH_SI_EUlSV_E_NS1_11comp_targetILNS1_3genE0ELNS1_11target_archE4294967295ELNS1_3gpuE0ELNS1_3repE0EEENS1_48merge_mergepath_partition_config_static_selectorELNS0_4arch9wavefront6targetE1EEEvSH_.private_seg_size, 0
	.set _ZN7rocprim17ROCPRIM_400000_NS6detail17trampoline_kernelINS0_14default_configENS1_38merge_sort_block_merge_config_selectorIllEEZZNS1_27merge_sort_block_merge_implIS3_PlN6thrust23THRUST_200600_302600_NS10device_ptrIlEEjNS1_19radix_merge_compareILb0ELb0ElNS0_19identity_decomposerEEEEE10hipError_tT0_T1_T2_jT3_P12ihipStream_tbPNSt15iterator_traitsISG_E10value_typeEPNSM_ISH_E10value_typeEPSI_NS1_7vsmem_tEENKUlT_SG_SH_SI_E_clIS7_S7_S7_SB_EESF_SV_SG_SH_SI_EUlSV_E_NS1_11comp_targetILNS1_3genE0ELNS1_11target_archE4294967295ELNS1_3gpuE0ELNS1_3repE0EEENS1_48merge_mergepath_partition_config_static_selectorELNS0_4arch9wavefront6targetE1EEEvSH_.uses_vcc, 0
	.set _ZN7rocprim17ROCPRIM_400000_NS6detail17trampoline_kernelINS0_14default_configENS1_38merge_sort_block_merge_config_selectorIllEEZZNS1_27merge_sort_block_merge_implIS3_PlN6thrust23THRUST_200600_302600_NS10device_ptrIlEEjNS1_19radix_merge_compareILb0ELb0ElNS0_19identity_decomposerEEEEE10hipError_tT0_T1_T2_jT3_P12ihipStream_tbPNSt15iterator_traitsISG_E10value_typeEPNSM_ISH_E10value_typeEPSI_NS1_7vsmem_tEENKUlT_SG_SH_SI_E_clIS7_S7_S7_SB_EESF_SV_SG_SH_SI_EUlSV_E_NS1_11comp_targetILNS1_3genE0ELNS1_11target_archE4294967295ELNS1_3gpuE0ELNS1_3repE0EEENS1_48merge_mergepath_partition_config_static_selectorELNS0_4arch9wavefront6targetE1EEEvSH_.uses_flat_scratch, 0
	.set _ZN7rocprim17ROCPRIM_400000_NS6detail17trampoline_kernelINS0_14default_configENS1_38merge_sort_block_merge_config_selectorIllEEZZNS1_27merge_sort_block_merge_implIS3_PlN6thrust23THRUST_200600_302600_NS10device_ptrIlEEjNS1_19radix_merge_compareILb0ELb0ElNS0_19identity_decomposerEEEEE10hipError_tT0_T1_T2_jT3_P12ihipStream_tbPNSt15iterator_traitsISG_E10value_typeEPNSM_ISH_E10value_typeEPSI_NS1_7vsmem_tEENKUlT_SG_SH_SI_E_clIS7_S7_S7_SB_EESF_SV_SG_SH_SI_EUlSV_E_NS1_11comp_targetILNS1_3genE0ELNS1_11target_archE4294967295ELNS1_3gpuE0ELNS1_3repE0EEENS1_48merge_mergepath_partition_config_static_selectorELNS0_4arch9wavefront6targetE1EEEvSH_.has_dyn_sized_stack, 0
	.set _ZN7rocprim17ROCPRIM_400000_NS6detail17trampoline_kernelINS0_14default_configENS1_38merge_sort_block_merge_config_selectorIllEEZZNS1_27merge_sort_block_merge_implIS3_PlN6thrust23THRUST_200600_302600_NS10device_ptrIlEEjNS1_19radix_merge_compareILb0ELb0ElNS0_19identity_decomposerEEEEE10hipError_tT0_T1_T2_jT3_P12ihipStream_tbPNSt15iterator_traitsISG_E10value_typeEPNSM_ISH_E10value_typeEPSI_NS1_7vsmem_tEENKUlT_SG_SH_SI_E_clIS7_S7_S7_SB_EESF_SV_SG_SH_SI_EUlSV_E_NS1_11comp_targetILNS1_3genE0ELNS1_11target_archE4294967295ELNS1_3gpuE0ELNS1_3repE0EEENS1_48merge_mergepath_partition_config_static_selectorELNS0_4arch9wavefront6targetE1EEEvSH_.has_recursion, 0
	.set _ZN7rocprim17ROCPRIM_400000_NS6detail17trampoline_kernelINS0_14default_configENS1_38merge_sort_block_merge_config_selectorIllEEZZNS1_27merge_sort_block_merge_implIS3_PlN6thrust23THRUST_200600_302600_NS10device_ptrIlEEjNS1_19radix_merge_compareILb0ELb0ElNS0_19identity_decomposerEEEEE10hipError_tT0_T1_T2_jT3_P12ihipStream_tbPNSt15iterator_traitsISG_E10value_typeEPNSM_ISH_E10value_typeEPSI_NS1_7vsmem_tEENKUlT_SG_SH_SI_E_clIS7_S7_S7_SB_EESF_SV_SG_SH_SI_EUlSV_E_NS1_11comp_targetILNS1_3genE0ELNS1_11target_archE4294967295ELNS1_3gpuE0ELNS1_3repE0EEENS1_48merge_mergepath_partition_config_static_selectorELNS0_4arch9wavefront6targetE1EEEvSH_.has_indirect_call, 0
	.section	.AMDGPU.csdata,"",@progbits
; Kernel info:
; codeLenInByte = 0
; TotalNumSgprs: 4
; NumVgprs: 0
; ScratchSize: 0
; MemoryBound: 0
; FloatMode: 240
; IeeeMode: 1
; LDSByteSize: 0 bytes/workgroup (compile time only)
; SGPRBlocks: 0
; VGPRBlocks: 0
; NumSGPRsForWavesPerEU: 4
; NumVGPRsForWavesPerEU: 1
; Occupancy: 10
; WaveLimiterHint : 0
; COMPUTE_PGM_RSRC2:SCRATCH_EN: 0
; COMPUTE_PGM_RSRC2:USER_SGPR: 6
; COMPUTE_PGM_RSRC2:TRAP_HANDLER: 0
; COMPUTE_PGM_RSRC2:TGID_X_EN: 1
; COMPUTE_PGM_RSRC2:TGID_Y_EN: 0
; COMPUTE_PGM_RSRC2:TGID_Z_EN: 0
; COMPUTE_PGM_RSRC2:TIDIG_COMP_CNT: 0
	.section	.text._ZN7rocprim17ROCPRIM_400000_NS6detail17trampoline_kernelINS0_14default_configENS1_38merge_sort_block_merge_config_selectorIllEEZZNS1_27merge_sort_block_merge_implIS3_PlN6thrust23THRUST_200600_302600_NS10device_ptrIlEEjNS1_19radix_merge_compareILb0ELb0ElNS0_19identity_decomposerEEEEE10hipError_tT0_T1_T2_jT3_P12ihipStream_tbPNSt15iterator_traitsISG_E10value_typeEPNSM_ISH_E10value_typeEPSI_NS1_7vsmem_tEENKUlT_SG_SH_SI_E_clIS7_S7_S7_SB_EESF_SV_SG_SH_SI_EUlSV_E_NS1_11comp_targetILNS1_3genE10ELNS1_11target_archE1201ELNS1_3gpuE5ELNS1_3repE0EEENS1_48merge_mergepath_partition_config_static_selectorELNS0_4arch9wavefront6targetE1EEEvSH_,"axG",@progbits,_ZN7rocprim17ROCPRIM_400000_NS6detail17trampoline_kernelINS0_14default_configENS1_38merge_sort_block_merge_config_selectorIllEEZZNS1_27merge_sort_block_merge_implIS3_PlN6thrust23THRUST_200600_302600_NS10device_ptrIlEEjNS1_19radix_merge_compareILb0ELb0ElNS0_19identity_decomposerEEEEE10hipError_tT0_T1_T2_jT3_P12ihipStream_tbPNSt15iterator_traitsISG_E10value_typeEPNSM_ISH_E10value_typeEPSI_NS1_7vsmem_tEENKUlT_SG_SH_SI_E_clIS7_S7_S7_SB_EESF_SV_SG_SH_SI_EUlSV_E_NS1_11comp_targetILNS1_3genE10ELNS1_11target_archE1201ELNS1_3gpuE5ELNS1_3repE0EEENS1_48merge_mergepath_partition_config_static_selectorELNS0_4arch9wavefront6targetE1EEEvSH_,comdat
	.protected	_ZN7rocprim17ROCPRIM_400000_NS6detail17trampoline_kernelINS0_14default_configENS1_38merge_sort_block_merge_config_selectorIllEEZZNS1_27merge_sort_block_merge_implIS3_PlN6thrust23THRUST_200600_302600_NS10device_ptrIlEEjNS1_19radix_merge_compareILb0ELb0ElNS0_19identity_decomposerEEEEE10hipError_tT0_T1_T2_jT3_P12ihipStream_tbPNSt15iterator_traitsISG_E10value_typeEPNSM_ISH_E10value_typeEPSI_NS1_7vsmem_tEENKUlT_SG_SH_SI_E_clIS7_S7_S7_SB_EESF_SV_SG_SH_SI_EUlSV_E_NS1_11comp_targetILNS1_3genE10ELNS1_11target_archE1201ELNS1_3gpuE5ELNS1_3repE0EEENS1_48merge_mergepath_partition_config_static_selectorELNS0_4arch9wavefront6targetE1EEEvSH_ ; -- Begin function _ZN7rocprim17ROCPRIM_400000_NS6detail17trampoline_kernelINS0_14default_configENS1_38merge_sort_block_merge_config_selectorIllEEZZNS1_27merge_sort_block_merge_implIS3_PlN6thrust23THRUST_200600_302600_NS10device_ptrIlEEjNS1_19radix_merge_compareILb0ELb0ElNS0_19identity_decomposerEEEEE10hipError_tT0_T1_T2_jT3_P12ihipStream_tbPNSt15iterator_traitsISG_E10value_typeEPNSM_ISH_E10value_typeEPSI_NS1_7vsmem_tEENKUlT_SG_SH_SI_E_clIS7_S7_S7_SB_EESF_SV_SG_SH_SI_EUlSV_E_NS1_11comp_targetILNS1_3genE10ELNS1_11target_archE1201ELNS1_3gpuE5ELNS1_3repE0EEENS1_48merge_mergepath_partition_config_static_selectorELNS0_4arch9wavefront6targetE1EEEvSH_
	.globl	_ZN7rocprim17ROCPRIM_400000_NS6detail17trampoline_kernelINS0_14default_configENS1_38merge_sort_block_merge_config_selectorIllEEZZNS1_27merge_sort_block_merge_implIS3_PlN6thrust23THRUST_200600_302600_NS10device_ptrIlEEjNS1_19radix_merge_compareILb0ELb0ElNS0_19identity_decomposerEEEEE10hipError_tT0_T1_T2_jT3_P12ihipStream_tbPNSt15iterator_traitsISG_E10value_typeEPNSM_ISH_E10value_typeEPSI_NS1_7vsmem_tEENKUlT_SG_SH_SI_E_clIS7_S7_S7_SB_EESF_SV_SG_SH_SI_EUlSV_E_NS1_11comp_targetILNS1_3genE10ELNS1_11target_archE1201ELNS1_3gpuE5ELNS1_3repE0EEENS1_48merge_mergepath_partition_config_static_selectorELNS0_4arch9wavefront6targetE1EEEvSH_
	.p2align	8
	.type	_ZN7rocprim17ROCPRIM_400000_NS6detail17trampoline_kernelINS0_14default_configENS1_38merge_sort_block_merge_config_selectorIllEEZZNS1_27merge_sort_block_merge_implIS3_PlN6thrust23THRUST_200600_302600_NS10device_ptrIlEEjNS1_19radix_merge_compareILb0ELb0ElNS0_19identity_decomposerEEEEE10hipError_tT0_T1_T2_jT3_P12ihipStream_tbPNSt15iterator_traitsISG_E10value_typeEPNSM_ISH_E10value_typeEPSI_NS1_7vsmem_tEENKUlT_SG_SH_SI_E_clIS7_S7_S7_SB_EESF_SV_SG_SH_SI_EUlSV_E_NS1_11comp_targetILNS1_3genE10ELNS1_11target_archE1201ELNS1_3gpuE5ELNS1_3repE0EEENS1_48merge_mergepath_partition_config_static_selectorELNS0_4arch9wavefront6targetE1EEEvSH_,@function
_ZN7rocprim17ROCPRIM_400000_NS6detail17trampoline_kernelINS0_14default_configENS1_38merge_sort_block_merge_config_selectorIllEEZZNS1_27merge_sort_block_merge_implIS3_PlN6thrust23THRUST_200600_302600_NS10device_ptrIlEEjNS1_19radix_merge_compareILb0ELb0ElNS0_19identity_decomposerEEEEE10hipError_tT0_T1_T2_jT3_P12ihipStream_tbPNSt15iterator_traitsISG_E10value_typeEPNSM_ISH_E10value_typeEPSI_NS1_7vsmem_tEENKUlT_SG_SH_SI_E_clIS7_S7_S7_SB_EESF_SV_SG_SH_SI_EUlSV_E_NS1_11comp_targetILNS1_3genE10ELNS1_11target_archE1201ELNS1_3gpuE5ELNS1_3repE0EEENS1_48merge_mergepath_partition_config_static_selectorELNS0_4arch9wavefront6targetE1EEEvSH_: ; @_ZN7rocprim17ROCPRIM_400000_NS6detail17trampoline_kernelINS0_14default_configENS1_38merge_sort_block_merge_config_selectorIllEEZZNS1_27merge_sort_block_merge_implIS3_PlN6thrust23THRUST_200600_302600_NS10device_ptrIlEEjNS1_19radix_merge_compareILb0ELb0ElNS0_19identity_decomposerEEEEE10hipError_tT0_T1_T2_jT3_P12ihipStream_tbPNSt15iterator_traitsISG_E10value_typeEPNSM_ISH_E10value_typeEPSI_NS1_7vsmem_tEENKUlT_SG_SH_SI_E_clIS7_S7_S7_SB_EESF_SV_SG_SH_SI_EUlSV_E_NS1_11comp_targetILNS1_3genE10ELNS1_11target_archE1201ELNS1_3gpuE5ELNS1_3repE0EEENS1_48merge_mergepath_partition_config_static_selectorELNS0_4arch9wavefront6targetE1EEEvSH_
; %bb.0:
	.section	.rodata,"a",@progbits
	.p2align	6, 0x0
	.amdhsa_kernel _ZN7rocprim17ROCPRIM_400000_NS6detail17trampoline_kernelINS0_14default_configENS1_38merge_sort_block_merge_config_selectorIllEEZZNS1_27merge_sort_block_merge_implIS3_PlN6thrust23THRUST_200600_302600_NS10device_ptrIlEEjNS1_19radix_merge_compareILb0ELb0ElNS0_19identity_decomposerEEEEE10hipError_tT0_T1_T2_jT3_P12ihipStream_tbPNSt15iterator_traitsISG_E10value_typeEPNSM_ISH_E10value_typeEPSI_NS1_7vsmem_tEENKUlT_SG_SH_SI_E_clIS7_S7_S7_SB_EESF_SV_SG_SH_SI_EUlSV_E_NS1_11comp_targetILNS1_3genE10ELNS1_11target_archE1201ELNS1_3gpuE5ELNS1_3repE0EEENS1_48merge_mergepath_partition_config_static_selectorELNS0_4arch9wavefront6targetE1EEEvSH_
		.amdhsa_group_segment_fixed_size 0
		.amdhsa_private_segment_fixed_size 0
		.amdhsa_kernarg_size 40
		.amdhsa_user_sgpr_count 6
		.amdhsa_user_sgpr_private_segment_buffer 1
		.amdhsa_user_sgpr_dispatch_ptr 0
		.amdhsa_user_sgpr_queue_ptr 0
		.amdhsa_user_sgpr_kernarg_segment_ptr 1
		.amdhsa_user_sgpr_dispatch_id 0
		.amdhsa_user_sgpr_flat_scratch_init 0
		.amdhsa_user_sgpr_private_segment_size 0
		.amdhsa_uses_dynamic_stack 0
		.amdhsa_system_sgpr_private_segment_wavefront_offset 0
		.amdhsa_system_sgpr_workgroup_id_x 1
		.amdhsa_system_sgpr_workgroup_id_y 0
		.amdhsa_system_sgpr_workgroup_id_z 0
		.amdhsa_system_sgpr_workgroup_info 0
		.amdhsa_system_vgpr_workitem_id 0
		.amdhsa_next_free_vgpr 1
		.amdhsa_next_free_sgpr 0
		.amdhsa_reserve_vcc 0
		.amdhsa_reserve_flat_scratch 0
		.amdhsa_float_round_mode_32 0
		.amdhsa_float_round_mode_16_64 0
		.amdhsa_float_denorm_mode_32 3
		.amdhsa_float_denorm_mode_16_64 3
		.amdhsa_dx10_clamp 1
		.amdhsa_ieee_mode 1
		.amdhsa_fp16_overflow 0
		.amdhsa_exception_fp_ieee_invalid_op 0
		.amdhsa_exception_fp_denorm_src 0
		.amdhsa_exception_fp_ieee_div_zero 0
		.amdhsa_exception_fp_ieee_overflow 0
		.amdhsa_exception_fp_ieee_underflow 0
		.amdhsa_exception_fp_ieee_inexact 0
		.amdhsa_exception_int_div_zero 0
	.end_amdhsa_kernel
	.section	.text._ZN7rocprim17ROCPRIM_400000_NS6detail17trampoline_kernelINS0_14default_configENS1_38merge_sort_block_merge_config_selectorIllEEZZNS1_27merge_sort_block_merge_implIS3_PlN6thrust23THRUST_200600_302600_NS10device_ptrIlEEjNS1_19radix_merge_compareILb0ELb0ElNS0_19identity_decomposerEEEEE10hipError_tT0_T1_T2_jT3_P12ihipStream_tbPNSt15iterator_traitsISG_E10value_typeEPNSM_ISH_E10value_typeEPSI_NS1_7vsmem_tEENKUlT_SG_SH_SI_E_clIS7_S7_S7_SB_EESF_SV_SG_SH_SI_EUlSV_E_NS1_11comp_targetILNS1_3genE10ELNS1_11target_archE1201ELNS1_3gpuE5ELNS1_3repE0EEENS1_48merge_mergepath_partition_config_static_selectorELNS0_4arch9wavefront6targetE1EEEvSH_,"axG",@progbits,_ZN7rocprim17ROCPRIM_400000_NS6detail17trampoline_kernelINS0_14default_configENS1_38merge_sort_block_merge_config_selectorIllEEZZNS1_27merge_sort_block_merge_implIS3_PlN6thrust23THRUST_200600_302600_NS10device_ptrIlEEjNS1_19radix_merge_compareILb0ELb0ElNS0_19identity_decomposerEEEEE10hipError_tT0_T1_T2_jT3_P12ihipStream_tbPNSt15iterator_traitsISG_E10value_typeEPNSM_ISH_E10value_typeEPSI_NS1_7vsmem_tEENKUlT_SG_SH_SI_E_clIS7_S7_S7_SB_EESF_SV_SG_SH_SI_EUlSV_E_NS1_11comp_targetILNS1_3genE10ELNS1_11target_archE1201ELNS1_3gpuE5ELNS1_3repE0EEENS1_48merge_mergepath_partition_config_static_selectorELNS0_4arch9wavefront6targetE1EEEvSH_,comdat
.Lfunc_end1011:
	.size	_ZN7rocprim17ROCPRIM_400000_NS6detail17trampoline_kernelINS0_14default_configENS1_38merge_sort_block_merge_config_selectorIllEEZZNS1_27merge_sort_block_merge_implIS3_PlN6thrust23THRUST_200600_302600_NS10device_ptrIlEEjNS1_19radix_merge_compareILb0ELb0ElNS0_19identity_decomposerEEEEE10hipError_tT0_T1_T2_jT3_P12ihipStream_tbPNSt15iterator_traitsISG_E10value_typeEPNSM_ISH_E10value_typeEPSI_NS1_7vsmem_tEENKUlT_SG_SH_SI_E_clIS7_S7_S7_SB_EESF_SV_SG_SH_SI_EUlSV_E_NS1_11comp_targetILNS1_3genE10ELNS1_11target_archE1201ELNS1_3gpuE5ELNS1_3repE0EEENS1_48merge_mergepath_partition_config_static_selectorELNS0_4arch9wavefront6targetE1EEEvSH_, .Lfunc_end1011-_ZN7rocprim17ROCPRIM_400000_NS6detail17trampoline_kernelINS0_14default_configENS1_38merge_sort_block_merge_config_selectorIllEEZZNS1_27merge_sort_block_merge_implIS3_PlN6thrust23THRUST_200600_302600_NS10device_ptrIlEEjNS1_19radix_merge_compareILb0ELb0ElNS0_19identity_decomposerEEEEE10hipError_tT0_T1_T2_jT3_P12ihipStream_tbPNSt15iterator_traitsISG_E10value_typeEPNSM_ISH_E10value_typeEPSI_NS1_7vsmem_tEENKUlT_SG_SH_SI_E_clIS7_S7_S7_SB_EESF_SV_SG_SH_SI_EUlSV_E_NS1_11comp_targetILNS1_3genE10ELNS1_11target_archE1201ELNS1_3gpuE5ELNS1_3repE0EEENS1_48merge_mergepath_partition_config_static_selectorELNS0_4arch9wavefront6targetE1EEEvSH_
                                        ; -- End function
	.set _ZN7rocprim17ROCPRIM_400000_NS6detail17trampoline_kernelINS0_14default_configENS1_38merge_sort_block_merge_config_selectorIllEEZZNS1_27merge_sort_block_merge_implIS3_PlN6thrust23THRUST_200600_302600_NS10device_ptrIlEEjNS1_19radix_merge_compareILb0ELb0ElNS0_19identity_decomposerEEEEE10hipError_tT0_T1_T2_jT3_P12ihipStream_tbPNSt15iterator_traitsISG_E10value_typeEPNSM_ISH_E10value_typeEPSI_NS1_7vsmem_tEENKUlT_SG_SH_SI_E_clIS7_S7_S7_SB_EESF_SV_SG_SH_SI_EUlSV_E_NS1_11comp_targetILNS1_3genE10ELNS1_11target_archE1201ELNS1_3gpuE5ELNS1_3repE0EEENS1_48merge_mergepath_partition_config_static_selectorELNS0_4arch9wavefront6targetE1EEEvSH_.num_vgpr, 0
	.set _ZN7rocprim17ROCPRIM_400000_NS6detail17trampoline_kernelINS0_14default_configENS1_38merge_sort_block_merge_config_selectorIllEEZZNS1_27merge_sort_block_merge_implIS3_PlN6thrust23THRUST_200600_302600_NS10device_ptrIlEEjNS1_19radix_merge_compareILb0ELb0ElNS0_19identity_decomposerEEEEE10hipError_tT0_T1_T2_jT3_P12ihipStream_tbPNSt15iterator_traitsISG_E10value_typeEPNSM_ISH_E10value_typeEPSI_NS1_7vsmem_tEENKUlT_SG_SH_SI_E_clIS7_S7_S7_SB_EESF_SV_SG_SH_SI_EUlSV_E_NS1_11comp_targetILNS1_3genE10ELNS1_11target_archE1201ELNS1_3gpuE5ELNS1_3repE0EEENS1_48merge_mergepath_partition_config_static_selectorELNS0_4arch9wavefront6targetE1EEEvSH_.num_agpr, 0
	.set _ZN7rocprim17ROCPRIM_400000_NS6detail17trampoline_kernelINS0_14default_configENS1_38merge_sort_block_merge_config_selectorIllEEZZNS1_27merge_sort_block_merge_implIS3_PlN6thrust23THRUST_200600_302600_NS10device_ptrIlEEjNS1_19radix_merge_compareILb0ELb0ElNS0_19identity_decomposerEEEEE10hipError_tT0_T1_T2_jT3_P12ihipStream_tbPNSt15iterator_traitsISG_E10value_typeEPNSM_ISH_E10value_typeEPSI_NS1_7vsmem_tEENKUlT_SG_SH_SI_E_clIS7_S7_S7_SB_EESF_SV_SG_SH_SI_EUlSV_E_NS1_11comp_targetILNS1_3genE10ELNS1_11target_archE1201ELNS1_3gpuE5ELNS1_3repE0EEENS1_48merge_mergepath_partition_config_static_selectorELNS0_4arch9wavefront6targetE1EEEvSH_.numbered_sgpr, 0
	.set _ZN7rocprim17ROCPRIM_400000_NS6detail17trampoline_kernelINS0_14default_configENS1_38merge_sort_block_merge_config_selectorIllEEZZNS1_27merge_sort_block_merge_implIS3_PlN6thrust23THRUST_200600_302600_NS10device_ptrIlEEjNS1_19radix_merge_compareILb0ELb0ElNS0_19identity_decomposerEEEEE10hipError_tT0_T1_T2_jT3_P12ihipStream_tbPNSt15iterator_traitsISG_E10value_typeEPNSM_ISH_E10value_typeEPSI_NS1_7vsmem_tEENKUlT_SG_SH_SI_E_clIS7_S7_S7_SB_EESF_SV_SG_SH_SI_EUlSV_E_NS1_11comp_targetILNS1_3genE10ELNS1_11target_archE1201ELNS1_3gpuE5ELNS1_3repE0EEENS1_48merge_mergepath_partition_config_static_selectorELNS0_4arch9wavefront6targetE1EEEvSH_.num_named_barrier, 0
	.set _ZN7rocprim17ROCPRIM_400000_NS6detail17trampoline_kernelINS0_14default_configENS1_38merge_sort_block_merge_config_selectorIllEEZZNS1_27merge_sort_block_merge_implIS3_PlN6thrust23THRUST_200600_302600_NS10device_ptrIlEEjNS1_19radix_merge_compareILb0ELb0ElNS0_19identity_decomposerEEEEE10hipError_tT0_T1_T2_jT3_P12ihipStream_tbPNSt15iterator_traitsISG_E10value_typeEPNSM_ISH_E10value_typeEPSI_NS1_7vsmem_tEENKUlT_SG_SH_SI_E_clIS7_S7_S7_SB_EESF_SV_SG_SH_SI_EUlSV_E_NS1_11comp_targetILNS1_3genE10ELNS1_11target_archE1201ELNS1_3gpuE5ELNS1_3repE0EEENS1_48merge_mergepath_partition_config_static_selectorELNS0_4arch9wavefront6targetE1EEEvSH_.private_seg_size, 0
	.set _ZN7rocprim17ROCPRIM_400000_NS6detail17trampoline_kernelINS0_14default_configENS1_38merge_sort_block_merge_config_selectorIllEEZZNS1_27merge_sort_block_merge_implIS3_PlN6thrust23THRUST_200600_302600_NS10device_ptrIlEEjNS1_19radix_merge_compareILb0ELb0ElNS0_19identity_decomposerEEEEE10hipError_tT0_T1_T2_jT3_P12ihipStream_tbPNSt15iterator_traitsISG_E10value_typeEPNSM_ISH_E10value_typeEPSI_NS1_7vsmem_tEENKUlT_SG_SH_SI_E_clIS7_S7_S7_SB_EESF_SV_SG_SH_SI_EUlSV_E_NS1_11comp_targetILNS1_3genE10ELNS1_11target_archE1201ELNS1_3gpuE5ELNS1_3repE0EEENS1_48merge_mergepath_partition_config_static_selectorELNS0_4arch9wavefront6targetE1EEEvSH_.uses_vcc, 0
	.set _ZN7rocprim17ROCPRIM_400000_NS6detail17trampoline_kernelINS0_14default_configENS1_38merge_sort_block_merge_config_selectorIllEEZZNS1_27merge_sort_block_merge_implIS3_PlN6thrust23THRUST_200600_302600_NS10device_ptrIlEEjNS1_19radix_merge_compareILb0ELb0ElNS0_19identity_decomposerEEEEE10hipError_tT0_T1_T2_jT3_P12ihipStream_tbPNSt15iterator_traitsISG_E10value_typeEPNSM_ISH_E10value_typeEPSI_NS1_7vsmem_tEENKUlT_SG_SH_SI_E_clIS7_S7_S7_SB_EESF_SV_SG_SH_SI_EUlSV_E_NS1_11comp_targetILNS1_3genE10ELNS1_11target_archE1201ELNS1_3gpuE5ELNS1_3repE0EEENS1_48merge_mergepath_partition_config_static_selectorELNS0_4arch9wavefront6targetE1EEEvSH_.uses_flat_scratch, 0
	.set _ZN7rocprim17ROCPRIM_400000_NS6detail17trampoline_kernelINS0_14default_configENS1_38merge_sort_block_merge_config_selectorIllEEZZNS1_27merge_sort_block_merge_implIS3_PlN6thrust23THRUST_200600_302600_NS10device_ptrIlEEjNS1_19radix_merge_compareILb0ELb0ElNS0_19identity_decomposerEEEEE10hipError_tT0_T1_T2_jT3_P12ihipStream_tbPNSt15iterator_traitsISG_E10value_typeEPNSM_ISH_E10value_typeEPSI_NS1_7vsmem_tEENKUlT_SG_SH_SI_E_clIS7_S7_S7_SB_EESF_SV_SG_SH_SI_EUlSV_E_NS1_11comp_targetILNS1_3genE10ELNS1_11target_archE1201ELNS1_3gpuE5ELNS1_3repE0EEENS1_48merge_mergepath_partition_config_static_selectorELNS0_4arch9wavefront6targetE1EEEvSH_.has_dyn_sized_stack, 0
	.set _ZN7rocprim17ROCPRIM_400000_NS6detail17trampoline_kernelINS0_14default_configENS1_38merge_sort_block_merge_config_selectorIllEEZZNS1_27merge_sort_block_merge_implIS3_PlN6thrust23THRUST_200600_302600_NS10device_ptrIlEEjNS1_19radix_merge_compareILb0ELb0ElNS0_19identity_decomposerEEEEE10hipError_tT0_T1_T2_jT3_P12ihipStream_tbPNSt15iterator_traitsISG_E10value_typeEPNSM_ISH_E10value_typeEPSI_NS1_7vsmem_tEENKUlT_SG_SH_SI_E_clIS7_S7_S7_SB_EESF_SV_SG_SH_SI_EUlSV_E_NS1_11comp_targetILNS1_3genE10ELNS1_11target_archE1201ELNS1_3gpuE5ELNS1_3repE0EEENS1_48merge_mergepath_partition_config_static_selectorELNS0_4arch9wavefront6targetE1EEEvSH_.has_recursion, 0
	.set _ZN7rocprim17ROCPRIM_400000_NS6detail17trampoline_kernelINS0_14default_configENS1_38merge_sort_block_merge_config_selectorIllEEZZNS1_27merge_sort_block_merge_implIS3_PlN6thrust23THRUST_200600_302600_NS10device_ptrIlEEjNS1_19radix_merge_compareILb0ELb0ElNS0_19identity_decomposerEEEEE10hipError_tT0_T1_T2_jT3_P12ihipStream_tbPNSt15iterator_traitsISG_E10value_typeEPNSM_ISH_E10value_typeEPSI_NS1_7vsmem_tEENKUlT_SG_SH_SI_E_clIS7_S7_S7_SB_EESF_SV_SG_SH_SI_EUlSV_E_NS1_11comp_targetILNS1_3genE10ELNS1_11target_archE1201ELNS1_3gpuE5ELNS1_3repE0EEENS1_48merge_mergepath_partition_config_static_selectorELNS0_4arch9wavefront6targetE1EEEvSH_.has_indirect_call, 0
	.section	.AMDGPU.csdata,"",@progbits
; Kernel info:
; codeLenInByte = 0
; TotalNumSgprs: 4
; NumVgprs: 0
; ScratchSize: 0
; MemoryBound: 0
; FloatMode: 240
; IeeeMode: 1
; LDSByteSize: 0 bytes/workgroup (compile time only)
; SGPRBlocks: 0
; VGPRBlocks: 0
; NumSGPRsForWavesPerEU: 4
; NumVGPRsForWavesPerEU: 1
; Occupancy: 10
; WaveLimiterHint : 0
; COMPUTE_PGM_RSRC2:SCRATCH_EN: 0
; COMPUTE_PGM_RSRC2:USER_SGPR: 6
; COMPUTE_PGM_RSRC2:TRAP_HANDLER: 0
; COMPUTE_PGM_RSRC2:TGID_X_EN: 1
; COMPUTE_PGM_RSRC2:TGID_Y_EN: 0
; COMPUTE_PGM_RSRC2:TGID_Z_EN: 0
; COMPUTE_PGM_RSRC2:TIDIG_COMP_CNT: 0
	.section	.text._ZN7rocprim17ROCPRIM_400000_NS6detail17trampoline_kernelINS0_14default_configENS1_38merge_sort_block_merge_config_selectorIllEEZZNS1_27merge_sort_block_merge_implIS3_PlN6thrust23THRUST_200600_302600_NS10device_ptrIlEEjNS1_19radix_merge_compareILb0ELb0ElNS0_19identity_decomposerEEEEE10hipError_tT0_T1_T2_jT3_P12ihipStream_tbPNSt15iterator_traitsISG_E10value_typeEPNSM_ISH_E10value_typeEPSI_NS1_7vsmem_tEENKUlT_SG_SH_SI_E_clIS7_S7_S7_SB_EESF_SV_SG_SH_SI_EUlSV_E_NS1_11comp_targetILNS1_3genE5ELNS1_11target_archE942ELNS1_3gpuE9ELNS1_3repE0EEENS1_48merge_mergepath_partition_config_static_selectorELNS0_4arch9wavefront6targetE1EEEvSH_,"axG",@progbits,_ZN7rocprim17ROCPRIM_400000_NS6detail17trampoline_kernelINS0_14default_configENS1_38merge_sort_block_merge_config_selectorIllEEZZNS1_27merge_sort_block_merge_implIS3_PlN6thrust23THRUST_200600_302600_NS10device_ptrIlEEjNS1_19radix_merge_compareILb0ELb0ElNS0_19identity_decomposerEEEEE10hipError_tT0_T1_T2_jT3_P12ihipStream_tbPNSt15iterator_traitsISG_E10value_typeEPNSM_ISH_E10value_typeEPSI_NS1_7vsmem_tEENKUlT_SG_SH_SI_E_clIS7_S7_S7_SB_EESF_SV_SG_SH_SI_EUlSV_E_NS1_11comp_targetILNS1_3genE5ELNS1_11target_archE942ELNS1_3gpuE9ELNS1_3repE0EEENS1_48merge_mergepath_partition_config_static_selectorELNS0_4arch9wavefront6targetE1EEEvSH_,comdat
	.protected	_ZN7rocprim17ROCPRIM_400000_NS6detail17trampoline_kernelINS0_14default_configENS1_38merge_sort_block_merge_config_selectorIllEEZZNS1_27merge_sort_block_merge_implIS3_PlN6thrust23THRUST_200600_302600_NS10device_ptrIlEEjNS1_19radix_merge_compareILb0ELb0ElNS0_19identity_decomposerEEEEE10hipError_tT0_T1_T2_jT3_P12ihipStream_tbPNSt15iterator_traitsISG_E10value_typeEPNSM_ISH_E10value_typeEPSI_NS1_7vsmem_tEENKUlT_SG_SH_SI_E_clIS7_S7_S7_SB_EESF_SV_SG_SH_SI_EUlSV_E_NS1_11comp_targetILNS1_3genE5ELNS1_11target_archE942ELNS1_3gpuE9ELNS1_3repE0EEENS1_48merge_mergepath_partition_config_static_selectorELNS0_4arch9wavefront6targetE1EEEvSH_ ; -- Begin function _ZN7rocprim17ROCPRIM_400000_NS6detail17trampoline_kernelINS0_14default_configENS1_38merge_sort_block_merge_config_selectorIllEEZZNS1_27merge_sort_block_merge_implIS3_PlN6thrust23THRUST_200600_302600_NS10device_ptrIlEEjNS1_19radix_merge_compareILb0ELb0ElNS0_19identity_decomposerEEEEE10hipError_tT0_T1_T2_jT3_P12ihipStream_tbPNSt15iterator_traitsISG_E10value_typeEPNSM_ISH_E10value_typeEPSI_NS1_7vsmem_tEENKUlT_SG_SH_SI_E_clIS7_S7_S7_SB_EESF_SV_SG_SH_SI_EUlSV_E_NS1_11comp_targetILNS1_3genE5ELNS1_11target_archE942ELNS1_3gpuE9ELNS1_3repE0EEENS1_48merge_mergepath_partition_config_static_selectorELNS0_4arch9wavefront6targetE1EEEvSH_
	.globl	_ZN7rocprim17ROCPRIM_400000_NS6detail17trampoline_kernelINS0_14default_configENS1_38merge_sort_block_merge_config_selectorIllEEZZNS1_27merge_sort_block_merge_implIS3_PlN6thrust23THRUST_200600_302600_NS10device_ptrIlEEjNS1_19radix_merge_compareILb0ELb0ElNS0_19identity_decomposerEEEEE10hipError_tT0_T1_T2_jT3_P12ihipStream_tbPNSt15iterator_traitsISG_E10value_typeEPNSM_ISH_E10value_typeEPSI_NS1_7vsmem_tEENKUlT_SG_SH_SI_E_clIS7_S7_S7_SB_EESF_SV_SG_SH_SI_EUlSV_E_NS1_11comp_targetILNS1_3genE5ELNS1_11target_archE942ELNS1_3gpuE9ELNS1_3repE0EEENS1_48merge_mergepath_partition_config_static_selectorELNS0_4arch9wavefront6targetE1EEEvSH_
	.p2align	8
	.type	_ZN7rocprim17ROCPRIM_400000_NS6detail17trampoline_kernelINS0_14default_configENS1_38merge_sort_block_merge_config_selectorIllEEZZNS1_27merge_sort_block_merge_implIS3_PlN6thrust23THRUST_200600_302600_NS10device_ptrIlEEjNS1_19radix_merge_compareILb0ELb0ElNS0_19identity_decomposerEEEEE10hipError_tT0_T1_T2_jT3_P12ihipStream_tbPNSt15iterator_traitsISG_E10value_typeEPNSM_ISH_E10value_typeEPSI_NS1_7vsmem_tEENKUlT_SG_SH_SI_E_clIS7_S7_S7_SB_EESF_SV_SG_SH_SI_EUlSV_E_NS1_11comp_targetILNS1_3genE5ELNS1_11target_archE942ELNS1_3gpuE9ELNS1_3repE0EEENS1_48merge_mergepath_partition_config_static_selectorELNS0_4arch9wavefront6targetE1EEEvSH_,@function
_ZN7rocprim17ROCPRIM_400000_NS6detail17trampoline_kernelINS0_14default_configENS1_38merge_sort_block_merge_config_selectorIllEEZZNS1_27merge_sort_block_merge_implIS3_PlN6thrust23THRUST_200600_302600_NS10device_ptrIlEEjNS1_19radix_merge_compareILb0ELb0ElNS0_19identity_decomposerEEEEE10hipError_tT0_T1_T2_jT3_P12ihipStream_tbPNSt15iterator_traitsISG_E10value_typeEPNSM_ISH_E10value_typeEPSI_NS1_7vsmem_tEENKUlT_SG_SH_SI_E_clIS7_S7_S7_SB_EESF_SV_SG_SH_SI_EUlSV_E_NS1_11comp_targetILNS1_3genE5ELNS1_11target_archE942ELNS1_3gpuE9ELNS1_3repE0EEENS1_48merge_mergepath_partition_config_static_selectorELNS0_4arch9wavefront6targetE1EEEvSH_: ; @_ZN7rocprim17ROCPRIM_400000_NS6detail17trampoline_kernelINS0_14default_configENS1_38merge_sort_block_merge_config_selectorIllEEZZNS1_27merge_sort_block_merge_implIS3_PlN6thrust23THRUST_200600_302600_NS10device_ptrIlEEjNS1_19radix_merge_compareILb0ELb0ElNS0_19identity_decomposerEEEEE10hipError_tT0_T1_T2_jT3_P12ihipStream_tbPNSt15iterator_traitsISG_E10value_typeEPNSM_ISH_E10value_typeEPSI_NS1_7vsmem_tEENKUlT_SG_SH_SI_E_clIS7_S7_S7_SB_EESF_SV_SG_SH_SI_EUlSV_E_NS1_11comp_targetILNS1_3genE5ELNS1_11target_archE942ELNS1_3gpuE9ELNS1_3repE0EEENS1_48merge_mergepath_partition_config_static_selectorELNS0_4arch9wavefront6targetE1EEEvSH_
; %bb.0:
	.section	.rodata,"a",@progbits
	.p2align	6, 0x0
	.amdhsa_kernel _ZN7rocprim17ROCPRIM_400000_NS6detail17trampoline_kernelINS0_14default_configENS1_38merge_sort_block_merge_config_selectorIllEEZZNS1_27merge_sort_block_merge_implIS3_PlN6thrust23THRUST_200600_302600_NS10device_ptrIlEEjNS1_19radix_merge_compareILb0ELb0ElNS0_19identity_decomposerEEEEE10hipError_tT0_T1_T2_jT3_P12ihipStream_tbPNSt15iterator_traitsISG_E10value_typeEPNSM_ISH_E10value_typeEPSI_NS1_7vsmem_tEENKUlT_SG_SH_SI_E_clIS7_S7_S7_SB_EESF_SV_SG_SH_SI_EUlSV_E_NS1_11comp_targetILNS1_3genE5ELNS1_11target_archE942ELNS1_3gpuE9ELNS1_3repE0EEENS1_48merge_mergepath_partition_config_static_selectorELNS0_4arch9wavefront6targetE1EEEvSH_
		.amdhsa_group_segment_fixed_size 0
		.amdhsa_private_segment_fixed_size 0
		.amdhsa_kernarg_size 40
		.amdhsa_user_sgpr_count 6
		.amdhsa_user_sgpr_private_segment_buffer 1
		.amdhsa_user_sgpr_dispatch_ptr 0
		.amdhsa_user_sgpr_queue_ptr 0
		.amdhsa_user_sgpr_kernarg_segment_ptr 1
		.amdhsa_user_sgpr_dispatch_id 0
		.amdhsa_user_sgpr_flat_scratch_init 0
		.amdhsa_user_sgpr_private_segment_size 0
		.amdhsa_uses_dynamic_stack 0
		.amdhsa_system_sgpr_private_segment_wavefront_offset 0
		.amdhsa_system_sgpr_workgroup_id_x 1
		.amdhsa_system_sgpr_workgroup_id_y 0
		.amdhsa_system_sgpr_workgroup_id_z 0
		.amdhsa_system_sgpr_workgroup_info 0
		.amdhsa_system_vgpr_workitem_id 0
		.amdhsa_next_free_vgpr 1
		.amdhsa_next_free_sgpr 0
		.amdhsa_reserve_vcc 0
		.amdhsa_reserve_flat_scratch 0
		.amdhsa_float_round_mode_32 0
		.amdhsa_float_round_mode_16_64 0
		.amdhsa_float_denorm_mode_32 3
		.amdhsa_float_denorm_mode_16_64 3
		.amdhsa_dx10_clamp 1
		.amdhsa_ieee_mode 1
		.amdhsa_fp16_overflow 0
		.amdhsa_exception_fp_ieee_invalid_op 0
		.amdhsa_exception_fp_denorm_src 0
		.amdhsa_exception_fp_ieee_div_zero 0
		.amdhsa_exception_fp_ieee_overflow 0
		.amdhsa_exception_fp_ieee_underflow 0
		.amdhsa_exception_fp_ieee_inexact 0
		.amdhsa_exception_int_div_zero 0
	.end_amdhsa_kernel
	.section	.text._ZN7rocprim17ROCPRIM_400000_NS6detail17trampoline_kernelINS0_14default_configENS1_38merge_sort_block_merge_config_selectorIllEEZZNS1_27merge_sort_block_merge_implIS3_PlN6thrust23THRUST_200600_302600_NS10device_ptrIlEEjNS1_19radix_merge_compareILb0ELb0ElNS0_19identity_decomposerEEEEE10hipError_tT0_T1_T2_jT3_P12ihipStream_tbPNSt15iterator_traitsISG_E10value_typeEPNSM_ISH_E10value_typeEPSI_NS1_7vsmem_tEENKUlT_SG_SH_SI_E_clIS7_S7_S7_SB_EESF_SV_SG_SH_SI_EUlSV_E_NS1_11comp_targetILNS1_3genE5ELNS1_11target_archE942ELNS1_3gpuE9ELNS1_3repE0EEENS1_48merge_mergepath_partition_config_static_selectorELNS0_4arch9wavefront6targetE1EEEvSH_,"axG",@progbits,_ZN7rocprim17ROCPRIM_400000_NS6detail17trampoline_kernelINS0_14default_configENS1_38merge_sort_block_merge_config_selectorIllEEZZNS1_27merge_sort_block_merge_implIS3_PlN6thrust23THRUST_200600_302600_NS10device_ptrIlEEjNS1_19radix_merge_compareILb0ELb0ElNS0_19identity_decomposerEEEEE10hipError_tT0_T1_T2_jT3_P12ihipStream_tbPNSt15iterator_traitsISG_E10value_typeEPNSM_ISH_E10value_typeEPSI_NS1_7vsmem_tEENKUlT_SG_SH_SI_E_clIS7_S7_S7_SB_EESF_SV_SG_SH_SI_EUlSV_E_NS1_11comp_targetILNS1_3genE5ELNS1_11target_archE942ELNS1_3gpuE9ELNS1_3repE0EEENS1_48merge_mergepath_partition_config_static_selectorELNS0_4arch9wavefront6targetE1EEEvSH_,comdat
.Lfunc_end1012:
	.size	_ZN7rocprim17ROCPRIM_400000_NS6detail17trampoline_kernelINS0_14default_configENS1_38merge_sort_block_merge_config_selectorIllEEZZNS1_27merge_sort_block_merge_implIS3_PlN6thrust23THRUST_200600_302600_NS10device_ptrIlEEjNS1_19radix_merge_compareILb0ELb0ElNS0_19identity_decomposerEEEEE10hipError_tT0_T1_T2_jT3_P12ihipStream_tbPNSt15iterator_traitsISG_E10value_typeEPNSM_ISH_E10value_typeEPSI_NS1_7vsmem_tEENKUlT_SG_SH_SI_E_clIS7_S7_S7_SB_EESF_SV_SG_SH_SI_EUlSV_E_NS1_11comp_targetILNS1_3genE5ELNS1_11target_archE942ELNS1_3gpuE9ELNS1_3repE0EEENS1_48merge_mergepath_partition_config_static_selectorELNS0_4arch9wavefront6targetE1EEEvSH_, .Lfunc_end1012-_ZN7rocprim17ROCPRIM_400000_NS6detail17trampoline_kernelINS0_14default_configENS1_38merge_sort_block_merge_config_selectorIllEEZZNS1_27merge_sort_block_merge_implIS3_PlN6thrust23THRUST_200600_302600_NS10device_ptrIlEEjNS1_19radix_merge_compareILb0ELb0ElNS0_19identity_decomposerEEEEE10hipError_tT0_T1_T2_jT3_P12ihipStream_tbPNSt15iterator_traitsISG_E10value_typeEPNSM_ISH_E10value_typeEPSI_NS1_7vsmem_tEENKUlT_SG_SH_SI_E_clIS7_S7_S7_SB_EESF_SV_SG_SH_SI_EUlSV_E_NS1_11comp_targetILNS1_3genE5ELNS1_11target_archE942ELNS1_3gpuE9ELNS1_3repE0EEENS1_48merge_mergepath_partition_config_static_selectorELNS0_4arch9wavefront6targetE1EEEvSH_
                                        ; -- End function
	.set _ZN7rocprim17ROCPRIM_400000_NS6detail17trampoline_kernelINS0_14default_configENS1_38merge_sort_block_merge_config_selectorIllEEZZNS1_27merge_sort_block_merge_implIS3_PlN6thrust23THRUST_200600_302600_NS10device_ptrIlEEjNS1_19radix_merge_compareILb0ELb0ElNS0_19identity_decomposerEEEEE10hipError_tT0_T1_T2_jT3_P12ihipStream_tbPNSt15iterator_traitsISG_E10value_typeEPNSM_ISH_E10value_typeEPSI_NS1_7vsmem_tEENKUlT_SG_SH_SI_E_clIS7_S7_S7_SB_EESF_SV_SG_SH_SI_EUlSV_E_NS1_11comp_targetILNS1_3genE5ELNS1_11target_archE942ELNS1_3gpuE9ELNS1_3repE0EEENS1_48merge_mergepath_partition_config_static_selectorELNS0_4arch9wavefront6targetE1EEEvSH_.num_vgpr, 0
	.set _ZN7rocprim17ROCPRIM_400000_NS6detail17trampoline_kernelINS0_14default_configENS1_38merge_sort_block_merge_config_selectorIllEEZZNS1_27merge_sort_block_merge_implIS3_PlN6thrust23THRUST_200600_302600_NS10device_ptrIlEEjNS1_19radix_merge_compareILb0ELb0ElNS0_19identity_decomposerEEEEE10hipError_tT0_T1_T2_jT3_P12ihipStream_tbPNSt15iterator_traitsISG_E10value_typeEPNSM_ISH_E10value_typeEPSI_NS1_7vsmem_tEENKUlT_SG_SH_SI_E_clIS7_S7_S7_SB_EESF_SV_SG_SH_SI_EUlSV_E_NS1_11comp_targetILNS1_3genE5ELNS1_11target_archE942ELNS1_3gpuE9ELNS1_3repE0EEENS1_48merge_mergepath_partition_config_static_selectorELNS0_4arch9wavefront6targetE1EEEvSH_.num_agpr, 0
	.set _ZN7rocprim17ROCPRIM_400000_NS6detail17trampoline_kernelINS0_14default_configENS1_38merge_sort_block_merge_config_selectorIllEEZZNS1_27merge_sort_block_merge_implIS3_PlN6thrust23THRUST_200600_302600_NS10device_ptrIlEEjNS1_19radix_merge_compareILb0ELb0ElNS0_19identity_decomposerEEEEE10hipError_tT0_T1_T2_jT3_P12ihipStream_tbPNSt15iterator_traitsISG_E10value_typeEPNSM_ISH_E10value_typeEPSI_NS1_7vsmem_tEENKUlT_SG_SH_SI_E_clIS7_S7_S7_SB_EESF_SV_SG_SH_SI_EUlSV_E_NS1_11comp_targetILNS1_3genE5ELNS1_11target_archE942ELNS1_3gpuE9ELNS1_3repE0EEENS1_48merge_mergepath_partition_config_static_selectorELNS0_4arch9wavefront6targetE1EEEvSH_.numbered_sgpr, 0
	.set _ZN7rocprim17ROCPRIM_400000_NS6detail17trampoline_kernelINS0_14default_configENS1_38merge_sort_block_merge_config_selectorIllEEZZNS1_27merge_sort_block_merge_implIS3_PlN6thrust23THRUST_200600_302600_NS10device_ptrIlEEjNS1_19radix_merge_compareILb0ELb0ElNS0_19identity_decomposerEEEEE10hipError_tT0_T1_T2_jT3_P12ihipStream_tbPNSt15iterator_traitsISG_E10value_typeEPNSM_ISH_E10value_typeEPSI_NS1_7vsmem_tEENKUlT_SG_SH_SI_E_clIS7_S7_S7_SB_EESF_SV_SG_SH_SI_EUlSV_E_NS1_11comp_targetILNS1_3genE5ELNS1_11target_archE942ELNS1_3gpuE9ELNS1_3repE0EEENS1_48merge_mergepath_partition_config_static_selectorELNS0_4arch9wavefront6targetE1EEEvSH_.num_named_barrier, 0
	.set _ZN7rocprim17ROCPRIM_400000_NS6detail17trampoline_kernelINS0_14default_configENS1_38merge_sort_block_merge_config_selectorIllEEZZNS1_27merge_sort_block_merge_implIS3_PlN6thrust23THRUST_200600_302600_NS10device_ptrIlEEjNS1_19radix_merge_compareILb0ELb0ElNS0_19identity_decomposerEEEEE10hipError_tT0_T1_T2_jT3_P12ihipStream_tbPNSt15iterator_traitsISG_E10value_typeEPNSM_ISH_E10value_typeEPSI_NS1_7vsmem_tEENKUlT_SG_SH_SI_E_clIS7_S7_S7_SB_EESF_SV_SG_SH_SI_EUlSV_E_NS1_11comp_targetILNS1_3genE5ELNS1_11target_archE942ELNS1_3gpuE9ELNS1_3repE0EEENS1_48merge_mergepath_partition_config_static_selectorELNS0_4arch9wavefront6targetE1EEEvSH_.private_seg_size, 0
	.set _ZN7rocprim17ROCPRIM_400000_NS6detail17trampoline_kernelINS0_14default_configENS1_38merge_sort_block_merge_config_selectorIllEEZZNS1_27merge_sort_block_merge_implIS3_PlN6thrust23THRUST_200600_302600_NS10device_ptrIlEEjNS1_19radix_merge_compareILb0ELb0ElNS0_19identity_decomposerEEEEE10hipError_tT0_T1_T2_jT3_P12ihipStream_tbPNSt15iterator_traitsISG_E10value_typeEPNSM_ISH_E10value_typeEPSI_NS1_7vsmem_tEENKUlT_SG_SH_SI_E_clIS7_S7_S7_SB_EESF_SV_SG_SH_SI_EUlSV_E_NS1_11comp_targetILNS1_3genE5ELNS1_11target_archE942ELNS1_3gpuE9ELNS1_3repE0EEENS1_48merge_mergepath_partition_config_static_selectorELNS0_4arch9wavefront6targetE1EEEvSH_.uses_vcc, 0
	.set _ZN7rocprim17ROCPRIM_400000_NS6detail17trampoline_kernelINS0_14default_configENS1_38merge_sort_block_merge_config_selectorIllEEZZNS1_27merge_sort_block_merge_implIS3_PlN6thrust23THRUST_200600_302600_NS10device_ptrIlEEjNS1_19radix_merge_compareILb0ELb0ElNS0_19identity_decomposerEEEEE10hipError_tT0_T1_T2_jT3_P12ihipStream_tbPNSt15iterator_traitsISG_E10value_typeEPNSM_ISH_E10value_typeEPSI_NS1_7vsmem_tEENKUlT_SG_SH_SI_E_clIS7_S7_S7_SB_EESF_SV_SG_SH_SI_EUlSV_E_NS1_11comp_targetILNS1_3genE5ELNS1_11target_archE942ELNS1_3gpuE9ELNS1_3repE0EEENS1_48merge_mergepath_partition_config_static_selectorELNS0_4arch9wavefront6targetE1EEEvSH_.uses_flat_scratch, 0
	.set _ZN7rocprim17ROCPRIM_400000_NS6detail17trampoline_kernelINS0_14default_configENS1_38merge_sort_block_merge_config_selectorIllEEZZNS1_27merge_sort_block_merge_implIS3_PlN6thrust23THRUST_200600_302600_NS10device_ptrIlEEjNS1_19radix_merge_compareILb0ELb0ElNS0_19identity_decomposerEEEEE10hipError_tT0_T1_T2_jT3_P12ihipStream_tbPNSt15iterator_traitsISG_E10value_typeEPNSM_ISH_E10value_typeEPSI_NS1_7vsmem_tEENKUlT_SG_SH_SI_E_clIS7_S7_S7_SB_EESF_SV_SG_SH_SI_EUlSV_E_NS1_11comp_targetILNS1_3genE5ELNS1_11target_archE942ELNS1_3gpuE9ELNS1_3repE0EEENS1_48merge_mergepath_partition_config_static_selectorELNS0_4arch9wavefront6targetE1EEEvSH_.has_dyn_sized_stack, 0
	.set _ZN7rocprim17ROCPRIM_400000_NS6detail17trampoline_kernelINS0_14default_configENS1_38merge_sort_block_merge_config_selectorIllEEZZNS1_27merge_sort_block_merge_implIS3_PlN6thrust23THRUST_200600_302600_NS10device_ptrIlEEjNS1_19radix_merge_compareILb0ELb0ElNS0_19identity_decomposerEEEEE10hipError_tT0_T1_T2_jT3_P12ihipStream_tbPNSt15iterator_traitsISG_E10value_typeEPNSM_ISH_E10value_typeEPSI_NS1_7vsmem_tEENKUlT_SG_SH_SI_E_clIS7_S7_S7_SB_EESF_SV_SG_SH_SI_EUlSV_E_NS1_11comp_targetILNS1_3genE5ELNS1_11target_archE942ELNS1_3gpuE9ELNS1_3repE0EEENS1_48merge_mergepath_partition_config_static_selectorELNS0_4arch9wavefront6targetE1EEEvSH_.has_recursion, 0
	.set _ZN7rocprim17ROCPRIM_400000_NS6detail17trampoline_kernelINS0_14default_configENS1_38merge_sort_block_merge_config_selectorIllEEZZNS1_27merge_sort_block_merge_implIS3_PlN6thrust23THRUST_200600_302600_NS10device_ptrIlEEjNS1_19radix_merge_compareILb0ELb0ElNS0_19identity_decomposerEEEEE10hipError_tT0_T1_T2_jT3_P12ihipStream_tbPNSt15iterator_traitsISG_E10value_typeEPNSM_ISH_E10value_typeEPSI_NS1_7vsmem_tEENKUlT_SG_SH_SI_E_clIS7_S7_S7_SB_EESF_SV_SG_SH_SI_EUlSV_E_NS1_11comp_targetILNS1_3genE5ELNS1_11target_archE942ELNS1_3gpuE9ELNS1_3repE0EEENS1_48merge_mergepath_partition_config_static_selectorELNS0_4arch9wavefront6targetE1EEEvSH_.has_indirect_call, 0
	.section	.AMDGPU.csdata,"",@progbits
; Kernel info:
; codeLenInByte = 0
; TotalNumSgprs: 4
; NumVgprs: 0
; ScratchSize: 0
; MemoryBound: 0
; FloatMode: 240
; IeeeMode: 1
; LDSByteSize: 0 bytes/workgroup (compile time only)
; SGPRBlocks: 0
; VGPRBlocks: 0
; NumSGPRsForWavesPerEU: 4
; NumVGPRsForWavesPerEU: 1
; Occupancy: 10
; WaveLimiterHint : 0
; COMPUTE_PGM_RSRC2:SCRATCH_EN: 0
; COMPUTE_PGM_RSRC2:USER_SGPR: 6
; COMPUTE_PGM_RSRC2:TRAP_HANDLER: 0
; COMPUTE_PGM_RSRC2:TGID_X_EN: 1
; COMPUTE_PGM_RSRC2:TGID_Y_EN: 0
; COMPUTE_PGM_RSRC2:TGID_Z_EN: 0
; COMPUTE_PGM_RSRC2:TIDIG_COMP_CNT: 0
	.section	.text._ZN7rocprim17ROCPRIM_400000_NS6detail17trampoline_kernelINS0_14default_configENS1_38merge_sort_block_merge_config_selectorIllEEZZNS1_27merge_sort_block_merge_implIS3_PlN6thrust23THRUST_200600_302600_NS10device_ptrIlEEjNS1_19radix_merge_compareILb0ELb0ElNS0_19identity_decomposerEEEEE10hipError_tT0_T1_T2_jT3_P12ihipStream_tbPNSt15iterator_traitsISG_E10value_typeEPNSM_ISH_E10value_typeEPSI_NS1_7vsmem_tEENKUlT_SG_SH_SI_E_clIS7_S7_S7_SB_EESF_SV_SG_SH_SI_EUlSV_E_NS1_11comp_targetILNS1_3genE4ELNS1_11target_archE910ELNS1_3gpuE8ELNS1_3repE0EEENS1_48merge_mergepath_partition_config_static_selectorELNS0_4arch9wavefront6targetE1EEEvSH_,"axG",@progbits,_ZN7rocprim17ROCPRIM_400000_NS6detail17trampoline_kernelINS0_14default_configENS1_38merge_sort_block_merge_config_selectorIllEEZZNS1_27merge_sort_block_merge_implIS3_PlN6thrust23THRUST_200600_302600_NS10device_ptrIlEEjNS1_19radix_merge_compareILb0ELb0ElNS0_19identity_decomposerEEEEE10hipError_tT0_T1_T2_jT3_P12ihipStream_tbPNSt15iterator_traitsISG_E10value_typeEPNSM_ISH_E10value_typeEPSI_NS1_7vsmem_tEENKUlT_SG_SH_SI_E_clIS7_S7_S7_SB_EESF_SV_SG_SH_SI_EUlSV_E_NS1_11comp_targetILNS1_3genE4ELNS1_11target_archE910ELNS1_3gpuE8ELNS1_3repE0EEENS1_48merge_mergepath_partition_config_static_selectorELNS0_4arch9wavefront6targetE1EEEvSH_,comdat
	.protected	_ZN7rocprim17ROCPRIM_400000_NS6detail17trampoline_kernelINS0_14default_configENS1_38merge_sort_block_merge_config_selectorIllEEZZNS1_27merge_sort_block_merge_implIS3_PlN6thrust23THRUST_200600_302600_NS10device_ptrIlEEjNS1_19radix_merge_compareILb0ELb0ElNS0_19identity_decomposerEEEEE10hipError_tT0_T1_T2_jT3_P12ihipStream_tbPNSt15iterator_traitsISG_E10value_typeEPNSM_ISH_E10value_typeEPSI_NS1_7vsmem_tEENKUlT_SG_SH_SI_E_clIS7_S7_S7_SB_EESF_SV_SG_SH_SI_EUlSV_E_NS1_11comp_targetILNS1_3genE4ELNS1_11target_archE910ELNS1_3gpuE8ELNS1_3repE0EEENS1_48merge_mergepath_partition_config_static_selectorELNS0_4arch9wavefront6targetE1EEEvSH_ ; -- Begin function _ZN7rocprim17ROCPRIM_400000_NS6detail17trampoline_kernelINS0_14default_configENS1_38merge_sort_block_merge_config_selectorIllEEZZNS1_27merge_sort_block_merge_implIS3_PlN6thrust23THRUST_200600_302600_NS10device_ptrIlEEjNS1_19radix_merge_compareILb0ELb0ElNS0_19identity_decomposerEEEEE10hipError_tT0_T1_T2_jT3_P12ihipStream_tbPNSt15iterator_traitsISG_E10value_typeEPNSM_ISH_E10value_typeEPSI_NS1_7vsmem_tEENKUlT_SG_SH_SI_E_clIS7_S7_S7_SB_EESF_SV_SG_SH_SI_EUlSV_E_NS1_11comp_targetILNS1_3genE4ELNS1_11target_archE910ELNS1_3gpuE8ELNS1_3repE0EEENS1_48merge_mergepath_partition_config_static_selectorELNS0_4arch9wavefront6targetE1EEEvSH_
	.globl	_ZN7rocprim17ROCPRIM_400000_NS6detail17trampoline_kernelINS0_14default_configENS1_38merge_sort_block_merge_config_selectorIllEEZZNS1_27merge_sort_block_merge_implIS3_PlN6thrust23THRUST_200600_302600_NS10device_ptrIlEEjNS1_19radix_merge_compareILb0ELb0ElNS0_19identity_decomposerEEEEE10hipError_tT0_T1_T2_jT3_P12ihipStream_tbPNSt15iterator_traitsISG_E10value_typeEPNSM_ISH_E10value_typeEPSI_NS1_7vsmem_tEENKUlT_SG_SH_SI_E_clIS7_S7_S7_SB_EESF_SV_SG_SH_SI_EUlSV_E_NS1_11comp_targetILNS1_3genE4ELNS1_11target_archE910ELNS1_3gpuE8ELNS1_3repE0EEENS1_48merge_mergepath_partition_config_static_selectorELNS0_4arch9wavefront6targetE1EEEvSH_
	.p2align	8
	.type	_ZN7rocprim17ROCPRIM_400000_NS6detail17trampoline_kernelINS0_14default_configENS1_38merge_sort_block_merge_config_selectorIllEEZZNS1_27merge_sort_block_merge_implIS3_PlN6thrust23THRUST_200600_302600_NS10device_ptrIlEEjNS1_19radix_merge_compareILb0ELb0ElNS0_19identity_decomposerEEEEE10hipError_tT0_T1_T2_jT3_P12ihipStream_tbPNSt15iterator_traitsISG_E10value_typeEPNSM_ISH_E10value_typeEPSI_NS1_7vsmem_tEENKUlT_SG_SH_SI_E_clIS7_S7_S7_SB_EESF_SV_SG_SH_SI_EUlSV_E_NS1_11comp_targetILNS1_3genE4ELNS1_11target_archE910ELNS1_3gpuE8ELNS1_3repE0EEENS1_48merge_mergepath_partition_config_static_selectorELNS0_4arch9wavefront6targetE1EEEvSH_,@function
_ZN7rocprim17ROCPRIM_400000_NS6detail17trampoline_kernelINS0_14default_configENS1_38merge_sort_block_merge_config_selectorIllEEZZNS1_27merge_sort_block_merge_implIS3_PlN6thrust23THRUST_200600_302600_NS10device_ptrIlEEjNS1_19radix_merge_compareILb0ELb0ElNS0_19identity_decomposerEEEEE10hipError_tT0_T1_T2_jT3_P12ihipStream_tbPNSt15iterator_traitsISG_E10value_typeEPNSM_ISH_E10value_typeEPSI_NS1_7vsmem_tEENKUlT_SG_SH_SI_E_clIS7_S7_S7_SB_EESF_SV_SG_SH_SI_EUlSV_E_NS1_11comp_targetILNS1_3genE4ELNS1_11target_archE910ELNS1_3gpuE8ELNS1_3repE0EEENS1_48merge_mergepath_partition_config_static_selectorELNS0_4arch9wavefront6targetE1EEEvSH_: ; @_ZN7rocprim17ROCPRIM_400000_NS6detail17trampoline_kernelINS0_14default_configENS1_38merge_sort_block_merge_config_selectorIllEEZZNS1_27merge_sort_block_merge_implIS3_PlN6thrust23THRUST_200600_302600_NS10device_ptrIlEEjNS1_19radix_merge_compareILb0ELb0ElNS0_19identity_decomposerEEEEE10hipError_tT0_T1_T2_jT3_P12ihipStream_tbPNSt15iterator_traitsISG_E10value_typeEPNSM_ISH_E10value_typeEPSI_NS1_7vsmem_tEENKUlT_SG_SH_SI_E_clIS7_S7_S7_SB_EESF_SV_SG_SH_SI_EUlSV_E_NS1_11comp_targetILNS1_3genE4ELNS1_11target_archE910ELNS1_3gpuE8ELNS1_3repE0EEENS1_48merge_mergepath_partition_config_static_selectorELNS0_4arch9wavefront6targetE1EEEvSH_
; %bb.0:
	.section	.rodata,"a",@progbits
	.p2align	6, 0x0
	.amdhsa_kernel _ZN7rocprim17ROCPRIM_400000_NS6detail17trampoline_kernelINS0_14default_configENS1_38merge_sort_block_merge_config_selectorIllEEZZNS1_27merge_sort_block_merge_implIS3_PlN6thrust23THRUST_200600_302600_NS10device_ptrIlEEjNS1_19radix_merge_compareILb0ELb0ElNS0_19identity_decomposerEEEEE10hipError_tT0_T1_T2_jT3_P12ihipStream_tbPNSt15iterator_traitsISG_E10value_typeEPNSM_ISH_E10value_typeEPSI_NS1_7vsmem_tEENKUlT_SG_SH_SI_E_clIS7_S7_S7_SB_EESF_SV_SG_SH_SI_EUlSV_E_NS1_11comp_targetILNS1_3genE4ELNS1_11target_archE910ELNS1_3gpuE8ELNS1_3repE0EEENS1_48merge_mergepath_partition_config_static_selectorELNS0_4arch9wavefront6targetE1EEEvSH_
		.amdhsa_group_segment_fixed_size 0
		.amdhsa_private_segment_fixed_size 0
		.amdhsa_kernarg_size 40
		.amdhsa_user_sgpr_count 6
		.amdhsa_user_sgpr_private_segment_buffer 1
		.amdhsa_user_sgpr_dispatch_ptr 0
		.amdhsa_user_sgpr_queue_ptr 0
		.amdhsa_user_sgpr_kernarg_segment_ptr 1
		.amdhsa_user_sgpr_dispatch_id 0
		.amdhsa_user_sgpr_flat_scratch_init 0
		.amdhsa_user_sgpr_private_segment_size 0
		.amdhsa_uses_dynamic_stack 0
		.amdhsa_system_sgpr_private_segment_wavefront_offset 0
		.amdhsa_system_sgpr_workgroup_id_x 1
		.amdhsa_system_sgpr_workgroup_id_y 0
		.amdhsa_system_sgpr_workgroup_id_z 0
		.amdhsa_system_sgpr_workgroup_info 0
		.amdhsa_system_vgpr_workitem_id 0
		.amdhsa_next_free_vgpr 1
		.amdhsa_next_free_sgpr 0
		.amdhsa_reserve_vcc 0
		.amdhsa_reserve_flat_scratch 0
		.amdhsa_float_round_mode_32 0
		.amdhsa_float_round_mode_16_64 0
		.amdhsa_float_denorm_mode_32 3
		.amdhsa_float_denorm_mode_16_64 3
		.amdhsa_dx10_clamp 1
		.amdhsa_ieee_mode 1
		.amdhsa_fp16_overflow 0
		.amdhsa_exception_fp_ieee_invalid_op 0
		.amdhsa_exception_fp_denorm_src 0
		.amdhsa_exception_fp_ieee_div_zero 0
		.amdhsa_exception_fp_ieee_overflow 0
		.amdhsa_exception_fp_ieee_underflow 0
		.amdhsa_exception_fp_ieee_inexact 0
		.amdhsa_exception_int_div_zero 0
	.end_amdhsa_kernel
	.section	.text._ZN7rocprim17ROCPRIM_400000_NS6detail17trampoline_kernelINS0_14default_configENS1_38merge_sort_block_merge_config_selectorIllEEZZNS1_27merge_sort_block_merge_implIS3_PlN6thrust23THRUST_200600_302600_NS10device_ptrIlEEjNS1_19radix_merge_compareILb0ELb0ElNS0_19identity_decomposerEEEEE10hipError_tT0_T1_T2_jT3_P12ihipStream_tbPNSt15iterator_traitsISG_E10value_typeEPNSM_ISH_E10value_typeEPSI_NS1_7vsmem_tEENKUlT_SG_SH_SI_E_clIS7_S7_S7_SB_EESF_SV_SG_SH_SI_EUlSV_E_NS1_11comp_targetILNS1_3genE4ELNS1_11target_archE910ELNS1_3gpuE8ELNS1_3repE0EEENS1_48merge_mergepath_partition_config_static_selectorELNS0_4arch9wavefront6targetE1EEEvSH_,"axG",@progbits,_ZN7rocprim17ROCPRIM_400000_NS6detail17trampoline_kernelINS0_14default_configENS1_38merge_sort_block_merge_config_selectorIllEEZZNS1_27merge_sort_block_merge_implIS3_PlN6thrust23THRUST_200600_302600_NS10device_ptrIlEEjNS1_19radix_merge_compareILb0ELb0ElNS0_19identity_decomposerEEEEE10hipError_tT0_T1_T2_jT3_P12ihipStream_tbPNSt15iterator_traitsISG_E10value_typeEPNSM_ISH_E10value_typeEPSI_NS1_7vsmem_tEENKUlT_SG_SH_SI_E_clIS7_S7_S7_SB_EESF_SV_SG_SH_SI_EUlSV_E_NS1_11comp_targetILNS1_3genE4ELNS1_11target_archE910ELNS1_3gpuE8ELNS1_3repE0EEENS1_48merge_mergepath_partition_config_static_selectorELNS0_4arch9wavefront6targetE1EEEvSH_,comdat
.Lfunc_end1013:
	.size	_ZN7rocprim17ROCPRIM_400000_NS6detail17trampoline_kernelINS0_14default_configENS1_38merge_sort_block_merge_config_selectorIllEEZZNS1_27merge_sort_block_merge_implIS3_PlN6thrust23THRUST_200600_302600_NS10device_ptrIlEEjNS1_19radix_merge_compareILb0ELb0ElNS0_19identity_decomposerEEEEE10hipError_tT0_T1_T2_jT3_P12ihipStream_tbPNSt15iterator_traitsISG_E10value_typeEPNSM_ISH_E10value_typeEPSI_NS1_7vsmem_tEENKUlT_SG_SH_SI_E_clIS7_S7_S7_SB_EESF_SV_SG_SH_SI_EUlSV_E_NS1_11comp_targetILNS1_3genE4ELNS1_11target_archE910ELNS1_3gpuE8ELNS1_3repE0EEENS1_48merge_mergepath_partition_config_static_selectorELNS0_4arch9wavefront6targetE1EEEvSH_, .Lfunc_end1013-_ZN7rocprim17ROCPRIM_400000_NS6detail17trampoline_kernelINS0_14default_configENS1_38merge_sort_block_merge_config_selectorIllEEZZNS1_27merge_sort_block_merge_implIS3_PlN6thrust23THRUST_200600_302600_NS10device_ptrIlEEjNS1_19radix_merge_compareILb0ELb0ElNS0_19identity_decomposerEEEEE10hipError_tT0_T1_T2_jT3_P12ihipStream_tbPNSt15iterator_traitsISG_E10value_typeEPNSM_ISH_E10value_typeEPSI_NS1_7vsmem_tEENKUlT_SG_SH_SI_E_clIS7_S7_S7_SB_EESF_SV_SG_SH_SI_EUlSV_E_NS1_11comp_targetILNS1_3genE4ELNS1_11target_archE910ELNS1_3gpuE8ELNS1_3repE0EEENS1_48merge_mergepath_partition_config_static_selectorELNS0_4arch9wavefront6targetE1EEEvSH_
                                        ; -- End function
	.set _ZN7rocprim17ROCPRIM_400000_NS6detail17trampoline_kernelINS0_14default_configENS1_38merge_sort_block_merge_config_selectorIllEEZZNS1_27merge_sort_block_merge_implIS3_PlN6thrust23THRUST_200600_302600_NS10device_ptrIlEEjNS1_19radix_merge_compareILb0ELb0ElNS0_19identity_decomposerEEEEE10hipError_tT0_T1_T2_jT3_P12ihipStream_tbPNSt15iterator_traitsISG_E10value_typeEPNSM_ISH_E10value_typeEPSI_NS1_7vsmem_tEENKUlT_SG_SH_SI_E_clIS7_S7_S7_SB_EESF_SV_SG_SH_SI_EUlSV_E_NS1_11comp_targetILNS1_3genE4ELNS1_11target_archE910ELNS1_3gpuE8ELNS1_3repE0EEENS1_48merge_mergepath_partition_config_static_selectorELNS0_4arch9wavefront6targetE1EEEvSH_.num_vgpr, 0
	.set _ZN7rocprim17ROCPRIM_400000_NS6detail17trampoline_kernelINS0_14default_configENS1_38merge_sort_block_merge_config_selectorIllEEZZNS1_27merge_sort_block_merge_implIS3_PlN6thrust23THRUST_200600_302600_NS10device_ptrIlEEjNS1_19radix_merge_compareILb0ELb0ElNS0_19identity_decomposerEEEEE10hipError_tT0_T1_T2_jT3_P12ihipStream_tbPNSt15iterator_traitsISG_E10value_typeEPNSM_ISH_E10value_typeEPSI_NS1_7vsmem_tEENKUlT_SG_SH_SI_E_clIS7_S7_S7_SB_EESF_SV_SG_SH_SI_EUlSV_E_NS1_11comp_targetILNS1_3genE4ELNS1_11target_archE910ELNS1_3gpuE8ELNS1_3repE0EEENS1_48merge_mergepath_partition_config_static_selectorELNS0_4arch9wavefront6targetE1EEEvSH_.num_agpr, 0
	.set _ZN7rocprim17ROCPRIM_400000_NS6detail17trampoline_kernelINS0_14default_configENS1_38merge_sort_block_merge_config_selectorIllEEZZNS1_27merge_sort_block_merge_implIS3_PlN6thrust23THRUST_200600_302600_NS10device_ptrIlEEjNS1_19radix_merge_compareILb0ELb0ElNS0_19identity_decomposerEEEEE10hipError_tT0_T1_T2_jT3_P12ihipStream_tbPNSt15iterator_traitsISG_E10value_typeEPNSM_ISH_E10value_typeEPSI_NS1_7vsmem_tEENKUlT_SG_SH_SI_E_clIS7_S7_S7_SB_EESF_SV_SG_SH_SI_EUlSV_E_NS1_11comp_targetILNS1_3genE4ELNS1_11target_archE910ELNS1_3gpuE8ELNS1_3repE0EEENS1_48merge_mergepath_partition_config_static_selectorELNS0_4arch9wavefront6targetE1EEEvSH_.numbered_sgpr, 0
	.set _ZN7rocprim17ROCPRIM_400000_NS6detail17trampoline_kernelINS0_14default_configENS1_38merge_sort_block_merge_config_selectorIllEEZZNS1_27merge_sort_block_merge_implIS3_PlN6thrust23THRUST_200600_302600_NS10device_ptrIlEEjNS1_19radix_merge_compareILb0ELb0ElNS0_19identity_decomposerEEEEE10hipError_tT0_T1_T2_jT3_P12ihipStream_tbPNSt15iterator_traitsISG_E10value_typeEPNSM_ISH_E10value_typeEPSI_NS1_7vsmem_tEENKUlT_SG_SH_SI_E_clIS7_S7_S7_SB_EESF_SV_SG_SH_SI_EUlSV_E_NS1_11comp_targetILNS1_3genE4ELNS1_11target_archE910ELNS1_3gpuE8ELNS1_3repE0EEENS1_48merge_mergepath_partition_config_static_selectorELNS0_4arch9wavefront6targetE1EEEvSH_.num_named_barrier, 0
	.set _ZN7rocprim17ROCPRIM_400000_NS6detail17trampoline_kernelINS0_14default_configENS1_38merge_sort_block_merge_config_selectorIllEEZZNS1_27merge_sort_block_merge_implIS3_PlN6thrust23THRUST_200600_302600_NS10device_ptrIlEEjNS1_19radix_merge_compareILb0ELb0ElNS0_19identity_decomposerEEEEE10hipError_tT0_T1_T2_jT3_P12ihipStream_tbPNSt15iterator_traitsISG_E10value_typeEPNSM_ISH_E10value_typeEPSI_NS1_7vsmem_tEENKUlT_SG_SH_SI_E_clIS7_S7_S7_SB_EESF_SV_SG_SH_SI_EUlSV_E_NS1_11comp_targetILNS1_3genE4ELNS1_11target_archE910ELNS1_3gpuE8ELNS1_3repE0EEENS1_48merge_mergepath_partition_config_static_selectorELNS0_4arch9wavefront6targetE1EEEvSH_.private_seg_size, 0
	.set _ZN7rocprim17ROCPRIM_400000_NS6detail17trampoline_kernelINS0_14default_configENS1_38merge_sort_block_merge_config_selectorIllEEZZNS1_27merge_sort_block_merge_implIS3_PlN6thrust23THRUST_200600_302600_NS10device_ptrIlEEjNS1_19radix_merge_compareILb0ELb0ElNS0_19identity_decomposerEEEEE10hipError_tT0_T1_T2_jT3_P12ihipStream_tbPNSt15iterator_traitsISG_E10value_typeEPNSM_ISH_E10value_typeEPSI_NS1_7vsmem_tEENKUlT_SG_SH_SI_E_clIS7_S7_S7_SB_EESF_SV_SG_SH_SI_EUlSV_E_NS1_11comp_targetILNS1_3genE4ELNS1_11target_archE910ELNS1_3gpuE8ELNS1_3repE0EEENS1_48merge_mergepath_partition_config_static_selectorELNS0_4arch9wavefront6targetE1EEEvSH_.uses_vcc, 0
	.set _ZN7rocprim17ROCPRIM_400000_NS6detail17trampoline_kernelINS0_14default_configENS1_38merge_sort_block_merge_config_selectorIllEEZZNS1_27merge_sort_block_merge_implIS3_PlN6thrust23THRUST_200600_302600_NS10device_ptrIlEEjNS1_19radix_merge_compareILb0ELb0ElNS0_19identity_decomposerEEEEE10hipError_tT0_T1_T2_jT3_P12ihipStream_tbPNSt15iterator_traitsISG_E10value_typeEPNSM_ISH_E10value_typeEPSI_NS1_7vsmem_tEENKUlT_SG_SH_SI_E_clIS7_S7_S7_SB_EESF_SV_SG_SH_SI_EUlSV_E_NS1_11comp_targetILNS1_3genE4ELNS1_11target_archE910ELNS1_3gpuE8ELNS1_3repE0EEENS1_48merge_mergepath_partition_config_static_selectorELNS0_4arch9wavefront6targetE1EEEvSH_.uses_flat_scratch, 0
	.set _ZN7rocprim17ROCPRIM_400000_NS6detail17trampoline_kernelINS0_14default_configENS1_38merge_sort_block_merge_config_selectorIllEEZZNS1_27merge_sort_block_merge_implIS3_PlN6thrust23THRUST_200600_302600_NS10device_ptrIlEEjNS1_19radix_merge_compareILb0ELb0ElNS0_19identity_decomposerEEEEE10hipError_tT0_T1_T2_jT3_P12ihipStream_tbPNSt15iterator_traitsISG_E10value_typeEPNSM_ISH_E10value_typeEPSI_NS1_7vsmem_tEENKUlT_SG_SH_SI_E_clIS7_S7_S7_SB_EESF_SV_SG_SH_SI_EUlSV_E_NS1_11comp_targetILNS1_3genE4ELNS1_11target_archE910ELNS1_3gpuE8ELNS1_3repE0EEENS1_48merge_mergepath_partition_config_static_selectorELNS0_4arch9wavefront6targetE1EEEvSH_.has_dyn_sized_stack, 0
	.set _ZN7rocprim17ROCPRIM_400000_NS6detail17trampoline_kernelINS0_14default_configENS1_38merge_sort_block_merge_config_selectorIllEEZZNS1_27merge_sort_block_merge_implIS3_PlN6thrust23THRUST_200600_302600_NS10device_ptrIlEEjNS1_19radix_merge_compareILb0ELb0ElNS0_19identity_decomposerEEEEE10hipError_tT0_T1_T2_jT3_P12ihipStream_tbPNSt15iterator_traitsISG_E10value_typeEPNSM_ISH_E10value_typeEPSI_NS1_7vsmem_tEENKUlT_SG_SH_SI_E_clIS7_S7_S7_SB_EESF_SV_SG_SH_SI_EUlSV_E_NS1_11comp_targetILNS1_3genE4ELNS1_11target_archE910ELNS1_3gpuE8ELNS1_3repE0EEENS1_48merge_mergepath_partition_config_static_selectorELNS0_4arch9wavefront6targetE1EEEvSH_.has_recursion, 0
	.set _ZN7rocprim17ROCPRIM_400000_NS6detail17trampoline_kernelINS0_14default_configENS1_38merge_sort_block_merge_config_selectorIllEEZZNS1_27merge_sort_block_merge_implIS3_PlN6thrust23THRUST_200600_302600_NS10device_ptrIlEEjNS1_19radix_merge_compareILb0ELb0ElNS0_19identity_decomposerEEEEE10hipError_tT0_T1_T2_jT3_P12ihipStream_tbPNSt15iterator_traitsISG_E10value_typeEPNSM_ISH_E10value_typeEPSI_NS1_7vsmem_tEENKUlT_SG_SH_SI_E_clIS7_S7_S7_SB_EESF_SV_SG_SH_SI_EUlSV_E_NS1_11comp_targetILNS1_3genE4ELNS1_11target_archE910ELNS1_3gpuE8ELNS1_3repE0EEENS1_48merge_mergepath_partition_config_static_selectorELNS0_4arch9wavefront6targetE1EEEvSH_.has_indirect_call, 0
	.section	.AMDGPU.csdata,"",@progbits
; Kernel info:
; codeLenInByte = 0
; TotalNumSgprs: 4
; NumVgprs: 0
; ScratchSize: 0
; MemoryBound: 0
; FloatMode: 240
; IeeeMode: 1
; LDSByteSize: 0 bytes/workgroup (compile time only)
; SGPRBlocks: 0
; VGPRBlocks: 0
; NumSGPRsForWavesPerEU: 4
; NumVGPRsForWavesPerEU: 1
; Occupancy: 10
; WaveLimiterHint : 0
; COMPUTE_PGM_RSRC2:SCRATCH_EN: 0
; COMPUTE_PGM_RSRC2:USER_SGPR: 6
; COMPUTE_PGM_RSRC2:TRAP_HANDLER: 0
; COMPUTE_PGM_RSRC2:TGID_X_EN: 1
; COMPUTE_PGM_RSRC2:TGID_Y_EN: 0
; COMPUTE_PGM_RSRC2:TGID_Z_EN: 0
; COMPUTE_PGM_RSRC2:TIDIG_COMP_CNT: 0
	.section	.text._ZN7rocprim17ROCPRIM_400000_NS6detail17trampoline_kernelINS0_14default_configENS1_38merge_sort_block_merge_config_selectorIllEEZZNS1_27merge_sort_block_merge_implIS3_PlN6thrust23THRUST_200600_302600_NS10device_ptrIlEEjNS1_19radix_merge_compareILb0ELb0ElNS0_19identity_decomposerEEEEE10hipError_tT0_T1_T2_jT3_P12ihipStream_tbPNSt15iterator_traitsISG_E10value_typeEPNSM_ISH_E10value_typeEPSI_NS1_7vsmem_tEENKUlT_SG_SH_SI_E_clIS7_S7_S7_SB_EESF_SV_SG_SH_SI_EUlSV_E_NS1_11comp_targetILNS1_3genE3ELNS1_11target_archE908ELNS1_3gpuE7ELNS1_3repE0EEENS1_48merge_mergepath_partition_config_static_selectorELNS0_4arch9wavefront6targetE1EEEvSH_,"axG",@progbits,_ZN7rocprim17ROCPRIM_400000_NS6detail17trampoline_kernelINS0_14default_configENS1_38merge_sort_block_merge_config_selectorIllEEZZNS1_27merge_sort_block_merge_implIS3_PlN6thrust23THRUST_200600_302600_NS10device_ptrIlEEjNS1_19radix_merge_compareILb0ELb0ElNS0_19identity_decomposerEEEEE10hipError_tT0_T1_T2_jT3_P12ihipStream_tbPNSt15iterator_traitsISG_E10value_typeEPNSM_ISH_E10value_typeEPSI_NS1_7vsmem_tEENKUlT_SG_SH_SI_E_clIS7_S7_S7_SB_EESF_SV_SG_SH_SI_EUlSV_E_NS1_11comp_targetILNS1_3genE3ELNS1_11target_archE908ELNS1_3gpuE7ELNS1_3repE0EEENS1_48merge_mergepath_partition_config_static_selectorELNS0_4arch9wavefront6targetE1EEEvSH_,comdat
	.protected	_ZN7rocprim17ROCPRIM_400000_NS6detail17trampoline_kernelINS0_14default_configENS1_38merge_sort_block_merge_config_selectorIllEEZZNS1_27merge_sort_block_merge_implIS3_PlN6thrust23THRUST_200600_302600_NS10device_ptrIlEEjNS1_19radix_merge_compareILb0ELb0ElNS0_19identity_decomposerEEEEE10hipError_tT0_T1_T2_jT3_P12ihipStream_tbPNSt15iterator_traitsISG_E10value_typeEPNSM_ISH_E10value_typeEPSI_NS1_7vsmem_tEENKUlT_SG_SH_SI_E_clIS7_S7_S7_SB_EESF_SV_SG_SH_SI_EUlSV_E_NS1_11comp_targetILNS1_3genE3ELNS1_11target_archE908ELNS1_3gpuE7ELNS1_3repE0EEENS1_48merge_mergepath_partition_config_static_selectorELNS0_4arch9wavefront6targetE1EEEvSH_ ; -- Begin function _ZN7rocprim17ROCPRIM_400000_NS6detail17trampoline_kernelINS0_14default_configENS1_38merge_sort_block_merge_config_selectorIllEEZZNS1_27merge_sort_block_merge_implIS3_PlN6thrust23THRUST_200600_302600_NS10device_ptrIlEEjNS1_19radix_merge_compareILb0ELb0ElNS0_19identity_decomposerEEEEE10hipError_tT0_T1_T2_jT3_P12ihipStream_tbPNSt15iterator_traitsISG_E10value_typeEPNSM_ISH_E10value_typeEPSI_NS1_7vsmem_tEENKUlT_SG_SH_SI_E_clIS7_S7_S7_SB_EESF_SV_SG_SH_SI_EUlSV_E_NS1_11comp_targetILNS1_3genE3ELNS1_11target_archE908ELNS1_3gpuE7ELNS1_3repE0EEENS1_48merge_mergepath_partition_config_static_selectorELNS0_4arch9wavefront6targetE1EEEvSH_
	.globl	_ZN7rocprim17ROCPRIM_400000_NS6detail17trampoline_kernelINS0_14default_configENS1_38merge_sort_block_merge_config_selectorIllEEZZNS1_27merge_sort_block_merge_implIS3_PlN6thrust23THRUST_200600_302600_NS10device_ptrIlEEjNS1_19radix_merge_compareILb0ELb0ElNS0_19identity_decomposerEEEEE10hipError_tT0_T1_T2_jT3_P12ihipStream_tbPNSt15iterator_traitsISG_E10value_typeEPNSM_ISH_E10value_typeEPSI_NS1_7vsmem_tEENKUlT_SG_SH_SI_E_clIS7_S7_S7_SB_EESF_SV_SG_SH_SI_EUlSV_E_NS1_11comp_targetILNS1_3genE3ELNS1_11target_archE908ELNS1_3gpuE7ELNS1_3repE0EEENS1_48merge_mergepath_partition_config_static_selectorELNS0_4arch9wavefront6targetE1EEEvSH_
	.p2align	8
	.type	_ZN7rocprim17ROCPRIM_400000_NS6detail17trampoline_kernelINS0_14default_configENS1_38merge_sort_block_merge_config_selectorIllEEZZNS1_27merge_sort_block_merge_implIS3_PlN6thrust23THRUST_200600_302600_NS10device_ptrIlEEjNS1_19radix_merge_compareILb0ELb0ElNS0_19identity_decomposerEEEEE10hipError_tT0_T1_T2_jT3_P12ihipStream_tbPNSt15iterator_traitsISG_E10value_typeEPNSM_ISH_E10value_typeEPSI_NS1_7vsmem_tEENKUlT_SG_SH_SI_E_clIS7_S7_S7_SB_EESF_SV_SG_SH_SI_EUlSV_E_NS1_11comp_targetILNS1_3genE3ELNS1_11target_archE908ELNS1_3gpuE7ELNS1_3repE0EEENS1_48merge_mergepath_partition_config_static_selectorELNS0_4arch9wavefront6targetE1EEEvSH_,@function
_ZN7rocprim17ROCPRIM_400000_NS6detail17trampoline_kernelINS0_14default_configENS1_38merge_sort_block_merge_config_selectorIllEEZZNS1_27merge_sort_block_merge_implIS3_PlN6thrust23THRUST_200600_302600_NS10device_ptrIlEEjNS1_19radix_merge_compareILb0ELb0ElNS0_19identity_decomposerEEEEE10hipError_tT0_T1_T2_jT3_P12ihipStream_tbPNSt15iterator_traitsISG_E10value_typeEPNSM_ISH_E10value_typeEPSI_NS1_7vsmem_tEENKUlT_SG_SH_SI_E_clIS7_S7_S7_SB_EESF_SV_SG_SH_SI_EUlSV_E_NS1_11comp_targetILNS1_3genE3ELNS1_11target_archE908ELNS1_3gpuE7ELNS1_3repE0EEENS1_48merge_mergepath_partition_config_static_selectorELNS0_4arch9wavefront6targetE1EEEvSH_: ; @_ZN7rocprim17ROCPRIM_400000_NS6detail17trampoline_kernelINS0_14default_configENS1_38merge_sort_block_merge_config_selectorIllEEZZNS1_27merge_sort_block_merge_implIS3_PlN6thrust23THRUST_200600_302600_NS10device_ptrIlEEjNS1_19radix_merge_compareILb0ELb0ElNS0_19identity_decomposerEEEEE10hipError_tT0_T1_T2_jT3_P12ihipStream_tbPNSt15iterator_traitsISG_E10value_typeEPNSM_ISH_E10value_typeEPSI_NS1_7vsmem_tEENKUlT_SG_SH_SI_E_clIS7_S7_S7_SB_EESF_SV_SG_SH_SI_EUlSV_E_NS1_11comp_targetILNS1_3genE3ELNS1_11target_archE908ELNS1_3gpuE7ELNS1_3repE0EEENS1_48merge_mergepath_partition_config_static_selectorELNS0_4arch9wavefront6targetE1EEEvSH_
; %bb.0:
	.section	.rodata,"a",@progbits
	.p2align	6, 0x0
	.amdhsa_kernel _ZN7rocprim17ROCPRIM_400000_NS6detail17trampoline_kernelINS0_14default_configENS1_38merge_sort_block_merge_config_selectorIllEEZZNS1_27merge_sort_block_merge_implIS3_PlN6thrust23THRUST_200600_302600_NS10device_ptrIlEEjNS1_19radix_merge_compareILb0ELb0ElNS0_19identity_decomposerEEEEE10hipError_tT0_T1_T2_jT3_P12ihipStream_tbPNSt15iterator_traitsISG_E10value_typeEPNSM_ISH_E10value_typeEPSI_NS1_7vsmem_tEENKUlT_SG_SH_SI_E_clIS7_S7_S7_SB_EESF_SV_SG_SH_SI_EUlSV_E_NS1_11comp_targetILNS1_3genE3ELNS1_11target_archE908ELNS1_3gpuE7ELNS1_3repE0EEENS1_48merge_mergepath_partition_config_static_selectorELNS0_4arch9wavefront6targetE1EEEvSH_
		.amdhsa_group_segment_fixed_size 0
		.amdhsa_private_segment_fixed_size 0
		.amdhsa_kernarg_size 40
		.amdhsa_user_sgpr_count 6
		.amdhsa_user_sgpr_private_segment_buffer 1
		.amdhsa_user_sgpr_dispatch_ptr 0
		.amdhsa_user_sgpr_queue_ptr 0
		.amdhsa_user_sgpr_kernarg_segment_ptr 1
		.amdhsa_user_sgpr_dispatch_id 0
		.amdhsa_user_sgpr_flat_scratch_init 0
		.amdhsa_user_sgpr_private_segment_size 0
		.amdhsa_uses_dynamic_stack 0
		.amdhsa_system_sgpr_private_segment_wavefront_offset 0
		.amdhsa_system_sgpr_workgroup_id_x 1
		.amdhsa_system_sgpr_workgroup_id_y 0
		.amdhsa_system_sgpr_workgroup_id_z 0
		.amdhsa_system_sgpr_workgroup_info 0
		.amdhsa_system_vgpr_workitem_id 0
		.amdhsa_next_free_vgpr 1
		.amdhsa_next_free_sgpr 0
		.amdhsa_reserve_vcc 0
		.amdhsa_reserve_flat_scratch 0
		.amdhsa_float_round_mode_32 0
		.amdhsa_float_round_mode_16_64 0
		.amdhsa_float_denorm_mode_32 3
		.amdhsa_float_denorm_mode_16_64 3
		.amdhsa_dx10_clamp 1
		.amdhsa_ieee_mode 1
		.amdhsa_fp16_overflow 0
		.amdhsa_exception_fp_ieee_invalid_op 0
		.amdhsa_exception_fp_denorm_src 0
		.amdhsa_exception_fp_ieee_div_zero 0
		.amdhsa_exception_fp_ieee_overflow 0
		.amdhsa_exception_fp_ieee_underflow 0
		.amdhsa_exception_fp_ieee_inexact 0
		.amdhsa_exception_int_div_zero 0
	.end_amdhsa_kernel
	.section	.text._ZN7rocprim17ROCPRIM_400000_NS6detail17trampoline_kernelINS0_14default_configENS1_38merge_sort_block_merge_config_selectorIllEEZZNS1_27merge_sort_block_merge_implIS3_PlN6thrust23THRUST_200600_302600_NS10device_ptrIlEEjNS1_19radix_merge_compareILb0ELb0ElNS0_19identity_decomposerEEEEE10hipError_tT0_T1_T2_jT3_P12ihipStream_tbPNSt15iterator_traitsISG_E10value_typeEPNSM_ISH_E10value_typeEPSI_NS1_7vsmem_tEENKUlT_SG_SH_SI_E_clIS7_S7_S7_SB_EESF_SV_SG_SH_SI_EUlSV_E_NS1_11comp_targetILNS1_3genE3ELNS1_11target_archE908ELNS1_3gpuE7ELNS1_3repE0EEENS1_48merge_mergepath_partition_config_static_selectorELNS0_4arch9wavefront6targetE1EEEvSH_,"axG",@progbits,_ZN7rocprim17ROCPRIM_400000_NS6detail17trampoline_kernelINS0_14default_configENS1_38merge_sort_block_merge_config_selectorIllEEZZNS1_27merge_sort_block_merge_implIS3_PlN6thrust23THRUST_200600_302600_NS10device_ptrIlEEjNS1_19radix_merge_compareILb0ELb0ElNS0_19identity_decomposerEEEEE10hipError_tT0_T1_T2_jT3_P12ihipStream_tbPNSt15iterator_traitsISG_E10value_typeEPNSM_ISH_E10value_typeEPSI_NS1_7vsmem_tEENKUlT_SG_SH_SI_E_clIS7_S7_S7_SB_EESF_SV_SG_SH_SI_EUlSV_E_NS1_11comp_targetILNS1_3genE3ELNS1_11target_archE908ELNS1_3gpuE7ELNS1_3repE0EEENS1_48merge_mergepath_partition_config_static_selectorELNS0_4arch9wavefront6targetE1EEEvSH_,comdat
.Lfunc_end1014:
	.size	_ZN7rocprim17ROCPRIM_400000_NS6detail17trampoline_kernelINS0_14default_configENS1_38merge_sort_block_merge_config_selectorIllEEZZNS1_27merge_sort_block_merge_implIS3_PlN6thrust23THRUST_200600_302600_NS10device_ptrIlEEjNS1_19radix_merge_compareILb0ELb0ElNS0_19identity_decomposerEEEEE10hipError_tT0_T1_T2_jT3_P12ihipStream_tbPNSt15iterator_traitsISG_E10value_typeEPNSM_ISH_E10value_typeEPSI_NS1_7vsmem_tEENKUlT_SG_SH_SI_E_clIS7_S7_S7_SB_EESF_SV_SG_SH_SI_EUlSV_E_NS1_11comp_targetILNS1_3genE3ELNS1_11target_archE908ELNS1_3gpuE7ELNS1_3repE0EEENS1_48merge_mergepath_partition_config_static_selectorELNS0_4arch9wavefront6targetE1EEEvSH_, .Lfunc_end1014-_ZN7rocprim17ROCPRIM_400000_NS6detail17trampoline_kernelINS0_14default_configENS1_38merge_sort_block_merge_config_selectorIllEEZZNS1_27merge_sort_block_merge_implIS3_PlN6thrust23THRUST_200600_302600_NS10device_ptrIlEEjNS1_19radix_merge_compareILb0ELb0ElNS0_19identity_decomposerEEEEE10hipError_tT0_T1_T2_jT3_P12ihipStream_tbPNSt15iterator_traitsISG_E10value_typeEPNSM_ISH_E10value_typeEPSI_NS1_7vsmem_tEENKUlT_SG_SH_SI_E_clIS7_S7_S7_SB_EESF_SV_SG_SH_SI_EUlSV_E_NS1_11comp_targetILNS1_3genE3ELNS1_11target_archE908ELNS1_3gpuE7ELNS1_3repE0EEENS1_48merge_mergepath_partition_config_static_selectorELNS0_4arch9wavefront6targetE1EEEvSH_
                                        ; -- End function
	.set _ZN7rocprim17ROCPRIM_400000_NS6detail17trampoline_kernelINS0_14default_configENS1_38merge_sort_block_merge_config_selectorIllEEZZNS1_27merge_sort_block_merge_implIS3_PlN6thrust23THRUST_200600_302600_NS10device_ptrIlEEjNS1_19radix_merge_compareILb0ELb0ElNS0_19identity_decomposerEEEEE10hipError_tT0_T1_T2_jT3_P12ihipStream_tbPNSt15iterator_traitsISG_E10value_typeEPNSM_ISH_E10value_typeEPSI_NS1_7vsmem_tEENKUlT_SG_SH_SI_E_clIS7_S7_S7_SB_EESF_SV_SG_SH_SI_EUlSV_E_NS1_11comp_targetILNS1_3genE3ELNS1_11target_archE908ELNS1_3gpuE7ELNS1_3repE0EEENS1_48merge_mergepath_partition_config_static_selectorELNS0_4arch9wavefront6targetE1EEEvSH_.num_vgpr, 0
	.set _ZN7rocprim17ROCPRIM_400000_NS6detail17trampoline_kernelINS0_14default_configENS1_38merge_sort_block_merge_config_selectorIllEEZZNS1_27merge_sort_block_merge_implIS3_PlN6thrust23THRUST_200600_302600_NS10device_ptrIlEEjNS1_19radix_merge_compareILb0ELb0ElNS0_19identity_decomposerEEEEE10hipError_tT0_T1_T2_jT3_P12ihipStream_tbPNSt15iterator_traitsISG_E10value_typeEPNSM_ISH_E10value_typeEPSI_NS1_7vsmem_tEENKUlT_SG_SH_SI_E_clIS7_S7_S7_SB_EESF_SV_SG_SH_SI_EUlSV_E_NS1_11comp_targetILNS1_3genE3ELNS1_11target_archE908ELNS1_3gpuE7ELNS1_3repE0EEENS1_48merge_mergepath_partition_config_static_selectorELNS0_4arch9wavefront6targetE1EEEvSH_.num_agpr, 0
	.set _ZN7rocprim17ROCPRIM_400000_NS6detail17trampoline_kernelINS0_14default_configENS1_38merge_sort_block_merge_config_selectorIllEEZZNS1_27merge_sort_block_merge_implIS3_PlN6thrust23THRUST_200600_302600_NS10device_ptrIlEEjNS1_19radix_merge_compareILb0ELb0ElNS0_19identity_decomposerEEEEE10hipError_tT0_T1_T2_jT3_P12ihipStream_tbPNSt15iterator_traitsISG_E10value_typeEPNSM_ISH_E10value_typeEPSI_NS1_7vsmem_tEENKUlT_SG_SH_SI_E_clIS7_S7_S7_SB_EESF_SV_SG_SH_SI_EUlSV_E_NS1_11comp_targetILNS1_3genE3ELNS1_11target_archE908ELNS1_3gpuE7ELNS1_3repE0EEENS1_48merge_mergepath_partition_config_static_selectorELNS0_4arch9wavefront6targetE1EEEvSH_.numbered_sgpr, 0
	.set _ZN7rocprim17ROCPRIM_400000_NS6detail17trampoline_kernelINS0_14default_configENS1_38merge_sort_block_merge_config_selectorIllEEZZNS1_27merge_sort_block_merge_implIS3_PlN6thrust23THRUST_200600_302600_NS10device_ptrIlEEjNS1_19radix_merge_compareILb0ELb0ElNS0_19identity_decomposerEEEEE10hipError_tT0_T1_T2_jT3_P12ihipStream_tbPNSt15iterator_traitsISG_E10value_typeEPNSM_ISH_E10value_typeEPSI_NS1_7vsmem_tEENKUlT_SG_SH_SI_E_clIS7_S7_S7_SB_EESF_SV_SG_SH_SI_EUlSV_E_NS1_11comp_targetILNS1_3genE3ELNS1_11target_archE908ELNS1_3gpuE7ELNS1_3repE0EEENS1_48merge_mergepath_partition_config_static_selectorELNS0_4arch9wavefront6targetE1EEEvSH_.num_named_barrier, 0
	.set _ZN7rocprim17ROCPRIM_400000_NS6detail17trampoline_kernelINS0_14default_configENS1_38merge_sort_block_merge_config_selectorIllEEZZNS1_27merge_sort_block_merge_implIS3_PlN6thrust23THRUST_200600_302600_NS10device_ptrIlEEjNS1_19radix_merge_compareILb0ELb0ElNS0_19identity_decomposerEEEEE10hipError_tT0_T1_T2_jT3_P12ihipStream_tbPNSt15iterator_traitsISG_E10value_typeEPNSM_ISH_E10value_typeEPSI_NS1_7vsmem_tEENKUlT_SG_SH_SI_E_clIS7_S7_S7_SB_EESF_SV_SG_SH_SI_EUlSV_E_NS1_11comp_targetILNS1_3genE3ELNS1_11target_archE908ELNS1_3gpuE7ELNS1_3repE0EEENS1_48merge_mergepath_partition_config_static_selectorELNS0_4arch9wavefront6targetE1EEEvSH_.private_seg_size, 0
	.set _ZN7rocprim17ROCPRIM_400000_NS6detail17trampoline_kernelINS0_14default_configENS1_38merge_sort_block_merge_config_selectorIllEEZZNS1_27merge_sort_block_merge_implIS3_PlN6thrust23THRUST_200600_302600_NS10device_ptrIlEEjNS1_19radix_merge_compareILb0ELb0ElNS0_19identity_decomposerEEEEE10hipError_tT0_T1_T2_jT3_P12ihipStream_tbPNSt15iterator_traitsISG_E10value_typeEPNSM_ISH_E10value_typeEPSI_NS1_7vsmem_tEENKUlT_SG_SH_SI_E_clIS7_S7_S7_SB_EESF_SV_SG_SH_SI_EUlSV_E_NS1_11comp_targetILNS1_3genE3ELNS1_11target_archE908ELNS1_3gpuE7ELNS1_3repE0EEENS1_48merge_mergepath_partition_config_static_selectorELNS0_4arch9wavefront6targetE1EEEvSH_.uses_vcc, 0
	.set _ZN7rocprim17ROCPRIM_400000_NS6detail17trampoline_kernelINS0_14default_configENS1_38merge_sort_block_merge_config_selectorIllEEZZNS1_27merge_sort_block_merge_implIS3_PlN6thrust23THRUST_200600_302600_NS10device_ptrIlEEjNS1_19radix_merge_compareILb0ELb0ElNS0_19identity_decomposerEEEEE10hipError_tT0_T1_T2_jT3_P12ihipStream_tbPNSt15iterator_traitsISG_E10value_typeEPNSM_ISH_E10value_typeEPSI_NS1_7vsmem_tEENKUlT_SG_SH_SI_E_clIS7_S7_S7_SB_EESF_SV_SG_SH_SI_EUlSV_E_NS1_11comp_targetILNS1_3genE3ELNS1_11target_archE908ELNS1_3gpuE7ELNS1_3repE0EEENS1_48merge_mergepath_partition_config_static_selectorELNS0_4arch9wavefront6targetE1EEEvSH_.uses_flat_scratch, 0
	.set _ZN7rocprim17ROCPRIM_400000_NS6detail17trampoline_kernelINS0_14default_configENS1_38merge_sort_block_merge_config_selectorIllEEZZNS1_27merge_sort_block_merge_implIS3_PlN6thrust23THRUST_200600_302600_NS10device_ptrIlEEjNS1_19radix_merge_compareILb0ELb0ElNS0_19identity_decomposerEEEEE10hipError_tT0_T1_T2_jT3_P12ihipStream_tbPNSt15iterator_traitsISG_E10value_typeEPNSM_ISH_E10value_typeEPSI_NS1_7vsmem_tEENKUlT_SG_SH_SI_E_clIS7_S7_S7_SB_EESF_SV_SG_SH_SI_EUlSV_E_NS1_11comp_targetILNS1_3genE3ELNS1_11target_archE908ELNS1_3gpuE7ELNS1_3repE0EEENS1_48merge_mergepath_partition_config_static_selectorELNS0_4arch9wavefront6targetE1EEEvSH_.has_dyn_sized_stack, 0
	.set _ZN7rocprim17ROCPRIM_400000_NS6detail17trampoline_kernelINS0_14default_configENS1_38merge_sort_block_merge_config_selectorIllEEZZNS1_27merge_sort_block_merge_implIS3_PlN6thrust23THRUST_200600_302600_NS10device_ptrIlEEjNS1_19radix_merge_compareILb0ELb0ElNS0_19identity_decomposerEEEEE10hipError_tT0_T1_T2_jT3_P12ihipStream_tbPNSt15iterator_traitsISG_E10value_typeEPNSM_ISH_E10value_typeEPSI_NS1_7vsmem_tEENKUlT_SG_SH_SI_E_clIS7_S7_S7_SB_EESF_SV_SG_SH_SI_EUlSV_E_NS1_11comp_targetILNS1_3genE3ELNS1_11target_archE908ELNS1_3gpuE7ELNS1_3repE0EEENS1_48merge_mergepath_partition_config_static_selectorELNS0_4arch9wavefront6targetE1EEEvSH_.has_recursion, 0
	.set _ZN7rocprim17ROCPRIM_400000_NS6detail17trampoline_kernelINS0_14default_configENS1_38merge_sort_block_merge_config_selectorIllEEZZNS1_27merge_sort_block_merge_implIS3_PlN6thrust23THRUST_200600_302600_NS10device_ptrIlEEjNS1_19radix_merge_compareILb0ELb0ElNS0_19identity_decomposerEEEEE10hipError_tT0_T1_T2_jT3_P12ihipStream_tbPNSt15iterator_traitsISG_E10value_typeEPNSM_ISH_E10value_typeEPSI_NS1_7vsmem_tEENKUlT_SG_SH_SI_E_clIS7_S7_S7_SB_EESF_SV_SG_SH_SI_EUlSV_E_NS1_11comp_targetILNS1_3genE3ELNS1_11target_archE908ELNS1_3gpuE7ELNS1_3repE0EEENS1_48merge_mergepath_partition_config_static_selectorELNS0_4arch9wavefront6targetE1EEEvSH_.has_indirect_call, 0
	.section	.AMDGPU.csdata,"",@progbits
; Kernel info:
; codeLenInByte = 0
; TotalNumSgprs: 4
; NumVgprs: 0
; ScratchSize: 0
; MemoryBound: 0
; FloatMode: 240
; IeeeMode: 1
; LDSByteSize: 0 bytes/workgroup (compile time only)
; SGPRBlocks: 0
; VGPRBlocks: 0
; NumSGPRsForWavesPerEU: 4
; NumVGPRsForWavesPerEU: 1
; Occupancy: 10
; WaveLimiterHint : 0
; COMPUTE_PGM_RSRC2:SCRATCH_EN: 0
; COMPUTE_PGM_RSRC2:USER_SGPR: 6
; COMPUTE_PGM_RSRC2:TRAP_HANDLER: 0
; COMPUTE_PGM_RSRC2:TGID_X_EN: 1
; COMPUTE_PGM_RSRC2:TGID_Y_EN: 0
; COMPUTE_PGM_RSRC2:TGID_Z_EN: 0
; COMPUTE_PGM_RSRC2:TIDIG_COMP_CNT: 0
	.section	.text._ZN7rocprim17ROCPRIM_400000_NS6detail17trampoline_kernelINS0_14default_configENS1_38merge_sort_block_merge_config_selectorIllEEZZNS1_27merge_sort_block_merge_implIS3_PlN6thrust23THRUST_200600_302600_NS10device_ptrIlEEjNS1_19radix_merge_compareILb0ELb0ElNS0_19identity_decomposerEEEEE10hipError_tT0_T1_T2_jT3_P12ihipStream_tbPNSt15iterator_traitsISG_E10value_typeEPNSM_ISH_E10value_typeEPSI_NS1_7vsmem_tEENKUlT_SG_SH_SI_E_clIS7_S7_S7_SB_EESF_SV_SG_SH_SI_EUlSV_E_NS1_11comp_targetILNS1_3genE2ELNS1_11target_archE906ELNS1_3gpuE6ELNS1_3repE0EEENS1_48merge_mergepath_partition_config_static_selectorELNS0_4arch9wavefront6targetE1EEEvSH_,"axG",@progbits,_ZN7rocprim17ROCPRIM_400000_NS6detail17trampoline_kernelINS0_14default_configENS1_38merge_sort_block_merge_config_selectorIllEEZZNS1_27merge_sort_block_merge_implIS3_PlN6thrust23THRUST_200600_302600_NS10device_ptrIlEEjNS1_19radix_merge_compareILb0ELb0ElNS0_19identity_decomposerEEEEE10hipError_tT0_T1_T2_jT3_P12ihipStream_tbPNSt15iterator_traitsISG_E10value_typeEPNSM_ISH_E10value_typeEPSI_NS1_7vsmem_tEENKUlT_SG_SH_SI_E_clIS7_S7_S7_SB_EESF_SV_SG_SH_SI_EUlSV_E_NS1_11comp_targetILNS1_3genE2ELNS1_11target_archE906ELNS1_3gpuE6ELNS1_3repE0EEENS1_48merge_mergepath_partition_config_static_selectorELNS0_4arch9wavefront6targetE1EEEvSH_,comdat
	.protected	_ZN7rocprim17ROCPRIM_400000_NS6detail17trampoline_kernelINS0_14default_configENS1_38merge_sort_block_merge_config_selectorIllEEZZNS1_27merge_sort_block_merge_implIS3_PlN6thrust23THRUST_200600_302600_NS10device_ptrIlEEjNS1_19radix_merge_compareILb0ELb0ElNS0_19identity_decomposerEEEEE10hipError_tT0_T1_T2_jT3_P12ihipStream_tbPNSt15iterator_traitsISG_E10value_typeEPNSM_ISH_E10value_typeEPSI_NS1_7vsmem_tEENKUlT_SG_SH_SI_E_clIS7_S7_S7_SB_EESF_SV_SG_SH_SI_EUlSV_E_NS1_11comp_targetILNS1_3genE2ELNS1_11target_archE906ELNS1_3gpuE6ELNS1_3repE0EEENS1_48merge_mergepath_partition_config_static_selectorELNS0_4arch9wavefront6targetE1EEEvSH_ ; -- Begin function _ZN7rocprim17ROCPRIM_400000_NS6detail17trampoline_kernelINS0_14default_configENS1_38merge_sort_block_merge_config_selectorIllEEZZNS1_27merge_sort_block_merge_implIS3_PlN6thrust23THRUST_200600_302600_NS10device_ptrIlEEjNS1_19radix_merge_compareILb0ELb0ElNS0_19identity_decomposerEEEEE10hipError_tT0_T1_T2_jT3_P12ihipStream_tbPNSt15iterator_traitsISG_E10value_typeEPNSM_ISH_E10value_typeEPSI_NS1_7vsmem_tEENKUlT_SG_SH_SI_E_clIS7_S7_S7_SB_EESF_SV_SG_SH_SI_EUlSV_E_NS1_11comp_targetILNS1_3genE2ELNS1_11target_archE906ELNS1_3gpuE6ELNS1_3repE0EEENS1_48merge_mergepath_partition_config_static_selectorELNS0_4arch9wavefront6targetE1EEEvSH_
	.globl	_ZN7rocprim17ROCPRIM_400000_NS6detail17trampoline_kernelINS0_14default_configENS1_38merge_sort_block_merge_config_selectorIllEEZZNS1_27merge_sort_block_merge_implIS3_PlN6thrust23THRUST_200600_302600_NS10device_ptrIlEEjNS1_19radix_merge_compareILb0ELb0ElNS0_19identity_decomposerEEEEE10hipError_tT0_T1_T2_jT3_P12ihipStream_tbPNSt15iterator_traitsISG_E10value_typeEPNSM_ISH_E10value_typeEPSI_NS1_7vsmem_tEENKUlT_SG_SH_SI_E_clIS7_S7_S7_SB_EESF_SV_SG_SH_SI_EUlSV_E_NS1_11comp_targetILNS1_3genE2ELNS1_11target_archE906ELNS1_3gpuE6ELNS1_3repE0EEENS1_48merge_mergepath_partition_config_static_selectorELNS0_4arch9wavefront6targetE1EEEvSH_
	.p2align	8
	.type	_ZN7rocprim17ROCPRIM_400000_NS6detail17trampoline_kernelINS0_14default_configENS1_38merge_sort_block_merge_config_selectorIllEEZZNS1_27merge_sort_block_merge_implIS3_PlN6thrust23THRUST_200600_302600_NS10device_ptrIlEEjNS1_19radix_merge_compareILb0ELb0ElNS0_19identity_decomposerEEEEE10hipError_tT0_T1_T2_jT3_P12ihipStream_tbPNSt15iterator_traitsISG_E10value_typeEPNSM_ISH_E10value_typeEPSI_NS1_7vsmem_tEENKUlT_SG_SH_SI_E_clIS7_S7_S7_SB_EESF_SV_SG_SH_SI_EUlSV_E_NS1_11comp_targetILNS1_3genE2ELNS1_11target_archE906ELNS1_3gpuE6ELNS1_3repE0EEENS1_48merge_mergepath_partition_config_static_selectorELNS0_4arch9wavefront6targetE1EEEvSH_,@function
_ZN7rocprim17ROCPRIM_400000_NS6detail17trampoline_kernelINS0_14default_configENS1_38merge_sort_block_merge_config_selectorIllEEZZNS1_27merge_sort_block_merge_implIS3_PlN6thrust23THRUST_200600_302600_NS10device_ptrIlEEjNS1_19radix_merge_compareILb0ELb0ElNS0_19identity_decomposerEEEEE10hipError_tT0_T1_T2_jT3_P12ihipStream_tbPNSt15iterator_traitsISG_E10value_typeEPNSM_ISH_E10value_typeEPSI_NS1_7vsmem_tEENKUlT_SG_SH_SI_E_clIS7_S7_S7_SB_EESF_SV_SG_SH_SI_EUlSV_E_NS1_11comp_targetILNS1_3genE2ELNS1_11target_archE906ELNS1_3gpuE6ELNS1_3repE0EEENS1_48merge_mergepath_partition_config_static_selectorELNS0_4arch9wavefront6targetE1EEEvSH_: ; @_ZN7rocprim17ROCPRIM_400000_NS6detail17trampoline_kernelINS0_14default_configENS1_38merge_sort_block_merge_config_selectorIllEEZZNS1_27merge_sort_block_merge_implIS3_PlN6thrust23THRUST_200600_302600_NS10device_ptrIlEEjNS1_19radix_merge_compareILb0ELb0ElNS0_19identity_decomposerEEEEE10hipError_tT0_T1_T2_jT3_P12ihipStream_tbPNSt15iterator_traitsISG_E10value_typeEPNSM_ISH_E10value_typeEPSI_NS1_7vsmem_tEENKUlT_SG_SH_SI_E_clIS7_S7_S7_SB_EESF_SV_SG_SH_SI_EUlSV_E_NS1_11comp_targetILNS1_3genE2ELNS1_11target_archE906ELNS1_3gpuE6ELNS1_3repE0EEENS1_48merge_mergepath_partition_config_static_selectorELNS0_4arch9wavefront6targetE1EEEvSH_
; %bb.0:
	s_load_dword s0, s[4:5], 0x0
	v_lshl_or_b32 v0, s6, 7, v0
	s_waitcnt lgkmcnt(0)
	v_cmp_gt_u32_e32 vcc, s0, v0
	s_and_saveexec_b64 s[0:1], vcc
	s_cbranch_execz .LBB1015_6
; %bb.1:
	s_load_dwordx2 s[2:3], s[4:5], 0x4
	s_load_dwordx2 s[0:1], s[4:5], 0x20
	s_waitcnt lgkmcnt(0)
	s_lshr_b32 s6, s2, 9
	s_and_b32 s6, s6, 0x7ffffe
	s_add_i32 s7, s6, -1
	s_sub_i32 s6, 0, s6
	v_and_b32_e32 v1, s6, v0
	v_lshlrev_b32_e32 v3, 10, v1
	v_min_u32_e32 v1, s3, v3
	v_add_u32_e32 v3, s2, v3
	v_min_u32_e32 v3, s3, v3
	v_add_u32_e32 v4, s2, v3
	v_and_b32_e32 v2, s7, v0
	v_min_u32_e32 v4, s3, v4
	v_sub_u32_e32 v5, v4, v1
	v_lshlrev_b32_e32 v2, 10, v2
	v_min_u32_e32 v6, v5, v2
	v_sub_u32_e32 v2, v3, v1
	v_sub_u32_e32 v4, v4, v3
	v_sub_u32_e64 v5, v6, v4 clamp
	v_min_u32_e32 v7, v6, v2
	v_cmp_lt_u32_e32 vcc, v5, v7
	s_and_saveexec_b64 s[2:3], vcc
	s_cbranch_execz .LBB1015_5
; %bb.2:
	s_load_dwordx2 s[4:5], s[4:5], 0x10
	v_mov_b32_e32 v4, 0
	v_mov_b32_e32 v2, v4
	v_lshlrev_b64 v[8:9], 3, v[1:2]
	s_waitcnt lgkmcnt(0)
	v_mov_b32_e32 v11, s5
	v_add_co_u32_e32 v2, vcc, s4, v8
	v_addc_co_u32_e32 v8, vcc, v11, v9, vcc
	v_lshlrev_b64 v[9:10], 3, v[3:4]
	v_add_co_u32_e32 v9, vcc, s4, v9
	v_addc_co_u32_e32 v10, vcc, v11, v10, vcc
	s_mov_b64 s[4:5], 0
.LBB1015_3:                             ; =>This Inner Loop Header: Depth=1
	v_add_u32_e32 v3, v7, v5
	v_lshrrev_b32_e32 v3, 1, v3
	v_lshlrev_b64 v[13:14], 3, v[3:4]
	v_mov_b32_e32 v12, v4
	v_xad_u32 v11, v3, -1, v6
	v_lshlrev_b64 v[11:12], 3, v[11:12]
	v_add_co_u32_e32 v13, vcc, v2, v13
	v_addc_co_u32_e32 v14, vcc, v8, v14, vcc
	v_add_co_u32_e32 v11, vcc, v9, v11
	v_addc_co_u32_e32 v12, vcc, v10, v12, vcc
	global_load_dwordx2 v[15:16], v[13:14], off
	global_load_dwordx2 v[17:18], v[11:12], off
	v_add_u32_e32 v11, 1, v3
	s_waitcnt vmcnt(0)
	v_cmp_gt_i64_e32 vcc, v[15:16], v[17:18]
	v_cndmask_b32_e32 v7, v7, v3, vcc
	v_cndmask_b32_e32 v5, v11, v5, vcc
	v_cmp_ge_u32_e32 vcc, v5, v7
	s_or_b64 s[4:5], vcc, s[4:5]
	s_andn2_b64 exec, exec, s[4:5]
	s_cbranch_execnz .LBB1015_3
; %bb.4:
	s_or_b64 exec, exec, s[4:5]
.LBB1015_5:
	s_or_b64 exec, exec, s[2:3]
	v_add_u32_e32 v2, v5, v1
	v_mov_b32_e32 v1, 0
	v_lshlrev_b64 v[0:1], 2, v[0:1]
	v_mov_b32_e32 v3, s1
	v_add_co_u32_e32 v0, vcc, s0, v0
	v_addc_co_u32_e32 v1, vcc, v3, v1, vcc
	global_store_dword v[0:1], v2, off
.LBB1015_6:
	s_endpgm
	.section	.rodata,"a",@progbits
	.p2align	6, 0x0
	.amdhsa_kernel _ZN7rocprim17ROCPRIM_400000_NS6detail17trampoline_kernelINS0_14default_configENS1_38merge_sort_block_merge_config_selectorIllEEZZNS1_27merge_sort_block_merge_implIS3_PlN6thrust23THRUST_200600_302600_NS10device_ptrIlEEjNS1_19radix_merge_compareILb0ELb0ElNS0_19identity_decomposerEEEEE10hipError_tT0_T1_T2_jT3_P12ihipStream_tbPNSt15iterator_traitsISG_E10value_typeEPNSM_ISH_E10value_typeEPSI_NS1_7vsmem_tEENKUlT_SG_SH_SI_E_clIS7_S7_S7_SB_EESF_SV_SG_SH_SI_EUlSV_E_NS1_11comp_targetILNS1_3genE2ELNS1_11target_archE906ELNS1_3gpuE6ELNS1_3repE0EEENS1_48merge_mergepath_partition_config_static_selectorELNS0_4arch9wavefront6targetE1EEEvSH_
		.amdhsa_group_segment_fixed_size 0
		.amdhsa_private_segment_fixed_size 0
		.amdhsa_kernarg_size 40
		.amdhsa_user_sgpr_count 6
		.amdhsa_user_sgpr_private_segment_buffer 1
		.amdhsa_user_sgpr_dispatch_ptr 0
		.amdhsa_user_sgpr_queue_ptr 0
		.amdhsa_user_sgpr_kernarg_segment_ptr 1
		.amdhsa_user_sgpr_dispatch_id 0
		.amdhsa_user_sgpr_flat_scratch_init 0
		.amdhsa_user_sgpr_private_segment_size 0
		.amdhsa_uses_dynamic_stack 0
		.amdhsa_system_sgpr_private_segment_wavefront_offset 0
		.amdhsa_system_sgpr_workgroup_id_x 1
		.amdhsa_system_sgpr_workgroup_id_y 0
		.amdhsa_system_sgpr_workgroup_id_z 0
		.amdhsa_system_sgpr_workgroup_info 0
		.amdhsa_system_vgpr_workitem_id 0
		.amdhsa_next_free_vgpr 19
		.amdhsa_next_free_sgpr 8
		.amdhsa_reserve_vcc 1
		.amdhsa_reserve_flat_scratch 0
		.amdhsa_float_round_mode_32 0
		.amdhsa_float_round_mode_16_64 0
		.amdhsa_float_denorm_mode_32 3
		.amdhsa_float_denorm_mode_16_64 3
		.amdhsa_dx10_clamp 1
		.amdhsa_ieee_mode 1
		.amdhsa_fp16_overflow 0
		.amdhsa_exception_fp_ieee_invalid_op 0
		.amdhsa_exception_fp_denorm_src 0
		.amdhsa_exception_fp_ieee_div_zero 0
		.amdhsa_exception_fp_ieee_overflow 0
		.amdhsa_exception_fp_ieee_underflow 0
		.amdhsa_exception_fp_ieee_inexact 0
		.amdhsa_exception_int_div_zero 0
	.end_amdhsa_kernel
	.section	.text._ZN7rocprim17ROCPRIM_400000_NS6detail17trampoline_kernelINS0_14default_configENS1_38merge_sort_block_merge_config_selectorIllEEZZNS1_27merge_sort_block_merge_implIS3_PlN6thrust23THRUST_200600_302600_NS10device_ptrIlEEjNS1_19radix_merge_compareILb0ELb0ElNS0_19identity_decomposerEEEEE10hipError_tT0_T1_T2_jT3_P12ihipStream_tbPNSt15iterator_traitsISG_E10value_typeEPNSM_ISH_E10value_typeEPSI_NS1_7vsmem_tEENKUlT_SG_SH_SI_E_clIS7_S7_S7_SB_EESF_SV_SG_SH_SI_EUlSV_E_NS1_11comp_targetILNS1_3genE2ELNS1_11target_archE906ELNS1_3gpuE6ELNS1_3repE0EEENS1_48merge_mergepath_partition_config_static_selectorELNS0_4arch9wavefront6targetE1EEEvSH_,"axG",@progbits,_ZN7rocprim17ROCPRIM_400000_NS6detail17trampoline_kernelINS0_14default_configENS1_38merge_sort_block_merge_config_selectorIllEEZZNS1_27merge_sort_block_merge_implIS3_PlN6thrust23THRUST_200600_302600_NS10device_ptrIlEEjNS1_19radix_merge_compareILb0ELb0ElNS0_19identity_decomposerEEEEE10hipError_tT0_T1_T2_jT3_P12ihipStream_tbPNSt15iterator_traitsISG_E10value_typeEPNSM_ISH_E10value_typeEPSI_NS1_7vsmem_tEENKUlT_SG_SH_SI_E_clIS7_S7_S7_SB_EESF_SV_SG_SH_SI_EUlSV_E_NS1_11comp_targetILNS1_3genE2ELNS1_11target_archE906ELNS1_3gpuE6ELNS1_3repE0EEENS1_48merge_mergepath_partition_config_static_selectorELNS0_4arch9wavefront6targetE1EEEvSH_,comdat
.Lfunc_end1015:
	.size	_ZN7rocprim17ROCPRIM_400000_NS6detail17trampoline_kernelINS0_14default_configENS1_38merge_sort_block_merge_config_selectorIllEEZZNS1_27merge_sort_block_merge_implIS3_PlN6thrust23THRUST_200600_302600_NS10device_ptrIlEEjNS1_19radix_merge_compareILb0ELb0ElNS0_19identity_decomposerEEEEE10hipError_tT0_T1_T2_jT3_P12ihipStream_tbPNSt15iterator_traitsISG_E10value_typeEPNSM_ISH_E10value_typeEPSI_NS1_7vsmem_tEENKUlT_SG_SH_SI_E_clIS7_S7_S7_SB_EESF_SV_SG_SH_SI_EUlSV_E_NS1_11comp_targetILNS1_3genE2ELNS1_11target_archE906ELNS1_3gpuE6ELNS1_3repE0EEENS1_48merge_mergepath_partition_config_static_selectorELNS0_4arch9wavefront6targetE1EEEvSH_, .Lfunc_end1015-_ZN7rocprim17ROCPRIM_400000_NS6detail17trampoline_kernelINS0_14default_configENS1_38merge_sort_block_merge_config_selectorIllEEZZNS1_27merge_sort_block_merge_implIS3_PlN6thrust23THRUST_200600_302600_NS10device_ptrIlEEjNS1_19radix_merge_compareILb0ELb0ElNS0_19identity_decomposerEEEEE10hipError_tT0_T1_T2_jT3_P12ihipStream_tbPNSt15iterator_traitsISG_E10value_typeEPNSM_ISH_E10value_typeEPSI_NS1_7vsmem_tEENKUlT_SG_SH_SI_E_clIS7_S7_S7_SB_EESF_SV_SG_SH_SI_EUlSV_E_NS1_11comp_targetILNS1_3genE2ELNS1_11target_archE906ELNS1_3gpuE6ELNS1_3repE0EEENS1_48merge_mergepath_partition_config_static_selectorELNS0_4arch9wavefront6targetE1EEEvSH_
                                        ; -- End function
	.set _ZN7rocprim17ROCPRIM_400000_NS6detail17trampoline_kernelINS0_14default_configENS1_38merge_sort_block_merge_config_selectorIllEEZZNS1_27merge_sort_block_merge_implIS3_PlN6thrust23THRUST_200600_302600_NS10device_ptrIlEEjNS1_19radix_merge_compareILb0ELb0ElNS0_19identity_decomposerEEEEE10hipError_tT0_T1_T2_jT3_P12ihipStream_tbPNSt15iterator_traitsISG_E10value_typeEPNSM_ISH_E10value_typeEPSI_NS1_7vsmem_tEENKUlT_SG_SH_SI_E_clIS7_S7_S7_SB_EESF_SV_SG_SH_SI_EUlSV_E_NS1_11comp_targetILNS1_3genE2ELNS1_11target_archE906ELNS1_3gpuE6ELNS1_3repE0EEENS1_48merge_mergepath_partition_config_static_selectorELNS0_4arch9wavefront6targetE1EEEvSH_.num_vgpr, 19
	.set _ZN7rocprim17ROCPRIM_400000_NS6detail17trampoline_kernelINS0_14default_configENS1_38merge_sort_block_merge_config_selectorIllEEZZNS1_27merge_sort_block_merge_implIS3_PlN6thrust23THRUST_200600_302600_NS10device_ptrIlEEjNS1_19radix_merge_compareILb0ELb0ElNS0_19identity_decomposerEEEEE10hipError_tT0_T1_T2_jT3_P12ihipStream_tbPNSt15iterator_traitsISG_E10value_typeEPNSM_ISH_E10value_typeEPSI_NS1_7vsmem_tEENKUlT_SG_SH_SI_E_clIS7_S7_S7_SB_EESF_SV_SG_SH_SI_EUlSV_E_NS1_11comp_targetILNS1_3genE2ELNS1_11target_archE906ELNS1_3gpuE6ELNS1_3repE0EEENS1_48merge_mergepath_partition_config_static_selectorELNS0_4arch9wavefront6targetE1EEEvSH_.num_agpr, 0
	.set _ZN7rocprim17ROCPRIM_400000_NS6detail17trampoline_kernelINS0_14default_configENS1_38merge_sort_block_merge_config_selectorIllEEZZNS1_27merge_sort_block_merge_implIS3_PlN6thrust23THRUST_200600_302600_NS10device_ptrIlEEjNS1_19radix_merge_compareILb0ELb0ElNS0_19identity_decomposerEEEEE10hipError_tT0_T1_T2_jT3_P12ihipStream_tbPNSt15iterator_traitsISG_E10value_typeEPNSM_ISH_E10value_typeEPSI_NS1_7vsmem_tEENKUlT_SG_SH_SI_E_clIS7_S7_S7_SB_EESF_SV_SG_SH_SI_EUlSV_E_NS1_11comp_targetILNS1_3genE2ELNS1_11target_archE906ELNS1_3gpuE6ELNS1_3repE0EEENS1_48merge_mergepath_partition_config_static_selectorELNS0_4arch9wavefront6targetE1EEEvSH_.numbered_sgpr, 8
	.set _ZN7rocprim17ROCPRIM_400000_NS6detail17trampoline_kernelINS0_14default_configENS1_38merge_sort_block_merge_config_selectorIllEEZZNS1_27merge_sort_block_merge_implIS3_PlN6thrust23THRUST_200600_302600_NS10device_ptrIlEEjNS1_19radix_merge_compareILb0ELb0ElNS0_19identity_decomposerEEEEE10hipError_tT0_T1_T2_jT3_P12ihipStream_tbPNSt15iterator_traitsISG_E10value_typeEPNSM_ISH_E10value_typeEPSI_NS1_7vsmem_tEENKUlT_SG_SH_SI_E_clIS7_S7_S7_SB_EESF_SV_SG_SH_SI_EUlSV_E_NS1_11comp_targetILNS1_3genE2ELNS1_11target_archE906ELNS1_3gpuE6ELNS1_3repE0EEENS1_48merge_mergepath_partition_config_static_selectorELNS0_4arch9wavefront6targetE1EEEvSH_.num_named_barrier, 0
	.set _ZN7rocprim17ROCPRIM_400000_NS6detail17trampoline_kernelINS0_14default_configENS1_38merge_sort_block_merge_config_selectorIllEEZZNS1_27merge_sort_block_merge_implIS3_PlN6thrust23THRUST_200600_302600_NS10device_ptrIlEEjNS1_19radix_merge_compareILb0ELb0ElNS0_19identity_decomposerEEEEE10hipError_tT0_T1_T2_jT3_P12ihipStream_tbPNSt15iterator_traitsISG_E10value_typeEPNSM_ISH_E10value_typeEPSI_NS1_7vsmem_tEENKUlT_SG_SH_SI_E_clIS7_S7_S7_SB_EESF_SV_SG_SH_SI_EUlSV_E_NS1_11comp_targetILNS1_3genE2ELNS1_11target_archE906ELNS1_3gpuE6ELNS1_3repE0EEENS1_48merge_mergepath_partition_config_static_selectorELNS0_4arch9wavefront6targetE1EEEvSH_.private_seg_size, 0
	.set _ZN7rocprim17ROCPRIM_400000_NS6detail17trampoline_kernelINS0_14default_configENS1_38merge_sort_block_merge_config_selectorIllEEZZNS1_27merge_sort_block_merge_implIS3_PlN6thrust23THRUST_200600_302600_NS10device_ptrIlEEjNS1_19radix_merge_compareILb0ELb0ElNS0_19identity_decomposerEEEEE10hipError_tT0_T1_T2_jT3_P12ihipStream_tbPNSt15iterator_traitsISG_E10value_typeEPNSM_ISH_E10value_typeEPSI_NS1_7vsmem_tEENKUlT_SG_SH_SI_E_clIS7_S7_S7_SB_EESF_SV_SG_SH_SI_EUlSV_E_NS1_11comp_targetILNS1_3genE2ELNS1_11target_archE906ELNS1_3gpuE6ELNS1_3repE0EEENS1_48merge_mergepath_partition_config_static_selectorELNS0_4arch9wavefront6targetE1EEEvSH_.uses_vcc, 1
	.set _ZN7rocprim17ROCPRIM_400000_NS6detail17trampoline_kernelINS0_14default_configENS1_38merge_sort_block_merge_config_selectorIllEEZZNS1_27merge_sort_block_merge_implIS3_PlN6thrust23THRUST_200600_302600_NS10device_ptrIlEEjNS1_19radix_merge_compareILb0ELb0ElNS0_19identity_decomposerEEEEE10hipError_tT0_T1_T2_jT3_P12ihipStream_tbPNSt15iterator_traitsISG_E10value_typeEPNSM_ISH_E10value_typeEPSI_NS1_7vsmem_tEENKUlT_SG_SH_SI_E_clIS7_S7_S7_SB_EESF_SV_SG_SH_SI_EUlSV_E_NS1_11comp_targetILNS1_3genE2ELNS1_11target_archE906ELNS1_3gpuE6ELNS1_3repE0EEENS1_48merge_mergepath_partition_config_static_selectorELNS0_4arch9wavefront6targetE1EEEvSH_.uses_flat_scratch, 0
	.set _ZN7rocprim17ROCPRIM_400000_NS6detail17trampoline_kernelINS0_14default_configENS1_38merge_sort_block_merge_config_selectorIllEEZZNS1_27merge_sort_block_merge_implIS3_PlN6thrust23THRUST_200600_302600_NS10device_ptrIlEEjNS1_19radix_merge_compareILb0ELb0ElNS0_19identity_decomposerEEEEE10hipError_tT0_T1_T2_jT3_P12ihipStream_tbPNSt15iterator_traitsISG_E10value_typeEPNSM_ISH_E10value_typeEPSI_NS1_7vsmem_tEENKUlT_SG_SH_SI_E_clIS7_S7_S7_SB_EESF_SV_SG_SH_SI_EUlSV_E_NS1_11comp_targetILNS1_3genE2ELNS1_11target_archE906ELNS1_3gpuE6ELNS1_3repE0EEENS1_48merge_mergepath_partition_config_static_selectorELNS0_4arch9wavefront6targetE1EEEvSH_.has_dyn_sized_stack, 0
	.set _ZN7rocprim17ROCPRIM_400000_NS6detail17trampoline_kernelINS0_14default_configENS1_38merge_sort_block_merge_config_selectorIllEEZZNS1_27merge_sort_block_merge_implIS3_PlN6thrust23THRUST_200600_302600_NS10device_ptrIlEEjNS1_19radix_merge_compareILb0ELb0ElNS0_19identity_decomposerEEEEE10hipError_tT0_T1_T2_jT3_P12ihipStream_tbPNSt15iterator_traitsISG_E10value_typeEPNSM_ISH_E10value_typeEPSI_NS1_7vsmem_tEENKUlT_SG_SH_SI_E_clIS7_S7_S7_SB_EESF_SV_SG_SH_SI_EUlSV_E_NS1_11comp_targetILNS1_3genE2ELNS1_11target_archE906ELNS1_3gpuE6ELNS1_3repE0EEENS1_48merge_mergepath_partition_config_static_selectorELNS0_4arch9wavefront6targetE1EEEvSH_.has_recursion, 0
	.set _ZN7rocprim17ROCPRIM_400000_NS6detail17trampoline_kernelINS0_14default_configENS1_38merge_sort_block_merge_config_selectorIllEEZZNS1_27merge_sort_block_merge_implIS3_PlN6thrust23THRUST_200600_302600_NS10device_ptrIlEEjNS1_19radix_merge_compareILb0ELb0ElNS0_19identity_decomposerEEEEE10hipError_tT0_T1_T2_jT3_P12ihipStream_tbPNSt15iterator_traitsISG_E10value_typeEPNSM_ISH_E10value_typeEPSI_NS1_7vsmem_tEENKUlT_SG_SH_SI_E_clIS7_S7_S7_SB_EESF_SV_SG_SH_SI_EUlSV_E_NS1_11comp_targetILNS1_3genE2ELNS1_11target_archE906ELNS1_3gpuE6ELNS1_3repE0EEENS1_48merge_mergepath_partition_config_static_selectorELNS0_4arch9wavefront6targetE1EEEvSH_.has_indirect_call, 0
	.section	.AMDGPU.csdata,"",@progbits
; Kernel info:
; codeLenInByte = 360
; TotalNumSgprs: 12
; NumVgprs: 19
; ScratchSize: 0
; MemoryBound: 0
; FloatMode: 240
; IeeeMode: 1
; LDSByteSize: 0 bytes/workgroup (compile time only)
; SGPRBlocks: 1
; VGPRBlocks: 4
; NumSGPRsForWavesPerEU: 12
; NumVGPRsForWavesPerEU: 19
; Occupancy: 10
; WaveLimiterHint : 0
; COMPUTE_PGM_RSRC2:SCRATCH_EN: 0
; COMPUTE_PGM_RSRC2:USER_SGPR: 6
; COMPUTE_PGM_RSRC2:TRAP_HANDLER: 0
; COMPUTE_PGM_RSRC2:TGID_X_EN: 1
; COMPUTE_PGM_RSRC2:TGID_Y_EN: 0
; COMPUTE_PGM_RSRC2:TGID_Z_EN: 0
; COMPUTE_PGM_RSRC2:TIDIG_COMP_CNT: 0
	.section	.text._ZN7rocprim17ROCPRIM_400000_NS6detail17trampoline_kernelINS0_14default_configENS1_38merge_sort_block_merge_config_selectorIllEEZZNS1_27merge_sort_block_merge_implIS3_PlN6thrust23THRUST_200600_302600_NS10device_ptrIlEEjNS1_19radix_merge_compareILb0ELb0ElNS0_19identity_decomposerEEEEE10hipError_tT0_T1_T2_jT3_P12ihipStream_tbPNSt15iterator_traitsISG_E10value_typeEPNSM_ISH_E10value_typeEPSI_NS1_7vsmem_tEENKUlT_SG_SH_SI_E_clIS7_S7_S7_SB_EESF_SV_SG_SH_SI_EUlSV_E_NS1_11comp_targetILNS1_3genE9ELNS1_11target_archE1100ELNS1_3gpuE3ELNS1_3repE0EEENS1_48merge_mergepath_partition_config_static_selectorELNS0_4arch9wavefront6targetE1EEEvSH_,"axG",@progbits,_ZN7rocprim17ROCPRIM_400000_NS6detail17trampoline_kernelINS0_14default_configENS1_38merge_sort_block_merge_config_selectorIllEEZZNS1_27merge_sort_block_merge_implIS3_PlN6thrust23THRUST_200600_302600_NS10device_ptrIlEEjNS1_19radix_merge_compareILb0ELb0ElNS0_19identity_decomposerEEEEE10hipError_tT0_T1_T2_jT3_P12ihipStream_tbPNSt15iterator_traitsISG_E10value_typeEPNSM_ISH_E10value_typeEPSI_NS1_7vsmem_tEENKUlT_SG_SH_SI_E_clIS7_S7_S7_SB_EESF_SV_SG_SH_SI_EUlSV_E_NS1_11comp_targetILNS1_3genE9ELNS1_11target_archE1100ELNS1_3gpuE3ELNS1_3repE0EEENS1_48merge_mergepath_partition_config_static_selectorELNS0_4arch9wavefront6targetE1EEEvSH_,comdat
	.protected	_ZN7rocprim17ROCPRIM_400000_NS6detail17trampoline_kernelINS0_14default_configENS1_38merge_sort_block_merge_config_selectorIllEEZZNS1_27merge_sort_block_merge_implIS3_PlN6thrust23THRUST_200600_302600_NS10device_ptrIlEEjNS1_19radix_merge_compareILb0ELb0ElNS0_19identity_decomposerEEEEE10hipError_tT0_T1_T2_jT3_P12ihipStream_tbPNSt15iterator_traitsISG_E10value_typeEPNSM_ISH_E10value_typeEPSI_NS1_7vsmem_tEENKUlT_SG_SH_SI_E_clIS7_S7_S7_SB_EESF_SV_SG_SH_SI_EUlSV_E_NS1_11comp_targetILNS1_3genE9ELNS1_11target_archE1100ELNS1_3gpuE3ELNS1_3repE0EEENS1_48merge_mergepath_partition_config_static_selectorELNS0_4arch9wavefront6targetE1EEEvSH_ ; -- Begin function _ZN7rocprim17ROCPRIM_400000_NS6detail17trampoline_kernelINS0_14default_configENS1_38merge_sort_block_merge_config_selectorIllEEZZNS1_27merge_sort_block_merge_implIS3_PlN6thrust23THRUST_200600_302600_NS10device_ptrIlEEjNS1_19radix_merge_compareILb0ELb0ElNS0_19identity_decomposerEEEEE10hipError_tT0_T1_T2_jT3_P12ihipStream_tbPNSt15iterator_traitsISG_E10value_typeEPNSM_ISH_E10value_typeEPSI_NS1_7vsmem_tEENKUlT_SG_SH_SI_E_clIS7_S7_S7_SB_EESF_SV_SG_SH_SI_EUlSV_E_NS1_11comp_targetILNS1_3genE9ELNS1_11target_archE1100ELNS1_3gpuE3ELNS1_3repE0EEENS1_48merge_mergepath_partition_config_static_selectorELNS0_4arch9wavefront6targetE1EEEvSH_
	.globl	_ZN7rocprim17ROCPRIM_400000_NS6detail17trampoline_kernelINS0_14default_configENS1_38merge_sort_block_merge_config_selectorIllEEZZNS1_27merge_sort_block_merge_implIS3_PlN6thrust23THRUST_200600_302600_NS10device_ptrIlEEjNS1_19radix_merge_compareILb0ELb0ElNS0_19identity_decomposerEEEEE10hipError_tT0_T1_T2_jT3_P12ihipStream_tbPNSt15iterator_traitsISG_E10value_typeEPNSM_ISH_E10value_typeEPSI_NS1_7vsmem_tEENKUlT_SG_SH_SI_E_clIS7_S7_S7_SB_EESF_SV_SG_SH_SI_EUlSV_E_NS1_11comp_targetILNS1_3genE9ELNS1_11target_archE1100ELNS1_3gpuE3ELNS1_3repE0EEENS1_48merge_mergepath_partition_config_static_selectorELNS0_4arch9wavefront6targetE1EEEvSH_
	.p2align	8
	.type	_ZN7rocprim17ROCPRIM_400000_NS6detail17trampoline_kernelINS0_14default_configENS1_38merge_sort_block_merge_config_selectorIllEEZZNS1_27merge_sort_block_merge_implIS3_PlN6thrust23THRUST_200600_302600_NS10device_ptrIlEEjNS1_19radix_merge_compareILb0ELb0ElNS0_19identity_decomposerEEEEE10hipError_tT0_T1_T2_jT3_P12ihipStream_tbPNSt15iterator_traitsISG_E10value_typeEPNSM_ISH_E10value_typeEPSI_NS1_7vsmem_tEENKUlT_SG_SH_SI_E_clIS7_S7_S7_SB_EESF_SV_SG_SH_SI_EUlSV_E_NS1_11comp_targetILNS1_3genE9ELNS1_11target_archE1100ELNS1_3gpuE3ELNS1_3repE0EEENS1_48merge_mergepath_partition_config_static_selectorELNS0_4arch9wavefront6targetE1EEEvSH_,@function
_ZN7rocprim17ROCPRIM_400000_NS6detail17trampoline_kernelINS0_14default_configENS1_38merge_sort_block_merge_config_selectorIllEEZZNS1_27merge_sort_block_merge_implIS3_PlN6thrust23THRUST_200600_302600_NS10device_ptrIlEEjNS1_19radix_merge_compareILb0ELb0ElNS0_19identity_decomposerEEEEE10hipError_tT0_T1_T2_jT3_P12ihipStream_tbPNSt15iterator_traitsISG_E10value_typeEPNSM_ISH_E10value_typeEPSI_NS1_7vsmem_tEENKUlT_SG_SH_SI_E_clIS7_S7_S7_SB_EESF_SV_SG_SH_SI_EUlSV_E_NS1_11comp_targetILNS1_3genE9ELNS1_11target_archE1100ELNS1_3gpuE3ELNS1_3repE0EEENS1_48merge_mergepath_partition_config_static_selectorELNS0_4arch9wavefront6targetE1EEEvSH_: ; @_ZN7rocprim17ROCPRIM_400000_NS6detail17trampoline_kernelINS0_14default_configENS1_38merge_sort_block_merge_config_selectorIllEEZZNS1_27merge_sort_block_merge_implIS3_PlN6thrust23THRUST_200600_302600_NS10device_ptrIlEEjNS1_19radix_merge_compareILb0ELb0ElNS0_19identity_decomposerEEEEE10hipError_tT0_T1_T2_jT3_P12ihipStream_tbPNSt15iterator_traitsISG_E10value_typeEPNSM_ISH_E10value_typeEPSI_NS1_7vsmem_tEENKUlT_SG_SH_SI_E_clIS7_S7_S7_SB_EESF_SV_SG_SH_SI_EUlSV_E_NS1_11comp_targetILNS1_3genE9ELNS1_11target_archE1100ELNS1_3gpuE3ELNS1_3repE0EEENS1_48merge_mergepath_partition_config_static_selectorELNS0_4arch9wavefront6targetE1EEEvSH_
; %bb.0:
	.section	.rodata,"a",@progbits
	.p2align	6, 0x0
	.amdhsa_kernel _ZN7rocprim17ROCPRIM_400000_NS6detail17trampoline_kernelINS0_14default_configENS1_38merge_sort_block_merge_config_selectorIllEEZZNS1_27merge_sort_block_merge_implIS3_PlN6thrust23THRUST_200600_302600_NS10device_ptrIlEEjNS1_19radix_merge_compareILb0ELb0ElNS0_19identity_decomposerEEEEE10hipError_tT0_T1_T2_jT3_P12ihipStream_tbPNSt15iterator_traitsISG_E10value_typeEPNSM_ISH_E10value_typeEPSI_NS1_7vsmem_tEENKUlT_SG_SH_SI_E_clIS7_S7_S7_SB_EESF_SV_SG_SH_SI_EUlSV_E_NS1_11comp_targetILNS1_3genE9ELNS1_11target_archE1100ELNS1_3gpuE3ELNS1_3repE0EEENS1_48merge_mergepath_partition_config_static_selectorELNS0_4arch9wavefront6targetE1EEEvSH_
		.amdhsa_group_segment_fixed_size 0
		.amdhsa_private_segment_fixed_size 0
		.amdhsa_kernarg_size 40
		.amdhsa_user_sgpr_count 6
		.amdhsa_user_sgpr_private_segment_buffer 1
		.amdhsa_user_sgpr_dispatch_ptr 0
		.amdhsa_user_sgpr_queue_ptr 0
		.amdhsa_user_sgpr_kernarg_segment_ptr 1
		.amdhsa_user_sgpr_dispatch_id 0
		.amdhsa_user_sgpr_flat_scratch_init 0
		.amdhsa_user_sgpr_private_segment_size 0
		.amdhsa_uses_dynamic_stack 0
		.amdhsa_system_sgpr_private_segment_wavefront_offset 0
		.amdhsa_system_sgpr_workgroup_id_x 1
		.amdhsa_system_sgpr_workgroup_id_y 0
		.amdhsa_system_sgpr_workgroup_id_z 0
		.amdhsa_system_sgpr_workgroup_info 0
		.amdhsa_system_vgpr_workitem_id 0
		.amdhsa_next_free_vgpr 1
		.amdhsa_next_free_sgpr 0
		.amdhsa_reserve_vcc 0
		.amdhsa_reserve_flat_scratch 0
		.amdhsa_float_round_mode_32 0
		.amdhsa_float_round_mode_16_64 0
		.amdhsa_float_denorm_mode_32 3
		.amdhsa_float_denorm_mode_16_64 3
		.amdhsa_dx10_clamp 1
		.amdhsa_ieee_mode 1
		.amdhsa_fp16_overflow 0
		.amdhsa_exception_fp_ieee_invalid_op 0
		.amdhsa_exception_fp_denorm_src 0
		.amdhsa_exception_fp_ieee_div_zero 0
		.amdhsa_exception_fp_ieee_overflow 0
		.amdhsa_exception_fp_ieee_underflow 0
		.amdhsa_exception_fp_ieee_inexact 0
		.amdhsa_exception_int_div_zero 0
	.end_amdhsa_kernel
	.section	.text._ZN7rocprim17ROCPRIM_400000_NS6detail17trampoline_kernelINS0_14default_configENS1_38merge_sort_block_merge_config_selectorIllEEZZNS1_27merge_sort_block_merge_implIS3_PlN6thrust23THRUST_200600_302600_NS10device_ptrIlEEjNS1_19radix_merge_compareILb0ELb0ElNS0_19identity_decomposerEEEEE10hipError_tT0_T1_T2_jT3_P12ihipStream_tbPNSt15iterator_traitsISG_E10value_typeEPNSM_ISH_E10value_typeEPSI_NS1_7vsmem_tEENKUlT_SG_SH_SI_E_clIS7_S7_S7_SB_EESF_SV_SG_SH_SI_EUlSV_E_NS1_11comp_targetILNS1_3genE9ELNS1_11target_archE1100ELNS1_3gpuE3ELNS1_3repE0EEENS1_48merge_mergepath_partition_config_static_selectorELNS0_4arch9wavefront6targetE1EEEvSH_,"axG",@progbits,_ZN7rocprim17ROCPRIM_400000_NS6detail17trampoline_kernelINS0_14default_configENS1_38merge_sort_block_merge_config_selectorIllEEZZNS1_27merge_sort_block_merge_implIS3_PlN6thrust23THRUST_200600_302600_NS10device_ptrIlEEjNS1_19radix_merge_compareILb0ELb0ElNS0_19identity_decomposerEEEEE10hipError_tT0_T1_T2_jT3_P12ihipStream_tbPNSt15iterator_traitsISG_E10value_typeEPNSM_ISH_E10value_typeEPSI_NS1_7vsmem_tEENKUlT_SG_SH_SI_E_clIS7_S7_S7_SB_EESF_SV_SG_SH_SI_EUlSV_E_NS1_11comp_targetILNS1_3genE9ELNS1_11target_archE1100ELNS1_3gpuE3ELNS1_3repE0EEENS1_48merge_mergepath_partition_config_static_selectorELNS0_4arch9wavefront6targetE1EEEvSH_,comdat
.Lfunc_end1016:
	.size	_ZN7rocprim17ROCPRIM_400000_NS6detail17trampoline_kernelINS0_14default_configENS1_38merge_sort_block_merge_config_selectorIllEEZZNS1_27merge_sort_block_merge_implIS3_PlN6thrust23THRUST_200600_302600_NS10device_ptrIlEEjNS1_19radix_merge_compareILb0ELb0ElNS0_19identity_decomposerEEEEE10hipError_tT0_T1_T2_jT3_P12ihipStream_tbPNSt15iterator_traitsISG_E10value_typeEPNSM_ISH_E10value_typeEPSI_NS1_7vsmem_tEENKUlT_SG_SH_SI_E_clIS7_S7_S7_SB_EESF_SV_SG_SH_SI_EUlSV_E_NS1_11comp_targetILNS1_3genE9ELNS1_11target_archE1100ELNS1_3gpuE3ELNS1_3repE0EEENS1_48merge_mergepath_partition_config_static_selectorELNS0_4arch9wavefront6targetE1EEEvSH_, .Lfunc_end1016-_ZN7rocprim17ROCPRIM_400000_NS6detail17trampoline_kernelINS0_14default_configENS1_38merge_sort_block_merge_config_selectorIllEEZZNS1_27merge_sort_block_merge_implIS3_PlN6thrust23THRUST_200600_302600_NS10device_ptrIlEEjNS1_19radix_merge_compareILb0ELb0ElNS0_19identity_decomposerEEEEE10hipError_tT0_T1_T2_jT3_P12ihipStream_tbPNSt15iterator_traitsISG_E10value_typeEPNSM_ISH_E10value_typeEPSI_NS1_7vsmem_tEENKUlT_SG_SH_SI_E_clIS7_S7_S7_SB_EESF_SV_SG_SH_SI_EUlSV_E_NS1_11comp_targetILNS1_3genE9ELNS1_11target_archE1100ELNS1_3gpuE3ELNS1_3repE0EEENS1_48merge_mergepath_partition_config_static_selectorELNS0_4arch9wavefront6targetE1EEEvSH_
                                        ; -- End function
	.set _ZN7rocprim17ROCPRIM_400000_NS6detail17trampoline_kernelINS0_14default_configENS1_38merge_sort_block_merge_config_selectorIllEEZZNS1_27merge_sort_block_merge_implIS3_PlN6thrust23THRUST_200600_302600_NS10device_ptrIlEEjNS1_19radix_merge_compareILb0ELb0ElNS0_19identity_decomposerEEEEE10hipError_tT0_T1_T2_jT3_P12ihipStream_tbPNSt15iterator_traitsISG_E10value_typeEPNSM_ISH_E10value_typeEPSI_NS1_7vsmem_tEENKUlT_SG_SH_SI_E_clIS7_S7_S7_SB_EESF_SV_SG_SH_SI_EUlSV_E_NS1_11comp_targetILNS1_3genE9ELNS1_11target_archE1100ELNS1_3gpuE3ELNS1_3repE0EEENS1_48merge_mergepath_partition_config_static_selectorELNS0_4arch9wavefront6targetE1EEEvSH_.num_vgpr, 0
	.set _ZN7rocprim17ROCPRIM_400000_NS6detail17trampoline_kernelINS0_14default_configENS1_38merge_sort_block_merge_config_selectorIllEEZZNS1_27merge_sort_block_merge_implIS3_PlN6thrust23THRUST_200600_302600_NS10device_ptrIlEEjNS1_19radix_merge_compareILb0ELb0ElNS0_19identity_decomposerEEEEE10hipError_tT0_T1_T2_jT3_P12ihipStream_tbPNSt15iterator_traitsISG_E10value_typeEPNSM_ISH_E10value_typeEPSI_NS1_7vsmem_tEENKUlT_SG_SH_SI_E_clIS7_S7_S7_SB_EESF_SV_SG_SH_SI_EUlSV_E_NS1_11comp_targetILNS1_3genE9ELNS1_11target_archE1100ELNS1_3gpuE3ELNS1_3repE0EEENS1_48merge_mergepath_partition_config_static_selectorELNS0_4arch9wavefront6targetE1EEEvSH_.num_agpr, 0
	.set _ZN7rocprim17ROCPRIM_400000_NS6detail17trampoline_kernelINS0_14default_configENS1_38merge_sort_block_merge_config_selectorIllEEZZNS1_27merge_sort_block_merge_implIS3_PlN6thrust23THRUST_200600_302600_NS10device_ptrIlEEjNS1_19radix_merge_compareILb0ELb0ElNS0_19identity_decomposerEEEEE10hipError_tT0_T1_T2_jT3_P12ihipStream_tbPNSt15iterator_traitsISG_E10value_typeEPNSM_ISH_E10value_typeEPSI_NS1_7vsmem_tEENKUlT_SG_SH_SI_E_clIS7_S7_S7_SB_EESF_SV_SG_SH_SI_EUlSV_E_NS1_11comp_targetILNS1_3genE9ELNS1_11target_archE1100ELNS1_3gpuE3ELNS1_3repE0EEENS1_48merge_mergepath_partition_config_static_selectorELNS0_4arch9wavefront6targetE1EEEvSH_.numbered_sgpr, 0
	.set _ZN7rocprim17ROCPRIM_400000_NS6detail17trampoline_kernelINS0_14default_configENS1_38merge_sort_block_merge_config_selectorIllEEZZNS1_27merge_sort_block_merge_implIS3_PlN6thrust23THRUST_200600_302600_NS10device_ptrIlEEjNS1_19radix_merge_compareILb0ELb0ElNS0_19identity_decomposerEEEEE10hipError_tT0_T1_T2_jT3_P12ihipStream_tbPNSt15iterator_traitsISG_E10value_typeEPNSM_ISH_E10value_typeEPSI_NS1_7vsmem_tEENKUlT_SG_SH_SI_E_clIS7_S7_S7_SB_EESF_SV_SG_SH_SI_EUlSV_E_NS1_11comp_targetILNS1_3genE9ELNS1_11target_archE1100ELNS1_3gpuE3ELNS1_3repE0EEENS1_48merge_mergepath_partition_config_static_selectorELNS0_4arch9wavefront6targetE1EEEvSH_.num_named_barrier, 0
	.set _ZN7rocprim17ROCPRIM_400000_NS6detail17trampoline_kernelINS0_14default_configENS1_38merge_sort_block_merge_config_selectorIllEEZZNS1_27merge_sort_block_merge_implIS3_PlN6thrust23THRUST_200600_302600_NS10device_ptrIlEEjNS1_19radix_merge_compareILb0ELb0ElNS0_19identity_decomposerEEEEE10hipError_tT0_T1_T2_jT3_P12ihipStream_tbPNSt15iterator_traitsISG_E10value_typeEPNSM_ISH_E10value_typeEPSI_NS1_7vsmem_tEENKUlT_SG_SH_SI_E_clIS7_S7_S7_SB_EESF_SV_SG_SH_SI_EUlSV_E_NS1_11comp_targetILNS1_3genE9ELNS1_11target_archE1100ELNS1_3gpuE3ELNS1_3repE0EEENS1_48merge_mergepath_partition_config_static_selectorELNS0_4arch9wavefront6targetE1EEEvSH_.private_seg_size, 0
	.set _ZN7rocprim17ROCPRIM_400000_NS6detail17trampoline_kernelINS0_14default_configENS1_38merge_sort_block_merge_config_selectorIllEEZZNS1_27merge_sort_block_merge_implIS3_PlN6thrust23THRUST_200600_302600_NS10device_ptrIlEEjNS1_19radix_merge_compareILb0ELb0ElNS0_19identity_decomposerEEEEE10hipError_tT0_T1_T2_jT3_P12ihipStream_tbPNSt15iterator_traitsISG_E10value_typeEPNSM_ISH_E10value_typeEPSI_NS1_7vsmem_tEENKUlT_SG_SH_SI_E_clIS7_S7_S7_SB_EESF_SV_SG_SH_SI_EUlSV_E_NS1_11comp_targetILNS1_3genE9ELNS1_11target_archE1100ELNS1_3gpuE3ELNS1_3repE0EEENS1_48merge_mergepath_partition_config_static_selectorELNS0_4arch9wavefront6targetE1EEEvSH_.uses_vcc, 0
	.set _ZN7rocprim17ROCPRIM_400000_NS6detail17trampoline_kernelINS0_14default_configENS1_38merge_sort_block_merge_config_selectorIllEEZZNS1_27merge_sort_block_merge_implIS3_PlN6thrust23THRUST_200600_302600_NS10device_ptrIlEEjNS1_19radix_merge_compareILb0ELb0ElNS0_19identity_decomposerEEEEE10hipError_tT0_T1_T2_jT3_P12ihipStream_tbPNSt15iterator_traitsISG_E10value_typeEPNSM_ISH_E10value_typeEPSI_NS1_7vsmem_tEENKUlT_SG_SH_SI_E_clIS7_S7_S7_SB_EESF_SV_SG_SH_SI_EUlSV_E_NS1_11comp_targetILNS1_3genE9ELNS1_11target_archE1100ELNS1_3gpuE3ELNS1_3repE0EEENS1_48merge_mergepath_partition_config_static_selectorELNS0_4arch9wavefront6targetE1EEEvSH_.uses_flat_scratch, 0
	.set _ZN7rocprim17ROCPRIM_400000_NS6detail17trampoline_kernelINS0_14default_configENS1_38merge_sort_block_merge_config_selectorIllEEZZNS1_27merge_sort_block_merge_implIS3_PlN6thrust23THRUST_200600_302600_NS10device_ptrIlEEjNS1_19radix_merge_compareILb0ELb0ElNS0_19identity_decomposerEEEEE10hipError_tT0_T1_T2_jT3_P12ihipStream_tbPNSt15iterator_traitsISG_E10value_typeEPNSM_ISH_E10value_typeEPSI_NS1_7vsmem_tEENKUlT_SG_SH_SI_E_clIS7_S7_S7_SB_EESF_SV_SG_SH_SI_EUlSV_E_NS1_11comp_targetILNS1_3genE9ELNS1_11target_archE1100ELNS1_3gpuE3ELNS1_3repE0EEENS1_48merge_mergepath_partition_config_static_selectorELNS0_4arch9wavefront6targetE1EEEvSH_.has_dyn_sized_stack, 0
	.set _ZN7rocprim17ROCPRIM_400000_NS6detail17trampoline_kernelINS0_14default_configENS1_38merge_sort_block_merge_config_selectorIllEEZZNS1_27merge_sort_block_merge_implIS3_PlN6thrust23THRUST_200600_302600_NS10device_ptrIlEEjNS1_19radix_merge_compareILb0ELb0ElNS0_19identity_decomposerEEEEE10hipError_tT0_T1_T2_jT3_P12ihipStream_tbPNSt15iterator_traitsISG_E10value_typeEPNSM_ISH_E10value_typeEPSI_NS1_7vsmem_tEENKUlT_SG_SH_SI_E_clIS7_S7_S7_SB_EESF_SV_SG_SH_SI_EUlSV_E_NS1_11comp_targetILNS1_3genE9ELNS1_11target_archE1100ELNS1_3gpuE3ELNS1_3repE0EEENS1_48merge_mergepath_partition_config_static_selectorELNS0_4arch9wavefront6targetE1EEEvSH_.has_recursion, 0
	.set _ZN7rocprim17ROCPRIM_400000_NS6detail17trampoline_kernelINS0_14default_configENS1_38merge_sort_block_merge_config_selectorIllEEZZNS1_27merge_sort_block_merge_implIS3_PlN6thrust23THRUST_200600_302600_NS10device_ptrIlEEjNS1_19radix_merge_compareILb0ELb0ElNS0_19identity_decomposerEEEEE10hipError_tT0_T1_T2_jT3_P12ihipStream_tbPNSt15iterator_traitsISG_E10value_typeEPNSM_ISH_E10value_typeEPSI_NS1_7vsmem_tEENKUlT_SG_SH_SI_E_clIS7_S7_S7_SB_EESF_SV_SG_SH_SI_EUlSV_E_NS1_11comp_targetILNS1_3genE9ELNS1_11target_archE1100ELNS1_3gpuE3ELNS1_3repE0EEENS1_48merge_mergepath_partition_config_static_selectorELNS0_4arch9wavefront6targetE1EEEvSH_.has_indirect_call, 0
	.section	.AMDGPU.csdata,"",@progbits
; Kernel info:
; codeLenInByte = 0
; TotalNumSgprs: 4
; NumVgprs: 0
; ScratchSize: 0
; MemoryBound: 0
; FloatMode: 240
; IeeeMode: 1
; LDSByteSize: 0 bytes/workgroup (compile time only)
; SGPRBlocks: 0
; VGPRBlocks: 0
; NumSGPRsForWavesPerEU: 4
; NumVGPRsForWavesPerEU: 1
; Occupancy: 10
; WaveLimiterHint : 0
; COMPUTE_PGM_RSRC2:SCRATCH_EN: 0
; COMPUTE_PGM_RSRC2:USER_SGPR: 6
; COMPUTE_PGM_RSRC2:TRAP_HANDLER: 0
; COMPUTE_PGM_RSRC2:TGID_X_EN: 1
; COMPUTE_PGM_RSRC2:TGID_Y_EN: 0
; COMPUTE_PGM_RSRC2:TGID_Z_EN: 0
; COMPUTE_PGM_RSRC2:TIDIG_COMP_CNT: 0
	.section	.text._ZN7rocprim17ROCPRIM_400000_NS6detail17trampoline_kernelINS0_14default_configENS1_38merge_sort_block_merge_config_selectorIllEEZZNS1_27merge_sort_block_merge_implIS3_PlN6thrust23THRUST_200600_302600_NS10device_ptrIlEEjNS1_19radix_merge_compareILb0ELb0ElNS0_19identity_decomposerEEEEE10hipError_tT0_T1_T2_jT3_P12ihipStream_tbPNSt15iterator_traitsISG_E10value_typeEPNSM_ISH_E10value_typeEPSI_NS1_7vsmem_tEENKUlT_SG_SH_SI_E_clIS7_S7_S7_SB_EESF_SV_SG_SH_SI_EUlSV_E_NS1_11comp_targetILNS1_3genE8ELNS1_11target_archE1030ELNS1_3gpuE2ELNS1_3repE0EEENS1_48merge_mergepath_partition_config_static_selectorELNS0_4arch9wavefront6targetE1EEEvSH_,"axG",@progbits,_ZN7rocprim17ROCPRIM_400000_NS6detail17trampoline_kernelINS0_14default_configENS1_38merge_sort_block_merge_config_selectorIllEEZZNS1_27merge_sort_block_merge_implIS3_PlN6thrust23THRUST_200600_302600_NS10device_ptrIlEEjNS1_19radix_merge_compareILb0ELb0ElNS0_19identity_decomposerEEEEE10hipError_tT0_T1_T2_jT3_P12ihipStream_tbPNSt15iterator_traitsISG_E10value_typeEPNSM_ISH_E10value_typeEPSI_NS1_7vsmem_tEENKUlT_SG_SH_SI_E_clIS7_S7_S7_SB_EESF_SV_SG_SH_SI_EUlSV_E_NS1_11comp_targetILNS1_3genE8ELNS1_11target_archE1030ELNS1_3gpuE2ELNS1_3repE0EEENS1_48merge_mergepath_partition_config_static_selectorELNS0_4arch9wavefront6targetE1EEEvSH_,comdat
	.protected	_ZN7rocprim17ROCPRIM_400000_NS6detail17trampoline_kernelINS0_14default_configENS1_38merge_sort_block_merge_config_selectorIllEEZZNS1_27merge_sort_block_merge_implIS3_PlN6thrust23THRUST_200600_302600_NS10device_ptrIlEEjNS1_19radix_merge_compareILb0ELb0ElNS0_19identity_decomposerEEEEE10hipError_tT0_T1_T2_jT3_P12ihipStream_tbPNSt15iterator_traitsISG_E10value_typeEPNSM_ISH_E10value_typeEPSI_NS1_7vsmem_tEENKUlT_SG_SH_SI_E_clIS7_S7_S7_SB_EESF_SV_SG_SH_SI_EUlSV_E_NS1_11comp_targetILNS1_3genE8ELNS1_11target_archE1030ELNS1_3gpuE2ELNS1_3repE0EEENS1_48merge_mergepath_partition_config_static_selectorELNS0_4arch9wavefront6targetE1EEEvSH_ ; -- Begin function _ZN7rocprim17ROCPRIM_400000_NS6detail17trampoline_kernelINS0_14default_configENS1_38merge_sort_block_merge_config_selectorIllEEZZNS1_27merge_sort_block_merge_implIS3_PlN6thrust23THRUST_200600_302600_NS10device_ptrIlEEjNS1_19radix_merge_compareILb0ELb0ElNS0_19identity_decomposerEEEEE10hipError_tT0_T1_T2_jT3_P12ihipStream_tbPNSt15iterator_traitsISG_E10value_typeEPNSM_ISH_E10value_typeEPSI_NS1_7vsmem_tEENKUlT_SG_SH_SI_E_clIS7_S7_S7_SB_EESF_SV_SG_SH_SI_EUlSV_E_NS1_11comp_targetILNS1_3genE8ELNS1_11target_archE1030ELNS1_3gpuE2ELNS1_3repE0EEENS1_48merge_mergepath_partition_config_static_selectorELNS0_4arch9wavefront6targetE1EEEvSH_
	.globl	_ZN7rocprim17ROCPRIM_400000_NS6detail17trampoline_kernelINS0_14default_configENS1_38merge_sort_block_merge_config_selectorIllEEZZNS1_27merge_sort_block_merge_implIS3_PlN6thrust23THRUST_200600_302600_NS10device_ptrIlEEjNS1_19radix_merge_compareILb0ELb0ElNS0_19identity_decomposerEEEEE10hipError_tT0_T1_T2_jT3_P12ihipStream_tbPNSt15iterator_traitsISG_E10value_typeEPNSM_ISH_E10value_typeEPSI_NS1_7vsmem_tEENKUlT_SG_SH_SI_E_clIS7_S7_S7_SB_EESF_SV_SG_SH_SI_EUlSV_E_NS1_11comp_targetILNS1_3genE8ELNS1_11target_archE1030ELNS1_3gpuE2ELNS1_3repE0EEENS1_48merge_mergepath_partition_config_static_selectorELNS0_4arch9wavefront6targetE1EEEvSH_
	.p2align	8
	.type	_ZN7rocprim17ROCPRIM_400000_NS6detail17trampoline_kernelINS0_14default_configENS1_38merge_sort_block_merge_config_selectorIllEEZZNS1_27merge_sort_block_merge_implIS3_PlN6thrust23THRUST_200600_302600_NS10device_ptrIlEEjNS1_19radix_merge_compareILb0ELb0ElNS0_19identity_decomposerEEEEE10hipError_tT0_T1_T2_jT3_P12ihipStream_tbPNSt15iterator_traitsISG_E10value_typeEPNSM_ISH_E10value_typeEPSI_NS1_7vsmem_tEENKUlT_SG_SH_SI_E_clIS7_S7_S7_SB_EESF_SV_SG_SH_SI_EUlSV_E_NS1_11comp_targetILNS1_3genE8ELNS1_11target_archE1030ELNS1_3gpuE2ELNS1_3repE0EEENS1_48merge_mergepath_partition_config_static_selectorELNS0_4arch9wavefront6targetE1EEEvSH_,@function
_ZN7rocprim17ROCPRIM_400000_NS6detail17trampoline_kernelINS0_14default_configENS1_38merge_sort_block_merge_config_selectorIllEEZZNS1_27merge_sort_block_merge_implIS3_PlN6thrust23THRUST_200600_302600_NS10device_ptrIlEEjNS1_19radix_merge_compareILb0ELb0ElNS0_19identity_decomposerEEEEE10hipError_tT0_T1_T2_jT3_P12ihipStream_tbPNSt15iterator_traitsISG_E10value_typeEPNSM_ISH_E10value_typeEPSI_NS1_7vsmem_tEENKUlT_SG_SH_SI_E_clIS7_S7_S7_SB_EESF_SV_SG_SH_SI_EUlSV_E_NS1_11comp_targetILNS1_3genE8ELNS1_11target_archE1030ELNS1_3gpuE2ELNS1_3repE0EEENS1_48merge_mergepath_partition_config_static_selectorELNS0_4arch9wavefront6targetE1EEEvSH_: ; @_ZN7rocprim17ROCPRIM_400000_NS6detail17trampoline_kernelINS0_14default_configENS1_38merge_sort_block_merge_config_selectorIllEEZZNS1_27merge_sort_block_merge_implIS3_PlN6thrust23THRUST_200600_302600_NS10device_ptrIlEEjNS1_19radix_merge_compareILb0ELb0ElNS0_19identity_decomposerEEEEE10hipError_tT0_T1_T2_jT3_P12ihipStream_tbPNSt15iterator_traitsISG_E10value_typeEPNSM_ISH_E10value_typeEPSI_NS1_7vsmem_tEENKUlT_SG_SH_SI_E_clIS7_S7_S7_SB_EESF_SV_SG_SH_SI_EUlSV_E_NS1_11comp_targetILNS1_3genE8ELNS1_11target_archE1030ELNS1_3gpuE2ELNS1_3repE0EEENS1_48merge_mergepath_partition_config_static_selectorELNS0_4arch9wavefront6targetE1EEEvSH_
; %bb.0:
	.section	.rodata,"a",@progbits
	.p2align	6, 0x0
	.amdhsa_kernel _ZN7rocprim17ROCPRIM_400000_NS6detail17trampoline_kernelINS0_14default_configENS1_38merge_sort_block_merge_config_selectorIllEEZZNS1_27merge_sort_block_merge_implIS3_PlN6thrust23THRUST_200600_302600_NS10device_ptrIlEEjNS1_19radix_merge_compareILb0ELb0ElNS0_19identity_decomposerEEEEE10hipError_tT0_T1_T2_jT3_P12ihipStream_tbPNSt15iterator_traitsISG_E10value_typeEPNSM_ISH_E10value_typeEPSI_NS1_7vsmem_tEENKUlT_SG_SH_SI_E_clIS7_S7_S7_SB_EESF_SV_SG_SH_SI_EUlSV_E_NS1_11comp_targetILNS1_3genE8ELNS1_11target_archE1030ELNS1_3gpuE2ELNS1_3repE0EEENS1_48merge_mergepath_partition_config_static_selectorELNS0_4arch9wavefront6targetE1EEEvSH_
		.amdhsa_group_segment_fixed_size 0
		.amdhsa_private_segment_fixed_size 0
		.amdhsa_kernarg_size 40
		.amdhsa_user_sgpr_count 6
		.amdhsa_user_sgpr_private_segment_buffer 1
		.amdhsa_user_sgpr_dispatch_ptr 0
		.amdhsa_user_sgpr_queue_ptr 0
		.amdhsa_user_sgpr_kernarg_segment_ptr 1
		.amdhsa_user_sgpr_dispatch_id 0
		.amdhsa_user_sgpr_flat_scratch_init 0
		.amdhsa_user_sgpr_private_segment_size 0
		.amdhsa_uses_dynamic_stack 0
		.amdhsa_system_sgpr_private_segment_wavefront_offset 0
		.amdhsa_system_sgpr_workgroup_id_x 1
		.amdhsa_system_sgpr_workgroup_id_y 0
		.amdhsa_system_sgpr_workgroup_id_z 0
		.amdhsa_system_sgpr_workgroup_info 0
		.amdhsa_system_vgpr_workitem_id 0
		.amdhsa_next_free_vgpr 1
		.amdhsa_next_free_sgpr 0
		.amdhsa_reserve_vcc 0
		.amdhsa_reserve_flat_scratch 0
		.amdhsa_float_round_mode_32 0
		.amdhsa_float_round_mode_16_64 0
		.amdhsa_float_denorm_mode_32 3
		.amdhsa_float_denorm_mode_16_64 3
		.amdhsa_dx10_clamp 1
		.amdhsa_ieee_mode 1
		.amdhsa_fp16_overflow 0
		.amdhsa_exception_fp_ieee_invalid_op 0
		.amdhsa_exception_fp_denorm_src 0
		.amdhsa_exception_fp_ieee_div_zero 0
		.amdhsa_exception_fp_ieee_overflow 0
		.amdhsa_exception_fp_ieee_underflow 0
		.amdhsa_exception_fp_ieee_inexact 0
		.amdhsa_exception_int_div_zero 0
	.end_amdhsa_kernel
	.section	.text._ZN7rocprim17ROCPRIM_400000_NS6detail17trampoline_kernelINS0_14default_configENS1_38merge_sort_block_merge_config_selectorIllEEZZNS1_27merge_sort_block_merge_implIS3_PlN6thrust23THRUST_200600_302600_NS10device_ptrIlEEjNS1_19radix_merge_compareILb0ELb0ElNS0_19identity_decomposerEEEEE10hipError_tT0_T1_T2_jT3_P12ihipStream_tbPNSt15iterator_traitsISG_E10value_typeEPNSM_ISH_E10value_typeEPSI_NS1_7vsmem_tEENKUlT_SG_SH_SI_E_clIS7_S7_S7_SB_EESF_SV_SG_SH_SI_EUlSV_E_NS1_11comp_targetILNS1_3genE8ELNS1_11target_archE1030ELNS1_3gpuE2ELNS1_3repE0EEENS1_48merge_mergepath_partition_config_static_selectorELNS0_4arch9wavefront6targetE1EEEvSH_,"axG",@progbits,_ZN7rocprim17ROCPRIM_400000_NS6detail17trampoline_kernelINS0_14default_configENS1_38merge_sort_block_merge_config_selectorIllEEZZNS1_27merge_sort_block_merge_implIS3_PlN6thrust23THRUST_200600_302600_NS10device_ptrIlEEjNS1_19radix_merge_compareILb0ELb0ElNS0_19identity_decomposerEEEEE10hipError_tT0_T1_T2_jT3_P12ihipStream_tbPNSt15iterator_traitsISG_E10value_typeEPNSM_ISH_E10value_typeEPSI_NS1_7vsmem_tEENKUlT_SG_SH_SI_E_clIS7_S7_S7_SB_EESF_SV_SG_SH_SI_EUlSV_E_NS1_11comp_targetILNS1_3genE8ELNS1_11target_archE1030ELNS1_3gpuE2ELNS1_3repE0EEENS1_48merge_mergepath_partition_config_static_selectorELNS0_4arch9wavefront6targetE1EEEvSH_,comdat
.Lfunc_end1017:
	.size	_ZN7rocprim17ROCPRIM_400000_NS6detail17trampoline_kernelINS0_14default_configENS1_38merge_sort_block_merge_config_selectorIllEEZZNS1_27merge_sort_block_merge_implIS3_PlN6thrust23THRUST_200600_302600_NS10device_ptrIlEEjNS1_19radix_merge_compareILb0ELb0ElNS0_19identity_decomposerEEEEE10hipError_tT0_T1_T2_jT3_P12ihipStream_tbPNSt15iterator_traitsISG_E10value_typeEPNSM_ISH_E10value_typeEPSI_NS1_7vsmem_tEENKUlT_SG_SH_SI_E_clIS7_S7_S7_SB_EESF_SV_SG_SH_SI_EUlSV_E_NS1_11comp_targetILNS1_3genE8ELNS1_11target_archE1030ELNS1_3gpuE2ELNS1_3repE0EEENS1_48merge_mergepath_partition_config_static_selectorELNS0_4arch9wavefront6targetE1EEEvSH_, .Lfunc_end1017-_ZN7rocprim17ROCPRIM_400000_NS6detail17trampoline_kernelINS0_14default_configENS1_38merge_sort_block_merge_config_selectorIllEEZZNS1_27merge_sort_block_merge_implIS3_PlN6thrust23THRUST_200600_302600_NS10device_ptrIlEEjNS1_19radix_merge_compareILb0ELb0ElNS0_19identity_decomposerEEEEE10hipError_tT0_T1_T2_jT3_P12ihipStream_tbPNSt15iterator_traitsISG_E10value_typeEPNSM_ISH_E10value_typeEPSI_NS1_7vsmem_tEENKUlT_SG_SH_SI_E_clIS7_S7_S7_SB_EESF_SV_SG_SH_SI_EUlSV_E_NS1_11comp_targetILNS1_3genE8ELNS1_11target_archE1030ELNS1_3gpuE2ELNS1_3repE0EEENS1_48merge_mergepath_partition_config_static_selectorELNS0_4arch9wavefront6targetE1EEEvSH_
                                        ; -- End function
	.set _ZN7rocprim17ROCPRIM_400000_NS6detail17trampoline_kernelINS0_14default_configENS1_38merge_sort_block_merge_config_selectorIllEEZZNS1_27merge_sort_block_merge_implIS3_PlN6thrust23THRUST_200600_302600_NS10device_ptrIlEEjNS1_19radix_merge_compareILb0ELb0ElNS0_19identity_decomposerEEEEE10hipError_tT0_T1_T2_jT3_P12ihipStream_tbPNSt15iterator_traitsISG_E10value_typeEPNSM_ISH_E10value_typeEPSI_NS1_7vsmem_tEENKUlT_SG_SH_SI_E_clIS7_S7_S7_SB_EESF_SV_SG_SH_SI_EUlSV_E_NS1_11comp_targetILNS1_3genE8ELNS1_11target_archE1030ELNS1_3gpuE2ELNS1_3repE0EEENS1_48merge_mergepath_partition_config_static_selectorELNS0_4arch9wavefront6targetE1EEEvSH_.num_vgpr, 0
	.set _ZN7rocprim17ROCPRIM_400000_NS6detail17trampoline_kernelINS0_14default_configENS1_38merge_sort_block_merge_config_selectorIllEEZZNS1_27merge_sort_block_merge_implIS3_PlN6thrust23THRUST_200600_302600_NS10device_ptrIlEEjNS1_19radix_merge_compareILb0ELb0ElNS0_19identity_decomposerEEEEE10hipError_tT0_T1_T2_jT3_P12ihipStream_tbPNSt15iterator_traitsISG_E10value_typeEPNSM_ISH_E10value_typeEPSI_NS1_7vsmem_tEENKUlT_SG_SH_SI_E_clIS7_S7_S7_SB_EESF_SV_SG_SH_SI_EUlSV_E_NS1_11comp_targetILNS1_3genE8ELNS1_11target_archE1030ELNS1_3gpuE2ELNS1_3repE0EEENS1_48merge_mergepath_partition_config_static_selectorELNS0_4arch9wavefront6targetE1EEEvSH_.num_agpr, 0
	.set _ZN7rocprim17ROCPRIM_400000_NS6detail17trampoline_kernelINS0_14default_configENS1_38merge_sort_block_merge_config_selectorIllEEZZNS1_27merge_sort_block_merge_implIS3_PlN6thrust23THRUST_200600_302600_NS10device_ptrIlEEjNS1_19radix_merge_compareILb0ELb0ElNS0_19identity_decomposerEEEEE10hipError_tT0_T1_T2_jT3_P12ihipStream_tbPNSt15iterator_traitsISG_E10value_typeEPNSM_ISH_E10value_typeEPSI_NS1_7vsmem_tEENKUlT_SG_SH_SI_E_clIS7_S7_S7_SB_EESF_SV_SG_SH_SI_EUlSV_E_NS1_11comp_targetILNS1_3genE8ELNS1_11target_archE1030ELNS1_3gpuE2ELNS1_3repE0EEENS1_48merge_mergepath_partition_config_static_selectorELNS0_4arch9wavefront6targetE1EEEvSH_.numbered_sgpr, 0
	.set _ZN7rocprim17ROCPRIM_400000_NS6detail17trampoline_kernelINS0_14default_configENS1_38merge_sort_block_merge_config_selectorIllEEZZNS1_27merge_sort_block_merge_implIS3_PlN6thrust23THRUST_200600_302600_NS10device_ptrIlEEjNS1_19radix_merge_compareILb0ELb0ElNS0_19identity_decomposerEEEEE10hipError_tT0_T1_T2_jT3_P12ihipStream_tbPNSt15iterator_traitsISG_E10value_typeEPNSM_ISH_E10value_typeEPSI_NS1_7vsmem_tEENKUlT_SG_SH_SI_E_clIS7_S7_S7_SB_EESF_SV_SG_SH_SI_EUlSV_E_NS1_11comp_targetILNS1_3genE8ELNS1_11target_archE1030ELNS1_3gpuE2ELNS1_3repE0EEENS1_48merge_mergepath_partition_config_static_selectorELNS0_4arch9wavefront6targetE1EEEvSH_.num_named_barrier, 0
	.set _ZN7rocprim17ROCPRIM_400000_NS6detail17trampoline_kernelINS0_14default_configENS1_38merge_sort_block_merge_config_selectorIllEEZZNS1_27merge_sort_block_merge_implIS3_PlN6thrust23THRUST_200600_302600_NS10device_ptrIlEEjNS1_19radix_merge_compareILb0ELb0ElNS0_19identity_decomposerEEEEE10hipError_tT0_T1_T2_jT3_P12ihipStream_tbPNSt15iterator_traitsISG_E10value_typeEPNSM_ISH_E10value_typeEPSI_NS1_7vsmem_tEENKUlT_SG_SH_SI_E_clIS7_S7_S7_SB_EESF_SV_SG_SH_SI_EUlSV_E_NS1_11comp_targetILNS1_3genE8ELNS1_11target_archE1030ELNS1_3gpuE2ELNS1_3repE0EEENS1_48merge_mergepath_partition_config_static_selectorELNS0_4arch9wavefront6targetE1EEEvSH_.private_seg_size, 0
	.set _ZN7rocprim17ROCPRIM_400000_NS6detail17trampoline_kernelINS0_14default_configENS1_38merge_sort_block_merge_config_selectorIllEEZZNS1_27merge_sort_block_merge_implIS3_PlN6thrust23THRUST_200600_302600_NS10device_ptrIlEEjNS1_19radix_merge_compareILb0ELb0ElNS0_19identity_decomposerEEEEE10hipError_tT0_T1_T2_jT3_P12ihipStream_tbPNSt15iterator_traitsISG_E10value_typeEPNSM_ISH_E10value_typeEPSI_NS1_7vsmem_tEENKUlT_SG_SH_SI_E_clIS7_S7_S7_SB_EESF_SV_SG_SH_SI_EUlSV_E_NS1_11comp_targetILNS1_3genE8ELNS1_11target_archE1030ELNS1_3gpuE2ELNS1_3repE0EEENS1_48merge_mergepath_partition_config_static_selectorELNS0_4arch9wavefront6targetE1EEEvSH_.uses_vcc, 0
	.set _ZN7rocprim17ROCPRIM_400000_NS6detail17trampoline_kernelINS0_14default_configENS1_38merge_sort_block_merge_config_selectorIllEEZZNS1_27merge_sort_block_merge_implIS3_PlN6thrust23THRUST_200600_302600_NS10device_ptrIlEEjNS1_19radix_merge_compareILb0ELb0ElNS0_19identity_decomposerEEEEE10hipError_tT0_T1_T2_jT3_P12ihipStream_tbPNSt15iterator_traitsISG_E10value_typeEPNSM_ISH_E10value_typeEPSI_NS1_7vsmem_tEENKUlT_SG_SH_SI_E_clIS7_S7_S7_SB_EESF_SV_SG_SH_SI_EUlSV_E_NS1_11comp_targetILNS1_3genE8ELNS1_11target_archE1030ELNS1_3gpuE2ELNS1_3repE0EEENS1_48merge_mergepath_partition_config_static_selectorELNS0_4arch9wavefront6targetE1EEEvSH_.uses_flat_scratch, 0
	.set _ZN7rocprim17ROCPRIM_400000_NS6detail17trampoline_kernelINS0_14default_configENS1_38merge_sort_block_merge_config_selectorIllEEZZNS1_27merge_sort_block_merge_implIS3_PlN6thrust23THRUST_200600_302600_NS10device_ptrIlEEjNS1_19radix_merge_compareILb0ELb0ElNS0_19identity_decomposerEEEEE10hipError_tT0_T1_T2_jT3_P12ihipStream_tbPNSt15iterator_traitsISG_E10value_typeEPNSM_ISH_E10value_typeEPSI_NS1_7vsmem_tEENKUlT_SG_SH_SI_E_clIS7_S7_S7_SB_EESF_SV_SG_SH_SI_EUlSV_E_NS1_11comp_targetILNS1_3genE8ELNS1_11target_archE1030ELNS1_3gpuE2ELNS1_3repE0EEENS1_48merge_mergepath_partition_config_static_selectorELNS0_4arch9wavefront6targetE1EEEvSH_.has_dyn_sized_stack, 0
	.set _ZN7rocprim17ROCPRIM_400000_NS6detail17trampoline_kernelINS0_14default_configENS1_38merge_sort_block_merge_config_selectorIllEEZZNS1_27merge_sort_block_merge_implIS3_PlN6thrust23THRUST_200600_302600_NS10device_ptrIlEEjNS1_19radix_merge_compareILb0ELb0ElNS0_19identity_decomposerEEEEE10hipError_tT0_T1_T2_jT3_P12ihipStream_tbPNSt15iterator_traitsISG_E10value_typeEPNSM_ISH_E10value_typeEPSI_NS1_7vsmem_tEENKUlT_SG_SH_SI_E_clIS7_S7_S7_SB_EESF_SV_SG_SH_SI_EUlSV_E_NS1_11comp_targetILNS1_3genE8ELNS1_11target_archE1030ELNS1_3gpuE2ELNS1_3repE0EEENS1_48merge_mergepath_partition_config_static_selectorELNS0_4arch9wavefront6targetE1EEEvSH_.has_recursion, 0
	.set _ZN7rocprim17ROCPRIM_400000_NS6detail17trampoline_kernelINS0_14default_configENS1_38merge_sort_block_merge_config_selectorIllEEZZNS1_27merge_sort_block_merge_implIS3_PlN6thrust23THRUST_200600_302600_NS10device_ptrIlEEjNS1_19radix_merge_compareILb0ELb0ElNS0_19identity_decomposerEEEEE10hipError_tT0_T1_T2_jT3_P12ihipStream_tbPNSt15iterator_traitsISG_E10value_typeEPNSM_ISH_E10value_typeEPSI_NS1_7vsmem_tEENKUlT_SG_SH_SI_E_clIS7_S7_S7_SB_EESF_SV_SG_SH_SI_EUlSV_E_NS1_11comp_targetILNS1_3genE8ELNS1_11target_archE1030ELNS1_3gpuE2ELNS1_3repE0EEENS1_48merge_mergepath_partition_config_static_selectorELNS0_4arch9wavefront6targetE1EEEvSH_.has_indirect_call, 0
	.section	.AMDGPU.csdata,"",@progbits
; Kernel info:
; codeLenInByte = 0
; TotalNumSgprs: 4
; NumVgprs: 0
; ScratchSize: 0
; MemoryBound: 0
; FloatMode: 240
; IeeeMode: 1
; LDSByteSize: 0 bytes/workgroup (compile time only)
; SGPRBlocks: 0
; VGPRBlocks: 0
; NumSGPRsForWavesPerEU: 4
; NumVGPRsForWavesPerEU: 1
; Occupancy: 10
; WaveLimiterHint : 0
; COMPUTE_PGM_RSRC2:SCRATCH_EN: 0
; COMPUTE_PGM_RSRC2:USER_SGPR: 6
; COMPUTE_PGM_RSRC2:TRAP_HANDLER: 0
; COMPUTE_PGM_RSRC2:TGID_X_EN: 1
; COMPUTE_PGM_RSRC2:TGID_Y_EN: 0
; COMPUTE_PGM_RSRC2:TGID_Z_EN: 0
; COMPUTE_PGM_RSRC2:TIDIG_COMP_CNT: 0
	.section	.text._ZN7rocprim17ROCPRIM_400000_NS6detail17trampoline_kernelINS0_14default_configENS1_38merge_sort_block_merge_config_selectorIllEEZZNS1_27merge_sort_block_merge_implIS3_PlN6thrust23THRUST_200600_302600_NS10device_ptrIlEEjNS1_19radix_merge_compareILb0ELb0ElNS0_19identity_decomposerEEEEE10hipError_tT0_T1_T2_jT3_P12ihipStream_tbPNSt15iterator_traitsISG_E10value_typeEPNSM_ISH_E10value_typeEPSI_NS1_7vsmem_tEENKUlT_SG_SH_SI_E_clIS7_S7_S7_SB_EESF_SV_SG_SH_SI_EUlSV_E0_NS1_11comp_targetILNS1_3genE0ELNS1_11target_archE4294967295ELNS1_3gpuE0ELNS1_3repE0EEENS1_38merge_mergepath_config_static_selectorELNS0_4arch9wavefront6targetE1EEEvSH_,"axG",@progbits,_ZN7rocprim17ROCPRIM_400000_NS6detail17trampoline_kernelINS0_14default_configENS1_38merge_sort_block_merge_config_selectorIllEEZZNS1_27merge_sort_block_merge_implIS3_PlN6thrust23THRUST_200600_302600_NS10device_ptrIlEEjNS1_19radix_merge_compareILb0ELb0ElNS0_19identity_decomposerEEEEE10hipError_tT0_T1_T2_jT3_P12ihipStream_tbPNSt15iterator_traitsISG_E10value_typeEPNSM_ISH_E10value_typeEPSI_NS1_7vsmem_tEENKUlT_SG_SH_SI_E_clIS7_S7_S7_SB_EESF_SV_SG_SH_SI_EUlSV_E0_NS1_11comp_targetILNS1_3genE0ELNS1_11target_archE4294967295ELNS1_3gpuE0ELNS1_3repE0EEENS1_38merge_mergepath_config_static_selectorELNS0_4arch9wavefront6targetE1EEEvSH_,comdat
	.protected	_ZN7rocprim17ROCPRIM_400000_NS6detail17trampoline_kernelINS0_14default_configENS1_38merge_sort_block_merge_config_selectorIllEEZZNS1_27merge_sort_block_merge_implIS3_PlN6thrust23THRUST_200600_302600_NS10device_ptrIlEEjNS1_19radix_merge_compareILb0ELb0ElNS0_19identity_decomposerEEEEE10hipError_tT0_T1_T2_jT3_P12ihipStream_tbPNSt15iterator_traitsISG_E10value_typeEPNSM_ISH_E10value_typeEPSI_NS1_7vsmem_tEENKUlT_SG_SH_SI_E_clIS7_S7_S7_SB_EESF_SV_SG_SH_SI_EUlSV_E0_NS1_11comp_targetILNS1_3genE0ELNS1_11target_archE4294967295ELNS1_3gpuE0ELNS1_3repE0EEENS1_38merge_mergepath_config_static_selectorELNS0_4arch9wavefront6targetE1EEEvSH_ ; -- Begin function _ZN7rocprim17ROCPRIM_400000_NS6detail17trampoline_kernelINS0_14default_configENS1_38merge_sort_block_merge_config_selectorIllEEZZNS1_27merge_sort_block_merge_implIS3_PlN6thrust23THRUST_200600_302600_NS10device_ptrIlEEjNS1_19radix_merge_compareILb0ELb0ElNS0_19identity_decomposerEEEEE10hipError_tT0_T1_T2_jT3_P12ihipStream_tbPNSt15iterator_traitsISG_E10value_typeEPNSM_ISH_E10value_typeEPSI_NS1_7vsmem_tEENKUlT_SG_SH_SI_E_clIS7_S7_S7_SB_EESF_SV_SG_SH_SI_EUlSV_E0_NS1_11comp_targetILNS1_3genE0ELNS1_11target_archE4294967295ELNS1_3gpuE0ELNS1_3repE0EEENS1_38merge_mergepath_config_static_selectorELNS0_4arch9wavefront6targetE1EEEvSH_
	.globl	_ZN7rocprim17ROCPRIM_400000_NS6detail17trampoline_kernelINS0_14default_configENS1_38merge_sort_block_merge_config_selectorIllEEZZNS1_27merge_sort_block_merge_implIS3_PlN6thrust23THRUST_200600_302600_NS10device_ptrIlEEjNS1_19radix_merge_compareILb0ELb0ElNS0_19identity_decomposerEEEEE10hipError_tT0_T1_T2_jT3_P12ihipStream_tbPNSt15iterator_traitsISG_E10value_typeEPNSM_ISH_E10value_typeEPSI_NS1_7vsmem_tEENKUlT_SG_SH_SI_E_clIS7_S7_S7_SB_EESF_SV_SG_SH_SI_EUlSV_E0_NS1_11comp_targetILNS1_3genE0ELNS1_11target_archE4294967295ELNS1_3gpuE0ELNS1_3repE0EEENS1_38merge_mergepath_config_static_selectorELNS0_4arch9wavefront6targetE1EEEvSH_
	.p2align	8
	.type	_ZN7rocprim17ROCPRIM_400000_NS6detail17trampoline_kernelINS0_14default_configENS1_38merge_sort_block_merge_config_selectorIllEEZZNS1_27merge_sort_block_merge_implIS3_PlN6thrust23THRUST_200600_302600_NS10device_ptrIlEEjNS1_19radix_merge_compareILb0ELb0ElNS0_19identity_decomposerEEEEE10hipError_tT0_T1_T2_jT3_P12ihipStream_tbPNSt15iterator_traitsISG_E10value_typeEPNSM_ISH_E10value_typeEPSI_NS1_7vsmem_tEENKUlT_SG_SH_SI_E_clIS7_S7_S7_SB_EESF_SV_SG_SH_SI_EUlSV_E0_NS1_11comp_targetILNS1_3genE0ELNS1_11target_archE4294967295ELNS1_3gpuE0ELNS1_3repE0EEENS1_38merge_mergepath_config_static_selectorELNS0_4arch9wavefront6targetE1EEEvSH_,@function
_ZN7rocprim17ROCPRIM_400000_NS6detail17trampoline_kernelINS0_14default_configENS1_38merge_sort_block_merge_config_selectorIllEEZZNS1_27merge_sort_block_merge_implIS3_PlN6thrust23THRUST_200600_302600_NS10device_ptrIlEEjNS1_19radix_merge_compareILb0ELb0ElNS0_19identity_decomposerEEEEE10hipError_tT0_T1_T2_jT3_P12ihipStream_tbPNSt15iterator_traitsISG_E10value_typeEPNSM_ISH_E10value_typeEPSI_NS1_7vsmem_tEENKUlT_SG_SH_SI_E_clIS7_S7_S7_SB_EESF_SV_SG_SH_SI_EUlSV_E0_NS1_11comp_targetILNS1_3genE0ELNS1_11target_archE4294967295ELNS1_3gpuE0ELNS1_3repE0EEENS1_38merge_mergepath_config_static_selectorELNS0_4arch9wavefront6targetE1EEEvSH_: ; @_ZN7rocprim17ROCPRIM_400000_NS6detail17trampoline_kernelINS0_14default_configENS1_38merge_sort_block_merge_config_selectorIllEEZZNS1_27merge_sort_block_merge_implIS3_PlN6thrust23THRUST_200600_302600_NS10device_ptrIlEEjNS1_19radix_merge_compareILb0ELb0ElNS0_19identity_decomposerEEEEE10hipError_tT0_T1_T2_jT3_P12ihipStream_tbPNSt15iterator_traitsISG_E10value_typeEPNSM_ISH_E10value_typeEPSI_NS1_7vsmem_tEENKUlT_SG_SH_SI_E_clIS7_S7_S7_SB_EESF_SV_SG_SH_SI_EUlSV_E0_NS1_11comp_targetILNS1_3genE0ELNS1_11target_archE4294967295ELNS1_3gpuE0ELNS1_3repE0EEENS1_38merge_mergepath_config_static_selectorELNS0_4arch9wavefront6targetE1EEEvSH_
; %bb.0:
	.section	.rodata,"a",@progbits
	.p2align	6, 0x0
	.amdhsa_kernel _ZN7rocprim17ROCPRIM_400000_NS6detail17trampoline_kernelINS0_14default_configENS1_38merge_sort_block_merge_config_selectorIllEEZZNS1_27merge_sort_block_merge_implIS3_PlN6thrust23THRUST_200600_302600_NS10device_ptrIlEEjNS1_19radix_merge_compareILb0ELb0ElNS0_19identity_decomposerEEEEE10hipError_tT0_T1_T2_jT3_P12ihipStream_tbPNSt15iterator_traitsISG_E10value_typeEPNSM_ISH_E10value_typeEPSI_NS1_7vsmem_tEENKUlT_SG_SH_SI_E_clIS7_S7_S7_SB_EESF_SV_SG_SH_SI_EUlSV_E0_NS1_11comp_targetILNS1_3genE0ELNS1_11target_archE4294967295ELNS1_3gpuE0ELNS1_3repE0EEENS1_38merge_mergepath_config_static_selectorELNS0_4arch9wavefront6targetE1EEEvSH_
		.amdhsa_group_segment_fixed_size 0
		.amdhsa_private_segment_fixed_size 0
		.amdhsa_kernarg_size 64
		.amdhsa_user_sgpr_count 6
		.amdhsa_user_sgpr_private_segment_buffer 1
		.amdhsa_user_sgpr_dispatch_ptr 0
		.amdhsa_user_sgpr_queue_ptr 0
		.amdhsa_user_sgpr_kernarg_segment_ptr 1
		.amdhsa_user_sgpr_dispatch_id 0
		.amdhsa_user_sgpr_flat_scratch_init 0
		.amdhsa_user_sgpr_private_segment_size 0
		.amdhsa_uses_dynamic_stack 0
		.amdhsa_system_sgpr_private_segment_wavefront_offset 0
		.amdhsa_system_sgpr_workgroup_id_x 1
		.amdhsa_system_sgpr_workgroup_id_y 0
		.amdhsa_system_sgpr_workgroup_id_z 0
		.amdhsa_system_sgpr_workgroup_info 0
		.amdhsa_system_vgpr_workitem_id 0
		.amdhsa_next_free_vgpr 1
		.amdhsa_next_free_sgpr 0
		.amdhsa_reserve_vcc 0
		.amdhsa_reserve_flat_scratch 0
		.amdhsa_float_round_mode_32 0
		.amdhsa_float_round_mode_16_64 0
		.amdhsa_float_denorm_mode_32 3
		.amdhsa_float_denorm_mode_16_64 3
		.amdhsa_dx10_clamp 1
		.amdhsa_ieee_mode 1
		.amdhsa_fp16_overflow 0
		.amdhsa_exception_fp_ieee_invalid_op 0
		.amdhsa_exception_fp_denorm_src 0
		.amdhsa_exception_fp_ieee_div_zero 0
		.amdhsa_exception_fp_ieee_overflow 0
		.amdhsa_exception_fp_ieee_underflow 0
		.amdhsa_exception_fp_ieee_inexact 0
		.amdhsa_exception_int_div_zero 0
	.end_amdhsa_kernel
	.section	.text._ZN7rocprim17ROCPRIM_400000_NS6detail17trampoline_kernelINS0_14default_configENS1_38merge_sort_block_merge_config_selectorIllEEZZNS1_27merge_sort_block_merge_implIS3_PlN6thrust23THRUST_200600_302600_NS10device_ptrIlEEjNS1_19radix_merge_compareILb0ELb0ElNS0_19identity_decomposerEEEEE10hipError_tT0_T1_T2_jT3_P12ihipStream_tbPNSt15iterator_traitsISG_E10value_typeEPNSM_ISH_E10value_typeEPSI_NS1_7vsmem_tEENKUlT_SG_SH_SI_E_clIS7_S7_S7_SB_EESF_SV_SG_SH_SI_EUlSV_E0_NS1_11comp_targetILNS1_3genE0ELNS1_11target_archE4294967295ELNS1_3gpuE0ELNS1_3repE0EEENS1_38merge_mergepath_config_static_selectorELNS0_4arch9wavefront6targetE1EEEvSH_,"axG",@progbits,_ZN7rocprim17ROCPRIM_400000_NS6detail17trampoline_kernelINS0_14default_configENS1_38merge_sort_block_merge_config_selectorIllEEZZNS1_27merge_sort_block_merge_implIS3_PlN6thrust23THRUST_200600_302600_NS10device_ptrIlEEjNS1_19radix_merge_compareILb0ELb0ElNS0_19identity_decomposerEEEEE10hipError_tT0_T1_T2_jT3_P12ihipStream_tbPNSt15iterator_traitsISG_E10value_typeEPNSM_ISH_E10value_typeEPSI_NS1_7vsmem_tEENKUlT_SG_SH_SI_E_clIS7_S7_S7_SB_EESF_SV_SG_SH_SI_EUlSV_E0_NS1_11comp_targetILNS1_3genE0ELNS1_11target_archE4294967295ELNS1_3gpuE0ELNS1_3repE0EEENS1_38merge_mergepath_config_static_selectorELNS0_4arch9wavefront6targetE1EEEvSH_,comdat
.Lfunc_end1018:
	.size	_ZN7rocprim17ROCPRIM_400000_NS6detail17trampoline_kernelINS0_14default_configENS1_38merge_sort_block_merge_config_selectorIllEEZZNS1_27merge_sort_block_merge_implIS3_PlN6thrust23THRUST_200600_302600_NS10device_ptrIlEEjNS1_19radix_merge_compareILb0ELb0ElNS0_19identity_decomposerEEEEE10hipError_tT0_T1_T2_jT3_P12ihipStream_tbPNSt15iterator_traitsISG_E10value_typeEPNSM_ISH_E10value_typeEPSI_NS1_7vsmem_tEENKUlT_SG_SH_SI_E_clIS7_S7_S7_SB_EESF_SV_SG_SH_SI_EUlSV_E0_NS1_11comp_targetILNS1_3genE0ELNS1_11target_archE4294967295ELNS1_3gpuE0ELNS1_3repE0EEENS1_38merge_mergepath_config_static_selectorELNS0_4arch9wavefront6targetE1EEEvSH_, .Lfunc_end1018-_ZN7rocprim17ROCPRIM_400000_NS6detail17trampoline_kernelINS0_14default_configENS1_38merge_sort_block_merge_config_selectorIllEEZZNS1_27merge_sort_block_merge_implIS3_PlN6thrust23THRUST_200600_302600_NS10device_ptrIlEEjNS1_19radix_merge_compareILb0ELb0ElNS0_19identity_decomposerEEEEE10hipError_tT0_T1_T2_jT3_P12ihipStream_tbPNSt15iterator_traitsISG_E10value_typeEPNSM_ISH_E10value_typeEPSI_NS1_7vsmem_tEENKUlT_SG_SH_SI_E_clIS7_S7_S7_SB_EESF_SV_SG_SH_SI_EUlSV_E0_NS1_11comp_targetILNS1_3genE0ELNS1_11target_archE4294967295ELNS1_3gpuE0ELNS1_3repE0EEENS1_38merge_mergepath_config_static_selectorELNS0_4arch9wavefront6targetE1EEEvSH_
                                        ; -- End function
	.set _ZN7rocprim17ROCPRIM_400000_NS6detail17trampoline_kernelINS0_14default_configENS1_38merge_sort_block_merge_config_selectorIllEEZZNS1_27merge_sort_block_merge_implIS3_PlN6thrust23THRUST_200600_302600_NS10device_ptrIlEEjNS1_19radix_merge_compareILb0ELb0ElNS0_19identity_decomposerEEEEE10hipError_tT0_T1_T2_jT3_P12ihipStream_tbPNSt15iterator_traitsISG_E10value_typeEPNSM_ISH_E10value_typeEPSI_NS1_7vsmem_tEENKUlT_SG_SH_SI_E_clIS7_S7_S7_SB_EESF_SV_SG_SH_SI_EUlSV_E0_NS1_11comp_targetILNS1_3genE0ELNS1_11target_archE4294967295ELNS1_3gpuE0ELNS1_3repE0EEENS1_38merge_mergepath_config_static_selectorELNS0_4arch9wavefront6targetE1EEEvSH_.num_vgpr, 0
	.set _ZN7rocprim17ROCPRIM_400000_NS6detail17trampoline_kernelINS0_14default_configENS1_38merge_sort_block_merge_config_selectorIllEEZZNS1_27merge_sort_block_merge_implIS3_PlN6thrust23THRUST_200600_302600_NS10device_ptrIlEEjNS1_19radix_merge_compareILb0ELb0ElNS0_19identity_decomposerEEEEE10hipError_tT0_T1_T2_jT3_P12ihipStream_tbPNSt15iterator_traitsISG_E10value_typeEPNSM_ISH_E10value_typeEPSI_NS1_7vsmem_tEENKUlT_SG_SH_SI_E_clIS7_S7_S7_SB_EESF_SV_SG_SH_SI_EUlSV_E0_NS1_11comp_targetILNS1_3genE0ELNS1_11target_archE4294967295ELNS1_3gpuE0ELNS1_3repE0EEENS1_38merge_mergepath_config_static_selectorELNS0_4arch9wavefront6targetE1EEEvSH_.num_agpr, 0
	.set _ZN7rocprim17ROCPRIM_400000_NS6detail17trampoline_kernelINS0_14default_configENS1_38merge_sort_block_merge_config_selectorIllEEZZNS1_27merge_sort_block_merge_implIS3_PlN6thrust23THRUST_200600_302600_NS10device_ptrIlEEjNS1_19radix_merge_compareILb0ELb0ElNS0_19identity_decomposerEEEEE10hipError_tT0_T1_T2_jT3_P12ihipStream_tbPNSt15iterator_traitsISG_E10value_typeEPNSM_ISH_E10value_typeEPSI_NS1_7vsmem_tEENKUlT_SG_SH_SI_E_clIS7_S7_S7_SB_EESF_SV_SG_SH_SI_EUlSV_E0_NS1_11comp_targetILNS1_3genE0ELNS1_11target_archE4294967295ELNS1_3gpuE0ELNS1_3repE0EEENS1_38merge_mergepath_config_static_selectorELNS0_4arch9wavefront6targetE1EEEvSH_.numbered_sgpr, 0
	.set _ZN7rocprim17ROCPRIM_400000_NS6detail17trampoline_kernelINS0_14default_configENS1_38merge_sort_block_merge_config_selectorIllEEZZNS1_27merge_sort_block_merge_implIS3_PlN6thrust23THRUST_200600_302600_NS10device_ptrIlEEjNS1_19radix_merge_compareILb0ELb0ElNS0_19identity_decomposerEEEEE10hipError_tT0_T1_T2_jT3_P12ihipStream_tbPNSt15iterator_traitsISG_E10value_typeEPNSM_ISH_E10value_typeEPSI_NS1_7vsmem_tEENKUlT_SG_SH_SI_E_clIS7_S7_S7_SB_EESF_SV_SG_SH_SI_EUlSV_E0_NS1_11comp_targetILNS1_3genE0ELNS1_11target_archE4294967295ELNS1_3gpuE0ELNS1_3repE0EEENS1_38merge_mergepath_config_static_selectorELNS0_4arch9wavefront6targetE1EEEvSH_.num_named_barrier, 0
	.set _ZN7rocprim17ROCPRIM_400000_NS6detail17trampoline_kernelINS0_14default_configENS1_38merge_sort_block_merge_config_selectorIllEEZZNS1_27merge_sort_block_merge_implIS3_PlN6thrust23THRUST_200600_302600_NS10device_ptrIlEEjNS1_19radix_merge_compareILb0ELb0ElNS0_19identity_decomposerEEEEE10hipError_tT0_T1_T2_jT3_P12ihipStream_tbPNSt15iterator_traitsISG_E10value_typeEPNSM_ISH_E10value_typeEPSI_NS1_7vsmem_tEENKUlT_SG_SH_SI_E_clIS7_S7_S7_SB_EESF_SV_SG_SH_SI_EUlSV_E0_NS1_11comp_targetILNS1_3genE0ELNS1_11target_archE4294967295ELNS1_3gpuE0ELNS1_3repE0EEENS1_38merge_mergepath_config_static_selectorELNS0_4arch9wavefront6targetE1EEEvSH_.private_seg_size, 0
	.set _ZN7rocprim17ROCPRIM_400000_NS6detail17trampoline_kernelINS0_14default_configENS1_38merge_sort_block_merge_config_selectorIllEEZZNS1_27merge_sort_block_merge_implIS3_PlN6thrust23THRUST_200600_302600_NS10device_ptrIlEEjNS1_19radix_merge_compareILb0ELb0ElNS0_19identity_decomposerEEEEE10hipError_tT0_T1_T2_jT3_P12ihipStream_tbPNSt15iterator_traitsISG_E10value_typeEPNSM_ISH_E10value_typeEPSI_NS1_7vsmem_tEENKUlT_SG_SH_SI_E_clIS7_S7_S7_SB_EESF_SV_SG_SH_SI_EUlSV_E0_NS1_11comp_targetILNS1_3genE0ELNS1_11target_archE4294967295ELNS1_3gpuE0ELNS1_3repE0EEENS1_38merge_mergepath_config_static_selectorELNS0_4arch9wavefront6targetE1EEEvSH_.uses_vcc, 0
	.set _ZN7rocprim17ROCPRIM_400000_NS6detail17trampoline_kernelINS0_14default_configENS1_38merge_sort_block_merge_config_selectorIllEEZZNS1_27merge_sort_block_merge_implIS3_PlN6thrust23THRUST_200600_302600_NS10device_ptrIlEEjNS1_19radix_merge_compareILb0ELb0ElNS0_19identity_decomposerEEEEE10hipError_tT0_T1_T2_jT3_P12ihipStream_tbPNSt15iterator_traitsISG_E10value_typeEPNSM_ISH_E10value_typeEPSI_NS1_7vsmem_tEENKUlT_SG_SH_SI_E_clIS7_S7_S7_SB_EESF_SV_SG_SH_SI_EUlSV_E0_NS1_11comp_targetILNS1_3genE0ELNS1_11target_archE4294967295ELNS1_3gpuE0ELNS1_3repE0EEENS1_38merge_mergepath_config_static_selectorELNS0_4arch9wavefront6targetE1EEEvSH_.uses_flat_scratch, 0
	.set _ZN7rocprim17ROCPRIM_400000_NS6detail17trampoline_kernelINS0_14default_configENS1_38merge_sort_block_merge_config_selectorIllEEZZNS1_27merge_sort_block_merge_implIS3_PlN6thrust23THRUST_200600_302600_NS10device_ptrIlEEjNS1_19radix_merge_compareILb0ELb0ElNS0_19identity_decomposerEEEEE10hipError_tT0_T1_T2_jT3_P12ihipStream_tbPNSt15iterator_traitsISG_E10value_typeEPNSM_ISH_E10value_typeEPSI_NS1_7vsmem_tEENKUlT_SG_SH_SI_E_clIS7_S7_S7_SB_EESF_SV_SG_SH_SI_EUlSV_E0_NS1_11comp_targetILNS1_3genE0ELNS1_11target_archE4294967295ELNS1_3gpuE0ELNS1_3repE0EEENS1_38merge_mergepath_config_static_selectorELNS0_4arch9wavefront6targetE1EEEvSH_.has_dyn_sized_stack, 0
	.set _ZN7rocprim17ROCPRIM_400000_NS6detail17trampoline_kernelINS0_14default_configENS1_38merge_sort_block_merge_config_selectorIllEEZZNS1_27merge_sort_block_merge_implIS3_PlN6thrust23THRUST_200600_302600_NS10device_ptrIlEEjNS1_19radix_merge_compareILb0ELb0ElNS0_19identity_decomposerEEEEE10hipError_tT0_T1_T2_jT3_P12ihipStream_tbPNSt15iterator_traitsISG_E10value_typeEPNSM_ISH_E10value_typeEPSI_NS1_7vsmem_tEENKUlT_SG_SH_SI_E_clIS7_S7_S7_SB_EESF_SV_SG_SH_SI_EUlSV_E0_NS1_11comp_targetILNS1_3genE0ELNS1_11target_archE4294967295ELNS1_3gpuE0ELNS1_3repE0EEENS1_38merge_mergepath_config_static_selectorELNS0_4arch9wavefront6targetE1EEEvSH_.has_recursion, 0
	.set _ZN7rocprim17ROCPRIM_400000_NS6detail17trampoline_kernelINS0_14default_configENS1_38merge_sort_block_merge_config_selectorIllEEZZNS1_27merge_sort_block_merge_implIS3_PlN6thrust23THRUST_200600_302600_NS10device_ptrIlEEjNS1_19radix_merge_compareILb0ELb0ElNS0_19identity_decomposerEEEEE10hipError_tT0_T1_T2_jT3_P12ihipStream_tbPNSt15iterator_traitsISG_E10value_typeEPNSM_ISH_E10value_typeEPSI_NS1_7vsmem_tEENKUlT_SG_SH_SI_E_clIS7_S7_S7_SB_EESF_SV_SG_SH_SI_EUlSV_E0_NS1_11comp_targetILNS1_3genE0ELNS1_11target_archE4294967295ELNS1_3gpuE0ELNS1_3repE0EEENS1_38merge_mergepath_config_static_selectorELNS0_4arch9wavefront6targetE1EEEvSH_.has_indirect_call, 0
	.section	.AMDGPU.csdata,"",@progbits
; Kernel info:
; codeLenInByte = 0
; TotalNumSgprs: 4
; NumVgprs: 0
; ScratchSize: 0
; MemoryBound: 0
; FloatMode: 240
; IeeeMode: 1
; LDSByteSize: 0 bytes/workgroup (compile time only)
; SGPRBlocks: 0
; VGPRBlocks: 0
; NumSGPRsForWavesPerEU: 4
; NumVGPRsForWavesPerEU: 1
; Occupancy: 10
; WaveLimiterHint : 0
; COMPUTE_PGM_RSRC2:SCRATCH_EN: 0
; COMPUTE_PGM_RSRC2:USER_SGPR: 6
; COMPUTE_PGM_RSRC2:TRAP_HANDLER: 0
; COMPUTE_PGM_RSRC2:TGID_X_EN: 1
; COMPUTE_PGM_RSRC2:TGID_Y_EN: 0
; COMPUTE_PGM_RSRC2:TGID_Z_EN: 0
; COMPUTE_PGM_RSRC2:TIDIG_COMP_CNT: 0
	.section	.text._ZN7rocprim17ROCPRIM_400000_NS6detail17trampoline_kernelINS0_14default_configENS1_38merge_sort_block_merge_config_selectorIllEEZZNS1_27merge_sort_block_merge_implIS3_PlN6thrust23THRUST_200600_302600_NS10device_ptrIlEEjNS1_19radix_merge_compareILb0ELb0ElNS0_19identity_decomposerEEEEE10hipError_tT0_T1_T2_jT3_P12ihipStream_tbPNSt15iterator_traitsISG_E10value_typeEPNSM_ISH_E10value_typeEPSI_NS1_7vsmem_tEENKUlT_SG_SH_SI_E_clIS7_S7_S7_SB_EESF_SV_SG_SH_SI_EUlSV_E0_NS1_11comp_targetILNS1_3genE10ELNS1_11target_archE1201ELNS1_3gpuE5ELNS1_3repE0EEENS1_38merge_mergepath_config_static_selectorELNS0_4arch9wavefront6targetE1EEEvSH_,"axG",@progbits,_ZN7rocprim17ROCPRIM_400000_NS6detail17trampoline_kernelINS0_14default_configENS1_38merge_sort_block_merge_config_selectorIllEEZZNS1_27merge_sort_block_merge_implIS3_PlN6thrust23THRUST_200600_302600_NS10device_ptrIlEEjNS1_19radix_merge_compareILb0ELb0ElNS0_19identity_decomposerEEEEE10hipError_tT0_T1_T2_jT3_P12ihipStream_tbPNSt15iterator_traitsISG_E10value_typeEPNSM_ISH_E10value_typeEPSI_NS1_7vsmem_tEENKUlT_SG_SH_SI_E_clIS7_S7_S7_SB_EESF_SV_SG_SH_SI_EUlSV_E0_NS1_11comp_targetILNS1_3genE10ELNS1_11target_archE1201ELNS1_3gpuE5ELNS1_3repE0EEENS1_38merge_mergepath_config_static_selectorELNS0_4arch9wavefront6targetE1EEEvSH_,comdat
	.protected	_ZN7rocprim17ROCPRIM_400000_NS6detail17trampoline_kernelINS0_14default_configENS1_38merge_sort_block_merge_config_selectorIllEEZZNS1_27merge_sort_block_merge_implIS3_PlN6thrust23THRUST_200600_302600_NS10device_ptrIlEEjNS1_19radix_merge_compareILb0ELb0ElNS0_19identity_decomposerEEEEE10hipError_tT0_T1_T2_jT3_P12ihipStream_tbPNSt15iterator_traitsISG_E10value_typeEPNSM_ISH_E10value_typeEPSI_NS1_7vsmem_tEENKUlT_SG_SH_SI_E_clIS7_S7_S7_SB_EESF_SV_SG_SH_SI_EUlSV_E0_NS1_11comp_targetILNS1_3genE10ELNS1_11target_archE1201ELNS1_3gpuE5ELNS1_3repE0EEENS1_38merge_mergepath_config_static_selectorELNS0_4arch9wavefront6targetE1EEEvSH_ ; -- Begin function _ZN7rocprim17ROCPRIM_400000_NS6detail17trampoline_kernelINS0_14default_configENS1_38merge_sort_block_merge_config_selectorIllEEZZNS1_27merge_sort_block_merge_implIS3_PlN6thrust23THRUST_200600_302600_NS10device_ptrIlEEjNS1_19radix_merge_compareILb0ELb0ElNS0_19identity_decomposerEEEEE10hipError_tT0_T1_T2_jT3_P12ihipStream_tbPNSt15iterator_traitsISG_E10value_typeEPNSM_ISH_E10value_typeEPSI_NS1_7vsmem_tEENKUlT_SG_SH_SI_E_clIS7_S7_S7_SB_EESF_SV_SG_SH_SI_EUlSV_E0_NS1_11comp_targetILNS1_3genE10ELNS1_11target_archE1201ELNS1_3gpuE5ELNS1_3repE0EEENS1_38merge_mergepath_config_static_selectorELNS0_4arch9wavefront6targetE1EEEvSH_
	.globl	_ZN7rocprim17ROCPRIM_400000_NS6detail17trampoline_kernelINS0_14default_configENS1_38merge_sort_block_merge_config_selectorIllEEZZNS1_27merge_sort_block_merge_implIS3_PlN6thrust23THRUST_200600_302600_NS10device_ptrIlEEjNS1_19radix_merge_compareILb0ELb0ElNS0_19identity_decomposerEEEEE10hipError_tT0_T1_T2_jT3_P12ihipStream_tbPNSt15iterator_traitsISG_E10value_typeEPNSM_ISH_E10value_typeEPSI_NS1_7vsmem_tEENKUlT_SG_SH_SI_E_clIS7_S7_S7_SB_EESF_SV_SG_SH_SI_EUlSV_E0_NS1_11comp_targetILNS1_3genE10ELNS1_11target_archE1201ELNS1_3gpuE5ELNS1_3repE0EEENS1_38merge_mergepath_config_static_selectorELNS0_4arch9wavefront6targetE1EEEvSH_
	.p2align	8
	.type	_ZN7rocprim17ROCPRIM_400000_NS6detail17trampoline_kernelINS0_14default_configENS1_38merge_sort_block_merge_config_selectorIllEEZZNS1_27merge_sort_block_merge_implIS3_PlN6thrust23THRUST_200600_302600_NS10device_ptrIlEEjNS1_19radix_merge_compareILb0ELb0ElNS0_19identity_decomposerEEEEE10hipError_tT0_T1_T2_jT3_P12ihipStream_tbPNSt15iterator_traitsISG_E10value_typeEPNSM_ISH_E10value_typeEPSI_NS1_7vsmem_tEENKUlT_SG_SH_SI_E_clIS7_S7_S7_SB_EESF_SV_SG_SH_SI_EUlSV_E0_NS1_11comp_targetILNS1_3genE10ELNS1_11target_archE1201ELNS1_3gpuE5ELNS1_3repE0EEENS1_38merge_mergepath_config_static_selectorELNS0_4arch9wavefront6targetE1EEEvSH_,@function
_ZN7rocprim17ROCPRIM_400000_NS6detail17trampoline_kernelINS0_14default_configENS1_38merge_sort_block_merge_config_selectorIllEEZZNS1_27merge_sort_block_merge_implIS3_PlN6thrust23THRUST_200600_302600_NS10device_ptrIlEEjNS1_19radix_merge_compareILb0ELb0ElNS0_19identity_decomposerEEEEE10hipError_tT0_T1_T2_jT3_P12ihipStream_tbPNSt15iterator_traitsISG_E10value_typeEPNSM_ISH_E10value_typeEPSI_NS1_7vsmem_tEENKUlT_SG_SH_SI_E_clIS7_S7_S7_SB_EESF_SV_SG_SH_SI_EUlSV_E0_NS1_11comp_targetILNS1_3genE10ELNS1_11target_archE1201ELNS1_3gpuE5ELNS1_3repE0EEENS1_38merge_mergepath_config_static_selectorELNS0_4arch9wavefront6targetE1EEEvSH_: ; @_ZN7rocprim17ROCPRIM_400000_NS6detail17trampoline_kernelINS0_14default_configENS1_38merge_sort_block_merge_config_selectorIllEEZZNS1_27merge_sort_block_merge_implIS3_PlN6thrust23THRUST_200600_302600_NS10device_ptrIlEEjNS1_19radix_merge_compareILb0ELb0ElNS0_19identity_decomposerEEEEE10hipError_tT0_T1_T2_jT3_P12ihipStream_tbPNSt15iterator_traitsISG_E10value_typeEPNSM_ISH_E10value_typeEPSI_NS1_7vsmem_tEENKUlT_SG_SH_SI_E_clIS7_S7_S7_SB_EESF_SV_SG_SH_SI_EUlSV_E0_NS1_11comp_targetILNS1_3genE10ELNS1_11target_archE1201ELNS1_3gpuE5ELNS1_3repE0EEENS1_38merge_mergepath_config_static_selectorELNS0_4arch9wavefront6targetE1EEEvSH_
; %bb.0:
	.section	.rodata,"a",@progbits
	.p2align	6, 0x0
	.amdhsa_kernel _ZN7rocprim17ROCPRIM_400000_NS6detail17trampoline_kernelINS0_14default_configENS1_38merge_sort_block_merge_config_selectorIllEEZZNS1_27merge_sort_block_merge_implIS3_PlN6thrust23THRUST_200600_302600_NS10device_ptrIlEEjNS1_19radix_merge_compareILb0ELb0ElNS0_19identity_decomposerEEEEE10hipError_tT0_T1_T2_jT3_P12ihipStream_tbPNSt15iterator_traitsISG_E10value_typeEPNSM_ISH_E10value_typeEPSI_NS1_7vsmem_tEENKUlT_SG_SH_SI_E_clIS7_S7_S7_SB_EESF_SV_SG_SH_SI_EUlSV_E0_NS1_11comp_targetILNS1_3genE10ELNS1_11target_archE1201ELNS1_3gpuE5ELNS1_3repE0EEENS1_38merge_mergepath_config_static_selectorELNS0_4arch9wavefront6targetE1EEEvSH_
		.amdhsa_group_segment_fixed_size 0
		.amdhsa_private_segment_fixed_size 0
		.amdhsa_kernarg_size 64
		.amdhsa_user_sgpr_count 6
		.amdhsa_user_sgpr_private_segment_buffer 1
		.amdhsa_user_sgpr_dispatch_ptr 0
		.amdhsa_user_sgpr_queue_ptr 0
		.amdhsa_user_sgpr_kernarg_segment_ptr 1
		.amdhsa_user_sgpr_dispatch_id 0
		.amdhsa_user_sgpr_flat_scratch_init 0
		.amdhsa_user_sgpr_private_segment_size 0
		.amdhsa_uses_dynamic_stack 0
		.amdhsa_system_sgpr_private_segment_wavefront_offset 0
		.amdhsa_system_sgpr_workgroup_id_x 1
		.amdhsa_system_sgpr_workgroup_id_y 0
		.amdhsa_system_sgpr_workgroup_id_z 0
		.amdhsa_system_sgpr_workgroup_info 0
		.amdhsa_system_vgpr_workitem_id 0
		.amdhsa_next_free_vgpr 1
		.amdhsa_next_free_sgpr 0
		.amdhsa_reserve_vcc 0
		.amdhsa_reserve_flat_scratch 0
		.amdhsa_float_round_mode_32 0
		.amdhsa_float_round_mode_16_64 0
		.amdhsa_float_denorm_mode_32 3
		.amdhsa_float_denorm_mode_16_64 3
		.amdhsa_dx10_clamp 1
		.amdhsa_ieee_mode 1
		.amdhsa_fp16_overflow 0
		.amdhsa_exception_fp_ieee_invalid_op 0
		.amdhsa_exception_fp_denorm_src 0
		.amdhsa_exception_fp_ieee_div_zero 0
		.amdhsa_exception_fp_ieee_overflow 0
		.amdhsa_exception_fp_ieee_underflow 0
		.amdhsa_exception_fp_ieee_inexact 0
		.amdhsa_exception_int_div_zero 0
	.end_amdhsa_kernel
	.section	.text._ZN7rocprim17ROCPRIM_400000_NS6detail17trampoline_kernelINS0_14default_configENS1_38merge_sort_block_merge_config_selectorIllEEZZNS1_27merge_sort_block_merge_implIS3_PlN6thrust23THRUST_200600_302600_NS10device_ptrIlEEjNS1_19radix_merge_compareILb0ELb0ElNS0_19identity_decomposerEEEEE10hipError_tT0_T1_T2_jT3_P12ihipStream_tbPNSt15iterator_traitsISG_E10value_typeEPNSM_ISH_E10value_typeEPSI_NS1_7vsmem_tEENKUlT_SG_SH_SI_E_clIS7_S7_S7_SB_EESF_SV_SG_SH_SI_EUlSV_E0_NS1_11comp_targetILNS1_3genE10ELNS1_11target_archE1201ELNS1_3gpuE5ELNS1_3repE0EEENS1_38merge_mergepath_config_static_selectorELNS0_4arch9wavefront6targetE1EEEvSH_,"axG",@progbits,_ZN7rocprim17ROCPRIM_400000_NS6detail17trampoline_kernelINS0_14default_configENS1_38merge_sort_block_merge_config_selectorIllEEZZNS1_27merge_sort_block_merge_implIS3_PlN6thrust23THRUST_200600_302600_NS10device_ptrIlEEjNS1_19radix_merge_compareILb0ELb0ElNS0_19identity_decomposerEEEEE10hipError_tT0_T1_T2_jT3_P12ihipStream_tbPNSt15iterator_traitsISG_E10value_typeEPNSM_ISH_E10value_typeEPSI_NS1_7vsmem_tEENKUlT_SG_SH_SI_E_clIS7_S7_S7_SB_EESF_SV_SG_SH_SI_EUlSV_E0_NS1_11comp_targetILNS1_3genE10ELNS1_11target_archE1201ELNS1_3gpuE5ELNS1_3repE0EEENS1_38merge_mergepath_config_static_selectorELNS0_4arch9wavefront6targetE1EEEvSH_,comdat
.Lfunc_end1019:
	.size	_ZN7rocprim17ROCPRIM_400000_NS6detail17trampoline_kernelINS0_14default_configENS1_38merge_sort_block_merge_config_selectorIllEEZZNS1_27merge_sort_block_merge_implIS3_PlN6thrust23THRUST_200600_302600_NS10device_ptrIlEEjNS1_19radix_merge_compareILb0ELb0ElNS0_19identity_decomposerEEEEE10hipError_tT0_T1_T2_jT3_P12ihipStream_tbPNSt15iterator_traitsISG_E10value_typeEPNSM_ISH_E10value_typeEPSI_NS1_7vsmem_tEENKUlT_SG_SH_SI_E_clIS7_S7_S7_SB_EESF_SV_SG_SH_SI_EUlSV_E0_NS1_11comp_targetILNS1_3genE10ELNS1_11target_archE1201ELNS1_3gpuE5ELNS1_3repE0EEENS1_38merge_mergepath_config_static_selectorELNS0_4arch9wavefront6targetE1EEEvSH_, .Lfunc_end1019-_ZN7rocprim17ROCPRIM_400000_NS6detail17trampoline_kernelINS0_14default_configENS1_38merge_sort_block_merge_config_selectorIllEEZZNS1_27merge_sort_block_merge_implIS3_PlN6thrust23THRUST_200600_302600_NS10device_ptrIlEEjNS1_19radix_merge_compareILb0ELb0ElNS0_19identity_decomposerEEEEE10hipError_tT0_T1_T2_jT3_P12ihipStream_tbPNSt15iterator_traitsISG_E10value_typeEPNSM_ISH_E10value_typeEPSI_NS1_7vsmem_tEENKUlT_SG_SH_SI_E_clIS7_S7_S7_SB_EESF_SV_SG_SH_SI_EUlSV_E0_NS1_11comp_targetILNS1_3genE10ELNS1_11target_archE1201ELNS1_3gpuE5ELNS1_3repE0EEENS1_38merge_mergepath_config_static_selectorELNS0_4arch9wavefront6targetE1EEEvSH_
                                        ; -- End function
	.set _ZN7rocprim17ROCPRIM_400000_NS6detail17trampoline_kernelINS0_14default_configENS1_38merge_sort_block_merge_config_selectorIllEEZZNS1_27merge_sort_block_merge_implIS3_PlN6thrust23THRUST_200600_302600_NS10device_ptrIlEEjNS1_19radix_merge_compareILb0ELb0ElNS0_19identity_decomposerEEEEE10hipError_tT0_T1_T2_jT3_P12ihipStream_tbPNSt15iterator_traitsISG_E10value_typeEPNSM_ISH_E10value_typeEPSI_NS1_7vsmem_tEENKUlT_SG_SH_SI_E_clIS7_S7_S7_SB_EESF_SV_SG_SH_SI_EUlSV_E0_NS1_11comp_targetILNS1_3genE10ELNS1_11target_archE1201ELNS1_3gpuE5ELNS1_3repE0EEENS1_38merge_mergepath_config_static_selectorELNS0_4arch9wavefront6targetE1EEEvSH_.num_vgpr, 0
	.set _ZN7rocprim17ROCPRIM_400000_NS6detail17trampoline_kernelINS0_14default_configENS1_38merge_sort_block_merge_config_selectorIllEEZZNS1_27merge_sort_block_merge_implIS3_PlN6thrust23THRUST_200600_302600_NS10device_ptrIlEEjNS1_19radix_merge_compareILb0ELb0ElNS0_19identity_decomposerEEEEE10hipError_tT0_T1_T2_jT3_P12ihipStream_tbPNSt15iterator_traitsISG_E10value_typeEPNSM_ISH_E10value_typeEPSI_NS1_7vsmem_tEENKUlT_SG_SH_SI_E_clIS7_S7_S7_SB_EESF_SV_SG_SH_SI_EUlSV_E0_NS1_11comp_targetILNS1_3genE10ELNS1_11target_archE1201ELNS1_3gpuE5ELNS1_3repE0EEENS1_38merge_mergepath_config_static_selectorELNS0_4arch9wavefront6targetE1EEEvSH_.num_agpr, 0
	.set _ZN7rocprim17ROCPRIM_400000_NS6detail17trampoline_kernelINS0_14default_configENS1_38merge_sort_block_merge_config_selectorIllEEZZNS1_27merge_sort_block_merge_implIS3_PlN6thrust23THRUST_200600_302600_NS10device_ptrIlEEjNS1_19radix_merge_compareILb0ELb0ElNS0_19identity_decomposerEEEEE10hipError_tT0_T1_T2_jT3_P12ihipStream_tbPNSt15iterator_traitsISG_E10value_typeEPNSM_ISH_E10value_typeEPSI_NS1_7vsmem_tEENKUlT_SG_SH_SI_E_clIS7_S7_S7_SB_EESF_SV_SG_SH_SI_EUlSV_E0_NS1_11comp_targetILNS1_3genE10ELNS1_11target_archE1201ELNS1_3gpuE5ELNS1_3repE0EEENS1_38merge_mergepath_config_static_selectorELNS0_4arch9wavefront6targetE1EEEvSH_.numbered_sgpr, 0
	.set _ZN7rocprim17ROCPRIM_400000_NS6detail17trampoline_kernelINS0_14default_configENS1_38merge_sort_block_merge_config_selectorIllEEZZNS1_27merge_sort_block_merge_implIS3_PlN6thrust23THRUST_200600_302600_NS10device_ptrIlEEjNS1_19radix_merge_compareILb0ELb0ElNS0_19identity_decomposerEEEEE10hipError_tT0_T1_T2_jT3_P12ihipStream_tbPNSt15iterator_traitsISG_E10value_typeEPNSM_ISH_E10value_typeEPSI_NS1_7vsmem_tEENKUlT_SG_SH_SI_E_clIS7_S7_S7_SB_EESF_SV_SG_SH_SI_EUlSV_E0_NS1_11comp_targetILNS1_3genE10ELNS1_11target_archE1201ELNS1_3gpuE5ELNS1_3repE0EEENS1_38merge_mergepath_config_static_selectorELNS0_4arch9wavefront6targetE1EEEvSH_.num_named_barrier, 0
	.set _ZN7rocprim17ROCPRIM_400000_NS6detail17trampoline_kernelINS0_14default_configENS1_38merge_sort_block_merge_config_selectorIllEEZZNS1_27merge_sort_block_merge_implIS3_PlN6thrust23THRUST_200600_302600_NS10device_ptrIlEEjNS1_19radix_merge_compareILb0ELb0ElNS0_19identity_decomposerEEEEE10hipError_tT0_T1_T2_jT3_P12ihipStream_tbPNSt15iterator_traitsISG_E10value_typeEPNSM_ISH_E10value_typeEPSI_NS1_7vsmem_tEENKUlT_SG_SH_SI_E_clIS7_S7_S7_SB_EESF_SV_SG_SH_SI_EUlSV_E0_NS1_11comp_targetILNS1_3genE10ELNS1_11target_archE1201ELNS1_3gpuE5ELNS1_3repE0EEENS1_38merge_mergepath_config_static_selectorELNS0_4arch9wavefront6targetE1EEEvSH_.private_seg_size, 0
	.set _ZN7rocprim17ROCPRIM_400000_NS6detail17trampoline_kernelINS0_14default_configENS1_38merge_sort_block_merge_config_selectorIllEEZZNS1_27merge_sort_block_merge_implIS3_PlN6thrust23THRUST_200600_302600_NS10device_ptrIlEEjNS1_19radix_merge_compareILb0ELb0ElNS0_19identity_decomposerEEEEE10hipError_tT0_T1_T2_jT3_P12ihipStream_tbPNSt15iterator_traitsISG_E10value_typeEPNSM_ISH_E10value_typeEPSI_NS1_7vsmem_tEENKUlT_SG_SH_SI_E_clIS7_S7_S7_SB_EESF_SV_SG_SH_SI_EUlSV_E0_NS1_11comp_targetILNS1_3genE10ELNS1_11target_archE1201ELNS1_3gpuE5ELNS1_3repE0EEENS1_38merge_mergepath_config_static_selectorELNS0_4arch9wavefront6targetE1EEEvSH_.uses_vcc, 0
	.set _ZN7rocprim17ROCPRIM_400000_NS6detail17trampoline_kernelINS0_14default_configENS1_38merge_sort_block_merge_config_selectorIllEEZZNS1_27merge_sort_block_merge_implIS3_PlN6thrust23THRUST_200600_302600_NS10device_ptrIlEEjNS1_19radix_merge_compareILb0ELb0ElNS0_19identity_decomposerEEEEE10hipError_tT0_T1_T2_jT3_P12ihipStream_tbPNSt15iterator_traitsISG_E10value_typeEPNSM_ISH_E10value_typeEPSI_NS1_7vsmem_tEENKUlT_SG_SH_SI_E_clIS7_S7_S7_SB_EESF_SV_SG_SH_SI_EUlSV_E0_NS1_11comp_targetILNS1_3genE10ELNS1_11target_archE1201ELNS1_3gpuE5ELNS1_3repE0EEENS1_38merge_mergepath_config_static_selectorELNS0_4arch9wavefront6targetE1EEEvSH_.uses_flat_scratch, 0
	.set _ZN7rocprim17ROCPRIM_400000_NS6detail17trampoline_kernelINS0_14default_configENS1_38merge_sort_block_merge_config_selectorIllEEZZNS1_27merge_sort_block_merge_implIS3_PlN6thrust23THRUST_200600_302600_NS10device_ptrIlEEjNS1_19radix_merge_compareILb0ELb0ElNS0_19identity_decomposerEEEEE10hipError_tT0_T1_T2_jT3_P12ihipStream_tbPNSt15iterator_traitsISG_E10value_typeEPNSM_ISH_E10value_typeEPSI_NS1_7vsmem_tEENKUlT_SG_SH_SI_E_clIS7_S7_S7_SB_EESF_SV_SG_SH_SI_EUlSV_E0_NS1_11comp_targetILNS1_3genE10ELNS1_11target_archE1201ELNS1_3gpuE5ELNS1_3repE0EEENS1_38merge_mergepath_config_static_selectorELNS0_4arch9wavefront6targetE1EEEvSH_.has_dyn_sized_stack, 0
	.set _ZN7rocprim17ROCPRIM_400000_NS6detail17trampoline_kernelINS0_14default_configENS1_38merge_sort_block_merge_config_selectorIllEEZZNS1_27merge_sort_block_merge_implIS3_PlN6thrust23THRUST_200600_302600_NS10device_ptrIlEEjNS1_19radix_merge_compareILb0ELb0ElNS0_19identity_decomposerEEEEE10hipError_tT0_T1_T2_jT3_P12ihipStream_tbPNSt15iterator_traitsISG_E10value_typeEPNSM_ISH_E10value_typeEPSI_NS1_7vsmem_tEENKUlT_SG_SH_SI_E_clIS7_S7_S7_SB_EESF_SV_SG_SH_SI_EUlSV_E0_NS1_11comp_targetILNS1_3genE10ELNS1_11target_archE1201ELNS1_3gpuE5ELNS1_3repE0EEENS1_38merge_mergepath_config_static_selectorELNS0_4arch9wavefront6targetE1EEEvSH_.has_recursion, 0
	.set _ZN7rocprim17ROCPRIM_400000_NS6detail17trampoline_kernelINS0_14default_configENS1_38merge_sort_block_merge_config_selectorIllEEZZNS1_27merge_sort_block_merge_implIS3_PlN6thrust23THRUST_200600_302600_NS10device_ptrIlEEjNS1_19radix_merge_compareILb0ELb0ElNS0_19identity_decomposerEEEEE10hipError_tT0_T1_T2_jT3_P12ihipStream_tbPNSt15iterator_traitsISG_E10value_typeEPNSM_ISH_E10value_typeEPSI_NS1_7vsmem_tEENKUlT_SG_SH_SI_E_clIS7_S7_S7_SB_EESF_SV_SG_SH_SI_EUlSV_E0_NS1_11comp_targetILNS1_3genE10ELNS1_11target_archE1201ELNS1_3gpuE5ELNS1_3repE0EEENS1_38merge_mergepath_config_static_selectorELNS0_4arch9wavefront6targetE1EEEvSH_.has_indirect_call, 0
	.section	.AMDGPU.csdata,"",@progbits
; Kernel info:
; codeLenInByte = 0
; TotalNumSgprs: 4
; NumVgprs: 0
; ScratchSize: 0
; MemoryBound: 0
; FloatMode: 240
; IeeeMode: 1
; LDSByteSize: 0 bytes/workgroup (compile time only)
; SGPRBlocks: 0
; VGPRBlocks: 0
; NumSGPRsForWavesPerEU: 4
; NumVGPRsForWavesPerEU: 1
; Occupancy: 10
; WaveLimiterHint : 0
; COMPUTE_PGM_RSRC2:SCRATCH_EN: 0
; COMPUTE_PGM_RSRC2:USER_SGPR: 6
; COMPUTE_PGM_RSRC2:TRAP_HANDLER: 0
; COMPUTE_PGM_RSRC2:TGID_X_EN: 1
; COMPUTE_PGM_RSRC2:TGID_Y_EN: 0
; COMPUTE_PGM_RSRC2:TGID_Z_EN: 0
; COMPUTE_PGM_RSRC2:TIDIG_COMP_CNT: 0
	.section	.text._ZN7rocprim17ROCPRIM_400000_NS6detail17trampoline_kernelINS0_14default_configENS1_38merge_sort_block_merge_config_selectorIllEEZZNS1_27merge_sort_block_merge_implIS3_PlN6thrust23THRUST_200600_302600_NS10device_ptrIlEEjNS1_19radix_merge_compareILb0ELb0ElNS0_19identity_decomposerEEEEE10hipError_tT0_T1_T2_jT3_P12ihipStream_tbPNSt15iterator_traitsISG_E10value_typeEPNSM_ISH_E10value_typeEPSI_NS1_7vsmem_tEENKUlT_SG_SH_SI_E_clIS7_S7_S7_SB_EESF_SV_SG_SH_SI_EUlSV_E0_NS1_11comp_targetILNS1_3genE5ELNS1_11target_archE942ELNS1_3gpuE9ELNS1_3repE0EEENS1_38merge_mergepath_config_static_selectorELNS0_4arch9wavefront6targetE1EEEvSH_,"axG",@progbits,_ZN7rocprim17ROCPRIM_400000_NS6detail17trampoline_kernelINS0_14default_configENS1_38merge_sort_block_merge_config_selectorIllEEZZNS1_27merge_sort_block_merge_implIS3_PlN6thrust23THRUST_200600_302600_NS10device_ptrIlEEjNS1_19radix_merge_compareILb0ELb0ElNS0_19identity_decomposerEEEEE10hipError_tT0_T1_T2_jT3_P12ihipStream_tbPNSt15iterator_traitsISG_E10value_typeEPNSM_ISH_E10value_typeEPSI_NS1_7vsmem_tEENKUlT_SG_SH_SI_E_clIS7_S7_S7_SB_EESF_SV_SG_SH_SI_EUlSV_E0_NS1_11comp_targetILNS1_3genE5ELNS1_11target_archE942ELNS1_3gpuE9ELNS1_3repE0EEENS1_38merge_mergepath_config_static_selectorELNS0_4arch9wavefront6targetE1EEEvSH_,comdat
	.protected	_ZN7rocprim17ROCPRIM_400000_NS6detail17trampoline_kernelINS0_14default_configENS1_38merge_sort_block_merge_config_selectorIllEEZZNS1_27merge_sort_block_merge_implIS3_PlN6thrust23THRUST_200600_302600_NS10device_ptrIlEEjNS1_19radix_merge_compareILb0ELb0ElNS0_19identity_decomposerEEEEE10hipError_tT0_T1_T2_jT3_P12ihipStream_tbPNSt15iterator_traitsISG_E10value_typeEPNSM_ISH_E10value_typeEPSI_NS1_7vsmem_tEENKUlT_SG_SH_SI_E_clIS7_S7_S7_SB_EESF_SV_SG_SH_SI_EUlSV_E0_NS1_11comp_targetILNS1_3genE5ELNS1_11target_archE942ELNS1_3gpuE9ELNS1_3repE0EEENS1_38merge_mergepath_config_static_selectorELNS0_4arch9wavefront6targetE1EEEvSH_ ; -- Begin function _ZN7rocprim17ROCPRIM_400000_NS6detail17trampoline_kernelINS0_14default_configENS1_38merge_sort_block_merge_config_selectorIllEEZZNS1_27merge_sort_block_merge_implIS3_PlN6thrust23THRUST_200600_302600_NS10device_ptrIlEEjNS1_19radix_merge_compareILb0ELb0ElNS0_19identity_decomposerEEEEE10hipError_tT0_T1_T2_jT3_P12ihipStream_tbPNSt15iterator_traitsISG_E10value_typeEPNSM_ISH_E10value_typeEPSI_NS1_7vsmem_tEENKUlT_SG_SH_SI_E_clIS7_S7_S7_SB_EESF_SV_SG_SH_SI_EUlSV_E0_NS1_11comp_targetILNS1_3genE5ELNS1_11target_archE942ELNS1_3gpuE9ELNS1_3repE0EEENS1_38merge_mergepath_config_static_selectorELNS0_4arch9wavefront6targetE1EEEvSH_
	.globl	_ZN7rocprim17ROCPRIM_400000_NS6detail17trampoline_kernelINS0_14default_configENS1_38merge_sort_block_merge_config_selectorIllEEZZNS1_27merge_sort_block_merge_implIS3_PlN6thrust23THRUST_200600_302600_NS10device_ptrIlEEjNS1_19radix_merge_compareILb0ELb0ElNS0_19identity_decomposerEEEEE10hipError_tT0_T1_T2_jT3_P12ihipStream_tbPNSt15iterator_traitsISG_E10value_typeEPNSM_ISH_E10value_typeEPSI_NS1_7vsmem_tEENKUlT_SG_SH_SI_E_clIS7_S7_S7_SB_EESF_SV_SG_SH_SI_EUlSV_E0_NS1_11comp_targetILNS1_3genE5ELNS1_11target_archE942ELNS1_3gpuE9ELNS1_3repE0EEENS1_38merge_mergepath_config_static_selectorELNS0_4arch9wavefront6targetE1EEEvSH_
	.p2align	8
	.type	_ZN7rocprim17ROCPRIM_400000_NS6detail17trampoline_kernelINS0_14default_configENS1_38merge_sort_block_merge_config_selectorIllEEZZNS1_27merge_sort_block_merge_implIS3_PlN6thrust23THRUST_200600_302600_NS10device_ptrIlEEjNS1_19radix_merge_compareILb0ELb0ElNS0_19identity_decomposerEEEEE10hipError_tT0_T1_T2_jT3_P12ihipStream_tbPNSt15iterator_traitsISG_E10value_typeEPNSM_ISH_E10value_typeEPSI_NS1_7vsmem_tEENKUlT_SG_SH_SI_E_clIS7_S7_S7_SB_EESF_SV_SG_SH_SI_EUlSV_E0_NS1_11comp_targetILNS1_3genE5ELNS1_11target_archE942ELNS1_3gpuE9ELNS1_3repE0EEENS1_38merge_mergepath_config_static_selectorELNS0_4arch9wavefront6targetE1EEEvSH_,@function
_ZN7rocprim17ROCPRIM_400000_NS6detail17trampoline_kernelINS0_14default_configENS1_38merge_sort_block_merge_config_selectorIllEEZZNS1_27merge_sort_block_merge_implIS3_PlN6thrust23THRUST_200600_302600_NS10device_ptrIlEEjNS1_19radix_merge_compareILb0ELb0ElNS0_19identity_decomposerEEEEE10hipError_tT0_T1_T2_jT3_P12ihipStream_tbPNSt15iterator_traitsISG_E10value_typeEPNSM_ISH_E10value_typeEPSI_NS1_7vsmem_tEENKUlT_SG_SH_SI_E_clIS7_S7_S7_SB_EESF_SV_SG_SH_SI_EUlSV_E0_NS1_11comp_targetILNS1_3genE5ELNS1_11target_archE942ELNS1_3gpuE9ELNS1_3repE0EEENS1_38merge_mergepath_config_static_selectorELNS0_4arch9wavefront6targetE1EEEvSH_: ; @_ZN7rocprim17ROCPRIM_400000_NS6detail17trampoline_kernelINS0_14default_configENS1_38merge_sort_block_merge_config_selectorIllEEZZNS1_27merge_sort_block_merge_implIS3_PlN6thrust23THRUST_200600_302600_NS10device_ptrIlEEjNS1_19radix_merge_compareILb0ELb0ElNS0_19identity_decomposerEEEEE10hipError_tT0_T1_T2_jT3_P12ihipStream_tbPNSt15iterator_traitsISG_E10value_typeEPNSM_ISH_E10value_typeEPSI_NS1_7vsmem_tEENKUlT_SG_SH_SI_E_clIS7_S7_S7_SB_EESF_SV_SG_SH_SI_EUlSV_E0_NS1_11comp_targetILNS1_3genE5ELNS1_11target_archE942ELNS1_3gpuE9ELNS1_3repE0EEENS1_38merge_mergepath_config_static_selectorELNS0_4arch9wavefront6targetE1EEEvSH_
; %bb.0:
	.section	.rodata,"a",@progbits
	.p2align	6, 0x0
	.amdhsa_kernel _ZN7rocprim17ROCPRIM_400000_NS6detail17trampoline_kernelINS0_14default_configENS1_38merge_sort_block_merge_config_selectorIllEEZZNS1_27merge_sort_block_merge_implIS3_PlN6thrust23THRUST_200600_302600_NS10device_ptrIlEEjNS1_19radix_merge_compareILb0ELb0ElNS0_19identity_decomposerEEEEE10hipError_tT0_T1_T2_jT3_P12ihipStream_tbPNSt15iterator_traitsISG_E10value_typeEPNSM_ISH_E10value_typeEPSI_NS1_7vsmem_tEENKUlT_SG_SH_SI_E_clIS7_S7_S7_SB_EESF_SV_SG_SH_SI_EUlSV_E0_NS1_11comp_targetILNS1_3genE5ELNS1_11target_archE942ELNS1_3gpuE9ELNS1_3repE0EEENS1_38merge_mergepath_config_static_selectorELNS0_4arch9wavefront6targetE1EEEvSH_
		.amdhsa_group_segment_fixed_size 0
		.amdhsa_private_segment_fixed_size 0
		.amdhsa_kernarg_size 64
		.amdhsa_user_sgpr_count 6
		.amdhsa_user_sgpr_private_segment_buffer 1
		.amdhsa_user_sgpr_dispatch_ptr 0
		.amdhsa_user_sgpr_queue_ptr 0
		.amdhsa_user_sgpr_kernarg_segment_ptr 1
		.amdhsa_user_sgpr_dispatch_id 0
		.amdhsa_user_sgpr_flat_scratch_init 0
		.amdhsa_user_sgpr_private_segment_size 0
		.amdhsa_uses_dynamic_stack 0
		.amdhsa_system_sgpr_private_segment_wavefront_offset 0
		.amdhsa_system_sgpr_workgroup_id_x 1
		.amdhsa_system_sgpr_workgroup_id_y 0
		.amdhsa_system_sgpr_workgroup_id_z 0
		.amdhsa_system_sgpr_workgroup_info 0
		.amdhsa_system_vgpr_workitem_id 0
		.amdhsa_next_free_vgpr 1
		.amdhsa_next_free_sgpr 0
		.amdhsa_reserve_vcc 0
		.amdhsa_reserve_flat_scratch 0
		.amdhsa_float_round_mode_32 0
		.amdhsa_float_round_mode_16_64 0
		.amdhsa_float_denorm_mode_32 3
		.amdhsa_float_denorm_mode_16_64 3
		.amdhsa_dx10_clamp 1
		.amdhsa_ieee_mode 1
		.amdhsa_fp16_overflow 0
		.amdhsa_exception_fp_ieee_invalid_op 0
		.amdhsa_exception_fp_denorm_src 0
		.amdhsa_exception_fp_ieee_div_zero 0
		.amdhsa_exception_fp_ieee_overflow 0
		.amdhsa_exception_fp_ieee_underflow 0
		.amdhsa_exception_fp_ieee_inexact 0
		.amdhsa_exception_int_div_zero 0
	.end_amdhsa_kernel
	.section	.text._ZN7rocprim17ROCPRIM_400000_NS6detail17trampoline_kernelINS0_14default_configENS1_38merge_sort_block_merge_config_selectorIllEEZZNS1_27merge_sort_block_merge_implIS3_PlN6thrust23THRUST_200600_302600_NS10device_ptrIlEEjNS1_19radix_merge_compareILb0ELb0ElNS0_19identity_decomposerEEEEE10hipError_tT0_T1_T2_jT3_P12ihipStream_tbPNSt15iterator_traitsISG_E10value_typeEPNSM_ISH_E10value_typeEPSI_NS1_7vsmem_tEENKUlT_SG_SH_SI_E_clIS7_S7_S7_SB_EESF_SV_SG_SH_SI_EUlSV_E0_NS1_11comp_targetILNS1_3genE5ELNS1_11target_archE942ELNS1_3gpuE9ELNS1_3repE0EEENS1_38merge_mergepath_config_static_selectorELNS0_4arch9wavefront6targetE1EEEvSH_,"axG",@progbits,_ZN7rocprim17ROCPRIM_400000_NS6detail17trampoline_kernelINS0_14default_configENS1_38merge_sort_block_merge_config_selectorIllEEZZNS1_27merge_sort_block_merge_implIS3_PlN6thrust23THRUST_200600_302600_NS10device_ptrIlEEjNS1_19radix_merge_compareILb0ELb0ElNS0_19identity_decomposerEEEEE10hipError_tT0_T1_T2_jT3_P12ihipStream_tbPNSt15iterator_traitsISG_E10value_typeEPNSM_ISH_E10value_typeEPSI_NS1_7vsmem_tEENKUlT_SG_SH_SI_E_clIS7_S7_S7_SB_EESF_SV_SG_SH_SI_EUlSV_E0_NS1_11comp_targetILNS1_3genE5ELNS1_11target_archE942ELNS1_3gpuE9ELNS1_3repE0EEENS1_38merge_mergepath_config_static_selectorELNS0_4arch9wavefront6targetE1EEEvSH_,comdat
.Lfunc_end1020:
	.size	_ZN7rocprim17ROCPRIM_400000_NS6detail17trampoline_kernelINS0_14default_configENS1_38merge_sort_block_merge_config_selectorIllEEZZNS1_27merge_sort_block_merge_implIS3_PlN6thrust23THRUST_200600_302600_NS10device_ptrIlEEjNS1_19radix_merge_compareILb0ELb0ElNS0_19identity_decomposerEEEEE10hipError_tT0_T1_T2_jT3_P12ihipStream_tbPNSt15iterator_traitsISG_E10value_typeEPNSM_ISH_E10value_typeEPSI_NS1_7vsmem_tEENKUlT_SG_SH_SI_E_clIS7_S7_S7_SB_EESF_SV_SG_SH_SI_EUlSV_E0_NS1_11comp_targetILNS1_3genE5ELNS1_11target_archE942ELNS1_3gpuE9ELNS1_3repE0EEENS1_38merge_mergepath_config_static_selectorELNS0_4arch9wavefront6targetE1EEEvSH_, .Lfunc_end1020-_ZN7rocprim17ROCPRIM_400000_NS6detail17trampoline_kernelINS0_14default_configENS1_38merge_sort_block_merge_config_selectorIllEEZZNS1_27merge_sort_block_merge_implIS3_PlN6thrust23THRUST_200600_302600_NS10device_ptrIlEEjNS1_19radix_merge_compareILb0ELb0ElNS0_19identity_decomposerEEEEE10hipError_tT0_T1_T2_jT3_P12ihipStream_tbPNSt15iterator_traitsISG_E10value_typeEPNSM_ISH_E10value_typeEPSI_NS1_7vsmem_tEENKUlT_SG_SH_SI_E_clIS7_S7_S7_SB_EESF_SV_SG_SH_SI_EUlSV_E0_NS1_11comp_targetILNS1_3genE5ELNS1_11target_archE942ELNS1_3gpuE9ELNS1_3repE0EEENS1_38merge_mergepath_config_static_selectorELNS0_4arch9wavefront6targetE1EEEvSH_
                                        ; -- End function
	.set _ZN7rocprim17ROCPRIM_400000_NS6detail17trampoline_kernelINS0_14default_configENS1_38merge_sort_block_merge_config_selectorIllEEZZNS1_27merge_sort_block_merge_implIS3_PlN6thrust23THRUST_200600_302600_NS10device_ptrIlEEjNS1_19radix_merge_compareILb0ELb0ElNS0_19identity_decomposerEEEEE10hipError_tT0_T1_T2_jT3_P12ihipStream_tbPNSt15iterator_traitsISG_E10value_typeEPNSM_ISH_E10value_typeEPSI_NS1_7vsmem_tEENKUlT_SG_SH_SI_E_clIS7_S7_S7_SB_EESF_SV_SG_SH_SI_EUlSV_E0_NS1_11comp_targetILNS1_3genE5ELNS1_11target_archE942ELNS1_3gpuE9ELNS1_3repE0EEENS1_38merge_mergepath_config_static_selectorELNS0_4arch9wavefront6targetE1EEEvSH_.num_vgpr, 0
	.set _ZN7rocprim17ROCPRIM_400000_NS6detail17trampoline_kernelINS0_14default_configENS1_38merge_sort_block_merge_config_selectorIllEEZZNS1_27merge_sort_block_merge_implIS3_PlN6thrust23THRUST_200600_302600_NS10device_ptrIlEEjNS1_19radix_merge_compareILb0ELb0ElNS0_19identity_decomposerEEEEE10hipError_tT0_T1_T2_jT3_P12ihipStream_tbPNSt15iterator_traitsISG_E10value_typeEPNSM_ISH_E10value_typeEPSI_NS1_7vsmem_tEENKUlT_SG_SH_SI_E_clIS7_S7_S7_SB_EESF_SV_SG_SH_SI_EUlSV_E0_NS1_11comp_targetILNS1_3genE5ELNS1_11target_archE942ELNS1_3gpuE9ELNS1_3repE0EEENS1_38merge_mergepath_config_static_selectorELNS0_4arch9wavefront6targetE1EEEvSH_.num_agpr, 0
	.set _ZN7rocprim17ROCPRIM_400000_NS6detail17trampoline_kernelINS0_14default_configENS1_38merge_sort_block_merge_config_selectorIllEEZZNS1_27merge_sort_block_merge_implIS3_PlN6thrust23THRUST_200600_302600_NS10device_ptrIlEEjNS1_19radix_merge_compareILb0ELb0ElNS0_19identity_decomposerEEEEE10hipError_tT0_T1_T2_jT3_P12ihipStream_tbPNSt15iterator_traitsISG_E10value_typeEPNSM_ISH_E10value_typeEPSI_NS1_7vsmem_tEENKUlT_SG_SH_SI_E_clIS7_S7_S7_SB_EESF_SV_SG_SH_SI_EUlSV_E0_NS1_11comp_targetILNS1_3genE5ELNS1_11target_archE942ELNS1_3gpuE9ELNS1_3repE0EEENS1_38merge_mergepath_config_static_selectorELNS0_4arch9wavefront6targetE1EEEvSH_.numbered_sgpr, 0
	.set _ZN7rocprim17ROCPRIM_400000_NS6detail17trampoline_kernelINS0_14default_configENS1_38merge_sort_block_merge_config_selectorIllEEZZNS1_27merge_sort_block_merge_implIS3_PlN6thrust23THRUST_200600_302600_NS10device_ptrIlEEjNS1_19radix_merge_compareILb0ELb0ElNS0_19identity_decomposerEEEEE10hipError_tT0_T1_T2_jT3_P12ihipStream_tbPNSt15iterator_traitsISG_E10value_typeEPNSM_ISH_E10value_typeEPSI_NS1_7vsmem_tEENKUlT_SG_SH_SI_E_clIS7_S7_S7_SB_EESF_SV_SG_SH_SI_EUlSV_E0_NS1_11comp_targetILNS1_3genE5ELNS1_11target_archE942ELNS1_3gpuE9ELNS1_3repE0EEENS1_38merge_mergepath_config_static_selectorELNS0_4arch9wavefront6targetE1EEEvSH_.num_named_barrier, 0
	.set _ZN7rocprim17ROCPRIM_400000_NS6detail17trampoline_kernelINS0_14default_configENS1_38merge_sort_block_merge_config_selectorIllEEZZNS1_27merge_sort_block_merge_implIS3_PlN6thrust23THRUST_200600_302600_NS10device_ptrIlEEjNS1_19radix_merge_compareILb0ELb0ElNS0_19identity_decomposerEEEEE10hipError_tT0_T1_T2_jT3_P12ihipStream_tbPNSt15iterator_traitsISG_E10value_typeEPNSM_ISH_E10value_typeEPSI_NS1_7vsmem_tEENKUlT_SG_SH_SI_E_clIS7_S7_S7_SB_EESF_SV_SG_SH_SI_EUlSV_E0_NS1_11comp_targetILNS1_3genE5ELNS1_11target_archE942ELNS1_3gpuE9ELNS1_3repE0EEENS1_38merge_mergepath_config_static_selectorELNS0_4arch9wavefront6targetE1EEEvSH_.private_seg_size, 0
	.set _ZN7rocprim17ROCPRIM_400000_NS6detail17trampoline_kernelINS0_14default_configENS1_38merge_sort_block_merge_config_selectorIllEEZZNS1_27merge_sort_block_merge_implIS3_PlN6thrust23THRUST_200600_302600_NS10device_ptrIlEEjNS1_19radix_merge_compareILb0ELb0ElNS0_19identity_decomposerEEEEE10hipError_tT0_T1_T2_jT3_P12ihipStream_tbPNSt15iterator_traitsISG_E10value_typeEPNSM_ISH_E10value_typeEPSI_NS1_7vsmem_tEENKUlT_SG_SH_SI_E_clIS7_S7_S7_SB_EESF_SV_SG_SH_SI_EUlSV_E0_NS1_11comp_targetILNS1_3genE5ELNS1_11target_archE942ELNS1_3gpuE9ELNS1_3repE0EEENS1_38merge_mergepath_config_static_selectorELNS0_4arch9wavefront6targetE1EEEvSH_.uses_vcc, 0
	.set _ZN7rocprim17ROCPRIM_400000_NS6detail17trampoline_kernelINS0_14default_configENS1_38merge_sort_block_merge_config_selectorIllEEZZNS1_27merge_sort_block_merge_implIS3_PlN6thrust23THRUST_200600_302600_NS10device_ptrIlEEjNS1_19radix_merge_compareILb0ELb0ElNS0_19identity_decomposerEEEEE10hipError_tT0_T1_T2_jT3_P12ihipStream_tbPNSt15iterator_traitsISG_E10value_typeEPNSM_ISH_E10value_typeEPSI_NS1_7vsmem_tEENKUlT_SG_SH_SI_E_clIS7_S7_S7_SB_EESF_SV_SG_SH_SI_EUlSV_E0_NS1_11comp_targetILNS1_3genE5ELNS1_11target_archE942ELNS1_3gpuE9ELNS1_3repE0EEENS1_38merge_mergepath_config_static_selectorELNS0_4arch9wavefront6targetE1EEEvSH_.uses_flat_scratch, 0
	.set _ZN7rocprim17ROCPRIM_400000_NS6detail17trampoline_kernelINS0_14default_configENS1_38merge_sort_block_merge_config_selectorIllEEZZNS1_27merge_sort_block_merge_implIS3_PlN6thrust23THRUST_200600_302600_NS10device_ptrIlEEjNS1_19radix_merge_compareILb0ELb0ElNS0_19identity_decomposerEEEEE10hipError_tT0_T1_T2_jT3_P12ihipStream_tbPNSt15iterator_traitsISG_E10value_typeEPNSM_ISH_E10value_typeEPSI_NS1_7vsmem_tEENKUlT_SG_SH_SI_E_clIS7_S7_S7_SB_EESF_SV_SG_SH_SI_EUlSV_E0_NS1_11comp_targetILNS1_3genE5ELNS1_11target_archE942ELNS1_3gpuE9ELNS1_3repE0EEENS1_38merge_mergepath_config_static_selectorELNS0_4arch9wavefront6targetE1EEEvSH_.has_dyn_sized_stack, 0
	.set _ZN7rocprim17ROCPRIM_400000_NS6detail17trampoline_kernelINS0_14default_configENS1_38merge_sort_block_merge_config_selectorIllEEZZNS1_27merge_sort_block_merge_implIS3_PlN6thrust23THRUST_200600_302600_NS10device_ptrIlEEjNS1_19radix_merge_compareILb0ELb0ElNS0_19identity_decomposerEEEEE10hipError_tT0_T1_T2_jT3_P12ihipStream_tbPNSt15iterator_traitsISG_E10value_typeEPNSM_ISH_E10value_typeEPSI_NS1_7vsmem_tEENKUlT_SG_SH_SI_E_clIS7_S7_S7_SB_EESF_SV_SG_SH_SI_EUlSV_E0_NS1_11comp_targetILNS1_3genE5ELNS1_11target_archE942ELNS1_3gpuE9ELNS1_3repE0EEENS1_38merge_mergepath_config_static_selectorELNS0_4arch9wavefront6targetE1EEEvSH_.has_recursion, 0
	.set _ZN7rocprim17ROCPRIM_400000_NS6detail17trampoline_kernelINS0_14default_configENS1_38merge_sort_block_merge_config_selectorIllEEZZNS1_27merge_sort_block_merge_implIS3_PlN6thrust23THRUST_200600_302600_NS10device_ptrIlEEjNS1_19radix_merge_compareILb0ELb0ElNS0_19identity_decomposerEEEEE10hipError_tT0_T1_T2_jT3_P12ihipStream_tbPNSt15iterator_traitsISG_E10value_typeEPNSM_ISH_E10value_typeEPSI_NS1_7vsmem_tEENKUlT_SG_SH_SI_E_clIS7_S7_S7_SB_EESF_SV_SG_SH_SI_EUlSV_E0_NS1_11comp_targetILNS1_3genE5ELNS1_11target_archE942ELNS1_3gpuE9ELNS1_3repE0EEENS1_38merge_mergepath_config_static_selectorELNS0_4arch9wavefront6targetE1EEEvSH_.has_indirect_call, 0
	.section	.AMDGPU.csdata,"",@progbits
; Kernel info:
; codeLenInByte = 0
; TotalNumSgprs: 4
; NumVgprs: 0
; ScratchSize: 0
; MemoryBound: 0
; FloatMode: 240
; IeeeMode: 1
; LDSByteSize: 0 bytes/workgroup (compile time only)
; SGPRBlocks: 0
; VGPRBlocks: 0
; NumSGPRsForWavesPerEU: 4
; NumVGPRsForWavesPerEU: 1
; Occupancy: 10
; WaveLimiterHint : 0
; COMPUTE_PGM_RSRC2:SCRATCH_EN: 0
; COMPUTE_PGM_RSRC2:USER_SGPR: 6
; COMPUTE_PGM_RSRC2:TRAP_HANDLER: 0
; COMPUTE_PGM_RSRC2:TGID_X_EN: 1
; COMPUTE_PGM_RSRC2:TGID_Y_EN: 0
; COMPUTE_PGM_RSRC2:TGID_Z_EN: 0
; COMPUTE_PGM_RSRC2:TIDIG_COMP_CNT: 0
	.section	.text._ZN7rocprim17ROCPRIM_400000_NS6detail17trampoline_kernelINS0_14default_configENS1_38merge_sort_block_merge_config_selectorIllEEZZNS1_27merge_sort_block_merge_implIS3_PlN6thrust23THRUST_200600_302600_NS10device_ptrIlEEjNS1_19radix_merge_compareILb0ELb0ElNS0_19identity_decomposerEEEEE10hipError_tT0_T1_T2_jT3_P12ihipStream_tbPNSt15iterator_traitsISG_E10value_typeEPNSM_ISH_E10value_typeEPSI_NS1_7vsmem_tEENKUlT_SG_SH_SI_E_clIS7_S7_S7_SB_EESF_SV_SG_SH_SI_EUlSV_E0_NS1_11comp_targetILNS1_3genE4ELNS1_11target_archE910ELNS1_3gpuE8ELNS1_3repE0EEENS1_38merge_mergepath_config_static_selectorELNS0_4arch9wavefront6targetE1EEEvSH_,"axG",@progbits,_ZN7rocprim17ROCPRIM_400000_NS6detail17trampoline_kernelINS0_14default_configENS1_38merge_sort_block_merge_config_selectorIllEEZZNS1_27merge_sort_block_merge_implIS3_PlN6thrust23THRUST_200600_302600_NS10device_ptrIlEEjNS1_19radix_merge_compareILb0ELb0ElNS0_19identity_decomposerEEEEE10hipError_tT0_T1_T2_jT3_P12ihipStream_tbPNSt15iterator_traitsISG_E10value_typeEPNSM_ISH_E10value_typeEPSI_NS1_7vsmem_tEENKUlT_SG_SH_SI_E_clIS7_S7_S7_SB_EESF_SV_SG_SH_SI_EUlSV_E0_NS1_11comp_targetILNS1_3genE4ELNS1_11target_archE910ELNS1_3gpuE8ELNS1_3repE0EEENS1_38merge_mergepath_config_static_selectorELNS0_4arch9wavefront6targetE1EEEvSH_,comdat
	.protected	_ZN7rocprim17ROCPRIM_400000_NS6detail17trampoline_kernelINS0_14default_configENS1_38merge_sort_block_merge_config_selectorIllEEZZNS1_27merge_sort_block_merge_implIS3_PlN6thrust23THRUST_200600_302600_NS10device_ptrIlEEjNS1_19radix_merge_compareILb0ELb0ElNS0_19identity_decomposerEEEEE10hipError_tT0_T1_T2_jT3_P12ihipStream_tbPNSt15iterator_traitsISG_E10value_typeEPNSM_ISH_E10value_typeEPSI_NS1_7vsmem_tEENKUlT_SG_SH_SI_E_clIS7_S7_S7_SB_EESF_SV_SG_SH_SI_EUlSV_E0_NS1_11comp_targetILNS1_3genE4ELNS1_11target_archE910ELNS1_3gpuE8ELNS1_3repE0EEENS1_38merge_mergepath_config_static_selectorELNS0_4arch9wavefront6targetE1EEEvSH_ ; -- Begin function _ZN7rocprim17ROCPRIM_400000_NS6detail17trampoline_kernelINS0_14default_configENS1_38merge_sort_block_merge_config_selectorIllEEZZNS1_27merge_sort_block_merge_implIS3_PlN6thrust23THRUST_200600_302600_NS10device_ptrIlEEjNS1_19radix_merge_compareILb0ELb0ElNS0_19identity_decomposerEEEEE10hipError_tT0_T1_T2_jT3_P12ihipStream_tbPNSt15iterator_traitsISG_E10value_typeEPNSM_ISH_E10value_typeEPSI_NS1_7vsmem_tEENKUlT_SG_SH_SI_E_clIS7_S7_S7_SB_EESF_SV_SG_SH_SI_EUlSV_E0_NS1_11comp_targetILNS1_3genE4ELNS1_11target_archE910ELNS1_3gpuE8ELNS1_3repE0EEENS1_38merge_mergepath_config_static_selectorELNS0_4arch9wavefront6targetE1EEEvSH_
	.globl	_ZN7rocprim17ROCPRIM_400000_NS6detail17trampoline_kernelINS0_14default_configENS1_38merge_sort_block_merge_config_selectorIllEEZZNS1_27merge_sort_block_merge_implIS3_PlN6thrust23THRUST_200600_302600_NS10device_ptrIlEEjNS1_19radix_merge_compareILb0ELb0ElNS0_19identity_decomposerEEEEE10hipError_tT0_T1_T2_jT3_P12ihipStream_tbPNSt15iterator_traitsISG_E10value_typeEPNSM_ISH_E10value_typeEPSI_NS1_7vsmem_tEENKUlT_SG_SH_SI_E_clIS7_S7_S7_SB_EESF_SV_SG_SH_SI_EUlSV_E0_NS1_11comp_targetILNS1_3genE4ELNS1_11target_archE910ELNS1_3gpuE8ELNS1_3repE0EEENS1_38merge_mergepath_config_static_selectorELNS0_4arch9wavefront6targetE1EEEvSH_
	.p2align	8
	.type	_ZN7rocprim17ROCPRIM_400000_NS6detail17trampoline_kernelINS0_14default_configENS1_38merge_sort_block_merge_config_selectorIllEEZZNS1_27merge_sort_block_merge_implIS3_PlN6thrust23THRUST_200600_302600_NS10device_ptrIlEEjNS1_19radix_merge_compareILb0ELb0ElNS0_19identity_decomposerEEEEE10hipError_tT0_T1_T2_jT3_P12ihipStream_tbPNSt15iterator_traitsISG_E10value_typeEPNSM_ISH_E10value_typeEPSI_NS1_7vsmem_tEENKUlT_SG_SH_SI_E_clIS7_S7_S7_SB_EESF_SV_SG_SH_SI_EUlSV_E0_NS1_11comp_targetILNS1_3genE4ELNS1_11target_archE910ELNS1_3gpuE8ELNS1_3repE0EEENS1_38merge_mergepath_config_static_selectorELNS0_4arch9wavefront6targetE1EEEvSH_,@function
_ZN7rocprim17ROCPRIM_400000_NS6detail17trampoline_kernelINS0_14default_configENS1_38merge_sort_block_merge_config_selectorIllEEZZNS1_27merge_sort_block_merge_implIS3_PlN6thrust23THRUST_200600_302600_NS10device_ptrIlEEjNS1_19radix_merge_compareILb0ELb0ElNS0_19identity_decomposerEEEEE10hipError_tT0_T1_T2_jT3_P12ihipStream_tbPNSt15iterator_traitsISG_E10value_typeEPNSM_ISH_E10value_typeEPSI_NS1_7vsmem_tEENKUlT_SG_SH_SI_E_clIS7_S7_S7_SB_EESF_SV_SG_SH_SI_EUlSV_E0_NS1_11comp_targetILNS1_3genE4ELNS1_11target_archE910ELNS1_3gpuE8ELNS1_3repE0EEENS1_38merge_mergepath_config_static_selectorELNS0_4arch9wavefront6targetE1EEEvSH_: ; @_ZN7rocprim17ROCPRIM_400000_NS6detail17trampoline_kernelINS0_14default_configENS1_38merge_sort_block_merge_config_selectorIllEEZZNS1_27merge_sort_block_merge_implIS3_PlN6thrust23THRUST_200600_302600_NS10device_ptrIlEEjNS1_19radix_merge_compareILb0ELb0ElNS0_19identity_decomposerEEEEE10hipError_tT0_T1_T2_jT3_P12ihipStream_tbPNSt15iterator_traitsISG_E10value_typeEPNSM_ISH_E10value_typeEPSI_NS1_7vsmem_tEENKUlT_SG_SH_SI_E_clIS7_S7_S7_SB_EESF_SV_SG_SH_SI_EUlSV_E0_NS1_11comp_targetILNS1_3genE4ELNS1_11target_archE910ELNS1_3gpuE8ELNS1_3repE0EEENS1_38merge_mergepath_config_static_selectorELNS0_4arch9wavefront6targetE1EEEvSH_
; %bb.0:
	.section	.rodata,"a",@progbits
	.p2align	6, 0x0
	.amdhsa_kernel _ZN7rocprim17ROCPRIM_400000_NS6detail17trampoline_kernelINS0_14default_configENS1_38merge_sort_block_merge_config_selectorIllEEZZNS1_27merge_sort_block_merge_implIS3_PlN6thrust23THRUST_200600_302600_NS10device_ptrIlEEjNS1_19radix_merge_compareILb0ELb0ElNS0_19identity_decomposerEEEEE10hipError_tT0_T1_T2_jT3_P12ihipStream_tbPNSt15iterator_traitsISG_E10value_typeEPNSM_ISH_E10value_typeEPSI_NS1_7vsmem_tEENKUlT_SG_SH_SI_E_clIS7_S7_S7_SB_EESF_SV_SG_SH_SI_EUlSV_E0_NS1_11comp_targetILNS1_3genE4ELNS1_11target_archE910ELNS1_3gpuE8ELNS1_3repE0EEENS1_38merge_mergepath_config_static_selectorELNS0_4arch9wavefront6targetE1EEEvSH_
		.amdhsa_group_segment_fixed_size 0
		.amdhsa_private_segment_fixed_size 0
		.amdhsa_kernarg_size 64
		.amdhsa_user_sgpr_count 6
		.amdhsa_user_sgpr_private_segment_buffer 1
		.amdhsa_user_sgpr_dispatch_ptr 0
		.amdhsa_user_sgpr_queue_ptr 0
		.amdhsa_user_sgpr_kernarg_segment_ptr 1
		.amdhsa_user_sgpr_dispatch_id 0
		.amdhsa_user_sgpr_flat_scratch_init 0
		.amdhsa_user_sgpr_private_segment_size 0
		.amdhsa_uses_dynamic_stack 0
		.amdhsa_system_sgpr_private_segment_wavefront_offset 0
		.amdhsa_system_sgpr_workgroup_id_x 1
		.amdhsa_system_sgpr_workgroup_id_y 0
		.amdhsa_system_sgpr_workgroup_id_z 0
		.amdhsa_system_sgpr_workgroup_info 0
		.amdhsa_system_vgpr_workitem_id 0
		.amdhsa_next_free_vgpr 1
		.amdhsa_next_free_sgpr 0
		.amdhsa_reserve_vcc 0
		.amdhsa_reserve_flat_scratch 0
		.amdhsa_float_round_mode_32 0
		.amdhsa_float_round_mode_16_64 0
		.amdhsa_float_denorm_mode_32 3
		.amdhsa_float_denorm_mode_16_64 3
		.amdhsa_dx10_clamp 1
		.amdhsa_ieee_mode 1
		.amdhsa_fp16_overflow 0
		.amdhsa_exception_fp_ieee_invalid_op 0
		.amdhsa_exception_fp_denorm_src 0
		.amdhsa_exception_fp_ieee_div_zero 0
		.amdhsa_exception_fp_ieee_overflow 0
		.amdhsa_exception_fp_ieee_underflow 0
		.amdhsa_exception_fp_ieee_inexact 0
		.amdhsa_exception_int_div_zero 0
	.end_amdhsa_kernel
	.section	.text._ZN7rocprim17ROCPRIM_400000_NS6detail17trampoline_kernelINS0_14default_configENS1_38merge_sort_block_merge_config_selectorIllEEZZNS1_27merge_sort_block_merge_implIS3_PlN6thrust23THRUST_200600_302600_NS10device_ptrIlEEjNS1_19radix_merge_compareILb0ELb0ElNS0_19identity_decomposerEEEEE10hipError_tT0_T1_T2_jT3_P12ihipStream_tbPNSt15iterator_traitsISG_E10value_typeEPNSM_ISH_E10value_typeEPSI_NS1_7vsmem_tEENKUlT_SG_SH_SI_E_clIS7_S7_S7_SB_EESF_SV_SG_SH_SI_EUlSV_E0_NS1_11comp_targetILNS1_3genE4ELNS1_11target_archE910ELNS1_3gpuE8ELNS1_3repE0EEENS1_38merge_mergepath_config_static_selectorELNS0_4arch9wavefront6targetE1EEEvSH_,"axG",@progbits,_ZN7rocprim17ROCPRIM_400000_NS6detail17trampoline_kernelINS0_14default_configENS1_38merge_sort_block_merge_config_selectorIllEEZZNS1_27merge_sort_block_merge_implIS3_PlN6thrust23THRUST_200600_302600_NS10device_ptrIlEEjNS1_19radix_merge_compareILb0ELb0ElNS0_19identity_decomposerEEEEE10hipError_tT0_T1_T2_jT3_P12ihipStream_tbPNSt15iterator_traitsISG_E10value_typeEPNSM_ISH_E10value_typeEPSI_NS1_7vsmem_tEENKUlT_SG_SH_SI_E_clIS7_S7_S7_SB_EESF_SV_SG_SH_SI_EUlSV_E0_NS1_11comp_targetILNS1_3genE4ELNS1_11target_archE910ELNS1_3gpuE8ELNS1_3repE0EEENS1_38merge_mergepath_config_static_selectorELNS0_4arch9wavefront6targetE1EEEvSH_,comdat
.Lfunc_end1021:
	.size	_ZN7rocprim17ROCPRIM_400000_NS6detail17trampoline_kernelINS0_14default_configENS1_38merge_sort_block_merge_config_selectorIllEEZZNS1_27merge_sort_block_merge_implIS3_PlN6thrust23THRUST_200600_302600_NS10device_ptrIlEEjNS1_19radix_merge_compareILb0ELb0ElNS0_19identity_decomposerEEEEE10hipError_tT0_T1_T2_jT3_P12ihipStream_tbPNSt15iterator_traitsISG_E10value_typeEPNSM_ISH_E10value_typeEPSI_NS1_7vsmem_tEENKUlT_SG_SH_SI_E_clIS7_S7_S7_SB_EESF_SV_SG_SH_SI_EUlSV_E0_NS1_11comp_targetILNS1_3genE4ELNS1_11target_archE910ELNS1_3gpuE8ELNS1_3repE0EEENS1_38merge_mergepath_config_static_selectorELNS0_4arch9wavefront6targetE1EEEvSH_, .Lfunc_end1021-_ZN7rocprim17ROCPRIM_400000_NS6detail17trampoline_kernelINS0_14default_configENS1_38merge_sort_block_merge_config_selectorIllEEZZNS1_27merge_sort_block_merge_implIS3_PlN6thrust23THRUST_200600_302600_NS10device_ptrIlEEjNS1_19radix_merge_compareILb0ELb0ElNS0_19identity_decomposerEEEEE10hipError_tT0_T1_T2_jT3_P12ihipStream_tbPNSt15iterator_traitsISG_E10value_typeEPNSM_ISH_E10value_typeEPSI_NS1_7vsmem_tEENKUlT_SG_SH_SI_E_clIS7_S7_S7_SB_EESF_SV_SG_SH_SI_EUlSV_E0_NS1_11comp_targetILNS1_3genE4ELNS1_11target_archE910ELNS1_3gpuE8ELNS1_3repE0EEENS1_38merge_mergepath_config_static_selectorELNS0_4arch9wavefront6targetE1EEEvSH_
                                        ; -- End function
	.set _ZN7rocprim17ROCPRIM_400000_NS6detail17trampoline_kernelINS0_14default_configENS1_38merge_sort_block_merge_config_selectorIllEEZZNS1_27merge_sort_block_merge_implIS3_PlN6thrust23THRUST_200600_302600_NS10device_ptrIlEEjNS1_19radix_merge_compareILb0ELb0ElNS0_19identity_decomposerEEEEE10hipError_tT0_T1_T2_jT3_P12ihipStream_tbPNSt15iterator_traitsISG_E10value_typeEPNSM_ISH_E10value_typeEPSI_NS1_7vsmem_tEENKUlT_SG_SH_SI_E_clIS7_S7_S7_SB_EESF_SV_SG_SH_SI_EUlSV_E0_NS1_11comp_targetILNS1_3genE4ELNS1_11target_archE910ELNS1_3gpuE8ELNS1_3repE0EEENS1_38merge_mergepath_config_static_selectorELNS0_4arch9wavefront6targetE1EEEvSH_.num_vgpr, 0
	.set _ZN7rocprim17ROCPRIM_400000_NS6detail17trampoline_kernelINS0_14default_configENS1_38merge_sort_block_merge_config_selectorIllEEZZNS1_27merge_sort_block_merge_implIS3_PlN6thrust23THRUST_200600_302600_NS10device_ptrIlEEjNS1_19radix_merge_compareILb0ELb0ElNS0_19identity_decomposerEEEEE10hipError_tT0_T1_T2_jT3_P12ihipStream_tbPNSt15iterator_traitsISG_E10value_typeEPNSM_ISH_E10value_typeEPSI_NS1_7vsmem_tEENKUlT_SG_SH_SI_E_clIS7_S7_S7_SB_EESF_SV_SG_SH_SI_EUlSV_E0_NS1_11comp_targetILNS1_3genE4ELNS1_11target_archE910ELNS1_3gpuE8ELNS1_3repE0EEENS1_38merge_mergepath_config_static_selectorELNS0_4arch9wavefront6targetE1EEEvSH_.num_agpr, 0
	.set _ZN7rocprim17ROCPRIM_400000_NS6detail17trampoline_kernelINS0_14default_configENS1_38merge_sort_block_merge_config_selectorIllEEZZNS1_27merge_sort_block_merge_implIS3_PlN6thrust23THRUST_200600_302600_NS10device_ptrIlEEjNS1_19radix_merge_compareILb0ELb0ElNS0_19identity_decomposerEEEEE10hipError_tT0_T1_T2_jT3_P12ihipStream_tbPNSt15iterator_traitsISG_E10value_typeEPNSM_ISH_E10value_typeEPSI_NS1_7vsmem_tEENKUlT_SG_SH_SI_E_clIS7_S7_S7_SB_EESF_SV_SG_SH_SI_EUlSV_E0_NS1_11comp_targetILNS1_3genE4ELNS1_11target_archE910ELNS1_3gpuE8ELNS1_3repE0EEENS1_38merge_mergepath_config_static_selectorELNS0_4arch9wavefront6targetE1EEEvSH_.numbered_sgpr, 0
	.set _ZN7rocprim17ROCPRIM_400000_NS6detail17trampoline_kernelINS0_14default_configENS1_38merge_sort_block_merge_config_selectorIllEEZZNS1_27merge_sort_block_merge_implIS3_PlN6thrust23THRUST_200600_302600_NS10device_ptrIlEEjNS1_19radix_merge_compareILb0ELb0ElNS0_19identity_decomposerEEEEE10hipError_tT0_T1_T2_jT3_P12ihipStream_tbPNSt15iterator_traitsISG_E10value_typeEPNSM_ISH_E10value_typeEPSI_NS1_7vsmem_tEENKUlT_SG_SH_SI_E_clIS7_S7_S7_SB_EESF_SV_SG_SH_SI_EUlSV_E0_NS1_11comp_targetILNS1_3genE4ELNS1_11target_archE910ELNS1_3gpuE8ELNS1_3repE0EEENS1_38merge_mergepath_config_static_selectorELNS0_4arch9wavefront6targetE1EEEvSH_.num_named_barrier, 0
	.set _ZN7rocprim17ROCPRIM_400000_NS6detail17trampoline_kernelINS0_14default_configENS1_38merge_sort_block_merge_config_selectorIllEEZZNS1_27merge_sort_block_merge_implIS3_PlN6thrust23THRUST_200600_302600_NS10device_ptrIlEEjNS1_19radix_merge_compareILb0ELb0ElNS0_19identity_decomposerEEEEE10hipError_tT0_T1_T2_jT3_P12ihipStream_tbPNSt15iterator_traitsISG_E10value_typeEPNSM_ISH_E10value_typeEPSI_NS1_7vsmem_tEENKUlT_SG_SH_SI_E_clIS7_S7_S7_SB_EESF_SV_SG_SH_SI_EUlSV_E0_NS1_11comp_targetILNS1_3genE4ELNS1_11target_archE910ELNS1_3gpuE8ELNS1_3repE0EEENS1_38merge_mergepath_config_static_selectorELNS0_4arch9wavefront6targetE1EEEvSH_.private_seg_size, 0
	.set _ZN7rocprim17ROCPRIM_400000_NS6detail17trampoline_kernelINS0_14default_configENS1_38merge_sort_block_merge_config_selectorIllEEZZNS1_27merge_sort_block_merge_implIS3_PlN6thrust23THRUST_200600_302600_NS10device_ptrIlEEjNS1_19radix_merge_compareILb0ELb0ElNS0_19identity_decomposerEEEEE10hipError_tT0_T1_T2_jT3_P12ihipStream_tbPNSt15iterator_traitsISG_E10value_typeEPNSM_ISH_E10value_typeEPSI_NS1_7vsmem_tEENKUlT_SG_SH_SI_E_clIS7_S7_S7_SB_EESF_SV_SG_SH_SI_EUlSV_E0_NS1_11comp_targetILNS1_3genE4ELNS1_11target_archE910ELNS1_3gpuE8ELNS1_3repE0EEENS1_38merge_mergepath_config_static_selectorELNS0_4arch9wavefront6targetE1EEEvSH_.uses_vcc, 0
	.set _ZN7rocprim17ROCPRIM_400000_NS6detail17trampoline_kernelINS0_14default_configENS1_38merge_sort_block_merge_config_selectorIllEEZZNS1_27merge_sort_block_merge_implIS3_PlN6thrust23THRUST_200600_302600_NS10device_ptrIlEEjNS1_19radix_merge_compareILb0ELb0ElNS0_19identity_decomposerEEEEE10hipError_tT0_T1_T2_jT3_P12ihipStream_tbPNSt15iterator_traitsISG_E10value_typeEPNSM_ISH_E10value_typeEPSI_NS1_7vsmem_tEENKUlT_SG_SH_SI_E_clIS7_S7_S7_SB_EESF_SV_SG_SH_SI_EUlSV_E0_NS1_11comp_targetILNS1_3genE4ELNS1_11target_archE910ELNS1_3gpuE8ELNS1_3repE0EEENS1_38merge_mergepath_config_static_selectorELNS0_4arch9wavefront6targetE1EEEvSH_.uses_flat_scratch, 0
	.set _ZN7rocprim17ROCPRIM_400000_NS6detail17trampoline_kernelINS0_14default_configENS1_38merge_sort_block_merge_config_selectorIllEEZZNS1_27merge_sort_block_merge_implIS3_PlN6thrust23THRUST_200600_302600_NS10device_ptrIlEEjNS1_19radix_merge_compareILb0ELb0ElNS0_19identity_decomposerEEEEE10hipError_tT0_T1_T2_jT3_P12ihipStream_tbPNSt15iterator_traitsISG_E10value_typeEPNSM_ISH_E10value_typeEPSI_NS1_7vsmem_tEENKUlT_SG_SH_SI_E_clIS7_S7_S7_SB_EESF_SV_SG_SH_SI_EUlSV_E0_NS1_11comp_targetILNS1_3genE4ELNS1_11target_archE910ELNS1_3gpuE8ELNS1_3repE0EEENS1_38merge_mergepath_config_static_selectorELNS0_4arch9wavefront6targetE1EEEvSH_.has_dyn_sized_stack, 0
	.set _ZN7rocprim17ROCPRIM_400000_NS6detail17trampoline_kernelINS0_14default_configENS1_38merge_sort_block_merge_config_selectorIllEEZZNS1_27merge_sort_block_merge_implIS3_PlN6thrust23THRUST_200600_302600_NS10device_ptrIlEEjNS1_19radix_merge_compareILb0ELb0ElNS0_19identity_decomposerEEEEE10hipError_tT0_T1_T2_jT3_P12ihipStream_tbPNSt15iterator_traitsISG_E10value_typeEPNSM_ISH_E10value_typeEPSI_NS1_7vsmem_tEENKUlT_SG_SH_SI_E_clIS7_S7_S7_SB_EESF_SV_SG_SH_SI_EUlSV_E0_NS1_11comp_targetILNS1_3genE4ELNS1_11target_archE910ELNS1_3gpuE8ELNS1_3repE0EEENS1_38merge_mergepath_config_static_selectorELNS0_4arch9wavefront6targetE1EEEvSH_.has_recursion, 0
	.set _ZN7rocprim17ROCPRIM_400000_NS6detail17trampoline_kernelINS0_14default_configENS1_38merge_sort_block_merge_config_selectorIllEEZZNS1_27merge_sort_block_merge_implIS3_PlN6thrust23THRUST_200600_302600_NS10device_ptrIlEEjNS1_19radix_merge_compareILb0ELb0ElNS0_19identity_decomposerEEEEE10hipError_tT0_T1_T2_jT3_P12ihipStream_tbPNSt15iterator_traitsISG_E10value_typeEPNSM_ISH_E10value_typeEPSI_NS1_7vsmem_tEENKUlT_SG_SH_SI_E_clIS7_S7_S7_SB_EESF_SV_SG_SH_SI_EUlSV_E0_NS1_11comp_targetILNS1_3genE4ELNS1_11target_archE910ELNS1_3gpuE8ELNS1_3repE0EEENS1_38merge_mergepath_config_static_selectorELNS0_4arch9wavefront6targetE1EEEvSH_.has_indirect_call, 0
	.section	.AMDGPU.csdata,"",@progbits
; Kernel info:
; codeLenInByte = 0
; TotalNumSgprs: 4
; NumVgprs: 0
; ScratchSize: 0
; MemoryBound: 0
; FloatMode: 240
; IeeeMode: 1
; LDSByteSize: 0 bytes/workgroup (compile time only)
; SGPRBlocks: 0
; VGPRBlocks: 0
; NumSGPRsForWavesPerEU: 4
; NumVGPRsForWavesPerEU: 1
; Occupancy: 10
; WaveLimiterHint : 0
; COMPUTE_PGM_RSRC2:SCRATCH_EN: 0
; COMPUTE_PGM_RSRC2:USER_SGPR: 6
; COMPUTE_PGM_RSRC2:TRAP_HANDLER: 0
; COMPUTE_PGM_RSRC2:TGID_X_EN: 1
; COMPUTE_PGM_RSRC2:TGID_Y_EN: 0
; COMPUTE_PGM_RSRC2:TGID_Z_EN: 0
; COMPUTE_PGM_RSRC2:TIDIG_COMP_CNT: 0
	.section	.text._ZN7rocprim17ROCPRIM_400000_NS6detail17trampoline_kernelINS0_14default_configENS1_38merge_sort_block_merge_config_selectorIllEEZZNS1_27merge_sort_block_merge_implIS3_PlN6thrust23THRUST_200600_302600_NS10device_ptrIlEEjNS1_19radix_merge_compareILb0ELb0ElNS0_19identity_decomposerEEEEE10hipError_tT0_T1_T2_jT3_P12ihipStream_tbPNSt15iterator_traitsISG_E10value_typeEPNSM_ISH_E10value_typeEPSI_NS1_7vsmem_tEENKUlT_SG_SH_SI_E_clIS7_S7_S7_SB_EESF_SV_SG_SH_SI_EUlSV_E0_NS1_11comp_targetILNS1_3genE3ELNS1_11target_archE908ELNS1_3gpuE7ELNS1_3repE0EEENS1_38merge_mergepath_config_static_selectorELNS0_4arch9wavefront6targetE1EEEvSH_,"axG",@progbits,_ZN7rocprim17ROCPRIM_400000_NS6detail17trampoline_kernelINS0_14default_configENS1_38merge_sort_block_merge_config_selectorIllEEZZNS1_27merge_sort_block_merge_implIS3_PlN6thrust23THRUST_200600_302600_NS10device_ptrIlEEjNS1_19radix_merge_compareILb0ELb0ElNS0_19identity_decomposerEEEEE10hipError_tT0_T1_T2_jT3_P12ihipStream_tbPNSt15iterator_traitsISG_E10value_typeEPNSM_ISH_E10value_typeEPSI_NS1_7vsmem_tEENKUlT_SG_SH_SI_E_clIS7_S7_S7_SB_EESF_SV_SG_SH_SI_EUlSV_E0_NS1_11comp_targetILNS1_3genE3ELNS1_11target_archE908ELNS1_3gpuE7ELNS1_3repE0EEENS1_38merge_mergepath_config_static_selectorELNS0_4arch9wavefront6targetE1EEEvSH_,comdat
	.protected	_ZN7rocprim17ROCPRIM_400000_NS6detail17trampoline_kernelINS0_14default_configENS1_38merge_sort_block_merge_config_selectorIllEEZZNS1_27merge_sort_block_merge_implIS3_PlN6thrust23THRUST_200600_302600_NS10device_ptrIlEEjNS1_19radix_merge_compareILb0ELb0ElNS0_19identity_decomposerEEEEE10hipError_tT0_T1_T2_jT3_P12ihipStream_tbPNSt15iterator_traitsISG_E10value_typeEPNSM_ISH_E10value_typeEPSI_NS1_7vsmem_tEENKUlT_SG_SH_SI_E_clIS7_S7_S7_SB_EESF_SV_SG_SH_SI_EUlSV_E0_NS1_11comp_targetILNS1_3genE3ELNS1_11target_archE908ELNS1_3gpuE7ELNS1_3repE0EEENS1_38merge_mergepath_config_static_selectorELNS0_4arch9wavefront6targetE1EEEvSH_ ; -- Begin function _ZN7rocprim17ROCPRIM_400000_NS6detail17trampoline_kernelINS0_14default_configENS1_38merge_sort_block_merge_config_selectorIllEEZZNS1_27merge_sort_block_merge_implIS3_PlN6thrust23THRUST_200600_302600_NS10device_ptrIlEEjNS1_19radix_merge_compareILb0ELb0ElNS0_19identity_decomposerEEEEE10hipError_tT0_T1_T2_jT3_P12ihipStream_tbPNSt15iterator_traitsISG_E10value_typeEPNSM_ISH_E10value_typeEPSI_NS1_7vsmem_tEENKUlT_SG_SH_SI_E_clIS7_S7_S7_SB_EESF_SV_SG_SH_SI_EUlSV_E0_NS1_11comp_targetILNS1_3genE3ELNS1_11target_archE908ELNS1_3gpuE7ELNS1_3repE0EEENS1_38merge_mergepath_config_static_selectorELNS0_4arch9wavefront6targetE1EEEvSH_
	.globl	_ZN7rocprim17ROCPRIM_400000_NS6detail17trampoline_kernelINS0_14default_configENS1_38merge_sort_block_merge_config_selectorIllEEZZNS1_27merge_sort_block_merge_implIS3_PlN6thrust23THRUST_200600_302600_NS10device_ptrIlEEjNS1_19radix_merge_compareILb0ELb0ElNS0_19identity_decomposerEEEEE10hipError_tT0_T1_T2_jT3_P12ihipStream_tbPNSt15iterator_traitsISG_E10value_typeEPNSM_ISH_E10value_typeEPSI_NS1_7vsmem_tEENKUlT_SG_SH_SI_E_clIS7_S7_S7_SB_EESF_SV_SG_SH_SI_EUlSV_E0_NS1_11comp_targetILNS1_3genE3ELNS1_11target_archE908ELNS1_3gpuE7ELNS1_3repE0EEENS1_38merge_mergepath_config_static_selectorELNS0_4arch9wavefront6targetE1EEEvSH_
	.p2align	8
	.type	_ZN7rocprim17ROCPRIM_400000_NS6detail17trampoline_kernelINS0_14default_configENS1_38merge_sort_block_merge_config_selectorIllEEZZNS1_27merge_sort_block_merge_implIS3_PlN6thrust23THRUST_200600_302600_NS10device_ptrIlEEjNS1_19radix_merge_compareILb0ELb0ElNS0_19identity_decomposerEEEEE10hipError_tT0_T1_T2_jT3_P12ihipStream_tbPNSt15iterator_traitsISG_E10value_typeEPNSM_ISH_E10value_typeEPSI_NS1_7vsmem_tEENKUlT_SG_SH_SI_E_clIS7_S7_S7_SB_EESF_SV_SG_SH_SI_EUlSV_E0_NS1_11comp_targetILNS1_3genE3ELNS1_11target_archE908ELNS1_3gpuE7ELNS1_3repE0EEENS1_38merge_mergepath_config_static_selectorELNS0_4arch9wavefront6targetE1EEEvSH_,@function
_ZN7rocprim17ROCPRIM_400000_NS6detail17trampoline_kernelINS0_14default_configENS1_38merge_sort_block_merge_config_selectorIllEEZZNS1_27merge_sort_block_merge_implIS3_PlN6thrust23THRUST_200600_302600_NS10device_ptrIlEEjNS1_19radix_merge_compareILb0ELb0ElNS0_19identity_decomposerEEEEE10hipError_tT0_T1_T2_jT3_P12ihipStream_tbPNSt15iterator_traitsISG_E10value_typeEPNSM_ISH_E10value_typeEPSI_NS1_7vsmem_tEENKUlT_SG_SH_SI_E_clIS7_S7_S7_SB_EESF_SV_SG_SH_SI_EUlSV_E0_NS1_11comp_targetILNS1_3genE3ELNS1_11target_archE908ELNS1_3gpuE7ELNS1_3repE0EEENS1_38merge_mergepath_config_static_selectorELNS0_4arch9wavefront6targetE1EEEvSH_: ; @_ZN7rocprim17ROCPRIM_400000_NS6detail17trampoline_kernelINS0_14default_configENS1_38merge_sort_block_merge_config_selectorIllEEZZNS1_27merge_sort_block_merge_implIS3_PlN6thrust23THRUST_200600_302600_NS10device_ptrIlEEjNS1_19radix_merge_compareILb0ELb0ElNS0_19identity_decomposerEEEEE10hipError_tT0_T1_T2_jT3_P12ihipStream_tbPNSt15iterator_traitsISG_E10value_typeEPNSM_ISH_E10value_typeEPSI_NS1_7vsmem_tEENKUlT_SG_SH_SI_E_clIS7_S7_S7_SB_EESF_SV_SG_SH_SI_EUlSV_E0_NS1_11comp_targetILNS1_3genE3ELNS1_11target_archE908ELNS1_3gpuE7ELNS1_3repE0EEENS1_38merge_mergepath_config_static_selectorELNS0_4arch9wavefront6targetE1EEEvSH_
; %bb.0:
	.section	.rodata,"a",@progbits
	.p2align	6, 0x0
	.amdhsa_kernel _ZN7rocprim17ROCPRIM_400000_NS6detail17trampoline_kernelINS0_14default_configENS1_38merge_sort_block_merge_config_selectorIllEEZZNS1_27merge_sort_block_merge_implIS3_PlN6thrust23THRUST_200600_302600_NS10device_ptrIlEEjNS1_19radix_merge_compareILb0ELb0ElNS0_19identity_decomposerEEEEE10hipError_tT0_T1_T2_jT3_P12ihipStream_tbPNSt15iterator_traitsISG_E10value_typeEPNSM_ISH_E10value_typeEPSI_NS1_7vsmem_tEENKUlT_SG_SH_SI_E_clIS7_S7_S7_SB_EESF_SV_SG_SH_SI_EUlSV_E0_NS1_11comp_targetILNS1_3genE3ELNS1_11target_archE908ELNS1_3gpuE7ELNS1_3repE0EEENS1_38merge_mergepath_config_static_selectorELNS0_4arch9wavefront6targetE1EEEvSH_
		.amdhsa_group_segment_fixed_size 0
		.amdhsa_private_segment_fixed_size 0
		.amdhsa_kernarg_size 64
		.amdhsa_user_sgpr_count 6
		.amdhsa_user_sgpr_private_segment_buffer 1
		.amdhsa_user_sgpr_dispatch_ptr 0
		.amdhsa_user_sgpr_queue_ptr 0
		.amdhsa_user_sgpr_kernarg_segment_ptr 1
		.amdhsa_user_sgpr_dispatch_id 0
		.amdhsa_user_sgpr_flat_scratch_init 0
		.amdhsa_user_sgpr_private_segment_size 0
		.amdhsa_uses_dynamic_stack 0
		.amdhsa_system_sgpr_private_segment_wavefront_offset 0
		.amdhsa_system_sgpr_workgroup_id_x 1
		.amdhsa_system_sgpr_workgroup_id_y 0
		.amdhsa_system_sgpr_workgroup_id_z 0
		.amdhsa_system_sgpr_workgroup_info 0
		.amdhsa_system_vgpr_workitem_id 0
		.amdhsa_next_free_vgpr 1
		.amdhsa_next_free_sgpr 0
		.amdhsa_reserve_vcc 0
		.amdhsa_reserve_flat_scratch 0
		.amdhsa_float_round_mode_32 0
		.amdhsa_float_round_mode_16_64 0
		.amdhsa_float_denorm_mode_32 3
		.amdhsa_float_denorm_mode_16_64 3
		.amdhsa_dx10_clamp 1
		.amdhsa_ieee_mode 1
		.amdhsa_fp16_overflow 0
		.amdhsa_exception_fp_ieee_invalid_op 0
		.amdhsa_exception_fp_denorm_src 0
		.amdhsa_exception_fp_ieee_div_zero 0
		.amdhsa_exception_fp_ieee_overflow 0
		.amdhsa_exception_fp_ieee_underflow 0
		.amdhsa_exception_fp_ieee_inexact 0
		.amdhsa_exception_int_div_zero 0
	.end_amdhsa_kernel
	.section	.text._ZN7rocprim17ROCPRIM_400000_NS6detail17trampoline_kernelINS0_14default_configENS1_38merge_sort_block_merge_config_selectorIllEEZZNS1_27merge_sort_block_merge_implIS3_PlN6thrust23THRUST_200600_302600_NS10device_ptrIlEEjNS1_19radix_merge_compareILb0ELb0ElNS0_19identity_decomposerEEEEE10hipError_tT0_T1_T2_jT3_P12ihipStream_tbPNSt15iterator_traitsISG_E10value_typeEPNSM_ISH_E10value_typeEPSI_NS1_7vsmem_tEENKUlT_SG_SH_SI_E_clIS7_S7_S7_SB_EESF_SV_SG_SH_SI_EUlSV_E0_NS1_11comp_targetILNS1_3genE3ELNS1_11target_archE908ELNS1_3gpuE7ELNS1_3repE0EEENS1_38merge_mergepath_config_static_selectorELNS0_4arch9wavefront6targetE1EEEvSH_,"axG",@progbits,_ZN7rocprim17ROCPRIM_400000_NS6detail17trampoline_kernelINS0_14default_configENS1_38merge_sort_block_merge_config_selectorIllEEZZNS1_27merge_sort_block_merge_implIS3_PlN6thrust23THRUST_200600_302600_NS10device_ptrIlEEjNS1_19radix_merge_compareILb0ELb0ElNS0_19identity_decomposerEEEEE10hipError_tT0_T1_T2_jT3_P12ihipStream_tbPNSt15iterator_traitsISG_E10value_typeEPNSM_ISH_E10value_typeEPSI_NS1_7vsmem_tEENKUlT_SG_SH_SI_E_clIS7_S7_S7_SB_EESF_SV_SG_SH_SI_EUlSV_E0_NS1_11comp_targetILNS1_3genE3ELNS1_11target_archE908ELNS1_3gpuE7ELNS1_3repE0EEENS1_38merge_mergepath_config_static_selectorELNS0_4arch9wavefront6targetE1EEEvSH_,comdat
.Lfunc_end1022:
	.size	_ZN7rocprim17ROCPRIM_400000_NS6detail17trampoline_kernelINS0_14default_configENS1_38merge_sort_block_merge_config_selectorIllEEZZNS1_27merge_sort_block_merge_implIS3_PlN6thrust23THRUST_200600_302600_NS10device_ptrIlEEjNS1_19radix_merge_compareILb0ELb0ElNS0_19identity_decomposerEEEEE10hipError_tT0_T1_T2_jT3_P12ihipStream_tbPNSt15iterator_traitsISG_E10value_typeEPNSM_ISH_E10value_typeEPSI_NS1_7vsmem_tEENKUlT_SG_SH_SI_E_clIS7_S7_S7_SB_EESF_SV_SG_SH_SI_EUlSV_E0_NS1_11comp_targetILNS1_3genE3ELNS1_11target_archE908ELNS1_3gpuE7ELNS1_3repE0EEENS1_38merge_mergepath_config_static_selectorELNS0_4arch9wavefront6targetE1EEEvSH_, .Lfunc_end1022-_ZN7rocprim17ROCPRIM_400000_NS6detail17trampoline_kernelINS0_14default_configENS1_38merge_sort_block_merge_config_selectorIllEEZZNS1_27merge_sort_block_merge_implIS3_PlN6thrust23THRUST_200600_302600_NS10device_ptrIlEEjNS1_19radix_merge_compareILb0ELb0ElNS0_19identity_decomposerEEEEE10hipError_tT0_T1_T2_jT3_P12ihipStream_tbPNSt15iterator_traitsISG_E10value_typeEPNSM_ISH_E10value_typeEPSI_NS1_7vsmem_tEENKUlT_SG_SH_SI_E_clIS7_S7_S7_SB_EESF_SV_SG_SH_SI_EUlSV_E0_NS1_11comp_targetILNS1_3genE3ELNS1_11target_archE908ELNS1_3gpuE7ELNS1_3repE0EEENS1_38merge_mergepath_config_static_selectorELNS0_4arch9wavefront6targetE1EEEvSH_
                                        ; -- End function
	.set _ZN7rocprim17ROCPRIM_400000_NS6detail17trampoline_kernelINS0_14default_configENS1_38merge_sort_block_merge_config_selectorIllEEZZNS1_27merge_sort_block_merge_implIS3_PlN6thrust23THRUST_200600_302600_NS10device_ptrIlEEjNS1_19radix_merge_compareILb0ELb0ElNS0_19identity_decomposerEEEEE10hipError_tT0_T1_T2_jT3_P12ihipStream_tbPNSt15iterator_traitsISG_E10value_typeEPNSM_ISH_E10value_typeEPSI_NS1_7vsmem_tEENKUlT_SG_SH_SI_E_clIS7_S7_S7_SB_EESF_SV_SG_SH_SI_EUlSV_E0_NS1_11comp_targetILNS1_3genE3ELNS1_11target_archE908ELNS1_3gpuE7ELNS1_3repE0EEENS1_38merge_mergepath_config_static_selectorELNS0_4arch9wavefront6targetE1EEEvSH_.num_vgpr, 0
	.set _ZN7rocprim17ROCPRIM_400000_NS6detail17trampoline_kernelINS0_14default_configENS1_38merge_sort_block_merge_config_selectorIllEEZZNS1_27merge_sort_block_merge_implIS3_PlN6thrust23THRUST_200600_302600_NS10device_ptrIlEEjNS1_19radix_merge_compareILb0ELb0ElNS0_19identity_decomposerEEEEE10hipError_tT0_T1_T2_jT3_P12ihipStream_tbPNSt15iterator_traitsISG_E10value_typeEPNSM_ISH_E10value_typeEPSI_NS1_7vsmem_tEENKUlT_SG_SH_SI_E_clIS7_S7_S7_SB_EESF_SV_SG_SH_SI_EUlSV_E0_NS1_11comp_targetILNS1_3genE3ELNS1_11target_archE908ELNS1_3gpuE7ELNS1_3repE0EEENS1_38merge_mergepath_config_static_selectorELNS0_4arch9wavefront6targetE1EEEvSH_.num_agpr, 0
	.set _ZN7rocprim17ROCPRIM_400000_NS6detail17trampoline_kernelINS0_14default_configENS1_38merge_sort_block_merge_config_selectorIllEEZZNS1_27merge_sort_block_merge_implIS3_PlN6thrust23THRUST_200600_302600_NS10device_ptrIlEEjNS1_19radix_merge_compareILb0ELb0ElNS0_19identity_decomposerEEEEE10hipError_tT0_T1_T2_jT3_P12ihipStream_tbPNSt15iterator_traitsISG_E10value_typeEPNSM_ISH_E10value_typeEPSI_NS1_7vsmem_tEENKUlT_SG_SH_SI_E_clIS7_S7_S7_SB_EESF_SV_SG_SH_SI_EUlSV_E0_NS1_11comp_targetILNS1_3genE3ELNS1_11target_archE908ELNS1_3gpuE7ELNS1_3repE0EEENS1_38merge_mergepath_config_static_selectorELNS0_4arch9wavefront6targetE1EEEvSH_.numbered_sgpr, 0
	.set _ZN7rocprim17ROCPRIM_400000_NS6detail17trampoline_kernelINS0_14default_configENS1_38merge_sort_block_merge_config_selectorIllEEZZNS1_27merge_sort_block_merge_implIS3_PlN6thrust23THRUST_200600_302600_NS10device_ptrIlEEjNS1_19radix_merge_compareILb0ELb0ElNS0_19identity_decomposerEEEEE10hipError_tT0_T1_T2_jT3_P12ihipStream_tbPNSt15iterator_traitsISG_E10value_typeEPNSM_ISH_E10value_typeEPSI_NS1_7vsmem_tEENKUlT_SG_SH_SI_E_clIS7_S7_S7_SB_EESF_SV_SG_SH_SI_EUlSV_E0_NS1_11comp_targetILNS1_3genE3ELNS1_11target_archE908ELNS1_3gpuE7ELNS1_3repE0EEENS1_38merge_mergepath_config_static_selectorELNS0_4arch9wavefront6targetE1EEEvSH_.num_named_barrier, 0
	.set _ZN7rocprim17ROCPRIM_400000_NS6detail17trampoline_kernelINS0_14default_configENS1_38merge_sort_block_merge_config_selectorIllEEZZNS1_27merge_sort_block_merge_implIS3_PlN6thrust23THRUST_200600_302600_NS10device_ptrIlEEjNS1_19radix_merge_compareILb0ELb0ElNS0_19identity_decomposerEEEEE10hipError_tT0_T1_T2_jT3_P12ihipStream_tbPNSt15iterator_traitsISG_E10value_typeEPNSM_ISH_E10value_typeEPSI_NS1_7vsmem_tEENKUlT_SG_SH_SI_E_clIS7_S7_S7_SB_EESF_SV_SG_SH_SI_EUlSV_E0_NS1_11comp_targetILNS1_3genE3ELNS1_11target_archE908ELNS1_3gpuE7ELNS1_3repE0EEENS1_38merge_mergepath_config_static_selectorELNS0_4arch9wavefront6targetE1EEEvSH_.private_seg_size, 0
	.set _ZN7rocprim17ROCPRIM_400000_NS6detail17trampoline_kernelINS0_14default_configENS1_38merge_sort_block_merge_config_selectorIllEEZZNS1_27merge_sort_block_merge_implIS3_PlN6thrust23THRUST_200600_302600_NS10device_ptrIlEEjNS1_19radix_merge_compareILb0ELb0ElNS0_19identity_decomposerEEEEE10hipError_tT0_T1_T2_jT3_P12ihipStream_tbPNSt15iterator_traitsISG_E10value_typeEPNSM_ISH_E10value_typeEPSI_NS1_7vsmem_tEENKUlT_SG_SH_SI_E_clIS7_S7_S7_SB_EESF_SV_SG_SH_SI_EUlSV_E0_NS1_11comp_targetILNS1_3genE3ELNS1_11target_archE908ELNS1_3gpuE7ELNS1_3repE0EEENS1_38merge_mergepath_config_static_selectorELNS0_4arch9wavefront6targetE1EEEvSH_.uses_vcc, 0
	.set _ZN7rocprim17ROCPRIM_400000_NS6detail17trampoline_kernelINS0_14default_configENS1_38merge_sort_block_merge_config_selectorIllEEZZNS1_27merge_sort_block_merge_implIS3_PlN6thrust23THRUST_200600_302600_NS10device_ptrIlEEjNS1_19radix_merge_compareILb0ELb0ElNS0_19identity_decomposerEEEEE10hipError_tT0_T1_T2_jT3_P12ihipStream_tbPNSt15iterator_traitsISG_E10value_typeEPNSM_ISH_E10value_typeEPSI_NS1_7vsmem_tEENKUlT_SG_SH_SI_E_clIS7_S7_S7_SB_EESF_SV_SG_SH_SI_EUlSV_E0_NS1_11comp_targetILNS1_3genE3ELNS1_11target_archE908ELNS1_3gpuE7ELNS1_3repE0EEENS1_38merge_mergepath_config_static_selectorELNS0_4arch9wavefront6targetE1EEEvSH_.uses_flat_scratch, 0
	.set _ZN7rocprim17ROCPRIM_400000_NS6detail17trampoline_kernelINS0_14default_configENS1_38merge_sort_block_merge_config_selectorIllEEZZNS1_27merge_sort_block_merge_implIS3_PlN6thrust23THRUST_200600_302600_NS10device_ptrIlEEjNS1_19radix_merge_compareILb0ELb0ElNS0_19identity_decomposerEEEEE10hipError_tT0_T1_T2_jT3_P12ihipStream_tbPNSt15iterator_traitsISG_E10value_typeEPNSM_ISH_E10value_typeEPSI_NS1_7vsmem_tEENKUlT_SG_SH_SI_E_clIS7_S7_S7_SB_EESF_SV_SG_SH_SI_EUlSV_E0_NS1_11comp_targetILNS1_3genE3ELNS1_11target_archE908ELNS1_3gpuE7ELNS1_3repE0EEENS1_38merge_mergepath_config_static_selectorELNS0_4arch9wavefront6targetE1EEEvSH_.has_dyn_sized_stack, 0
	.set _ZN7rocprim17ROCPRIM_400000_NS6detail17trampoline_kernelINS0_14default_configENS1_38merge_sort_block_merge_config_selectorIllEEZZNS1_27merge_sort_block_merge_implIS3_PlN6thrust23THRUST_200600_302600_NS10device_ptrIlEEjNS1_19radix_merge_compareILb0ELb0ElNS0_19identity_decomposerEEEEE10hipError_tT0_T1_T2_jT3_P12ihipStream_tbPNSt15iterator_traitsISG_E10value_typeEPNSM_ISH_E10value_typeEPSI_NS1_7vsmem_tEENKUlT_SG_SH_SI_E_clIS7_S7_S7_SB_EESF_SV_SG_SH_SI_EUlSV_E0_NS1_11comp_targetILNS1_3genE3ELNS1_11target_archE908ELNS1_3gpuE7ELNS1_3repE0EEENS1_38merge_mergepath_config_static_selectorELNS0_4arch9wavefront6targetE1EEEvSH_.has_recursion, 0
	.set _ZN7rocprim17ROCPRIM_400000_NS6detail17trampoline_kernelINS0_14default_configENS1_38merge_sort_block_merge_config_selectorIllEEZZNS1_27merge_sort_block_merge_implIS3_PlN6thrust23THRUST_200600_302600_NS10device_ptrIlEEjNS1_19radix_merge_compareILb0ELb0ElNS0_19identity_decomposerEEEEE10hipError_tT0_T1_T2_jT3_P12ihipStream_tbPNSt15iterator_traitsISG_E10value_typeEPNSM_ISH_E10value_typeEPSI_NS1_7vsmem_tEENKUlT_SG_SH_SI_E_clIS7_S7_S7_SB_EESF_SV_SG_SH_SI_EUlSV_E0_NS1_11comp_targetILNS1_3genE3ELNS1_11target_archE908ELNS1_3gpuE7ELNS1_3repE0EEENS1_38merge_mergepath_config_static_selectorELNS0_4arch9wavefront6targetE1EEEvSH_.has_indirect_call, 0
	.section	.AMDGPU.csdata,"",@progbits
; Kernel info:
; codeLenInByte = 0
; TotalNumSgprs: 4
; NumVgprs: 0
; ScratchSize: 0
; MemoryBound: 0
; FloatMode: 240
; IeeeMode: 1
; LDSByteSize: 0 bytes/workgroup (compile time only)
; SGPRBlocks: 0
; VGPRBlocks: 0
; NumSGPRsForWavesPerEU: 4
; NumVGPRsForWavesPerEU: 1
; Occupancy: 10
; WaveLimiterHint : 0
; COMPUTE_PGM_RSRC2:SCRATCH_EN: 0
; COMPUTE_PGM_RSRC2:USER_SGPR: 6
; COMPUTE_PGM_RSRC2:TRAP_HANDLER: 0
; COMPUTE_PGM_RSRC2:TGID_X_EN: 1
; COMPUTE_PGM_RSRC2:TGID_Y_EN: 0
; COMPUTE_PGM_RSRC2:TGID_Z_EN: 0
; COMPUTE_PGM_RSRC2:TIDIG_COMP_CNT: 0
	.section	.text._ZN7rocprim17ROCPRIM_400000_NS6detail17trampoline_kernelINS0_14default_configENS1_38merge_sort_block_merge_config_selectorIllEEZZNS1_27merge_sort_block_merge_implIS3_PlN6thrust23THRUST_200600_302600_NS10device_ptrIlEEjNS1_19radix_merge_compareILb0ELb0ElNS0_19identity_decomposerEEEEE10hipError_tT0_T1_T2_jT3_P12ihipStream_tbPNSt15iterator_traitsISG_E10value_typeEPNSM_ISH_E10value_typeEPSI_NS1_7vsmem_tEENKUlT_SG_SH_SI_E_clIS7_S7_S7_SB_EESF_SV_SG_SH_SI_EUlSV_E0_NS1_11comp_targetILNS1_3genE2ELNS1_11target_archE906ELNS1_3gpuE6ELNS1_3repE0EEENS1_38merge_mergepath_config_static_selectorELNS0_4arch9wavefront6targetE1EEEvSH_,"axG",@progbits,_ZN7rocprim17ROCPRIM_400000_NS6detail17trampoline_kernelINS0_14default_configENS1_38merge_sort_block_merge_config_selectorIllEEZZNS1_27merge_sort_block_merge_implIS3_PlN6thrust23THRUST_200600_302600_NS10device_ptrIlEEjNS1_19radix_merge_compareILb0ELb0ElNS0_19identity_decomposerEEEEE10hipError_tT0_T1_T2_jT3_P12ihipStream_tbPNSt15iterator_traitsISG_E10value_typeEPNSM_ISH_E10value_typeEPSI_NS1_7vsmem_tEENKUlT_SG_SH_SI_E_clIS7_S7_S7_SB_EESF_SV_SG_SH_SI_EUlSV_E0_NS1_11comp_targetILNS1_3genE2ELNS1_11target_archE906ELNS1_3gpuE6ELNS1_3repE0EEENS1_38merge_mergepath_config_static_selectorELNS0_4arch9wavefront6targetE1EEEvSH_,comdat
	.protected	_ZN7rocprim17ROCPRIM_400000_NS6detail17trampoline_kernelINS0_14default_configENS1_38merge_sort_block_merge_config_selectorIllEEZZNS1_27merge_sort_block_merge_implIS3_PlN6thrust23THRUST_200600_302600_NS10device_ptrIlEEjNS1_19radix_merge_compareILb0ELb0ElNS0_19identity_decomposerEEEEE10hipError_tT0_T1_T2_jT3_P12ihipStream_tbPNSt15iterator_traitsISG_E10value_typeEPNSM_ISH_E10value_typeEPSI_NS1_7vsmem_tEENKUlT_SG_SH_SI_E_clIS7_S7_S7_SB_EESF_SV_SG_SH_SI_EUlSV_E0_NS1_11comp_targetILNS1_3genE2ELNS1_11target_archE906ELNS1_3gpuE6ELNS1_3repE0EEENS1_38merge_mergepath_config_static_selectorELNS0_4arch9wavefront6targetE1EEEvSH_ ; -- Begin function _ZN7rocprim17ROCPRIM_400000_NS6detail17trampoline_kernelINS0_14default_configENS1_38merge_sort_block_merge_config_selectorIllEEZZNS1_27merge_sort_block_merge_implIS3_PlN6thrust23THRUST_200600_302600_NS10device_ptrIlEEjNS1_19radix_merge_compareILb0ELb0ElNS0_19identity_decomposerEEEEE10hipError_tT0_T1_T2_jT3_P12ihipStream_tbPNSt15iterator_traitsISG_E10value_typeEPNSM_ISH_E10value_typeEPSI_NS1_7vsmem_tEENKUlT_SG_SH_SI_E_clIS7_S7_S7_SB_EESF_SV_SG_SH_SI_EUlSV_E0_NS1_11comp_targetILNS1_3genE2ELNS1_11target_archE906ELNS1_3gpuE6ELNS1_3repE0EEENS1_38merge_mergepath_config_static_selectorELNS0_4arch9wavefront6targetE1EEEvSH_
	.globl	_ZN7rocprim17ROCPRIM_400000_NS6detail17trampoline_kernelINS0_14default_configENS1_38merge_sort_block_merge_config_selectorIllEEZZNS1_27merge_sort_block_merge_implIS3_PlN6thrust23THRUST_200600_302600_NS10device_ptrIlEEjNS1_19radix_merge_compareILb0ELb0ElNS0_19identity_decomposerEEEEE10hipError_tT0_T1_T2_jT3_P12ihipStream_tbPNSt15iterator_traitsISG_E10value_typeEPNSM_ISH_E10value_typeEPSI_NS1_7vsmem_tEENKUlT_SG_SH_SI_E_clIS7_S7_S7_SB_EESF_SV_SG_SH_SI_EUlSV_E0_NS1_11comp_targetILNS1_3genE2ELNS1_11target_archE906ELNS1_3gpuE6ELNS1_3repE0EEENS1_38merge_mergepath_config_static_selectorELNS0_4arch9wavefront6targetE1EEEvSH_
	.p2align	8
	.type	_ZN7rocprim17ROCPRIM_400000_NS6detail17trampoline_kernelINS0_14default_configENS1_38merge_sort_block_merge_config_selectorIllEEZZNS1_27merge_sort_block_merge_implIS3_PlN6thrust23THRUST_200600_302600_NS10device_ptrIlEEjNS1_19radix_merge_compareILb0ELb0ElNS0_19identity_decomposerEEEEE10hipError_tT0_T1_T2_jT3_P12ihipStream_tbPNSt15iterator_traitsISG_E10value_typeEPNSM_ISH_E10value_typeEPSI_NS1_7vsmem_tEENKUlT_SG_SH_SI_E_clIS7_S7_S7_SB_EESF_SV_SG_SH_SI_EUlSV_E0_NS1_11comp_targetILNS1_3genE2ELNS1_11target_archE906ELNS1_3gpuE6ELNS1_3repE0EEENS1_38merge_mergepath_config_static_selectorELNS0_4arch9wavefront6targetE1EEEvSH_,@function
_ZN7rocprim17ROCPRIM_400000_NS6detail17trampoline_kernelINS0_14default_configENS1_38merge_sort_block_merge_config_selectorIllEEZZNS1_27merge_sort_block_merge_implIS3_PlN6thrust23THRUST_200600_302600_NS10device_ptrIlEEjNS1_19radix_merge_compareILb0ELb0ElNS0_19identity_decomposerEEEEE10hipError_tT0_T1_T2_jT3_P12ihipStream_tbPNSt15iterator_traitsISG_E10value_typeEPNSM_ISH_E10value_typeEPSI_NS1_7vsmem_tEENKUlT_SG_SH_SI_E_clIS7_S7_S7_SB_EESF_SV_SG_SH_SI_EUlSV_E0_NS1_11comp_targetILNS1_3genE2ELNS1_11target_archE906ELNS1_3gpuE6ELNS1_3repE0EEENS1_38merge_mergepath_config_static_selectorELNS0_4arch9wavefront6targetE1EEEvSH_: ; @_ZN7rocprim17ROCPRIM_400000_NS6detail17trampoline_kernelINS0_14default_configENS1_38merge_sort_block_merge_config_selectorIllEEZZNS1_27merge_sort_block_merge_implIS3_PlN6thrust23THRUST_200600_302600_NS10device_ptrIlEEjNS1_19radix_merge_compareILb0ELb0ElNS0_19identity_decomposerEEEEE10hipError_tT0_T1_T2_jT3_P12ihipStream_tbPNSt15iterator_traitsISG_E10value_typeEPNSM_ISH_E10value_typeEPSI_NS1_7vsmem_tEENKUlT_SG_SH_SI_E_clIS7_S7_S7_SB_EESF_SV_SG_SH_SI_EUlSV_E0_NS1_11comp_targetILNS1_3genE2ELNS1_11target_archE906ELNS1_3gpuE6ELNS1_3repE0EEENS1_38merge_mergepath_config_static_selectorELNS0_4arch9wavefront6targetE1EEEvSH_
; %bb.0:
	s_load_dwordx2 s[24:25], s[4:5], 0x40
	s_load_dword s1, s[4:5], 0x30
	s_add_u32 s22, s4, 64
	s_addc_u32 s23, s5, 0
	s_waitcnt lgkmcnt(0)
	s_mul_i32 s0, s25, s8
	s_add_i32 s0, s0, s7
	s_mul_i32 s0, s0, s24
	s_add_i32 s0, s0, s6
	s_cmp_ge_u32 s0, s1
	s_cbranch_scc1 .LBB1023_81
; %bb.1:
	s_load_dwordx8 s[12:19], s[4:5], 0x10
	s_load_dwordx2 s[28:29], s[4:5], 0x8
	s_load_dwordx2 s[2:3], s[4:5], 0x38
	s_mov_b32 s1, 0
	v_mov_b32_e32 v2, 0
	s_waitcnt lgkmcnt(0)
	s_lshr_b32 s30, s18, 10
	s_cmp_lg_u32 s0, s30
	s_cselect_b64 s[20:21], -1, 0
	s_lshl_b64 s[4:5], s[0:1], 2
	s_add_u32 s2, s2, s4
	s_addc_u32 s3, s3, s5
	s_load_dwordx2 s[4:5], s[2:3], 0x0
	s_lshr_b32 s2, s19, 9
	s_and_b32 s2, s2, 0x7ffffe
	s_sub_i32 s2, 0, s2
	s_and_b32 s3, s0, s2
	s_lshl_b32 s7, s3, 10
	s_lshl_b32 s10, s0, 10
	;; [unrolled: 1-line block ×3, first 2 shown]
	s_sub_i32 s8, s10, s7
	s_add_i32 s3, s3, s19
	s_add_i32 s9, s3, s8
	s_waitcnt lgkmcnt(0)
	s_sub_i32 s8, s9, s4
	s_sub_i32 s9, s9, s5
	;; [unrolled: 1-line block ×3, first 2 shown]
	s_min_u32 s8, s18, s8
	s_addk_i32 s9, 0x400
	s_or_b32 s2, s0, s2
	s_min_u32 s7, s18, s3
	s_add_i32 s3, s3, s19
	s_cmp_eq_u32 s2, -1
	s_cselect_b32 s2, s3, s9
	s_cselect_b32 s3, s7, s5
	s_mov_b32 s5, s1
	s_min_u32 s27, s2, s18
	s_sub_i32 s11, s3, s4
	s_lshl_b64 s[2:3], s[4:5], 3
	s_add_u32 s19, s28, s2
	s_mov_b32 s9, s1
	s_addc_u32 s25, s29, s3
	s_lshl_b64 s[4:5], s[8:9], 3
	s_add_u32 s9, s28, s4
	global_load_dword v1, v2, s[22:23] offset:14
	s_addc_u32 s26, s29, s5
	s_cmp_lt_u32 s6, s24
	s_cselect_b32 s1, 12, 18
	s_add_u32 s6, s22, s1
	s_addc_u32 s7, s23, 0
	global_load_ushort v3, v2, s[6:7]
	s_cmp_eq_u32 s0, s30
	v_lshlrev_b32_e32 v38, 3, v0
	s_waitcnt vmcnt(1)
	v_lshrrev_b32_e32 v4, 16, v1
	v_and_b32_e32 v1, 0xffff, v1
	v_mul_lo_u32 v1, v1, v4
	s_waitcnt vmcnt(0)
	v_mul_lo_u32 v39, v1, v3
	v_add_u32_e32 v34, v39, v0
	v_add_u32_e32 v32, v34, v39
	s_cbranch_scc1 .LBB1023_3
; %bb.2:
	v_mov_b32_e32 v1, s25
	v_add_co_u32_e32 v5, vcc, s19, v38
	v_addc_co_u32_e32 v6, vcc, 0, v1, vcc
	v_subrev_co_u32_e32 v1, vcc, s11, v0
	v_lshlrev_b64 v[3:4], 3, v[1:2]
	v_mov_b32_e32 v1, s26
	v_add_co_u32_e64 v3, s[0:1], s9, v3
	v_addc_co_u32_e64 v1, s[0:1], v1, v4, s[0:1]
	v_cndmask_b32_e32 v4, v1, v6, vcc
	v_cndmask_b32_e32 v3, v3, v5, vcc
	v_mov_b32_e32 v35, v2
	global_load_dwordx2 v[18:19], v[3:4], off
	v_lshlrev_b64 v[3:4], 3, v[34:35]
	v_mov_b32_e32 v1, s25
	v_add_co_u32_e32 v5, vcc, s19, v3
	v_addc_co_u32_e32 v6, vcc, v1, v4, vcc
	v_subrev_co_u32_e32 v1, vcc, s11, v34
	v_lshlrev_b64 v[3:4], 3, v[1:2]
	v_mov_b32_e32 v1, s26
	v_add_co_u32_e64 v3, s[0:1], s9, v3
	v_addc_co_u32_e64 v1, s[0:1], v1, v4, s[0:1]
	v_cndmask_b32_e32 v4, v1, v6, vcc
	v_cndmask_b32_e32 v3, v3, v5, vcc
	v_mov_b32_e32 v33, v2
	global_load_dwordx2 v[20:21], v[3:4], off
	v_lshlrev_b64 v[3:4], 3, v[32:33]
	v_mov_b32_e32 v1, s25
	v_add_co_u32_e32 v5, vcc, s19, v3
	v_addc_co_u32_e32 v6, vcc, v1, v4, vcc
	v_subrev_co_u32_e32 v1, vcc, s11, v32
	v_lshlrev_b64 v[3:4], 3, v[1:2]
	v_mov_b32_e32 v1, s26
	v_add_co_u32_e64 v3, s[0:1], s9, v3
	v_addc_co_u32_e64 v1, s[0:1], v1, v4, s[0:1]
	v_cndmask_b32_e32 v4, v1, v6, vcc
	v_cndmask_b32_e32 v3, v3, v5, vcc
	v_add_u32_e32 v1, v32, v39
	global_load_dwordx2 v[22:23], v[3:4], off
	v_lshlrev_b64 v[3:4], 3, v[1:2]
	v_mov_b32_e32 v5, s25
	v_add_co_u32_e32 v6, vcc, s19, v3
	v_addc_co_u32_e32 v5, vcc, v5, v4, vcc
	v_subrev_co_u32_e32 v3, vcc, s11, v1
	v_mov_b32_e32 v4, v2
	v_lshlrev_b64 v[3:4], 3, v[3:4]
	v_mov_b32_e32 v7, s26
	v_add_co_u32_e64 v3, s[0:1], s9, v3
	v_addc_co_u32_e64 v4, s[0:1], v7, v4, s[0:1]
	v_cndmask_b32_e32 v4, v4, v5, vcc
	v_cndmask_b32_e32 v3, v3, v6, vcc
	v_add_u32_e32 v1, v1, v39
	global_load_dwordx2 v[24:25], v[3:4], off
	v_lshlrev_b64 v[3:4], 3, v[1:2]
	v_mov_b32_e32 v5, s25
	v_add_co_u32_e32 v6, vcc, s19, v3
	v_addc_co_u32_e32 v5, vcc, v5, v4, vcc
	v_subrev_co_u32_e32 v3, vcc, s11, v1
	v_mov_b32_e32 v4, v2
	v_lshlrev_b64 v[3:4], 3, v[3:4]
	v_add_u32_e32 v1, v1, v39
	v_add_co_u32_e64 v3, s[0:1], s9, v3
	v_addc_co_u32_e64 v4, s[0:1], v7, v4, s[0:1]
	v_cndmask_b32_e32 v4, v4, v5, vcc
	v_cndmask_b32_e32 v3, v3, v6, vcc
	global_load_dwordx2 v[26:27], v[3:4], off
	v_lshlrev_b64 v[3:4], 3, v[1:2]
	v_mov_b32_e32 v5, s25
	v_add_co_u32_e32 v6, vcc, s19, v3
	v_addc_co_u32_e32 v5, vcc, v5, v4, vcc
	v_subrev_co_u32_e32 v3, vcc, s11, v1
	v_mov_b32_e32 v4, v2
	v_lshlrev_b64 v[3:4], 3, v[3:4]
	v_add_u32_e32 v1, v1, v39
	v_add_co_u32_e64 v3, s[0:1], s9, v3
	v_addc_co_u32_e64 v4, s[0:1], v7, v4, s[0:1]
	v_cndmask_b32_e32 v4, v4, v5, vcc
	v_cndmask_b32_e32 v3, v3, v6, vcc
	global_load_dwordx2 v[28:29], v[3:4], off
	v_lshlrev_b64 v[3:4], 3, v[1:2]
	v_mov_b32_e32 v5, s25
	v_add_co_u32_e32 v6, vcc, s19, v3
	v_addc_co_u32_e32 v5, vcc, v5, v4, vcc
	v_subrev_co_u32_e32 v3, vcc, s11, v1
	v_mov_b32_e32 v4, v2
	v_lshlrev_b64 v[2:3], 3, v[3:4]
	v_mov_b32_e32 v4, s26
	v_add_co_u32_e64 v2, s[0:1], s9, v2
	v_addc_co_u32_e64 v3, s[0:1], v4, v3, s[0:1]
	v_cndmask_b32_e32 v3, v3, v5, vcc
	v_cndmask_b32_e32 v2, v2, v6, vcc
	global_load_dwordx2 v[30:31], v[2:3], off
	v_add_u32_e32 v1, v1, v39
	s_mov_b64 s[0:1], -1
	s_sub_i32 s8, s27, s8
	s_cbranch_execz .LBB1023_4
	s_branch .LBB1023_19
.LBB1023_3:
	s_mov_b64 s[0:1], 0
                                        ; implicit-def: $vgpr1
                                        ; implicit-def: $vgpr30_vgpr31
                                        ; implicit-def: $vgpr28_vgpr29
                                        ; implicit-def: $vgpr24_vgpr25
                                        ; implicit-def: $vgpr20_vgpr21
                                        ; implicit-def: $vgpr26_vgpr27
                                        ; implicit-def: $vgpr22_vgpr23
                                        ; implicit-def: $vgpr18_vgpr19
	s_sub_i32 s8, s27, s8
.LBB1023_4:
	s_add_i32 s22, s8, s11
	v_cmp_gt_u32_e32 vcc, s22, v0
                                        ; implicit-def: $vgpr18_vgpr19
	s_and_saveexec_b64 s[6:7], vcc
	s_cbranch_execz .LBB1023_6
; %bb.5:
	v_mov_b32_e32 v1, s25
	v_add_co_u32_e32 v3, vcc, s19, v38
	v_addc_co_u32_e32 v4, vcc, 0, v1, vcc
	v_subrev_co_u32_e32 v1, vcc, s11, v0
	v_mov_b32_e32 v2, 0
	v_lshlrev_b64 v[1:2], 3, v[1:2]
	v_mov_b32_e32 v5, s26
	v_add_co_u32_e64 v1, s[0:1], s9, v1
	v_addc_co_u32_e64 v2, s[0:1], v5, v2, s[0:1]
	v_cndmask_b32_e32 v2, v2, v4, vcc
	v_cndmask_b32_e32 v1, v1, v3, vcc
	global_load_dwordx2 v[18:19], v[1:2], off
.LBB1023_6:
	s_or_b64 exec, exec, s[6:7]
	v_cmp_gt_u32_e32 vcc, s22, v34
	s_and_saveexec_b64 s[6:7], vcc
                                        ; implicit-def: $vgpr20_vgpr21
	s_cbranch_execz .LBB1023_8
; %bb.7:
	v_mov_b32_e32 v35, 0
	v_lshlrev_b64 v[1:2], 3, v[34:35]
	v_mov_b32_e32 v3, s25
	v_add_co_u32_e32 v4, vcc, s19, v1
	v_addc_co_u32_e32 v3, vcc, v3, v2, vcc
	v_subrev_co_u32_e32 v1, vcc, s11, v34
	v_mov_b32_e32 v2, v35
	v_lshlrev_b64 v[1:2], 3, v[1:2]
	v_mov_b32_e32 v5, s26
	v_add_co_u32_e64 v1, s[0:1], s9, v1
	v_addc_co_u32_e64 v2, s[0:1], v5, v2, s[0:1]
	v_cndmask_b32_e32 v2, v2, v3, vcc
	v_cndmask_b32_e32 v1, v1, v4, vcc
	global_load_dwordx2 v[20:21], v[1:2], off
.LBB1023_8:
	s_or_b64 exec, exec, s[6:7]
	v_cmp_gt_u32_e32 vcc, s22, v32
                                        ; implicit-def: $vgpr22_vgpr23
	s_and_saveexec_b64 s[6:7], vcc
	s_cbranch_execz .LBB1023_10
; %bb.9:
	v_mov_b32_e32 v33, 0
	v_lshlrev_b64 v[1:2], 3, v[32:33]
	v_mov_b32_e32 v3, s25
	v_add_co_u32_e32 v4, vcc, s19, v1
	v_addc_co_u32_e32 v3, vcc, v3, v2, vcc
	v_subrev_co_u32_e32 v1, vcc, s11, v32
	v_mov_b32_e32 v2, v33
	v_lshlrev_b64 v[1:2], 3, v[1:2]
	v_mov_b32_e32 v5, s26
	v_add_co_u32_e64 v1, s[0:1], s9, v1
	v_addc_co_u32_e64 v2, s[0:1], v5, v2, s[0:1]
	v_cndmask_b32_e32 v2, v2, v3, vcc
	v_cndmask_b32_e32 v1, v1, v4, vcc
	global_load_dwordx2 v[22:23], v[1:2], off
.LBB1023_10:
	s_or_b64 exec, exec, s[6:7]
	v_add_u32_e32 v1, v32, v39
	v_cmp_gt_u32_e32 vcc, s22, v1
	s_and_saveexec_b64 s[6:7], vcc
                                        ; implicit-def: $vgpr24_vgpr25
	s_cbranch_execz .LBB1023_12
; %bb.11:
	v_mov_b32_e32 v2, 0
	v_lshlrev_b64 v[3:4], 3, v[1:2]
	v_mov_b32_e32 v5, s25
	v_add_co_u32_e32 v6, vcc, s19, v3
	v_addc_co_u32_e32 v5, vcc, v5, v4, vcc
	v_subrev_co_u32_e32 v3, vcc, s11, v1
	v_mov_b32_e32 v4, v2
	v_lshlrev_b64 v[2:3], 3, v[3:4]
	v_mov_b32_e32 v4, s26
	v_add_co_u32_e64 v2, s[0:1], s9, v2
	v_addc_co_u32_e64 v3, s[0:1], v4, v3, s[0:1]
	v_cndmask_b32_e32 v3, v3, v5, vcc
	v_cndmask_b32_e32 v2, v2, v6, vcc
	global_load_dwordx2 v[24:25], v[2:3], off
.LBB1023_12:
	s_or_b64 exec, exec, s[6:7]
	v_add_u32_e32 v1, v1, v39
	v_cmp_gt_u32_e32 vcc, s22, v1
                                        ; implicit-def: $vgpr26_vgpr27
	s_and_saveexec_b64 s[6:7], vcc
	s_cbranch_execz .LBB1023_14
; %bb.13:
	v_mov_b32_e32 v2, 0
	v_lshlrev_b64 v[3:4], 3, v[1:2]
	v_mov_b32_e32 v5, s25
	v_add_co_u32_e32 v6, vcc, s19, v3
	v_addc_co_u32_e32 v5, vcc, v5, v4, vcc
	v_subrev_co_u32_e32 v3, vcc, s11, v1
	v_mov_b32_e32 v4, v2
	v_lshlrev_b64 v[2:3], 3, v[3:4]
	v_mov_b32_e32 v4, s26
	v_add_co_u32_e64 v2, s[0:1], s9, v2
	v_addc_co_u32_e64 v3, s[0:1], v4, v3, s[0:1]
	v_cndmask_b32_e32 v3, v3, v5, vcc
	v_cndmask_b32_e32 v2, v2, v6, vcc
	global_load_dwordx2 v[26:27], v[2:3], off
.LBB1023_14:
	s_or_b64 exec, exec, s[6:7]
	v_add_u32_e32 v1, v1, v39
	v_cmp_gt_u32_e32 vcc, s22, v1
	s_and_saveexec_b64 s[6:7], vcc
                                        ; implicit-def: $vgpr28_vgpr29
	s_cbranch_execz .LBB1023_16
; %bb.15:
	v_mov_b32_e32 v2, 0
	v_lshlrev_b64 v[3:4], 3, v[1:2]
	v_mov_b32_e32 v5, s25
	v_add_co_u32_e32 v6, vcc, s19, v3
	v_addc_co_u32_e32 v5, vcc, v5, v4, vcc
	v_subrev_co_u32_e32 v3, vcc, s11, v1
	v_mov_b32_e32 v4, v2
	v_lshlrev_b64 v[2:3], 3, v[3:4]
	v_mov_b32_e32 v4, s26
	v_add_co_u32_e64 v2, s[0:1], s9, v2
	v_addc_co_u32_e64 v3, s[0:1], v4, v3, s[0:1]
	v_cndmask_b32_e32 v3, v3, v5, vcc
	v_cndmask_b32_e32 v2, v2, v6, vcc
	global_load_dwordx2 v[28:29], v[2:3], off
.LBB1023_16:
	s_or_b64 exec, exec, s[6:7]
	v_add_u32_e32 v1, v1, v39
	v_cmp_gt_u32_e32 vcc, s22, v1
                                        ; implicit-def: $vgpr30_vgpr31
	s_and_saveexec_b64 s[6:7], vcc
	s_cbranch_execz .LBB1023_18
; %bb.17:
	v_mov_b32_e32 v2, 0
	v_lshlrev_b64 v[3:4], 3, v[1:2]
	v_mov_b32_e32 v5, s25
	v_add_co_u32_e32 v6, vcc, s19, v3
	v_addc_co_u32_e32 v5, vcc, v5, v4, vcc
	v_subrev_co_u32_e32 v3, vcc, s11, v1
	v_mov_b32_e32 v4, v2
	v_lshlrev_b64 v[2:3], 3, v[3:4]
	v_mov_b32_e32 v4, s26
	v_add_co_u32_e64 v2, s[0:1], s9, v2
	v_addc_co_u32_e64 v3, s[0:1], v4, v3, s[0:1]
	v_cndmask_b32_e32 v3, v3, v5, vcc
	v_cndmask_b32_e32 v2, v2, v6, vcc
	global_load_dwordx2 v[30:31], v[2:3], off
.LBB1023_18:
	s_or_b64 exec, exec, s[6:7]
	v_add_u32_e32 v1, v1, v39
	v_cmp_gt_u32_e64 s[0:1], s22, v1
.LBB1023_19:
	s_and_saveexec_b64 s[6:7], s[0:1]
                                        ; implicit-def: $vgpr36_vgpr37
	s_cbranch_execz .LBB1023_21
; %bb.20:
	v_mov_b32_e32 v2, 0
	v_lshlrev_b64 v[3:4], 3, v[1:2]
	v_mov_b32_e32 v5, s25
	v_add_co_u32_e32 v3, vcc, s19, v3
	v_addc_co_u32_e32 v4, vcc, v5, v4, vcc
	v_subrev_co_u32_e32 v1, vcc, s11, v1
	v_lshlrev_b64 v[1:2], 3, v[1:2]
	v_mov_b32_e32 v5, s26
	v_add_co_u32_e64 v1, s[0:1], s9, v1
	v_addc_co_u32_e64 v2, s[0:1], v5, v2, s[0:1]
	v_cndmask_b32_e32 v2, v2, v4, vcc
	v_cndmask_b32_e32 v1, v1, v3, vcc
	global_load_dwordx2 v[36:37], v[1:2], off
.LBB1023_21:
	s_or_b64 exec, exec, s[6:7]
	s_add_u32 s6, s14, s2
	s_addc_u32 s7, s15, s3
	s_add_u32 s4, s14, s4
	v_mov_b32_e32 v16, 0
	s_addc_u32 s5, s15, s5
	s_andn2_b64 vcc, exec, s[20:21]
	s_waitcnt vmcnt(0)
	ds_write2st64_b64 v38, v[18:19], v[20:21] offset1:2
	ds_write2st64_b64 v38, v[22:23], v[24:25] offset0:4 offset1:6
	ds_write2st64_b64 v38, v[26:27], v[28:29] offset0:8 offset1:10
	;; [unrolled: 1-line block ×3, first 2 shown]
	s_cbranch_vccnz .LBB1023_23
; %bb.22:
	v_mov_b32_e32 v1, s7
	v_add_co_u32_e32 v3, vcc, s6, v38
	v_addc_co_u32_e32 v4, vcc, 0, v1, vcc
	v_subrev_co_u32_e32 v15, vcc, s11, v0
	v_lshlrev_b64 v[1:2], 3, v[15:16]
	v_mov_b32_e32 v5, s5
	v_add_co_u32_e64 v1, s[0:1], s4, v1
	v_addc_co_u32_e64 v2, s[0:1], v5, v2, s[0:1]
	v_mov_b32_e32 v35, v16
	v_cndmask_b32_e32 v2, v2, v4, vcc
	v_cndmask_b32_e32 v1, v1, v3, vcc
	v_lshlrev_b64 v[3:4], 3, v[34:35]
	v_mov_b32_e32 v5, s7
	v_add_co_u32_e32 v6, vcc, s6, v3
	v_addc_co_u32_e32 v5, vcc, v5, v4, vcc
	v_subrev_co_u32_e32 v15, vcc, s11, v34
	v_lshlrev_b64 v[3:4], 3, v[15:16]
	v_mov_b32_e32 v7, s5
	v_add_co_u32_e64 v3, s[0:1], s4, v3
	v_addc_co_u32_e64 v4, s[0:1], v7, v4, s[0:1]
	v_mov_b32_e32 v33, v16
	v_cndmask_b32_e32 v4, v4, v5, vcc
	v_cndmask_b32_e32 v3, v3, v6, vcc
	v_lshlrev_b64 v[5:6], 3, v[32:33]
	v_mov_b32_e32 v7, s7
	v_add_co_u32_e32 v8, vcc, s6, v5
	v_addc_co_u32_e32 v7, vcc, v7, v6, vcc
	v_subrev_co_u32_e32 v15, vcc, s11, v32
	v_lshlrev_b64 v[5:6], 3, v[15:16]
	v_mov_b32_e32 v9, s5
	v_add_co_u32_e64 v5, s[0:1], s4, v5
	v_addc_co_u32_e64 v6, s[0:1], v9, v6, s[0:1]
	v_add_u32_e32 v15, v32, v39
	v_cndmask_b32_e32 v6, v6, v7, vcc
	v_cndmask_b32_e32 v5, v5, v8, vcc
	v_lshlrev_b64 v[7:8], 3, v[15:16]
	v_mov_b32_e32 v9, s7
	v_add_co_u32_e32 v10, vcc, s6, v7
	v_addc_co_u32_e32 v9, vcc, v9, v8, vcc
	v_subrev_co_u32_e32 v7, vcc, s11, v15
	v_mov_b32_e32 v8, v16
	v_lshlrev_b64 v[7:8], 3, v[7:8]
	v_mov_b32_e32 v11, s5
	v_add_co_u32_e64 v7, s[0:1], s4, v7
	v_addc_co_u32_e64 v8, s[0:1], v11, v8, s[0:1]
	v_add_u32_e32 v15, v15, v39
	v_cndmask_b32_e32 v8, v8, v9, vcc
	v_cndmask_b32_e32 v7, v7, v10, vcc
	v_lshlrev_b64 v[9:10], 3, v[15:16]
	v_mov_b32_e32 v11, s7
	v_add_co_u32_e32 v12, vcc, s6, v9
	v_addc_co_u32_e32 v11, vcc, v11, v10, vcc
	v_subrev_co_u32_e32 v9, vcc, s11, v15
	v_mov_b32_e32 v10, v16
	;; [unrolled: 13-line block ×4, first 2 shown]
	v_lshlrev_b64 v[13:14], 3, v[13:14]
	v_add_u32_e32 v15, v15, v39
	v_mov_b32_e32 v35, s5
	v_add_co_u32_e64 v13, s[0:1], s4, v13
	v_lshlrev_b64 v[40:41], 3, v[15:16]
	v_addc_co_u32_e64 v14, s[0:1], v35, v14, s[0:1]
	v_cndmask_b32_e32 v14, v14, v17, vcc
	v_cndmask_b32_e32 v13, v13, v33, vcc
	v_mov_b32_e32 v17, s7
	v_add_co_u32_e32 v33, vcc, s6, v40
	v_addc_co_u32_e32 v17, vcc, v17, v41, vcc
	v_subrev_co_u32_e32 v15, vcc, s11, v15
	v_lshlrev_b64 v[15:16], 3, v[15:16]
	global_load_dwordx2 v[1:2], v[1:2], off
	v_add_co_u32_e64 v15, s[0:1], s4, v15
	v_addc_co_u32_e64 v16, s[0:1], v35, v16, s[0:1]
	v_cndmask_b32_e32 v16, v16, v17, vcc
	v_cndmask_b32_e32 v15, v15, v33, vcc
	global_load_dwordx2 v[3:4], v[3:4], off
	s_add_i32 s19, s8, s11
	global_load_dwordx2 v[5:6], v[5:6], off
	s_nop 0
	global_load_dwordx2 v[7:8], v[7:8], off
	s_nop 0
	;; [unrolled: 2-line block ×5, first 2 shown]
	global_load_dwordx2 v[15:16], v[15:16], off
	s_cbranch_execz .LBB1023_24
	s_branch .LBB1023_39
.LBB1023_23:
                                        ; implicit-def: $vgpr1_vgpr2_vgpr3_vgpr4_vgpr5_vgpr6_vgpr7_vgpr8_vgpr9_vgpr10_vgpr11_vgpr12_vgpr13_vgpr14_vgpr15_vgpr16
                                        ; implicit-def: $sgpr19
.LBB1023_24:
	s_add_i32 s19, s8, s11
	s_waitcnt vmcnt(7)
	v_mov_b32_e32 v1, 0
	v_cmp_gt_u32_e32 vcc, s19, v0
	v_mov_b32_e32 v2, v1
	s_waitcnt vmcnt(6)
	v_mov_b32_e32 v3, v1
	v_mov_b32_e32 v4, v1
	s_waitcnt vmcnt(5)
	v_mov_b32_e32 v5, v1
	v_mov_b32_e32 v6, v1
	s_waitcnt vmcnt(4)
	v_mov_b32_e32 v7, v1
	v_mov_b32_e32 v8, v1
	s_waitcnt vmcnt(3)
	v_mov_b32_e32 v9, v1
	v_mov_b32_e32 v10, v1
	s_waitcnt vmcnt(2)
	v_mov_b32_e32 v11, v1
	v_mov_b32_e32 v12, v1
	s_waitcnt vmcnt(1)
	v_mov_b32_e32 v13, v1
	v_mov_b32_e32 v14, v1
	s_waitcnt vmcnt(0)
	v_mov_b32_e32 v15, v1
	v_mov_b32_e32 v16, v1
	s_and_saveexec_b64 s[2:3], vcc
	s_cbranch_execz .LBB1023_51
; %bb.25:
	v_mov_b32_e32 v2, s7
	v_add_co_u32_e32 v4, vcc, s6, v38
	v_addc_co_u32_e32 v5, vcc, 0, v2, vcc
	v_subrev_co_u32_e32 v2, vcc, s11, v0
	v_mov_b32_e32 v3, v1
	v_lshlrev_b64 v[2:3], 3, v[2:3]
	v_mov_b32_e32 v6, s5
	v_add_co_u32_e64 v2, s[0:1], s4, v2
	v_addc_co_u32_e64 v3, s[0:1], v6, v3, s[0:1]
	v_cndmask_b32_e32 v3, v3, v5, vcc
	v_cndmask_b32_e32 v2, v2, v4, vcc
	global_load_dwordx2 v[2:3], v[2:3], off
	v_mov_b32_e32 v4, v1
	v_mov_b32_e32 v5, v1
	;; [unrolled: 1-line block ×14, first 2 shown]
	s_waitcnt vmcnt(0)
	v_mov_b32_e32 v1, v2
	v_mov_b32_e32 v2, v3
	;; [unrolled: 1-line block ×16, first 2 shown]
	s_or_b64 exec, exec, s[2:3]
	v_cmp_gt_u32_e32 vcc, s19, v34
	s_and_saveexec_b64 s[2:3], vcc
	s_cbranch_execnz .LBB1023_52
.LBB1023_26:
	s_or_b64 exec, exec, s[2:3]
	v_cmp_gt_u32_e32 vcc, s19, v32
	s_and_saveexec_b64 s[2:3], vcc
	s_cbranch_execz .LBB1023_28
.LBB1023_27:
	v_mov_b32_e32 v33, 0
	v_lshlrev_b64 v[5:6], 3, v[32:33]
	v_mov_b32_e32 v17, s7
	v_add_co_u32_e32 v34, vcc, s6, v5
	v_addc_co_u32_e32 v17, vcc, v17, v6, vcc
	v_subrev_co_u32_e32 v5, vcc, s11, v32
	v_mov_b32_e32 v6, v33
	v_lshlrev_b64 v[5:6], 3, v[5:6]
	v_mov_b32_e32 v33, s5
	v_add_co_u32_e64 v5, s[0:1], s4, v5
	v_addc_co_u32_e64 v6, s[0:1], v33, v6, s[0:1]
	v_cndmask_b32_e32 v6, v6, v17, vcc
	v_cndmask_b32_e32 v5, v5, v34, vcc
	global_load_dwordx2 v[5:6], v[5:6], off
.LBB1023_28:
	s_or_b64 exec, exec, s[2:3]
	v_add_u32_e32 v32, v32, v39
	v_cmp_gt_u32_e32 vcc, s19, v32
	s_and_saveexec_b64 s[2:3], vcc
	s_cbranch_execz .LBB1023_30
; %bb.29:
	v_mov_b32_e32 v33, 0
	v_lshlrev_b64 v[7:8], 3, v[32:33]
	v_mov_b32_e32 v17, s7
	v_add_co_u32_e32 v34, vcc, s6, v7
	v_addc_co_u32_e32 v17, vcc, v17, v8, vcc
	v_subrev_co_u32_e32 v7, vcc, s11, v32
	v_mov_b32_e32 v8, v33
	v_lshlrev_b64 v[7:8], 3, v[7:8]
	v_mov_b32_e32 v33, s5
	v_add_co_u32_e64 v7, s[0:1], s4, v7
	v_addc_co_u32_e64 v8, s[0:1], v33, v8, s[0:1]
	v_cndmask_b32_e32 v8, v8, v17, vcc
	v_cndmask_b32_e32 v7, v7, v34, vcc
	global_load_dwordx2 v[7:8], v[7:8], off
.LBB1023_30:
	s_or_b64 exec, exec, s[2:3]
	v_add_u32_e32 v32, v32, v39
	v_cmp_gt_u32_e32 vcc, s19, v32
	s_and_saveexec_b64 s[2:3], vcc
	s_cbranch_execz .LBB1023_32
; %bb.31:
	v_mov_b32_e32 v33, 0
	v_lshlrev_b64 v[9:10], 3, v[32:33]
	v_mov_b32_e32 v17, s7
	v_add_co_u32_e32 v34, vcc, s6, v9
	v_addc_co_u32_e32 v17, vcc, v17, v10, vcc
	v_subrev_co_u32_e32 v9, vcc, s11, v32
	v_mov_b32_e32 v10, v33
	v_lshlrev_b64 v[9:10], 3, v[9:10]
	v_mov_b32_e32 v33, s5
	v_add_co_u32_e64 v9, s[0:1], s4, v9
	v_addc_co_u32_e64 v10, s[0:1], v33, v10, s[0:1]
	v_cndmask_b32_e32 v10, v10, v17, vcc
	v_cndmask_b32_e32 v9, v9, v34, vcc
	global_load_dwordx2 v[9:10], v[9:10], off
.LBB1023_32:
	;; [unrolled: 21-line block ×4, first 2 shown]
	s_or_b64 exec, exec, s[2:3]
	v_add_u32_e32 v32, v32, v39
	v_cmp_gt_u32_e32 vcc, s19, v32
	s_and_saveexec_b64 s[2:3], vcc
	s_cbranch_execz .LBB1023_38
; %bb.37:
	v_mov_b32_e32 v33, 0
	v_lshlrev_b64 v[15:16], 3, v[32:33]
	v_mov_b32_e32 v17, s7
	v_add_co_u32_e32 v34, vcc, s6, v15
	v_addc_co_u32_e32 v17, vcc, v17, v16, vcc
	v_subrev_co_u32_e32 v32, vcc, s11, v32
	v_lshlrev_b64 v[15:16], 3, v[32:33]
	v_mov_b32_e32 v32, s5
	v_add_co_u32_e64 v15, s[0:1], s4, v15
	v_addc_co_u32_e64 v16, s[0:1], v32, v16, s[0:1]
	v_cndmask_b32_e32 v16, v16, v17, vcc
	v_cndmask_b32_e32 v15, v15, v34, vcc
	global_load_dwordx2 v[15:16], v[15:16], off
.LBB1023_38:
	s_or_b64 exec, exec, s[2:3]
.LBB1023_39:
	v_min_u32_e32 v17, s19, v38
	v_sub_u32_e64 v40, v17, s8 clamp
	v_min_u32_e32 v32, s11, v17
	v_cmp_lt_u32_e32 vcc, v40, v32
	s_waitcnt vmcnt(0) lgkmcnt(0)
	s_barrier
	s_and_saveexec_b64 s[0:1], vcc
	s_cbranch_execz .LBB1023_43
; %bb.40:
	v_lshlrev_b32_e32 v33, 3, v17
	v_lshl_add_u32 v33, s11, 3, v33
	s_mov_b64 s[2:3], 0
.LBB1023_41:                            ; =>This Inner Loop Header: Depth=1
	v_add_u32_e32 v34, v32, v40
	v_lshrrev_b32_e32 v39, 1, v34
	v_not_b32_e32 v34, v39
	v_lshlrev_b32_e32 v35, 3, v39
	v_lshl_add_u32 v41, v34, 3, v33
	ds_read_b64 v[34:35], v35
	ds_read_b64 v[41:42], v41
	v_add_u32_e32 v43, 1, v39
	s_waitcnt lgkmcnt(0)
	v_cmp_gt_i64_e32 vcc, v[34:35], v[41:42]
	v_cndmask_b32_e32 v32, v32, v39, vcc
	v_cndmask_b32_e32 v40, v43, v40, vcc
	v_cmp_ge_u32_e32 vcc, v40, v32
	s_or_b64 s[2:3], vcc, s[2:3]
	s_andn2_b64 exec, exec, s[2:3]
	s_cbranch_execnz .LBB1023_41
; %bb.42:
	s_or_b64 exec, exec, s[2:3]
.LBB1023_43:
	s_or_b64 exec, exec, s[0:1]
	v_sub_u32_e32 v17, v17, v40
	v_add_u32_e32 v43, s11, v17
	v_cmp_ge_u32_e32 vcc, s11, v40
	v_cmp_ge_u32_e64 s[0:1], s19, v43
	s_or_b64 s[0:1], vcc, s[0:1]
	v_mov_b32_e32 v32, 0
	v_mov_b32_e32 v33, 0
	v_mov_b32_e32 v34, 0
	v_mov_b32_e32 v35, 0
	v_mov_b32_e32 v17, 0
	v_mov_b32_e32 v39, 0
	v_mov_b32_e32 v41, 0
	v_mov_b32_e32 v42, 0
	s_and_saveexec_b64 s[14:15], s[0:1]
	s_cbranch_execz .LBB1023_49
; %bb.44:
	v_cmp_gt_u32_e32 vcc, s11, v40
                                        ; implicit-def: $vgpr17_vgpr18
	s_and_saveexec_b64 s[0:1], vcc
; %bb.45:
	v_lshlrev_b32_e32 v17, 3, v40
	ds_read_b64 v[17:18], v17
; %bb.46:
	s_or_b64 exec, exec, s[0:1]
	v_cmp_le_u32_e64 s[0:1], s19, v43
	v_cmp_gt_u32_e64 s[2:3], s19, v43
                                        ; implicit-def: $vgpr20_vgpr21
	s_and_saveexec_b64 s[4:5], s[2:3]
; %bb.47:
	v_lshlrev_b32_e32 v19, 3, v43
	ds_read_b64 v[20:21], v19
; %bb.48:
	s_or_b64 exec, exec, s[4:5]
	s_waitcnt lgkmcnt(0)
	v_cmp_le_i64_e64 s[2:3], v[17:18], v[20:21]
	v_mov_b32_e32 v49, s19
	s_and_b64 s[2:3], vcc, s[2:3]
	s_or_b64 vcc, s[0:1], s[2:3]
	v_mov_b32_e32 v50, s11
	v_cndmask_b32_e32 v32, v43, v40, vcc
	v_cndmask_b32_e32 v19, v49, v50, vcc
	v_add_u32_e32 v26, 1, v32
	v_add_u32_e32 v19, -1, v19
	v_min_u32_e32 v19, v26, v19
	v_lshlrev_b32_e32 v19, 3, v19
	ds_read_b64 v[22:23], v19
	v_cndmask_b32_e32 v30, v40, v26, vcc
	v_cndmask_b32_e32 v19, v26, v43, vcc
	v_cmp_gt_u32_e64 s[4:5], s11, v30
	v_cmp_le_u32_e64 s[0:1], s19, v19
	s_waitcnt lgkmcnt(0)
	v_cndmask_b32_e32 v25, v23, v21, vcc
	v_cndmask_b32_e32 v24, v22, v20, vcc
	v_cndmask_b32_e32 v23, v18, v23, vcc
	v_cndmask_b32_e32 v22, v17, v22, vcc
	v_cmp_le_i64_e64 s[2:3], v[22:23], v[24:25]
	s_and_b64 s[2:3], s[4:5], s[2:3]
	s_or_b64 s[0:1], s[0:1], s[2:3]
	v_cndmask_b32_e64 v33, v19, v30, s[0:1]
	v_cndmask_b32_e64 v26, v49, v50, s[0:1]
	v_add_u32_e32 v31, 1, v33
	v_add_u32_e32 v26, -1, v26
	v_min_u32_e32 v26, v31, v26
	v_lshlrev_b32_e32 v26, 3, v26
	ds_read_b64 v[26:27], v26
	v_cndmask_b32_e64 v35, v30, v31, s[0:1]
	v_cndmask_b32_e64 v19, v31, v19, s[0:1]
	v_cmp_gt_u32_e64 s[6:7], s11, v35
	v_cmp_le_u32_e64 s[2:3], s19, v19
	s_waitcnt lgkmcnt(0)
	v_cndmask_b32_e64 v29, v27, v25, s[0:1]
	v_cndmask_b32_e64 v28, v26, v24, s[0:1]
	;; [unrolled: 1-line block ×4, first 2 shown]
	v_cmp_le_i64_e64 s[4:5], v[26:27], v[28:29]
	s_and_b64 s[4:5], s[6:7], s[4:5]
	s_or_b64 s[2:3], s[2:3], s[4:5]
	v_cndmask_b32_e64 v34, v19, v35, s[2:3]
	v_cndmask_b32_e64 v30, v49, v50, s[2:3]
	v_add_u32_e32 v39, 1, v34
	v_add_u32_e32 v30, -1, v30
	v_min_u32_e32 v30, v39, v30
	v_lshlrev_b32_e32 v30, 3, v30
	ds_read_b64 v[30:31], v30
	v_cndmask_b32_e64 v46, v35, v39, s[2:3]
	v_cndmask_b32_e64 v45, v39, v19, s[2:3]
	v_cmp_gt_u32_e64 s[8:9], s11, v46
	v_cmp_le_u32_e64 s[4:5], s19, v45
	s_waitcnt lgkmcnt(0)
	v_cndmask_b32_e64 v37, v31, v29, s[2:3]
	v_cndmask_b32_e64 v36, v30, v28, s[2:3]
	;; [unrolled: 1-line block ×4, first 2 shown]
	v_cmp_le_i64_e64 s[6:7], v[30:31], v[36:37]
	s_and_b64 s[6:7], s[8:9], s[6:7]
	s_or_b64 s[4:5], s[4:5], s[6:7]
	v_cndmask_b32_e64 v35, v45, v46, s[4:5]
	v_cndmask_b32_e64 v19, v49, v50, s[4:5]
	v_add_u32_e32 v47, 1, v35
	v_add_u32_e32 v19, -1, v19
	v_min_u32_e32 v19, v47, v19
	v_lshlrev_b32_e32 v19, 3, v19
	ds_read_b64 v[39:40], v19
	v_cndmask_b32_e64 v48, v47, v45, s[4:5]
	v_cndmask_b32_e64 v47, v46, v47, s[4:5]
	v_cmp_gt_u32_e64 s[8:9], s11, v47
	v_cndmask_b32_e32 v19, v21, v18, vcc
	s_waitcnt lgkmcnt(0)
	v_cndmask_b32_e64 v42, v40, v37, s[4:5]
	v_cndmask_b32_e64 v41, v39, v36, s[4:5]
	;; [unrolled: 1-line block ×4, first 2 shown]
	v_cmp_le_i64_e64 s[6:7], v[43:44], v[41:42]
	v_cndmask_b32_e32 v18, v20, v17, vcc
	v_cmp_le_u32_e32 vcc, s19, v48
	s_and_b64 s[6:7], s[8:9], s[6:7]
	s_or_b64 vcc, vcc, s[6:7]
	v_cndmask_b32_e32 v17, v48, v47, vcc
	v_cndmask_b32_e32 v20, v49, v50, vcc
	v_add_u32_e32 v51, 1, v17
	v_add_u32_e32 v20, -1, v20
	v_min_u32_e32 v20, v51, v20
	v_lshlrev_b32_e32 v20, 3, v20
	ds_read_b64 v[39:40], v20
	v_cndmask_b32_e64 v21, v25, v23, s[0:1]
	v_cndmask_b32_e64 v20, v24, v22, s[0:1]
	;; [unrolled: 1-line block ×4, first 2 shown]
	s_waitcnt lgkmcnt(0)
	v_cndmask_b32_e32 v29, v40, v42, vcc
	v_cndmask_b32_e32 v28, v39, v41, vcc
	;; [unrolled: 1-line block ×6, first 2 shown]
	v_cmp_le_i64_e64 s[2:3], v[45:46], v[28:29]
	v_cmp_gt_u32_e64 s[6:7], s11, v51
	v_cmp_le_u32_e64 s[0:1], s19, v40
	s_and_b64 s[2:3], s[6:7], s[2:3]
	s_or_b64 s[0:1], s[0:1], s[2:3]
	v_cndmask_b32_e64 v39, v40, v51, s[0:1]
	v_cndmask_b32_e64 v24, v49, v50, s[0:1]
	v_add_u32_e32 v52, 1, v39
	v_add_u32_e32 v24, -1, v24
	v_min_u32_e32 v24, v52, v24
	v_lshlrev_b32_e32 v24, 3, v24
	ds_read_b64 v[47:48], v24
	v_cndmask_b32_e64 v25, v37, v31, s[4:5]
	v_cndmask_b32_e64 v24, v36, v30, s[4:5]
	v_cndmask_b32_e32 v27, v42, v44, vcc
	v_cndmask_b32_e32 v26, v41, v43, vcc
	s_waitcnt lgkmcnt(0)
	v_cndmask_b32_e64 v37, v48, v29, s[0:1]
	v_cndmask_b32_e64 v36, v47, v28, s[0:1]
	;; [unrolled: 1-line block ×5, first 2 shown]
	v_cmp_le_i64_e64 s[2:3], v[42:43], v[36:37]
	v_cndmask_b32_e64 v40, v52, v40, s[0:1]
	v_cmp_gt_u32_e64 s[4:5], s11, v51
	v_cmp_le_u32_e32 vcc, s19, v40
	s_and_b64 s[2:3], s[4:5], s[2:3]
	s_or_b64 vcc, vcc, s[2:3]
	v_cndmask_b32_e32 v41, v40, v51, vcc
	v_cndmask_b32_e32 v30, v49, v50, vcc
	v_add_u32_e32 v49, 1, v41
	v_add_u32_e32 v30, -1, v30
	v_min_u32_e32 v30, v49, v30
	v_lshlrev_b32_e32 v30, 3, v30
	ds_read_b64 v[47:48], v30
	v_cndmask_b32_e32 v31, v37, v43, vcc
	v_cndmask_b32_e32 v30, v36, v42, vcc
	v_cndmask_b32_e64 v29, v29, v46, s[0:1]
	v_cndmask_b32_e64 v28, v28, v45, s[0:1]
	s_waitcnt lgkmcnt(0)
	v_cndmask_b32_e32 v37, v48, v37, vcc
	v_cndmask_b32_e32 v36, v47, v36, vcc
	;; [unrolled: 1-line block ×5, first 2 shown]
	v_cmp_le_i64_e64 s[0:1], v[43:44], v[36:37]
	v_cndmask_b32_e32 v40, v49, v40, vcc
	v_cmp_gt_u32_e64 s[2:3], s11, v42
	v_cmp_le_u32_e32 vcc, s19, v40
	s_and_b64 s[0:1], s[2:3], s[0:1]
	s_or_b64 vcc, vcc, s[0:1]
	v_cndmask_b32_e32 v42, v40, v42, vcc
	v_cndmask_b32_e32 v37, v37, v44, vcc
	;; [unrolled: 1-line block ×3, first 2 shown]
.LBB1023_49:
	s_or_b64 exec, exec, s[14:15]
	s_barrier
	ds_write2st64_b64 v38, v[1:2], v[3:4] offset1:2
	ds_write2st64_b64 v38, v[5:6], v[7:8] offset0:4 offset1:6
	ds_write2st64_b64 v38, v[9:10], v[11:12] offset0:8 offset1:10
	;; [unrolled: 1-line block ×3, first 2 shown]
	v_lshlrev_b32_e32 v1, 3, v32
	v_lshlrev_b32_e32 v2, 3, v33
	;; [unrolled: 1-line block ×3, first 2 shown]
	s_waitcnt lgkmcnt(0)
	s_barrier
	v_lshlrev_b32_e32 v4, 3, v35
	ds_read_b64 v[9:10], v1
	ds_read_b64 v[13:14], v2
	;; [unrolled: 1-line block ×4, first 2 shown]
	v_lshlrev_b32_e32 v3, 3, v17
	v_lshrrev_b32_e32 v17, 2, v0
	v_lshlrev_b32_e32 v32, 3, v38
	v_lshl_add_u32 v33, v17, 3, v32
	v_and_b32_e32 v17, 24, v17
	v_or_b32_e32 v49, 0x80, v0
	v_add_u32_e32 v34, v17, v38
	v_lshrrev_b32_e32 v17, 2, v49
	v_and_b32_e32 v17, 56, v17
	v_or_b32_e32 v48, 0x100, v0
	v_add_u32_e32 v35, v17, v38
	v_lshrrev_b32_e32 v17, 2, v48
	v_lshlrev_b32_e32 v4, 3, v39
	v_lshlrev_b32_e32 v7, 3, v41
	;; [unrolled: 1-line block ×3, first 2 shown]
	v_and_b32_e32 v17, 0x58, v17
	v_or_b32_e32 v47, 0x180, v0
	ds_read_b64 v[11:12], v3
	ds_read_b64 v[15:16], v4
	;; [unrolled: 1-line block ×4, first 2 shown]
	s_waitcnt lgkmcnt(0)
	s_barrier
	s_barrier
	ds_write2_b64 v33, v[18:19], v[20:21] offset1:1
	ds_write2_b64 v33, v[22:23], v[24:25] offset0:2 offset1:3
	ds_write2_b64 v33, v[26:27], v[28:29] offset0:4 offset1:5
	;; [unrolled: 1-line block ×3, first 2 shown]
	v_add_u32_e32 v36, v17, v38
	v_lshrrev_b32_e32 v17, 2, v47
	v_and_b32_e32 v17, 0x78, v17
	v_or_b32_e32 v46, 0x200, v0
	v_add_u32_e32 v37, v17, v38
	v_lshrrev_b32_e32 v17, 2, v46
	v_and_b32_e32 v17, 0x98, v17
	v_or_b32_e32 v45, 0x280, v0
	;; [unrolled: 4-line block ×3, first 2 shown]
	s_mov_b32 s11, 0
	v_add_u32_e32 v40, v17, v38
	v_lshrrev_b32_e32 v17, 2, v44
	s_lshl_b64 s[14:15], s[10:11], 3
	v_and_b32_e32 v17, 0xd8, v17
	v_or_b32_e32 v43, 0x380, v0
	s_add_u32 s0, s12, s14
	v_add_u32_e32 v41, v17, v38
	v_lshrrev_b32_e32 v17, 2, v43
	s_addc_u32 s1, s13, s15
	v_and_b32_e32 v17, 0xf8, v17
	v_add_u32_e32 v42, v17, v38
	v_mov_b32_e32 v18, s1
	v_add_co_u32_e32 v17, vcc, s0, v38
	v_addc_co_u32_e32 v18, vcc, 0, v18, vcc
	s_and_b64 vcc, exec, s[20:21]
	s_waitcnt lgkmcnt(0)
	s_cbranch_vccz .LBB1023_53
; %bb.50:
	s_barrier
	ds_read_b64 v[19:20], v34
	ds_read_b64 v[21:22], v35 offset:1024
	ds_read_b64 v[23:24], v36 offset:2048
	;; [unrolled: 1-line block ×7, first 2 shown]
	s_waitcnt lgkmcnt(7)
	global_store_dwordx2 v[17:18], v[19:20], off
	s_waitcnt lgkmcnt(6)
	global_store_dwordx2 v[17:18], v[21:22], off offset:1024
	s_waitcnt lgkmcnt(5)
	global_store_dwordx2 v[17:18], v[23:24], off offset:2048
	s_waitcnt lgkmcnt(4)
	global_store_dwordx2 v[17:18], v[25:26], off offset:3072
	v_add_co_u32_e32 v19, vcc, 0x1000, v17
	s_add_u32 s0, s16, s14
	v_addc_co_u32_e32 v20, vcc, 0, v18, vcc
	s_addc_u32 s1, s17, s15
	s_waitcnt lgkmcnt(3)
	global_store_dwordx2 v[19:20], v[27:28], off
	s_waitcnt lgkmcnt(2)
	global_store_dwordx2 v[19:20], v[29:30], off offset:1024
	s_waitcnt lgkmcnt(1)
	global_store_dwordx2 v[19:20], v[31:32], off offset:2048
	;; [unrolled: 2-line block ×3, first 2 shown]
	s_waitcnt vmcnt(0)
	s_barrier
	ds_write2_b64 v33, v[9:10], v[13:14] offset1:1
	ds_write2_b64 v33, v[1:2], v[5:6] offset0:2 offset1:3
	ds_write2_b64 v33, v[11:12], v[15:16] offset0:4 offset1:5
	;; [unrolled: 1-line block ×3, first 2 shown]
	s_waitcnt lgkmcnt(0)
	s_barrier
	ds_read_b64 v[21:22], v34
	ds_read_b64 v[23:24], v35 offset:1024
	ds_read_b64 v[25:26], v36 offset:2048
	;; [unrolled: 1-line block ×7, first 2 shown]
	v_mov_b32_e32 v52, s1
	v_add_co_u32_e32 v53, vcc, s0, v38
	v_addc_co_u32_e32 v52, vcc, 0, v52, vcc
	s_waitcnt lgkmcnt(7)
	global_store_dwordx2 v38, v[21:22], s[0:1]
	s_waitcnt lgkmcnt(6)
	global_store_dwordx2 v38, v[23:24], s[0:1] offset:1024
	s_waitcnt lgkmcnt(5)
	global_store_dwordx2 v38, v[25:26], s[0:1] offset:2048
	;; [unrolled: 2-line block ×3, first 2 shown]
	v_add_co_u32_e32 v21, vcc, 0x1000, v53
	v_addc_co_u32_e32 v22, vcc, 0, v52, vcc
	s_waitcnt lgkmcnt(3)
	global_store_dwordx2 v[21:22], v[29:30], off
	s_waitcnt lgkmcnt(2)
	global_store_dwordx2 v[21:22], v[31:32], off offset:1024
	s_waitcnt lgkmcnt(1)
	global_store_dwordx2 v[21:22], v[50:51], off offset:2048
	s_mov_b64 s[20:21], -1
	s_cbranch_execz .LBB1023_54
	s_branch .LBB1023_79
.LBB1023_51:
	s_or_b64 exec, exec, s[2:3]
	v_cmp_gt_u32_e32 vcc, s19, v34
	s_and_saveexec_b64 s[2:3], vcc
	s_cbranch_execz .LBB1023_26
.LBB1023_52:
	v_mov_b32_e32 v35, 0
	v_lshlrev_b64 v[3:4], 3, v[34:35]
	v_mov_b32_e32 v17, s7
	v_add_co_u32_e32 v33, vcc, s6, v3
	v_addc_co_u32_e32 v17, vcc, v17, v4, vcc
	v_subrev_co_u32_e32 v34, vcc, s11, v34
	v_lshlrev_b64 v[3:4], 3, v[34:35]
	v_mov_b32_e32 v34, s5
	v_add_co_u32_e64 v3, s[0:1], s4, v3
	v_addc_co_u32_e64 v4, s[0:1], v34, v4, s[0:1]
	v_cndmask_b32_e32 v4, v4, v17, vcc
	v_cndmask_b32_e32 v3, v3, v33, vcc
	global_load_dwordx2 v[3:4], v[3:4], off
	s_or_b64 exec, exec, s[2:3]
	v_cmp_gt_u32_e32 vcc, s19, v32
	s_and_saveexec_b64 s[2:3], vcc
	s_cbranch_execnz .LBB1023_27
	s_branch .LBB1023_28
.LBB1023_53:
	s_mov_b64 s[20:21], 0
                                        ; implicit-def: $vgpr19_vgpr20
.LBB1023_54:
	s_waitcnt vmcnt(0) lgkmcnt(0)
	s_barrier
	ds_read_b64 v[31:32], v35 offset:1024
	ds_read_b64 v[29:30], v36 offset:2048
	;; [unrolled: 1-line block ×7, first 2 shown]
	s_sub_i32 s20, s18, s10
	v_cmp_gt_u32_e64 s[0:1], s20, v0
	s_and_saveexec_b64 s[2:3], s[0:1]
	s_cbranch_execz .LBB1023_62
; %bb.55:
	ds_read_b64 v[50:51], v34
	s_waitcnt lgkmcnt(0)
	global_store_dwordx2 v[17:18], v[50:51], off
	s_or_b64 exec, exec, s[2:3]
	v_cmp_gt_u32_e64 s[2:3], s20, v49
	s_and_saveexec_b64 s[4:5], s[2:3]
	s_cbranch_execnz .LBB1023_63
.LBB1023_56:
	s_or_b64 exec, exec, s[4:5]
	v_cmp_gt_u32_e64 s[4:5], s20, v48
	s_and_saveexec_b64 s[6:7], s[4:5]
	s_cbranch_execz .LBB1023_64
.LBB1023_57:
	s_waitcnt lgkmcnt(5)
	global_store_dwordx2 v[17:18], v[29:30], off offset:2048
	s_or_b64 exec, exec, s[6:7]
	v_cmp_gt_u32_e64 s[6:7], s20, v47
	s_and_saveexec_b64 s[8:9], s[6:7]
	s_cbranch_execnz .LBB1023_65
.LBB1023_58:
	s_or_b64 exec, exec, s[8:9]
	v_cmp_gt_u32_e64 s[8:9], s20, v46
	s_and_saveexec_b64 s[10:11], s[8:9]
	s_cbranch_execz .LBB1023_66
.LBB1023_59:
	s_waitcnt lgkmcnt(4)
	v_add_co_u32_e32 v27, vcc, 0x1000, v17
	v_addc_co_u32_e32 v28, vcc, 0, v18, vcc
	s_waitcnt lgkmcnt(3)
	global_store_dwordx2 v[27:28], v[25:26], off
	s_or_b64 exec, exec, s[10:11]
	v_cmp_gt_u32_e64 s[10:11], s20, v45
	s_and_saveexec_b64 s[12:13], s[10:11]
	s_cbranch_execnz .LBB1023_67
.LBB1023_60:
	s_or_b64 exec, exec, s[12:13]
	v_cmp_gt_u32_e64 s[12:13], s20, v44
	s_and_saveexec_b64 s[18:19], s[12:13]
	s_cbranch_execz .LBB1023_68
.LBB1023_61:
	s_waitcnt lgkmcnt(2)
	v_add_co_u32_e32 v23, vcc, 0x1000, v17
	v_addc_co_u32_e32 v24, vcc, 0, v18, vcc
	s_waitcnt lgkmcnt(1)
	global_store_dwordx2 v[23:24], v[21:22], off offset:2048
	s_or_b64 exec, exec, s[18:19]
	v_cmp_gt_u32_e64 s[20:21], s20, v43
	s_and_saveexec_b64 s[18:19], s[20:21]
	s_cbranch_execnz .LBB1023_69
	s_branch .LBB1023_70
.LBB1023_62:
	s_or_b64 exec, exec, s[2:3]
	v_cmp_gt_u32_e64 s[2:3], s20, v49
	s_and_saveexec_b64 s[4:5], s[2:3]
	s_cbranch_execz .LBB1023_56
.LBB1023_63:
	s_waitcnt lgkmcnt(6)
	global_store_dwordx2 v[17:18], v[31:32], off offset:1024
	s_or_b64 exec, exec, s[4:5]
	v_cmp_gt_u32_e64 s[4:5], s20, v48
	s_and_saveexec_b64 s[6:7], s[4:5]
	s_cbranch_execnz .LBB1023_57
.LBB1023_64:
	s_or_b64 exec, exec, s[6:7]
	v_cmp_gt_u32_e64 s[6:7], s20, v47
	s_and_saveexec_b64 s[8:9], s[6:7]
	s_cbranch_execz .LBB1023_58
.LBB1023_65:
	s_waitcnt lgkmcnt(4)
	global_store_dwordx2 v[17:18], v[27:28], off offset:3072
	s_or_b64 exec, exec, s[8:9]
	v_cmp_gt_u32_e64 s[8:9], s20, v46
	s_and_saveexec_b64 s[10:11], s[8:9]
	s_cbranch_execnz .LBB1023_59
.LBB1023_66:
	s_or_b64 exec, exec, s[10:11]
	v_cmp_gt_u32_e64 s[10:11], s20, v45
	s_and_saveexec_b64 s[12:13], s[10:11]
	s_cbranch_execz .LBB1023_60
.LBB1023_67:
	s_waitcnt lgkmcnt(3)
	v_add_co_u32_e32 v25, vcc, 0x1000, v17
	v_addc_co_u32_e32 v26, vcc, 0, v18, vcc
	s_waitcnt lgkmcnt(2)
	global_store_dwordx2 v[25:26], v[23:24], off offset:1024
	s_or_b64 exec, exec, s[12:13]
	v_cmp_gt_u32_e64 s[12:13], s20, v44
	s_and_saveexec_b64 s[18:19], s[12:13]
	s_cbranch_execnz .LBB1023_61
.LBB1023_68:
	s_or_b64 exec, exec, s[18:19]
	v_cmp_gt_u32_e64 s[20:21], s20, v43
	s_and_saveexec_b64 s[18:19], s[20:21]
	s_cbranch_execz .LBB1023_70
.LBB1023_69:
	v_add_co_u32_e32 v17, vcc, 0x1000, v17
	v_addc_co_u32_e32 v18, vcc, 0, v18, vcc
	s_waitcnt lgkmcnt(0)
	global_store_dwordx2 v[17:18], v[19:20], off offset:3072
.LBB1023_70:
	s_or_b64 exec, exec, s[18:19]
	s_waitcnt vmcnt(0) lgkmcnt(0)
	s_barrier
	ds_write2_b64 v33, v[9:10], v[13:14] offset1:1
	ds_write2_b64 v33, v[1:2], v[5:6] offset0:2 offset1:3
	ds_write2_b64 v33, v[11:12], v[15:16] offset0:4 offset1:5
	;; [unrolled: 1-line block ×3, first 2 shown]
	s_waitcnt lgkmcnt(0)
	s_barrier
	ds_read_b64 v[12:13], v35 offset:1024
	ds_read_b64 v[10:11], v36 offset:2048
	;; [unrolled: 1-line block ×7, first 2 shown]
	s_add_u32 s18, s16, s14
	s_addc_u32 s19, s17, s15
	v_mov_b32_e32 v3, s19
	v_add_co_u32_e32 v2, vcc, s18, v38
	v_addc_co_u32_e32 v3, vcc, 0, v3, vcc
	s_and_saveexec_b64 s[18:19], s[0:1]
	s_cbranch_execz .LBB1023_82
; %bb.71:
	ds_read_b64 v[14:15], v34
	s_waitcnt lgkmcnt(0)
	global_store_dwordx2 v[2:3], v[14:15], off
	s_or_b64 exec, exec, s[18:19]
	s_and_saveexec_b64 s[0:1], s[2:3]
	s_cbranch_execnz .LBB1023_83
.LBB1023_72:
	s_or_b64 exec, exec, s[0:1]
	s_and_saveexec_b64 s[0:1], s[4:5]
	s_cbranch_execz .LBB1023_84
.LBB1023_73:
	s_waitcnt lgkmcnt(5)
	global_store_dwordx2 v[2:3], v[10:11], off offset:2048
	s_or_b64 exec, exec, s[0:1]
	s_and_saveexec_b64 s[0:1], s[6:7]
	s_cbranch_execnz .LBB1023_85
.LBB1023_74:
	s_or_b64 exec, exec, s[0:1]
	s_and_saveexec_b64 s[0:1], s[8:9]
	s_cbranch_execz .LBB1023_86
.LBB1023_75:
	s_waitcnt lgkmcnt(4)
	v_add_co_u32_e32 v8, vcc, 0x1000, v2
	v_addc_co_u32_e32 v9, vcc, 0, v3, vcc
	s_waitcnt lgkmcnt(3)
	global_store_dwordx2 v[8:9], v[6:7], off
	s_or_b64 exec, exec, s[0:1]
	s_and_saveexec_b64 s[0:1], s[10:11]
	s_cbranch_execnz .LBB1023_87
.LBB1023_76:
	s_or_b64 exec, exec, s[0:1]
	s_and_saveexec_b64 s[0:1], s[12:13]
	s_cbranch_execz .LBB1023_78
.LBB1023_77:
	v_add_co_u32_e32 v2, vcc, 0x1000, v2
	v_addc_co_u32_e32 v3, vcc, 0, v3, vcc
	s_waitcnt lgkmcnt(1)
	global_store_dwordx2 v[2:3], v[0:1], off offset:2048
.LBB1023_78:
	s_or_b64 exec, exec, s[0:1]
.LBB1023_79:
	s_and_saveexec_b64 s[0:1], s[20:21]
	s_cbranch_execz .LBB1023_81
; %bb.80:
	s_add_u32 s0, s16, s14
	s_addc_u32 s1, s17, s15
	s_waitcnt lgkmcnt(1)
	v_mov_b32_e32 v0, s1
	v_add_co_u32_e32 v1, vcc, s0, v38
	v_addc_co_u32_e32 v2, vcc, 0, v0, vcc
	v_add_co_u32_e32 v0, vcc, 0x1000, v1
	v_addc_co_u32_e32 v1, vcc, 0, v2, vcc
	s_waitcnt lgkmcnt(0)
	global_store_dwordx2 v[0:1], v[19:20], off offset:3072
.LBB1023_81:
	s_endpgm
.LBB1023_82:
	s_or_b64 exec, exec, s[18:19]
	s_and_saveexec_b64 s[0:1], s[2:3]
	s_cbranch_execz .LBB1023_72
.LBB1023_83:
	s_waitcnt lgkmcnt(6)
	global_store_dwordx2 v[2:3], v[12:13], off offset:1024
	s_or_b64 exec, exec, s[0:1]
	s_and_saveexec_b64 s[0:1], s[4:5]
	s_cbranch_execnz .LBB1023_73
.LBB1023_84:
	s_or_b64 exec, exec, s[0:1]
	s_and_saveexec_b64 s[0:1], s[6:7]
	s_cbranch_execz .LBB1023_74
.LBB1023_85:
	s_waitcnt lgkmcnt(4)
	global_store_dwordx2 v[2:3], v[8:9], off offset:3072
	s_or_b64 exec, exec, s[0:1]
	s_and_saveexec_b64 s[0:1], s[8:9]
	s_cbranch_execnz .LBB1023_75
.LBB1023_86:
	s_or_b64 exec, exec, s[0:1]
	s_and_saveexec_b64 s[0:1], s[10:11]
	s_cbranch_execz .LBB1023_76
.LBB1023_87:
	s_waitcnt lgkmcnt(3)
	v_add_co_u32_e32 v6, vcc, 0x1000, v2
	v_addc_co_u32_e32 v7, vcc, 0, v3, vcc
	s_waitcnt lgkmcnt(2)
	global_store_dwordx2 v[6:7], v[4:5], off offset:1024
	s_or_b64 exec, exec, s[0:1]
	s_and_saveexec_b64 s[0:1], s[12:13]
	s_cbranch_execnz .LBB1023_77
	s_branch .LBB1023_78
	.section	.rodata,"a",@progbits
	.p2align	6, 0x0
	.amdhsa_kernel _ZN7rocprim17ROCPRIM_400000_NS6detail17trampoline_kernelINS0_14default_configENS1_38merge_sort_block_merge_config_selectorIllEEZZNS1_27merge_sort_block_merge_implIS3_PlN6thrust23THRUST_200600_302600_NS10device_ptrIlEEjNS1_19radix_merge_compareILb0ELb0ElNS0_19identity_decomposerEEEEE10hipError_tT0_T1_T2_jT3_P12ihipStream_tbPNSt15iterator_traitsISG_E10value_typeEPNSM_ISH_E10value_typeEPSI_NS1_7vsmem_tEENKUlT_SG_SH_SI_E_clIS7_S7_S7_SB_EESF_SV_SG_SH_SI_EUlSV_E0_NS1_11comp_targetILNS1_3genE2ELNS1_11target_archE906ELNS1_3gpuE6ELNS1_3repE0EEENS1_38merge_mergepath_config_static_selectorELNS0_4arch9wavefront6targetE1EEEvSH_
		.amdhsa_group_segment_fixed_size 8448
		.amdhsa_private_segment_fixed_size 0
		.amdhsa_kernarg_size 320
		.amdhsa_user_sgpr_count 6
		.amdhsa_user_sgpr_private_segment_buffer 1
		.amdhsa_user_sgpr_dispatch_ptr 0
		.amdhsa_user_sgpr_queue_ptr 0
		.amdhsa_user_sgpr_kernarg_segment_ptr 1
		.amdhsa_user_sgpr_dispatch_id 0
		.amdhsa_user_sgpr_flat_scratch_init 0
		.amdhsa_user_sgpr_private_segment_size 0
		.amdhsa_uses_dynamic_stack 0
		.amdhsa_system_sgpr_private_segment_wavefront_offset 0
		.amdhsa_system_sgpr_workgroup_id_x 1
		.amdhsa_system_sgpr_workgroup_id_y 1
		.amdhsa_system_sgpr_workgroup_id_z 1
		.amdhsa_system_sgpr_workgroup_info 0
		.amdhsa_system_vgpr_workitem_id 0
		.amdhsa_next_free_vgpr 54
		.amdhsa_next_free_sgpr 98
		.amdhsa_reserve_vcc 1
		.amdhsa_reserve_flat_scratch 0
		.amdhsa_float_round_mode_32 0
		.amdhsa_float_round_mode_16_64 0
		.amdhsa_float_denorm_mode_32 3
		.amdhsa_float_denorm_mode_16_64 3
		.amdhsa_dx10_clamp 1
		.amdhsa_ieee_mode 1
		.amdhsa_fp16_overflow 0
		.amdhsa_exception_fp_ieee_invalid_op 0
		.amdhsa_exception_fp_denorm_src 0
		.amdhsa_exception_fp_ieee_div_zero 0
		.amdhsa_exception_fp_ieee_overflow 0
		.amdhsa_exception_fp_ieee_underflow 0
		.amdhsa_exception_fp_ieee_inexact 0
		.amdhsa_exception_int_div_zero 0
	.end_amdhsa_kernel
	.section	.text._ZN7rocprim17ROCPRIM_400000_NS6detail17trampoline_kernelINS0_14default_configENS1_38merge_sort_block_merge_config_selectorIllEEZZNS1_27merge_sort_block_merge_implIS3_PlN6thrust23THRUST_200600_302600_NS10device_ptrIlEEjNS1_19radix_merge_compareILb0ELb0ElNS0_19identity_decomposerEEEEE10hipError_tT0_T1_T2_jT3_P12ihipStream_tbPNSt15iterator_traitsISG_E10value_typeEPNSM_ISH_E10value_typeEPSI_NS1_7vsmem_tEENKUlT_SG_SH_SI_E_clIS7_S7_S7_SB_EESF_SV_SG_SH_SI_EUlSV_E0_NS1_11comp_targetILNS1_3genE2ELNS1_11target_archE906ELNS1_3gpuE6ELNS1_3repE0EEENS1_38merge_mergepath_config_static_selectorELNS0_4arch9wavefront6targetE1EEEvSH_,"axG",@progbits,_ZN7rocprim17ROCPRIM_400000_NS6detail17trampoline_kernelINS0_14default_configENS1_38merge_sort_block_merge_config_selectorIllEEZZNS1_27merge_sort_block_merge_implIS3_PlN6thrust23THRUST_200600_302600_NS10device_ptrIlEEjNS1_19radix_merge_compareILb0ELb0ElNS0_19identity_decomposerEEEEE10hipError_tT0_T1_T2_jT3_P12ihipStream_tbPNSt15iterator_traitsISG_E10value_typeEPNSM_ISH_E10value_typeEPSI_NS1_7vsmem_tEENKUlT_SG_SH_SI_E_clIS7_S7_S7_SB_EESF_SV_SG_SH_SI_EUlSV_E0_NS1_11comp_targetILNS1_3genE2ELNS1_11target_archE906ELNS1_3gpuE6ELNS1_3repE0EEENS1_38merge_mergepath_config_static_selectorELNS0_4arch9wavefront6targetE1EEEvSH_,comdat
.Lfunc_end1023:
	.size	_ZN7rocprim17ROCPRIM_400000_NS6detail17trampoline_kernelINS0_14default_configENS1_38merge_sort_block_merge_config_selectorIllEEZZNS1_27merge_sort_block_merge_implIS3_PlN6thrust23THRUST_200600_302600_NS10device_ptrIlEEjNS1_19radix_merge_compareILb0ELb0ElNS0_19identity_decomposerEEEEE10hipError_tT0_T1_T2_jT3_P12ihipStream_tbPNSt15iterator_traitsISG_E10value_typeEPNSM_ISH_E10value_typeEPSI_NS1_7vsmem_tEENKUlT_SG_SH_SI_E_clIS7_S7_S7_SB_EESF_SV_SG_SH_SI_EUlSV_E0_NS1_11comp_targetILNS1_3genE2ELNS1_11target_archE906ELNS1_3gpuE6ELNS1_3repE0EEENS1_38merge_mergepath_config_static_selectorELNS0_4arch9wavefront6targetE1EEEvSH_, .Lfunc_end1023-_ZN7rocprim17ROCPRIM_400000_NS6detail17trampoline_kernelINS0_14default_configENS1_38merge_sort_block_merge_config_selectorIllEEZZNS1_27merge_sort_block_merge_implIS3_PlN6thrust23THRUST_200600_302600_NS10device_ptrIlEEjNS1_19radix_merge_compareILb0ELb0ElNS0_19identity_decomposerEEEEE10hipError_tT0_T1_T2_jT3_P12ihipStream_tbPNSt15iterator_traitsISG_E10value_typeEPNSM_ISH_E10value_typeEPSI_NS1_7vsmem_tEENKUlT_SG_SH_SI_E_clIS7_S7_S7_SB_EESF_SV_SG_SH_SI_EUlSV_E0_NS1_11comp_targetILNS1_3genE2ELNS1_11target_archE906ELNS1_3gpuE6ELNS1_3repE0EEENS1_38merge_mergepath_config_static_selectorELNS0_4arch9wavefront6targetE1EEEvSH_
                                        ; -- End function
	.set _ZN7rocprim17ROCPRIM_400000_NS6detail17trampoline_kernelINS0_14default_configENS1_38merge_sort_block_merge_config_selectorIllEEZZNS1_27merge_sort_block_merge_implIS3_PlN6thrust23THRUST_200600_302600_NS10device_ptrIlEEjNS1_19radix_merge_compareILb0ELb0ElNS0_19identity_decomposerEEEEE10hipError_tT0_T1_T2_jT3_P12ihipStream_tbPNSt15iterator_traitsISG_E10value_typeEPNSM_ISH_E10value_typeEPSI_NS1_7vsmem_tEENKUlT_SG_SH_SI_E_clIS7_S7_S7_SB_EESF_SV_SG_SH_SI_EUlSV_E0_NS1_11comp_targetILNS1_3genE2ELNS1_11target_archE906ELNS1_3gpuE6ELNS1_3repE0EEENS1_38merge_mergepath_config_static_selectorELNS0_4arch9wavefront6targetE1EEEvSH_.num_vgpr, 54
	.set _ZN7rocprim17ROCPRIM_400000_NS6detail17trampoline_kernelINS0_14default_configENS1_38merge_sort_block_merge_config_selectorIllEEZZNS1_27merge_sort_block_merge_implIS3_PlN6thrust23THRUST_200600_302600_NS10device_ptrIlEEjNS1_19radix_merge_compareILb0ELb0ElNS0_19identity_decomposerEEEEE10hipError_tT0_T1_T2_jT3_P12ihipStream_tbPNSt15iterator_traitsISG_E10value_typeEPNSM_ISH_E10value_typeEPSI_NS1_7vsmem_tEENKUlT_SG_SH_SI_E_clIS7_S7_S7_SB_EESF_SV_SG_SH_SI_EUlSV_E0_NS1_11comp_targetILNS1_3genE2ELNS1_11target_archE906ELNS1_3gpuE6ELNS1_3repE0EEENS1_38merge_mergepath_config_static_selectorELNS0_4arch9wavefront6targetE1EEEvSH_.num_agpr, 0
	.set _ZN7rocprim17ROCPRIM_400000_NS6detail17trampoline_kernelINS0_14default_configENS1_38merge_sort_block_merge_config_selectorIllEEZZNS1_27merge_sort_block_merge_implIS3_PlN6thrust23THRUST_200600_302600_NS10device_ptrIlEEjNS1_19radix_merge_compareILb0ELb0ElNS0_19identity_decomposerEEEEE10hipError_tT0_T1_T2_jT3_P12ihipStream_tbPNSt15iterator_traitsISG_E10value_typeEPNSM_ISH_E10value_typeEPSI_NS1_7vsmem_tEENKUlT_SG_SH_SI_E_clIS7_S7_S7_SB_EESF_SV_SG_SH_SI_EUlSV_E0_NS1_11comp_targetILNS1_3genE2ELNS1_11target_archE906ELNS1_3gpuE6ELNS1_3repE0EEENS1_38merge_mergepath_config_static_selectorELNS0_4arch9wavefront6targetE1EEEvSH_.numbered_sgpr, 31
	.set _ZN7rocprim17ROCPRIM_400000_NS6detail17trampoline_kernelINS0_14default_configENS1_38merge_sort_block_merge_config_selectorIllEEZZNS1_27merge_sort_block_merge_implIS3_PlN6thrust23THRUST_200600_302600_NS10device_ptrIlEEjNS1_19radix_merge_compareILb0ELb0ElNS0_19identity_decomposerEEEEE10hipError_tT0_T1_T2_jT3_P12ihipStream_tbPNSt15iterator_traitsISG_E10value_typeEPNSM_ISH_E10value_typeEPSI_NS1_7vsmem_tEENKUlT_SG_SH_SI_E_clIS7_S7_S7_SB_EESF_SV_SG_SH_SI_EUlSV_E0_NS1_11comp_targetILNS1_3genE2ELNS1_11target_archE906ELNS1_3gpuE6ELNS1_3repE0EEENS1_38merge_mergepath_config_static_selectorELNS0_4arch9wavefront6targetE1EEEvSH_.num_named_barrier, 0
	.set _ZN7rocprim17ROCPRIM_400000_NS6detail17trampoline_kernelINS0_14default_configENS1_38merge_sort_block_merge_config_selectorIllEEZZNS1_27merge_sort_block_merge_implIS3_PlN6thrust23THRUST_200600_302600_NS10device_ptrIlEEjNS1_19radix_merge_compareILb0ELb0ElNS0_19identity_decomposerEEEEE10hipError_tT0_T1_T2_jT3_P12ihipStream_tbPNSt15iterator_traitsISG_E10value_typeEPNSM_ISH_E10value_typeEPSI_NS1_7vsmem_tEENKUlT_SG_SH_SI_E_clIS7_S7_S7_SB_EESF_SV_SG_SH_SI_EUlSV_E0_NS1_11comp_targetILNS1_3genE2ELNS1_11target_archE906ELNS1_3gpuE6ELNS1_3repE0EEENS1_38merge_mergepath_config_static_selectorELNS0_4arch9wavefront6targetE1EEEvSH_.private_seg_size, 0
	.set _ZN7rocprim17ROCPRIM_400000_NS6detail17trampoline_kernelINS0_14default_configENS1_38merge_sort_block_merge_config_selectorIllEEZZNS1_27merge_sort_block_merge_implIS3_PlN6thrust23THRUST_200600_302600_NS10device_ptrIlEEjNS1_19radix_merge_compareILb0ELb0ElNS0_19identity_decomposerEEEEE10hipError_tT0_T1_T2_jT3_P12ihipStream_tbPNSt15iterator_traitsISG_E10value_typeEPNSM_ISH_E10value_typeEPSI_NS1_7vsmem_tEENKUlT_SG_SH_SI_E_clIS7_S7_S7_SB_EESF_SV_SG_SH_SI_EUlSV_E0_NS1_11comp_targetILNS1_3genE2ELNS1_11target_archE906ELNS1_3gpuE6ELNS1_3repE0EEENS1_38merge_mergepath_config_static_selectorELNS0_4arch9wavefront6targetE1EEEvSH_.uses_vcc, 1
	.set _ZN7rocprim17ROCPRIM_400000_NS6detail17trampoline_kernelINS0_14default_configENS1_38merge_sort_block_merge_config_selectorIllEEZZNS1_27merge_sort_block_merge_implIS3_PlN6thrust23THRUST_200600_302600_NS10device_ptrIlEEjNS1_19radix_merge_compareILb0ELb0ElNS0_19identity_decomposerEEEEE10hipError_tT0_T1_T2_jT3_P12ihipStream_tbPNSt15iterator_traitsISG_E10value_typeEPNSM_ISH_E10value_typeEPSI_NS1_7vsmem_tEENKUlT_SG_SH_SI_E_clIS7_S7_S7_SB_EESF_SV_SG_SH_SI_EUlSV_E0_NS1_11comp_targetILNS1_3genE2ELNS1_11target_archE906ELNS1_3gpuE6ELNS1_3repE0EEENS1_38merge_mergepath_config_static_selectorELNS0_4arch9wavefront6targetE1EEEvSH_.uses_flat_scratch, 0
	.set _ZN7rocprim17ROCPRIM_400000_NS6detail17trampoline_kernelINS0_14default_configENS1_38merge_sort_block_merge_config_selectorIllEEZZNS1_27merge_sort_block_merge_implIS3_PlN6thrust23THRUST_200600_302600_NS10device_ptrIlEEjNS1_19radix_merge_compareILb0ELb0ElNS0_19identity_decomposerEEEEE10hipError_tT0_T1_T2_jT3_P12ihipStream_tbPNSt15iterator_traitsISG_E10value_typeEPNSM_ISH_E10value_typeEPSI_NS1_7vsmem_tEENKUlT_SG_SH_SI_E_clIS7_S7_S7_SB_EESF_SV_SG_SH_SI_EUlSV_E0_NS1_11comp_targetILNS1_3genE2ELNS1_11target_archE906ELNS1_3gpuE6ELNS1_3repE0EEENS1_38merge_mergepath_config_static_selectorELNS0_4arch9wavefront6targetE1EEEvSH_.has_dyn_sized_stack, 0
	.set _ZN7rocprim17ROCPRIM_400000_NS6detail17trampoline_kernelINS0_14default_configENS1_38merge_sort_block_merge_config_selectorIllEEZZNS1_27merge_sort_block_merge_implIS3_PlN6thrust23THRUST_200600_302600_NS10device_ptrIlEEjNS1_19radix_merge_compareILb0ELb0ElNS0_19identity_decomposerEEEEE10hipError_tT0_T1_T2_jT3_P12ihipStream_tbPNSt15iterator_traitsISG_E10value_typeEPNSM_ISH_E10value_typeEPSI_NS1_7vsmem_tEENKUlT_SG_SH_SI_E_clIS7_S7_S7_SB_EESF_SV_SG_SH_SI_EUlSV_E0_NS1_11comp_targetILNS1_3genE2ELNS1_11target_archE906ELNS1_3gpuE6ELNS1_3repE0EEENS1_38merge_mergepath_config_static_selectorELNS0_4arch9wavefront6targetE1EEEvSH_.has_recursion, 0
	.set _ZN7rocprim17ROCPRIM_400000_NS6detail17trampoline_kernelINS0_14default_configENS1_38merge_sort_block_merge_config_selectorIllEEZZNS1_27merge_sort_block_merge_implIS3_PlN6thrust23THRUST_200600_302600_NS10device_ptrIlEEjNS1_19radix_merge_compareILb0ELb0ElNS0_19identity_decomposerEEEEE10hipError_tT0_T1_T2_jT3_P12ihipStream_tbPNSt15iterator_traitsISG_E10value_typeEPNSM_ISH_E10value_typeEPSI_NS1_7vsmem_tEENKUlT_SG_SH_SI_E_clIS7_S7_S7_SB_EESF_SV_SG_SH_SI_EUlSV_E0_NS1_11comp_targetILNS1_3genE2ELNS1_11target_archE906ELNS1_3gpuE6ELNS1_3repE0EEENS1_38merge_mergepath_config_static_selectorELNS0_4arch9wavefront6targetE1EEEvSH_.has_indirect_call, 0
	.section	.AMDGPU.csdata,"",@progbits
; Kernel info:
; codeLenInByte = 6284
; TotalNumSgprs: 35
; NumVgprs: 54
; ScratchSize: 0
; MemoryBound: 0
; FloatMode: 240
; IeeeMode: 1
; LDSByteSize: 8448 bytes/workgroup (compile time only)
; SGPRBlocks: 12
; VGPRBlocks: 13
; NumSGPRsForWavesPerEU: 102
; NumVGPRsForWavesPerEU: 54
; Occupancy: 4
; WaveLimiterHint : 1
; COMPUTE_PGM_RSRC2:SCRATCH_EN: 0
; COMPUTE_PGM_RSRC2:USER_SGPR: 6
; COMPUTE_PGM_RSRC2:TRAP_HANDLER: 0
; COMPUTE_PGM_RSRC2:TGID_X_EN: 1
; COMPUTE_PGM_RSRC2:TGID_Y_EN: 1
; COMPUTE_PGM_RSRC2:TGID_Z_EN: 1
; COMPUTE_PGM_RSRC2:TIDIG_COMP_CNT: 0
	.section	.text._ZN7rocprim17ROCPRIM_400000_NS6detail17trampoline_kernelINS0_14default_configENS1_38merge_sort_block_merge_config_selectorIllEEZZNS1_27merge_sort_block_merge_implIS3_PlN6thrust23THRUST_200600_302600_NS10device_ptrIlEEjNS1_19radix_merge_compareILb0ELb0ElNS0_19identity_decomposerEEEEE10hipError_tT0_T1_T2_jT3_P12ihipStream_tbPNSt15iterator_traitsISG_E10value_typeEPNSM_ISH_E10value_typeEPSI_NS1_7vsmem_tEENKUlT_SG_SH_SI_E_clIS7_S7_S7_SB_EESF_SV_SG_SH_SI_EUlSV_E0_NS1_11comp_targetILNS1_3genE9ELNS1_11target_archE1100ELNS1_3gpuE3ELNS1_3repE0EEENS1_38merge_mergepath_config_static_selectorELNS0_4arch9wavefront6targetE1EEEvSH_,"axG",@progbits,_ZN7rocprim17ROCPRIM_400000_NS6detail17trampoline_kernelINS0_14default_configENS1_38merge_sort_block_merge_config_selectorIllEEZZNS1_27merge_sort_block_merge_implIS3_PlN6thrust23THRUST_200600_302600_NS10device_ptrIlEEjNS1_19radix_merge_compareILb0ELb0ElNS0_19identity_decomposerEEEEE10hipError_tT0_T1_T2_jT3_P12ihipStream_tbPNSt15iterator_traitsISG_E10value_typeEPNSM_ISH_E10value_typeEPSI_NS1_7vsmem_tEENKUlT_SG_SH_SI_E_clIS7_S7_S7_SB_EESF_SV_SG_SH_SI_EUlSV_E0_NS1_11comp_targetILNS1_3genE9ELNS1_11target_archE1100ELNS1_3gpuE3ELNS1_3repE0EEENS1_38merge_mergepath_config_static_selectorELNS0_4arch9wavefront6targetE1EEEvSH_,comdat
	.protected	_ZN7rocprim17ROCPRIM_400000_NS6detail17trampoline_kernelINS0_14default_configENS1_38merge_sort_block_merge_config_selectorIllEEZZNS1_27merge_sort_block_merge_implIS3_PlN6thrust23THRUST_200600_302600_NS10device_ptrIlEEjNS1_19radix_merge_compareILb0ELb0ElNS0_19identity_decomposerEEEEE10hipError_tT0_T1_T2_jT3_P12ihipStream_tbPNSt15iterator_traitsISG_E10value_typeEPNSM_ISH_E10value_typeEPSI_NS1_7vsmem_tEENKUlT_SG_SH_SI_E_clIS7_S7_S7_SB_EESF_SV_SG_SH_SI_EUlSV_E0_NS1_11comp_targetILNS1_3genE9ELNS1_11target_archE1100ELNS1_3gpuE3ELNS1_3repE0EEENS1_38merge_mergepath_config_static_selectorELNS0_4arch9wavefront6targetE1EEEvSH_ ; -- Begin function _ZN7rocprim17ROCPRIM_400000_NS6detail17trampoline_kernelINS0_14default_configENS1_38merge_sort_block_merge_config_selectorIllEEZZNS1_27merge_sort_block_merge_implIS3_PlN6thrust23THRUST_200600_302600_NS10device_ptrIlEEjNS1_19radix_merge_compareILb0ELb0ElNS0_19identity_decomposerEEEEE10hipError_tT0_T1_T2_jT3_P12ihipStream_tbPNSt15iterator_traitsISG_E10value_typeEPNSM_ISH_E10value_typeEPSI_NS1_7vsmem_tEENKUlT_SG_SH_SI_E_clIS7_S7_S7_SB_EESF_SV_SG_SH_SI_EUlSV_E0_NS1_11comp_targetILNS1_3genE9ELNS1_11target_archE1100ELNS1_3gpuE3ELNS1_3repE0EEENS1_38merge_mergepath_config_static_selectorELNS0_4arch9wavefront6targetE1EEEvSH_
	.globl	_ZN7rocprim17ROCPRIM_400000_NS6detail17trampoline_kernelINS0_14default_configENS1_38merge_sort_block_merge_config_selectorIllEEZZNS1_27merge_sort_block_merge_implIS3_PlN6thrust23THRUST_200600_302600_NS10device_ptrIlEEjNS1_19radix_merge_compareILb0ELb0ElNS0_19identity_decomposerEEEEE10hipError_tT0_T1_T2_jT3_P12ihipStream_tbPNSt15iterator_traitsISG_E10value_typeEPNSM_ISH_E10value_typeEPSI_NS1_7vsmem_tEENKUlT_SG_SH_SI_E_clIS7_S7_S7_SB_EESF_SV_SG_SH_SI_EUlSV_E0_NS1_11comp_targetILNS1_3genE9ELNS1_11target_archE1100ELNS1_3gpuE3ELNS1_3repE0EEENS1_38merge_mergepath_config_static_selectorELNS0_4arch9wavefront6targetE1EEEvSH_
	.p2align	8
	.type	_ZN7rocprim17ROCPRIM_400000_NS6detail17trampoline_kernelINS0_14default_configENS1_38merge_sort_block_merge_config_selectorIllEEZZNS1_27merge_sort_block_merge_implIS3_PlN6thrust23THRUST_200600_302600_NS10device_ptrIlEEjNS1_19radix_merge_compareILb0ELb0ElNS0_19identity_decomposerEEEEE10hipError_tT0_T1_T2_jT3_P12ihipStream_tbPNSt15iterator_traitsISG_E10value_typeEPNSM_ISH_E10value_typeEPSI_NS1_7vsmem_tEENKUlT_SG_SH_SI_E_clIS7_S7_S7_SB_EESF_SV_SG_SH_SI_EUlSV_E0_NS1_11comp_targetILNS1_3genE9ELNS1_11target_archE1100ELNS1_3gpuE3ELNS1_3repE0EEENS1_38merge_mergepath_config_static_selectorELNS0_4arch9wavefront6targetE1EEEvSH_,@function
_ZN7rocprim17ROCPRIM_400000_NS6detail17trampoline_kernelINS0_14default_configENS1_38merge_sort_block_merge_config_selectorIllEEZZNS1_27merge_sort_block_merge_implIS3_PlN6thrust23THRUST_200600_302600_NS10device_ptrIlEEjNS1_19radix_merge_compareILb0ELb0ElNS0_19identity_decomposerEEEEE10hipError_tT0_T1_T2_jT3_P12ihipStream_tbPNSt15iterator_traitsISG_E10value_typeEPNSM_ISH_E10value_typeEPSI_NS1_7vsmem_tEENKUlT_SG_SH_SI_E_clIS7_S7_S7_SB_EESF_SV_SG_SH_SI_EUlSV_E0_NS1_11comp_targetILNS1_3genE9ELNS1_11target_archE1100ELNS1_3gpuE3ELNS1_3repE0EEENS1_38merge_mergepath_config_static_selectorELNS0_4arch9wavefront6targetE1EEEvSH_: ; @_ZN7rocprim17ROCPRIM_400000_NS6detail17trampoline_kernelINS0_14default_configENS1_38merge_sort_block_merge_config_selectorIllEEZZNS1_27merge_sort_block_merge_implIS3_PlN6thrust23THRUST_200600_302600_NS10device_ptrIlEEjNS1_19radix_merge_compareILb0ELb0ElNS0_19identity_decomposerEEEEE10hipError_tT0_T1_T2_jT3_P12ihipStream_tbPNSt15iterator_traitsISG_E10value_typeEPNSM_ISH_E10value_typeEPSI_NS1_7vsmem_tEENKUlT_SG_SH_SI_E_clIS7_S7_S7_SB_EESF_SV_SG_SH_SI_EUlSV_E0_NS1_11comp_targetILNS1_3genE9ELNS1_11target_archE1100ELNS1_3gpuE3ELNS1_3repE0EEENS1_38merge_mergepath_config_static_selectorELNS0_4arch9wavefront6targetE1EEEvSH_
; %bb.0:
	.section	.rodata,"a",@progbits
	.p2align	6, 0x0
	.amdhsa_kernel _ZN7rocprim17ROCPRIM_400000_NS6detail17trampoline_kernelINS0_14default_configENS1_38merge_sort_block_merge_config_selectorIllEEZZNS1_27merge_sort_block_merge_implIS3_PlN6thrust23THRUST_200600_302600_NS10device_ptrIlEEjNS1_19radix_merge_compareILb0ELb0ElNS0_19identity_decomposerEEEEE10hipError_tT0_T1_T2_jT3_P12ihipStream_tbPNSt15iterator_traitsISG_E10value_typeEPNSM_ISH_E10value_typeEPSI_NS1_7vsmem_tEENKUlT_SG_SH_SI_E_clIS7_S7_S7_SB_EESF_SV_SG_SH_SI_EUlSV_E0_NS1_11comp_targetILNS1_3genE9ELNS1_11target_archE1100ELNS1_3gpuE3ELNS1_3repE0EEENS1_38merge_mergepath_config_static_selectorELNS0_4arch9wavefront6targetE1EEEvSH_
		.amdhsa_group_segment_fixed_size 0
		.amdhsa_private_segment_fixed_size 0
		.amdhsa_kernarg_size 64
		.amdhsa_user_sgpr_count 6
		.amdhsa_user_sgpr_private_segment_buffer 1
		.amdhsa_user_sgpr_dispatch_ptr 0
		.amdhsa_user_sgpr_queue_ptr 0
		.amdhsa_user_sgpr_kernarg_segment_ptr 1
		.amdhsa_user_sgpr_dispatch_id 0
		.amdhsa_user_sgpr_flat_scratch_init 0
		.amdhsa_user_sgpr_private_segment_size 0
		.amdhsa_uses_dynamic_stack 0
		.amdhsa_system_sgpr_private_segment_wavefront_offset 0
		.amdhsa_system_sgpr_workgroup_id_x 1
		.amdhsa_system_sgpr_workgroup_id_y 0
		.amdhsa_system_sgpr_workgroup_id_z 0
		.amdhsa_system_sgpr_workgroup_info 0
		.amdhsa_system_vgpr_workitem_id 0
		.amdhsa_next_free_vgpr 1
		.amdhsa_next_free_sgpr 0
		.amdhsa_reserve_vcc 0
		.amdhsa_reserve_flat_scratch 0
		.amdhsa_float_round_mode_32 0
		.amdhsa_float_round_mode_16_64 0
		.amdhsa_float_denorm_mode_32 3
		.amdhsa_float_denorm_mode_16_64 3
		.amdhsa_dx10_clamp 1
		.amdhsa_ieee_mode 1
		.amdhsa_fp16_overflow 0
		.amdhsa_exception_fp_ieee_invalid_op 0
		.amdhsa_exception_fp_denorm_src 0
		.amdhsa_exception_fp_ieee_div_zero 0
		.amdhsa_exception_fp_ieee_overflow 0
		.amdhsa_exception_fp_ieee_underflow 0
		.amdhsa_exception_fp_ieee_inexact 0
		.amdhsa_exception_int_div_zero 0
	.end_amdhsa_kernel
	.section	.text._ZN7rocprim17ROCPRIM_400000_NS6detail17trampoline_kernelINS0_14default_configENS1_38merge_sort_block_merge_config_selectorIllEEZZNS1_27merge_sort_block_merge_implIS3_PlN6thrust23THRUST_200600_302600_NS10device_ptrIlEEjNS1_19radix_merge_compareILb0ELb0ElNS0_19identity_decomposerEEEEE10hipError_tT0_T1_T2_jT3_P12ihipStream_tbPNSt15iterator_traitsISG_E10value_typeEPNSM_ISH_E10value_typeEPSI_NS1_7vsmem_tEENKUlT_SG_SH_SI_E_clIS7_S7_S7_SB_EESF_SV_SG_SH_SI_EUlSV_E0_NS1_11comp_targetILNS1_3genE9ELNS1_11target_archE1100ELNS1_3gpuE3ELNS1_3repE0EEENS1_38merge_mergepath_config_static_selectorELNS0_4arch9wavefront6targetE1EEEvSH_,"axG",@progbits,_ZN7rocprim17ROCPRIM_400000_NS6detail17trampoline_kernelINS0_14default_configENS1_38merge_sort_block_merge_config_selectorIllEEZZNS1_27merge_sort_block_merge_implIS3_PlN6thrust23THRUST_200600_302600_NS10device_ptrIlEEjNS1_19radix_merge_compareILb0ELb0ElNS0_19identity_decomposerEEEEE10hipError_tT0_T1_T2_jT3_P12ihipStream_tbPNSt15iterator_traitsISG_E10value_typeEPNSM_ISH_E10value_typeEPSI_NS1_7vsmem_tEENKUlT_SG_SH_SI_E_clIS7_S7_S7_SB_EESF_SV_SG_SH_SI_EUlSV_E0_NS1_11comp_targetILNS1_3genE9ELNS1_11target_archE1100ELNS1_3gpuE3ELNS1_3repE0EEENS1_38merge_mergepath_config_static_selectorELNS0_4arch9wavefront6targetE1EEEvSH_,comdat
.Lfunc_end1024:
	.size	_ZN7rocprim17ROCPRIM_400000_NS6detail17trampoline_kernelINS0_14default_configENS1_38merge_sort_block_merge_config_selectorIllEEZZNS1_27merge_sort_block_merge_implIS3_PlN6thrust23THRUST_200600_302600_NS10device_ptrIlEEjNS1_19radix_merge_compareILb0ELb0ElNS0_19identity_decomposerEEEEE10hipError_tT0_T1_T2_jT3_P12ihipStream_tbPNSt15iterator_traitsISG_E10value_typeEPNSM_ISH_E10value_typeEPSI_NS1_7vsmem_tEENKUlT_SG_SH_SI_E_clIS7_S7_S7_SB_EESF_SV_SG_SH_SI_EUlSV_E0_NS1_11comp_targetILNS1_3genE9ELNS1_11target_archE1100ELNS1_3gpuE3ELNS1_3repE0EEENS1_38merge_mergepath_config_static_selectorELNS0_4arch9wavefront6targetE1EEEvSH_, .Lfunc_end1024-_ZN7rocprim17ROCPRIM_400000_NS6detail17trampoline_kernelINS0_14default_configENS1_38merge_sort_block_merge_config_selectorIllEEZZNS1_27merge_sort_block_merge_implIS3_PlN6thrust23THRUST_200600_302600_NS10device_ptrIlEEjNS1_19radix_merge_compareILb0ELb0ElNS0_19identity_decomposerEEEEE10hipError_tT0_T1_T2_jT3_P12ihipStream_tbPNSt15iterator_traitsISG_E10value_typeEPNSM_ISH_E10value_typeEPSI_NS1_7vsmem_tEENKUlT_SG_SH_SI_E_clIS7_S7_S7_SB_EESF_SV_SG_SH_SI_EUlSV_E0_NS1_11comp_targetILNS1_3genE9ELNS1_11target_archE1100ELNS1_3gpuE3ELNS1_3repE0EEENS1_38merge_mergepath_config_static_selectorELNS0_4arch9wavefront6targetE1EEEvSH_
                                        ; -- End function
	.set _ZN7rocprim17ROCPRIM_400000_NS6detail17trampoline_kernelINS0_14default_configENS1_38merge_sort_block_merge_config_selectorIllEEZZNS1_27merge_sort_block_merge_implIS3_PlN6thrust23THRUST_200600_302600_NS10device_ptrIlEEjNS1_19radix_merge_compareILb0ELb0ElNS0_19identity_decomposerEEEEE10hipError_tT0_T1_T2_jT3_P12ihipStream_tbPNSt15iterator_traitsISG_E10value_typeEPNSM_ISH_E10value_typeEPSI_NS1_7vsmem_tEENKUlT_SG_SH_SI_E_clIS7_S7_S7_SB_EESF_SV_SG_SH_SI_EUlSV_E0_NS1_11comp_targetILNS1_3genE9ELNS1_11target_archE1100ELNS1_3gpuE3ELNS1_3repE0EEENS1_38merge_mergepath_config_static_selectorELNS0_4arch9wavefront6targetE1EEEvSH_.num_vgpr, 0
	.set _ZN7rocprim17ROCPRIM_400000_NS6detail17trampoline_kernelINS0_14default_configENS1_38merge_sort_block_merge_config_selectorIllEEZZNS1_27merge_sort_block_merge_implIS3_PlN6thrust23THRUST_200600_302600_NS10device_ptrIlEEjNS1_19radix_merge_compareILb0ELb0ElNS0_19identity_decomposerEEEEE10hipError_tT0_T1_T2_jT3_P12ihipStream_tbPNSt15iterator_traitsISG_E10value_typeEPNSM_ISH_E10value_typeEPSI_NS1_7vsmem_tEENKUlT_SG_SH_SI_E_clIS7_S7_S7_SB_EESF_SV_SG_SH_SI_EUlSV_E0_NS1_11comp_targetILNS1_3genE9ELNS1_11target_archE1100ELNS1_3gpuE3ELNS1_3repE0EEENS1_38merge_mergepath_config_static_selectorELNS0_4arch9wavefront6targetE1EEEvSH_.num_agpr, 0
	.set _ZN7rocprim17ROCPRIM_400000_NS6detail17trampoline_kernelINS0_14default_configENS1_38merge_sort_block_merge_config_selectorIllEEZZNS1_27merge_sort_block_merge_implIS3_PlN6thrust23THRUST_200600_302600_NS10device_ptrIlEEjNS1_19radix_merge_compareILb0ELb0ElNS0_19identity_decomposerEEEEE10hipError_tT0_T1_T2_jT3_P12ihipStream_tbPNSt15iterator_traitsISG_E10value_typeEPNSM_ISH_E10value_typeEPSI_NS1_7vsmem_tEENKUlT_SG_SH_SI_E_clIS7_S7_S7_SB_EESF_SV_SG_SH_SI_EUlSV_E0_NS1_11comp_targetILNS1_3genE9ELNS1_11target_archE1100ELNS1_3gpuE3ELNS1_3repE0EEENS1_38merge_mergepath_config_static_selectorELNS0_4arch9wavefront6targetE1EEEvSH_.numbered_sgpr, 0
	.set _ZN7rocprim17ROCPRIM_400000_NS6detail17trampoline_kernelINS0_14default_configENS1_38merge_sort_block_merge_config_selectorIllEEZZNS1_27merge_sort_block_merge_implIS3_PlN6thrust23THRUST_200600_302600_NS10device_ptrIlEEjNS1_19radix_merge_compareILb0ELb0ElNS0_19identity_decomposerEEEEE10hipError_tT0_T1_T2_jT3_P12ihipStream_tbPNSt15iterator_traitsISG_E10value_typeEPNSM_ISH_E10value_typeEPSI_NS1_7vsmem_tEENKUlT_SG_SH_SI_E_clIS7_S7_S7_SB_EESF_SV_SG_SH_SI_EUlSV_E0_NS1_11comp_targetILNS1_3genE9ELNS1_11target_archE1100ELNS1_3gpuE3ELNS1_3repE0EEENS1_38merge_mergepath_config_static_selectorELNS0_4arch9wavefront6targetE1EEEvSH_.num_named_barrier, 0
	.set _ZN7rocprim17ROCPRIM_400000_NS6detail17trampoline_kernelINS0_14default_configENS1_38merge_sort_block_merge_config_selectorIllEEZZNS1_27merge_sort_block_merge_implIS3_PlN6thrust23THRUST_200600_302600_NS10device_ptrIlEEjNS1_19radix_merge_compareILb0ELb0ElNS0_19identity_decomposerEEEEE10hipError_tT0_T1_T2_jT3_P12ihipStream_tbPNSt15iterator_traitsISG_E10value_typeEPNSM_ISH_E10value_typeEPSI_NS1_7vsmem_tEENKUlT_SG_SH_SI_E_clIS7_S7_S7_SB_EESF_SV_SG_SH_SI_EUlSV_E0_NS1_11comp_targetILNS1_3genE9ELNS1_11target_archE1100ELNS1_3gpuE3ELNS1_3repE0EEENS1_38merge_mergepath_config_static_selectorELNS0_4arch9wavefront6targetE1EEEvSH_.private_seg_size, 0
	.set _ZN7rocprim17ROCPRIM_400000_NS6detail17trampoline_kernelINS0_14default_configENS1_38merge_sort_block_merge_config_selectorIllEEZZNS1_27merge_sort_block_merge_implIS3_PlN6thrust23THRUST_200600_302600_NS10device_ptrIlEEjNS1_19radix_merge_compareILb0ELb0ElNS0_19identity_decomposerEEEEE10hipError_tT0_T1_T2_jT3_P12ihipStream_tbPNSt15iterator_traitsISG_E10value_typeEPNSM_ISH_E10value_typeEPSI_NS1_7vsmem_tEENKUlT_SG_SH_SI_E_clIS7_S7_S7_SB_EESF_SV_SG_SH_SI_EUlSV_E0_NS1_11comp_targetILNS1_3genE9ELNS1_11target_archE1100ELNS1_3gpuE3ELNS1_3repE0EEENS1_38merge_mergepath_config_static_selectorELNS0_4arch9wavefront6targetE1EEEvSH_.uses_vcc, 0
	.set _ZN7rocprim17ROCPRIM_400000_NS6detail17trampoline_kernelINS0_14default_configENS1_38merge_sort_block_merge_config_selectorIllEEZZNS1_27merge_sort_block_merge_implIS3_PlN6thrust23THRUST_200600_302600_NS10device_ptrIlEEjNS1_19radix_merge_compareILb0ELb0ElNS0_19identity_decomposerEEEEE10hipError_tT0_T1_T2_jT3_P12ihipStream_tbPNSt15iterator_traitsISG_E10value_typeEPNSM_ISH_E10value_typeEPSI_NS1_7vsmem_tEENKUlT_SG_SH_SI_E_clIS7_S7_S7_SB_EESF_SV_SG_SH_SI_EUlSV_E0_NS1_11comp_targetILNS1_3genE9ELNS1_11target_archE1100ELNS1_3gpuE3ELNS1_3repE0EEENS1_38merge_mergepath_config_static_selectorELNS0_4arch9wavefront6targetE1EEEvSH_.uses_flat_scratch, 0
	.set _ZN7rocprim17ROCPRIM_400000_NS6detail17trampoline_kernelINS0_14default_configENS1_38merge_sort_block_merge_config_selectorIllEEZZNS1_27merge_sort_block_merge_implIS3_PlN6thrust23THRUST_200600_302600_NS10device_ptrIlEEjNS1_19radix_merge_compareILb0ELb0ElNS0_19identity_decomposerEEEEE10hipError_tT0_T1_T2_jT3_P12ihipStream_tbPNSt15iterator_traitsISG_E10value_typeEPNSM_ISH_E10value_typeEPSI_NS1_7vsmem_tEENKUlT_SG_SH_SI_E_clIS7_S7_S7_SB_EESF_SV_SG_SH_SI_EUlSV_E0_NS1_11comp_targetILNS1_3genE9ELNS1_11target_archE1100ELNS1_3gpuE3ELNS1_3repE0EEENS1_38merge_mergepath_config_static_selectorELNS0_4arch9wavefront6targetE1EEEvSH_.has_dyn_sized_stack, 0
	.set _ZN7rocprim17ROCPRIM_400000_NS6detail17trampoline_kernelINS0_14default_configENS1_38merge_sort_block_merge_config_selectorIllEEZZNS1_27merge_sort_block_merge_implIS3_PlN6thrust23THRUST_200600_302600_NS10device_ptrIlEEjNS1_19radix_merge_compareILb0ELb0ElNS0_19identity_decomposerEEEEE10hipError_tT0_T1_T2_jT3_P12ihipStream_tbPNSt15iterator_traitsISG_E10value_typeEPNSM_ISH_E10value_typeEPSI_NS1_7vsmem_tEENKUlT_SG_SH_SI_E_clIS7_S7_S7_SB_EESF_SV_SG_SH_SI_EUlSV_E0_NS1_11comp_targetILNS1_3genE9ELNS1_11target_archE1100ELNS1_3gpuE3ELNS1_3repE0EEENS1_38merge_mergepath_config_static_selectorELNS0_4arch9wavefront6targetE1EEEvSH_.has_recursion, 0
	.set _ZN7rocprim17ROCPRIM_400000_NS6detail17trampoline_kernelINS0_14default_configENS1_38merge_sort_block_merge_config_selectorIllEEZZNS1_27merge_sort_block_merge_implIS3_PlN6thrust23THRUST_200600_302600_NS10device_ptrIlEEjNS1_19radix_merge_compareILb0ELb0ElNS0_19identity_decomposerEEEEE10hipError_tT0_T1_T2_jT3_P12ihipStream_tbPNSt15iterator_traitsISG_E10value_typeEPNSM_ISH_E10value_typeEPSI_NS1_7vsmem_tEENKUlT_SG_SH_SI_E_clIS7_S7_S7_SB_EESF_SV_SG_SH_SI_EUlSV_E0_NS1_11comp_targetILNS1_3genE9ELNS1_11target_archE1100ELNS1_3gpuE3ELNS1_3repE0EEENS1_38merge_mergepath_config_static_selectorELNS0_4arch9wavefront6targetE1EEEvSH_.has_indirect_call, 0
	.section	.AMDGPU.csdata,"",@progbits
; Kernel info:
; codeLenInByte = 0
; TotalNumSgprs: 4
; NumVgprs: 0
; ScratchSize: 0
; MemoryBound: 0
; FloatMode: 240
; IeeeMode: 1
; LDSByteSize: 0 bytes/workgroup (compile time only)
; SGPRBlocks: 0
; VGPRBlocks: 0
; NumSGPRsForWavesPerEU: 4
; NumVGPRsForWavesPerEU: 1
; Occupancy: 10
; WaveLimiterHint : 0
; COMPUTE_PGM_RSRC2:SCRATCH_EN: 0
; COMPUTE_PGM_RSRC2:USER_SGPR: 6
; COMPUTE_PGM_RSRC2:TRAP_HANDLER: 0
; COMPUTE_PGM_RSRC2:TGID_X_EN: 1
; COMPUTE_PGM_RSRC2:TGID_Y_EN: 0
; COMPUTE_PGM_RSRC2:TGID_Z_EN: 0
; COMPUTE_PGM_RSRC2:TIDIG_COMP_CNT: 0
	.section	.text._ZN7rocprim17ROCPRIM_400000_NS6detail17trampoline_kernelINS0_14default_configENS1_38merge_sort_block_merge_config_selectorIllEEZZNS1_27merge_sort_block_merge_implIS3_PlN6thrust23THRUST_200600_302600_NS10device_ptrIlEEjNS1_19radix_merge_compareILb0ELb0ElNS0_19identity_decomposerEEEEE10hipError_tT0_T1_T2_jT3_P12ihipStream_tbPNSt15iterator_traitsISG_E10value_typeEPNSM_ISH_E10value_typeEPSI_NS1_7vsmem_tEENKUlT_SG_SH_SI_E_clIS7_S7_S7_SB_EESF_SV_SG_SH_SI_EUlSV_E0_NS1_11comp_targetILNS1_3genE8ELNS1_11target_archE1030ELNS1_3gpuE2ELNS1_3repE0EEENS1_38merge_mergepath_config_static_selectorELNS0_4arch9wavefront6targetE1EEEvSH_,"axG",@progbits,_ZN7rocprim17ROCPRIM_400000_NS6detail17trampoline_kernelINS0_14default_configENS1_38merge_sort_block_merge_config_selectorIllEEZZNS1_27merge_sort_block_merge_implIS3_PlN6thrust23THRUST_200600_302600_NS10device_ptrIlEEjNS1_19radix_merge_compareILb0ELb0ElNS0_19identity_decomposerEEEEE10hipError_tT0_T1_T2_jT3_P12ihipStream_tbPNSt15iterator_traitsISG_E10value_typeEPNSM_ISH_E10value_typeEPSI_NS1_7vsmem_tEENKUlT_SG_SH_SI_E_clIS7_S7_S7_SB_EESF_SV_SG_SH_SI_EUlSV_E0_NS1_11comp_targetILNS1_3genE8ELNS1_11target_archE1030ELNS1_3gpuE2ELNS1_3repE0EEENS1_38merge_mergepath_config_static_selectorELNS0_4arch9wavefront6targetE1EEEvSH_,comdat
	.protected	_ZN7rocprim17ROCPRIM_400000_NS6detail17trampoline_kernelINS0_14default_configENS1_38merge_sort_block_merge_config_selectorIllEEZZNS1_27merge_sort_block_merge_implIS3_PlN6thrust23THRUST_200600_302600_NS10device_ptrIlEEjNS1_19radix_merge_compareILb0ELb0ElNS0_19identity_decomposerEEEEE10hipError_tT0_T1_T2_jT3_P12ihipStream_tbPNSt15iterator_traitsISG_E10value_typeEPNSM_ISH_E10value_typeEPSI_NS1_7vsmem_tEENKUlT_SG_SH_SI_E_clIS7_S7_S7_SB_EESF_SV_SG_SH_SI_EUlSV_E0_NS1_11comp_targetILNS1_3genE8ELNS1_11target_archE1030ELNS1_3gpuE2ELNS1_3repE0EEENS1_38merge_mergepath_config_static_selectorELNS0_4arch9wavefront6targetE1EEEvSH_ ; -- Begin function _ZN7rocprim17ROCPRIM_400000_NS6detail17trampoline_kernelINS0_14default_configENS1_38merge_sort_block_merge_config_selectorIllEEZZNS1_27merge_sort_block_merge_implIS3_PlN6thrust23THRUST_200600_302600_NS10device_ptrIlEEjNS1_19radix_merge_compareILb0ELb0ElNS0_19identity_decomposerEEEEE10hipError_tT0_T1_T2_jT3_P12ihipStream_tbPNSt15iterator_traitsISG_E10value_typeEPNSM_ISH_E10value_typeEPSI_NS1_7vsmem_tEENKUlT_SG_SH_SI_E_clIS7_S7_S7_SB_EESF_SV_SG_SH_SI_EUlSV_E0_NS1_11comp_targetILNS1_3genE8ELNS1_11target_archE1030ELNS1_3gpuE2ELNS1_3repE0EEENS1_38merge_mergepath_config_static_selectorELNS0_4arch9wavefront6targetE1EEEvSH_
	.globl	_ZN7rocprim17ROCPRIM_400000_NS6detail17trampoline_kernelINS0_14default_configENS1_38merge_sort_block_merge_config_selectorIllEEZZNS1_27merge_sort_block_merge_implIS3_PlN6thrust23THRUST_200600_302600_NS10device_ptrIlEEjNS1_19radix_merge_compareILb0ELb0ElNS0_19identity_decomposerEEEEE10hipError_tT0_T1_T2_jT3_P12ihipStream_tbPNSt15iterator_traitsISG_E10value_typeEPNSM_ISH_E10value_typeEPSI_NS1_7vsmem_tEENKUlT_SG_SH_SI_E_clIS7_S7_S7_SB_EESF_SV_SG_SH_SI_EUlSV_E0_NS1_11comp_targetILNS1_3genE8ELNS1_11target_archE1030ELNS1_3gpuE2ELNS1_3repE0EEENS1_38merge_mergepath_config_static_selectorELNS0_4arch9wavefront6targetE1EEEvSH_
	.p2align	8
	.type	_ZN7rocprim17ROCPRIM_400000_NS6detail17trampoline_kernelINS0_14default_configENS1_38merge_sort_block_merge_config_selectorIllEEZZNS1_27merge_sort_block_merge_implIS3_PlN6thrust23THRUST_200600_302600_NS10device_ptrIlEEjNS1_19radix_merge_compareILb0ELb0ElNS0_19identity_decomposerEEEEE10hipError_tT0_T1_T2_jT3_P12ihipStream_tbPNSt15iterator_traitsISG_E10value_typeEPNSM_ISH_E10value_typeEPSI_NS1_7vsmem_tEENKUlT_SG_SH_SI_E_clIS7_S7_S7_SB_EESF_SV_SG_SH_SI_EUlSV_E0_NS1_11comp_targetILNS1_3genE8ELNS1_11target_archE1030ELNS1_3gpuE2ELNS1_3repE0EEENS1_38merge_mergepath_config_static_selectorELNS0_4arch9wavefront6targetE1EEEvSH_,@function
_ZN7rocprim17ROCPRIM_400000_NS6detail17trampoline_kernelINS0_14default_configENS1_38merge_sort_block_merge_config_selectorIllEEZZNS1_27merge_sort_block_merge_implIS3_PlN6thrust23THRUST_200600_302600_NS10device_ptrIlEEjNS1_19radix_merge_compareILb0ELb0ElNS0_19identity_decomposerEEEEE10hipError_tT0_T1_T2_jT3_P12ihipStream_tbPNSt15iterator_traitsISG_E10value_typeEPNSM_ISH_E10value_typeEPSI_NS1_7vsmem_tEENKUlT_SG_SH_SI_E_clIS7_S7_S7_SB_EESF_SV_SG_SH_SI_EUlSV_E0_NS1_11comp_targetILNS1_3genE8ELNS1_11target_archE1030ELNS1_3gpuE2ELNS1_3repE0EEENS1_38merge_mergepath_config_static_selectorELNS0_4arch9wavefront6targetE1EEEvSH_: ; @_ZN7rocprim17ROCPRIM_400000_NS6detail17trampoline_kernelINS0_14default_configENS1_38merge_sort_block_merge_config_selectorIllEEZZNS1_27merge_sort_block_merge_implIS3_PlN6thrust23THRUST_200600_302600_NS10device_ptrIlEEjNS1_19radix_merge_compareILb0ELb0ElNS0_19identity_decomposerEEEEE10hipError_tT0_T1_T2_jT3_P12ihipStream_tbPNSt15iterator_traitsISG_E10value_typeEPNSM_ISH_E10value_typeEPSI_NS1_7vsmem_tEENKUlT_SG_SH_SI_E_clIS7_S7_S7_SB_EESF_SV_SG_SH_SI_EUlSV_E0_NS1_11comp_targetILNS1_3genE8ELNS1_11target_archE1030ELNS1_3gpuE2ELNS1_3repE0EEENS1_38merge_mergepath_config_static_selectorELNS0_4arch9wavefront6targetE1EEEvSH_
; %bb.0:
	.section	.rodata,"a",@progbits
	.p2align	6, 0x0
	.amdhsa_kernel _ZN7rocprim17ROCPRIM_400000_NS6detail17trampoline_kernelINS0_14default_configENS1_38merge_sort_block_merge_config_selectorIllEEZZNS1_27merge_sort_block_merge_implIS3_PlN6thrust23THRUST_200600_302600_NS10device_ptrIlEEjNS1_19radix_merge_compareILb0ELb0ElNS0_19identity_decomposerEEEEE10hipError_tT0_T1_T2_jT3_P12ihipStream_tbPNSt15iterator_traitsISG_E10value_typeEPNSM_ISH_E10value_typeEPSI_NS1_7vsmem_tEENKUlT_SG_SH_SI_E_clIS7_S7_S7_SB_EESF_SV_SG_SH_SI_EUlSV_E0_NS1_11comp_targetILNS1_3genE8ELNS1_11target_archE1030ELNS1_3gpuE2ELNS1_3repE0EEENS1_38merge_mergepath_config_static_selectorELNS0_4arch9wavefront6targetE1EEEvSH_
		.amdhsa_group_segment_fixed_size 0
		.amdhsa_private_segment_fixed_size 0
		.amdhsa_kernarg_size 64
		.amdhsa_user_sgpr_count 6
		.amdhsa_user_sgpr_private_segment_buffer 1
		.amdhsa_user_sgpr_dispatch_ptr 0
		.amdhsa_user_sgpr_queue_ptr 0
		.amdhsa_user_sgpr_kernarg_segment_ptr 1
		.amdhsa_user_sgpr_dispatch_id 0
		.amdhsa_user_sgpr_flat_scratch_init 0
		.amdhsa_user_sgpr_private_segment_size 0
		.amdhsa_uses_dynamic_stack 0
		.amdhsa_system_sgpr_private_segment_wavefront_offset 0
		.amdhsa_system_sgpr_workgroup_id_x 1
		.amdhsa_system_sgpr_workgroup_id_y 0
		.amdhsa_system_sgpr_workgroup_id_z 0
		.amdhsa_system_sgpr_workgroup_info 0
		.amdhsa_system_vgpr_workitem_id 0
		.amdhsa_next_free_vgpr 1
		.amdhsa_next_free_sgpr 0
		.amdhsa_reserve_vcc 0
		.amdhsa_reserve_flat_scratch 0
		.amdhsa_float_round_mode_32 0
		.amdhsa_float_round_mode_16_64 0
		.amdhsa_float_denorm_mode_32 3
		.amdhsa_float_denorm_mode_16_64 3
		.amdhsa_dx10_clamp 1
		.amdhsa_ieee_mode 1
		.amdhsa_fp16_overflow 0
		.amdhsa_exception_fp_ieee_invalid_op 0
		.amdhsa_exception_fp_denorm_src 0
		.amdhsa_exception_fp_ieee_div_zero 0
		.amdhsa_exception_fp_ieee_overflow 0
		.amdhsa_exception_fp_ieee_underflow 0
		.amdhsa_exception_fp_ieee_inexact 0
		.amdhsa_exception_int_div_zero 0
	.end_amdhsa_kernel
	.section	.text._ZN7rocprim17ROCPRIM_400000_NS6detail17trampoline_kernelINS0_14default_configENS1_38merge_sort_block_merge_config_selectorIllEEZZNS1_27merge_sort_block_merge_implIS3_PlN6thrust23THRUST_200600_302600_NS10device_ptrIlEEjNS1_19radix_merge_compareILb0ELb0ElNS0_19identity_decomposerEEEEE10hipError_tT0_T1_T2_jT3_P12ihipStream_tbPNSt15iterator_traitsISG_E10value_typeEPNSM_ISH_E10value_typeEPSI_NS1_7vsmem_tEENKUlT_SG_SH_SI_E_clIS7_S7_S7_SB_EESF_SV_SG_SH_SI_EUlSV_E0_NS1_11comp_targetILNS1_3genE8ELNS1_11target_archE1030ELNS1_3gpuE2ELNS1_3repE0EEENS1_38merge_mergepath_config_static_selectorELNS0_4arch9wavefront6targetE1EEEvSH_,"axG",@progbits,_ZN7rocprim17ROCPRIM_400000_NS6detail17trampoline_kernelINS0_14default_configENS1_38merge_sort_block_merge_config_selectorIllEEZZNS1_27merge_sort_block_merge_implIS3_PlN6thrust23THRUST_200600_302600_NS10device_ptrIlEEjNS1_19radix_merge_compareILb0ELb0ElNS0_19identity_decomposerEEEEE10hipError_tT0_T1_T2_jT3_P12ihipStream_tbPNSt15iterator_traitsISG_E10value_typeEPNSM_ISH_E10value_typeEPSI_NS1_7vsmem_tEENKUlT_SG_SH_SI_E_clIS7_S7_S7_SB_EESF_SV_SG_SH_SI_EUlSV_E0_NS1_11comp_targetILNS1_3genE8ELNS1_11target_archE1030ELNS1_3gpuE2ELNS1_3repE0EEENS1_38merge_mergepath_config_static_selectorELNS0_4arch9wavefront6targetE1EEEvSH_,comdat
.Lfunc_end1025:
	.size	_ZN7rocprim17ROCPRIM_400000_NS6detail17trampoline_kernelINS0_14default_configENS1_38merge_sort_block_merge_config_selectorIllEEZZNS1_27merge_sort_block_merge_implIS3_PlN6thrust23THRUST_200600_302600_NS10device_ptrIlEEjNS1_19radix_merge_compareILb0ELb0ElNS0_19identity_decomposerEEEEE10hipError_tT0_T1_T2_jT3_P12ihipStream_tbPNSt15iterator_traitsISG_E10value_typeEPNSM_ISH_E10value_typeEPSI_NS1_7vsmem_tEENKUlT_SG_SH_SI_E_clIS7_S7_S7_SB_EESF_SV_SG_SH_SI_EUlSV_E0_NS1_11comp_targetILNS1_3genE8ELNS1_11target_archE1030ELNS1_3gpuE2ELNS1_3repE0EEENS1_38merge_mergepath_config_static_selectorELNS0_4arch9wavefront6targetE1EEEvSH_, .Lfunc_end1025-_ZN7rocprim17ROCPRIM_400000_NS6detail17trampoline_kernelINS0_14default_configENS1_38merge_sort_block_merge_config_selectorIllEEZZNS1_27merge_sort_block_merge_implIS3_PlN6thrust23THRUST_200600_302600_NS10device_ptrIlEEjNS1_19radix_merge_compareILb0ELb0ElNS0_19identity_decomposerEEEEE10hipError_tT0_T1_T2_jT3_P12ihipStream_tbPNSt15iterator_traitsISG_E10value_typeEPNSM_ISH_E10value_typeEPSI_NS1_7vsmem_tEENKUlT_SG_SH_SI_E_clIS7_S7_S7_SB_EESF_SV_SG_SH_SI_EUlSV_E0_NS1_11comp_targetILNS1_3genE8ELNS1_11target_archE1030ELNS1_3gpuE2ELNS1_3repE0EEENS1_38merge_mergepath_config_static_selectorELNS0_4arch9wavefront6targetE1EEEvSH_
                                        ; -- End function
	.set _ZN7rocprim17ROCPRIM_400000_NS6detail17trampoline_kernelINS0_14default_configENS1_38merge_sort_block_merge_config_selectorIllEEZZNS1_27merge_sort_block_merge_implIS3_PlN6thrust23THRUST_200600_302600_NS10device_ptrIlEEjNS1_19radix_merge_compareILb0ELb0ElNS0_19identity_decomposerEEEEE10hipError_tT0_T1_T2_jT3_P12ihipStream_tbPNSt15iterator_traitsISG_E10value_typeEPNSM_ISH_E10value_typeEPSI_NS1_7vsmem_tEENKUlT_SG_SH_SI_E_clIS7_S7_S7_SB_EESF_SV_SG_SH_SI_EUlSV_E0_NS1_11comp_targetILNS1_3genE8ELNS1_11target_archE1030ELNS1_3gpuE2ELNS1_3repE0EEENS1_38merge_mergepath_config_static_selectorELNS0_4arch9wavefront6targetE1EEEvSH_.num_vgpr, 0
	.set _ZN7rocprim17ROCPRIM_400000_NS6detail17trampoline_kernelINS0_14default_configENS1_38merge_sort_block_merge_config_selectorIllEEZZNS1_27merge_sort_block_merge_implIS3_PlN6thrust23THRUST_200600_302600_NS10device_ptrIlEEjNS1_19radix_merge_compareILb0ELb0ElNS0_19identity_decomposerEEEEE10hipError_tT0_T1_T2_jT3_P12ihipStream_tbPNSt15iterator_traitsISG_E10value_typeEPNSM_ISH_E10value_typeEPSI_NS1_7vsmem_tEENKUlT_SG_SH_SI_E_clIS7_S7_S7_SB_EESF_SV_SG_SH_SI_EUlSV_E0_NS1_11comp_targetILNS1_3genE8ELNS1_11target_archE1030ELNS1_3gpuE2ELNS1_3repE0EEENS1_38merge_mergepath_config_static_selectorELNS0_4arch9wavefront6targetE1EEEvSH_.num_agpr, 0
	.set _ZN7rocprim17ROCPRIM_400000_NS6detail17trampoline_kernelINS0_14default_configENS1_38merge_sort_block_merge_config_selectorIllEEZZNS1_27merge_sort_block_merge_implIS3_PlN6thrust23THRUST_200600_302600_NS10device_ptrIlEEjNS1_19radix_merge_compareILb0ELb0ElNS0_19identity_decomposerEEEEE10hipError_tT0_T1_T2_jT3_P12ihipStream_tbPNSt15iterator_traitsISG_E10value_typeEPNSM_ISH_E10value_typeEPSI_NS1_7vsmem_tEENKUlT_SG_SH_SI_E_clIS7_S7_S7_SB_EESF_SV_SG_SH_SI_EUlSV_E0_NS1_11comp_targetILNS1_3genE8ELNS1_11target_archE1030ELNS1_3gpuE2ELNS1_3repE0EEENS1_38merge_mergepath_config_static_selectorELNS0_4arch9wavefront6targetE1EEEvSH_.numbered_sgpr, 0
	.set _ZN7rocprim17ROCPRIM_400000_NS6detail17trampoline_kernelINS0_14default_configENS1_38merge_sort_block_merge_config_selectorIllEEZZNS1_27merge_sort_block_merge_implIS3_PlN6thrust23THRUST_200600_302600_NS10device_ptrIlEEjNS1_19radix_merge_compareILb0ELb0ElNS0_19identity_decomposerEEEEE10hipError_tT0_T1_T2_jT3_P12ihipStream_tbPNSt15iterator_traitsISG_E10value_typeEPNSM_ISH_E10value_typeEPSI_NS1_7vsmem_tEENKUlT_SG_SH_SI_E_clIS7_S7_S7_SB_EESF_SV_SG_SH_SI_EUlSV_E0_NS1_11comp_targetILNS1_3genE8ELNS1_11target_archE1030ELNS1_3gpuE2ELNS1_3repE0EEENS1_38merge_mergepath_config_static_selectorELNS0_4arch9wavefront6targetE1EEEvSH_.num_named_barrier, 0
	.set _ZN7rocprim17ROCPRIM_400000_NS6detail17trampoline_kernelINS0_14default_configENS1_38merge_sort_block_merge_config_selectorIllEEZZNS1_27merge_sort_block_merge_implIS3_PlN6thrust23THRUST_200600_302600_NS10device_ptrIlEEjNS1_19radix_merge_compareILb0ELb0ElNS0_19identity_decomposerEEEEE10hipError_tT0_T1_T2_jT3_P12ihipStream_tbPNSt15iterator_traitsISG_E10value_typeEPNSM_ISH_E10value_typeEPSI_NS1_7vsmem_tEENKUlT_SG_SH_SI_E_clIS7_S7_S7_SB_EESF_SV_SG_SH_SI_EUlSV_E0_NS1_11comp_targetILNS1_3genE8ELNS1_11target_archE1030ELNS1_3gpuE2ELNS1_3repE0EEENS1_38merge_mergepath_config_static_selectorELNS0_4arch9wavefront6targetE1EEEvSH_.private_seg_size, 0
	.set _ZN7rocprim17ROCPRIM_400000_NS6detail17trampoline_kernelINS0_14default_configENS1_38merge_sort_block_merge_config_selectorIllEEZZNS1_27merge_sort_block_merge_implIS3_PlN6thrust23THRUST_200600_302600_NS10device_ptrIlEEjNS1_19radix_merge_compareILb0ELb0ElNS0_19identity_decomposerEEEEE10hipError_tT0_T1_T2_jT3_P12ihipStream_tbPNSt15iterator_traitsISG_E10value_typeEPNSM_ISH_E10value_typeEPSI_NS1_7vsmem_tEENKUlT_SG_SH_SI_E_clIS7_S7_S7_SB_EESF_SV_SG_SH_SI_EUlSV_E0_NS1_11comp_targetILNS1_3genE8ELNS1_11target_archE1030ELNS1_3gpuE2ELNS1_3repE0EEENS1_38merge_mergepath_config_static_selectorELNS0_4arch9wavefront6targetE1EEEvSH_.uses_vcc, 0
	.set _ZN7rocprim17ROCPRIM_400000_NS6detail17trampoline_kernelINS0_14default_configENS1_38merge_sort_block_merge_config_selectorIllEEZZNS1_27merge_sort_block_merge_implIS3_PlN6thrust23THRUST_200600_302600_NS10device_ptrIlEEjNS1_19radix_merge_compareILb0ELb0ElNS0_19identity_decomposerEEEEE10hipError_tT0_T1_T2_jT3_P12ihipStream_tbPNSt15iterator_traitsISG_E10value_typeEPNSM_ISH_E10value_typeEPSI_NS1_7vsmem_tEENKUlT_SG_SH_SI_E_clIS7_S7_S7_SB_EESF_SV_SG_SH_SI_EUlSV_E0_NS1_11comp_targetILNS1_3genE8ELNS1_11target_archE1030ELNS1_3gpuE2ELNS1_3repE0EEENS1_38merge_mergepath_config_static_selectorELNS0_4arch9wavefront6targetE1EEEvSH_.uses_flat_scratch, 0
	.set _ZN7rocprim17ROCPRIM_400000_NS6detail17trampoline_kernelINS0_14default_configENS1_38merge_sort_block_merge_config_selectorIllEEZZNS1_27merge_sort_block_merge_implIS3_PlN6thrust23THRUST_200600_302600_NS10device_ptrIlEEjNS1_19radix_merge_compareILb0ELb0ElNS0_19identity_decomposerEEEEE10hipError_tT0_T1_T2_jT3_P12ihipStream_tbPNSt15iterator_traitsISG_E10value_typeEPNSM_ISH_E10value_typeEPSI_NS1_7vsmem_tEENKUlT_SG_SH_SI_E_clIS7_S7_S7_SB_EESF_SV_SG_SH_SI_EUlSV_E0_NS1_11comp_targetILNS1_3genE8ELNS1_11target_archE1030ELNS1_3gpuE2ELNS1_3repE0EEENS1_38merge_mergepath_config_static_selectorELNS0_4arch9wavefront6targetE1EEEvSH_.has_dyn_sized_stack, 0
	.set _ZN7rocprim17ROCPRIM_400000_NS6detail17trampoline_kernelINS0_14default_configENS1_38merge_sort_block_merge_config_selectorIllEEZZNS1_27merge_sort_block_merge_implIS3_PlN6thrust23THRUST_200600_302600_NS10device_ptrIlEEjNS1_19radix_merge_compareILb0ELb0ElNS0_19identity_decomposerEEEEE10hipError_tT0_T1_T2_jT3_P12ihipStream_tbPNSt15iterator_traitsISG_E10value_typeEPNSM_ISH_E10value_typeEPSI_NS1_7vsmem_tEENKUlT_SG_SH_SI_E_clIS7_S7_S7_SB_EESF_SV_SG_SH_SI_EUlSV_E0_NS1_11comp_targetILNS1_3genE8ELNS1_11target_archE1030ELNS1_3gpuE2ELNS1_3repE0EEENS1_38merge_mergepath_config_static_selectorELNS0_4arch9wavefront6targetE1EEEvSH_.has_recursion, 0
	.set _ZN7rocprim17ROCPRIM_400000_NS6detail17trampoline_kernelINS0_14default_configENS1_38merge_sort_block_merge_config_selectorIllEEZZNS1_27merge_sort_block_merge_implIS3_PlN6thrust23THRUST_200600_302600_NS10device_ptrIlEEjNS1_19radix_merge_compareILb0ELb0ElNS0_19identity_decomposerEEEEE10hipError_tT0_T1_T2_jT3_P12ihipStream_tbPNSt15iterator_traitsISG_E10value_typeEPNSM_ISH_E10value_typeEPSI_NS1_7vsmem_tEENKUlT_SG_SH_SI_E_clIS7_S7_S7_SB_EESF_SV_SG_SH_SI_EUlSV_E0_NS1_11comp_targetILNS1_3genE8ELNS1_11target_archE1030ELNS1_3gpuE2ELNS1_3repE0EEENS1_38merge_mergepath_config_static_selectorELNS0_4arch9wavefront6targetE1EEEvSH_.has_indirect_call, 0
	.section	.AMDGPU.csdata,"",@progbits
; Kernel info:
; codeLenInByte = 0
; TotalNumSgprs: 4
; NumVgprs: 0
; ScratchSize: 0
; MemoryBound: 0
; FloatMode: 240
; IeeeMode: 1
; LDSByteSize: 0 bytes/workgroup (compile time only)
; SGPRBlocks: 0
; VGPRBlocks: 0
; NumSGPRsForWavesPerEU: 4
; NumVGPRsForWavesPerEU: 1
; Occupancy: 10
; WaveLimiterHint : 0
; COMPUTE_PGM_RSRC2:SCRATCH_EN: 0
; COMPUTE_PGM_RSRC2:USER_SGPR: 6
; COMPUTE_PGM_RSRC2:TRAP_HANDLER: 0
; COMPUTE_PGM_RSRC2:TGID_X_EN: 1
; COMPUTE_PGM_RSRC2:TGID_Y_EN: 0
; COMPUTE_PGM_RSRC2:TGID_Z_EN: 0
; COMPUTE_PGM_RSRC2:TIDIG_COMP_CNT: 0
	.section	.text._ZN7rocprim17ROCPRIM_400000_NS6detail17trampoline_kernelINS0_14default_configENS1_38merge_sort_block_merge_config_selectorIllEEZZNS1_27merge_sort_block_merge_implIS3_PlN6thrust23THRUST_200600_302600_NS10device_ptrIlEEjNS1_19radix_merge_compareILb0ELb0ElNS0_19identity_decomposerEEEEE10hipError_tT0_T1_T2_jT3_P12ihipStream_tbPNSt15iterator_traitsISG_E10value_typeEPNSM_ISH_E10value_typeEPSI_NS1_7vsmem_tEENKUlT_SG_SH_SI_E_clIS7_S7_S7_SB_EESF_SV_SG_SH_SI_EUlSV_E1_NS1_11comp_targetILNS1_3genE0ELNS1_11target_archE4294967295ELNS1_3gpuE0ELNS1_3repE0EEENS1_36merge_oddeven_config_static_selectorELNS0_4arch9wavefront6targetE1EEEvSH_,"axG",@progbits,_ZN7rocprim17ROCPRIM_400000_NS6detail17trampoline_kernelINS0_14default_configENS1_38merge_sort_block_merge_config_selectorIllEEZZNS1_27merge_sort_block_merge_implIS3_PlN6thrust23THRUST_200600_302600_NS10device_ptrIlEEjNS1_19radix_merge_compareILb0ELb0ElNS0_19identity_decomposerEEEEE10hipError_tT0_T1_T2_jT3_P12ihipStream_tbPNSt15iterator_traitsISG_E10value_typeEPNSM_ISH_E10value_typeEPSI_NS1_7vsmem_tEENKUlT_SG_SH_SI_E_clIS7_S7_S7_SB_EESF_SV_SG_SH_SI_EUlSV_E1_NS1_11comp_targetILNS1_3genE0ELNS1_11target_archE4294967295ELNS1_3gpuE0ELNS1_3repE0EEENS1_36merge_oddeven_config_static_selectorELNS0_4arch9wavefront6targetE1EEEvSH_,comdat
	.protected	_ZN7rocprim17ROCPRIM_400000_NS6detail17trampoline_kernelINS0_14default_configENS1_38merge_sort_block_merge_config_selectorIllEEZZNS1_27merge_sort_block_merge_implIS3_PlN6thrust23THRUST_200600_302600_NS10device_ptrIlEEjNS1_19radix_merge_compareILb0ELb0ElNS0_19identity_decomposerEEEEE10hipError_tT0_T1_T2_jT3_P12ihipStream_tbPNSt15iterator_traitsISG_E10value_typeEPNSM_ISH_E10value_typeEPSI_NS1_7vsmem_tEENKUlT_SG_SH_SI_E_clIS7_S7_S7_SB_EESF_SV_SG_SH_SI_EUlSV_E1_NS1_11comp_targetILNS1_3genE0ELNS1_11target_archE4294967295ELNS1_3gpuE0ELNS1_3repE0EEENS1_36merge_oddeven_config_static_selectorELNS0_4arch9wavefront6targetE1EEEvSH_ ; -- Begin function _ZN7rocprim17ROCPRIM_400000_NS6detail17trampoline_kernelINS0_14default_configENS1_38merge_sort_block_merge_config_selectorIllEEZZNS1_27merge_sort_block_merge_implIS3_PlN6thrust23THRUST_200600_302600_NS10device_ptrIlEEjNS1_19radix_merge_compareILb0ELb0ElNS0_19identity_decomposerEEEEE10hipError_tT0_T1_T2_jT3_P12ihipStream_tbPNSt15iterator_traitsISG_E10value_typeEPNSM_ISH_E10value_typeEPSI_NS1_7vsmem_tEENKUlT_SG_SH_SI_E_clIS7_S7_S7_SB_EESF_SV_SG_SH_SI_EUlSV_E1_NS1_11comp_targetILNS1_3genE0ELNS1_11target_archE4294967295ELNS1_3gpuE0ELNS1_3repE0EEENS1_36merge_oddeven_config_static_selectorELNS0_4arch9wavefront6targetE1EEEvSH_
	.globl	_ZN7rocprim17ROCPRIM_400000_NS6detail17trampoline_kernelINS0_14default_configENS1_38merge_sort_block_merge_config_selectorIllEEZZNS1_27merge_sort_block_merge_implIS3_PlN6thrust23THRUST_200600_302600_NS10device_ptrIlEEjNS1_19radix_merge_compareILb0ELb0ElNS0_19identity_decomposerEEEEE10hipError_tT0_T1_T2_jT3_P12ihipStream_tbPNSt15iterator_traitsISG_E10value_typeEPNSM_ISH_E10value_typeEPSI_NS1_7vsmem_tEENKUlT_SG_SH_SI_E_clIS7_S7_S7_SB_EESF_SV_SG_SH_SI_EUlSV_E1_NS1_11comp_targetILNS1_3genE0ELNS1_11target_archE4294967295ELNS1_3gpuE0ELNS1_3repE0EEENS1_36merge_oddeven_config_static_selectorELNS0_4arch9wavefront6targetE1EEEvSH_
	.p2align	8
	.type	_ZN7rocprim17ROCPRIM_400000_NS6detail17trampoline_kernelINS0_14default_configENS1_38merge_sort_block_merge_config_selectorIllEEZZNS1_27merge_sort_block_merge_implIS3_PlN6thrust23THRUST_200600_302600_NS10device_ptrIlEEjNS1_19radix_merge_compareILb0ELb0ElNS0_19identity_decomposerEEEEE10hipError_tT0_T1_T2_jT3_P12ihipStream_tbPNSt15iterator_traitsISG_E10value_typeEPNSM_ISH_E10value_typeEPSI_NS1_7vsmem_tEENKUlT_SG_SH_SI_E_clIS7_S7_S7_SB_EESF_SV_SG_SH_SI_EUlSV_E1_NS1_11comp_targetILNS1_3genE0ELNS1_11target_archE4294967295ELNS1_3gpuE0ELNS1_3repE0EEENS1_36merge_oddeven_config_static_selectorELNS0_4arch9wavefront6targetE1EEEvSH_,@function
_ZN7rocprim17ROCPRIM_400000_NS6detail17trampoline_kernelINS0_14default_configENS1_38merge_sort_block_merge_config_selectorIllEEZZNS1_27merge_sort_block_merge_implIS3_PlN6thrust23THRUST_200600_302600_NS10device_ptrIlEEjNS1_19radix_merge_compareILb0ELb0ElNS0_19identity_decomposerEEEEE10hipError_tT0_T1_T2_jT3_P12ihipStream_tbPNSt15iterator_traitsISG_E10value_typeEPNSM_ISH_E10value_typeEPSI_NS1_7vsmem_tEENKUlT_SG_SH_SI_E_clIS7_S7_S7_SB_EESF_SV_SG_SH_SI_EUlSV_E1_NS1_11comp_targetILNS1_3genE0ELNS1_11target_archE4294967295ELNS1_3gpuE0ELNS1_3repE0EEENS1_36merge_oddeven_config_static_selectorELNS0_4arch9wavefront6targetE1EEEvSH_: ; @_ZN7rocprim17ROCPRIM_400000_NS6detail17trampoline_kernelINS0_14default_configENS1_38merge_sort_block_merge_config_selectorIllEEZZNS1_27merge_sort_block_merge_implIS3_PlN6thrust23THRUST_200600_302600_NS10device_ptrIlEEjNS1_19radix_merge_compareILb0ELb0ElNS0_19identity_decomposerEEEEE10hipError_tT0_T1_T2_jT3_P12ihipStream_tbPNSt15iterator_traitsISG_E10value_typeEPNSM_ISH_E10value_typeEPSI_NS1_7vsmem_tEENKUlT_SG_SH_SI_E_clIS7_S7_S7_SB_EESF_SV_SG_SH_SI_EUlSV_E1_NS1_11comp_targetILNS1_3genE0ELNS1_11target_archE4294967295ELNS1_3gpuE0ELNS1_3repE0EEENS1_36merge_oddeven_config_static_selectorELNS0_4arch9wavefront6targetE1EEEvSH_
; %bb.0:
	.section	.rodata,"a",@progbits
	.p2align	6, 0x0
	.amdhsa_kernel _ZN7rocprim17ROCPRIM_400000_NS6detail17trampoline_kernelINS0_14default_configENS1_38merge_sort_block_merge_config_selectorIllEEZZNS1_27merge_sort_block_merge_implIS3_PlN6thrust23THRUST_200600_302600_NS10device_ptrIlEEjNS1_19radix_merge_compareILb0ELb0ElNS0_19identity_decomposerEEEEE10hipError_tT0_T1_T2_jT3_P12ihipStream_tbPNSt15iterator_traitsISG_E10value_typeEPNSM_ISH_E10value_typeEPSI_NS1_7vsmem_tEENKUlT_SG_SH_SI_E_clIS7_S7_S7_SB_EESF_SV_SG_SH_SI_EUlSV_E1_NS1_11comp_targetILNS1_3genE0ELNS1_11target_archE4294967295ELNS1_3gpuE0ELNS1_3repE0EEENS1_36merge_oddeven_config_static_selectorELNS0_4arch9wavefront6targetE1EEEvSH_
		.amdhsa_group_segment_fixed_size 0
		.amdhsa_private_segment_fixed_size 0
		.amdhsa_kernarg_size 48
		.amdhsa_user_sgpr_count 6
		.amdhsa_user_sgpr_private_segment_buffer 1
		.amdhsa_user_sgpr_dispatch_ptr 0
		.amdhsa_user_sgpr_queue_ptr 0
		.amdhsa_user_sgpr_kernarg_segment_ptr 1
		.amdhsa_user_sgpr_dispatch_id 0
		.amdhsa_user_sgpr_flat_scratch_init 0
		.amdhsa_user_sgpr_private_segment_size 0
		.amdhsa_uses_dynamic_stack 0
		.amdhsa_system_sgpr_private_segment_wavefront_offset 0
		.amdhsa_system_sgpr_workgroup_id_x 1
		.amdhsa_system_sgpr_workgroup_id_y 0
		.amdhsa_system_sgpr_workgroup_id_z 0
		.amdhsa_system_sgpr_workgroup_info 0
		.amdhsa_system_vgpr_workitem_id 0
		.amdhsa_next_free_vgpr 1
		.amdhsa_next_free_sgpr 0
		.amdhsa_reserve_vcc 0
		.amdhsa_reserve_flat_scratch 0
		.amdhsa_float_round_mode_32 0
		.amdhsa_float_round_mode_16_64 0
		.amdhsa_float_denorm_mode_32 3
		.amdhsa_float_denorm_mode_16_64 3
		.amdhsa_dx10_clamp 1
		.amdhsa_ieee_mode 1
		.amdhsa_fp16_overflow 0
		.amdhsa_exception_fp_ieee_invalid_op 0
		.amdhsa_exception_fp_denorm_src 0
		.amdhsa_exception_fp_ieee_div_zero 0
		.amdhsa_exception_fp_ieee_overflow 0
		.amdhsa_exception_fp_ieee_underflow 0
		.amdhsa_exception_fp_ieee_inexact 0
		.amdhsa_exception_int_div_zero 0
	.end_amdhsa_kernel
	.section	.text._ZN7rocprim17ROCPRIM_400000_NS6detail17trampoline_kernelINS0_14default_configENS1_38merge_sort_block_merge_config_selectorIllEEZZNS1_27merge_sort_block_merge_implIS3_PlN6thrust23THRUST_200600_302600_NS10device_ptrIlEEjNS1_19radix_merge_compareILb0ELb0ElNS0_19identity_decomposerEEEEE10hipError_tT0_T1_T2_jT3_P12ihipStream_tbPNSt15iterator_traitsISG_E10value_typeEPNSM_ISH_E10value_typeEPSI_NS1_7vsmem_tEENKUlT_SG_SH_SI_E_clIS7_S7_S7_SB_EESF_SV_SG_SH_SI_EUlSV_E1_NS1_11comp_targetILNS1_3genE0ELNS1_11target_archE4294967295ELNS1_3gpuE0ELNS1_3repE0EEENS1_36merge_oddeven_config_static_selectorELNS0_4arch9wavefront6targetE1EEEvSH_,"axG",@progbits,_ZN7rocprim17ROCPRIM_400000_NS6detail17trampoline_kernelINS0_14default_configENS1_38merge_sort_block_merge_config_selectorIllEEZZNS1_27merge_sort_block_merge_implIS3_PlN6thrust23THRUST_200600_302600_NS10device_ptrIlEEjNS1_19radix_merge_compareILb0ELb0ElNS0_19identity_decomposerEEEEE10hipError_tT0_T1_T2_jT3_P12ihipStream_tbPNSt15iterator_traitsISG_E10value_typeEPNSM_ISH_E10value_typeEPSI_NS1_7vsmem_tEENKUlT_SG_SH_SI_E_clIS7_S7_S7_SB_EESF_SV_SG_SH_SI_EUlSV_E1_NS1_11comp_targetILNS1_3genE0ELNS1_11target_archE4294967295ELNS1_3gpuE0ELNS1_3repE0EEENS1_36merge_oddeven_config_static_selectorELNS0_4arch9wavefront6targetE1EEEvSH_,comdat
.Lfunc_end1026:
	.size	_ZN7rocprim17ROCPRIM_400000_NS6detail17trampoline_kernelINS0_14default_configENS1_38merge_sort_block_merge_config_selectorIllEEZZNS1_27merge_sort_block_merge_implIS3_PlN6thrust23THRUST_200600_302600_NS10device_ptrIlEEjNS1_19radix_merge_compareILb0ELb0ElNS0_19identity_decomposerEEEEE10hipError_tT0_T1_T2_jT3_P12ihipStream_tbPNSt15iterator_traitsISG_E10value_typeEPNSM_ISH_E10value_typeEPSI_NS1_7vsmem_tEENKUlT_SG_SH_SI_E_clIS7_S7_S7_SB_EESF_SV_SG_SH_SI_EUlSV_E1_NS1_11comp_targetILNS1_3genE0ELNS1_11target_archE4294967295ELNS1_3gpuE0ELNS1_3repE0EEENS1_36merge_oddeven_config_static_selectorELNS0_4arch9wavefront6targetE1EEEvSH_, .Lfunc_end1026-_ZN7rocprim17ROCPRIM_400000_NS6detail17trampoline_kernelINS0_14default_configENS1_38merge_sort_block_merge_config_selectorIllEEZZNS1_27merge_sort_block_merge_implIS3_PlN6thrust23THRUST_200600_302600_NS10device_ptrIlEEjNS1_19radix_merge_compareILb0ELb0ElNS0_19identity_decomposerEEEEE10hipError_tT0_T1_T2_jT3_P12ihipStream_tbPNSt15iterator_traitsISG_E10value_typeEPNSM_ISH_E10value_typeEPSI_NS1_7vsmem_tEENKUlT_SG_SH_SI_E_clIS7_S7_S7_SB_EESF_SV_SG_SH_SI_EUlSV_E1_NS1_11comp_targetILNS1_3genE0ELNS1_11target_archE4294967295ELNS1_3gpuE0ELNS1_3repE0EEENS1_36merge_oddeven_config_static_selectorELNS0_4arch9wavefront6targetE1EEEvSH_
                                        ; -- End function
	.set _ZN7rocprim17ROCPRIM_400000_NS6detail17trampoline_kernelINS0_14default_configENS1_38merge_sort_block_merge_config_selectorIllEEZZNS1_27merge_sort_block_merge_implIS3_PlN6thrust23THRUST_200600_302600_NS10device_ptrIlEEjNS1_19radix_merge_compareILb0ELb0ElNS0_19identity_decomposerEEEEE10hipError_tT0_T1_T2_jT3_P12ihipStream_tbPNSt15iterator_traitsISG_E10value_typeEPNSM_ISH_E10value_typeEPSI_NS1_7vsmem_tEENKUlT_SG_SH_SI_E_clIS7_S7_S7_SB_EESF_SV_SG_SH_SI_EUlSV_E1_NS1_11comp_targetILNS1_3genE0ELNS1_11target_archE4294967295ELNS1_3gpuE0ELNS1_3repE0EEENS1_36merge_oddeven_config_static_selectorELNS0_4arch9wavefront6targetE1EEEvSH_.num_vgpr, 0
	.set _ZN7rocprim17ROCPRIM_400000_NS6detail17trampoline_kernelINS0_14default_configENS1_38merge_sort_block_merge_config_selectorIllEEZZNS1_27merge_sort_block_merge_implIS3_PlN6thrust23THRUST_200600_302600_NS10device_ptrIlEEjNS1_19radix_merge_compareILb0ELb0ElNS0_19identity_decomposerEEEEE10hipError_tT0_T1_T2_jT3_P12ihipStream_tbPNSt15iterator_traitsISG_E10value_typeEPNSM_ISH_E10value_typeEPSI_NS1_7vsmem_tEENKUlT_SG_SH_SI_E_clIS7_S7_S7_SB_EESF_SV_SG_SH_SI_EUlSV_E1_NS1_11comp_targetILNS1_3genE0ELNS1_11target_archE4294967295ELNS1_3gpuE0ELNS1_3repE0EEENS1_36merge_oddeven_config_static_selectorELNS0_4arch9wavefront6targetE1EEEvSH_.num_agpr, 0
	.set _ZN7rocprim17ROCPRIM_400000_NS6detail17trampoline_kernelINS0_14default_configENS1_38merge_sort_block_merge_config_selectorIllEEZZNS1_27merge_sort_block_merge_implIS3_PlN6thrust23THRUST_200600_302600_NS10device_ptrIlEEjNS1_19radix_merge_compareILb0ELb0ElNS0_19identity_decomposerEEEEE10hipError_tT0_T1_T2_jT3_P12ihipStream_tbPNSt15iterator_traitsISG_E10value_typeEPNSM_ISH_E10value_typeEPSI_NS1_7vsmem_tEENKUlT_SG_SH_SI_E_clIS7_S7_S7_SB_EESF_SV_SG_SH_SI_EUlSV_E1_NS1_11comp_targetILNS1_3genE0ELNS1_11target_archE4294967295ELNS1_3gpuE0ELNS1_3repE0EEENS1_36merge_oddeven_config_static_selectorELNS0_4arch9wavefront6targetE1EEEvSH_.numbered_sgpr, 0
	.set _ZN7rocprim17ROCPRIM_400000_NS6detail17trampoline_kernelINS0_14default_configENS1_38merge_sort_block_merge_config_selectorIllEEZZNS1_27merge_sort_block_merge_implIS3_PlN6thrust23THRUST_200600_302600_NS10device_ptrIlEEjNS1_19radix_merge_compareILb0ELb0ElNS0_19identity_decomposerEEEEE10hipError_tT0_T1_T2_jT3_P12ihipStream_tbPNSt15iterator_traitsISG_E10value_typeEPNSM_ISH_E10value_typeEPSI_NS1_7vsmem_tEENKUlT_SG_SH_SI_E_clIS7_S7_S7_SB_EESF_SV_SG_SH_SI_EUlSV_E1_NS1_11comp_targetILNS1_3genE0ELNS1_11target_archE4294967295ELNS1_3gpuE0ELNS1_3repE0EEENS1_36merge_oddeven_config_static_selectorELNS0_4arch9wavefront6targetE1EEEvSH_.num_named_barrier, 0
	.set _ZN7rocprim17ROCPRIM_400000_NS6detail17trampoline_kernelINS0_14default_configENS1_38merge_sort_block_merge_config_selectorIllEEZZNS1_27merge_sort_block_merge_implIS3_PlN6thrust23THRUST_200600_302600_NS10device_ptrIlEEjNS1_19radix_merge_compareILb0ELb0ElNS0_19identity_decomposerEEEEE10hipError_tT0_T1_T2_jT3_P12ihipStream_tbPNSt15iterator_traitsISG_E10value_typeEPNSM_ISH_E10value_typeEPSI_NS1_7vsmem_tEENKUlT_SG_SH_SI_E_clIS7_S7_S7_SB_EESF_SV_SG_SH_SI_EUlSV_E1_NS1_11comp_targetILNS1_3genE0ELNS1_11target_archE4294967295ELNS1_3gpuE0ELNS1_3repE0EEENS1_36merge_oddeven_config_static_selectorELNS0_4arch9wavefront6targetE1EEEvSH_.private_seg_size, 0
	.set _ZN7rocprim17ROCPRIM_400000_NS6detail17trampoline_kernelINS0_14default_configENS1_38merge_sort_block_merge_config_selectorIllEEZZNS1_27merge_sort_block_merge_implIS3_PlN6thrust23THRUST_200600_302600_NS10device_ptrIlEEjNS1_19radix_merge_compareILb0ELb0ElNS0_19identity_decomposerEEEEE10hipError_tT0_T1_T2_jT3_P12ihipStream_tbPNSt15iterator_traitsISG_E10value_typeEPNSM_ISH_E10value_typeEPSI_NS1_7vsmem_tEENKUlT_SG_SH_SI_E_clIS7_S7_S7_SB_EESF_SV_SG_SH_SI_EUlSV_E1_NS1_11comp_targetILNS1_3genE0ELNS1_11target_archE4294967295ELNS1_3gpuE0ELNS1_3repE0EEENS1_36merge_oddeven_config_static_selectorELNS0_4arch9wavefront6targetE1EEEvSH_.uses_vcc, 0
	.set _ZN7rocprim17ROCPRIM_400000_NS6detail17trampoline_kernelINS0_14default_configENS1_38merge_sort_block_merge_config_selectorIllEEZZNS1_27merge_sort_block_merge_implIS3_PlN6thrust23THRUST_200600_302600_NS10device_ptrIlEEjNS1_19radix_merge_compareILb0ELb0ElNS0_19identity_decomposerEEEEE10hipError_tT0_T1_T2_jT3_P12ihipStream_tbPNSt15iterator_traitsISG_E10value_typeEPNSM_ISH_E10value_typeEPSI_NS1_7vsmem_tEENKUlT_SG_SH_SI_E_clIS7_S7_S7_SB_EESF_SV_SG_SH_SI_EUlSV_E1_NS1_11comp_targetILNS1_3genE0ELNS1_11target_archE4294967295ELNS1_3gpuE0ELNS1_3repE0EEENS1_36merge_oddeven_config_static_selectorELNS0_4arch9wavefront6targetE1EEEvSH_.uses_flat_scratch, 0
	.set _ZN7rocprim17ROCPRIM_400000_NS6detail17trampoline_kernelINS0_14default_configENS1_38merge_sort_block_merge_config_selectorIllEEZZNS1_27merge_sort_block_merge_implIS3_PlN6thrust23THRUST_200600_302600_NS10device_ptrIlEEjNS1_19radix_merge_compareILb0ELb0ElNS0_19identity_decomposerEEEEE10hipError_tT0_T1_T2_jT3_P12ihipStream_tbPNSt15iterator_traitsISG_E10value_typeEPNSM_ISH_E10value_typeEPSI_NS1_7vsmem_tEENKUlT_SG_SH_SI_E_clIS7_S7_S7_SB_EESF_SV_SG_SH_SI_EUlSV_E1_NS1_11comp_targetILNS1_3genE0ELNS1_11target_archE4294967295ELNS1_3gpuE0ELNS1_3repE0EEENS1_36merge_oddeven_config_static_selectorELNS0_4arch9wavefront6targetE1EEEvSH_.has_dyn_sized_stack, 0
	.set _ZN7rocprim17ROCPRIM_400000_NS6detail17trampoline_kernelINS0_14default_configENS1_38merge_sort_block_merge_config_selectorIllEEZZNS1_27merge_sort_block_merge_implIS3_PlN6thrust23THRUST_200600_302600_NS10device_ptrIlEEjNS1_19radix_merge_compareILb0ELb0ElNS0_19identity_decomposerEEEEE10hipError_tT0_T1_T2_jT3_P12ihipStream_tbPNSt15iterator_traitsISG_E10value_typeEPNSM_ISH_E10value_typeEPSI_NS1_7vsmem_tEENKUlT_SG_SH_SI_E_clIS7_S7_S7_SB_EESF_SV_SG_SH_SI_EUlSV_E1_NS1_11comp_targetILNS1_3genE0ELNS1_11target_archE4294967295ELNS1_3gpuE0ELNS1_3repE0EEENS1_36merge_oddeven_config_static_selectorELNS0_4arch9wavefront6targetE1EEEvSH_.has_recursion, 0
	.set _ZN7rocprim17ROCPRIM_400000_NS6detail17trampoline_kernelINS0_14default_configENS1_38merge_sort_block_merge_config_selectorIllEEZZNS1_27merge_sort_block_merge_implIS3_PlN6thrust23THRUST_200600_302600_NS10device_ptrIlEEjNS1_19radix_merge_compareILb0ELb0ElNS0_19identity_decomposerEEEEE10hipError_tT0_T1_T2_jT3_P12ihipStream_tbPNSt15iterator_traitsISG_E10value_typeEPNSM_ISH_E10value_typeEPSI_NS1_7vsmem_tEENKUlT_SG_SH_SI_E_clIS7_S7_S7_SB_EESF_SV_SG_SH_SI_EUlSV_E1_NS1_11comp_targetILNS1_3genE0ELNS1_11target_archE4294967295ELNS1_3gpuE0ELNS1_3repE0EEENS1_36merge_oddeven_config_static_selectorELNS0_4arch9wavefront6targetE1EEEvSH_.has_indirect_call, 0
	.section	.AMDGPU.csdata,"",@progbits
; Kernel info:
; codeLenInByte = 0
; TotalNumSgprs: 4
; NumVgprs: 0
; ScratchSize: 0
; MemoryBound: 0
; FloatMode: 240
; IeeeMode: 1
; LDSByteSize: 0 bytes/workgroup (compile time only)
; SGPRBlocks: 0
; VGPRBlocks: 0
; NumSGPRsForWavesPerEU: 4
; NumVGPRsForWavesPerEU: 1
; Occupancy: 10
; WaveLimiterHint : 0
; COMPUTE_PGM_RSRC2:SCRATCH_EN: 0
; COMPUTE_PGM_RSRC2:USER_SGPR: 6
; COMPUTE_PGM_RSRC2:TRAP_HANDLER: 0
; COMPUTE_PGM_RSRC2:TGID_X_EN: 1
; COMPUTE_PGM_RSRC2:TGID_Y_EN: 0
; COMPUTE_PGM_RSRC2:TGID_Z_EN: 0
; COMPUTE_PGM_RSRC2:TIDIG_COMP_CNT: 0
	.section	.text._ZN7rocprim17ROCPRIM_400000_NS6detail17trampoline_kernelINS0_14default_configENS1_38merge_sort_block_merge_config_selectorIllEEZZNS1_27merge_sort_block_merge_implIS3_PlN6thrust23THRUST_200600_302600_NS10device_ptrIlEEjNS1_19radix_merge_compareILb0ELb0ElNS0_19identity_decomposerEEEEE10hipError_tT0_T1_T2_jT3_P12ihipStream_tbPNSt15iterator_traitsISG_E10value_typeEPNSM_ISH_E10value_typeEPSI_NS1_7vsmem_tEENKUlT_SG_SH_SI_E_clIS7_S7_S7_SB_EESF_SV_SG_SH_SI_EUlSV_E1_NS1_11comp_targetILNS1_3genE10ELNS1_11target_archE1201ELNS1_3gpuE5ELNS1_3repE0EEENS1_36merge_oddeven_config_static_selectorELNS0_4arch9wavefront6targetE1EEEvSH_,"axG",@progbits,_ZN7rocprim17ROCPRIM_400000_NS6detail17trampoline_kernelINS0_14default_configENS1_38merge_sort_block_merge_config_selectorIllEEZZNS1_27merge_sort_block_merge_implIS3_PlN6thrust23THRUST_200600_302600_NS10device_ptrIlEEjNS1_19radix_merge_compareILb0ELb0ElNS0_19identity_decomposerEEEEE10hipError_tT0_T1_T2_jT3_P12ihipStream_tbPNSt15iterator_traitsISG_E10value_typeEPNSM_ISH_E10value_typeEPSI_NS1_7vsmem_tEENKUlT_SG_SH_SI_E_clIS7_S7_S7_SB_EESF_SV_SG_SH_SI_EUlSV_E1_NS1_11comp_targetILNS1_3genE10ELNS1_11target_archE1201ELNS1_3gpuE5ELNS1_3repE0EEENS1_36merge_oddeven_config_static_selectorELNS0_4arch9wavefront6targetE1EEEvSH_,comdat
	.protected	_ZN7rocprim17ROCPRIM_400000_NS6detail17trampoline_kernelINS0_14default_configENS1_38merge_sort_block_merge_config_selectorIllEEZZNS1_27merge_sort_block_merge_implIS3_PlN6thrust23THRUST_200600_302600_NS10device_ptrIlEEjNS1_19radix_merge_compareILb0ELb0ElNS0_19identity_decomposerEEEEE10hipError_tT0_T1_T2_jT3_P12ihipStream_tbPNSt15iterator_traitsISG_E10value_typeEPNSM_ISH_E10value_typeEPSI_NS1_7vsmem_tEENKUlT_SG_SH_SI_E_clIS7_S7_S7_SB_EESF_SV_SG_SH_SI_EUlSV_E1_NS1_11comp_targetILNS1_3genE10ELNS1_11target_archE1201ELNS1_3gpuE5ELNS1_3repE0EEENS1_36merge_oddeven_config_static_selectorELNS0_4arch9wavefront6targetE1EEEvSH_ ; -- Begin function _ZN7rocprim17ROCPRIM_400000_NS6detail17trampoline_kernelINS0_14default_configENS1_38merge_sort_block_merge_config_selectorIllEEZZNS1_27merge_sort_block_merge_implIS3_PlN6thrust23THRUST_200600_302600_NS10device_ptrIlEEjNS1_19radix_merge_compareILb0ELb0ElNS0_19identity_decomposerEEEEE10hipError_tT0_T1_T2_jT3_P12ihipStream_tbPNSt15iterator_traitsISG_E10value_typeEPNSM_ISH_E10value_typeEPSI_NS1_7vsmem_tEENKUlT_SG_SH_SI_E_clIS7_S7_S7_SB_EESF_SV_SG_SH_SI_EUlSV_E1_NS1_11comp_targetILNS1_3genE10ELNS1_11target_archE1201ELNS1_3gpuE5ELNS1_3repE0EEENS1_36merge_oddeven_config_static_selectorELNS0_4arch9wavefront6targetE1EEEvSH_
	.globl	_ZN7rocprim17ROCPRIM_400000_NS6detail17trampoline_kernelINS0_14default_configENS1_38merge_sort_block_merge_config_selectorIllEEZZNS1_27merge_sort_block_merge_implIS3_PlN6thrust23THRUST_200600_302600_NS10device_ptrIlEEjNS1_19radix_merge_compareILb0ELb0ElNS0_19identity_decomposerEEEEE10hipError_tT0_T1_T2_jT3_P12ihipStream_tbPNSt15iterator_traitsISG_E10value_typeEPNSM_ISH_E10value_typeEPSI_NS1_7vsmem_tEENKUlT_SG_SH_SI_E_clIS7_S7_S7_SB_EESF_SV_SG_SH_SI_EUlSV_E1_NS1_11comp_targetILNS1_3genE10ELNS1_11target_archE1201ELNS1_3gpuE5ELNS1_3repE0EEENS1_36merge_oddeven_config_static_selectorELNS0_4arch9wavefront6targetE1EEEvSH_
	.p2align	8
	.type	_ZN7rocprim17ROCPRIM_400000_NS6detail17trampoline_kernelINS0_14default_configENS1_38merge_sort_block_merge_config_selectorIllEEZZNS1_27merge_sort_block_merge_implIS3_PlN6thrust23THRUST_200600_302600_NS10device_ptrIlEEjNS1_19radix_merge_compareILb0ELb0ElNS0_19identity_decomposerEEEEE10hipError_tT0_T1_T2_jT3_P12ihipStream_tbPNSt15iterator_traitsISG_E10value_typeEPNSM_ISH_E10value_typeEPSI_NS1_7vsmem_tEENKUlT_SG_SH_SI_E_clIS7_S7_S7_SB_EESF_SV_SG_SH_SI_EUlSV_E1_NS1_11comp_targetILNS1_3genE10ELNS1_11target_archE1201ELNS1_3gpuE5ELNS1_3repE0EEENS1_36merge_oddeven_config_static_selectorELNS0_4arch9wavefront6targetE1EEEvSH_,@function
_ZN7rocprim17ROCPRIM_400000_NS6detail17trampoline_kernelINS0_14default_configENS1_38merge_sort_block_merge_config_selectorIllEEZZNS1_27merge_sort_block_merge_implIS3_PlN6thrust23THRUST_200600_302600_NS10device_ptrIlEEjNS1_19radix_merge_compareILb0ELb0ElNS0_19identity_decomposerEEEEE10hipError_tT0_T1_T2_jT3_P12ihipStream_tbPNSt15iterator_traitsISG_E10value_typeEPNSM_ISH_E10value_typeEPSI_NS1_7vsmem_tEENKUlT_SG_SH_SI_E_clIS7_S7_S7_SB_EESF_SV_SG_SH_SI_EUlSV_E1_NS1_11comp_targetILNS1_3genE10ELNS1_11target_archE1201ELNS1_3gpuE5ELNS1_3repE0EEENS1_36merge_oddeven_config_static_selectorELNS0_4arch9wavefront6targetE1EEEvSH_: ; @_ZN7rocprim17ROCPRIM_400000_NS6detail17trampoline_kernelINS0_14default_configENS1_38merge_sort_block_merge_config_selectorIllEEZZNS1_27merge_sort_block_merge_implIS3_PlN6thrust23THRUST_200600_302600_NS10device_ptrIlEEjNS1_19radix_merge_compareILb0ELb0ElNS0_19identity_decomposerEEEEE10hipError_tT0_T1_T2_jT3_P12ihipStream_tbPNSt15iterator_traitsISG_E10value_typeEPNSM_ISH_E10value_typeEPSI_NS1_7vsmem_tEENKUlT_SG_SH_SI_E_clIS7_S7_S7_SB_EESF_SV_SG_SH_SI_EUlSV_E1_NS1_11comp_targetILNS1_3genE10ELNS1_11target_archE1201ELNS1_3gpuE5ELNS1_3repE0EEENS1_36merge_oddeven_config_static_selectorELNS0_4arch9wavefront6targetE1EEEvSH_
; %bb.0:
	.section	.rodata,"a",@progbits
	.p2align	6, 0x0
	.amdhsa_kernel _ZN7rocprim17ROCPRIM_400000_NS6detail17trampoline_kernelINS0_14default_configENS1_38merge_sort_block_merge_config_selectorIllEEZZNS1_27merge_sort_block_merge_implIS3_PlN6thrust23THRUST_200600_302600_NS10device_ptrIlEEjNS1_19radix_merge_compareILb0ELb0ElNS0_19identity_decomposerEEEEE10hipError_tT0_T1_T2_jT3_P12ihipStream_tbPNSt15iterator_traitsISG_E10value_typeEPNSM_ISH_E10value_typeEPSI_NS1_7vsmem_tEENKUlT_SG_SH_SI_E_clIS7_S7_S7_SB_EESF_SV_SG_SH_SI_EUlSV_E1_NS1_11comp_targetILNS1_3genE10ELNS1_11target_archE1201ELNS1_3gpuE5ELNS1_3repE0EEENS1_36merge_oddeven_config_static_selectorELNS0_4arch9wavefront6targetE1EEEvSH_
		.amdhsa_group_segment_fixed_size 0
		.amdhsa_private_segment_fixed_size 0
		.amdhsa_kernarg_size 48
		.amdhsa_user_sgpr_count 6
		.amdhsa_user_sgpr_private_segment_buffer 1
		.amdhsa_user_sgpr_dispatch_ptr 0
		.amdhsa_user_sgpr_queue_ptr 0
		.amdhsa_user_sgpr_kernarg_segment_ptr 1
		.amdhsa_user_sgpr_dispatch_id 0
		.amdhsa_user_sgpr_flat_scratch_init 0
		.amdhsa_user_sgpr_private_segment_size 0
		.amdhsa_uses_dynamic_stack 0
		.amdhsa_system_sgpr_private_segment_wavefront_offset 0
		.amdhsa_system_sgpr_workgroup_id_x 1
		.amdhsa_system_sgpr_workgroup_id_y 0
		.amdhsa_system_sgpr_workgroup_id_z 0
		.amdhsa_system_sgpr_workgroup_info 0
		.amdhsa_system_vgpr_workitem_id 0
		.amdhsa_next_free_vgpr 1
		.amdhsa_next_free_sgpr 0
		.amdhsa_reserve_vcc 0
		.amdhsa_reserve_flat_scratch 0
		.amdhsa_float_round_mode_32 0
		.amdhsa_float_round_mode_16_64 0
		.amdhsa_float_denorm_mode_32 3
		.amdhsa_float_denorm_mode_16_64 3
		.amdhsa_dx10_clamp 1
		.amdhsa_ieee_mode 1
		.amdhsa_fp16_overflow 0
		.amdhsa_exception_fp_ieee_invalid_op 0
		.amdhsa_exception_fp_denorm_src 0
		.amdhsa_exception_fp_ieee_div_zero 0
		.amdhsa_exception_fp_ieee_overflow 0
		.amdhsa_exception_fp_ieee_underflow 0
		.amdhsa_exception_fp_ieee_inexact 0
		.amdhsa_exception_int_div_zero 0
	.end_amdhsa_kernel
	.section	.text._ZN7rocprim17ROCPRIM_400000_NS6detail17trampoline_kernelINS0_14default_configENS1_38merge_sort_block_merge_config_selectorIllEEZZNS1_27merge_sort_block_merge_implIS3_PlN6thrust23THRUST_200600_302600_NS10device_ptrIlEEjNS1_19radix_merge_compareILb0ELb0ElNS0_19identity_decomposerEEEEE10hipError_tT0_T1_T2_jT3_P12ihipStream_tbPNSt15iterator_traitsISG_E10value_typeEPNSM_ISH_E10value_typeEPSI_NS1_7vsmem_tEENKUlT_SG_SH_SI_E_clIS7_S7_S7_SB_EESF_SV_SG_SH_SI_EUlSV_E1_NS1_11comp_targetILNS1_3genE10ELNS1_11target_archE1201ELNS1_3gpuE5ELNS1_3repE0EEENS1_36merge_oddeven_config_static_selectorELNS0_4arch9wavefront6targetE1EEEvSH_,"axG",@progbits,_ZN7rocprim17ROCPRIM_400000_NS6detail17trampoline_kernelINS0_14default_configENS1_38merge_sort_block_merge_config_selectorIllEEZZNS1_27merge_sort_block_merge_implIS3_PlN6thrust23THRUST_200600_302600_NS10device_ptrIlEEjNS1_19radix_merge_compareILb0ELb0ElNS0_19identity_decomposerEEEEE10hipError_tT0_T1_T2_jT3_P12ihipStream_tbPNSt15iterator_traitsISG_E10value_typeEPNSM_ISH_E10value_typeEPSI_NS1_7vsmem_tEENKUlT_SG_SH_SI_E_clIS7_S7_S7_SB_EESF_SV_SG_SH_SI_EUlSV_E1_NS1_11comp_targetILNS1_3genE10ELNS1_11target_archE1201ELNS1_3gpuE5ELNS1_3repE0EEENS1_36merge_oddeven_config_static_selectorELNS0_4arch9wavefront6targetE1EEEvSH_,comdat
.Lfunc_end1027:
	.size	_ZN7rocprim17ROCPRIM_400000_NS6detail17trampoline_kernelINS0_14default_configENS1_38merge_sort_block_merge_config_selectorIllEEZZNS1_27merge_sort_block_merge_implIS3_PlN6thrust23THRUST_200600_302600_NS10device_ptrIlEEjNS1_19radix_merge_compareILb0ELb0ElNS0_19identity_decomposerEEEEE10hipError_tT0_T1_T2_jT3_P12ihipStream_tbPNSt15iterator_traitsISG_E10value_typeEPNSM_ISH_E10value_typeEPSI_NS1_7vsmem_tEENKUlT_SG_SH_SI_E_clIS7_S7_S7_SB_EESF_SV_SG_SH_SI_EUlSV_E1_NS1_11comp_targetILNS1_3genE10ELNS1_11target_archE1201ELNS1_3gpuE5ELNS1_3repE0EEENS1_36merge_oddeven_config_static_selectorELNS0_4arch9wavefront6targetE1EEEvSH_, .Lfunc_end1027-_ZN7rocprim17ROCPRIM_400000_NS6detail17trampoline_kernelINS0_14default_configENS1_38merge_sort_block_merge_config_selectorIllEEZZNS1_27merge_sort_block_merge_implIS3_PlN6thrust23THRUST_200600_302600_NS10device_ptrIlEEjNS1_19radix_merge_compareILb0ELb0ElNS0_19identity_decomposerEEEEE10hipError_tT0_T1_T2_jT3_P12ihipStream_tbPNSt15iterator_traitsISG_E10value_typeEPNSM_ISH_E10value_typeEPSI_NS1_7vsmem_tEENKUlT_SG_SH_SI_E_clIS7_S7_S7_SB_EESF_SV_SG_SH_SI_EUlSV_E1_NS1_11comp_targetILNS1_3genE10ELNS1_11target_archE1201ELNS1_3gpuE5ELNS1_3repE0EEENS1_36merge_oddeven_config_static_selectorELNS0_4arch9wavefront6targetE1EEEvSH_
                                        ; -- End function
	.set _ZN7rocprim17ROCPRIM_400000_NS6detail17trampoline_kernelINS0_14default_configENS1_38merge_sort_block_merge_config_selectorIllEEZZNS1_27merge_sort_block_merge_implIS3_PlN6thrust23THRUST_200600_302600_NS10device_ptrIlEEjNS1_19radix_merge_compareILb0ELb0ElNS0_19identity_decomposerEEEEE10hipError_tT0_T1_T2_jT3_P12ihipStream_tbPNSt15iterator_traitsISG_E10value_typeEPNSM_ISH_E10value_typeEPSI_NS1_7vsmem_tEENKUlT_SG_SH_SI_E_clIS7_S7_S7_SB_EESF_SV_SG_SH_SI_EUlSV_E1_NS1_11comp_targetILNS1_3genE10ELNS1_11target_archE1201ELNS1_3gpuE5ELNS1_3repE0EEENS1_36merge_oddeven_config_static_selectorELNS0_4arch9wavefront6targetE1EEEvSH_.num_vgpr, 0
	.set _ZN7rocprim17ROCPRIM_400000_NS6detail17trampoline_kernelINS0_14default_configENS1_38merge_sort_block_merge_config_selectorIllEEZZNS1_27merge_sort_block_merge_implIS3_PlN6thrust23THRUST_200600_302600_NS10device_ptrIlEEjNS1_19radix_merge_compareILb0ELb0ElNS0_19identity_decomposerEEEEE10hipError_tT0_T1_T2_jT3_P12ihipStream_tbPNSt15iterator_traitsISG_E10value_typeEPNSM_ISH_E10value_typeEPSI_NS1_7vsmem_tEENKUlT_SG_SH_SI_E_clIS7_S7_S7_SB_EESF_SV_SG_SH_SI_EUlSV_E1_NS1_11comp_targetILNS1_3genE10ELNS1_11target_archE1201ELNS1_3gpuE5ELNS1_3repE0EEENS1_36merge_oddeven_config_static_selectorELNS0_4arch9wavefront6targetE1EEEvSH_.num_agpr, 0
	.set _ZN7rocprim17ROCPRIM_400000_NS6detail17trampoline_kernelINS0_14default_configENS1_38merge_sort_block_merge_config_selectorIllEEZZNS1_27merge_sort_block_merge_implIS3_PlN6thrust23THRUST_200600_302600_NS10device_ptrIlEEjNS1_19radix_merge_compareILb0ELb0ElNS0_19identity_decomposerEEEEE10hipError_tT0_T1_T2_jT3_P12ihipStream_tbPNSt15iterator_traitsISG_E10value_typeEPNSM_ISH_E10value_typeEPSI_NS1_7vsmem_tEENKUlT_SG_SH_SI_E_clIS7_S7_S7_SB_EESF_SV_SG_SH_SI_EUlSV_E1_NS1_11comp_targetILNS1_3genE10ELNS1_11target_archE1201ELNS1_3gpuE5ELNS1_3repE0EEENS1_36merge_oddeven_config_static_selectorELNS0_4arch9wavefront6targetE1EEEvSH_.numbered_sgpr, 0
	.set _ZN7rocprim17ROCPRIM_400000_NS6detail17trampoline_kernelINS0_14default_configENS1_38merge_sort_block_merge_config_selectorIllEEZZNS1_27merge_sort_block_merge_implIS3_PlN6thrust23THRUST_200600_302600_NS10device_ptrIlEEjNS1_19radix_merge_compareILb0ELb0ElNS0_19identity_decomposerEEEEE10hipError_tT0_T1_T2_jT3_P12ihipStream_tbPNSt15iterator_traitsISG_E10value_typeEPNSM_ISH_E10value_typeEPSI_NS1_7vsmem_tEENKUlT_SG_SH_SI_E_clIS7_S7_S7_SB_EESF_SV_SG_SH_SI_EUlSV_E1_NS1_11comp_targetILNS1_3genE10ELNS1_11target_archE1201ELNS1_3gpuE5ELNS1_3repE0EEENS1_36merge_oddeven_config_static_selectorELNS0_4arch9wavefront6targetE1EEEvSH_.num_named_barrier, 0
	.set _ZN7rocprim17ROCPRIM_400000_NS6detail17trampoline_kernelINS0_14default_configENS1_38merge_sort_block_merge_config_selectorIllEEZZNS1_27merge_sort_block_merge_implIS3_PlN6thrust23THRUST_200600_302600_NS10device_ptrIlEEjNS1_19radix_merge_compareILb0ELb0ElNS0_19identity_decomposerEEEEE10hipError_tT0_T1_T2_jT3_P12ihipStream_tbPNSt15iterator_traitsISG_E10value_typeEPNSM_ISH_E10value_typeEPSI_NS1_7vsmem_tEENKUlT_SG_SH_SI_E_clIS7_S7_S7_SB_EESF_SV_SG_SH_SI_EUlSV_E1_NS1_11comp_targetILNS1_3genE10ELNS1_11target_archE1201ELNS1_3gpuE5ELNS1_3repE0EEENS1_36merge_oddeven_config_static_selectorELNS0_4arch9wavefront6targetE1EEEvSH_.private_seg_size, 0
	.set _ZN7rocprim17ROCPRIM_400000_NS6detail17trampoline_kernelINS0_14default_configENS1_38merge_sort_block_merge_config_selectorIllEEZZNS1_27merge_sort_block_merge_implIS3_PlN6thrust23THRUST_200600_302600_NS10device_ptrIlEEjNS1_19radix_merge_compareILb0ELb0ElNS0_19identity_decomposerEEEEE10hipError_tT0_T1_T2_jT3_P12ihipStream_tbPNSt15iterator_traitsISG_E10value_typeEPNSM_ISH_E10value_typeEPSI_NS1_7vsmem_tEENKUlT_SG_SH_SI_E_clIS7_S7_S7_SB_EESF_SV_SG_SH_SI_EUlSV_E1_NS1_11comp_targetILNS1_3genE10ELNS1_11target_archE1201ELNS1_3gpuE5ELNS1_3repE0EEENS1_36merge_oddeven_config_static_selectorELNS0_4arch9wavefront6targetE1EEEvSH_.uses_vcc, 0
	.set _ZN7rocprim17ROCPRIM_400000_NS6detail17trampoline_kernelINS0_14default_configENS1_38merge_sort_block_merge_config_selectorIllEEZZNS1_27merge_sort_block_merge_implIS3_PlN6thrust23THRUST_200600_302600_NS10device_ptrIlEEjNS1_19radix_merge_compareILb0ELb0ElNS0_19identity_decomposerEEEEE10hipError_tT0_T1_T2_jT3_P12ihipStream_tbPNSt15iterator_traitsISG_E10value_typeEPNSM_ISH_E10value_typeEPSI_NS1_7vsmem_tEENKUlT_SG_SH_SI_E_clIS7_S7_S7_SB_EESF_SV_SG_SH_SI_EUlSV_E1_NS1_11comp_targetILNS1_3genE10ELNS1_11target_archE1201ELNS1_3gpuE5ELNS1_3repE0EEENS1_36merge_oddeven_config_static_selectorELNS0_4arch9wavefront6targetE1EEEvSH_.uses_flat_scratch, 0
	.set _ZN7rocprim17ROCPRIM_400000_NS6detail17trampoline_kernelINS0_14default_configENS1_38merge_sort_block_merge_config_selectorIllEEZZNS1_27merge_sort_block_merge_implIS3_PlN6thrust23THRUST_200600_302600_NS10device_ptrIlEEjNS1_19radix_merge_compareILb0ELb0ElNS0_19identity_decomposerEEEEE10hipError_tT0_T1_T2_jT3_P12ihipStream_tbPNSt15iterator_traitsISG_E10value_typeEPNSM_ISH_E10value_typeEPSI_NS1_7vsmem_tEENKUlT_SG_SH_SI_E_clIS7_S7_S7_SB_EESF_SV_SG_SH_SI_EUlSV_E1_NS1_11comp_targetILNS1_3genE10ELNS1_11target_archE1201ELNS1_3gpuE5ELNS1_3repE0EEENS1_36merge_oddeven_config_static_selectorELNS0_4arch9wavefront6targetE1EEEvSH_.has_dyn_sized_stack, 0
	.set _ZN7rocprim17ROCPRIM_400000_NS6detail17trampoline_kernelINS0_14default_configENS1_38merge_sort_block_merge_config_selectorIllEEZZNS1_27merge_sort_block_merge_implIS3_PlN6thrust23THRUST_200600_302600_NS10device_ptrIlEEjNS1_19radix_merge_compareILb0ELb0ElNS0_19identity_decomposerEEEEE10hipError_tT0_T1_T2_jT3_P12ihipStream_tbPNSt15iterator_traitsISG_E10value_typeEPNSM_ISH_E10value_typeEPSI_NS1_7vsmem_tEENKUlT_SG_SH_SI_E_clIS7_S7_S7_SB_EESF_SV_SG_SH_SI_EUlSV_E1_NS1_11comp_targetILNS1_3genE10ELNS1_11target_archE1201ELNS1_3gpuE5ELNS1_3repE0EEENS1_36merge_oddeven_config_static_selectorELNS0_4arch9wavefront6targetE1EEEvSH_.has_recursion, 0
	.set _ZN7rocprim17ROCPRIM_400000_NS6detail17trampoline_kernelINS0_14default_configENS1_38merge_sort_block_merge_config_selectorIllEEZZNS1_27merge_sort_block_merge_implIS3_PlN6thrust23THRUST_200600_302600_NS10device_ptrIlEEjNS1_19radix_merge_compareILb0ELb0ElNS0_19identity_decomposerEEEEE10hipError_tT0_T1_T2_jT3_P12ihipStream_tbPNSt15iterator_traitsISG_E10value_typeEPNSM_ISH_E10value_typeEPSI_NS1_7vsmem_tEENKUlT_SG_SH_SI_E_clIS7_S7_S7_SB_EESF_SV_SG_SH_SI_EUlSV_E1_NS1_11comp_targetILNS1_3genE10ELNS1_11target_archE1201ELNS1_3gpuE5ELNS1_3repE0EEENS1_36merge_oddeven_config_static_selectorELNS0_4arch9wavefront6targetE1EEEvSH_.has_indirect_call, 0
	.section	.AMDGPU.csdata,"",@progbits
; Kernel info:
; codeLenInByte = 0
; TotalNumSgprs: 4
; NumVgprs: 0
; ScratchSize: 0
; MemoryBound: 0
; FloatMode: 240
; IeeeMode: 1
; LDSByteSize: 0 bytes/workgroup (compile time only)
; SGPRBlocks: 0
; VGPRBlocks: 0
; NumSGPRsForWavesPerEU: 4
; NumVGPRsForWavesPerEU: 1
; Occupancy: 10
; WaveLimiterHint : 0
; COMPUTE_PGM_RSRC2:SCRATCH_EN: 0
; COMPUTE_PGM_RSRC2:USER_SGPR: 6
; COMPUTE_PGM_RSRC2:TRAP_HANDLER: 0
; COMPUTE_PGM_RSRC2:TGID_X_EN: 1
; COMPUTE_PGM_RSRC2:TGID_Y_EN: 0
; COMPUTE_PGM_RSRC2:TGID_Z_EN: 0
; COMPUTE_PGM_RSRC2:TIDIG_COMP_CNT: 0
	.section	.text._ZN7rocprim17ROCPRIM_400000_NS6detail17trampoline_kernelINS0_14default_configENS1_38merge_sort_block_merge_config_selectorIllEEZZNS1_27merge_sort_block_merge_implIS3_PlN6thrust23THRUST_200600_302600_NS10device_ptrIlEEjNS1_19radix_merge_compareILb0ELb0ElNS0_19identity_decomposerEEEEE10hipError_tT0_T1_T2_jT3_P12ihipStream_tbPNSt15iterator_traitsISG_E10value_typeEPNSM_ISH_E10value_typeEPSI_NS1_7vsmem_tEENKUlT_SG_SH_SI_E_clIS7_S7_S7_SB_EESF_SV_SG_SH_SI_EUlSV_E1_NS1_11comp_targetILNS1_3genE5ELNS1_11target_archE942ELNS1_3gpuE9ELNS1_3repE0EEENS1_36merge_oddeven_config_static_selectorELNS0_4arch9wavefront6targetE1EEEvSH_,"axG",@progbits,_ZN7rocprim17ROCPRIM_400000_NS6detail17trampoline_kernelINS0_14default_configENS1_38merge_sort_block_merge_config_selectorIllEEZZNS1_27merge_sort_block_merge_implIS3_PlN6thrust23THRUST_200600_302600_NS10device_ptrIlEEjNS1_19radix_merge_compareILb0ELb0ElNS0_19identity_decomposerEEEEE10hipError_tT0_T1_T2_jT3_P12ihipStream_tbPNSt15iterator_traitsISG_E10value_typeEPNSM_ISH_E10value_typeEPSI_NS1_7vsmem_tEENKUlT_SG_SH_SI_E_clIS7_S7_S7_SB_EESF_SV_SG_SH_SI_EUlSV_E1_NS1_11comp_targetILNS1_3genE5ELNS1_11target_archE942ELNS1_3gpuE9ELNS1_3repE0EEENS1_36merge_oddeven_config_static_selectorELNS0_4arch9wavefront6targetE1EEEvSH_,comdat
	.protected	_ZN7rocprim17ROCPRIM_400000_NS6detail17trampoline_kernelINS0_14default_configENS1_38merge_sort_block_merge_config_selectorIllEEZZNS1_27merge_sort_block_merge_implIS3_PlN6thrust23THRUST_200600_302600_NS10device_ptrIlEEjNS1_19radix_merge_compareILb0ELb0ElNS0_19identity_decomposerEEEEE10hipError_tT0_T1_T2_jT3_P12ihipStream_tbPNSt15iterator_traitsISG_E10value_typeEPNSM_ISH_E10value_typeEPSI_NS1_7vsmem_tEENKUlT_SG_SH_SI_E_clIS7_S7_S7_SB_EESF_SV_SG_SH_SI_EUlSV_E1_NS1_11comp_targetILNS1_3genE5ELNS1_11target_archE942ELNS1_3gpuE9ELNS1_3repE0EEENS1_36merge_oddeven_config_static_selectorELNS0_4arch9wavefront6targetE1EEEvSH_ ; -- Begin function _ZN7rocprim17ROCPRIM_400000_NS6detail17trampoline_kernelINS0_14default_configENS1_38merge_sort_block_merge_config_selectorIllEEZZNS1_27merge_sort_block_merge_implIS3_PlN6thrust23THRUST_200600_302600_NS10device_ptrIlEEjNS1_19radix_merge_compareILb0ELb0ElNS0_19identity_decomposerEEEEE10hipError_tT0_T1_T2_jT3_P12ihipStream_tbPNSt15iterator_traitsISG_E10value_typeEPNSM_ISH_E10value_typeEPSI_NS1_7vsmem_tEENKUlT_SG_SH_SI_E_clIS7_S7_S7_SB_EESF_SV_SG_SH_SI_EUlSV_E1_NS1_11comp_targetILNS1_3genE5ELNS1_11target_archE942ELNS1_3gpuE9ELNS1_3repE0EEENS1_36merge_oddeven_config_static_selectorELNS0_4arch9wavefront6targetE1EEEvSH_
	.globl	_ZN7rocprim17ROCPRIM_400000_NS6detail17trampoline_kernelINS0_14default_configENS1_38merge_sort_block_merge_config_selectorIllEEZZNS1_27merge_sort_block_merge_implIS3_PlN6thrust23THRUST_200600_302600_NS10device_ptrIlEEjNS1_19radix_merge_compareILb0ELb0ElNS0_19identity_decomposerEEEEE10hipError_tT0_T1_T2_jT3_P12ihipStream_tbPNSt15iterator_traitsISG_E10value_typeEPNSM_ISH_E10value_typeEPSI_NS1_7vsmem_tEENKUlT_SG_SH_SI_E_clIS7_S7_S7_SB_EESF_SV_SG_SH_SI_EUlSV_E1_NS1_11comp_targetILNS1_3genE5ELNS1_11target_archE942ELNS1_3gpuE9ELNS1_3repE0EEENS1_36merge_oddeven_config_static_selectorELNS0_4arch9wavefront6targetE1EEEvSH_
	.p2align	8
	.type	_ZN7rocprim17ROCPRIM_400000_NS6detail17trampoline_kernelINS0_14default_configENS1_38merge_sort_block_merge_config_selectorIllEEZZNS1_27merge_sort_block_merge_implIS3_PlN6thrust23THRUST_200600_302600_NS10device_ptrIlEEjNS1_19radix_merge_compareILb0ELb0ElNS0_19identity_decomposerEEEEE10hipError_tT0_T1_T2_jT3_P12ihipStream_tbPNSt15iterator_traitsISG_E10value_typeEPNSM_ISH_E10value_typeEPSI_NS1_7vsmem_tEENKUlT_SG_SH_SI_E_clIS7_S7_S7_SB_EESF_SV_SG_SH_SI_EUlSV_E1_NS1_11comp_targetILNS1_3genE5ELNS1_11target_archE942ELNS1_3gpuE9ELNS1_3repE0EEENS1_36merge_oddeven_config_static_selectorELNS0_4arch9wavefront6targetE1EEEvSH_,@function
_ZN7rocprim17ROCPRIM_400000_NS6detail17trampoline_kernelINS0_14default_configENS1_38merge_sort_block_merge_config_selectorIllEEZZNS1_27merge_sort_block_merge_implIS3_PlN6thrust23THRUST_200600_302600_NS10device_ptrIlEEjNS1_19radix_merge_compareILb0ELb0ElNS0_19identity_decomposerEEEEE10hipError_tT0_T1_T2_jT3_P12ihipStream_tbPNSt15iterator_traitsISG_E10value_typeEPNSM_ISH_E10value_typeEPSI_NS1_7vsmem_tEENKUlT_SG_SH_SI_E_clIS7_S7_S7_SB_EESF_SV_SG_SH_SI_EUlSV_E1_NS1_11comp_targetILNS1_3genE5ELNS1_11target_archE942ELNS1_3gpuE9ELNS1_3repE0EEENS1_36merge_oddeven_config_static_selectorELNS0_4arch9wavefront6targetE1EEEvSH_: ; @_ZN7rocprim17ROCPRIM_400000_NS6detail17trampoline_kernelINS0_14default_configENS1_38merge_sort_block_merge_config_selectorIllEEZZNS1_27merge_sort_block_merge_implIS3_PlN6thrust23THRUST_200600_302600_NS10device_ptrIlEEjNS1_19radix_merge_compareILb0ELb0ElNS0_19identity_decomposerEEEEE10hipError_tT0_T1_T2_jT3_P12ihipStream_tbPNSt15iterator_traitsISG_E10value_typeEPNSM_ISH_E10value_typeEPSI_NS1_7vsmem_tEENKUlT_SG_SH_SI_E_clIS7_S7_S7_SB_EESF_SV_SG_SH_SI_EUlSV_E1_NS1_11comp_targetILNS1_3genE5ELNS1_11target_archE942ELNS1_3gpuE9ELNS1_3repE0EEENS1_36merge_oddeven_config_static_selectorELNS0_4arch9wavefront6targetE1EEEvSH_
; %bb.0:
	.section	.rodata,"a",@progbits
	.p2align	6, 0x0
	.amdhsa_kernel _ZN7rocprim17ROCPRIM_400000_NS6detail17trampoline_kernelINS0_14default_configENS1_38merge_sort_block_merge_config_selectorIllEEZZNS1_27merge_sort_block_merge_implIS3_PlN6thrust23THRUST_200600_302600_NS10device_ptrIlEEjNS1_19radix_merge_compareILb0ELb0ElNS0_19identity_decomposerEEEEE10hipError_tT0_T1_T2_jT3_P12ihipStream_tbPNSt15iterator_traitsISG_E10value_typeEPNSM_ISH_E10value_typeEPSI_NS1_7vsmem_tEENKUlT_SG_SH_SI_E_clIS7_S7_S7_SB_EESF_SV_SG_SH_SI_EUlSV_E1_NS1_11comp_targetILNS1_3genE5ELNS1_11target_archE942ELNS1_3gpuE9ELNS1_3repE0EEENS1_36merge_oddeven_config_static_selectorELNS0_4arch9wavefront6targetE1EEEvSH_
		.amdhsa_group_segment_fixed_size 0
		.amdhsa_private_segment_fixed_size 0
		.amdhsa_kernarg_size 48
		.amdhsa_user_sgpr_count 6
		.amdhsa_user_sgpr_private_segment_buffer 1
		.amdhsa_user_sgpr_dispatch_ptr 0
		.amdhsa_user_sgpr_queue_ptr 0
		.amdhsa_user_sgpr_kernarg_segment_ptr 1
		.amdhsa_user_sgpr_dispatch_id 0
		.amdhsa_user_sgpr_flat_scratch_init 0
		.amdhsa_user_sgpr_private_segment_size 0
		.amdhsa_uses_dynamic_stack 0
		.amdhsa_system_sgpr_private_segment_wavefront_offset 0
		.amdhsa_system_sgpr_workgroup_id_x 1
		.amdhsa_system_sgpr_workgroup_id_y 0
		.amdhsa_system_sgpr_workgroup_id_z 0
		.amdhsa_system_sgpr_workgroup_info 0
		.amdhsa_system_vgpr_workitem_id 0
		.amdhsa_next_free_vgpr 1
		.amdhsa_next_free_sgpr 0
		.amdhsa_reserve_vcc 0
		.amdhsa_reserve_flat_scratch 0
		.amdhsa_float_round_mode_32 0
		.amdhsa_float_round_mode_16_64 0
		.amdhsa_float_denorm_mode_32 3
		.amdhsa_float_denorm_mode_16_64 3
		.amdhsa_dx10_clamp 1
		.amdhsa_ieee_mode 1
		.amdhsa_fp16_overflow 0
		.amdhsa_exception_fp_ieee_invalid_op 0
		.amdhsa_exception_fp_denorm_src 0
		.amdhsa_exception_fp_ieee_div_zero 0
		.amdhsa_exception_fp_ieee_overflow 0
		.amdhsa_exception_fp_ieee_underflow 0
		.amdhsa_exception_fp_ieee_inexact 0
		.amdhsa_exception_int_div_zero 0
	.end_amdhsa_kernel
	.section	.text._ZN7rocprim17ROCPRIM_400000_NS6detail17trampoline_kernelINS0_14default_configENS1_38merge_sort_block_merge_config_selectorIllEEZZNS1_27merge_sort_block_merge_implIS3_PlN6thrust23THRUST_200600_302600_NS10device_ptrIlEEjNS1_19radix_merge_compareILb0ELb0ElNS0_19identity_decomposerEEEEE10hipError_tT0_T1_T2_jT3_P12ihipStream_tbPNSt15iterator_traitsISG_E10value_typeEPNSM_ISH_E10value_typeEPSI_NS1_7vsmem_tEENKUlT_SG_SH_SI_E_clIS7_S7_S7_SB_EESF_SV_SG_SH_SI_EUlSV_E1_NS1_11comp_targetILNS1_3genE5ELNS1_11target_archE942ELNS1_3gpuE9ELNS1_3repE0EEENS1_36merge_oddeven_config_static_selectorELNS0_4arch9wavefront6targetE1EEEvSH_,"axG",@progbits,_ZN7rocprim17ROCPRIM_400000_NS6detail17trampoline_kernelINS0_14default_configENS1_38merge_sort_block_merge_config_selectorIllEEZZNS1_27merge_sort_block_merge_implIS3_PlN6thrust23THRUST_200600_302600_NS10device_ptrIlEEjNS1_19radix_merge_compareILb0ELb0ElNS0_19identity_decomposerEEEEE10hipError_tT0_T1_T2_jT3_P12ihipStream_tbPNSt15iterator_traitsISG_E10value_typeEPNSM_ISH_E10value_typeEPSI_NS1_7vsmem_tEENKUlT_SG_SH_SI_E_clIS7_S7_S7_SB_EESF_SV_SG_SH_SI_EUlSV_E1_NS1_11comp_targetILNS1_3genE5ELNS1_11target_archE942ELNS1_3gpuE9ELNS1_3repE0EEENS1_36merge_oddeven_config_static_selectorELNS0_4arch9wavefront6targetE1EEEvSH_,comdat
.Lfunc_end1028:
	.size	_ZN7rocprim17ROCPRIM_400000_NS6detail17trampoline_kernelINS0_14default_configENS1_38merge_sort_block_merge_config_selectorIllEEZZNS1_27merge_sort_block_merge_implIS3_PlN6thrust23THRUST_200600_302600_NS10device_ptrIlEEjNS1_19radix_merge_compareILb0ELb0ElNS0_19identity_decomposerEEEEE10hipError_tT0_T1_T2_jT3_P12ihipStream_tbPNSt15iterator_traitsISG_E10value_typeEPNSM_ISH_E10value_typeEPSI_NS1_7vsmem_tEENKUlT_SG_SH_SI_E_clIS7_S7_S7_SB_EESF_SV_SG_SH_SI_EUlSV_E1_NS1_11comp_targetILNS1_3genE5ELNS1_11target_archE942ELNS1_3gpuE9ELNS1_3repE0EEENS1_36merge_oddeven_config_static_selectorELNS0_4arch9wavefront6targetE1EEEvSH_, .Lfunc_end1028-_ZN7rocprim17ROCPRIM_400000_NS6detail17trampoline_kernelINS0_14default_configENS1_38merge_sort_block_merge_config_selectorIllEEZZNS1_27merge_sort_block_merge_implIS3_PlN6thrust23THRUST_200600_302600_NS10device_ptrIlEEjNS1_19radix_merge_compareILb0ELb0ElNS0_19identity_decomposerEEEEE10hipError_tT0_T1_T2_jT3_P12ihipStream_tbPNSt15iterator_traitsISG_E10value_typeEPNSM_ISH_E10value_typeEPSI_NS1_7vsmem_tEENKUlT_SG_SH_SI_E_clIS7_S7_S7_SB_EESF_SV_SG_SH_SI_EUlSV_E1_NS1_11comp_targetILNS1_3genE5ELNS1_11target_archE942ELNS1_3gpuE9ELNS1_3repE0EEENS1_36merge_oddeven_config_static_selectorELNS0_4arch9wavefront6targetE1EEEvSH_
                                        ; -- End function
	.set _ZN7rocprim17ROCPRIM_400000_NS6detail17trampoline_kernelINS0_14default_configENS1_38merge_sort_block_merge_config_selectorIllEEZZNS1_27merge_sort_block_merge_implIS3_PlN6thrust23THRUST_200600_302600_NS10device_ptrIlEEjNS1_19radix_merge_compareILb0ELb0ElNS0_19identity_decomposerEEEEE10hipError_tT0_T1_T2_jT3_P12ihipStream_tbPNSt15iterator_traitsISG_E10value_typeEPNSM_ISH_E10value_typeEPSI_NS1_7vsmem_tEENKUlT_SG_SH_SI_E_clIS7_S7_S7_SB_EESF_SV_SG_SH_SI_EUlSV_E1_NS1_11comp_targetILNS1_3genE5ELNS1_11target_archE942ELNS1_3gpuE9ELNS1_3repE0EEENS1_36merge_oddeven_config_static_selectorELNS0_4arch9wavefront6targetE1EEEvSH_.num_vgpr, 0
	.set _ZN7rocprim17ROCPRIM_400000_NS6detail17trampoline_kernelINS0_14default_configENS1_38merge_sort_block_merge_config_selectorIllEEZZNS1_27merge_sort_block_merge_implIS3_PlN6thrust23THRUST_200600_302600_NS10device_ptrIlEEjNS1_19radix_merge_compareILb0ELb0ElNS0_19identity_decomposerEEEEE10hipError_tT0_T1_T2_jT3_P12ihipStream_tbPNSt15iterator_traitsISG_E10value_typeEPNSM_ISH_E10value_typeEPSI_NS1_7vsmem_tEENKUlT_SG_SH_SI_E_clIS7_S7_S7_SB_EESF_SV_SG_SH_SI_EUlSV_E1_NS1_11comp_targetILNS1_3genE5ELNS1_11target_archE942ELNS1_3gpuE9ELNS1_3repE0EEENS1_36merge_oddeven_config_static_selectorELNS0_4arch9wavefront6targetE1EEEvSH_.num_agpr, 0
	.set _ZN7rocprim17ROCPRIM_400000_NS6detail17trampoline_kernelINS0_14default_configENS1_38merge_sort_block_merge_config_selectorIllEEZZNS1_27merge_sort_block_merge_implIS3_PlN6thrust23THRUST_200600_302600_NS10device_ptrIlEEjNS1_19radix_merge_compareILb0ELb0ElNS0_19identity_decomposerEEEEE10hipError_tT0_T1_T2_jT3_P12ihipStream_tbPNSt15iterator_traitsISG_E10value_typeEPNSM_ISH_E10value_typeEPSI_NS1_7vsmem_tEENKUlT_SG_SH_SI_E_clIS7_S7_S7_SB_EESF_SV_SG_SH_SI_EUlSV_E1_NS1_11comp_targetILNS1_3genE5ELNS1_11target_archE942ELNS1_3gpuE9ELNS1_3repE0EEENS1_36merge_oddeven_config_static_selectorELNS0_4arch9wavefront6targetE1EEEvSH_.numbered_sgpr, 0
	.set _ZN7rocprim17ROCPRIM_400000_NS6detail17trampoline_kernelINS0_14default_configENS1_38merge_sort_block_merge_config_selectorIllEEZZNS1_27merge_sort_block_merge_implIS3_PlN6thrust23THRUST_200600_302600_NS10device_ptrIlEEjNS1_19radix_merge_compareILb0ELb0ElNS0_19identity_decomposerEEEEE10hipError_tT0_T1_T2_jT3_P12ihipStream_tbPNSt15iterator_traitsISG_E10value_typeEPNSM_ISH_E10value_typeEPSI_NS1_7vsmem_tEENKUlT_SG_SH_SI_E_clIS7_S7_S7_SB_EESF_SV_SG_SH_SI_EUlSV_E1_NS1_11comp_targetILNS1_3genE5ELNS1_11target_archE942ELNS1_3gpuE9ELNS1_3repE0EEENS1_36merge_oddeven_config_static_selectorELNS0_4arch9wavefront6targetE1EEEvSH_.num_named_barrier, 0
	.set _ZN7rocprim17ROCPRIM_400000_NS6detail17trampoline_kernelINS0_14default_configENS1_38merge_sort_block_merge_config_selectorIllEEZZNS1_27merge_sort_block_merge_implIS3_PlN6thrust23THRUST_200600_302600_NS10device_ptrIlEEjNS1_19radix_merge_compareILb0ELb0ElNS0_19identity_decomposerEEEEE10hipError_tT0_T1_T2_jT3_P12ihipStream_tbPNSt15iterator_traitsISG_E10value_typeEPNSM_ISH_E10value_typeEPSI_NS1_7vsmem_tEENKUlT_SG_SH_SI_E_clIS7_S7_S7_SB_EESF_SV_SG_SH_SI_EUlSV_E1_NS1_11comp_targetILNS1_3genE5ELNS1_11target_archE942ELNS1_3gpuE9ELNS1_3repE0EEENS1_36merge_oddeven_config_static_selectorELNS0_4arch9wavefront6targetE1EEEvSH_.private_seg_size, 0
	.set _ZN7rocprim17ROCPRIM_400000_NS6detail17trampoline_kernelINS0_14default_configENS1_38merge_sort_block_merge_config_selectorIllEEZZNS1_27merge_sort_block_merge_implIS3_PlN6thrust23THRUST_200600_302600_NS10device_ptrIlEEjNS1_19radix_merge_compareILb0ELb0ElNS0_19identity_decomposerEEEEE10hipError_tT0_T1_T2_jT3_P12ihipStream_tbPNSt15iterator_traitsISG_E10value_typeEPNSM_ISH_E10value_typeEPSI_NS1_7vsmem_tEENKUlT_SG_SH_SI_E_clIS7_S7_S7_SB_EESF_SV_SG_SH_SI_EUlSV_E1_NS1_11comp_targetILNS1_3genE5ELNS1_11target_archE942ELNS1_3gpuE9ELNS1_3repE0EEENS1_36merge_oddeven_config_static_selectorELNS0_4arch9wavefront6targetE1EEEvSH_.uses_vcc, 0
	.set _ZN7rocprim17ROCPRIM_400000_NS6detail17trampoline_kernelINS0_14default_configENS1_38merge_sort_block_merge_config_selectorIllEEZZNS1_27merge_sort_block_merge_implIS3_PlN6thrust23THRUST_200600_302600_NS10device_ptrIlEEjNS1_19radix_merge_compareILb0ELb0ElNS0_19identity_decomposerEEEEE10hipError_tT0_T1_T2_jT3_P12ihipStream_tbPNSt15iterator_traitsISG_E10value_typeEPNSM_ISH_E10value_typeEPSI_NS1_7vsmem_tEENKUlT_SG_SH_SI_E_clIS7_S7_S7_SB_EESF_SV_SG_SH_SI_EUlSV_E1_NS1_11comp_targetILNS1_3genE5ELNS1_11target_archE942ELNS1_3gpuE9ELNS1_3repE0EEENS1_36merge_oddeven_config_static_selectorELNS0_4arch9wavefront6targetE1EEEvSH_.uses_flat_scratch, 0
	.set _ZN7rocprim17ROCPRIM_400000_NS6detail17trampoline_kernelINS0_14default_configENS1_38merge_sort_block_merge_config_selectorIllEEZZNS1_27merge_sort_block_merge_implIS3_PlN6thrust23THRUST_200600_302600_NS10device_ptrIlEEjNS1_19radix_merge_compareILb0ELb0ElNS0_19identity_decomposerEEEEE10hipError_tT0_T1_T2_jT3_P12ihipStream_tbPNSt15iterator_traitsISG_E10value_typeEPNSM_ISH_E10value_typeEPSI_NS1_7vsmem_tEENKUlT_SG_SH_SI_E_clIS7_S7_S7_SB_EESF_SV_SG_SH_SI_EUlSV_E1_NS1_11comp_targetILNS1_3genE5ELNS1_11target_archE942ELNS1_3gpuE9ELNS1_3repE0EEENS1_36merge_oddeven_config_static_selectorELNS0_4arch9wavefront6targetE1EEEvSH_.has_dyn_sized_stack, 0
	.set _ZN7rocprim17ROCPRIM_400000_NS6detail17trampoline_kernelINS0_14default_configENS1_38merge_sort_block_merge_config_selectorIllEEZZNS1_27merge_sort_block_merge_implIS3_PlN6thrust23THRUST_200600_302600_NS10device_ptrIlEEjNS1_19radix_merge_compareILb0ELb0ElNS0_19identity_decomposerEEEEE10hipError_tT0_T1_T2_jT3_P12ihipStream_tbPNSt15iterator_traitsISG_E10value_typeEPNSM_ISH_E10value_typeEPSI_NS1_7vsmem_tEENKUlT_SG_SH_SI_E_clIS7_S7_S7_SB_EESF_SV_SG_SH_SI_EUlSV_E1_NS1_11comp_targetILNS1_3genE5ELNS1_11target_archE942ELNS1_3gpuE9ELNS1_3repE0EEENS1_36merge_oddeven_config_static_selectorELNS0_4arch9wavefront6targetE1EEEvSH_.has_recursion, 0
	.set _ZN7rocprim17ROCPRIM_400000_NS6detail17trampoline_kernelINS0_14default_configENS1_38merge_sort_block_merge_config_selectorIllEEZZNS1_27merge_sort_block_merge_implIS3_PlN6thrust23THRUST_200600_302600_NS10device_ptrIlEEjNS1_19radix_merge_compareILb0ELb0ElNS0_19identity_decomposerEEEEE10hipError_tT0_T1_T2_jT3_P12ihipStream_tbPNSt15iterator_traitsISG_E10value_typeEPNSM_ISH_E10value_typeEPSI_NS1_7vsmem_tEENKUlT_SG_SH_SI_E_clIS7_S7_S7_SB_EESF_SV_SG_SH_SI_EUlSV_E1_NS1_11comp_targetILNS1_3genE5ELNS1_11target_archE942ELNS1_3gpuE9ELNS1_3repE0EEENS1_36merge_oddeven_config_static_selectorELNS0_4arch9wavefront6targetE1EEEvSH_.has_indirect_call, 0
	.section	.AMDGPU.csdata,"",@progbits
; Kernel info:
; codeLenInByte = 0
; TotalNumSgprs: 4
; NumVgprs: 0
; ScratchSize: 0
; MemoryBound: 0
; FloatMode: 240
; IeeeMode: 1
; LDSByteSize: 0 bytes/workgroup (compile time only)
; SGPRBlocks: 0
; VGPRBlocks: 0
; NumSGPRsForWavesPerEU: 4
; NumVGPRsForWavesPerEU: 1
; Occupancy: 10
; WaveLimiterHint : 0
; COMPUTE_PGM_RSRC2:SCRATCH_EN: 0
; COMPUTE_PGM_RSRC2:USER_SGPR: 6
; COMPUTE_PGM_RSRC2:TRAP_HANDLER: 0
; COMPUTE_PGM_RSRC2:TGID_X_EN: 1
; COMPUTE_PGM_RSRC2:TGID_Y_EN: 0
; COMPUTE_PGM_RSRC2:TGID_Z_EN: 0
; COMPUTE_PGM_RSRC2:TIDIG_COMP_CNT: 0
	.section	.text._ZN7rocprim17ROCPRIM_400000_NS6detail17trampoline_kernelINS0_14default_configENS1_38merge_sort_block_merge_config_selectorIllEEZZNS1_27merge_sort_block_merge_implIS3_PlN6thrust23THRUST_200600_302600_NS10device_ptrIlEEjNS1_19radix_merge_compareILb0ELb0ElNS0_19identity_decomposerEEEEE10hipError_tT0_T1_T2_jT3_P12ihipStream_tbPNSt15iterator_traitsISG_E10value_typeEPNSM_ISH_E10value_typeEPSI_NS1_7vsmem_tEENKUlT_SG_SH_SI_E_clIS7_S7_S7_SB_EESF_SV_SG_SH_SI_EUlSV_E1_NS1_11comp_targetILNS1_3genE4ELNS1_11target_archE910ELNS1_3gpuE8ELNS1_3repE0EEENS1_36merge_oddeven_config_static_selectorELNS0_4arch9wavefront6targetE1EEEvSH_,"axG",@progbits,_ZN7rocprim17ROCPRIM_400000_NS6detail17trampoline_kernelINS0_14default_configENS1_38merge_sort_block_merge_config_selectorIllEEZZNS1_27merge_sort_block_merge_implIS3_PlN6thrust23THRUST_200600_302600_NS10device_ptrIlEEjNS1_19radix_merge_compareILb0ELb0ElNS0_19identity_decomposerEEEEE10hipError_tT0_T1_T2_jT3_P12ihipStream_tbPNSt15iterator_traitsISG_E10value_typeEPNSM_ISH_E10value_typeEPSI_NS1_7vsmem_tEENKUlT_SG_SH_SI_E_clIS7_S7_S7_SB_EESF_SV_SG_SH_SI_EUlSV_E1_NS1_11comp_targetILNS1_3genE4ELNS1_11target_archE910ELNS1_3gpuE8ELNS1_3repE0EEENS1_36merge_oddeven_config_static_selectorELNS0_4arch9wavefront6targetE1EEEvSH_,comdat
	.protected	_ZN7rocprim17ROCPRIM_400000_NS6detail17trampoline_kernelINS0_14default_configENS1_38merge_sort_block_merge_config_selectorIllEEZZNS1_27merge_sort_block_merge_implIS3_PlN6thrust23THRUST_200600_302600_NS10device_ptrIlEEjNS1_19radix_merge_compareILb0ELb0ElNS0_19identity_decomposerEEEEE10hipError_tT0_T1_T2_jT3_P12ihipStream_tbPNSt15iterator_traitsISG_E10value_typeEPNSM_ISH_E10value_typeEPSI_NS1_7vsmem_tEENKUlT_SG_SH_SI_E_clIS7_S7_S7_SB_EESF_SV_SG_SH_SI_EUlSV_E1_NS1_11comp_targetILNS1_3genE4ELNS1_11target_archE910ELNS1_3gpuE8ELNS1_3repE0EEENS1_36merge_oddeven_config_static_selectorELNS0_4arch9wavefront6targetE1EEEvSH_ ; -- Begin function _ZN7rocprim17ROCPRIM_400000_NS6detail17trampoline_kernelINS0_14default_configENS1_38merge_sort_block_merge_config_selectorIllEEZZNS1_27merge_sort_block_merge_implIS3_PlN6thrust23THRUST_200600_302600_NS10device_ptrIlEEjNS1_19radix_merge_compareILb0ELb0ElNS0_19identity_decomposerEEEEE10hipError_tT0_T1_T2_jT3_P12ihipStream_tbPNSt15iterator_traitsISG_E10value_typeEPNSM_ISH_E10value_typeEPSI_NS1_7vsmem_tEENKUlT_SG_SH_SI_E_clIS7_S7_S7_SB_EESF_SV_SG_SH_SI_EUlSV_E1_NS1_11comp_targetILNS1_3genE4ELNS1_11target_archE910ELNS1_3gpuE8ELNS1_3repE0EEENS1_36merge_oddeven_config_static_selectorELNS0_4arch9wavefront6targetE1EEEvSH_
	.globl	_ZN7rocprim17ROCPRIM_400000_NS6detail17trampoline_kernelINS0_14default_configENS1_38merge_sort_block_merge_config_selectorIllEEZZNS1_27merge_sort_block_merge_implIS3_PlN6thrust23THRUST_200600_302600_NS10device_ptrIlEEjNS1_19radix_merge_compareILb0ELb0ElNS0_19identity_decomposerEEEEE10hipError_tT0_T1_T2_jT3_P12ihipStream_tbPNSt15iterator_traitsISG_E10value_typeEPNSM_ISH_E10value_typeEPSI_NS1_7vsmem_tEENKUlT_SG_SH_SI_E_clIS7_S7_S7_SB_EESF_SV_SG_SH_SI_EUlSV_E1_NS1_11comp_targetILNS1_3genE4ELNS1_11target_archE910ELNS1_3gpuE8ELNS1_3repE0EEENS1_36merge_oddeven_config_static_selectorELNS0_4arch9wavefront6targetE1EEEvSH_
	.p2align	8
	.type	_ZN7rocprim17ROCPRIM_400000_NS6detail17trampoline_kernelINS0_14default_configENS1_38merge_sort_block_merge_config_selectorIllEEZZNS1_27merge_sort_block_merge_implIS3_PlN6thrust23THRUST_200600_302600_NS10device_ptrIlEEjNS1_19radix_merge_compareILb0ELb0ElNS0_19identity_decomposerEEEEE10hipError_tT0_T1_T2_jT3_P12ihipStream_tbPNSt15iterator_traitsISG_E10value_typeEPNSM_ISH_E10value_typeEPSI_NS1_7vsmem_tEENKUlT_SG_SH_SI_E_clIS7_S7_S7_SB_EESF_SV_SG_SH_SI_EUlSV_E1_NS1_11comp_targetILNS1_3genE4ELNS1_11target_archE910ELNS1_3gpuE8ELNS1_3repE0EEENS1_36merge_oddeven_config_static_selectorELNS0_4arch9wavefront6targetE1EEEvSH_,@function
_ZN7rocprim17ROCPRIM_400000_NS6detail17trampoline_kernelINS0_14default_configENS1_38merge_sort_block_merge_config_selectorIllEEZZNS1_27merge_sort_block_merge_implIS3_PlN6thrust23THRUST_200600_302600_NS10device_ptrIlEEjNS1_19radix_merge_compareILb0ELb0ElNS0_19identity_decomposerEEEEE10hipError_tT0_T1_T2_jT3_P12ihipStream_tbPNSt15iterator_traitsISG_E10value_typeEPNSM_ISH_E10value_typeEPSI_NS1_7vsmem_tEENKUlT_SG_SH_SI_E_clIS7_S7_S7_SB_EESF_SV_SG_SH_SI_EUlSV_E1_NS1_11comp_targetILNS1_3genE4ELNS1_11target_archE910ELNS1_3gpuE8ELNS1_3repE0EEENS1_36merge_oddeven_config_static_selectorELNS0_4arch9wavefront6targetE1EEEvSH_: ; @_ZN7rocprim17ROCPRIM_400000_NS6detail17trampoline_kernelINS0_14default_configENS1_38merge_sort_block_merge_config_selectorIllEEZZNS1_27merge_sort_block_merge_implIS3_PlN6thrust23THRUST_200600_302600_NS10device_ptrIlEEjNS1_19radix_merge_compareILb0ELb0ElNS0_19identity_decomposerEEEEE10hipError_tT0_T1_T2_jT3_P12ihipStream_tbPNSt15iterator_traitsISG_E10value_typeEPNSM_ISH_E10value_typeEPSI_NS1_7vsmem_tEENKUlT_SG_SH_SI_E_clIS7_S7_S7_SB_EESF_SV_SG_SH_SI_EUlSV_E1_NS1_11comp_targetILNS1_3genE4ELNS1_11target_archE910ELNS1_3gpuE8ELNS1_3repE0EEENS1_36merge_oddeven_config_static_selectorELNS0_4arch9wavefront6targetE1EEEvSH_
; %bb.0:
	.section	.rodata,"a",@progbits
	.p2align	6, 0x0
	.amdhsa_kernel _ZN7rocprim17ROCPRIM_400000_NS6detail17trampoline_kernelINS0_14default_configENS1_38merge_sort_block_merge_config_selectorIllEEZZNS1_27merge_sort_block_merge_implIS3_PlN6thrust23THRUST_200600_302600_NS10device_ptrIlEEjNS1_19radix_merge_compareILb0ELb0ElNS0_19identity_decomposerEEEEE10hipError_tT0_T1_T2_jT3_P12ihipStream_tbPNSt15iterator_traitsISG_E10value_typeEPNSM_ISH_E10value_typeEPSI_NS1_7vsmem_tEENKUlT_SG_SH_SI_E_clIS7_S7_S7_SB_EESF_SV_SG_SH_SI_EUlSV_E1_NS1_11comp_targetILNS1_3genE4ELNS1_11target_archE910ELNS1_3gpuE8ELNS1_3repE0EEENS1_36merge_oddeven_config_static_selectorELNS0_4arch9wavefront6targetE1EEEvSH_
		.amdhsa_group_segment_fixed_size 0
		.amdhsa_private_segment_fixed_size 0
		.amdhsa_kernarg_size 48
		.amdhsa_user_sgpr_count 6
		.amdhsa_user_sgpr_private_segment_buffer 1
		.amdhsa_user_sgpr_dispatch_ptr 0
		.amdhsa_user_sgpr_queue_ptr 0
		.amdhsa_user_sgpr_kernarg_segment_ptr 1
		.amdhsa_user_sgpr_dispatch_id 0
		.amdhsa_user_sgpr_flat_scratch_init 0
		.amdhsa_user_sgpr_private_segment_size 0
		.amdhsa_uses_dynamic_stack 0
		.amdhsa_system_sgpr_private_segment_wavefront_offset 0
		.amdhsa_system_sgpr_workgroup_id_x 1
		.amdhsa_system_sgpr_workgroup_id_y 0
		.amdhsa_system_sgpr_workgroup_id_z 0
		.amdhsa_system_sgpr_workgroup_info 0
		.amdhsa_system_vgpr_workitem_id 0
		.amdhsa_next_free_vgpr 1
		.amdhsa_next_free_sgpr 0
		.amdhsa_reserve_vcc 0
		.amdhsa_reserve_flat_scratch 0
		.amdhsa_float_round_mode_32 0
		.amdhsa_float_round_mode_16_64 0
		.amdhsa_float_denorm_mode_32 3
		.amdhsa_float_denorm_mode_16_64 3
		.amdhsa_dx10_clamp 1
		.amdhsa_ieee_mode 1
		.amdhsa_fp16_overflow 0
		.amdhsa_exception_fp_ieee_invalid_op 0
		.amdhsa_exception_fp_denorm_src 0
		.amdhsa_exception_fp_ieee_div_zero 0
		.amdhsa_exception_fp_ieee_overflow 0
		.amdhsa_exception_fp_ieee_underflow 0
		.amdhsa_exception_fp_ieee_inexact 0
		.amdhsa_exception_int_div_zero 0
	.end_amdhsa_kernel
	.section	.text._ZN7rocprim17ROCPRIM_400000_NS6detail17trampoline_kernelINS0_14default_configENS1_38merge_sort_block_merge_config_selectorIllEEZZNS1_27merge_sort_block_merge_implIS3_PlN6thrust23THRUST_200600_302600_NS10device_ptrIlEEjNS1_19radix_merge_compareILb0ELb0ElNS0_19identity_decomposerEEEEE10hipError_tT0_T1_T2_jT3_P12ihipStream_tbPNSt15iterator_traitsISG_E10value_typeEPNSM_ISH_E10value_typeEPSI_NS1_7vsmem_tEENKUlT_SG_SH_SI_E_clIS7_S7_S7_SB_EESF_SV_SG_SH_SI_EUlSV_E1_NS1_11comp_targetILNS1_3genE4ELNS1_11target_archE910ELNS1_3gpuE8ELNS1_3repE0EEENS1_36merge_oddeven_config_static_selectorELNS0_4arch9wavefront6targetE1EEEvSH_,"axG",@progbits,_ZN7rocprim17ROCPRIM_400000_NS6detail17trampoline_kernelINS0_14default_configENS1_38merge_sort_block_merge_config_selectorIllEEZZNS1_27merge_sort_block_merge_implIS3_PlN6thrust23THRUST_200600_302600_NS10device_ptrIlEEjNS1_19radix_merge_compareILb0ELb0ElNS0_19identity_decomposerEEEEE10hipError_tT0_T1_T2_jT3_P12ihipStream_tbPNSt15iterator_traitsISG_E10value_typeEPNSM_ISH_E10value_typeEPSI_NS1_7vsmem_tEENKUlT_SG_SH_SI_E_clIS7_S7_S7_SB_EESF_SV_SG_SH_SI_EUlSV_E1_NS1_11comp_targetILNS1_3genE4ELNS1_11target_archE910ELNS1_3gpuE8ELNS1_3repE0EEENS1_36merge_oddeven_config_static_selectorELNS0_4arch9wavefront6targetE1EEEvSH_,comdat
.Lfunc_end1029:
	.size	_ZN7rocprim17ROCPRIM_400000_NS6detail17trampoline_kernelINS0_14default_configENS1_38merge_sort_block_merge_config_selectorIllEEZZNS1_27merge_sort_block_merge_implIS3_PlN6thrust23THRUST_200600_302600_NS10device_ptrIlEEjNS1_19radix_merge_compareILb0ELb0ElNS0_19identity_decomposerEEEEE10hipError_tT0_T1_T2_jT3_P12ihipStream_tbPNSt15iterator_traitsISG_E10value_typeEPNSM_ISH_E10value_typeEPSI_NS1_7vsmem_tEENKUlT_SG_SH_SI_E_clIS7_S7_S7_SB_EESF_SV_SG_SH_SI_EUlSV_E1_NS1_11comp_targetILNS1_3genE4ELNS1_11target_archE910ELNS1_3gpuE8ELNS1_3repE0EEENS1_36merge_oddeven_config_static_selectorELNS0_4arch9wavefront6targetE1EEEvSH_, .Lfunc_end1029-_ZN7rocprim17ROCPRIM_400000_NS6detail17trampoline_kernelINS0_14default_configENS1_38merge_sort_block_merge_config_selectorIllEEZZNS1_27merge_sort_block_merge_implIS3_PlN6thrust23THRUST_200600_302600_NS10device_ptrIlEEjNS1_19radix_merge_compareILb0ELb0ElNS0_19identity_decomposerEEEEE10hipError_tT0_T1_T2_jT3_P12ihipStream_tbPNSt15iterator_traitsISG_E10value_typeEPNSM_ISH_E10value_typeEPSI_NS1_7vsmem_tEENKUlT_SG_SH_SI_E_clIS7_S7_S7_SB_EESF_SV_SG_SH_SI_EUlSV_E1_NS1_11comp_targetILNS1_3genE4ELNS1_11target_archE910ELNS1_3gpuE8ELNS1_3repE0EEENS1_36merge_oddeven_config_static_selectorELNS0_4arch9wavefront6targetE1EEEvSH_
                                        ; -- End function
	.set _ZN7rocprim17ROCPRIM_400000_NS6detail17trampoline_kernelINS0_14default_configENS1_38merge_sort_block_merge_config_selectorIllEEZZNS1_27merge_sort_block_merge_implIS3_PlN6thrust23THRUST_200600_302600_NS10device_ptrIlEEjNS1_19radix_merge_compareILb0ELb0ElNS0_19identity_decomposerEEEEE10hipError_tT0_T1_T2_jT3_P12ihipStream_tbPNSt15iterator_traitsISG_E10value_typeEPNSM_ISH_E10value_typeEPSI_NS1_7vsmem_tEENKUlT_SG_SH_SI_E_clIS7_S7_S7_SB_EESF_SV_SG_SH_SI_EUlSV_E1_NS1_11comp_targetILNS1_3genE4ELNS1_11target_archE910ELNS1_3gpuE8ELNS1_3repE0EEENS1_36merge_oddeven_config_static_selectorELNS0_4arch9wavefront6targetE1EEEvSH_.num_vgpr, 0
	.set _ZN7rocprim17ROCPRIM_400000_NS6detail17trampoline_kernelINS0_14default_configENS1_38merge_sort_block_merge_config_selectorIllEEZZNS1_27merge_sort_block_merge_implIS3_PlN6thrust23THRUST_200600_302600_NS10device_ptrIlEEjNS1_19radix_merge_compareILb0ELb0ElNS0_19identity_decomposerEEEEE10hipError_tT0_T1_T2_jT3_P12ihipStream_tbPNSt15iterator_traitsISG_E10value_typeEPNSM_ISH_E10value_typeEPSI_NS1_7vsmem_tEENKUlT_SG_SH_SI_E_clIS7_S7_S7_SB_EESF_SV_SG_SH_SI_EUlSV_E1_NS1_11comp_targetILNS1_3genE4ELNS1_11target_archE910ELNS1_3gpuE8ELNS1_3repE0EEENS1_36merge_oddeven_config_static_selectorELNS0_4arch9wavefront6targetE1EEEvSH_.num_agpr, 0
	.set _ZN7rocprim17ROCPRIM_400000_NS6detail17trampoline_kernelINS0_14default_configENS1_38merge_sort_block_merge_config_selectorIllEEZZNS1_27merge_sort_block_merge_implIS3_PlN6thrust23THRUST_200600_302600_NS10device_ptrIlEEjNS1_19radix_merge_compareILb0ELb0ElNS0_19identity_decomposerEEEEE10hipError_tT0_T1_T2_jT3_P12ihipStream_tbPNSt15iterator_traitsISG_E10value_typeEPNSM_ISH_E10value_typeEPSI_NS1_7vsmem_tEENKUlT_SG_SH_SI_E_clIS7_S7_S7_SB_EESF_SV_SG_SH_SI_EUlSV_E1_NS1_11comp_targetILNS1_3genE4ELNS1_11target_archE910ELNS1_3gpuE8ELNS1_3repE0EEENS1_36merge_oddeven_config_static_selectorELNS0_4arch9wavefront6targetE1EEEvSH_.numbered_sgpr, 0
	.set _ZN7rocprim17ROCPRIM_400000_NS6detail17trampoline_kernelINS0_14default_configENS1_38merge_sort_block_merge_config_selectorIllEEZZNS1_27merge_sort_block_merge_implIS3_PlN6thrust23THRUST_200600_302600_NS10device_ptrIlEEjNS1_19radix_merge_compareILb0ELb0ElNS0_19identity_decomposerEEEEE10hipError_tT0_T1_T2_jT3_P12ihipStream_tbPNSt15iterator_traitsISG_E10value_typeEPNSM_ISH_E10value_typeEPSI_NS1_7vsmem_tEENKUlT_SG_SH_SI_E_clIS7_S7_S7_SB_EESF_SV_SG_SH_SI_EUlSV_E1_NS1_11comp_targetILNS1_3genE4ELNS1_11target_archE910ELNS1_3gpuE8ELNS1_3repE0EEENS1_36merge_oddeven_config_static_selectorELNS0_4arch9wavefront6targetE1EEEvSH_.num_named_barrier, 0
	.set _ZN7rocprim17ROCPRIM_400000_NS6detail17trampoline_kernelINS0_14default_configENS1_38merge_sort_block_merge_config_selectorIllEEZZNS1_27merge_sort_block_merge_implIS3_PlN6thrust23THRUST_200600_302600_NS10device_ptrIlEEjNS1_19radix_merge_compareILb0ELb0ElNS0_19identity_decomposerEEEEE10hipError_tT0_T1_T2_jT3_P12ihipStream_tbPNSt15iterator_traitsISG_E10value_typeEPNSM_ISH_E10value_typeEPSI_NS1_7vsmem_tEENKUlT_SG_SH_SI_E_clIS7_S7_S7_SB_EESF_SV_SG_SH_SI_EUlSV_E1_NS1_11comp_targetILNS1_3genE4ELNS1_11target_archE910ELNS1_3gpuE8ELNS1_3repE0EEENS1_36merge_oddeven_config_static_selectorELNS0_4arch9wavefront6targetE1EEEvSH_.private_seg_size, 0
	.set _ZN7rocprim17ROCPRIM_400000_NS6detail17trampoline_kernelINS0_14default_configENS1_38merge_sort_block_merge_config_selectorIllEEZZNS1_27merge_sort_block_merge_implIS3_PlN6thrust23THRUST_200600_302600_NS10device_ptrIlEEjNS1_19radix_merge_compareILb0ELb0ElNS0_19identity_decomposerEEEEE10hipError_tT0_T1_T2_jT3_P12ihipStream_tbPNSt15iterator_traitsISG_E10value_typeEPNSM_ISH_E10value_typeEPSI_NS1_7vsmem_tEENKUlT_SG_SH_SI_E_clIS7_S7_S7_SB_EESF_SV_SG_SH_SI_EUlSV_E1_NS1_11comp_targetILNS1_3genE4ELNS1_11target_archE910ELNS1_3gpuE8ELNS1_3repE0EEENS1_36merge_oddeven_config_static_selectorELNS0_4arch9wavefront6targetE1EEEvSH_.uses_vcc, 0
	.set _ZN7rocprim17ROCPRIM_400000_NS6detail17trampoline_kernelINS0_14default_configENS1_38merge_sort_block_merge_config_selectorIllEEZZNS1_27merge_sort_block_merge_implIS3_PlN6thrust23THRUST_200600_302600_NS10device_ptrIlEEjNS1_19radix_merge_compareILb0ELb0ElNS0_19identity_decomposerEEEEE10hipError_tT0_T1_T2_jT3_P12ihipStream_tbPNSt15iterator_traitsISG_E10value_typeEPNSM_ISH_E10value_typeEPSI_NS1_7vsmem_tEENKUlT_SG_SH_SI_E_clIS7_S7_S7_SB_EESF_SV_SG_SH_SI_EUlSV_E1_NS1_11comp_targetILNS1_3genE4ELNS1_11target_archE910ELNS1_3gpuE8ELNS1_3repE0EEENS1_36merge_oddeven_config_static_selectorELNS0_4arch9wavefront6targetE1EEEvSH_.uses_flat_scratch, 0
	.set _ZN7rocprim17ROCPRIM_400000_NS6detail17trampoline_kernelINS0_14default_configENS1_38merge_sort_block_merge_config_selectorIllEEZZNS1_27merge_sort_block_merge_implIS3_PlN6thrust23THRUST_200600_302600_NS10device_ptrIlEEjNS1_19radix_merge_compareILb0ELb0ElNS0_19identity_decomposerEEEEE10hipError_tT0_T1_T2_jT3_P12ihipStream_tbPNSt15iterator_traitsISG_E10value_typeEPNSM_ISH_E10value_typeEPSI_NS1_7vsmem_tEENKUlT_SG_SH_SI_E_clIS7_S7_S7_SB_EESF_SV_SG_SH_SI_EUlSV_E1_NS1_11comp_targetILNS1_3genE4ELNS1_11target_archE910ELNS1_3gpuE8ELNS1_3repE0EEENS1_36merge_oddeven_config_static_selectorELNS0_4arch9wavefront6targetE1EEEvSH_.has_dyn_sized_stack, 0
	.set _ZN7rocprim17ROCPRIM_400000_NS6detail17trampoline_kernelINS0_14default_configENS1_38merge_sort_block_merge_config_selectorIllEEZZNS1_27merge_sort_block_merge_implIS3_PlN6thrust23THRUST_200600_302600_NS10device_ptrIlEEjNS1_19radix_merge_compareILb0ELb0ElNS0_19identity_decomposerEEEEE10hipError_tT0_T1_T2_jT3_P12ihipStream_tbPNSt15iterator_traitsISG_E10value_typeEPNSM_ISH_E10value_typeEPSI_NS1_7vsmem_tEENKUlT_SG_SH_SI_E_clIS7_S7_S7_SB_EESF_SV_SG_SH_SI_EUlSV_E1_NS1_11comp_targetILNS1_3genE4ELNS1_11target_archE910ELNS1_3gpuE8ELNS1_3repE0EEENS1_36merge_oddeven_config_static_selectorELNS0_4arch9wavefront6targetE1EEEvSH_.has_recursion, 0
	.set _ZN7rocprim17ROCPRIM_400000_NS6detail17trampoline_kernelINS0_14default_configENS1_38merge_sort_block_merge_config_selectorIllEEZZNS1_27merge_sort_block_merge_implIS3_PlN6thrust23THRUST_200600_302600_NS10device_ptrIlEEjNS1_19radix_merge_compareILb0ELb0ElNS0_19identity_decomposerEEEEE10hipError_tT0_T1_T2_jT3_P12ihipStream_tbPNSt15iterator_traitsISG_E10value_typeEPNSM_ISH_E10value_typeEPSI_NS1_7vsmem_tEENKUlT_SG_SH_SI_E_clIS7_S7_S7_SB_EESF_SV_SG_SH_SI_EUlSV_E1_NS1_11comp_targetILNS1_3genE4ELNS1_11target_archE910ELNS1_3gpuE8ELNS1_3repE0EEENS1_36merge_oddeven_config_static_selectorELNS0_4arch9wavefront6targetE1EEEvSH_.has_indirect_call, 0
	.section	.AMDGPU.csdata,"",@progbits
; Kernel info:
; codeLenInByte = 0
; TotalNumSgprs: 4
; NumVgprs: 0
; ScratchSize: 0
; MemoryBound: 0
; FloatMode: 240
; IeeeMode: 1
; LDSByteSize: 0 bytes/workgroup (compile time only)
; SGPRBlocks: 0
; VGPRBlocks: 0
; NumSGPRsForWavesPerEU: 4
; NumVGPRsForWavesPerEU: 1
; Occupancy: 10
; WaveLimiterHint : 0
; COMPUTE_PGM_RSRC2:SCRATCH_EN: 0
; COMPUTE_PGM_RSRC2:USER_SGPR: 6
; COMPUTE_PGM_RSRC2:TRAP_HANDLER: 0
; COMPUTE_PGM_RSRC2:TGID_X_EN: 1
; COMPUTE_PGM_RSRC2:TGID_Y_EN: 0
; COMPUTE_PGM_RSRC2:TGID_Z_EN: 0
; COMPUTE_PGM_RSRC2:TIDIG_COMP_CNT: 0
	.section	.text._ZN7rocprim17ROCPRIM_400000_NS6detail17trampoline_kernelINS0_14default_configENS1_38merge_sort_block_merge_config_selectorIllEEZZNS1_27merge_sort_block_merge_implIS3_PlN6thrust23THRUST_200600_302600_NS10device_ptrIlEEjNS1_19radix_merge_compareILb0ELb0ElNS0_19identity_decomposerEEEEE10hipError_tT0_T1_T2_jT3_P12ihipStream_tbPNSt15iterator_traitsISG_E10value_typeEPNSM_ISH_E10value_typeEPSI_NS1_7vsmem_tEENKUlT_SG_SH_SI_E_clIS7_S7_S7_SB_EESF_SV_SG_SH_SI_EUlSV_E1_NS1_11comp_targetILNS1_3genE3ELNS1_11target_archE908ELNS1_3gpuE7ELNS1_3repE0EEENS1_36merge_oddeven_config_static_selectorELNS0_4arch9wavefront6targetE1EEEvSH_,"axG",@progbits,_ZN7rocprim17ROCPRIM_400000_NS6detail17trampoline_kernelINS0_14default_configENS1_38merge_sort_block_merge_config_selectorIllEEZZNS1_27merge_sort_block_merge_implIS3_PlN6thrust23THRUST_200600_302600_NS10device_ptrIlEEjNS1_19radix_merge_compareILb0ELb0ElNS0_19identity_decomposerEEEEE10hipError_tT0_T1_T2_jT3_P12ihipStream_tbPNSt15iterator_traitsISG_E10value_typeEPNSM_ISH_E10value_typeEPSI_NS1_7vsmem_tEENKUlT_SG_SH_SI_E_clIS7_S7_S7_SB_EESF_SV_SG_SH_SI_EUlSV_E1_NS1_11comp_targetILNS1_3genE3ELNS1_11target_archE908ELNS1_3gpuE7ELNS1_3repE0EEENS1_36merge_oddeven_config_static_selectorELNS0_4arch9wavefront6targetE1EEEvSH_,comdat
	.protected	_ZN7rocprim17ROCPRIM_400000_NS6detail17trampoline_kernelINS0_14default_configENS1_38merge_sort_block_merge_config_selectorIllEEZZNS1_27merge_sort_block_merge_implIS3_PlN6thrust23THRUST_200600_302600_NS10device_ptrIlEEjNS1_19radix_merge_compareILb0ELb0ElNS0_19identity_decomposerEEEEE10hipError_tT0_T1_T2_jT3_P12ihipStream_tbPNSt15iterator_traitsISG_E10value_typeEPNSM_ISH_E10value_typeEPSI_NS1_7vsmem_tEENKUlT_SG_SH_SI_E_clIS7_S7_S7_SB_EESF_SV_SG_SH_SI_EUlSV_E1_NS1_11comp_targetILNS1_3genE3ELNS1_11target_archE908ELNS1_3gpuE7ELNS1_3repE0EEENS1_36merge_oddeven_config_static_selectorELNS0_4arch9wavefront6targetE1EEEvSH_ ; -- Begin function _ZN7rocprim17ROCPRIM_400000_NS6detail17trampoline_kernelINS0_14default_configENS1_38merge_sort_block_merge_config_selectorIllEEZZNS1_27merge_sort_block_merge_implIS3_PlN6thrust23THRUST_200600_302600_NS10device_ptrIlEEjNS1_19radix_merge_compareILb0ELb0ElNS0_19identity_decomposerEEEEE10hipError_tT0_T1_T2_jT3_P12ihipStream_tbPNSt15iterator_traitsISG_E10value_typeEPNSM_ISH_E10value_typeEPSI_NS1_7vsmem_tEENKUlT_SG_SH_SI_E_clIS7_S7_S7_SB_EESF_SV_SG_SH_SI_EUlSV_E1_NS1_11comp_targetILNS1_3genE3ELNS1_11target_archE908ELNS1_3gpuE7ELNS1_3repE0EEENS1_36merge_oddeven_config_static_selectorELNS0_4arch9wavefront6targetE1EEEvSH_
	.globl	_ZN7rocprim17ROCPRIM_400000_NS6detail17trampoline_kernelINS0_14default_configENS1_38merge_sort_block_merge_config_selectorIllEEZZNS1_27merge_sort_block_merge_implIS3_PlN6thrust23THRUST_200600_302600_NS10device_ptrIlEEjNS1_19radix_merge_compareILb0ELb0ElNS0_19identity_decomposerEEEEE10hipError_tT0_T1_T2_jT3_P12ihipStream_tbPNSt15iterator_traitsISG_E10value_typeEPNSM_ISH_E10value_typeEPSI_NS1_7vsmem_tEENKUlT_SG_SH_SI_E_clIS7_S7_S7_SB_EESF_SV_SG_SH_SI_EUlSV_E1_NS1_11comp_targetILNS1_3genE3ELNS1_11target_archE908ELNS1_3gpuE7ELNS1_3repE0EEENS1_36merge_oddeven_config_static_selectorELNS0_4arch9wavefront6targetE1EEEvSH_
	.p2align	8
	.type	_ZN7rocprim17ROCPRIM_400000_NS6detail17trampoline_kernelINS0_14default_configENS1_38merge_sort_block_merge_config_selectorIllEEZZNS1_27merge_sort_block_merge_implIS3_PlN6thrust23THRUST_200600_302600_NS10device_ptrIlEEjNS1_19radix_merge_compareILb0ELb0ElNS0_19identity_decomposerEEEEE10hipError_tT0_T1_T2_jT3_P12ihipStream_tbPNSt15iterator_traitsISG_E10value_typeEPNSM_ISH_E10value_typeEPSI_NS1_7vsmem_tEENKUlT_SG_SH_SI_E_clIS7_S7_S7_SB_EESF_SV_SG_SH_SI_EUlSV_E1_NS1_11comp_targetILNS1_3genE3ELNS1_11target_archE908ELNS1_3gpuE7ELNS1_3repE0EEENS1_36merge_oddeven_config_static_selectorELNS0_4arch9wavefront6targetE1EEEvSH_,@function
_ZN7rocprim17ROCPRIM_400000_NS6detail17trampoline_kernelINS0_14default_configENS1_38merge_sort_block_merge_config_selectorIllEEZZNS1_27merge_sort_block_merge_implIS3_PlN6thrust23THRUST_200600_302600_NS10device_ptrIlEEjNS1_19radix_merge_compareILb0ELb0ElNS0_19identity_decomposerEEEEE10hipError_tT0_T1_T2_jT3_P12ihipStream_tbPNSt15iterator_traitsISG_E10value_typeEPNSM_ISH_E10value_typeEPSI_NS1_7vsmem_tEENKUlT_SG_SH_SI_E_clIS7_S7_S7_SB_EESF_SV_SG_SH_SI_EUlSV_E1_NS1_11comp_targetILNS1_3genE3ELNS1_11target_archE908ELNS1_3gpuE7ELNS1_3repE0EEENS1_36merge_oddeven_config_static_selectorELNS0_4arch9wavefront6targetE1EEEvSH_: ; @_ZN7rocprim17ROCPRIM_400000_NS6detail17trampoline_kernelINS0_14default_configENS1_38merge_sort_block_merge_config_selectorIllEEZZNS1_27merge_sort_block_merge_implIS3_PlN6thrust23THRUST_200600_302600_NS10device_ptrIlEEjNS1_19radix_merge_compareILb0ELb0ElNS0_19identity_decomposerEEEEE10hipError_tT0_T1_T2_jT3_P12ihipStream_tbPNSt15iterator_traitsISG_E10value_typeEPNSM_ISH_E10value_typeEPSI_NS1_7vsmem_tEENKUlT_SG_SH_SI_E_clIS7_S7_S7_SB_EESF_SV_SG_SH_SI_EUlSV_E1_NS1_11comp_targetILNS1_3genE3ELNS1_11target_archE908ELNS1_3gpuE7ELNS1_3repE0EEENS1_36merge_oddeven_config_static_selectorELNS0_4arch9wavefront6targetE1EEEvSH_
; %bb.0:
	.section	.rodata,"a",@progbits
	.p2align	6, 0x0
	.amdhsa_kernel _ZN7rocprim17ROCPRIM_400000_NS6detail17trampoline_kernelINS0_14default_configENS1_38merge_sort_block_merge_config_selectorIllEEZZNS1_27merge_sort_block_merge_implIS3_PlN6thrust23THRUST_200600_302600_NS10device_ptrIlEEjNS1_19radix_merge_compareILb0ELb0ElNS0_19identity_decomposerEEEEE10hipError_tT0_T1_T2_jT3_P12ihipStream_tbPNSt15iterator_traitsISG_E10value_typeEPNSM_ISH_E10value_typeEPSI_NS1_7vsmem_tEENKUlT_SG_SH_SI_E_clIS7_S7_S7_SB_EESF_SV_SG_SH_SI_EUlSV_E1_NS1_11comp_targetILNS1_3genE3ELNS1_11target_archE908ELNS1_3gpuE7ELNS1_3repE0EEENS1_36merge_oddeven_config_static_selectorELNS0_4arch9wavefront6targetE1EEEvSH_
		.amdhsa_group_segment_fixed_size 0
		.amdhsa_private_segment_fixed_size 0
		.amdhsa_kernarg_size 48
		.amdhsa_user_sgpr_count 6
		.amdhsa_user_sgpr_private_segment_buffer 1
		.amdhsa_user_sgpr_dispatch_ptr 0
		.amdhsa_user_sgpr_queue_ptr 0
		.amdhsa_user_sgpr_kernarg_segment_ptr 1
		.amdhsa_user_sgpr_dispatch_id 0
		.amdhsa_user_sgpr_flat_scratch_init 0
		.amdhsa_user_sgpr_private_segment_size 0
		.amdhsa_uses_dynamic_stack 0
		.amdhsa_system_sgpr_private_segment_wavefront_offset 0
		.amdhsa_system_sgpr_workgroup_id_x 1
		.amdhsa_system_sgpr_workgroup_id_y 0
		.amdhsa_system_sgpr_workgroup_id_z 0
		.amdhsa_system_sgpr_workgroup_info 0
		.amdhsa_system_vgpr_workitem_id 0
		.amdhsa_next_free_vgpr 1
		.amdhsa_next_free_sgpr 0
		.amdhsa_reserve_vcc 0
		.amdhsa_reserve_flat_scratch 0
		.amdhsa_float_round_mode_32 0
		.amdhsa_float_round_mode_16_64 0
		.amdhsa_float_denorm_mode_32 3
		.amdhsa_float_denorm_mode_16_64 3
		.amdhsa_dx10_clamp 1
		.amdhsa_ieee_mode 1
		.amdhsa_fp16_overflow 0
		.amdhsa_exception_fp_ieee_invalid_op 0
		.amdhsa_exception_fp_denorm_src 0
		.amdhsa_exception_fp_ieee_div_zero 0
		.amdhsa_exception_fp_ieee_overflow 0
		.amdhsa_exception_fp_ieee_underflow 0
		.amdhsa_exception_fp_ieee_inexact 0
		.amdhsa_exception_int_div_zero 0
	.end_amdhsa_kernel
	.section	.text._ZN7rocprim17ROCPRIM_400000_NS6detail17trampoline_kernelINS0_14default_configENS1_38merge_sort_block_merge_config_selectorIllEEZZNS1_27merge_sort_block_merge_implIS3_PlN6thrust23THRUST_200600_302600_NS10device_ptrIlEEjNS1_19radix_merge_compareILb0ELb0ElNS0_19identity_decomposerEEEEE10hipError_tT0_T1_T2_jT3_P12ihipStream_tbPNSt15iterator_traitsISG_E10value_typeEPNSM_ISH_E10value_typeEPSI_NS1_7vsmem_tEENKUlT_SG_SH_SI_E_clIS7_S7_S7_SB_EESF_SV_SG_SH_SI_EUlSV_E1_NS1_11comp_targetILNS1_3genE3ELNS1_11target_archE908ELNS1_3gpuE7ELNS1_3repE0EEENS1_36merge_oddeven_config_static_selectorELNS0_4arch9wavefront6targetE1EEEvSH_,"axG",@progbits,_ZN7rocprim17ROCPRIM_400000_NS6detail17trampoline_kernelINS0_14default_configENS1_38merge_sort_block_merge_config_selectorIllEEZZNS1_27merge_sort_block_merge_implIS3_PlN6thrust23THRUST_200600_302600_NS10device_ptrIlEEjNS1_19radix_merge_compareILb0ELb0ElNS0_19identity_decomposerEEEEE10hipError_tT0_T1_T2_jT3_P12ihipStream_tbPNSt15iterator_traitsISG_E10value_typeEPNSM_ISH_E10value_typeEPSI_NS1_7vsmem_tEENKUlT_SG_SH_SI_E_clIS7_S7_S7_SB_EESF_SV_SG_SH_SI_EUlSV_E1_NS1_11comp_targetILNS1_3genE3ELNS1_11target_archE908ELNS1_3gpuE7ELNS1_3repE0EEENS1_36merge_oddeven_config_static_selectorELNS0_4arch9wavefront6targetE1EEEvSH_,comdat
.Lfunc_end1030:
	.size	_ZN7rocprim17ROCPRIM_400000_NS6detail17trampoline_kernelINS0_14default_configENS1_38merge_sort_block_merge_config_selectorIllEEZZNS1_27merge_sort_block_merge_implIS3_PlN6thrust23THRUST_200600_302600_NS10device_ptrIlEEjNS1_19radix_merge_compareILb0ELb0ElNS0_19identity_decomposerEEEEE10hipError_tT0_T1_T2_jT3_P12ihipStream_tbPNSt15iterator_traitsISG_E10value_typeEPNSM_ISH_E10value_typeEPSI_NS1_7vsmem_tEENKUlT_SG_SH_SI_E_clIS7_S7_S7_SB_EESF_SV_SG_SH_SI_EUlSV_E1_NS1_11comp_targetILNS1_3genE3ELNS1_11target_archE908ELNS1_3gpuE7ELNS1_3repE0EEENS1_36merge_oddeven_config_static_selectorELNS0_4arch9wavefront6targetE1EEEvSH_, .Lfunc_end1030-_ZN7rocprim17ROCPRIM_400000_NS6detail17trampoline_kernelINS0_14default_configENS1_38merge_sort_block_merge_config_selectorIllEEZZNS1_27merge_sort_block_merge_implIS3_PlN6thrust23THRUST_200600_302600_NS10device_ptrIlEEjNS1_19radix_merge_compareILb0ELb0ElNS0_19identity_decomposerEEEEE10hipError_tT0_T1_T2_jT3_P12ihipStream_tbPNSt15iterator_traitsISG_E10value_typeEPNSM_ISH_E10value_typeEPSI_NS1_7vsmem_tEENKUlT_SG_SH_SI_E_clIS7_S7_S7_SB_EESF_SV_SG_SH_SI_EUlSV_E1_NS1_11comp_targetILNS1_3genE3ELNS1_11target_archE908ELNS1_3gpuE7ELNS1_3repE0EEENS1_36merge_oddeven_config_static_selectorELNS0_4arch9wavefront6targetE1EEEvSH_
                                        ; -- End function
	.set _ZN7rocprim17ROCPRIM_400000_NS6detail17trampoline_kernelINS0_14default_configENS1_38merge_sort_block_merge_config_selectorIllEEZZNS1_27merge_sort_block_merge_implIS3_PlN6thrust23THRUST_200600_302600_NS10device_ptrIlEEjNS1_19radix_merge_compareILb0ELb0ElNS0_19identity_decomposerEEEEE10hipError_tT0_T1_T2_jT3_P12ihipStream_tbPNSt15iterator_traitsISG_E10value_typeEPNSM_ISH_E10value_typeEPSI_NS1_7vsmem_tEENKUlT_SG_SH_SI_E_clIS7_S7_S7_SB_EESF_SV_SG_SH_SI_EUlSV_E1_NS1_11comp_targetILNS1_3genE3ELNS1_11target_archE908ELNS1_3gpuE7ELNS1_3repE0EEENS1_36merge_oddeven_config_static_selectorELNS0_4arch9wavefront6targetE1EEEvSH_.num_vgpr, 0
	.set _ZN7rocprim17ROCPRIM_400000_NS6detail17trampoline_kernelINS0_14default_configENS1_38merge_sort_block_merge_config_selectorIllEEZZNS1_27merge_sort_block_merge_implIS3_PlN6thrust23THRUST_200600_302600_NS10device_ptrIlEEjNS1_19radix_merge_compareILb0ELb0ElNS0_19identity_decomposerEEEEE10hipError_tT0_T1_T2_jT3_P12ihipStream_tbPNSt15iterator_traitsISG_E10value_typeEPNSM_ISH_E10value_typeEPSI_NS1_7vsmem_tEENKUlT_SG_SH_SI_E_clIS7_S7_S7_SB_EESF_SV_SG_SH_SI_EUlSV_E1_NS1_11comp_targetILNS1_3genE3ELNS1_11target_archE908ELNS1_3gpuE7ELNS1_3repE0EEENS1_36merge_oddeven_config_static_selectorELNS0_4arch9wavefront6targetE1EEEvSH_.num_agpr, 0
	.set _ZN7rocprim17ROCPRIM_400000_NS6detail17trampoline_kernelINS0_14default_configENS1_38merge_sort_block_merge_config_selectorIllEEZZNS1_27merge_sort_block_merge_implIS3_PlN6thrust23THRUST_200600_302600_NS10device_ptrIlEEjNS1_19radix_merge_compareILb0ELb0ElNS0_19identity_decomposerEEEEE10hipError_tT0_T1_T2_jT3_P12ihipStream_tbPNSt15iterator_traitsISG_E10value_typeEPNSM_ISH_E10value_typeEPSI_NS1_7vsmem_tEENKUlT_SG_SH_SI_E_clIS7_S7_S7_SB_EESF_SV_SG_SH_SI_EUlSV_E1_NS1_11comp_targetILNS1_3genE3ELNS1_11target_archE908ELNS1_3gpuE7ELNS1_3repE0EEENS1_36merge_oddeven_config_static_selectorELNS0_4arch9wavefront6targetE1EEEvSH_.numbered_sgpr, 0
	.set _ZN7rocprim17ROCPRIM_400000_NS6detail17trampoline_kernelINS0_14default_configENS1_38merge_sort_block_merge_config_selectorIllEEZZNS1_27merge_sort_block_merge_implIS3_PlN6thrust23THRUST_200600_302600_NS10device_ptrIlEEjNS1_19radix_merge_compareILb0ELb0ElNS0_19identity_decomposerEEEEE10hipError_tT0_T1_T2_jT3_P12ihipStream_tbPNSt15iterator_traitsISG_E10value_typeEPNSM_ISH_E10value_typeEPSI_NS1_7vsmem_tEENKUlT_SG_SH_SI_E_clIS7_S7_S7_SB_EESF_SV_SG_SH_SI_EUlSV_E1_NS1_11comp_targetILNS1_3genE3ELNS1_11target_archE908ELNS1_3gpuE7ELNS1_3repE0EEENS1_36merge_oddeven_config_static_selectorELNS0_4arch9wavefront6targetE1EEEvSH_.num_named_barrier, 0
	.set _ZN7rocprim17ROCPRIM_400000_NS6detail17trampoline_kernelINS0_14default_configENS1_38merge_sort_block_merge_config_selectorIllEEZZNS1_27merge_sort_block_merge_implIS3_PlN6thrust23THRUST_200600_302600_NS10device_ptrIlEEjNS1_19radix_merge_compareILb0ELb0ElNS0_19identity_decomposerEEEEE10hipError_tT0_T1_T2_jT3_P12ihipStream_tbPNSt15iterator_traitsISG_E10value_typeEPNSM_ISH_E10value_typeEPSI_NS1_7vsmem_tEENKUlT_SG_SH_SI_E_clIS7_S7_S7_SB_EESF_SV_SG_SH_SI_EUlSV_E1_NS1_11comp_targetILNS1_3genE3ELNS1_11target_archE908ELNS1_3gpuE7ELNS1_3repE0EEENS1_36merge_oddeven_config_static_selectorELNS0_4arch9wavefront6targetE1EEEvSH_.private_seg_size, 0
	.set _ZN7rocprim17ROCPRIM_400000_NS6detail17trampoline_kernelINS0_14default_configENS1_38merge_sort_block_merge_config_selectorIllEEZZNS1_27merge_sort_block_merge_implIS3_PlN6thrust23THRUST_200600_302600_NS10device_ptrIlEEjNS1_19radix_merge_compareILb0ELb0ElNS0_19identity_decomposerEEEEE10hipError_tT0_T1_T2_jT3_P12ihipStream_tbPNSt15iterator_traitsISG_E10value_typeEPNSM_ISH_E10value_typeEPSI_NS1_7vsmem_tEENKUlT_SG_SH_SI_E_clIS7_S7_S7_SB_EESF_SV_SG_SH_SI_EUlSV_E1_NS1_11comp_targetILNS1_3genE3ELNS1_11target_archE908ELNS1_3gpuE7ELNS1_3repE0EEENS1_36merge_oddeven_config_static_selectorELNS0_4arch9wavefront6targetE1EEEvSH_.uses_vcc, 0
	.set _ZN7rocprim17ROCPRIM_400000_NS6detail17trampoline_kernelINS0_14default_configENS1_38merge_sort_block_merge_config_selectorIllEEZZNS1_27merge_sort_block_merge_implIS3_PlN6thrust23THRUST_200600_302600_NS10device_ptrIlEEjNS1_19radix_merge_compareILb0ELb0ElNS0_19identity_decomposerEEEEE10hipError_tT0_T1_T2_jT3_P12ihipStream_tbPNSt15iterator_traitsISG_E10value_typeEPNSM_ISH_E10value_typeEPSI_NS1_7vsmem_tEENKUlT_SG_SH_SI_E_clIS7_S7_S7_SB_EESF_SV_SG_SH_SI_EUlSV_E1_NS1_11comp_targetILNS1_3genE3ELNS1_11target_archE908ELNS1_3gpuE7ELNS1_3repE0EEENS1_36merge_oddeven_config_static_selectorELNS0_4arch9wavefront6targetE1EEEvSH_.uses_flat_scratch, 0
	.set _ZN7rocprim17ROCPRIM_400000_NS6detail17trampoline_kernelINS0_14default_configENS1_38merge_sort_block_merge_config_selectorIllEEZZNS1_27merge_sort_block_merge_implIS3_PlN6thrust23THRUST_200600_302600_NS10device_ptrIlEEjNS1_19radix_merge_compareILb0ELb0ElNS0_19identity_decomposerEEEEE10hipError_tT0_T1_T2_jT3_P12ihipStream_tbPNSt15iterator_traitsISG_E10value_typeEPNSM_ISH_E10value_typeEPSI_NS1_7vsmem_tEENKUlT_SG_SH_SI_E_clIS7_S7_S7_SB_EESF_SV_SG_SH_SI_EUlSV_E1_NS1_11comp_targetILNS1_3genE3ELNS1_11target_archE908ELNS1_3gpuE7ELNS1_3repE0EEENS1_36merge_oddeven_config_static_selectorELNS0_4arch9wavefront6targetE1EEEvSH_.has_dyn_sized_stack, 0
	.set _ZN7rocprim17ROCPRIM_400000_NS6detail17trampoline_kernelINS0_14default_configENS1_38merge_sort_block_merge_config_selectorIllEEZZNS1_27merge_sort_block_merge_implIS3_PlN6thrust23THRUST_200600_302600_NS10device_ptrIlEEjNS1_19radix_merge_compareILb0ELb0ElNS0_19identity_decomposerEEEEE10hipError_tT0_T1_T2_jT3_P12ihipStream_tbPNSt15iterator_traitsISG_E10value_typeEPNSM_ISH_E10value_typeEPSI_NS1_7vsmem_tEENKUlT_SG_SH_SI_E_clIS7_S7_S7_SB_EESF_SV_SG_SH_SI_EUlSV_E1_NS1_11comp_targetILNS1_3genE3ELNS1_11target_archE908ELNS1_3gpuE7ELNS1_3repE0EEENS1_36merge_oddeven_config_static_selectorELNS0_4arch9wavefront6targetE1EEEvSH_.has_recursion, 0
	.set _ZN7rocprim17ROCPRIM_400000_NS6detail17trampoline_kernelINS0_14default_configENS1_38merge_sort_block_merge_config_selectorIllEEZZNS1_27merge_sort_block_merge_implIS3_PlN6thrust23THRUST_200600_302600_NS10device_ptrIlEEjNS1_19radix_merge_compareILb0ELb0ElNS0_19identity_decomposerEEEEE10hipError_tT0_T1_T2_jT3_P12ihipStream_tbPNSt15iterator_traitsISG_E10value_typeEPNSM_ISH_E10value_typeEPSI_NS1_7vsmem_tEENKUlT_SG_SH_SI_E_clIS7_S7_S7_SB_EESF_SV_SG_SH_SI_EUlSV_E1_NS1_11comp_targetILNS1_3genE3ELNS1_11target_archE908ELNS1_3gpuE7ELNS1_3repE0EEENS1_36merge_oddeven_config_static_selectorELNS0_4arch9wavefront6targetE1EEEvSH_.has_indirect_call, 0
	.section	.AMDGPU.csdata,"",@progbits
; Kernel info:
; codeLenInByte = 0
; TotalNumSgprs: 4
; NumVgprs: 0
; ScratchSize: 0
; MemoryBound: 0
; FloatMode: 240
; IeeeMode: 1
; LDSByteSize: 0 bytes/workgroup (compile time only)
; SGPRBlocks: 0
; VGPRBlocks: 0
; NumSGPRsForWavesPerEU: 4
; NumVGPRsForWavesPerEU: 1
; Occupancy: 10
; WaveLimiterHint : 0
; COMPUTE_PGM_RSRC2:SCRATCH_EN: 0
; COMPUTE_PGM_RSRC2:USER_SGPR: 6
; COMPUTE_PGM_RSRC2:TRAP_HANDLER: 0
; COMPUTE_PGM_RSRC2:TGID_X_EN: 1
; COMPUTE_PGM_RSRC2:TGID_Y_EN: 0
; COMPUTE_PGM_RSRC2:TGID_Z_EN: 0
; COMPUTE_PGM_RSRC2:TIDIG_COMP_CNT: 0
	.section	.text._ZN7rocprim17ROCPRIM_400000_NS6detail17trampoline_kernelINS0_14default_configENS1_38merge_sort_block_merge_config_selectorIllEEZZNS1_27merge_sort_block_merge_implIS3_PlN6thrust23THRUST_200600_302600_NS10device_ptrIlEEjNS1_19radix_merge_compareILb0ELb0ElNS0_19identity_decomposerEEEEE10hipError_tT0_T1_T2_jT3_P12ihipStream_tbPNSt15iterator_traitsISG_E10value_typeEPNSM_ISH_E10value_typeEPSI_NS1_7vsmem_tEENKUlT_SG_SH_SI_E_clIS7_S7_S7_SB_EESF_SV_SG_SH_SI_EUlSV_E1_NS1_11comp_targetILNS1_3genE2ELNS1_11target_archE906ELNS1_3gpuE6ELNS1_3repE0EEENS1_36merge_oddeven_config_static_selectorELNS0_4arch9wavefront6targetE1EEEvSH_,"axG",@progbits,_ZN7rocprim17ROCPRIM_400000_NS6detail17trampoline_kernelINS0_14default_configENS1_38merge_sort_block_merge_config_selectorIllEEZZNS1_27merge_sort_block_merge_implIS3_PlN6thrust23THRUST_200600_302600_NS10device_ptrIlEEjNS1_19radix_merge_compareILb0ELb0ElNS0_19identity_decomposerEEEEE10hipError_tT0_T1_T2_jT3_P12ihipStream_tbPNSt15iterator_traitsISG_E10value_typeEPNSM_ISH_E10value_typeEPSI_NS1_7vsmem_tEENKUlT_SG_SH_SI_E_clIS7_S7_S7_SB_EESF_SV_SG_SH_SI_EUlSV_E1_NS1_11comp_targetILNS1_3genE2ELNS1_11target_archE906ELNS1_3gpuE6ELNS1_3repE0EEENS1_36merge_oddeven_config_static_selectorELNS0_4arch9wavefront6targetE1EEEvSH_,comdat
	.protected	_ZN7rocprim17ROCPRIM_400000_NS6detail17trampoline_kernelINS0_14default_configENS1_38merge_sort_block_merge_config_selectorIllEEZZNS1_27merge_sort_block_merge_implIS3_PlN6thrust23THRUST_200600_302600_NS10device_ptrIlEEjNS1_19radix_merge_compareILb0ELb0ElNS0_19identity_decomposerEEEEE10hipError_tT0_T1_T2_jT3_P12ihipStream_tbPNSt15iterator_traitsISG_E10value_typeEPNSM_ISH_E10value_typeEPSI_NS1_7vsmem_tEENKUlT_SG_SH_SI_E_clIS7_S7_S7_SB_EESF_SV_SG_SH_SI_EUlSV_E1_NS1_11comp_targetILNS1_3genE2ELNS1_11target_archE906ELNS1_3gpuE6ELNS1_3repE0EEENS1_36merge_oddeven_config_static_selectorELNS0_4arch9wavefront6targetE1EEEvSH_ ; -- Begin function _ZN7rocprim17ROCPRIM_400000_NS6detail17trampoline_kernelINS0_14default_configENS1_38merge_sort_block_merge_config_selectorIllEEZZNS1_27merge_sort_block_merge_implIS3_PlN6thrust23THRUST_200600_302600_NS10device_ptrIlEEjNS1_19radix_merge_compareILb0ELb0ElNS0_19identity_decomposerEEEEE10hipError_tT0_T1_T2_jT3_P12ihipStream_tbPNSt15iterator_traitsISG_E10value_typeEPNSM_ISH_E10value_typeEPSI_NS1_7vsmem_tEENKUlT_SG_SH_SI_E_clIS7_S7_S7_SB_EESF_SV_SG_SH_SI_EUlSV_E1_NS1_11comp_targetILNS1_3genE2ELNS1_11target_archE906ELNS1_3gpuE6ELNS1_3repE0EEENS1_36merge_oddeven_config_static_selectorELNS0_4arch9wavefront6targetE1EEEvSH_
	.globl	_ZN7rocprim17ROCPRIM_400000_NS6detail17trampoline_kernelINS0_14default_configENS1_38merge_sort_block_merge_config_selectorIllEEZZNS1_27merge_sort_block_merge_implIS3_PlN6thrust23THRUST_200600_302600_NS10device_ptrIlEEjNS1_19radix_merge_compareILb0ELb0ElNS0_19identity_decomposerEEEEE10hipError_tT0_T1_T2_jT3_P12ihipStream_tbPNSt15iterator_traitsISG_E10value_typeEPNSM_ISH_E10value_typeEPSI_NS1_7vsmem_tEENKUlT_SG_SH_SI_E_clIS7_S7_S7_SB_EESF_SV_SG_SH_SI_EUlSV_E1_NS1_11comp_targetILNS1_3genE2ELNS1_11target_archE906ELNS1_3gpuE6ELNS1_3repE0EEENS1_36merge_oddeven_config_static_selectorELNS0_4arch9wavefront6targetE1EEEvSH_
	.p2align	8
	.type	_ZN7rocprim17ROCPRIM_400000_NS6detail17trampoline_kernelINS0_14default_configENS1_38merge_sort_block_merge_config_selectorIllEEZZNS1_27merge_sort_block_merge_implIS3_PlN6thrust23THRUST_200600_302600_NS10device_ptrIlEEjNS1_19radix_merge_compareILb0ELb0ElNS0_19identity_decomposerEEEEE10hipError_tT0_T1_T2_jT3_P12ihipStream_tbPNSt15iterator_traitsISG_E10value_typeEPNSM_ISH_E10value_typeEPSI_NS1_7vsmem_tEENKUlT_SG_SH_SI_E_clIS7_S7_S7_SB_EESF_SV_SG_SH_SI_EUlSV_E1_NS1_11comp_targetILNS1_3genE2ELNS1_11target_archE906ELNS1_3gpuE6ELNS1_3repE0EEENS1_36merge_oddeven_config_static_selectorELNS0_4arch9wavefront6targetE1EEEvSH_,@function
_ZN7rocprim17ROCPRIM_400000_NS6detail17trampoline_kernelINS0_14default_configENS1_38merge_sort_block_merge_config_selectorIllEEZZNS1_27merge_sort_block_merge_implIS3_PlN6thrust23THRUST_200600_302600_NS10device_ptrIlEEjNS1_19radix_merge_compareILb0ELb0ElNS0_19identity_decomposerEEEEE10hipError_tT0_T1_T2_jT3_P12ihipStream_tbPNSt15iterator_traitsISG_E10value_typeEPNSM_ISH_E10value_typeEPSI_NS1_7vsmem_tEENKUlT_SG_SH_SI_E_clIS7_S7_S7_SB_EESF_SV_SG_SH_SI_EUlSV_E1_NS1_11comp_targetILNS1_3genE2ELNS1_11target_archE906ELNS1_3gpuE6ELNS1_3repE0EEENS1_36merge_oddeven_config_static_selectorELNS0_4arch9wavefront6targetE1EEEvSH_: ; @_ZN7rocprim17ROCPRIM_400000_NS6detail17trampoline_kernelINS0_14default_configENS1_38merge_sort_block_merge_config_selectorIllEEZZNS1_27merge_sort_block_merge_implIS3_PlN6thrust23THRUST_200600_302600_NS10device_ptrIlEEjNS1_19radix_merge_compareILb0ELb0ElNS0_19identity_decomposerEEEEE10hipError_tT0_T1_T2_jT3_P12ihipStream_tbPNSt15iterator_traitsISG_E10value_typeEPNSM_ISH_E10value_typeEPSI_NS1_7vsmem_tEENKUlT_SG_SH_SI_E_clIS7_S7_S7_SB_EESF_SV_SG_SH_SI_EUlSV_E1_NS1_11comp_targetILNS1_3genE2ELNS1_11target_archE906ELNS1_3gpuE6ELNS1_3repE0EEENS1_36merge_oddeven_config_static_selectorELNS0_4arch9wavefront6targetE1EEEvSH_
; %bb.0:
	s_load_dword s7, s[4:5], 0x20
	s_waitcnt lgkmcnt(0)
	s_lshr_b32 s0, s7, 8
	s_cmp_eq_u32 s6, s0
	s_cselect_b64 s[16:17], -1, 0
	s_cmp_lg_u32 s6, s0
	s_cselect_b64 s[0:1], -1, 0
	s_lshl_b32 s18, s6, 8
	s_sub_i32 s2, s7, s18
	v_cmp_gt_u32_e64 s[2:3], s2, v0
	s_or_b64 s[0:1], s[0:1], s[2:3]
	s_and_saveexec_b64 s[8:9], s[0:1]
	s_cbranch_execz .LBB1031_24
; %bb.1:
	s_load_dwordx8 s[8:15], s[4:5], 0x0
	s_mov_b32 s19, 0
	s_lshl_b64 s[0:1], s[18:19], 3
	v_lshlrev_b32_e32 v5, 3, v0
	s_waitcnt lgkmcnt(0)
	s_add_u32 s20, s8, s0
	s_addc_u32 s21, s9, s1
	s_add_u32 s0, s12, s0
	s_addc_u32 s1, s13, s1
	global_load_dwordx2 v[1:2], v5, s[0:1]
	global_load_dwordx2 v[3:4], v5, s[20:21]
	s_load_dword s13, s[4:5], 0x24
	v_add_u32_e32 v5, s18, v0
	s_waitcnt lgkmcnt(0)
	s_lshr_b32 s0, s13, 8
	s_sub_i32 s1, 0, s0
	s_and_b32 s1, s6, s1
	s_and_b32 s0, s1, s0
	s_lshl_b32 s19, s1, 8
	s_sub_i32 s6, 0, s13
	s_cmp_eq_u32 s0, 0
	s_cselect_b64 s[0:1], -1, 0
	s_and_b64 s[4:5], s[0:1], exec
	s_cselect_b32 s6, s13, s6
	s_add_i32 s6, s6, s19
	s_mov_b64 s[4:5], -1
	s_cmp_gt_u32 s7, s6
	s_cbranch_scc1 .LBB1031_9
; %bb.2:
	s_and_b64 vcc, exec, s[16:17]
	s_cbranch_vccz .LBB1031_6
; %bb.3:
	v_cmp_gt_u32_e32 vcc, s7, v5
	s_and_saveexec_b64 s[4:5], vcc
	s_cbranch_execz .LBB1031_5
; %bb.4:
	v_mov_b32_e32 v6, 0
	v_lshlrev_b64 v[6:7], 3, v[5:6]
	v_mov_b32_e32 v0, s11
	v_add_co_u32_e32 v8, vcc, s10, v6
	v_addc_co_u32_e32 v9, vcc, v0, v7, vcc
	v_mov_b32_e32 v0, s15
	v_add_co_u32_e32 v6, vcc, s14, v6
	v_addc_co_u32_e32 v7, vcc, v0, v7, vcc
	s_waitcnt vmcnt(0)
	global_store_dwordx2 v[8:9], v[3:4], off
	global_store_dwordx2 v[6:7], v[1:2], off
.LBB1031_5:
	s_or_b64 exec, exec, s[4:5]
	s_mov_b64 s[4:5], 0
.LBB1031_6:
	s_andn2_b64 vcc, exec, s[4:5]
	s_cbranch_vccnz .LBB1031_8
; %bb.7:
	v_mov_b32_e32 v6, 0
	v_lshlrev_b64 v[6:7], 3, v[5:6]
	v_mov_b32_e32 v0, s11
	v_add_co_u32_e32 v8, vcc, s10, v6
	v_addc_co_u32_e32 v9, vcc, v0, v7, vcc
	v_mov_b32_e32 v0, s15
	v_add_co_u32_e32 v6, vcc, s14, v6
	v_addc_co_u32_e32 v7, vcc, v0, v7, vcc
	s_waitcnt vmcnt(0)
	global_store_dwordx2 v[8:9], v[3:4], off
	global_store_dwordx2 v[6:7], v[1:2], off
.LBB1031_8:
	s_mov_b64 s[4:5], 0
.LBB1031_9:
	s_andn2_b64 vcc, exec, s[4:5]
	s_cbranch_vccnz .LBB1031_24
; %bb.10:
	s_min_u32 s12, s6, s7
	s_add_i32 s4, s12, s13
	s_min_u32 s7, s4, s7
	s_min_u32 s4, s19, s12
	s_add_i32 s19, s19, s12
	v_subrev_u32_e32 v0, s19, v5
	v_add_u32_e32 v0, s4, v0
	s_andn2_b64 vcc, exec, s[16:17]
	s_mov_b64 s[4:5], -1
	s_cbranch_vccnz .LBB1031_18
; %bb.11:
	s_and_saveexec_b64 s[4:5], s[2:3]
	s_cbranch_execz .LBB1031_17
; %bb.12:
	s_cmp_ge_u32 s6, s7
	v_mov_b32_e32 v7, s12
	s_cbranch_scc1 .LBB1031_16
; %bb.13:
	s_mov_b64 s[2:3], 0
	v_mov_b32_e32 v8, s7
	v_mov_b32_e32 v7, s12
	v_mov_b32_e32 v6, 0
	v_mov_b32_e32 v9, s9
.LBB1031_14:                            ; =>This Inner Loop Header: Depth=1
	v_add_u32_e32 v5, v7, v8
	v_lshrrev_b32_e32 v5, 1, v5
	v_lshlrev_b64 v[10:11], 3, v[5:6]
	v_add_u32_e32 v12, 1, v5
	v_add_co_u32_e32 v10, vcc, s8, v10
	v_addc_co_u32_e32 v11, vcc, v9, v11, vcc
	global_load_dwordx2 v[10:11], v[10:11], off
	s_waitcnt vmcnt(0)
	v_cmp_gt_i64_e32 vcc, v[3:4], v[10:11]
	v_cndmask_b32_e64 v13, 0, 1, vcc
	v_cmp_le_i64_e32 vcc, v[10:11], v[3:4]
	v_cndmask_b32_e64 v10, 0, 1, vcc
	v_cndmask_b32_e64 v10, v10, v13, s[0:1]
	v_and_b32_e32 v10, 1, v10
	v_cmp_eq_u32_e32 vcc, 1, v10
	v_cndmask_b32_e32 v8, v5, v8, vcc
	v_cndmask_b32_e32 v7, v7, v12, vcc
	v_cmp_ge_u32_e32 vcc, v7, v8
	s_or_b64 s[2:3], vcc, s[2:3]
	s_andn2_b64 exec, exec, s[2:3]
	s_cbranch_execnz .LBB1031_14
; %bb.15:
	s_or_b64 exec, exec, s[2:3]
.LBB1031_16:
	v_add_u32_e32 v5, v7, v0
	v_mov_b32_e32 v6, 0
	v_lshlrev_b64 v[5:6], 3, v[5:6]
	v_mov_b32_e32 v8, s11
	v_add_co_u32_e32 v7, vcc, s10, v5
	v_addc_co_u32_e32 v8, vcc, v8, v6, vcc
	s_waitcnt vmcnt(0)
	global_store_dwordx2 v[7:8], v[3:4], off
	v_mov_b32_e32 v7, s15
	v_add_co_u32_e32 v5, vcc, s14, v5
	v_addc_co_u32_e32 v6, vcc, v7, v6, vcc
	global_store_dwordx2 v[5:6], v[1:2], off
.LBB1031_17:
	s_or_b64 exec, exec, s[4:5]
	s_mov_b64 s[4:5], 0
.LBB1031_18:
	s_andn2_b64 vcc, exec, s[4:5]
	s_cbranch_vccnz .LBB1031_24
; %bb.19:
	s_cmp_ge_u32 s6, s7
	v_mov_b32_e32 v7, s12
	s_cbranch_scc1 .LBB1031_23
; %bb.20:
	s_mov_b64 s[2:3], 0
	v_mov_b32_e32 v8, s7
	v_mov_b32_e32 v7, s12
	;; [unrolled: 1-line block ×4, first 2 shown]
.LBB1031_21:                            ; =>This Inner Loop Header: Depth=1
	v_add_u32_e32 v5, v7, v8
	v_lshrrev_b32_e32 v5, 1, v5
	v_lshlrev_b64 v[10:11], 3, v[5:6]
	v_add_u32_e32 v12, 1, v5
	v_add_co_u32_e32 v10, vcc, s8, v10
	v_addc_co_u32_e32 v11, vcc, v9, v11, vcc
	global_load_dwordx2 v[10:11], v[10:11], off
	s_waitcnt vmcnt(0)
	v_cmp_gt_i64_e32 vcc, v[3:4], v[10:11]
	v_cndmask_b32_e64 v13, 0, 1, vcc
	v_cmp_le_i64_e32 vcc, v[10:11], v[3:4]
	v_cndmask_b32_e64 v10, 0, 1, vcc
	v_cndmask_b32_e64 v10, v10, v13, s[0:1]
	v_and_b32_e32 v10, 1, v10
	v_cmp_eq_u32_e32 vcc, 1, v10
	v_cndmask_b32_e32 v8, v5, v8, vcc
	v_cndmask_b32_e32 v7, v7, v12, vcc
	v_cmp_ge_u32_e32 vcc, v7, v8
	s_or_b64 s[2:3], vcc, s[2:3]
	s_andn2_b64 exec, exec, s[2:3]
	s_cbranch_execnz .LBB1031_21
; %bb.22:
	s_or_b64 exec, exec, s[2:3]
.LBB1031_23:
	v_add_u32_e32 v5, v7, v0
	v_mov_b32_e32 v6, 0
	v_lshlrev_b64 v[5:6], 3, v[5:6]
	v_mov_b32_e32 v0, s11
	v_add_co_u32_e32 v7, vcc, s10, v5
	v_addc_co_u32_e32 v8, vcc, v0, v6, vcc
	s_waitcnt vmcnt(0)
	global_store_dwordx2 v[7:8], v[3:4], off
	v_mov_b32_e32 v0, s15
	v_add_co_u32_e32 v3, vcc, s14, v5
	v_addc_co_u32_e32 v4, vcc, v0, v6, vcc
	global_store_dwordx2 v[3:4], v[1:2], off
.LBB1031_24:
	s_endpgm
	.section	.rodata,"a",@progbits
	.p2align	6, 0x0
	.amdhsa_kernel _ZN7rocprim17ROCPRIM_400000_NS6detail17trampoline_kernelINS0_14default_configENS1_38merge_sort_block_merge_config_selectorIllEEZZNS1_27merge_sort_block_merge_implIS3_PlN6thrust23THRUST_200600_302600_NS10device_ptrIlEEjNS1_19radix_merge_compareILb0ELb0ElNS0_19identity_decomposerEEEEE10hipError_tT0_T1_T2_jT3_P12ihipStream_tbPNSt15iterator_traitsISG_E10value_typeEPNSM_ISH_E10value_typeEPSI_NS1_7vsmem_tEENKUlT_SG_SH_SI_E_clIS7_S7_S7_SB_EESF_SV_SG_SH_SI_EUlSV_E1_NS1_11comp_targetILNS1_3genE2ELNS1_11target_archE906ELNS1_3gpuE6ELNS1_3repE0EEENS1_36merge_oddeven_config_static_selectorELNS0_4arch9wavefront6targetE1EEEvSH_
		.amdhsa_group_segment_fixed_size 0
		.amdhsa_private_segment_fixed_size 0
		.amdhsa_kernarg_size 48
		.amdhsa_user_sgpr_count 6
		.amdhsa_user_sgpr_private_segment_buffer 1
		.amdhsa_user_sgpr_dispatch_ptr 0
		.amdhsa_user_sgpr_queue_ptr 0
		.amdhsa_user_sgpr_kernarg_segment_ptr 1
		.amdhsa_user_sgpr_dispatch_id 0
		.amdhsa_user_sgpr_flat_scratch_init 0
		.amdhsa_user_sgpr_private_segment_size 0
		.amdhsa_uses_dynamic_stack 0
		.amdhsa_system_sgpr_private_segment_wavefront_offset 0
		.amdhsa_system_sgpr_workgroup_id_x 1
		.amdhsa_system_sgpr_workgroup_id_y 0
		.amdhsa_system_sgpr_workgroup_id_z 0
		.amdhsa_system_sgpr_workgroup_info 0
		.amdhsa_system_vgpr_workitem_id 0
		.amdhsa_next_free_vgpr 14
		.amdhsa_next_free_sgpr 22
		.amdhsa_reserve_vcc 1
		.amdhsa_reserve_flat_scratch 0
		.amdhsa_float_round_mode_32 0
		.amdhsa_float_round_mode_16_64 0
		.amdhsa_float_denorm_mode_32 3
		.amdhsa_float_denorm_mode_16_64 3
		.amdhsa_dx10_clamp 1
		.amdhsa_ieee_mode 1
		.amdhsa_fp16_overflow 0
		.amdhsa_exception_fp_ieee_invalid_op 0
		.amdhsa_exception_fp_denorm_src 0
		.amdhsa_exception_fp_ieee_div_zero 0
		.amdhsa_exception_fp_ieee_overflow 0
		.amdhsa_exception_fp_ieee_underflow 0
		.amdhsa_exception_fp_ieee_inexact 0
		.amdhsa_exception_int_div_zero 0
	.end_amdhsa_kernel
	.section	.text._ZN7rocprim17ROCPRIM_400000_NS6detail17trampoline_kernelINS0_14default_configENS1_38merge_sort_block_merge_config_selectorIllEEZZNS1_27merge_sort_block_merge_implIS3_PlN6thrust23THRUST_200600_302600_NS10device_ptrIlEEjNS1_19radix_merge_compareILb0ELb0ElNS0_19identity_decomposerEEEEE10hipError_tT0_T1_T2_jT3_P12ihipStream_tbPNSt15iterator_traitsISG_E10value_typeEPNSM_ISH_E10value_typeEPSI_NS1_7vsmem_tEENKUlT_SG_SH_SI_E_clIS7_S7_S7_SB_EESF_SV_SG_SH_SI_EUlSV_E1_NS1_11comp_targetILNS1_3genE2ELNS1_11target_archE906ELNS1_3gpuE6ELNS1_3repE0EEENS1_36merge_oddeven_config_static_selectorELNS0_4arch9wavefront6targetE1EEEvSH_,"axG",@progbits,_ZN7rocprim17ROCPRIM_400000_NS6detail17trampoline_kernelINS0_14default_configENS1_38merge_sort_block_merge_config_selectorIllEEZZNS1_27merge_sort_block_merge_implIS3_PlN6thrust23THRUST_200600_302600_NS10device_ptrIlEEjNS1_19radix_merge_compareILb0ELb0ElNS0_19identity_decomposerEEEEE10hipError_tT0_T1_T2_jT3_P12ihipStream_tbPNSt15iterator_traitsISG_E10value_typeEPNSM_ISH_E10value_typeEPSI_NS1_7vsmem_tEENKUlT_SG_SH_SI_E_clIS7_S7_S7_SB_EESF_SV_SG_SH_SI_EUlSV_E1_NS1_11comp_targetILNS1_3genE2ELNS1_11target_archE906ELNS1_3gpuE6ELNS1_3repE0EEENS1_36merge_oddeven_config_static_selectorELNS0_4arch9wavefront6targetE1EEEvSH_,comdat
.Lfunc_end1031:
	.size	_ZN7rocprim17ROCPRIM_400000_NS6detail17trampoline_kernelINS0_14default_configENS1_38merge_sort_block_merge_config_selectorIllEEZZNS1_27merge_sort_block_merge_implIS3_PlN6thrust23THRUST_200600_302600_NS10device_ptrIlEEjNS1_19radix_merge_compareILb0ELb0ElNS0_19identity_decomposerEEEEE10hipError_tT0_T1_T2_jT3_P12ihipStream_tbPNSt15iterator_traitsISG_E10value_typeEPNSM_ISH_E10value_typeEPSI_NS1_7vsmem_tEENKUlT_SG_SH_SI_E_clIS7_S7_S7_SB_EESF_SV_SG_SH_SI_EUlSV_E1_NS1_11comp_targetILNS1_3genE2ELNS1_11target_archE906ELNS1_3gpuE6ELNS1_3repE0EEENS1_36merge_oddeven_config_static_selectorELNS0_4arch9wavefront6targetE1EEEvSH_, .Lfunc_end1031-_ZN7rocprim17ROCPRIM_400000_NS6detail17trampoline_kernelINS0_14default_configENS1_38merge_sort_block_merge_config_selectorIllEEZZNS1_27merge_sort_block_merge_implIS3_PlN6thrust23THRUST_200600_302600_NS10device_ptrIlEEjNS1_19radix_merge_compareILb0ELb0ElNS0_19identity_decomposerEEEEE10hipError_tT0_T1_T2_jT3_P12ihipStream_tbPNSt15iterator_traitsISG_E10value_typeEPNSM_ISH_E10value_typeEPSI_NS1_7vsmem_tEENKUlT_SG_SH_SI_E_clIS7_S7_S7_SB_EESF_SV_SG_SH_SI_EUlSV_E1_NS1_11comp_targetILNS1_3genE2ELNS1_11target_archE906ELNS1_3gpuE6ELNS1_3repE0EEENS1_36merge_oddeven_config_static_selectorELNS0_4arch9wavefront6targetE1EEEvSH_
                                        ; -- End function
	.set _ZN7rocprim17ROCPRIM_400000_NS6detail17trampoline_kernelINS0_14default_configENS1_38merge_sort_block_merge_config_selectorIllEEZZNS1_27merge_sort_block_merge_implIS3_PlN6thrust23THRUST_200600_302600_NS10device_ptrIlEEjNS1_19radix_merge_compareILb0ELb0ElNS0_19identity_decomposerEEEEE10hipError_tT0_T1_T2_jT3_P12ihipStream_tbPNSt15iterator_traitsISG_E10value_typeEPNSM_ISH_E10value_typeEPSI_NS1_7vsmem_tEENKUlT_SG_SH_SI_E_clIS7_S7_S7_SB_EESF_SV_SG_SH_SI_EUlSV_E1_NS1_11comp_targetILNS1_3genE2ELNS1_11target_archE906ELNS1_3gpuE6ELNS1_3repE0EEENS1_36merge_oddeven_config_static_selectorELNS0_4arch9wavefront6targetE1EEEvSH_.num_vgpr, 14
	.set _ZN7rocprim17ROCPRIM_400000_NS6detail17trampoline_kernelINS0_14default_configENS1_38merge_sort_block_merge_config_selectorIllEEZZNS1_27merge_sort_block_merge_implIS3_PlN6thrust23THRUST_200600_302600_NS10device_ptrIlEEjNS1_19radix_merge_compareILb0ELb0ElNS0_19identity_decomposerEEEEE10hipError_tT0_T1_T2_jT3_P12ihipStream_tbPNSt15iterator_traitsISG_E10value_typeEPNSM_ISH_E10value_typeEPSI_NS1_7vsmem_tEENKUlT_SG_SH_SI_E_clIS7_S7_S7_SB_EESF_SV_SG_SH_SI_EUlSV_E1_NS1_11comp_targetILNS1_3genE2ELNS1_11target_archE906ELNS1_3gpuE6ELNS1_3repE0EEENS1_36merge_oddeven_config_static_selectorELNS0_4arch9wavefront6targetE1EEEvSH_.num_agpr, 0
	.set _ZN7rocprim17ROCPRIM_400000_NS6detail17trampoline_kernelINS0_14default_configENS1_38merge_sort_block_merge_config_selectorIllEEZZNS1_27merge_sort_block_merge_implIS3_PlN6thrust23THRUST_200600_302600_NS10device_ptrIlEEjNS1_19radix_merge_compareILb0ELb0ElNS0_19identity_decomposerEEEEE10hipError_tT0_T1_T2_jT3_P12ihipStream_tbPNSt15iterator_traitsISG_E10value_typeEPNSM_ISH_E10value_typeEPSI_NS1_7vsmem_tEENKUlT_SG_SH_SI_E_clIS7_S7_S7_SB_EESF_SV_SG_SH_SI_EUlSV_E1_NS1_11comp_targetILNS1_3genE2ELNS1_11target_archE906ELNS1_3gpuE6ELNS1_3repE0EEENS1_36merge_oddeven_config_static_selectorELNS0_4arch9wavefront6targetE1EEEvSH_.numbered_sgpr, 22
	.set _ZN7rocprim17ROCPRIM_400000_NS6detail17trampoline_kernelINS0_14default_configENS1_38merge_sort_block_merge_config_selectorIllEEZZNS1_27merge_sort_block_merge_implIS3_PlN6thrust23THRUST_200600_302600_NS10device_ptrIlEEjNS1_19radix_merge_compareILb0ELb0ElNS0_19identity_decomposerEEEEE10hipError_tT0_T1_T2_jT3_P12ihipStream_tbPNSt15iterator_traitsISG_E10value_typeEPNSM_ISH_E10value_typeEPSI_NS1_7vsmem_tEENKUlT_SG_SH_SI_E_clIS7_S7_S7_SB_EESF_SV_SG_SH_SI_EUlSV_E1_NS1_11comp_targetILNS1_3genE2ELNS1_11target_archE906ELNS1_3gpuE6ELNS1_3repE0EEENS1_36merge_oddeven_config_static_selectorELNS0_4arch9wavefront6targetE1EEEvSH_.num_named_barrier, 0
	.set _ZN7rocprim17ROCPRIM_400000_NS6detail17trampoline_kernelINS0_14default_configENS1_38merge_sort_block_merge_config_selectorIllEEZZNS1_27merge_sort_block_merge_implIS3_PlN6thrust23THRUST_200600_302600_NS10device_ptrIlEEjNS1_19radix_merge_compareILb0ELb0ElNS0_19identity_decomposerEEEEE10hipError_tT0_T1_T2_jT3_P12ihipStream_tbPNSt15iterator_traitsISG_E10value_typeEPNSM_ISH_E10value_typeEPSI_NS1_7vsmem_tEENKUlT_SG_SH_SI_E_clIS7_S7_S7_SB_EESF_SV_SG_SH_SI_EUlSV_E1_NS1_11comp_targetILNS1_3genE2ELNS1_11target_archE906ELNS1_3gpuE6ELNS1_3repE0EEENS1_36merge_oddeven_config_static_selectorELNS0_4arch9wavefront6targetE1EEEvSH_.private_seg_size, 0
	.set _ZN7rocprim17ROCPRIM_400000_NS6detail17trampoline_kernelINS0_14default_configENS1_38merge_sort_block_merge_config_selectorIllEEZZNS1_27merge_sort_block_merge_implIS3_PlN6thrust23THRUST_200600_302600_NS10device_ptrIlEEjNS1_19radix_merge_compareILb0ELb0ElNS0_19identity_decomposerEEEEE10hipError_tT0_T1_T2_jT3_P12ihipStream_tbPNSt15iterator_traitsISG_E10value_typeEPNSM_ISH_E10value_typeEPSI_NS1_7vsmem_tEENKUlT_SG_SH_SI_E_clIS7_S7_S7_SB_EESF_SV_SG_SH_SI_EUlSV_E1_NS1_11comp_targetILNS1_3genE2ELNS1_11target_archE906ELNS1_3gpuE6ELNS1_3repE0EEENS1_36merge_oddeven_config_static_selectorELNS0_4arch9wavefront6targetE1EEEvSH_.uses_vcc, 1
	.set _ZN7rocprim17ROCPRIM_400000_NS6detail17trampoline_kernelINS0_14default_configENS1_38merge_sort_block_merge_config_selectorIllEEZZNS1_27merge_sort_block_merge_implIS3_PlN6thrust23THRUST_200600_302600_NS10device_ptrIlEEjNS1_19radix_merge_compareILb0ELb0ElNS0_19identity_decomposerEEEEE10hipError_tT0_T1_T2_jT3_P12ihipStream_tbPNSt15iterator_traitsISG_E10value_typeEPNSM_ISH_E10value_typeEPSI_NS1_7vsmem_tEENKUlT_SG_SH_SI_E_clIS7_S7_S7_SB_EESF_SV_SG_SH_SI_EUlSV_E1_NS1_11comp_targetILNS1_3genE2ELNS1_11target_archE906ELNS1_3gpuE6ELNS1_3repE0EEENS1_36merge_oddeven_config_static_selectorELNS0_4arch9wavefront6targetE1EEEvSH_.uses_flat_scratch, 0
	.set _ZN7rocprim17ROCPRIM_400000_NS6detail17trampoline_kernelINS0_14default_configENS1_38merge_sort_block_merge_config_selectorIllEEZZNS1_27merge_sort_block_merge_implIS3_PlN6thrust23THRUST_200600_302600_NS10device_ptrIlEEjNS1_19radix_merge_compareILb0ELb0ElNS0_19identity_decomposerEEEEE10hipError_tT0_T1_T2_jT3_P12ihipStream_tbPNSt15iterator_traitsISG_E10value_typeEPNSM_ISH_E10value_typeEPSI_NS1_7vsmem_tEENKUlT_SG_SH_SI_E_clIS7_S7_S7_SB_EESF_SV_SG_SH_SI_EUlSV_E1_NS1_11comp_targetILNS1_3genE2ELNS1_11target_archE906ELNS1_3gpuE6ELNS1_3repE0EEENS1_36merge_oddeven_config_static_selectorELNS0_4arch9wavefront6targetE1EEEvSH_.has_dyn_sized_stack, 0
	.set _ZN7rocprim17ROCPRIM_400000_NS6detail17trampoline_kernelINS0_14default_configENS1_38merge_sort_block_merge_config_selectorIllEEZZNS1_27merge_sort_block_merge_implIS3_PlN6thrust23THRUST_200600_302600_NS10device_ptrIlEEjNS1_19radix_merge_compareILb0ELb0ElNS0_19identity_decomposerEEEEE10hipError_tT0_T1_T2_jT3_P12ihipStream_tbPNSt15iterator_traitsISG_E10value_typeEPNSM_ISH_E10value_typeEPSI_NS1_7vsmem_tEENKUlT_SG_SH_SI_E_clIS7_S7_S7_SB_EESF_SV_SG_SH_SI_EUlSV_E1_NS1_11comp_targetILNS1_3genE2ELNS1_11target_archE906ELNS1_3gpuE6ELNS1_3repE0EEENS1_36merge_oddeven_config_static_selectorELNS0_4arch9wavefront6targetE1EEEvSH_.has_recursion, 0
	.set _ZN7rocprim17ROCPRIM_400000_NS6detail17trampoline_kernelINS0_14default_configENS1_38merge_sort_block_merge_config_selectorIllEEZZNS1_27merge_sort_block_merge_implIS3_PlN6thrust23THRUST_200600_302600_NS10device_ptrIlEEjNS1_19radix_merge_compareILb0ELb0ElNS0_19identity_decomposerEEEEE10hipError_tT0_T1_T2_jT3_P12ihipStream_tbPNSt15iterator_traitsISG_E10value_typeEPNSM_ISH_E10value_typeEPSI_NS1_7vsmem_tEENKUlT_SG_SH_SI_E_clIS7_S7_S7_SB_EESF_SV_SG_SH_SI_EUlSV_E1_NS1_11comp_targetILNS1_3genE2ELNS1_11target_archE906ELNS1_3gpuE6ELNS1_3repE0EEENS1_36merge_oddeven_config_static_selectorELNS0_4arch9wavefront6targetE1EEEvSH_.has_indirect_call, 0
	.section	.AMDGPU.csdata,"",@progbits
; Kernel info:
; codeLenInByte = 816
; TotalNumSgprs: 26
; NumVgprs: 14
; ScratchSize: 0
; MemoryBound: 0
; FloatMode: 240
; IeeeMode: 1
; LDSByteSize: 0 bytes/workgroup (compile time only)
; SGPRBlocks: 3
; VGPRBlocks: 3
; NumSGPRsForWavesPerEU: 26
; NumVGPRsForWavesPerEU: 14
; Occupancy: 10
; WaveLimiterHint : 0
; COMPUTE_PGM_RSRC2:SCRATCH_EN: 0
; COMPUTE_PGM_RSRC2:USER_SGPR: 6
; COMPUTE_PGM_RSRC2:TRAP_HANDLER: 0
; COMPUTE_PGM_RSRC2:TGID_X_EN: 1
; COMPUTE_PGM_RSRC2:TGID_Y_EN: 0
; COMPUTE_PGM_RSRC2:TGID_Z_EN: 0
; COMPUTE_PGM_RSRC2:TIDIG_COMP_CNT: 0
	.section	.text._ZN7rocprim17ROCPRIM_400000_NS6detail17trampoline_kernelINS0_14default_configENS1_38merge_sort_block_merge_config_selectorIllEEZZNS1_27merge_sort_block_merge_implIS3_PlN6thrust23THRUST_200600_302600_NS10device_ptrIlEEjNS1_19radix_merge_compareILb0ELb0ElNS0_19identity_decomposerEEEEE10hipError_tT0_T1_T2_jT3_P12ihipStream_tbPNSt15iterator_traitsISG_E10value_typeEPNSM_ISH_E10value_typeEPSI_NS1_7vsmem_tEENKUlT_SG_SH_SI_E_clIS7_S7_S7_SB_EESF_SV_SG_SH_SI_EUlSV_E1_NS1_11comp_targetILNS1_3genE9ELNS1_11target_archE1100ELNS1_3gpuE3ELNS1_3repE0EEENS1_36merge_oddeven_config_static_selectorELNS0_4arch9wavefront6targetE1EEEvSH_,"axG",@progbits,_ZN7rocprim17ROCPRIM_400000_NS6detail17trampoline_kernelINS0_14default_configENS1_38merge_sort_block_merge_config_selectorIllEEZZNS1_27merge_sort_block_merge_implIS3_PlN6thrust23THRUST_200600_302600_NS10device_ptrIlEEjNS1_19radix_merge_compareILb0ELb0ElNS0_19identity_decomposerEEEEE10hipError_tT0_T1_T2_jT3_P12ihipStream_tbPNSt15iterator_traitsISG_E10value_typeEPNSM_ISH_E10value_typeEPSI_NS1_7vsmem_tEENKUlT_SG_SH_SI_E_clIS7_S7_S7_SB_EESF_SV_SG_SH_SI_EUlSV_E1_NS1_11comp_targetILNS1_3genE9ELNS1_11target_archE1100ELNS1_3gpuE3ELNS1_3repE0EEENS1_36merge_oddeven_config_static_selectorELNS0_4arch9wavefront6targetE1EEEvSH_,comdat
	.protected	_ZN7rocprim17ROCPRIM_400000_NS6detail17trampoline_kernelINS0_14default_configENS1_38merge_sort_block_merge_config_selectorIllEEZZNS1_27merge_sort_block_merge_implIS3_PlN6thrust23THRUST_200600_302600_NS10device_ptrIlEEjNS1_19radix_merge_compareILb0ELb0ElNS0_19identity_decomposerEEEEE10hipError_tT0_T1_T2_jT3_P12ihipStream_tbPNSt15iterator_traitsISG_E10value_typeEPNSM_ISH_E10value_typeEPSI_NS1_7vsmem_tEENKUlT_SG_SH_SI_E_clIS7_S7_S7_SB_EESF_SV_SG_SH_SI_EUlSV_E1_NS1_11comp_targetILNS1_3genE9ELNS1_11target_archE1100ELNS1_3gpuE3ELNS1_3repE0EEENS1_36merge_oddeven_config_static_selectorELNS0_4arch9wavefront6targetE1EEEvSH_ ; -- Begin function _ZN7rocprim17ROCPRIM_400000_NS6detail17trampoline_kernelINS0_14default_configENS1_38merge_sort_block_merge_config_selectorIllEEZZNS1_27merge_sort_block_merge_implIS3_PlN6thrust23THRUST_200600_302600_NS10device_ptrIlEEjNS1_19radix_merge_compareILb0ELb0ElNS0_19identity_decomposerEEEEE10hipError_tT0_T1_T2_jT3_P12ihipStream_tbPNSt15iterator_traitsISG_E10value_typeEPNSM_ISH_E10value_typeEPSI_NS1_7vsmem_tEENKUlT_SG_SH_SI_E_clIS7_S7_S7_SB_EESF_SV_SG_SH_SI_EUlSV_E1_NS1_11comp_targetILNS1_3genE9ELNS1_11target_archE1100ELNS1_3gpuE3ELNS1_3repE0EEENS1_36merge_oddeven_config_static_selectorELNS0_4arch9wavefront6targetE1EEEvSH_
	.globl	_ZN7rocprim17ROCPRIM_400000_NS6detail17trampoline_kernelINS0_14default_configENS1_38merge_sort_block_merge_config_selectorIllEEZZNS1_27merge_sort_block_merge_implIS3_PlN6thrust23THRUST_200600_302600_NS10device_ptrIlEEjNS1_19radix_merge_compareILb0ELb0ElNS0_19identity_decomposerEEEEE10hipError_tT0_T1_T2_jT3_P12ihipStream_tbPNSt15iterator_traitsISG_E10value_typeEPNSM_ISH_E10value_typeEPSI_NS1_7vsmem_tEENKUlT_SG_SH_SI_E_clIS7_S7_S7_SB_EESF_SV_SG_SH_SI_EUlSV_E1_NS1_11comp_targetILNS1_3genE9ELNS1_11target_archE1100ELNS1_3gpuE3ELNS1_3repE0EEENS1_36merge_oddeven_config_static_selectorELNS0_4arch9wavefront6targetE1EEEvSH_
	.p2align	8
	.type	_ZN7rocprim17ROCPRIM_400000_NS6detail17trampoline_kernelINS0_14default_configENS1_38merge_sort_block_merge_config_selectorIllEEZZNS1_27merge_sort_block_merge_implIS3_PlN6thrust23THRUST_200600_302600_NS10device_ptrIlEEjNS1_19radix_merge_compareILb0ELb0ElNS0_19identity_decomposerEEEEE10hipError_tT0_T1_T2_jT3_P12ihipStream_tbPNSt15iterator_traitsISG_E10value_typeEPNSM_ISH_E10value_typeEPSI_NS1_7vsmem_tEENKUlT_SG_SH_SI_E_clIS7_S7_S7_SB_EESF_SV_SG_SH_SI_EUlSV_E1_NS1_11comp_targetILNS1_3genE9ELNS1_11target_archE1100ELNS1_3gpuE3ELNS1_3repE0EEENS1_36merge_oddeven_config_static_selectorELNS0_4arch9wavefront6targetE1EEEvSH_,@function
_ZN7rocprim17ROCPRIM_400000_NS6detail17trampoline_kernelINS0_14default_configENS1_38merge_sort_block_merge_config_selectorIllEEZZNS1_27merge_sort_block_merge_implIS3_PlN6thrust23THRUST_200600_302600_NS10device_ptrIlEEjNS1_19radix_merge_compareILb0ELb0ElNS0_19identity_decomposerEEEEE10hipError_tT0_T1_T2_jT3_P12ihipStream_tbPNSt15iterator_traitsISG_E10value_typeEPNSM_ISH_E10value_typeEPSI_NS1_7vsmem_tEENKUlT_SG_SH_SI_E_clIS7_S7_S7_SB_EESF_SV_SG_SH_SI_EUlSV_E1_NS1_11comp_targetILNS1_3genE9ELNS1_11target_archE1100ELNS1_3gpuE3ELNS1_3repE0EEENS1_36merge_oddeven_config_static_selectorELNS0_4arch9wavefront6targetE1EEEvSH_: ; @_ZN7rocprim17ROCPRIM_400000_NS6detail17trampoline_kernelINS0_14default_configENS1_38merge_sort_block_merge_config_selectorIllEEZZNS1_27merge_sort_block_merge_implIS3_PlN6thrust23THRUST_200600_302600_NS10device_ptrIlEEjNS1_19radix_merge_compareILb0ELb0ElNS0_19identity_decomposerEEEEE10hipError_tT0_T1_T2_jT3_P12ihipStream_tbPNSt15iterator_traitsISG_E10value_typeEPNSM_ISH_E10value_typeEPSI_NS1_7vsmem_tEENKUlT_SG_SH_SI_E_clIS7_S7_S7_SB_EESF_SV_SG_SH_SI_EUlSV_E1_NS1_11comp_targetILNS1_3genE9ELNS1_11target_archE1100ELNS1_3gpuE3ELNS1_3repE0EEENS1_36merge_oddeven_config_static_selectorELNS0_4arch9wavefront6targetE1EEEvSH_
; %bb.0:
	.section	.rodata,"a",@progbits
	.p2align	6, 0x0
	.amdhsa_kernel _ZN7rocprim17ROCPRIM_400000_NS6detail17trampoline_kernelINS0_14default_configENS1_38merge_sort_block_merge_config_selectorIllEEZZNS1_27merge_sort_block_merge_implIS3_PlN6thrust23THRUST_200600_302600_NS10device_ptrIlEEjNS1_19radix_merge_compareILb0ELb0ElNS0_19identity_decomposerEEEEE10hipError_tT0_T1_T2_jT3_P12ihipStream_tbPNSt15iterator_traitsISG_E10value_typeEPNSM_ISH_E10value_typeEPSI_NS1_7vsmem_tEENKUlT_SG_SH_SI_E_clIS7_S7_S7_SB_EESF_SV_SG_SH_SI_EUlSV_E1_NS1_11comp_targetILNS1_3genE9ELNS1_11target_archE1100ELNS1_3gpuE3ELNS1_3repE0EEENS1_36merge_oddeven_config_static_selectorELNS0_4arch9wavefront6targetE1EEEvSH_
		.amdhsa_group_segment_fixed_size 0
		.amdhsa_private_segment_fixed_size 0
		.amdhsa_kernarg_size 48
		.amdhsa_user_sgpr_count 6
		.amdhsa_user_sgpr_private_segment_buffer 1
		.amdhsa_user_sgpr_dispatch_ptr 0
		.amdhsa_user_sgpr_queue_ptr 0
		.amdhsa_user_sgpr_kernarg_segment_ptr 1
		.amdhsa_user_sgpr_dispatch_id 0
		.amdhsa_user_sgpr_flat_scratch_init 0
		.amdhsa_user_sgpr_private_segment_size 0
		.amdhsa_uses_dynamic_stack 0
		.amdhsa_system_sgpr_private_segment_wavefront_offset 0
		.amdhsa_system_sgpr_workgroup_id_x 1
		.amdhsa_system_sgpr_workgroup_id_y 0
		.amdhsa_system_sgpr_workgroup_id_z 0
		.amdhsa_system_sgpr_workgroup_info 0
		.amdhsa_system_vgpr_workitem_id 0
		.amdhsa_next_free_vgpr 1
		.amdhsa_next_free_sgpr 0
		.amdhsa_reserve_vcc 0
		.amdhsa_reserve_flat_scratch 0
		.amdhsa_float_round_mode_32 0
		.amdhsa_float_round_mode_16_64 0
		.amdhsa_float_denorm_mode_32 3
		.amdhsa_float_denorm_mode_16_64 3
		.amdhsa_dx10_clamp 1
		.amdhsa_ieee_mode 1
		.amdhsa_fp16_overflow 0
		.amdhsa_exception_fp_ieee_invalid_op 0
		.amdhsa_exception_fp_denorm_src 0
		.amdhsa_exception_fp_ieee_div_zero 0
		.amdhsa_exception_fp_ieee_overflow 0
		.amdhsa_exception_fp_ieee_underflow 0
		.amdhsa_exception_fp_ieee_inexact 0
		.amdhsa_exception_int_div_zero 0
	.end_amdhsa_kernel
	.section	.text._ZN7rocprim17ROCPRIM_400000_NS6detail17trampoline_kernelINS0_14default_configENS1_38merge_sort_block_merge_config_selectorIllEEZZNS1_27merge_sort_block_merge_implIS3_PlN6thrust23THRUST_200600_302600_NS10device_ptrIlEEjNS1_19radix_merge_compareILb0ELb0ElNS0_19identity_decomposerEEEEE10hipError_tT0_T1_T2_jT3_P12ihipStream_tbPNSt15iterator_traitsISG_E10value_typeEPNSM_ISH_E10value_typeEPSI_NS1_7vsmem_tEENKUlT_SG_SH_SI_E_clIS7_S7_S7_SB_EESF_SV_SG_SH_SI_EUlSV_E1_NS1_11comp_targetILNS1_3genE9ELNS1_11target_archE1100ELNS1_3gpuE3ELNS1_3repE0EEENS1_36merge_oddeven_config_static_selectorELNS0_4arch9wavefront6targetE1EEEvSH_,"axG",@progbits,_ZN7rocprim17ROCPRIM_400000_NS6detail17trampoline_kernelINS0_14default_configENS1_38merge_sort_block_merge_config_selectorIllEEZZNS1_27merge_sort_block_merge_implIS3_PlN6thrust23THRUST_200600_302600_NS10device_ptrIlEEjNS1_19radix_merge_compareILb0ELb0ElNS0_19identity_decomposerEEEEE10hipError_tT0_T1_T2_jT3_P12ihipStream_tbPNSt15iterator_traitsISG_E10value_typeEPNSM_ISH_E10value_typeEPSI_NS1_7vsmem_tEENKUlT_SG_SH_SI_E_clIS7_S7_S7_SB_EESF_SV_SG_SH_SI_EUlSV_E1_NS1_11comp_targetILNS1_3genE9ELNS1_11target_archE1100ELNS1_3gpuE3ELNS1_3repE0EEENS1_36merge_oddeven_config_static_selectorELNS0_4arch9wavefront6targetE1EEEvSH_,comdat
.Lfunc_end1032:
	.size	_ZN7rocprim17ROCPRIM_400000_NS6detail17trampoline_kernelINS0_14default_configENS1_38merge_sort_block_merge_config_selectorIllEEZZNS1_27merge_sort_block_merge_implIS3_PlN6thrust23THRUST_200600_302600_NS10device_ptrIlEEjNS1_19radix_merge_compareILb0ELb0ElNS0_19identity_decomposerEEEEE10hipError_tT0_T1_T2_jT3_P12ihipStream_tbPNSt15iterator_traitsISG_E10value_typeEPNSM_ISH_E10value_typeEPSI_NS1_7vsmem_tEENKUlT_SG_SH_SI_E_clIS7_S7_S7_SB_EESF_SV_SG_SH_SI_EUlSV_E1_NS1_11comp_targetILNS1_3genE9ELNS1_11target_archE1100ELNS1_3gpuE3ELNS1_3repE0EEENS1_36merge_oddeven_config_static_selectorELNS0_4arch9wavefront6targetE1EEEvSH_, .Lfunc_end1032-_ZN7rocprim17ROCPRIM_400000_NS6detail17trampoline_kernelINS0_14default_configENS1_38merge_sort_block_merge_config_selectorIllEEZZNS1_27merge_sort_block_merge_implIS3_PlN6thrust23THRUST_200600_302600_NS10device_ptrIlEEjNS1_19radix_merge_compareILb0ELb0ElNS0_19identity_decomposerEEEEE10hipError_tT0_T1_T2_jT3_P12ihipStream_tbPNSt15iterator_traitsISG_E10value_typeEPNSM_ISH_E10value_typeEPSI_NS1_7vsmem_tEENKUlT_SG_SH_SI_E_clIS7_S7_S7_SB_EESF_SV_SG_SH_SI_EUlSV_E1_NS1_11comp_targetILNS1_3genE9ELNS1_11target_archE1100ELNS1_3gpuE3ELNS1_3repE0EEENS1_36merge_oddeven_config_static_selectorELNS0_4arch9wavefront6targetE1EEEvSH_
                                        ; -- End function
	.set _ZN7rocprim17ROCPRIM_400000_NS6detail17trampoline_kernelINS0_14default_configENS1_38merge_sort_block_merge_config_selectorIllEEZZNS1_27merge_sort_block_merge_implIS3_PlN6thrust23THRUST_200600_302600_NS10device_ptrIlEEjNS1_19radix_merge_compareILb0ELb0ElNS0_19identity_decomposerEEEEE10hipError_tT0_T1_T2_jT3_P12ihipStream_tbPNSt15iterator_traitsISG_E10value_typeEPNSM_ISH_E10value_typeEPSI_NS1_7vsmem_tEENKUlT_SG_SH_SI_E_clIS7_S7_S7_SB_EESF_SV_SG_SH_SI_EUlSV_E1_NS1_11comp_targetILNS1_3genE9ELNS1_11target_archE1100ELNS1_3gpuE3ELNS1_3repE0EEENS1_36merge_oddeven_config_static_selectorELNS0_4arch9wavefront6targetE1EEEvSH_.num_vgpr, 0
	.set _ZN7rocprim17ROCPRIM_400000_NS6detail17trampoline_kernelINS0_14default_configENS1_38merge_sort_block_merge_config_selectorIllEEZZNS1_27merge_sort_block_merge_implIS3_PlN6thrust23THRUST_200600_302600_NS10device_ptrIlEEjNS1_19radix_merge_compareILb0ELb0ElNS0_19identity_decomposerEEEEE10hipError_tT0_T1_T2_jT3_P12ihipStream_tbPNSt15iterator_traitsISG_E10value_typeEPNSM_ISH_E10value_typeEPSI_NS1_7vsmem_tEENKUlT_SG_SH_SI_E_clIS7_S7_S7_SB_EESF_SV_SG_SH_SI_EUlSV_E1_NS1_11comp_targetILNS1_3genE9ELNS1_11target_archE1100ELNS1_3gpuE3ELNS1_3repE0EEENS1_36merge_oddeven_config_static_selectorELNS0_4arch9wavefront6targetE1EEEvSH_.num_agpr, 0
	.set _ZN7rocprim17ROCPRIM_400000_NS6detail17trampoline_kernelINS0_14default_configENS1_38merge_sort_block_merge_config_selectorIllEEZZNS1_27merge_sort_block_merge_implIS3_PlN6thrust23THRUST_200600_302600_NS10device_ptrIlEEjNS1_19radix_merge_compareILb0ELb0ElNS0_19identity_decomposerEEEEE10hipError_tT0_T1_T2_jT3_P12ihipStream_tbPNSt15iterator_traitsISG_E10value_typeEPNSM_ISH_E10value_typeEPSI_NS1_7vsmem_tEENKUlT_SG_SH_SI_E_clIS7_S7_S7_SB_EESF_SV_SG_SH_SI_EUlSV_E1_NS1_11comp_targetILNS1_3genE9ELNS1_11target_archE1100ELNS1_3gpuE3ELNS1_3repE0EEENS1_36merge_oddeven_config_static_selectorELNS0_4arch9wavefront6targetE1EEEvSH_.numbered_sgpr, 0
	.set _ZN7rocprim17ROCPRIM_400000_NS6detail17trampoline_kernelINS0_14default_configENS1_38merge_sort_block_merge_config_selectorIllEEZZNS1_27merge_sort_block_merge_implIS3_PlN6thrust23THRUST_200600_302600_NS10device_ptrIlEEjNS1_19radix_merge_compareILb0ELb0ElNS0_19identity_decomposerEEEEE10hipError_tT0_T1_T2_jT3_P12ihipStream_tbPNSt15iterator_traitsISG_E10value_typeEPNSM_ISH_E10value_typeEPSI_NS1_7vsmem_tEENKUlT_SG_SH_SI_E_clIS7_S7_S7_SB_EESF_SV_SG_SH_SI_EUlSV_E1_NS1_11comp_targetILNS1_3genE9ELNS1_11target_archE1100ELNS1_3gpuE3ELNS1_3repE0EEENS1_36merge_oddeven_config_static_selectorELNS0_4arch9wavefront6targetE1EEEvSH_.num_named_barrier, 0
	.set _ZN7rocprim17ROCPRIM_400000_NS6detail17trampoline_kernelINS0_14default_configENS1_38merge_sort_block_merge_config_selectorIllEEZZNS1_27merge_sort_block_merge_implIS3_PlN6thrust23THRUST_200600_302600_NS10device_ptrIlEEjNS1_19radix_merge_compareILb0ELb0ElNS0_19identity_decomposerEEEEE10hipError_tT0_T1_T2_jT3_P12ihipStream_tbPNSt15iterator_traitsISG_E10value_typeEPNSM_ISH_E10value_typeEPSI_NS1_7vsmem_tEENKUlT_SG_SH_SI_E_clIS7_S7_S7_SB_EESF_SV_SG_SH_SI_EUlSV_E1_NS1_11comp_targetILNS1_3genE9ELNS1_11target_archE1100ELNS1_3gpuE3ELNS1_3repE0EEENS1_36merge_oddeven_config_static_selectorELNS0_4arch9wavefront6targetE1EEEvSH_.private_seg_size, 0
	.set _ZN7rocprim17ROCPRIM_400000_NS6detail17trampoline_kernelINS0_14default_configENS1_38merge_sort_block_merge_config_selectorIllEEZZNS1_27merge_sort_block_merge_implIS3_PlN6thrust23THRUST_200600_302600_NS10device_ptrIlEEjNS1_19radix_merge_compareILb0ELb0ElNS0_19identity_decomposerEEEEE10hipError_tT0_T1_T2_jT3_P12ihipStream_tbPNSt15iterator_traitsISG_E10value_typeEPNSM_ISH_E10value_typeEPSI_NS1_7vsmem_tEENKUlT_SG_SH_SI_E_clIS7_S7_S7_SB_EESF_SV_SG_SH_SI_EUlSV_E1_NS1_11comp_targetILNS1_3genE9ELNS1_11target_archE1100ELNS1_3gpuE3ELNS1_3repE0EEENS1_36merge_oddeven_config_static_selectorELNS0_4arch9wavefront6targetE1EEEvSH_.uses_vcc, 0
	.set _ZN7rocprim17ROCPRIM_400000_NS6detail17trampoline_kernelINS0_14default_configENS1_38merge_sort_block_merge_config_selectorIllEEZZNS1_27merge_sort_block_merge_implIS3_PlN6thrust23THRUST_200600_302600_NS10device_ptrIlEEjNS1_19radix_merge_compareILb0ELb0ElNS0_19identity_decomposerEEEEE10hipError_tT0_T1_T2_jT3_P12ihipStream_tbPNSt15iterator_traitsISG_E10value_typeEPNSM_ISH_E10value_typeEPSI_NS1_7vsmem_tEENKUlT_SG_SH_SI_E_clIS7_S7_S7_SB_EESF_SV_SG_SH_SI_EUlSV_E1_NS1_11comp_targetILNS1_3genE9ELNS1_11target_archE1100ELNS1_3gpuE3ELNS1_3repE0EEENS1_36merge_oddeven_config_static_selectorELNS0_4arch9wavefront6targetE1EEEvSH_.uses_flat_scratch, 0
	.set _ZN7rocprim17ROCPRIM_400000_NS6detail17trampoline_kernelINS0_14default_configENS1_38merge_sort_block_merge_config_selectorIllEEZZNS1_27merge_sort_block_merge_implIS3_PlN6thrust23THRUST_200600_302600_NS10device_ptrIlEEjNS1_19radix_merge_compareILb0ELb0ElNS0_19identity_decomposerEEEEE10hipError_tT0_T1_T2_jT3_P12ihipStream_tbPNSt15iterator_traitsISG_E10value_typeEPNSM_ISH_E10value_typeEPSI_NS1_7vsmem_tEENKUlT_SG_SH_SI_E_clIS7_S7_S7_SB_EESF_SV_SG_SH_SI_EUlSV_E1_NS1_11comp_targetILNS1_3genE9ELNS1_11target_archE1100ELNS1_3gpuE3ELNS1_3repE0EEENS1_36merge_oddeven_config_static_selectorELNS0_4arch9wavefront6targetE1EEEvSH_.has_dyn_sized_stack, 0
	.set _ZN7rocprim17ROCPRIM_400000_NS6detail17trampoline_kernelINS0_14default_configENS1_38merge_sort_block_merge_config_selectorIllEEZZNS1_27merge_sort_block_merge_implIS3_PlN6thrust23THRUST_200600_302600_NS10device_ptrIlEEjNS1_19radix_merge_compareILb0ELb0ElNS0_19identity_decomposerEEEEE10hipError_tT0_T1_T2_jT3_P12ihipStream_tbPNSt15iterator_traitsISG_E10value_typeEPNSM_ISH_E10value_typeEPSI_NS1_7vsmem_tEENKUlT_SG_SH_SI_E_clIS7_S7_S7_SB_EESF_SV_SG_SH_SI_EUlSV_E1_NS1_11comp_targetILNS1_3genE9ELNS1_11target_archE1100ELNS1_3gpuE3ELNS1_3repE0EEENS1_36merge_oddeven_config_static_selectorELNS0_4arch9wavefront6targetE1EEEvSH_.has_recursion, 0
	.set _ZN7rocprim17ROCPRIM_400000_NS6detail17trampoline_kernelINS0_14default_configENS1_38merge_sort_block_merge_config_selectorIllEEZZNS1_27merge_sort_block_merge_implIS3_PlN6thrust23THRUST_200600_302600_NS10device_ptrIlEEjNS1_19radix_merge_compareILb0ELb0ElNS0_19identity_decomposerEEEEE10hipError_tT0_T1_T2_jT3_P12ihipStream_tbPNSt15iterator_traitsISG_E10value_typeEPNSM_ISH_E10value_typeEPSI_NS1_7vsmem_tEENKUlT_SG_SH_SI_E_clIS7_S7_S7_SB_EESF_SV_SG_SH_SI_EUlSV_E1_NS1_11comp_targetILNS1_3genE9ELNS1_11target_archE1100ELNS1_3gpuE3ELNS1_3repE0EEENS1_36merge_oddeven_config_static_selectorELNS0_4arch9wavefront6targetE1EEEvSH_.has_indirect_call, 0
	.section	.AMDGPU.csdata,"",@progbits
; Kernel info:
; codeLenInByte = 0
; TotalNumSgprs: 4
; NumVgprs: 0
; ScratchSize: 0
; MemoryBound: 0
; FloatMode: 240
; IeeeMode: 1
; LDSByteSize: 0 bytes/workgroup (compile time only)
; SGPRBlocks: 0
; VGPRBlocks: 0
; NumSGPRsForWavesPerEU: 4
; NumVGPRsForWavesPerEU: 1
; Occupancy: 10
; WaveLimiterHint : 0
; COMPUTE_PGM_RSRC2:SCRATCH_EN: 0
; COMPUTE_PGM_RSRC2:USER_SGPR: 6
; COMPUTE_PGM_RSRC2:TRAP_HANDLER: 0
; COMPUTE_PGM_RSRC2:TGID_X_EN: 1
; COMPUTE_PGM_RSRC2:TGID_Y_EN: 0
; COMPUTE_PGM_RSRC2:TGID_Z_EN: 0
; COMPUTE_PGM_RSRC2:TIDIG_COMP_CNT: 0
	.section	.text._ZN7rocprim17ROCPRIM_400000_NS6detail17trampoline_kernelINS0_14default_configENS1_38merge_sort_block_merge_config_selectorIllEEZZNS1_27merge_sort_block_merge_implIS3_PlN6thrust23THRUST_200600_302600_NS10device_ptrIlEEjNS1_19radix_merge_compareILb0ELb0ElNS0_19identity_decomposerEEEEE10hipError_tT0_T1_T2_jT3_P12ihipStream_tbPNSt15iterator_traitsISG_E10value_typeEPNSM_ISH_E10value_typeEPSI_NS1_7vsmem_tEENKUlT_SG_SH_SI_E_clIS7_S7_S7_SB_EESF_SV_SG_SH_SI_EUlSV_E1_NS1_11comp_targetILNS1_3genE8ELNS1_11target_archE1030ELNS1_3gpuE2ELNS1_3repE0EEENS1_36merge_oddeven_config_static_selectorELNS0_4arch9wavefront6targetE1EEEvSH_,"axG",@progbits,_ZN7rocprim17ROCPRIM_400000_NS6detail17trampoline_kernelINS0_14default_configENS1_38merge_sort_block_merge_config_selectorIllEEZZNS1_27merge_sort_block_merge_implIS3_PlN6thrust23THRUST_200600_302600_NS10device_ptrIlEEjNS1_19radix_merge_compareILb0ELb0ElNS0_19identity_decomposerEEEEE10hipError_tT0_T1_T2_jT3_P12ihipStream_tbPNSt15iterator_traitsISG_E10value_typeEPNSM_ISH_E10value_typeEPSI_NS1_7vsmem_tEENKUlT_SG_SH_SI_E_clIS7_S7_S7_SB_EESF_SV_SG_SH_SI_EUlSV_E1_NS1_11comp_targetILNS1_3genE8ELNS1_11target_archE1030ELNS1_3gpuE2ELNS1_3repE0EEENS1_36merge_oddeven_config_static_selectorELNS0_4arch9wavefront6targetE1EEEvSH_,comdat
	.protected	_ZN7rocprim17ROCPRIM_400000_NS6detail17trampoline_kernelINS0_14default_configENS1_38merge_sort_block_merge_config_selectorIllEEZZNS1_27merge_sort_block_merge_implIS3_PlN6thrust23THRUST_200600_302600_NS10device_ptrIlEEjNS1_19radix_merge_compareILb0ELb0ElNS0_19identity_decomposerEEEEE10hipError_tT0_T1_T2_jT3_P12ihipStream_tbPNSt15iterator_traitsISG_E10value_typeEPNSM_ISH_E10value_typeEPSI_NS1_7vsmem_tEENKUlT_SG_SH_SI_E_clIS7_S7_S7_SB_EESF_SV_SG_SH_SI_EUlSV_E1_NS1_11comp_targetILNS1_3genE8ELNS1_11target_archE1030ELNS1_3gpuE2ELNS1_3repE0EEENS1_36merge_oddeven_config_static_selectorELNS0_4arch9wavefront6targetE1EEEvSH_ ; -- Begin function _ZN7rocprim17ROCPRIM_400000_NS6detail17trampoline_kernelINS0_14default_configENS1_38merge_sort_block_merge_config_selectorIllEEZZNS1_27merge_sort_block_merge_implIS3_PlN6thrust23THRUST_200600_302600_NS10device_ptrIlEEjNS1_19radix_merge_compareILb0ELb0ElNS0_19identity_decomposerEEEEE10hipError_tT0_T1_T2_jT3_P12ihipStream_tbPNSt15iterator_traitsISG_E10value_typeEPNSM_ISH_E10value_typeEPSI_NS1_7vsmem_tEENKUlT_SG_SH_SI_E_clIS7_S7_S7_SB_EESF_SV_SG_SH_SI_EUlSV_E1_NS1_11comp_targetILNS1_3genE8ELNS1_11target_archE1030ELNS1_3gpuE2ELNS1_3repE0EEENS1_36merge_oddeven_config_static_selectorELNS0_4arch9wavefront6targetE1EEEvSH_
	.globl	_ZN7rocprim17ROCPRIM_400000_NS6detail17trampoline_kernelINS0_14default_configENS1_38merge_sort_block_merge_config_selectorIllEEZZNS1_27merge_sort_block_merge_implIS3_PlN6thrust23THRUST_200600_302600_NS10device_ptrIlEEjNS1_19radix_merge_compareILb0ELb0ElNS0_19identity_decomposerEEEEE10hipError_tT0_T1_T2_jT3_P12ihipStream_tbPNSt15iterator_traitsISG_E10value_typeEPNSM_ISH_E10value_typeEPSI_NS1_7vsmem_tEENKUlT_SG_SH_SI_E_clIS7_S7_S7_SB_EESF_SV_SG_SH_SI_EUlSV_E1_NS1_11comp_targetILNS1_3genE8ELNS1_11target_archE1030ELNS1_3gpuE2ELNS1_3repE0EEENS1_36merge_oddeven_config_static_selectorELNS0_4arch9wavefront6targetE1EEEvSH_
	.p2align	8
	.type	_ZN7rocprim17ROCPRIM_400000_NS6detail17trampoline_kernelINS0_14default_configENS1_38merge_sort_block_merge_config_selectorIllEEZZNS1_27merge_sort_block_merge_implIS3_PlN6thrust23THRUST_200600_302600_NS10device_ptrIlEEjNS1_19radix_merge_compareILb0ELb0ElNS0_19identity_decomposerEEEEE10hipError_tT0_T1_T2_jT3_P12ihipStream_tbPNSt15iterator_traitsISG_E10value_typeEPNSM_ISH_E10value_typeEPSI_NS1_7vsmem_tEENKUlT_SG_SH_SI_E_clIS7_S7_S7_SB_EESF_SV_SG_SH_SI_EUlSV_E1_NS1_11comp_targetILNS1_3genE8ELNS1_11target_archE1030ELNS1_3gpuE2ELNS1_3repE0EEENS1_36merge_oddeven_config_static_selectorELNS0_4arch9wavefront6targetE1EEEvSH_,@function
_ZN7rocprim17ROCPRIM_400000_NS6detail17trampoline_kernelINS0_14default_configENS1_38merge_sort_block_merge_config_selectorIllEEZZNS1_27merge_sort_block_merge_implIS3_PlN6thrust23THRUST_200600_302600_NS10device_ptrIlEEjNS1_19radix_merge_compareILb0ELb0ElNS0_19identity_decomposerEEEEE10hipError_tT0_T1_T2_jT3_P12ihipStream_tbPNSt15iterator_traitsISG_E10value_typeEPNSM_ISH_E10value_typeEPSI_NS1_7vsmem_tEENKUlT_SG_SH_SI_E_clIS7_S7_S7_SB_EESF_SV_SG_SH_SI_EUlSV_E1_NS1_11comp_targetILNS1_3genE8ELNS1_11target_archE1030ELNS1_3gpuE2ELNS1_3repE0EEENS1_36merge_oddeven_config_static_selectorELNS0_4arch9wavefront6targetE1EEEvSH_: ; @_ZN7rocprim17ROCPRIM_400000_NS6detail17trampoline_kernelINS0_14default_configENS1_38merge_sort_block_merge_config_selectorIllEEZZNS1_27merge_sort_block_merge_implIS3_PlN6thrust23THRUST_200600_302600_NS10device_ptrIlEEjNS1_19radix_merge_compareILb0ELb0ElNS0_19identity_decomposerEEEEE10hipError_tT0_T1_T2_jT3_P12ihipStream_tbPNSt15iterator_traitsISG_E10value_typeEPNSM_ISH_E10value_typeEPSI_NS1_7vsmem_tEENKUlT_SG_SH_SI_E_clIS7_S7_S7_SB_EESF_SV_SG_SH_SI_EUlSV_E1_NS1_11comp_targetILNS1_3genE8ELNS1_11target_archE1030ELNS1_3gpuE2ELNS1_3repE0EEENS1_36merge_oddeven_config_static_selectorELNS0_4arch9wavefront6targetE1EEEvSH_
; %bb.0:
	.section	.rodata,"a",@progbits
	.p2align	6, 0x0
	.amdhsa_kernel _ZN7rocprim17ROCPRIM_400000_NS6detail17trampoline_kernelINS0_14default_configENS1_38merge_sort_block_merge_config_selectorIllEEZZNS1_27merge_sort_block_merge_implIS3_PlN6thrust23THRUST_200600_302600_NS10device_ptrIlEEjNS1_19radix_merge_compareILb0ELb0ElNS0_19identity_decomposerEEEEE10hipError_tT0_T1_T2_jT3_P12ihipStream_tbPNSt15iterator_traitsISG_E10value_typeEPNSM_ISH_E10value_typeEPSI_NS1_7vsmem_tEENKUlT_SG_SH_SI_E_clIS7_S7_S7_SB_EESF_SV_SG_SH_SI_EUlSV_E1_NS1_11comp_targetILNS1_3genE8ELNS1_11target_archE1030ELNS1_3gpuE2ELNS1_3repE0EEENS1_36merge_oddeven_config_static_selectorELNS0_4arch9wavefront6targetE1EEEvSH_
		.amdhsa_group_segment_fixed_size 0
		.amdhsa_private_segment_fixed_size 0
		.amdhsa_kernarg_size 48
		.amdhsa_user_sgpr_count 6
		.amdhsa_user_sgpr_private_segment_buffer 1
		.amdhsa_user_sgpr_dispatch_ptr 0
		.amdhsa_user_sgpr_queue_ptr 0
		.amdhsa_user_sgpr_kernarg_segment_ptr 1
		.amdhsa_user_sgpr_dispatch_id 0
		.amdhsa_user_sgpr_flat_scratch_init 0
		.amdhsa_user_sgpr_private_segment_size 0
		.amdhsa_uses_dynamic_stack 0
		.amdhsa_system_sgpr_private_segment_wavefront_offset 0
		.amdhsa_system_sgpr_workgroup_id_x 1
		.amdhsa_system_sgpr_workgroup_id_y 0
		.amdhsa_system_sgpr_workgroup_id_z 0
		.amdhsa_system_sgpr_workgroup_info 0
		.amdhsa_system_vgpr_workitem_id 0
		.amdhsa_next_free_vgpr 1
		.amdhsa_next_free_sgpr 0
		.amdhsa_reserve_vcc 0
		.amdhsa_reserve_flat_scratch 0
		.amdhsa_float_round_mode_32 0
		.amdhsa_float_round_mode_16_64 0
		.amdhsa_float_denorm_mode_32 3
		.amdhsa_float_denorm_mode_16_64 3
		.amdhsa_dx10_clamp 1
		.amdhsa_ieee_mode 1
		.amdhsa_fp16_overflow 0
		.amdhsa_exception_fp_ieee_invalid_op 0
		.amdhsa_exception_fp_denorm_src 0
		.amdhsa_exception_fp_ieee_div_zero 0
		.amdhsa_exception_fp_ieee_overflow 0
		.amdhsa_exception_fp_ieee_underflow 0
		.amdhsa_exception_fp_ieee_inexact 0
		.amdhsa_exception_int_div_zero 0
	.end_amdhsa_kernel
	.section	.text._ZN7rocprim17ROCPRIM_400000_NS6detail17trampoline_kernelINS0_14default_configENS1_38merge_sort_block_merge_config_selectorIllEEZZNS1_27merge_sort_block_merge_implIS3_PlN6thrust23THRUST_200600_302600_NS10device_ptrIlEEjNS1_19radix_merge_compareILb0ELb0ElNS0_19identity_decomposerEEEEE10hipError_tT0_T1_T2_jT3_P12ihipStream_tbPNSt15iterator_traitsISG_E10value_typeEPNSM_ISH_E10value_typeEPSI_NS1_7vsmem_tEENKUlT_SG_SH_SI_E_clIS7_S7_S7_SB_EESF_SV_SG_SH_SI_EUlSV_E1_NS1_11comp_targetILNS1_3genE8ELNS1_11target_archE1030ELNS1_3gpuE2ELNS1_3repE0EEENS1_36merge_oddeven_config_static_selectorELNS0_4arch9wavefront6targetE1EEEvSH_,"axG",@progbits,_ZN7rocprim17ROCPRIM_400000_NS6detail17trampoline_kernelINS0_14default_configENS1_38merge_sort_block_merge_config_selectorIllEEZZNS1_27merge_sort_block_merge_implIS3_PlN6thrust23THRUST_200600_302600_NS10device_ptrIlEEjNS1_19radix_merge_compareILb0ELb0ElNS0_19identity_decomposerEEEEE10hipError_tT0_T1_T2_jT3_P12ihipStream_tbPNSt15iterator_traitsISG_E10value_typeEPNSM_ISH_E10value_typeEPSI_NS1_7vsmem_tEENKUlT_SG_SH_SI_E_clIS7_S7_S7_SB_EESF_SV_SG_SH_SI_EUlSV_E1_NS1_11comp_targetILNS1_3genE8ELNS1_11target_archE1030ELNS1_3gpuE2ELNS1_3repE0EEENS1_36merge_oddeven_config_static_selectorELNS0_4arch9wavefront6targetE1EEEvSH_,comdat
.Lfunc_end1033:
	.size	_ZN7rocprim17ROCPRIM_400000_NS6detail17trampoline_kernelINS0_14default_configENS1_38merge_sort_block_merge_config_selectorIllEEZZNS1_27merge_sort_block_merge_implIS3_PlN6thrust23THRUST_200600_302600_NS10device_ptrIlEEjNS1_19radix_merge_compareILb0ELb0ElNS0_19identity_decomposerEEEEE10hipError_tT0_T1_T2_jT3_P12ihipStream_tbPNSt15iterator_traitsISG_E10value_typeEPNSM_ISH_E10value_typeEPSI_NS1_7vsmem_tEENKUlT_SG_SH_SI_E_clIS7_S7_S7_SB_EESF_SV_SG_SH_SI_EUlSV_E1_NS1_11comp_targetILNS1_3genE8ELNS1_11target_archE1030ELNS1_3gpuE2ELNS1_3repE0EEENS1_36merge_oddeven_config_static_selectorELNS0_4arch9wavefront6targetE1EEEvSH_, .Lfunc_end1033-_ZN7rocprim17ROCPRIM_400000_NS6detail17trampoline_kernelINS0_14default_configENS1_38merge_sort_block_merge_config_selectorIllEEZZNS1_27merge_sort_block_merge_implIS3_PlN6thrust23THRUST_200600_302600_NS10device_ptrIlEEjNS1_19radix_merge_compareILb0ELb0ElNS0_19identity_decomposerEEEEE10hipError_tT0_T1_T2_jT3_P12ihipStream_tbPNSt15iterator_traitsISG_E10value_typeEPNSM_ISH_E10value_typeEPSI_NS1_7vsmem_tEENKUlT_SG_SH_SI_E_clIS7_S7_S7_SB_EESF_SV_SG_SH_SI_EUlSV_E1_NS1_11comp_targetILNS1_3genE8ELNS1_11target_archE1030ELNS1_3gpuE2ELNS1_3repE0EEENS1_36merge_oddeven_config_static_selectorELNS0_4arch9wavefront6targetE1EEEvSH_
                                        ; -- End function
	.set _ZN7rocprim17ROCPRIM_400000_NS6detail17trampoline_kernelINS0_14default_configENS1_38merge_sort_block_merge_config_selectorIllEEZZNS1_27merge_sort_block_merge_implIS3_PlN6thrust23THRUST_200600_302600_NS10device_ptrIlEEjNS1_19radix_merge_compareILb0ELb0ElNS0_19identity_decomposerEEEEE10hipError_tT0_T1_T2_jT3_P12ihipStream_tbPNSt15iterator_traitsISG_E10value_typeEPNSM_ISH_E10value_typeEPSI_NS1_7vsmem_tEENKUlT_SG_SH_SI_E_clIS7_S7_S7_SB_EESF_SV_SG_SH_SI_EUlSV_E1_NS1_11comp_targetILNS1_3genE8ELNS1_11target_archE1030ELNS1_3gpuE2ELNS1_3repE0EEENS1_36merge_oddeven_config_static_selectorELNS0_4arch9wavefront6targetE1EEEvSH_.num_vgpr, 0
	.set _ZN7rocprim17ROCPRIM_400000_NS6detail17trampoline_kernelINS0_14default_configENS1_38merge_sort_block_merge_config_selectorIllEEZZNS1_27merge_sort_block_merge_implIS3_PlN6thrust23THRUST_200600_302600_NS10device_ptrIlEEjNS1_19radix_merge_compareILb0ELb0ElNS0_19identity_decomposerEEEEE10hipError_tT0_T1_T2_jT3_P12ihipStream_tbPNSt15iterator_traitsISG_E10value_typeEPNSM_ISH_E10value_typeEPSI_NS1_7vsmem_tEENKUlT_SG_SH_SI_E_clIS7_S7_S7_SB_EESF_SV_SG_SH_SI_EUlSV_E1_NS1_11comp_targetILNS1_3genE8ELNS1_11target_archE1030ELNS1_3gpuE2ELNS1_3repE0EEENS1_36merge_oddeven_config_static_selectorELNS0_4arch9wavefront6targetE1EEEvSH_.num_agpr, 0
	.set _ZN7rocprim17ROCPRIM_400000_NS6detail17trampoline_kernelINS0_14default_configENS1_38merge_sort_block_merge_config_selectorIllEEZZNS1_27merge_sort_block_merge_implIS3_PlN6thrust23THRUST_200600_302600_NS10device_ptrIlEEjNS1_19radix_merge_compareILb0ELb0ElNS0_19identity_decomposerEEEEE10hipError_tT0_T1_T2_jT3_P12ihipStream_tbPNSt15iterator_traitsISG_E10value_typeEPNSM_ISH_E10value_typeEPSI_NS1_7vsmem_tEENKUlT_SG_SH_SI_E_clIS7_S7_S7_SB_EESF_SV_SG_SH_SI_EUlSV_E1_NS1_11comp_targetILNS1_3genE8ELNS1_11target_archE1030ELNS1_3gpuE2ELNS1_3repE0EEENS1_36merge_oddeven_config_static_selectorELNS0_4arch9wavefront6targetE1EEEvSH_.numbered_sgpr, 0
	.set _ZN7rocprim17ROCPRIM_400000_NS6detail17trampoline_kernelINS0_14default_configENS1_38merge_sort_block_merge_config_selectorIllEEZZNS1_27merge_sort_block_merge_implIS3_PlN6thrust23THRUST_200600_302600_NS10device_ptrIlEEjNS1_19radix_merge_compareILb0ELb0ElNS0_19identity_decomposerEEEEE10hipError_tT0_T1_T2_jT3_P12ihipStream_tbPNSt15iterator_traitsISG_E10value_typeEPNSM_ISH_E10value_typeEPSI_NS1_7vsmem_tEENKUlT_SG_SH_SI_E_clIS7_S7_S7_SB_EESF_SV_SG_SH_SI_EUlSV_E1_NS1_11comp_targetILNS1_3genE8ELNS1_11target_archE1030ELNS1_3gpuE2ELNS1_3repE0EEENS1_36merge_oddeven_config_static_selectorELNS0_4arch9wavefront6targetE1EEEvSH_.num_named_barrier, 0
	.set _ZN7rocprim17ROCPRIM_400000_NS6detail17trampoline_kernelINS0_14default_configENS1_38merge_sort_block_merge_config_selectorIllEEZZNS1_27merge_sort_block_merge_implIS3_PlN6thrust23THRUST_200600_302600_NS10device_ptrIlEEjNS1_19radix_merge_compareILb0ELb0ElNS0_19identity_decomposerEEEEE10hipError_tT0_T1_T2_jT3_P12ihipStream_tbPNSt15iterator_traitsISG_E10value_typeEPNSM_ISH_E10value_typeEPSI_NS1_7vsmem_tEENKUlT_SG_SH_SI_E_clIS7_S7_S7_SB_EESF_SV_SG_SH_SI_EUlSV_E1_NS1_11comp_targetILNS1_3genE8ELNS1_11target_archE1030ELNS1_3gpuE2ELNS1_3repE0EEENS1_36merge_oddeven_config_static_selectorELNS0_4arch9wavefront6targetE1EEEvSH_.private_seg_size, 0
	.set _ZN7rocprim17ROCPRIM_400000_NS6detail17trampoline_kernelINS0_14default_configENS1_38merge_sort_block_merge_config_selectorIllEEZZNS1_27merge_sort_block_merge_implIS3_PlN6thrust23THRUST_200600_302600_NS10device_ptrIlEEjNS1_19radix_merge_compareILb0ELb0ElNS0_19identity_decomposerEEEEE10hipError_tT0_T1_T2_jT3_P12ihipStream_tbPNSt15iterator_traitsISG_E10value_typeEPNSM_ISH_E10value_typeEPSI_NS1_7vsmem_tEENKUlT_SG_SH_SI_E_clIS7_S7_S7_SB_EESF_SV_SG_SH_SI_EUlSV_E1_NS1_11comp_targetILNS1_3genE8ELNS1_11target_archE1030ELNS1_3gpuE2ELNS1_3repE0EEENS1_36merge_oddeven_config_static_selectorELNS0_4arch9wavefront6targetE1EEEvSH_.uses_vcc, 0
	.set _ZN7rocprim17ROCPRIM_400000_NS6detail17trampoline_kernelINS0_14default_configENS1_38merge_sort_block_merge_config_selectorIllEEZZNS1_27merge_sort_block_merge_implIS3_PlN6thrust23THRUST_200600_302600_NS10device_ptrIlEEjNS1_19radix_merge_compareILb0ELb0ElNS0_19identity_decomposerEEEEE10hipError_tT0_T1_T2_jT3_P12ihipStream_tbPNSt15iterator_traitsISG_E10value_typeEPNSM_ISH_E10value_typeEPSI_NS1_7vsmem_tEENKUlT_SG_SH_SI_E_clIS7_S7_S7_SB_EESF_SV_SG_SH_SI_EUlSV_E1_NS1_11comp_targetILNS1_3genE8ELNS1_11target_archE1030ELNS1_3gpuE2ELNS1_3repE0EEENS1_36merge_oddeven_config_static_selectorELNS0_4arch9wavefront6targetE1EEEvSH_.uses_flat_scratch, 0
	.set _ZN7rocprim17ROCPRIM_400000_NS6detail17trampoline_kernelINS0_14default_configENS1_38merge_sort_block_merge_config_selectorIllEEZZNS1_27merge_sort_block_merge_implIS3_PlN6thrust23THRUST_200600_302600_NS10device_ptrIlEEjNS1_19radix_merge_compareILb0ELb0ElNS0_19identity_decomposerEEEEE10hipError_tT0_T1_T2_jT3_P12ihipStream_tbPNSt15iterator_traitsISG_E10value_typeEPNSM_ISH_E10value_typeEPSI_NS1_7vsmem_tEENKUlT_SG_SH_SI_E_clIS7_S7_S7_SB_EESF_SV_SG_SH_SI_EUlSV_E1_NS1_11comp_targetILNS1_3genE8ELNS1_11target_archE1030ELNS1_3gpuE2ELNS1_3repE0EEENS1_36merge_oddeven_config_static_selectorELNS0_4arch9wavefront6targetE1EEEvSH_.has_dyn_sized_stack, 0
	.set _ZN7rocprim17ROCPRIM_400000_NS6detail17trampoline_kernelINS0_14default_configENS1_38merge_sort_block_merge_config_selectorIllEEZZNS1_27merge_sort_block_merge_implIS3_PlN6thrust23THRUST_200600_302600_NS10device_ptrIlEEjNS1_19radix_merge_compareILb0ELb0ElNS0_19identity_decomposerEEEEE10hipError_tT0_T1_T2_jT3_P12ihipStream_tbPNSt15iterator_traitsISG_E10value_typeEPNSM_ISH_E10value_typeEPSI_NS1_7vsmem_tEENKUlT_SG_SH_SI_E_clIS7_S7_S7_SB_EESF_SV_SG_SH_SI_EUlSV_E1_NS1_11comp_targetILNS1_3genE8ELNS1_11target_archE1030ELNS1_3gpuE2ELNS1_3repE0EEENS1_36merge_oddeven_config_static_selectorELNS0_4arch9wavefront6targetE1EEEvSH_.has_recursion, 0
	.set _ZN7rocprim17ROCPRIM_400000_NS6detail17trampoline_kernelINS0_14default_configENS1_38merge_sort_block_merge_config_selectorIllEEZZNS1_27merge_sort_block_merge_implIS3_PlN6thrust23THRUST_200600_302600_NS10device_ptrIlEEjNS1_19radix_merge_compareILb0ELb0ElNS0_19identity_decomposerEEEEE10hipError_tT0_T1_T2_jT3_P12ihipStream_tbPNSt15iterator_traitsISG_E10value_typeEPNSM_ISH_E10value_typeEPSI_NS1_7vsmem_tEENKUlT_SG_SH_SI_E_clIS7_S7_S7_SB_EESF_SV_SG_SH_SI_EUlSV_E1_NS1_11comp_targetILNS1_3genE8ELNS1_11target_archE1030ELNS1_3gpuE2ELNS1_3repE0EEENS1_36merge_oddeven_config_static_selectorELNS0_4arch9wavefront6targetE1EEEvSH_.has_indirect_call, 0
	.section	.AMDGPU.csdata,"",@progbits
; Kernel info:
; codeLenInByte = 0
; TotalNumSgprs: 4
; NumVgprs: 0
; ScratchSize: 0
; MemoryBound: 0
; FloatMode: 240
; IeeeMode: 1
; LDSByteSize: 0 bytes/workgroup (compile time only)
; SGPRBlocks: 0
; VGPRBlocks: 0
; NumSGPRsForWavesPerEU: 4
; NumVGPRsForWavesPerEU: 1
; Occupancy: 10
; WaveLimiterHint : 0
; COMPUTE_PGM_RSRC2:SCRATCH_EN: 0
; COMPUTE_PGM_RSRC2:USER_SGPR: 6
; COMPUTE_PGM_RSRC2:TRAP_HANDLER: 0
; COMPUTE_PGM_RSRC2:TGID_X_EN: 1
; COMPUTE_PGM_RSRC2:TGID_Y_EN: 0
; COMPUTE_PGM_RSRC2:TGID_Z_EN: 0
; COMPUTE_PGM_RSRC2:TIDIG_COMP_CNT: 0
	.section	.text._ZN7rocprim17ROCPRIM_400000_NS6detail17trampoline_kernelINS0_14default_configENS1_38merge_sort_block_merge_config_selectorIllEEZZNS1_27merge_sort_block_merge_implIS3_PlN6thrust23THRUST_200600_302600_NS10device_ptrIlEEjNS1_19radix_merge_compareILb0ELb0ElNS0_19identity_decomposerEEEEE10hipError_tT0_T1_T2_jT3_P12ihipStream_tbPNSt15iterator_traitsISG_E10value_typeEPNSM_ISH_E10value_typeEPSI_NS1_7vsmem_tEENKUlT_SG_SH_SI_E_clIS7_S7_SB_S7_EESF_SV_SG_SH_SI_EUlSV_E_NS1_11comp_targetILNS1_3genE0ELNS1_11target_archE4294967295ELNS1_3gpuE0ELNS1_3repE0EEENS1_48merge_mergepath_partition_config_static_selectorELNS0_4arch9wavefront6targetE1EEEvSH_,"axG",@progbits,_ZN7rocprim17ROCPRIM_400000_NS6detail17trampoline_kernelINS0_14default_configENS1_38merge_sort_block_merge_config_selectorIllEEZZNS1_27merge_sort_block_merge_implIS3_PlN6thrust23THRUST_200600_302600_NS10device_ptrIlEEjNS1_19radix_merge_compareILb0ELb0ElNS0_19identity_decomposerEEEEE10hipError_tT0_T1_T2_jT3_P12ihipStream_tbPNSt15iterator_traitsISG_E10value_typeEPNSM_ISH_E10value_typeEPSI_NS1_7vsmem_tEENKUlT_SG_SH_SI_E_clIS7_S7_SB_S7_EESF_SV_SG_SH_SI_EUlSV_E_NS1_11comp_targetILNS1_3genE0ELNS1_11target_archE4294967295ELNS1_3gpuE0ELNS1_3repE0EEENS1_48merge_mergepath_partition_config_static_selectorELNS0_4arch9wavefront6targetE1EEEvSH_,comdat
	.protected	_ZN7rocprim17ROCPRIM_400000_NS6detail17trampoline_kernelINS0_14default_configENS1_38merge_sort_block_merge_config_selectorIllEEZZNS1_27merge_sort_block_merge_implIS3_PlN6thrust23THRUST_200600_302600_NS10device_ptrIlEEjNS1_19radix_merge_compareILb0ELb0ElNS0_19identity_decomposerEEEEE10hipError_tT0_T1_T2_jT3_P12ihipStream_tbPNSt15iterator_traitsISG_E10value_typeEPNSM_ISH_E10value_typeEPSI_NS1_7vsmem_tEENKUlT_SG_SH_SI_E_clIS7_S7_SB_S7_EESF_SV_SG_SH_SI_EUlSV_E_NS1_11comp_targetILNS1_3genE0ELNS1_11target_archE4294967295ELNS1_3gpuE0ELNS1_3repE0EEENS1_48merge_mergepath_partition_config_static_selectorELNS0_4arch9wavefront6targetE1EEEvSH_ ; -- Begin function _ZN7rocprim17ROCPRIM_400000_NS6detail17trampoline_kernelINS0_14default_configENS1_38merge_sort_block_merge_config_selectorIllEEZZNS1_27merge_sort_block_merge_implIS3_PlN6thrust23THRUST_200600_302600_NS10device_ptrIlEEjNS1_19radix_merge_compareILb0ELb0ElNS0_19identity_decomposerEEEEE10hipError_tT0_T1_T2_jT3_P12ihipStream_tbPNSt15iterator_traitsISG_E10value_typeEPNSM_ISH_E10value_typeEPSI_NS1_7vsmem_tEENKUlT_SG_SH_SI_E_clIS7_S7_SB_S7_EESF_SV_SG_SH_SI_EUlSV_E_NS1_11comp_targetILNS1_3genE0ELNS1_11target_archE4294967295ELNS1_3gpuE0ELNS1_3repE0EEENS1_48merge_mergepath_partition_config_static_selectorELNS0_4arch9wavefront6targetE1EEEvSH_
	.globl	_ZN7rocprim17ROCPRIM_400000_NS6detail17trampoline_kernelINS0_14default_configENS1_38merge_sort_block_merge_config_selectorIllEEZZNS1_27merge_sort_block_merge_implIS3_PlN6thrust23THRUST_200600_302600_NS10device_ptrIlEEjNS1_19radix_merge_compareILb0ELb0ElNS0_19identity_decomposerEEEEE10hipError_tT0_T1_T2_jT3_P12ihipStream_tbPNSt15iterator_traitsISG_E10value_typeEPNSM_ISH_E10value_typeEPSI_NS1_7vsmem_tEENKUlT_SG_SH_SI_E_clIS7_S7_SB_S7_EESF_SV_SG_SH_SI_EUlSV_E_NS1_11comp_targetILNS1_3genE0ELNS1_11target_archE4294967295ELNS1_3gpuE0ELNS1_3repE0EEENS1_48merge_mergepath_partition_config_static_selectorELNS0_4arch9wavefront6targetE1EEEvSH_
	.p2align	8
	.type	_ZN7rocprim17ROCPRIM_400000_NS6detail17trampoline_kernelINS0_14default_configENS1_38merge_sort_block_merge_config_selectorIllEEZZNS1_27merge_sort_block_merge_implIS3_PlN6thrust23THRUST_200600_302600_NS10device_ptrIlEEjNS1_19radix_merge_compareILb0ELb0ElNS0_19identity_decomposerEEEEE10hipError_tT0_T1_T2_jT3_P12ihipStream_tbPNSt15iterator_traitsISG_E10value_typeEPNSM_ISH_E10value_typeEPSI_NS1_7vsmem_tEENKUlT_SG_SH_SI_E_clIS7_S7_SB_S7_EESF_SV_SG_SH_SI_EUlSV_E_NS1_11comp_targetILNS1_3genE0ELNS1_11target_archE4294967295ELNS1_3gpuE0ELNS1_3repE0EEENS1_48merge_mergepath_partition_config_static_selectorELNS0_4arch9wavefront6targetE1EEEvSH_,@function
_ZN7rocprim17ROCPRIM_400000_NS6detail17trampoline_kernelINS0_14default_configENS1_38merge_sort_block_merge_config_selectorIllEEZZNS1_27merge_sort_block_merge_implIS3_PlN6thrust23THRUST_200600_302600_NS10device_ptrIlEEjNS1_19radix_merge_compareILb0ELb0ElNS0_19identity_decomposerEEEEE10hipError_tT0_T1_T2_jT3_P12ihipStream_tbPNSt15iterator_traitsISG_E10value_typeEPNSM_ISH_E10value_typeEPSI_NS1_7vsmem_tEENKUlT_SG_SH_SI_E_clIS7_S7_SB_S7_EESF_SV_SG_SH_SI_EUlSV_E_NS1_11comp_targetILNS1_3genE0ELNS1_11target_archE4294967295ELNS1_3gpuE0ELNS1_3repE0EEENS1_48merge_mergepath_partition_config_static_selectorELNS0_4arch9wavefront6targetE1EEEvSH_: ; @_ZN7rocprim17ROCPRIM_400000_NS6detail17trampoline_kernelINS0_14default_configENS1_38merge_sort_block_merge_config_selectorIllEEZZNS1_27merge_sort_block_merge_implIS3_PlN6thrust23THRUST_200600_302600_NS10device_ptrIlEEjNS1_19radix_merge_compareILb0ELb0ElNS0_19identity_decomposerEEEEE10hipError_tT0_T1_T2_jT3_P12ihipStream_tbPNSt15iterator_traitsISG_E10value_typeEPNSM_ISH_E10value_typeEPSI_NS1_7vsmem_tEENKUlT_SG_SH_SI_E_clIS7_S7_SB_S7_EESF_SV_SG_SH_SI_EUlSV_E_NS1_11comp_targetILNS1_3genE0ELNS1_11target_archE4294967295ELNS1_3gpuE0ELNS1_3repE0EEENS1_48merge_mergepath_partition_config_static_selectorELNS0_4arch9wavefront6targetE1EEEvSH_
; %bb.0:
	.section	.rodata,"a",@progbits
	.p2align	6, 0x0
	.amdhsa_kernel _ZN7rocprim17ROCPRIM_400000_NS6detail17trampoline_kernelINS0_14default_configENS1_38merge_sort_block_merge_config_selectorIllEEZZNS1_27merge_sort_block_merge_implIS3_PlN6thrust23THRUST_200600_302600_NS10device_ptrIlEEjNS1_19radix_merge_compareILb0ELb0ElNS0_19identity_decomposerEEEEE10hipError_tT0_T1_T2_jT3_P12ihipStream_tbPNSt15iterator_traitsISG_E10value_typeEPNSM_ISH_E10value_typeEPSI_NS1_7vsmem_tEENKUlT_SG_SH_SI_E_clIS7_S7_SB_S7_EESF_SV_SG_SH_SI_EUlSV_E_NS1_11comp_targetILNS1_3genE0ELNS1_11target_archE4294967295ELNS1_3gpuE0ELNS1_3repE0EEENS1_48merge_mergepath_partition_config_static_selectorELNS0_4arch9wavefront6targetE1EEEvSH_
		.amdhsa_group_segment_fixed_size 0
		.amdhsa_private_segment_fixed_size 0
		.amdhsa_kernarg_size 40
		.amdhsa_user_sgpr_count 6
		.amdhsa_user_sgpr_private_segment_buffer 1
		.amdhsa_user_sgpr_dispatch_ptr 0
		.amdhsa_user_sgpr_queue_ptr 0
		.amdhsa_user_sgpr_kernarg_segment_ptr 1
		.amdhsa_user_sgpr_dispatch_id 0
		.amdhsa_user_sgpr_flat_scratch_init 0
		.amdhsa_user_sgpr_private_segment_size 0
		.amdhsa_uses_dynamic_stack 0
		.amdhsa_system_sgpr_private_segment_wavefront_offset 0
		.amdhsa_system_sgpr_workgroup_id_x 1
		.amdhsa_system_sgpr_workgroup_id_y 0
		.amdhsa_system_sgpr_workgroup_id_z 0
		.amdhsa_system_sgpr_workgroup_info 0
		.amdhsa_system_vgpr_workitem_id 0
		.amdhsa_next_free_vgpr 1
		.amdhsa_next_free_sgpr 0
		.amdhsa_reserve_vcc 0
		.amdhsa_reserve_flat_scratch 0
		.amdhsa_float_round_mode_32 0
		.amdhsa_float_round_mode_16_64 0
		.amdhsa_float_denorm_mode_32 3
		.amdhsa_float_denorm_mode_16_64 3
		.amdhsa_dx10_clamp 1
		.amdhsa_ieee_mode 1
		.amdhsa_fp16_overflow 0
		.amdhsa_exception_fp_ieee_invalid_op 0
		.amdhsa_exception_fp_denorm_src 0
		.amdhsa_exception_fp_ieee_div_zero 0
		.amdhsa_exception_fp_ieee_overflow 0
		.amdhsa_exception_fp_ieee_underflow 0
		.amdhsa_exception_fp_ieee_inexact 0
		.amdhsa_exception_int_div_zero 0
	.end_amdhsa_kernel
	.section	.text._ZN7rocprim17ROCPRIM_400000_NS6detail17trampoline_kernelINS0_14default_configENS1_38merge_sort_block_merge_config_selectorIllEEZZNS1_27merge_sort_block_merge_implIS3_PlN6thrust23THRUST_200600_302600_NS10device_ptrIlEEjNS1_19radix_merge_compareILb0ELb0ElNS0_19identity_decomposerEEEEE10hipError_tT0_T1_T2_jT3_P12ihipStream_tbPNSt15iterator_traitsISG_E10value_typeEPNSM_ISH_E10value_typeEPSI_NS1_7vsmem_tEENKUlT_SG_SH_SI_E_clIS7_S7_SB_S7_EESF_SV_SG_SH_SI_EUlSV_E_NS1_11comp_targetILNS1_3genE0ELNS1_11target_archE4294967295ELNS1_3gpuE0ELNS1_3repE0EEENS1_48merge_mergepath_partition_config_static_selectorELNS0_4arch9wavefront6targetE1EEEvSH_,"axG",@progbits,_ZN7rocprim17ROCPRIM_400000_NS6detail17trampoline_kernelINS0_14default_configENS1_38merge_sort_block_merge_config_selectorIllEEZZNS1_27merge_sort_block_merge_implIS3_PlN6thrust23THRUST_200600_302600_NS10device_ptrIlEEjNS1_19radix_merge_compareILb0ELb0ElNS0_19identity_decomposerEEEEE10hipError_tT0_T1_T2_jT3_P12ihipStream_tbPNSt15iterator_traitsISG_E10value_typeEPNSM_ISH_E10value_typeEPSI_NS1_7vsmem_tEENKUlT_SG_SH_SI_E_clIS7_S7_SB_S7_EESF_SV_SG_SH_SI_EUlSV_E_NS1_11comp_targetILNS1_3genE0ELNS1_11target_archE4294967295ELNS1_3gpuE0ELNS1_3repE0EEENS1_48merge_mergepath_partition_config_static_selectorELNS0_4arch9wavefront6targetE1EEEvSH_,comdat
.Lfunc_end1034:
	.size	_ZN7rocprim17ROCPRIM_400000_NS6detail17trampoline_kernelINS0_14default_configENS1_38merge_sort_block_merge_config_selectorIllEEZZNS1_27merge_sort_block_merge_implIS3_PlN6thrust23THRUST_200600_302600_NS10device_ptrIlEEjNS1_19radix_merge_compareILb0ELb0ElNS0_19identity_decomposerEEEEE10hipError_tT0_T1_T2_jT3_P12ihipStream_tbPNSt15iterator_traitsISG_E10value_typeEPNSM_ISH_E10value_typeEPSI_NS1_7vsmem_tEENKUlT_SG_SH_SI_E_clIS7_S7_SB_S7_EESF_SV_SG_SH_SI_EUlSV_E_NS1_11comp_targetILNS1_3genE0ELNS1_11target_archE4294967295ELNS1_3gpuE0ELNS1_3repE0EEENS1_48merge_mergepath_partition_config_static_selectorELNS0_4arch9wavefront6targetE1EEEvSH_, .Lfunc_end1034-_ZN7rocprim17ROCPRIM_400000_NS6detail17trampoline_kernelINS0_14default_configENS1_38merge_sort_block_merge_config_selectorIllEEZZNS1_27merge_sort_block_merge_implIS3_PlN6thrust23THRUST_200600_302600_NS10device_ptrIlEEjNS1_19radix_merge_compareILb0ELb0ElNS0_19identity_decomposerEEEEE10hipError_tT0_T1_T2_jT3_P12ihipStream_tbPNSt15iterator_traitsISG_E10value_typeEPNSM_ISH_E10value_typeEPSI_NS1_7vsmem_tEENKUlT_SG_SH_SI_E_clIS7_S7_SB_S7_EESF_SV_SG_SH_SI_EUlSV_E_NS1_11comp_targetILNS1_3genE0ELNS1_11target_archE4294967295ELNS1_3gpuE0ELNS1_3repE0EEENS1_48merge_mergepath_partition_config_static_selectorELNS0_4arch9wavefront6targetE1EEEvSH_
                                        ; -- End function
	.set _ZN7rocprim17ROCPRIM_400000_NS6detail17trampoline_kernelINS0_14default_configENS1_38merge_sort_block_merge_config_selectorIllEEZZNS1_27merge_sort_block_merge_implIS3_PlN6thrust23THRUST_200600_302600_NS10device_ptrIlEEjNS1_19radix_merge_compareILb0ELb0ElNS0_19identity_decomposerEEEEE10hipError_tT0_T1_T2_jT3_P12ihipStream_tbPNSt15iterator_traitsISG_E10value_typeEPNSM_ISH_E10value_typeEPSI_NS1_7vsmem_tEENKUlT_SG_SH_SI_E_clIS7_S7_SB_S7_EESF_SV_SG_SH_SI_EUlSV_E_NS1_11comp_targetILNS1_3genE0ELNS1_11target_archE4294967295ELNS1_3gpuE0ELNS1_3repE0EEENS1_48merge_mergepath_partition_config_static_selectorELNS0_4arch9wavefront6targetE1EEEvSH_.num_vgpr, 0
	.set _ZN7rocprim17ROCPRIM_400000_NS6detail17trampoline_kernelINS0_14default_configENS1_38merge_sort_block_merge_config_selectorIllEEZZNS1_27merge_sort_block_merge_implIS3_PlN6thrust23THRUST_200600_302600_NS10device_ptrIlEEjNS1_19radix_merge_compareILb0ELb0ElNS0_19identity_decomposerEEEEE10hipError_tT0_T1_T2_jT3_P12ihipStream_tbPNSt15iterator_traitsISG_E10value_typeEPNSM_ISH_E10value_typeEPSI_NS1_7vsmem_tEENKUlT_SG_SH_SI_E_clIS7_S7_SB_S7_EESF_SV_SG_SH_SI_EUlSV_E_NS1_11comp_targetILNS1_3genE0ELNS1_11target_archE4294967295ELNS1_3gpuE0ELNS1_3repE0EEENS1_48merge_mergepath_partition_config_static_selectorELNS0_4arch9wavefront6targetE1EEEvSH_.num_agpr, 0
	.set _ZN7rocprim17ROCPRIM_400000_NS6detail17trampoline_kernelINS0_14default_configENS1_38merge_sort_block_merge_config_selectorIllEEZZNS1_27merge_sort_block_merge_implIS3_PlN6thrust23THRUST_200600_302600_NS10device_ptrIlEEjNS1_19radix_merge_compareILb0ELb0ElNS0_19identity_decomposerEEEEE10hipError_tT0_T1_T2_jT3_P12ihipStream_tbPNSt15iterator_traitsISG_E10value_typeEPNSM_ISH_E10value_typeEPSI_NS1_7vsmem_tEENKUlT_SG_SH_SI_E_clIS7_S7_SB_S7_EESF_SV_SG_SH_SI_EUlSV_E_NS1_11comp_targetILNS1_3genE0ELNS1_11target_archE4294967295ELNS1_3gpuE0ELNS1_3repE0EEENS1_48merge_mergepath_partition_config_static_selectorELNS0_4arch9wavefront6targetE1EEEvSH_.numbered_sgpr, 0
	.set _ZN7rocprim17ROCPRIM_400000_NS6detail17trampoline_kernelINS0_14default_configENS1_38merge_sort_block_merge_config_selectorIllEEZZNS1_27merge_sort_block_merge_implIS3_PlN6thrust23THRUST_200600_302600_NS10device_ptrIlEEjNS1_19radix_merge_compareILb0ELb0ElNS0_19identity_decomposerEEEEE10hipError_tT0_T1_T2_jT3_P12ihipStream_tbPNSt15iterator_traitsISG_E10value_typeEPNSM_ISH_E10value_typeEPSI_NS1_7vsmem_tEENKUlT_SG_SH_SI_E_clIS7_S7_SB_S7_EESF_SV_SG_SH_SI_EUlSV_E_NS1_11comp_targetILNS1_3genE0ELNS1_11target_archE4294967295ELNS1_3gpuE0ELNS1_3repE0EEENS1_48merge_mergepath_partition_config_static_selectorELNS0_4arch9wavefront6targetE1EEEvSH_.num_named_barrier, 0
	.set _ZN7rocprim17ROCPRIM_400000_NS6detail17trampoline_kernelINS0_14default_configENS1_38merge_sort_block_merge_config_selectorIllEEZZNS1_27merge_sort_block_merge_implIS3_PlN6thrust23THRUST_200600_302600_NS10device_ptrIlEEjNS1_19radix_merge_compareILb0ELb0ElNS0_19identity_decomposerEEEEE10hipError_tT0_T1_T2_jT3_P12ihipStream_tbPNSt15iterator_traitsISG_E10value_typeEPNSM_ISH_E10value_typeEPSI_NS1_7vsmem_tEENKUlT_SG_SH_SI_E_clIS7_S7_SB_S7_EESF_SV_SG_SH_SI_EUlSV_E_NS1_11comp_targetILNS1_3genE0ELNS1_11target_archE4294967295ELNS1_3gpuE0ELNS1_3repE0EEENS1_48merge_mergepath_partition_config_static_selectorELNS0_4arch9wavefront6targetE1EEEvSH_.private_seg_size, 0
	.set _ZN7rocprim17ROCPRIM_400000_NS6detail17trampoline_kernelINS0_14default_configENS1_38merge_sort_block_merge_config_selectorIllEEZZNS1_27merge_sort_block_merge_implIS3_PlN6thrust23THRUST_200600_302600_NS10device_ptrIlEEjNS1_19radix_merge_compareILb0ELb0ElNS0_19identity_decomposerEEEEE10hipError_tT0_T1_T2_jT3_P12ihipStream_tbPNSt15iterator_traitsISG_E10value_typeEPNSM_ISH_E10value_typeEPSI_NS1_7vsmem_tEENKUlT_SG_SH_SI_E_clIS7_S7_SB_S7_EESF_SV_SG_SH_SI_EUlSV_E_NS1_11comp_targetILNS1_3genE0ELNS1_11target_archE4294967295ELNS1_3gpuE0ELNS1_3repE0EEENS1_48merge_mergepath_partition_config_static_selectorELNS0_4arch9wavefront6targetE1EEEvSH_.uses_vcc, 0
	.set _ZN7rocprim17ROCPRIM_400000_NS6detail17trampoline_kernelINS0_14default_configENS1_38merge_sort_block_merge_config_selectorIllEEZZNS1_27merge_sort_block_merge_implIS3_PlN6thrust23THRUST_200600_302600_NS10device_ptrIlEEjNS1_19radix_merge_compareILb0ELb0ElNS0_19identity_decomposerEEEEE10hipError_tT0_T1_T2_jT3_P12ihipStream_tbPNSt15iterator_traitsISG_E10value_typeEPNSM_ISH_E10value_typeEPSI_NS1_7vsmem_tEENKUlT_SG_SH_SI_E_clIS7_S7_SB_S7_EESF_SV_SG_SH_SI_EUlSV_E_NS1_11comp_targetILNS1_3genE0ELNS1_11target_archE4294967295ELNS1_3gpuE0ELNS1_3repE0EEENS1_48merge_mergepath_partition_config_static_selectorELNS0_4arch9wavefront6targetE1EEEvSH_.uses_flat_scratch, 0
	.set _ZN7rocprim17ROCPRIM_400000_NS6detail17trampoline_kernelINS0_14default_configENS1_38merge_sort_block_merge_config_selectorIllEEZZNS1_27merge_sort_block_merge_implIS3_PlN6thrust23THRUST_200600_302600_NS10device_ptrIlEEjNS1_19radix_merge_compareILb0ELb0ElNS0_19identity_decomposerEEEEE10hipError_tT0_T1_T2_jT3_P12ihipStream_tbPNSt15iterator_traitsISG_E10value_typeEPNSM_ISH_E10value_typeEPSI_NS1_7vsmem_tEENKUlT_SG_SH_SI_E_clIS7_S7_SB_S7_EESF_SV_SG_SH_SI_EUlSV_E_NS1_11comp_targetILNS1_3genE0ELNS1_11target_archE4294967295ELNS1_3gpuE0ELNS1_3repE0EEENS1_48merge_mergepath_partition_config_static_selectorELNS0_4arch9wavefront6targetE1EEEvSH_.has_dyn_sized_stack, 0
	.set _ZN7rocprim17ROCPRIM_400000_NS6detail17trampoline_kernelINS0_14default_configENS1_38merge_sort_block_merge_config_selectorIllEEZZNS1_27merge_sort_block_merge_implIS3_PlN6thrust23THRUST_200600_302600_NS10device_ptrIlEEjNS1_19radix_merge_compareILb0ELb0ElNS0_19identity_decomposerEEEEE10hipError_tT0_T1_T2_jT3_P12ihipStream_tbPNSt15iterator_traitsISG_E10value_typeEPNSM_ISH_E10value_typeEPSI_NS1_7vsmem_tEENKUlT_SG_SH_SI_E_clIS7_S7_SB_S7_EESF_SV_SG_SH_SI_EUlSV_E_NS1_11comp_targetILNS1_3genE0ELNS1_11target_archE4294967295ELNS1_3gpuE0ELNS1_3repE0EEENS1_48merge_mergepath_partition_config_static_selectorELNS0_4arch9wavefront6targetE1EEEvSH_.has_recursion, 0
	.set _ZN7rocprim17ROCPRIM_400000_NS6detail17trampoline_kernelINS0_14default_configENS1_38merge_sort_block_merge_config_selectorIllEEZZNS1_27merge_sort_block_merge_implIS3_PlN6thrust23THRUST_200600_302600_NS10device_ptrIlEEjNS1_19radix_merge_compareILb0ELb0ElNS0_19identity_decomposerEEEEE10hipError_tT0_T1_T2_jT3_P12ihipStream_tbPNSt15iterator_traitsISG_E10value_typeEPNSM_ISH_E10value_typeEPSI_NS1_7vsmem_tEENKUlT_SG_SH_SI_E_clIS7_S7_SB_S7_EESF_SV_SG_SH_SI_EUlSV_E_NS1_11comp_targetILNS1_3genE0ELNS1_11target_archE4294967295ELNS1_3gpuE0ELNS1_3repE0EEENS1_48merge_mergepath_partition_config_static_selectorELNS0_4arch9wavefront6targetE1EEEvSH_.has_indirect_call, 0
	.section	.AMDGPU.csdata,"",@progbits
; Kernel info:
; codeLenInByte = 0
; TotalNumSgprs: 4
; NumVgprs: 0
; ScratchSize: 0
; MemoryBound: 0
; FloatMode: 240
; IeeeMode: 1
; LDSByteSize: 0 bytes/workgroup (compile time only)
; SGPRBlocks: 0
; VGPRBlocks: 0
; NumSGPRsForWavesPerEU: 4
; NumVGPRsForWavesPerEU: 1
; Occupancy: 10
; WaveLimiterHint : 0
; COMPUTE_PGM_RSRC2:SCRATCH_EN: 0
; COMPUTE_PGM_RSRC2:USER_SGPR: 6
; COMPUTE_PGM_RSRC2:TRAP_HANDLER: 0
; COMPUTE_PGM_RSRC2:TGID_X_EN: 1
; COMPUTE_PGM_RSRC2:TGID_Y_EN: 0
; COMPUTE_PGM_RSRC2:TGID_Z_EN: 0
; COMPUTE_PGM_RSRC2:TIDIG_COMP_CNT: 0
	.section	.text._ZN7rocprim17ROCPRIM_400000_NS6detail17trampoline_kernelINS0_14default_configENS1_38merge_sort_block_merge_config_selectorIllEEZZNS1_27merge_sort_block_merge_implIS3_PlN6thrust23THRUST_200600_302600_NS10device_ptrIlEEjNS1_19radix_merge_compareILb0ELb0ElNS0_19identity_decomposerEEEEE10hipError_tT0_T1_T2_jT3_P12ihipStream_tbPNSt15iterator_traitsISG_E10value_typeEPNSM_ISH_E10value_typeEPSI_NS1_7vsmem_tEENKUlT_SG_SH_SI_E_clIS7_S7_SB_S7_EESF_SV_SG_SH_SI_EUlSV_E_NS1_11comp_targetILNS1_3genE10ELNS1_11target_archE1201ELNS1_3gpuE5ELNS1_3repE0EEENS1_48merge_mergepath_partition_config_static_selectorELNS0_4arch9wavefront6targetE1EEEvSH_,"axG",@progbits,_ZN7rocprim17ROCPRIM_400000_NS6detail17trampoline_kernelINS0_14default_configENS1_38merge_sort_block_merge_config_selectorIllEEZZNS1_27merge_sort_block_merge_implIS3_PlN6thrust23THRUST_200600_302600_NS10device_ptrIlEEjNS1_19radix_merge_compareILb0ELb0ElNS0_19identity_decomposerEEEEE10hipError_tT0_T1_T2_jT3_P12ihipStream_tbPNSt15iterator_traitsISG_E10value_typeEPNSM_ISH_E10value_typeEPSI_NS1_7vsmem_tEENKUlT_SG_SH_SI_E_clIS7_S7_SB_S7_EESF_SV_SG_SH_SI_EUlSV_E_NS1_11comp_targetILNS1_3genE10ELNS1_11target_archE1201ELNS1_3gpuE5ELNS1_3repE0EEENS1_48merge_mergepath_partition_config_static_selectorELNS0_4arch9wavefront6targetE1EEEvSH_,comdat
	.protected	_ZN7rocprim17ROCPRIM_400000_NS6detail17trampoline_kernelINS0_14default_configENS1_38merge_sort_block_merge_config_selectorIllEEZZNS1_27merge_sort_block_merge_implIS3_PlN6thrust23THRUST_200600_302600_NS10device_ptrIlEEjNS1_19radix_merge_compareILb0ELb0ElNS0_19identity_decomposerEEEEE10hipError_tT0_T1_T2_jT3_P12ihipStream_tbPNSt15iterator_traitsISG_E10value_typeEPNSM_ISH_E10value_typeEPSI_NS1_7vsmem_tEENKUlT_SG_SH_SI_E_clIS7_S7_SB_S7_EESF_SV_SG_SH_SI_EUlSV_E_NS1_11comp_targetILNS1_3genE10ELNS1_11target_archE1201ELNS1_3gpuE5ELNS1_3repE0EEENS1_48merge_mergepath_partition_config_static_selectorELNS0_4arch9wavefront6targetE1EEEvSH_ ; -- Begin function _ZN7rocprim17ROCPRIM_400000_NS6detail17trampoline_kernelINS0_14default_configENS1_38merge_sort_block_merge_config_selectorIllEEZZNS1_27merge_sort_block_merge_implIS3_PlN6thrust23THRUST_200600_302600_NS10device_ptrIlEEjNS1_19radix_merge_compareILb0ELb0ElNS0_19identity_decomposerEEEEE10hipError_tT0_T1_T2_jT3_P12ihipStream_tbPNSt15iterator_traitsISG_E10value_typeEPNSM_ISH_E10value_typeEPSI_NS1_7vsmem_tEENKUlT_SG_SH_SI_E_clIS7_S7_SB_S7_EESF_SV_SG_SH_SI_EUlSV_E_NS1_11comp_targetILNS1_3genE10ELNS1_11target_archE1201ELNS1_3gpuE5ELNS1_3repE0EEENS1_48merge_mergepath_partition_config_static_selectorELNS0_4arch9wavefront6targetE1EEEvSH_
	.globl	_ZN7rocprim17ROCPRIM_400000_NS6detail17trampoline_kernelINS0_14default_configENS1_38merge_sort_block_merge_config_selectorIllEEZZNS1_27merge_sort_block_merge_implIS3_PlN6thrust23THRUST_200600_302600_NS10device_ptrIlEEjNS1_19radix_merge_compareILb0ELb0ElNS0_19identity_decomposerEEEEE10hipError_tT0_T1_T2_jT3_P12ihipStream_tbPNSt15iterator_traitsISG_E10value_typeEPNSM_ISH_E10value_typeEPSI_NS1_7vsmem_tEENKUlT_SG_SH_SI_E_clIS7_S7_SB_S7_EESF_SV_SG_SH_SI_EUlSV_E_NS1_11comp_targetILNS1_3genE10ELNS1_11target_archE1201ELNS1_3gpuE5ELNS1_3repE0EEENS1_48merge_mergepath_partition_config_static_selectorELNS0_4arch9wavefront6targetE1EEEvSH_
	.p2align	8
	.type	_ZN7rocprim17ROCPRIM_400000_NS6detail17trampoline_kernelINS0_14default_configENS1_38merge_sort_block_merge_config_selectorIllEEZZNS1_27merge_sort_block_merge_implIS3_PlN6thrust23THRUST_200600_302600_NS10device_ptrIlEEjNS1_19radix_merge_compareILb0ELb0ElNS0_19identity_decomposerEEEEE10hipError_tT0_T1_T2_jT3_P12ihipStream_tbPNSt15iterator_traitsISG_E10value_typeEPNSM_ISH_E10value_typeEPSI_NS1_7vsmem_tEENKUlT_SG_SH_SI_E_clIS7_S7_SB_S7_EESF_SV_SG_SH_SI_EUlSV_E_NS1_11comp_targetILNS1_3genE10ELNS1_11target_archE1201ELNS1_3gpuE5ELNS1_3repE0EEENS1_48merge_mergepath_partition_config_static_selectorELNS0_4arch9wavefront6targetE1EEEvSH_,@function
_ZN7rocprim17ROCPRIM_400000_NS6detail17trampoline_kernelINS0_14default_configENS1_38merge_sort_block_merge_config_selectorIllEEZZNS1_27merge_sort_block_merge_implIS3_PlN6thrust23THRUST_200600_302600_NS10device_ptrIlEEjNS1_19radix_merge_compareILb0ELb0ElNS0_19identity_decomposerEEEEE10hipError_tT0_T1_T2_jT3_P12ihipStream_tbPNSt15iterator_traitsISG_E10value_typeEPNSM_ISH_E10value_typeEPSI_NS1_7vsmem_tEENKUlT_SG_SH_SI_E_clIS7_S7_SB_S7_EESF_SV_SG_SH_SI_EUlSV_E_NS1_11comp_targetILNS1_3genE10ELNS1_11target_archE1201ELNS1_3gpuE5ELNS1_3repE0EEENS1_48merge_mergepath_partition_config_static_selectorELNS0_4arch9wavefront6targetE1EEEvSH_: ; @_ZN7rocprim17ROCPRIM_400000_NS6detail17trampoline_kernelINS0_14default_configENS1_38merge_sort_block_merge_config_selectorIllEEZZNS1_27merge_sort_block_merge_implIS3_PlN6thrust23THRUST_200600_302600_NS10device_ptrIlEEjNS1_19radix_merge_compareILb0ELb0ElNS0_19identity_decomposerEEEEE10hipError_tT0_T1_T2_jT3_P12ihipStream_tbPNSt15iterator_traitsISG_E10value_typeEPNSM_ISH_E10value_typeEPSI_NS1_7vsmem_tEENKUlT_SG_SH_SI_E_clIS7_S7_SB_S7_EESF_SV_SG_SH_SI_EUlSV_E_NS1_11comp_targetILNS1_3genE10ELNS1_11target_archE1201ELNS1_3gpuE5ELNS1_3repE0EEENS1_48merge_mergepath_partition_config_static_selectorELNS0_4arch9wavefront6targetE1EEEvSH_
; %bb.0:
	.section	.rodata,"a",@progbits
	.p2align	6, 0x0
	.amdhsa_kernel _ZN7rocprim17ROCPRIM_400000_NS6detail17trampoline_kernelINS0_14default_configENS1_38merge_sort_block_merge_config_selectorIllEEZZNS1_27merge_sort_block_merge_implIS3_PlN6thrust23THRUST_200600_302600_NS10device_ptrIlEEjNS1_19radix_merge_compareILb0ELb0ElNS0_19identity_decomposerEEEEE10hipError_tT0_T1_T2_jT3_P12ihipStream_tbPNSt15iterator_traitsISG_E10value_typeEPNSM_ISH_E10value_typeEPSI_NS1_7vsmem_tEENKUlT_SG_SH_SI_E_clIS7_S7_SB_S7_EESF_SV_SG_SH_SI_EUlSV_E_NS1_11comp_targetILNS1_3genE10ELNS1_11target_archE1201ELNS1_3gpuE5ELNS1_3repE0EEENS1_48merge_mergepath_partition_config_static_selectorELNS0_4arch9wavefront6targetE1EEEvSH_
		.amdhsa_group_segment_fixed_size 0
		.amdhsa_private_segment_fixed_size 0
		.amdhsa_kernarg_size 40
		.amdhsa_user_sgpr_count 6
		.amdhsa_user_sgpr_private_segment_buffer 1
		.amdhsa_user_sgpr_dispatch_ptr 0
		.amdhsa_user_sgpr_queue_ptr 0
		.amdhsa_user_sgpr_kernarg_segment_ptr 1
		.amdhsa_user_sgpr_dispatch_id 0
		.amdhsa_user_sgpr_flat_scratch_init 0
		.amdhsa_user_sgpr_private_segment_size 0
		.amdhsa_uses_dynamic_stack 0
		.amdhsa_system_sgpr_private_segment_wavefront_offset 0
		.amdhsa_system_sgpr_workgroup_id_x 1
		.amdhsa_system_sgpr_workgroup_id_y 0
		.amdhsa_system_sgpr_workgroup_id_z 0
		.amdhsa_system_sgpr_workgroup_info 0
		.amdhsa_system_vgpr_workitem_id 0
		.amdhsa_next_free_vgpr 1
		.amdhsa_next_free_sgpr 0
		.amdhsa_reserve_vcc 0
		.amdhsa_reserve_flat_scratch 0
		.amdhsa_float_round_mode_32 0
		.amdhsa_float_round_mode_16_64 0
		.amdhsa_float_denorm_mode_32 3
		.amdhsa_float_denorm_mode_16_64 3
		.amdhsa_dx10_clamp 1
		.amdhsa_ieee_mode 1
		.amdhsa_fp16_overflow 0
		.amdhsa_exception_fp_ieee_invalid_op 0
		.amdhsa_exception_fp_denorm_src 0
		.amdhsa_exception_fp_ieee_div_zero 0
		.amdhsa_exception_fp_ieee_overflow 0
		.amdhsa_exception_fp_ieee_underflow 0
		.amdhsa_exception_fp_ieee_inexact 0
		.amdhsa_exception_int_div_zero 0
	.end_amdhsa_kernel
	.section	.text._ZN7rocprim17ROCPRIM_400000_NS6detail17trampoline_kernelINS0_14default_configENS1_38merge_sort_block_merge_config_selectorIllEEZZNS1_27merge_sort_block_merge_implIS3_PlN6thrust23THRUST_200600_302600_NS10device_ptrIlEEjNS1_19radix_merge_compareILb0ELb0ElNS0_19identity_decomposerEEEEE10hipError_tT0_T1_T2_jT3_P12ihipStream_tbPNSt15iterator_traitsISG_E10value_typeEPNSM_ISH_E10value_typeEPSI_NS1_7vsmem_tEENKUlT_SG_SH_SI_E_clIS7_S7_SB_S7_EESF_SV_SG_SH_SI_EUlSV_E_NS1_11comp_targetILNS1_3genE10ELNS1_11target_archE1201ELNS1_3gpuE5ELNS1_3repE0EEENS1_48merge_mergepath_partition_config_static_selectorELNS0_4arch9wavefront6targetE1EEEvSH_,"axG",@progbits,_ZN7rocprim17ROCPRIM_400000_NS6detail17trampoline_kernelINS0_14default_configENS1_38merge_sort_block_merge_config_selectorIllEEZZNS1_27merge_sort_block_merge_implIS3_PlN6thrust23THRUST_200600_302600_NS10device_ptrIlEEjNS1_19radix_merge_compareILb0ELb0ElNS0_19identity_decomposerEEEEE10hipError_tT0_T1_T2_jT3_P12ihipStream_tbPNSt15iterator_traitsISG_E10value_typeEPNSM_ISH_E10value_typeEPSI_NS1_7vsmem_tEENKUlT_SG_SH_SI_E_clIS7_S7_SB_S7_EESF_SV_SG_SH_SI_EUlSV_E_NS1_11comp_targetILNS1_3genE10ELNS1_11target_archE1201ELNS1_3gpuE5ELNS1_3repE0EEENS1_48merge_mergepath_partition_config_static_selectorELNS0_4arch9wavefront6targetE1EEEvSH_,comdat
.Lfunc_end1035:
	.size	_ZN7rocprim17ROCPRIM_400000_NS6detail17trampoline_kernelINS0_14default_configENS1_38merge_sort_block_merge_config_selectorIllEEZZNS1_27merge_sort_block_merge_implIS3_PlN6thrust23THRUST_200600_302600_NS10device_ptrIlEEjNS1_19radix_merge_compareILb0ELb0ElNS0_19identity_decomposerEEEEE10hipError_tT0_T1_T2_jT3_P12ihipStream_tbPNSt15iterator_traitsISG_E10value_typeEPNSM_ISH_E10value_typeEPSI_NS1_7vsmem_tEENKUlT_SG_SH_SI_E_clIS7_S7_SB_S7_EESF_SV_SG_SH_SI_EUlSV_E_NS1_11comp_targetILNS1_3genE10ELNS1_11target_archE1201ELNS1_3gpuE5ELNS1_3repE0EEENS1_48merge_mergepath_partition_config_static_selectorELNS0_4arch9wavefront6targetE1EEEvSH_, .Lfunc_end1035-_ZN7rocprim17ROCPRIM_400000_NS6detail17trampoline_kernelINS0_14default_configENS1_38merge_sort_block_merge_config_selectorIllEEZZNS1_27merge_sort_block_merge_implIS3_PlN6thrust23THRUST_200600_302600_NS10device_ptrIlEEjNS1_19radix_merge_compareILb0ELb0ElNS0_19identity_decomposerEEEEE10hipError_tT0_T1_T2_jT3_P12ihipStream_tbPNSt15iterator_traitsISG_E10value_typeEPNSM_ISH_E10value_typeEPSI_NS1_7vsmem_tEENKUlT_SG_SH_SI_E_clIS7_S7_SB_S7_EESF_SV_SG_SH_SI_EUlSV_E_NS1_11comp_targetILNS1_3genE10ELNS1_11target_archE1201ELNS1_3gpuE5ELNS1_3repE0EEENS1_48merge_mergepath_partition_config_static_selectorELNS0_4arch9wavefront6targetE1EEEvSH_
                                        ; -- End function
	.set _ZN7rocprim17ROCPRIM_400000_NS6detail17trampoline_kernelINS0_14default_configENS1_38merge_sort_block_merge_config_selectorIllEEZZNS1_27merge_sort_block_merge_implIS3_PlN6thrust23THRUST_200600_302600_NS10device_ptrIlEEjNS1_19radix_merge_compareILb0ELb0ElNS0_19identity_decomposerEEEEE10hipError_tT0_T1_T2_jT3_P12ihipStream_tbPNSt15iterator_traitsISG_E10value_typeEPNSM_ISH_E10value_typeEPSI_NS1_7vsmem_tEENKUlT_SG_SH_SI_E_clIS7_S7_SB_S7_EESF_SV_SG_SH_SI_EUlSV_E_NS1_11comp_targetILNS1_3genE10ELNS1_11target_archE1201ELNS1_3gpuE5ELNS1_3repE0EEENS1_48merge_mergepath_partition_config_static_selectorELNS0_4arch9wavefront6targetE1EEEvSH_.num_vgpr, 0
	.set _ZN7rocprim17ROCPRIM_400000_NS6detail17trampoline_kernelINS0_14default_configENS1_38merge_sort_block_merge_config_selectorIllEEZZNS1_27merge_sort_block_merge_implIS3_PlN6thrust23THRUST_200600_302600_NS10device_ptrIlEEjNS1_19radix_merge_compareILb0ELb0ElNS0_19identity_decomposerEEEEE10hipError_tT0_T1_T2_jT3_P12ihipStream_tbPNSt15iterator_traitsISG_E10value_typeEPNSM_ISH_E10value_typeEPSI_NS1_7vsmem_tEENKUlT_SG_SH_SI_E_clIS7_S7_SB_S7_EESF_SV_SG_SH_SI_EUlSV_E_NS1_11comp_targetILNS1_3genE10ELNS1_11target_archE1201ELNS1_3gpuE5ELNS1_3repE0EEENS1_48merge_mergepath_partition_config_static_selectorELNS0_4arch9wavefront6targetE1EEEvSH_.num_agpr, 0
	.set _ZN7rocprim17ROCPRIM_400000_NS6detail17trampoline_kernelINS0_14default_configENS1_38merge_sort_block_merge_config_selectorIllEEZZNS1_27merge_sort_block_merge_implIS3_PlN6thrust23THRUST_200600_302600_NS10device_ptrIlEEjNS1_19radix_merge_compareILb0ELb0ElNS0_19identity_decomposerEEEEE10hipError_tT0_T1_T2_jT3_P12ihipStream_tbPNSt15iterator_traitsISG_E10value_typeEPNSM_ISH_E10value_typeEPSI_NS1_7vsmem_tEENKUlT_SG_SH_SI_E_clIS7_S7_SB_S7_EESF_SV_SG_SH_SI_EUlSV_E_NS1_11comp_targetILNS1_3genE10ELNS1_11target_archE1201ELNS1_3gpuE5ELNS1_3repE0EEENS1_48merge_mergepath_partition_config_static_selectorELNS0_4arch9wavefront6targetE1EEEvSH_.numbered_sgpr, 0
	.set _ZN7rocprim17ROCPRIM_400000_NS6detail17trampoline_kernelINS0_14default_configENS1_38merge_sort_block_merge_config_selectorIllEEZZNS1_27merge_sort_block_merge_implIS3_PlN6thrust23THRUST_200600_302600_NS10device_ptrIlEEjNS1_19radix_merge_compareILb0ELb0ElNS0_19identity_decomposerEEEEE10hipError_tT0_T1_T2_jT3_P12ihipStream_tbPNSt15iterator_traitsISG_E10value_typeEPNSM_ISH_E10value_typeEPSI_NS1_7vsmem_tEENKUlT_SG_SH_SI_E_clIS7_S7_SB_S7_EESF_SV_SG_SH_SI_EUlSV_E_NS1_11comp_targetILNS1_3genE10ELNS1_11target_archE1201ELNS1_3gpuE5ELNS1_3repE0EEENS1_48merge_mergepath_partition_config_static_selectorELNS0_4arch9wavefront6targetE1EEEvSH_.num_named_barrier, 0
	.set _ZN7rocprim17ROCPRIM_400000_NS6detail17trampoline_kernelINS0_14default_configENS1_38merge_sort_block_merge_config_selectorIllEEZZNS1_27merge_sort_block_merge_implIS3_PlN6thrust23THRUST_200600_302600_NS10device_ptrIlEEjNS1_19radix_merge_compareILb0ELb0ElNS0_19identity_decomposerEEEEE10hipError_tT0_T1_T2_jT3_P12ihipStream_tbPNSt15iterator_traitsISG_E10value_typeEPNSM_ISH_E10value_typeEPSI_NS1_7vsmem_tEENKUlT_SG_SH_SI_E_clIS7_S7_SB_S7_EESF_SV_SG_SH_SI_EUlSV_E_NS1_11comp_targetILNS1_3genE10ELNS1_11target_archE1201ELNS1_3gpuE5ELNS1_3repE0EEENS1_48merge_mergepath_partition_config_static_selectorELNS0_4arch9wavefront6targetE1EEEvSH_.private_seg_size, 0
	.set _ZN7rocprim17ROCPRIM_400000_NS6detail17trampoline_kernelINS0_14default_configENS1_38merge_sort_block_merge_config_selectorIllEEZZNS1_27merge_sort_block_merge_implIS3_PlN6thrust23THRUST_200600_302600_NS10device_ptrIlEEjNS1_19radix_merge_compareILb0ELb0ElNS0_19identity_decomposerEEEEE10hipError_tT0_T1_T2_jT3_P12ihipStream_tbPNSt15iterator_traitsISG_E10value_typeEPNSM_ISH_E10value_typeEPSI_NS1_7vsmem_tEENKUlT_SG_SH_SI_E_clIS7_S7_SB_S7_EESF_SV_SG_SH_SI_EUlSV_E_NS1_11comp_targetILNS1_3genE10ELNS1_11target_archE1201ELNS1_3gpuE5ELNS1_3repE0EEENS1_48merge_mergepath_partition_config_static_selectorELNS0_4arch9wavefront6targetE1EEEvSH_.uses_vcc, 0
	.set _ZN7rocprim17ROCPRIM_400000_NS6detail17trampoline_kernelINS0_14default_configENS1_38merge_sort_block_merge_config_selectorIllEEZZNS1_27merge_sort_block_merge_implIS3_PlN6thrust23THRUST_200600_302600_NS10device_ptrIlEEjNS1_19radix_merge_compareILb0ELb0ElNS0_19identity_decomposerEEEEE10hipError_tT0_T1_T2_jT3_P12ihipStream_tbPNSt15iterator_traitsISG_E10value_typeEPNSM_ISH_E10value_typeEPSI_NS1_7vsmem_tEENKUlT_SG_SH_SI_E_clIS7_S7_SB_S7_EESF_SV_SG_SH_SI_EUlSV_E_NS1_11comp_targetILNS1_3genE10ELNS1_11target_archE1201ELNS1_3gpuE5ELNS1_3repE0EEENS1_48merge_mergepath_partition_config_static_selectorELNS0_4arch9wavefront6targetE1EEEvSH_.uses_flat_scratch, 0
	.set _ZN7rocprim17ROCPRIM_400000_NS6detail17trampoline_kernelINS0_14default_configENS1_38merge_sort_block_merge_config_selectorIllEEZZNS1_27merge_sort_block_merge_implIS3_PlN6thrust23THRUST_200600_302600_NS10device_ptrIlEEjNS1_19radix_merge_compareILb0ELb0ElNS0_19identity_decomposerEEEEE10hipError_tT0_T1_T2_jT3_P12ihipStream_tbPNSt15iterator_traitsISG_E10value_typeEPNSM_ISH_E10value_typeEPSI_NS1_7vsmem_tEENKUlT_SG_SH_SI_E_clIS7_S7_SB_S7_EESF_SV_SG_SH_SI_EUlSV_E_NS1_11comp_targetILNS1_3genE10ELNS1_11target_archE1201ELNS1_3gpuE5ELNS1_3repE0EEENS1_48merge_mergepath_partition_config_static_selectorELNS0_4arch9wavefront6targetE1EEEvSH_.has_dyn_sized_stack, 0
	.set _ZN7rocprim17ROCPRIM_400000_NS6detail17trampoline_kernelINS0_14default_configENS1_38merge_sort_block_merge_config_selectorIllEEZZNS1_27merge_sort_block_merge_implIS3_PlN6thrust23THRUST_200600_302600_NS10device_ptrIlEEjNS1_19radix_merge_compareILb0ELb0ElNS0_19identity_decomposerEEEEE10hipError_tT0_T1_T2_jT3_P12ihipStream_tbPNSt15iterator_traitsISG_E10value_typeEPNSM_ISH_E10value_typeEPSI_NS1_7vsmem_tEENKUlT_SG_SH_SI_E_clIS7_S7_SB_S7_EESF_SV_SG_SH_SI_EUlSV_E_NS1_11comp_targetILNS1_3genE10ELNS1_11target_archE1201ELNS1_3gpuE5ELNS1_3repE0EEENS1_48merge_mergepath_partition_config_static_selectorELNS0_4arch9wavefront6targetE1EEEvSH_.has_recursion, 0
	.set _ZN7rocprim17ROCPRIM_400000_NS6detail17trampoline_kernelINS0_14default_configENS1_38merge_sort_block_merge_config_selectorIllEEZZNS1_27merge_sort_block_merge_implIS3_PlN6thrust23THRUST_200600_302600_NS10device_ptrIlEEjNS1_19radix_merge_compareILb0ELb0ElNS0_19identity_decomposerEEEEE10hipError_tT0_T1_T2_jT3_P12ihipStream_tbPNSt15iterator_traitsISG_E10value_typeEPNSM_ISH_E10value_typeEPSI_NS1_7vsmem_tEENKUlT_SG_SH_SI_E_clIS7_S7_SB_S7_EESF_SV_SG_SH_SI_EUlSV_E_NS1_11comp_targetILNS1_3genE10ELNS1_11target_archE1201ELNS1_3gpuE5ELNS1_3repE0EEENS1_48merge_mergepath_partition_config_static_selectorELNS0_4arch9wavefront6targetE1EEEvSH_.has_indirect_call, 0
	.section	.AMDGPU.csdata,"",@progbits
; Kernel info:
; codeLenInByte = 0
; TotalNumSgprs: 4
; NumVgprs: 0
; ScratchSize: 0
; MemoryBound: 0
; FloatMode: 240
; IeeeMode: 1
; LDSByteSize: 0 bytes/workgroup (compile time only)
; SGPRBlocks: 0
; VGPRBlocks: 0
; NumSGPRsForWavesPerEU: 4
; NumVGPRsForWavesPerEU: 1
; Occupancy: 10
; WaveLimiterHint : 0
; COMPUTE_PGM_RSRC2:SCRATCH_EN: 0
; COMPUTE_PGM_RSRC2:USER_SGPR: 6
; COMPUTE_PGM_RSRC2:TRAP_HANDLER: 0
; COMPUTE_PGM_RSRC2:TGID_X_EN: 1
; COMPUTE_PGM_RSRC2:TGID_Y_EN: 0
; COMPUTE_PGM_RSRC2:TGID_Z_EN: 0
; COMPUTE_PGM_RSRC2:TIDIG_COMP_CNT: 0
	.section	.text._ZN7rocprim17ROCPRIM_400000_NS6detail17trampoline_kernelINS0_14default_configENS1_38merge_sort_block_merge_config_selectorIllEEZZNS1_27merge_sort_block_merge_implIS3_PlN6thrust23THRUST_200600_302600_NS10device_ptrIlEEjNS1_19radix_merge_compareILb0ELb0ElNS0_19identity_decomposerEEEEE10hipError_tT0_T1_T2_jT3_P12ihipStream_tbPNSt15iterator_traitsISG_E10value_typeEPNSM_ISH_E10value_typeEPSI_NS1_7vsmem_tEENKUlT_SG_SH_SI_E_clIS7_S7_SB_S7_EESF_SV_SG_SH_SI_EUlSV_E_NS1_11comp_targetILNS1_3genE5ELNS1_11target_archE942ELNS1_3gpuE9ELNS1_3repE0EEENS1_48merge_mergepath_partition_config_static_selectorELNS0_4arch9wavefront6targetE1EEEvSH_,"axG",@progbits,_ZN7rocprim17ROCPRIM_400000_NS6detail17trampoline_kernelINS0_14default_configENS1_38merge_sort_block_merge_config_selectorIllEEZZNS1_27merge_sort_block_merge_implIS3_PlN6thrust23THRUST_200600_302600_NS10device_ptrIlEEjNS1_19radix_merge_compareILb0ELb0ElNS0_19identity_decomposerEEEEE10hipError_tT0_T1_T2_jT3_P12ihipStream_tbPNSt15iterator_traitsISG_E10value_typeEPNSM_ISH_E10value_typeEPSI_NS1_7vsmem_tEENKUlT_SG_SH_SI_E_clIS7_S7_SB_S7_EESF_SV_SG_SH_SI_EUlSV_E_NS1_11comp_targetILNS1_3genE5ELNS1_11target_archE942ELNS1_3gpuE9ELNS1_3repE0EEENS1_48merge_mergepath_partition_config_static_selectorELNS0_4arch9wavefront6targetE1EEEvSH_,comdat
	.protected	_ZN7rocprim17ROCPRIM_400000_NS6detail17trampoline_kernelINS0_14default_configENS1_38merge_sort_block_merge_config_selectorIllEEZZNS1_27merge_sort_block_merge_implIS3_PlN6thrust23THRUST_200600_302600_NS10device_ptrIlEEjNS1_19radix_merge_compareILb0ELb0ElNS0_19identity_decomposerEEEEE10hipError_tT0_T1_T2_jT3_P12ihipStream_tbPNSt15iterator_traitsISG_E10value_typeEPNSM_ISH_E10value_typeEPSI_NS1_7vsmem_tEENKUlT_SG_SH_SI_E_clIS7_S7_SB_S7_EESF_SV_SG_SH_SI_EUlSV_E_NS1_11comp_targetILNS1_3genE5ELNS1_11target_archE942ELNS1_3gpuE9ELNS1_3repE0EEENS1_48merge_mergepath_partition_config_static_selectorELNS0_4arch9wavefront6targetE1EEEvSH_ ; -- Begin function _ZN7rocprim17ROCPRIM_400000_NS6detail17trampoline_kernelINS0_14default_configENS1_38merge_sort_block_merge_config_selectorIllEEZZNS1_27merge_sort_block_merge_implIS3_PlN6thrust23THRUST_200600_302600_NS10device_ptrIlEEjNS1_19radix_merge_compareILb0ELb0ElNS0_19identity_decomposerEEEEE10hipError_tT0_T1_T2_jT3_P12ihipStream_tbPNSt15iterator_traitsISG_E10value_typeEPNSM_ISH_E10value_typeEPSI_NS1_7vsmem_tEENKUlT_SG_SH_SI_E_clIS7_S7_SB_S7_EESF_SV_SG_SH_SI_EUlSV_E_NS1_11comp_targetILNS1_3genE5ELNS1_11target_archE942ELNS1_3gpuE9ELNS1_3repE0EEENS1_48merge_mergepath_partition_config_static_selectorELNS0_4arch9wavefront6targetE1EEEvSH_
	.globl	_ZN7rocprim17ROCPRIM_400000_NS6detail17trampoline_kernelINS0_14default_configENS1_38merge_sort_block_merge_config_selectorIllEEZZNS1_27merge_sort_block_merge_implIS3_PlN6thrust23THRUST_200600_302600_NS10device_ptrIlEEjNS1_19radix_merge_compareILb0ELb0ElNS0_19identity_decomposerEEEEE10hipError_tT0_T1_T2_jT3_P12ihipStream_tbPNSt15iterator_traitsISG_E10value_typeEPNSM_ISH_E10value_typeEPSI_NS1_7vsmem_tEENKUlT_SG_SH_SI_E_clIS7_S7_SB_S7_EESF_SV_SG_SH_SI_EUlSV_E_NS1_11comp_targetILNS1_3genE5ELNS1_11target_archE942ELNS1_3gpuE9ELNS1_3repE0EEENS1_48merge_mergepath_partition_config_static_selectorELNS0_4arch9wavefront6targetE1EEEvSH_
	.p2align	8
	.type	_ZN7rocprim17ROCPRIM_400000_NS6detail17trampoline_kernelINS0_14default_configENS1_38merge_sort_block_merge_config_selectorIllEEZZNS1_27merge_sort_block_merge_implIS3_PlN6thrust23THRUST_200600_302600_NS10device_ptrIlEEjNS1_19radix_merge_compareILb0ELb0ElNS0_19identity_decomposerEEEEE10hipError_tT0_T1_T2_jT3_P12ihipStream_tbPNSt15iterator_traitsISG_E10value_typeEPNSM_ISH_E10value_typeEPSI_NS1_7vsmem_tEENKUlT_SG_SH_SI_E_clIS7_S7_SB_S7_EESF_SV_SG_SH_SI_EUlSV_E_NS1_11comp_targetILNS1_3genE5ELNS1_11target_archE942ELNS1_3gpuE9ELNS1_3repE0EEENS1_48merge_mergepath_partition_config_static_selectorELNS0_4arch9wavefront6targetE1EEEvSH_,@function
_ZN7rocprim17ROCPRIM_400000_NS6detail17trampoline_kernelINS0_14default_configENS1_38merge_sort_block_merge_config_selectorIllEEZZNS1_27merge_sort_block_merge_implIS3_PlN6thrust23THRUST_200600_302600_NS10device_ptrIlEEjNS1_19radix_merge_compareILb0ELb0ElNS0_19identity_decomposerEEEEE10hipError_tT0_T1_T2_jT3_P12ihipStream_tbPNSt15iterator_traitsISG_E10value_typeEPNSM_ISH_E10value_typeEPSI_NS1_7vsmem_tEENKUlT_SG_SH_SI_E_clIS7_S7_SB_S7_EESF_SV_SG_SH_SI_EUlSV_E_NS1_11comp_targetILNS1_3genE5ELNS1_11target_archE942ELNS1_3gpuE9ELNS1_3repE0EEENS1_48merge_mergepath_partition_config_static_selectorELNS0_4arch9wavefront6targetE1EEEvSH_: ; @_ZN7rocprim17ROCPRIM_400000_NS6detail17trampoline_kernelINS0_14default_configENS1_38merge_sort_block_merge_config_selectorIllEEZZNS1_27merge_sort_block_merge_implIS3_PlN6thrust23THRUST_200600_302600_NS10device_ptrIlEEjNS1_19radix_merge_compareILb0ELb0ElNS0_19identity_decomposerEEEEE10hipError_tT0_T1_T2_jT3_P12ihipStream_tbPNSt15iterator_traitsISG_E10value_typeEPNSM_ISH_E10value_typeEPSI_NS1_7vsmem_tEENKUlT_SG_SH_SI_E_clIS7_S7_SB_S7_EESF_SV_SG_SH_SI_EUlSV_E_NS1_11comp_targetILNS1_3genE5ELNS1_11target_archE942ELNS1_3gpuE9ELNS1_3repE0EEENS1_48merge_mergepath_partition_config_static_selectorELNS0_4arch9wavefront6targetE1EEEvSH_
; %bb.0:
	.section	.rodata,"a",@progbits
	.p2align	6, 0x0
	.amdhsa_kernel _ZN7rocprim17ROCPRIM_400000_NS6detail17trampoline_kernelINS0_14default_configENS1_38merge_sort_block_merge_config_selectorIllEEZZNS1_27merge_sort_block_merge_implIS3_PlN6thrust23THRUST_200600_302600_NS10device_ptrIlEEjNS1_19radix_merge_compareILb0ELb0ElNS0_19identity_decomposerEEEEE10hipError_tT0_T1_T2_jT3_P12ihipStream_tbPNSt15iterator_traitsISG_E10value_typeEPNSM_ISH_E10value_typeEPSI_NS1_7vsmem_tEENKUlT_SG_SH_SI_E_clIS7_S7_SB_S7_EESF_SV_SG_SH_SI_EUlSV_E_NS1_11comp_targetILNS1_3genE5ELNS1_11target_archE942ELNS1_3gpuE9ELNS1_3repE0EEENS1_48merge_mergepath_partition_config_static_selectorELNS0_4arch9wavefront6targetE1EEEvSH_
		.amdhsa_group_segment_fixed_size 0
		.amdhsa_private_segment_fixed_size 0
		.amdhsa_kernarg_size 40
		.amdhsa_user_sgpr_count 6
		.amdhsa_user_sgpr_private_segment_buffer 1
		.amdhsa_user_sgpr_dispatch_ptr 0
		.amdhsa_user_sgpr_queue_ptr 0
		.amdhsa_user_sgpr_kernarg_segment_ptr 1
		.amdhsa_user_sgpr_dispatch_id 0
		.amdhsa_user_sgpr_flat_scratch_init 0
		.amdhsa_user_sgpr_private_segment_size 0
		.amdhsa_uses_dynamic_stack 0
		.amdhsa_system_sgpr_private_segment_wavefront_offset 0
		.amdhsa_system_sgpr_workgroup_id_x 1
		.amdhsa_system_sgpr_workgroup_id_y 0
		.amdhsa_system_sgpr_workgroup_id_z 0
		.amdhsa_system_sgpr_workgroup_info 0
		.amdhsa_system_vgpr_workitem_id 0
		.amdhsa_next_free_vgpr 1
		.amdhsa_next_free_sgpr 0
		.amdhsa_reserve_vcc 0
		.amdhsa_reserve_flat_scratch 0
		.amdhsa_float_round_mode_32 0
		.amdhsa_float_round_mode_16_64 0
		.amdhsa_float_denorm_mode_32 3
		.amdhsa_float_denorm_mode_16_64 3
		.amdhsa_dx10_clamp 1
		.amdhsa_ieee_mode 1
		.amdhsa_fp16_overflow 0
		.amdhsa_exception_fp_ieee_invalid_op 0
		.amdhsa_exception_fp_denorm_src 0
		.amdhsa_exception_fp_ieee_div_zero 0
		.amdhsa_exception_fp_ieee_overflow 0
		.amdhsa_exception_fp_ieee_underflow 0
		.amdhsa_exception_fp_ieee_inexact 0
		.amdhsa_exception_int_div_zero 0
	.end_amdhsa_kernel
	.section	.text._ZN7rocprim17ROCPRIM_400000_NS6detail17trampoline_kernelINS0_14default_configENS1_38merge_sort_block_merge_config_selectorIllEEZZNS1_27merge_sort_block_merge_implIS3_PlN6thrust23THRUST_200600_302600_NS10device_ptrIlEEjNS1_19radix_merge_compareILb0ELb0ElNS0_19identity_decomposerEEEEE10hipError_tT0_T1_T2_jT3_P12ihipStream_tbPNSt15iterator_traitsISG_E10value_typeEPNSM_ISH_E10value_typeEPSI_NS1_7vsmem_tEENKUlT_SG_SH_SI_E_clIS7_S7_SB_S7_EESF_SV_SG_SH_SI_EUlSV_E_NS1_11comp_targetILNS1_3genE5ELNS1_11target_archE942ELNS1_3gpuE9ELNS1_3repE0EEENS1_48merge_mergepath_partition_config_static_selectorELNS0_4arch9wavefront6targetE1EEEvSH_,"axG",@progbits,_ZN7rocprim17ROCPRIM_400000_NS6detail17trampoline_kernelINS0_14default_configENS1_38merge_sort_block_merge_config_selectorIllEEZZNS1_27merge_sort_block_merge_implIS3_PlN6thrust23THRUST_200600_302600_NS10device_ptrIlEEjNS1_19radix_merge_compareILb0ELb0ElNS0_19identity_decomposerEEEEE10hipError_tT0_T1_T2_jT3_P12ihipStream_tbPNSt15iterator_traitsISG_E10value_typeEPNSM_ISH_E10value_typeEPSI_NS1_7vsmem_tEENKUlT_SG_SH_SI_E_clIS7_S7_SB_S7_EESF_SV_SG_SH_SI_EUlSV_E_NS1_11comp_targetILNS1_3genE5ELNS1_11target_archE942ELNS1_3gpuE9ELNS1_3repE0EEENS1_48merge_mergepath_partition_config_static_selectorELNS0_4arch9wavefront6targetE1EEEvSH_,comdat
.Lfunc_end1036:
	.size	_ZN7rocprim17ROCPRIM_400000_NS6detail17trampoline_kernelINS0_14default_configENS1_38merge_sort_block_merge_config_selectorIllEEZZNS1_27merge_sort_block_merge_implIS3_PlN6thrust23THRUST_200600_302600_NS10device_ptrIlEEjNS1_19radix_merge_compareILb0ELb0ElNS0_19identity_decomposerEEEEE10hipError_tT0_T1_T2_jT3_P12ihipStream_tbPNSt15iterator_traitsISG_E10value_typeEPNSM_ISH_E10value_typeEPSI_NS1_7vsmem_tEENKUlT_SG_SH_SI_E_clIS7_S7_SB_S7_EESF_SV_SG_SH_SI_EUlSV_E_NS1_11comp_targetILNS1_3genE5ELNS1_11target_archE942ELNS1_3gpuE9ELNS1_3repE0EEENS1_48merge_mergepath_partition_config_static_selectorELNS0_4arch9wavefront6targetE1EEEvSH_, .Lfunc_end1036-_ZN7rocprim17ROCPRIM_400000_NS6detail17trampoline_kernelINS0_14default_configENS1_38merge_sort_block_merge_config_selectorIllEEZZNS1_27merge_sort_block_merge_implIS3_PlN6thrust23THRUST_200600_302600_NS10device_ptrIlEEjNS1_19radix_merge_compareILb0ELb0ElNS0_19identity_decomposerEEEEE10hipError_tT0_T1_T2_jT3_P12ihipStream_tbPNSt15iterator_traitsISG_E10value_typeEPNSM_ISH_E10value_typeEPSI_NS1_7vsmem_tEENKUlT_SG_SH_SI_E_clIS7_S7_SB_S7_EESF_SV_SG_SH_SI_EUlSV_E_NS1_11comp_targetILNS1_3genE5ELNS1_11target_archE942ELNS1_3gpuE9ELNS1_3repE0EEENS1_48merge_mergepath_partition_config_static_selectorELNS0_4arch9wavefront6targetE1EEEvSH_
                                        ; -- End function
	.set _ZN7rocprim17ROCPRIM_400000_NS6detail17trampoline_kernelINS0_14default_configENS1_38merge_sort_block_merge_config_selectorIllEEZZNS1_27merge_sort_block_merge_implIS3_PlN6thrust23THRUST_200600_302600_NS10device_ptrIlEEjNS1_19radix_merge_compareILb0ELb0ElNS0_19identity_decomposerEEEEE10hipError_tT0_T1_T2_jT3_P12ihipStream_tbPNSt15iterator_traitsISG_E10value_typeEPNSM_ISH_E10value_typeEPSI_NS1_7vsmem_tEENKUlT_SG_SH_SI_E_clIS7_S7_SB_S7_EESF_SV_SG_SH_SI_EUlSV_E_NS1_11comp_targetILNS1_3genE5ELNS1_11target_archE942ELNS1_3gpuE9ELNS1_3repE0EEENS1_48merge_mergepath_partition_config_static_selectorELNS0_4arch9wavefront6targetE1EEEvSH_.num_vgpr, 0
	.set _ZN7rocprim17ROCPRIM_400000_NS6detail17trampoline_kernelINS0_14default_configENS1_38merge_sort_block_merge_config_selectorIllEEZZNS1_27merge_sort_block_merge_implIS3_PlN6thrust23THRUST_200600_302600_NS10device_ptrIlEEjNS1_19radix_merge_compareILb0ELb0ElNS0_19identity_decomposerEEEEE10hipError_tT0_T1_T2_jT3_P12ihipStream_tbPNSt15iterator_traitsISG_E10value_typeEPNSM_ISH_E10value_typeEPSI_NS1_7vsmem_tEENKUlT_SG_SH_SI_E_clIS7_S7_SB_S7_EESF_SV_SG_SH_SI_EUlSV_E_NS1_11comp_targetILNS1_3genE5ELNS1_11target_archE942ELNS1_3gpuE9ELNS1_3repE0EEENS1_48merge_mergepath_partition_config_static_selectorELNS0_4arch9wavefront6targetE1EEEvSH_.num_agpr, 0
	.set _ZN7rocprim17ROCPRIM_400000_NS6detail17trampoline_kernelINS0_14default_configENS1_38merge_sort_block_merge_config_selectorIllEEZZNS1_27merge_sort_block_merge_implIS3_PlN6thrust23THRUST_200600_302600_NS10device_ptrIlEEjNS1_19radix_merge_compareILb0ELb0ElNS0_19identity_decomposerEEEEE10hipError_tT0_T1_T2_jT3_P12ihipStream_tbPNSt15iterator_traitsISG_E10value_typeEPNSM_ISH_E10value_typeEPSI_NS1_7vsmem_tEENKUlT_SG_SH_SI_E_clIS7_S7_SB_S7_EESF_SV_SG_SH_SI_EUlSV_E_NS1_11comp_targetILNS1_3genE5ELNS1_11target_archE942ELNS1_3gpuE9ELNS1_3repE0EEENS1_48merge_mergepath_partition_config_static_selectorELNS0_4arch9wavefront6targetE1EEEvSH_.numbered_sgpr, 0
	.set _ZN7rocprim17ROCPRIM_400000_NS6detail17trampoline_kernelINS0_14default_configENS1_38merge_sort_block_merge_config_selectorIllEEZZNS1_27merge_sort_block_merge_implIS3_PlN6thrust23THRUST_200600_302600_NS10device_ptrIlEEjNS1_19radix_merge_compareILb0ELb0ElNS0_19identity_decomposerEEEEE10hipError_tT0_T1_T2_jT3_P12ihipStream_tbPNSt15iterator_traitsISG_E10value_typeEPNSM_ISH_E10value_typeEPSI_NS1_7vsmem_tEENKUlT_SG_SH_SI_E_clIS7_S7_SB_S7_EESF_SV_SG_SH_SI_EUlSV_E_NS1_11comp_targetILNS1_3genE5ELNS1_11target_archE942ELNS1_3gpuE9ELNS1_3repE0EEENS1_48merge_mergepath_partition_config_static_selectorELNS0_4arch9wavefront6targetE1EEEvSH_.num_named_barrier, 0
	.set _ZN7rocprim17ROCPRIM_400000_NS6detail17trampoline_kernelINS0_14default_configENS1_38merge_sort_block_merge_config_selectorIllEEZZNS1_27merge_sort_block_merge_implIS3_PlN6thrust23THRUST_200600_302600_NS10device_ptrIlEEjNS1_19radix_merge_compareILb0ELb0ElNS0_19identity_decomposerEEEEE10hipError_tT0_T1_T2_jT3_P12ihipStream_tbPNSt15iterator_traitsISG_E10value_typeEPNSM_ISH_E10value_typeEPSI_NS1_7vsmem_tEENKUlT_SG_SH_SI_E_clIS7_S7_SB_S7_EESF_SV_SG_SH_SI_EUlSV_E_NS1_11comp_targetILNS1_3genE5ELNS1_11target_archE942ELNS1_3gpuE9ELNS1_3repE0EEENS1_48merge_mergepath_partition_config_static_selectorELNS0_4arch9wavefront6targetE1EEEvSH_.private_seg_size, 0
	.set _ZN7rocprim17ROCPRIM_400000_NS6detail17trampoline_kernelINS0_14default_configENS1_38merge_sort_block_merge_config_selectorIllEEZZNS1_27merge_sort_block_merge_implIS3_PlN6thrust23THRUST_200600_302600_NS10device_ptrIlEEjNS1_19radix_merge_compareILb0ELb0ElNS0_19identity_decomposerEEEEE10hipError_tT0_T1_T2_jT3_P12ihipStream_tbPNSt15iterator_traitsISG_E10value_typeEPNSM_ISH_E10value_typeEPSI_NS1_7vsmem_tEENKUlT_SG_SH_SI_E_clIS7_S7_SB_S7_EESF_SV_SG_SH_SI_EUlSV_E_NS1_11comp_targetILNS1_3genE5ELNS1_11target_archE942ELNS1_3gpuE9ELNS1_3repE0EEENS1_48merge_mergepath_partition_config_static_selectorELNS0_4arch9wavefront6targetE1EEEvSH_.uses_vcc, 0
	.set _ZN7rocprim17ROCPRIM_400000_NS6detail17trampoline_kernelINS0_14default_configENS1_38merge_sort_block_merge_config_selectorIllEEZZNS1_27merge_sort_block_merge_implIS3_PlN6thrust23THRUST_200600_302600_NS10device_ptrIlEEjNS1_19radix_merge_compareILb0ELb0ElNS0_19identity_decomposerEEEEE10hipError_tT0_T1_T2_jT3_P12ihipStream_tbPNSt15iterator_traitsISG_E10value_typeEPNSM_ISH_E10value_typeEPSI_NS1_7vsmem_tEENKUlT_SG_SH_SI_E_clIS7_S7_SB_S7_EESF_SV_SG_SH_SI_EUlSV_E_NS1_11comp_targetILNS1_3genE5ELNS1_11target_archE942ELNS1_3gpuE9ELNS1_3repE0EEENS1_48merge_mergepath_partition_config_static_selectorELNS0_4arch9wavefront6targetE1EEEvSH_.uses_flat_scratch, 0
	.set _ZN7rocprim17ROCPRIM_400000_NS6detail17trampoline_kernelINS0_14default_configENS1_38merge_sort_block_merge_config_selectorIllEEZZNS1_27merge_sort_block_merge_implIS3_PlN6thrust23THRUST_200600_302600_NS10device_ptrIlEEjNS1_19radix_merge_compareILb0ELb0ElNS0_19identity_decomposerEEEEE10hipError_tT0_T1_T2_jT3_P12ihipStream_tbPNSt15iterator_traitsISG_E10value_typeEPNSM_ISH_E10value_typeEPSI_NS1_7vsmem_tEENKUlT_SG_SH_SI_E_clIS7_S7_SB_S7_EESF_SV_SG_SH_SI_EUlSV_E_NS1_11comp_targetILNS1_3genE5ELNS1_11target_archE942ELNS1_3gpuE9ELNS1_3repE0EEENS1_48merge_mergepath_partition_config_static_selectorELNS0_4arch9wavefront6targetE1EEEvSH_.has_dyn_sized_stack, 0
	.set _ZN7rocprim17ROCPRIM_400000_NS6detail17trampoline_kernelINS0_14default_configENS1_38merge_sort_block_merge_config_selectorIllEEZZNS1_27merge_sort_block_merge_implIS3_PlN6thrust23THRUST_200600_302600_NS10device_ptrIlEEjNS1_19radix_merge_compareILb0ELb0ElNS0_19identity_decomposerEEEEE10hipError_tT0_T1_T2_jT3_P12ihipStream_tbPNSt15iterator_traitsISG_E10value_typeEPNSM_ISH_E10value_typeEPSI_NS1_7vsmem_tEENKUlT_SG_SH_SI_E_clIS7_S7_SB_S7_EESF_SV_SG_SH_SI_EUlSV_E_NS1_11comp_targetILNS1_3genE5ELNS1_11target_archE942ELNS1_3gpuE9ELNS1_3repE0EEENS1_48merge_mergepath_partition_config_static_selectorELNS0_4arch9wavefront6targetE1EEEvSH_.has_recursion, 0
	.set _ZN7rocprim17ROCPRIM_400000_NS6detail17trampoline_kernelINS0_14default_configENS1_38merge_sort_block_merge_config_selectorIllEEZZNS1_27merge_sort_block_merge_implIS3_PlN6thrust23THRUST_200600_302600_NS10device_ptrIlEEjNS1_19radix_merge_compareILb0ELb0ElNS0_19identity_decomposerEEEEE10hipError_tT0_T1_T2_jT3_P12ihipStream_tbPNSt15iterator_traitsISG_E10value_typeEPNSM_ISH_E10value_typeEPSI_NS1_7vsmem_tEENKUlT_SG_SH_SI_E_clIS7_S7_SB_S7_EESF_SV_SG_SH_SI_EUlSV_E_NS1_11comp_targetILNS1_3genE5ELNS1_11target_archE942ELNS1_3gpuE9ELNS1_3repE0EEENS1_48merge_mergepath_partition_config_static_selectorELNS0_4arch9wavefront6targetE1EEEvSH_.has_indirect_call, 0
	.section	.AMDGPU.csdata,"",@progbits
; Kernel info:
; codeLenInByte = 0
; TotalNumSgprs: 4
; NumVgprs: 0
; ScratchSize: 0
; MemoryBound: 0
; FloatMode: 240
; IeeeMode: 1
; LDSByteSize: 0 bytes/workgroup (compile time only)
; SGPRBlocks: 0
; VGPRBlocks: 0
; NumSGPRsForWavesPerEU: 4
; NumVGPRsForWavesPerEU: 1
; Occupancy: 10
; WaveLimiterHint : 0
; COMPUTE_PGM_RSRC2:SCRATCH_EN: 0
; COMPUTE_PGM_RSRC2:USER_SGPR: 6
; COMPUTE_PGM_RSRC2:TRAP_HANDLER: 0
; COMPUTE_PGM_RSRC2:TGID_X_EN: 1
; COMPUTE_PGM_RSRC2:TGID_Y_EN: 0
; COMPUTE_PGM_RSRC2:TGID_Z_EN: 0
; COMPUTE_PGM_RSRC2:TIDIG_COMP_CNT: 0
	.section	.text._ZN7rocprim17ROCPRIM_400000_NS6detail17trampoline_kernelINS0_14default_configENS1_38merge_sort_block_merge_config_selectorIllEEZZNS1_27merge_sort_block_merge_implIS3_PlN6thrust23THRUST_200600_302600_NS10device_ptrIlEEjNS1_19radix_merge_compareILb0ELb0ElNS0_19identity_decomposerEEEEE10hipError_tT0_T1_T2_jT3_P12ihipStream_tbPNSt15iterator_traitsISG_E10value_typeEPNSM_ISH_E10value_typeEPSI_NS1_7vsmem_tEENKUlT_SG_SH_SI_E_clIS7_S7_SB_S7_EESF_SV_SG_SH_SI_EUlSV_E_NS1_11comp_targetILNS1_3genE4ELNS1_11target_archE910ELNS1_3gpuE8ELNS1_3repE0EEENS1_48merge_mergepath_partition_config_static_selectorELNS0_4arch9wavefront6targetE1EEEvSH_,"axG",@progbits,_ZN7rocprim17ROCPRIM_400000_NS6detail17trampoline_kernelINS0_14default_configENS1_38merge_sort_block_merge_config_selectorIllEEZZNS1_27merge_sort_block_merge_implIS3_PlN6thrust23THRUST_200600_302600_NS10device_ptrIlEEjNS1_19radix_merge_compareILb0ELb0ElNS0_19identity_decomposerEEEEE10hipError_tT0_T1_T2_jT3_P12ihipStream_tbPNSt15iterator_traitsISG_E10value_typeEPNSM_ISH_E10value_typeEPSI_NS1_7vsmem_tEENKUlT_SG_SH_SI_E_clIS7_S7_SB_S7_EESF_SV_SG_SH_SI_EUlSV_E_NS1_11comp_targetILNS1_3genE4ELNS1_11target_archE910ELNS1_3gpuE8ELNS1_3repE0EEENS1_48merge_mergepath_partition_config_static_selectorELNS0_4arch9wavefront6targetE1EEEvSH_,comdat
	.protected	_ZN7rocprim17ROCPRIM_400000_NS6detail17trampoline_kernelINS0_14default_configENS1_38merge_sort_block_merge_config_selectorIllEEZZNS1_27merge_sort_block_merge_implIS3_PlN6thrust23THRUST_200600_302600_NS10device_ptrIlEEjNS1_19radix_merge_compareILb0ELb0ElNS0_19identity_decomposerEEEEE10hipError_tT0_T1_T2_jT3_P12ihipStream_tbPNSt15iterator_traitsISG_E10value_typeEPNSM_ISH_E10value_typeEPSI_NS1_7vsmem_tEENKUlT_SG_SH_SI_E_clIS7_S7_SB_S7_EESF_SV_SG_SH_SI_EUlSV_E_NS1_11comp_targetILNS1_3genE4ELNS1_11target_archE910ELNS1_3gpuE8ELNS1_3repE0EEENS1_48merge_mergepath_partition_config_static_selectorELNS0_4arch9wavefront6targetE1EEEvSH_ ; -- Begin function _ZN7rocprim17ROCPRIM_400000_NS6detail17trampoline_kernelINS0_14default_configENS1_38merge_sort_block_merge_config_selectorIllEEZZNS1_27merge_sort_block_merge_implIS3_PlN6thrust23THRUST_200600_302600_NS10device_ptrIlEEjNS1_19radix_merge_compareILb0ELb0ElNS0_19identity_decomposerEEEEE10hipError_tT0_T1_T2_jT3_P12ihipStream_tbPNSt15iterator_traitsISG_E10value_typeEPNSM_ISH_E10value_typeEPSI_NS1_7vsmem_tEENKUlT_SG_SH_SI_E_clIS7_S7_SB_S7_EESF_SV_SG_SH_SI_EUlSV_E_NS1_11comp_targetILNS1_3genE4ELNS1_11target_archE910ELNS1_3gpuE8ELNS1_3repE0EEENS1_48merge_mergepath_partition_config_static_selectorELNS0_4arch9wavefront6targetE1EEEvSH_
	.globl	_ZN7rocprim17ROCPRIM_400000_NS6detail17trampoline_kernelINS0_14default_configENS1_38merge_sort_block_merge_config_selectorIllEEZZNS1_27merge_sort_block_merge_implIS3_PlN6thrust23THRUST_200600_302600_NS10device_ptrIlEEjNS1_19radix_merge_compareILb0ELb0ElNS0_19identity_decomposerEEEEE10hipError_tT0_T1_T2_jT3_P12ihipStream_tbPNSt15iterator_traitsISG_E10value_typeEPNSM_ISH_E10value_typeEPSI_NS1_7vsmem_tEENKUlT_SG_SH_SI_E_clIS7_S7_SB_S7_EESF_SV_SG_SH_SI_EUlSV_E_NS1_11comp_targetILNS1_3genE4ELNS1_11target_archE910ELNS1_3gpuE8ELNS1_3repE0EEENS1_48merge_mergepath_partition_config_static_selectorELNS0_4arch9wavefront6targetE1EEEvSH_
	.p2align	8
	.type	_ZN7rocprim17ROCPRIM_400000_NS6detail17trampoline_kernelINS0_14default_configENS1_38merge_sort_block_merge_config_selectorIllEEZZNS1_27merge_sort_block_merge_implIS3_PlN6thrust23THRUST_200600_302600_NS10device_ptrIlEEjNS1_19radix_merge_compareILb0ELb0ElNS0_19identity_decomposerEEEEE10hipError_tT0_T1_T2_jT3_P12ihipStream_tbPNSt15iterator_traitsISG_E10value_typeEPNSM_ISH_E10value_typeEPSI_NS1_7vsmem_tEENKUlT_SG_SH_SI_E_clIS7_S7_SB_S7_EESF_SV_SG_SH_SI_EUlSV_E_NS1_11comp_targetILNS1_3genE4ELNS1_11target_archE910ELNS1_3gpuE8ELNS1_3repE0EEENS1_48merge_mergepath_partition_config_static_selectorELNS0_4arch9wavefront6targetE1EEEvSH_,@function
_ZN7rocprim17ROCPRIM_400000_NS6detail17trampoline_kernelINS0_14default_configENS1_38merge_sort_block_merge_config_selectorIllEEZZNS1_27merge_sort_block_merge_implIS3_PlN6thrust23THRUST_200600_302600_NS10device_ptrIlEEjNS1_19radix_merge_compareILb0ELb0ElNS0_19identity_decomposerEEEEE10hipError_tT0_T1_T2_jT3_P12ihipStream_tbPNSt15iterator_traitsISG_E10value_typeEPNSM_ISH_E10value_typeEPSI_NS1_7vsmem_tEENKUlT_SG_SH_SI_E_clIS7_S7_SB_S7_EESF_SV_SG_SH_SI_EUlSV_E_NS1_11comp_targetILNS1_3genE4ELNS1_11target_archE910ELNS1_3gpuE8ELNS1_3repE0EEENS1_48merge_mergepath_partition_config_static_selectorELNS0_4arch9wavefront6targetE1EEEvSH_: ; @_ZN7rocprim17ROCPRIM_400000_NS6detail17trampoline_kernelINS0_14default_configENS1_38merge_sort_block_merge_config_selectorIllEEZZNS1_27merge_sort_block_merge_implIS3_PlN6thrust23THRUST_200600_302600_NS10device_ptrIlEEjNS1_19radix_merge_compareILb0ELb0ElNS0_19identity_decomposerEEEEE10hipError_tT0_T1_T2_jT3_P12ihipStream_tbPNSt15iterator_traitsISG_E10value_typeEPNSM_ISH_E10value_typeEPSI_NS1_7vsmem_tEENKUlT_SG_SH_SI_E_clIS7_S7_SB_S7_EESF_SV_SG_SH_SI_EUlSV_E_NS1_11comp_targetILNS1_3genE4ELNS1_11target_archE910ELNS1_3gpuE8ELNS1_3repE0EEENS1_48merge_mergepath_partition_config_static_selectorELNS0_4arch9wavefront6targetE1EEEvSH_
; %bb.0:
	.section	.rodata,"a",@progbits
	.p2align	6, 0x0
	.amdhsa_kernel _ZN7rocprim17ROCPRIM_400000_NS6detail17trampoline_kernelINS0_14default_configENS1_38merge_sort_block_merge_config_selectorIllEEZZNS1_27merge_sort_block_merge_implIS3_PlN6thrust23THRUST_200600_302600_NS10device_ptrIlEEjNS1_19radix_merge_compareILb0ELb0ElNS0_19identity_decomposerEEEEE10hipError_tT0_T1_T2_jT3_P12ihipStream_tbPNSt15iterator_traitsISG_E10value_typeEPNSM_ISH_E10value_typeEPSI_NS1_7vsmem_tEENKUlT_SG_SH_SI_E_clIS7_S7_SB_S7_EESF_SV_SG_SH_SI_EUlSV_E_NS1_11comp_targetILNS1_3genE4ELNS1_11target_archE910ELNS1_3gpuE8ELNS1_3repE0EEENS1_48merge_mergepath_partition_config_static_selectorELNS0_4arch9wavefront6targetE1EEEvSH_
		.amdhsa_group_segment_fixed_size 0
		.amdhsa_private_segment_fixed_size 0
		.amdhsa_kernarg_size 40
		.amdhsa_user_sgpr_count 6
		.amdhsa_user_sgpr_private_segment_buffer 1
		.amdhsa_user_sgpr_dispatch_ptr 0
		.amdhsa_user_sgpr_queue_ptr 0
		.amdhsa_user_sgpr_kernarg_segment_ptr 1
		.amdhsa_user_sgpr_dispatch_id 0
		.amdhsa_user_sgpr_flat_scratch_init 0
		.amdhsa_user_sgpr_private_segment_size 0
		.amdhsa_uses_dynamic_stack 0
		.amdhsa_system_sgpr_private_segment_wavefront_offset 0
		.amdhsa_system_sgpr_workgroup_id_x 1
		.amdhsa_system_sgpr_workgroup_id_y 0
		.amdhsa_system_sgpr_workgroup_id_z 0
		.amdhsa_system_sgpr_workgroup_info 0
		.amdhsa_system_vgpr_workitem_id 0
		.amdhsa_next_free_vgpr 1
		.amdhsa_next_free_sgpr 0
		.amdhsa_reserve_vcc 0
		.amdhsa_reserve_flat_scratch 0
		.amdhsa_float_round_mode_32 0
		.amdhsa_float_round_mode_16_64 0
		.amdhsa_float_denorm_mode_32 3
		.amdhsa_float_denorm_mode_16_64 3
		.amdhsa_dx10_clamp 1
		.amdhsa_ieee_mode 1
		.amdhsa_fp16_overflow 0
		.amdhsa_exception_fp_ieee_invalid_op 0
		.amdhsa_exception_fp_denorm_src 0
		.amdhsa_exception_fp_ieee_div_zero 0
		.amdhsa_exception_fp_ieee_overflow 0
		.amdhsa_exception_fp_ieee_underflow 0
		.amdhsa_exception_fp_ieee_inexact 0
		.amdhsa_exception_int_div_zero 0
	.end_amdhsa_kernel
	.section	.text._ZN7rocprim17ROCPRIM_400000_NS6detail17trampoline_kernelINS0_14default_configENS1_38merge_sort_block_merge_config_selectorIllEEZZNS1_27merge_sort_block_merge_implIS3_PlN6thrust23THRUST_200600_302600_NS10device_ptrIlEEjNS1_19radix_merge_compareILb0ELb0ElNS0_19identity_decomposerEEEEE10hipError_tT0_T1_T2_jT3_P12ihipStream_tbPNSt15iterator_traitsISG_E10value_typeEPNSM_ISH_E10value_typeEPSI_NS1_7vsmem_tEENKUlT_SG_SH_SI_E_clIS7_S7_SB_S7_EESF_SV_SG_SH_SI_EUlSV_E_NS1_11comp_targetILNS1_3genE4ELNS1_11target_archE910ELNS1_3gpuE8ELNS1_3repE0EEENS1_48merge_mergepath_partition_config_static_selectorELNS0_4arch9wavefront6targetE1EEEvSH_,"axG",@progbits,_ZN7rocprim17ROCPRIM_400000_NS6detail17trampoline_kernelINS0_14default_configENS1_38merge_sort_block_merge_config_selectorIllEEZZNS1_27merge_sort_block_merge_implIS3_PlN6thrust23THRUST_200600_302600_NS10device_ptrIlEEjNS1_19radix_merge_compareILb0ELb0ElNS0_19identity_decomposerEEEEE10hipError_tT0_T1_T2_jT3_P12ihipStream_tbPNSt15iterator_traitsISG_E10value_typeEPNSM_ISH_E10value_typeEPSI_NS1_7vsmem_tEENKUlT_SG_SH_SI_E_clIS7_S7_SB_S7_EESF_SV_SG_SH_SI_EUlSV_E_NS1_11comp_targetILNS1_3genE4ELNS1_11target_archE910ELNS1_3gpuE8ELNS1_3repE0EEENS1_48merge_mergepath_partition_config_static_selectorELNS0_4arch9wavefront6targetE1EEEvSH_,comdat
.Lfunc_end1037:
	.size	_ZN7rocprim17ROCPRIM_400000_NS6detail17trampoline_kernelINS0_14default_configENS1_38merge_sort_block_merge_config_selectorIllEEZZNS1_27merge_sort_block_merge_implIS3_PlN6thrust23THRUST_200600_302600_NS10device_ptrIlEEjNS1_19radix_merge_compareILb0ELb0ElNS0_19identity_decomposerEEEEE10hipError_tT0_T1_T2_jT3_P12ihipStream_tbPNSt15iterator_traitsISG_E10value_typeEPNSM_ISH_E10value_typeEPSI_NS1_7vsmem_tEENKUlT_SG_SH_SI_E_clIS7_S7_SB_S7_EESF_SV_SG_SH_SI_EUlSV_E_NS1_11comp_targetILNS1_3genE4ELNS1_11target_archE910ELNS1_3gpuE8ELNS1_3repE0EEENS1_48merge_mergepath_partition_config_static_selectorELNS0_4arch9wavefront6targetE1EEEvSH_, .Lfunc_end1037-_ZN7rocprim17ROCPRIM_400000_NS6detail17trampoline_kernelINS0_14default_configENS1_38merge_sort_block_merge_config_selectorIllEEZZNS1_27merge_sort_block_merge_implIS3_PlN6thrust23THRUST_200600_302600_NS10device_ptrIlEEjNS1_19radix_merge_compareILb0ELb0ElNS0_19identity_decomposerEEEEE10hipError_tT0_T1_T2_jT3_P12ihipStream_tbPNSt15iterator_traitsISG_E10value_typeEPNSM_ISH_E10value_typeEPSI_NS1_7vsmem_tEENKUlT_SG_SH_SI_E_clIS7_S7_SB_S7_EESF_SV_SG_SH_SI_EUlSV_E_NS1_11comp_targetILNS1_3genE4ELNS1_11target_archE910ELNS1_3gpuE8ELNS1_3repE0EEENS1_48merge_mergepath_partition_config_static_selectorELNS0_4arch9wavefront6targetE1EEEvSH_
                                        ; -- End function
	.set _ZN7rocprim17ROCPRIM_400000_NS6detail17trampoline_kernelINS0_14default_configENS1_38merge_sort_block_merge_config_selectorIllEEZZNS1_27merge_sort_block_merge_implIS3_PlN6thrust23THRUST_200600_302600_NS10device_ptrIlEEjNS1_19radix_merge_compareILb0ELb0ElNS0_19identity_decomposerEEEEE10hipError_tT0_T1_T2_jT3_P12ihipStream_tbPNSt15iterator_traitsISG_E10value_typeEPNSM_ISH_E10value_typeEPSI_NS1_7vsmem_tEENKUlT_SG_SH_SI_E_clIS7_S7_SB_S7_EESF_SV_SG_SH_SI_EUlSV_E_NS1_11comp_targetILNS1_3genE4ELNS1_11target_archE910ELNS1_3gpuE8ELNS1_3repE0EEENS1_48merge_mergepath_partition_config_static_selectorELNS0_4arch9wavefront6targetE1EEEvSH_.num_vgpr, 0
	.set _ZN7rocprim17ROCPRIM_400000_NS6detail17trampoline_kernelINS0_14default_configENS1_38merge_sort_block_merge_config_selectorIllEEZZNS1_27merge_sort_block_merge_implIS3_PlN6thrust23THRUST_200600_302600_NS10device_ptrIlEEjNS1_19radix_merge_compareILb0ELb0ElNS0_19identity_decomposerEEEEE10hipError_tT0_T1_T2_jT3_P12ihipStream_tbPNSt15iterator_traitsISG_E10value_typeEPNSM_ISH_E10value_typeEPSI_NS1_7vsmem_tEENKUlT_SG_SH_SI_E_clIS7_S7_SB_S7_EESF_SV_SG_SH_SI_EUlSV_E_NS1_11comp_targetILNS1_3genE4ELNS1_11target_archE910ELNS1_3gpuE8ELNS1_3repE0EEENS1_48merge_mergepath_partition_config_static_selectorELNS0_4arch9wavefront6targetE1EEEvSH_.num_agpr, 0
	.set _ZN7rocprim17ROCPRIM_400000_NS6detail17trampoline_kernelINS0_14default_configENS1_38merge_sort_block_merge_config_selectorIllEEZZNS1_27merge_sort_block_merge_implIS3_PlN6thrust23THRUST_200600_302600_NS10device_ptrIlEEjNS1_19radix_merge_compareILb0ELb0ElNS0_19identity_decomposerEEEEE10hipError_tT0_T1_T2_jT3_P12ihipStream_tbPNSt15iterator_traitsISG_E10value_typeEPNSM_ISH_E10value_typeEPSI_NS1_7vsmem_tEENKUlT_SG_SH_SI_E_clIS7_S7_SB_S7_EESF_SV_SG_SH_SI_EUlSV_E_NS1_11comp_targetILNS1_3genE4ELNS1_11target_archE910ELNS1_3gpuE8ELNS1_3repE0EEENS1_48merge_mergepath_partition_config_static_selectorELNS0_4arch9wavefront6targetE1EEEvSH_.numbered_sgpr, 0
	.set _ZN7rocprim17ROCPRIM_400000_NS6detail17trampoline_kernelINS0_14default_configENS1_38merge_sort_block_merge_config_selectorIllEEZZNS1_27merge_sort_block_merge_implIS3_PlN6thrust23THRUST_200600_302600_NS10device_ptrIlEEjNS1_19radix_merge_compareILb0ELb0ElNS0_19identity_decomposerEEEEE10hipError_tT0_T1_T2_jT3_P12ihipStream_tbPNSt15iterator_traitsISG_E10value_typeEPNSM_ISH_E10value_typeEPSI_NS1_7vsmem_tEENKUlT_SG_SH_SI_E_clIS7_S7_SB_S7_EESF_SV_SG_SH_SI_EUlSV_E_NS1_11comp_targetILNS1_3genE4ELNS1_11target_archE910ELNS1_3gpuE8ELNS1_3repE0EEENS1_48merge_mergepath_partition_config_static_selectorELNS0_4arch9wavefront6targetE1EEEvSH_.num_named_barrier, 0
	.set _ZN7rocprim17ROCPRIM_400000_NS6detail17trampoline_kernelINS0_14default_configENS1_38merge_sort_block_merge_config_selectorIllEEZZNS1_27merge_sort_block_merge_implIS3_PlN6thrust23THRUST_200600_302600_NS10device_ptrIlEEjNS1_19radix_merge_compareILb0ELb0ElNS0_19identity_decomposerEEEEE10hipError_tT0_T1_T2_jT3_P12ihipStream_tbPNSt15iterator_traitsISG_E10value_typeEPNSM_ISH_E10value_typeEPSI_NS1_7vsmem_tEENKUlT_SG_SH_SI_E_clIS7_S7_SB_S7_EESF_SV_SG_SH_SI_EUlSV_E_NS1_11comp_targetILNS1_3genE4ELNS1_11target_archE910ELNS1_3gpuE8ELNS1_3repE0EEENS1_48merge_mergepath_partition_config_static_selectorELNS0_4arch9wavefront6targetE1EEEvSH_.private_seg_size, 0
	.set _ZN7rocprim17ROCPRIM_400000_NS6detail17trampoline_kernelINS0_14default_configENS1_38merge_sort_block_merge_config_selectorIllEEZZNS1_27merge_sort_block_merge_implIS3_PlN6thrust23THRUST_200600_302600_NS10device_ptrIlEEjNS1_19radix_merge_compareILb0ELb0ElNS0_19identity_decomposerEEEEE10hipError_tT0_T1_T2_jT3_P12ihipStream_tbPNSt15iterator_traitsISG_E10value_typeEPNSM_ISH_E10value_typeEPSI_NS1_7vsmem_tEENKUlT_SG_SH_SI_E_clIS7_S7_SB_S7_EESF_SV_SG_SH_SI_EUlSV_E_NS1_11comp_targetILNS1_3genE4ELNS1_11target_archE910ELNS1_3gpuE8ELNS1_3repE0EEENS1_48merge_mergepath_partition_config_static_selectorELNS0_4arch9wavefront6targetE1EEEvSH_.uses_vcc, 0
	.set _ZN7rocprim17ROCPRIM_400000_NS6detail17trampoline_kernelINS0_14default_configENS1_38merge_sort_block_merge_config_selectorIllEEZZNS1_27merge_sort_block_merge_implIS3_PlN6thrust23THRUST_200600_302600_NS10device_ptrIlEEjNS1_19radix_merge_compareILb0ELb0ElNS0_19identity_decomposerEEEEE10hipError_tT0_T1_T2_jT3_P12ihipStream_tbPNSt15iterator_traitsISG_E10value_typeEPNSM_ISH_E10value_typeEPSI_NS1_7vsmem_tEENKUlT_SG_SH_SI_E_clIS7_S7_SB_S7_EESF_SV_SG_SH_SI_EUlSV_E_NS1_11comp_targetILNS1_3genE4ELNS1_11target_archE910ELNS1_3gpuE8ELNS1_3repE0EEENS1_48merge_mergepath_partition_config_static_selectorELNS0_4arch9wavefront6targetE1EEEvSH_.uses_flat_scratch, 0
	.set _ZN7rocprim17ROCPRIM_400000_NS6detail17trampoline_kernelINS0_14default_configENS1_38merge_sort_block_merge_config_selectorIllEEZZNS1_27merge_sort_block_merge_implIS3_PlN6thrust23THRUST_200600_302600_NS10device_ptrIlEEjNS1_19radix_merge_compareILb0ELb0ElNS0_19identity_decomposerEEEEE10hipError_tT0_T1_T2_jT3_P12ihipStream_tbPNSt15iterator_traitsISG_E10value_typeEPNSM_ISH_E10value_typeEPSI_NS1_7vsmem_tEENKUlT_SG_SH_SI_E_clIS7_S7_SB_S7_EESF_SV_SG_SH_SI_EUlSV_E_NS1_11comp_targetILNS1_3genE4ELNS1_11target_archE910ELNS1_3gpuE8ELNS1_3repE0EEENS1_48merge_mergepath_partition_config_static_selectorELNS0_4arch9wavefront6targetE1EEEvSH_.has_dyn_sized_stack, 0
	.set _ZN7rocprim17ROCPRIM_400000_NS6detail17trampoline_kernelINS0_14default_configENS1_38merge_sort_block_merge_config_selectorIllEEZZNS1_27merge_sort_block_merge_implIS3_PlN6thrust23THRUST_200600_302600_NS10device_ptrIlEEjNS1_19radix_merge_compareILb0ELb0ElNS0_19identity_decomposerEEEEE10hipError_tT0_T1_T2_jT3_P12ihipStream_tbPNSt15iterator_traitsISG_E10value_typeEPNSM_ISH_E10value_typeEPSI_NS1_7vsmem_tEENKUlT_SG_SH_SI_E_clIS7_S7_SB_S7_EESF_SV_SG_SH_SI_EUlSV_E_NS1_11comp_targetILNS1_3genE4ELNS1_11target_archE910ELNS1_3gpuE8ELNS1_3repE0EEENS1_48merge_mergepath_partition_config_static_selectorELNS0_4arch9wavefront6targetE1EEEvSH_.has_recursion, 0
	.set _ZN7rocprim17ROCPRIM_400000_NS6detail17trampoline_kernelINS0_14default_configENS1_38merge_sort_block_merge_config_selectorIllEEZZNS1_27merge_sort_block_merge_implIS3_PlN6thrust23THRUST_200600_302600_NS10device_ptrIlEEjNS1_19radix_merge_compareILb0ELb0ElNS0_19identity_decomposerEEEEE10hipError_tT0_T1_T2_jT3_P12ihipStream_tbPNSt15iterator_traitsISG_E10value_typeEPNSM_ISH_E10value_typeEPSI_NS1_7vsmem_tEENKUlT_SG_SH_SI_E_clIS7_S7_SB_S7_EESF_SV_SG_SH_SI_EUlSV_E_NS1_11comp_targetILNS1_3genE4ELNS1_11target_archE910ELNS1_3gpuE8ELNS1_3repE0EEENS1_48merge_mergepath_partition_config_static_selectorELNS0_4arch9wavefront6targetE1EEEvSH_.has_indirect_call, 0
	.section	.AMDGPU.csdata,"",@progbits
; Kernel info:
; codeLenInByte = 0
; TotalNumSgprs: 4
; NumVgprs: 0
; ScratchSize: 0
; MemoryBound: 0
; FloatMode: 240
; IeeeMode: 1
; LDSByteSize: 0 bytes/workgroup (compile time only)
; SGPRBlocks: 0
; VGPRBlocks: 0
; NumSGPRsForWavesPerEU: 4
; NumVGPRsForWavesPerEU: 1
; Occupancy: 10
; WaveLimiterHint : 0
; COMPUTE_PGM_RSRC2:SCRATCH_EN: 0
; COMPUTE_PGM_RSRC2:USER_SGPR: 6
; COMPUTE_PGM_RSRC2:TRAP_HANDLER: 0
; COMPUTE_PGM_RSRC2:TGID_X_EN: 1
; COMPUTE_PGM_RSRC2:TGID_Y_EN: 0
; COMPUTE_PGM_RSRC2:TGID_Z_EN: 0
; COMPUTE_PGM_RSRC2:TIDIG_COMP_CNT: 0
	.section	.text._ZN7rocprim17ROCPRIM_400000_NS6detail17trampoline_kernelINS0_14default_configENS1_38merge_sort_block_merge_config_selectorIllEEZZNS1_27merge_sort_block_merge_implIS3_PlN6thrust23THRUST_200600_302600_NS10device_ptrIlEEjNS1_19radix_merge_compareILb0ELb0ElNS0_19identity_decomposerEEEEE10hipError_tT0_T1_T2_jT3_P12ihipStream_tbPNSt15iterator_traitsISG_E10value_typeEPNSM_ISH_E10value_typeEPSI_NS1_7vsmem_tEENKUlT_SG_SH_SI_E_clIS7_S7_SB_S7_EESF_SV_SG_SH_SI_EUlSV_E_NS1_11comp_targetILNS1_3genE3ELNS1_11target_archE908ELNS1_3gpuE7ELNS1_3repE0EEENS1_48merge_mergepath_partition_config_static_selectorELNS0_4arch9wavefront6targetE1EEEvSH_,"axG",@progbits,_ZN7rocprim17ROCPRIM_400000_NS6detail17trampoline_kernelINS0_14default_configENS1_38merge_sort_block_merge_config_selectorIllEEZZNS1_27merge_sort_block_merge_implIS3_PlN6thrust23THRUST_200600_302600_NS10device_ptrIlEEjNS1_19radix_merge_compareILb0ELb0ElNS0_19identity_decomposerEEEEE10hipError_tT0_T1_T2_jT3_P12ihipStream_tbPNSt15iterator_traitsISG_E10value_typeEPNSM_ISH_E10value_typeEPSI_NS1_7vsmem_tEENKUlT_SG_SH_SI_E_clIS7_S7_SB_S7_EESF_SV_SG_SH_SI_EUlSV_E_NS1_11comp_targetILNS1_3genE3ELNS1_11target_archE908ELNS1_3gpuE7ELNS1_3repE0EEENS1_48merge_mergepath_partition_config_static_selectorELNS0_4arch9wavefront6targetE1EEEvSH_,comdat
	.protected	_ZN7rocprim17ROCPRIM_400000_NS6detail17trampoline_kernelINS0_14default_configENS1_38merge_sort_block_merge_config_selectorIllEEZZNS1_27merge_sort_block_merge_implIS3_PlN6thrust23THRUST_200600_302600_NS10device_ptrIlEEjNS1_19radix_merge_compareILb0ELb0ElNS0_19identity_decomposerEEEEE10hipError_tT0_T1_T2_jT3_P12ihipStream_tbPNSt15iterator_traitsISG_E10value_typeEPNSM_ISH_E10value_typeEPSI_NS1_7vsmem_tEENKUlT_SG_SH_SI_E_clIS7_S7_SB_S7_EESF_SV_SG_SH_SI_EUlSV_E_NS1_11comp_targetILNS1_3genE3ELNS1_11target_archE908ELNS1_3gpuE7ELNS1_3repE0EEENS1_48merge_mergepath_partition_config_static_selectorELNS0_4arch9wavefront6targetE1EEEvSH_ ; -- Begin function _ZN7rocprim17ROCPRIM_400000_NS6detail17trampoline_kernelINS0_14default_configENS1_38merge_sort_block_merge_config_selectorIllEEZZNS1_27merge_sort_block_merge_implIS3_PlN6thrust23THRUST_200600_302600_NS10device_ptrIlEEjNS1_19radix_merge_compareILb0ELb0ElNS0_19identity_decomposerEEEEE10hipError_tT0_T1_T2_jT3_P12ihipStream_tbPNSt15iterator_traitsISG_E10value_typeEPNSM_ISH_E10value_typeEPSI_NS1_7vsmem_tEENKUlT_SG_SH_SI_E_clIS7_S7_SB_S7_EESF_SV_SG_SH_SI_EUlSV_E_NS1_11comp_targetILNS1_3genE3ELNS1_11target_archE908ELNS1_3gpuE7ELNS1_3repE0EEENS1_48merge_mergepath_partition_config_static_selectorELNS0_4arch9wavefront6targetE1EEEvSH_
	.globl	_ZN7rocprim17ROCPRIM_400000_NS6detail17trampoline_kernelINS0_14default_configENS1_38merge_sort_block_merge_config_selectorIllEEZZNS1_27merge_sort_block_merge_implIS3_PlN6thrust23THRUST_200600_302600_NS10device_ptrIlEEjNS1_19radix_merge_compareILb0ELb0ElNS0_19identity_decomposerEEEEE10hipError_tT0_T1_T2_jT3_P12ihipStream_tbPNSt15iterator_traitsISG_E10value_typeEPNSM_ISH_E10value_typeEPSI_NS1_7vsmem_tEENKUlT_SG_SH_SI_E_clIS7_S7_SB_S7_EESF_SV_SG_SH_SI_EUlSV_E_NS1_11comp_targetILNS1_3genE3ELNS1_11target_archE908ELNS1_3gpuE7ELNS1_3repE0EEENS1_48merge_mergepath_partition_config_static_selectorELNS0_4arch9wavefront6targetE1EEEvSH_
	.p2align	8
	.type	_ZN7rocprim17ROCPRIM_400000_NS6detail17trampoline_kernelINS0_14default_configENS1_38merge_sort_block_merge_config_selectorIllEEZZNS1_27merge_sort_block_merge_implIS3_PlN6thrust23THRUST_200600_302600_NS10device_ptrIlEEjNS1_19radix_merge_compareILb0ELb0ElNS0_19identity_decomposerEEEEE10hipError_tT0_T1_T2_jT3_P12ihipStream_tbPNSt15iterator_traitsISG_E10value_typeEPNSM_ISH_E10value_typeEPSI_NS1_7vsmem_tEENKUlT_SG_SH_SI_E_clIS7_S7_SB_S7_EESF_SV_SG_SH_SI_EUlSV_E_NS1_11comp_targetILNS1_3genE3ELNS1_11target_archE908ELNS1_3gpuE7ELNS1_3repE0EEENS1_48merge_mergepath_partition_config_static_selectorELNS0_4arch9wavefront6targetE1EEEvSH_,@function
_ZN7rocprim17ROCPRIM_400000_NS6detail17trampoline_kernelINS0_14default_configENS1_38merge_sort_block_merge_config_selectorIllEEZZNS1_27merge_sort_block_merge_implIS3_PlN6thrust23THRUST_200600_302600_NS10device_ptrIlEEjNS1_19radix_merge_compareILb0ELb0ElNS0_19identity_decomposerEEEEE10hipError_tT0_T1_T2_jT3_P12ihipStream_tbPNSt15iterator_traitsISG_E10value_typeEPNSM_ISH_E10value_typeEPSI_NS1_7vsmem_tEENKUlT_SG_SH_SI_E_clIS7_S7_SB_S7_EESF_SV_SG_SH_SI_EUlSV_E_NS1_11comp_targetILNS1_3genE3ELNS1_11target_archE908ELNS1_3gpuE7ELNS1_3repE0EEENS1_48merge_mergepath_partition_config_static_selectorELNS0_4arch9wavefront6targetE1EEEvSH_: ; @_ZN7rocprim17ROCPRIM_400000_NS6detail17trampoline_kernelINS0_14default_configENS1_38merge_sort_block_merge_config_selectorIllEEZZNS1_27merge_sort_block_merge_implIS3_PlN6thrust23THRUST_200600_302600_NS10device_ptrIlEEjNS1_19radix_merge_compareILb0ELb0ElNS0_19identity_decomposerEEEEE10hipError_tT0_T1_T2_jT3_P12ihipStream_tbPNSt15iterator_traitsISG_E10value_typeEPNSM_ISH_E10value_typeEPSI_NS1_7vsmem_tEENKUlT_SG_SH_SI_E_clIS7_S7_SB_S7_EESF_SV_SG_SH_SI_EUlSV_E_NS1_11comp_targetILNS1_3genE3ELNS1_11target_archE908ELNS1_3gpuE7ELNS1_3repE0EEENS1_48merge_mergepath_partition_config_static_selectorELNS0_4arch9wavefront6targetE1EEEvSH_
; %bb.0:
	.section	.rodata,"a",@progbits
	.p2align	6, 0x0
	.amdhsa_kernel _ZN7rocprim17ROCPRIM_400000_NS6detail17trampoline_kernelINS0_14default_configENS1_38merge_sort_block_merge_config_selectorIllEEZZNS1_27merge_sort_block_merge_implIS3_PlN6thrust23THRUST_200600_302600_NS10device_ptrIlEEjNS1_19radix_merge_compareILb0ELb0ElNS0_19identity_decomposerEEEEE10hipError_tT0_T1_T2_jT3_P12ihipStream_tbPNSt15iterator_traitsISG_E10value_typeEPNSM_ISH_E10value_typeEPSI_NS1_7vsmem_tEENKUlT_SG_SH_SI_E_clIS7_S7_SB_S7_EESF_SV_SG_SH_SI_EUlSV_E_NS1_11comp_targetILNS1_3genE3ELNS1_11target_archE908ELNS1_3gpuE7ELNS1_3repE0EEENS1_48merge_mergepath_partition_config_static_selectorELNS0_4arch9wavefront6targetE1EEEvSH_
		.amdhsa_group_segment_fixed_size 0
		.amdhsa_private_segment_fixed_size 0
		.amdhsa_kernarg_size 40
		.amdhsa_user_sgpr_count 6
		.amdhsa_user_sgpr_private_segment_buffer 1
		.amdhsa_user_sgpr_dispatch_ptr 0
		.amdhsa_user_sgpr_queue_ptr 0
		.amdhsa_user_sgpr_kernarg_segment_ptr 1
		.amdhsa_user_sgpr_dispatch_id 0
		.amdhsa_user_sgpr_flat_scratch_init 0
		.amdhsa_user_sgpr_private_segment_size 0
		.amdhsa_uses_dynamic_stack 0
		.amdhsa_system_sgpr_private_segment_wavefront_offset 0
		.amdhsa_system_sgpr_workgroup_id_x 1
		.amdhsa_system_sgpr_workgroup_id_y 0
		.amdhsa_system_sgpr_workgroup_id_z 0
		.amdhsa_system_sgpr_workgroup_info 0
		.amdhsa_system_vgpr_workitem_id 0
		.amdhsa_next_free_vgpr 1
		.amdhsa_next_free_sgpr 0
		.amdhsa_reserve_vcc 0
		.amdhsa_reserve_flat_scratch 0
		.amdhsa_float_round_mode_32 0
		.amdhsa_float_round_mode_16_64 0
		.amdhsa_float_denorm_mode_32 3
		.amdhsa_float_denorm_mode_16_64 3
		.amdhsa_dx10_clamp 1
		.amdhsa_ieee_mode 1
		.amdhsa_fp16_overflow 0
		.amdhsa_exception_fp_ieee_invalid_op 0
		.amdhsa_exception_fp_denorm_src 0
		.amdhsa_exception_fp_ieee_div_zero 0
		.amdhsa_exception_fp_ieee_overflow 0
		.amdhsa_exception_fp_ieee_underflow 0
		.amdhsa_exception_fp_ieee_inexact 0
		.amdhsa_exception_int_div_zero 0
	.end_amdhsa_kernel
	.section	.text._ZN7rocprim17ROCPRIM_400000_NS6detail17trampoline_kernelINS0_14default_configENS1_38merge_sort_block_merge_config_selectorIllEEZZNS1_27merge_sort_block_merge_implIS3_PlN6thrust23THRUST_200600_302600_NS10device_ptrIlEEjNS1_19radix_merge_compareILb0ELb0ElNS0_19identity_decomposerEEEEE10hipError_tT0_T1_T2_jT3_P12ihipStream_tbPNSt15iterator_traitsISG_E10value_typeEPNSM_ISH_E10value_typeEPSI_NS1_7vsmem_tEENKUlT_SG_SH_SI_E_clIS7_S7_SB_S7_EESF_SV_SG_SH_SI_EUlSV_E_NS1_11comp_targetILNS1_3genE3ELNS1_11target_archE908ELNS1_3gpuE7ELNS1_3repE0EEENS1_48merge_mergepath_partition_config_static_selectorELNS0_4arch9wavefront6targetE1EEEvSH_,"axG",@progbits,_ZN7rocprim17ROCPRIM_400000_NS6detail17trampoline_kernelINS0_14default_configENS1_38merge_sort_block_merge_config_selectorIllEEZZNS1_27merge_sort_block_merge_implIS3_PlN6thrust23THRUST_200600_302600_NS10device_ptrIlEEjNS1_19radix_merge_compareILb0ELb0ElNS0_19identity_decomposerEEEEE10hipError_tT0_T1_T2_jT3_P12ihipStream_tbPNSt15iterator_traitsISG_E10value_typeEPNSM_ISH_E10value_typeEPSI_NS1_7vsmem_tEENKUlT_SG_SH_SI_E_clIS7_S7_SB_S7_EESF_SV_SG_SH_SI_EUlSV_E_NS1_11comp_targetILNS1_3genE3ELNS1_11target_archE908ELNS1_3gpuE7ELNS1_3repE0EEENS1_48merge_mergepath_partition_config_static_selectorELNS0_4arch9wavefront6targetE1EEEvSH_,comdat
.Lfunc_end1038:
	.size	_ZN7rocprim17ROCPRIM_400000_NS6detail17trampoline_kernelINS0_14default_configENS1_38merge_sort_block_merge_config_selectorIllEEZZNS1_27merge_sort_block_merge_implIS3_PlN6thrust23THRUST_200600_302600_NS10device_ptrIlEEjNS1_19radix_merge_compareILb0ELb0ElNS0_19identity_decomposerEEEEE10hipError_tT0_T1_T2_jT3_P12ihipStream_tbPNSt15iterator_traitsISG_E10value_typeEPNSM_ISH_E10value_typeEPSI_NS1_7vsmem_tEENKUlT_SG_SH_SI_E_clIS7_S7_SB_S7_EESF_SV_SG_SH_SI_EUlSV_E_NS1_11comp_targetILNS1_3genE3ELNS1_11target_archE908ELNS1_3gpuE7ELNS1_3repE0EEENS1_48merge_mergepath_partition_config_static_selectorELNS0_4arch9wavefront6targetE1EEEvSH_, .Lfunc_end1038-_ZN7rocprim17ROCPRIM_400000_NS6detail17trampoline_kernelINS0_14default_configENS1_38merge_sort_block_merge_config_selectorIllEEZZNS1_27merge_sort_block_merge_implIS3_PlN6thrust23THRUST_200600_302600_NS10device_ptrIlEEjNS1_19radix_merge_compareILb0ELb0ElNS0_19identity_decomposerEEEEE10hipError_tT0_T1_T2_jT3_P12ihipStream_tbPNSt15iterator_traitsISG_E10value_typeEPNSM_ISH_E10value_typeEPSI_NS1_7vsmem_tEENKUlT_SG_SH_SI_E_clIS7_S7_SB_S7_EESF_SV_SG_SH_SI_EUlSV_E_NS1_11comp_targetILNS1_3genE3ELNS1_11target_archE908ELNS1_3gpuE7ELNS1_3repE0EEENS1_48merge_mergepath_partition_config_static_selectorELNS0_4arch9wavefront6targetE1EEEvSH_
                                        ; -- End function
	.set _ZN7rocprim17ROCPRIM_400000_NS6detail17trampoline_kernelINS0_14default_configENS1_38merge_sort_block_merge_config_selectorIllEEZZNS1_27merge_sort_block_merge_implIS3_PlN6thrust23THRUST_200600_302600_NS10device_ptrIlEEjNS1_19radix_merge_compareILb0ELb0ElNS0_19identity_decomposerEEEEE10hipError_tT0_T1_T2_jT3_P12ihipStream_tbPNSt15iterator_traitsISG_E10value_typeEPNSM_ISH_E10value_typeEPSI_NS1_7vsmem_tEENKUlT_SG_SH_SI_E_clIS7_S7_SB_S7_EESF_SV_SG_SH_SI_EUlSV_E_NS1_11comp_targetILNS1_3genE3ELNS1_11target_archE908ELNS1_3gpuE7ELNS1_3repE0EEENS1_48merge_mergepath_partition_config_static_selectorELNS0_4arch9wavefront6targetE1EEEvSH_.num_vgpr, 0
	.set _ZN7rocprim17ROCPRIM_400000_NS6detail17trampoline_kernelINS0_14default_configENS1_38merge_sort_block_merge_config_selectorIllEEZZNS1_27merge_sort_block_merge_implIS3_PlN6thrust23THRUST_200600_302600_NS10device_ptrIlEEjNS1_19radix_merge_compareILb0ELb0ElNS0_19identity_decomposerEEEEE10hipError_tT0_T1_T2_jT3_P12ihipStream_tbPNSt15iterator_traitsISG_E10value_typeEPNSM_ISH_E10value_typeEPSI_NS1_7vsmem_tEENKUlT_SG_SH_SI_E_clIS7_S7_SB_S7_EESF_SV_SG_SH_SI_EUlSV_E_NS1_11comp_targetILNS1_3genE3ELNS1_11target_archE908ELNS1_3gpuE7ELNS1_3repE0EEENS1_48merge_mergepath_partition_config_static_selectorELNS0_4arch9wavefront6targetE1EEEvSH_.num_agpr, 0
	.set _ZN7rocprim17ROCPRIM_400000_NS6detail17trampoline_kernelINS0_14default_configENS1_38merge_sort_block_merge_config_selectorIllEEZZNS1_27merge_sort_block_merge_implIS3_PlN6thrust23THRUST_200600_302600_NS10device_ptrIlEEjNS1_19radix_merge_compareILb0ELb0ElNS0_19identity_decomposerEEEEE10hipError_tT0_T1_T2_jT3_P12ihipStream_tbPNSt15iterator_traitsISG_E10value_typeEPNSM_ISH_E10value_typeEPSI_NS1_7vsmem_tEENKUlT_SG_SH_SI_E_clIS7_S7_SB_S7_EESF_SV_SG_SH_SI_EUlSV_E_NS1_11comp_targetILNS1_3genE3ELNS1_11target_archE908ELNS1_3gpuE7ELNS1_3repE0EEENS1_48merge_mergepath_partition_config_static_selectorELNS0_4arch9wavefront6targetE1EEEvSH_.numbered_sgpr, 0
	.set _ZN7rocprim17ROCPRIM_400000_NS6detail17trampoline_kernelINS0_14default_configENS1_38merge_sort_block_merge_config_selectorIllEEZZNS1_27merge_sort_block_merge_implIS3_PlN6thrust23THRUST_200600_302600_NS10device_ptrIlEEjNS1_19radix_merge_compareILb0ELb0ElNS0_19identity_decomposerEEEEE10hipError_tT0_T1_T2_jT3_P12ihipStream_tbPNSt15iterator_traitsISG_E10value_typeEPNSM_ISH_E10value_typeEPSI_NS1_7vsmem_tEENKUlT_SG_SH_SI_E_clIS7_S7_SB_S7_EESF_SV_SG_SH_SI_EUlSV_E_NS1_11comp_targetILNS1_3genE3ELNS1_11target_archE908ELNS1_3gpuE7ELNS1_3repE0EEENS1_48merge_mergepath_partition_config_static_selectorELNS0_4arch9wavefront6targetE1EEEvSH_.num_named_barrier, 0
	.set _ZN7rocprim17ROCPRIM_400000_NS6detail17trampoline_kernelINS0_14default_configENS1_38merge_sort_block_merge_config_selectorIllEEZZNS1_27merge_sort_block_merge_implIS3_PlN6thrust23THRUST_200600_302600_NS10device_ptrIlEEjNS1_19radix_merge_compareILb0ELb0ElNS0_19identity_decomposerEEEEE10hipError_tT0_T1_T2_jT3_P12ihipStream_tbPNSt15iterator_traitsISG_E10value_typeEPNSM_ISH_E10value_typeEPSI_NS1_7vsmem_tEENKUlT_SG_SH_SI_E_clIS7_S7_SB_S7_EESF_SV_SG_SH_SI_EUlSV_E_NS1_11comp_targetILNS1_3genE3ELNS1_11target_archE908ELNS1_3gpuE7ELNS1_3repE0EEENS1_48merge_mergepath_partition_config_static_selectorELNS0_4arch9wavefront6targetE1EEEvSH_.private_seg_size, 0
	.set _ZN7rocprim17ROCPRIM_400000_NS6detail17trampoline_kernelINS0_14default_configENS1_38merge_sort_block_merge_config_selectorIllEEZZNS1_27merge_sort_block_merge_implIS3_PlN6thrust23THRUST_200600_302600_NS10device_ptrIlEEjNS1_19radix_merge_compareILb0ELb0ElNS0_19identity_decomposerEEEEE10hipError_tT0_T1_T2_jT3_P12ihipStream_tbPNSt15iterator_traitsISG_E10value_typeEPNSM_ISH_E10value_typeEPSI_NS1_7vsmem_tEENKUlT_SG_SH_SI_E_clIS7_S7_SB_S7_EESF_SV_SG_SH_SI_EUlSV_E_NS1_11comp_targetILNS1_3genE3ELNS1_11target_archE908ELNS1_3gpuE7ELNS1_3repE0EEENS1_48merge_mergepath_partition_config_static_selectorELNS0_4arch9wavefront6targetE1EEEvSH_.uses_vcc, 0
	.set _ZN7rocprim17ROCPRIM_400000_NS6detail17trampoline_kernelINS0_14default_configENS1_38merge_sort_block_merge_config_selectorIllEEZZNS1_27merge_sort_block_merge_implIS3_PlN6thrust23THRUST_200600_302600_NS10device_ptrIlEEjNS1_19radix_merge_compareILb0ELb0ElNS0_19identity_decomposerEEEEE10hipError_tT0_T1_T2_jT3_P12ihipStream_tbPNSt15iterator_traitsISG_E10value_typeEPNSM_ISH_E10value_typeEPSI_NS1_7vsmem_tEENKUlT_SG_SH_SI_E_clIS7_S7_SB_S7_EESF_SV_SG_SH_SI_EUlSV_E_NS1_11comp_targetILNS1_3genE3ELNS1_11target_archE908ELNS1_3gpuE7ELNS1_3repE0EEENS1_48merge_mergepath_partition_config_static_selectorELNS0_4arch9wavefront6targetE1EEEvSH_.uses_flat_scratch, 0
	.set _ZN7rocprim17ROCPRIM_400000_NS6detail17trampoline_kernelINS0_14default_configENS1_38merge_sort_block_merge_config_selectorIllEEZZNS1_27merge_sort_block_merge_implIS3_PlN6thrust23THRUST_200600_302600_NS10device_ptrIlEEjNS1_19radix_merge_compareILb0ELb0ElNS0_19identity_decomposerEEEEE10hipError_tT0_T1_T2_jT3_P12ihipStream_tbPNSt15iterator_traitsISG_E10value_typeEPNSM_ISH_E10value_typeEPSI_NS1_7vsmem_tEENKUlT_SG_SH_SI_E_clIS7_S7_SB_S7_EESF_SV_SG_SH_SI_EUlSV_E_NS1_11comp_targetILNS1_3genE3ELNS1_11target_archE908ELNS1_3gpuE7ELNS1_3repE0EEENS1_48merge_mergepath_partition_config_static_selectorELNS0_4arch9wavefront6targetE1EEEvSH_.has_dyn_sized_stack, 0
	.set _ZN7rocprim17ROCPRIM_400000_NS6detail17trampoline_kernelINS0_14default_configENS1_38merge_sort_block_merge_config_selectorIllEEZZNS1_27merge_sort_block_merge_implIS3_PlN6thrust23THRUST_200600_302600_NS10device_ptrIlEEjNS1_19radix_merge_compareILb0ELb0ElNS0_19identity_decomposerEEEEE10hipError_tT0_T1_T2_jT3_P12ihipStream_tbPNSt15iterator_traitsISG_E10value_typeEPNSM_ISH_E10value_typeEPSI_NS1_7vsmem_tEENKUlT_SG_SH_SI_E_clIS7_S7_SB_S7_EESF_SV_SG_SH_SI_EUlSV_E_NS1_11comp_targetILNS1_3genE3ELNS1_11target_archE908ELNS1_3gpuE7ELNS1_3repE0EEENS1_48merge_mergepath_partition_config_static_selectorELNS0_4arch9wavefront6targetE1EEEvSH_.has_recursion, 0
	.set _ZN7rocprim17ROCPRIM_400000_NS6detail17trampoline_kernelINS0_14default_configENS1_38merge_sort_block_merge_config_selectorIllEEZZNS1_27merge_sort_block_merge_implIS3_PlN6thrust23THRUST_200600_302600_NS10device_ptrIlEEjNS1_19radix_merge_compareILb0ELb0ElNS0_19identity_decomposerEEEEE10hipError_tT0_T1_T2_jT3_P12ihipStream_tbPNSt15iterator_traitsISG_E10value_typeEPNSM_ISH_E10value_typeEPSI_NS1_7vsmem_tEENKUlT_SG_SH_SI_E_clIS7_S7_SB_S7_EESF_SV_SG_SH_SI_EUlSV_E_NS1_11comp_targetILNS1_3genE3ELNS1_11target_archE908ELNS1_3gpuE7ELNS1_3repE0EEENS1_48merge_mergepath_partition_config_static_selectorELNS0_4arch9wavefront6targetE1EEEvSH_.has_indirect_call, 0
	.section	.AMDGPU.csdata,"",@progbits
; Kernel info:
; codeLenInByte = 0
; TotalNumSgprs: 4
; NumVgprs: 0
; ScratchSize: 0
; MemoryBound: 0
; FloatMode: 240
; IeeeMode: 1
; LDSByteSize: 0 bytes/workgroup (compile time only)
; SGPRBlocks: 0
; VGPRBlocks: 0
; NumSGPRsForWavesPerEU: 4
; NumVGPRsForWavesPerEU: 1
; Occupancy: 10
; WaveLimiterHint : 0
; COMPUTE_PGM_RSRC2:SCRATCH_EN: 0
; COMPUTE_PGM_RSRC2:USER_SGPR: 6
; COMPUTE_PGM_RSRC2:TRAP_HANDLER: 0
; COMPUTE_PGM_RSRC2:TGID_X_EN: 1
; COMPUTE_PGM_RSRC2:TGID_Y_EN: 0
; COMPUTE_PGM_RSRC2:TGID_Z_EN: 0
; COMPUTE_PGM_RSRC2:TIDIG_COMP_CNT: 0
	.section	.text._ZN7rocprim17ROCPRIM_400000_NS6detail17trampoline_kernelINS0_14default_configENS1_38merge_sort_block_merge_config_selectorIllEEZZNS1_27merge_sort_block_merge_implIS3_PlN6thrust23THRUST_200600_302600_NS10device_ptrIlEEjNS1_19radix_merge_compareILb0ELb0ElNS0_19identity_decomposerEEEEE10hipError_tT0_T1_T2_jT3_P12ihipStream_tbPNSt15iterator_traitsISG_E10value_typeEPNSM_ISH_E10value_typeEPSI_NS1_7vsmem_tEENKUlT_SG_SH_SI_E_clIS7_S7_SB_S7_EESF_SV_SG_SH_SI_EUlSV_E_NS1_11comp_targetILNS1_3genE2ELNS1_11target_archE906ELNS1_3gpuE6ELNS1_3repE0EEENS1_48merge_mergepath_partition_config_static_selectorELNS0_4arch9wavefront6targetE1EEEvSH_,"axG",@progbits,_ZN7rocprim17ROCPRIM_400000_NS6detail17trampoline_kernelINS0_14default_configENS1_38merge_sort_block_merge_config_selectorIllEEZZNS1_27merge_sort_block_merge_implIS3_PlN6thrust23THRUST_200600_302600_NS10device_ptrIlEEjNS1_19radix_merge_compareILb0ELb0ElNS0_19identity_decomposerEEEEE10hipError_tT0_T1_T2_jT3_P12ihipStream_tbPNSt15iterator_traitsISG_E10value_typeEPNSM_ISH_E10value_typeEPSI_NS1_7vsmem_tEENKUlT_SG_SH_SI_E_clIS7_S7_SB_S7_EESF_SV_SG_SH_SI_EUlSV_E_NS1_11comp_targetILNS1_3genE2ELNS1_11target_archE906ELNS1_3gpuE6ELNS1_3repE0EEENS1_48merge_mergepath_partition_config_static_selectorELNS0_4arch9wavefront6targetE1EEEvSH_,comdat
	.protected	_ZN7rocprim17ROCPRIM_400000_NS6detail17trampoline_kernelINS0_14default_configENS1_38merge_sort_block_merge_config_selectorIllEEZZNS1_27merge_sort_block_merge_implIS3_PlN6thrust23THRUST_200600_302600_NS10device_ptrIlEEjNS1_19radix_merge_compareILb0ELb0ElNS0_19identity_decomposerEEEEE10hipError_tT0_T1_T2_jT3_P12ihipStream_tbPNSt15iterator_traitsISG_E10value_typeEPNSM_ISH_E10value_typeEPSI_NS1_7vsmem_tEENKUlT_SG_SH_SI_E_clIS7_S7_SB_S7_EESF_SV_SG_SH_SI_EUlSV_E_NS1_11comp_targetILNS1_3genE2ELNS1_11target_archE906ELNS1_3gpuE6ELNS1_3repE0EEENS1_48merge_mergepath_partition_config_static_selectorELNS0_4arch9wavefront6targetE1EEEvSH_ ; -- Begin function _ZN7rocprim17ROCPRIM_400000_NS6detail17trampoline_kernelINS0_14default_configENS1_38merge_sort_block_merge_config_selectorIllEEZZNS1_27merge_sort_block_merge_implIS3_PlN6thrust23THRUST_200600_302600_NS10device_ptrIlEEjNS1_19radix_merge_compareILb0ELb0ElNS0_19identity_decomposerEEEEE10hipError_tT0_T1_T2_jT3_P12ihipStream_tbPNSt15iterator_traitsISG_E10value_typeEPNSM_ISH_E10value_typeEPSI_NS1_7vsmem_tEENKUlT_SG_SH_SI_E_clIS7_S7_SB_S7_EESF_SV_SG_SH_SI_EUlSV_E_NS1_11comp_targetILNS1_3genE2ELNS1_11target_archE906ELNS1_3gpuE6ELNS1_3repE0EEENS1_48merge_mergepath_partition_config_static_selectorELNS0_4arch9wavefront6targetE1EEEvSH_
	.globl	_ZN7rocprim17ROCPRIM_400000_NS6detail17trampoline_kernelINS0_14default_configENS1_38merge_sort_block_merge_config_selectorIllEEZZNS1_27merge_sort_block_merge_implIS3_PlN6thrust23THRUST_200600_302600_NS10device_ptrIlEEjNS1_19radix_merge_compareILb0ELb0ElNS0_19identity_decomposerEEEEE10hipError_tT0_T1_T2_jT3_P12ihipStream_tbPNSt15iterator_traitsISG_E10value_typeEPNSM_ISH_E10value_typeEPSI_NS1_7vsmem_tEENKUlT_SG_SH_SI_E_clIS7_S7_SB_S7_EESF_SV_SG_SH_SI_EUlSV_E_NS1_11comp_targetILNS1_3genE2ELNS1_11target_archE906ELNS1_3gpuE6ELNS1_3repE0EEENS1_48merge_mergepath_partition_config_static_selectorELNS0_4arch9wavefront6targetE1EEEvSH_
	.p2align	8
	.type	_ZN7rocprim17ROCPRIM_400000_NS6detail17trampoline_kernelINS0_14default_configENS1_38merge_sort_block_merge_config_selectorIllEEZZNS1_27merge_sort_block_merge_implIS3_PlN6thrust23THRUST_200600_302600_NS10device_ptrIlEEjNS1_19radix_merge_compareILb0ELb0ElNS0_19identity_decomposerEEEEE10hipError_tT0_T1_T2_jT3_P12ihipStream_tbPNSt15iterator_traitsISG_E10value_typeEPNSM_ISH_E10value_typeEPSI_NS1_7vsmem_tEENKUlT_SG_SH_SI_E_clIS7_S7_SB_S7_EESF_SV_SG_SH_SI_EUlSV_E_NS1_11comp_targetILNS1_3genE2ELNS1_11target_archE906ELNS1_3gpuE6ELNS1_3repE0EEENS1_48merge_mergepath_partition_config_static_selectorELNS0_4arch9wavefront6targetE1EEEvSH_,@function
_ZN7rocprim17ROCPRIM_400000_NS6detail17trampoline_kernelINS0_14default_configENS1_38merge_sort_block_merge_config_selectorIllEEZZNS1_27merge_sort_block_merge_implIS3_PlN6thrust23THRUST_200600_302600_NS10device_ptrIlEEjNS1_19radix_merge_compareILb0ELb0ElNS0_19identity_decomposerEEEEE10hipError_tT0_T1_T2_jT3_P12ihipStream_tbPNSt15iterator_traitsISG_E10value_typeEPNSM_ISH_E10value_typeEPSI_NS1_7vsmem_tEENKUlT_SG_SH_SI_E_clIS7_S7_SB_S7_EESF_SV_SG_SH_SI_EUlSV_E_NS1_11comp_targetILNS1_3genE2ELNS1_11target_archE906ELNS1_3gpuE6ELNS1_3repE0EEENS1_48merge_mergepath_partition_config_static_selectorELNS0_4arch9wavefront6targetE1EEEvSH_: ; @_ZN7rocprim17ROCPRIM_400000_NS6detail17trampoline_kernelINS0_14default_configENS1_38merge_sort_block_merge_config_selectorIllEEZZNS1_27merge_sort_block_merge_implIS3_PlN6thrust23THRUST_200600_302600_NS10device_ptrIlEEjNS1_19radix_merge_compareILb0ELb0ElNS0_19identity_decomposerEEEEE10hipError_tT0_T1_T2_jT3_P12ihipStream_tbPNSt15iterator_traitsISG_E10value_typeEPNSM_ISH_E10value_typeEPSI_NS1_7vsmem_tEENKUlT_SG_SH_SI_E_clIS7_S7_SB_S7_EESF_SV_SG_SH_SI_EUlSV_E_NS1_11comp_targetILNS1_3genE2ELNS1_11target_archE906ELNS1_3gpuE6ELNS1_3repE0EEENS1_48merge_mergepath_partition_config_static_selectorELNS0_4arch9wavefront6targetE1EEEvSH_
; %bb.0:
	s_load_dword s0, s[4:5], 0x0
	v_lshl_or_b32 v0, s6, 7, v0
	s_waitcnt lgkmcnt(0)
	v_cmp_gt_u32_e32 vcc, s0, v0
	s_and_saveexec_b64 s[0:1], vcc
	s_cbranch_execz .LBB1039_6
; %bb.1:
	s_load_dwordx2 s[2:3], s[4:5], 0x4
	s_load_dwordx2 s[0:1], s[4:5], 0x20
	s_waitcnt lgkmcnt(0)
	s_lshr_b32 s6, s2, 9
	s_and_b32 s6, s6, 0x7ffffe
	s_add_i32 s7, s6, -1
	s_sub_i32 s6, 0, s6
	v_and_b32_e32 v1, s6, v0
	v_lshlrev_b32_e32 v3, 10, v1
	v_min_u32_e32 v1, s3, v3
	v_add_u32_e32 v3, s2, v3
	v_min_u32_e32 v3, s3, v3
	v_add_u32_e32 v4, s2, v3
	v_and_b32_e32 v2, s7, v0
	v_min_u32_e32 v4, s3, v4
	v_sub_u32_e32 v5, v4, v1
	v_lshlrev_b32_e32 v2, 10, v2
	v_min_u32_e32 v6, v5, v2
	v_sub_u32_e32 v2, v3, v1
	v_sub_u32_e32 v4, v4, v3
	v_sub_u32_e64 v5, v6, v4 clamp
	v_min_u32_e32 v7, v6, v2
	v_cmp_lt_u32_e32 vcc, v5, v7
	s_and_saveexec_b64 s[2:3], vcc
	s_cbranch_execz .LBB1039_5
; %bb.2:
	s_load_dwordx2 s[4:5], s[4:5], 0x10
	v_mov_b32_e32 v4, 0
	v_mov_b32_e32 v2, v4
	v_lshlrev_b64 v[8:9], 3, v[1:2]
	s_waitcnt lgkmcnt(0)
	v_mov_b32_e32 v11, s5
	v_add_co_u32_e32 v2, vcc, s4, v8
	v_addc_co_u32_e32 v8, vcc, v11, v9, vcc
	v_lshlrev_b64 v[9:10], 3, v[3:4]
	v_add_co_u32_e32 v9, vcc, s4, v9
	v_addc_co_u32_e32 v10, vcc, v11, v10, vcc
	s_mov_b64 s[4:5], 0
.LBB1039_3:                             ; =>This Inner Loop Header: Depth=1
	v_add_u32_e32 v3, v7, v5
	v_lshrrev_b32_e32 v3, 1, v3
	v_lshlrev_b64 v[13:14], 3, v[3:4]
	v_mov_b32_e32 v12, v4
	v_xad_u32 v11, v3, -1, v6
	v_lshlrev_b64 v[11:12], 3, v[11:12]
	v_add_co_u32_e32 v13, vcc, v2, v13
	v_addc_co_u32_e32 v14, vcc, v8, v14, vcc
	v_add_co_u32_e32 v11, vcc, v9, v11
	v_addc_co_u32_e32 v12, vcc, v10, v12, vcc
	global_load_dwordx2 v[15:16], v[13:14], off
	global_load_dwordx2 v[17:18], v[11:12], off
	v_add_u32_e32 v11, 1, v3
	s_waitcnt vmcnt(0)
	v_cmp_gt_i64_e32 vcc, v[15:16], v[17:18]
	v_cndmask_b32_e32 v7, v7, v3, vcc
	v_cndmask_b32_e32 v5, v11, v5, vcc
	v_cmp_ge_u32_e32 vcc, v5, v7
	s_or_b64 s[4:5], vcc, s[4:5]
	s_andn2_b64 exec, exec, s[4:5]
	s_cbranch_execnz .LBB1039_3
; %bb.4:
	s_or_b64 exec, exec, s[4:5]
.LBB1039_5:
	s_or_b64 exec, exec, s[2:3]
	v_add_u32_e32 v2, v5, v1
	v_mov_b32_e32 v1, 0
	v_lshlrev_b64 v[0:1], 2, v[0:1]
	v_mov_b32_e32 v3, s1
	v_add_co_u32_e32 v0, vcc, s0, v0
	v_addc_co_u32_e32 v1, vcc, v3, v1, vcc
	global_store_dword v[0:1], v2, off
.LBB1039_6:
	s_endpgm
	.section	.rodata,"a",@progbits
	.p2align	6, 0x0
	.amdhsa_kernel _ZN7rocprim17ROCPRIM_400000_NS6detail17trampoline_kernelINS0_14default_configENS1_38merge_sort_block_merge_config_selectorIllEEZZNS1_27merge_sort_block_merge_implIS3_PlN6thrust23THRUST_200600_302600_NS10device_ptrIlEEjNS1_19radix_merge_compareILb0ELb0ElNS0_19identity_decomposerEEEEE10hipError_tT0_T1_T2_jT3_P12ihipStream_tbPNSt15iterator_traitsISG_E10value_typeEPNSM_ISH_E10value_typeEPSI_NS1_7vsmem_tEENKUlT_SG_SH_SI_E_clIS7_S7_SB_S7_EESF_SV_SG_SH_SI_EUlSV_E_NS1_11comp_targetILNS1_3genE2ELNS1_11target_archE906ELNS1_3gpuE6ELNS1_3repE0EEENS1_48merge_mergepath_partition_config_static_selectorELNS0_4arch9wavefront6targetE1EEEvSH_
		.amdhsa_group_segment_fixed_size 0
		.amdhsa_private_segment_fixed_size 0
		.amdhsa_kernarg_size 40
		.amdhsa_user_sgpr_count 6
		.amdhsa_user_sgpr_private_segment_buffer 1
		.amdhsa_user_sgpr_dispatch_ptr 0
		.amdhsa_user_sgpr_queue_ptr 0
		.amdhsa_user_sgpr_kernarg_segment_ptr 1
		.amdhsa_user_sgpr_dispatch_id 0
		.amdhsa_user_sgpr_flat_scratch_init 0
		.amdhsa_user_sgpr_private_segment_size 0
		.amdhsa_uses_dynamic_stack 0
		.amdhsa_system_sgpr_private_segment_wavefront_offset 0
		.amdhsa_system_sgpr_workgroup_id_x 1
		.amdhsa_system_sgpr_workgroup_id_y 0
		.amdhsa_system_sgpr_workgroup_id_z 0
		.amdhsa_system_sgpr_workgroup_info 0
		.amdhsa_system_vgpr_workitem_id 0
		.amdhsa_next_free_vgpr 19
		.amdhsa_next_free_sgpr 8
		.amdhsa_reserve_vcc 1
		.amdhsa_reserve_flat_scratch 0
		.amdhsa_float_round_mode_32 0
		.amdhsa_float_round_mode_16_64 0
		.amdhsa_float_denorm_mode_32 3
		.amdhsa_float_denorm_mode_16_64 3
		.amdhsa_dx10_clamp 1
		.amdhsa_ieee_mode 1
		.amdhsa_fp16_overflow 0
		.amdhsa_exception_fp_ieee_invalid_op 0
		.amdhsa_exception_fp_denorm_src 0
		.amdhsa_exception_fp_ieee_div_zero 0
		.amdhsa_exception_fp_ieee_overflow 0
		.amdhsa_exception_fp_ieee_underflow 0
		.amdhsa_exception_fp_ieee_inexact 0
		.amdhsa_exception_int_div_zero 0
	.end_amdhsa_kernel
	.section	.text._ZN7rocprim17ROCPRIM_400000_NS6detail17trampoline_kernelINS0_14default_configENS1_38merge_sort_block_merge_config_selectorIllEEZZNS1_27merge_sort_block_merge_implIS3_PlN6thrust23THRUST_200600_302600_NS10device_ptrIlEEjNS1_19radix_merge_compareILb0ELb0ElNS0_19identity_decomposerEEEEE10hipError_tT0_T1_T2_jT3_P12ihipStream_tbPNSt15iterator_traitsISG_E10value_typeEPNSM_ISH_E10value_typeEPSI_NS1_7vsmem_tEENKUlT_SG_SH_SI_E_clIS7_S7_SB_S7_EESF_SV_SG_SH_SI_EUlSV_E_NS1_11comp_targetILNS1_3genE2ELNS1_11target_archE906ELNS1_3gpuE6ELNS1_3repE0EEENS1_48merge_mergepath_partition_config_static_selectorELNS0_4arch9wavefront6targetE1EEEvSH_,"axG",@progbits,_ZN7rocprim17ROCPRIM_400000_NS6detail17trampoline_kernelINS0_14default_configENS1_38merge_sort_block_merge_config_selectorIllEEZZNS1_27merge_sort_block_merge_implIS3_PlN6thrust23THRUST_200600_302600_NS10device_ptrIlEEjNS1_19radix_merge_compareILb0ELb0ElNS0_19identity_decomposerEEEEE10hipError_tT0_T1_T2_jT3_P12ihipStream_tbPNSt15iterator_traitsISG_E10value_typeEPNSM_ISH_E10value_typeEPSI_NS1_7vsmem_tEENKUlT_SG_SH_SI_E_clIS7_S7_SB_S7_EESF_SV_SG_SH_SI_EUlSV_E_NS1_11comp_targetILNS1_3genE2ELNS1_11target_archE906ELNS1_3gpuE6ELNS1_3repE0EEENS1_48merge_mergepath_partition_config_static_selectorELNS0_4arch9wavefront6targetE1EEEvSH_,comdat
.Lfunc_end1039:
	.size	_ZN7rocprim17ROCPRIM_400000_NS6detail17trampoline_kernelINS0_14default_configENS1_38merge_sort_block_merge_config_selectorIllEEZZNS1_27merge_sort_block_merge_implIS3_PlN6thrust23THRUST_200600_302600_NS10device_ptrIlEEjNS1_19radix_merge_compareILb0ELb0ElNS0_19identity_decomposerEEEEE10hipError_tT0_T1_T2_jT3_P12ihipStream_tbPNSt15iterator_traitsISG_E10value_typeEPNSM_ISH_E10value_typeEPSI_NS1_7vsmem_tEENKUlT_SG_SH_SI_E_clIS7_S7_SB_S7_EESF_SV_SG_SH_SI_EUlSV_E_NS1_11comp_targetILNS1_3genE2ELNS1_11target_archE906ELNS1_3gpuE6ELNS1_3repE0EEENS1_48merge_mergepath_partition_config_static_selectorELNS0_4arch9wavefront6targetE1EEEvSH_, .Lfunc_end1039-_ZN7rocprim17ROCPRIM_400000_NS6detail17trampoline_kernelINS0_14default_configENS1_38merge_sort_block_merge_config_selectorIllEEZZNS1_27merge_sort_block_merge_implIS3_PlN6thrust23THRUST_200600_302600_NS10device_ptrIlEEjNS1_19radix_merge_compareILb0ELb0ElNS0_19identity_decomposerEEEEE10hipError_tT0_T1_T2_jT3_P12ihipStream_tbPNSt15iterator_traitsISG_E10value_typeEPNSM_ISH_E10value_typeEPSI_NS1_7vsmem_tEENKUlT_SG_SH_SI_E_clIS7_S7_SB_S7_EESF_SV_SG_SH_SI_EUlSV_E_NS1_11comp_targetILNS1_3genE2ELNS1_11target_archE906ELNS1_3gpuE6ELNS1_3repE0EEENS1_48merge_mergepath_partition_config_static_selectorELNS0_4arch9wavefront6targetE1EEEvSH_
                                        ; -- End function
	.set _ZN7rocprim17ROCPRIM_400000_NS6detail17trampoline_kernelINS0_14default_configENS1_38merge_sort_block_merge_config_selectorIllEEZZNS1_27merge_sort_block_merge_implIS3_PlN6thrust23THRUST_200600_302600_NS10device_ptrIlEEjNS1_19radix_merge_compareILb0ELb0ElNS0_19identity_decomposerEEEEE10hipError_tT0_T1_T2_jT3_P12ihipStream_tbPNSt15iterator_traitsISG_E10value_typeEPNSM_ISH_E10value_typeEPSI_NS1_7vsmem_tEENKUlT_SG_SH_SI_E_clIS7_S7_SB_S7_EESF_SV_SG_SH_SI_EUlSV_E_NS1_11comp_targetILNS1_3genE2ELNS1_11target_archE906ELNS1_3gpuE6ELNS1_3repE0EEENS1_48merge_mergepath_partition_config_static_selectorELNS0_4arch9wavefront6targetE1EEEvSH_.num_vgpr, 19
	.set _ZN7rocprim17ROCPRIM_400000_NS6detail17trampoline_kernelINS0_14default_configENS1_38merge_sort_block_merge_config_selectorIllEEZZNS1_27merge_sort_block_merge_implIS3_PlN6thrust23THRUST_200600_302600_NS10device_ptrIlEEjNS1_19radix_merge_compareILb0ELb0ElNS0_19identity_decomposerEEEEE10hipError_tT0_T1_T2_jT3_P12ihipStream_tbPNSt15iterator_traitsISG_E10value_typeEPNSM_ISH_E10value_typeEPSI_NS1_7vsmem_tEENKUlT_SG_SH_SI_E_clIS7_S7_SB_S7_EESF_SV_SG_SH_SI_EUlSV_E_NS1_11comp_targetILNS1_3genE2ELNS1_11target_archE906ELNS1_3gpuE6ELNS1_3repE0EEENS1_48merge_mergepath_partition_config_static_selectorELNS0_4arch9wavefront6targetE1EEEvSH_.num_agpr, 0
	.set _ZN7rocprim17ROCPRIM_400000_NS6detail17trampoline_kernelINS0_14default_configENS1_38merge_sort_block_merge_config_selectorIllEEZZNS1_27merge_sort_block_merge_implIS3_PlN6thrust23THRUST_200600_302600_NS10device_ptrIlEEjNS1_19radix_merge_compareILb0ELb0ElNS0_19identity_decomposerEEEEE10hipError_tT0_T1_T2_jT3_P12ihipStream_tbPNSt15iterator_traitsISG_E10value_typeEPNSM_ISH_E10value_typeEPSI_NS1_7vsmem_tEENKUlT_SG_SH_SI_E_clIS7_S7_SB_S7_EESF_SV_SG_SH_SI_EUlSV_E_NS1_11comp_targetILNS1_3genE2ELNS1_11target_archE906ELNS1_3gpuE6ELNS1_3repE0EEENS1_48merge_mergepath_partition_config_static_selectorELNS0_4arch9wavefront6targetE1EEEvSH_.numbered_sgpr, 8
	.set _ZN7rocprim17ROCPRIM_400000_NS6detail17trampoline_kernelINS0_14default_configENS1_38merge_sort_block_merge_config_selectorIllEEZZNS1_27merge_sort_block_merge_implIS3_PlN6thrust23THRUST_200600_302600_NS10device_ptrIlEEjNS1_19radix_merge_compareILb0ELb0ElNS0_19identity_decomposerEEEEE10hipError_tT0_T1_T2_jT3_P12ihipStream_tbPNSt15iterator_traitsISG_E10value_typeEPNSM_ISH_E10value_typeEPSI_NS1_7vsmem_tEENKUlT_SG_SH_SI_E_clIS7_S7_SB_S7_EESF_SV_SG_SH_SI_EUlSV_E_NS1_11comp_targetILNS1_3genE2ELNS1_11target_archE906ELNS1_3gpuE6ELNS1_3repE0EEENS1_48merge_mergepath_partition_config_static_selectorELNS0_4arch9wavefront6targetE1EEEvSH_.num_named_barrier, 0
	.set _ZN7rocprim17ROCPRIM_400000_NS6detail17trampoline_kernelINS0_14default_configENS1_38merge_sort_block_merge_config_selectorIllEEZZNS1_27merge_sort_block_merge_implIS3_PlN6thrust23THRUST_200600_302600_NS10device_ptrIlEEjNS1_19radix_merge_compareILb0ELb0ElNS0_19identity_decomposerEEEEE10hipError_tT0_T1_T2_jT3_P12ihipStream_tbPNSt15iterator_traitsISG_E10value_typeEPNSM_ISH_E10value_typeEPSI_NS1_7vsmem_tEENKUlT_SG_SH_SI_E_clIS7_S7_SB_S7_EESF_SV_SG_SH_SI_EUlSV_E_NS1_11comp_targetILNS1_3genE2ELNS1_11target_archE906ELNS1_3gpuE6ELNS1_3repE0EEENS1_48merge_mergepath_partition_config_static_selectorELNS0_4arch9wavefront6targetE1EEEvSH_.private_seg_size, 0
	.set _ZN7rocprim17ROCPRIM_400000_NS6detail17trampoline_kernelINS0_14default_configENS1_38merge_sort_block_merge_config_selectorIllEEZZNS1_27merge_sort_block_merge_implIS3_PlN6thrust23THRUST_200600_302600_NS10device_ptrIlEEjNS1_19radix_merge_compareILb0ELb0ElNS0_19identity_decomposerEEEEE10hipError_tT0_T1_T2_jT3_P12ihipStream_tbPNSt15iterator_traitsISG_E10value_typeEPNSM_ISH_E10value_typeEPSI_NS1_7vsmem_tEENKUlT_SG_SH_SI_E_clIS7_S7_SB_S7_EESF_SV_SG_SH_SI_EUlSV_E_NS1_11comp_targetILNS1_3genE2ELNS1_11target_archE906ELNS1_3gpuE6ELNS1_3repE0EEENS1_48merge_mergepath_partition_config_static_selectorELNS0_4arch9wavefront6targetE1EEEvSH_.uses_vcc, 1
	.set _ZN7rocprim17ROCPRIM_400000_NS6detail17trampoline_kernelINS0_14default_configENS1_38merge_sort_block_merge_config_selectorIllEEZZNS1_27merge_sort_block_merge_implIS3_PlN6thrust23THRUST_200600_302600_NS10device_ptrIlEEjNS1_19radix_merge_compareILb0ELb0ElNS0_19identity_decomposerEEEEE10hipError_tT0_T1_T2_jT3_P12ihipStream_tbPNSt15iterator_traitsISG_E10value_typeEPNSM_ISH_E10value_typeEPSI_NS1_7vsmem_tEENKUlT_SG_SH_SI_E_clIS7_S7_SB_S7_EESF_SV_SG_SH_SI_EUlSV_E_NS1_11comp_targetILNS1_3genE2ELNS1_11target_archE906ELNS1_3gpuE6ELNS1_3repE0EEENS1_48merge_mergepath_partition_config_static_selectorELNS0_4arch9wavefront6targetE1EEEvSH_.uses_flat_scratch, 0
	.set _ZN7rocprim17ROCPRIM_400000_NS6detail17trampoline_kernelINS0_14default_configENS1_38merge_sort_block_merge_config_selectorIllEEZZNS1_27merge_sort_block_merge_implIS3_PlN6thrust23THRUST_200600_302600_NS10device_ptrIlEEjNS1_19radix_merge_compareILb0ELb0ElNS0_19identity_decomposerEEEEE10hipError_tT0_T1_T2_jT3_P12ihipStream_tbPNSt15iterator_traitsISG_E10value_typeEPNSM_ISH_E10value_typeEPSI_NS1_7vsmem_tEENKUlT_SG_SH_SI_E_clIS7_S7_SB_S7_EESF_SV_SG_SH_SI_EUlSV_E_NS1_11comp_targetILNS1_3genE2ELNS1_11target_archE906ELNS1_3gpuE6ELNS1_3repE0EEENS1_48merge_mergepath_partition_config_static_selectorELNS0_4arch9wavefront6targetE1EEEvSH_.has_dyn_sized_stack, 0
	.set _ZN7rocprim17ROCPRIM_400000_NS6detail17trampoline_kernelINS0_14default_configENS1_38merge_sort_block_merge_config_selectorIllEEZZNS1_27merge_sort_block_merge_implIS3_PlN6thrust23THRUST_200600_302600_NS10device_ptrIlEEjNS1_19radix_merge_compareILb0ELb0ElNS0_19identity_decomposerEEEEE10hipError_tT0_T1_T2_jT3_P12ihipStream_tbPNSt15iterator_traitsISG_E10value_typeEPNSM_ISH_E10value_typeEPSI_NS1_7vsmem_tEENKUlT_SG_SH_SI_E_clIS7_S7_SB_S7_EESF_SV_SG_SH_SI_EUlSV_E_NS1_11comp_targetILNS1_3genE2ELNS1_11target_archE906ELNS1_3gpuE6ELNS1_3repE0EEENS1_48merge_mergepath_partition_config_static_selectorELNS0_4arch9wavefront6targetE1EEEvSH_.has_recursion, 0
	.set _ZN7rocprim17ROCPRIM_400000_NS6detail17trampoline_kernelINS0_14default_configENS1_38merge_sort_block_merge_config_selectorIllEEZZNS1_27merge_sort_block_merge_implIS3_PlN6thrust23THRUST_200600_302600_NS10device_ptrIlEEjNS1_19radix_merge_compareILb0ELb0ElNS0_19identity_decomposerEEEEE10hipError_tT0_T1_T2_jT3_P12ihipStream_tbPNSt15iterator_traitsISG_E10value_typeEPNSM_ISH_E10value_typeEPSI_NS1_7vsmem_tEENKUlT_SG_SH_SI_E_clIS7_S7_SB_S7_EESF_SV_SG_SH_SI_EUlSV_E_NS1_11comp_targetILNS1_3genE2ELNS1_11target_archE906ELNS1_3gpuE6ELNS1_3repE0EEENS1_48merge_mergepath_partition_config_static_selectorELNS0_4arch9wavefront6targetE1EEEvSH_.has_indirect_call, 0
	.section	.AMDGPU.csdata,"",@progbits
; Kernel info:
; codeLenInByte = 360
; TotalNumSgprs: 12
; NumVgprs: 19
; ScratchSize: 0
; MemoryBound: 0
; FloatMode: 240
; IeeeMode: 1
; LDSByteSize: 0 bytes/workgroup (compile time only)
; SGPRBlocks: 1
; VGPRBlocks: 4
; NumSGPRsForWavesPerEU: 12
; NumVGPRsForWavesPerEU: 19
; Occupancy: 10
; WaveLimiterHint : 0
; COMPUTE_PGM_RSRC2:SCRATCH_EN: 0
; COMPUTE_PGM_RSRC2:USER_SGPR: 6
; COMPUTE_PGM_RSRC2:TRAP_HANDLER: 0
; COMPUTE_PGM_RSRC2:TGID_X_EN: 1
; COMPUTE_PGM_RSRC2:TGID_Y_EN: 0
; COMPUTE_PGM_RSRC2:TGID_Z_EN: 0
; COMPUTE_PGM_RSRC2:TIDIG_COMP_CNT: 0
	.section	.text._ZN7rocprim17ROCPRIM_400000_NS6detail17trampoline_kernelINS0_14default_configENS1_38merge_sort_block_merge_config_selectorIllEEZZNS1_27merge_sort_block_merge_implIS3_PlN6thrust23THRUST_200600_302600_NS10device_ptrIlEEjNS1_19radix_merge_compareILb0ELb0ElNS0_19identity_decomposerEEEEE10hipError_tT0_T1_T2_jT3_P12ihipStream_tbPNSt15iterator_traitsISG_E10value_typeEPNSM_ISH_E10value_typeEPSI_NS1_7vsmem_tEENKUlT_SG_SH_SI_E_clIS7_S7_SB_S7_EESF_SV_SG_SH_SI_EUlSV_E_NS1_11comp_targetILNS1_3genE9ELNS1_11target_archE1100ELNS1_3gpuE3ELNS1_3repE0EEENS1_48merge_mergepath_partition_config_static_selectorELNS0_4arch9wavefront6targetE1EEEvSH_,"axG",@progbits,_ZN7rocprim17ROCPRIM_400000_NS6detail17trampoline_kernelINS0_14default_configENS1_38merge_sort_block_merge_config_selectorIllEEZZNS1_27merge_sort_block_merge_implIS3_PlN6thrust23THRUST_200600_302600_NS10device_ptrIlEEjNS1_19radix_merge_compareILb0ELb0ElNS0_19identity_decomposerEEEEE10hipError_tT0_T1_T2_jT3_P12ihipStream_tbPNSt15iterator_traitsISG_E10value_typeEPNSM_ISH_E10value_typeEPSI_NS1_7vsmem_tEENKUlT_SG_SH_SI_E_clIS7_S7_SB_S7_EESF_SV_SG_SH_SI_EUlSV_E_NS1_11comp_targetILNS1_3genE9ELNS1_11target_archE1100ELNS1_3gpuE3ELNS1_3repE0EEENS1_48merge_mergepath_partition_config_static_selectorELNS0_4arch9wavefront6targetE1EEEvSH_,comdat
	.protected	_ZN7rocprim17ROCPRIM_400000_NS6detail17trampoline_kernelINS0_14default_configENS1_38merge_sort_block_merge_config_selectorIllEEZZNS1_27merge_sort_block_merge_implIS3_PlN6thrust23THRUST_200600_302600_NS10device_ptrIlEEjNS1_19radix_merge_compareILb0ELb0ElNS0_19identity_decomposerEEEEE10hipError_tT0_T1_T2_jT3_P12ihipStream_tbPNSt15iterator_traitsISG_E10value_typeEPNSM_ISH_E10value_typeEPSI_NS1_7vsmem_tEENKUlT_SG_SH_SI_E_clIS7_S7_SB_S7_EESF_SV_SG_SH_SI_EUlSV_E_NS1_11comp_targetILNS1_3genE9ELNS1_11target_archE1100ELNS1_3gpuE3ELNS1_3repE0EEENS1_48merge_mergepath_partition_config_static_selectorELNS0_4arch9wavefront6targetE1EEEvSH_ ; -- Begin function _ZN7rocprim17ROCPRIM_400000_NS6detail17trampoline_kernelINS0_14default_configENS1_38merge_sort_block_merge_config_selectorIllEEZZNS1_27merge_sort_block_merge_implIS3_PlN6thrust23THRUST_200600_302600_NS10device_ptrIlEEjNS1_19radix_merge_compareILb0ELb0ElNS0_19identity_decomposerEEEEE10hipError_tT0_T1_T2_jT3_P12ihipStream_tbPNSt15iterator_traitsISG_E10value_typeEPNSM_ISH_E10value_typeEPSI_NS1_7vsmem_tEENKUlT_SG_SH_SI_E_clIS7_S7_SB_S7_EESF_SV_SG_SH_SI_EUlSV_E_NS1_11comp_targetILNS1_3genE9ELNS1_11target_archE1100ELNS1_3gpuE3ELNS1_3repE0EEENS1_48merge_mergepath_partition_config_static_selectorELNS0_4arch9wavefront6targetE1EEEvSH_
	.globl	_ZN7rocprim17ROCPRIM_400000_NS6detail17trampoline_kernelINS0_14default_configENS1_38merge_sort_block_merge_config_selectorIllEEZZNS1_27merge_sort_block_merge_implIS3_PlN6thrust23THRUST_200600_302600_NS10device_ptrIlEEjNS1_19radix_merge_compareILb0ELb0ElNS0_19identity_decomposerEEEEE10hipError_tT0_T1_T2_jT3_P12ihipStream_tbPNSt15iterator_traitsISG_E10value_typeEPNSM_ISH_E10value_typeEPSI_NS1_7vsmem_tEENKUlT_SG_SH_SI_E_clIS7_S7_SB_S7_EESF_SV_SG_SH_SI_EUlSV_E_NS1_11comp_targetILNS1_3genE9ELNS1_11target_archE1100ELNS1_3gpuE3ELNS1_3repE0EEENS1_48merge_mergepath_partition_config_static_selectorELNS0_4arch9wavefront6targetE1EEEvSH_
	.p2align	8
	.type	_ZN7rocprim17ROCPRIM_400000_NS6detail17trampoline_kernelINS0_14default_configENS1_38merge_sort_block_merge_config_selectorIllEEZZNS1_27merge_sort_block_merge_implIS3_PlN6thrust23THRUST_200600_302600_NS10device_ptrIlEEjNS1_19radix_merge_compareILb0ELb0ElNS0_19identity_decomposerEEEEE10hipError_tT0_T1_T2_jT3_P12ihipStream_tbPNSt15iterator_traitsISG_E10value_typeEPNSM_ISH_E10value_typeEPSI_NS1_7vsmem_tEENKUlT_SG_SH_SI_E_clIS7_S7_SB_S7_EESF_SV_SG_SH_SI_EUlSV_E_NS1_11comp_targetILNS1_3genE9ELNS1_11target_archE1100ELNS1_3gpuE3ELNS1_3repE0EEENS1_48merge_mergepath_partition_config_static_selectorELNS0_4arch9wavefront6targetE1EEEvSH_,@function
_ZN7rocprim17ROCPRIM_400000_NS6detail17trampoline_kernelINS0_14default_configENS1_38merge_sort_block_merge_config_selectorIllEEZZNS1_27merge_sort_block_merge_implIS3_PlN6thrust23THRUST_200600_302600_NS10device_ptrIlEEjNS1_19radix_merge_compareILb0ELb0ElNS0_19identity_decomposerEEEEE10hipError_tT0_T1_T2_jT3_P12ihipStream_tbPNSt15iterator_traitsISG_E10value_typeEPNSM_ISH_E10value_typeEPSI_NS1_7vsmem_tEENKUlT_SG_SH_SI_E_clIS7_S7_SB_S7_EESF_SV_SG_SH_SI_EUlSV_E_NS1_11comp_targetILNS1_3genE9ELNS1_11target_archE1100ELNS1_3gpuE3ELNS1_3repE0EEENS1_48merge_mergepath_partition_config_static_selectorELNS0_4arch9wavefront6targetE1EEEvSH_: ; @_ZN7rocprim17ROCPRIM_400000_NS6detail17trampoline_kernelINS0_14default_configENS1_38merge_sort_block_merge_config_selectorIllEEZZNS1_27merge_sort_block_merge_implIS3_PlN6thrust23THRUST_200600_302600_NS10device_ptrIlEEjNS1_19radix_merge_compareILb0ELb0ElNS0_19identity_decomposerEEEEE10hipError_tT0_T1_T2_jT3_P12ihipStream_tbPNSt15iterator_traitsISG_E10value_typeEPNSM_ISH_E10value_typeEPSI_NS1_7vsmem_tEENKUlT_SG_SH_SI_E_clIS7_S7_SB_S7_EESF_SV_SG_SH_SI_EUlSV_E_NS1_11comp_targetILNS1_3genE9ELNS1_11target_archE1100ELNS1_3gpuE3ELNS1_3repE0EEENS1_48merge_mergepath_partition_config_static_selectorELNS0_4arch9wavefront6targetE1EEEvSH_
; %bb.0:
	.section	.rodata,"a",@progbits
	.p2align	6, 0x0
	.amdhsa_kernel _ZN7rocprim17ROCPRIM_400000_NS6detail17trampoline_kernelINS0_14default_configENS1_38merge_sort_block_merge_config_selectorIllEEZZNS1_27merge_sort_block_merge_implIS3_PlN6thrust23THRUST_200600_302600_NS10device_ptrIlEEjNS1_19radix_merge_compareILb0ELb0ElNS0_19identity_decomposerEEEEE10hipError_tT0_T1_T2_jT3_P12ihipStream_tbPNSt15iterator_traitsISG_E10value_typeEPNSM_ISH_E10value_typeEPSI_NS1_7vsmem_tEENKUlT_SG_SH_SI_E_clIS7_S7_SB_S7_EESF_SV_SG_SH_SI_EUlSV_E_NS1_11comp_targetILNS1_3genE9ELNS1_11target_archE1100ELNS1_3gpuE3ELNS1_3repE0EEENS1_48merge_mergepath_partition_config_static_selectorELNS0_4arch9wavefront6targetE1EEEvSH_
		.amdhsa_group_segment_fixed_size 0
		.amdhsa_private_segment_fixed_size 0
		.amdhsa_kernarg_size 40
		.amdhsa_user_sgpr_count 6
		.amdhsa_user_sgpr_private_segment_buffer 1
		.amdhsa_user_sgpr_dispatch_ptr 0
		.amdhsa_user_sgpr_queue_ptr 0
		.amdhsa_user_sgpr_kernarg_segment_ptr 1
		.amdhsa_user_sgpr_dispatch_id 0
		.amdhsa_user_sgpr_flat_scratch_init 0
		.amdhsa_user_sgpr_private_segment_size 0
		.amdhsa_uses_dynamic_stack 0
		.amdhsa_system_sgpr_private_segment_wavefront_offset 0
		.amdhsa_system_sgpr_workgroup_id_x 1
		.amdhsa_system_sgpr_workgroup_id_y 0
		.amdhsa_system_sgpr_workgroup_id_z 0
		.amdhsa_system_sgpr_workgroup_info 0
		.amdhsa_system_vgpr_workitem_id 0
		.amdhsa_next_free_vgpr 1
		.amdhsa_next_free_sgpr 0
		.amdhsa_reserve_vcc 0
		.amdhsa_reserve_flat_scratch 0
		.amdhsa_float_round_mode_32 0
		.amdhsa_float_round_mode_16_64 0
		.amdhsa_float_denorm_mode_32 3
		.amdhsa_float_denorm_mode_16_64 3
		.amdhsa_dx10_clamp 1
		.amdhsa_ieee_mode 1
		.amdhsa_fp16_overflow 0
		.amdhsa_exception_fp_ieee_invalid_op 0
		.amdhsa_exception_fp_denorm_src 0
		.amdhsa_exception_fp_ieee_div_zero 0
		.amdhsa_exception_fp_ieee_overflow 0
		.amdhsa_exception_fp_ieee_underflow 0
		.amdhsa_exception_fp_ieee_inexact 0
		.amdhsa_exception_int_div_zero 0
	.end_amdhsa_kernel
	.section	.text._ZN7rocprim17ROCPRIM_400000_NS6detail17trampoline_kernelINS0_14default_configENS1_38merge_sort_block_merge_config_selectorIllEEZZNS1_27merge_sort_block_merge_implIS3_PlN6thrust23THRUST_200600_302600_NS10device_ptrIlEEjNS1_19radix_merge_compareILb0ELb0ElNS0_19identity_decomposerEEEEE10hipError_tT0_T1_T2_jT3_P12ihipStream_tbPNSt15iterator_traitsISG_E10value_typeEPNSM_ISH_E10value_typeEPSI_NS1_7vsmem_tEENKUlT_SG_SH_SI_E_clIS7_S7_SB_S7_EESF_SV_SG_SH_SI_EUlSV_E_NS1_11comp_targetILNS1_3genE9ELNS1_11target_archE1100ELNS1_3gpuE3ELNS1_3repE0EEENS1_48merge_mergepath_partition_config_static_selectorELNS0_4arch9wavefront6targetE1EEEvSH_,"axG",@progbits,_ZN7rocprim17ROCPRIM_400000_NS6detail17trampoline_kernelINS0_14default_configENS1_38merge_sort_block_merge_config_selectorIllEEZZNS1_27merge_sort_block_merge_implIS3_PlN6thrust23THRUST_200600_302600_NS10device_ptrIlEEjNS1_19radix_merge_compareILb0ELb0ElNS0_19identity_decomposerEEEEE10hipError_tT0_T1_T2_jT3_P12ihipStream_tbPNSt15iterator_traitsISG_E10value_typeEPNSM_ISH_E10value_typeEPSI_NS1_7vsmem_tEENKUlT_SG_SH_SI_E_clIS7_S7_SB_S7_EESF_SV_SG_SH_SI_EUlSV_E_NS1_11comp_targetILNS1_3genE9ELNS1_11target_archE1100ELNS1_3gpuE3ELNS1_3repE0EEENS1_48merge_mergepath_partition_config_static_selectorELNS0_4arch9wavefront6targetE1EEEvSH_,comdat
.Lfunc_end1040:
	.size	_ZN7rocprim17ROCPRIM_400000_NS6detail17trampoline_kernelINS0_14default_configENS1_38merge_sort_block_merge_config_selectorIllEEZZNS1_27merge_sort_block_merge_implIS3_PlN6thrust23THRUST_200600_302600_NS10device_ptrIlEEjNS1_19radix_merge_compareILb0ELb0ElNS0_19identity_decomposerEEEEE10hipError_tT0_T1_T2_jT3_P12ihipStream_tbPNSt15iterator_traitsISG_E10value_typeEPNSM_ISH_E10value_typeEPSI_NS1_7vsmem_tEENKUlT_SG_SH_SI_E_clIS7_S7_SB_S7_EESF_SV_SG_SH_SI_EUlSV_E_NS1_11comp_targetILNS1_3genE9ELNS1_11target_archE1100ELNS1_3gpuE3ELNS1_3repE0EEENS1_48merge_mergepath_partition_config_static_selectorELNS0_4arch9wavefront6targetE1EEEvSH_, .Lfunc_end1040-_ZN7rocprim17ROCPRIM_400000_NS6detail17trampoline_kernelINS0_14default_configENS1_38merge_sort_block_merge_config_selectorIllEEZZNS1_27merge_sort_block_merge_implIS3_PlN6thrust23THRUST_200600_302600_NS10device_ptrIlEEjNS1_19radix_merge_compareILb0ELb0ElNS0_19identity_decomposerEEEEE10hipError_tT0_T1_T2_jT3_P12ihipStream_tbPNSt15iterator_traitsISG_E10value_typeEPNSM_ISH_E10value_typeEPSI_NS1_7vsmem_tEENKUlT_SG_SH_SI_E_clIS7_S7_SB_S7_EESF_SV_SG_SH_SI_EUlSV_E_NS1_11comp_targetILNS1_3genE9ELNS1_11target_archE1100ELNS1_3gpuE3ELNS1_3repE0EEENS1_48merge_mergepath_partition_config_static_selectorELNS0_4arch9wavefront6targetE1EEEvSH_
                                        ; -- End function
	.set _ZN7rocprim17ROCPRIM_400000_NS6detail17trampoline_kernelINS0_14default_configENS1_38merge_sort_block_merge_config_selectorIllEEZZNS1_27merge_sort_block_merge_implIS3_PlN6thrust23THRUST_200600_302600_NS10device_ptrIlEEjNS1_19radix_merge_compareILb0ELb0ElNS0_19identity_decomposerEEEEE10hipError_tT0_T1_T2_jT3_P12ihipStream_tbPNSt15iterator_traitsISG_E10value_typeEPNSM_ISH_E10value_typeEPSI_NS1_7vsmem_tEENKUlT_SG_SH_SI_E_clIS7_S7_SB_S7_EESF_SV_SG_SH_SI_EUlSV_E_NS1_11comp_targetILNS1_3genE9ELNS1_11target_archE1100ELNS1_3gpuE3ELNS1_3repE0EEENS1_48merge_mergepath_partition_config_static_selectorELNS0_4arch9wavefront6targetE1EEEvSH_.num_vgpr, 0
	.set _ZN7rocprim17ROCPRIM_400000_NS6detail17trampoline_kernelINS0_14default_configENS1_38merge_sort_block_merge_config_selectorIllEEZZNS1_27merge_sort_block_merge_implIS3_PlN6thrust23THRUST_200600_302600_NS10device_ptrIlEEjNS1_19radix_merge_compareILb0ELb0ElNS0_19identity_decomposerEEEEE10hipError_tT0_T1_T2_jT3_P12ihipStream_tbPNSt15iterator_traitsISG_E10value_typeEPNSM_ISH_E10value_typeEPSI_NS1_7vsmem_tEENKUlT_SG_SH_SI_E_clIS7_S7_SB_S7_EESF_SV_SG_SH_SI_EUlSV_E_NS1_11comp_targetILNS1_3genE9ELNS1_11target_archE1100ELNS1_3gpuE3ELNS1_3repE0EEENS1_48merge_mergepath_partition_config_static_selectorELNS0_4arch9wavefront6targetE1EEEvSH_.num_agpr, 0
	.set _ZN7rocprim17ROCPRIM_400000_NS6detail17trampoline_kernelINS0_14default_configENS1_38merge_sort_block_merge_config_selectorIllEEZZNS1_27merge_sort_block_merge_implIS3_PlN6thrust23THRUST_200600_302600_NS10device_ptrIlEEjNS1_19radix_merge_compareILb0ELb0ElNS0_19identity_decomposerEEEEE10hipError_tT0_T1_T2_jT3_P12ihipStream_tbPNSt15iterator_traitsISG_E10value_typeEPNSM_ISH_E10value_typeEPSI_NS1_7vsmem_tEENKUlT_SG_SH_SI_E_clIS7_S7_SB_S7_EESF_SV_SG_SH_SI_EUlSV_E_NS1_11comp_targetILNS1_3genE9ELNS1_11target_archE1100ELNS1_3gpuE3ELNS1_3repE0EEENS1_48merge_mergepath_partition_config_static_selectorELNS0_4arch9wavefront6targetE1EEEvSH_.numbered_sgpr, 0
	.set _ZN7rocprim17ROCPRIM_400000_NS6detail17trampoline_kernelINS0_14default_configENS1_38merge_sort_block_merge_config_selectorIllEEZZNS1_27merge_sort_block_merge_implIS3_PlN6thrust23THRUST_200600_302600_NS10device_ptrIlEEjNS1_19radix_merge_compareILb0ELb0ElNS0_19identity_decomposerEEEEE10hipError_tT0_T1_T2_jT3_P12ihipStream_tbPNSt15iterator_traitsISG_E10value_typeEPNSM_ISH_E10value_typeEPSI_NS1_7vsmem_tEENKUlT_SG_SH_SI_E_clIS7_S7_SB_S7_EESF_SV_SG_SH_SI_EUlSV_E_NS1_11comp_targetILNS1_3genE9ELNS1_11target_archE1100ELNS1_3gpuE3ELNS1_3repE0EEENS1_48merge_mergepath_partition_config_static_selectorELNS0_4arch9wavefront6targetE1EEEvSH_.num_named_barrier, 0
	.set _ZN7rocprim17ROCPRIM_400000_NS6detail17trampoline_kernelINS0_14default_configENS1_38merge_sort_block_merge_config_selectorIllEEZZNS1_27merge_sort_block_merge_implIS3_PlN6thrust23THRUST_200600_302600_NS10device_ptrIlEEjNS1_19radix_merge_compareILb0ELb0ElNS0_19identity_decomposerEEEEE10hipError_tT0_T1_T2_jT3_P12ihipStream_tbPNSt15iterator_traitsISG_E10value_typeEPNSM_ISH_E10value_typeEPSI_NS1_7vsmem_tEENKUlT_SG_SH_SI_E_clIS7_S7_SB_S7_EESF_SV_SG_SH_SI_EUlSV_E_NS1_11comp_targetILNS1_3genE9ELNS1_11target_archE1100ELNS1_3gpuE3ELNS1_3repE0EEENS1_48merge_mergepath_partition_config_static_selectorELNS0_4arch9wavefront6targetE1EEEvSH_.private_seg_size, 0
	.set _ZN7rocprim17ROCPRIM_400000_NS6detail17trampoline_kernelINS0_14default_configENS1_38merge_sort_block_merge_config_selectorIllEEZZNS1_27merge_sort_block_merge_implIS3_PlN6thrust23THRUST_200600_302600_NS10device_ptrIlEEjNS1_19radix_merge_compareILb0ELb0ElNS0_19identity_decomposerEEEEE10hipError_tT0_T1_T2_jT3_P12ihipStream_tbPNSt15iterator_traitsISG_E10value_typeEPNSM_ISH_E10value_typeEPSI_NS1_7vsmem_tEENKUlT_SG_SH_SI_E_clIS7_S7_SB_S7_EESF_SV_SG_SH_SI_EUlSV_E_NS1_11comp_targetILNS1_3genE9ELNS1_11target_archE1100ELNS1_3gpuE3ELNS1_3repE0EEENS1_48merge_mergepath_partition_config_static_selectorELNS0_4arch9wavefront6targetE1EEEvSH_.uses_vcc, 0
	.set _ZN7rocprim17ROCPRIM_400000_NS6detail17trampoline_kernelINS0_14default_configENS1_38merge_sort_block_merge_config_selectorIllEEZZNS1_27merge_sort_block_merge_implIS3_PlN6thrust23THRUST_200600_302600_NS10device_ptrIlEEjNS1_19radix_merge_compareILb0ELb0ElNS0_19identity_decomposerEEEEE10hipError_tT0_T1_T2_jT3_P12ihipStream_tbPNSt15iterator_traitsISG_E10value_typeEPNSM_ISH_E10value_typeEPSI_NS1_7vsmem_tEENKUlT_SG_SH_SI_E_clIS7_S7_SB_S7_EESF_SV_SG_SH_SI_EUlSV_E_NS1_11comp_targetILNS1_3genE9ELNS1_11target_archE1100ELNS1_3gpuE3ELNS1_3repE0EEENS1_48merge_mergepath_partition_config_static_selectorELNS0_4arch9wavefront6targetE1EEEvSH_.uses_flat_scratch, 0
	.set _ZN7rocprim17ROCPRIM_400000_NS6detail17trampoline_kernelINS0_14default_configENS1_38merge_sort_block_merge_config_selectorIllEEZZNS1_27merge_sort_block_merge_implIS3_PlN6thrust23THRUST_200600_302600_NS10device_ptrIlEEjNS1_19radix_merge_compareILb0ELb0ElNS0_19identity_decomposerEEEEE10hipError_tT0_T1_T2_jT3_P12ihipStream_tbPNSt15iterator_traitsISG_E10value_typeEPNSM_ISH_E10value_typeEPSI_NS1_7vsmem_tEENKUlT_SG_SH_SI_E_clIS7_S7_SB_S7_EESF_SV_SG_SH_SI_EUlSV_E_NS1_11comp_targetILNS1_3genE9ELNS1_11target_archE1100ELNS1_3gpuE3ELNS1_3repE0EEENS1_48merge_mergepath_partition_config_static_selectorELNS0_4arch9wavefront6targetE1EEEvSH_.has_dyn_sized_stack, 0
	.set _ZN7rocprim17ROCPRIM_400000_NS6detail17trampoline_kernelINS0_14default_configENS1_38merge_sort_block_merge_config_selectorIllEEZZNS1_27merge_sort_block_merge_implIS3_PlN6thrust23THRUST_200600_302600_NS10device_ptrIlEEjNS1_19radix_merge_compareILb0ELb0ElNS0_19identity_decomposerEEEEE10hipError_tT0_T1_T2_jT3_P12ihipStream_tbPNSt15iterator_traitsISG_E10value_typeEPNSM_ISH_E10value_typeEPSI_NS1_7vsmem_tEENKUlT_SG_SH_SI_E_clIS7_S7_SB_S7_EESF_SV_SG_SH_SI_EUlSV_E_NS1_11comp_targetILNS1_3genE9ELNS1_11target_archE1100ELNS1_3gpuE3ELNS1_3repE0EEENS1_48merge_mergepath_partition_config_static_selectorELNS0_4arch9wavefront6targetE1EEEvSH_.has_recursion, 0
	.set _ZN7rocprim17ROCPRIM_400000_NS6detail17trampoline_kernelINS0_14default_configENS1_38merge_sort_block_merge_config_selectorIllEEZZNS1_27merge_sort_block_merge_implIS3_PlN6thrust23THRUST_200600_302600_NS10device_ptrIlEEjNS1_19radix_merge_compareILb0ELb0ElNS0_19identity_decomposerEEEEE10hipError_tT0_T1_T2_jT3_P12ihipStream_tbPNSt15iterator_traitsISG_E10value_typeEPNSM_ISH_E10value_typeEPSI_NS1_7vsmem_tEENKUlT_SG_SH_SI_E_clIS7_S7_SB_S7_EESF_SV_SG_SH_SI_EUlSV_E_NS1_11comp_targetILNS1_3genE9ELNS1_11target_archE1100ELNS1_3gpuE3ELNS1_3repE0EEENS1_48merge_mergepath_partition_config_static_selectorELNS0_4arch9wavefront6targetE1EEEvSH_.has_indirect_call, 0
	.section	.AMDGPU.csdata,"",@progbits
; Kernel info:
; codeLenInByte = 0
; TotalNumSgprs: 4
; NumVgprs: 0
; ScratchSize: 0
; MemoryBound: 0
; FloatMode: 240
; IeeeMode: 1
; LDSByteSize: 0 bytes/workgroup (compile time only)
; SGPRBlocks: 0
; VGPRBlocks: 0
; NumSGPRsForWavesPerEU: 4
; NumVGPRsForWavesPerEU: 1
; Occupancy: 10
; WaveLimiterHint : 0
; COMPUTE_PGM_RSRC2:SCRATCH_EN: 0
; COMPUTE_PGM_RSRC2:USER_SGPR: 6
; COMPUTE_PGM_RSRC2:TRAP_HANDLER: 0
; COMPUTE_PGM_RSRC2:TGID_X_EN: 1
; COMPUTE_PGM_RSRC2:TGID_Y_EN: 0
; COMPUTE_PGM_RSRC2:TGID_Z_EN: 0
; COMPUTE_PGM_RSRC2:TIDIG_COMP_CNT: 0
	.section	.text._ZN7rocprim17ROCPRIM_400000_NS6detail17trampoline_kernelINS0_14default_configENS1_38merge_sort_block_merge_config_selectorIllEEZZNS1_27merge_sort_block_merge_implIS3_PlN6thrust23THRUST_200600_302600_NS10device_ptrIlEEjNS1_19radix_merge_compareILb0ELb0ElNS0_19identity_decomposerEEEEE10hipError_tT0_T1_T2_jT3_P12ihipStream_tbPNSt15iterator_traitsISG_E10value_typeEPNSM_ISH_E10value_typeEPSI_NS1_7vsmem_tEENKUlT_SG_SH_SI_E_clIS7_S7_SB_S7_EESF_SV_SG_SH_SI_EUlSV_E_NS1_11comp_targetILNS1_3genE8ELNS1_11target_archE1030ELNS1_3gpuE2ELNS1_3repE0EEENS1_48merge_mergepath_partition_config_static_selectorELNS0_4arch9wavefront6targetE1EEEvSH_,"axG",@progbits,_ZN7rocprim17ROCPRIM_400000_NS6detail17trampoline_kernelINS0_14default_configENS1_38merge_sort_block_merge_config_selectorIllEEZZNS1_27merge_sort_block_merge_implIS3_PlN6thrust23THRUST_200600_302600_NS10device_ptrIlEEjNS1_19radix_merge_compareILb0ELb0ElNS0_19identity_decomposerEEEEE10hipError_tT0_T1_T2_jT3_P12ihipStream_tbPNSt15iterator_traitsISG_E10value_typeEPNSM_ISH_E10value_typeEPSI_NS1_7vsmem_tEENKUlT_SG_SH_SI_E_clIS7_S7_SB_S7_EESF_SV_SG_SH_SI_EUlSV_E_NS1_11comp_targetILNS1_3genE8ELNS1_11target_archE1030ELNS1_3gpuE2ELNS1_3repE0EEENS1_48merge_mergepath_partition_config_static_selectorELNS0_4arch9wavefront6targetE1EEEvSH_,comdat
	.protected	_ZN7rocprim17ROCPRIM_400000_NS6detail17trampoline_kernelINS0_14default_configENS1_38merge_sort_block_merge_config_selectorIllEEZZNS1_27merge_sort_block_merge_implIS3_PlN6thrust23THRUST_200600_302600_NS10device_ptrIlEEjNS1_19radix_merge_compareILb0ELb0ElNS0_19identity_decomposerEEEEE10hipError_tT0_T1_T2_jT3_P12ihipStream_tbPNSt15iterator_traitsISG_E10value_typeEPNSM_ISH_E10value_typeEPSI_NS1_7vsmem_tEENKUlT_SG_SH_SI_E_clIS7_S7_SB_S7_EESF_SV_SG_SH_SI_EUlSV_E_NS1_11comp_targetILNS1_3genE8ELNS1_11target_archE1030ELNS1_3gpuE2ELNS1_3repE0EEENS1_48merge_mergepath_partition_config_static_selectorELNS0_4arch9wavefront6targetE1EEEvSH_ ; -- Begin function _ZN7rocprim17ROCPRIM_400000_NS6detail17trampoline_kernelINS0_14default_configENS1_38merge_sort_block_merge_config_selectorIllEEZZNS1_27merge_sort_block_merge_implIS3_PlN6thrust23THRUST_200600_302600_NS10device_ptrIlEEjNS1_19radix_merge_compareILb0ELb0ElNS0_19identity_decomposerEEEEE10hipError_tT0_T1_T2_jT3_P12ihipStream_tbPNSt15iterator_traitsISG_E10value_typeEPNSM_ISH_E10value_typeEPSI_NS1_7vsmem_tEENKUlT_SG_SH_SI_E_clIS7_S7_SB_S7_EESF_SV_SG_SH_SI_EUlSV_E_NS1_11comp_targetILNS1_3genE8ELNS1_11target_archE1030ELNS1_3gpuE2ELNS1_3repE0EEENS1_48merge_mergepath_partition_config_static_selectorELNS0_4arch9wavefront6targetE1EEEvSH_
	.globl	_ZN7rocprim17ROCPRIM_400000_NS6detail17trampoline_kernelINS0_14default_configENS1_38merge_sort_block_merge_config_selectorIllEEZZNS1_27merge_sort_block_merge_implIS3_PlN6thrust23THRUST_200600_302600_NS10device_ptrIlEEjNS1_19radix_merge_compareILb0ELb0ElNS0_19identity_decomposerEEEEE10hipError_tT0_T1_T2_jT3_P12ihipStream_tbPNSt15iterator_traitsISG_E10value_typeEPNSM_ISH_E10value_typeEPSI_NS1_7vsmem_tEENKUlT_SG_SH_SI_E_clIS7_S7_SB_S7_EESF_SV_SG_SH_SI_EUlSV_E_NS1_11comp_targetILNS1_3genE8ELNS1_11target_archE1030ELNS1_3gpuE2ELNS1_3repE0EEENS1_48merge_mergepath_partition_config_static_selectorELNS0_4arch9wavefront6targetE1EEEvSH_
	.p2align	8
	.type	_ZN7rocprim17ROCPRIM_400000_NS6detail17trampoline_kernelINS0_14default_configENS1_38merge_sort_block_merge_config_selectorIllEEZZNS1_27merge_sort_block_merge_implIS3_PlN6thrust23THRUST_200600_302600_NS10device_ptrIlEEjNS1_19radix_merge_compareILb0ELb0ElNS0_19identity_decomposerEEEEE10hipError_tT0_T1_T2_jT3_P12ihipStream_tbPNSt15iterator_traitsISG_E10value_typeEPNSM_ISH_E10value_typeEPSI_NS1_7vsmem_tEENKUlT_SG_SH_SI_E_clIS7_S7_SB_S7_EESF_SV_SG_SH_SI_EUlSV_E_NS1_11comp_targetILNS1_3genE8ELNS1_11target_archE1030ELNS1_3gpuE2ELNS1_3repE0EEENS1_48merge_mergepath_partition_config_static_selectorELNS0_4arch9wavefront6targetE1EEEvSH_,@function
_ZN7rocprim17ROCPRIM_400000_NS6detail17trampoline_kernelINS0_14default_configENS1_38merge_sort_block_merge_config_selectorIllEEZZNS1_27merge_sort_block_merge_implIS3_PlN6thrust23THRUST_200600_302600_NS10device_ptrIlEEjNS1_19radix_merge_compareILb0ELb0ElNS0_19identity_decomposerEEEEE10hipError_tT0_T1_T2_jT3_P12ihipStream_tbPNSt15iterator_traitsISG_E10value_typeEPNSM_ISH_E10value_typeEPSI_NS1_7vsmem_tEENKUlT_SG_SH_SI_E_clIS7_S7_SB_S7_EESF_SV_SG_SH_SI_EUlSV_E_NS1_11comp_targetILNS1_3genE8ELNS1_11target_archE1030ELNS1_3gpuE2ELNS1_3repE0EEENS1_48merge_mergepath_partition_config_static_selectorELNS0_4arch9wavefront6targetE1EEEvSH_: ; @_ZN7rocprim17ROCPRIM_400000_NS6detail17trampoline_kernelINS0_14default_configENS1_38merge_sort_block_merge_config_selectorIllEEZZNS1_27merge_sort_block_merge_implIS3_PlN6thrust23THRUST_200600_302600_NS10device_ptrIlEEjNS1_19radix_merge_compareILb0ELb0ElNS0_19identity_decomposerEEEEE10hipError_tT0_T1_T2_jT3_P12ihipStream_tbPNSt15iterator_traitsISG_E10value_typeEPNSM_ISH_E10value_typeEPSI_NS1_7vsmem_tEENKUlT_SG_SH_SI_E_clIS7_S7_SB_S7_EESF_SV_SG_SH_SI_EUlSV_E_NS1_11comp_targetILNS1_3genE8ELNS1_11target_archE1030ELNS1_3gpuE2ELNS1_3repE0EEENS1_48merge_mergepath_partition_config_static_selectorELNS0_4arch9wavefront6targetE1EEEvSH_
; %bb.0:
	.section	.rodata,"a",@progbits
	.p2align	6, 0x0
	.amdhsa_kernel _ZN7rocprim17ROCPRIM_400000_NS6detail17trampoline_kernelINS0_14default_configENS1_38merge_sort_block_merge_config_selectorIllEEZZNS1_27merge_sort_block_merge_implIS3_PlN6thrust23THRUST_200600_302600_NS10device_ptrIlEEjNS1_19radix_merge_compareILb0ELb0ElNS0_19identity_decomposerEEEEE10hipError_tT0_T1_T2_jT3_P12ihipStream_tbPNSt15iterator_traitsISG_E10value_typeEPNSM_ISH_E10value_typeEPSI_NS1_7vsmem_tEENKUlT_SG_SH_SI_E_clIS7_S7_SB_S7_EESF_SV_SG_SH_SI_EUlSV_E_NS1_11comp_targetILNS1_3genE8ELNS1_11target_archE1030ELNS1_3gpuE2ELNS1_3repE0EEENS1_48merge_mergepath_partition_config_static_selectorELNS0_4arch9wavefront6targetE1EEEvSH_
		.amdhsa_group_segment_fixed_size 0
		.amdhsa_private_segment_fixed_size 0
		.amdhsa_kernarg_size 40
		.amdhsa_user_sgpr_count 6
		.amdhsa_user_sgpr_private_segment_buffer 1
		.amdhsa_user_sgpr_dispatch_ptr 0
		.amdhsa_user_sgpr_queue_ptr 0
		.amdhsa_user_sgpr_kernarg_segment_ptr 1
		.amdhsa_user_sgpr_dispatch_id 0
		.amdhsa_user_sgpr_flat_scratch_init 0
		.amdhsa_user_sgpr_private_segment_size 0
		.amdhsa_uses_dynamic_stack 0
		.amdhsa_system_sgpr_private_segment_wavefront_offset 0
		.amdhsa_system_sgpr_workgroup_id_x 1
		.amdhsa_system_sgpr_workgroup_id_y 0
		.amdhsa_system_sgpr_workgroup_id_z 0
		.amdhsa_system_sgpr_workgroup_info 0
		.amdhsa_system_vgpr_workitem_id 0
		.amdhsa_next_free_vgpr 1
		.amdhsa_next_free_sgpr 0
		.amdhsa_reserve_vcc 0
		.amdhsa_reserve_flat_scratch 0
		.amdhsa_float_round_mode_32 0
		.amdhsa_float_round_mode_16_64 0
		.amdhsa_float_denorm_mode_32 3
		.amdhsa_float_denorm_mode_16_64 3
		.amdhsa_dx10_clamp 1
		.amdhsa_ieee_mode 1
		.amdhsa_fp16_overflow 0
		.amdhsa_exception_fp_ieee_invalid_op 0
		.amdhsa_exception_fp_denorm_src 0
		.amdhsa_exception_fp_ieee_div_zero 0
		.amdhsa_exception_fp_ieee_overflow 0
		.amdhsa_exception_fp_ieee_underflow 0
		.amdhsa_exception_fp_ieee_inexact 0
		.amdhsa_exception_int_div_zero 0
	.end_amdhsa_kernel
	.section	.text._ZN7rocprim17ROCPRIM_400000_NS6detail17trampoline_kernelINS0_14default_configENS1_38merge_sort_block_merge_config_selectorIllEEZZNS1_27merge_sort_block_merge_implIS3_PlN6thrust23THRUST_200600_302600_NS10device_ptrIlEEjNS1_19radix_merge_compareILb0ELb0ElNS0_19identity_decomposerEEEEE10hipError_tT0_T1_T2_jT3_P12ihipStream_tbPNSt15iterator_traitsISG_E10value_typeEPNSM_ISH_E10value_typeEPSI_NS1_7vsmem_tEENKUlT_SG_SH_SI_E_clIS7_S7_SB_S7_EESF_SV_SG_SH_SI_EUlSV_E_NS1_11comp_targetILNS1_3genE8ELNS1_11target_archE1030ELNS1_3gpuE2ELNS1_3repE0EEENS1_48merge_mergepath_partition_config_static_selectorELNS0_4arch9wavefront6targetE1EEEvSH_,"axG",@progbits,_ZN7rocprim17ROCPRIM_400000_NS6detail17trampoline_kernelINS0_14default_configENS1_38merge_sort_block_merge_config_selectorIllEEZZNS1_27merge_sort_block_merge_implIS3_PlN6thrust23THRUST_200600_302600_NS10device_ptrIlEEjNS1_19radix_merge_compareILb0ELb0ElNS0_19identity_decomposerEEEEE10hipError_tT0_T1_T2_jT3_P12ihipStream_tbPNSt15iterator_traitsISG_E10value_typeEPNSM_ISH_E10value_typeEPSI_NS1_7vsmem_tEENKUlT_SG_SH_SI_E_clIS7_S7_SB_S7_EESF_SV_SG_SH_SI_EUlSV_E_NS1_11comp_targetILNS1_3genE8ELNS1_11target_archE1030ELNS1_3gpuE2ELNS1_3repE0EEENS1_48merge_mergepath_partition_config_static_selectorELNS0_4arch9wavefront6targetE1EEEvSH_,comdat
.Lfunc_end1041:
	.size	_ZN7rocprim17ROCPRIM_400000_NS6detail17trampoline_kernelINS0_14default_configENS1_38merge_sort_block_merge_config_selectorIllEEZZNS1_27merge_sort_block_merge_implIS3_PlN6thrust23THRUST_200600_302600_NS10device_ptrIlEEjNS1_19radix_merge_compareILb0ELb0ElNS0_19identity_decomposerEEEEE10hipError_tT0_T1_T2_jT3_P12ihipStream_tbPNSt15iterator_traitsISG_E10value_typeEPNSM_ISH_E10value_typeEPSI_NS1_7vsmem_tEENKUlT_SG_SH_SI_E_clIS7_S7_SB_S7_EESF_SV_SG_SH_SI_EUlSV_E_NS1_11comp_targetILNS1_3genE8ELNS1_11target_archE1030ELNS1_3gpuE2ELNS1_3repE0EEENS1_48merge_mergepath_partition_config_static_selectorELNS0_4arch9wavefront6targetE1EEEvSH_, .Lfunc_end1041-_ZN7rocprim17ROCPRIM_400000_NS6detail17trampoline_kernelINS0_14default_configENS1_38merge_sort_block_merge_config_selectorIllEEZZNS1_27merge_sort_block_merge_implIS3_PlN6thrust23THRUST_200600_302600_NS10device_ptrIlEEjNS1_19radix_merge_compareILb0ELb0ElNS0_19identity_decomposerEEEEE10hipError_tT0_T1_T2_jT3_P12ihipStream_tbPNSt15iterator_traitsISG_E10value_typeEPNSM_ISH_E10value_typeEPSI_NS1_7vsmem_tEENKUlT_SG_SH_SI_E_clIS7_S7_SB_S7_EESF_SV_SG_SH_SI_EUlSV_E_NS1_11comp_targetILNS1_3genE8ELNS1_11target_archE1030ELNS1_3gpuE2ELNS1_3repE0EEENS1_48merge_mergepath_partition_config_static_selectorELNS0_4arch9wavefront6targetE1EEEvSH_
                                        ; -- End function
	.set _ZN7rocprim17ROCPRIM_400000_NS6detail17trampoline_kernelINS0_14default_configENS1_38merge_sort_block_merge_config_selectorIllEEZZNS1_27merge_sort_block_merge_implIS3_PlN6thrust23THRUST_200600_302600_NS10device_ptrIlEEjNS1_19radix_merge_compareILb0ELb0ElNS0_19identity_decomposerEEEEE10hipError_tT0_T1_T2_jT3_P12ihipStream_tbPNSt15iterator_traitsISG_E10value_typeEPNSM_ISH_E10value_typeEPSI_NS1_7vsmem_tEENKUlT_SG_SH_SI_E_clIS7_S7_SB_S7_EESF_SV_SG_SH_SI_EUlSV_E_NS1_11comp_targetILNS1_3genE8ELNS1_11target_archE1030ELNS1_3gpuE2ELNS1_3repE0EEENS1_48merge_mergepath_partition_config_static_selectorELNS0_4arch9wavefront6targetE1EEEvSH_.num_vgpr, 0
	.set _ZN7rocprim17ROCPRIM_400000_NS6detail17trampoline_kernelINS0_14default_configENS1_38merge_sort_block_merge_config_selectorIllEEZZNS1_27merge_sort_block_merge_implIS3_PlN6thrust23THRUST_200600_302600_NS10device_ptrIlEEjNS1_19radix_merge_compareILb0ELb0ElNS0_19identity_decomposerEEEEE10hipError_tT0_T1_T2_jT3_P12ihipStream_tbPNSt15iterator_traitsISG_E10value_typeEPNSM_ISH_E10value_typeEPSI_NS1_7vsmem_tEENKUlT_SG_SH_SI_E_clIS7_S7_SB_S7_EESF_SV_SG_SH_SI_EUlSV_E_NS1_11comp_targetILNS1_3genE8ELNS1_11target_archE1030ELNS1_3gpuE2ELNS1_3repE0EEENS1_48merge_mergepath_partition_config_static_selectorELNS0_4arch9wavefront6targetE1EEEvSH_.num_agpr, 0
	.set _ZN7rocprim17ROCPRIM_400000_NS6detail17trampoline_kernelINS0_14default_configENS1_38merge_sort_block_merge_config_selectorIllEEZZNS1_27merge_sort_block_merge_implIS3_PlN6thrust23THRUST_200600_302600_NS10device_ptrIlEEjNS1_19radix_merge_compareILb0ELb0ElNS0_19identity_decomposerEEEEE10hipError_tT0_T1_T2_jT3_P12ihipStream_tbPNSt15iterator_traitsISG_E10value_typeEPNSM_ISH_E10value_typeEPSI_NS1_7vsmem_tEENKUlT_SG_SH_SI_E_clIS7_S7_SB_S7_EESF_SV_SG_SH_SI_EUlSV_E_NS1_11comp_targetILNS1_3genE8ELNS1_11target_archE1030ELNS1_3gpuE2ELNS1_3repE0EEENS1_48merge_mergepath_partition_config_static_selectorELNS0_4arch9wavefront6targetE1EEEvSH_.numbered_sgpr, 0
	.set _ZN7rocprim17ROCPRIM_400000_NS6detail17trampoline_kernelINS0_14default_configENS1_38merge_sort_block_merge_config_selectorIllEEZZNS1_27merge_sort_block_merge_implIS3_PlN6thrust23THRUST_200600_302600_NS10device_ptrIlEEjNS1_19radix_merge_compareILb0ELb0ElNS0_19identity_decomposerEEEEE10hipError_tT0_T1_T2_jT3_P12ihipStream_tbPNSt15iterator_traitsISG_E10value_typeEPNSM_ISH_E10value_typeEPSI_NS1_7vsmem_tEENKUlT_SG_SH_SI_E_clIS7_S7_SB_S7_EESF_SV_SG_SH_SI_EUlSV_E_NS1_11comp_targetILNS1_3genE8ELNS1_11target_archE1030ELNS1_3gpuE2ELNS1_3repE0EEENS1_48merge_mergepath_partition_config_static_selectorELNS0_4arch9wavefront6targetE1EEEvSH_.num_named_barrier, 0
	.set _ZN7rocprim17ROCPRIM_400000_NS6detail17trampoline_kernelINS0_14default_configENS1_38merge_sort_block_merge_config_selectorIllEEZZNS1_27merge_sort_block_merge_implIS3_PlN6thrust23THRUST_200600_302600_NS10device_ptrIlEEjNS1_19radix_merge_compareILb0ELb0ElNS0_19identity_decomposerEEEEE10hipError_tT0_T1_T2_jT3_P12ihipStream_tbPNSt15iterator_traitsISG_E10value_typeEPNSM_ISH_E10value_typeEPSI_NS1_7vsmem_tEENKUlT_SG_SH_SI_E_clIS7_S7_SB_S7_EESF_SV_SG_SH_SI_EUlSV_E_NS1_11comp_targetILNS1_3genE8ELNS1_11target_archE1030ELNS1_3gpuE2ELNS1_3repE0EEENS1_48merge_mergepath_partition_config_static_selectorELNS0_4arch9wavefront6targetE1EEEvSH_.private_seg_size, 0
	.set _ZN7rocprim17ROCPRIM_400000_NS6detail17trampoline_kernelINS0_14default_configENS1_38merge_sort_block_merge_config_selectorIllEEZZNS1_27merge_sort_block_merge_implIS3_PlN6thrust23THRUST_200600_302600_NS10device_ptrIlEEjNS1_19radix_merge_compareILb0ELb0ElNS0_19identity_decomposerEEEEE10hipError_tT0_T1_T2_jT3_P12ihipStream_tbPNSt15iterator_traitsISG_E10value_typeEPNSM_ISH_E10value_typeEPSI_NS1_7vsmem_tEENKUlT_SG_SH_SI_E_clIS7_S7_SB_S7_EESF_SV_SG_SH_SI_EUlSV_E_NS1_11comp_targetILNS1_3genE8ELNS1_11target_archE1030ELNS1_3gpuE2ELNS1_3repE0EEENS1_48merge_mergepath_partition_config_static_selectorELNS0_4arch9wavefront6targetE1EEEvSH_.uses_vcc, 0
	.set _ZN7rocprim17ROCPRIM_400000_NS6detail17trampoline_kernelINS0_14default_configENS1_38merge_sort_block_merge_config_selectorIllEEZZNS1_27merge_sort_block_merge_implIS3_PlN6thrust23THRUST_200600_302600_NS10device_ptrIlEEjNS1_19radix_merge_compareILb0ELb0ElNS0_19identity_decomposerEEEEE10hipError_tT0_T1_T2_jT3_P12ihipStream_tbPNSt15iterator_traitsISG_E10value_typeEPNSM_ISH_E10value_typeEPSI_NS1_7vsmem_tEENKUlT_SG_SH_SI_E_clIS7_S7_SB_S7_EESF_SV_SG_SH_SI_EUlSV_E_NS1_11comp_targetILNS1_3genE8ELNS1_11target_archE1030ELNS1_3gpuE2ELNS1_3repE0EEENS1_48merge_mergepath_partition_config_static_selectorELNS0_4arch9wavefront6targetE1EEEvSH_.uses_flat_scratch, 0
	.set _ZN7rocprim17ROCPRIM_400000_NS6detail17trampoline_kernelINS0_14default_configENS1_38merge_sort_block_merge_config_selectorIllEEZZNS1_27merge_sort_block_merge_implIS3_PlN6thrust23THRUST_200600_302600_NS10device_ptrIlEEjNS1_19radix_merge_compareILb0ELb0ElNS0_19identity_decomposerEEEEE10hipError_tT0_T1_T2_jT3_P12ihipStream_tbPNSt15iterator_traitsISG_E10value_typeEPNSM_ISH_E10value_typeEPSI_NS1_7vsmem_tEENKUlT_SG_SH_SI_E_clIS7_S7_SB_S7_EESF_SV_SG_SH_SI_EUlSV_E_NS1_11comp_targetILNS1_3genE8ELNS1_11target_archE1030ELNS1_3gpuE2ELNS1_3repE0EEENS1_48merge_mergepath_partition_config_static_selectorELNS0_4arch9wavefront6targetE1EEEvSH_.has_dyn_sized_stack, 0
	.set _ZN7rocprim17ROCPRIM_400000_NS6detail17trampoline_kernelINS0_14default_configENS1_38merge_sort_block_merge_config_selectorIllEEZZNS1_27merge_sort_block_merge_implIS3_PlN6thrust23THRUST_200600_302600_NS10device_ptrIlEEjNS1_19radix_merge_compareILb0ELb0ElNS0_19identity_decomposerEEEEE10hipError_tT0_T1_T2_jT3_P12ihipStream_tbPNSt15iterator_traitsISG_E10value_typeEPNSM_ISH_E10value_typeEPSI_NS1_7vsmem_tEENKUlT_SG_SH_SI_E_clIS7_S7_SB_S7_EESF_SV_SG_SH_SI_EUlSV_E_NS1_11comp_targetILNS1_3genE8ELNS1_11target_archE1030ELNS1_3gpuE2ELNS1_3repE0EEENS1_48merge_mergepath_partition_config_static_selectorELNS0_4arch9wavefront6targetE1EEEvSH_.has_recursion, 0
	.set _ZN7rocprim17ROCPRIM_400000_NS6detail17trampoline_kernelINS0_14default_configENS1_38merge_sort_block_merge_config_selectorIllEEZZNS1_27merge_sort_block_merge_implIS3_PlN6thrust23THRUST_200600_302600_NS10device_ptrIlEEjNS1_19radix_merge_compareILb0ELb0ElNS0_19identity_decomposerEEEEE10hipError_tT0_T1_T2_jT3_P12ihipStream_tbPNSt15iterator_traitsISG_E10value_typeEPNSM_ISH_E10value_typeEPSI_NS1_7vsmem_tEENKUlT_SG_SH_SI_E_clIS7_S7_SB_S7_EESF_SV_SG_SH_SI_EUlSV_E_NS1_11comp_targetILNS1_3genE8ELNS1_11target_archE1030ELNS1_3gpuE2ELNS1_3repE0EEENS1_48merge_mergepath_partition_config_static_selectorELNS0_4arch9wavefront6targetE1EEEvSH_.has_indirect_call, 0
	.section	.AMDGPU.csdata,"",@progbits
; Kernel info:
; codeLenInByte = 0
; TotalNumSgprs: 4
; NumVgprs: 0
; ScratchSize: 0
; MemoryBound: 0
; FloatMode: 240
; IeeeMode: 1
; LDSByteSize: 0 bytes/workgroup (compile time only)
; SGPRBlocks: 0
; VGPRBlocks: 0
; NumSGPRsForWavesPerEU: 4
; NumVGPRsForWavesPerEU: 1
; Occupancy: 10
; WaveLimiterHint : 0
; COMPUTE_PGM_RSRC2:SCRATCH_EN: 0
; COMPUTE_PGM_RSRC2:USER_SGPR: 6
; COMPUTE_PGM_RSRC2:TRAP_HANDLER: 0
; COMPUTE_PGM_RSRC2:TGID_X_EN: 1
; COMPUTE_PGM_RSRC2:TGID_Y_EN: 0
; COMPUTE_PGM_RSRC2:TGID_Z_EN: 0
; COMPUTE_PGM_RSRC2:TIDIG_COMP_CNT: 0
	.section	.text._ZN7rocprim17ROCPRIM_400000_NS6detail17trampoline_kernelINS0_14default_configENS1_38merge_sort_block_merge_config_selectorIllEEZZNS1_27merge_sort_block_merge_implIS3_PlN6thrust23THRUST_200600_302600_NS10device_ptrIlEEjNS1_19radix_merge_compareILb0ELb0ElNS0_19identity_decomposerEEEEE10hipError_tT0_T1_T2_jT3_P12ihipStream_tbPNSt15iterator_traitsISG_E10value_typeEPNSM_ISH_E10value_typeEPSI_NS1_7vsmem_tEENKUlT_SG_SH_SI_E_clIS7_S7_SB_S7_EESF_SV_SG_SH_SI_EUlSV_E0_NS1_11comp_targetILNS1_3genE0ELNS1_11target_archE4294967295ELNS1_3gpuE0ELNS1_3repE0EEENS1_38merge_mergepath_config_static_selectorELNS0_4arch9wavefront6targetE1EEEvSH_,"axG",@progbits,_ZN7rocprim17ROCPRIM_400000_NS6detail17trampoline_kernelINS0_14default_configENS1_38merge_sort_block_merge_config_selectorIllEEZZNS1_27merge_sort_block_merge_implIS3_PlN6thrust23THRUST_200600_302600_NS10device_ptrIlEEjNS1_19radix_merge_compareILb0ELb0ElNS0_19identity_decomposerEEEEE10hipError_tT0_T1_T2_jT3_P12ihipStream_tbPNSt15iterator_traitsISG_E10value_typeEPNSM_ISH_E10value_typeEPSI_NS1_7vsmem_tEENKUlT_SG_SH_SI_E_clIS7_S7_SB_S7_EESF_SV_SG_SH_SI_EUlSV_E0_NS1_11comp_targetILNS1_3genE0ELNS1_11target_archE4294967295ELNS1_3gpuE0ELNS1_3repE0EEENS1_38merge_mergepath_config_static_selectorELNS0_4arch9wavefront6targetE1EEEvSH_,comdat
	.protected	_ZN7rocprim17ROCPRIM_400000_NS6detail17trampoline_kernelINS0_14default_configENS1_38merge_sort_block_merge_config_selectorIllEEZZNS1_27merge_sort_block_merge_implIS3_PlN6thrust23THRUST_200600_302600_NS10device_ptrIlEEjNS1_19radix_merge_compareILb0ELb0ElNS0_19identity_decomposerEEEEE10hipError_tT0_T1_T2_jT3_P12ihipStream_tbPNSt15iterator_traitsISG_E10value_typeEPNSM_ISH_E10value_typeEPSI_NS1_7vsmem_tEENKUlT_SG_SH_SI_E_clIS7_S7_SB_S7_EESF_SV_SG_SH_SI_EUlSV_E0_NS1_11comp_targetILNS1_3genE0ELNS1_11target_archE4294967295ELNS1_3gpuE0ELNS1_3repE0EEENS1_38merge_mergepath_config_static_selectorELNS0_4arch9wavefront6targetE1EEEvSH_ ; -- Begin function _ZN7rocprim17ROCPRIM_400000_NS6detail17trampoline_kernelINS0_14default_configENS1_38merge_sort_block_merge_config_selectorIllEEZZNS1_27merge_sort_block_merge_implIS3_PlN6thrust23THRUST_200600_302600_NS10device_ptrIlEEjNS1_19radix_merge_compareILb0ELb0ElNS0_19identity_decomposerEEEEE10hipError_tT0_T1_T2_jT3_P12ihipStream_tbPNSt15iterator_traitsISG_E10value_typeEPNSM_ISH_E10value_typeEPSI_NS1_7vsmem_tEENKUlT_SG_SH_SI_E_clIS7_S7_SB_S7_EESF_SV_SG_SH_SI_EUlSV_E0_NS1_11comp_targetILNS1_3genE0ELNS1_11target_archE4294967295ELNS1_3gpuE0ELNS1_3repE0EEENS1_38merge_mergepath_config_static_selectorELNS0_4arch9wavefront6targetE1EEEvSH_
	.globl	_ZN7rocprim17ROCPRIM_400000_NS6detail17trampoline_kernelINS0_14default_configENS1_38merge_sort_block_merge_config_selectorIllEEZZNS1_27merge_sort_block_merge_implIS3_PlN6thrust23THRUST_200600_302600_NS10device_ptrIlEEjNS1_19radix_merge_compareILb0ELb0ElNS0_19identity_decomposerEEEEE10hipError_tT0_T1_T2_jT3_P12ihipStream_tbPNSt15iterator_traitsISG_E10value_typeEPNSM_ISH_E10value_typeEPSI_NS1_7vsmem_tEENKUlT_SG_SH_SI_E_clIS7_S7_SB_S7_EESF_SV_SG_SH_SI_EUlSV_E0_NS1_11comp_targetILNS1_3genE0ELNS1_11target_archE4294967295ELNS1_3gpuE0ELNS1_3repE0EEENS1_38merge_mergepath_config_static_selectorELNS0_4arch9wavefront6targetE1EEEvSH_
	.p2align	8
	.type	_ZN7rocprim17ROCPRIM_400000_NS6detail17trampoline_kernelINS0_14default_configENS1_38merge_sort_block_merge_config_selectorIllEEZZNS1_27merge_sort_block_merge_implIS3_PlN6thrust23THRUST_200600_302600_NS10device_ptrIlEEjNS1_19radix_merge_compareILb0ELb0ElNS0_19identity_decomposerEEEEE10hipError_tT0_T1_T2_jT3_P12ihipStream_tbPNSt15iterator_traitsISG_E10value_typeEPNSM_ISH_E10value_typeEPSI_NS1_7vsmem_tEENKUlT_SG_SH_SI_E_clIS7_S7_SB_S7_EESF_SV_SG_SH_SI_EUlSV_E0_NS1_11comp_targetILNS1_3genE0ELNS1_11target_archE4294967295ELNS1_3gpuE0ELNS1_3repE0EEENS1_38merge_mergepath_config_static_selectorELNS0_4arch9wavefront6targetE1EEEvSH_,@function
_ZN7rocprim17ROCPRIM_400000_NS6detail17trampoline_kernelINS0_14default_configENS1_38merge_sort_block_merge_config_selectorIllEEZZNS1_27merge_sort_block_merge_implIS3_PlN6thrust23THRUST_200600_302600_NS10device_ptrIlEEjNS1_19radix_merge_compareILb0ELb0ElNS0_19identity_decomposerEEEEE10hipError_tT0_T1_T2_jT3_P12ihipStream_tbPNSt15iterator_traitsISG_E10value_typeEPNSM_ISH_E10value_typeEPSI_NS1_7vsmem_tEENKUlT_SG_SH_SI_E_clIS7_S7_SB_S7_EESF_SV_SG_SH_SI_EUlSV_E0_NS1_11comp_targetILNS1_3genE0ELNS1_11target_archE4294967295ELNS1_3gpuE0ELNS1_3repE0EEENS1_38merge_mergepath_config_static_selectorELNS0_4arch9wavefront6targetE1EEEvSH_: ; @_ZN7rocprim17ROCPRIM_400000_NS6detail17trampoline_kernelINS0_14default_configENS1_38merge_sort_block_merge_config_selectorIllEEZZNS1_27merge_sort_block_merge_implIS3_PlN6thrust23THRUST_200600_302600_NS10device_ptrIlEEjNS1_19radix_merge_compareILb0ELb0ElNS0_19identity_decomposerEEEEE10hipError_tT0_T1_T2_jT3_P12ihipStream_tbPNSt15iterator_traitsISG_E10value_typeEPNSM_ISH_E10value_typeEPSI_NS1_7vsmem_tEENKUlT_SG_SH_SI_E_clIS7_S7_SB_S7_EESF_SV_SG_SH_SI_EUlSV_E0_NS1_11comp_targetILNS1_3genE0ELNS1_11target_archE4294967295ELNS1_3gpuE0ELNS1_3repE0EEENS1_38merge_mergepath_config_static_selectorELNS0_4arch9wavefront6targetE1EEEvSH_
; %bb.0:
	.section	.rodata,"a",@progbits
	.p2align	6, 0x0
	.amdhsa_kernel _ZN7rocprim17ROCPRIM_400000_NS6detail17trampoline_kernelINS0_14default_configENS1_38merge_sort_block_merge_config_selectorIllEEZZNS1_27merge_sort_block_merge_implIS3_PlN6thrust23THRUST_200600_302600_NS10device_ptrIlEEjNS1_19radix_merge_compareILb0ELb0ElNS0_19identity_decomposerEEEEE10hipError_tT0_T1_T2_jT3_P12ihipStream_tbPNSt15iterator_traitsISG_E10value_typeEPNSM_ISH_E10value_typeEPSI_NS1_7vsmem_tEENKUlT_SG_SH_SI_E_clIS7_S7_SB_S7_EESF_SV_SG_SH_SI_EUlSV_E0_NS1_11comp_targetILNS1_3genE0ELNS1_11target_archE4294967295ELNS1_3gpuE0ELNS1_3repE0EEENS1_38merge_mergepath_config_static_selectorELNS0_4arch9wavefront6targetE1EEEvSH_
		.amdhsa_group_segment_fixed_size 0
		.amdhsa_private_segment_fixed_size 0
		.amdhsa_kernarg_size 64
		.amdhsa_user_sgpr_count 6
		.amdhsa_user_sgpr_private_segment_buffer 1
		.amdhsa_user_sgpr_dispatch_ptr 0
		.amdhsa_user_sgpr_queue_ptr 0
		.amdhsa_user_sgpr_kernarg_segment_ptr 1
		.amdhsa_user_sgpr_dispatch_id 0
		.amdhsa_user_sgpr_flat_scratch_init 0
		.amdhsa_user_sgpr_private_segment_size 0
		.amdhsa_uses_dynamic_stack 0
		.amdhsa_system_sgpr_private_segment_wavefront_offset 0
		.amdhsa_system_sgpr_workgroup_id_x 1
		.amdhsa_system_sgpr_workgroup_id_y 0
		.amdhsa_system_sgpr_workgroup_id_z 0
		.amdhsa_system_sgpr_workgroup_info 0
		.amdhsa_system_vgpr_workitem_id 0
		.amdhsa_next_free_vgpr 1
		.amdhsa_next_free_sgpr 0
		.amdhsa_reserve_vcc 0
		.amdhsa_reserve_flat_scratch 0
		.amdhsa_float_round_mode_32 0
		.amdhsa_float_round_mode_16_64 0
		.amdhsa_float_denorm_mode_32 3
		.amdhsa_float_denorm_mode_16_64 3
		.amdhsa_dx10_clamp 1
		.amdhsa_ieee_mode 1
		.amdhsa_fp16_overflow 0
		.amdhsa_exception_fp_ieee_invalid_op 0
		.amdhsa_exception_fp_denorm_src 0
		.amdhsa_exception_fp_ieee_div_zero 0
		.amdhsa_exception_fp_ieee_overflow 0
		.amdhsa_exception_fp_ieee_underflow 0
		.amdhsa_exception_fp_ieee_inexact 0
		.amdhsa_exception_int_div_zero 0
	.end_amdhsa_kernel
	.section	.text._ZN7rocprim17ROCPRIM_400000_NS6detail17trampoline_kernelINS0_14default_configENS1_38merge_sort_block_merge_config_selectorIllEEZZNS1_27merge_sort_block_merge_implIS3_PlN6thrust23THRUST_200600_302600_NS10device_ptrIlEEjNS1_19radix_merge_compareILb0ELb0ElNS0_19identity_decomposerEEEEE10hipError_tT0_T1_T2_jT3_P12ihipStream_tbPNSt15iterator_traitsISG_E10value_typeEPNSM_ISH_E10value_typeEPSI_NS1_7vsmem_tEENKUlT_SG_SH_SI_E_clIS7_S7_SB_S7_EESF_SV_SG_SH_SI_EUlSV_E0_NS1_11comp_targetILNS1_3genE0ELNS1_11target_archE4294967295ELNS1_3gpuE0ELNS1_3repE0EEENS1_38merge_mergepath_config_static_selectorELNS0_4arch9wavefront6targetE1EEEvSH_,"axG",@progbits,_ZN7rocprim17ROCPRIM_400000_NS6detail17trampoline_kernelINS0_14default_configENS1_38merge_sort_block_merge_config_selectorIllEEZZNS1_27merge_sort_block_merge_implIS3_PlN6thrust23THRUST_200600_302600_NS10device_ptrIlEEjNS1_19radix_merge_compareILb0ELb0ElNS0_19identity_decomposerEEEEE10hipError_tT0_T1_T2_jT3_P12ihipStream_tbPNSt15iterator_traitsISG_E10value_typeEPNSM_ISH_E10value_typeEPSI_NS1_7vsmem_tEENKUlT_SG_SH_SI_E_clIS7_S7_SB_S7_EESF_SV_SG_SH_SI_EUlSV_E0_NS1_11comp_targetILNS1_3genE0ELNS1_11target_archE4294967295ELNS1_3gpuE0ELNS1_3repE0EEENS1_38merge_mergepath_config_static_selectorELNS0_4arch9wavefront6targetE1EEEvSH_,comdat
.Lfunc_end1042:
	.size	_ZN7rocprim17ROCPRIM_400000_NS6detail17trampoline_kernelINS0_14default_configENS1_38merge_sort_block_merge_config_selectorIllEEZZNS1_27merge_sort_block_merge_implIS3_PlN6thrust23THRUST_200600_302600_NS10device_ptrIlEEjNS1_19radix_merge_compareILb0ELb0ElNS0_19identity_decomposerEEEEE10hipError_tT0_T1_T2_jT3_P12ihipStream_tbPNSt15iterator_traitsISG_E10value_typeEPNSM_ISH_E10value_typeEPSI_NS1_7vsmem_tEENKUlT_SG_SH_SI_E_clIS7_S7_SB_S7_EESF_SV_SG_SH_SI_EUlSV_E0_NS1_11comp_targetILNS1_3genE0ELNS1_11target_archE4294967295ELNS1_3gpuE0ELNS1_3repE0EEENS1_38merge_mergepath_config_static_selectorELNS0_4arch9wavefront6targetE1EEEvSH_, .Lfunc_end1042-_ZN7rocprim17ROCPRIM_400000_NS6detail17trampoline_kernelINS0_14default_configENS1_38merge_sort_block_merge_config_selectorIllEEZZNS1_27merge_sort_block_merge_implIS3_PlN6thrust23THRUST_200600_302600_NS10device_ptrIlEEjNS1_19radix_merge_compareILb0ELb0ElNS0_19identity_decomposerEEEEE10hipError_tT0_T1_T2_jT3_P12ihipStream_tbPNSt15iterator_traitsISG_E10value_typeEPNSM_ISH_E10value_typeEPSI_NS1_7vsmem_tEENKUlT_SG_SH_SI_E_clIS7_S7_SB_S7_EESF_SV_SG_SH_SI_EUlSV_E0_NS1_11comp_targetILNS1_3genE0ELNS1_11target_archE4294967295ELNS1_3gpuE0ELNS1_3repE0EEENS1_38merge_mergepath_config_static_selectorELNS0_4arch9wavefront6targetE1EEEvSH_
                                        ; -- End function
	.set _ZN7rocprim17ROCPRIM_400000_NS6detail17trampoline_kernelINS0_14default_configENS1_38merge_sort_block_merge_config_selectorIllEEZZNS1_27merge_sort_block_merge_implIS3_PlN6thrust23THRUST_200600_302600_NS10device_ptrIlEEjNS1_19radix_merge_compareILb0ELb0ElNS0_19identity_decomposerEEEEE10hipError_tT0_T1_T2_jT3_P12ihipStream_tbPNSt15iterator_traitsISG_E10value_typeEPNSM_ISH_E10value_typeEPSI_NS1_7vsmem_tEENKUlT_SG_SH_SI_E_clIS7_S7_SB_S7_EESF_SV_SG_SH_SI_EUlSV_E0_NS1_11comp_targetILNS1_3genE0ELNS1_11target_archE4294967295ELNS1_3gpuE0ELNS1_3repE0EEENS1_38merge_mergepath_config_static_selectorELNS0_4arch9wavefront6targetE1EEEvSH_.num_vgpr, 0
	.set _ZN7rocprim17ROCPRIM_400000_NS6detail17trampoline_kernelINS0_14default_configENS1_38merge_sort_block_merge_config_selectorIllEEZZNS1_27merge_sort_block_merge_implIS3_PlN6thrust23THRUST_200600_302600_NS10device_ptrIlEEjNS1_19radix_merge_compareILb0ELb0ElNS0_19identity_decomposerEEEEE10hipError_tT0_T1_T2_jT3_P12ihipStream_tbPNSt15iterator_traitsISG_E10value_typeEPNSM_ISH_E10value_typeEPSI_NS1_7vsmem_tEENKUlT_SG_SH_SI_E_clIS7_S7_SB_S7_EESF_SV_SG_SH_SI_EUlSV_E0_NS1_11comp_targetILNS1_3genE0ELNS1_11target_archE4294967295ELNS1_3gpuE0ELNS1_3repE0EEENS1_38merge_mergepath_config_static_selectorELNS0_4arch9wavefront6targetE1EEEvSH_.num_agpr, 0
	.set _ZN7rocprim17ROCPRIM_400000_NS6detail17trampoline_kernelINS0_14default_configENS1_38merge_sort_block_merge_config_selectorIllEEZZNS1_27merge_sort_block_merge_implIS3_PlN6thrust23THRUST_200600_302600_NS10device_ptrIlEEjNS1_19radix_merge_compareILb0ELb0ElNS0_19identity_decomposerEEEEE10hipError_tT0_T1_T2_jT3_P12ihipStream_tbPNSt15iterator_traitsISG_E10value_typeEPNSM_ISH_E10value_typeEPSI_NS1_7vsmem_tEENKUlT_SG_SH_SI_E_clIS7_S7_SB_S7_EESF_SV_SG_SH_SI_EUlSV_E0_NS1_11comp_targetILNS1_3genE0ELNS1_11target_archE4294967295ELNS1_3gpuE0ELNS1_3repE0EEENS1_38merge_mergepath_config_static_selectorELNS0_4arch9wavefront6targetE1EEEvSH_.numbered_sgpr, 0
	.set _ZN7rocprim17ROCPRIM_400000_NS6detail17trampoline_kernelINS0_14default_configENS1_38merge_sort_block_merge_config_selectorIllEEZZNS1_27merge_sort_block_merge_implIS3_PlN6thrust23THRUST_200600_302600_NS10device_ptrIlEEjNS1_19radix_merge_compareILb0ELb0ElNS0_19identity_decomposerEEEEE10hipError_tT0_T1_T2_jT3_P12ihipStream_tbPNSt15iterator_traitsISG_E10value_typeEPNSM_ISH_E10value_typeEPSI_NS1_7vsmem_tEENKUlT_SG_SH_SI_E_clIS7_S7_SB_S7_EESF_SV_SG_SH_SI_EUlSV_E0_NS1_11comp_targetILNS1_3genE0ELNS1_11target_archE4294967295ELNS1_3gpuE0ELNS1_3repE0EEENS1_38merge_mergepath_config_static_selectorELNS0_4arch9wavefront6targetE1EEEvSH_.num_named_barrier, 0
	.set _ZN7rocprim17ROCPRIM_400000_NS6detail17trampoline_kernelINS0_14default_configENS1_38merge_sort_block_merge_config_selectorIllEEZZNS1_27merge_sort_block_merge_implIS3_PlN6thrust23THRUST_200600_302600_NS10device_ptrIlEEjNS1_19radix_merge_compareILb0ELb0ElNS0_19identity_decomposerEEEEE10hipError_tT0_T1_T2_jT3_P12ihipStream_tbPNSt15iterator_traitsISG_E10value_typeEPNSM_ISH_E10value_typeEPSI_NS1_7vsmem_tEENKUlT_SG_SH_SI_E_clIS7_S7_SB_S7_EESF_SV_SG_SH_SI_EUlSV_E0_NS1_11comp_targetILNS1_3genE0ELNS1_11target_archE4294967295ELNS1_3gpuE0ELNS1_3repE0EEENS1_38merge_mergepath_config_static_selectorELNS0_4arch9wavefront6targetE1EEEvSH_.private_seg_size, 0
	.set _ZN7rocprim17ROCPRIM_400000_NS6detail17trampoline_kernelINS0_14default_configENS1_38merge_sort_block_merge_config_selectorIllEEZZNS1_27merge_sort_block_merge_implIS3_PlN6thrust23THRUST_200600_302600_NS10device_ptrIlEEjNS1_19radix_merge_compareILb0ELb0ElNS0_19identity_decomposerEEEEE10hipError_tT0_T1_T2_jT3_P12ihipStream_tbPNSt15iterator_traitsISG_E10value_typeEPNSM_ISH_E10value_typeEPSI_NS1_7vsmem_tEENKUlT_SG_SH_SI_E_clIS7_S7_SB_S7_EESF_SV_SG_SH_SI_EUlSV_E0_NS1_11comp_targetILNS1_3genE0ELNS1_11target_archE4294967295ELNS1_3gpuE0ELNS1_3repE0EEENS1_38merge_mergepath_config_static_selectorELNS0_4arch9wavefront6targetE1EEEvSH_.uses_vcc, 0
	.set _ZN7rocprim17ROCPRIM_400000_NS6detail17trampoline_kernelINS0_14default_configENS1_38merge_sort_block_merge_config_selectorIllEEZZNS1_27merge_sort_block_merge_implIS3_PlN6thrust23THRUST_200600_302600_NS10device_ptrIlEEjNS1_19radix_merge_compareILb0ELb0ElNS0_19identity_decomposerEEEEE10hipError_tT0_T1_T2_jT3_P12ihipStream_tbPNSt15iterator_traitsISG_E10value_typeEPNSM_ISH_E10value_typeEPSI_NS1_7vsmem_tEENKUlT_SG_SH_SI_E_clIS7_S7_SB_S7_EESF_SV_SG_SH_SI_EUlSV_E0_NS1_11comp_targetILNS1_3genE0ELNS1_11target_archE4294967295ELNS1_3gpuE0ELNS1_3repE0EEENS1_38merge_mergepath_config_static_selectorELNS0_4arch9wavefront6targetE1EEEvSH_.uses_flat_scratch, 0
	.set _ZN7rocprim17ROCPRIM_400000_NS6detail17trampoline_kernelINS0_14default_configENS1_38merge_sort_block_merge_config_selectorIllEEZZNS1_27merge_sort_block_merge_implIS3_PlN6thrust23THRUST_200600_302600_NS10device_ptrIlEEjNS1_19radix_merge_compareILb0ELb0ElNS0_19identity_decomposerEEEEE10hipError_tT0_T1_T2_jT3_P12ihipStream_tbPNSt15iterator_traitsISG_E10value_typeEPNSM_ISH_E10value_typeEPSI_NS1_7vsmem_tEENKUlT_SG_SH_SI_E_clIS7_S7_SB_S7_EESF_SV_SG_SH_SI_EUlSV_E0_NS1_11comp_targetILNS1_3genE0ELNS1_11target_archE4294967295ELNS1_3gpuE0ELNS1_3repE0EEENS1_38merge_mergepath_config_static_selectorELNS0_4arch9wavefront6targetE1EEEvSH_.has_dyn_sized_stack, 0
	.set _ZN7rocprim17ROCPRIM_400000_NS6detail17trampoline_kernelINS0_14default_configENS1_38merge_sort_block_merge_config_selectorIllEEZZNS1_27merge_sort_block_merge_implIS3_PlN6thrust23THRUST_200600_302600_NS10device_ptrIlEEjNS1_19radix_merge_compareILb0ELb0ElNS0_19identity_decomposerEEEEE10hipError_tT0_T1_T2_jT3_P12ihipStream_tbPNSt15iterator_traitsISG_E10value_typeEPNSM_ISH_E10value_typeEPSI_NS1_7vsmem_tEENKUlT_SG_SH_SI_E_clIS7_S7_SB_S7_EESF_SV_SG_SH_SI_EUlSV_E0_NS1_11comp_targetILNS1_3genE0ELNS1_11target_archE4294967295ELNS1_3gpuE0ELNS1_3repE0EEENS1_38merge_mergepath_config_static_selectorELNS0_4arch9wavefront6targetE1EEEvSH_.has_recursion, 0
	.set _ZN7rocprim17ROCPRIM_400000_NS6detail17trampoline_kernelINS0_14default_configENS1_38merge_sort_block_merge_config_selectorIllEEZZNS1_27merge_sort_block_merge_implIS3_PlN6thrust23THRUST_200600_302600_NS10device_ptrIlEEjNS1_19radix_merge_compareILb0ELb0ElNS0_19identity_decomposerEEEEE10hipError_tT0_T1_T2_jT3_P12ihipStream_tbPNSt15iterator_traitsISG_E10value_typeEPNSM_ISH_E10value_typeEPSI_NS1_7vsmem_tEENKUlT_SG_SH_SI_E_clIS7_S7_SB_S7_EESF_SV_SG_SH_SI_EUlSV_E0_NS1_11comp_targetILNS1_3genE0ELNS1_11target_archE4294967295ELNS1_3gpuE0ELNS1_3repE0EEENS1_38merge_mergepath_config_static_selectorELNS0_4arch9wavefront6targetE1EEEvSH_.has_indirect_call, 0
	.section	.AMDGPU.csdata,"",@progbits
; Kernel info:
; codeLenInByte = 0
; TotalNumSgprs: 4
; NumVgprs: 0
; ScratchSize: 0
; MemoryBound: 0
; FloatMode: 240
; IeeeMode: 1
; LDSByteSize: 0 bytes/workgroup (compile time only)
; SGPRBlocks: 0
; VGPRBlocks: 0
; NumSGPRsForWavesPerEU: 4
; NumVGPRsForWavesPerEU: 1
; Occupancy: 10
; WaveLimiterHint : 0
; COMPUTE_PGM_RSRC2:SCRATCH_EN: 0
; COMPUTE_PGM_RSRC2:USER_SGPR: 6
; COMPUTE_PGM_RSRC2:TRAP_HANDLER: 0
; COMPUTE_PGM_RSRC2:TGID_X_EN: 1
; COMPUTE_PGM_RSRC2:TGID_Y_EN: 0
; COMPUTE_PGM_RSRC2:TGID_Z_EN: 0
; COMPUTE_PGM_RSRC2:TIDIG_COMP_CNT: 0
	.section	.text._ZN7rocprim17ROCPRIM_400000_NS6detail17trampoline_kernelINS0_14default_configENS1_38merge_sort_block_merge_config_selectorIllEEZZNS1_27merge_sort_block_merge_implIS3_PlN6thrust23THRUST_200600_302600_NS10device_ptrIlEEjNS1_19radix_merge_compareILb0ELb0ElNS0_19identity_decomposerEEEEE10hipError_tT0_T1_T2_jT3_P12ihipStream_tbPNSt15iterator_traitsISG_E10value_typeEPNSM_ISH_E10value_typeEPSI_NS1_7vsmem_tEENKUlT_SG_SH_SI_E_clIS7_S7_SB_S7_EESF_SV_SG_SH_SI_EUlSV_E0_NS1_11comp_targetILNS1_3genE10ELNS1_11target_archE1201ELNS1_3gpuE5ELNS1_3repE0EEENS1_38merge_mergepath_config_static_selectorELNS0_4arch9wavefront6targetE1EEEvSH_,"axG",@progbits,_ZN7rocprim17ROCPRIM_400000_NS6detail17trampoline_kernelINS0_14default_configENS1_38merge_sort_block_merge_config_selectorIllEEZZNS1_27merge_sort_block_merge_implIS3_PlN6thrust23THRUST_200600_302600_NS10device_ptrIlEEjNS1_19radix_merge_compareILb0ELb0ElNS0_19identity_decomposerEEEEE10hipError_tT0_T1_T2_jT3_P12ihipStream_tbPNSt15iterator_traitsISG_E10value_typeEPNSM_ISH_E10value_typeEPSI_NS1_7vsmem_tEENKUlT_SG_SH_SI_E_clIS7_S7_SB_S7_EESF_SV_SG_SH_SI_EUlSV_E0_NS1_11comp_targetILNS1_3genE10ELNS1_11target_archE1201ELNS1_3gpuE5ELNS1_3repE0EEENS1_38merge_mergepath_config_static_selectorELNS0_4arch9wavefront6targetE1EEEvSH_,comdat
	.protected	_ZN7rocprim17ROCPRIM_400000_NS6detail17trampoline_kernelINS0_14default_configENS1_38merge_sort_block_merge_config_selectorIllEEZZNS1_27merge_sort_block_merge_implIS3_PlN6thrust23THRUST_200600_302600_NS10device_ptrIlEEjNS1_19radix_merge_compareILb0ELb0ElNS0_19identity_decomposerEEEEE10hipError_tT0_T1_T2_jT3_P12ihipStream_tbPNSt15iterator_traitsISG_E10value_typeEPNSM_ISH_E10value_typeEPSI_NS1_7vsmem_tEENKUlT_SG_SH_SI_E_clIS7_S7_SB_S7_EESF_SV_SG_SH_SI_EUlSV_E0_NS1_11comp_targetILNS1_3genE10ELNS1_11target_archE1201ELNS1_3gpuE5ELNS1_3repE0EEENS1_38merge_mergepath_config_static_selectorELNS0_4arch9wavefront6targetE1EEEvSH_ ; -- Begin function _ZN7rocprim17ROCPRIM_400000_NS6detail17trampoline_kernelINS0_14default_configENS1_38merge_sort_block_merge_config_selectorIllEEZZNS1_27merge_sort_block_merge_implIS3_PlN6thrust23THRUST_200600_302600_NS10device_ptrIlEEjNS1_19radix_merge_compareILb0ELb0ElNS0_19identity_decomposerEEEEE10hipError_tT0_T1_T2_jT3_P12ihipStream_tbPNSt15iterator_traitsISG_E10value_typeEPNSM_ISH_E10value_typeEPSI_NS1_7vsmem_tEENKUlT_SG_SH_SI_E_clIS7_S7_SB_S7_EESF_SV_SG_SH_SI_EUlSV_E0_NS1_11comp_targetILNS1_3genE10ELNS1_11target_archE1201ELNS1_3gpuE5ELNS1_3repE0EEENS1_38merge_mergepath_config_static_selectorELNS0_4arch9wavefront6targetE1EEEvSH_
	.globl	_ZN7rocprim17ROCPRIM_400000_NS6detail17trampoline_kernelINS0_14default_configENS1_38merge_sort_block_merge_config_selectorIllEEZZNS1_27merge_sort_block_merge_implIS3_PlN6thrust23THRUST_200600_302600_NS10device_ptrIlEEjNS1_19radix_merge_compareILb0ELb0ElNS0_19identity_decomposerEEEEE10hipError_tT0_T1_T2_jT3_P12ihipStream_tbPNSt15iterator_traitsISG_E10value_typeEPNSM_ISH_E10value_typeEPSI_NS1_7vsmem_tEENKUlT_SG_SH_SI_E_clIS7_S7_SB_S7_EESF_SV_SG_SH_SI_EUlSV_E0_NS1_11comp_targetILNS1_3genE10ELNS1_11target_archE1201ELNS1_3gpuE5ELNS1_3repE0EEENS1_38merge_mergepath_config_static_selectorELNS0_4arch9wavefront6targetE1EEEvSH_
	.p2align	8
	.type	_ZN7rocprim17ROCPRIM_400000_NS6detail17trampoline_kernelINS0_14default_configENS1_38merge_sort_block_merge_config_selectorIllEEZZNS1_27merge_sort_block_merge_implIS3_PlN6thrust23THRUST_200600_302600_NS10device_ptrIlEEjNS1_19radix_merge_compareILb0ELb0ElNS0_19identity_decomposerEEEEE10hipError_tT0_T1_T2_jT3_P12ihipStream_tbPNSt15iterator_traitsISG_E10value_typeEPNSM_ISH_E10value_typeEPSI_NS1_7vsmem_tEENKUlT_SG_SH_SI_E_clIS7_S7_SB_S7_EESF_SV_SG_SH_SI_EUlSV_E0_NS1_11comp_targetILNS1_3genE10ELNS1_11target_archE1201ELNS1_3gpuE5ELNS1_3repE0EEENS1_38merge_mergepath_config_static_selectorELNS0_4arch9wavefront6targetE1EEEvSH_,@function
_ZN7rocprim17ROCPRIM_400000_NS6detail17trampoline_kernelINS0_14default_configENS1_38merge_sort_block_merge_config_selectorIllEEZZNS1_27merge_sort_block_merge_implIS3_PlN6thrust23THRUST_200600_302600_NS10device_ptrIlEEjNS1_19radix_merge_compareILb0ELb0ElNS0_19identity_decomposerEEEEE10hipError_tT0_T1_T2_jT3_P12ihipStream_tbPNSt15iterator_traitsISG_E10value_typeEPNSM_ISH_E10value_typeEPSI_NS1_7vsmem_tEENKUlT_SG_SH_SI_E_clIS7_S7_SB_S7_EESF_SV_SG_SH_SI_EUlSV_E0_NS1_11comp_targetILNS1_3genE10ELNS1_11target_archE1201ELNS1_3gpuE5ELNS1_3repE0EEENS1_38merge_mergepath_config_static_selectorELNS0_4arch9wavefront6targetE1EEEvSH_: ; @_ZN7rocprim17ROCPRIM_400000_NS6detail17trampoline_kernelINS0_14default_configENS1_38merge_sort_block_merge_config_selectorIllEEZZNS1_27merge_sort_block_merge_implIS3_PlN6thrust23THRUST_200600_302600_NS10device_ptrIlEEjNS1_19radix_merge_compareILb0ELb0ElNS0_19identity_decomposerEEEEE10hipError_tT0_T1_T2_jT3_P12ihipStream_tbPNSt15iterator_traitsISG_E10value_typeEPNSM_ISH_E10value_typeEPSI_NS1_7vsmem_tEENKUlT_SG_SH_SI_E_clIS7_S7_SB_S7_EESF_SV_SG_SH_SI_EUlSV_E0_NS1_11comp_targetILNS1_3genE10ELNS1_11target_archE1201ELNS1_3gpuE5ELNS1_3repE0EEENS1_38merge_mergepath_config_static_selectorELNS0_4arch9wavefront6targetE1EEEvSH_
; %bb.0:
	.section	.rodata,"a",@progbits
	.p2align	6, 0x0
	.amdhsa_kernel _ZN7rocprim17ROCPRIM_400000_NS6detail17trampoline_kernelINS0_14default_configENS1_38merge_sort_block_merge_config_selectorIllEEZZNS1_27merge_sort_block_merge_implIS3_PlN6thrust23THRUST_200600_302600_NS10device_ptrIlEEjNS1_19radix_merge_compareILb0ELb0ElNS0_19identity_decomposerEEEEE10hipError_tT0_T1_T2_jT3_P12ihipStream_tbPNSt15iterator_traitsISG_E10value_typeEPNSM_ISH_E10value_typeEPSI_NS1_7vsmem_tEENKUlT_SG_SH_SI_E_clIS7_S7_SB_S7_EESF_SV_SG_SH_SI_EUlSV_E0_NS1_11comp_targetILNS1_3genE10ELNS1_11target_archE1201ELNS1_3gpuE5ELNS1_3repE0EEENS1_38merge_mergepath_config_static_selectorELNS0_4arch9wavefront6targetE1EEEvSH_
		.amdhsa_group_segment_fixed_size 0
		.amdhsa_private_segment_fixed_size 0
		.amdhsa_kernarg_size 64
		.amdhsa_user_sgpr_count 6
		.amdhsa_user_sgpr_private_segment_buffer 1
		.amdhsa_user_sgpr_dispatch_ptr 0
		.amdhsa_user_sgpr_queue_ptr 0
		.amdhsa_user_sgpr_kernarg_segment_ptr 1
		.amdhsa_user_sgpr_dispatch_id 0
		.amdhsa_user_sgpr_flat_scratch_init 0
		.amdhsa_user_sgpr_private_segment_size 0
		.amdhsa_uses_dynamic_stack 0
		.amdhsa_system_sgpr_private_segment_wavefront_offset 0
		.amdhsa_system_sgpr_workgroup_id_x 1
		.amdhsa_system_sgpr_workgroup_id_y 0
		.amdhsa_system_sgpr_workgroup_id_z 0
		.amdhsa_system_sgpr_workgroup_info 0
		.amdhsa_system_vgpr_workitem_id 0
		.amdhsa_next_free_vgpr 1
		.amdhsa_next_free_sgpr 0
		.amdhsa_reserve_vcc 0
		.amdhsa_reserve_flat_scratch 0
		.amdhsa_float_round_mode_32 0
		.amdhsa_float_round_mode_16_64 0
		.amdhsa_float_denorm_mode_32 3
		.amdhsa_float_denorm_mode_16_64 3
		.amdhsa_dx10_clamp 1
		.amdhsa_ieee_mode 1
		.amdhsa_fp16_overflow 0
		.amdhsa_exception_fp_ieee_invalid_op 0
		.amdhsa_exception_fp_denorm_src 0
		.amdhsa_exception_fp_ieee_div_zero 0
		.amdhsa_exception_fp_ieee_overflow 0
		.amdhsa_exception_fp_ieee_underflow 0
		.amdhsa_exception_fp_ieee_inexact 0
		.amdhsa_exception_int_div_zero 0
	.end_amdhsa_kernel
	.section	.text._ZN7rocprim17ROCPRIM_400000_NS6detail17trampoline_kernelINS0_14default_configENS1_38merge_sort_block_merge_config_selectorIllEEZZNS1_27merge_sort_block_merge_implIS3_PlN6thrust23THRUST_200600_302600_NS10device_ptrIlEEjNS1_19radix_merge_compareILb0ELb0ElNS0_19identity_decomposerEEEEE10hipError_tT0_T1_T2_jT3_P12ihipStream_tbPNSt15iterator_traitsISG_E10value_typeEPNSM_ISH_E10value_typeEPSI_NS1_7vsmem_tEENKUlT_SG_SH_SI_E_clIS7_S7_SB_S7_EESF_SV_SG_SH_SI_EUlSV_E0_NS1_11comp_targetILNS1_3genE10ELNS1_11target_archE1201ELNS1_3gpuE5ELNS1_3repE0EEENS1_38merge_mergepath_config_static_selectorELNS0_4arch9wavefront6targetE1EEEvSH_,"axG",@progbits,_ZN7rocprim17ROCPRIM_400000_NS6detail17trampoline_kernelINS0_14default_configENS1_38merge_sort_block_merge_config_selectorIllEEZZNS1_27merge_sort_block_merge_implIS3_PlN6thrust23THRUST_200600_302600_NS10device_ptrIlEEjNS1_19radix_merge_compareILb0ELb0ElNS0_19identity_decomposerEEEEE10hipError_tT0_T1_T2_jT3_P12ihipStream_tbPNSt15iterator_traitsISG_E10value_typeEPNSM_ISH_E10value_typeEPSI_NS1_7vsmem_tEENKUlT_SG_SH_SI_E_clIS7_S7_SB_S7_EESF_SV_SG_SH_SI_EUlSV_E0_NS1_11comp_targetILNS1_3genE10ELNS1_11target_archE1201ELNS1_3gpuE5ELNS1_3repE0EEENS1_38merge_mergepath_config_static_selectorELNS0_4arch9wavefront6targetE1EEEvSH_,comdat
.Lfunc_end1043:
	.size	_ZN7rocprim17ROCPRIM_400000_NS6detail17trampoline_kernelINS0_14default_configENS1_38merge_sort_block_merge_config_selectorIllEEZZNS1_27merge_sort_block_merge_implIS3_PlN6thrust23THRUST_200600_302600_NS10device_ptrIlEEjNS1_19radix_merge_compareILb0ELb0ElNS0_19identity_decomposerEEEEE10hipError_tT0_T1_T2_jT3_P12ihipStream_tbPNSt15iterator_traitsISG_E10value_typeEPNSM_ISH_E10value_typeEPSI_NS1_7vsmem_tEENKUlT_SG_SH_SI_E_clIS7_S7_SB_S7_EESF_SV_SG_SH_SI_EUlSV_E0_NS1_11comp_targetILNS1_3genE10ELNS1_11target_archE1201ELNS1_3gpuE5ELNS1_3repE0EEENS1_38merge_mergepath_config_static_selectorELNS0_4arch9wavefront6targetE1EEEvSH_, .Lfunc_end1043-_ZN7rocprim17ROCPRIM_400000_NS6detail17trampoline_kernelINS0_14default_configENS1_38merge_sort_block_merge_config_selectorIllEEZZNS1_27merge_sort_block_merge_implIS3_PlN6thrust23THRUST_200600_302600_NS10device_ptrIlEEjNS1_19radix_merge_compareILb0ELb0ElNS0_19identity_decomposerEEEEE10hipError_tT0_T1_T2_jT3_P12ihipStream_tbPNSt15iterator_traitsISG_E10value_typeEPNSM_ISH_E10value_typeEPSI_NS1_7vsmem_tEENKUlT_SG_SH_SI_E_clIS7_S7_SB_S7_EESF_SV_SG_SH_SI_EUlSV_E0_NS1_11comp_targetILNS1_3genE10ELNS1_11target_archE1201ELNS1_3gpuE5ELNS1_3repE0EEENS1_38merge_mergepath_config_static_selectorELNS0_4arch9wavefront6targetE1EEEvSH_
                                        ; -- End function
	.set _ZN7rocprim17ROCPRIM_400000_NS6detail17trampoline_kernelINS0_14default_configENS1_38merge_sort_block_merge_config_selectorIllEEZZNS1_27merge_sort_block_merge_implIS3_PlN6thrust23THRUST_200600_302600_NS10device_ptrIlEEjNS1_19radix_merge_compareILb0ELb0ElNS0_19identity_decomposerEEEEE10hipError_tT0_T1_T2_jT3_P12ihipStream_tbPNSt15iterator_traitsISG_E10value_typeEPNSM_ISH_E10value_typeEPSI_NS1_7vsmem_tEENKUlT_SG_SH_SI_E_clIS7_S7_SB_S7_EESF_SV_SG_SH_SI_EUlSV_E0_NS1_11comp_targetILNS1_3genE10ELNS1_11target_archE1201ELNS1_3gpuE5ELNS1_3repE0EEENS1_38merge_mergepath_config_static_selectorELNS0_4arch9wavefront6targetE1EEEvSH_.num_vgpr, 0
	.set _ZN7rocprim17ROCPRIM_400000_NS6detail17trampoline_kernelINS0_14default_configENS1_38merge_sort_block_merge_config_selectorIllEEZZNS1_27merge_sort_block_merge_implIS3_PlN6thrust23THRUST_200600_302600_NS10device_ptrIlEEjNS1_19radix_merge_compareILb0ELb0ElNS0_19identity_decomposerEEEEE10hipError_tT0_T1_T2_jT3_P12ihipStream_tbPNSt15iterator_traitsISG_E10value_typeEPNSM_ISH_E10value_typeEPSI_NS1_7vsmem_tEENKUlT_SG_SH_SI_E_clIS7_S7_SB_S7_EESF_SV_SG_SH_SI_EUlSV_E0_NS1_11comp_targetILNS1_3genE10ELNS1_11target_archE1201ELNS1_3gpuE5ELNS1_3repE0EEENS1_38merge_mergepath_config_static_selectorELNS0_4arch9wavefront6targetE1EEEvSH_.num_agpr, 0
	.set _ZN7rocprim17ROCPRIM_400000_NS6detail17trampoline_kernelINS0_14default_configENS1_38merge_sort_block_merge_config_selectorIllEEZZNS1_27merge_sort_block_merge_implIS3_PlN6thrust23THRUST_200600_302600_NS10device_ptrIlEEjNS1_19radix_merge_compareILb0ELb0ElNS0_19identity_decomposerEEEEE10hipError_tT0_T1_T2_jT3_P12ihipStream_tbPNSt15iterator_traitsISG_E10value_typeEPNSM_ISH_E10value_typeEPSI_NS1_7vsmem_tEENKUlT_SG_SH_SI_E_clIS7_S7_SB_S7_EESF_SV_SG_SH_SI_EUlSV_E0_NS1_11comp_targetILNS1_3genE10ELNS1_11target_archE1201ELNS1_3gpuE5ELNS1_3repE0EEENS1_38merge_mergepath_config_static_selectorELNS0_4arch9wavefront6targetE1EEEvSH_.numbered_sgpr, 0
	.set _ZN7rocprim17ROCPRIM_400000_NS6detail17trampoline_kernelINS0_14default_configENS1_38merge_sort_block_merge_config_selectorIllEEZZNS1_27merge_sort_block_merge_implIS3_PlN6thrust23THRUST_200600_302600_NS10device_ptrIlEEjNS1_19radix_merge_compareILb0ELb0ElNS0_19identity_decomposerEEEEE10hipError_tT0_T1_T2_jT3_P12ihipStream_tbPNSt15iterator_traitsISG_E10value_typeEPNSM_ISH_E10value_typeEPSI_NS1_7vsmem_tEENKUlT_SG_SH_SI_E_clIS7_S7_SB_S7_EESF_SV_SG_SH_SI_EUlSV_E0_NS1_11comp_targetILNS1_3genE10ELNS1_11target_archE1201ELNS1_3gpuE5ELNS1_3repE0EEENS1_38merge_mergepath_config_static_selectorELNS0_4arch9wavefront6targetE1EEEvSH_.num_named_barrier, 0
	.set _ZN7rocprim17ROCPRIM_400000_NS6detail17trampoline_kernelINS0_14default_configENS1_38merge_sort_block_merge_config_selectorIllEEZZNS1_27merge_sort_block_merge_implIS3_PlN6thrust23THRUST_200600_302600_NS10device_ptrIlEEjNS1_19radix_merge_compareILb0ELb0ElNS0_19identity_decomposerEEEEE10hipError_tT0_T1_T2_jT3_P12ihipStream_tbPNSt15iterator_traitsISG_E10value_typeEPNSM_ISH_E10value_typeEPSI_NS1_7vsmem_tEENKUlT_SG_SH_SI_E_clIS7_S7_SB_S7_EESF_SV_SG_SH_SI_EUlSV_E0_NS1_11comp_targetILNS1_3genE10ELNS1_11target_archE1201ELNS1_3gpuE5ELNS1_3repE0EEENS1_38merge_mergepath_config_static_selectorELNS0_4arch9wavefront6targetE1EEEvSH_.private_seg_size, 0
	.set _ZN7rocprim17ROCPRIM_400000_NS6detail17trampoline_kernelINS0_14default_configENS1_38merge_sort_block_merge_config_selectorIllEEZZNS1_27merge_sort_block_merge_implIS3_PlN6thrust23THRUST_200600_302600_NS10device_ptrIlEEjNS1_19radix_merge_compareILb0ELb0ElNS0_19identity_decomposerEEEEE10hipError_tT0_T1_T2_jT3_P12ihipStream_tbPNSt15iterator_traitsISG_E10value_typeEPNSM_ISH_E10value_typeEPSI_NS1_7vsmem_tEENKUlT_SG_SH_SI_E_clIS7_S7_SB_S7_EESF_SV_SG_SH_SI_EUlSV_E0_NS1_11comp_targetILNS1_3genE10ELNS1_11target_archE1201ELNS1_3gpuE5ELNS1_3repE0EEENS1_38merge_mergepath_config_static_selectorELNS0_4arch9wavefront6targetE1EEEvSH_.uses_vcc, 0
	.set _ZN7rocprim17ROCPRIM_400000_NS6detail17trampoline_kernelINS0_14default_configENS1_38merge_sort_block_merge_config_selectorIllEEZZNS1_27merge_sort_block_merge_implIS3_PlN6thrust23THRUST_200600_302600_NS10device_ptrIlEEjNS1_19radix_merge_compareILb0ELb0ElNS0_19identity_decomposerEEEEE10hipError_tT0_T1_T2_jT3_P12ihipStream_tbPNSt15iterator_traitsISG_E10value_typeEPNSM_ISH_E10value_typeEPSI_NS1_7vsmem_tEENKUlT_SG_SH_SI_E_clIS7_S7_SB_S7_EESF_SV_SG_SH_SI_EUlSV_E0_NS1_11comp_targetILNS1_3genE10ELNS1_11target_archE1201ELNS1_3gpuE5ELNS1_3repE0EEENS1_38merge_mergepath_config_static_selectorELNS0_4arch9wavefront6targetE1EEEvSH_.uses_flat_scratch, 0
	.set _ZN7rocprim17ROCPRIM_400000_NS6detail17trampoline_kernelINS0_14default_configENS1_38merge_sort_block_merge_config_selectorIllEEZZNS1_27merge_sort_block_merge_implIS3_PlN6thrust23THRUST_200600_302600_NS10device_ptrIlEEjNS1_19radix_merge_compareILb0ELb0ElNS0_19identity_decomposerEEEEE10hipError_tT0_T1_T2_jT3_P12ihipStream_tbPNSt15iterator_traitsISG_E10value_typeEPNSM_ISH_E10value_typeEPSI_NS1_7vsmem_tEENKUlT_SG_SH_SI_E_clIS7_S7_SB_S7_EESF_SV_SG_SH_SI_EUlSV_E0_NS1_11comp_targetILNS1_3genE10ELNS1_11target_archE1201ELNS1_3gpuE5ELNS1_3repE0EEENS1_38merge_mergepath_config_static_selectorELNS0_4arch9wavefront6targetE1EEEvSH_.has_dyn_sized_stack, 0
	.set _ZN7rocprim17ROCPRIM_400000_NS6detail17trampoline_kernelINS0_14default_configENS1_38merge_sort_block_merge_config_selectorIllEEZZNS1_27merge_sort_block_merge_implIS3_PlN6thrust23THRUST_200600_302600_NS10device_ptrIlEEjNS1_19radix_merge_compareILb0ELb0ElNS0_19identity_decomposerEEEEE10hipError_tT0_T1_T2_jT3_P12ihipStream_tbPNSt15iterator_traitsISG_E10value_typeEPNSM_ISH_E10value_typeEPSI_NS1_7vsmem_tEENKUlT_SG_SH_SI_E_clIS7_S7_SB_S7_EESF_SV_SG_SH_SI_EUlSV_E0_NS1_11comp_targetILNS1_3genE10ELNS1_11target_archE1201ELNS1_3gpuE5ELNS1_3repE0EEENS1_38merge_mergepath_config_static_selectorELNS0_4arch9wavefront6targetE1EEEvSH_.has_recursion, 0
	.set _ZN7rocprim17ROCPRIM_400000_NS6detail17trampoline_kernelINS0_14default_configENS1_38merge_sort_block_merge_config_selectorIllEEZZNS1_27merge_sort_block_merge_implIS3_PlN6thrust23THRUST_200600_302600_NS10device_ptrIlEEjNS1_19radix_merge_compareILb0ELb0ElNS0_19identity_decomposerEEEEE10hipError_tT0_T1_T2_jT3_P12ihipStream_tbPNSt15iterator_traitsISG_E10value_typeEPNSM_ISH_E10value_typeEPSI_NS1_7vsmem_tEENKUlT_SG_SH_SI_E_clIS7_S7_SB_S7_EESF_SV_SG_SH_SI_EUlSV_E0_NS1_11comp_targetILNS1_3genE10ELNS1_11target_archE1201ELNS1_3gpuE5ELNS1_3repE0EEENS1_38merge_mergepath_config_static_selectorELNS0_4arch9wavefront6targetE1EEEvSH_.has_indirect_call, 0
	.section	.AMDGPU.csdata,"",@progbits
; Kernel info:
; codeLenInByte = 0
; TotalNumSgprs: 4
; NumVgprs: 0
; ScratchSize: 0
; MemoryBound: 0
; FloatMode: 240
; IeeeMode: 1
; LDSByteSize: 0 bytes/workgroup (compile time only)
; SGPRBlocks: 0
; VGPRBlocks: 0
; NumSGPRsForWavesPerEU: 4
; NumVGPRsForWavesPerEU: 1
; Occupancy: 10
; WaveLimiterHint : 0
; COMPUTE_PGM_RSRC2:SCRATCH_EN: 0
; COMPUTE_PGM_RSRC2:USER_SGPR: 6
; COMPUTE_PGM_RSRC2:TRAP_HANDLER: 0
; COMPUTE_PGM_RSRC2:TGID_X_EN: 1
; COMPUTE_PGM_RSRC2:TGID_Y_EN: 0
; COMPUTE_PGM_RSRC2:TGID_Z_EN: 0
; COMPUTE_PGM_RSRC2:TIDIG_COMP_CNT: 0
	.section	.text._ZN7rocprim17ROCPRIM_400000_NS6detail17trampoline_kernelINS0_14default_configENS1_38merge_sort_block_merge_config_selectorIllEEZZNS1_27merge_sort_block_merge_implIS3_PlN6thrust23THRUST_200600_302600_NS10device_ptrIlEEjNS1_19radix_merge_compareILb0ELb0ElNS0_19identity_decomposerEEEEE10hipError_tT0_T1_T2_jT3_P12ihipStream_tbPNSt15iterator_traitsISG_E10value_typeEPNSM_ISH_E10value_typeEPSI_NS1_7vsmem_tEENKUlT_SG_SH_SI_E_clIS7_S7_SB_S7_EESF_SV_SG_SH_SI_EUlSV_E0_NS1_11comp_targetILNS1_3genE5ELNS1_11target_archE942ELNS1_3gpuE9ELNS1_3repE0EEENS1_38merge_mergepath_config_static_selectorELNS0_4arch9wavefront6targetE1EEEvSH_,"axG",@progbits,_ZN7rocprim17ROCPRIM_400000_NS6detail17trampoline_kernelINS0_14default_configENS1_38merge_sort_block_merge_config_selectorIllEEZZNS1_27merge_sort_block_merge_implIS3_PlN6thrust23THRUST_200600_302600_NS10device_ptrIlEEjNS1_19radix_merge_compareILb0ELb0ElNS0_19identity_decomposerEEEEE10hipError_tT0_T1_T2_jT3_P12ihipStream_tbPNSt15iterator_traitsISG_E10value_typeEPNSM_ISH_E10value_typeEPSI_NS1_7vsmem_tEENKUlT_SG_SH_SI_E_clIS7_S7_SB_S7_EESF_SV_SG_SH_SI_EUlSV_E0_NS1_11comp_targetILNS1_3genE5ELNS1_11target_archE942ELNS1_3gpuE9ELNS1_3repE0EEENS1_38merge_mergepath_config_static_selectorELNS0_4arch9wavefront6targetE1EEEvSH_,comdat
	.protected	_ZN7rocprim17ROCPRIM_400000_NS6detail17trampoline_kernelINS0_14default_configENS1_38merge_sort_block_merge_config_selectorIllEEZZNS1_27merge_sort_block_merge_implIS3_PlN6thrust23THRUST_200600_302600_NS10device_ptrIlEEjNS1_19radix_merge_compareILb0ELb0ElNS0_19identity_decomposerEEEEE10hipError_tT0_T1_T2_jT3_P12ihipStream_tbPNSt15iterator_traitsISG_E10value_typeEPNSM_ISH_E10value_typeEPSI_NS1_7vsmem_tEENKUlT_SG_SH_SI_E_clIS7_S7_SB_S7_EESF_SV_SG_SH_SI_EUlSV_E0_NS1_11comp_targetILNS1_3genE5ELNS1_11target_archE942ELNS1_3gpuE9ELNS1_3repE0EEENS1_38merge_mergepath_config_static_selectorELNS0_4arch9wavefront6targetE1EEEvSH_ ; -- Begin function _ZN7rocprim17ROCPRIM_400000_NS6detail17trampoline_kernelINS0_14default_configENS1_38merge_sort_block_merge_config_selectorIllEEZZNS1_27merge_sort_block_merge_implIS3_PlN6thrust23THRUST_200600_302600_NS10device_ptrIlEEjNS1_19radix_merge_compareILb0ELb0ElNS0_19identity_decomposerEEEEE10hipError_tT0_T1_T2_jT3_P12ihipStream_tbPNSt15iterator_traitsISG_E10value_typeEPNSM_ISH_E10value_typeEPSI_NS1_7vsmem_tEENKUlT_SG_SH_SI_E_clIS7_S7_SB_S7_EESF_SV_SG_SH_SI_EUlSV_E0_NS1_11comp_targetILNS1_3genE5ELNS1_11target_archE942ELNS1_3gpuE9ELNS1_3repE0EEENS1_38merge_mergepath_config_static_selectorELNS0_4arch9wavefront6targetE1EEEvSH_
	.globl	_ZN7rocprim17ROCPRIM_400000_NS6detail17trampoline_kernelINS0_14default_configENS1_38merge_sort_block_merge_config_selectorIllEEZZNS1_27merge_sort_block_merge_implIS3_PlN6thrust23THRUST_200600_302600_NS10device_ptrIlEEjNS1_19radix_merge_compareILb0ELb0ElNS0_19identity_decomposerEEEEE10hipError_tT0_T1_T2_jT3_P12ihipStream_tbPNSt15iterator_traitsISG_E10value_typeEPNSM_ISH_E10value_typeEPSI_NS1_7vsmem_tEENKUlT_SG_SH_SI_E_clIS7_S7_SB_S7_EESF_SV_SG_SH_SI_EUlSV_E0_NS1_11comp_targetILNS1_3genE5ELNS1_11target_archE942ELNS1_3gpuE9ELNS1_3repE0EEENS1_38merge_mergepath_config_static_selectorELNS0_4arch9wavefront6targetE1EEEvSH_
	.p2align	8
	.type	_ZN7rocprim17ROCPRIM_400000_NS6detail17trampoline_kernelINS0_14default_configENS1_38merge_sort_block_merge_config_selectorIllEEZZNS1_27merge_sort_block_merge_implIS3_PlN6thrust23THRUST_200600_302600_NS10device_ptrIlEEjNS1_19radix_merge_compareILb0ELb0ElNS0_19identity_decomposerEEEEE10hipError_tT0_T1_T2_jT3_P12ihipStream_tbPNSt15iterator_traitsISG_E10value_typeEPNSM_ISH_E10value_typeEPSI_NS1_7vsmem_tEENKUlT_SG_SH_SI_E_clIS7_S7_SB_S7_EESF_SV_SG_SH_SI_EUlSV_E0_NS1_11comp_targetILNS1_3genE5ELNS1_11target_archE942ELNS1_3gpuE9ELNS1_3repE0EEENS1_38merge_mergepath_config_static_selectorELNS0_4arch9wavefront6targetE1EEEvSH_,@function
_ZN7rocprim17ROCPRIM_400000_NS6detail17trampoline_kernelINS0_14default_configENS1_38merge_sort_block_merge_config_selectorIllEEZZNS1_27merge_sort_block_merge_implIS3_PlN6thrust23THRUST_200600_302600_NS10device_ptrIlEEjNS1_19radix_merge_compareILb0ELb0ElNS0_19identity_decomposerEEEEE10hipError_tT0_T1_T2_jT3_P12ihipStream_tbPNSt15iterator_traitsISG_E10value_typeEPNSM_ISH_E10value_typeEPSI_NS1_7vsmem_tEENKUlT_SG_SH_SI_E_clIS7_S7_SB_S7_EESF_SV_SG_SH_SI_EUlSV_E0_NS1_11comp_targetILNS1_3genE5ELNS1_11target_archE942ELNS1_3gpuE9ELNS1_3repE0EEENS1_38merge_mergepath_config_static_selectorELNS0_4arch9wavefront6targetE1EEEvSH_: ; @_ZN7rocprim17ROCPRIM_400000_NS6detail17trampoline_kernelINS0_14default_configENS1_38merge_sort_block_merge_config_selectorIllEEZZNS1_27merge_sort_block_merge_implIS3_PlN6thrust23THRUST_200600_302600_NS10device_ptrIlEEjNS1_19radix_merge_compareILb0ELb0ElNS0_19identity_decomposerEEEEE10hipError_tT0_T1_T2_jT3_P12ihipStream_tbPNSt15iterator_traitsISG_E10value_typeEPNSM_ISH_E10value_typeEPSI_NS1_7vsmem_tEENKUlT_SG_SH_SI_E_clIS7_S7_SB_S7_EESF_SV_SG_SH_SI_EUlSV_E0_NS1_11comp_targetILNS1_3genE5ELNS1_11target_archE942ELNS1_3gpuE9ELNS1_3repE0EEENS1_38merge_mergepath_config_static_selectorELNS0_4arch9wavefront6targetE1EEEvSH_
; %bb.0:
	.section	.rodata,"a",@progbits
	.p2align	6, 0x0
	.amdhsa_kernel _ZN7rocprim17ROCPRIM_400000_NS6detail17trampoline_kernelINS0_14default_configENS1_38merge_sort_block_merge_config_selectorIllEEZZNS1_27merge_sort_block_merge_implIS3_PlN6thrust23THRUST_200600_302600_NS10device_ptrIlEEjNS1_19radix_merge_compareILb0ELb0ElNS0_19identity_decomposerEEEEE10hipError_tT0_T1_T2_jT3_P12ihipStream_tbPNSt15iterator_traitsISG_E10value_typeEPNSM_ISH_E10value_typeEPSI_NS1_7vsmem_tEENKUlT_SG_SH_SI_E_clIS7_S7_SB_S7_EESF_SV_SG_SH_SI_EUlSV_E0_NS1_11comp_targetILNS1_3genE5ELNS1_11target_archE942ELNS1_3gpuE9ELNS1_3repE0EEENS1_38merge_mergepath_config_static_selectorELNS0_4arch9wavefront6targetE1EEEvSH_
		.amdhsa_group_segment_fixed_size 0
		.amdhsa_private_segment_fixed_size 0
		.amdhsa_kernarg_size 64
		.amdhsa_user_sgpr_count 6
		.amdhsa_user_sgpr_private_segment_buffer 1
		.amdhsa_user_sgpr_dispatch_ptr 0
		.amdhsa_user_sgpr_queue_ptr 0
		.amdhsa_user_sgpr_kernarg_segment_ptr 1
		.amdhsa_user_sgpr_dispatch_id 0
		.amdhsa_user_sgpr_flat_scratch_init 0
		.amdhsa_user_sgpr_private_segment_size 0
		.amdhsa_uses_dynamic_stack 0
		.amdhsa_system_sgpr_private_segment_wavefront_offset 0
		.amdhsa_system_sgpr_workgroup_id_x 1
		.amdhsa_system_sgpr_workgroup_id_y 0
		.amdhsa_system_sgpr_workgroup_id_z 0
		.amdhsa_system_sgpr_workgroup_info 0
		.amdhsa_system_vgpr_workitem_id 0
		.amdhsa_next_free_vgpr 1
		.amdhsa_next_free_sgpr 0
		.amdhsa_reserve_vcc 0
		.amdhsa_reserve_flat_scratch 0
		.amdhsa_float_round_mode_32 0
		.amdhsa_float_round_mode_16_64 0
		.amdhsa_float_denorm_mode_32 3
		.amdhsa_float_denorm_mode_16_64 3
		.amdhsa_dx10_clamp 1
		.amdhsa_ieee_mode 1
		.amdhsa_fp16_overflow 0
		.amdhsa_exception_fp_ieee_invalid_op 0
		.amdhsa_exception_fp_denorm_src 0
		.amdhsa_exception_fp_ieee_div_zero 0
		.amdhsa_exception_fp_ieee_overflow 0
		.amdhsa_exception_fp_ieee_underflow 0
		.amdhsa_exception_fp_ieee_inexact 0
		.amdhsa_exception_int_div_zero 0
	.end_amdhsa_kernel
	.section	.text._ZN7rocprim17ROCPRIM_400000_NS6detail17trampoline_kernelINS0_14default_configENS1_38merge_sort_block_merge_config_selectorIllEEZZNS1_27merge_sort_block_merge_implIS3_PlN6thrust23THRUST_200600_302600_NS10device_ptrIlEEjNS1_19radix_merge_compareILb0ELb0ElNS0_19identity_decomposerEEEEE10hipError_tT0_T1_T2_jT3_P12ihipStream_tbPNSt15iterator_traitsISG_E10value_typeEPNSM_ISH_E10value_typeEPSI_NS1_7vsmem_tEENKUlT_SG_SH_SI_E_clIS7_S7_SB_S7_EESF_SV_SG_SH_SI_EUlSV_E0_NS1_11comp_targetILNS1_3genE5ELNS1_11target_archE942ELNS1_3gpuE9ELNS1_3repE0EEENS1_38merge_mergepath_config_static_selectorELNS0_4arch9wavefront6targetE1EEEvSH_,"axG",@progbits,_ZN7rocprim17ROCPRIM_400000_NS6detail17trampoline_kernelINS0_14default_configENS1_38merge_sort_block_merge_config_selectorIllEEZZNS1_27merge_sort_block_merge_implIS3_PlN6thrust23THRUST_200600_302600_NS10device_ptrIlEEjNS1_19radix_merge_compareILb0ELb0ElNS0_19identity_decomposerEEEEE10hipError_tT0_T1_T2_jT3_P12ihipStream_tbPNSt15iterator_traitsISG_E10value_typeEPNSM_ISH_E10value_typeEPSI_NS1_7vsmem_tEENKUlT_SG_SH_SI_E_clIS7_S7_SB_S7_EESF_SV_SG_SH_SI_EUlSV_E0_NS1_11comp_targetILNS1_3genE5ELNS1_11target_archE942ELNS1_3gpuE9ELNS1_3repE0EEENS1_38merge_mergepath_config_static_selectorELNS0_4arch9wavefront6targetE1EEEvSH_,comdat
.Lfunc_end1044:
	.size	_ZN7rocprim17ROCPRIM_400000_NS6detail17trampoline_kernelINS0_14default_configENS1_38merge_sort_block_merge_config_selectorIllEEZZNS1_27merge_sort_block_merge_implIS3_PlN6thrust23THRUST_200600_302600_NS10device_ptrIlEEjNS1_19radix_merge_compareILb0ELb0ElNS0_19identity_decomposerEEEEE10hipError_tT0_T1_T2_jT3_P12ihipStream_tbPNSt15iterator_traitsISG_E10value_typeEPNSM_ISH_E10value_typeEPSI_NS1_7vsmem_tEENKUlT_SG_SH_SI_E_clIS7_S7_SB_S7_EESF_SV_SG_SH_SI_EUlSV_E0_NS1_11comp_targetILNS1_3genE5ELNS1_11target_archE942ELNS1_3gpuE9ELNS1_3repE0EEENS1_38merge_mergepath_config_static_selectorELNS0_4arch9wavefront6targetE1EEEvSH_, .Lfunc_end1044-_ZN7rocprim17ROCPRIM_400000_NS6detail17trampoline_kernelINS0_14default_configENS1_38merge_sort_block_merge_config_selectorIllEEZZNS1_27merge_sort_block_merge_implIS3_PlN6thrust23THRUST_200600_302600_NS10device_ptrIlEEjNS1_19radix_merge_compareILb0ELb0ElNS0_19identity_decomposerEEEEE10hipError_tT0_T1_T2_jT3_P12ihipStream_tbPNSt15iterator_traitsISG_E10value_typeEPNSM_ISH_E10value_typeEPSI_NS1_7vsmem_tEENKUlT_SG_SH_SI_E_clIS7_S7_SB_S7_EESF_SV_SG_SH_SI_EUlSV_E0_NS1_11comp_targetILNS1_3genE5ELNS1_11target_archE942ELNS1_3gpuE9ELNS1_3repE0EEENS1_38merge_mergepath_config_static_selectorELNS0_4arch9wavefront6targetE1EEEvSH_
                                        ; -- End function
	.set _ZN7rocprim17ROCPRIM_400000_NS6detail17trampoline_kernelINS0_14default_configENS1_38merge_sort_block_merge_config_selectorIllEEZZNS1_27merge_sort_block_merge_implIS3_PlN6thrust23THRUST_200600_302600_NS10device_ptrIlEEjNS1_19radix_merge_compareILb0ELb0ElNS0_19identity_decomposerEEEEE10hipError_tT0_T1_T2_jT3_P12ihipStream_tbPNSt15iterator_traitsISG_E10value_typeEPNSM_ISH_E10value_typeEPSI_NS1_7vsmem_tEENKUlT_SG_SH_SI_E_clIS7_S7_SB_S7_EESF_SV_SG_SH_SI_EUlSV_E0_NS1_11comp_targetILNS1_3genE5ELNS1_11target_archE942ELNS1_3gpuE9ELNS1_3repE0EEENS1_38merge_mergepath_config_static_selectorELNS0_4arch9wavefront6targetE1EEEvSH_.num_vgpr, 0
	.set _ZN7rocprim17ROCPRIM_400000_NS6detail17trampoline_kernelINS0_14default_configENS1_38merge_sort_block_merge_config_selectorIllEEZZNS1_27merge_sort_block_merge_implIS3_PlN6thrust23THRUST_200600_302600_NS10device_ptrIlEEjNS1_19radix_merge_compareILb0ELb0ElNS0_19identity_decomposerEEEEE10hipError_tT0_T1_T2_jT3_P12ihipStream_tbPNSt15iterator_traitsISG_E10value_typeEPNSM_ISH_E10value_typeEPSI_NS1_7vsmem_tEENKUlT_SG_SH_SI_E_clIS7_S7_SB_S7_EESF_SV_SG_SH_SI_EUlSV_E0_NS1_11comp_targetILNS1_3genE5ELNS1_11target_archE942ELNS1_3gpuE9ELNS1_3repE0EEENS1_38merge_mergepath_config_static_selectorELNS0_4arch9wavefront6targetE1EEEvSH_.num_agpr, 0
	.set _ZN7rocprim17ROCPRIM_400000_NS6detail17trampoline_kernelINS0_14default_configENS1_38merge_sort_block_merge_config_selectorIllEEZZNS1_27merge_sort_block_merge_implIS3_PlN6thrust23THRUST_200600_302600_NS10device_ptrIlEEjNS1_19radix_merge_compareILb0ELb0ElNS0_19identity_decomposerEEEEE10hipError_tT0_T1_T2_jT3_P12ihipStream_tbPNSt15iterator_traitsISG_E10value_typeEPNSM_ISH_E10value_typeEPSI_NS1_7vsmem_tEENKUlT_SG_SH_SI_E_clIS7_S7_SB_S7_EESF_SV_SG_SH_SI_EUlSV_E0_NS1_11comp_targetILNS1_3genE5ELNS1_11target_archE942ELNS1_3gpuE9ELNS1_3repE0EEENS1_38merge_mergepath_config_static_selectorELNS0_4arch9wavefront6targetE1EEEvSH_.numbered_sgpr, 0
	.set _ZN7rocprim17ROCPRIM_400000_NS6detail17trampoline_kernelINS0_14default_configENS1_38merge_sort_block_merge_config_selectorIllEEZZNS1_27merge_sort_block_merge_implIS3_PlN6thrust23THRUST_200600_302600_NS10device_ptrIlEEjNS1_19radix_merge_compareILb0ELb0ElNS0_19identity_decomposerEEEEE10hipError_tT0_T1_T2_jT3_P12ihipStream_tbPNSt15iterator_traitsISG_E10value_typeEPNSM_ISH_E10value_typeEPSI_NS1_7vsmem_tEENKUlT_SG_SH_SI_E_clIS7_S7_SB_S7_EESF_SV_SG_SH_SI_EUlSV_E0_NS1_11comp_targetILNS1_3genE5ELNS1_11target_archE942ELNS1_3gpuE9ELNS1_3repE0EEENS1_38merge_mergepath_config_static_selectorELNS0_4arch9wavefront6targetE1EEEvSH_.num_named_barrier, 0
	.set _ZN7rocprim17ROCPRIM_400000_NS6detail17trampoline_kernelINS0_14default_configENS1_38merge_sort_block_merge_config_selectorIllEEZZNS1_27merge_sort_block_merge_implIS3_PlN6thrust23THRUST_200600_302600_NS10device_ptrIlEEjNS1_19radix_merge_compareILb0ELb0ElNS0_19identity_decomposerEEEEE10hipError_tT0_T1_T2_jT3_P12ihipStream_tbPNSt15iterator_traitsISG_E10value_typeEPNSM_ISH_E10value_typeEPSI_NS1_7vsmem_tEENKUlT_SG_SH_SI_E_clIS7_S7_SB_S7_EESF_SV_SG_SH_SI_EUlSV_E0_NS1_11comp_targetILNS1_3genE5ELNS1_11target_archE942ELNS1_3gpuE9ELNS1_3repE0EEENS1_38merge_mergepath_config_static_selectorELNS0_4arch9wavefront6targetE1EEEvSH_.private_seg_size, 0
	.set _ZN7rocprim17ROCPRIM_400000_NS6detail17trampoline_kernelINS0_14default_configENS1_38merge_sort_block_merge_config_selectorIllEEZZNS1_27merge_sort_block_merge_implIS3_PlN6thrust23THRUST_200600_302600_NS10device_ptrIlEEjNS1_19radix_merge_compareILb0ELb0ElNS0_19identity_decomposerEEEEE10hipError_tT0_T1_T2_jT3_P12ihipStream_tbPNSt15iterator_traitsISG_E10value_typeEPNSM_ISH_E10value_typeEPSI_NS1_7vsmem_tEENKUlT_SG_SH_SI_E_clIS7_S7_SB_S7_EESF_SV_SG_SH_SI_EUlSV_E0_NS1_11comp_targetILNS1_3genE5ELNS1_11target_archE942ELNS1_3gpuE9ELNS1_3repE0EEENS1_38merge_mergepath_config_static_selectorELNS0_4arch9wavefront6targetE1EEEvSH_.uses_vcc, 0
	.set _ZN7rocprim17ROCPRIM_400000_NS6detail17trampoline_kernelINS0_14default_configENS1_38merge_sort_block_merge_config_selectorIllEEZZNS1_27merge_sort_block_merge_implIS3_PlN6thrust23THRUST_200600_302600_NS10device_ptrIlEEjNS1_19radix_merge_compareILb0ELb0ElNS0_19identity_decomposerEEEEE10hipError_tT0_T1_T2_jT3_P12ihipStream_tbPNSt15iterator_traitsISG_E10value_typeEPNSM_ISH_E10value_typeEPSI_NS1_7vsmem_tEENKUlT_SG_SH_SI_E_clIS7_S7_SB_S7_EESF_SV_SG_SH_SI_EUlSV_E0_NS1_11comp_targetILNS1_3genE5ELNS1_11target_archE942ELNS1_3gpuE9ELNS1_3repE0EEENS1_38merge_mergepath_config_static_selectorELNS0_4arch9wavefront6targetE1EEEvSH_.uses_flat_scratch, 0
	.set _ZN7rocprim17ROCPRIM_400000_NS6detail17trampoline_kernelINS0_14default_configENS1_38merge_sort_block_merge_config_selectorIllEEZZNS1_27merge_sort_block_merge_implIS3_PlN6thrust23THRUST_200600_302600_NS10device_ptrIlEEjNS1_19radix_merge_compareILb0ELb0ElNS0_19identity_decomposerEEEEE10hipError_tT0_T1_T2_jT3_P12ihipStream_tbPNSt15iterator_traitsISG_E10value_typeEPNSM_ISH_E10value_typeEPSI_NS1_7vsmem_tEENKUlT_SG_SH_SI_E_clIS7_S7_SB_S7_EESF_SV_SG_SH_SI_EUlSV_E0_NS1_11comp_targetILNS1_3genE5ELNS1_11target_archE942ELNS1_3gpuE9ELNS1_3repE0EEENS1_38merge_mergepath_config_static_selectorELNS0_4arch9wavefront6targetE1EEEvSH_.has_dyn_sized_stack, 0
	.set _ZN7rocprim17ROCPRIM_400000_NS6detail17trampoline_kernelINS0_14default_configENS1_38merge_sort_block_merge_config_selectorIllEEZZNS1_27merge_sort_block_merge_implIS3_PlN6thrust23THRUST_200600_302600_NS10device_ptrIlEEjNS1_19radix_merge_compareILb0ELb0ElNS0_19identity_decomposerEEEEE10hipError_tT0_T1_T2_jT3_P12ihipStream_tbPNSt15iterator_traitsISG_E10value_typeEPNSM_ISH_E10value_typeEPSI_NS1_7vsmem_tEENKUlT_SG_SH_SI_E_clIS7_S7_SB_S7_EESF_SV_SG_SH_SI_EUlSV_E0_NS1_11comp_targetILNS1_3genE5ELNS1_11target_archE942ELNS1_3gpuE9ELNS1_3repE0EEENS1_38merge_mergepath_config_static_selectorELNS0_4arch9wavefront6targetE1EEEvSH_.has_recursion, 0
	.set _ZN7rocprim17ROCPRIM_400000_NS6detail17trampoline_kernelINS0_14default_configENS1_38merge_sort_block_merge_config_selectorIllEEZZNS1_27merge_sort_block_merge_implIS3_PlN6thrust23THRUST_200600_302600_NS10device_ptrIlEEjNS1_19radix_merge_compareILb0ELb0ElNS0_19identity_decomposerEEEEE10hipError_tT0_T1_T2_jT3_P12ihipStream_tbPNSt15iterator_traitsISG_E10value_typeEPNSM_ISH_E10value_typeEPSI_NS1_7vsmem_tEENKUlT_SG_SH_SI_E_clIS7_S7_SB_S7_EESF_SV_SG_SH_SI_EUlSV_E0_NS1_11comp_targetILNS1_3genE5ELNS1_11target_archE942ELNS1_3gpuE9ELNS1_3repE0EEENS1_38merge_mergepath_config_static_selectorELNS0_4arch9wavefront6targetE1EEEvSH_.has_indirect_call, 0
	.section	.AMDGPU.csdata,"",@progbits
; Kernel info:
; codeLenInByte = 0
; TotalNumSgprs: 4
; NumVgprs: 0
; ScratchSize: 0
; MemoryBound: 0
; FloatMode: 240
; IeeeMode: 1
; LDSByteSize: 0 bytes/workgroup (compile time only)
; SGPRBlocks: 0
; VGPRBlocks: 0
; NumSGPRsForWavesPerEU: 4
; NumVGPRsForWavesPerEU: 1
; Occupancy: 10
; WaveLimiterHint : 0
; COMPUTE_PGM_RSRC2:SCRATCH_EN: 0
; COMPUTE_PGM_RSRC2:USER_SGPR: 6
; COMPUTE_PGM_RSRC2:TRAP_HANDLER: 0
; COMPUTE_PGM_RSRC2:TGID_X_EN: 1
; COMPUTE_PGM_RSRC2:TGID_Y_EN: 0
; COMPUTE_PGM_RSRC2:TGID_Z_EN: 0
; COMPUTE_PGM_RSRC2:TIDIG_COMP_CNT: 0
	.section	.text._ZN7rocprim17ROCPRIM_400000_NS6detail17trampoline_kernelINS0_14default_configENS1_38merge_sort_block_merge_config_selectorIllEEZZNS1_27merge_sort_block_merge_implIS3_PlN6thrust23THRUST_200600_302600_NS10device_ptrIlEEjNS1_19radix_merge_compareILb0ELb0ElNS0_19identity_decomposerEEEEE10hipError_tT0_T1_T2_jT3_P12ihipStream_tbPNSt15iterator_traitsISG_E10value_typeEPNSM_ISH_E10value_typeEPSI_NS1_7vsmem_tEENKUlT_SG_SH_SI_E_clIS7_S7_SB_S7_EESF_SV_SG_SH_SI_EUlSV_E0_NS1_11comp_targetILNS1_3genE4ELNS1_11target_archE910ELNS1_3gpuE8ELNS1_3repE0EEENS1_38merge_mergepath_config_static_selectorELNS0_4arch9wavefront6targetE1EEEvSH_,"axG",@progbits,_ZN7rocprim17ROCPRIM_400000_NS6detail17trampoline_kernelINS0_14default_configENS1_38merge_sort_block_merge_config_selectorIllEEZZNS1_27merge_sort_block_merge_implIS3_PlN6thrust23THRUST_200600_302600_NS10device_ptrIlEEjNS1_19radix_merge_compareILb0ELb0ElNS0_19identity_decomposerEEEEE10hipError_tT0_T1_T2_jT3_P12ihipStream_tbPNSt15iterator_traitsISG_E10value_typeEPNSM_ISH_E10value_typeEPSI_NS1_7vsmem_tEENKUlT_SG_SH_SI_E_clIS7_S7_SB_S7_EESF_SV_SG_SH_SI_EUlSV_E0_NS1_11comp_targetILNS1_3genE4ELNS1_11target_archE910ELNS1_3gpuE8ELNS1_3repE0EEENS1_38merge_mergepath_config_static_selectorELNS0_4arch9wavefront6targetE1EEEvSH_,comdat
	.protected	_ZN7rocprim17ROCPRIM_400000_NS6detail17trampoline_kernelINS0_14default_configENS1_38merge_sort_block_merge_config_selectorIllEEZZNS1_27merge_sort_block_merge_implIS3_PlN6thrust23THRUST_200600_302600_NS10device_ptrIlEEjNS1_19radix_merge_compareILb0ELb0ElNS0_19identity_decomposerEEEEE10hipError_tT0_T1_T2_jT3_P12ihipStream_tbPNSt15iterator_traitsISG_E10value_typeEPNSM_ISH_E10value_typeEPSI_NS1_7vsmem_tEENKUlT_SG_SH_SI_E_clIS7_S7_SB_S7_EESF_SV_SG_SH_SI_EUlSV_E0_NS1_11comp_targetILNS1_3genE4ELNS1_11target_archE910ELNS1_3gpuE8ELNS1_3repE0EEENS1_38merge_mergepath_config_static_selectorELNS0_4arch9wavefront6targetE1EEEvSH_ ; -- Begin function _ZN7rocprim17ROCPRIM_400000_NS6detail17trampoline_kernelINS0_14default_configENS1_38merge_sort_block_merge_config_selectorIllEEZZNS1_27merge_sort_block_merge_implIS3_PlN6thrust23THRUST_200600_302600_NS10device_ptrIlEEjNS1_19radix_merge_compareILb0ELb0ElNS0_19identity_decomposerEEEEE10hipError_tT0_T1_T2_jT3_P12ihipStream_tbPNSt15iterator_traitsISG_E10value_typeEPNSM_ISH_E10value_typeEPSI_NS1_7vsmem_tEENKUlT_SG_SH_SI_E_clIS7_S7_SB_S7_EESF_SV_SG_SH_SI_EUlSV_E0_NS1_11comp_targetILNS1_3genE4ELNS1_11target_archE910ELNS1_3gpuE8ELNS1_3repE0EEENS1_38merge_mergepath_config_static_selectorELNS0_4arch9wavefront6targetE1EEEvSH_
	.globl	_ZN7rocprim17ROCPRIM_400000_NS6detail17trampoline_kernelINS0_14default_configENS1_38merge_sort_block_merge_config_selectorIllEEZZNS1_27merge_sort_block_merge_implIS3_PlN6thrust23THRUST_200600_302600_NS10device_ptrIlEEjNS1_19radix_merge_compareILb0ELb0ElNS0_19identity_decomposerEEEEE10hipError_tT0_T1_T2_jT3_P12ihipStream_tbPNSt15iterator_traitsISG_E10value_typeEPNSM_ISH_E10value_typeEPSI_NS1_7vsmem_tEENKUlT_SG_SH_SI_E_clIS7_S7_SB_S7_EESF_SV_SG_SH_SI_EUlSV_E0_NS1_11comp_targetILNS1_3genE4ELNS1_11target_archE910ELNS1_3gpuE8ELNS1_3repE0EEENS1_38merge_mergepath_config_static_selectorELNS0_4arch9wavefront6targetE1EEEvSH_
	.p2align	8
	.type	_ZN7rocprim17ROCPRIM_400000_NS6detail17trampoline_kernelINS0_14default_configENS1_38merge_sort_block_merge_config_selectorIllEEZZNS1_27merge_sort_block_merge_implIS3_PlN6thrust23THRUST_200600_302600_NS10device_ptrIlEEjNS1_19radix_merge_compareILb0ELb0ElNS0_19identity_decomposerEEEEE10hipError_tT0_T1_T2_jT3_P12ihipStream_tbPNSt15iterator_traitsISG_E10value_typeEPNSM_ISH_E10value_typeEPSI_NS1_7vsmem_tEENKUlT_SG_SH_SI_E_clIS7_S7_SB_S7_EESF_SV_SG_SH_SI_EUlSV_E0_NS1_11comp_targetILNS1_3genE4ELNS1_11target_archE910ELNS1_3gpuE8ELNS1_3repE0EEENS1_38merge_mergepath_config_static_selectorELNS0_4arch9wavefront6targetE1EEEvSH_,@function
_ZN7rocprim17ROCPRIM_400000_NS6detail17trampoline_kernelINS0_14default_configENS1_38merge_sort_block_merge_config_selectorIllEEZZNS1_27merge_sort_block_merge_implIS3_PlN6thrust23THRUST_200600_302600_NS10device_ptrIlEEjNS1_19radix_merge_compareILb0ELb0ElNS0_19identity_decomposerEEEEE10hipError_tT0_T1_T2_jT3_P12ihipStream_tbPNSt15iterator_traitsISG_E10value_typeEPNSM_ISH_E10value_typeEPSI_NS1_7vsmem_tEENKUlT_SG_SH_SI_E_clIS7_S7_SB_S7_EESF_SV_SG_SH_SI_EUlSV_E0_NS1_11comp_targetILNS1_3genE4ELNS1_11target_archE910ELNS1_3gpuE8ELNS1_3repE0EEENS1_38merge_mergepath_config_static_selectorELNS0_4arch9wavefront6targetE1EEEvSH_: ; @_ZN7rocprim17ROCPRIM_400000_NS6detail17trampoline_kernelINS0_14default_configENS1_38merge_sort_block_merge_config_selectorIllEEZZNS1_27merge_sort_block_merge_implIS3_PlN6thrust23THRUST_200600_302600_NS10device_ptrIlEEjNS1_19radix_merge_compareILb0ELb0ElNS0_19identity_decomposerEEEEE10hipError_tT0_T1_T2_jT3_P12ihipStream_tbPNSt15iterator_traitsISG_E10value_typeEPNSM_ISH_E10value_typeEPSI_NS1_7vsmem_tEENKUlT_SG_SH_SI_E_clIS7_S7_SB_S7_EESF_SV_SG_SH_SI_EUlSV_E0_NS1_11comp_targetILNS1_3genE4ELNS1_11target_archE910ELNS1_3gpuE8ELNS1_3repE0EEENS1_38merge_mergepath_config_static_selectorELNS0_4arch9wavefront6targetE1EEEvSH_
; %bb.0:
	.section	.rodata,"a",@progbits
	.p2align	6, 0x0
	.amdhsa_kernel _ZN7rocprim17ROCPRIM_400000_NS6detail17trampoline_kernelINS0_14default_configENS1_38merge_sort_block_merge_config_selectorIllEEZZNS1_27merge_sort_block_merge_implIS3_PlN6thrust23THRUST_200600_302600_NS10device_ptrIlEEjNS1_19radix_merge_compareILb0ELb0ElNS0_19identity_decomposerEEEEE10hipError_tT0_T1_T2_jT3_P12ihipStream_tbPNSt15iterator_traitsISG_E10value_typeEPNSM_ISH_E10value_typeEPSI_NS1_7vsmem_tEENKUlT_SG_SH_SI_E_clIS7_S7_SB_S7_EESF_SV_SG_SH_SI_EUlSV_E0_NS1_11comp_targetILNS1_3genE4ELNS1_11target_archE910ELNS1_3gpuE8ELNS1_3repE0EEENS1_38merge_mergepath_config_static_selectorELNS0_4arch9wavefront6targetE1EEEvSH_
		.amdhsa_group_segment_fixed_size 0
		.amdhsa_private_segment_fixed_size 0
		.amdhsa_kernarg_size 64
		.amdhsa_user_sgpr_count 6
		.amdhsa_user_sgpr_private_segment_buffer 1
		.amdhsa_user_sgpr_dispatch_ptr 0
		.amdhsa_user_sgpr_queue_ptr 0
		.amdhsa_user_sgpr_kernarg_segment_ptr 1
		.amdhsa_user_sgpr_dispatch_id 0
		.amdhsa_user_sgpr_flat_scratch_init 0
		.amdhsa_user_sgpr_private_segment_size 0
		.amdhsa_uses_dynamic_stack 0
		.amdhsa_system_sgpr_private_segment_wavefront_offset 0
		.amdhsa_system_sgpr_workgroup_id_x 1
		.amdhsa_system_sgpr_workgroup_id_y 0
		.amdhsa_system_sgpr_workgroup_id_z 0
		.amdhsa_system_sgpr_workgroup_info 0
		.amdhsa_system_vgpr_workitem_id 0
		.amdhsa_next_free_vgpr 1
		.amdhsa_next_free_sgpr 0
		.amdhsa_reserve_vcc 0
		.amdhsa_reserve_flat_scratch 0
		.amdhsa_float_round_mode_32 0
		.amdhsa_float_round_mode_16_64 0
		.amdhsa_float_denorm_mode_32 3
		.amdhsa_float_denorm_mode_16_64 3
		.amdhsa_dx10_clamp 1
		.amdhsa_ieee_mode 1
		.amdhsa_fp16_overflow 0
		.amdhsa_exception_fp_ieee_invalid_op 0
		.amdhsa_exception_fp_denorm_src 0
		.amdhsa_exception_fp_ieee_div_zero 0
		.amdhsa_exception_fp_ieee_overflow 0
		.amdhsa_exception_fp_ieee_underflow 0
		.amdhsa_exception_fp_ieee_inexact 0
		.amdhsa_exception_int_div_zero 0
	.end_amdhsa_kernel
	.section	.text._ZN7rocprim17ROCPRIM_400000_NS6detail17trampoline_kernelINS0_14default_configENS1_38merge_sort_block_merge_config_selectorIllEEZZNS1_27merge_sort_block_merge_implIS3_PlN6thrust23THRUST_200600_302600_NS10device_ptrIlEEjNS1_19radix_merge_compareILb0ELb0ElNS0_19identity_decomposerEEEEE10hipError_tT0_T1_T2_jT3_P12ihipStream_tbPNSt15iterator_traitsISG_E10value_typeEPNSM_ISH_E10value_typeEPSI_NS1_7vsmem_tEENKUlT_SG_SH_SI_E_clIS7_S7_SB_S7_EESF_SV_SG_SH_SI_EUlSV_E0_NS1_11comp_targetILNS1_3genE4ELNS1_11target_archE910ELNS1_3gpuE8ELNS1_3repE0EEENS1_38merge_mergepath_config_static_selectorELNS0_4arch9wavefront6targetE1EEEvSH_,"axG",@progbits,_ZN7rocprim17ROCPRIM_400000_NS6detail17trampoline_kernelINS0_14default_configENS1_38merge_sort_block_merge_config_selectorIllEEZZNS1_27merge_sort_block_merge_implIS3_PlN6thrust23THRUST_200600_302600_NS10device_ptrIlEEjNS1_19radix_merge_compareILb0ELb0ElNS0_19identity_decomposerEEEEE10hipError_tT0_T1_T2_jT3_P12ihipStream_tbPNSt15iterator_traitsISG_E10value_typeEPNSM_ISH_E10value_typeEPSI_NS1_7vsmem_tEENKUlT_SG_SH_SI_E_clIS7_S7_SB_S7_EESF_SV_SG_SH_SI_EUlSV_E0_NS1_11comp_targetILNS1_3genE4ELNS1_11target_archE910ELNS1_3gpuE8ELNS1_3repE0EEENS1_38merge_mergepath_config_static_selectorELNS0_4arch9wavefront6targetE1EEEvSH_,comdat
.Lfunc_end1045:
	.size	_ZN7rocprim17ROCPRIM_400000_NS6detail17trampoline_kernelINS0_14default_configENS1_38merge_sort_block_merge_config_selectorIllEEZZNS1_27merge_sort_block_merge_implIS3_PlN6thrust23THRUST_200600_302600_NS10device_ptrIlEEjNS1_19radix_merge_compareILb0ELb0ElNS0_19identity_decomposerEEEEE10hipError_tT0_T1_T2_jT3_P12ihipStream_tbPNSt15iterator_traitsISG_E10value_typeEPNSM_ISH_E10value_typeEPSI_NS1_7vsmem_tEENKUlT_SG_SH_SI_E_clIS7_S7_SB_S7_EESF_SV_SG_SH_SI_EUlSV_E0_NS1_11comp_targetILNS1_3genE4ELNS1_11target_archE910ELNS1_3gpuE8ELNS1_3repE0EEENS1_38merge_mergepath_config_static_selectorELNS0_4arch9wavefront6targetE1EEEvSH_, .Lfunc_end1045-_ZN7rocprim17ROCPRIM_400000_NS6detail17trampoline_kernelINS0_14default_configENS1_38merge_sort_block_merge_config_selectorIllEEZZNS1_27merge_sort_block_merge_implIS3_PlN6thrust23THRUST_200600_302600_NS10device_ptrIlEEjNS1_19radix_merge_compareILb0ELb0ElNS0_19identity_decomposerEEEEE10hipError_tT0_T1_T2_jT3_P12ihipStream_tbPNSt15iterator_traitsISG_E10value_typeEPNSM_ISH_E10value_typeEPSI_NS1_7vsmem_tEENKUlT_SG_SH_SI_E_clIS7_S7_SB_S7_EESF_SV_SG_SH_SI_EUlSV_E0_NS1_11comp_targetILNS1_3genE4ELNS1_11target_archE910ELNS1_3gpuE8ELNS1_3repE0EEENS1_38merge_mergepath_config_static_selectorELNS0_4arch9wavefront6targetE1EEEvSH_
                                        ; -- End function
	.set _ZN7rocprim17ROCPRIM_400000_NS6detail17trampoline_kernelINS0_14default_configENS1_38merge_sort_block_merge_config_selectorIllEEZZNS1_27merge_sort_block_merge_implIS3_PlN6thrust23THRUST_200600_302600_NS10device_ptrIlEEjNS1_19radix_merge_compareILb0ELb0ElNS0_19identity_decomposerEEEEE10hipError_tT0_T1_T2_jT3_P12ihipStream_tbPNSt15iterator_traitsISG_E10value_typeEPNSM_ISH_E10value_typeEPSI_NS1_7vsmem_tEENKUlT_SG_SH_SI_E_clIS7_S7_SB_S7_EESF_SV_SG_SH_SI_EUlSV_E0_NS1_11comp_targetILNS1_3genE4ELNS1_11target_archE910ELNS1_3gpuE8ELNS1_3repE0EEENS1_38merge_mergepath_config_static_selectorELNS0_4arch9wavefront6targetE1EEEvSH_.num_vgpr, 0
	.set _ZN7rocprim17ROCPRIM_400000_NS6detail17trampoline_kernelINS0_14default_configENS1_38merge_sort_block_merge_config_selectorIllEEZZNS1_27merge_sort_block_merge_implIS3_PlN6thrust23THRUST_200600_302600_NS10device_ptrIlEEjNS1_19radix_merge_compareILb0ELb0ElNS0_19identity_decomposerEEEEE10hipError_tT0_T1_T2_jT3_P12ihipStream_tbPNSt15iterator_traitsISG_E10value_typeEPNSM_ISH_E10value_typeEPSI_NS1_7vsmem_tEENKUlT_SG_SH_SI_E_clIS7_S7_SB_S7_EESF_SV_SG_SH_SI_EUlSV_E0_NS1_11comp_targetILNS1_3genE4ELNS1_11target_archE910ELNS1_3gpuE8ELNS1_3repE0EEENS1_38merge_mergepath_config_static_selectorELNS0_4arch9wavefront6targetE1EEEvSH_.num_agpr, 0
	.set _ZN7rocprim17ROCPRIM_400000_NS6detail17trampoline_kernelINS0_14default_configENS1_38merge_sort_block_merge_config_selectorIllEEZZNS1_27merge_sort_block_merge_implIS3_PlN6thrust23THRUST_200600_302600_NS10device_ptrIlEEjNS1_19radix_merge_compareILb0ELb0ElNS0_19identity_decomposerEEEEE10hipError_tT0_T1_T2_jT3_P12ihipStream_tbPNSt15iterator_traitsISG_E10value_typeEPNSM_ISH_E10value_typeEPSI_NS1_7vsmem_tEENKUlT_SG_SH_SI_E_clIS7_S7_SB_S7_EESF_SV_SG_SH_SI_EUlSV_E0_NS1_11comp_targetILNS1_3genE4ELNS1_11target_archE910ELNS1_3gpuE8ELNS1_3repE0EEENS1_38merge_mergepath_config_static_selectorELNS0_4arch9wavefront6targetE1EEEvSH_.numbered_sgpr, 0
	.set _ZN7rocprim17ROCPRIM_400000_NS6detail17trampoline_kernelINS0_14default_configENS1_38merge_sort_block_merge_config_selectorIllEEZZNS1_27merge_sort_block_merge_implIS3_PlN6thrust23THRUST_200600_302600_NS10device_ptrIlEEjNS1_19radix_merge_compareILb0ELb0ElNS0_19identity_decomposerEEEEE10hipError_tT0_T1_T2_jT3_P12ihipStream_tbPNSt15iterator_traitsISG_E10value_typeEPNSM_ISH_E10value_typeEPSI_NS1_7vsmem_tEENKUlT_SG_SH_SI_E_clIS7_S7_SB_S7_EESF_SV_SG_SH_SI_EUlSV_E0_NS1_11comp_targetILNS1_3genE4ELNS1_11target_archE910ELNS1_3gpuE8ELNS1_3repE0EEENS1_38merge_mergepath_config_static_selectorELNS0_4arch9wavefront6targetE1EEEvSH_.num_named_barrier, 0
	.set _ZN7rocprim17ROCPRIM_400000_NS6detail17trampoline_kernelINS0_14default_configENS1_38merge_sort_block_merge_config_selectorIllEEZZNS1_27merge_sort_block_merge_implIS3_PlN6thrust23THRUST_200600_302600_NS10device_ptrIlEEjNS1_19radix_merge_compareILb0ELb0ElNS0_19identity_decomposerEEEEE10hipError_tT0_T1_T2_jT3_P12ihipStream_tbPNSt15iterator_traitsISG_E10value_typeEPNSM_ISH_E10value_typeEPSI_NS1_7vsmem_tEENKUlT_SG_SH_SI_E_clIS7_S7_SB_S7_EESF_SV_SG_SH_SI_EUlSV_E0_NS1_11comp_targetILNS1_3genE4ELNS1_11target_archE910ELNS1_3gpuE8ELNS1_3repE0EEENS1_38merge_mergepath_config_static_selectorELNS0_4arch9wavefront6targetE1EEEvSH_.private_seg_size, 0
	.set _ZN7rocprim17ROCPRIM_400000_NS6detail17trampoline_kernelINS0_14default_configENS1_38merge_sort_block_merge_config_selectorIllEEZZNS1_27merge_sort_block_merge_implIS3_PlN6thrust23THRUST_200600_302600_NS10device_ptrIlEEjNS1_19radix_merge_compareILb0ELb0ElNS0_19identity_decomposerEEEEE10hipError_tT0_T1_T2_jT3_P12ihipStream_tbPNSt15iterator_traitsISG_E10value_typeEPNSM_ISH_E10value_typeEPSI_NS1_7vsmem_tEENKUlT_SG_SH_SI_E_clIS7_S7_SB_S7_EESF_SV_SG_SH_SI_EUlSV_E0_NS1_11comp_targetILNS1_3genE4ELNS1_11target_archE910ELNS1_3gpuE8ELNS1_3repE0EEENS1_38merge_mergepath_config_static_selectorELNS0_4arch9wavefront6targetE1EEEvSH_.uses_vcc, 0
	.set _ZN7rocprim17ROCPRIM_400000_NS6detail17trampoline_kernelINS0_14default_configENS1_38merge_sort_block_merge_config_selectorIllEEZZNS1_27merge_sort_block_merge_implIS3_PlN6thrust23THRUST_200600_302600_NS10device_ptrIlEEjNS1_19radix_merge_compareILb0ELb0ElNS0_19identity_decomposerEEEEE10hipError_tT0_T1_T2_jT3_P12ihipStream_tbPNSt15iterator_traitsISG_E10value_typeEPNSM_ISH_E10value_typeEPSI_NS1_7vsmem_tEENKUlT_SG_SH_SI_E_clIS7_S7_SB_S7_EESF_SV_SG_SH_SI_EUlSV_E0_NS1_11comp_targetILNS1_3genE4ELNS1_11target_archE910ELNS1_3gpuE8ELNS1_3repE0EEENS1_38merge_mergepath_config_static_selectorELNS0_4arch9wavefront6targetE1EEEvSH_.uses_flat_scratch, 0
	.set _ZN7rocprim17ROCPRIM_400000_NS6detail17trampoline_kernelINS0_14default_configENS1_38merge_sort_block_merge_config_selectorIllEEZZNS1_27merge_sort_block_merge_implIS3_PlN6thrust23THRUST_200600_302600_NS10device_ptrIlEEjNS1_19radix_merge_compareILb0ELb0ElNS0_19identity_decomposerEEEEE10hipError_tT0_T1_T2_jT3_P12ihipStream_tbPNSt15iterator_traitsISG_E10value_typeEPNSM_ISH_E10value_typeEPSI_NS1_7vsmem_tEENKUlT_SG_SH_SI_E_clIS7_S7_SB_S7_EESF_SV_SG_SH_SI_EUlSV_E0_NS1_11comp_targetILNS1_3genE4ELNS1_11target_archE910ELNS1_3gpuE8ELNS1_3repE0EEENS1_38merge_mergepath_config_static_selectorELNS0_4arch9wavefront6targetE1EEEvSH_.has_dyn_sized_stack, 0
	.set _ZN7rocprim17ROCPRIM_400000_NS6detail17trampoline_kernelINS0_14default_configENS1_38merge_sort_block_merge_config_selectorIllEEZZNS1_27merge_sort_block_merge_implIS3_PlN6thrust23THRUST_200600_302600_NS10device_ptrIlEEjNS1_19radix_merge_compareILb0ELb0ElNS0_19identity_decomposerEEEEE10hipError_tT0_T1_T2_jT3_P12ihipStream_tbPNSt15iterator_traitsISG_E10value_typeEPNSM_ISH_E10value_typeEPSI_NS1_7vsmem_tEENKUlT_SG_SH_SI_E_clIS7_S7_SB_S7_EESF_SV_SG_SH_SI_EUlSV_E0_NS1_11comp_targetILNS1_3genE4ELNS1_11target_archE910ELNS1_3gpuE8ELNS1_3repE0EEENS1_38merge_mergepath_config_static_selectorELNS0_4arch9wavefront6targetE1EEEvSH_.has_recursion, 0
	.set _ZN7rocprim17ROCPRIM_400000_NS6detail17trampoline_kernelINS0_14default_configENS1_38merge_sort_block_merge_config_selectorIllEEZZNS1_27merge_sort_block_merge_implIS3_PlN6thrust23THRUST_200600_302600_NS10device_ptrIlEEjNS1_19radix_merge_compareILb0ELb0ElNS0_19identity_decomposerEEEEE10hipError_tT0_T1_T2_jT3_P12ihipStream_tbPNSt15iterator_traitsISG_E10value_typeEPNSM_ISH_E10value_typeEPSI_NS1_7vsmem_tEENKUlT_SG_SH_SI_E_clIS7_S7_SB_S7_EESF_SV_SG_SH_SI_EUlSV_E0_NS1_11comp_targetILNS1_3genE4ELNS1_11target_archE910ELNS1_3gpuE8ELNS1_3repE0EEENS1_38merge_mergepath_config_static_selectorELNS0_4arch9wavefront6targetE1EEEvSH_.has_indirect_call, 0
	.section	.AMDGPU.csdata,"",@progbits
; Kernel info:
; codeLenInByte = 0
; TotalNumSgprs: 4
; NumVgprs: 0
; ScratchSize: 0
; MemoryBound: 0
; FloatMode: 240
; IeeeMode: 1
; LDSByteSize: 0 bytes/workgroup (compile time only)
; SGPRBlocks: 0
; VGPRBlocks: 0
; NumSGPRsForWavesPerEU: 4
; NumVGPRsForWavesPerEU: 1
; Occupancy: 10
; WaveLimiterHint : 0
; COMPUTE_PGM_RSRC2:SCRATCH_EN: 0
; COMPUTE_PGM_RSRC2:USER_SGPR: 6
; COMPUTE_PGM_RSRC2:TRAP_HANDLER: 0
; COMPUTE_PGM_RSRC2:TGID_X_EN: 1
; COMPUTE_PGM_RSRC2:TGID_Y_EN: 0
; COMPUTE_PGM_RSRC2:TGID_Z_EN: 0
; COMPUTE_PGM_RSRC2:TIDIG_COMP_CNT: 0
	.section	.text._ZN7rocprim17ROCPRIM_400000_NS6detail17trampoline_kernelINS0_14default_configENS1_38merge_sort_block_merge_config_selectorIllEEZZNS1_27merge_sort_block_merge_implIS3_PlN6thrust23THRUST_200600_302600_NS10device_ptrIlEEjNS1_19radix_merge_compareILb0ELb0ElNS0_19identity_decomposerEEEEE10hipError_tT0_T1_T2_jT3_P12ihipStream_tbPNSt15iterator_traitsISG_E10value_typeEPNSM_ISH_E10value_typeEPSI_NS1_7vsmem_tEENKUlT_SG_SH_SI_E_clIS7_S7_SB_S7_EESF_SV_SG_SH_SI_EUlSV_E0_NS1_11comp_targetILNS1_3genE3ELNS1_11target_archE908ELNS1_3gpuE7ELNS1_3repE0EEENS1_38merge_mergepath_config_static_selectorELNS0_4arch9wavefront6targetE1EEEvSH_,"axG",@progbits,_ZN7rocprim17ROCPRIM_400000_NS6detail17trampoline_kernelINS0_14default_configENS1_38merge_sort_block_merge_config_selectorIllEEZZNS1_27merge_sort_block_merge_implIS3_PlN6thrust23THRUST_200600_302600_NS10device_ptrIlEEjNS1_19radix_merge_compareILb0ELb0ElNS0_19identity_decomposerEEEEE10hipError_tT0_T1_T2_jT3_P12ihipStream_tbPNSt15iterator_traitsISG_E10value_typeEPNSM_ISH_E10value_typeEPSI_NS1_7vsmem_tEENKUlT_SG_SH_SI_E_clIS7_S7_SB_S7_EESF_SV_SG_SH_SI_EUlSV_E0_NS1_11comp_targetILNS1_3genE3ELNS1_11target_archE908ELNS1_3gpuE7ELNS1_3repE0EEENS1_38merge_mergepath_config_static_selectorELNS0_4arch9wavefront6targetE1EEEvSH_,comdat
	.protected	_ZN7rocprim17ROCPRIM_400000_NS6detail17trampoline_kernelINS0_14default_configENS1_38merge_sort_block_merge_config_selectorIllEEZZNS1_27merge_sort_block_merge_implIS3_PlN6thrust23THRUST_200600_302600_NS10device_ptrIlEEjNS1_19radix_merge_compareILb0ELb0ElNS0_19identity_decomposerEEEEE10hipError_tT0_T1_T2_jT3_P12ihipStream_tbPNSt15iterator_traitsISG_E10value_typeEPNSM_ISH_E10value_typeEPSI_NS1_7vsmem_tEENKUlT_SG_SH_SI_E_clIS7_S7_SB_S7_EESF_SV_SG_SH_SI_EUlSV_E0_NS1_11comp_targetILNS1_3genE3ELNS1_11target_archE908ELNS1_3gpuE7ELNS1_3repE0EEENS1_38merge_mergepath_config_static_selectorELNS0_4arch9wavefront6targetE1EEEvSH_ ; -- Begin function _ZN7rocprim17ROCPRIM_400000_NS6detail17trampoline_kernelINS0_14default_configENS1_38merge_sort_block_merge_config_selectorIllEEZZNS1_27merge_sort_block_merge_implIS3_PlN6thrust23THRUST_200600_302600_NS10device_ptrIlEEjNS1_19radix_merge_compareILb0ELb0ElNS0_19identity_decomposerEEEEE10hipError_tT0_T1_T2_jT3_P12ihipStream_tbPNSt15iterator_traitsISG_E10value_typeEPNSM_ISH_E10value_typeEPSI_NS1_7vsmem_tEENKUlT_SG_SH_SI_E_clIS7_S7_SB_S7_EESF_SV_SG_SH_SI_EUlSV_E0_NS1_11comp_targetILNS1_3genE3ELNS1_11target_archE908ELNS1_3gpuE7ELNS1_3repE0EEENS1_38merge_mergepath_config_static_selectorELNS0_4arch9wavefront6targetE1EEEvSH_
	.globl	_ZN7rocprim17ROCPRIM_400000_NS6detail17trampoline_kernelINS0_14default_configENS1_38merge_sort_block_merge_config_selectorIllEEZZNS1_27merge_sort_block_merge_implIS3_PlN6thrust23THRUST_200600_302600_NS10device_ptrIlEEjNS1_19radix_merge_compareILb0ELb0ElNS0_19identity_decomposerEEEEE10hipError_tT0_T1_T2_jT3_P12ihipStream_tbPNSt15iterator_traitsISG_E10value_typeEPNSM_ISH_E10value_typeEPSI_NS1_7vsmem_tEENKUlT_SG_SH_SI_E_clIS7_S7_SB_S7_EESF_SV_SG_SH_SI_EUlSV_E0_NS1_11comp_targetILNS1_3genE3ELNS1_11target_archE908ELNS1_3gpuE7ELNS1_3repE0EEENS1_38merge_mergepath_config_static_selectorELNS0_4arch9wavefront6targetE1EEEvSH_
	.p2align	8
	.type	_ZN7rocprim17ROCPRIM_400000_NS6detail17trampoline_kernelINS0_14default_configENS1_38merge_sort_block_merge_config_selectorIllEEZZNS1_27merge_sort_block_merge_implIS3_PlN6thrust23THRUST_200600_302600_NS10device_ptrIlEEjNS1_19radix_merge_compareILb0ELb0ElNS0_19identity_decomposerEEEEE10hipError_tT0_T1_T2_jT3_P12ihipStream_tbPNSt15iterator_traitsISG_E10value_typeEPNSM_ISH_E10value_typeEPSI_NS1_7vsmem_tEENKUlT_SG_SH_SI_E_clIS7_S7_SB_S7_EESF_SV_SG_SH_SI_EUlSV_E0_NS1_11comp_targetILNS1_3genE3ELNS1_11target_archE908ELNS1_3gpuE7ELNS1_3repE0EEENS1_38merge_mergepath_config_static_selectorELNS0_4arch9wavefront6targetE1EEEvSH_,@function
_ZN7rocprim17ROCPRIM_400000_NS6detail17trampoline_kernelINS0_14default_configENS1_38merge_sort_block_merge_config_selectorIllEEZZNS1_27merge_sort_block_merge_implIS3_PlN6thrust23THRUST_200600_302600_NS10device_ptrIlEEjNS1_19radix_merge_compareILb0ELb0ElNS0_19identity_decomposerEEEEE10hipError_tT0_T1_T2_jT3_P12ihipStream_tbPNSt15iterator_traitsISG_E10value_typeEPNSM_ISH_E10value_typeEPSI_NS1_7vsmem_tEENKUlT_SG_SH_SI_E_clIS7_S7_SB_S7_EESF_SV_SG_SH_SI_EUlSV_E0_NS1_11comp_targetILNS1_3genE3ELNS1_11target_archE908ELNS1_3gpuE7ELNS1_3repE0EEENS1_38merge_mergepath_config_static_selectorELNS0_4arch9wavefront6targetE1EEEvSH_: ; @_ZN7rocprim17ROCPRIM_400000_NS6detail17trampoline_kernelINS0_14default_configENS1_38merge_sort_block_merge_config_selectorIllEEZZNS1_27merge_sort_block_merge_implIS3_PlN6thrust23THRUST_200600_302600_NS10device_ptrIlEEjNS1_19radix_merge_compareILb0ELb0ElNS0_19identity_decomposerEEEEE10hipError_tT0_T1_T2_jT3_P12ihipStream_tbPNSt15iterator_traitsISG_E10value_typeEPNSM_ISH_E10value_typeEPSI_NS1_7vsmem_tEENKUlT_SG_SH_SI_E_clIS7_S7_SB_S7_EESF_SV_SG_SH_SI_EUlSV_E0_NS1_11comp_targetILNS1_3genE3ELNS1_11target_archE908ELNS1_3gpuE7ELNS1_3repE0EEENS1_38merge_mergepath_config_static_selectorELNS0_4arch9wavefront6targetE1EEEvSH_
; %bb.0:
	.section	.rodata,"a",@progbits
	.p2align	6, 0x0
	.amdhsa_kernel _ZN7rocprim17ROCPRIM_400000_NS6detail17trampoline_kernelINS0_14default_configENS1_38merge_sort_block_merge_config_selectorIllEEZZNS1_27merge_sort_block_merge_implIS3_PlN6thrust23THRUST_200600_302600_NS10device_ptrIlEEjNS1_19radix_merge_compareILb0ELb0ElNS0_19identity_decomposerEEEEE10hipError_tT0_T1_T2_jT3_P12ihipStream_tbPNSt15iterator_traitsISG_E10value_typeEPNSM_ISH_E10value_typeEPSI_NS1_7vsmem_tEENKUlT_SG_SH_SI_E_clIS7_S7_SB_S7_EESF_SV_SG_SH_SI_EUlSV_E0_NS1_11comp_targetILNS1_3genE3ELNS1_11target_archE908ELNS1_3gpuE7ELNS1_3repE0EEENS1_38merge_mergepath_config_static_selectorELNS0_4arch9wavefront6targetE1EEEvSH_
		.amdhsa_group_segment_fixed_size 0
		.amdhsa_private_segment_fixed_size 0
		.amdhsa_kernarg_size 64
		.amdhsa_user_sgpr_count 6
		.amdhsa_user_sgpr_private_segment_buffer 1
		.amdhsa_user_sgpr_dispatch_ptr 0
		.amdhsa_user_sgpr_queue_ptr 0
		.amdhsa_user_sgpr_kernarg_segment_ptr 1
		.amdhsa_user_sgpr_dispatch_id 0
		.amdhsa_user_sgpr_flat_scratch_init 0
		.amdhsa_user_sgpr_private_segment_size 0
		.amdhsa_uses_dynamic_stack 0
		.amdhsa_system_sgpr_private_segment_wavefront_offset 0
		.amdhsa_system_sgpr_workgroup_id_x 1
		.amdhsa_system_sgpr_workgroup_id_y 0
		.amdhsa_system_sgpr_workgroup_id_z 0
		.amdhsa_system_sgpr_workgroup_info 0
		.amdhsa_system_vgpr_workitem_id 0
		.amdhsa_next_free_vgpr 1
		.amdhsa_next_free_sgpr 0
		.amdhsa_reserve_vcc 0
		.amdhsa_reserve_flat_scratch 0
		.amdhsa_float_round_mode_32 0
		.amdhsa_float_round_mode_16_64 0
		.amdhsa_float_denorm_mode_32 3
		.amdhsa_float_denorm_mode_16_64 3
		.amdhsa_dx10_clamp 1
		.amdhsa_ieee_mode 1
		.amdhsa_fp16_overflow 0
		.amdhsa_exception_fp_ieee_invalid_op 0
		.amdhsa_exception_fp_denorm_src 0
		.amdhsa_exception_fp_ieee_div_zero 0
		.amdhsa_exception_fp_ieee_overflow 0
		.amdhsa_exception_fp_ieee_underflow 0
		.amdhsa_exception_fp_ieee_inexact 0
		.amdhsa_exception_int_div_zero 0
	.end_amdhsa_kernel
	.section	.text._ZN7rocprim17ROCPRIM_400000_NS6detail17trampoline_kernelINS0_14default_configENS1_38merge_sort_block_merge_config_selectorIllEEZZNS1_27merge_sort_block_merge_implIS3_PlN6thrust23THRUST_200600_302600_NS10device_ptrIlEEjNS1_19radix_merge_compareILb0ELb0ElNS0_19identity_decomposerEEEEE10hipError_tT0_T1_T2_jT3_P12ihipStream_tbPNSt15iterator_traitsISG_E10value_typeEPNSM_ISH_E10value_typeEPSI_NS1_7vsmem_tEENKUlT_SG_SH_SI_E_clIS7_S7_SB_S7_EESF_SV_SG_SH_SI_EUlSV_E0_NS1_11comp_targetILNS1_3genE3ELNS1_11target_archE908ELNS1_3gpuE7ELNS1_3repE0EEENS1_38merge_mergepath_config_static_selectorELNS0_4arch9wavefront6targetE1EEEvSH_,"axG",@progbits,_ZN7rocprim17ROCPRIM_400000_NS6detail17trampoline_kernelINS0_14default_configENS1_38merge_sort_block_merge_config_selectorIllEEZZNS1_27merge_sort_block_merge_implIS3_PlN6thrust23THRUST_200600_302600_NS10device_ptrIlEEjNS1_19radix_merge_compareILb0ELb0ElNS0_19identity_decomposerEEEEE10hipError_tT0_T1_T2_jT3_P12ihipStream_tbPNSt15iterator_traitsISG_E10value_typeEPNSM_ISH_E10value_typeEPSI_NS1_7vsmem_tEENKUlT_SG_SH_SI_E_clIS7_S7_SB_S7_EESF_SV_SG_SH_SI_EUlSV_E0_NS1_11comp_targetILNS1_3genE3ELNS1_11target_archE908ELNS1_3gpuE7ELNS1_3repE0EEENS1_38merge_mergepath_config_static_selectorELNS0_4arch9wavefront6targetE1EEEvSH_,comdat
.Lfunc_end1046:
	.size	_ZN7rocprim17ROCPRIM_400000_NS6detail17trampoline_kernelINS0_14default_configENS1_38merge_sort_block_merge_config_selectorIllEEZZNS1_27merge_sort_block_merge_implIS3_PlN6thrust23THRUST_200600_302600_NS10device_ptrIlEEjNS1_19radix_merge_compareILb0ELb0ElNS0_19identity_decomposerEEEEE10hipError_tT0_T1_T2_jT3_P12ihipStream_tbPNSt15iterator_traitsISG_E10value_typeEPNSM_ISH_E10value_typeEPSI_NS1_7vsmem_tEENKUlT_SG_SH_SI_E_clIS7_S7_SB_S7_EESF_SV_SG_SH_SI_EUlSV_E0_NS1_11comp_targetILNS1_3genE3ELNS1_11target_archE908ELNS1_3gpuE7ELNS1_3repE0EEENS1_38merge_mergepath_config_static_selectorELNS0_4arch9wavefront6targetE1EEEvSH_, .Lfunc_end1046-_ZN7rocprim17ROCPRIM_400000_NS6detail17trampoline_kernelINS0_14default_configENS1_38merge_sort_block_merge_config_selectorIllEEZZNS1_27merge_sort_block_merge_implIS3_PlN6thrust23THRUST_200600_302600_NS10device_ptrIlEEjNS1_19radix_merge_compareILb0ELb0ElNS0_19identity_decomposerEEEEE10hipError_tT0_T1_T2_jT3_P12ihipStream_tbPNSt15iterator_traitsISG_E10value_typeEPNSM_ISH_E10value_typeEPSI_NS1_7vsmem_tEENKUlT_SG_SH_SI_E_clIS7_S7_SB_S7_EESF_SV_SG_SH_SI_EUlSV_E0_NS1_11comp_targetILNS1_3genE3ELNS1_11target_archE908ELNS1_3gpuE7ELNS1_3repE0EEENS1_38merge_mergepath_config_static_selectorELNS0_4arch9wavefront6targetE1EEEvSH_
                                        ; -- End function
	.set _ZN7rocprim17ROCPRIM_400000_NS6detail17trampoline_kernelINS0_14default_configENS1_38merge_sort_block_merge_config_selectorIllEEZZNS1_27merge_sort_block_merge_implIS3_PlN6thrust23THRUST_200600_302600_NS10device_ptrIlEEjNS1_19radix_merge_compareILb0ELb0ElNS0_19identity_decomposerEEEEE10hipError_tT0_T1_T2_jT3_P12ihipStream_tbPNSt15iterator_traitsISG_E10value_typeEPNSM_ISH_E10value_typeEPSI_NS1_7vsmem_tEENKUlT_SG_SH_SI_E_clIS7_S7_SB_S7_EESF_SV_SG_SH_SI_EUlSV_E0_NS1_11comp_targetILNS1_3genE3ELNS1_11target_archE908ELNS1_3gpuE7ELNS1_3repE0EEENS1_38merge_mergepath_config_static_selectorELNS0_4arch9wavefront6targetE1EEEvSH_.num_vgpr, 0
	.set _ZN7rocprim17ROCPRIM_400000_NS6detail17trampoline_kernelINS0_14default_configENS1_38merge_sort_block_merge_config_selectorIllEEZZNS1_27merge_sort_block_merge_implIS3_PlN6thrust23THRUST_200600_302600_NS10device_ptrIlEEjNS1_19radix_merge_compareILb0ELb0ElNS0_19identity_decomposerEEEEE10hipError_tT0_T1_T2_jT3_P12ihipStream_tbPNSt15iterator_traitsISG_E10value_typeEPNSM_ISH_E10value_typeEPSI_NS1_7vsmem_tEENKUlT_SG_SH_SI_E_clIS7_S7_SB_S7_EESF_SV_SG_SH_SI_EUlSV_E0_NS1_11comp_targetILNS1_3genE3ELNS1_11target_archE908ELNS1_3gpuE7ELNS1_3repE0EEENS1_38merge_mergepath_config_static_selectorELNS0_4arch9wavefront6targetE1EEEvSH_.num_agpr, 0
	.set _ZN7rocprim17ROCPRIM_400000_NS6detail17trampoline_kernelINS0_14default_configENS1_38merge_sort_block_merge_config_selectorIllEEZZNS1_27merge_sort_block_merge_implIS3_PlN6thrust23THRUST_200600_302600_NS10device_ptrIlEEjNS1_19radix_merge_compareILb0ELb0ElNS0_19identity_decomposerEEEEE10hipError_tT0_T1_T2_jT3_P12ihipStream_tbPNSt15iterator_traitsISG_E10value_typeEPNSM_ISH_E10value_typeEPSI_NS1_7vsmem_tEENKUlT_SG_SH_SI_E_clIS7_S7_SB_S7_EESF_SV_SG_SH_SI_EUlSV_E0_NS1_11comp_targetILNS1_3genE3ELNS1_11target_archE908ELNS1_3gpuE7ELNS1_3repE0EEENS1_38merge_mergepath_config_static_selectorELNS0_4arch9wavefront6targetE1EEEvSH_.numbered_sgpr, 0
	.set _ZN7rocprim17ROCPRIM_400000_NS6detail17trampoline_kernelINS0_14default_configENS1_38merge_sort_block_merge_config_selectorIllEEZZNS1_27merge_sort_block_merge_implIS3_PlN6thrust23THRUST_200600_302600_NS10device_ptrIlEEjNS1_19radix_merge_compareILb0ELb0ElNS0_19identity_decomposerEEEEE10hipError_tT0_T1_T2_jT3_P12ihipStream_tbPNSt15iterator_traitsISG_E10value_typeEPNSM_ISH_E10value_typeEPSI_NS1_7vsmem_tEENKUlT_SG_SH_SI_E_clIS7_S7_SB_S7_EESF_SV_SG_SH_SI_EUlSV_E0_NS1_11comp_targetILNS1_3genE3ELNS1_11target_archE908ELNS1_3gpuE7ELNS1_3repE0EEENS1_38merge_mergepath_config_static_selectorELNS0_4arch9wavefront6targetE1EEEvSH_.num_named_barrier, 0
	.set _ZN7rocprim17ROCPRIM_400000_NS6detail17trampoline_kernelINS0_14default_configENS1_38merge_sort_block_merge_config_selectorIllEEZZNS1_27merge_sort_block_merge_implIS3_PlN6thrust23THRUST_200600_302600_NS10device_ptrIlEEjNS1_19radix_merge_compareILb0ELb0ElNS0_19identity_decomposerEEEEE10hipError_tT0_T1_T2_jT3_P12ihipStream_tbPNSt15iterator_traitsISG_E10value_typeEPNSM_ISH_E10value_typeEPSI_NS1_7vsmem_tEENKUlT_SG_SH_SI_E_clIS7_S7_SB_S7_EESF_SV_SG_SH_SI_EUlSV_E0_NS1_11comp_targetILNS1_3genE3ELNS1_11target_archE908ELNS1_3gpuE7ELNS1_3repE0EEENS1_38merge_mergepath_config_static_selectorELNS0_4arch9wavefront6targetE1EEEvSH_.private_seg_size, 0
	.set _ZN7rocprim17ROCPRIM_400000_NS6detail17trampoline_kernelINS0_14default_configENS1_38merge_sort_block_merge_config_selectorIllEEZZNS1_27merge_sort_block_merge_implIS3_PlN6thrust23THRUST_200600_302600_NS10device_ptrIlEEjNS1_19radix_merge_compareILb0ELb0ElNS0_19identity_decomposerEEEEE10hipError_tT0_T1_T2_jT3_P12ihipStream_tbPNSt15iterator_traitsISG_E10value_typeEPNSM_ISH_E10value_typeEPSI_NS1_7vsmem_tEENKUlT_SG_SH_SI_E_clIS7_S7_SB_S7_EESF_SV_SG_SH_SI_EUlSV_E0_NS1_11comp_targetILNS1_3genE3ELNS1_11target_archE908ELNS1_3gpuE7ELNS1_3repE0EEENS1_38merge_mergepath_config_static_selectorELNS0_4arch9wavefront6targetE1EEEvSH_.uses_vcc, 0
	.set _ZN7rocprim17ROCPRIM_400000_NS6detail17trampoline_kernelINS0_14default_configENS1_38merge_sort_block_merge_config_selectorIllEEZZNS1_27merge_sort_block_merge_implIS3_PlN6thrust23THRUST_200600_302600_NS10device_ptrIlEEjNS1_19radix_merge_compareILb0ELb0ElNS0_19identity_decomposerEEEEE10hipError_tT0_T1_T2_jT3_P12ihipStream_tbPNSt15iterator_traitsISG_E10value_typeEPNSM_ISH_E10value_typeEPSI_NS1_7vsmem_tEENKUlT_SG_SH_SI_E_clIS7_S7_SB_S7_EESF_SV_SG_SH_SI_EUlSV_E0_NS1_11comp_targetILNS1_3genE3ELNS1_11target_archE908ELNS1_3gpuE7ELNS1_3repE0EEENS1_38merge_mergepath_config_static_selectorELNS0_4arch9wavefront6targetE1EEEvSH_.uses_flat_scratch, 0
	.set _ZN7rocprim17ROCPRIM_400000_NS6detail17trampoline_kernelINS0_14default_configENS1_38merge_sort_block_merge_config_selectorIllEEZZNS1_27merge_sort_block_merge_implIS3_PlN6thrust23THRUST_200600_302600_NS10device_ptrIlEEjNS1_19radix_merge_compareILb0ELb0ElNS0_19identity_decomposerEEEEE10hipError_tT0_T1_T2_jT3_P12ihipStream_tbPNSt15iterator_traitsISG_E10value_typeEPNSM_ISH_E10value_typeEPSI_NS1_7vsmem_tEENKUlT_SG_SH_SI_E_clIS7_S7_SB_S7_EESF_SV_SG_SH_SI_EUlSV_E0_NS1_11comp_targetILNS1_3genE3ELNS1_11target_archE908ELNS1_3gpuE7ELNS1_3repE0EEENS1_38merge_mergepath_config_static_selectorELNS0_4arch9wavefront6targetE1EEEvSH_.has_dyn_sized_stack, 0
	.set _ZN7rocprim17ROCPRIM_400000_NS6detail17trampoline_kernelINS0_14default_configENS1_38merge_sort_block_merge_config_selectorIllEEZZNS1_27merge_sort_block_merge_implIS3_PlN6thrust23THRUST_200600_302600_NS10device_ptrIlEEjNS1_19radix_merge_compareILb0ELb0ElNS0_19identity_decomposerEEEEE10hipError_tT0_T1_T2_jT3_P12ihipStream_tbPNSt15iterator_traitsISG_E10value_typeEPNSM_ISH_E10value_typeEPSI_NS1_7vsmem_tEENKUlT_SG_SH_SI_E_clIS7_S7_SB_S7_EESF_SV_SG_SH_SI_EUlSV_E0_NS1_11comp_targetILNS1_3genE3ELNS1_11target_archE908ELNS1_3gpuE7ELNS1_3repE0EEENS1_38merge_mergepath_config_static_selectorELNS0_4arch9wavefront6targetE1EEEvSH_.has_recursion, 0
	.set _ZN7rocprim17ROCPRIM_400000_NS6detail17trampoline_kernelINS0_14default_configENS1_38merge_sort_block_merge_config_selectorIllEEZZNS1_27merge_sort_block_merge_implIS3_PlN6thrust23THRUST_200600_302600_NS10device_ptrIlEEjNS1_19radix_merge_compareILb0ELb0ElNS0_19identity_decomposerEEEEE10hipError_tT0_T1_T2_jT3_P12ihipStream_tbPNSt15iterator_traitsISG_E10value_typeEPNSM_ISH_E10value_typeEPSI_NS1_7vsmem_tEENKUlT_SG_SH_SI_E_clIS7_S7_SB_S7_EESF_SV_SG_SH_SI_EUlSV_E0_NS1_11comp_targetILNS1_3genE3ELNS1_11target_archE908ELNS1_3gpuE7ELNS1_3repE0EEENS1_38merge_mergepath_config_static_selectorELNS0_4arch9wavefront6targetE1EEEvSH_.has_indirect_call, 0
	.section	.AMDGPU.csdata,"",@progbits
; Kernel info:
; codeLenInByte = 0
; TotalNumSgprs: 4
; NumVgprs: 0
; ScratchSize: 0
; MemoryBound: 0
; FloatMode: 240
; IeeeMode: 1
; LDSByteSize: 0 bytes/workgroup (compile time only)
; SGPRBlocks: 0
; VGPRBlocks: 0
; NumSGPRsForWavesPerEU: 4
; NumVGPRsForWavesPerEU: 1
; Occupancy: 10
; WaveLimiterHint : 0
; COMPUTE_PGM_RSRC2:SCRATCH_EN: 0
; COMPUTE_PGM_RSRC2:USER_SGPR: 6
; COMPUTE_PGM_RSRC2:TRAP_HANDLER: 0
; COMPUTE_PGM_RSRC2:TGID_X_EN: 1
; COMPUTE_PGM_RSRC2:TGID_Y_EN: 0
; COMPUTE_PGM_RSRC2:TGID_Z_EN: 0
; COMPUTE_PGM_RSRC2:TIDIG_COMP_CNT: 0
	.section	.text._ZN7rocprim17ROCPRIM_400000_NS6detail17trampoline_kernelINS0_14default_configENS1_38merge_sort_block_merge_config_selectorIllEEZZNS1_27merge_sort_block_merge_implIS3_PlN6thrust23THRUST_200600_302600_NS10device_ptrIlEEjNS1_19radix_merge_compareILb0ELb0ElNS0_19identity_decomposerEEEEE10hipError_tT0_T1_T2_jT3_P12ihipStream_tbPNSt15iterator_traitsISG_E10value_typeEPNSM_ISH_E10value_typeEPSI_NS1_7vsmem_tEENKUlT_SG_SH_SI_E_clIS7_S7_SB_S7_EESF_SV_SG_SH_SI_EUlSV_E0_NS1_11comp_targetILNS1_3genE2ELNS1_11target_archE906ELNS1_3gpuE6ELNS1_3repE0EEENS1_38merge_mergepath_config_static_selectorELNS0_4arch9wavefront6targetE1EEEvSH_,"axG",@progbits,_ZN7rocprim17ROCPRIM_400000_NS6detail17trampoline_kernelINS0_14default_configENS1_38merge_sort_block_merge_config_selectorIllEEZZNS1_27merge_sort_block_merge_implIS3_PlN6thrust23THRUST_200600_302600_NS10device_ptrIlEEjNS1_19radix_merge_compareILb0ELb0ElNS0_19identity_decomposerEEEEE10hipError_tT0_T1_T2_jT3_P12ihipStream_tbPNSt15iterator_traitsISG_E10value_typeEPNSM_ISH_E10value_typeEPSI_NS1_7vsmem_tEENKUlT_SG_SH_SI_E_clIS7_S7_SB_S7_EESF_SV_SG_SH_SI_EUlSV_E0_NS1_11comp_targetILNS1_3genE2ELNS1_11target_archE906ELNS1_3gpuE6ELNS1_3repE0EEENS1_38merge_mergepath_config_static_selectorELNS0_4arch9wavefront6targetE1EEEvSH_,comdat
	.protected	_ZN7rocprim17ROCPRIM_400000_NS6detail17trampoline_kernelINS0_14default_configENS1_38merge_sort_block_merge_config_selectorIllEEZZNS1_27merge_sort_block_merge_implIS3_PlN6thrust23THRUST_200600_302600_NS10device_ptrIlEEjNS1_19radix_merge_compareILb0ELb0ElNS0_19identity_decomposerEEEEE10hipError_tT0_T1_T2_jT3_P12ihipStream_tbPNSt15iterator_traitsISG_E10value_typeEPNSM_ISH_E10value_typeEPSI_NS1_7vsmem_tEENKUlT_SG_SH_SI_E_clIS7_S7_SB_S7_EESF_SV_SG_SH_SI_EUlSV_E0_NS1_11comp_targetILNS1_3genE2ELNS1_11target_archE906ELNS1_3gpuE6ELNS1_3repE0EEENS1_38merge_mergepath_config_static_selectorELNS0_4arch9wavefront6targetE1EEEvSH_ ; -- Begin function _ZN7rocprim17ROCPRIM_400000_NS6detail17trampoline_kernelINS0_14default_configENS1_38merge_sort_block_merge_config_selectorIllEEZZNS1_27merge_sort_block_merge_implIS3_PlN6thrust23THRUST_200600_302600_NS10device_ptrIlEEjNS1_19radix_merge_compareILb0ELb0ElNS0_19identity_decomposerEEEEE10hipError_tT0_T1_T2_jT3_P12ihipStream_tbPNSt15iterator_traitsISG_E10value_typeEPNSM_ISH_E10value_typeEPSI_NS1_7vsmem_tEENKUlT_SG_SH_SI_E_clIS7_S7_SB_S7_EESF_SV_SG_SH_SI_EUlSV_E0_NS1_11comp_targetILNS1_3genE2ELNS1_11target_archE906ELNS1_3gpuE6ELNS1_3repE0EEENS1_38merge_mergepath_config_static_selectorELNS0_4arch9wavefront6targetE1EEEvSH_
	.globl	_ZN7rocprim17ROCPRIM_400000_NS6detail17trampoline_kernelINS0_14default_configENS1_38merge_sort_block_merge_config_selectorIllEEZZNS1_27merge_sort_block_merge_implIS3_PlN6thrust23THRUST_200600_302600_NS10device_ptrIlEEjNS1_19radix_merge_compareILb0ELb0ElNS0_19identity_decomposerEEEEE10hipError_tT0_T1_T2_jT3_P12ihipStream_tbPNSt15iterator_traitsISG_E10value_typeEPNSM_ISH_E10value_typeEPSI_NS1_7vsmem_tEENKUlT_SG_SH_SI_E_clIS7_S7_SB_S7_EESF_SV_SG_SH_SI_EUlSV_E0_NS1_11comp_targetILNS1_3genE2ELNS1_11target_archE906ELNS1_3gpuE6ELNS1_3repE0EEENS1_38merge_mergepath_config_static_selectorELNS0_4arch9wavefront6targetE1EEEvSH_
	.p2align	8
	.type	_ZN7rocprim17ROCPRIM_400000_NS6detail17trampoline_kernelINS0_14default_configENS1_38merge_sort_block_merge_config_selectorIllEEZZNS1_27merge_sort_block_merge_implIS3_PlN6thrust23THRUST_200600_302600_NS10device_ptrIlEEjNS1_19radix_merge_compareILb0ELb0ElNS0_19identity_decomposerEEEEE10hipError_tT0_T1_T2_jT3_P12ihipStream_tbPNSt15iterator_traitsISG_E10value_typeEPNSM_ISH_E10value_typeEPSI_NS1_7vsmem_tEENKUlT_SG_SH_SI_E_clIS7_S7_SB_S7_EESF_SV_SG_SH_SI_EUlSV_E0_NS1_11comp_targetILNS1_3genE2ELNS1_11target_archE906ELNS1_3gpuE6ELNS1_3repE0EEENS1_38merge_mergepath_config_static_selectorELNS0_4arch9wavefront6targetE1EEEvSH_,@function
_ZN7rocprim17ROCPRIM_400000_NS6detail17trampoline_kernelINS0_14default_configENS1_38merge_sort_block_merge_config_selectorIllEEZZNS1_27merge_sort_block_merge_implIS3_PlN6thrust23THRUST_200600_302600_NS10device_ptrIlEEjNS1_19radix_merge_compareILb0ELb0ElNS0_19identity_decomposerEEEEE10hipError_tT0_T1_T2_jT3_P12ihipStream_tbPNSt15iterator_traitsISG_E10value_typeEPNSM_ISH_E10value_typeEPSI_NS1_7vsmem_tEENKUlT_SG_SH_SI_E_clIS7_S7_SB_S7_EESF_SV_SG_SH_SI_EUlSV_E0_NS1_11comp_targetILNS1_3genE2ELNS1_11target_archE906ELNS1_3gpuE6ELNS1_3repE0EEENS1_38merge_mergepath_config_static_selectorELNS0_4arch9wavefront6targetE1EEEvSH_: ; @_ZN7rocprim17ROCPRIM_400000_NS6detail17trampoline_kernelINS0_14default_configENS1_38merge_sort_block_merge_config_selectorIllEEZZNS1_27merge_sort_block_merge_implIS3_PlN6thrust23THRUST_200600_302600_NS10device_ptrIlEEjNS1_19radix_merge_compareILb0ELb0ElNS0_19identity_decomposerEEEEE10hipError_tT0_T1_T2_jT3_P12ihipStream_tbPNSt15iterator_traitsISG_E10value_typeEPNSM_ISH_E10value_typeEPSI_NS1_7vsmem_tEENKUlT_SG_SH_SI_E_clIS7_S7_SB_S7_EESF_SV_SG_SH_SI_EUlSV_E0_NS1_11comp_targetILNS1_3genE2ELNS1_11target_archE906ELNS1_3gpuE6ELNS1_3repE0EEENS1_38merge_mergepath_config_static_selectorELNS0_4arch9wavefront6targetE1EEEvSH_
; %bb.0:
	s_load_dwordx2 s[24:25], s[4:5], 0x40
	s_load_dword s1, s[4:5], 0x30
	s_add_u32 s22, s4, 64
	s_addc_u32 s23, s5, 0
	s_waitcnt lgkmcnt(0)
	s_mul_i32 s0, s25, s8
	s_add_i32 s0, s0, s7
	s_mul_i32 s0, s0, s24
	s_add_i32 s0, s0, s6
	s_cmp_ge_u32 s0, s1
	s_cbranch_scc1 .LBB1047_81
; %bb.1:
	s_load_dwordx8 s[12:19], s[4:5], 0x10
	s_load_dwordx2 s[28:29], s[4:5], 0x8
	s_load_dwordx2 s[2:3], s[4:5], 0x38
	s_mov_b32 s1, 0
	v_mov_b32_e32 v2, 0
	s_waitcnt lgkmcnt(0)
	s_lshr_b32 s30, s18, 10
	s_cmp_lg_u32 s0, s30
	s_cselect_b64 s[20:21], -1, 0
	s_lshl_b64 s[4:5], s[0:1], 2
	s_add_u32 s2, s2, s4
	s_addc_u32 s3, s3, s5
	s_load_dwordx2 s[4:5], s[2:3], 0x0
	s_lshr_b32 s2, s19, 9
	s_and_b32 s2, s2, 0x7ffffe
	s_sub_i32 s2, 0, s2
	s_and_b32 s3, s0, s2
	s_lshl_b32 s7, s3, 10
	s_lshl_b32 s10, s0, 10
	;; [unrolled: 1-line block ×3, first 2 shown]
	s_sub_i32 s8, s10, s7
	s_add_i32 s3, s3, s19
	s_add_i32 s9, s3, s8
	s_waitcnt lgkmcnt(0)
	s_sub_i32 s8, s9, s4
	s_sub_i32 s9, s9, s5
	;; [unrolled: 1-line block ×3, first 2 shown]
	s_min_u32 s8, s18, s8
	s_addk_i32 s9, 0x400
	s_or_b32 s2, s0, s2
	s_min_u32 s7, s18, s3
	s_add_i32 s3, s3, s19
	s_cmp_eq_u32 s2, -1
	s_cselect_b32 s2, s3, s9
	s_cselect_b32 s3, s7, s5
	s_mov_b32 s5, s1
	s_min_u32 s27, s2, s18
	s_sub_i32 s11, s3, s4
	s_lshl_b64 s[2:3], s[4:5], 3
	s_add_u32 s19, s28, s2
	s_mov_b32 s9, s1
	s_addc_u32 s25, s29, s3
	s_lshl_b64 s[4:5], s[8:9], 3
	s_add_u32 s9, s28, s4
	global_load_dword v1, v2, s[22:23] offset:14
	s_addc_u32 s26, s29, s5
	s_cmp_lt_u32 s6, s24
	s_cselect_b32 s1, 12, 18
	s_add_u32 s6, s22, s1
	s_addc_u32 s7, s23, 0
	global_load_ushort v3, v2, s[6:7]
	s_cmp_eq_u32 s0, s30
	v_lshlrev_b32_e32 v38, 3, v0
	s_waitcnt vmcnt(1)
	v_lshrrev_b32_e32 v4, 16, v1
	v_and_b32_e32 v1, 0xffff, v1
	v_mul_lo_u32 v1, v1, v4
	s_waitcnt vmcnt(0)
	v_mul_lo_u32 v39, v1, v3
	v_add_u32_e32 v34, v39, v0
	v_add_u32_e32 v32, v34, v39
	s_cbranch_scc1 .LBB1047_3
; %bb.2:
	v_mov_b32_e32 v1, s25
	v_add_co_u32_e32 v5, vcc, s19, v38
	v_addc_co_u32_e32 v6, vcc, 0, v1, vcc
	v_subrev_co_u32_e32 v1, vcc, s11, v0
	v_lshlrev_b64 v[3:4], 3, v[1:2]
	v_mov_b32_e32 v1, s26
	v_add_co_u32_e64 v3, s[0:1], s9, v3
	v_addc_co_u32_e64 v1, s[0:1], v1, v4, s[0:1]
	v_cndmask_b32_e32 v4, v1, v6, vcc
	v_cndmask_b32_e32 v3, v3, v5, vcc
	v_mov_b32_e32 v35, v2
	global_load_dwordx2 v[18:19], v[3:4], off
	v_lshlrev_b64 v[3:4], 3, v[34:35]
	v_mov_b32_e32 v1, s25
	v_add_co_u32_e32 v5, vcc, s19, v3
	v_addc_co_u32_e32 v6, vcc, v1, v4, vcc
	v_subrev_co_u32_e32 v1, vcc, s11, v34
	v_lshlrev_b64 v[3:4], 3, v[1:2]
	v_mov_b32_e32 v1, s26
	v_add_co_u32_e64 v3, s[0:1], s9, v3
	v_addc_co_u32_e64 v1, s[0:1], v1, v4, s[0:1]
	v_cndmask_b32_e32 v4, v1, v6, vcc
	v_cndmask_b32_e32 v3, v3, v5, vcc
	v_mov_b32_e32 v33, v2
	global_load_dwordx2 v[20:21], v[3:4], off
	v_lshlrev_b64 v[3:4], 3, v[32:33]
	v_mov_b32_e32 v1, s25
	v_add_co_u32_e32 v5, vcc, s19, v3
	v_addc_co_u32_e32 v6, vcc, v1, v4, vcc
	v_subrev_co_u32_e32 v1, vcc, s11, v32
	v_lshlrev_b64 v[3:4], 3, v[1:2]
	v_mov_b32_e32 v1, s26
	v_add_co_u32_e64 v3, s[0:1], s9, v3
	v_addc_co_u32_e64 v1, s[0:1], v1, v4, s[0:1]
	v_cndmask_b32_e32 v4, v1, v6, vcc
	v_cndmask_b32_e32 v3, v3, v5, vcc
	v_add_u32_e32 v1, v32, v39
	global_load_dwordx2 v[22:23], v[3:4], off
	v_lshlrev_b64 v[3:4], 3, v[1:2]
	v_mov_b32_e32 v5, s25
	v_add_co_u32_e32 v6, vcc, s19, v3
	v_addc_co_u32_e32 v5, vcc, v5, v4, vcc
	v_subrev_co_u32_e32 v3, vcc, s11, v1
	v_mov_b32_e32 v4, v2
	v_lshlrev_b64 v[3:4], 3, v[3:4]
	v_mov_b32_e32 v7, s26
	v_add_co_u32_e64 v3, s[0:1], s9, v3
	v_addc_co_u32_e64 v4, s[0:1], v7, v4, s[0:1]
	v_cndmask_b32_e32 v4, v4, v5, vcc
	v_cndmask_b32_e32 v3, v3, v6, vcc
	v_add_u32_e32 v1, v1, v39
	global_load_dwordx2 v[24:25], v[3:4], off
	v_lshlrev_b64 v[3:4], 3, v[1:2]
	v_mov_b32_e32 v5, s25
	v_add_co_u32_e32 v6, vcc, s19, v3
	v_addc_co_u32_e32 v5, vcc, v5, v4, vcc
	v_subrev_co_u32_e32 v3, vcc, s11, v1
	v_mov_b32_e32 v4, v2
	v_lshlrev_b64 v[3:4], 3, v[3:4]
	v_add_u32_e32 v1, v1, v39
	v_add_co_u32_e64 v3, s[0:1], s9, v3
	v_addc_co_u32_e64 v4, s[0:1], v7, v4, s[0:1]
	v_cndmask_b32_e32 v4, v4, v5, vcc
	v_cndmask_b32_e32 v3, v3, v6, vcc
	global_load_dwordx2 v[26:27], v[3:4], off
	v_lshlrev_b64 v[3:4], 3, v[1:2]
	v_mov_b32_e32 v5, s25
	v_add_co_u32_e32 v6, vcc, s19, v3
	v_addc_co_u32_e32 v5, vcc, v5, v4, vcc
	v_subrev_co_u32_e32 v3, vcc, s11, v1
	v_mov_b32_e32 v4, v2
	v_lshlrev_b64 v[3:4], 3, v[3:4]
	v_add_u32_e32 v1, v1, v39
	v_add_co_u32_e64 v3, s[0:1], s9, v3
	v_addc_co_u32_e64 v4, s[0:1], v7, v4, s[0:1]
	v_cndmask_b32_e32 v4, v4, v5, vcc
	v_cndmask_b32_e32 v3, v3, v6, vcc
	global_load_dwordx2 v[28:29], v[3:4], off
	v_lshlrev_b64 v[3:4], 3, v[1:2]
	v_mov_b32_e32 v5, s25
	v_add_co_u32_e32 v6, vcc, s19, v3
	v_addc_co_u32_e32 v5, vcc, v5, v4, vcc
	v_subrev_co_u32_e32 v3, vcc, s11, v1
	v_mov_b32_e32 v4, v2
	v_lshlrev_b64 v[2:3], 3, v[3:4]
	v_mov_b32_e32 v4, s26
	v_add_co_u32_e64 v2, s[0:1], s9, v2
	v_addc_co_u32_e64 v3, s[0:1], v4, v3, s[0:1]
	v_cndmask_b32_e32 v3, v3, v5, vcc
	v_cndmask_b32_e32 v2, v2, v6, vcc
	global_load_dwordx2 v[30:31], v[2:3], off
	v_add_u32_e32 v1, v1, v39
	s_mov_b64 s[0:1], -1
	s_sub_i32 s8, s27, s8
	s_cbranch_execz .LBB1047_4
	s_branch .LBB1047_19
.LBB1047_3:
	s_mov_b64 s[0:1], 0
                                        ; implicit-def: $vgpr1
                                        ; implicit-def: $vgpr30_vgpr31
                                        ; implicit-def: $vgpr28_vgpr29
                                        ; implicit-def: $vgpr24_vgpr25
                                        ; implicit-def: $vgpr20_vgpr21
                                        ; implicit-def: $vgpr26_vgpr27
                                        ; implicit-def: $vgpr22_vgpr23
                                        ; implicit-def: $vgpr18_vgpr19
	s_sub_i32 s8, s27, s8
.LBB1047_4:
	s_add_i32 s22, s8, s11
	v_cmp_gt_u32_e32 vcc, s22, v0
                                        ; implicit-def: $vgpr18_vgpr19
	s_and_saveexec_b64 s[6:7], vcc
	s_cbranch_execz .LBB1047_6
; %bb.5:
	v_mov_b32_e32 v1, s25
	v_add_co_u32_e32 v3, vcc, s19, v38
	v_addc_co_u32_e32 v4, vcc, 0, v1, vcc
	v_subrev_co_u32_e32 v1, vcc, s11, v0
	v_mov_b32_e32 v2, 0
	v_lshlrev_b64 v[1:2], 3, v[1:2]
	v_mov_b32_e32 v5, s26
	v_add_co_u32_e64 v1, s[0:1], s9, v1
	v_addc_co_u32_e64 v2, s[0:1], v5, v2, s[0:1]
	v_cndmask_b32_e32 v2, v2, v4, vcc
	v_cndmask_b32_e32 v1, v1, v3, vcc
	global_load_dwordx2 v[18:19], v[1:2], off
.LBB1047_6:
	s_or_b64 exec, exec, s[6:7]
	v_cmp_gt_u32_e32 vcc, s22, v34
	s_and_saveexec_b64 s[6:7], vcc
                                        ; implicit-def: $vgpr20_vgpr21
	s_cbranch_execz .LBB1047_8
; %bb.7:
	v_mov_b32_e32 v35, 0
	v_lshlrev_b64 v[1:2], 3, v[34:35]
	v_mov_b32_e32 v3, s25
	v_add_co_u32_e32 v4, vcc, s19, v1
	v_addc_co_u32_e32 v3, vcc, v3, v2, vcc
	v_subrev_co_u32_e32 v1, vcc, s11, v34
	v_mov_b32_e32 v2, v35
	v_lshlrev_b64 v[1:2], 3, v[1:2]
	v_mov_b32_e32 v5, s26
	v_add_co_u32_e64 v1, s[0:1], s9, v1
	v_addc_co_u32_e64 v2, s[0:1], v5, v2, s[0:1]
	v_cndmask_b32_e32 v2, v2, v3, vcc
	v_cndmask_b32_e32 v1, v1, v4, vcc
	global_load_dwordx2 v[20:21], v[1:2], off
.LBB1047_8:
	s_or_b64 exec, exec, s[6:7]
	v_cmp_gt_u32_e32 vcc, s22, v32
                                        ; implicit-def: $vgpr22_vgpr23
	s_and_saveexec_b64 s[6:7], vcc
	s_cbranch_execz .LBB1047_10
; %bb.9:
	v_mov_b32_e32 v33, 0
	v_lshlrev_b64 v[1:2], 3, v[32:33]
	v_mov_b32_e32 v3, s25
	v_add_co_u32_e32 v4, vcc, s19, v1
	v_addc_co_u32_e32 v3, vcc, v3, v2, vcc
	v_subrev_co_u32_e32 v1, vcc, s11, v32
	v_mov_b32_e32 v2, v33
	v_lshlrev_b64 v[1:2], 3, v[1:2]
	v_mov_b32_e32 v5, s26
	v_add_co_u32_e64 v1, s[0:1], s9, v1
	v_addc_co_u32_e64 v2, s[0:1], v5, v2, s[0:1]
	v_cndmask_b32_e32 v2, v2, v3, vcc
	v_cndmask_b32_e32 v1, v1, v4, vcc
	global_load_dwordx2 v[22:23], v[1:2], off
.LBB1047_10:
	s_or_b64 exec, exec, s[6:7]
	v_add_u32_e32 v1, v32, v39
	v_cmp_gt_u32_e32 vcc, s22, v1
	s_and_saveexec_b64 s[6:7], vcc
                                        ; implicit-def: $vgpr24_vgpr25
	s_cbranch_execz .LBB1047_12
; %bb.11:
	v_mov_b32_e32 v2, 0
	v_lshlrev_b64 v[3:4], 3, v[1:2]
	v_mov_b32_e32 v5, s25
	v_add_co_u32_e32 v6, vcc, s19, v3
	v_addc_co_u32_e32 v5, vcc, v5, v4, vcc
	v_subrev_co_u32_e32 v3, vcc, s11, v1
	v_mov_b32_e32 v4, v2
	v_lshlrev_b64 v[2:3], 3, v[3:4]
	v_mov_b32_e32 v4, s26
	v_add_co_u32_e64 v2, s[0:1], s9, v2
	v_addc_co_u32_e64 v3, s[0:1], v4, v3, s[0:1]
	v_cndmask_b32_e32 v3, v3, v5, vcc
	v_cndmask_b32_e32 v2, v2, v6, vcc
	global_load_dwordx2 v[24:25], v[2:3], off
.LBB1047_12:
	s_or_b64 exec, exec, s[6:7]
	v_add_u32_e32 v1, v1, v39
	v_cmp_gt_u32_e32 vcc, s22, v1
                                        ; implicit-def: $vgpr26_vgpr27
	s_and_saveexec_b64 s[6:7], vcc
	s_cbranch_execz .LBB1047_14
; %bb.13:
	v_mov_b32_e32 v2, 0
	v_lshlrev_b64 v[3:4], 3, v[1:2]
	v_mov_b32_e32 v5, s25
	v_add_co_u32_e32 v6, vcc, s19, v3
	v_addc_co_u32_e32 v5, vcc, v5, v4, vcc
	v_subrev_co_u32_e32 v3, vcc, s11, v1
	v_mov_b32_e32 v4, v2
	v_lshlrev_b64 v[2:3], 3, v[3:4]
	v_mov_b32_e32 v4, s26
	v_add_co_u32_e64 v2, s[0:1], s9, v2
	v_addc_co_u32_e64 v3, s[0:1], v4, v3, s[0:1]
	v_cndmask_b32_e32 v3, v3, v5, vcc
	v_cndmask_b32_e32 v2, v2, v6, vcc
	global_load_dwordx2 v[26:27], v[2:3], off
.LBB1047_14:
	s_or_b64 exec, exec, s[6:7]
	v_add_u32_e32 v1, v1, v39
	v_cmp_gt_u32_e32 vcc, s22, v1
	s_and_saveexec_b64 s[6:7], vcc
                                        ; implicit-def: $vgpr28_vgpr29
	s_cbranch_execz .LBB1047_16
; %bb.15:
	v_mov_b32_e32 v2, 0
	v_lshlrev_b64 v[3:4], 3, v[1:2]
	v_mov_b32_e32 v5, s25
	v_add_co_u32_e32 v6, vcc, s19, v3
	v_addc_co_u32_e32 v5, vcc, v5, v4, vcc
	v_subrev_co_u32_e32 v3, vcc, s11, v1
	v_mov_b32_e32 v4, v2
	v_lshlrev_b64 v[2:3], 3, v[3:4]
	v_mov_b32_e32 v4, s26
	v_add_co_u32_e64 v2, s[0:1], s9, v2
	v_addc_co_u32_e64 v3, s[0:1], v4, v3, s[0:1]
	v_cndmask_b32_e32 v3, v3, v5, vcc
	v_cndmask_b32_e32 v2, v2, v6, vcc
	global_load_dwordx2 v[28:29], v[2:3], off
.LBB1047_16:
	s_or_b64 exec, exec, s[6:7]
	v_add_u32_e32 v1, v1, v39
	v_cmp_gt_u32_e32 vcc, s22, v1
                                        ; implicit-def: $vgpr30_vgpr31
	s_and_saveexec_b64 s[6:7], vcc
	s_cbranch_execz .LBB1047_18
; %bb.17:
	v_mov_b32_e32 v2, 0
	v_lshlrev_b64 v[3:4], 3, v[1:2]
	v_mov_b32_e32 v5, s25
	v_add_co_u32_e32 v6, vcc, s19, v3
	v_addc_co_u32_e32 v5, vcc, v5, v4, vcc
	v_subrev_co_u32_e32 v3, vcc, s11, v1
	v_mov_b32_e32 v4, v2
	v_lshlrev_b64 v[2:3], 3, v[3:4]
	v_mov_b32_e32 v4, s26
	v_add_co_u32_e64 v2, s[0:1], s9, v2
	v_addc_co_u32_e64 v3, s[0:1], v4, v3, s[0:1]
	v_cndmask_b32_e32 v3, v3, v5, vcc
	v_cndmask_b32_e32 v2, v2, v6, vcc
	global_load_dwordx2 v[30:31], v[2:3], off
.LBB1047_18:
	s_or_b64 exec, exec, s[6:7]
	v_add_u32_e32 v1, v1, v39
	v_cmp_gt_u32_e64 s[0:1], s22, v1
.LBB1047_19:
	s_and_saveexec_b64 s[6:7], s[0:1]
                                        ; implicit-def: $vgpr36_vgpr37
	s_cbranch_execz .LBB1047_21
; %bb.20:
	v_mov_b32_e32 v2, 0
	v_lshlrev_b64 v[3:4], 3, v[1:2]
	v_mov_b32_e32 v5, s25
	v_add_co_u32_e32 v3, vcc, s19, v3
	v_addc_co_u32_e32 v4, vcc, v5, v4, vcc
	v_subrev_co_u32_e32 v1, vcc, s11, v1
	v_lshlrev_b64 v[1:2], 3, v[1:2]
	v_mov_b32_e32 v5, s26
	v_add_co_u32_e64 v1, s[0:1], s9, v1
	v_addc_co_u32_e64 v2, s[0:1], v5, v2, s[0:1]
	v_cndmask_b32_e32 v2, v2, v4, vcc
	v_cndmask_b32_e32 v1, v1, v3, vcc
	global_load_dwordx2 v[36:37], v[1:2], off
.LBB1047_21:
	s_or_b64 exec, exec, s[6:7]
	s_add_u32 s6, s14, s2
	s_addc_u32 s7, s15, s3
	s_add_u32 s4, s14, s4
	v_mov_b32_e32 v15, 0
	s_addc_u32 s5, s15, s5
	s_andn2_b64 vcc, exec, s[20:21]
	s_waitcnt vmcnt(0)
	ds_write2st64_b64 v38, v[18:19], v[20:21] offset1:2
	ds_write2st64_b64 v38, v[22:23], v[24:25] offset0:4 offset1:6
	ds_write2st64_b64 v38, v[26:27], v[28:29] offset0:8 offset1:10
	;; [unrolled: 1-line block ×3, first 2 shown]
	s_cbranch_vccnz .LBB1047_23
; %bb.22:
	v_mov_b32_e32 v1, s7
	v_add_co_u32_e32 v3, vcc, s6, v38
	v_addc_co_u32_e32 v4, vcc, 0, v1, vcc
	v_subrev_co_u32_e32 v14, vcc, s11, v0
	v_lshlrev_b64 v[1:2], 3, v[14:15]
	v_mov_b32_e32 v5, s5
	v_add_co_u32_e64 v1, s[0:1], s4, v1
	v_addc_co_u32_e64 v2, s[0:1], v5, v2, s[0:1]
	v_mov_b32_e32 v35, v15
	v_cndmask_b32_e32 v2, v2, v4, vcc
	v_cndmask_b32_e32 v1, v1, v3, vcc
	v_lshlrev_b64 v[3:4], 3, v[34:35]
	v_mov_b32_e32 v5, s7
	v_add_co_u32_e32 v6, vcc, s6, v3
	v_addc_co_u32_e32 v5, vcc, v5, v4, vcc
	v_subrev_co_u32_e32 v14, vcc, s11, v34
	v_lshlrev_b64 v[3:4], 3, v[14:15]
	v_mov_b32_e32 v7, s5
	v_add_co_u32_e64 v3, s[0:1], s4, v3
	v_addc_co_u32_e64 v4, s[0:1], v7, v4, s[0:1]
	v_mov_b32_e32 v33, v15
	v_cndmask_b32_e32 v4, v4, v5, vcc
	v_cndmask_b32_e32 v3, v3, v6, vcc
	v_lshlrev_b64 v[5:6], 3, v[32:33]
	v_mov_b32_e32 v7, s7
	v_add_co_u32_e32 v8, vcc, s6, v5
	v_addc_co_u32_e32 v7, vcc, v7, v6, vcc
	v_subrev_co_u32_e32 v14, vcc, s11, v32
	v_lshlrev_b64 v[5:6], 3, v[14:15]
	v_mov_b32_e32 v9, s5
	v_add_co_u32_e64 v5, s[0:1], s4, v5
	v_addc_co_u32_e64 v6, s[0:1], v9, v6, s[0:1]
	v_add_u32_e32 v9, v32, v39
	v_mov_b32_e32 v10, v15
	v_cndmask_b32_e32 v6, v6, v7, vcc
	v_cndmask_b32_e32 v5, v5, v8, vcc
	v_lshlrev_b64 v[7:8], 3, v[9:10]
	v_mov_b32_e32 v10, s7
	v_add_co_u32_e32 v11, vcc, s6, v7
	v_addc_co_u32_e32 v10, vcc, v10, v8, vcc
	v_subrev_co_u32_e32 v14, vcc, s11, v9
	v_lshlrev_b64 v[7:8], 3, v[14:15]
	v_mov_b32_e32 v12, s5
	v_add_co_u32_e64 v7, s[0:1], s4, v7
	v_addc_co_u32_e64 v8, s[0:1], v12, v8, s[0:1]
	v_cndmask_b32_e32 v7, v7, v11, vcc
	v_add_u32_e32 v11, v9, v39
	v_mov_b32_e32 v12, v15
	v_cndmask_b32_e32 v8, v8, v10, vcc
	v_lshlrev_b64 v[9:10], 3, v[11:12]
	v_mov_b32_e32 v12, s7
	v_add_co_u32_e32 v13, vcc, s6, v9
	v_addc_co_u32_e32 v12, vcc, v12, v10, vcc
	v_subrev_co_u32_e32 v14, vcc, s11, v11
	v_lshlrev_b64 v[9:10], 3, v[14:15]
	v_mov_b32_e32 v14, s5
	v_add_co_u32_e64 v9, s[0:1], s4, v9
	v_addc_co_u32_e64 v10, s[0:1], v14, v10, s[0:1]
	v_cndmask_b32_e32 v9, v9, v13, vcc
	v_add_u32_e32 v13, v11, v39
	v_mov_b32_e32 v14, v15
	v_cndmask_b32_e32 v10, v10, v12, vcc
	v_lshlrev_b64 v[11:12], 3, v[13:14]
	v_mov_b32_e32 v14, s7
	v_add_co_u32_e32 v16, vcc, s6, v11
	v_addc_co_u32_e32 v17, vcc, v14, v12, vcc
	v_subrev_co_u32_e32 v14, vcc, s11, v13
	v_lshlrev_b64 v[11:12], 3, v[14:15]
	v_mov_b32_e32 v14, s5
	v_add_co_u32_e64 v11, s[0:1], s4, v11
	v_add_u32_e32 v40, v13, v39
	v_mov_b32_e32 v41, v15
	v_addc_co_u32_e64 v12, s[0:1], v14, v12, s[0:1]
	v_lshlrev_b64 v[13:14], 3, v[40:41]
	v_cndmask_b32_e32 v12, v12, v17, vcc
	v_cndmask_b32_e32 v11, v11, v16, vcc
	v_mov_b32_e32 v16, s7
	v_add_co_u32_e32 v17, vcc, s6, v13
	v_addc_co_u32_e32 v16, vcc, v16, v14, vcc
	v_subrev_co_u32_e32 v14, vcc, s11, v40
	v_lshlrev_b64 v[13:14], 3, v[14:15]
	v_mov_b32_e32 v33, s5
	v_add_co_u32_e64 v13, s[0:1], s4, v13
	v_addc_co_u32_e64 v14, s[0:1], v33, v14, s[0:1]
	v_cndmask_b32_e32 v14, v14, v16, vcc
	v_cndmask_b32_e32 v13, v13, v17, vcc
	global_load_dwordx2 v[1:2], v[1:2], off
	s_add_i32 s9, s8, s11
	global_load_dwordx2 v[3:4], v[3:4], off
	v_mov_b32_e32 v16, v15
	global_load_dwordx2 v[5:6], v[5:6], off
	v_add_u32_e32 v33, v40, v39
	global_load_dwordx2 v[7:8], v[7:8], off
	s_nop 0
	global_load_dwordx2 v[9:10], v[9:10], off
	s_mov_b64 s[0:1], -1
	global_load_dwordx2 v[11:12], v[11:12], off
	v_mov_b32_e32 v35, s9
	global_load_dwordx2 v[13:14], v[13:14], off
	s_cbranch_execz .LBB1047_24
	s_branch .LBB1047_37
.LBB1047_23:
	s_mov_b64 s[0:1], 0
                                        ; implicit-def: $vgpr33
                                        ; implicit-def: $vgpr1_vgpr2_vgpr3_vgpr4_vgpr5_vgpr6_vgpr7_vgpr8_vgpr9_vgpr10_vgpr11_vgpr12_vgpr13_vgpr14_vgpr15_vgpr16
                                        ; implicit-def: $vgpr35
.LBB1047_24:
	s_add_i32 s9, s8, s11
	s_waitcnt vmcnt(6)
	v_mov_b32_e32 v1, 0
	v_cmp_gt_u32_e32 vcc, s9, v0
	v_mov_b32_e32 v2, v1
	s_waitcnt vmcnt(5)
	v_mov_b32_e32 v3, v1
	v_mov_b32_e32 v4, v1
	s_waitcnt vmcnt(4)
	v_mov_b32_e32 v5, v1
	;; [unrolled: 3-line block ×6, first 2 shown]
	v_mov_b32_e32 v14, v1
	v_mov_b32_e32 v15, v1
	;; [unrolled: 1-line block ×3, first 2 shown]
	s_and_saveexec_b64 s[2:3], vcc
	s_cbranch_execz .LBB1047_51
; %bb.25:
	v_mov_b32_e32 v2, s7
	v_add_co_u32_e32 v4, vcc, s6, v38
	v_addc_co_u32_e32 v5, vcc, 0, v2, vcc
	v_subrev_co_u32_e32 v2, vcc, s11, v0
	v_mov_b32_e32 v3, v1
	v_lshlrev_b64 v[2:3], 3, v[2:3]
	v_mov_b32_e32 v6, s5
	v_add_co_u32_e64 v2, s[0:1], s4, v2
	v_addc_co_u32_e64 v3, s[0:1], v6, v3, s[0:1]
	v_cndmask_b32_e32 v3, v3, v5, vcc
	v_cndmask_b32_e32 v2, v2, v4, vcc
	global_load_dwordx2 v[2:3], v[2:3], off
	v_mov_b32_e32 v4, v1
	v_mov_b32_e32 v5, v1
	;; [unrolled: 1-line block ×14, first 2 shown]
	s_waitcnt vmcnt(0)
	v_mov_b32_e32 v1, v2
	v_mov_b32_e32 v2, v3
	;; [unrolled: 1-line block ×16, first 2 shown]
	s_or_b64 exec, exec, s[2:3]
	v_cmp_gt_u32_e32 vcc, s9, v34
	s_and_saveexec_b64 s[2:3], vcc
	s_cbranch_execnz .LBB1047_52
.LBB1047_26:
	s_or_b64 exec, exec, s[2:3]
	v_cmp_gt_u32_e32 vcc, s9, v32
	s_and_saveexec_b64 s[2:3], vcc
	s_cbranch_execz .LBB1047_28
.LBB1047_27:
	v_mov_b32_e32 v33, 0
	v_lshlrev_b64 v[5:6], 3, v[32:33]
	v_mov_b32_e32 v17, s7
	v_add_co_u32_e32 v34, vcc, s6, v5
	v_addc_co_u32_e32 v17, vcc, v17, v6, vcc
	v_subrev_co_u32_e32 v5, vcc, s11, v32
	v_mov_b32_e32 v6, v33
	v_lshlrev_b64 v[5:6], 3, v[5:6]
	v_mov_b32_e32 v33, s5
	v_add_co_u32_e64 v5, s[0:1], s4, v5
	v_addc_co_u32_e64 v6, s[0:1], v33, v6, s[0:1]
	v_cndmask_b32_e32 v6, v6, v17, vcc
	v_cndmask_b32_e32 v5, v5, v34, vcc
	global_load_dwordx2 v[5:6], v[5:6], off
.LBB1047_28:
	s_or_b64 exec, exec, s[2:3]
	v_add_u32_e32 v32, v32, v39
	v_cmp_gt_u32_e32 vcc, s9, v32
	s_and_saveexec_b64 s[2:3], vcc
	s_cbranch_execz .LBB1047_30
; %bb.29:
	v_mov_b32_e32 v33, 0
	v_lshlrev_b64 v[7:8], 3, v[32:33]
	v_mov_b32_e32 v17, s7
	v_add_co_u32_e32 v34, vcc, s6, v7
	v_addc_co_u32_e32 v17, vcc, v17, v8, vcc
	v_subrev_co_u32_e32 v7, vcc, s11, v32
	v_mov_b32_e32 v8, v33
	v_lshlrev_b64 v[7:8], 3, v[7:8]
	v_mov_b32_e32 v33, s5
	v_add_co_u32_e64 v7, s[0:1], s4, v7
	v_addc_co_u32_e64 v8, s[0:1], v33, v8, s[0:1]
	v_cndmask_b32_e32 v8, v8, v17, vcc
	v_cndmask_b32_e32 v7, v7, v34, vcc
	global_load_dwordx2 v[7:8], v[7:8], off
.LBB1047_30:
	s_or_b64 exec, exec, s[2:3]
	v_add_u32_e32 v32, v32, v39
	v_cmp_gt_u32_e32 vcc, s9, v32
	s_and_saveexec_b64 s[2:3], vcc
	s_cbranch_execz .LBB1047_32
; %bb.31:
	v_mov_b32_e32 v33, 0
	v_lshlrev_b64 v[9:10], 3, v[32:33]
	v_mov_b32_e32 v17, s7
	v_add_co_u32_e32 v34, vcc, s6, v9
	v_addc_co_u32_e32 v17, vcc, v17, v10, vcc
	v_subrev_co_u32_e32 v9, vcc, s11, v32
	v_mov_b32_e32 v10, v33
	v_lshlrev_b64 v[9:10], 3, v[9:10]
	v_mov_b32_e32 v33, s5
	v_add_co_u32_e64 v9, s[0:1], s4, v9
	v_addc_co_u32_e64 v10, s[0:1], v33, v10, s[0:1]
	v_cndmask_b32_e32 v10, v10, v17, vcc
	v_cndmask_b32_e32 v9, v9, v34, vcc
	global_load_dwordx2 v[9:10], v[9:10], off
.LBB1047_32:
	;; [unrolled: 21-line block ×4, first 2 shown]
	s_or_b64 exec, exec, s[2:3]
	v_add_u32_e32 v33, v32, v39
	v_cmp_gt_u32_e64 s[0:1], s9, v33
	v_mov_b32_e32 v35, s9
.LBB1047_37:
	s_and_saveexec_b64 s[2:3], s[0:1]
	s_cbranch_execz .LBB1047_39
; %bb.38:
	v_mov_b32_e32 v16, 0
	v_mov_b32_e32 v34, v16
	v_lshlrev_b64 v[39:40], 3, v[33:34]
	v_mov_b32_e32 v15, s7
	v_add_co_u32_e32 v17, vcc, s6, v39
	v_addc_co_u32_e32 v32, vcc, v15, v40, vcc
	v_subrev_co_u32_e32 v15, vcc, s11, v33
	v_lshlrev_b64 v[15:16], 3, v[15:16]
	v_mov_b32_e32 v33, s5
	v_add_co_u32_e64 v15, s[0:1], s4, v15
	v_addc_co_u32_e64 v16, s[0:1], v33, v16, s[0:1]
	v_cndmask_b32_e32 v16, v16, v32, vcc
	v_cndmask_b32_e32 v15, v15, v17, vcc
	global_load_dwordx2 v[15:16], v[15:16], off
.LBB1047_39:
	s_or_b64 exec, exec, s[2:3]
	v_min_u32_e32 v17, v35, v38
	v_sub_u32_e64 v41, v17, s8 clamp
	v_min_u32_e32 v32, s11, v17
	v_cmp_lt_u32_e32 vcc, v41, v32
	s_waitcnt vmcnt(0) lgkmcnt(0)
	s_barrier
	s_and_saveexec_b64 s[0:1], vcc
	s_cbranch_execz .LBB1047_43
; %bb.40:
	v_lshlrev_b32_e32 v33, 3, v17
	v_lshl_add_u32 v33, s11, 3, v33
	s_mov_b64 s[2:3], 0
.LBB1047_41:                            ; =>This Inner Loop Header: Depth=1
	v_add_u32_e32 v34, v32, v41
	v_lshrrev_b32_e32 v34, 1, v34
	v_not_b32_e32 v39, v34
	v_lshlrev_b32_e32 v40, 3, v34
	v_lshl_add_u32 v42, v39, 3, v33
	ds_read_b64 v[39:40], v40
	ds_read_b64 v[42:43], v42
	v_add_u32_e32 v44, 1, v34
	s_waitcnt lgkmcnt(0)
	v_cmp_gt_i64_e32 vcc, v[39:40], v[42:43]
	v_cndmask_b32_e32 v32, v32, v34, vcc
	v_cndmask_b32_e32 v41, v44, v41, vcc
	v_cmp_ge_u32_e32 vcc, v41, v32
	s_or_b64 s[2:3], vcc, s[2:3]
	s_andn2_b64 exec, exec, s[2:3]
	s_cbranch_execnz .LBB1047_41
; %bb.42:
	s_or_b64 exec, exec, s[2:3]
.LBB1047_43:
	s_or_b64 exec, exec, s[0:1]
	v_sub_u32_e32 v17, v17, v41
	v_add_u32_e32 v44, s11, v17
	v_cmp_ge_u32_e32 vcc, s11, v41
	v_cmp_le_u32_e64 s[0:1], v44, v35
	s_or_b64 s[0:1], vcc, s[0:1]
	v_mov_b32_e32 v32, 0
	v_mov_b32_e32 v33, 0
	;; [unrolled: 1-line block ×8, first 2 shown]
	s_and_saveexec_b64 s[14:15], s[0:1]
	s_cbranch_execz .LBB1047_49
; %bb.44:
	v_cmp_gt_u32_e32 vcc, s11, v41
                                        ; implicit-def: $vgpr17_vgpr18
	s_and_saveexec_b64 s[0:1], vcc
; %bb.45:
	v_lshlrev_b32_e32 v17, 3, v41
	ds_read_b64 v[17:18], v17
; %bb.46:
	s_or_b64 exec, exec, s[0:1]
	v_cmp_ge_u32_e64 s[0:1], v44, v35
	v_cmp_lt_u32_e64 s[2:3], v44, v35
                                        ; implicit-def: $vgpr20_vgpr21
	s_and_saveexec_b64 s[4:5], s[2:3]
; %bb.47:
	v_lshlrev_b32_e32 v19, 3, v44
	ds_read_b64 v[20:21], v19
; %bb.48:
	s_or_b64 exec, exec, s[4:5]
	s_waitcnt lgkmcnt(0)
	v_cmp_le_i64_e64 s[2:3], v[17:18], v[20:21]
	v_mov_b32_e32 v50, s11
	s_and_b64 s[2:3], vcc, s[2:3]
	s_or_b64 s[0:1], s[0:1], s[2:3]
	v_cndmask_b32_e64 v32, v44, v41, s[0:1]
	v_cndmask_b32_e64 v19, v35, v50, s[0:1]
	v_add_u32_e32 v26, 1, v32
	v_add_u32_e32 v19, -1, v19
	v_min_u32_e32 v19, v26, v19
	v_lshlrev_b32_e32 v19, 3, v19
	ds_read_b64 v[22:23], v19
	v_cndmask_b32_e64 v30, v41, v26, s[0:1]
	v_cndmask_b32_e64 v19, v26, v44, s[0:1]
	v_cmp_gt_u32_e64 s[4:5], s11, v30
	v_cmp_ge_u32_e32 vcc, v19, v35
	s_waitcnt lgkmcnt(0)
	v_cndmask_b32_e64 v25, v23, v21, s[0:1]
	v_cndmask_b32_e64 v24, v22, v20, s[0:1]
	;; [unrolled: 1-line block ×4, first 2 shown]
	v_cmp_le_i64_e64 s[2:3], v[22:23], v[24:25]
	s_and_b64 s[2:3], s[4:5], s[2:3]
	s_or_b64 vcc, vcc, s[2:3]
	v_cndmask_b32_e32 v33, v19, v30, vcc
	v_cndmask_b32_e32 v26, v35, v50, vcc
	v_add_u32_e32 v31, 1, v33
	v_add_u32_e32 v26, -1, v26
	v_min_u32_e32 v26, v31, v26
	v_lshlrev_b32_e32 v26, 3, v26
	ds_read_b64 v[26:27], v26
	v_cndmask_b32_e32 v39, v30, v31, vcc
	v_cndmask_b32_e32 v19, v31, v19, vcc
	v_cmp_gt_u32_e64 s[6:7], s11, v39
	v_cmp_ge_u32_e64 s[2:3], v19, v35
	s_waitcnt lgkmcnt(0)
	v_cndmask_b32_e32 v29, v27, v25, vcc
	v_cndmask_b32_e32 v28, v26, v24, vcc
	;; [unrolled: 1-line block ×4, first 2 shown]
	v_cmp_le_i64_e64 s[4:5], v[26:27], v[28:29]
	s_and_b64 s[4:5], s[6:7], s[4:5]
	s_or_b64 s[2:3], s[2:3], s[4:5]
	v_cndmask_b32_e64 v34, v19, v39, s[2:3]
	v_cndmask_b32_e64 v30, v35, v50, s[2:3]
	v_add_u32_e32 v40, 1, v34
	v_add_u32_e32 v30, -1, v30
	v_min_u32_e32 v30, v40, v30
	v_lshlrev_b32_e32 v30, 3, v30
	ds_read_b64 v[30:31], v30
	v_cndmask_b32_e64 v47, v39, v40, s[2:3]
	v_cndmask_b32_e64 v46, v40, v19, s[2:3]
	v_cmp_gt_u32_e64 s[8:9], s11, v47
	v_cmp_ge_u32_e64 s[4:5], v46, v35
	s_waitcnt lgkmcnt(0)
	v_cndmask_b32_e64 v37, v31, v29, s[2:3]
	v_cndmask_b32_e64 v36, v30, v28, s[2:3]
	;; [unrolled: 1-line block ×4, first 2 shown]
	v_cmp_le_i64_e64 s[6:7], v[30:31], v[36:37]
	s_and_b64 s[6:7], s[8:9], s[6:7]
	s_or_b64 s[4:5], s[4:5], s[6:7]
	v_cndmask_b32_e64 v39, v46, v47, s[4:5]
	v_cndmask_b32_e64 v19, v35, v50, s[4:5]
	v_add_u32_e32 v48, 1, v39
	v_add_u32_e32 v19, -1, v19
	v_min_u32_e32 v19, v48, v19
	v_lshlrev_b32_e32 v19, 3, v19
	ds_read_b64 v[40:41], v19
	v_cndmask_b32_e64 v49, v48, v46, s[4:5]
	v_cndmask_b32_e64 v48, v47, v48, s[4:5]
	v_cmp_gt_u32_e64 s[8:9], s11, v48
	v_cndmask_b32_e64 v19, v21, v18, s[0:1]
	s_waitcnt lgkmcnt(0)
	v_cndmask_b32_e64 v43, v41, v37, s[4:5]
	v_cndmask_b32_e64 v42, v40, v36, s[4:5]
	;; [unrolled: 1-line block ×4, first 2 shown]
	v_cmp_le_i64_e64 s[6:7], v[44:45], v[42:43]
	v_cndmask_b32_e64 v18, v20, v17, s[0:1]
	v_cmp_ge_u32_e64 s[0:1], v49, v35
	s_and_b64 s[6:7], s[8:9], s[6:7]
	s_or_b64 s[0:1], s[0:1], s[6:7]
	v_cndmask_b32_e64 v17, v49, v48, s[0:1]
	v_cndmask_b32_e64 v20, v35, v50, s[0:1]
	v_add_u32_e32 v51, 1, v17
	v_add_u32_e32 v20, -1, v20
	v_min_u32_e32 v20, v51, v20
	v_lshlrev_b32_e32 v20, 3, v20
	ds_read_b64 v[40:41], v20
	v_cndmask_b32_e32 v21, v25, v23, vcc
	v_cndmask_b32_e32 v20, v24, v22, vcc
	v_cndmask_b32_e64 v23, v29, v27, s[2:3]
	v_cndmask_b32_e64 v22, v28, v26, s[2:3]
	s_waitcnt lgkmcnt(0)
	v_cndmask_b32_e64 v29, v41, v43, s[0:1]
	v_cndmask_b32_e64 v28, v40, v42, s[0:1]
	;; [unrolled: 1-line block ×6, first 2 shown]
	v_cmp_le_i64_e64 s[2:3], v[46:47], v[28:29]
	v_cmp_gt_u32_e64 s[6:7], s11, v51
	v_cmp_ge_u32_e32 vcc, v41, v35
	s_and_b64 s[2:3], s[6:7], s[2:3]
	s_or_b64 vcc, vcc, s[2:3]
	v_cndmask_b32_e32 v40, v41, v51, vcc
	v_cndmask_b32_e32 v24, v35, v50, vcc
	v_add_u32_e32 v52, 1, v40
	v_add_u32_e32 v24, -1, v24
	v_min_u32_e32 v24, v52, v24
	v_lshlrev_b32_e32 v24, 3, v24
	ds_read_b64 v[48:49], v24
	v_cndmask_b32_e64 v25, v37, v31, s[4:5]
	v_cndmask_b32_e64 v24, v36, v30, s[4:5]
	v_cndmask_b32_e64 v27, v43, v45, s[0:1]
	v_cndmask_b32_e64 v26, v42, v44, s[0:1]
	s_waitcnt lgkmcnt(0)
	v_cndmask_b32_e32 v37, v49, v29, vcc
	v_cndmask_b32_e32 v36, v48, v28, vcc
	;; [unrolled: 1-line block ×5, first 2 shown]
	v_cmp_le_i64_e64 s[2:3], v[43:44], v[36:37]
	v_cndmask_b32_e32 v41, v52, v41, vcc
	v_cmp_gt_u32_e64 s[4:5], s11, v51
	v_cmp_ge_u32_e64 s[0:1], v41, v35
	s_and_b64 s[2:3], s[4:5], s[2:3]
	s_or_b64 s[0:1], s[0:1], s[2:3]
	v_cndmask_b32_e64 v42, v41, v51, s[0:1]
	v_cndmask_b32_e64 v30, v35, v50, s[0:1]
	v_add_u32_e32 v50, 1, v42
	v_add_u32_e32 v30, -1, v30
	v_min_u32_e32 v30, v50, v30
	v_lshlrev_b32_e32 v30, 3, v30
	ds_read_b64 v[48:49], v30
	v_cndmask_b32_e64 v31, v37, v44, s[0:1]
	v_cndmask_b32_e64 v30, v36, v43, s[0:1]
	;; [unrolled: 1-line block ×3, first 2 shown]
	v_cndmask_b32_e32 v29, v29, v47, vcc
	s_waitcnt lgkmcnt(0)
	v_cndmask_b32_e64 v37, v49, v37, s[0:1]
	v_cndmask_b32_e64 v36, v48, v36, s[0:1]
	;; [unrolled: 1-line block ×5, first 2 shown]
	v_cmp_le_i64_e64 s[0:1], v[44:45], v[36:37]
	v_cmp_gt_u32_e64 s[2:3], s11, v43
	v_cndmask_b32_e32 v28, v28, v46, vcc
	v_cmp_ge_u32_e32 vcc, v41, v35
	s_and_b64 s[0:1], s[2:3], s[0:1]
	s_or_b64 vcc, vcc, s[0:1]
	v_cndmask_b32_e32 v43, v41, v43, vcc
	v_cndmask_b32_e32 v37, v37, v45, vcc
	v_cndmask_b32_e32 v36, v36, v44, vcc
.LBB1047_49:
	s_or_b64 exec, exec, s[14:15]
	s_barrier
	ds_write2st64_b64 v38, v[1:2], v[3:4] offset1:2
	ds_write2st64_b64 v38, v[5:6], v[7:8] offset0:4 offset1:6
	ds_write2st64_b64 v38, v[9:10], v[11:12] offset0:8 offset1:10
	;; [unrolled: 1-line block ×3, first 2 shown]
	v_lshlrev_b32_e32 v1, 3, v32
	v_lshlrev_b32_e32 v2, 3, v33
	;; [unrolled: 1-line block ×3, first 2 shown]
	s_waitcnt lgkmcnt(0)
	s_barrier
	v_lshlrev_b32_e32 v4, 3, v39
	ds_read_b64 v[9:10], v1
	ds_read_b64 v[13:14], v2
	;; [unrolled: 1-line block ×4, first 2 shown]
	v_lshlrev_b32_e32 v3, 3, v17
	v_lshrrev_b32_e32 v17, 2, v0
	v_lshlrev_b32_e32 v32, 3, v38
	v_lshl_add_u32 v33, v17, 3, v32
	v_and_b32_e32 v17, 24, v17
	v_or_b32_e32 v49, 0x80, v0
	v_add_u32_e32 v34, v17, v38
	v_lshrrev_b32_e32 v17, 2, v49
	v_and_b32_e32 v17, 56, v17
	v_or_b32_e32 v48, 0x100, v0
	v_add_u32_e32 v35, v17, v38
	v_lshrrev_b32_e32 v17, 2, v48
	v_lshlrev_b32_e32 v4, 3, v40
	v_lshlrev_b32_e32 v7, 3, v42
	v_lshlrev_b32_e32 v8, 3, v43
	v_and_b32_e32 v17, 0x58, v17
	v_or_b32_e32 v47, 0x180, v0
	ds_read_b64 v[11:12], v3
	ds_read_b64 v[15:16], v4
	;; [unrolled: 1-line block ×4, first 2 shown]
	s_waitcnt lgkmcnt(0)
	s_barrier
	s_barrier
	ds_write2_b64 v33, v[18:19], v[20:21] offset1:1
	ds_write2_b64 v33, v[22:23], v[24:25] offset0:2 offset1:3
	ds_write2_b64 v33, v[26:27], v[28:29] offset0:4 offset1:5
	;; [unrolled: 1-line block ×3, first 2 shown]
	v_add_u32_e32 v36, v17, v38
	v_lshrrev_b32_e32 v17, 2, v47
	v_and_b32_e32 v17, 0x78, v17
	v_or_b32_e32 v46, 0x200, v0
	v_add_u32_e32 v37, v17, v38
	v_lshrrev_b32_e32 v17, 2, v46
	v_and_b32_e32 v17, 0x98, v17
	v_or_b32_e32 v45, 0x280, v0
	v_add_u32_e32 v39, v17, v38
	v_lshrrev_b32_e32 v17, 2, v45
	v_and_b32_e32 v17, 0xb8, v17
	v_or_b32_e32 v44, 0x300, v0
	s_mov_b32 s11, 0
	v_add_u32_e32 v40, v17, v38
	v_lshrrev_b32_e32 v17, 2, v44
	s_lshl_b64 s[14:15], s[10:11], 3
	v_and_b32_e32 v17, 0xd8, v17
	v_or_b32_e32 v43, 0x380, v0
	s_add_u32 s0, s12, s14
	v_add_u32_e32 v41, v17, v38
	v_lshrrev_b32_e32 v17, 2, v43
	s_addc_u32 s1, s13, s15
	v_and_b32_e32 v17, 0xf8, v17
	v_add_u32_e32 v42, v17, v38
	v_mov_b32_e32 v18, s1
	v_add_co_u32_e32 v17, vcc, s0, v38
	v_addc_co_u32_e32 v18, vcc, 0, v18, vcc
	s_and_b64 vcc, exec, s[20:21]
	s_waitcnt lgkmcnt(0)
	s_cbranch_vccz .LBB1047_53
; %bb.50:
	s_barrier
	ds_read_b64 v[19:20], v34
	ds_read_b64 v[21:22], v35 offset:1024
	ds_read_b64 v[23:24], v36 offset:2048
	;; [unrolled: 1-line block ×7, first 2 shown]
	s_waitcnt lgkmcnt(7)
	global_store_dwordx2 v[17:18], v[19:20], off
	s_waitcnt lgkmcnt(6)
	global_store_dwordx2 v[17:18], v[21:22], off offset:1024
	s_waitcnt lgkmcnt(5)
	global_store_dwordx2 v[17:18], v[23:24], off offset:2048
	;; [unrolled: 2-line block ×3, first 2 shown]
	v_add_co_u32_e32 v19, vcc, 0x1000, v17
	s_add_u32 s0, s16, s14
	v_addc_co_u32_e32 v20, vcc, 0, v18, vcc
	s_addc_u32 s1, s17, s15
	s_waitcnt lgkmcnt(3)
	global_store_dwordx2 v[19:20], v[27:28], off
	s_waitcnt lgkmcnt(2)
	global_store_dwordx2 v[19:20], v[29:30], off offset:1024
	s_waitcnt lgkmcnt(1)
	global_store_dwordx2 v[19:20], v[31:32], off offset:2048
	;; [unrolled: 2-line block ×3, first 2 shown]
	s_waitcnt vmcnt(0)
	s_barrier
	ds_write2_b64 v33, v[9:10], v[13:14] offset1:1
	ds_write2_b64 v33, v[1:2], v[5:6] offset0:2 offset1:3
	ds_write2_b64 v33, v[11:12], v[15:16] offset0:4 offset1:5
	;; [unrolled: 1-line block ×3, first 2 shown]
	s_waitcnt lgkmcnt(0)
	s_barrier
	ds_read_b64 v[21:22], v34
	ds_read_b64 v[23:24], v35 offset:1024
	ds_read_b64 v[25:26], v36 offset:2048
	;; [unrolled: 1-line block ×7, first 2 shown]
	v_mov_b32_e32 v52, s1
	v_add_co_u32_e32 v53, vcc, s0, v38
	v_addc_co_u32_e32 v52, vcc, 0, v52, vcc
	s_waitcnt lgkmcnt(7)
	global_store_dwordx2 v38, v[21:22], s[0:1]
	s_waitcnt lgkmcnt(6)
	global_store_dwordx2 v38, v[23:24], s[0:1] offset:1024
	s_waitcnt lgkmcnt(5)
	global_store_dwordx2 v38, v[25:26], s[0:1] offset:2048
	;; [unrolled: 2-line block ×3, first 2 shown]
	v_add_co_u32_e32 v21, vcc, 0x1000, v53
	v_addc_co_u32_e32 v22, vcc, 0, v52, vcc
	s_waitcnt lgkmcnt(3)
	global_store_dwordx2 v[21:22], v[29:30], off
	s_waitcnt lgkmcnt(2)
	global_store_dwordx2 v[21:22], v[31:32], off offset:1024
	s_waitcnt lgkmcnt(1)
	global_store_dwordx2 v[21:22], v[50:51], off offset:2048
	s_mov_b64 s[20:21], -1
	s_cbranch_execz .LBB1047_54
	s_branch .LBB1047_79
.LBB1047_51:
	s_or_b64 exec, exec, s[2:3]
	v_cmp_gt_u32_e32 vcc, s9, v34
	s_and_saveexec_b64 s[2:3], vcc
	s_cbranch_execz .LBB1047_26
.LBB1047_52:
	v_mov_b32_e32 v35, 0
	v_lshlrev_b64 v[3:4], 3, v[34:35]
	v_mov_b32_e32 v17, s7
	v_add_co_u32_e32 v33, vcc, s6, v3
	v_addc_co_u32_e32 v17, vcc, v17, v4, vcc
	v_subrev_co_u32_e32 v34, vcc, s11, v34
	v_lshlrev_b64 v[3:4], 3, v[34:35]
	v_mov_b32_e32 v34, s5
	v_add_co_u32_e64 v3, s[0:1], s4, v3
	v_addc_co_u32_e64 v4, s[0:1], v34, v4, s[0:1]
	v_cndmask_b32_e32 v4, v4, v17, vcc
	v_cndmask_b32_e32 v3, v3, v33, vcc
	global_load_dwordx2 v[3:4], v[3:4], off
	s_or_b64 exec, exec, s[2:3]
	v_cmp_gt_u32_e32 vcc, s9, v32
	s_and_saveexec_b64 s[2:3], vcc
	s_cbranch_execnz .LBB1047_27
	s_branch .LBB1047_28
.LBB1047_53:
	s_mov_b64 s[20:21], 0
                                        ; implicit-def: $vgpr19_vgpr20
.LBB1047_54:
	s_waitcnt vmcnt(0) lgkmcnt(0)
	s_barrier
	ds_read_b64 v[31:32], v35 offset:1024
	ds_read_b64 v[29:30], v36 offset:2048
	;; [unrolled: 1-line block ×7, first 2 shown]
	s_sub_i32 s20, s18, s10
	v_cmp_gt_u32_e64 s[0:1], s20, v0
	s_and_saveexec_b64 s[2:3], s[0:1]
	s_cbranch_execz .LBB1047_62
; %bb.55:
	ds_read_b64 v[50:51], v34
	s_waitcnt lgkmcnt(0)
	global_store_dwordx2 v[17:18], v[50:51], off
	s_or_b64 exec, exec, s[2:3]
	v_cmp_gt_u32_e64 s[2:3], s20, v49
	s_and_saveexec_b64 s[4:5], s[2:3]
	s_cbranch_execnz .LBB1047_63
.LBB1047_56:
	s_or_b64 exec, exec, s[4:5]
	v_cmp_gt_u32_e64 s[4:5], s20, v48
	s_and_saveexec_b64 s[6:7], s[4:5]
	s_cbranch_execz .LBB1047_64
.LBB1047_57:
	s_waitcnt lgkmcnt(5)
	global_store_dwordx2 v[17:18], v[29:30], off offset:2048
	s_or_b64 exec, exec, s[6:7]
	v_cmp_gt_u32_e64 s[6:7], s20, v47
	s_and_saveexec_b64 s[8:9], s[6:7]
	s_cbranch_execnz .LBB1047_65
.LBB1047_58:
	s_or_b64 exec, exec, s[8:9]
	v_cmp_gt_u32_e64 s[8:9], s20, v46
	s_and_saveexec_b64 s[10:11], s[8:9]
	s_cbranch_execz .LBB1047_66
.LBB1047_59:
	s_waitcnt lgkmcnt(4)
	v_add_co_u32_e32 v27, vcc, 0x1000, v17
	v_addc_co_u32_e32 v28, vcc, 0, v18, vcc
	s_waitcnt lgkmcnt(3)
	global_store_dwordx2 v[27:28], v[25:26], off
	s_or_b64 exec, exec, s[10:11]
	v_cmp_gt_u32_e64 s[10:11], s20, v45
	s_and_saveexec_b64 s[12:13], s[10:11]
	s_cbranch_execnz .LBB1047_67
.LBB1047_60:
	s_or_b64 exec, exec, s[12:13]
	v_cmp_gt_u32_e64 s[12:13], s20, v44
	s_and_saveexec_b64 s[18:19], s[12:13]
	s_cbranch_execz .LBB1047_68
.LBB1047_61:
	s_waitcnt lgkmcnt(2)
	v_add_co_u32_e32 v23, vcc, 0x1000, v17
	v_addc_co_u32_e32 v24, vcc, 0, v18, vcc
	s_waitcnt lgkmcnt(1)
	global_store_dwordx2 v[23:24], v[21:22], off offset:2048
	s_or_b64 exec, exec, s[18:19]
	v_cmp_gt_u32_e64 s[20:21], s20, v43
	s_and_saveexec_b64 s[18:19], s[20:21]
	s_cbranch_execnz .LBB1047_69
	s_branch .LBB1047_70
.LBB1047_62:
	s_or_b64 exec, exec, s[2:3]
	v_cmp_gt_u32_e64 s[2:3], s20, v49
	s_and_saveexec_b64 s[4:5], s[2:3]
	s_cbranch_execz .LBB1047_56
.LBB1047_63:
	s_waitcnt lgkmcnt(6)
	global_store_dwordx2 v[17:18], v[31:32], off offset:1024
	s_or_b64 exec, exec, s[4:5]
	v_cmp_gt_u32_e64 s[4:5], s20, v48
	s_and_saveexec_b64 s[6:7], s[4:5]
	s_cbranch_execnz .LBB1047_57
.LBB1047_64:
	s_or_b64 exec, exec, s[6:7]
	v_cmp_gt_u32_e64 s[6:7], s20, v47
	s_and_saveexec_b64 s[8:9], s[6:7]
	s_cbranch_execz .LBB1047_58
.LBB1047_65:
	s_waitcnt lgkmcnt(4)
	global_store_dwordx2 v[17:18], v[27:28], off offset:3072
	s_or_b64 exec, exec, s[8:9]
	v_cmp_gt_u32_e64 s[8:9], s20, v46
	s_and_saveexec_b64 s[10:11], s[8:9]
	s_cbranch_execnz .LBB1047_59
.LBB1047_66:
	s_or_b64 exec, exec, s[10:11]
	v_cmp_gt_u32_e64 s[10:11], s20, v45
	s_and_saveexec_b64 s[12:13], s[10:11]
	s_cbranch_execz .LBB1047_60
.LBB1047_67:
	s_waitcnt lgkmcnt(3)
	v_add_co_u32_e32 v25, vcc, 0x1000, v17
	v_addc_co_u32_e32 v26, vcc, 0, v18, vcc
	s_waitcnt lgkmcnt(2)
	global_store_dwordx2 v[25:26], v[23:24], off offset:1024
	s_or_b64 exec, exec, s[12:13]
	v_cmp_gt_u32_e64 s[12:13], s20, v44
	s_and_saveexec_b64 s[18:19], s[12:13]
	s_cbranch_execnz .LBB1047_61
.LBB1047_68:
	s_or_b64 exec, exec, s[18:19]
	v_cmp_gt_u32_e64 s[20:21], s20, v43
	s_and_saveexec_b64 s[18:19], s[20:21]
	s_cbranch_execz .LBB1047_70
.LBB1047_69:
	v_add_co_u32_e32 v17, vcc, 0x1000, v17
	v_addc_co_u32_e32 v18, vcc, 0, v18, vcc
	s_waitcnt lgkmcnt(0)
	global_store_dwordx2 v[17:18], v[19:20], off offset:3072
.LBB1047_70:
	s_or_b64 exec, exec, s[18:19]
	s_waitcnt vmcnt(0) lgkmcnt(0)
	s_barrier
	ds_write2_b64 v33, v[9:10], v[13:14] offset1:1
	ds_write2_b64 v33, v[1:2], v[5:6] offset0:2 offset1:3
	ds_write2_b64 v33, v[11:12], v[15:16] offset0:4 offset1:5
	;; [unrolled: 1-line block ×3, first 2 shown]
	s_waitcnt lgkmcnt(0)
	s_barrier
	ds_read_b64 v[12:13], v35 offset:1024
	ds_read_b64 v[10:11], v36 offset:2048
	;; [unrolled: 1-line block ×7, first 2 shown]
	s_add_u32 s18, s16, s14
	s_addc_u32 s19, s17, s15
	v_mov_b32_e32 v3, s19
	v_add_co_u32_e32 v2, vcc, s18, v38
	v_addc_co_u32_e32 v3, vcc, 0, v3, vcc
	s_and_saveexec_b64 s[18:19], s[0:1]
	s_cbranch_execz .LBB1047_82
; %bb.71:
	ds_read_b64 v[14:15], v34
	s_waitcnt lgkmcnt(0)
	global_store_dwordx2 v[2:3], v[14:15], off
	s_or_b64 exec, exec, s[18:19]
	s_and_saveexec_b64 s[0:1], s[2:3]
	s_cbranch_execnz .LBB1047_83
.LBB1047_72:
	s_or_b64 exec, exec, s[0:1]
	s_and_saveexec_b64 s[0:1], s[4:5]
	s_cbranch_execz .LBB1047_84
.LBB1047_73:
	s_waitcnt lgkmcnt(5)
	global_store_dwordx2 v[2:3], v[10:11], off offset:2048
	s_or_b64 exec, exec, s[0:1]
	s_and_saveexec_b64 s[0:1], s[6:7]
	s_cbranch_execnz .LBB1047_85
.LBB1047_74:
	s_or_b64 exec, exec, s[0:1]
	s_and_saveexec_b64 s[0:1], s[8:9]
	s_cbranch_execz .LBB1047_86
.LBB1047_75:
	s_waitcnt lgkmcnt(4)
	v_add_co_u32_e32 v8, vcc, 0x1000, v2
	v_addc_co_u32_e32 v9, vcc, 0, v3, vcc
	s_waitcnt lgkmcnt(3)
	global_store_dwordx2 v[8:9], v[6:7], off
	s_or_b64 exec, exec, s[0:1]
	s_and_saveexec_b64 s[0:1], s[10:11]
	s_cbranch_execnz .LBB1047_87
.LBB1047_76:
	s_or_b64 exec, exec, s[0:1]
	s_and_saveexec_b64 s[0:1], s[12:13]
	s_cbranch_execz .LBB1047_78
.LBB1047_77:
	v_add_co_u32_e32 v2, vcc, 0x1000, v2
	v_addc_co_u32_e32 v3, vcc, 0, v3, vcc
	s_waitcnt lgkmcnt(1)
	global_store_dwordx2 v[2:3], v[0:1], off offset:2048
.LBB1047_78:
	s_or_b64 exec, exec, s[0:1]
.LBB1047_79:
	s_and_saveexec_b64 s[0:1], s[20:21]
	s_cbranch_execz .LBB1047_81
; %bb.80:
	s_add_u32 s0, s16, s14
	s_addc_u32 s1, s17, s15
	s_waitcnt lgkmcnt(1)
	v_mov_b32_e32 v0, s1
	v_add_co_u32_e32 v1, vcc, s0, v38
	v_addc_co_u32_e32 v2, vcc, 0, v0, vcc
	v_add_co_u32_e32 v0, vcc, 0x1000, v1
	v_addc_co_u32_e32 v1, vcc, 0, v2, vcc
	s_waitcnt lgkmcnt(0)
	global_store_dwordx2 v[0:1], v[19:20], off offset:3072
.LBB1047_81:
	s_endpgm
.LBB1047_82:
	s_or_b64 exec, exec, s[18:19]
	s_and_saveexec_b64 s[0:1], s[2:3]
	s_cbranch_execz .LBB1047_72
.LBB1047_83:
	s_waitcnt lgkmcnt(6)
	global_store_dwordx2 v[2:3], v[12:13], off offset:1024
	s_or_b64 exec, exec, s[0:1]
	s_and_saveexec_b64 s[0:1], s[4:5]
	s_cbranch_execnz .LBB1047_73
.LBB1047_84:
	s_or_b64 exec, exec, s[0:1]
	s_and_saveexec_b64 s[0:1], s[6:7]
	s_cbranch_execz .LBB1047_74
.LBB1047_85:
	s_waitcnt lgkmcnt(4)
	global_store_dwordx2 v[2:3], v[8:9], off offset:3072
	s_or_b64 exec, exec, s[0:1]
	s_and_saveexec_b64 s[0:1], s[8:9]
	s_cbranch_execnz .LBB1047_75
.LBB1047_86:
	s_or_b64 exec, exec, s[0:1]
	s_and_saveexec_b64 s[0:1], s[10:11]
	s_cbranch_execz .LBB1047_76
.LBB1047_87:
	s_waitcnt lgkmcnt(3)
	v_add_co_u32_e32 v6, vcc, 0x1000, v2
	v_addc_co_u32_e32 v7, vcc, 0, v3, vcc
	s_waitcnt lgkmcnt(2)
	global_store_dwordx2 v[6:7], v[4:5], off offset:1024
	s_or_b64 exec, exec, s[0:1]
	s_and_saveexec_b64 s[0:1], s[12:13]
	s_cbranch_execnz .LBB1047_77
	s_branch .LBB1047_78
	.section	.rodata,"a",@progbits
	.p2align	6, 0x0
	.amdhsa_kernel _ZN7rocprim17ROCPRIM_400000_NS6detail17trampoline_kernelINS0_14default_configENS1_38merge_sort_block_merge_config_selectorIllEEZZNS1_27merge_sort_block_merge_implIS3_PlN6thrust23THRUST_200600_302600_NS10device_ptrIlEEjNS1_19radix_merge_compareILb0ELb0ElNS0_19identity_decomposerEEEEE10hipError_tT0_T1_T2_jT3_P12ihipStream_tbPNSt15iterator_traitsISG_E10value_typeEPNSM_ISH_E10value_typeEPSI_NS1_7vsmem_tEENKUlT_SG_SH_SI_E_clIS7_S7_SB_S7_EESF_SV_SG_SH_SI_EUlSV_E0_NS1_11comp_targetILNS1_3genE2ELNS1_11target_archE906ELNS1_3gpuE6ELNS1_3repE0EEENS1_38merge_mergepath_config_static_selectorELNS0_4arch9wavefront6targetE1EEEvSH_
		.amdhsa_group_segment_fixed_size 8448
		.amdhsa_private_segment_fixed_size 0
		.amdhsa_kernarg_size 320
		.amdhsa_user_sgpr_count 6
		.amdhsa_user_sgpr_private_segment_buffer 1
		.amdhsa_user_sgpr_dispatch_ptr 0
		.amdhsa_user_sgpr_queue_ptr 0
		.amdhsa_user_sgpr_kernarg_segment_ptr 1
		.amdhsa_user_sgpr_dispatch_id 0
		.amdhsa_user_sgpr_flat_scratch_init 0
		.amdhsa_user_sgpr_private_segment_size 0
		.amdhsa_uses_dynamic_stack 0
		.amdhsa_system_sgpr_private_segment_wavefront_offset 0
		.amdhsa_system_sgpr_workgroup_id_x 1
		.amdhsa_system_sgpr_workgroup_id_y 1
		.amdhsa_system_sgpr_workgroup_id_z 1
		.amdhsa_system_sgpr_workgroup_info 0
		.amdhsa_system_vgpr_workitem_id 0
		.amdhsa_next_free_vgpr 54
		.amdhsa_next_free_sgpr 98
		.amdhsa_reserve_vcc 1
		.amdhsa_reserve_flat_scratch 0
		.amdhsa_float_round_mode_32 0
		.amdhsa_float_round_mode_16_64 0
		.amdhsa_float_denorm_mode_32 3
		.amdhsa_float_denorm_mode_16_64 3
		.amdhsa_dx10_clamp 1
		.amdhsa_ieee_mode 1
		.amdhsa_fp16_overflow 0
		.amdhsa_exception_fp_ieee_invalid_op 0
		.amdhsa_exception_fp_denorm_src 0
		.amdhsa_exception_fp_ieee_div_zero 0
		.amdhsa_exception_fp_ieee_overflow 0
		.amdhsa_exception_fp_ieee_underflow 0
		.amdhsa_exception_fp_ieee_inexact 0
		.amdhsa_exception_int_div_zero 0
	.end_amdhsa_kernel
	.section	.text._ZN7rocprim17ROCPRIM_400000_NS6detail17trampoline_kernelINS0_14default_configENS1_38merge_sort_block_merge_config_selectorIllEEZZNS1_27merge_sort_block_merge_implIS3_PlN6thrust23THRUST_200600_302600_NS10device_ptrIlEEjNS1_19radix_merge_compareILb0ELb0ElNS0_19identity_decomposerEEEEE10hipError_tT0_T1_T2_jT3_P12ihipStream_tbPNSt15iterator_traitsISG_E10value_typeEPNSM_ISH_E10value_typeEPSI_NS1_7vsmem_tEENKUlT_SG_SH_SI_E_clIS7_S7_SB_S7_EESF_SV_SG_SH_SI_EUlSV_E0_NS1_11comp_targetILNS1_3genE2ELNS1_11target_archE906ELNS1_3gpuE6ELNS1_3repE0EEENS1_38merge_mergepath_config_static_selectorELNS0_4arch9wavefront6targetE1EEEvSH_,"axG",@progbits,_ZN7rocprim17ROCPRIM_400000_NS6detail17trampoline_kernelINS0_14default_configENS1_38merge_sort_block_merge_config_selectorIllEEZZNS1_27merge_sort_block_merge_implIS3_PlN6thrust23THRUST_200600_302600_NS10device_ptrIlEEjNS1_19radix_merge_compareILb0ELb0ElNS0_19identity_decomposerEEEEE10hipError_tT0_T1_T2_jT3_P12ihipStream_tbPNSt15iterator_traitsISG_E10value_typeEPNSM_ISH_E10value_typeEPSI_NS1_7vsmem_tEENKUlT_SG_SH_SI_E_clIS7_S7_SB_S7_EESF_SV_SG_SH_SI_EUlSV_E0_NS1_11comp_targetILNS1_3genE2ELNS1_11target_archE906ELNS1_3gpuE6ELNS1_3repE0EEENS1_38merge_mergepath_config_static_selectorELNS0_4arch9wavefront6targetE1EEEvSH_,comdat
.Lfunc_end1047:
	.size	_ZN7rocprim17ROCPRIM_400000_NS6detail17trampoline_kernelINS0_14default_configENS1_38merge_sort_block_merge_config_selectorIllEEZZNS1_27merge_sort_block_merge_implIS3_PlN6thrust23THRUST_200600_302600_NS10device_ptrIlEEjNS1_19radix_merge_compareILb0ELb0ElNS0_19identity_decomposerEEEEE10hipError_tT0_T1_T2_jT3_P12ihipStream_tbPNSt15iterator_traitsISG_E10value_typeEPNSM_ISH_E10value_typeEPSI_NS1_7vsmem_tEENKUlT_SG_SH_SI_E_clIS7_S7_SB_S7_EESF_SV_SG_SH_SI_EUlSV_E0_NS1_11comp_targetILNS1_3genE2ELNS1_11target_archE906ELNS1_3gpuE6ELNS1_3repE0EEENS1_38merge_mergepath_config_static_selectorELNS0_4arch9wavefront6targetE1EEEvSH_, .Lfunc_end1047-_ZN7rocprim17ROCPRIM_400000_NS6detail17trampoline_kernelINS0_14default_configENS1_38merge_sort_block_merge_config_selectorIllEEZZNS1_27merge_sort_block_merge_implIS3_PlN6thrust23THRUST_200600_302600_NS10device_ptrIlEEjNS1_19radix_merge_compareILb0ELb0ElNS0_19identity_decomposerEEEEE10hipError_tT0_T1_T2_jT3_P12ihipStream_tbPNSt15iterator_traitsISG_E10value_typeEPNSM_ISH_E10value_typeEPSI_NS1_7vsmem_tEENKUlT_SG_SH_SI_E_clIS7_S7_SB_S7_EESF_SV_SG_SH_SI_EUlSV_E0_NS1_11comp_targetILNS1_3genE2ELNS1_11target_archE906ELNS1_3gpuE6ELNS1_3repE0EEENS1_38merge_mergepath_config_static_selectorELNS0_4arch9wavefront6targetE1EEEvSH_
                                        ; -- End function
	.set _ZN7rocprim17ROCPRIM_400000_NS6detail17trampoline_kernelINS0_14default_configENS1_38merge_sort_block_merge_config_selectorIllEEZZNS1_27merge_sort_block_merge_implIS3_PlN6thrust23THRUST_200600_302600_NS10device_ptrIlEEjNS1_19radix_merge_compareILb0ELb0ElNS0_19identity_decomposerEEEEE10hipError_tT0_T1_T2_jT3_P12ihipStream_tbPNSt15iterator_traitsISG_E10value_typeEPNSM_ISH_E10value_typeEPSI_NS1_7vsmem_tEENKUlT_SG_SH_SI_E_clIS7_S7_SB_S7_EESF_SV_SG_SH_SI_EUlSV_E0_NS1_11comp_targetILNS1_3genE2ELNS1_11target_archE906ELNS1_3gpuE6ELNS1_3repE0EEENS1_38merge_mergepath_config_static_selectorELNS0_4arch9wavefront6targetE1EEEvSH_.num_vgpr, 54
	.set _ZN7rocprim17ROCPRIM_400000_NS6detail17trampoline_kernelINS0_14default_configENS1_38merge_sort_block_merge_config_selectorIllEEZZNS1_27merge_sort_block_merge_implIS3_PlN6thrust23THRUST_200600_302600_NS10device_ptrIlEEjNS1_19radix_merge_compareILb0ELb0ElNS0_19identity_decomposerEEEEE10hipError_tT0_T1_T2_jT3_P12ihipStream_tbPNSt15iterator_traitsISG_E10value_typeEPNSM_ISH_E10value_typeEPSI_NS1_7vsmem_tEENKUlT_SG_SH_SI_E_clIS7_S7_SB_S7_EESF_SV_SG_SH_SI_EUlSV_E0_NS1_11comp_targetILNS1_3genE2ELNS1_11target_archE906ELNS1_3gpuE6ELNS1_3repE0EEENS1_38merge_mergepath_config_static_selectorELNS0_4arch9wavefront6targetE1EEEvSH_.num_agpr, 0
	.set _ZN7rocprim17ROCPRIM_400000_NS6detail17trampoline_kernelINS0_14default_configENS1_38merge_sort_block_merge_config_selectorIllEEZZNS1_27merge_sort_block_merge_implIS3_PlN6thrust23THRUST_200600_302600_NS10device_ptrIlEEjNS1_19radix_merge_compareILb0ELb0ElNS0_19identity_decomposerEEEEE10hipError_tT0_T1_T2_jT3_P12ihipStream_tbPNSt15iterator_traitsISG_E10value_typeEPNSM_ISH_E10value_typeEPSI_NS1_7vsmem_tEENKUlT_SG_SH_SI_E_clIS7_S7_SB_S7_EESF_SV_SG_SH_SI_EUlSV_E0_NS1_11comp_targetILNS1_3genE2ELNS1_11target_archE906ELNS1_3gpuE6ELNS1_3repE0EEENS1_38merge_mergepath_config_static_selectorELNS0_4arch9wavefront6targetE1EEEvSH_.numbered_sgpr, 31
	.set _ZN7rocprim17ROCPRIM_400000_NS6detail17trampoline_kernelINS0_14default_configENS1_38merge_sort_block_merge_config_selectorIllEEZZNS1_27merge_sort_block_merge_implIS3_PlN6thrust23THRUST_200600_302600_NS10device_ptrIlEEjNS1_19radix_merge_compareILb0ELb0ElNS0_19identity_decomposerEEEEE10hipError_tT0_T1_T2_jT3_P12ihipStream_tbPNSt15iterator_traitsISG_E10value_typeEPNSM_ISH_E10value_typeEPSI_NS1_7vsmem_tEENKUlT_SG_SH_SI_E_clIS7_S7_SB_S7_EESF_SV_SG_SH_SI_EUlSV_E0_NS1_11comp_targetILNS1_3genE2ELNS1_11target_archE906ELNS1_3gpuE6ELNS1_3repE0EEENS1_38merge_mergepath_config_static_selectorELNS0_4arch9wavefront6targetE1EEEvSH_.num_named_barrier, 0
	.set _ZN7rocprim17ROCPRIM_400000_NS6detail17trampoline_kernelINS0_14default_configENS1_38merge_sort_block_merge_config_selectorIllEEZZNS1_27merge_sort_block_merge_implIS3_PlN6thrust23THRUST_200600_302600_NS10device_ptrIlEEjNS1_19radix_merge_compareILb0ELb0ElNS0_19identity_decomposerEEEEE10hipError_tT0_T1_T2_jT3_P12ihipStream_tbPNSt15iterator_traitsISG_E10value_typeEPNSM_ISH_E10value_typeEPSI_NS1_7vsmem_tEENKUlT_SG_SH_SI_E_clIS7_S7_SB_S7_EESF_SV_SG_SH_SI_EUlSV_E0_NS1_11comp_targetILNS1_3genE2ELNS1_11target_archE906ELNS1_3gpuE6ELNS1_3repE0EEENS1_38merge_mergepath_config_static_selectorELNS0_4arch9wavefront6targetE1EEEvSH_.private_seg_size, 0
	.set _ZN7rocprim17ROCPRIM_400000_NS6detail17trampoline_kernelINS0_14default_configENS1_38merge_sort_block_merge_config_selectorIllEEZZNS1_27merge_sort_block_merge_implIS3_PlN6thrust23THRUST_200600_302600_NS10device_ptrIlEEjNS1_19radix_merge_compareILb0ELb0ElNS0_19identity_decomposerEEEEE10hipError_tT0_T1_T2_jT3_P12ihipStream_tbPNSt15iterator_traitsISG_E10value_typeEPNSM_ISH_E10value_typeEPSI_NS1_7vsmem_tEENKUlT_SG_SH_SI_E_clIS7_S7_SB_S7_EESF_SV_SG_SH_SI_EUlSV_E0_NS1_11comp_targetILNS1_3genE2ELNS1_11target_archE906ELNS1_3gpuE6ELNS1_3repE0EEENS1_38merge_mergepath_config_static_selectorELNS0_4arch9wavefront6targetE1EEEvSH_.uses_vcc, 1
	.set _ZN7rocprim17ROCPRIM_400000_NS6detail17trampoline_kernelINS0_14default_configENS1_38merge_sort_block_merge_config_selectorIllEEZZNS1_27merge_sort_block_merge_implIS3_PlN6thrust23THRUST_200600_302600_NS10device_ptrIlEEjNS1_19radix_merge_compareILb0ELb0ElNS0_19identity_decomposerEEEEE10hipError_tT0_T1_T2_jT3_P12ihipStream_tbPNSt15iterator_traitsISG_E10value_typeEPNSM_ISH_E10value_typeEPSI_NS1_7vsmem_tEENKUlT_SG_SH_SI_E_clIS7_S7_SB_S7_EESF_SV_SG_SH_SI_EUlSV_E0_NS1_11comp_targetILNS1_3genE2ELNS1_11target_archE906ELNS1_3gpuE6ELNS1_3repE0EEENS1_38merge_mergepath_config_static_selectorELNS0_4arch9wavefront6targetE1EEEvSH_.uses_flat_scratch, 0
	.set _ZN7rocprim17ROCPRIM_400000_NS6detail17trampoline_kernelINS0_14default_configENS1_38merge_sort_block_merge_config_selectorIllEEZZNS1_27merge_sort_block_merge_implIS3_PlN6thrust23THRUST_200600_302600_NS10device_ptrIlEEjNS1_19radix_merge_compareILb0ELb0ElNS0_19identity_decomposerEEEEE10hipError_tT0_T1_T2_jT3_P12ihipStream_tbPNSt15iterator_traitsISG_E10value_typeEPNSM_ISH_E10value_typeEPSI_NS1_7vsmem_tEENKUlT_SG_SH_SI_E_clIS7_S7_SB_S7_EESF_SV_SG_SH_SI_EUlSV_E0_NS1_11comp_targetILNS1_3genE2ELNS1_11target_archE906ELNS1_3gpuE6ELNS1_3repE0EEENS1_38merge_mergepath_config_static_selectorELNS0_4arch9wavefront6targetE1EEEvSH_.has_dyn_sized_stack, 0
	.set _ZN7rocprim17ROCPRIM_400000_NS6detail17trampoline_kernelINS0_14default_configENS1_38merge_sort_block_merge_config_selectorIllEEZZNS1_27merge_sort_block_merge_implIS3_PlN6thrust23THRUST_200600_302600_NS10device_ptrIlEEjNS1_19radix_merge_compareILb0ELb0ElNS0_19identity_decomposerEEEEE10hipError_tT0_T1_T2_jT3_P12ihipStream_tbPNSt15iterator_traitsISG_E10value_typeEPNSM_ISH_E10value_typeEPSI_NS1_7vsmem_tEENKUlT_SG_SH_SI_E_clIS7_S7_SB_S7_EESF_SV_SG_SH_SI_EUlSV_E0_NS1_11comp_targetILNS1_3genE2ELNS1_11target_archE906ELNS1_3gpuE6ELNS1_3repE0EEENS1_38merge_mergepath_config_static_selectorELNS0_4arch9wavefront6targetE1EEEvSH_.has_recursion, 0
	.set _ZN7rocprim17ROCPRIM_400000_NS6detail17trampoline_kernelINS0_14default_configENS1_38merge_sort_block_merge_config_selectorIllEEZZNS1_27merge_sort_block_merge_implIS3_PlN6thrust23THRUST_200600_302600_NS10device_ptrIlEEjNS1_19radix_merge_compareILb0ELb0ElNS0_19identity_decomposerEEEEE10hipError_tT0_T1_T2_jT3_P12ihipStream_tbPNSt15iterator_traitsISG_E10value_typeEPNSM_ISH_E10value_typeEPSI_NS1_7vsmem_tEENKUlT_SG_SH_SI_E_clIS7_S7_SB_S7_EESF_SV_SG_SH_SI_EUlSV_E0_NS1_11comp_targetILNS1_3genE2ELNS1_11target_archE906ELNS1_3gpuE6ELNS1_3repE0EEENS1_38merge_mergepath_config_static_selectorELNS0_4arch9wavefront6targetE1EEEvSH_.has_indirect_call, 0
	.section	.AMDGPU.csdata,"",@progbits
; Kernel info:
; codeLenInByte = 6264
; TotalNumSgprs: 35
; NumVgprs: 54
; ScratchSize: 0
; MemoryBound: 0
; FloatMode: 240
; IeeeMode: 1
; LDSByteSize: 8448 bytes/workgroup (compile time only)
; SGPRBlocks: 12
; VGPRBlocks: 13
; NumSGPRsForWavesPerEU: 102
; NumVGPRsForWavesPerEU: 54
; Occupancy: 4
; WaveLimiterHint : 1
; COMPUTE_PGM_RSRC2:SCRATCH_EN: 0
; COMPUTE_PGM_RSRC2:USER_SGPR: 6
; COMPUTE_PGM_RSRC2:TRAP_HANDLER: 0
; COMPUTE_PGM_RSRC2:TGID_X_EN: 1
; COMPUTE_PGM_RSRC2:TGID_Y_EN: 1
; COMPUTE_PGM_RSRC2:TGID_Z_EN: 1
; COMPUTE_PGM_RSRC2:TIDIG_COMP_CNT: 0
	.section	.text._ZN7rocprim17ROCPRIM_400000_NS6detail17trampoline_kernelINS0_14default_configENS1_38merge_sort_block_merge_config_selectorIllEEZZNS1_27merge_sort_block_merge_implIS3_PlN6thrust23THRUST_200600_302600_NS10device_ptrIlEEjNS1_19radix_merge_compareILb0ELb0ElNS0_19identity_decomposerEEEEE10hipError_tT0_T1_T2_jT3_P12ihipStream_tbPNSt15iterator_traitsISG_E10value_typeEPNSM_ISH_E10value_typeEPSI_NS1_7vsmem_tEENKUlT_SG_SH_SI_E_clIS7_S7_SB_S7_EESF_SV_SG_SH_SI_EUlSV_E0_NS1_11comp_targetILNS1_3genE9ELNS1_11target_archE1100ELNS1_3gpuE3ELNS1_3repE0EEENS1_38merge_mergepath_config_static_selectorELNS0_4arch9wavefront6targetE1EEEvSH_,"axG",@progbits,_ZN7rocprim17ROCPRIM_400000_NS6detail17trampoline_kernelINS0_14default_configENS1_38merge_sort_block_merge_config_selectorIllEEZZNS1_27merge_sort_block_merge_implIS3_PlN6thrust23THRUST_200600_302600_NS10device_ptrIlEEjNS1_19radix_merge_compareILb0ELb0ElNS0_19identity_decomposerEEEEE10hipError_tT0_T1_T2_jT3_P12ihipStream_tbPNSt15iterator_traitsISG_E10value_typeEPNSM_ISH_E10value_typeEPSI_NS1_7vsmem_tEENKUlT_SG_SH_SI_E_clIS7_S7_SB_S7_EESF_SV_SG_SH_SI_EUlSV_E0_NS1_11comp_targetILNS1_3genE9ELNS1_11target_archE1100ELNS1_3gpuE3ELNS1_3repE0EEENS1_38merge_mergepath_config_static_selectorELNS0_4arch9wavefront6targetE1EEEvSH_,comdat
	.protected	_ZN7rocprim17ROCPRIM_400000_NS6detail17trampoline_kernelINS0_14default_configENS1_38merge_sort_block_merge_config_selectorIllEEZZNS1_27merge_sort_block_merge_implIS3_PlN6thrust23THRUST_200600_302600_NS10device_ptrIlEEjNS1_19radix_merge_compareILb0ELb0ElNS0_19identity_decomposerEEEEE10hipError_tT0_T1_T2_jT3_P12ihipStream_tbPNSt15iterator_traitsISG_E10value_typeEPNSM_ISH_E10value_typeEPSI_NS1_7vsmem_tEENKUlT_SG_SH_SI_E_clIS7_S7_SB_S7_EESF_SV_SG_SH_SI_EUlSV_E0_NS1_11comp_targetILNS1_3genE9ELNS1_11target_archE1100ELNS1_3gpuE3ELNS1_3repE0EEENS1_38merge_mergepath_config_static_selectorELNS0_4arch9wavefront6targetE1EEEvSH_ ; -- Begin function _ZN7rocprim17ROCPRIM_400000_NS6detail17trampoline_kernelINS0_14default_configENS1_38merge_sort_block_merge_config_selectorIllEEZZNS1_27merge_sort_block_merge_implIS3_PlN6thrust23THRUST_200600_302600_NS10device_ptrIlEEjNS1_19radix_merge_compareILb0ELb0ElNS0_19identity_decomposerEEEEE10hipError_tT0_T1_T2_jT3_P12ihipStream_tbPNSt15iterator_traitsISG_E10value_typeEPNSM_ISH_E10value_typeEPSI_NS1_7vsmem_tEENKUlT_SG_SH_SI_E_clIS7_S7_SB_S7_EESF_SV_SG_SH_SI_EUlSV_E0_NS1_11comp_targetILNS1_3genE9ELNS1_11target_archE1100ELNS1_3gpuE3ELNS1_3repE0EEENS1_38merge_mergepath_config_static_selectorELNS0_4arch9wavefront6targetE1EEEvSH_
	.globl	_ZN7rocprim17ROCPRIM_400000_NS6detail17trampoline_kernelINS0_14default_configENS1_38merge_sort_block_merge_config_selectorIllEEZZNS1_27merge_sort_block_merge_implIS3_PlN6thrust23THRUST_200600_302600_NS10device_ptrIlEEjNS1_19radix_merge_compareILb0ELb0ElNS0_19identity_decomposerEEEEE10hipError_tT0_T1_T2_jT3_P12ihipStream_tbPNSt15iterator_traitsISG_E10value_typeEPNSM_ISH_E10value_typeEPSI_NS1_7vsmem_tEENKUlT_SG_SH_SI_E_clIS7_S7_SB_S7_EESF_SV_SG_SH_SI_EUlSV_E0_NS1_11comp_targetILNS1_3genE9ELNS1_11target_archE1100ELNS1_3gpuE3ELNS1_3repE0EEENS1_38merge_mergepath_config_static_selectorELNS0_4arch9wavefront6targetE1EEEvSH_
	.p2align	8
	.type	_ZN7rocprim17ROCPRIM_400000_NS6detail17trampoline_kernelINS0_14default_configENS1_38merge_sort_block_merge_config_selectorIllEEZZNS1_27merge_sort_block_merge_implIS3_PlN6thrust23THRUST_200600_302600_NS10device_ptrIlEEjNS1_19radix_merge_compareILb0ELb0ElNS0_19identity_decomposerEEEEE10hipError_tT0_T1_T2_jT3_P12ihipStream_tbPNSt15iterator_traitsISG_E10value_typeEPNSM_ISH_E10value_typeEPSI_NS1_7vsmem_tEENKUlT_SG_SH_SI_E_clIS7_S7_SB_S7_EESF_SV_SG_SH_SI_EUlSV_E0_NS1_11comp_targetILNS1_3genE9ELNS1_11target_archE1100ELNS1_3gpuE3ELNS1_3repE0EEENS1_38merge_mergepath_config_static_selectorELNS0_4arch9wavefront6targetE1EEEvSH_,@function
_ZN7rocprim17ROCPRIM_400000_NS6detail17trampoline_kernelINS0_14default_configENS1_38merge_sort_block_merge_config_selectorIllEEZZNS1_27merge_sort_block_merge_implIS3_PlN6thrust23THRUST_200600_302600_NS10device_ptrIlEEjNS1_19radix_merge_compareILb0ELb0ElNS0_19identity_decomposerEEEEE10hipError_tT0_T1_T2_jT3_P12ihipStream_tbPNSt15iterator_traitsISG_E10value_typeEPNSM_ISH_E10value_typeEPSI_NS1_7vsmem_tEENKUlT_SG_SH_SI_E_clIS7_S7_SB_S7_EESF_SV_SG_SH_SI_EUlSV_E0_NS1_11comp_targetILNS1_3genE9ELNS1_11target_archE1100ELNS1_3gpuE3ELNS1_3repE0EEENS1_38merge_mergepath_config_static_selectorELNS0_4arch9wavefront6targetE1EEEvSH_: ; @_ZN7rocprim17ROCPRIM_400000_NS6detail17trampoline_kernelINS0_14default_configENS1_38merge_sort_block_merge_config_selectorIllEEZZNS1_27merge_sort_block_merge_implIS3_PlN6thrust23THRUST_200600_302600_NS10device_ptrIlEEjNS1_19radix_merge_compareILb0ELb0ElNS0_19identity_decomposerEEEEE10hipError_tT0_T1_T2_jT3_P12ihipStream_tbPNSt15iterator_traitsISG_E10value_typeEPNSM_ISH_E10value_typeEPSI_NS1_7vsmem_tEENKUlT_SG_SH_SI_E_clIS7_S7_SB_S7_EESF_SV_SG_SH_SI_EUlSV_E0_NS1_11comp_targetILNS1_3genE9ELNS1_11target_archE1100ELNS1_3gpuE3ELNS1_3repE0EEENS1_38merge_mergepath_config_static_selectorELNS0_4arch9wavefront6targetE1EEEvSH_
; %bb.0:
	.section	.rodata,"a",@progbits
	.p2align	6, 0x0
	.amdhsa_kernel _ZN7rocprim17ROCPRIM_400000_NS6detail17trampoline_kernelINS0_14default_configENS1_38merge_sort_block_merge_config_selectorIllEEZZNS1_27merge_sort_block_merge_implIS3_PlN6thrust23THRUST_200600_302600_NS10device_ptrIlEEjNS1_19radix_merge_compareILb0ELb0ElNS0_19identity_decomposerEEEEE10hipError_tT0_T1_T2_jT3_P12ihipStream_tbPNSt15iterator_traitsISG_E10value_typeEPNSM_ISH_E10value_typeEPSI_NS1_7vsmem_tEENKUlT_SG_SH_SI_E_clIS7_S7_SB_S7_EESF_SV_SG_SH_SI_EUlSV_E0_NS1_11comp_targetILNS1_3genE9ELNS1_11target_archE1100ELNS1_3gpuE3ELNS1_3repE0EEENS1_38merge_mergepath_config_static_selectorELNS0_4arch9wavefront6targetE1EEEvSH_
		.amdhsa_group_segment_fixed_size 0
		.amdhsa_private_segment_fixed_size 0
		.amdhsa_kernarg_size 64
		.amdhsa_user_sgpr_count 6
		.amdhsa_user_sgpr_private_segment_buffer 1
		.amdhsa_user_sgpr_dispatch_ptr 0
		.amdhsa_user_sgpr_queue_ptr 0
		.amdhsa_user_sgpr_kernarg_segment_ptr 1
		.amdhsa_user_sgpr_dispatch_id 0
		.amdhsa_user_sgpr_flat_scratch_init 0
		.amdhsa_user_sgpr_private_segment_size 0
		.amdhsa_uses_dynamic_stack 0
		.amdhsa_system_sgpr_private_segment_wavefront_offset 0
		.amdhsa_system_sgpr_workgroup_id_x 1
		.amdhsa_system_sgpr_workgroup_id_y 0
		.amdhsa_system_sgpr_workgroup_id_z 0
		.amdhsa_system_sgpr_workgroup_info 0
		.amdhsa_system_vgpr_workitem_id 0
		.amdhsa_next_free_vgpr 1
		.amdhsa_next_free_sgpr 0
		.amdhsa_reserve_vcc 0
		.amdhsa_reserve_flat_scratch 0
		.amdhsa_float_round_mode_32 0
		.amdhsa_float_round_mode_16_64 0
		.amdhsa_float_denorm_mode_32 3
		.amdhsa_float_denorm_mode_16_64 3
		.amdhsa_dx10_clamp 1
		.amdhsa_ieee_mode 1
		.amdhsa_fp16_overflow 0
		.amdhsa_exception_fp_ieee_invalid_op 0
		.amdhsa_exception_fp_denorm_src 0
		.amdhsa_exception_fp_ieee_div_zero 0
		.amdhsa_exception_fp_ieee_overflow 0
		.amdhsa_exception_fp_ieee_underflow 0
		.amdhsa_exception_fp_ieee_inexact 0
		.amdhsa_exception_int_div_zero 0
	.end_amdhsa_kernel
	.section	.text._ZN7rocprim17ROCPRIM_400000_NS6detail17trampoline_kernelINS0_14default_configENS1_38merge_sort_block_merge_config_selectorIllEEZZNS1_27merge_sort_block_merge_implIS3_PlN6thrust23THRUST_200600_302600_NS10device_ptrIlEEjNS1_19radix_merge_compareILb0ELb0ElNS0_19identity_decomposerEEEEE10hipError_tT0_T1_T2_jT3_P12ihipStream_tbPNSt15iterator_traitsISG_E10value_typeEPNSM_ISH_E10value_typeEPSI_NS1_7vsmem_tEENKUlT_SG_SH_SI_E_clIS7_S7_SB_S7_EESF_SV_SG_SH_SI_EUlSV_E0_NS1_11comp_targetILNS1_3genE9ELNS1_11target_archE1100ELNS1_3gpuE3ELNS1_3repE0EEENS1_38merge_mergepath_config_static_selectorELNS0_4arch9wavefront6targetE1EEEvSH_,"axG",@progbits,_ZN7rocprim17ROCPRIM_400000_NS6detail17trampoline_kernelINS0_14default_configENS1_38merge_sort_block_merge_config_selectorIllEEZZNS1_27merge_sort_block_merge_implIS3_PlN6thrust23THRUST_200600_302600_NS10device_ptrIlEEjNS1_19radix_merge_compareILb0ELb0ElNS0_19identity_decomposerEEEEE10hipError_tT0_T1_T2_jT3_P12ihipStream_tbPNSt15iterator_traitsISG_E10value_typeEPNSM_ISH_E10value_typeEPSI_NS1_7vsmem_tEENKUlT_SG_SH_SI_E_clIS7_S7_SB_S7_EESF_SV_SG_SH_SI_EUlSV_E0_NS1_11comp_targetILNS1_3genE9ELNS1_11target_archE1100ELNS1_3gpuE3ELNS1_3repE0EEENS1_38merge_mergepath_config_static_selectorELNS0_4arch9wavefront6targetE1EEEvSH_,comdat
.Lfunc_end1048:
	.size	_ZN7rocprim17ROCPRIM_400000_NS6detail17trampoline_kernelINS0_14default_configENS1_38merge_sort_block_merge_config_selectorIllEEZZNS1_27merge_sort_block_merge_implIS3_PlN6thrust23THRUST_200600_302600_NS10device_ptrIlEEjNS1_19radix_merge_compareILb0ELb0ElNS0_19identity_decomposerEEEEE10hipError_tT0_T1_T2_jT3_P12ihipStream_tbPNSt15iterator_traitsISG_E10value_typeEPNSM_ISH_E10value_typeEPSI_NS1_7vsmem_tEENKUlT_SG_SH_SI_E_clIS7_S7_SB_S7_EESF_SV_SG_SH_SI_EUlSV_E0_NS1_11comp_targetILNS1_3genE9ELNS1_11target_archE1100ELNS1_3gpuE3ELNS1_3repE0EEENS1_38merge_mergepath_config_static_selectorELNS0_4arch9wavefront6targetE1EEEvSH_, .Lfunc_end1048-_ZN7rocprim17ROCPRIM_400000_NS6detail17trampoline_kernelINS0_14default_configENS1_38merge_sort_block_merge_config_selectorIllEEZZNS1_27merge_sort_block_merge_implIS3_PlN6thrust23THRUST_200600_302600_NS10device_ptrIlEEjNS1_19radix_merge_compareILb0ELb0ElNS0_19identity_decomposerEEEEE10hipError_tT0_T1_T2_jT3_P12ihipStream_tbPNSt15iterator_traitsISG_E10value_typeEPNSM_ISH_E10value_typeEPSI_NS1_7vsmem_tEENKUlT_SG_SH_SI_E_clIS7_S7_SB_S7_EESF_SV_SG_SH_SI_EUlSV_E0_NS1_11comp_targetILNS1_3genE9ELNS1_11target_archE1100ELNS1_3gpuE3ELNS1_3repE0EEENS1_38merge_mergepath_config_static_selectorELNS0_4arch9wavefront6targetE1EEEvSH_
                                        ; -- End function
	.set _ZN7rocprim17ROCPRIM_400000_NS6detail17trampoline_kernelINS0_14default_configENS1_38merge_sort_block_merge_config_selectorIllEEZZNS1_27merge_sort_block_merge_implIS3_PlN6thrust23THRUST_200600_302600_NS10device_ptrIlEEjNS1_19radix_merge_compareILb0ELb0ElNS0_19identity_decomposerEEEEE10hipError_tT0_T1_T2_jT3_P12ihipStream_tbPNSt15iterator_traitsISG_E10value_typeEPNSM_ISH_E10value_typeEPSI_NS1_7vsmem_tEENKUlT_SG_SH_SI_E_clIS7_S7_SB_S7_EESF_SV_SG_SH_SI_EUlSV_E0_NS1_11comp_targetILNS1_3genE9ELNS1_11target_archE1100ELNS1_3gpuE3ELNS1_3repE0EEENS1_38merge_mergepath_config_static_selectorELNS0_4arch9wavefront6targetE1EEEvSH_.num_vgpr, 0
	.set _ZN7rocprim17ROCPRIM_400000_NS6detail17trampoline_kernelINS0_14default_configENS1_38merge_sort_block_merge_config_selectorIllEEZZNS1_27merge_sort_block_merge_implIS3_PlN6thrust23THRUST_200600_302600_NS10device_ptrIlEEjNS1_19radix_merge_compareILb0ELb0ElNS0_19identity_decomposerEEEEE10hipError_tT0_T1_T2_jT3_P12ihipStream_tbPNSt15iterator_traitsISG_E10value_typeEPNSM_ISH_E10value_typeEPSI_NS1_7vsmem_tEENKUlT_SG_SH_SI_E_clIS7_S7_SB_S7_EESF_SV_SG_SH_SI_EUlSV_E0_NS1_11comp_targetILNS1_3genE9ELNS1_11target_archE1100ELNS1_3gpuE3ELNS1_3repE0EEENS1_38merge_mergepath_config_static_selectorELNS0_4arch9wavefront6targetE1EEEvSH_.num_agpr, 0
	.set _ZN7rocprim17ROCPRIM_400000_NS6detail17trampoline_kernelINS0_14default_configENS1_38merge_sort_block_merge_config_selectorIllEEZZNS1_27merge_sort_block_merge_implIS3_PlN6thrust23THRUST_200600_302600_NS10device_ptrIlEEjNS1_19radix_merge_compareILb0ELb0ElNS0_19identity_decomposerEEEEE10hipError_tT0_T1_T2_jT3_P12ihipStream_tbPNSt15iterator_traitsISG_E10value_typeEPNSM_ISH_E10value_typeEPSI_NS1_7vsmem_tEENKUlT_SG_SH_SI_E_clIS7_S7_SB_S7_EESF_SV_SG_SH_SI_EUlSV_E0_NS1_11comp_targetILNS1_3genE9ELNS1_11target_archE1100ELNS1_3gpuE3ELNS1_3repE0EEENS1_38merge_mergepath_config_static_selectorELNS0_4arch9wavefront6targetE1EEEvSH_.numbered_sgpr, 0
	.set _ZN7rocprim17ROCPRIM_400000_NS6detail17trampoline_kernelINS0_14default_configENS1_38merge_sort_block_merge_config_selectorIllEEZZNS1_27merge_sort_block_merge_implIS3_PlN6thrust23THRUST_200600_302600_NS10device_ptrIlEEjNS1_19radix_merge_compareILb0ELb0ElNS0_19identity_decomposerEEEEE10hipError_tT0_T1_T2_jT3_P12ihipStream_tbPNSt15iterator_traitsISG_E10value_typeEPNSM_ISH_E10value_typeEPSI_NS1_7vsmem_tEENKUlT_SG_SH_SI_E_clIS7_S7_SB_S7_EESF_SV_SG_SH_SI_EUlSV_E0_NS1_11comp_targetILNS1_3genE9ELNS1_11target_archE1100ELNS1_3gpuE3ELNS1_3repE0EEENS1_38merge_mergepath_config_static_selectorELNS0_4arch9wavefront6targetE1EEEvSH_.num_named_barrier, 0
	.set _ZN7rocprim17ROCPRIM_400000_NS6detail17trampoline_kernelINS0_14default_configENS1_38merge_sort_block_merge_config_selectorIllEEZZNS1_27merge_sort_block_merge_implIS3_PlN6thrust23THRUST_200600_302600_NS10device_ptrIlEEjNS1_19radix_merge_compareILb0ELb0ElNS0_19identity_decomposerEEEEE10hipError_tT0_T1_T2_jT3_P12ihipStream_tbPNSt15iterator_traitsISG_E10value_typeEPNSM_ISH_E10value_typeEPSI_NS1_7vsmem_tEENKUlT_SG_SH_SI_E_clIS7_S7_SB_S7_EESF_SV_SG_SH_SI_EUlSV_E0_NS1_11comp_targetILNS1_3genE9ELNS1_11target_archE1100ELNS1_3gpuE3ELNS1_3repE0EEENS1_38merge_mergepath_config_static_selectorELNS0_4arch9wavefront6targetE1EEEvSH_.private_seg_size, 0
	.set _ZN7rocprim17ROCPRIM_400000_NS6detail17trampoline_kernelINS0_14default_configENS1_38merge_sort_block_merge_config_selectorIllEEZZNS1_27merge_sort_block_merge_implIS3_PlN6thrust23THRUST_200600_302600_NS10device_ptrIlEEjNS1_19radix_merge_compareILb0ELb0ElNS0_19identity_decomposerEEEEE10hipError_tT0_T1_T2_jT3_P12ihipStream_tbPNSt15iterator_traitsISG_E10value_typeEPNSM_ISH_E10value_typeEPSI_NS1_7vsmem_tEENKUlT_SG_SH_SI_E_clIS7_S7_SB_S7_EESF_SV_SG_SH_SI_EUlSV_E0_NS1_11comp_targetILNS1_3genE9ELNS1_11target_archE1100ELNS1_3gpuE3ELNS1_3repE0EEENS1_38merge_mergepath_config_static_selectorELNS0_4arch9wavefront6targetE1EEEvSH_.uses_vcc, 0
	.set _ZN7rocprim17ROCPRIM_400000_NS6detail17trampoline_kernelINS0_14default_configENS1_38merge_sort_block_merge_config_selectorIllEEZZNS1_27merge_sort_block_merge_implIS3_PlN6thrust23THRUST_200600_302600_NS10device_ptrIlEEjNS1_19radix_merge_compareILb0ELb0ElNS0_19identity_decomposerEEEEE10hipError_tT0_T1_T2_jT3_P12ihipStream_tbPNSt15iterator_traitsISG_E10value_typeEPNSM_ISH_E10value_typeEPSI_NS1_7vsmem_tEENKUlT_SG_SH_SI_E_clIS7_S7_SB_S7_EESF_SV_SG_SH_SI_EUlSV_E0_NS1_11comp_targetILNS1_3genE9ELNS1_11target_archE1100ELNS1_3gpuE3ELNS1_3repE0EEENS1_38merge_mergepath_config_static_selectorELNS0_4arch9wavefront6targetE1EEEvSH_.uses_flat_scratch, 0
	.set _ZN7rocprim17ROCPRIM_400000_NS6detail17trampoline_kernelINS0_14default_configENS1_38merge_sort_block_merge_config_selectorIllEEZZNS1_27merge_sort_block_merge_implIS3_PlN6thrust23THRUST_200600_302600_NS10device_ptrIlEEjNS1_19radix_merge_compareILb0ELb0ElNS0_19identity_decomposerEEEEE10hipError_tT0_T1_T2_jT3_P12ihipStream_tbPNSt15iterator_traitsISG_E10value_typeEPNSM_ISH_E10value_typeEPSI_NS1_7vsmem_tEENKUlT_SG_SH_SI_E_clIS7_S7_SB_S7_EESF_SV_SG_SH_SI_EUlSV_E0_NS1_11comp_targetILNS1_3genE9ELNS1_11target_archE1100ELNS1_3gpuE3ELNS1_3repE0EEENS1_38merge_mergepath_config_static_selectorELNS0_4arch9wavefront6targetE1EEEvSH_.has_dyn_sized_stack, 0
	.set _ZN7rocprim17ROCPRIM_400000_NS6detail17trampoline_kernelINS0_14default_configENS1_38merge_sort_block_merge_config_selectorIllEEZZNS1_27merge_sort_block_merge_implIS3_PlN6thrust23THRUST_200600_302600_NS10device_ptrIlEEjNS1_19radix_merge_compareILb0ELb0ElNS0_19identity_decomposerEEEEE10hipError_tT0_T1_T2_jT3_P12ihipStream_tbPNSt15iterator_traitsISG_E10value_typeEPNSM_ISH_E10value_typeEPSI_NS1_7vsmem_tEENKUlT_SG_SH_SI_E_clIS7_S7_SB_S7_EESF_SV_SG_SH_SI_EUlSV_E0_NS1_11comp_targetILNS1_3genE9ELNS1_11target_archE1100ELNS1_3gpuE3ELNS1_3repE0EEENS1_38merge_mergepath_config_static_selectorELNS0_4arch9wavefront6targetE1EEEvSH_.has_recursion, 0
	.set _ZN7rocprim17ROCPRIM_400000_NS6detail17trampoline_kernelINS0_14default_configENS1_38merge_sort_block_merge_config_selectorIllEEZZNS1_27merge_sort_block_merge_implIS3_PlN6thrust23THRUST_200600_302600_NS10device_ptrIlEEjNS1_19radix_merge_compareILb0ELb0ElNS0_19identity_decomposerEEEEE10hipError_tT0_T1_T2_jT3_P12ihipStream_tbPNSt15iterator_traitsISG_E10value_typeEPNSM_ISH_E10value_typeEPSI_NS1_7vsmem_tEENKUlT_SG_SH_SI_E_clIS7_S7_SB_S7_EESF_SV_SG_SH_SI_EUlSV_E0_NS1_11comp_targetILNS1_3genE9ELNS1_11target_archE1100ELNS1_3gpuE3ELNS1_3repE0EEENS1_38merge_mergepath_config_static_selectorELNS0_4arch9wavefront6targetE1EEEvSH_.has_indirect_call, 0
	.section	.AMDGPU.csdata,"",@progbits
; Kernel info:
; codeLenInByte = 0
; TotalNumSgprs: 4
; NumVgprs: 0
; ScratchSize: 0
; MemoryBound: 0
; FloatMode: 240
; IeeeMode: 1
; LDSByteSize: 0 bytes/workgroup (compile time only)
; SGPRBlocks: 0
; VGPRBlocks: 0
; NumSGPRsForWavesPerEU: 4
; NumVGPRsForWavesPerEU: 1
; Occupancy: 10
; WaveLimiterHint : 0
; COMPUTE_PGM_RSRC2:SCRATCH_EN: 0
; COMPUTE_PGM_RSRC2:USER_SGPR: 6
; COMPUTE_PGM_RSRC2:TRAP_HANDLER: 0
; COMPUTE_PGM_RSRC2:TGID_X_EN: 1
; COMPUTE_PGM_RSRC2:TGID_Y_EN: 0
; COMPUTE_PGM_RSRC2:TGID_Z_EN: 0
; COMPUTE_PGM_RSRC2:TIDIG_COMP_CNT: 0
	.section	.text._ZN7rocprim17ROCPRIM_400000_NS6detail17trampoline_kernelINS0_14default_configENS1_38merge_sort_block_merge_config_selectorIllEEZZNS1_27merge_sort_block_merge_implIS3_PlN6thrust23THRUST_200600_302600_NS10device_ptrIlEEjNS1_19radix_merge_compareILb0ELb0ElNS0_19identity_decomposerEEEEE10hipError_tT0_T1_T2_jT3_P12ihipStream_tbPNSt15iterator_traitsISG_E10value_typeEPNSM_ISH_E10value_typeEPSI_NS1_7vsmem_tEENKUlT_SG_SH_SI_E_clIS7_S7_SB_S7_EESF_SV_SG_SH_SI_EUlSV_E0_NS1_11comp_targetILNS1_3genE8ELNS1_11target_archE1030ELNS1_3gpuE2ELNS1_3repE0EEENS1_38merge_mergepath_config_static_selectorELNS0_4arch9wavefront6targetE1EEEvSH_,"axG",@progbits,_ZN7rocprim17ROCPRIM_400000_NS6detail17trampoline_kernelINS0_14default_configENS1_38merge_sort_block_merge_config_selectorIllEEZZNS1_27merge_sort_block_merge_implIS3_PlN6thrust23THRUST_200600_302600_NS10device_ptrIlEEjNS1_19radix_merge_compareILb0ELb0ElNS0_19identity_decomposerEEEEE10hipError_tT0_T1_T2_jT3_P12ihipStream_tbPNSt15iterator_traitsISG_E10value_typeEPNSM_ISH_E10value_typeEPSI_NS1_7vsmem_tEENKUlT_SG_SH_SI_E_clIS7_S7_SB_S7_EESF_SV_SG_SH_SI_EUlSV_E0_NS1_11comp_targetILNS1_3genE8ELNS1_11target_archE1030ELNS1_3gpuE2ELNS1_3repE0EEENS1_38merge_mergepath_config_static_selectorELNS0_4arch9wavefront6targetE1EEEvSH_,comdat
	.protected	_ZN7rocprim17ROCPRIM_400000_NS6detail17trampoline_kernelINS0_14default_configENS1_38merge_sort_block_merge_config_selectorIllEEZZNS1_27merge_sort_block_merge_implIS3_PlN6thrust23THRUST_200600_302600_NS10device_ptrIlEEjNS1_19radix_merge_compareILb0ELb0ElNS0_19identity_decomposerEEEEE10hipError_tT0_T1_T2_jT3_P12ihipStream_tbPNSt15iterator_traitsISG_E10value_typeEPNSM_ISH_E10value_typeEPSI_NS1_7vsmem_tEENKUlT_SG_SH_SI_E_clIS7_S7_SB_S7_EESF_SV_SG_SH_SI_EUlSV_E0_NS1_11comp_targetILNS1_3genE8ELNS1_11target_archE1030ELNS1_3gpuE2ELNS1_3repE0EEENS1_38merge_mergepath_config_static_selectorELNS0_4arch9wavefront6targetE1EEEvSH_ ; -- Begin function _ZN7rocprim17ROCPRIM_400000_NS6detail17trampoline_kernelINS0_14default_configENS1_38merge_sort_block_merge_config_selectorIllEEZZNS1_27merge_sort_block_merge_implIS3_PlN6thrust23THRUST_200600_302600_NS10device_ptrIlEEjNS1_19radix_merge_compareILb0ELb0ElNS0_19identity_decomposerEEEEE10hipError_tT0_T1_T2_jT3_P12ihipStream_tbPNSt15iterator_traitsISG_E10value_typeEPNSM_ISH_E10value_typeEPSI_NS1_7vsmem_tEENKUlT_SG_SH_SI_E_clIS7_S7_SB_S7_EESF_SV_SG_SH_SI_EUlSV_E0_NS1_11comp_targetILNS1_3genE8ELNS1_11target_archE1030ELNS1_3gpuE2ELNS1_3repE0EEENS1_38merge_mergepath_config_static_selectorELNS0_4arch9wavefront6targetE1EEEvSH_
	.globl	_ZN7rocprim17ROCPRIM_400000_NS6detail17trampoline_kernelINS0_14default_configENS1_38merge_sort_block_merge_config_selectorIllEEZZNS1_27merge_sort_block_merge_implIS3_PlN6thrust23THRUST_200600_302600_NS10device_ptrIlEEjNS1_19radix_merge_compareILb0ELb0ElNS0_19identity_decomposerEEEEE10hipError_tT0_T1_T2_jT3_P12ihipStream_tbPNSt15iterator_traitsISG_E10value_typeEPNSM_ISH_E10value_typeEPSI_NS1_7vsmem_tEENKUlT_SG_SH_SI_E_clIS7_S7_SB_S7_EESF_SV_SG_SH_SI_EUlSV_E0_NS1_11comp_targetILNS1_3genE8ELNS1_11target_archE1030ELNS1_3gpuE2ELNS1_3repE0EEENS1_38merge_mergepath_config_static_selectorELNS0_4arch9wavefront6targetE1EEEvSH_
	.p2align	8
	.type	_ZN7rocprim17ROCPRIM_400000_NS6detail17trampoline_kernelINS0_14default_configENS1_38merge_sort_block_merge_config_selectorIllEEZZNS1_27merge_sort_block_merge_implIS3_PlN6thrust23THRUST_200600_302600_NS10device_ptrIlEEjNS1_19radix_merge_compareILb0ELb0ElNS0_19identity_decomposerEEEEE10hipError_tT0_T1_T2_jT3_P12ihipStream_tbPNSt15iterator_traitsISG_E10value_typeEPNSM_ISH_E10value_typeEPSI_NS1_7vsmem_tEENKUlT_SG_SH_SI_E_clIS7_S7_SB_S7_EESF_SV_SG_SH_SI_EUlSV_E0_NS1_11comp_targetILNS1_3genE8ELNS1_11target_archE1030ELNS1_3gpuE2ELNS1_3repE0EEENS1_38merge_mergepath_config_static_selectorELNS0_4arch9wavefront6targetE1EEEvSH_,@function
_ZN7rocprim17ROCPRIM_400000_NS6detail17trampoline_kernelINS0_14default_configENS1_38merge_sort_block_merge_config_selectorIllEEZZNS1_27merge_sort_block_merge_implIS3_PlN6thrust23THRUST_200600_302600_NS10device_ptrIlEEjNS1_19radix_merge_compareILb0ELb0ElNS0_19identity_decomposerEEEEE10hipError_tT0_T1_T2_jT3_P12ihipStream_tbPNSt15iterator_traitsISG_E10value_typeEPNSM_ISH_E10value_typeEPSI_NS1_7vsmem_tEENKUlT_SG_SH_SI_E_clIS7_S7_SB_S7_EESF_SV_SG_SH_SI_EUlSV_E0_NS1_11comp_targetILNS1_3genE8ELNS1_11target_archE1030ELNS1_3gpuE2ELNS1_3repE0EEENS1_38merge_mergepath_config_static_selectorELNS0_4arch9wavefront6targetE1EEEvSH_: ; @_ZN7rocprim17ROCPRIM_400000_NS6detail17trampoline_kernelINS0_14default_configENS1_38merge_sort_block_merge_config_selectorIllEEZZNS1_27merge_sort_block_merge_implIS3_PlN6thrust23THRUST_200600_302600_NS10device_ptrIlEEjNS1_19radix_merge_compareILb0ELb0ElNS0_19identity_decomposerEEEEE10hipError_tT0_T1_T2_jT3_P12ihipStream_tbPNSt15iterator_traitsISG_E10value_typeEPNSM_ISH_E10value_typeEPSI_NS1_7vsmem_tEENKUlT_SG_SH_SI_E_clIS7_S7_SB_S7_EESF_SV_SG_SH_SI_EUlSV_E0_NS1_11comp_targetILNS1_3genE8ELNS1_11target_archE1030ELNS1_3gpuE2ELNS1_3repE0EEENS1_38merge_mergepath_config_static_selectorELNS0_4arch9wavefront6targetE1EEEvSH_
; %bb.0:
	.section	.rodata,"a",@progbits
	.p2align	6, 0x0
	.amdhsa_kernel _ZN7rocprim17ROCPRIM_400000_NS6detail17trampoline_kernelINS0_14default_configENS1_38merge_sort_block_merge_config_selectorIllEEZZNS1_27merge_sort_block_merge_implIS3_PlN6thrust23THRUST_200600_302600_NS10device_ptrIlEEjNS1_19radix_merge_compareILb0ELb0ElNS0_19identity_decomposerEEEEE10hipError_tT0_T1_T2_jT3_P12ihipStream_tbPNSt15iterator_traitsISG_E10value_typeEPNSM_ISH_E10value_typeEPSI_NS1_7vsmem_tEENKUlT_SG_SH_SI_E_clIS7_S7_SB_S7_EESF_SV_SG_SH_SI_EUlSV_E0_NS1_11comp_targetILNS1_3genE8ELNS1_11target_archE1030ELNS1_3gpuE2ELNS1_3repE0EEENS1_38merge_mergepath_config_static_selectorELNS0_4arch9wavefront6targetE1EEEvSH_
		.amdhsa_group_segment_fixed_size 0
		.amdhsa_private_segment_fixed_size 0
		.amdhsa_kernarg_size 64
		.amdhsa_user_sgpr_count 6
		.amdhsa_user_sgpr_private_segment_buffer 1
		.amdhsa_user_sgpr_dispatch_ptr 0
		.amdhsa_user_sgpr_queue_ptr 0
		.amdhsa_user_sgpr_kernarg_segment_ptr 1
		.amdhsa_user_sgpr_dispatch_id 0
		.amdhsa_user_sgpr_flat_scratch_init 0
		.amdhsa_user_sgpr_private_segment_size 0
		.amdhsa_uses_dynamic_stack 0
		.amdhsa_system_sgpr_private_segment_wavefront_offset 0
		.amdhsa_system_sgpr_workgroup_id_x 1
		.amdhsa_system_sgpr_workgroup_id_y 0
		.amdhsa_system_sgpr_workgroup_id_z 0
		.amdhsa_system_sgpr_workgroup_info 0
		.amdhsa_system_vgpr_workitem_id 0
		.amdhsa_next_free_vgpr 1
		.amdhsa_next_free_sgpr 0
		.amdhsa_reserve_vcc 0
		.amdhsa_reserve_flat_scratch 0
		.amdhsa_float_round_mode_32 0
		.amdhsa_float_round_mode_16_64 0
		.amdhsa_float_denorm_mode_32 3
		.amdhsa_float_denorm_mode_16_64 3
		.amdhsa_dx10_clamp 1
		.amdhsa_ieee_mode 1
		.amdhsa_fp16_overflow 0
		.amdhsa_exception_fp_ieee_invalid_op 0
		.amdhsa_exception_fp_denorm_src 0
		.amdhsa_exception_fp_ieee_div_zero 0
		.amdhsa_exception_fp_ieee_overflow 0
		.amdhsa_exception_fp_ieee_underflow 0
		.amdhsa_exception_fp_ieee_inexact 0
		.amdhsa_exception_int_div_zero 0
	.end_amdhsa_kernel
	.section	.text._ZN7rocprim17ROCPRIM_400000_NS6detail17trampoline_kernelINS0_14default_configENS1_38merge_sort_block_merge_config_selectorIllEEZZNS1_27merge_sort_block_merge_implIS3_PlN6thrust23THRUST_200600_302600_NS10device_ptrIlEEjNS1_19radix_merge_compareILb0ELb0ElNS0_19identity_decomposerEEEEE10hipError_tT0_T1_T2_jT3_P12ihipStream_tbPNSt15iterator_traitsISG_E10value_typeEPNSM_ISH_E10value_typeEPSI_NS1_7vsmem_tEENKUlT_SG_SH_SI_E_clIS7_S7_SB_S7_EESF_SV_SG_SH_SI_EUlSV_E0_NS1_11comp_targetILNS1_3genE8ELNS1_11target_archE1030ELNS1_3gpuE2ELNS1_3repE0EEENS1_38merge_mergepath_config_static_selectorELNS0_4arch9wavefront6targetE1EEEvSH_,"axG",@progbits,_ZN7rocprim17ROCPRIM_400000_NS6detail17trampoline_kernelINS0_14default_configENS1_38merge_sort_block_merge_config_selectorIllEEZZNS1_27merge_sort_block_merge_implIS3_PlN6thrust23THRUST_200600_302600_NS10device_ptrIlEEjNS1_19radix_merge_compareILb0ELb0ElNS0_19identity_decomposerEEEEE10hipError_tT0_T1_T2_jT3_P12ihipStream_tbPNSt15iterator_traitsISG_E10value_typeEPNSM_ISH_E10value_typeEPSI_NS1_7vsmem_tEENKUlT_SG_SH_SI_E_clIS7_S7_SB_S7_EESF_SV_SG_SH_SI_EUlSV_E0_NS1_11comp_targetILNS1_3genE8ELNS1_11target_archE1030ELNS1_3gpuE2ELNS1_3repE0EEENS1_38merge_mergepath_config_static_selectorELNS0_4arch9wavefront6targetE1EEEvSH_,comdat
.Lfunc_end1049:
	.size	_ZN7rocprim17ROCPRIM_400000_NS6detail17trampoline_kernelINS0_14default_configENS1_38merge_sort_block_merge_config_selectorIllEEZZNS1_27merge_sort_block_merge_implIS3_PlN6thrust23THRUST_200600_302600_NS10device_ptrIlEEjNS1_19radix_merge_compareILb0ELb0ElNS0_19identity_decomposerEEEEE10hipError_tT0_T1_T2_jT3_P12ihipStream_tbPNSt15iterator_traitsISG_E10value_typeEPNSM_ISH_E10value_typeEPSI_NS1_7vsmem_tEENKUlT_SG_SH_SI_E_clIS7_S7_SB_S7_EESF_SV_SG_SH_SI_EUlSV_E0_NS1_11comp_targetILNS1_3genE8ELNS1_11target_archE1030ELNS1_3gpuE2ELNS1_3repE0EEENS1_38merge_mergepath_config_static_selectorELNS0_4arch9wavefront6targetE1EEEvSH_, .Lfunc_end1049-_ZN7rocprim17ROCPRIM_400000_NS6detail17trampoline_kernelINS0_14default_configENS1_38merge_sort_block_merge_config_selectorIllEEZZNS1_27merge_sort_block_merge_implIS3_PlN6thrust23THRUST_200600_302600_NS10device_ptrIlEEjNS1_19radix_merge_compareILb0ELb0ElNS0_19identity_decomposerEEEEE10hipError_tT0_T1_T2_jT3_P12ihipStream_tbPNSt15iterator_traitsISG_E10value_typeEPNSM_ISH_E10value_typeEPSI_NS1_7vsmem_tEENKUlT_SG_SH_SI_E_clIS7_S7_SB_S7_EESF_SV_SG_SH_SI_EUlSV_E0_NS1_11comp_targetILNS1_3genE8ELNS1_11target_archE1030ELNS1_3gpuE2ELNS1_3repE0EEENS1_38merge_mergepath_config_static_selectorELNS0_4arch9wavefront6targetE1EEEvSH_
                                        ; -- End function
	.set _ZN7rocprim17ROCPRIM_400000_NS6detail17trampoline_kernelINS0_14default_configENS1_38merge_sort_block_merge_config_selectorIllEEZZNS1_27merge_sort_block_merge_implIS3_PlN6thrust23THRUST_200600_302600_NS10device_ptrIlEEjNS1_19radix_merge_compareILb0ELb0ElNS0_19identity_decomposerEEEEE10hipError_tT0_T1_T2_jT3_P12ihipStream_tbPNSt15iterator_traitsISG_E10value_typeEPNSM_ISH_E10value_typeEPSI_NS1_7vsmem_tEENKUlT_SG_SH_SI_E_clIS7_S7_SB_S7_EESF_SV_SG_SH_SI_EUlSV_E0_NS1_11comp_targetILNS1_3genE8ELNS1_11target_archE1030ELNS1_3gpuE2ELNS1_3repE0EEENS1_38merge_mergepath_config_static_selectorELNS0_4arch9wavefront6targetE1EEEvSH_.num_vgpr, 0
	.set _ZN7rocprim17ROCPRIM_400000_NS6detail17trampoline_kernelINS0_14default_configENS1_38merge_sort_block_merge_config_selectorIllEEZZNS1_27merge_sort_block_merge_implIS3_PlN6thrust23THRUST_200600_302600_NS10device_ptrIlEEjNS1_19radix_merge_compareILb0ELb0ElNS0_19identity_decomposerEEEEE10hipError_tT0_T1_T2_jT3_P12ihipStream_tbPNSt15iterator_traitsISG_E10value_typeEPNSM_ISH_E10value_typeEPSI_NS1_7vsmem_tEENKUlT_SG_SH_SI_E_clIS7_S7_SB_S7_EESF_SV_SG_SH_SI_EUlSV_E0_NS1_11comp_targetILNS1_3genE8ELNS1_11target_archE1030ELNS1_3gpuE2ELNS1_3repE0EEENS1_38merge_mergepath_config_static_selectorELNS0_4arch9wavefront6targetE1EEEvSH_.num_agpr, 0
	.set _ZN7rocprim17ROCPRIM_400000_NS6detail17trampoline_kernelINS0_14default_configENS1_38merge_sort_block_merge_config_selectorIllEEZZNS1_27merge_sort_block_merge_implIS3_PlN6thrust23THRUST_200600_302600_NS10device_ptrIlEEjNS1_19radix_merge_compareILb0ELb0ElNS0_19identity_decomposerEEEEE10hipError_tT0_T1_T2_jT3_P12ihipStream_tbPNSt15iterator_traitsISG_E10value_typeEPNSM_ISH_E10value_typeEPSI_NS1_7vsmem_tEENKUlT_SG_SH_SI_E_clIS7_S7_SB_S7_EESF_SV_SG_SH_SI_EUlSV_E0_NS1_11comp_targetILNS1_3genE8ELNS1_11target_archE1030ELNS1_3gpuE2ELNS1_3repE0EEENS1_38merge_mergepath_config_static_selectorELNS0_4arch9wavefront6targetE1EEEvSH_.numbered_sgpr, 0
	.set _ZN7rocprim17ROCPRIM_400000_NS6detail17trampoline_kernelINS0_14default_configENS1_38merge_sort_block_merge_config_selectorIllEEZZNS1_27merge_sort_block_merge_implIS3_PlN6thrust23THRUST_200600_302600_NS10device_ptrIlEEjNS1_19radix_merge_compareILb0ELb0ElNS0_19identity_decomposerEEEEE10hipError_tT0_T1_T2_jT3_P12ihipStream_tbPNSt15iterator_traitsISG_E10value_typeEPNSM_ISH_E10value_typeEPSI_NS1_7vsmem_tEENKUlT_SG_SH_SI_E_clIS7_S7_SB_S7_EESF_SV_SG_SH_SI_EUlSV_E0_NS1_11comp_targetILNS1_3genE8ELNS1_11target_archE1030ELNS1_3gpuE2ELNS1_3repE0EEENS1_38merge_mergepath_config_static_selectorELNS0_4arch9wavefront6targetE1EEEvSH_.num_named_barrier, 0
	.set _ZN7rocprim17ROCPRIM_400000_NS6detail17trampoline_kernelINS0_14default_configENS1_38merge_sort_block_merge_config_selectorIllEEZZNS1_27merge_sort_block_merge_implIS3_PlN6thrust23THRUST_200600_302600_NS10device_ptrIlEEjNS1_19radix_merge_compareILb0ELb0ElNS0_19identity_decomposerEEEEE10hipError_tT0_T1_T2_jT3_P12ihipStream_tbPNSt15iterator_traitsISG_E10value_typeEPNSM_ISH_E10value_typeEPSI_NS1_7vsmem_tEENKUlT_SG_SH_SI_E_clIS7_S7_SB_S7_EESF_SV_SG_SH_SI_EUlSV_E0_NS1_11comp_targetILNS1_3genE8ELNS1_11target_archE1030ELNS1_3gpuE2ELNS1_3repE0EEENS1_38merge_mergepath_config_static_selectorELNS0_4arch9wavefront6targetE1EEEvSH_.private_seg_size, 0
	.set _ZN7rocprim17ROCPRIM_400000_NS6detail17trampoline_kernelINS0_14default_configENS1_38merge_sort_block_merge_config_selectorIllEEZZNS1_27merge_sort_block_merge_implIS3_PlN6thrust23THRUST_200600_302600_NS10device_ptrIlEEjNS1_19radix_merge_compareILb0ELb0ElNS0_19identity_decomposerEEEEE10hipError_tT0_T1_T2_jT3_P12ihipStream_tbPNSt15iterator_traitsISG_E10value_typeEPNSM_ISH_E10value_typeEPSI_NS1_7vsmem_tEENKUlT_SG_SH_SI_E_clIS7_S7_SB_S7_EESF_SV_SG_SH_SI_EUlSV_E0_NS1_11comp_targetILNS1_3genE8ELNS1_11target_archE1030ELNS1_3gpuE2ELNS1_3repE0EEENS1_38merge_mergepath_config_static_selectorELNS0_4arch9wavefront6targetE1EEEvSH_.uses_vcc, 0
	.set _ZN7rocprim17ROCPRIM_400000_NS6detail17trampoline_kernelINS0_14default_configENS1_38merge_sort_block_merge_config_selectorIllEEZZNS1_27merge_sort_block_merge_implIS3_PlN6thrust23THRUST_200600_302600_NS10device_ptrIlEEjNS1_19radix_merge_compareILb0ELb0ElNS0_19identity_decomposerEEEEE10hipError_tT0_T1_T2_jT3_P12ihipStream_tbPNSt15iterator_traitsISG_E10value_typeEPNSM_ISH_E10value_typeEPSI_NS1_7vsmem_tEENKUlT_SG_SH_SI_E_clIS7_S7_SB_S7_EESF_SV_SG_SH_SI_EUlSV_E0_NS1_11comp_targetILNS1_3genE8ELNS1_11target_archE1030ELNS1_3gpuE2ELNS1_3repE0EEENS1_38merge_mergepath_config_static_selectorELNS0_4arch9wavefront6targetE1EEEvSH_.uses_flat_scratch, 0
	.set _ZN7rocprim17ROCPRIM_400000_NS6detail17trampoline_kernelINS0_14default_configENS1_38merge_sort_block_merge_config_selectorIllEEZZNS1_27merge_sort_block_merge_implIS3_PlN6thrust23THRUST_200600_302600_NS10device_ptrIlEEjNS1_19radix_merge_compareILb0ELb0ElNS0_19identity_decomposerEEEEE10hipError_tT0_T1_T2_jT3_P12ihipStream_tbPNSt15iterator_traitsISG_E10value_typeEPNSM_ISH_E10value_typeEPSI_NS1_7vsmem_tEENKUlT_SG_SH_SI_E_clIS7_S7_SB_S7_EESF_SV_SG_SH_SI_EUlSV_E0_NS1_11comp_targetILNS1_3genE8ELNS1_11target_archE1030ELNS1_3gpuE2ELNS1_3repE0EEENS1_38merge_mergepath_config_static_selectorELNS0_4arch9wavefront6targetE1EEEvSH_.has_dyn_sized_stack, 0
	.set _ZN7rocprim17ROCPRIM_400000_NS6detail17trampoline_kernelINS0_14default_configENS1_38merge_sort_block_merge_config_selectorIllEEZZNS1_27merge_sort_block_merge_implIS3_PlN6thrust23THRUST_200600_302600_NS10device_ptrIlEEjNS1_19radix_merge_compareILb0ELb0ElNS0_19identity_decomposerEEEEE10hipError_tT0_T1_T2_jT3_P12ihipStream_tbPNSt15iterator_traitsISG_E10value_typeEPNSM_ISH_E10value_typeEPSI_NS1_7vsmem_tEENKUlT_SG_SH_SI_E_clIS7_S7_SB_S7_EESF_SV_SG_SH_SI_EUlSV_E0_NS1_11comp_targetILNS1_3genE8ELNS1_11target_archE1030ELNS1_3gpuE2ELNS1_3repE0EEENS1_38merge_mergepath_config_static_selectorELNS0_4arch9wavefront6targetE1EEEvSH_.has_recursion, 0
	.set _ZN7rocprim17ROCPRIM_400000_NS6detail17trampoline_kernelINS0_14default_configENS1_38merge_sort_block_merge_config_selectorIllEEZZNS1_27merge_sort_block_merge_implIS3_PlN6thrust23THRUST_200600_302600_NS10device_ptrIlEEjNS1_19radix_merge_compareILb0ELb0ElNS0_19identity_decomposerEEEEE10hipError_tT0_T1_T2_jT3_P12ihipStream_tbPNSt15iterator_traitsISG_E10value_typeEPNSM_ISH_E10value_typeEPSI_NS1_7vsmem_tEENKUlT_SG_SH_SI_E_clIS7_S7_SB_S7_EESF_SV_SG_SH_SI_EUlSV_E0_NS1_11comp_targetILNS1_3genE8ELNS1_11target_archE1030ELNS1_3gpuE2ELNS1_3repE0EEENS1_38merge_mergepath_config_static_selectorELNS0_4arch9wavefront6targetE1EEEvSH_.has_indirect_call, 0
	.section	.AMDGPU.csdata,"",@progbits
; Kernel info:
; codeLenInByte = 0
; TotalNumSgprs: 4
; NumVgprs: 0
; ScratchSize: 0
; MemoryBound: 0
; FloatMode: 240
; IeeeMode: 1
; LDSByteSize: 0 bytes/workgroup (compile time only)
; SGPRBlocks: 0
; VGPRBlocks: 0
; NumSGPRsForWavesPerEU: 4
; NumVGPRsForWavesPerEU: 1
; Occupancy: 10
; WaveLimiterHint : 0
; COMPUTE_PGM_RSRC2:SCRATCH_EN: 0
; COMPUTE_PGM_RSRC2:USER_SGPR: 6
; COMPUTE_PGM_RSRC2:TRAP_HANDLER: 0
; COMPUTE_PGM_RSRC2:TGID_X_EN: 1
; COMPUTE_PGM_RSRC2:TGID_Y_EN: 0
; COMPUTE_PGM_RSRC2:TGID_Z_EN: 0
; COMPUTE_PGM_RSRC2:TIDIG_COMP_CNT: 0
	.section	.text._ZN7rocprim17ROCPRIM_400000_NS6detail17trampoline_kernelINS0_14default_configENS1_38merge_sort_block_merge_config_selectorIllEEZZNS1_27merge_sort_block_merge_implIS3_PlN6thrust23THRUST_200600_302600_NS10device_ptrIlEEjNS1_19radix_merge_compareILb0ELb0ElNS0_19identity_decomposerEEEEE10hipError_tT0_T1_T2_jT3_P12ihipStream_tbPNSt15iterator_traitsISG_E10value_typeEPNSM_ISH_E10value_typeEPSI_NS1_7vsmem_tEENKUlT_SG_SH_SI_E_clIS7_S7_SB_S7_EESF_SV_SG_SH_SI_EUlSV_E1_NS1_11comp_targetILNS1_3genE0ELNS1_11target_archE4294967295ELNS1_3gpuE0ELNS1_3repE0EEENS1_36merge_oddeven_config_static_selectorELNS0_4arch9wavefront6targetE1EEEvSH_,"axG",@progbits,_ZN7rocprim17ROCPRIM_400000_NS6detail17trampoline_kernelINS0_14default_configENS1_38merge_sort_block_merge_config_selectorIllEEZZNS1_27merge_sort_block_merge_implIS3_PlN6thrust23THRUST_200600_302600_NS10device_ptrIlEEjNS1_19radix_merge_compareILb0ELb0ElNS0_19identity_decomposerEEEEE10hipError_tT0_T1_T2_jT3_P12ihipStream_tbPNSt15iterator_traitsISG_E10value_typeEPNSM_ISH_E10value_typeEPSI_NS1_7vsmem_tEENKUlT_SG_SH_SI_E_clIS7_S7_SB_S7_EESF_SV_SG_SH_SI_EUlSV_E1_NS1_11comp_targetILNS1_3genE0ELNS1_11target_archE4294967295ELNS1_3gpuE0ELNS1_3repE0EEENS1_36merge_oddeven_config_static_selectorELNS0_4arch9wavefront6targetE1EEEvSH_,comdat
	.protected	_ZN7rocprim17ROCPRIM_400000_NS6detail17trampoline_kernelINS0_14default_configENS1_38merge_sort_block_merge_config_selectorIllEEZZNS1_27merge_sort_block_merge_implIS3_PlN6thrust23THRUST_200600_302600_NS10device_ptrIlEEjNS1_19radix_merge_compareILb0ELb0ElNS0_19identity_decomposerEEEEE10hipError_tT0_T1_T2_jT3_P12ihipStream_tbPNSt15iterator_traitsISG_E10value_typeEPNSM_ISH_E10value_typeEPSI_NS1_7vsmem_tEENKUlT_SG_SH_SI_E_clIS7_S7_SB_S7_EESF_SV_SG_SH_SI_EUlSV_E1_NS1_11comp_targetILNS1_3genE0ELNS1_11target_archE4294967295ELNS1_3gpuE0ELNS1_3repE0EEENS1_36merge_oddeven_config_static_selectorELNS0_4arch9wavefront6targetE1EEEvSH_ ; -- Begin function _ZN7rocprim17ROCPRIM_400000_NS6detail17trampoline_kernelINS0_14default_configENS1_38merge_sort_block_merge_config_selectorIllEEZZNS1_27merge_sort_block_merge_implIS3_PlN6thrust23THRUST_200600_302600_NS10device_ptrIlEEjNS1_19radix_merge_compareILb0ELb0ElNS0_19identity_decomposerEEEEE10hipError_tT0_T1_T2_jT3_P12ihipStream_tbPNSt15iterator_traitsISG_E10value_typeEPNSM_ISH_E10value_typeEPSI_NS1_7vsmem_tEENKUlT_SG_SH_SI_E_clIS7_S7_SB_S7_EESF_SV_SG_SH_SI_EUlSV_E1_NS1_11comp_targetILNS1_3genE0ELNS1_11target_archE4294967295ELNS1_3gpuE0ELNS1_3repE0EEENS1_36merge_oddeven_config_static_selectorELNS0_4arch9wavefront6targetE1EEEvSH_
	.globl	_ZN7rocprim17ROCPRIM_400000_NS6detail17trampoline_kernelINS0_14default_configENS1_38merge_sort_block_merge_config_selectorIllEEZZNS1_27merge_sort_block_merge_implIS3_PlN6thrust23THRUST_200600_302600_NS10device_ptrIlEEjNS1_19radix_merge_compareILb0ELb0ElNS0_19identity_decomposerEEEEE10hipError_tT0_T1_T2_jT3_P12ihipStream_tbPNSt15iterator_traitsISG_E10value_typeEPNSM_ISH_E10value_typeEPSI_NS1_7vsmem_tEENKUlT_SG_SH_SI_E_clIS7_S7_SB_S7_EESF_SV_SG_SH_SI_EUlSV_E1_NS1_11comp_targetILNS1_3genE0ELNS1_11target_archE4294967295ELNS1_3gpuE0ELNS1_3repE0EEENS1_36merge_oddeven_config_static_selectorELNS0_4arch9wavefront6targetE1EEEvSH_
	.p2align	8
	.type	_ZN7rocprim17ROCPRIM_400000_NS6detail17trampoline_kernelINS0_14default_configENS1_38merge_sort_block_merge_config_selectorIllEEZZNS1_27merge_sort_block_merge_implIS3_PlN6thrust23THRUST_200600_302600_NS10device_ptrIlEEjNS1_19radix_merge_compareILb0ELb0ElNS0_19identity_decomposerEEEEE10hipError_tT0_T1_T2_jT3_P12ihipStream_tbPNSt15iterator_traitsISG_E10value_typeEPNSM_ISH_E10value_typeEPSI_NS1_7vsmem_tEENKUlT_SG_SH_SI_E_clIS7_S7_SB_S7_EESF_SV_SG_SH_SI_EUlSV_E1_NS1_11comp_targetILNS1_3genE0ELNS1_11target_archE4294967295ELNS1_3gpuE0ELNS1_3repE0EEENS1_36merge_oddeven_config_static_selectorELNS0_4arch9wavefront6targetE1EEEvSH_,@function
_ZN7rocprim17ROCPRIM_400000_NS6detail17trampoline_kernelINS0_14default_configENS1_38merge_sort_block_merge_config_selectorIllEEZZNS1_27merge_sort_block_merge_implIS3_PlN6thrust23THRUST_200600_302600_NS10device_ptrIlEEjNS1_19radix_merge_compareILb0ELb0ElNS0_19identity_decomposerEEEEE10hipError_tT0_T1_T2_jT3_P12ihipStream_tbPNSt15iterator_traitsISG_E10value_typeEPNSM_ISH_E10value_typeEPSI_NS1_7vsmem_tEENKUlT_SG_SH_SI_E_clIS7_S7_SB_S7_EESF_SV_SG_SH_SI_EUlSV_E1_NS1_11comp_targetILNS1_3genE0ELNS1_11target_archE4294967295ELNS1_3gpuE0ELNS1_3repE0EEENS1_36merge_oddeven_config_static_selectorELNS0_4arch9wavefront6targetE1EEEvSH_: ; @_ZN7rocprim17ROCPRIM_400000_NS6detail17trampoline_kernelINS0_14default_configENS1_38merge_sort_block_merge_config_selectorIllEEZZNS1_27merge_sort_block_merge_implIS3_PlN6thrust23THRUST_200600_302600_NS10device_ptrIlEEjNS1_19radix_merge_compareILb0ELb0ElNS0_19identity_decomposerEEEEE10hipError_tT0_T1_T2_jT3_P12ihipStream_tbPNSt15iterator_traitsISG_E10value_typeEPNSM_ISH_E10value_typeEPSI_NS1_7vsmem_tEENKUlT_SG_SH_SI_E_clIS7_S7_SB_S7_EESF_SV_SG_SH_SI_EUlSV_E1_NS1_11comp_targetILNS1_3genE0ELNS1_11target_archE4294967295ELNS1_3gpuE0ELNS1_3repE0EEENS1_36merge_oddeven_config_static_selectorELNS0_4arch9wavefront6targetE1EEEvSH_
; %bb.0:
	.section	.rodata,"a",@progbits
	.p2align	6, 0x0
	.amdhsa_kernel _ZN7rocprim17ROCPRIM_400000_NS6detail17trampoline_kernelINS0_14default_configENS1_38merge_sort_block_merge_config_selectorIllEEZZNS1_27merge_sort_block_merge_implIS3_PlN6thrust23THRUST_200600_302600_NS10device_ptrIlEEjNS1_19radix_merge_compareILb0ELb0ElNS0_19identity_decomposerEEEEE10hipError_tT0_T1_T2_jT3_P12ihipStream_tbPNSt15iterator_traitsISG_E10value_typeEPNSM_ISH_E10value_typeEPSI_NS1_7vsmem_tEENKUlT_SG_SH_SI_E_clIS7_S7_SB_S7_EESF_SV_SG_SH_SI_EUlSV_E1_NS1_11comp_targetILNS1_3genE0ELNS1_11target_archE4294967295ELNS1_3gpuE0ELNS1_3repE0EEENS1_36merge_oddeven_config_static_selectorELNS0_4arch9wavefront6targetE1EEEvSH_
		.amdhsa_group_segment_fixed_size 0
		.amdhsa_private_segment_fixed_size 0
		.amdhsa_kernarg_size 48
		.amdhsa_user_sgpr_count 6
		.amdhsa_user_sgpr_private_segment_buffer 1
		.amdhsa_user_sgpr_dispatch_ptr 0
		.amdhsa_user_sgpr_queue_ptr 0
		.amdhsa_user_sgpr_kernarg_segment_ptr 1
		.amdhsa_user_sgpr_dispatch_id 0
		.amdhsa_user_sgpr_flat_scratch_init 0
		.amdhsa_user_sgpr_private_segment_size 0
		.amdhsa_uses_dynamic_stack 0
		.amdhsa_system_sgpr_private_segment_wavefront_offset 0
		.amdhsa_system_sgpr_workgroup_id_x 1
		.amdhsa_system_sgpr_workgroup_id_y 0
		.amdhsa_system_sgpr_workgroup_id_z 0
		.amdhsa_system_sgpr_workgroup_info 0
		.amdhsa_system_vgpr_workitem_id 0
		.amdhsa_next_free_vgpr 1
		.amdhsa_next_free_sgpr 0
		.amdhsa_reserve_vcc 0
		.amdhsa_reserve_flat_scratch 0
		.amdhsa_float_round_mode_32 0
		.amdhsa_float_round_mode_16_64 0
		.amdhsa_float_denorm_mode_32 3
		.amdhsa_float_denorm_mode_16_64 3
		.amdhsa_dx10_clamp 1
		.amdhsa_ieee_mode 1
		.amdhsa_fp16_overflow 0
		.amdhsa_exception_fp_ieee_invalid_op 0
		.amdhsa_exception_fp_denorm_src 0
		.amdhsa_exception_fp_ieee_div_zero 0
		.amdhsa_exception_fp_ieee_overflow 0
		.amdhsa_exception_fp_ieee_underflow 0
		.amdhsa_exception_fp_ieee_inexact 0
		.amdhsa_exception_int_div_zero 0
	.end_amdhsa_kernel
	.section	.text._ZN7rocprim17ROCPRIM_400000_NS6detail17trampoline_kernelINS0_14default_configENS1_38merge_sort_block_merge_config_selectorIllEEZZNS1_27merge_sort_block_merge_implIS3_PlN6thrust23THRUST_200600_302600_NS10device_ptrIlEEjNS1_19radix_merge_compareILb0ELb0ElNS0_19identity_decomposerEEEEE10hipError_tT0_T1_T2_jT3_P12ihipStream_tbPNSt15iterator_traitsISG_E10value_typeEPNSM_ISH_E10value_typeEPSI_NS1_7vsmem_tEENKUlT_SG_SH_SI_E_clIS7_S7_SB_S7_EESF_SV_SG_SH_SI_EUlSV_E1_NS1_11comp_targetILNS1_3genE0ELNS1_11target_archE4294967295ELNS1_3gpuE0ELNS1_3repE0EEENS1_36merge_oddeven_config_static_selectorELNS0_4arch9wavefront6targetE1EEEvSH_,"axG",@progbits,_ZN7rocprim17ROCPRIM_400000_NS6detail17trampoline_kernelINS0_14default_configENS1_38merge_sort_block_merge_config_selectorIllEEZZNS1_27merge_sort_block_merge_implIS3_PlN6thrust23THRUST_200600_302600_NS10device_ptrIlEEjNS1_19radix_merge_compareILb0ELb0ElNS0_19identity_decomposerEEEEE10hipError_tT0_T1_T2_jT3_P12ihipStream_tbPNSt15iterator_traitsISG_E10value_typeEPNSM_ISH_E10value_typeEPSI_NS1_7vsmem_tEENKUlT_SG_SH_SI_E_clIS7_S7_SB_S7_EESF_SV_SG_SH_SI_EUlSV_E1_NS1_11comp_targetILNS1_3genE0ELNS1_11target_archE4294967295ELNS1_3gpuE0ELNS1_3repE0EEENS1_36merge_oddeven_config_static_selectorELNS0_4arch9wavefront6targetE1EEEvSH_,comdat
.Lfunc_end1050:
	.size	_ZN7rocprim17ROCPRIM_400000_NS6detail17trampoline_kernelINS0_14default_configENS1_38merge_sort_block_merge_config_selectorIllEEZZNS1_27merge_sort_block_merge_implIS3_PlN6thrust23THRUST_200600_302600_NS10device_ptrIlEEjNS1_19radix_merge_compareILb0ELb0ElNS0_19identity_decomposerEEEEE10hipError_tT0_T1_T2_jT3_P12ihipStream_tbPNSt15iterator_traitsISG_E10value_typeEPNSM_ISH_E10value_typeEPSI_NS1_7vsmem_tEENKUlT_SG_SH_SI_E_clIS7_S7_SB_S7_EESF_SV_SG_SH_SI_EUlSV_E1_NS1_11comp_targetILNS1_3genE0ELNS1_11target_archE4294967295ELNS1_3gpuE0ELNS1_3repE0EEENS1_36merge_oddeven_config_static_selectorELNS0_4arch9wavefront6targetE1EEEvSH_, .Lfunc_end1050-_ZN7rocprim17ROCPRIM_400000_NS6detail17trampoline_kernelINS0_14default_configENS1_38merge_sort_block_merge_config_selectorIllEEZZNS1_27merge_sort_block_merge_implIS3_PlN6thrust23THRUST_200600_302600_NS10device_ptrIlEEjNS1_19radix_merge_compareILb0ELb0ElNS0_19identity_decomposerEEEEE10hipError_tT0_T1_T2_jT3_P12ihipStream_tbPNSt15iterator_traitsISG_E10value_typeEPNSM_ISH_E10value_typeEPSI_NS1_7vsmem_tEENKUlT_SG_SH_SI_E_clIS7_S7_SB_S7_EESF_SV_SG_SH_SI_EUlSV_E1_NS1_11comp_targetILNS1_3genE0ELNS1_11target_archE4294967295ELNS1_3gpuE0ELNS1_3repE0EEENS1_36merge_oddeven_config_static_selectorELNS0_4arch9wavefront6targetE1EEEvSH_
                                        ; -- End function
	.set _ZN7rocprim17ROCPRIM_400000_NS6detail17trampoline_kernelINS0_14default_configENS1_38merge_sort_block_merge_config_selectorIllEEZZNS1_27merge_sort_block_merge_implIS3_PlN6thrust23THRUST_200600_302600_NS10device_ptrIlEEjNS1_19radix_merge_compareILb0ELb0ElNS0_19identity_decomposerEEEEE10hipError_tT0_T1_T2_jT3_P12ihipStream_tbPNSt15iterator_traitsISG_E10value_typeEPNSM_ISH_E10value_typeEPSI_NS1_7vsmem_tEENKUlT_SG_SH_SI_E_clIS7_S7_SB_S7_EESF_SV_SG_SH_SI_EUlSV_E1_NS1_11comp_targetILNS1_3genE0ELNS1_11target_archE4294967295ELNS1_3gpuE0ELNS1_3repE0EEENS1_36merge_oddeven_config_static_selectorELNS0_4arch9wavefront6targetE1EEEvSH_.num_vgpr, 0
	.set _ZN7rocprim17ROCPRIM_400000_NS6detail17trampoline_kernelINS0_14default_configENS1_38merge_sort_block_merge_config_selectorIllEEZZNS1_27merge_sort_block_merge_implIS3_PlN6thrust23THRUST_200600_302600_NS10device_ptrIlEEjNS1_19radix_merge_compareILb0ELb0ElNS0_19identity_decomposerEEEEE10hipError_tT0_T1_T2_jT3_P12ihipStream_tbPNSt15iterator_traitsISG_E10value_typeEPNSM_ISH_E10value_typeEPSI_NS1_7vsmem_tEENKUlT_SG_SH_SI_E_clIS7_S7_SB_S7_EESF_SV_SG_SH_SI_EUlSV_E1_NS1_11comp_targetILNS1_3genE0ELNS1_11target_archE4294967295ELNS1_3gpuE0ELNS1_3repE0EEENS1_36merge_oddeven_config_static_selectorELNS0_4arch9wavefront6targetE1EEEvSH_.num_agpr, 0
	.set _ZN7rocprim17ROCPRIM_400000_NS6detail17trampoline_kernelINS0_14default_configENS1_38merge_sort_block_merge_config_selectorIllEEZZNS1_27merge_sort_block_merge_implIS3_PlN6thrust23THRUST_200600_302600_NS10device_ptrIlEEjNS1_19radix_merge_compareILb0ELb0ElNS0_19identity_decomposerEEEEE10hipError_tT0_T1_T2_jT3_P12ihipStream_tbPNSt15iterator_traitsISG_E10value_typeEPNSM_ISH_E10value_typeEPSI_NS1_7vsmem_tEENKUlT_SG_SH_SI_E_clIS7_S7_SB_S7_EESF_SV_SG_SH_SI_EUlSV_E1_NS1_11comp_targetILNS1_3genE0ELNS1_11target_archE4294967295ELNS1_3gpuE0ELNS1_3repE0EEENS1_36merge_oddeven_config_static_selectorELNS0_4arch9wavefront6targetE1EEEvSH_.numbered_sgpr, 0
	.set _ZN7rocprim17ROCPRIM_400000_NS6detail17trampoline_kernelINS0_14default_configENS1_38merge_sort_block_merge_config_selectorIllEEZZNS1_27merge_sort_block_merge_implIS3_PlN6thrust23THRUST_200600_302600_NS10device_ptrIlEEjNS1_19radix_merge_compareILb0ELb0ElNS0_19identity_decomposerEEEEE10hipError_tT0_T1_T2_jT3_P12ihipStream_tbPNSt15iterator_traitsISG_E10value_typeEPNSM_ISH_E10value_typeEPSI_NS1_7vsmem_tEENKUlT_SG_SH_SI_E_clIS7_S7_SB_S7_EESF_SV_SG_SH_SI_EUlSV_E1_NS1_11comp_targetILNS1_3genE0ELNS1_11target_archE4294967295ELNS1_3gpuE0ELNS1_3repE0EEENS1_36merge_oddeven_config_static_selectorELNS0_4arch9wavefront6targetE1EEEvSH_.num_named_barrier, 0
	.set _ZN7rocprim17ROCPRIM_400000_NS6detail17trampoline_kernelINS0_14default_configENS1_38merge_sort_block_merge_config_selectorIllEEZZNS1_27merge_sort_block_merge_implIS3_PlN6thrust23THRUST_200600_302600_NS10device_ptrIlEEjNS1_19radix_merge_compareILb0ELb0ElNS0_19identity_decomposerEEEEE10hipError_tT0_T1_T2_jT3_P12ihipStream_tbPNSt15iterator_traitsISG_E10value_typeEPNSM_ISH_E10value_typeEPSI_NS1_7vsmem_tEENKUlT_SG_SH_SI_E_clIS7_S7_SB_S7_EESF_SV_SG_SH_SI_EUlSV_E1_NS1_11comp_targetILNS1_3genE0ELNS1_11target_archE4294967295ELNS1_3gpuE0ELNS1_3repE0EEENS1_36merge_oddeven_config_static_selectorELNS0_4arch9wavefront6targetE1EEEvSH_.private_seg_size, 0
	.set _ZN7rocprim17ROCPRIM_400000_NS6detail17trampoline_kernelINS0_14default_configENS1_38merge_sort_block_merge_config_selectorIllEEZZNS1_27merge_sort_block_merge_implIS3_PlN6thrust23THRUST_200600_302600_NS10device_ptrIlEEjNS1_19radix_merge_compareILb0ELb0ElNS0_19identity_decomposerEEEEE10hipError_tT0_T1_T2_jT3_P12ihipStream_tbPNSt15iterator_traitsISG_E10value_typeEPNSM_ISH_E10value_typeEPSI_NS1_7vsmem_tEENKUlT_SG_SH_SI_E_clIS7_S7_SB_S7_EESF_SV_SG_SH_SI_EUlSV_E1_NS1_11comp_targetILNS1_3genE0ELNS1_11target_archE4294967295ELNS1_3gpuE0ELNS1_3repE0EEENS1_36merge_oddeven_config_static_selectorELNS0_4arch9wavefront6targetE1EEEvSH_.uses_vcc, 0
	.set _ZN7rocprim17ROCPRIM_400000_NS6detail17trampoline_kernelINS0_14default_configENS1_38merge_sort_block_merge_config_selectorIllEEZZNS1_27merge_sort_block_merge_implIS3_PlN6thrust23THRUST_200600_302600_NS10device_ptrIlEEjNS1_19radix_merge_compareILb0ELb0ElNS0_19identity_decomposerEEEEE10hipError_tT0_T1_T2_jT3_P12ihipStream_tbPNSt15iterator_traitsISG_E10value_typeEPNSM_ISH_E10value_typeEPSI_NS1_7vsmem_tEENKUlT_SG_SH_SI_E_clIS7_S7_SB_S7_EESF_SV_SG_SH_SI_EUlSV_E1_NS1_11comp_targetILNS1_3genE0ELNS1_11target_archE4294967295ELNS1_3gpuE0ELNS1_3repE0EEENS1_36merge_oddeven_config_static_selectorELNS0_4arch9wavefront6targetE1EEEvSH_.uses_flat_scratch, 0
	.set _ZN7rocprim17ROCPRIM_400000_NS6detail17trampoline_kernelINS0_14default_configENS1_38merge_sort_block_merge_config_selectorIllEEZZNS1_27merge_sort_block_merge_implIS3_PlN6thrust23THRUST_200600_302600_NS10device_ptrIlEEjNS1_19radix_merge_compareILb0ELb0ElNS0_19identity_decomposerEEEEE10hipError_tT0_T1_T2_jT3_P12ihipStream_tbPNSt15iterator_traitsISG_E10value_typeEPNSM_ISH_E10value_typeEPSI_NS1_7vsmem_tEENKUlT_SG_SH_SI_E_clIS7_S7_SB_S7_EESF_SV_SG_SH_SI_EUlSV_E1_NS1_11comp_targetILNS1_3genE0ELNS1_11target_archE4294967295ELNS1_3gpuE0ELNS1_3repE0EEENS1_36merge_oddeven_config_static_selectorELNS0_4arch9wavefront6targetE1EEEvSH_.has_dyn_sized_stack, 0
	.set _ZN7rocprim17ROCPRIM_400000_NS6detail17trampoline_kernelINS0_14default_configENS1_38merge_sort_block_merge_config_selectorIllEEZZNS1_27merge_sort_block_merge_implIS3_PlN6thrust23THRUST_200600_302600_NS10device_ptrIlEEjNS1_19radix_merge_compareILb0ELb0ElNS0_19identity_decomposerEEEEE10hipError_tT0_T1_T2_jT3_P12ihipStream_tbPNSt15iterator_traitsISG_E10value_typeEPNSM_ISH_E10value_typeEPSI_NS1_7vsmem_tEENKUlT_SG_SH_SI_E_clIS7_S7_SB_S7_EESF_SV_SG_SH_SI_EUlSV_E1_NS1_11comp_targetILNS1_3genE0ELNS1_11target_archE4294967295ELNS1_3gpuE0ELNS1_3repE0EEENS1_36merge_oddeven_config_static_selectorELNS0_4arch9wavefront6targetE1EEEvSH_.has_recursion, 0
	.set _ZN7rocprim17ROCPRIM_400000_NS6detail17trampoline_kernelINS0_14default_configENS1_38merge_sort_block_merge_config_selectorIllEEZZNS1_27merge_sort_block_merge_implIS3_PlN6thrust23THRUST_200600_302600_NS10device_ptrIlEEjNS1_19radix_merge_compareILb0ELb0ElNS0_19identity_decomposerEEEEE10hipError_tT0_T1_T2_jT3_P12ihipStream_tbPNSt15iterator_traitsISG_E10value_typeEPNSM_ISH_E10value_typeEPSI_NS1_7vsmem_tEENKUlT_SG_SH_SI_E_clIS7_S7_SB_S7_EESF_SV_SG_SH_SI_EUlSV_E1_NS1_11comp_targetILNS1_3genE0ELNS1_11target_archE4294967295ELNS1_3gpuE0ELNS1_3repE0EEENS1_36merge_oddeven_config_static_selectorELNS0_4arch9wavefront6targetE1EEEvSH_.has_indirect_call, 0
	.section	.AMDGPU.csdata,"",@progbits
; Kernel info:
; codeLenInByte = 0
; TotalNumSgprs: 4
; NumVgprs: 0
; ScratchSize: 0
; MemoryBound: 0
; FloatMode: 240
; IeeeMode: 1
; LDSByteSize: 0 bytes/workgroup (compile time only)
; SGPRBlocks: 0
; VGPRBlocks: 0
; NumSGPRsForWavesPerEU: 4
; NumVGPRsForWavesPerEU: 1
; Occupancy: 10
; WaveLimiterHint : 0
; COMPUTE_PGM_RSRC2:SCRATCH_EN: 0
; COMPUTE_PGM_RSRC2:USER_SGPR: 6
; COMPUTE_PGM_RSRC2:TRAP_HANDLER: 0
; COMPUTE_PGM_RSRC2:TGID_X_EN: 1
; COMPUTE_PGM_RSRC2:TGID_Y_EN: 0
; COMPUTE_PGM_RSRC2:TGID_Z_EN: 0
; COMPUTE_PGM_RSRC2:TIDIG_COMP_CNT: 0
	.section	.text._ZN7rocprim17ROCPRIM_400000_NS6detail17trampoline_kernelINS0_14default_configENS1_38merge_sort_block_merge_config_selectorIllEEZZNS1_27merge_sort_block_merge_implIS3_PlN6thrust23THRUST_200600_302600_NS10device_ptrIlEEjNS1_19radix_merge_compareILb0ELb0ElNS0_19identity_decomposerEEEEE10hipError_tT0_T1_T2_jT3_P12ihipStream_tbPNSt15iterator_traitsISG_E10value_typeEPNSM_ISH_E10value_typeEPSI_NS1_7vsmem_tEENKUlT_SG_SH_SI_E_clIS7_S7_SB_S7_EESF_SV_SG_SH_SI_EUlSV_E1_NS1_11comp_targetILNS1_3genE10ELNS1_11target_archE1201ELNS1_3gpuE5ELNS1_3repE0EEENS1_36merge_oddeven_config_static_selectorELNS0_4arch9wavefront6targetE1EEEvSH_,"axG",@progbits,_ZN7rocprim17ROCPRIM_400000_NS6detail17trampoline_kernelINS0_14default_configENS1_38merge_sort_block_merge_config_selectorIllEEZZNS1_27merge_sort_block_merge_implIS3_PlN6thrust23THRUST_200600_302600_NS10device_ptrIlEEjNS1_19radix_merge_compareILb0ELb0ElNS0_19identity_decomposerEEEEE10hipError_tT0_T1_T2_jT3_P12ihipStream_tbPNSt15iterator_traitsISG_E10value_typeEPNSM_ISH_E10value_typeEPSI_NS1_7vsmem_tEENKUlT_SG_SH_SI_E_clIS7_S7_SB_S7_EESF_SV_SG_SH_SI_EUlSV_E1_NS1_11comp_targetILNS1_3genE10ELNS1_11target_archE1201ELNS1_3gpuE5ELNS1_3repE0EEENS1_36merge_oddeven_config_static_selectorELNS0_4arch9wavefront6targetE1EEEvSH_,comdat
	.protected	_ZN7rocprim17ROCPRIM_400000_NS6detail17trampoline_kernelINS0_14default_configENS1_38merge_sort_block_merge_config_selectorIllEEZZNS1_27merge_sort_block_merge_implIS3_PlN6thrust23THRUST_200600_302600_NS10device_ptrIlEEjNS1_19radix_merge_compareILb0ELb0ElNS0_19identity_decomposerEEEEE10hipError_tT0_T1_T2_jT3_P12ihipStream_tbPNSt15iterator_traitsISG_E10value_typeEPNSM_ISH_E10value_typeEPSI_NS1_7vsmem_tEENKUlT_SG_SH_SI_E_clIS7_S7_SB_S7_EESF_SV_SG_SH_SI_EUlSV_E1_NS1_11comp_targetILNS1_3genE10ELNS1_11target_archE1201ELNS1_3gpuE5ELNS1_3repE0EEENS1_36merge_oddeven_config_static_selectorELNS0_4arch9wavefront6targetE1EEEvSH_ ; -- Begin function _ZN7rocprim17ROCPRIM_400000_NS6detail17trampoline_kernelINS0_14default_configENS1_38merge_sort_block_merge_config_selectorIllEEZZNS1_27merge_sort_block_merge_implIS3_PlN6thrust23THRUST_200600_302600_NS10device_ptrIlEEjNS1_19radix_merge_compareILb0ELb0ElNS0_19identity_decomposerEEEEE10hipError_tT0_T1_T2_jT3_P12ihipStream_tbPNSt15iterator_traitsISG_E10value_typeEPNSM_ISH_E10value_typeEPSI_NS1_7vsmem_tEENKUlT_SG_SH_SI_E_clIS7_S7_SB_S7_EESF_SV_SG_SH_SI_EUlSV_E1_NS1_11comp_targetILNS1_3genE10ELNS1_11target_archE1201ELNS1_3gpuE5ELNS1_3repE0EEENS1_36merge_oddeven_config_static_selectorELNS0_4arch9wavefront6targetE1EEEvSH_
	.globl	_ZN7rocprim17ROCPRIM_400000_NS6detail17trampoline_kernelINS0_14default_configENS1_38merge_sort_block_merge_config_selectorIllEEZZNS1_27merge_sort_block_merge_implIS3_PlN6thrust23THRUST_200600_302600_NS10device_ptrIlEEjNS1_19radix_merge_compareILb0ELb0ElNS0_19identity_decomposerEEEEE10hipError_tT0_T1_T2_jT3_P12ihipStream_tbPNSt15iterator_traitsISG_E10value_typeEPNSM_ISH_E10value_typeEPSI_NS1_7vsmem_tEENKUlT_SG_SH_SI_E_clIS7_S7_SB_S7_EESF_SV_SG_SH_SI_EUlSV_E1_NS1_11comp_targetILNS1_3genE10ELNS1_11target_archE1201ELNS1_3gpuE5ELNS1_3repE0EEENS1_36merge_oddeven_config_static_selectorELNS0_4arch9wavefront6targetE1EEEvSH_
	.p2align	8
	.type	_ZN7rocprim17ROCPRIM_400000_NS6detail17trampoline_kernelINS0_14default_configENS1_38merge_sort_block_merge_config_selectorIllEEZZNS1_27merge_sort_block_merge_implIS3_PlN6thrust23THRUST_200600_302600_NS10device_ptrIlEEjNS1_19radix_merge_compareILb0ELb0ElNS0_19identity_decomposerEEEEE10hipError_tT0_T1_T2_jT3_P12ihipStream_tbPNSt15iterator_traitsISG_E10value_typeEPNSM_ISH_E10value_typeEPSI_NS1_7vsmem_tEENKUlT_SG_SH_SI_E_clIS7_S7_SB_S7_EESF_SV_SG_SH_SI_EUlSV_E1_NS1_11comp_targetILNS1_3genE10ELNS1_11target_archE1201ELNS1_3gpuE5ELNS1_3repE0EEENS1_36merge_oddeven_config_static_selectorELNS0_4arch9wavefront6targetE1EEEvSH_,@function
_ZN7rocprim17ROCPRIM_400000_NS6detail17trampoline_kernelINS0_14default_configENS1_38merge_sort_block_merge_config_selectorIllEEZZNS1_27merge_sort_block_merge_implIS3_PlN6thrust23THRUST_200600_302600_NS10device_ptrIlEEjNS1_19radix_merge_compareILb0ELb0ElNS0_19identity_decomposerEEEEE10hipError_tT0_T1_T2_jT3_P12ihipStream_tbPNSt15iterator_traitsISG_E10value_typeEPNSM_ISH_E10value_typeEPSI_NS1_7vsmem_tEENKUlT_SG_SH_SI_E_clIS7_S7_SB_S7_EESF_SV_SG_SH_SI_EUlSV_E1_NS1_11comp_targetILNS1_3genE10ELNS1_11target_archE1201ELNS1_3gpuE5ELNS1_3repE0EEENS1_36merge_oddeven_config_static_selectorELNS0_4arch9wavefront6targetE1EEEvSH_: ; @_ZN7rocprim17ROCPRIM_400000_NS6detail17trampoline_kernelINS0_14default_configENS1_38merge_sort_block_merge_config_selectorIllEEZZNS1_27merge_sort_block_merge_implIS3_PlN6thrust23THRUST_200600_302600_NS10device_ptrIlEEjNS1_19radix_merge_compareILb0ELb0ElNS0_19identity_decomposerEEEEE10hipError_tT0_T1_T2_jT3_P12ihipStream_tbPNSt15iterator_traitsISG_E10value_typeEPNSM_ISH_E10value_typeEPSI_NS1_7vsmem_tEENKUlT_SG_SH_SI_E_clIS7_S7_SB_S7_EESF_SV_SG_SH_SI_EUlSV_E1_NS1_11comp_targetILNS1_3genE10ELNS1_11target_archE1201ELNS1_3gpuE5ELNS1_3repE0EEENS1_36merge_oddeven_config_static_selectorELNS0_4arch9wavefront6targetE1EEEvSH_
; %bb.0:
	.section	.rodata,"a",@progbits
	.p2align	6, 0x0
	.amdhsa_kernel _ZN7rocprim17ROCPRIM_400000_NS6detail17trampoline_kernelINS0_14default_configENS1_38merge_sort_block_merge_config_selectorIllEEZZNS1_27merge_sort_block_merge_implIS3_PlN6thrust23THRUST_200600_302600_NS10device_ptrIlEEjNS1_19radix_merge_compareILb0ELb0ElNS0_19identity_decomposerEEEEE10hipError_tT0_T1_T2_jT3_P12ihipStream_tbPNSt15iterator_traitsISG_E10value_typeEPNSM_ISH_E10value_typeEPSI_NS1_7vsmem_tEENKUlT_SG_SH_SI_E_clIS7_S7_SB_S7_EESF_SV_SG_SH_SI_EUlSV_E1_NS1_11comp_targetILNS1_3genE10ELNS1_11target_archE1201ELNS1_3gpuE5ELNS1_3repE0EEENS1_36merge_oddeven_config_static_selectorELNS0_4arch9wavefront6targetE1EEEvSH_
		.amdhsa_group_segment_fixed_size 0
		.amdhsa_private_segment_fixed_size 0
		.amdhsa_kernarg_size 48
		.amdhsa_user_sgpr_count 6
		.amdhsa_user_sgpr_private_segment_buffer 1
		.amdhsa_user_sgpr_dispatch_ptr 0
		.amdhsa_user_sgpr_queue_ptr 0
		.amdhsa_user_sgpr_kernarg_segment_ptr 1
		.amdhsa_user_sgpr_dispatch_id 0
		.amdhsa_user_sgpr_flat_scratch_init 0
		.amdhsa_user_sgpr_private_segment_size 0
		.amdhsa_uses_dynamic_stack 0
		.amdhsa_system_sgpr_private_segment_wavefront_offset 0
		.amdhsa_system_sgpr_workgroup_id_x 1
		.amdhsa_system_sgpr_workgroup_id_y 0
		.amdhsa_system_sgpr_workgroup_id_z 0
		.amdhsa_system_sgpr_workgroup_info 0
		.amdhsa_system_vgpr_workitem_id 0
		.amdhsa_next_free_vgpr 1
		.amdhsa_next_free_sgpr 0
		.amdhsa_reserve_vcc 0
		.amdhsa_reserve_flat_scratch 0
		.amdhsa_float_round_mode_32 0
		.amdhsa_float_round_mode_16_64 0
		.amdhsa_float_denorm_mode_32 3
		.amdhsa_float_denorm_mode_16_64 3
		.amdhsa_dx10_clamp 1
		.amdhsa_ieee_mode 1
		.amdhsa_fp16_overflow 0
		.amdhsa_exception_fp_ieee_invalid_op 0
		.amdhsa_exception_fp_denorm_src 0
		.amdhsa_exception_fp_ieee_div_zero 0
		.amdhsa_exception_fp_ieee_overflow 0
		.amdhsa_exception_fp_ieee_underflow 0
		.amdhsa_exception_fp_ieee_inexact 0
		.amdhsa_exception_int_div_zero 0
	.end_amdhsa_kernel
	.section	.text._ZN7rocprim17ROCPRIM_400000_NS6detail17trampoline_kernelINS0_14default_configENS1_38merge_sort_block_merge_config_selectorIllEEZZNS1_27merge_sort_block_merge_implIS3_PlN6thrust23THRUST_200600_302600_NS10device_ptrIlEEjNS1_19radix_merge_compareILb0ELb0ElNS0_19identity_decomposerEEEEE10hipError_tT0_T1_T2_jT3_P12ihipStream_tbPNSt15iterator_traitsISG_E10value_typeEPNSM_ISH_E10value_typeEPSI_NS1_7vsmem_tEENKUlT_SG_SH_SI_E_clIS7_S7_SB_S7_EESF_SV_SG_SH_SI_EUlSV_E1_NS1_11comp_targetILNS1_3genE10ELNS1_11target_archE1201ELNS1_3gpuE5ELNS1_3repE0EEENS1_36merge_oddeven_config_static_selectorELNS0_4arch9wavefront6targetE1EEEvSH_,"axG",@progbits,_ZN7rocprim17ROCPRIM_400000_NS6detail17trampoline_kernelINS0_14default_configENS1_38merge_sort_block_merge_config_selectorIllEEZZNS1_27merge_sort_block_merge_implIS3_PlN6thrust23THRUST_200600_302600_NS10device_ptrIlEEjNS1_19radix_merge_compareILb0ELb0ElNS0_19identity_decomposerEEEEE10hipError_tT0_T1_T2_jT3_P12ihipStream_tbPNSt15iterator_traitsISG_E10value_typeEPNSM_ISH_E10value_typeEPSI_NS1_7vsmem_tEENKUlT_SG_SH_SI_E_clIS7_S7_SB_S7_EESF_SV_SG_SH_SI_EUlSV_E1_NS1_11comp_targetILNS1_3genE10ELNS1_11target_archE1201ELNS1_3gpuE5ELNS1_3repE0EEENS1_36merge_oddeven_config_static_selectorELNS0_4arch9wavefront6targetE1EEEvSH_,comdat
.Lfunc_end1051:
	.size	_ZN7rocprim17ROCPRIM_400000_NS6detail17trampoline_kernelINS0_14default_configENS1_38merge_sort_block_merge_config_selectorIllEEZZNS1_27merge_sort_block_merge_implIS3_PlN6thrust23THRUST_200600_302600_NS10device_ptrIlEEjNS1_19radix_merge_compareILb0ELb0ElNS0_19identity_decomposerEEEEE10hipError_tT0_T1_T2_jT3_P12ihipStream_tbPNSt15iterator_traitsISG_E10value_typeEPNSM_ISH_E10value_typeEPSI_NS1_7vsmem_tEENKUlT_SG_SH_SI_E_clIS7_S7_SB_S7_EESF_SV_SG_SH_SI_EUlSV_E1_NS1_11comp_targetILNS1_3genE10ELNS1_11target_archE1201ELNS1_3gpuE5ELNS1_3repE0EEENS1_36merge_oddeven_config_static_selectorELNS0_4arch9wavefront6targetE1EEEvSH_, .Lfunc_end1051-_ZN7rocprim17ROCPRIM_400000_NS6detail17trampoline_kernelINS0_14default_configENS1_38merge_sort_block_merge_config_selectorIllEEZZNS1_27merge_sort_block_merge_implIS3_PlN6thrust23THRUST_200600_302600_NS10device_ptrIlEEjNS1_19radix_merge_compareILb0ELb0ElNS0_19identity_decomposerEEEEE10hipError_tT0_T1_T2_jT3_P12ihipStream_tbPNSt15iterator_traitsISG_E10value_typeEPNSM_ISH_E10value_typeEPSI_NS1_7vsmem_tEENKUlT_SG_SH_SI_E_clIS7_S7_SB_S7_EESF_SV_SG_SH_SI_EUlSV_E1_NS1_11comp_targetILNS1_3genE10ELNS1_11target_archE1201ELNS1_3gpuE5ELNS1_3repE0EEENS1_36merge_oddeven_config_static_selectorELNS0_4arch9wavefront6targetE1EEEvSH_
                                        ; -- End function
	.set _ZN7rocprim17ROCPRIM_400000_NS6detail17trampoline_kernelINS0_14default_configENS1_38merge_sort_block_merge_config_selectorIllEEZZNS1_27merge_sort_block_merge_implIS3_PlN6thrust23THRUST_200600_302600_NS10device_ptrIlEEjNS1_19radix_merge_compareILb0ELb0ElNS0_19identity_decomposerEEEEE10hipError_tT0_T1_T2_jT3_P12ihipStream_tbPNSt15iterator_traitsISG_E10value_typeEPNSM_ISH_E10value_typeEPSI_NS1_7vsmem_tEENKUlT_SG_SH_SI_E_clIS7_S7_SB_S7_EESF_SV_SG_SH_SI_EUlSV_E1_NS1_11comp_targetILNS1_3genE10ELNS1_11target_archE1201ELNS1_3gpuE5ELNS1_3repE0EEENS1_36merge_oddeven_config_static_selectorELNS0_4arch9wavefront6targetE1EEEvSH_.num_vgpr, 0
	.set _ZN7rocprim17ROCPRIM_400000_NS6detail17trampoline_kernelINS0_14default_configENS1_38merge_sort_block_merge_config_selectorIllEEZZNS1_27merge_sort_block_merge_implIS3_PlN6thrust23THRUST_200600_302600_NS10device_ptrIlEEjNS1_19radix_merge_compareILb0ELb0ElNS0_19identity_decomposerEEEEE10hipError_tT0_T1_T2_jT3_P12ihipStream_tbPNSt15iterator_traitsISG_E10value_typeEPNSM_ISH_E10value_typeEPSI_NS1_7vsmem_tEENKUlT_SG_SH_SI_E_clIS7_S7_SB_S7_EESF_SV_SG_SH_SI_EUlSV_E1_NS1_11comp_targetILNS1_3genE10ELNS1_11target_archE1201ELNS1_3gpuE5ELNS1_3repE0EEENS1_36merge_oddeven_config_static_selectorELNS0_4arch9wavefront6targetE1EEEvSH_.num_agpr, 0
	.set _ZN7rocprim17ROCPRIM_400000_NS6detail17trampoline_kernelINS0_14default_configENS1_38merge_sort_block_merge_config_selectorIllEEZZNS1_27merge_sort_block_merge_implIS3_PlN6thrust23THRUST_200600_302600_NS10device_ptrIlEEjNS1_19radix_merge_compareILb0ELb0ElNS0_19identity_decomposerEEEEE10hipError_tT0_T1_T2_jT3_P12ihipStream_tbPNSt15iterator_traitsISG_E10value_typeEPNSM_ISH_E10value_typeEPSI_NS1_7vsmem_tEENKUlT_SG_SH_SI_E_clIS7_S7_SB_S7_EESF_SV_SG_SH_SI_EUlSV_E1_NS1_11comp_targetILNS1_3genE10ELNS1_11target_archE1201ELNS1_3gpuE5ELNS1_3repE0EEENS1_36merge_oddeven_config_static_selectorELNS0_4arch9wavefront6targetE1EEEvSH_.numbered_sgpr, 0
	.set _ZN7rocprim17ROCPRIM_400000_NS6detail17trampoline_kernelINS0_14default_configENS1_38merge_sort_block_merge_config_selectorIllEEZZNS1_27merge_sort_block_merge_implIS3_PlN6thrust23THRUST_200600_302600_NS10device_ptrIlEEjNS1_19radix_merge_compareILb0ELb0ElNS0_19identity_decomposerEEEEE10hipError_tT0_T1_T2_jT3_P12ihipStream_tbPNSt15iterator_traitsISG_E10value_typeEPNSM_ISH_E10value_typeEPSI_NS1_7vsmem_tEENKUlT_SG_SH_SI_E_clIS7_S7_SB_S7_EESF_SV_SG_SH_SI_EUlSV_E1_NS1_11comp_targetILNS1_3genE10ELNS1_11target_archE1201ELNS1_3gpuE5ELNS1_3repE0EEENS1_36merge_oddeven_config_static_selectorELNS0_4arch9wavefront6targetE1EEEvSH_.num_named_barrier, 0
	.set _ZN7rocprim17ROCPRIM_400000_NS6detail17trampoline_kernelINS0_14default_configENS1_38merge_sort_block_merge_config_selectorIllEEZZNS1_27merge_sort_block_merge_implIS3_PlN6thrust23THRUST_200600_302600_NS10device_ptrIlEEjNS1_19radix_merge_compareILb0ELb0ElNS0_19identity_decomposerEEEEE10hipError_tT0_T1_T2_jT3_P12ihipStream_tbPNSt15iterator_traitsISG_E10value_typeEPNSM_ISH_E10value_typeEPSI_NS1_7vsmem_tEENKUlT_SG_SH_SI_E_clIS7_S7_SB_S7_EESF_SV_SG_SH_SI_EUlSV_E1_NS1_11comp_targetILNS1_3genE10ELNS1_11target_archE1201ELNS1_3gpuE5ELNS1_3repE0EEENS1_36merge_oddeven_config_static_selectorELNS0_4arch9wavefront6targetE1EEEvSH_.private_seg_size, 0
	.set _ZN7rocprim17ROCPRIM_400000_NS6detail17trampoline_kernelINS0_14default_configENS1_38merge_sort_block_merge_config_selectorIllEEZZNS1_27merge_sort_block_merge_implIS3_PlN6thrust23THRUST_200600_302600_NS10device_ptrIlEEjNS1_19radix_merge_compareILb0ELb0ElNS0_19identity_decomposerEEEEE10hipError_tT0_T1_T2_jT3_P12ihipStream_tbPNSt15iterator_traitsISG_E10value_typeEPNSM_ISH_E10value_typeEPSI_NS1_7vsmem_tEENKUlT_SG_SH_SI_E_clIS7_S7_SB_S7_EESF_SV_SG_SH_SI_EUlSV_E1_NS1_11comp_targetILNS1_3genE10ELNS1_11target_archE1201ELNS1_3gpuE5ELNS1_3repE0EEENS1_36merge_oddeven_config_static_selectorELNS0_4arch9wavefront6targetE1EEEvSH_.uses_vcc, 0
	.set _ZN7rocprim17ROCPRIM_400000_NS6detail17trampoline_kernelINS0_14default_configENS1_38merge_sort_block_merge_config_selectorIllEEZZNS1_27merge_sort_block_merge_implIS3_PlN6thrust23THRUST_200600_302600_NS10device_ptrIlEEjNS1_19radix_merge_compareILb0ELb0ElNS0_19identity_decomposerEEEEE10hipError_tT0_T1_T2_jT3_P12ihipStream_tbPNSt15iterator_traitsISG_E10value_typeEPNSM_ISH_E10value_typeEPSI_NS1_7vsmem_tEENKUlT_SG_SH_SI_E_clIS7_S7_SB_S7_EESF_SV_SG_SH_SI_EUlSV_E1_NS1_11comp_targetILNS1_3genE10ELNS1_11target_archE1201ELNS1_3gpuE5ELNS1_3repE0EEENS1_36merge_oddeven_config_static_selectorELNS0_4arch9wavefront6targetE1EEEvSH_.uses_flat_scratch, 0
	.set _ZN7rocprim17ROCPRIM_400000_NS6detail17trampoline_kernelINS0_14default_configENS1_38merge_sort_block_merge_config_selectorIllEEZZNS1_27merge_sort_block_merge_implIS3_PlN6thrust23THRUST_200600_302600_NS10device_ptrIlEEjNS1_19radix_merge_compareILb0ELb0ElNS0_19identity_decomposerEEEEE10hipError_tT0_T1_T2_jT3_P12ihipStream_tbPNSt15iterator_traitsISG_E10value_typeEPNSM_ISH_E10value_typeEPSI_NS1_7vsmem_tEENKUlT_SG_SH_SI_E_clIS7_S7_SB_S7_EESF_SV_SG_SH_SI_EUlSV_E1_NS1_11comp_targetILNS1_3genE10ELNS1_11target_archE1201ELNS1_3gpuE5ELNS1_3repE0EEENS1_36merge_oddeven_config_static_selectorELNS0_4arch9wavefront6targetE1EEEvSH_.has_dyn_sized_stack, 0
	.set _ZN7rocprim17ROCPRIM_400000_NS6detail17trampoline_kernelINS0_14default_configENS1_38merge_sort_block_merge_config_selectorIllEEZZNS1_27merge_sort_block_merge_implIS3_PlN6thrust23THRUST_200600_302600_NS10device_ptrIlEEjNS1_19radix_merge_compareILb0ELb0ElNS0_19identity_decomposerEEEEE10hipError_tT0_T1_T2_jT3_P12ihipStream_tbPNSt15iterator_traitsISG_E10value_typeEPNSM_ISH_E10value_typeEPSI_NS1_7vsmem_tEENKUlT_SG_SH_SI_E_clIS7_S7_SB_S7_EESF_SV_SG_SH_SI_EUlSV_E1_NS1_11comp_targetILNS1_3genE10ELNS1_11target_archE1201ELNS1_3gpuE5ELNS1_3repE0EEENS1_36merge_oddeven_config_static_selectorELNS0_4arch9wavefront6targetE1EEEvSH_.has_recursion, 0
	.set _ZN7rocprim17ROCPRIM_400000_NS6detail17trampoline_kernelINS0_14default_configENS1_38merge_sort_block_merge_config_selectorIllEEZZNS1_27merge_sort_block_merge_implIS3_PlN6thrust23THRUST_200600_302600_NS10device_ptrIlEEjNS1_19radix_merge_compareILb0ELb0ElNS0_19identity_decomposerEEEEE10hipError_tT0_T1_T2_jT3_P12ihipStream_tbPNSt15iterator_traitsISG_E10value_typeEPNSM_ISH_E10value_typeEPSI_NS1_7vsmem_tEENKUlT_SG_SH_SI_E_clIS7_S7_SB_S7_EESF_SV_SG_SH_SI_EUlSV_E1_NS1_11comp_targetILNS1_3genE10ELNS1_11target_archE1201ELNS1_3gpuE5ELNS1_3repE0EEENS1_36merge_oddeven_config_static_selectorELNS0_4arch9wavefront6targetE1EEEvSH_.has_indirect_call, 0
	.section	.AMDGPU.csdata,"",@progbits
; Kernel info:
; codeLenInByte = 0
; TotalNumSgprs: 4
; NumVgprs: 0
; ScratchSize: 0
; MemoryBound: 0
; FloatMode: 240
; IeeeMode: 1
; LDSByteSize: 0 bytes/workgroup (compile time only)
; SGPRBlocks: 0
; VGPRBlocks: 0
; NumSGPRsForWavesPerEU: 4
; NumVGPRsForWavesPerEU: 1
; Occupancy: 10
; WaveLimiterHint : 0
; COMPUTE_PGM_RSRC2:SCRATCH_EN: 0
; COMPUTE_PGM_RSRC2:USER_SGPR: 6
; COMPUTE_PGM_RSRC2:TRAP_HANDLER: 0
; COMPUTE_PGM_RSRC2:TGID_X_EN: 1
; COMPUTE_PGM_RSRC2:TGID_Y_EN: 0
; COMPUTE_PGM_RSRC2:TGID_Z_EN: 0
; COMPUTE_PGM_RSRC2:TIDIG_COMP_CNT: 0
	.section	.text._ZN7rocprim17ROCPRIM_400000_NS6detail17trampoline_kernelINS0_14default_configENS1_38merge_sort_block_merge_config_selectorIllEEZZNS1_27merge_sort_block_merge_implIS3_PlN6thrust23THRUST_200600_302600_NS10device_ptrIlEEjNS1_19radix_merge_compareILb0ELb0ElNS0_19identity_decomposerEEEEE10hipError_tT0_T1_T2_jT3_P12ihipStream_tbPNSt15iterator_traitsISG_E10value_typeEPNSM_ISH_E10value_typeEPSI_NS1_7vsmem_tEENKUlT_SG_SH_SI_E_clIS7_S7_SB_S7_EESF_SV_SG_SH_SI_EUlSV_E1_NS1_11comp_targetILNS1_3genE5ELNS1_11target_archE942ELNS1_3gpuE9ELNS1_3repE0EEENS1_36merge_oddeven_config_static_selectorELNS0_4arch9wavefront6targetE1EEEvSH_,"axG",@progbits,_ZN7rocprim17ROCPRIM_400000_NS6detail17trampoline_kernelINS0_14default_configENS1_38merge_sort_block_merge_config_selectorIllEEZZNS1_27merge_sort_block_merge_implIS3_PlN6thrust23THRUST_200600_302600_NS10device_ptrIlEEjNS1_19radix_merge_compareILb0ELb0ElNS0_19identity_decomposerEEEEE10hipError_tT0_T1_T2_jT3_P12ihipStream_tbPNSt15iterator_traitsISG_E10value_typeEPNSM_ISH_E10value_typeEPSI_NS1_7vsmem_tEENKUlT_SG_SH_SI_E_clIS7_S7_SB_S7_EESF_SV_SG_SH_SI_EUlSV_E1_NS1_11comp_targetILNS1_3genE5ELNS1_11target_archE942ELNS1_3gpuE9ELNS1_3repE0EEENS1_36merge_oddeven_config_static_selectorELNS0_4arch9wavefront6targetE1EEEvSH_,comdat
	.protected	_ZN7rocprim17ROCPRIM_400000_NS6detail17trampoline_kernelINS0_14default_configENS1_38merge_sort_block_merge_config_selectorIllEEZZNS1_27merge_sort_block_merge_implIS3_PlN6thrust23THRUST_200600_302600_NS10device_ptrIlEEjNS1_19radix_merge_compareILb0ELb0ElNS0_19identity_decomposerEEEEE10hipError_tT0_T1_T2_jT3_P12ihipStream_tbPNSt15iterator_traitsISG_E10value_typeEPNSM_ISH_E10value_typeEPSI_NS1_7vsmem_tEENKUlT_SG_SH_SI_E_clIS7_S7_SB_S7_EESF_SV_SG_SH_SI_EUlSV_E1_NS1_11comp_targetILNS1_3genE5ELNS1_11target_archE942ELNS1_3gpuE9ELNS1_3repE0EEENS1_36merge_oddeven_config_static_selectorELNS0_4arch9wavefront6targetE1EEEvSH_ ; -- Begin function _ZN7rocprim17ROCPRIM_400000_NS6detail17trampoline_kernelINS0_14default_configENS1_38merge_sort_block_merge_config_selectorIllEEZZNS1_27merge_sort_block_merge_implIS3_PlN6thrust23THRUST_200600_302600_NS10device_ptrIlEEjNS1_19radix_merge_compareILb0ELb0ElNS0_19identity_decomposerEEEEE10hipError_tT0_T1_T2_jT3_P12ihipStream_tbPNSt15iterator_traitsISG_E10value_typeEPNSM_ISH_E10value_typeEPSI_NS1_7vsmem_tEENKUlT_SG_SH_SI_E_clIS7_S7_SB_S7_EESF_SV_SG_SH_SI_EUlSV_E1_NS1_11comp_targetILNS1_3genE5ELNS1_11target_archE942ELNS1_3gpuE9ELNS1_3repE0EEENS1_36merge_oddeven_config_static_selectorELNS0_4arch9wavefront6targetE1EEEvSH_
	.globl	_ZN7rocprim17ROCPRIM_400000_NS6detail17trampoline_kernelINS0_14default_configENS1_38merge_sort_block_merge_config_selectorIllEEZZNS1_27merge_sort_block_merge_implIS3_PlN6thrust23THRUST_200600_302600_NS10device_ptrIlEEjNS1_19radix_merge_compareILb0ELb0ElNS0_19identity_decomposerEEEEE10hipError_tT0_T1_T2_jT3_P12ihipStream_tbPNSt15iterator_traitsISG_E10value_typeEPNSM_ISH_E10value_typeEPSI_NS1_7vsmem_tEENKUlT_SG_SH_SI_E_clIS7_S7_SB_S7_EESF_SV_SG_SH_SI_EUlSV_E1_NS1_11comp_targetILNS1_3genE5ELNS1_11target_archE942ELNS1_3gpuE9ELNS1_3repE0EEENS1_36merge_oddeven_config_static_selectorELNS0_4arch9wavefront6targetE1EEEvSH_
	.p2align	8
	.type	_ZN7rocprim17ROCPRIM_400000_NS6detail17trampoline_kernelINS0_14default_configENS1_38merge_sort_block_merge_config_selectorIllEEZZNS1_27merge_sort_block_merge_implIS3_PlN6thrust23THRUST_200600_302600_NS10device_ptrIlEEjNS1_19radix_merge_compareILb0ELb0ElNS0_19identity_decomposerEEEEE10hipError_tT0_T1_T2_jT3_P12ihipStream_tbPNSt15iterator_traitsISG_E10value_typeEPNSM_ISH_E10value_typeEPSI_NS1_7vsmem_tEENKUlT_SG_SH_SI_E_clIS7_S7_SB_S7_EESF_SV_SG_SH_SI_EUlSV_E1_NS1_11comp_targetILNS1_3genE5ELNS1_11target_archE942ELNS1_3gpuE9ELNS1_3repE0EEENS1_36merge_oddeven_config_static_selectorELNS0_4arch9wavefront6targetE1EEEvSH_,@function
_ZN7rocprim17ROCPRIM_400000_NS6detail17trampoline_kernelINS0_14default_configENS1_38merge_sort_block_merge_config_selectorIllEEZZNS1_27merge_sort_block_merge_implIS3_PlN6thrust23THRUST_200600_302600_NS10device_ptrIlEEjNS1_19radix_merge_compareILb0ELb0ElNS0_19identity_decomposerEEEEE10hipError_tT0_T1_T2_jT3_P12ihipStream_tbPNSt15iterator_traitsISG_E10value_typeEPNSM_ISH_E10value_typeEPSI_NS1_7vsmem_tEENKUlT_SG_SH_SI_E_clIS7_S7_SB_S7_EESF_SV_SG_SH_SI_EUlSV_E1_NS1_11comp_targetILNS1_3genE5ELNS1_11target_archE942ELNS1_3gpuE9ELNS1_3repE0EEENS1_36merge_oddeven_config_static_selectorELNS0_4arch9wavefront6targetE1EEEvSH_: ; @_ZN7rocprim17ROCPRIM_400000_NS6detail17trampoline_kernelINS0_14default_configENS1_38merge_sort_block_merge_config_selectorIllEEZZNS1_27merge_sort_block_merge_implIS3_PlN6thrust23THRUST_200600_302600_NS10device_ptrIlEEjNS1_19radix_merge_compareILb0ELb0ElNS0_19identity_decomposerEEEEE10hipError_tT0_T1_T2_jT3_P12ihipStream_tbPNSt15iterator_traitsISG_E10value_typeEPNSM_ISH_E10value_typeEPSI_NS1_7vsmem_tEENKUlT_SG_SH_SI_E_clIS7_S7_SB_S7_EESF_SV_SG_SH_SI_EUlSV_E1_NS1_11comp_targetILNS1_3genE5ELNS1_11target_archE942ELNS1_3gpuE9ELNS1_3repE0EEENS1_36merge_oddeven_config_static_selectorELNS0_4arch9wavefront6targetE1EEEvSH_
; %bb.0:
	.section	.rodata,"a",@progbits
	.p2align	6, 0x0
	.amdhsa_kernel _ZN7rocprim17ROCPRIM_400000_NS6detail17trampoline_kernelINS0_14default_configENS1_38merge_sort_block_merge_config_selectorIllEEZZNS1_27merge_sort_block_merge_implIS3_PlN6thrust23THRUST_200600_302600_NS10device_ptrIlEEjNS1_19radix_merge_compareILb0ELb0ElNS0_19identity_decomposerEEEEE10hipError_tT0_T1_T2_jT3_P12ihipStream_tbPNSt15iterator_traitsISG_E10value_typeEPNSM_ISH_E10value_typeEPSI_NS1_7vsmem_tEENKUlT_SG_SH_SI_E_clIS7_S7_SB_S7_EESF_SV_SG_SH_SI_EUlSV_E1_NS1_11comp_targetILNS1_3genE5ELNS1_11target_archE942ELNS1_3gpuE9ELNS1_3repE0EEENS1_36merge_oddeven_config_static_selectorELNS0_4arch9wavefront6targetE1EEEvSH_
		.amdhsa_group_segment_fixed_size 0
		.amdhsa_private_segment_fixed_size 0
		.amdhsa_kernarg_size 48
		.amdhsa_user_sgpr_count 6
		.amdhsa_user_sgpr_private_segment_buffer 1
		.amdhsa_user_sgpr_dispatch_ptr 0
		.amdhsa_user_sgpr_queue_ptr 0
		.amdhsa_user_sgpr_kernarg_segment_ptr 1
		.amdhsa_user_sgpr_dispatch_id 0
		.amdhsa_user_sgpr_flat_scratch_init 0
		.amdhsa_user_sgpr_private_segment_size 0
		.amdhsa_uses_dynamic_stack 0
		.amdhsa_system_sgpr_private_segment_wavefront_offset 0
		.amdhsa_system_sgpr_workgroup_id_x 1
		.amdhsa_system_sgpr_workgroup_id_y 0
		.amdhsa_system_sgpr_workgroup_id_z 0
		.amdhsa_system_sgpr_workgroup_info 0
		.amdhsa_system_vgpr_workitem_id 0
		.amdhsa_next_free_vgpr 1
		.amdhsa_next_free_sgpr 0
		.amdhsa_reserve_vcc 0
		.amdhsa_reserve_flat_scratch 0
		.amdhsa_float_round_mode_32 0
		.amdhsa_float_round_mode_16_64 0
		.amdhsa_float_denorm_mode_32 3
		.amdhsa_float_denorm_mode_16_64 3
		.amdhsa_dx10_clamp 1
		.amdhsa_ieee_mode 1
		.amdhsa_fp16_overflow 0
		.amdhsa_exception_fp_ieee_invalid_op 0
		.amdhsa_exception_fp_denorm_src 0
		.amdhsa_exception_fp_ieee_div_zero 0
		.amdhsa_exception_fp_ieee_overflow 0
		.amdhsa_exception_fp_ieee_underflow 0
		.amdhsa_exception_fp_ieee_inexact 0
		.amdhsa_exception_int_div_zero 0
	.end_amdhsa_kernel
	.section	.text._ZN7rocprim17ROCPRIM_400000_NS6detail17trampoline_kernelINS0_14default_configENS1_38merge_sort_block_merge_config_selectorIllEEZZNS1_27merge_sort_block_merge_implIS3_PlN6thrust23THRUST_200600_302600_NS10device_ptrIlEEjNS1_19radix_merge_compareILb0ELb0ElNS0_19identity_decomposerEEEEE10hipError_tT0_T1_T2_jT3_P12ihipStream_tbPNSt15iterator_traitsISG_E10value_typeEPNSM_ISH_E10value_typeEPSI_NS1_7vsmem_tEENKUlT_SG_SH_SI_E_clIS7_S7_SB_S7_EESF_SV_SG_SH_SI_EUlSV_E1_NS1_11comp_targetILNS1_3genE5ELNS1_11target_archE942ELNS1_3gpuE9ELNS1_3repE0EEENS1_36merge_oddeven_config_static_selectorELNS0_4arch9wavefront6targetE1EEEvSH_,"axG",@progbits,_ZN7rocprim17ROCPRIM_400000_NS6detail17trampoline_kernelINS0_14default_configENS1_38merge_sort_block_merge_config_selectorIllEEZZNS1_27merge_sort_block_merge_implIS3_PlN6thrust23THRUST_200600_302600_NS10device_ptrIlEEjNS1_19radix_merge_compareILb0ELb0ElNS0_19identity_decomposerEEEEE10hipError_tT0_T1_T2_jT3_P12ihipStream_tbPNSt15iterator_traitsISG_E10value_typeEPNSM_ISH_E10value_typeEPSI_NS1_7vsmem_tEENKUlT_SG_SH_SI_E_clIS7_S7_SB_S7_EESF_SV_SG_SH_SI_EUlSV_E1_NS1_11comp_targetILNS1_3genE5ELNS1_11target_archE942ELNS1_3gpuE9ELNS1_3repE0EEENS1_36merge_oddeven_config_static_selectorELNS0_4arch9wavefront6targetE1EEEvSH_,comdat
.Lfunc_end1052:
	.size	_ZN7rocprim17ROCPRIM_400000_NS6detail17trampoline_kernelINS0_14default_configENS1_38merge_sort_block_merge_config_selectorIllEEZZNS1_27merge_sort_block_merge_implIS3_PlN6thrust23THRUST_200600_302600_NS10device_ptrIlEEjNS1_19radix_merge_compareILb0ELb0ElNS0_19identity_decomposerEEEEE10hipError_tT0_T1_T2_jT3_P12ihipStream_tbPNSt15iterator_traitsISG_E10value_typeEPNSM_ISH_E10value_typeEPSI_NS1_7vsmem_tEENKUlT_SG_SH_SI_E_clIS7_S7_SB_S7_EESF_SV_SG_SH_SI_EUlSV_E1_NS1_11comp_targetILNS1_3genE5ELNS1_11target_archE942ELNS1_3gpuE9ELNS1_3repE0EEENS1_36merge_oddeven_config_static_selectorELNS0_4arch9wavefront6targetE1EEEvSH_, .Lfunc_end1052-_ZN7rocprim17ROCPRIM_400000_NS6detail17trampoline_kernelINS0_14default_configENS1_38merge_sort_block_merge_config_selectorIllEEZZNS1_27merge_sort_block_merge_implIS3_PlN6thrust23THRUST_200600_302600_NS10device_ptrIlEEjNS1_19radix_merge_compareILb0ELb0ElNS0_19identity_decomposerEEEEE10hipError_tT0_T1_T2_jT3_P12ihipStream_tbPNSt15iterator_traitsISG_E10value_typeEPNSM_ISH_E10value_typeEPSI_NS1_7vsmem_tEENKUlT_SG_SH_SI_E_clIS7_S7_SB_S7_EESF_SV_SG_SH_SI_EUlSV_E1_NS1_11comp_targetILNS1_3genE5ELNS1_11target_archE942ELNS1_3gpuE9ELNS1_3repE0EEENS1_36merge_oddeven_config_static_selectorELNS0_4arch9wavefront6targetE1EEEvSH_
                                        ; -- End function
	.set _ZN7rocprim17ROCPRIM_400000_NS6detail17trampoline_kernelINS0_14default_configENS1_38merge_sort_block_merge_config_selectorIllEEZZNS1_27merge_sort_block_merge_implIS3_PlN6thrust23THRUST_200600_302600_NS10device_ptrIlEEjNS1_19radix_merge_compareILb0ELb0ElNS0_19identity_decomposerEEEEE10hipError_tT0_T1_T2_jT3_P12ihipStream_tbPNSt15iterator_traitsISG_E10value_typeEPNSM_ISH_E10value_typeEPSI_NS1_7vsmem_tEENKUlT_SG_SH_SI_E_clIS7_S7_SB_S7_EESF_SV_SG_SH_SI_EUlSV_E1_NS1_11comp_targetILNS1_3genE5ELNS1_11target_archE942ELNS1_3gpuE9ELNS1_3repE0EEENS1_36merge_oddeven_config_static_selectorELNS0_4arch9wavefront6targetE1EEEvSH_.num_vgpr, 0
	.set _ZN7rocprim17ROCPRIM_400000_NS6detail17trampoline_kernelINS0_14default_configENS1_38merge_sort_block_merge_config_selectorIllEEZZNS1_27merge_sort_block_merge_implIS3_PlN6thrust23THRUST_200600_302600_NS10device_ptrIlEEjNS1_19radix_merge_compareILb0ELb0ElNS0_19identity_decomposerEEEEE10hipError_tT0_T1_T2_jT3_P12ihipStream_tbPNSt15iterator_traitsISG_E10value_typeEPNSM_ISH_E10value_typeEPSI_NS1_7vsmem_tEENKUlT_SG_SH_SI_E_clIS7_S7_SB_S7_EESF_SV_SG_SH_SI_EUlSV_E1_NS1_11comp_targetILNS1_3genE5ELNS1_11target_archE942ELNS1_3gpuE9ELNS1_3repE0EEENS1_36merge_oddeven_config_static_selectorELNS0_4arch9wavefront6targetE1EEEvSH_.num_agpr, 0
	.set _ZN7rocprim17ROCPRIM_400000_NS6detail17trampoline_kernelINS0_14default_configENS1_38merge_sort_block_merge_config_selectorIllEEZZNS1_27merge_sort_block_merge_implIS3_PlN6thrust23THRUST_200600_302600_NS10device_ptrIlEEjNS1_19radix_merge_compareILb0ELb0ElNS0_19identity_decomposerEEEEE10hipError_tT0_T1_T2_jT3_P12ihipStream_tbPNSt15iterator_traitsISG_E10value_typeEPNSM_ISH_E10value_typeEPSI_NS1_7vsmem_tEENKUlT_SG_SH_SI_E_clIS7_S7_SB_S7_EESF_SV_SG_SH_SI_EUlSV_E1_NS1_11comp_targetILNS1_3genE5ELNS1_11target_archE942ELNS1_3gpuE9ELNS1_3repE0EEENS1_36merge_oddeven_config_static_selectorELNS0_4arch9wavefront6targetE1EEEvSH_.numbered_sgpr, 0
	.set _ZN7rocprim17ROCPRIM_400000_NS6detail17trampoline_kernelINS0_14default_configENS1_38merge_sort_block_merge_config_selectorIllEEZZNS1_27merge_sort_block_merge_implIS3_PlN6thrust23THRUST_200600_302600_NS10device_ptrIlEEjNS1_19radix_merge_compareILb0ELb0ElNS0_19identity_decomposerEEEEE10hipError_tT0_T1_T2_jT3_P12ihipStream_tbPNSt15iterator_traitsISG_E10value_typeEPNSM_ISH_E10value_typeEPSI_NS1_7vsmem_tEENKUlT_SG_SH_SI_E_clIS7_S7_SB_S7_EESF_SV_SG_SH_SI_EUlSV_E1_NS1_11comp_targetILNS1_3genE5ELNS1_11target_archE942ELNS1_3gpuE9ELNS1_3repE0EEENS1_36merge_oddeven_config_static_selectorELNS0_4arch9wavefront6targetE1EEEvSH_.num_named_barrier, 0
	.set _ZN7rocprim17ROCPRIM_400000_NS6detail17trampoline_kernelINS0_14default_configENS1_38merge_sort_block_merge_config_selectorIllEEZZNS1_27merge_sort_block_merge_implIS3_PlN6thrust23THRUST_200600_302600_NS10device_ptrIlEEjNS1_19radix_merge_compareILb0ELb0ElNS0_19identity_decomposerEEEEE10hipError_tT0_T1_T2_jT3_P12ihipStream_tbPNSt15iterator_traitsISG_E10value_typeEPNSM_ISH_E10value_typeEPSI_NS1_7vsmem_tEENKUlT_SG_SH_SI_E_clIS7_S7_SB_S7_EESF_SV_SG_SH_SI_EUlSV_E1_NS1_11comp_targetILNS1_3genE5ELNS1_11target_archE942ELNS1_3gpuE9ELNS1_3repE0EEENS1_36merge_oddeven_config_static_selectorELNS0_4arch9wavefront6targetE1EEEvSH_.private_seg_size, 0
	.set _ZN7rocprim17ROCPRIM_400000_NS6detail17trampoline_kernelINS0_14default_configENS1_38merge_sort_block_merge_config_selectorIllEEZZNS1_27merge_sort_block_merge_implIS3_PlN6thrust23THRUST_200600_302600_NS10device_ptrIlEEjNS1_19radix_merge_compareILb0ELb0ElNS0_19identity_decomposerEEEEE10hipError_tT0_T1_T2_jT3_P12ihipStream_tbPNSt15iterator_traitsISG_E10value_typeEPNSM_ISH_E10value_typeEPSI_NS1_7vsmem_tEENKUlT_SG_SH_SI_E_clIS7_S7_SB_S7_EESF_SV_SG_SH_SI_EUlSV_E1_NS1_11comp_targetILNS1_3genE5ELNS1_11target_archE942ELNS1_3gpuE9ELNS1_3repE0EEENS1_36merge_oddeven_config_static_selectorELNS0_4arch9wavefront6targetE1EEEvSH_.uses_vcc, 0
	.set _ZN7rocprim17ROCPRIM_400000_NS6detail17trampoline_kernelINS0_14default_configENS1_38merge_sort_block_merge_config_selectorIllEEZZNS1_27merge_sort_block_merge_implIS3_PlN6thrust23THRUST_200600_302600_NS10device_ptrIlEEjNS1_19radix_merge_compareILb0ELb0ElNS0_19identity_decomposerEEEEE10hipError_tT0_T1_T2_jT3_P12ihipStream_tbPNSt15iterator_traitsISG_E10value_typeEPNSM_ISH_E10value_typeEPSI_NS1_7vsmem_tEENKUlT_SG_SH_SI_E_clIS7_S7_SB_S7_EESF_SV_SG_SH_SI_EUlSV_E1_NS1_11comp_targetILNS1_3genE5ELNS1_11target_archE942ELNS1_3gpuE9ELNS1_3repE0EEENS1_36merge_oddeven_config_static_selectorELNS0_4arch9wavefront6targetE1EEEvSH_.uses_flat_scratch, 0
	.set _ZN7rocprim17ROCPRIM_400000_NS6detail17trampoline_kernelINS0_14default_configENS1_38merge_sort_block_merge_config_selectorIllEEZZNS1_27merge_sort_block_merge_implIS3_PlN6thrust23THRUST_200600_302600_NS10device_ptrIlEEjNS1_19radix_merge_compareILb0ELb0ElNS0_19identity_decomposerEEEEE10hipError_tT0_T1_T2_jT3_P12ihipStream_tbPNSt15iterator_traitsISG_E10value_typeEPNSM_ISH_E10value_typeEPSI_NS1_7vsmem_tEENKUlT_SG_SH_SI_E_clIS7_S7_SB_S7_EESF_SV_SG_SH_SI_EUlSV_E1_NS1_11comp_targetILNS1_3genE5ELNS1_11target_archE942ELNS1_3gpuE9ELNS1_3repE0EEENS1_36merge_oddeven_config_static_selectorELNS0_4arch9wavefront6targetE1EEEvSH_.has_dyn_sized_stack, 0
	.set _ZN7rocprim17ROCPRIM_400000_NS6detail17trampoline_kernelINS0_14default_configENS1_38merge_sort_block_merge_config_selectorIllEEZZNS1_27merge_sort_block_merge_implIS3_PlN6thrust23THRUST_200600_302600_NS10device_ptrIlEEjNS1_19radix_merge_compareILb0ELb0ElNS0_19identity_decomposerEEEEE10hipError_tT0_T1_T2_jT3_P12ihipStream_tbPNSt15iterator_traitsISG_E10value_typeEPNSM_ISH_E10value_typeEPSI_NS1_7vsmem_tEENKUlT_SG_SH_SI_E_clIS7_S7_SB_S7_EESF_SV_SG_SH_SI_EUlSV_E1_NS1_11comp_targetILNS1_3genE5ELNS1_11target_archE942ELNS1_3gpuE9ELNS1_3repE0EEENS1_36merge_oddeven_config_static_selectorELNS0_4arch9wavefront6targetE1EEEvSH_.has_recursion, 0
	.set _ZN7rocprim17ROCPRIM_400000_NS6detail17trampoline_kernelINS0_14default_configENS1_38merge_sort_block_merge_config_selectorIllEEZZNS1_27merge_sort_block_merge_implIS3_PlN6thrust23THRUST_200600_302600_NS10device_ptrIlEEjNS1_19radix_merge_compareILb0ELb0ElNS0_19identity_decomposerEEEEE10hipError_tT0_T1_T2_jT3_P12ihipStream_tbPNSt15iterator_traitsISG_E10value_typeEPNSM_ISH_E10value_typeEPSI_NS1_7vsmem_tEENKUlT_SG_SH_SI_E_clIS7_S7_SB_S7_EESF_SV_SG_SH_SI_EUlSV_E1_NS1_11comp_targetILNS1_3genE5ELNS1_11target_archE942ELNS1_3gpuE9ELNS1_3repE0EEENS1_36merge_oddeven_config_static_selectorELNS0_4arch9wavefront6targetE1EEEvSH_.has_indirect_call, 0
	.section	.AMDGPU.csdata,"",@progbits
; Kernel info:
; codeLenInByte = 0
; TotalNumSgprs: 4
; NumVgprs: 0
; ScratchSize: 0
; MemoryBound: 0
; FloatMode: 240
; IeeeMode: 1
; LDSByteSize: 0 bytes/workgroup (compile time only)
; SGPRBlocks: 0
; VGPRBlocks: 0
; NumSGPRsForWavesPerEU: 4
; NumVGPRsForWavesPerEU: 1
; Occupancy: 10
; WaveLimiterHint : 0
; COMPUTE_PGM_RSRC2:SCRATCH_EN: 0
; COMPUTE_PGM_RSRC2:USER_SGPR: 6
; COMPUTE_PGM_RSRC2:TRAP_HANDLER: 0
; COMPUTE_PGM_RSRC2:TGID_X_EN: 1
; COMPUTE_PGM_RSRC2:TGID_Y_EN: 0
; COMPUTE_PGM_RSRC2:TGID_Z_EN: 0
; COMPUTE_PGM_RSRC2:TIDIG_COMP_CNT: 0
	.section	.text._ZN7rocprim17ROCPRIM_400000_NS6detail17trampoline_kernelINS0_14default_configENS1_38merge_sort_block_merge_config_selectorIllEEZZNS1_27merge_sort_block_merge_implIS3_PlN6thrust23THRUST_200600_302600_NS10device_ptrIlEEjNS1_19radix_merge_compareILb0ELb0ElNS0_19identity_decomposerEEEEE10hipError_tT0_T1_T2_jT3_P12ihipStream_tbPNSt15iterator_traitsISG_E10value_typeEPNSM_ISH_E10value_typeEPSI_NS1_7vsmem_tEENKUlT_SG_SH_SI_E_clIS7_S7_SB_S7_EESF_SV_SG_SH_SI_EUlSV_E1_NS1_11comp_targetILNS1_3genE4ELNS1_11target_archE910ELNS1_3gpuE8ELNS1_3repE0EEENS1_36merge_oddeven_config_static_selectorELNS0_4arch9wavefront6targetE1EEEvSH_,"axG",@progbits,_ZN7rocprim17ROCPRIM_400000_NS6detail17trampoline_kernelINS0_14default_configENS1_38merge_sort_block_merge_config_selectorIllEEZZNS1_27merge_sort_block_merge_implIS3_PlN6thrust23THRUST_200600_302600_NS10device_ptrIlEEjNS1_19radix_merge_compareILb0ELb0ElNS0_19identity_decomposerEEEEE10hipError_tT0_T1_T2_jT3_P12ihipStream_tbPNSt15iterator_traitsISG_E10value_typeEPNSM_ISH_E10value_typeEPSI_NS1_7vsmem_tEENKUlT_SG_SH_SI_E_clIS7_S7_SB_S7_EESF_SV_SG_SH_SI_EUlSV_E1_NS1_11comp_targetILNS1_3genE4ELNS1_11target_archE910ELNS1_3gpuE8ELNS1_3repE0EEENS1_36merge_oddeven_config_static_selectorELNS0_4arch9wavefront6targetE1EEEvSH_,comdat
	.protected	_ZN7rocprim17ROCPRIM_400000_NS6detail17trampoline_kernelINS0_14default_configENS1_38merge_sort_block_merge_config_selectorIllEEZZNS1_27merge_sort_block_merge_implIS3_PlN6thrust23THRUST_200600_302600_NS10device_ptrIlEEjNS1_19radix_merge_compareILb0ELb0ElNS0_19identity_decomposerEEEEE10hipError_tT0_T1_T2_jT3_P12ihipStream_tbPNSt15iterator_traitsISG_E10value_typeEPNSM_ISH_E10value_typeEPSI_NS1_7vsmem_tEENKUlT_SG_SH_SI_E_clIS7_S7_SB_S7_EESF_SV_SG_SH_SI_EUlSV_E1_NS1_11comp_targetILNS1_3genE4ELNS1_11target_archE910ELNS1_3gpuE8ELNS1_3repE0EEENS1_36merge_oddeven_config_static_selectorELNS0_4arch9wavefront6targetE1EEEvSH_ ; -- Begin function _ZN7rocprim17ROCPRIM_400000_NS6detail17trampoline_kernelINS0_14default_configENS1_38merge_sort_block_merge_config_selectorIllEEZZNS1_27merge_sort_block_merge_implIS3_PlN6thrust23THRUST_200600_302600_NS10device_ptrIlEEjNS1_19radix_merge_compareILb0ELb0ElNS0_19identity_decomposerEEEEE10hipError_tT0_T1_T2_jT3_P12ihipStream_tbPNSt15iterator_traitsISG_E10value_typeEPNSM_ISH_E10value_typeEPSI_NS1_7vsmem_tEENKUlT_SG_SH_SI_E_clIS7_S7_SB_S7_EESF_SV_SG_SH_SI_EUlSV_E1_NS1_11comp_targetILNS1_3genE4ELNS1_11target_archE910ELNS1_3gpuE8ELNS1_3repE0EEENS1_36merge_oddeven_config_static_selectorELNS0_4arch9wavefront6targetE1EEEvSH_
	.globl	_ZN7rocprim17ROCPRIM_400000_NS6detail17trampoline_kernelINS0_14default_configENS1_38merge_sort_block_merge_config_selectorIllEEZZNS1_27merge_sort_block_merge_implIS3_PlN6thrust23THRUST_200600_302600_NS10device_ptrIlEEjNS1_19radix_merge_compareILb0ELb0ElNS0_19identity_decomposerEEEEE10hipError_tT0_T1_T2_jT3_P12ihipStream_tbPNSt15iterator_traitsISG_E10value_typeEPNSM_ISH_E10value_typeEPSI_NS1_7vsmem_tEENKUlT_SG_SH_SI_E_clIS7_S7_SB_S7_EESF_SV_SG_SH_SI_EUlSV_E1_NS1_11comp_targetILNS1_3genE4ELNS1_11target_archE910ELNS1_3gpuE8ELNS1_3repE0EEENS1_36merge_oddeven_config_static_selectorELNS0_4arch9wavefront6targetE1EEEvSH_
	.p2align	8
	.type	_ZN7rocprim17ROCPRIM_400000_NS6detail17trampoline_kernelINS0_14default_configENS1_38merge_sort_block_merge_config_selectorIllEEZZNS1_27merge_sort_block_merge_implIS3_PlN6thrust23THRUST_200600_302600_NS10device_ptrIlEEjNS1_19radix_merge_compareILb0ELb0ElNS0_19identity_decomposerEEEEE10hipError_tT0_T1_T2_jT3_P12ihipStream_tbPNSt15iterator_traitsISG_E10value_typeEPNSM_ISH_E10value_typeEPSI_NS1_7vsmem_tEENKUlT_SG_SH_SI_E_clIS7_S7_SB_S7_EESF_SV_SG_SH_SI_EUlSV_E1_NS1_11comp_targetILNS1_3genE4ELNS1_11target_archE910ELNS1_3gpuE8ELNS1_3repE0EEENS1_36merge_oddeven_config_static_selectorELNS0_4arch9wavefront6targetE1EEEvSH_,@function
_ZN7rocprim17ROCPRIM_400000_NS6detail17trampoline_kernelINS0_14default_configENS1_38merge_sort_block_merge_config_selectorIllEEZZNS1_27merge_sort_block_merge_implIS3_PlN6thrust23THRUST_200600_302600_NS10device_ptrIlEEjNS1_19radix_merge_compareILb0ELb0ElNS0_19identity_decomposerEEEEE10hipError_tT0_T1_T2_jT3_P12ihipStream_tbPNSt15iterator_traitsISG_E10value_typeEPNSM_ISH_E10value_typeEPSI_NS1_7vsmem_tEENKUlT_SG_SH_SI_E_clIS7_S7_SB_S7_EESF_SV_SG_SH_SI_EUlSV_E1_NS1_11comp_targetILNS1_3genE4ELNS1_11target_archE910ELNS1_3gpuE8ELNS1_3repE0EEENS1_36merge_oddeven_config_static_selectorELNS0_4arch9wavefront6targetE1EEEvSH_: ; @_ZN7rocprim17ROCPRIM_400000_NS6detail17trampoline_kernelINS0_14default_configENS1_38merge_sort_block_merge_config_selectorIllEEZZNS1_27merge_sort_block_merge_implIS3_PlN6thrust23THRUST_200600_302600_NS10device_ptrIlEEjNS1_19radix_merge_compareILb0ELb0ElNS0_19identity_decomposerEEEEE10hipError_tT0_T1_T2_jT3_P12ihipStream_tbPNSt15iterator_traitsISG_E10value_typeEPNSM_ISH_E10value_typeEPSI_NS1_7vsmem_tEENKUlT_SG_SH_SI_E_clIS7_S7_SB_S7_EESF_SV_SG_SH_SI_EUlSV_E1_NS1_11comp_targetILNS1_3genE4ELNS1_11target_archE910ELNS1_3gpuE8ELNS1_3repE0EEENS1_36merge_oddeven_config_static_selectorELNS0_4arch9wavefront6targetE1EEEvSH_
; %bb.0:
	.section	.rodata,"a",@progbits
	.p2align	6, 0x0
	.amdhsa_kernel _ZN7rocprim17ROCPRIM_400000_NS6detail17trampoline_kernelINS0_14default_configENS1_38merge_sort_block_merge_config_selectorIllEEZZNS1_27merge_sort_block_merge_implIS3_PlN6thrust23THRUST_200600_302600_NS10device_ptrIlEEjNS1_19radix_merge_compareILb0ELb0ElNS0_19identity_decomposerEEEEE10hipError_tT0_T1_T2_jT3_P12ihipStream_tbPNSt15iterator_traitsISG_E10value_typeEPNSM_ISH_E10value_typeEPSI_NS1_7vsmem_tEENKUlT_SG_SH_SI_E_clIS7_S7_SB_S7_EESF_SV_SG_SH_SI_EUlSV_E1_NS1_11comp_targetILNS1_3genE4ELNS1_11target_archE910ELNS1_3gpuE8ELNS1_3repE0EEENS1_36merge_oddeven_config_static_selectorELNS0_4arch9wavefront6targetE1EEEvSH_
		.amdhsa_group_segment_fixed_size 0
		.amdhsa_private_segment_fixed_size 0
		.amdhsa_kernarg_size 48
		.amdhsa_user_sgpr_count 6
		.amdhsa_user_sgpr_private_segment_buffer 1
		.amdhsa_user_sgpr_dispatch_ptr 0
		.amdhsa_user_sgpr_queue_ptr 0
		.amdhsa_user_sgpr_kernarg_segment_ptr 1
		.amdhsa_user_sgpr_dispatch_id 0
		.amdhsa_user_sgpr_flat_scratch_init 0
		.amdhsa_user_sgpr_private_segment_size 0
		.amdhsa_uses_dynamic_stack 0
		.amdhsa_system_sgpr_private_segment_wavefront_offset 0
		.amdhsa_system_sgpr_workgroup_id_x 1
		.amdhsa_system_sgpr_workgroup_id_y 0
		.amdhsa_system_sgpr_workgroup_id_z 0
		.amdhsa_system_sgpr_workgroup_info 0
		.amdhsa_system_vgpr_workitem_id 0
		.amdhsa_next_free_vgpr 1
		.amdhsa_next_free_sgpr 0
		.amdhsa_reserve_vcc 0
		.amdhsa_reserve_flat_scratch 0
		.amdhsa_float_round_mode_32 0
		.amdhsa_float_round_mode_16_64 0
		.amdhsa_float_denorm_mode_32 3
		.amdhsa_float_denorm_mode_16_64 3
		.amdhsa_dx10_clamp 1
		.amdhsa_ieee_mode 1
		.amdhsa_fp16_overflow 0
		.amdhsa_exception_fp_ieee_invalid_op 0
		.amdhsa_exception_fp_denorm_src 0
		.amdhsa_exception_fp_ieee_div_zero 0
		.amdhsa_exception_fp_ieee_overflow 0
		.amdhsa_exception_fp_ieee_underflow 0
		.amdhsa_exception_fp_ieee_inexact 0
		.amdhsa_exception_int_div_zero 0
	.end_amdhsa_kernel
	.section	.text._ZN7rocprim17ROCPRIM_400000_NS6detail17trampoline_kernelINS0_14default_configENS1_38merge_sort_block_merge_config_selectorIllEEZZNS1_27merge_sort_block_merge_implIS3_PlN6thrust23THRUST_200600_302600_NS10device_ptrIlEEjNS1_19radix_merge_compareILb0ELb0ElNS0_19identity_decomposerEEEEE10hipError_tT0_T1_T2_jT3_P12ihipStream_tbPNSt15iterator_traitsISG_E10value_typeEPNSM_ISH_E10value_typeEPSI_NS1_7vsmem_tEENKUlT_SG_SH_SI_E_clIS7_S7_SB_S7_EESF_SV_SG_SH_SI_EUlSV_E1_NS1_11comp_targetILNS1_3genE4ELNS1_11target_archE910ELNS1_3gpuE8ELNS1_3repE0EEENS1_36merge_oddeven_config_static_selectorELNS0_4arch9wavefront6targetE1EEEvSH_,"axG",@progbits,_ZN7rocprim17ROCPRIM_400000_NS6detail17trampoline_kernelINS0_14default_configENS1_38merge_sort_block_merge_config_selectorIllEEZZNS1_27merge_sort_block_merge_implIS3_PlN6thrust23THRUST_200600_302600_NS10device_ptrIlEEjNS1_19radix_merge_compareILb0ELb0ElNS0_19identity_decomposerEEEEE10hipError_tT0_T1_T2_jT3_P12ihipStream_tbPNSt15iterator_traitsISG_E10value_typeEPNSM_ISH_E10value_typeEPSI_NS1_7vsmem_tEENKUlT_SG_SH_SI_E_clIS7_S7_SB_S7_EESF_SV_SG_SH_SI_EUlSV_E1_NS1_11comp_targetILNS1_3genE4ELNS1_11target_archE910ELNS1_3gpuE8ELNS1_3repE0EEENS1_36merge_oddeven_config_static_selectorELNS0_4arch9wavefront6targetE1EEEvSH_,comdat
.Lfunc_end1053:
	.size	_ZN7rocprim17ROCPRIM_400000_NS6detail17trampoline_kernelINS0_14default_configENS1_38merge_sort_block_merge_config_selectorIllEEZZNS1_27merge_sort_block_merge_implIS3_PlN6thrust23THRUST_200600_302600_NS10device_ptrIlEEjNS1_19radix_merge_compareILb0ELb0ElNS0_19identity_decomposerEEEEE10hipError_tT0_T1_T2_jT3_P12ihipStream_tbPNSt15iterator_traitsISG_E10value_typeEPNSM_ISH_E10value_typeEPSI_NS1_7vsmem_tEENKUlT_SG_SH_SI_E_clIS7_S7_SB_S7_EESF_SV_SG_SH_SI_EUlSV_E1_NS1_11comp_targetILNS1_3genE4ELNS1_11target_archE910ELNS1_3gpuE8ELNS1_3repE0EEENS1_36merge_oddeven_config_static_selectorELNS0_4arch9wavefront6targetE1EEEvSH_, .Lfunc_end1053-_ZN7rocprim17ROCPRIM_400000_NS6detail17trampoline_kernelINS0_14default_configENS1_38merge_sort_block_merge_config_selectorIllEEZZNS1_27merge_sort_block_merge_implIS3_PlN6thrust23THRUST_200600_302600_NS10device_ptrIlEEjNS1_19radix_merge_compareILb0ELb0ElNS0_19identity_decomposerEEEEE10hipError_tT0_T1_T2_jT3_P12ihipStream_tbPNSt15iterator_traitsISG_E10value_typeEPNSM_ISH_E10value_typeEPSI_NS1_7vsmem_tEENKUlT_SG_SH_SI_E_clIS7_S7_SB_S7_EESF_SV_SG_SH_SI_EUlSV_E1_NS1_11comp_targetILNS1_3genE4ELNS1_11target_archE910ELNS1_3gpuE8ELNS1_3repE0EEENS1_36merge_oddeven_config_static_selectorELNS0_4arch9wavefront6targetE1EEEvSH_
                                        ; -- End function
	.set _ZN7rocprim17ROCPRIM_400000_NS6detail17trampoline_kernelINS0_14default_configENS1_38merge_sort_block_merge_config_selectorIllEEZZNS1_27merge_sort_block_merge_implIS3_PlN6thrust23THRUST_200600_302600_NS10device_ptrIlEEjNS1_19radix_merge_compareILb0ELb0ElNS0_19identity_decomposerEEEEE10hipError_tT0_T1_T2_jT3_P12ihipStream_tbPNSt15iterator_traitsISG_E10value_typeEPNSM_ISH_E10value_typeEPSI_NS1_7vsmem_tEENKUlT_SG_SH_SI_E_clIS7_S7_SB_S7_EESF_SV_SG_SH_SI_EUlSV_E1_NS1_11comp_targetILNS1_3genE4ELNS1_11target_archE910ELNS1_3gpuE8ELNS1_3repE0EEENS1_36merge_oddeven_config_static_selectorELNS0_4arch9wavefront6targetE1EEEvSH_.num_vgpr, 0
	.set _ZN7rocprim17ROCPRIM_400000_NS6detail17trampoline_kernelINS0_14default_configENS1_38merge_sort_block_merge_config_selectorIllEEZZNS1_27merge_sort_block_merge_implIS3_PlN6thrust23THRUST_200600_302600_NS10device_ptrIlEEjNS1_19radix_merge_compareILb0ELb0ElNS0_19identity_decomposerEEEEE10hipError_tT0_T1_T2_jT3_P12ihipStream_tbPNSt15iterator_traitsISG_E10value_typeEPNSM_ISH_E10value_typeEPSI_NS1_7vsmem_tEENKUlT_SG_SH_SI_E_clIS7_S7_SB_S7_EESF_SV_SG_SH_SI_EUlSV_E1_NS1_11comp_targetILNS1_3genE4ELNS1_11target_archE910ELNS1_3gpuE8ELNS1_3repE0EEENS1_36merge_oddeven_config_static_selectorELNS0_4arch9wavefront6targetE1EEEvSH_.num_agpr, 0
	.set _ZN7rocprim17ROCPRIM_400000_NS6detail17trampoline_kernelINS0_14default_configENS1_38merge_sort_block_merge_config_selectorIllEEZZNS1_27merge_sort_block_merge_implIS3_PlN6thrust23THRUST_200600_302600_NS10device_ptrIlEEjNS1_19radix_merge_compareILb0ELb0ElNS0_19identity_decomposerEEEEE10hipError_tT0_T1_T2_jT3_P12ihipStream_tbPNSt15iterator_traitsISG_E10value_typeEPNSM_ISH_E10value_typeEPSI_NS1_7vsmem_tEENKUlT_SG_SH_SI_E_clIS7_S7_SB_S7_EESF_SV_SG_SH_SI_EUlSV_E1_NS1_11comp_targetILNS1_3genE4ELNS1_11target_archE910ELNS1_3gpuE8ELNS1_3repE0EEENS1_36merge_oddeven_config_static_selectorELNS0_4arch9wavefront6targetE1EEEvSH_.numbered_sgpr, 0
	.set _ZN7rocprim17ROCPRIM_400000_NS6detail17trampoline_kernelINS0_14default_configENS1_38merge_sort_block_merge_config_selectorIllEEZZNS1_27merge_sort_block_merge_implIS3_PlN6thrust23THRUST_200600_302600_NS10device_ptrIlEEjNS1_19radix_merge_compareILb0ELb0ElNS0_19identity_decomposerEEEEE10hipError_tT0_T1_T2_jT3_P12ihipStream_tbPNSt15iterator_traitsISG_E10value_typeEPNSM_ISH_E10value_typeEPSI_NS1_7vsmem_tEENKUlT_SG_SH_SI_E_clIS7_S7_SB_S7_EESF_SV_SG_SH_SI_EUlSV_E1_NS1_11comp_targetILNS1_3genE4ELNS1_11target_archE910ELNS1_3gpuE8ELNS1_3repE0EEENS1_36merge_oddeven_config_static_selectorELNS0_4arch9wavefront6targetE1EEEvSH_.num_named_barrier, 0
	.set _ZN7rocprim17ROCPRIM_400000_NS6detail17trampoline_kernelINS0_14default_configENS1_38merge_sort_block_merge_config_selectorIllEEZZNS1_27merge_sort_block_merge_implIS3_PlN6thrust23THRUST_200600_302600_NS10device_ptrIlEEjNS1_19radix_merge_compareILb0ELb0ElNS0_19identity_decomposerEEEEE10hipError_tT0_T1_T2_jT3_P12ihipStream_tbPNSt15iterator_traitsISG_E10value_typeEPNSM_ISH_E10value_typeEPSI_NS1_7vsmem_tEENKUlT_SG_SH_SI_E_clIS7_S7_SB_S7_EESF_SV_SG_SH_SI_EUlSV_E1_NS1_11comp_targetILNS1_3genE4ELNS1_11target_archE910ELNS1_3gpuE8ELNS1_3repE0EEENS1_36merge_oddeven_config_static_selectorELNS0_4arch9wavefront6targetE1EEEvSH_.private_seg_size, 0
	.set _ZN7rocprim17ROCPRIM_400000_NS6detail17trampoline_kernelINS0_14default_configENS1_38merge_sort_block_merge_config_selectorIllEEZZNS1_27merge_sort_block_merge_implIS3_PlN6thrust23THRUST_200600_302600_NS10device_ptrIlEEjNS1_19radix_merge_compareILb0ELb0ElNS0_19identity_decomposerEEEEE10hipError_tT0_T1_T2_jT3_P12ihipStream_tbPNSt15iterator_traitsISG_E10value_typeEPNSM_ISH_E10value_typeEPSI_NS1_7vsmem_tEENKUlT_SG_SH_SI_E_clIS7_S7_SB_S7_EESF_SV_SG_SH_SI_EUlSV_E1_NS1_11comp_targetILNS1_3genE4ELNS1_11target_archE910ELNS1_3gpuE8ELNS1_3repE0EEENS1_36merge_oddeven_config_static_selectorELNS0_4arch9wavefront6targetE1EEEvSH_.uses_vcc, 0
	.set _ZN7rocprim17ROCPRIM_400000_NS6detail17trampoline_kernelINS0_14default_configENS1_38merge_sort_block_merge_config_selectorIllEEZZNS1_27merge_sort_block_merge_implIS3_PlN6thrust23THRUST_200600_302600_NS10device_ptrIlEEjNS1_19radix_merge_compareILb0ELb0ElNS0_19identity_decomposerEEEEE10hipError_tT0_T1_T2_jT3_P12ihipStream_tbPNSt15iterator_traitsISG_E10value_typeEPNSM_ISH_E10value_typeEPSI_NS1_7vsmem_tEENKUlT_SG_SH_SI_E_clIS7_S7_SB_S7_EESF_SV_SG_SH_SI_EUlSV_E1_NS1_11comp_targetILNS1_3genE4ELNS1_11target_archE910ELNS1_3gpuE8ELNS1_3repE0EEENS1_36merge_oddeven_config_static_selectorELNS0_4arch9wavefront6targetE1EEEvSH_.uses_flat_scratch, 0
	.set _ZN7rocprim17ROCPRIM_400000_NS6detail17trampoline_kernelINS0_14default_configENS1_38merge_sort_block_merge_config_selectorIllEEZZNS1_27merge_sort_block_merge_implIS3_PlN6thrust23THRUST_200600_302600_NS10device_ptrIlEEjNS1_19radix_merge_compareILb0ELb0ElNS0_19identity_decomposerEEEEE10hipError_tT0_T1_T2_jT3_P12ihipStream_tbPNSt15iterator_traitsISG_E10value_typeEPNSM_ISH_E10value_typeEPSI_NS1_7vsmem_tEENKUlT_SG_SH_SI_E_clIS7_S7_SB_S7_EESF_SV_SG_SH_SI_EUlSV_E1_NS1_11comp_targetILNS1_3genE4ELNS1_11target_archE910ELNS1_3gpuE8ELNS1_3repE0EEENS1_36merge_oddeven_config_static_selectorELNS0_4arch9wavefront6targetE1EEEvSH_.has_dyn_sized_stack, 0
	.set _ZN7rocprim17ROCPRIM_400000_NS6detail17trampoline_kernelINS0_14default_configENS1_38merge_sort_block_merge_config_selectorIllEEZZNS1_27merge_sort_block_merge_implIS3_PlN6thrust23THRUST_200600_302600_NS10device_ptrIlEEjNS1_19radix_merge_compareILb0ELb0ElNS0_19identity_decomposerEEEEE10hipError_tT0_T1_T2_jT3_P12ihipStream_tbPNSt15iterator_traitsISG_E10value_typeEPNSM_ISH_E10value_typeEPSI_NS1_7vsmem_tEENKUlT_SG_SH_SI_E_clIS7_S7_SB_S7_EESF_SV_SG_SH_SI_EUlSV_E1_NS1_11comp_targetILNS1_3genE4ELNS1_11target_archE910ELNS1_3gpuE8ELNS1_3repE0EEENS1_36merge_oddeven_config_static_selectorELNS0_4arch9wavefront6targetE1EEEvSH_.has_recursion, 0
	.set _ZN7rocprim17ROCPRIM_400000_NS6detail17trampoline_kernelINS0_14default_configENS1_38merge_sort_block_merge_config_selectorIllEEZZNS1_27merge_sort_block_merge_implIS3_PlN6thrust23THRUST_200600_302600_NS10device_ptrIlEEjNS1_19radix_merge_compareILb0ELb0ElNS0_19identity_decomposerEEEEE10hipError_tT0_T1_T2_jT3_P12ihipStream_tbPNSt15iterator_traitsISG_E10value_typeEPNSM_ISH_E10value_typeEPSI_NS1_7vsmem_tEENKUlT_SG_SH_SI_E_clIS7_S7_SB_S7_EESF_SV_SG_SH_SI_EUlSV_E1_NS1_11comp_targetILNS1_3genE4ELNS1_11target_archE910ELNS1_3gpuE8ELNS1_3repE0EEENS1_36merge_oddeven_config_static_selectorELNS0_4arch9wavefront6targetE1EEEvSH_.has_indirect_call, 0
	.section	.AMDGPU.csdata,"",@progbits
; Kernel info:
; codeLenInByte = 0
; TotalNumSgprs: 4
; NumVgprs: 0
; ScratchSize: 0
; MemoryBound: 0
; FloatMode: 240
; IeeeMode: 1
; LDSByteSize: 0 bytes/workgroup (compile time only)
; SGPRBlocks: 0
; VGPRBlocks: 0
; NumSGPRsForWavesPerEU: 4
; NumVGPRsForWavesPerEU: 1
; Occupancy: 10
; WaveLimiterHint : 0
; COMPUTE_PGM_RSRC2:SCRATCH_EN: 0
; COMPUTE_PGM_RSRC2:USER_SGPR: 6
; COMPUTE_PGM_RSRC2:TRAP_HANDLER: 0
; COMPUTE_PGM_RSRC2:TGID_X_EN: 1
; COMPUTE_PGM_RSRC2:TGID_Y_EN: 0
; COMPUTE_PGM_RSRC2:TGID_Z_EN: 0
; COMPUTE_PGM_RSRC2:TIDIG_COMP_CNT: 0
	.section	.text._ZN7rocprim17ROCPRIM_400000_NS6detail17trampoline_kernelINS0_14default_configENS1_38merge_sort_block_merge_config_selectorIllEEZZNS1_27merge_sort_block_merge_implIS3_PlN6thrust23THRUST_200600_302600_NS10device_ptrIlEEjNS1_19radix_merge_compareILb0ELb0ElNS0_19identity_decomposerEEEEE10hipError_tT0_T1_T2_jT3_P12ihipStream_tbPNSt15iterator_traitsISG_E10value_typeEPNSM_ISH_E10value_typeEPSI_NS1_7vsmem_tEENKUlT_SG_SH_SI_E_clIS7_S7_SB_S7_EESF_SV_SG_SH_SI_EUlSV_E1_NS1_11comp_targetILNS1_3genE3ELNS1_11target_archE908ELNS1_3gpuE7ELNS1_3repE0EEENS1_36merge_oddeven_config_static_selectorELNS0_4arch9wavefront6targetE1EEEvSH_,"axG",@progbits,_ZN7rocprim17ROCPRIM_400000_NS6detail17trampoline_kernelINS0_14default_configENS1_38merge_sort_block_merge_config_selectorIllEEZZNS1_27merge_sort_block_merge_implIS3_PlN6thrust23THRUST_200600_302600_NS10device_ptrIlEEjNS1_19radix_merge_compareILb0ELb0ElNS0_19identity_decomposerEEEEE10hipError_tT0_T1_T2_jT3_P12ihipStream_tbPNSt15iterator_traitsISG_E10value_typeEPNSM_ISH_E10value_typeEPSI_NS1_7vsmem_tEENKUlT_SG_SH_SI_E_clIS7_S7_SB_S7_EESF_SV_SG_SH_SI_EUlSV_E1_NS1_11comp_targetILNS1_3genE3ELNS1_11target_archE908ELNS1_3gpuE7ELNS1_3repE0EEENS1_36merge_oddeven_config_static_selectorELNS0_4arch9wavefront6targetE1EEEvSH_,comdat
	.protected	_ZN7rocprim17ROCPRIM_400000_NS6detail17trampoline_kernelINS0_14default_configENS1_38merge_sort_block_merge_config_selectorIllEEZZNS1_27merge_sort_block_merge_implIS3_PlN6thrust23THRUST_200600_302600_NS10device_ptrIlEEjNS1_19radix_merge_compareILb0ELb0ElNS0_19identity_decomposerEEEEE10hipError_tT0_T1_T2_jT3_P12ihipStream_tbPNSt15iterator_traitsISG_E10value_typeEPNSM_ISH_E10value_typeEPSI_NS1_7vsmem_tEENKUlT_SG_SH_SI_E_clIS7_S7_SB_S7_EESF_SV_SG_SH_SI_EUlSV_E1_NS1_11comp_targetILNS1_3genE3ELNS1_11target_archE908ELNS1_3gpuE7ELNS1_3repE0EEENS1_36merge_oddeven_config_static_selectorELNS0_4arch9wavefront6targetE1EEEvSH_ ; -- Begin function _ZN7rocprim17ROCPRIM_400000_NS6detail17trampoline_kernelINS0_14default_configENS1_38merge_sort_block_merge_config_selectorIllEEZZNS1_27merge_sort_block_merge_implIS3_PlN6thrust23THRUST_200600_302600_NS10device_ptrIlEEjNS1_19radix_merge_compareILb0ELb0ElNS0_19identity_decomposerEEEEE10hipError_tT0_T1_T2_jT3_P12ihipStream_tbPNSt15iterator_traitsISG_E10value_typeEPNSM_ISH_E10value_typeEPSI_NS1_7vsmem_tEENKUlT_SG_SH_SI_E_clIS7_S7_SB_S7_EESF_SV_SG_SH_SI_EUlSV_E1_NS1_11comp_targetILNS1_3genE3ELNS1_11target_archE908ELNS1_3gpuE7ELNS1_3repE0EEENS1_36merge_oddeven_config_static_selectorELNS0_4arch9wavefront6targetE1EEEvSH_
	.globl	_ZN7rocprim17ROCPRIM_400000_NS6detail17trampoline_kernelINS0_14default_configENS1_38merge_sort_block_merge_config_selectorIllEEZZNS1_27merge_sort_block_merge_implIS3_PlN6thrust23THRUST_200600_302600_NS10device_ptrIlEEjNS1_19radix_merge_compareILb0ELb0ElNS0_19identity_decomposerEEEEE10hipError_tT0_T1_T2_jT3_P12ihipStream_tbPNSt15iterator_traitsISG_E10value_typeEPNSM_ISH_E10value_typeEPSI_NS1_7vsmem_tEENKUlT_SG_SH_SI_E_clIS7_S7_SB_S7_EESF_SV_SG_SH_SI_EUlSV_E1_NS1_11comp_targetILNS1_3genE3ELNS1_11target_archE908ELNS1_3gpuE7ELNS1_3repE0EEENS1_36merge_oddeven_config_static_selectorELNS0_4arch9wavefront6targetE1EEEvSH_
	.p2align	8
	.type	_ZN7rocprim17ROCPRIM_400000_NS6detail17trampoline_kernelINS0_14default_configENS1_38merge_sort_block_merge_config_selectorIllEEZZNS1_27merge_sort_block_merge_implIS3_PlN6thrust23THRUST_200600_302600_NS10device_ptrIlEEjNS1_19radix_merge_compareILb0ELb0ElNS0_19identity_decomposerEEEEE10hipError_tT0_T1_T2_jT3_P12ihipStream_tbPNSt15iterator_traitsISG_E10value_typeEPNSM_ISH_E10value_typeEPSI_NS1_7vsmem_tEENKUlT_SG_SH_SI_E_clIS7_S7_SB_S7_EESF_SV_SG_SH_SI_EUlSV_E1_NS1_11comp_targetILNS1_3genE3ELNS1_11target_archE908ELNS1_3gpuE7ELNS1_3repE0EEENS1_36merge_oddeven_config_static_selectorELNS0_4arch9wavefront6targetE1EEEvSH_,@function
_ZN7rocprim17ROCPRIM_400000_NS6detail17trampoline_kernelINS0_14default_configENS1_38merge_sort_block_merge_config_selectorIllEEZZNS1_27merge_sort_block_merge_implIS3_PlN6thrust23THRUST_200600_302600_NS10device_ptrIlEEjNS1_19radix_merge_compareILb0ELb0ElNS0_19identity_decomposerEEEEE10hipError_tT0_T1_T2_jT3_P12ihipStream_tbPNSt15iterator_traitsISG_E10value_typeEPNSM_ISH_E10value_typeEPSI_NS1_7vsmem_tEENKUlT_SG_SH_SI_E_clIS7_S7_SB_S7_EESF_SV_SG_SH_SI_EUlSV_E1_NS1_11comp_targetILNS1_3genE3ELNS1_11target_archE908ELNS1_3gpuE7ELNS1_3repE0EEENS1_36merge_oddeven_config_static_selectorELNS0_4arch9wavefront6targetE1EEEvSH_: ; @_ZN7rocprim17ROCPRIM_400000_NS6detail17trampoline_kernelINS0_14default_configENS1_38merge_sort_block_merge_config_selectorIllEEZZNS1_27merge_sort_block_merge_implIS3_PlN6thrust23THRUST_200600_302600_NS10device_ptrIlEEjNS1_19radix_merge_compareILb0ELb0ElNS0_19identity_decomposerEEEEE10hipError_tT0_T1_T2_jT3_P12ihipStream_tbPNSt15iterator_traitsISG_E10value_typeEPNSM_ISH_E10value_typeEPSI_NS1_7vsmem_tEENKUlT_SG_SH_SI_E_clIS7_S7_SB_S7_EESF_SV_SG_SH_SI_EUlSV_E1_NS1_11comp_targetILNS1_3genE3ELNS1_11target_archE908ELNS1_3gpuE7ELNS1_3repE0EEENS1_36merge_oddeven_config_static_selectorELNS0_4arch9wavefront6targetE1EEEvSH_
; %bb.0:
	.section	.rodata,"a",@progbits
	.p2align	6, 0x0
	.amdhsa_kernel _ZN7rocprim17ROCPRIM_400000_NS6detail17trampoline_kernelINS0_14default_configENS1_38merge_sort_block_merge_config_selectorIllEEZZNS1_27merge_sort_block_merge_implIS3_PlN6thrust23THRUST_200600_302600_NS10device_ptrIlEEjNS1_19radix_merge_compareILb0ELb0ElNS0_19identity_decomposerEEEEE10hipError_tT0_T1_T2_jT3_P12ihipStream_tbPNSt15iterator_traitsISG_E10value_typeEPNSM_ISH_E10value_typeEPSI_NS1_7vsmem_tEENKUlT_SG_SH_SI_E_clIS7_S7_SB_S7_EESF_SV_SG_SH_SI_EUlSV_E1_NS1_11comp_targetILNS1_3genE3ELNS1_11target_archE908ELNS1_3gpuE7ELNS1_3repE0EEENS1_36merge_oddeven_config_static_selectorELNS0_4arch9wavefront6targetE1EEEvSH_
		.amdhsa_group_segment_fixed_size 0
		.amdhsa_private_segment_fixed_size 0
		.amdhsa_kernarg_size 48
		.amdhsa_user_sgpr_count 6
		.amdhsa_user_sgpr_private_segment_buffer 1
		.amdhsa_user_sgpr_dispatch_ptr 0
		.amdhsa_user_sgpr_queue_ptr 0
		.amdhsa_user_sgpr_kernarg_segment_ptr 1
		.amdhsa_user_sgpr_dispatch_id 0
		.amdhsa_user_sgpr_flat_scratch_init 0
		.amdhsa_user_sgpr_private_segment_size 0
		.amdhsa_uses_dynamic_stack 0
		.amdhsa_system_sgpr_private_segment_wavefront_offset 0
		.amdhsa_system_sgpr_workgroup_id_x 1
		.amdhsa_system_sgpr_workgroup_id_y 0
		.amdhsa_system_sgpr_workgroup_id_z 0
		.amdhsa_system_sgpr_workgroup_info 0
		.amdhsa_system_vgpr_workitem_id 0
		.amdhsa_next_free_vgpr 1
		.amdhsa_next_free_sgpr 0
		.amdhsa_reserve_vcc 0
		.amdhsa_reserve_flat_scratch 0
		.amdhsa_float_round_mode_32 0
		.amdhsa_float_round_mode_16_64 0
		.amdhsa_float_denorm_mode_32 3
		.amdhsa_float_denorm_mode_16_64 3
		.amdhsa_dx10_clamp 1
		.amdhsa_ieee_mode 1
		.amdhsa_fp16_overflow 0
		.amdhsa_exception_fp_ieee_invalid_op 0
		.amdhsa_exception_fp_denorm_src 0
		.amdhsa_exception_fp_ieee_div_zero 0
		.amdhsa_exception_fp_ieee_overflow 0
		.amdhsa_exception_fp_ieee_underflow 0
		.amdhsa_exception_fp_ieee_inexact 0
		.amdhsa_exception_int_div_zero 0
	.end_amdhsa_kernel
	.section	.text._ZN7rocprim17ROCPRIM_400000_NS6detail17trampoline_kernelINS0_14default_configENS1_38merge_sort_block_merge_config_selectorIllEEZZNS1_27merge_sort_block_merge_implIS3_PlN6thrust23THRUST_200600_302600_NS10device_ptrIlEEjNS1_19radix_merge_compareILb0ELb0ElNS0_19identity_decomposerEEEEE10hipError_tT0_T1_T2_jT3_P12ihipStream_tbPNSt15iterator_traitsISG_E10value_typeEPNSM_ISH_E10value_typeEPSI_NS1_7vsmem_tEENKUlT_SG_SH_SI_E_clIS7_S7_SB_S7_EESF_SV_SG_SH_SI_EUlSV_E1_NS1_11comp_targetILNS1_3genE3ELNS1_11target_archE908ELNS1_3gpuE7ELNS1_3repE0EEENS1_36merge_oddeven_config_static_selectorELNS0_4arch9wavefront6targetE1EEEvSH_,"axG",@progbits,_ZN7rocprim17ROCPRIM_400000_NS6detail17trampoline_kernelINS0_14default_configENS1_38merge_sort_block_merge_config_selectorIllEEZZNS1_27merge_sort_block_merge_implIS3_PlN6thrust23THRUST_200600_302600_NS10device_ptrIlEEjNS1_19radix_merge_compareILb0ELb0ElNS0_19identity_decomposerEEEEE10hipError_tT0_T1_T2_jT3_P12ihipStream_tbPNSt15iterator_traitsISG_E10value_typeEPNSM_ISH_E10value_typeEPSI_NS1_7vsmem_tEENKUlT_SG_SH_SI_E_clIS7_S7_SB_S7_EESF_SV_SG_SH_SI_EUlSV_E1_NS1_11comp_targetILNS1_3genE3ELNS1_11target_archE908ELNS1_3gpuE7ELNS1_3repE0EEENS1_36merge_oddeven_config_static_selectorELNS0_4arch9wavefront6targetE1EEEvSH_,comdat
.Lfunc_end1054:
	.size	_ZN7rocprim17ROCPRIM_400000_NS6detail17trampoline_kernelINS0_14default_configENS1_38merge_sort_block_merge_config_selectorIllEEZZNS1_27merge_sort_block_merge_implIS3_PlN6thrust23THRUST_200600_302600_NS10device_ptrIlEEjNS1_19radix_merge_compareILb0ELb0ElNS0_19identity_decomposerEEEEE10hipError_tT0_T1_T2_jT3_P12ihipStream_tbPNSt15iterator_traitsISG_E10value_typeEPNSM_ISH_E10value_typeEPSI_NS1_7vsmem_tEENKUlT_SG_SH_SI_E_clIS7_S7_SB_S7_EESF_SV_SG_SH_SI_EUlSV_E1_NS1_11comp_targetILNS1_3genE3ELNS1_11target_archE908ELNS1_3gpuE7ELNS1_3repE0EEENS1_36merge_oddeven_config_static_selectorELNS0_4arch9wavefront6targetE1EEEvSH_, .Lfunc_end1054-_ZN7rocprim17ROCPRIM_400000_NS6detail17trampoline_kernelINS0_14default_configENS1_38merge_sort_block_merge_config_selectorIllEEZZNS1_27merge_sort_block_merge_implIS3_PlN6thrust23THRUST_200600_302600_NS10device_ptrIlEEjNS1_19radix_merge_compareILb0ELb0ElNS0_19identity_decomposerEEEEE10hipError_tT0_T1_T2_jT3_P12ihipStream_tbPNSt15iterator_traitsISG_E10value_typeEPNSM_ISH_E10value_typeEPSI_NS1_7vsmem_tEENKUlT_SG_SH_SI_E_clIS7_S7_SB_S7_EESF_SV_SG_SH_SI_EUlSV_E1_NS1_11comp_targetILNS1_3genE3ELNS1_11target_archE908ELNS1_3gpuE7ELNS1_3repE0EEENS1_36merge_oddeven_config_static_selectorELNS0_4arch9wavefront6targetE1EEEvSH_
                                        ; -- End function
	.set _ZN7rocprim17ROCPRIM_400000_NS6detail17trampoline_kernelINS0_14default_configENS1_38merge_sort_block_merge_config_selectorIllEEZZNS1_27merge_sort_block_merge_implIS3_PlN6thrust23THRUST_200600_302600_NS10device_ptrIlEEjNS1_19radix_merge_compareILb0ELb0ElNS0_19identity_decomposerEEEEE10hipError_tT0_T1_T2_jT3_P12ihipStream_tbPNSt15iterator_traitsISG_E10value_typeEPNSM_ISH_E10value_typeEPSI_NS1_7vsmem_tEENKUlT_SG_SH_SI_E_clIS7_S7_SB_S7_EESF_SV_SG_SH_SI_EUlSV_E1_NS1_11comp_targetILNS1_3genE3ELNS1_11target_archE908ELNS1_3gpuE7ELNS1_3repE0EEENS1_36merge_oddeven_config_static_selectorELNS0_4arch9wavefront6targetE1EEEvSH_.num_vgpr, 0
	.set _ZN7rocprim17ROCPRIM_400000_NS6detail17trampoline_kernelINS0_14default_configENS1_38merge_sort_block_merge_config_selectorIllEEZZNS1_27merge_sort_block_merge_implIS3_PlN6thrust23THRUST_200600_302600_NS10device_ptrIlEEjNS1_19radix_merge_compareILb0ELb0ElNS0_19identity_decomposerEEEEE10hipError_tT0_T1_T2_jT3_P12ihipStream_tbPNSt15iterator_traitsISG_E10value_typeEPNSM_ISH_E10value_typeEPSI_NS1_7vsmem_tEENKUlT_SG_SH_SI_E_clIS7_S7_SB_S7_EESF_SV_SG_SH_SI_EUlSV_E1_NS1_11comp_targetILNS1_3genE3ELNS1_11target_archE908ELNS1_3gpuE7ELNS1_3repE0EEENS1_36merge_oddeven_config_static_selectorELNS0_4arch9wavefront6targetE1EEEvSH_.num_agpr, 0
	.set _ZN7rocprim17ROCPRIM_400000_NS6detail17trampoline_kernelINS0_14default_configENS1_38merge_sort_block_merge_config_selectorIllEEZZNS1_27merge_sort_block_merge_implIS3_PlN6thrust23THRUST_200600_302600_NS10device_ptrIlEEjNS1_19radix_merge_compareILb0ELb0ElNS0_19identity_decomposerEEEEE10hipError_tT0_T1_T2_jT3_P12ihipStream_tbPNSt15iterator_traitsISG_E10value_typeEPNSM_ISH_E10value_typeEPSI_NS1_7vsmem_tEENKUlT_SG_SH_SI_E_clIS7_S7_SB_S7_EESF_SV_SG_SH_SI_EUlSV_E1_NS1_11comp_targetILNS1_3genE3ELNS1_11target_archE908ELNS1_3gpuE7ELNS1_3repE0EEENS1_36merge_oddeven_config_static_selectorELNS0_4arch9wavefront6targetE1EEEvSH_.numbered_sgpr, 0
	.set _ZN7rocprim17ROCPRIM_400000_NS6detail17trampoline_kernelINS0_14default_configENS1_38merge_sort_block_merge_config_selectorIllEEZZNS1_27merge_sort_block_merge_implIS3_PlN6thrust23THRUST_200600_302600_NS10device_ptrIlEEjNS1_19radix_merge_compareILb0ELb0ElNS0_19identity_decomposerEEEEE10hipError_tT0_T1_T2_jT3_P12ihipStream_tbPNSt15iterator_traitsISG_E10value_typeEPNSM_ISH_E10value_typeEPSI_NS1_7vsmem_tEENKUlT_SG_SH_SI_E_clIS7_S7_SB_S7_EESF_SV_SG_SH_SI_EUlSV_E1_NS1_11comp_targetILNS1_3genE3ELNS1_11target_archE908ELNS1_3gpuE7ELNS1_3repE0EEENS1_36merge_oddeven_config_static_selectorELNS0_4arch9wavefront6targetE1EEEvSH_.num_named_barrier, 0
	.set _ZN7rocprim17ROCPRIM_400000_NS6detail17trampoline_kernelINS0_14default_configENS1_38merge_sort_block_merge_config_selectorIllEEZZNS1_27merge_sort_block_merge_implIS3_PlN6thrust23THRUST_200600_302600_NS10device_ptrIlEEjNS1_19radix_merge_compareILb0ELb0ElNS0_19identity_decomposerEEEEE10hipError_tT0_T1_T2_jT3_P12ihipStream_tbPNSt15iterator_traitsISG_E10value_typeEPNSM_ISH_E10value_typeEPSI_NS1_7vsmem_tEENKUlT_SG_SH_SI_E_clIS7_S7_SB_S7_EESF_SV_SG_SH_SI_EUlSV_E1_NS1_11comp_targetILNS1_3genE3ELNS1_11target_archE908ELNS1_3gpuE7ELNS1_3repE0EEENS1_36merge_oddeven_config_static_selectorELNS0_4arch9wavefront6targetE1EEEvSH_.private_seg_size, 0
	.set _ZN7rocprim17ROCPRIM_400000_NS6detail17trampoline_kernelINS0_14default_configENS1_38merge_sort_block_merge_config_selectorIllEEZZNS1_27merge_sort_block_merge_implIS3_PlN6thrust23THRUST_200600_302600_NS10device_ptrIlEEjNS1_19radix_merge_compareILb0ELb0ElNS0_19identity_decomposerEEEEE10hipError_tT0_T1_T2_jT3_P12ihipStream_tbPNSt15iterator_traitsISG_E10value_typeEPNSM_ISH_E10value_typeEPSI_NS1_7vsmem_tEENKUlT_SG_SH_SI_E_clIS7_S7_SB_S7_EESF_SV_SG_SH_SI_EUlSV_E1_NS1_11comp_targetILNS1_3genE3ELNS1_11target_archE908ELNS1_3gpuE7ELNS1_3repE0EEENS1_36merge_oddeven_config_static_selectorELNS0_4arch9wavefront6targetE1EEEvSH_.uses_vcc, 0
	.set _ZN7rocprim17ROCPRIM_400000_NS6detail17trampoline_kernelINS0_14default_configENS1_38merge_sort_block_merge_config_selectorIllEEZZNS1_27merge_sort_block_merge_implIS3_PlN6thrust23THRUST_200600_302600_NS10device_ptrIlEEjNS1_19radix_merge_compareILb0ELb0ElNS0_19identity_decomposerEEEEE10hipError_tT0_T1_T2_jT3_P12ihipStream_tbPNSt15iterator_traitsISG_E10value_typeEPNSM_ISH_E10value_typeEPSI_NS1_7vsmem_tEENKUlT_SG_SH_SI_E_clIS7_S7_SB_S7_EESF_SV_SG_SH_SI_EUlSV_E1_NS1_11comp_targetILNS1_3genE3ELNS1_11target_archE908ELNS1_3gpuE7ELNS1_3repE0EEENS1_36merge_oddeven_config_static_selectorELNS0_4arch9wavefront6targetE1EEEvSH_.uses_flat_scratch, 0
	.set _ZN7rocprim17ROCPRIM_400000_NS6detail17trampoline_kernelINS0_14default_configENS1_38merge_sort_block_merge_config_selectorIllEEZZNS1_27merge_sort_block_merge_implIS3_PlN6thrust23THRUST_200600_302600_NS10device_ptrIlEEjNS1_19radix_merge_compareILb0ELb0ElNS0_19identity_decomposerEEEEE10hipError_tT0_T1_T2_jT3_P12ihipStream_tbPNSt15iterator_traitsISG_E10value_typeEPNSM_ISH_E10value_typeEPSI_NS1_7vsmem_tEENKUlT_SG_SH_SI_E_clIS7_S7_SB_S7_EESF_SV_SG_SH_SI_EUlSV_E1_NS1_11comp_targetILNS1_3genE3ELNS1_11target_archE908ELNS1_3gpuE7ELNS1_3repE0EEENS1_36merge_oddeven_config_static_selectorELNS0_4arch9wavefront6targetE1EEEvSH_.has_dyn_sized_stack, 0
	.set _ZN7rocprim17ROCPRIM_400000_NS6detail17trampoline_kernelINS0_14default_configENS1_38merge_sort_block_merge_config_selectorIllEEZZNS1_27merge_sort_block_merge_implIS3_PlN6thrust23THRUST_200600_302600_NS10device_ptrIlEEjNS1_19radix_merge_compareILb0ELb0ElNS0_19identity_decomposerEEEEE10hipError_tT0_T1_T2_jT3_P12ihipStream_tbPNSt15iterator_traitsISG_E10value_typeEPNSM_ISH_E10value_typeEPSI_NS1_7vsmem_tEENKUlT_SG_SH_SI_E_clIS7_S7_SB_S7_EESF_SV_SG_SH_SI_EUlSV_E1_NS1_11comp_targetILNS1_3genE3ELNS1_11target_archE908ELNS1_3gpuE7ELNS1_3repE0EEENS1_36merge_oddeven_config_static_selectorELNS0_4arch9wavefront6targetE1EEEvSH_.has_recursion, 0
	.set _ZN7rocprim17ROCPRIM_400000_NS6detail17trampoline_kernelINS0_14default_configENS1_38merge_sort_block_merge_config_selectorIllEEZZNS1_27merge_sort_block_merge_implIS3_PlN6thrust23THRUST_200600_302600_NS10device_ptrIlEEjNS1_19radix_merge_compareILb0ELb0ElNS0_19identity_decomposerEEEEE10hipError_tT0_T1_T2_jT3_P12ihipStream_tbPNSt15iterator_traitsISG_E10value_typeEPNSM_ISH_E10value_typeEPSI_NS1_7vsmem_tEENKUlT_SG_SH_SI_E_clIS7_S7_SB_S7_EESF_SV_SG_SH_SI_EUlSV_E1_NS1_11comp_targetILNS1_3genE3ELNS1_11target_archE908ELNS1_3gpuE7ELNS1_3repE0EEENS1_36merge_oddeven_config_static_selectorELNS0_4arch9wavefront6targetE1EEEvSH_.has_indirect_call, 0
	.section	.AMDGPU.csdata,"",@progbits
; Kernel info:
; codeLenInByte = 0
; TotalNumSgprs: 4
; NumVgprs: 0
; ScratchSize: 0
; MemoryBound: 0
; FloatMode: 240
; IeeeMode: 1
; LDSByteSize: 0 bytes/workgroup (compile time only)
; SGPRBlocks: 0
; VGPRBlocks: 0
; NumSGPRsForWavesPerEU: 4
; NumVGPRsForWavesPerEU: 1
; Occupancy: 10
; WaveLimiterHint : 0
; COMPUTE_PGM_RSRC2:SCRATCH_EN: 0
; COMPUTE_PGM_RSRC2:USER_SGPR: 6
; COMPUTE_PGM_RSRC2:TRAP_HANDLER: 0
; COMPUTE_PGM_RSRC2:TGID_X_EN: 1
; COMPUTE_PGM_RSRC2:TGID_Y_EN: 0
; COMPUTE_PGM_RSRC2:TGID_Z_EN: 0
; COMPUTE_PGM_RSRC2:TIDIG_COMP_CNT: 0
	.section	.text._ZN7rocprim17ROCPRIM_400000_NS6detail17trampoline_kernelINS0_14default_configENS1_38merge_sort_block_merge_config_selectorIllEEZZNS1_27merge_sort_block_merge_implIS3_PlN6thrust23THRUST_200600_302600_NS10device_ptrIlEEjNS1_19radix_merge_compareILb0ELb0ElNS0_19identity_decomposerEEEEE10hipError_tT0_T1_T2_jT3_P12ihipStream_tbPNSt15iterator_traitsISG_E10value_typeEPNSM_ISH_E10value_typeEPSI_NS1_7vsmem_tEENKUlT_SG_SH_SI_E_clIS7_S7_SB_S7_EESF_SV_SG_SH_SI_EUlSV_E1_NS1_11comp_targetILNS1_3genE2ELNS1_11target_archE906ELNS1_3gpuE6ELNS1_3repE0EEENS1_36merge_oddeven_config_static_selectorELNS0_4arch9wavefront6targetE1EEEvSH_,"axG",@progbits,_ZN7rocprim17ROCPRIM_400000_NS6detail17trampoline_kernelINS0_14default_configENS1_38merge_sort_block_merge_config_selectorIllEEZZNS1_27merge_sort_block_merge_implIS3_PlN6thrust23THRUST_200600_302600_NS10device_ptrIlEEjNS1_19radix_merge_compareILb0ELb0ElNS0_19identity_decomposerEEEEE10hipError_tT0_T1_T2_jT3_P12ihipStream_tbPNSt15iterator_traitsISG_E10value_typeEPNSM_ISH_E10value_typeEPSI_NS1_7vsmem_tEENKUlT_SG_SH_SI_E_clIS7_S7_SB_S7_EESF_SV_SG_SH_SI_EUlSV_E1_NS1_11comp_targetILNS1_3genE2ELNS1_11target_archE906ELNS1_3gpuE6ELNS1_3repE0EEENS1_36merge_oddeven_config_static_selectorELNS0_4arch9wavefront6targetE1EEEvSH_,comdat
	.protected	_ZN7rocprim17ROCPRIM_400000_NS6detail17trampoline_kernelINS0_14default_configENS1_38merge_sort_block_merge_config_selectorIllEEZZNS1_27merge_sort_block_merge_implIS3_PlN6thrust23THRUST_200600_302600_NS10device_ptrIlEEjNS1_19radix_merge_compareILb0ELb0ElNS0_19identity_decomposerEEEEE10hipError_tT0_T1_T2_jT3_P12ihipStream_tbPNSt15iterator_traitsISG_E10value_typeEPNSM_ISH_E10value_typeEPSI_NS1_7vsmem_tEENKUlT_SG_SH_SI_E_clIS7_S7_SB_S7_EESF_SV_SG_SH_SI_EUlSV_E1_NS1_11comp_targetILNS1_3genE2ELNS1_11target_archE906ELNS1_3gpuE6ELNS1_3repE0EEENS1_36merge_oddeven_config_static_selectorELNS0_4arch9wavefront6targetE1EEEvSH_ ; -- Begin function _ZN7rocprim17ROCPRIM_400000_NS6detail17trampoline_kernelINS0_14default_configENS1_38merge_sort_block_merge_config_selectorIllEEZZNS1_27merge_sort_block_merge_implIS3_PlN6thrust23THRUST_200600_302600_NS10device_ptrIlEEjNS1_19radix_merge_compareILb0ELb0ElNS0_19identity_decomposerEEEEE10hipError_tT0_T1_T2_jT3_P12ihipStream_tbPNSt15iterator_traitsISG_E10value_typeEPNSM_ISH_E10value_typeEPSI_NS1_7vsmem_tEENKUlT_SG_SH_SI_E_clIS7_S7_SB_S7_EESF_SV_SG_SH_SI_EUlSV_E1_NS1_11comp_targetILNS1_3genE2ELNS1_11target_archE906ELNS1_3gpuE6ELNS1_3repE0EEENS1_36merge_oddeven_config_static_selectorELNS0_4arch9wavefront6targetE1EEEvSH_
	.globl	_ZN7rocprim17ROCPRIM_400000_NS6detail17trampoline_kernelINS0_14default_configENS1_38merge_sort_block_merge_config_selectorIllEEZZNS1_27merge_sort_block_merge_implIS3_PlN6thrust23THRUST_200600_302600_NS10device_ptrIlEEjNS1_19radix_merge_compareILb0ELb0ElNS0_19identity_decomposerEEEEE10hipError_tT0_T1_T2_jT3_P12ihipStream_tbPNSt15iterator_traitsISG_E10value_typeEPNSM_ISH_E10value_typeEPSI_NS1_7vsmem_tEENKUlT_SG_SH_SI_E_clIS7_S7_SB_S7_EESF_SV_SG_SH_SI_EUlSV_E1_NS1_11comp_targetILNS1_3genE2ELNS1_11target_archE906ELNS1_3gpuE6ELNS1_3repE0EEENS1_36merge_oddeven_config_static_selectorELNS0_4arch9wavefront6targetE1EEEvSH_
	.p2align	8
	.type	_ZN7rocprim17ROCPRIM_400000_NS6detail17trampoline_kernelINS0_14default_configENS1_38merge_sort_block_merge_config_selectorIllEEZZNS1_27merge_sort_block_merge_implIS3_PlN6thrust23THRUST_200600_302600_NS10device_ptrIlEEjNS1_19radix_merge_compareILb0ELb0ElNS0_19identity_decomposerEEEEE10hipError_tT0_T1_T2_jT3_P12ihipStream_tbPNSt15iterator_traitsISG_E10value_typeEPNSM_ISH_E10value_typeEPSI_NS1_7vsmem_tEENKUlT_SG_SH_SI_E_clIS7_S7_SB_S7_EESF_SV_SG_SH_SI_EUlSV_E1_NS1_11comp_targetILNS1_3genE2ELNS1_11target_archE906ELNS1_3gpuE6ELNS1_3repE0EEENS1_36merge_oddeven_config_static_selectorELNS0_4arch9wavefront6targetE1EEEvSH_,@function
_ZN7rocprim17ROCPRIM_400000_NS6detail17trampoline_kernelINS0_14default_configENS1_38merge_sort_block_merge_config_selectorIllEEZZNS1_27merge_sort_block_merge_implIS3_PlN6thrust23THRUST_200600_302600_NS10device_ptrIlEEjNS1_19radix_merge_compareILb0ELb0ElNS0_19identity_decomposerEEEEE10hipError_tT0_T1_T2_jT3_P12ihipStream_tbPNSt15iterator_traitsISG_E10value_typeEPNSM_ISH_E10value_typeEPSI_NS1_7vsmem_tEENKUlT_SG_SH_SI_E_clIS7_S7_SB_S7_EESF_SV_SG_SH_SI_EUlSV_E1_NS1_11comp_targetILNS1_3genE2ELNS1_11target_archE906ELNS1_3gpuE6ELNS1_3repE0EEENS1_36merge_oddeven_config_static_selectorELNS0_4arch9wavefront6targetE1EEEvSH_: ; @_ZN7rocprim17ROCPRIM_400000_NS6detail17trampoline_kernelINS0_14default_configENS1_38merge_sort_block_merge_config_selectorIllEEZZNS1_27merge_sort_block_merge_implIS3_PlN6thrust23THRUST_200600_302600_NS10device_ptrIlEEjNS1_19radix_merge_compareILb0ELb0ElNS0_19identity_decomposerEEEEE10hipError_tT0_T1_T2_jT3_P12ihipStream_tbPNSt15iterator_traitsISG_E10value_typeEPNSM_ISH_E10value_typeEPSI_NS1_7vsmem_tEENKUlT_SG_SH_SI_E_clIS7_S7_SB_S7_EESF_SV_SG_SH_SI_EUlSV_E1_NS1_11comp_targetILNS1_3genE2ELNS1_11target_archE906ELNS1_3gpuE6ELNS1_3repE0EEENS1_36merge_oddeven_config_static_selectorELNS0_4arch9wavefront6targetE1EEEvSH_
; %bb.0:
	s_load_dword s7, s[4:5], 0x20
	s_waitcnt lgkmcnt(0)
	s_lshr_b32 s0, s7, 8
	s_cmp_eq_u32 s6, s0
	s_cselect_b64 s[16:17], -1, 0
	s_cmp_lg_u32 s6, s0
	s_cselect_b64 s[0:1], -1, 0
	s_lshl_b32 s18, s6, 8
	s_sub_i32 s2, s7, s18
	v_cmp_gt_u32_e64 s[2:3], s2, v0
	s_or_b64 s[0:1], s[0:1], s[2:3]
	s_and_saveexec_b64 s[8:9], s[0:1]
	s_cbranch_execz .LBB1055_24
; %bb.1:
	s_load_dwordx8 s[8:15], s[4:5], 0x0
	s_mov_b32 s19, 0
	s_lshl_b64 s[0:1], s[18:19], 3
	v_lshlrev_b32_e32 v5, 3, v0
	s_waitcnt lgkmcnt(0)
	s_add_u32 s20, s8, s0
	s_addc_u32 s21, s9, s1
	s_add_u32 s0, s12, s0
	s_addc_u32 s1, s13, s1
	global_load_dwordx2 v[1:2], v5, s[0:1]
	global_load_dwordx2 v[3:4], v5, s[20:21]
	s_load_dword s13, s[4:5], 0x24
	v_add_u32_e32 v5, s18, v0
	s_waitcnt lgkmcnt(0)
	s_lshr_b32 s0, s13, 8
	s_sub_i32 s1, 0, s0
	s_and_b32 s1, s6, s1
	s_and_b32 s0, s1, s0
	s_lshl_b32 s19, s1, 8
	s_sub_i32 s6, 0, s13
	s_cmp_eq_u32 s0, 0
	s_cselect_b64 s[0:1], -1, 0
	s_and_b64 s[4:5], s[0:1], exec
	s_cselect_b32 s6, s13, s6
	s_add_i32 s6, s6, s19
	s_mov_b64 s[4:5], -1
	s_cmp_gt_u32 s7, s6
	s_cbranch_scc1 .LBB1055_9
; %bb.2:
	s_and_b64 vcc, exec, s[16:17]
	s_cbranch_vccz .LBB1055_6
; %bb.3:
	v_cmp_gt_u32_e32 vcc, s7, v5
	s_and_saveexec_b64 s[4:5], vcc
	s_cbranch_execz .LBB1055_5
; %bb.4:
	v_mov_b32_e32 v6, 0
	v_lshlrev_b64 v[6:7], 3, v[5:6]
	v_mov_b32_e32 v0, s11
	v_add_co_u32_e32 v8, vcc, s10, v6
	v_addc_co_u32_e32 v9, vcc, v0, v7, vcc
	v_mov_b32_e32 v0, s15
	v_add_co_u32_e32 v6, vcc, s14, v6
	v_addc_co_u32_e32 v7, vcc, v0, v7, vcc
	s_waitcnt vmcnt(0)
	global_store_dwordx2 v[8:9], v[3:4], off
	global_store_dwordx2 v[6:7], v[1:2], off
.LBB1055_5:
	s_or_b64 exec, exec, s[4:5]
	s_mov_b64 s[4:5], 0
.LBB1055_6:
	s_andn2_b64 vcc, exec, s[4:5]
	s_cbranch_vccnz .LBB1055_8
; %bb.7:
	v_mov_b32_e32 v6, 0
	v_lshlrev_b64 v[6:7], 3, v[5:6]
	v_mov_b32_e32 v0, s11
	v_add_co_u32_e32 v8, vcc, s10, v6
	v_addc_co_u32_e32 v9, vcc, v0, v7, vcc
	v_mov_b32_e32 v0, s15
	v_add_co_u32_e32 v6, vcc, s14, v6
	v_addc_co_u32_e32 v7, vcc, v0, v7, vcc
	s_waitcnt vmcnt(0)
	global_store_dwordx2 v[8:9], v[3:4], off
	global_store_dwordx2 v[6:7], v[1:2], off
.LBB1055_8:
	s_mov_b64 s[4:5], 0
.LBB1055_9:
	s_andn2_b64 vcc, exec, s[4:5]
	s_cbranch_vccnz .LBB1055_24
; %bb.10:
	s_min_u32 s12, s6, s7
	s_add_i32 s4, s12, s13
	s_min_u32 s7, s4, s7
	s_min_u32 s4, s19, s12
	s_add_i32 s19, s19, s12
	v_subrev_u32_e32 v0, s19, v5
	v_add_u32_e32 v0, s4, v0
	s_andn2_b64 vcc, exec, s[16:17]
	s_mov_b64 s[4:5], -1
	s_cbranch_vccnz .LBB1055_18
; %bb.11:
	s_and_saveexec_b64 s[4:5], s[2:3]
	s_cbranch_execz .LBB1055_17
; %bb.12:
	s_cmp_ge_u32 s6, s7
	v_mov_b32_e32 v7, s12
	s_cbranch_scc1 .LBB1055_16
; %bb.13:
	s_mov_b64 s[2:3], 0
	v_mov_b32_e32 v8, s7
	v_mov_b32_e32 v7, s12
	;; [unrolled: 1-line block ×4, first 2 shown]
.LBB1055_14:                            ; =>This Inner Loop Header: Depth=1
	v_add_u32_e32 v5, v7, v8
	v_lshrrev_b32_e32 v5, 1, v5
	v_lshlrev_b64 v[10:11], 3, v[5:6]
	v_add_u32_e32 v12, 1, v5
	v_add_co_u32_e32 v10, vcc, s8, v10
	v_addc_co_u32_e32 v11, vcc, v9, v11, vcc
	global_load_dwordx2 v[10:11], v[10:11], off
	s_waitcnt vmcnt(0)
	v_cmp_gt_i64_e32 vcc, v[3:4], v[10:11]
	v_cndmask_b32_e64 v13, 0, 1, vcc
	v_cmp_le_i64_e32 vcc, v[10:11], v[3:4]
	v_cndmask_b32_e64 v10, 0, 1, vcc
	v_cndmask_b32_e64 v10, v10, v13, s[0:1]
	v_and_b32_e32 v10, 1, v10
	v_cmp_eq_u32_e32 vcc, 1, v10
	v_cndmask_b32_e32 v8, v5, v8, vcc
	v_cndmask_b32_e32 v7, v7, v12, vcc
	v_cmp_ge_u32_e32 vcc, v7, v8
	s_or_b64 s[2:3], vcc, s[2:3]
	s_andn2_b64 exec, exec, s[2:3]
	s_cbranch_execnz .LBB1055_14
; %bb.15:
	s_or_b64 exec, exec, s[2:3]
.LBB1055_16:
	v_add_u32_e32 v5, v7, v0
	v_mov_b32_e32 v6, 0
	v_lshlrev_b64 v[5:6], 3, v[5:6]
	v_mov_b32_e32 v8, s11
	v_add_co_u32_e32 v7, vcc, s10, v5
	v_addc_co_u32_e32 v8, vcc, v8, v6, vcc
	s_waitcnt vmcnt(0)
	global_store_dwordx2 v[7:8], v[3:4], off
	v_mov_b32_e32 v7, s15
	v_add_co_u32_e32 v5, vcc, s14, v5
	v_addc_co_u32_e32 v6, vcc, v7, v6, vcc
	global_store_dwordx2 v[5:6], v[1:2], off
.LBB1055_17:
	s_or_b64 exec, exec, s[4:5]
	s_mov_b64 s[4:5], 0
.LBB1055_18:
	s_andn2_b64 vcc, exec, s[4:5]
	s_cbranch_vccnz .LBB1055_24
; %bb.19:
	s_cmp_ge_u32 s6, s7
	v_mov_b32_e32 v7, s12
	s_cbranch_scc1 .LBB1055_23
; %bb.20:
	s_mov_b64 s[2:3], 0
	v_mov_b32_e32 v8, s7
	v_mov_b32_e32 v7, s12
	;; [unrolled: 1-line block ×4, first 2 shown]
.LBB1055_21:                            ; =>This Inner Loop Header: Depth=1
	v_add_u32_e32 v5, v7, v8
	v_lshrrev_b32_e32 v5, 1, v5
	v_lshlrev_b64 v[10:11], 3, v[5:6]
	v_add_u32_e32 v12, 1, v5
	v_add_co_u32_e32 v10, vcc, s8, v10
	v_addc_co_u32_e32 v11, vcc, v9, v11, vcc
	global_load_dwordx2 v[10:11], v[10:11], off
	s_waitcnt vmcnt(0)
	v_cmp_gt_i64_e32 vcc, v[3:4], v[10:11]
	v_cndmask_b32_e64 v13, 0, 1, vcc
	v_cmp_le_i64_e32 vcc, v[10:11], v[3:4]
	v_cndmask_b32_e64 v10, 0, 1, vcc
	v_cndmask_b32_e64 v10, v10, v13, s[0:1]
	v_and_b32_e32 v10, 1, v10
	v_cmp_eq_u32_e32 vcc, 1, v10
	v_cndmask_b32_e32 v8, v5, v8, vcc
	v_cndmask_b32_e32 v7, v7, v12, vcc
	v_cmp_ge_u32_e32 vcc, v7, v8
	s_or_b64 s[2:3], vcc, s[2:3]
	s_andn2_b64 exec, exec, s[2:3]
	s_cbranch_execnz .LBB1055_21
; %bb.22:
	s_or_b64 exec, exec, s[2:3]
.LBB1055_23:
	v_add_u32_e32 v5, v7, v0
	v_mov_b32_e32 v6, 0
	v_lshlrev_b64 v[5:6], 3, v[5:6]
	v_mov_b32_e32 v0, s11
	v_add_co_u32_e32 v7, vcc, s10, v5
	v_addc_co_u32_e32 v8, vcc, v0, v6, vcc
	s_waitcnt vmcnt(0)
	global_store_dwordx2 v[7:8], v[3:4], off
	v_mov_b32_e32 v0, s15
	v_add_co_u32_e32 v3, vcc, s14, v5
	v_addc_co_u32_e32 v4, vcc, v0, v6, vcc
	global_store_dwordx2 v[3:4], v[1:2], off
.LBB1055_24:
	s_endpgm
	.section	.rodata,"a",@progbits
	.p2align	6, 0x0
	.amdhsa_kernel _ZN7rocprim17ROCPRIM_400000_NS6detail17trampoline_kernelINS0_14default_configENS1_38merge_sort_block_merge_config_selectorIllEEZZNS1_27merge_sort_block_merge_implIS3_PlN6thrust23THRUST_200600_302600_NS10device_ptrIlEEjNS1_19radix_merge_compareILb0ELb0ElNS0_19identity_decomposerEEEEE10hipError_tT0_T1_T2_jT3_P12ihipStream_tbPNSt15iterator_traitsISG_E10value_typeEPNSM_ISH_E10value_typeEPSI_NS1_7vsmem_tEENKUlT_SG_SH_SI_E_clIS7_S7_SB_S7_EESF_SV_SG_SH_SI_EUlSV_E1_NS1_11comp_targetILNS1_3genE2ELNS1_11target_archE906ELNS1_3gpuE6ELNS1_3repE0EEENS1_36merge_oddeven_config_static_selectorELNS0_4arch9wavefront6targetE1EEEvSH_
		.amdhsa_group_segment_fixed_size 0
		.amdhsa_private_segment_fixed_size 0
		.amdhsa_kernarg_size 48
		.amdhsa_user_sgpr_count 6
		.amdhsa_user_sgpr_private_segment_buffer 1
		.amdhsa_user_sgpr_dispatch_ptr 0
		.amdhsa_user_sgpr_queue_ptr 0
		.amdhsa_user_sgpr_kernarg_segment_ptr 1
		.amdhsa_user_sgpr_dispatch_id 0
		.amdhsa_user_sgpr_flat_scratch_init 0
		.amdhsa_user_sgpr_private_segment_size 0
		.amdhsa_uses_dynamic_stack 0
		.amdhsa_system_sgpr_private_segment_wavefront_offset 0
		.amdhsa_system_sgpr_workgroup_id_x 1
		.amdhsa_system_sgpr_workgroup_id_y 0
		.amdhsa_system_sgpr_workgroup_id_z 0
		.amdhsa_system_sgpr_workgroup_info 0
		.amdhsa_system_vgpr_workitem_id 0
		.amdhsa_next_free_vgpr 14
		.amdhsa_next_free_sgpr 22
		.amdhsa_reserve_vcc 1
		.amdhsa_reserve_flat_scratch 0
		.amdhsa_float_round_mode_32 0
		.amdhsa_float_round_mode_16_64 0
		.amdhsa_float_denorm_mode_32 3
		.amdhsa_float_denorm_mode_16_64 3
		.amdhsa_dx10_clamp 1
		.amdhsa_ieee_mode 1
		.amdhsa_fp16_overflow 0
		.amdhsa_exception_fp_ieee_invalid_op 0
		.amdhsa_exception_fp_denorm_src 0
		.amdhsa_exception_fp_ieee_div_zero 0
		.amdhsa_exception_fp_ieee_overflow 0
		.amdhsa_exception_fp_ieee_underflow 0
		.amdhsa_exception_fp_ieee_inexact 0
		.amdhsa_exception_int_div_zero 0
	.end_amdhsa_kernel
	.section	.text._ZN7rocprim17ROCPRIM_400000_NS6detail17trampoline_kernelINS0_14default_configENS1_38merge_sort_block_merge_config_selectorIllEEZZNS1_27merge_sort_block_merge_implIS3_PlN6thrust23THRUST_200600_302600_NS10device_ptrIlEEjNS1_19radix_merge_compareILb0ELb0ElNS0_19identity_decomposerEEEEE10hipError_tT0_T1_T2_jT3_P12ihipStream_tbPNSt15iterator_traitsISG_E10value_typeEPNSM_ISH_E10value_typeEPSI_NS1_7vsmem_tEENKUlT_SG_SH_SI_E_clIS7_S7_SB_S7_EESF_SV_SG_SH_SI_EUlSV_E1_NS1_11comp_targetILNS1_3genE2ELNS1_11target_archE906ELNS1_3gpuE6ELNS1_3repE0EEENS1_36merge_oddeven_config_static_selectorELNS0_4arch9wavefront6targetE1EEEvSH_,"axG",@progbits,_ZN7rocprim17ROCPRIM_400000_NS6detail17trampoline_kernelINS0_14default_configENS1_38merge_sort_block_merge_config_selectorIllEEZZNS1_27merge_sort_block_merge_implIS3_PlN6thrust23THRUST_200600_302600_NS10device_ptrIlEEjNS1_19radix_merge_compareILb0ELb0ElNS0_19identity_decomposerEEEEE10hipError_tT0_T1_T2_jT3_P12ihipStream_tbPNSt15iterator_traitsISG_E10value_typeEPNSM_ISH_E10value_typeEPSI_NS1_7vsmem_tEENKUlT_SG_SH_SI_E_clIS7_S7_SB_S7_EESF_SV_SG_SH_SI_EUlSV_E1_NS1_11comp_targetILNS1_3genE2ELNS1_11target_archE906ELNS1_3gpuE6ELNS1_3repE0EEENS1_36merge_oddeven_config_static_selectorELNS0_4arch9wavefront6targetE1EEEvSH_,comdat
.Lfunc_end1055:
	.size	_ZN7rocprim17ROCPRIM_400000_NS6detail17trampoline_kernelINS0_14default_configENS1_38merge_sort_block_merge_config_selectorIllEEZZNS1_27merge_sort_block_merge_implIS3_PlN6thrust23THRUST_200600_302600_NS10device_ptrIlEEjNS1_19radix_merge_compareILb0ELb0ElNS0_19identity_decomposerEEEEE10hipError_tT0_T1_T2_jT3_P12ihipStream_tbPNSt15iterator_traitsISG_E10value_typeEPNSM_ISH_E10value_typeEPSI_NS1_7vsmem_tEENKUlT_SG_SH_SI_E_clIS7_S7_SB_S7_EESF_SV_SG_SH_SI_EUlSV_E1_NS1_11comp_targetILNS1_3genE2ELNS1_11target_archE906ELNS1_3gpuE6ELNS1_3repE0EEENS1_36merge_oddeven_config_static_selectorELNS0_4arch9wavefront6targetE1EEEvSH_, .Lfunc_end1055-_ZN7rocprim17ROCPRIM_400000_NS6detail17trampoline_kernelINS0_14default_configENS1_38merge_sort_block_merge_config_selectorIllEEZZNS1_27merge_sort_block_merge_implIS3_PlN6thrust23THRUST_200600_302600_NS10device_ptrIlEEjNS1_19radix_merge_compareILb0ELb0ElNS0_19identity_decomposerEEEEE10hipError_tT0_T1_T2_jT3_P12ihipStream_tbPNSt15iterator_traitsISG_E10value_typeEPNSM_ISH_E10value_typeEPSI_NS1_7vsmem_tEENKUlT_SG_SH_SI_E_clIS7_S7_SB_S7_EESF_SV_SG_SH_SI_EUlSV_E1_NS1_11comp_targetILNS1_3genE2ELNS1_11target_archE906ELNS1_3gpuE6ELNS1_3repE0EEENS1_36merge_oddeven_config_static_selectorELNS0_4arch9wavefront6targetE1EEEvSH_
                                        ; -- End function
	.set _ZN7rocprim17ROCPRIM_400000_NS6detail17trampoline_kernelINS0_14default_configENS1_38merge_sort_block_merge_config_selectorIllEEZZNS1_27merge_sort_block_merge_implIS3_PlN6thrust23THRUST_200600_302600_NS10device_ptrIlEEjNS1_19radix_merge_compareILb0ELb0ElNS0_19identity_decomposerEEEEE10hipError_tT0_T1_T2_jT3_P12ihipStream_tbPNSt15iterator_traitsISG_E10value_typeEPNSM_ISH_E10value_typeEPSI_NS1_7vsmem_tEENKUlT_SG_SH_SI_E_clIS7_S7_SB_S7_EESF_SV_SG_SH_SI_EUlSV_E1_NS1_11comp_targetILNS1_3genE2ELNS1_11target_archE906ELNS1_3gpuE6ELNS1_3repE0EEENS1_36merge_oddeven_config_static_selectorELNS0_4arch9wavefront6targetE1EEEvSH_.num_vgpr, 14
	.set _ZN7rocprim17ROCPRIM_400000_NS6detail17trampoline_kernelINS0_14default_configENS1_38merge_sort_block_merge_config_selectorIllEEZZNS1_27merge_sort_block_merge_implIS3_PlN6thrust23THRUST_200600_302600_NS10device_ptrIlEEjNS1_19radix_merge_compareILb0ELb0ElNS0_19identity_decomposerEEEEE10hipError_tT0_T1_T2_jT3_P12ihipStream_tbPNSt15iterator_traitsISG_E10value_typeEPNSM_ISH_E10value_typeEPSI_NS1_7vsmem_tEENKUlT_SG_SH_SI_E_clIS7_S7_SB_S7_EESF_SV_SG_SH_SI_EUlSV_E1_NS1_11comp_targetILNS1_3genE2ELNS1_11target_archE906ELNS1_3gpuE6ELNS1_3repE0EEENS1_36merge_oddeven_config_static_selectorELNS0_4arch9wavefront6targetE1EEEvSH_.num_agpr, 0
	.set _ZN7rocprim17ROCPRIM_400000_NS6detail17trampoline_kernelINS0_14default_configENS1_38merge_sort_block_merge_config_selectorIllEEZZNS1_27merge_sort_block_merge_implIS3_PlN6thrust23THRUST_200600_302600_NS10device_ptrIlEEjNS1_19radix_merge_compareILb0ELb0ElNS0_19identity_decomposerEEEEE10hipError_tT0_T1_T2_jT3_P12ihipStream_tbPNSt15iterator_traitsISG_E10value_typeEPNSM_ISH_E10value_typeEPSI_NS1_7vsmem_tEENKUlT_SG_SH_SI_E_clIS7_S7_SB_S7_EESF_SV_SG_SH_SI_EUlSV_E1_NS1_11comp_targetILNS1_3genE2ELNS1_11target_archE906ELNS1_3gpuE6ELNS1_3repE0EEENS1_36merge_oddeven_config_static_selectorELNS0_4arch9wavefront6targetE1EEEvSH_.numbered_sgpr, 22
	.set _ZN7rocprim17ROCPRIM_400000_NS6detail17trampoline_kernelINS0_14default_configENS1_38merge_sort_block_merge_config_selectorIllEEZZNS1_27merge_sort_block_merge_implIS3_PlN6thrust23THRUST_200600_302600_NS10device_ptrIlEEjNS1_19radix_merge_compareILb0ELb0ElNS0_19identity_decomposerEEEEE10hipError_tT0_T1_T2_jT3_P12ihipStream_tbPNSt15iterator_traitsISG_E10value_typeEPNSM_ISH_E10value_typeEPSI_NS1_7vsmem_tEENKUlT_SG_SH_SI_E_clIS7_S7_SB_S7_EESF_SV_SG_SH_SI_EUlSV_E1_NS1_11comp_targetILNS1_3genE2ELNS1_11target_archE906ELNS1_3gpuE6ELNS1_3repE0EEENS1_36merge_oddeven_config_static_selectorELNS0_4arch9wavefront6targetE1EEEvSH_.num_named_barrier, 0
	.set _ZN7rocprim17ROCPRIM_400000_NS6detail17trampoline_kernelINS0_14default_configENS1_38merge_sort_block_merge_config_selectorIllEEZZNS1_27merge_sort_block_merge_implIS3_PlN6thrust23THRUST_200600_302600_NS10device_ptrIlEEjNS1_19radix_merge_compareILb0ELb0ElNS0_19identity_decomposerEEEEE10hipError_tT0_T1_T2_jT3_P12ihipStream_tbPNSt15iterator_traitsISG_E10value_typeEPNSM_ISH_E10value_typeEPSI_NS1_7vsmem_tEENKUlT_SG_SH_SI_E_clIS7_S7_SB_S7_EESF_SV_SG_SH_SI_EUlSV_E1_NS1_11comp_targetILNS1_3genE2ELNS1_11target_archE906ELNS1_3gpuE6ELNS1_3repE0EEENS1_36merge_oddeven_config_static_selectorELNS0_4arch9wavefront6targetE1EEEvSH_.private_seg_size, 0
	.set _ZN7rocprim17ROCPRIM_400000_NS6detail17trampoline_kernelINS0_14default_configENS1_38merge_sort_block_merge_config_selectorIllEEZZNS1_27merge_sort_block_merge_implIS3_PlN6thrust23THRUST_200600_302600_NS10device_ptrIlEEjNS1_19radix_merge_compareILb0ELb0ElNS0_19identity_decomposerEEEEE10hipError_tT0_T1_T2_jT3_P12ihipStream_tbPNSt15iterator_traitsISG_E10value_typeEPNSM_ISH_E10value_typeEPSI_NS1_7vsmem_tEENKUlT_SG_SH_SI_E_clIS7_S7_SB_S7_EESF_SV_SG_SH_SI_EUlSV_E1_NS1_11comp_targetILNS1_3genE2ELNS1_11target_archE906ELNS1_3gpuE6ELNS1_3repE0EEENS1_36merge_oddeven_config_static_selectorELNS0_4arch9wavefront6targetE1EEEvSH_.uses_vcc, 1
	.set _ZN7rocprim17ROCPRIM_400000_NS6detail17trampoline_kernelINS0_14default_configENS1_38merge_sort_block_merge_config_selectorIllEEZZNS1_27merge_sort_block_merge_implIS3_PlN6thrust23THRUST_200600_302600_NS10device_ptrIlEEjNS1_19radix_merge_compareILb0ELb0ElNS0_19identity_decomposerEEEEE10hipError_tT0_T1_T2_jT3_P12ihipStream_tbPNSt15iterator_traitsISG_E10value_typeEPNSM_ISH_E10value_typeEPSI_NS1_7vsmem_tEENKUlT_SG_SH_SI_E_clIS7_S7_SB_S7_EESF_SV_SG_SH_SI_EUlSV_E1_NS1_11comp_targetILNS1_3genE2ELNS1_11target_archE906ELNS1_3gpuE6ELNS1_3repE0EEENS1_36merge_oddeven_config_static_selectorELNS0_4arch9wavefront6targetE1EEEvSH_.uses_flat_scratch, 0
	.set _ZN7rocprim17ROCPRIM_400000_NS6detail17trampoline_kernelINS0_14default_configENS1_38merge_sort_block_merge_config_selectorIllEEZZNS1_27merge_sort_block_merge_implIS3_PlN6thrust23THRUST_200600_302600_NS10device_ptrIlEEjNS1_19radix_merge_compareILb0ELb0ElNS0_19identity_decomposerEEEEE10hipError_tT0_T1_T2_jT3_P12ihipStream_tbPNSt15iterator_traitsISG_E10value_typeEPNSM_ISH_E10value_typeEPSI_NS1_7vsmem_tEENKUlT_SG_SH_SI_E_clIS7_S7_SB_S7_EESF_SV_SG_SH_SI_EUlSV_E1_NS1_11comp_targetILNS1_3genE2ELNS1_11target_archE906ELNS1_3gpuE6ELNS1_3repE0EEENS1_36merge_oddeven_config_static_selectorELNS0_4arch9wavefront6targetE1EEEvSH_.has_dyn_sized_stack, 0
	.set _ZN7rocprim17ROCPRIM_400000_NS6detail17trampoline_kernelINS0_14default_configENS1_38merge_sort_block_merge_config_selectorIllEEZZNS1_27merge_sort_block_merge_implIS3_PlN6thrust23THRUST_200600_302600_NS10device_ptrIlEEjNS1_19radix_merge_compareILb0ELb0ElNS0_19identity_decomposerEEEEE10hipError_tT0_T1_T2_jT3_P12ihipStream_tbPNSt15iterator_traitsISG_E10value_typeEPNSM_ISH_E10value_typeEPSI_NS1_7vsmem_tEENKUlT_SG_SH_SI_E_clIS7_S7_SB_S7_EESF_SV_SG_SH_SI_EUlSV_E1_NS1_11comp_targetILNS1_3genE2ELNS1_11target_archE906ELNS1_3gpuE6ELNS1_3repE0EEENS1_36merge_oddeven_config_static_selectorELNS0_4arch9wavefront6targetE1EEEvSH_.has_recursion, 0
	.set _ZN7rocprim17ROCPRIM_400000_NS6detail17trampoline_kernelINS0_14default_configENS1_38merge_sort_block_merge_config_selectorIllEEZZNS1_27merge_sort_block_merge_implIS3_PlN6thrust23THRUST_200600_302600_NS10device_ptrIlEEjNS1_19radix_merge_compareILb0ELb0ElNS0_19identity_decomposerEEEEE10hipError_tT0_T1_T2_jT3_P12ihipStream_tbPNSt15iterator_traitsISG_E10value_typeEPNSM_ISH_E10value_typeEPSI_NS1_7vsmem_tEENKUlT_SG_SH_SI_E_clIS7_S7_SB_S7_EESF_SV_SG_SH_SI_EUlSV_E1_NS1_11comp_targetILNS1_3genE2ELNS1_11target_archE906ELNS1_3gpuE6ELNS1_3repE0EEENS1_36merge_oddeven_config_static_selectorELNS0_4arch9wavefront6targetE1EEEvSH_.has_indirect_call, 0
	.section	.AMDGPU.csdata,"",@progbits
; Kernel info:
; codeLenInByte = 816
; TotalNumSgprs: 26
; NumVgprs: 14
; ScratchSize: 0
; MemoryBound: 0
; FloatMode: 240
; IeeeMode: 1
; LDSByteSize: 0 bytes/workgroup (compile time only)
; SGPRBlocks: 3
; VGPRBlocks: 3
; NumSGPRsForWavesPerEU: 26
; NumVGPRsForWavesPerEU: 14
; Occupancy: 10
; WaveLimiterHint : 0
; COMPUTE_PGM_RSRC2:SCRATCH_EN: 0
; COMPUTE_PGM_RSRC2:USER_SGPR: 6
; COMPUTE_PGM_RSRC2:TRAP_HANDLER: 0
; COMPUTE_PGM_RSRC2:TGID_X_EN: 1
; COMPUTE_PGM_RSRC2:TGID_Y_EN: 0
; COMPUTE_PGM_RSRC2:TGID_Z_EN: 0
; COMPUTE_PGM_RSRC2:TIDIG_COMP_CNT: 0
	.section	.text._ZN7rocprim17ROCPRIM_400000_NS6detail17trampoline_kernelINS0_14default_configENS1_38merge_sort_block_merge_config_selectorIllEEZZNS1_27merge_sort_block_merge_implIS3_PlN6thrust23THRUST_200600_302600_NS10device_ptrIlEEjNS1_19radix_merge_compareILb0ELb0ElNS0_19identity_decomposerEEEEE10hipError_tT0_T1_T2_jT3_P12ihipStream_tbPNSt15iterator_traitsISG_E10value_typeEPNSM_ISH_E10value_typeEPSI_NS1_7vsmem_tEENKUlT_SG_SH_SI_E_clIS7_S7_SB_S7_EESF_SV_SG_SH_SI_EUlSV_E1_NS1_11comp_targetILNS1_3genE9ELNS1_11target_archE1100ELNS1_3gpuE3ELNS1_3repE0EEENS1_36merge_oddeven_config_static_selectorELNS0_4arch9wavefront6targetE1EEEvSH_,"axG",@progbits,_ZN7rocprim17ROCPRIM_400000_NS6detail17trampoline_kernelINS0_14default_configENS1_38merge_sort_block_merge_config_selectorIllEEZZNS1_27merge_sort_block_merge_implIS3_PlN6thrust23THRUST_200600_302600_NS10device_ptrIlEEjNS1_19radix_merge_compareILb0ELb0ElNS0_19identity_decomposerEEEEE10hipError_tT0_T1_T2_jT3_P12ihipStream_tbPNSt15iterator_traitsISG_E10value_typeEPNSM_ISH_E10value_typeEPSI_NS1_7vsmem_tEENKUlT_SG_SH_SI_E_clIS7_S7_SB_S7_EESF_SV_SG_SH_SI_EUlSV_E1_NS1_11comp_targetILNS1_3genE9ELNS1_11target_archE1100ELNS1_3gpuE3ELNS1_3repE0EEENS1_36merge_oddeven_config_static_selectorELNS0_4arch9wavefront6targetE1EEEvSH_,comdat
	.protected	_ZN7rocprim17ROCPRIM_400000_NS6detail17trampoline_kernelINS0_14default_configENS1_38merge_sort_block_merge_config_selectorIllEEZZNS1_27merge_sort_block_merge_implIS3_PlN6thrust23THRUST_200600_302600_NS10device_ptrIlEEjNS1_19radix_merge_compareILb0ELb0ElNS0_19identity_decomposerEEEEE10hipError_tT0_T1_T2_jT3_P12ihipStream_tbPNSt15iterator_traitsISG_E10value_typeEPNSM_ISH_E10value_typeEPSI_NS1_7vsmem_tEENKUlT_SG_SH_SI_E_clIS7_S7_SB_S7_EESF_SV_SG_SH_SI_EUlSV_E1_NS1_11comp_targetILNS1_3genE9ELNS1_11target_archE1100ELNS1_3gpuE3ELNS1_3repE0EEENS1_36merge_oddeven_config_static_selectorELNS0_4arch9wavefront6targetE1EEEvSH_ ; -- Begin function _ZN7rocprim17ROCPRIM_400000_NS6detail17trampoline_kernelINS0_14default_configENS1_38merge_sort_block_merge_config_selectorIllEEZZNS1_27merge_sort_block_merge_implIS3_PlN6thrust23THRUST_200600_302600_NS10device_ptrIlEEjNS1_19radix_merge_compareILb0ELb0ElNS0_19identity_decomposerEEEEE10hipError_tT0_T1_T2_jT3_P12ihipStream_tbPNSt15iterator_traitsISG_E10value_typeEPNSM_ISH_E10value_typeEPSI_NS1_7vsmem_tEENKUlT_SG_SH_SI_E_clIS7_S7_SB_S7_EESF_SV_SG_SH_SI_EUlSV_E1_NS1_11comp_targetILNS1_3genE9ELNS1_11target_archE1100ELNS1_3gpuE3ELNS1_3repE0EEENS1_36merge_oddeven_config_static_selectorELNS0_4arch9wavefront6targetE1EEEvSH_
	.globl	_ZN7rocprim17ROCPRIM_400000_NS6detail17trampoline_kernelINS0_14default_configENS1_38merge_sort_block_merge_config_selectorIllEEZZNS1_27merge_sort_block_merge_implIS3_PlN6thrust23THRUST_200600_302600_NS10device_ptrIlEEjNS1_19radix_merge_compareILb0ELb0ElNS0_19identity_decomposerEEEEE10hipError_tT0_T1_T2_jT3_P12ihipStream_tbPNSt15iterator_traitsISG_E10value_typeEPNSM_ISH_E10value_typeEPSI_NS1_7vsmem_tEENKUlT_SG_SH_SI_E_clIS7_S7_SB_S7_EESF_SV_SG_SH_SI_EUlSV_E1_NS1_11comp_targetILNS1_3genE9ELNS1_11target_archE1100ELNS1_3gpuE3ELNS1_3repE0EEENS1_36merge_oddeven_config_static_selectorELNS0_4arch9wavefront6targetE1EEEvSH_
	.p2align	8
	.type	_ZN7rocprim17ROCPRIM_400000_NS6detail17trampoline_kernelINS0_14default_configENS1_38merge_sort_block_merge_config_selectorIllEEZZNS1_27merge_sort_block_merge_implIS3_PlN6thrust23THRUST_200600_302600_NS10device_ptrIlEEjNS1_19radix_merge_compareILb0ELb0ElNS0_19identity_decomposerEEEEE10hipError_tT0_T1_T2_jT3_P12ihipStream_tbPNSt15iterator_traitsISG_E10value_typeEPNSM_ISH_E10value_typeEPSI_NS1_7vsmem_tEENKUlT_SG_SH_SI_E_clIS7_S7_SB_S7_EESF_SV_SG_SH_SI_EUlSV_E1_NS1_11comp_targetILNS1_3genE9ELNS1_11target_archE1100ELNS1_3gpuE3ELNS1_3repE0EEENS1_36merge_oddeven_config_static_selectorELNS0_4arch9wavefront6targetE1EEEvSH_,@function
_ZN7rocprim17ROCPRIM_400000_NS6detail17trampoline_kernelINS0_14default_configENS1_38merge_sort_block_merge_config_selectorIllEEZZNS1_27merge_sort_block_merge_implIS3_PlN6thrust23THRUST_200600_302600_NS10device_ptrIlEEjNS1_19radix_merge_compareILb0ELb0ElNS0_19identity_decomposerEEEEE10hipError_tT0_T1_T2_jT3_P12ihipStream_tbPNSt15iterator_traitsISG_E10value_typeEPNSM_ISH_E10value_typeEPSI_NS1_7vsmem_tEENKUlT_SG_SH_SI_E_clIS7_S7_SB_S7_EESF_SV_SG_SH_SI_EUlSV_E1_NS1_11comp_targetILNS1_3genE9ELNS1_11target_archE1100ELNS1_3gpuE3ELNS1_3repE0EEENS1_36merge_oddeven_config_static_selectorELNS0_4arch9wavefront6targetE1EEEvSH_: ; @_ZN7rocprim17ROCPRIM_400000_NS6detail17trampoline_kernelINS0_14default_configENS1_38merge_sort_block_merge_config_selectorIllEEZZNS1_27merge_sort_block_merge_implIS3_PlN6thrust23THRUST_200600_302600_NS10device_ptrIlEEjNS1_19radix_merge_compareILb0ELb0ElNS0_19identity_decomposerEEEEE10hipError_tT0_T1_T2_jT3_P12ihipStream_tbPNSt15iterator_traitsISG_E10value_typeEPNSM_ISH_E10value_typeEPSI_NS1_7vsmem_tEENKUlT_SG_SH_SI_E_clIS7_S7_SB_S7_EESF_SV_SG_SH_SI_EUlSV_E1_NS1_11comp_targetILNS1_3genE9ELNS1_11target_archE1100ELNS1_3gpuE3ELNS1_3repE0EEENS1_36merge_oddeven_config_static_selectorELNS0_4arch9wavefront6targetE1EEEvSH_
; %bb.0:
	.section	.rodata,"a",@progbits
	.p2align	6, 0x0
	.amdhsa_kernel _ZN7rocprim17ROCPRIM_400000_NS6detail17trampoline_kernelINS0_14default_configENS1_38merge_sort_block_merge_config_selectorIllEEZZNS1_27merge_sort_block_merge_implIS3_PlN6thrust23THRUST_200600_302600_NS10device_ptrIlEEjNS1_19radix_merge_compareILb0ELb0ElNS0_19identity_decomposerEEEEE10hipError_tT0_T1_T2_jT3_P12ihipStream_tbPNSt15iterator_traitsISG_E10value_typeEPNSM_ISH_E10value_typeEPSI_NS1_7vsmem_tEENKUlT_SG_SH_SI_E_clIS7_S7_SB_S7_EESF_SV_SG_SH_SI_EUlSV_E1_NS1_11comp_targetILNS1_3genE9ELNS1_11target_archE1100ELNS1_3gpuE3ELNS1_3repE0EEENS1_36merge_oddeven_config_static_selectorELNS0_4arch9wavefront6targetE1EEEvSH_
		.amdhsa_group_segment_fixed_size 0
		.amdhsa_private_segment_fixed_size 0
		.amdhsa_kernarg_size 48
		.amdhsa_user_sgpr_count 6
		.amdhsa_user_sgpr_private_segment_buffer 1
		.amdhsa_user_sgpr_dispatch_ptr 0
		.amdhsa_user_sgpr_queue_ptr 0
		.amdhsa_user_sgpr_kernarg_segment_ptr 1
		.amdhsa_user_sgpr_dispatch_id 0
		.amdhsa_user_sgpr_flat_scratch_init 0
		.amdhsa_user_sgpr_private_segment_size 0
		.amdhsa_uses_dynamic_stack 0
		.amdhsa_system_sgpr_private_segment_wavefront_offset 0
		.amdhsa_system_sgpr_workgroup_id_x 1
		.amdhsa_system_sgpr_workgroup_id_y 0
		.amdhsa_system_sgpr_workgroup_id_z 0
		.amdhsa_system_sgpr_workgroup_info 0
		.amdhsa_system_vgpr_workitem_id 0
		.amdhsa_next_free_vgpr 1
		.amdhsa_next_free_sgpr 0
		.amdhsa_reserve_vcc 0
		.amdhsa_reserve_flat_scratch 0
		.amdhsa_float_round_mode_32 0
		.amdhsa_float_round_mode_16_64 0
		.amdhsa_float_denorm_mode_32 3
		.amdhsa_float_denorm_mode_16_64 3
		.amdhsa_dx10_clamp 1
		.amdhsa_ieee_mode 1
		.amdhsa_fp16_overflow 0
		.amdhsa_exception_fp_ieee_invalid_op 0
		.amdhsa_exception_fp_denorm_src 0
		.amdhsa_exception_fp_ieee_div_zero 0
		.amdhsa_exception_fp_ieee_overflow 0
		.amdhsa_exception_fp_ieee_underflow 0
		.amdhsa_exception_fp_ieee_inexact 0
		.amdhsa_exception_int_div_zero 0
	.end_amdhsa_kernel
	.section	.text._ZN7rocprim17ROCPRIM_400000_NS6detail17trampoline_kernelINS0_14default_configENS1_38merge_sort_block_merge_config_selectorIllEEZZNS1_27merge_sort_block_merge_implIS3_PlN6thrust23THRUST_200600_302600_NS10device_ptrIlEEjNS1_19radix_merge_compareILb0ELb0ElNS0_19identity_decomposerEEEEE10hipError_tT0_T1_T2_jT3_P12ihipStream_tbPNSt15iterator_traitsISG_E10value_typeEPNSM_ISH_E10value_typeEPSI_NS1_7vsmem_tEENKUlT_SG_SH_SI_E_clIS7_S7_SB_S7_EESF_SV_SG_SH_SI_EUlSV_E1_NS1_11comp_targetILNS1_3genE9ELNS1_11target_archE1100ELNS1_3gpuE3ELNS1_3repE0EEENS1_36merge_oddeven_config_static_selectorELNS0_4arch9wavefront6targetE1EEEvSH_,"axG",@progbits,_ZN7rocprim17ROCPRIM_400000_NS6detail17trampoline_kernelINS0_14default_configENS1_38merge_sort_block_merge_config_selectorIllEEZZNS1_27merge_sort_block_merge_implIS3_PlN6thrust23THRUST_200600_302600_NS10device_ptrIlEEjNS1_19radix_merge_compareILb0ELb0ElNS0_19identity_decomposerEEEEE10hipError_tT0_T1_T2_jT3_P12ihipStream_tbPNSt15iterator_traitsISG_E10value_typeEPNSM_ISH_E10value_typeEPSI_NS1_7vsmem_tEENKUlT_SG_SH_SI_E_clIS7_S7_SB_S7_EESF_SV_SG_SH_SI_EUlSV_E1_NS1_11comp_targetILNS1_3genE9ELNS1_11target_archE1100ELNS1_3gpuE3ELNS1_3repE0EEENS1_36merge_oddeven_config_static_selectorELNS0_4arch9wavefront6targetE1EEEvSH_,comdat
.Lfunc_end1056:
	.size	_ZN7rocprim17ROCPRIM_400000_NS6detail17trampoline_kernelINS0_14default_configENS1_38merge_sort_block_merge_config_selectorIllEEZZNS1_27merge_sort_block_merge_implIS3_PlN6thrust23THRUST_200600_302600_NS10device_ptrIlEEjNS1_19radix_merge_compareILb0ELb0ElNS0_19identity_decomposerEEEEE10hipError_tT0_T1_T2_jT3_P12ihipStream_tbPNSt15iterator_traitsISG_E10value_typeEPNSM_ISH_E10value_typeEPSI_NS1_7vsmem_tEENKUlT_SG_SH_SI_E_clIS7_S7_SB_S7_EESF_SV_SG_SH_SI_EUlSV_E1_NS1_11comp_targetILNS1_3genE9ELNS1_11target_archE1100ELNS1_3gpuE3ELNS1_3repE0EEENS1_36merge_oddeven_config_static_selectorELNS0_4arch9wavefront6targetE1EEEvSH_, .Lfunc_end1056-_ZN7rocprim17ROCPRIM_400000_NS6detail17trampoline_kernelINS0_14default_configENS1_38merge_sort_block_merge_config_selectorIllEEZZNS1_27merge_sort_block_merge_implIS3_PlN6thrust23THRUST_200600_302600_NS10device_ptrIlEEjNS1_19radix_merge_compareILb0ELb0ElNS0_19identity_decomposerEEEEE10hipError_tT0_T1_T2_jT3_P12ihipStream_tbPNSt15iterator_traitsISG_E10value_typeEPNSM_ISH_E10value_typeEPSI_NS1_7vsmem_tEENKUlT_SG_SH_SI_E_clIS7_S7_SB_S7_EESF_SV_SG_SH_SI_EUlSV_E1_NS1_11comp_targetILNS1_3genE9ELNS1_11target_archE1100ELNS1_3gpuE3ELNS1_3repE0EEENS1_36merge_oddeven_config_static_selectorELNS0_4arch9wavefront6targetE1EEEvSH_
                                        ; -- End function
	.set _ZN7rocprim17ROCPRIM_400000_NS6detail17trampoline_kernelINS0_14default_configENS1_38merge_sort_block_merge_config_selectorIllEEZZNS1_27merge_sort_block_merge_implIS3_PlN6thrust23THRUST_200600_302600_NS10device_ptrIlEEjNS1_19radix_merge_compareILb0ELb0ElNS0_19identity_decomposerEEEEE10hipError_tT0_T1_T2_jT3_P12ihipStream_tbPNSt15iterator_traitsISG_E10value_typeEPNSM_ISH_E10value_typeEPSI_NS1_7vsmem_tEENKUlT_SG_SH_SI_E_clIS7_S7_SB_S7_EESF_SV_SG_SH_SI_EUlSV_E1_NS1_11comp_targetILNS1_3genE9ELNS1_11target_archE1100ELNS1_3gpuE3ELNS1_3repE0EEENS1_36merge_oddeven_config_static_selectorELNS0_4arch9wavefront6targetE1EEEvSH_.num_vgpr, 0
	.set _ZN7rocprim17ROCPRIM_400000_NS6detail17trampoline_kernelINS0_14default_configENS1_38merge_sort_block_merge_config_selectorIllEEZZNS1_27merge_sort_block_merge_implIS3_PlN6thrust23THRUST_200600_302600_NS10device_ptrIlEEjNS1_19radix_merge_compareILb0ELb0ElNS0_19identity_decomposerEEEEE10hipError_tT0_T1_T2_jT3_P12ihipStream_tbPNSt15iterator_traitsISG_E10value_typeEPNSM_ISH_E10value_typeEPSI_NS1_7vsmem_tEENKUlT_SG_SH_SI_E_clIS7_S7_SB_S7_EESF_SV_SG_SH_SI_EUlSV_E1_NS1_11comp_targetILNS1_3genE9ELNS1_11target_archE1100ELNS1_3gpuE3ELNS1_3repE0EEENS1_36merge_oddeven_config_static_selectorELNS0_4arch9wavefront6targetE1EEEvSH_.num_agpr, 0
	.set _ZN7rocprim17ROCPRIM_400000_NS6detail17trampoline_kernelINS0_14default_configENS1_38merge_sort_block_merge_config_selectorIllEEZZNS1_27merge_sort_block_merge_implIS3_PlN6thrust23THRUST_200600_302600_NS10device_ptrIlEEjNS1_19radix_merge_compareILb0ELb0ElNS0_19identity_decomposerEEEEE10hipError_tT0_T1_T2_jT3_P12ihipStream_tbPNSt15iterator_traitsISG_E10value_typeEPNSM_ISH_E10value_typeEPSI_NS1_7vsmem_tEENKUlT_SG_SH_SI_E_clIS7_S7_SB_S7_EESF_SV_SG_SH_SI_EUlSV_E1_NS1_11comp_targetILNS1_3genE9ELNS1_11target_archE1100ELNS1_3gpuE3ELNS1_3repE0EEENS1_36merge_oddeven_config_static_selectorELNS0_4arch9wavefront6targetE1EEEvSH_.numbered_sgpr, 0
	.set _ZN7rocprim17ROCPRIM_400000_NS6detail17trampoline_kernelINS0_14default_configENS1_38merge_sort_block_merge_config_selectorIllEEZZNS1_27merge_sort_block_merge_implIS3_PlN6thrust23THRUST_200600_302600_NS10device_ptrIlEEjNS1_19radix_merge_compareILb0ELb0ElNS0_19identity_decomposerEEEEE10hipError_tT0_T1_T2_jT3_P12ihipStream_tbPNSt15iterator_traitsISG_E10value_typeEPNSM_ISH_E10value_typeEPSI_NS1_7vsmem_tEENKUlT_SG_SH_SI_E_clIS7_S7_SB_S7_EESF_SV_SG_SH_SI_EUlSV_E1_NS1_11comp_targetILNS1_3genE9ELNS1_11target_archE1100ELNS1_3gpuE3ELNS1_3repE0EEENS1_36merge_oddeven_config_static_selectorELNS0_4arch9wavefront6targetE1EEEvSH_.num_named_barrier, 0
	.set _ZN7rocprim17ROCPRIM_400000_NS6detail17trampoline_kernelINS0_14default_configENS1_38merge_sort_block_merge_config_selectorIllEEZZNS1_27merge_sort_block_merge_implIS3_PlN6thrust23THRUST_200600_302600_NS10device_ptrIlEEjNS1_19radix_merge_compareILb0ELb0ElNS0_19identity_decomposerEEEEE10hipError_tT0_T1_T2_jT3_P12ihipStream_tbPNSt15iterator_traitsISG_E10value_typeEPNSM_ISH_E10value_typeEPSI_NS1_7vsmem_tEENKUlT_SG_SH_SI_E_clIS7_S7_SB_S7_EESF_SV_SG_SH_SI_EUlSV_E1_NS1_11comp_targetILNS1_3genE9ELNS1_11target_archE1100ELNS1_3gpuE3ELNS1_3repE0EEENS1_36merge_oddeven_config_static_selectorELNS0_4arch9wavefront6targetE1EEEvSH_.private_seg_size, 0
	.set _ZN7rocprim17ROCPRIM_400000_NS6detail17trampoline_kernelINS0_14default_configENS1_38merge_sort_block_merge_config_selectorIllEEZZNS1_27merge_sort_block_merge_implIS3_PlN6thrust23THRUST_200600_302600_NS10device_ptrIlEEjNS1_19radix_merge_compareILb0ELb0ElNS0_19identity_decomposerEEEEE10hipError_tT0_T1_T2_jT3_P12ihipStream_tbPNSt15iterator_traitsISG_E10value_typeEPNSM_ISH_E10value_typeEPSI_NS1_7vsmem_tEENKUlT_SG_SH_SI_E_clIS7_S7_SB_S7_EESF_SV_SG_SH_SI_EUlSV_E1_NS1_11comp_targetILNS1_3genE9ELNS1_11target_archE1100ELNS1_3gpuE3ELNS1_3repE0EEENS1_36merge_oddeven_config_static_selectorELNS0_4arch9wavefront6targetE1EEEvSH_.uses_vcc, 0
	.set _ZN7rocprim17ROCPRIM_400000_NS6detail17trampoline_kernelINS0_14default_configENS1_38merge_sort_block_merge_config_selectorIllEEZZNS1_27merge_sort_block_merge_implIS3_PlN6thrust23THRUST_200600_302600_NS10device_ptrIlEEjNS1_19radix_merge_compareILb0ELb0ElNS0_19identity_decomposerEEEEE10hipError_tT0_T1_T2_jT3_P12ihipStream_tbPNSt15iterator_traitsISG_E10value_typeEPNSM_ISH_E10value_typeEPSI_NS1_7vsmem_tEENKUlT_SG_SH_SI_E_clIS7_S7_SB_S7_EESF_SV_SG_SH_SI_EUlSV_E1_NS1_11comp_targetILNS1_3genE9ELNS1_11target_archE1100ELNS1_3gpuE3ELNS1_3repE0EEENS1_36merge_oddeven_config_static_selectorELNS0_4arch9wavefront6targetE1EEEvSH_.uses_flat_scratch, 0
	.set _ZN7rocprim17ROCPRIM_400000_NS6detail17trampoline_kernelINS0_14default_configENS1_38merge_sort_block_merge_config_selectorIllEEZZNS1_27merge_sort_block_merge_implIS3_PlN6thrust23THRUST_200600_302600_NS10device_ptrIlEEjNS1_19radix_merge_compareILb0ELb0ElNS0_19identity_decomposerEEEEE10hipError_tT0_T1_T2_jT3_P12ihipStream_tbPNSt15iterator_traitsISG_E10value_typeEPNSM_ISH_E10value_typeEPSI_NS1_7vsmem_tEENKUlT_SG_SH_SI_E_clIS7_S7_SB_S7_EESF_SV_SG_SH_SI_EUlSV_E1_NS1_11comp_targetILNS1_3genE9ELNS1_11target_archE1100ELNS1_3gpuE3ELNS1_3repE0EEENS1_36merge_oddeven_config_static_selectorELNS0_4arch9wavefront6targetE1EEEvSH_.has_dyn_sized_stack, 0
	.set _ZN7rocprim17ROCPRIM_400000_NS6detail17trampoline_kernelINS0_14default_configENS1_38merge_sort_block_merge_config_selectorIllEEZZNS1_27merge_sort_block_merge_implIS3_PlN6thrust23THRUST_200600_302600_NS10device_ptrIlEEjNS1_19radix_merge_compareILb0ELb0ElNS0_19identity_decomposerEEEEE10hipError_tT0_T1_T2_jT3_P12ihipStream_tbPNSt15iterator_traitsISG_E10value_typeEPNSM_ISH_E10value_typeEPSI_NS1_7vsmem_tEENKUlT_SG_SH_SI_E_clIS7_S7_SB_S7_EESF_SV_SG_SH_SI_EUlSV_E1_NS1_11comp_targetILNS1_3genE9ELNS1_11target_archE1100ELNS1_3gpuE3ELNS1_3repE0EEENS1_36merge_oddeven_config_static_selectorELNS0_4arch9wavefront6targetE1EEEvSH_.has_recursion, 0
	.set _ZN7rocprim17ROCPRIM_400000_NS6detail17trampoline_kernelINS0_14default_configENS1_38merge_sort_block_merge_config_selectorIllEEZZNS1_27merge_sort_block_merge_implIS3_PlN6thrust23THRUST_200600_302600_NS10device_ptrIlEEjNS1_19radix_merge_compareILb0ELb0ElNS0_19identity_decomposerEEEEE10hipError_tT0_T1_T2_jT3_P12ihipStream_tbPNSt15iterator_traitsISG_E10value_typeEPNSM_ISH_E10value_typeEPSI_NS1_7vsmem_tEENKUlT_SG_SH_SI_E_clIS7_S7_SB_S7_EESF_SV_SG_SH_SI_EUlSV_E1_NS1_11comp_targetILNS1_3genE9ELNS1_11target_archE1100ELNS1_3gpuE3ELNS1_3repE0EEENS1_36merge_oddeven_config_static_selectorELNS0_4arch9wavefront6targetE1EEEvSH_.has_indirect_call, 0
	.section	.AMDGPU.csdata,"",@progbits
; Kernel info:
; codeLenInByte = 0
; TotalNumSgprs: 4
; NumVgprs: 0
; ScratchSize: 0
; MemoryBound: 0
; FloatMode: 240
; IeeeMode: 1
; LDSByteSize: 0 bytes/workgroup (compile time only)
; SGPRBlocks: 0
; VGPRBlocks: 0
; NumSGPRsForWavesPerEU: 4
; NumVGPRsForWavesPerEU: 1
; Occupancy: 10
; WaveLimiterHint : 0
; COMPUTE_PGM_RSRC2:SCRATCH_EN: 0
; COMPUTE_PGM_RSRC2:USER_SGPR: 6
; COMPUTE_PGM_RSRC2:TRAP_HANDLER: 0
; COMPUTE_PGM_RSRC2:TGID_X_EN: 1
; COMPUTE_PGM_RSRC2:TGID_Y_EN: 0
; COMPUTE_PGM_RSRC2:TGID_Z_EN: 0
; COMPUTE_PGM_RSRC2:TIDIG_COMP_CNT: 0
	.section	.text._ZN7rocprim17ROCPRIM_400000_NS6detail17trampoline_kernelINS0_14default_configENS1_38merge_sort_block_merge_config_selectorIllEEZZNS1_27merge_sort_block_merge_implIS3_PlN6thrust23THRUST_200600_302600_NS10device_ptrIlEEjNS1_19radix_merge_compareILb0ELb0ElNS0_19identity_decomposerEEEEE10hipError_tT0_T1_T2_jT3_P12ihipStream_tbPNSt15iterator_traitsISG_E10value_typeEPNSM_ISH_E10value_typeEPSI_NS1_7vsmem_tEENKUlT_SG_SH_SI_E_clIS7_S7_SB_S7_EESF_SV_SG_SH_SI_EUlSV_E1_NS1_11comp_targetILNS1_3genE8ELNS1_11target_archE1030ELNS1_3gpuE2ELNS1_3repE0EEENS1_36merge_oddeven_config_static_selectorELNS0_4arch9wavefront6targetE1EEEvSH_,"axG",@progbits,_ZN7rocprim17ROCPRIM_400000_NS6detail17trampoline_kernelINS0_14default_configENS1_38merge_sort_block_merge_config_selectorIllEEZZNS1_27merge_sort_block_merge_implIS3_PlN6thrust23THRUST_200600_302600_NS10device_ptrIlEEjNS1_19radix_merge_compareILb0ELb0ElNS0_19identity_decomposerEEEEE10hipError_tT0_T1_T2_jT3_P12ihipStream_tbPNSt15iterator_traitsISG_E10value_typeEPNSM_ISH_E10value_typeEPSI_NS1_7vsmem_tEENKUlT_SG_SH_SI_E_clIS7_S7_SB_S7_EESF_SV_SG_SH_SI_EUlSV_E1_NS1_11comp_targetILNS1_3genE8ELNS1_11target_archE1030ELNS1_3gpuE2ELNS1_3repE0EEENS1_36merge_oddeven_config_static_selectorELNS0_4arch9wavefront6targetE1EEEvSH_,comdat
	.protected	_ZN7rocprim17ROCPRIM_400000_NS6detail17trampoline_kernelINS0_14default_configENS1_38merge_sort_block_merge_config_selectorIllEEZZNS1_27merge_sort_block_merge_implIS3_PlN6thrust23THRUST_200600_302600_NS10device_ptrIlEEjNS1_19radix_merge_compareILb0ELb0ElNS0_19identity_decomposerEEEEE10hipError_tT0_T1_T2_jT3_P12ihipStream_tbPNSt15iterator_traitsISG_E10value_typeEPNSM_ISH_E10value_typeEPSI_NS1_7vsmem_tEENKUlT_SG_SH_SI_E_clIS7_S7_SB_S7_EESF_SV_SG_SH_SI_EUlSV_E1_NS1_11comp_targetILNS1_3genE8ELNS1_11target_archE1030ELNS1_3gpuE2ELNS1_3repE0EEENS1_36merge_oddeven_config_static_selectorELNS0_4arch9wavefront6targetE1EEEvSH_ ; -- Begin function _ZN7rocprim17ROCPRIM_400000_NS6detail17trampoline_kernelINS0_14default_configENS1_38merge_sort_block_merge_config_selectorIllEEZZNS1_27merge_sort_block_merge_implIS3_PlN6thrust23THRUST_200600_302600_NS10device_ptrIlEEjNS1_19radix_merge_compareILb0ELb0ElNS0_19identity_decomposerEEEEE10hipError_tT0_T1_T2_jT3_P12ihipStream_tbPNSt15iterator_traitsISG_E10value_typeEPNSM_ISH_E10value_typeEPSI_NS1_7vsmem_tEENKUlT_SG_SH_SI_E_clIS7_S7_SB_S7_EESF_SV_SG_SH_SI_EUlSV_E1_NS1_11comp_targetILNS1_3genE8ELNS1_11target_archE1030ELNS1_3gpuE2ELNS1_3repE0EEENS1_36merge_oddeven_config_static_selectorELNS0_4arch9wavefront6targetE1EEEvSH_
	.globl	_ZN7rocprim17ROCPRIM_400000_NS6detail17trampoline_kernelINS0_14default_configENS1_38merge_sort_block_merge_config_selectorIllEEZZNS1_27merge_sort_block_merge_implIS3_PlN6thrust23THRUST_200600_302600_NS10device_ptrIlEEjNS1_19radix_merge_compareILb0ELb0ElNS0_19identity_decomposerEEEEE10hipError_tT0_T1_T2_jT3_P12ihipStream_tbPNSt15iterator_traitsISG_E10value_typeEPNSM_ISH_E10value_typeEPSI_NS1_7vsmem_tEENKUlT_SG_SH_SI_E_clIS7_S7_SB_S7_EESF_SV_SG_SH_SI_EUlSV_E1_NS1_11comp_targetILNS1_3genE8ELNS1_11target_archE1030ELNS1_3gpuE2ELNS1_3repE0EEENS1_36merge_oddeven_config_static_selectorELNS0_4arch9wavefront6targetE1EEEvSH_
	.p2align	8
	.type	_ZN7rocprim17ROCPRIM_400000_NS6detail17trampoline_kernelINS0_14default_configENS1_38merge_sort_block_merge_config_selectorIllEEZZNS1_27merge_sort_block_merge_implIS3_PlN6thrust23THRUST_200600_302600_NS10device_ptrIlEEjNS1_19radix_merge_compareILb0ELb0ElNS0_19identity_decomposerEEEEE10hipError_tT0_T1_T2_jT3_P12ihipStream_tbPNSt15iterator_traitsISG_E10value_typeEPNSM_ISH_E10value_typeEPSI_NS1_7vsmem_tEENKUlT_SG_SH_SI_E_clIS7_S7_SB_S7_EESF_SV_SG_SH_SI_EUlSV_E1_NS1_11comp_targetILNS1_3genE8ELNS1_11target_archE1030ELNS1_3gpuE2ELNS1_3repE0EEENS1_36merge_oddeven_config_static_selectorELNS0_4arch9wavefront6targetE1EEEvSH_,@function
_ZN7rocprim17ROCPRIM_400000_NS6detail17trampoline_kernelINS0_14default_configENS1_38merge_sort_block_merge_config_selectorIllEEZZNS1_27merge_sort_block_merge_implIS3_PlN6thrust23THRUST_200600_302600_NS10device_ptrIlEEjNS1_19radix_merge_compareILb0ELb0ElNS0_19identity_decomposerEEEEE10hipError_tT0_T1_T2_jT3_P12ihipStream_tbPNSt15iterator_traitsISG_E10value_typeEPNSM_ISH_E10value_typeEPSI_NS1_7vsmem_tEENKUlT_SG_SH_SI_E_clIS7_S7_SB_S7_EESF_SV_SG_SH_SI_EUlSV_E1_NS1_11comp_targetILNS1_3genE8ELNS1_11target_archE1030ELNS1_3gpuE2ELNS1_3repE0EEENS1_36merge_oddeven_config_static_selectorELNS0_4arch9wavefront6targetE1EEEvSH_: ; @_ZN7rocprim17ROCPRIM_400000_NS6detail17trampoline_kernelINS0_14default_configENS1_38merge_sort_block_merge_config_selectorIllEEZZNS1_27merge_sort_block_merge_implIS3_PlN6thrust23THRUST_200600_302600_NS10device_ptrIlEEjNS1_19radix_merge_compareILb0ELb0ElNS0_19identity_decomposerEEEEE10hipError_tT0_T1_T2_jT3_P12ihipStream_tbPNSt15iterator_traitsISG_E10value_typeEPNSM_ISH_E10value_typeEPSI_NS1_7vsmem_tEENKUlT_SG_SH_SI_E_clIS7_S7_SB_S7_EESF_SV_SG_SH_SI_EUlSV_E1_NS1_11comp_targetILNS1_3genE8ELNS1_11target_archE1030ELNS1_3gpuE2ELNS1_3repE0EEENS1_36merge_oddeven_config_static_selectorELNS0_4arch9wavefront6targetE1EEEvSH_
; %bb.0:
	.section	.rodata,"a",@progbits
	.p2align	6, 0x0
	.amdhsa_kernel _ZN7rocprim17ROCPRIM_400000_NS6detail17trampoline_kernelINS0_14default_configENS1_38merge_sort_block_merge_config_selectorIllEEZZNS1_27merge_sort_block_merge_implIS3_PlN6thrust23THRUST_200600_302600_NS10device_ptrIlEEjNS1_19radix_merge_compareILb0ELb0ElNS0_19identity_decomposerEEEEE10hipError_tT0_T1_T2_jT3_P12ihipStream_tbPNSt15iterator_traitsISG_E10value_typeEPNSM_ISH_E10value_typeEPSI_NS1_7vsmem_tEENKUlT_SG_SH_SI_E_clIS7_S7_SB_S7_EESF_SV_SG_SH_SI_EUlSV_E1_NS1_11comp_targetILNS1_3genE8ELNS1_11target_archE1030ELNS1_3gpuE2ELNS1_3repE0EEENS1_36merge_oddeven_config_static_selectorELNS0_4arch9wavefront6targetE1EEEvSH_
		.amdhsa_group_segment_fixed_size 0
		.amdhsa_private_segment_fixed_size 0
		.amdhsa_kernarg_size 48
		.amdhsa_user_sgpr_count 6
		.amdhsa_user_sgpr_private_segment_buffer 1
		.amdhsa_user_sgpr_dispatch_ptr 0
		.amdhsa_user_sgpr_queue_ptr 0
		.amdhsa_user_sgpr_kernarg_segment_ptr 1
		.amdhsa_user_sgpr_dispatch_id 0
		.amdhsa_user_sgpr_flat_scratch_init 0
		.amdhsa_user_sgpr_private_segment_size 0
		.amdhsa_uses_dynamic_stack 0
		.amdhsa_system_sgpr_private_segment_wavefront_offset 0
		.amdhsa_system_sgpr_workgroup_id_x 1
		.amdhsa_system_sgpr_workgroup_id_y 0
		.amdhsa_system_sgpr_workgroup_id_z 0
		.amdhsa_system_sgpr_workgroup_info 0
		.amdhsa_system_vgpr_workitem_id 0
		.amdhsa_next_free_vgpr 1
		.amdhsa_next_free_sgpr 0
		.amdhsa_reserve_vcc 0
		.amdhsa_reserve_flat_scratch 0
		.amdhsa_float_round_mode_32 0
		.amdhsa_float_round_mode_16_64 0
		.amdhsa_float_denorm_mode_32 3
		.amdhsa_float_denorm_mode_16_64 3
		.amdhsa_dx10_clamp 1
		.amdhsa_ieee_mode 1
		.amdhsa_fp16_overflow 0
		.amdhsa_exception_fp_ieee_invalid_op 0
		.amdhsa_exception_fp_denorm_src 0
		.amdhsa_exception_fp_ieee_div_zero 0
		.amdhsa_exception_fp_ieee_overflow 0
		.amdhsa_exception_fp_ieee_underflow 0
		.amdhsa_exception_fp_ieee_inexact 0
		.amdhsa_exception_int_div_zero 0
	.end_amdhsa_kernel
	.section	.text._ZN7rocprim17ROCPRIM_400000_NS6detail17trampoline_kernelINS0_14default_configENS1_38merge_sort_block_merge_config_selectorIllEEZZNS1_27merge_sort_block_merge_implIS3_PlN6thrust23THRUST_200600_302600_NS10device_ptrIlEEjNS1_19radix_merge_compareILb0ELb0ElNS0_19identity_decomposerEEEEE10hipError_tT0_T1_T2_jT3_P12ihipStream_tbPNSt15iterator_traitsISG_E10value_typeEPNSM_ISH_E10value_typeEPSI_NS1_7vsmem_tEENKUlT_SG_SH_SI_E_clIS7_S7_SB_S7_EESF_SV_SG_SH_SI_EUlSV_E1_NS1_11comp_targetILNS1_3genE8ELNS1_11target_archE1030ELNS1_3gpuE2ELNS1_3repE0EEENS1_36merge_oddeven_config_static_selectorELNS0_4arch9wavefront6targetE1EEEvSH_,"axG",@progbits,_ZN7rocprim17ROCPRIM_400000_NS6detail17trampoline_kernelINS0_14default_configENS1_38merge_sort_block_merge_config_selectorIllEEZZNS1_27merge_sort_block_merge_implIS3_PlN6thrust23THRUST_200600_302600_NS10device_ptrIlEEjNS1_19radix_merge_compareILb0ELb0ElNS0_19identity_decomposerEEEEE10hipError_tT0_T1_T2_jT3_P12ihipStream_tbPNSt15iterator_traitsISG_E10value_typeEPNSM_ISH_E10value_typeEPSI_NS1_7vsmem_tEENKUlT_SG_SH_SI_E_clIS7_S7_SB_S7_EESF_SV_SG_SH_SI_EUlSV_E1_NS1_11comp_targetILNS1_3genE8ELNS1_11target_archE1030ELNS1_3gpuE2ELNS1_3repE0EEENS1_36merge_oddeven_config_static_selectorELNS0_4arch9wavefront6targetE1EEEvSH_,comdat
.Lfunc_end1057:
	.size	_ZN7rocprim17ROCPRIM_400000_NS6detail17trampoline_kernelINS0_14default_configENS1_38merge_sort_block_merge_config_selectorIllEEZZNS1_27merge_sort_block_merge_implIS3_PlN6thrust23THRUST_200600_302600_NS10device_ptrIlEEjNS1_19radix_merge_compareILb0ELb0ElNS0_19identity_decomposerEEEEE10hipError_tT0_T1_T2_jT3_P12ihipStream_tbPNSt15iterator_traitsISG_E10value_typeEPNSM_ISH_E10value_typeEPSI_NS1_7vsmem_tEENKUlT_SG_SH_SI_E_clIS7_S7_SB_S7_EESF_SV_SG_SH_SI_EUlSV_E1_NS1_11comp_targetILNS1_3genE8ELNS1_11target_archE1030ELNS1_3gpuE2ELNS1_3repE0EEENS1_36merge_oddeven_config_static_selectorELNS0_4arch9wavefront6targetE1EEEvSH_, .Lfunc_end1057-_ZN7rocprim17ROCPRIM_400000_NS6detail17trampoline_kernelINS0_14default_configENS1_38merge_sort_block_merge_config_selectorIllEEZZNS1_27merge_sort_block_merge_implIS3_PlN6thrust23THRUST_200600_302600_NS10device_ptrIlEEjNS1_19radix_merge_compareILb0ELb0ElNS0_19identity_decomposerEEEEE10hipError_tT0_T1_T2_jT3_P12ihipStream_tbPNSt15iterator_traitsISG_E10value_typeEPNSM_ISH_E10value_typeEPSI_NS1_7vsmem_tEENKUlT_SG_SH_SI_E_clIS7_S7_SB_S7_EESF_SV_SG_SH_SI_EUlSV_E1_NS1_11comp_targetILNS1_3genE8ELNS1_11target_archE1030ELNS1_3gpuE2ELNS1_3repE0EEENS1_36merge_oddeven_config_static_selectorELNS0_4arch9wavefront6targetE1EEEvSH_
                                        ; -- End function
	.set _ZN7rocprim17ROCPRIM_400000_NS6detail17trampoline_kernelINS0_14default_configENS1_38merge_sort_block_merge_config_selectorIllEEZZNS1_27merge_sort_block_merge_implIS3_PlN6thrust23THRUST_200600_302600_NS10device_ptrIlEEjNS1_19radix_merge_compareILb0ELb0ElNS0_19identity_decomposerEEEEE10hipError_tT0_T1_T2_jT3_P12ihipStream_tbPNSt15iterator_traitsISG_E10value_typeEPNSM_ISH_E10value_typeEPSI_NS1_7vsmem_tEENKUlT_SG_SH_SI_E_clIS7_S7_SB_S7_EESF_SV_SG_SH_SI_EUlSV_E1_NS1_11comp_targetILNS1_3genE8ELNS1_11target_archE1030ELNS1_3gpuE2ELNS1_3repE0EEENS1_36merge_oddeven_config_static_selectorELNS0_4arch9wavefront6targetE1EEEvSH_.num_vgpr, 0
	.set _ZN7rocprim17ROCPRIM_400000_NS6detail17trampoline_kernelINS0_14default_configENS1_38merge_sort_block_merge_config_selectorIllEEZZNS1_27merge_sort_block_merge_implIS3_PlN6thrust23THRUST_200600_302600_NS10device_ptrIlEEjNS1_19radix_merge_compareILb0ELb0ElNS0_19identity_decomposerEEEEE10hipError_tT0_T1_T2_jT3_P12ihipStream_tbPNSt15iterator_traitsISG_E10value_typeEPNSM_ISH_E10value_typeEPSI_NS1_7vsmem_tEENKUlT_SG_SH_SI_E_clIS7_S7_SB_S7_EESF_SV_SG_SH_SI_EUlSV_E1_NS1_11comp_targetILNS1_3genE8ELNS1_11target_archE1030ELNS1_3gpuE2ELNS1_3repE0EEENS1_36merge_oddeven_config_static_selectorELNS0_4arch9wavefront6targetE1EEEvSH_.num_agpr, 0
	.set _ZN7rocprim17ROCPRIM_400000_NS6detail17trampoline_kernelINS0_14default_configENS1_38merge_sort_block_merge_config_selectorIllEEZZNS1_27merge_sort_block_merge_implIS3_PlN6thrust23THRUST_200600_302600_NS10device_ptrIlEEjNS1_19radix_merge_compareILb0ELb0ElNS0_19identity_decomposerEEEEE10hipError_tT0_T1_T2_jT3_P12ihipStream_tbPNSt15iterator_traitsISG_E10value_typeEPNSM_ISH_E10value_typeEPSI_NS1_7vsmem_tEENKUlT_SG_SH_SI_E_clIS7_S7_SB_S7_EESF_SV_SG_SH_SI_EUlSV_E1_NS1_11comp_targetILNS1_3genE8ELNS1_11target_archE1030ELNS1_3gpuE2ELNS1_3repE0EEENS1_36merge_oddeven_config_static_selectorELNS0_4arch9wavefront6targetE1EEEvSH_.numbered_sgpr, 0
	.set _ZN7rocprim17ROCPRIM_400000_NS6detail17trampoline_kernelINS0_14default_configENS1_38merge_sort_block_merge_config_selectorIllEEZZNS1_27merge_sort_block_merge_implIS3_PlN6thrust23THRUST_200600_302600_NS10device_ptrIlEEjNS1_19radix_merge_compareILb0ELb0ElNS0_19identity_decomposerEEEEE10hipError_tT0_T1_T2_jT3_P12ihipStream_tbPNSt15iterator_traitsISG_E10value_typeEPNSM_ISH_E10value_typeEPSI_NS1_7vsmem_tEENKUlT_SG_SH_SI_E_clIS7_S7_SB_S7_EESF_SV_SG_SH_SI_EUlSV_E1_NS1_11comp_targetILNS1_3genE8ELNS1_11target_archE1030ELNS1_3gpuE2ELNS1_3repE0EEENS1_36merge_oddeven_config_static_selectorELNS0_4arch9wavefront6targetE1EEEvSH_.num_named_barrier, 0
	.set _ZN7rocprim17ROCPRIM_400000_NS6detail17trampoline_kernelINS0_14default_configENS1_38merge_sort_block_merge_config_selectorIllEEZZNS1_27merge_sort_block_merge_implIS3_PlN6thrust23THRUST_200600_302600_NS10device_ptrIlEEjNS1_19radix_merge_compareILb0ELb0ElNS0_19identity_decomposerEEEEE10hipError_tT0_T1_T2_jT3_P12ihipStream_tbPNSt15iterator_traitsISG_E10value_typeEPNSM_ISH_E10value_typeEPSI_NS1_7vsmem_tEENKUlT_SG_SH_SI_E_clIS7_S7_SB_S7_EESF_SV_SG_SH_SI_EUlSV_E1_NS1_11comp_targetILNS1_3genE8ELNS1_11target_archE1030ELNS1_3gpuE2ELNS1_3repE0EEENS1_36merge_oddeven_config_static_selectorELNS0_4arch9wavefront6targetE1EEEvSH_.private_seg_size, 0
	.set _ZN7rocprim17ROCPRIM_400000_NS6detail17trampoline_kernelINS0_14default_configENS1_38merge_sort_block_merge_config_selectorIllEEZZNS1_27merge_sort_block_merge_implIS3_PlN6thrust23THRUST_200600_302600_NS10device_ptrIlEEjNS1_19radix_merge_compareILb0ELb0ElNS0_19identity_decomposerEEEEE10hipError_tT0_T1_T2_jT3_P12ihipStream_tbPNSt15iterator_traitsISG_E10value_typeEPNSM_ISH_E10value_typeEPSI_NS1_7vsmem_tEENKUlT_SG_SH_SI_E_clIS7_S7_SB_S7_EESF_SV_SG_SH_SI_EUlSV_E1_NS1_11comp_targetILNS1_3genE8ELNS1_11target_archE1030ELNS1_3gpuE2ELNS1_3repE0EEENS1_36merge_oddeven_config_static_selectorELNS0_4arch9wavefront6targetE1EEEvSH_.uses_vcc, 0
	.set _ZN7rocprim17ROCPRIM_400000_NS6detail17trampoline_kernelINS0_14default_configENS1_38merge_sort_block_merge_config_selectorIllEEZZNS1_27merge_sort_block_merge_implIS3_PlN6thrust23THRUST_200600_302600_NS10device_ptrIlEEjNS1_19radix_merge_compareILb0ELb0ElNS0_19identity_decomposerEEEEE10hipError_tT0_T1_T2_jT3_P12ihipStream_tbPNSt15iterator_traitsISG_E10value_typeEPNSM_ISH_E10value_typeEPSI_NS1_7vsmem_tEENKUlT_SG_SH_SI_E_clIS7_S7_SB_S7_EESF_SV_SG_SH_SI_EUlSV_E1_NS1_11comp_targetILNS1_3genE8ELNS1_11target_archE1030ELNS1_3gpuE2ELNS1_3repE0EEENS1_36merge_oddeven_config_static_selectorELNS0_4arch9wavefront6targetE1EEEvSH_.uses_flat_scratch, 0
	.set _ZN7rocprim17ROCPRIM_400000_NS6detail17trampoline_kernelINS0_14default_configENS1_38merge_sort_block_merge_config_selectorIllEEZZNS1_27merge_sort_block_merge_implIS3_PlN6thrust23THRUST_200600_302600_NS10device_ptrIlEEjNS1_19radix_merge_compareILb0ELb0ElNS0_19identity_decomposerEEEEE10hipError_tT0_T1_T2_jT3_P12ihipStream_tbPNSt15iterator_traitsISG_E10value_typeEPNSM_ISH_E10value_typeEPSI_NS1_7vsmem_tEENKUlT_SG_SH_SI_E_clIS7_S7_SB_S7_EESF_SV_SG_SH_SI_EUlSV_E1_NS1_11comp_targetILNS1_3genE8ELNS1_11target_archE1030ELNS1_3gpuE2ELNS1_3repE0EEENS1_36merge_oddeven_config_static_selectorELNS0_4arch9wavefront6targetE1EEEvSH_.has_dyn_sized_stack, 0
	.set _ZN7rocprim17ROCPRIM_400000_NS6detail17trampoline_kernelINS0_14default_configENS1_38merge_sort_block_merge_config_selectorIllEEZZNS1_27merge_sort_block_merge_implIS3_PlN6thrust23THRUST_200600_302600_NS10device_ptrIlEEjNS1_19radix_merge_compareILb0ELb0ElNS0_19identity_decomposerEEEEE10hipError_tT0_T1_T2_jT3_P12ihipStream_tbPNSt15iterator_traitsISG_E10value_typeEPNSM_ISH_E10value_typeEPSI_NS1_7vsmem_tEENKUlT_SG_SH_SI_E_clIS7_S7_SB_S7_EESF_SV_SG_SH_SI_EUlSV_E1_NS1_11comp_targetILNS1_3genE8ELNS1_11target_archE1030ELNS1_3gpuE2ELNS1_3repE0EEENS1_36merge_oddeven_config_static_selectorELNS0_4arch9wavefront6targetE1EEEvSH_.has_recursion, 0
	.set _ZN7rocprim17ROCPRIM_400000_NS6detail17trampoline_kernelINS0_14default_configENS1_38merge_sort_block_merge_config_selectorIllEEZZNS1_27merge_sort_block_merge_implIS3_PlN6thrust23THRUST_200600_302600_NS10device_ptrIlEEjNS1_19radix_merge_compareILb0ELb0ElNS0_19identity_decomposerEEEEE10hipError_tT0_T1_T2_jT3_P12ihipStream_tbPNSt15iterator_traitsISG_E10value_typeEPNSM_ISH_E10value_typeEPSI_NS1_7vsmem_tEENKUlT_SG_SH_SI_E_clIS7_S7_SB_S7_EESF_SV_SG_SH_SI_EUlSV_E1_NS1_11comp_targetILNS1_3genE8ELNS1_11target_archE1030ELNS1_3gpuE2ELNS1_3repE0EEENS1_36merge_oddeven_config_static_selectorELNS0_4arch9wavefront6targetE1EEEvSH_.has_indirect_call, 0
	.section	.AMDGPU.csdata,"",@progbits
; Kernel info:
; codeLenInByte = 0
; TotalNumSgprs: 4
; NumVgprs: 0
; ScratchSize: 0
; MemoryBound: 0
; FloatMode: 240
; IeeeMode: 1
; LDSByteSize: 0 bytes/workgroup (compile time only)
; SGPRBlocks: 0
; VGPRBlocks: 0
; NumSGPRsForWavesPerEU: 4
; NumVGPRsForWavesPerEU: 1
; Occupancy: 10
; WaveLimiterHint : 0
; COMPUTE_PGM_RSRC2:SCRATCH_EN: 0
; COMPUTE_PGM_RSRC2:USER_SGPR: 6
; COMPUTE_PGM_RSRC2:TRAP_HANDLER: 0
; COMPUTE_PGM_RSRC2:TGID_X_EN: 1
; COMPUTE_PGM_RSRC2:TGID_Y_EN: 0
; COMPUTE_PGM_RSRC2:TGID_Z_EN: 0
; COMPUTE_PGM_RSRC2:TIDIG_COMP_CNT: 0
	.section	.text._ZN7rocprim17ROCPRIM_400000_NS6detail17trampoline_kernelINS0_14default_configENS1_25transform_config_selectorIlLb1EEEZNS1_14transform_implILb1ES3_S5_PlS7_NS0_8identityIlEEEE10hipError_tT2_T3_mT4_P12ihipStream_tbEUlT_E_NS1_11comp_targetILNS1_3genE0ELNS1_11target_archE4294967295ELNS1_3gpuE0ELNS1_3repE0EEENS1_30default_config_static_selectorELNS0_4arch9wavefront6targetE1EEEvT1_,"axG",@progbits,_ZN7rocprim17ROCPRIM_400000_NS6detail17trampoline_kernelINS0_14default_configENS1_25transform_config_selectorIlLb1EEEZNS1_14transform_implILb1ES3_S5_PlS7_NS0_8identityIlEEEE10hipError_tT2_T3_mT4_P12ihipStream_tbEUlT_E_NS1_11comp_targetILNS1_3genE0ELNS1_11target_archE4294967295ELNS1_3gpuE0ELNS1_3repE0EEENS1_30default_config_static_selectorELNS0_4arch9wavefront6targetE1EEEvT1_,comdat
	.protected	_ZN7rocprim17ROCPRIM_400000_NS6detail17trampoline_kernelINS0_14default_configENS1_25transform_config_selectorIlLb1EEEZNS1_14transform_implILb1ES3_S5_PlS7_NS0_8identityIlEEEE10hipError_tT2_T3_mT4_P12ihipStream_tbEUlT_E_NS1_11comp_targetILNS1_3genE0ELNS1_11target_archE4294967295ELNS1_3gpuE0ELNS1_3repE0EEENS1_30default_config_static_selectorELNS0_4arch9wavefront6targetE1EEEvT1_ ; -- Begin function _ZN7rocprim17ROCPRIM_400000_NS6detail17trampoline_kernelINS0_14default_configENS1_25transform_config_selectorIlLb1EEEZNS1_14transform_implILb1ES3_S5_PlS7_NS0_8identityIlEEEE10hipError_tT2_T3_mT4_P12ihipStream_tbEUlT_E_NS1_11comp_targetILNS1_3genE0ELNS1_11target_archE4294967295ELNS1_3gpuE0ELNS1_3repE0EEENS1_30default_config_static_selectorELNS0_4arch9wavefront6targetE1EEEvT1_
	.globl	_ZN7rocprim17ROCPRIM_400000_NS6detail17trampoline_kernelINS0_14default_configENS1_25transform_config_selectorIlLb1EEEZNS1_14transform_implILb1ES3_S5_PlS7_NS0_8identityIlEEEE10hipError_tT2_T3_mT4_P12ihipStream_tbEUlT_E_NS1_11comp_targetILNS1_3genE0ELNS1_11target_archE4294967295ELNS1_3gpuE0ELNS1_3repE0EEENS1_30default_config_static_selectorELNS0_4arch9wavefront6targetE1EEEvT1_
	.p2align	8
	.type	_ZN7rocprim17ROCPRIM_400000_NS6detail17trampoline_kernelINS0_14default_configENS1_25transform_config_selectorIlLb1EEEZNS1_14transform_implILb1ES3_S5_PlS7_NS0_8identityIlEEEE10hipError_tT2_T3_mT4_P12ihipStream_tbEUlT_E_NS1_11comp_targetILNS1_3genE0ELNS1_11target_archE4294967295ELNS1_3gpuE0ELNS1_3repE0EEENS1_30default_config_static_selectorELNS0_4arch9wavefront6targetE1EEEvT1_,@function
_ZN7rocprim17ROCPRIM_400000_NS6detail17trampoline_kernelINS0_14default_configENS1_25transform_config_selectorIlLb1EEEZNS1_14transform_implILb1ES3_S5_PlS7_NS0_8identityIlEEEE10hipError_tT2_T3_mT4_P12ihipStream_tbEUlT_E_NS1_11comp_targetILNS1_3genE0ELNS1_11target_archE4294967295ELNS1_3gpuE0ELNS1_3repE0EEENS1_30default_config_static_selectorELNS0_4arch9wavefront6targetE1EEEvT1_: ; @_ZN7rocprim17ROCPRIM_400000_NS6detail17trampoline_kernelINS0_14default_configENS1_25transform_config_selectorIlLb1EEEZNS1_14transform_implILb1ES3_S5_PlS7_NS0_8identityIlEEEE10hipError_tT2_T3_mT4_P12ihipStream_tbEUlT_E_NS1_11comp_targetILNS1_3genE0ELNS1_11target_archE4294967295ELNS1_3gpuE0ELNS1_3repE0EEENS1_30default_config_static_selectorELNS0_4arch9wavefront6targetE1EEEvT1_
; %bb.0:
	.section	.rodata,"a",@progbits
	.p2align	6, 0x0
	.amdhsa_kernel _ZN7rocprim17ROCPRIM_400000_NS6detail17trampoline_kernelINS0_14default_configENS1_25transform_config_selectorIlLb1EEEZNS1_14transform_implILb1ES3_S5_PlS7_NS0_8identityIlEEEE10hipError_tT2_T3_mT4_P12ihipStream_tbEUlT_E_NS1_11comp_targetILNS1_3genE0ELNS1_11target_archE4294967295ELNS1_3gpuE0ELNS1_3repE0EEENS1_30default_config_static_selectorELNS0_4arch9wavefront6targetE1EEEvT1_
		.amdhsa_group_segment_fixed_size 0
		.amdhsa_private_segment_fixed_size 0
		.amdhsa_kernarg_size 40
		.amdhsa_user_sgpr_count 6
		.amdhsa_user_sgpr_private_segment_buffer 1
		.amdhsa_user_sgpr_dispatch_ptr 0
		.amdhsa_user_sgpr_queue_ptr 0
		.amdhsa_user_sgpr_kernarg_segment_ptr 1
		.amdhsa_user_sgpr_dispatch_id 0
		.amdhsa_user_sgpr_flat_scratch_init 0
		.amdhsa_user_sgpr_private_segment_size 0
		.amdhsa_uses_dynamic_stack 0
		.amdhsa_system_sgpr_private_segment_wavefront_offset 0
		.amdhsa_system_sgpr_workgroup_id_x 1
		.amdhsa_system_sgpr_workgroup_id_y 0
		.amdhsa_system_sgpr_workgroup_id_z 0
		.amdhsa_system_sgpr_workgroup_info 0
		.amdhsa_system_vgpr_workitem_id 0
		.amdhsa_next_free_vgpr 1
		.amdhsa_next_free_sgpr 0
		.amdhsa_reserve_vcc 0
		.amdhsa_reserve_flat_scratch 0
		.amdhsa_float_round_mode_32 0
		.amdhsa_float_round_mode_16_64 0
		.amdhsa_float_denorm_mode_32 3
		.amdhsa_float_denorm_mode_16_64 3
		.amdhsa_dx10_clamp 1
		.amdhsa_ieee_mode 1
		.amdhsa_fp16_overflow 0
		.amdhsa_exception_fp_ieee_invalid_op 0
		.amdhsa_exception_fp_denorm_src 0
		.amdhsa_exception_fp_ieee_div_zero 0
		.amdhsa_exception_fp_ieee_overflow 0
		.amdhsa_exception_fp_ieee_underflow 0
		.amdhsa_exception_fp_ieee_inexact 0
		.amdhsa_exception_int_div_zero 0
	.end_amdhsa_kernel
	.section	.text._ZN7rocprim17ROCPRIM_400000_NS6detail17trampoline_kernelINS0_14default_configENS1_25transform_config_selectorIlLb1EEEZNS1_14transform_implILb1ES3_S5_PlS7_NS0_8identityIlEEEE10hipError_tT2_T3_mT4_P12ihipStream_tbEUlT_E_NS1_11comp_targetILNS1_3genE0ELNS1_11target_archE4294967295ELNS1_3gpuE0ELNS1_3repE0EEENS1_30default_config_static_selectorELNS0_4arch9wavefront6targetE1EEEvT1_,"axG",@progbits,_ZN7rocprim17ROCPRIM_400000_NS6detail17trampoline_kernelINS0_14default_configENS1_25transform_config_selectorIlLb1EEEZNS1_14transform_implILb1ES3_S5_PlS7_NS0_8identityIlEEEE10hipError_tT2_T3_mT4_P12ihipStream_tbEUlT_E_NS1_11comp_targetILNS1_3genE0ELNS1_11target_archE4294967295ELNS1_3gpuE0ELNS1_3repE0EEENS1_30default_config_static_selectorELNS0_4arch9wavefront6targetE1EEEvT1_,comdat
.Lfunc_end1058:
	.size	_ZN7rocprim17ROCPRIM_400000_NS6detail17trampoline_kernelINS0_14default_configENS1_25transform_config_selectorIlLb1EEEZNS1_14transform_implILb1ES3_S5_PlS7_NS0_8identityIlEEEE10hipError_tT2_T3_mT4_P12ihipStream_tbEUlT_E_NS1_11comp_targetILNS1_3genE0ELNS1_11target_archE4294967295ELNS1_3gpuE0ELNS1_3repE0EEENS1_30default_config_static_selectorELNS0_4arch9wavefront6targetE1EEEvT1_, .Lfunc_end1058-_ZN7rocprim17ROCPRIM_400000_NS6detail17trampoline_kernelINS0_14default_configENS1_25transform_config_selectorIlLb1EEEZNS1_14transform_implILb1ES3_S5_PlS7_NS0_8identityIlEEEE10hipError_tT2_T3_mT4_P12ihipStream_tbEUlT_E_NS1_11comp_targetILNS1_3genE0ELNS1_11target_archE4294967295ELNS1_3gpuE0ELNS1_3repE0EEENS1_30default_config_static_selectorELNS0_4arch9wavefront6targetE1EEEvT1_
                                        ; -- End function
	.set _ZN7rocprim17ROCPRIM_400000_NS6detail17trampoline_kernelINS0_14default_configENS1_25transform_config_selectorIlLb1EEEZNS1_14transform_implILb1ES3_S5_PlS7_NS0_8identityIlEEEE10hipError_tT2_T3_mT4_P12ihipStream_tbEUlT_E_NS1_11comp_targetILNS1_3genE0ELNS1_11target_archE4294967295ELNS1_3gpuE0ELNS1_3repE0EEENS1_30default_config_static_selectorELNS0_4arch9wavefront6targetE1EEEvT1_.num_vgpr, 0
	.set _ZN7rocprim17ROCPRIM_400000_NS6detail17trampoline_kernelINS0_14default_configENS1_25transform_config_selectorIlLb1EEEZNS1_14transform_implILb1ES3_S5_PlS7_NS0_8identityIlEEEE10hipError_tT2_T3_mT4_P12ihipStream_tbEUlT_E_NS1_11comp_targetILNS1_3genE0ELNS1_11target_archE4294967295ELNS1_3gpuE0ELNS1_3repE0EEENS1_30default_config_static_selectorELNS0_4arch9wavefront6targetE1EEEvT1_.num_agpr, 0
	.set _ZN7rocprim17ROCPRIM_400000_NS6detail17trampoline_kernelINS0_14default_configENS1_25transform_config_selectorIlLb1EEEZNS1_14transform_implILb1ES3_S5_PlS7_NS0_8identityIlEEEE10hipError_tT2_T3_mT4_P12ihipStream_tbEUlT_E_NS1_11comp_targetILNS1_3genE0ELNS1_11target_archE4294967295ELNS1_3gpuE0ELNS1_3repE0EEENS1_30default_config_static_selectorELNS0_4arch9wavefront6targetE1EEEvT1_.numbered_sgpr, 0
	.set _ZN7rocprim17ROCPRIM_400000_NS6detail17trampoline_kernelINS0_14default_configENS1_25transform_config_selectorIlLb1EEEZNS1_14transform_implILb1ES3_S5_PlS7_NS0_8identityIlEEEE10hipError_tT2_T3_mT4_P12ihipStream_tbEUlT_E_NS1_11comp_targetILNS1_3genE0ELNS1_11target_archE4294967295ELNS1_3gpuE0ELNS1_3repE0EEENS1_30default_config_static_selectorELNS0_4arch9wavefront6targetE1EEEvT1_.num_named_barrier, 0
	.set _ZN7rocprim17ROCPRIM_400000_NS6detail17trampoline_kernelINS0_14default_configENS1_25transform_config_selectorIlLb1EEEZNS1_14transform_implILb1ES3_S5_PlS7_NS0_8identityIlEEEE10hipError_tT2_T3_mT4_P12ihipStream_tbEUlT_E_NS1_11comp_targetILNS1_3genE0ELNS1_11target_archE4294967295ELNS1_3gpuE0ELNS1_3repE0EEENS1_30default_config_static_selectorELNS0_4arch9wavefront6targetE1EEEvT1_.private_seg_size, 0
	.set _ZN7rocprim17ROCPRIM_400000_NS6detail17trampoline_kernelINS0_14default_configENS1_25transform_config_selectorIlLb1EEEZNS1_14transform_implILb1ES3_S5_PlS7_NS0_8identityIlEEEE10hipError_tT2_T3_mT4_P12ihipStream_tbEUlT_E_NS1_11comp_targetILNS1_3genE0ELNS1_11target_archE4294967295ELNS1_3gpuE0ELNS1_3repE0EEENS1_30default_config_static_selectorELNS0_4arch9wavefront6targetE1EEEvT1_.uses_vcc, 0
	.set _ZN7rocprim17ROCPRIM_400000_NS6detail17trampoline_kernelINS0_14default_configENS1_25transform_config_selectorIlLb1EEEZNS1_14transform_implILb1ES3_S5_PlS7_NS0_8identityIlEEEE10hipError_tT2_T3_mT4_P12ihipStream_tbEUlT_E_NS1_11comp_targetILNS1_3genE0ELNS1_11target_archE4294967295ELNS1_3gpuE0ELNS1_3repE0EEENS1_30default_config_static_selectorELNS0_4arch9wavefront6targetE1EEEvT1_.uses_flat_scratch, 0
	.set _ZN7rocprim17ROCPRIM_400000_NS6detail17trampoline_kernelINS0_14default_configENS1_25transform_config_selectorIlLb1EEEZNS1_14transform_implILb1ES3_S5_PlS7_NS0_8identityIlEEEE10hipError_tT2_T3_mT4_P12ihipStream_tbEUlT_E_NS1_11comp_targetILNS1_3genE0ELNS1_11target_archE4294967295ELNS1_3gpuE0ELNS1_3repE0EEENS1_30default_config_static_selectorELNS0_4arch9wavefront6targetE1EEEvT1_.has_dyn_sized_stack, 0
	.set _ZN7rocprim17ROCPRIM_400000_NS6detail17trampoline_kernelINS0_14default_configENS1_25transform_config_selectorIlLb1EEEZNS1_14transform_implILb1ES3_S5_PlS7_NS0_8identityIlEEEE10hipError_tT2_T3_mT4_P12ihipStream_tbEUlT_E_NS1_11comp_targetILNS1_3genE0ELNS1_11target_archE4294967295ELNS1_3gpuE0ELNS1_3repE0EEENS1_30default_config_static_selectorELNS0_4arch9wavefront6targetE1EEEvT1_.has_recursion, 0
	.set _ZN7rocprim17ROCPRIM_400000_NS6detail17trampoline_kernelINS0_14default_configENS1_25transform_config_selectorIlLb1EEEZNS1_14transform_implILb1ES3_S5_PlS7_NS0_8identityIlEEEE10hipError_tT2_T3_mT4_P12ihipStream_tbEUlT_E_NS1_11comp_targetILNS1_3genE0ELNS1_11target_archE4294967295ELNS1_3gpuE0ELNS1_3repE0EEENS1_30default_config_static_selectorELNS0_4arch9wavefront6targetE1EEEvT1_.has_indirect_call, 0
	.section	.AMDGPU.csdata,"",@progbits
; Kernel info:
; codeLenInByte = 0
; TotalNumSgprs: 4
; NumVgprs: 0
; ScratchSize: 0
; MemoryBound: 0
; FloatMode: 240
; IeeeMode: 1
; LDSByteSize: 0 bytes/workgroup (compile time only)
; SGPRBlocks: 0
; VGPRBlocks: 0
; NumSGPRsForWavesPerEU: 4
; NumVGPRsForWavesPerEU: 1
; Occupancy: 10
; WaveLimiterHint : 0
; COMPUTE_PGM_RSRC2:SCRATCH_EN: 0
; COMPUTE_PGM_RSRC2:USER_SGPR: 6
; COMPUTE_PGM_RSRC2:TRAP_HANDLER: 0
; COMPUTE_PGM_RSRC2:TGID_X_EN: 1
; COMPUTE_PGM_RSRC2:TGID_Y_EN: 0
; COMPUTE_PGM_RSRC2:TGID_Z_EN: 0
; COMPUTE_PGM_RSRC2:TIDIG_COMP_CNT: 0
	.section	.text._ZN7rocprim17ROCPRIM_400000_NS6detail17trampoline_kernelINS0_14default_configENS1_25transform_config_selectorIlLb1EEEZNS1_14transform_implILb1ES3_S5_PlS7_NS0_8identityIlEEEE10hipError_tT2_T3_mT4_P12ihipStream_tbEUlT_E_NS1_11comp_targetILNS1_3genE10ELNS1_11target_archE1201ELNS1_3gpuE5ELNS1_3repE0EEENS1_30default_config_static_selectorELNS0_4arch9wavefront6targetE1EEEvT1_,"axG",@progbits,_ZN7rocprim17ROCPRIM_400000_NS6detail17trampoline_kernelINS0_14default_configENS1_25transform_config_selectorIlLb1EEEZNS1_14transform_implILb1ES3_S5_PlS7_NS0_8identityIlEEEE10hipError_tT2_T3_mT4_P12ihipStream_tbEUlT_E_NS1_11comp_targetILNS1_3genE10ELNS1_11target_archE1201ELNS1_3gpuE5ELNS1_3repE0EEENS1_30default_config_static_selectorELNS0_4arch9wavefront6targetE1EEEvT1_,comdat
	.protected	_ZN7rocprim17ROCPRIM_400000_NS6detail17trampoline_kernelINS0_14default_configENS1_25transform_config_selectorIlLb1EEEZNS1_14transform_implILb1ES3_S5_PlS7_NS0_8identityIlEEEE10hipError_tT2_T3_mT4_P12ihipStream_tbEUlT_E_NS1_11comp_targetILNS1_3genE10ELNS1_11target_archE1201ELNS1_3gpuE5ELNS1_3repE0EEENS1_30default_config_static_selectorELNS0_4arch9wavefront6targetE1EEEvT1_ ; -- Begin function _ZN7rocprim17ROCPRIM_400000_NS6detail17trampoline_kernelINS0_14default_configENS1_25transform_config_selectorIlLb1EEEZNS1_14transform_implILb1ES3_S5_PlS7_NS0_8identityIlEEEE10hipError_tT2_T3_mT4_P12ihipStream_tbEUlT_E_NS1_11comp_targetILNS1_3genE10ELNS1_11target_archE1201ELNS1_3gpuE5ELNS1_3repE0EEENS1_30default_config_static_selectorELNS0_4arch9wavefront6targetE1EEEvT1_
	.globl	_ZN7rocprim17ROCPRIM_400000_NS6detail17trampoline_kernelINS0_14default_configENS1_25transform_config_selectorIlLb1EEEZNS1_14transform_implILb1ES3_S5_PlS7_NS0_8identityIlEEEE10hipError_tT2_T3_mT4_P12ihipStream_tbEUlT_E_NS1_11comp_targetILNS1_3genE10ELNS1_11target_archE1201ELNS1_3gpuE5ELNS1_3repE0EEENS1_30default_config_static_selectorELNS0_4arch9wavefront6targetE1EEEvT1_
	.p2align	8
	.type	_ZN7rocprim17ROCPRIM_400000_NS6detail17trampoline_kernelINS0_14default_configENS1_25transform_config_selectorIlLb1EEEZNS1_14transform_implILb1ES3_S5_PlS7_NS0_8identityIlEEEE10hipError_tT2_T3_mT4_P12ihipStream_tbEUlT_E_NS1_11comp_targetILNS1_3genE10ELNS1_11target_archE1201ELNS1_3gpuE5ELNS1_3repE0EEENS1_30default_config_static_selectorELNS0_4arch9wavefront6targetE1EEEvT1_,@function
_ZN7rocprim17ROCPRIM_400000_NS6detail17trampoline_kernelINS0_14default_configENS1_25transform_config_selectorIlLb1EEEZNS1_14transform_implILb1ES3_S5_PlS7_NS0_8identityIlEEEE10hipError_tT2_T3_mT4_P12ihipStream_tbEUlT_E_NS1_11comp_targetILNS1_3genE10ELNS1_11target_archE1201ELNS1_3gpuE5ELNS1_3repE0EEENS1_30default_config_static_selectorELNS0_4arch9wavefront6targetE1EEEvT1_: ; @_ZN7rocprim17ROCPRIM_400000_NS6detail17trampoline_kernelINS0_14default_configENS1_25transform_config_selectorIlLb1EEEZNS1_14transform_implILb1ES3_S5_PlS7_NS0_8identityIlEEEE10hipError_tT2_T3_mT4_P12ihipStream_tbEUlT_E_NS1_11comp_targetILNS1_3genE10ELNS1_11target_archE1201ELNS1_3gpuE5ELNS1_3repE0EEENS1_30default_config_static_selectorELNS0_4arch9wavefront6targetE1EEEvT1_
; %bb.0:
	.section	.rodata,"a",@progbits
	.p2align	6, 0x0
	.amdhsa_kernel _ZN7rocprim17ROCPRIM_400000_NS6detail17trampoline_kernelINS0_14default_configENS1_25transform_config_selectorIlLb1EEEZNS1_14transform_implILb1ES3_S5_PlS7_NS0_8identityIlEEEE10hipError_tT2_T3_mT4_P12ihipStream_tbEUlT_E_NS1_11comp_targetILNS1_3genE10ELNS1_11target_archE1201ELNS1_3gpuE5ELNS1_3repE0EEENS1_30default_config_static_selectorELNS0_4arch9wavefront6targetE1EEEvT1_
		.amdhsa_group_segment_fixed_size 0
		.amdhsa_private_segment_fixed_size 0
		.amdhsa_kernarg_size 40
		.amdhsa_user_sgpr_count 6
		.amdhsa_user_sgpr_private_segment_buffer 1
		.amdhsa_user_sgpr_dispatch_ptr 0
		.amdhsa_user_sgpr_queue_ptr 0
		.amdhsa_user_sgpr_kernarg_segment_ptr 1
		.amdhsa_user_sgpr_dispatch_id 0
		.amdhsa_user_sgpr_flat_scratch_init 0
		.amdhsa_user_sgpr_private_segment_size 0
		.amdhsa_uses_dynamic_stack 0
		.amdhsa_system_sgpr_private_segment_wavefront_offset 0
		.amdhsa_system_sgpr_workgroup_id_x 1
		.amdhsa_system_sgpr_workgroup_id_y 0
		.amdhsa_system_sgpr_workgroup_id_z 0
		.amdhsa_system_sgpr_workgroup_info 0
		.amdhsa_system_vgpr_workitem_id 0
		.amdhsa_next_free_vgpr 1
		.amdhsa_next_free_sgpr 0
		.amdhsa_reserve_vcc 0
		.amdhsa_reserve_flat_scratch 0
		.amdhsa_float_round_mode_32 0
		.amdhsa_float_round_mode_16_64 0
		.amdhsa_float_denorm_mode_32 3
		.amdhsa_float_denorm_mode_16_64 3
		.amdhsa_dx10_clamp 1
		.amdhsa_ieee_mode 1
		.amdhsa_fp16_overflow 0
		.amdhsa_exception_fp_ieee_invalid_op 0
		.amdhsa_exception_fp_denorm_src 0
		.amdhsa_exception_fp_ieee_div_zero 0
		.amdhsa_exception_fp_ieee_overflow 0
		.amdhsa_exception_fp_ieee_underflow 0
		.amdhsa_exception_fp_ieee_inexact 0
		.amdhsa_exception_int_div_zero 0
	.end_amdhsa_kernel
	.section	.text._ZN7rocprim17ROCPRIM_400000_NS6detail17trampoline_kernelINS0_14default_configENS1_25transform_config_selectorIlLb1EEEZNS1_14transform_implILb1ES3_S5_PlS7_NS0_8identityIlEEEE10hipError_tT2_T3_mT4_P12ihipStream_tbEUlT_E_NS1_11comp_targetILNS1_3genE10ELNS1_11target_archE1201ELNS1_3gpuE5ELNS1_3repE0EEENS1_30default_config_static_selectorELNS0_4arch9wavefront6targetE1EEEvT1_,"axG",@progbits,_ZN7rocprim17ROCPRIM_400000_NS6detail17trampoline_kernelINS0_14default_configENS1_25transform_config_selectorIlLb1EEEZNS1_14transform_implILb1ES3_S5_PlS7_NS0_8identityIlEEEE10hipError_tT2_T3_mT4_P12ihipStream_tbEUlT_E_NS1_11comp_targetILNS1_3genE10ELNS1_11target_archE1201ELNS1_3gpuE5ELNS1_3repE0EEENS1_30default_config_static_selectorELNS0_4arch9wavefront6targetE1EEEvT1_,comdat
.Lfunc_end1059:
	.size	_ZN7rocprim17ROCPRIM_400000_NS6detail17trampoline_kernelINS0_14default_configENS1_25transform_config_selectorIlLb1EEEZNS1_14transform_implILb1ES3_S5_PlS7_NS0_8identityIlEEEE10hipError_tT2_T3_mT4_P12ihipStream_tbEUlT_E_NS1_11comp_targetILNS1_3genE10ELNS1_11target_archE1201ELNS1_3gpuE5ELNS1_3repE0EEENS1_30default_config_static_selectorELNS0_4arch9wavefront6targetE1EEEvT1_, .Lfunc_end1059-_ZN7rocprim17ROCPRIM_400000_NS6detail17trampoline_kernelINS0_14default_configENS1_25transform_config_selectorIlLb1EEEZNS1_14transform_implILb1ES3_S5_PlS7_NS0_8identityIlEEEE10hipError_tT2_T3_mT4_P12ihipStream_tbEUlT_E_NS1_11comp_targetILNS1_3genE10ELNS1_11target_archE1201ELNS1_3gpuE5ELNS1_3repE0EEENS1_30default_config_static_selectorELNS0_4arch9wavefront6targetE1EEEvT1_
                                        ; -- End function
	.set _ZN7rocprim17ROCPRIM_400000_NS6detail17trampoline_kernelINS0_14default_configENS1_25transform_config_selectorIlLb1EEEZNS1_14transform_implILb1ES3_S5_PlS7_NS0_8identityIlEEEE10hipError_tT2_T3_mT4_P12ihipStream_tbEUlT_E_NS1_11comp_targetILNS1_3genE10ELNS1_11target_archE1201ELNS1_3gpuE5ELNS1_3repE0EEENS1_30default_config_static_selectorELNS0_4arch9wavefront6targetE1EEEvT1_.num_vgpr, 0
	.set _ZN7rocprim17ROCPRIM_400000_NS6detail17trampoline_kernelINS0_14default_configENS1_25transform_config_selectorIlLb1EEEZNS1_14transform_implILb1ES3_S5_PlS7_NS0_8identityIlEEEE10hipError_tT2_T3_mT4_P12ihipStream_tbEUlT_E_NS1_11comp_targetILNS1_3genE10ELNS1_11target_archE1201ELNS1_3gpuE5ELNS1_3repE0EEENS1_30default_config_static_selectorELNS0_4arch9wavefront6targetE1EEEvT1_.num_agpr, 0
	.set _ZN7rocprim17ROCPRIM_400000_NS6detail17trampoline_kernelINS0_14default_configENS1_25transform_config_selectorIlLb1EEEZNS1_14transform_implILb1ES3_S5_PlS7_NS0_8identityIlEEEE10hipError_tT2_T3_mT4_P12ihipStream_tbEUlT_E_NS1_11comp_targetILNS1_3genE10ELNS1_11target_archE1201ELNS1_3gpuE5ELNS1_3repE0EEENS1_30default_config_static_selectorELNS0_4arch9wavefront6targetE1EEEvT1_.numbered_sgpr, 0
	.set _ZN7rocprim17ROCPRIM_400000_NS6detail17trampoline_kernelINS0_14default_configENS1_25transform_config_selectorIlLb1EEEZNS1_14transform_implILb1ES3_S5_PlS7_NS0_8identityIlEEEE10hipError_tT2_T3_mT4_P12ihipStream_tbEUlT_E_NS1_11comp_targetILNS1_3genE10ELNS1_11target_archE1201ELNS1_3gpuE5ELNS1_3repE0EEENS1_30default_config_static_selectorELNS0_4arch9wavefront6targetE1EEEvT1_.num_named_barrier, 0
	.set _ZN7rocprim17ROCPRIM_400000_NS6detail17trampoline_kernelINS0_14default_configENS1_25transform_config_selectorIlLb1EEEZNS1_14transform_implILb1ES3_S5_PlS7_NS0_8identityIlEEEE10hipError_tT2_T3_mT4_P12ihipStream_tbEUlT_E_NS1_11comp_targetILNS1_3genE10ELNS1_11target_archE1201ELNS1_3gpuE5ELNS1_3repE0EEENS1_30default_config_static_selectorELNS0_4arch9wavefront6targetE1EEEvT1_.private_seg_size, 0
	.set _ZN7rocprim17ROCPRIM_400000_NS6detail17trampoline_kernelINS0_14default_configENS1_25transform_config_selectorIlLb1EEEZNS1_14transform_implILb1ES3_S5_PlS7_NS0_8identityIlEEEE10hipError_tT2_T3_mT4_P12ihipStream_tbEUlT_E_NS1_11comp_targetILNS1_3genE10ELNS1_11target_archE1201ELNS1_3gpuE5ELNS1_3repE0EEENS1_30default_config_static_selectorELNS0_4arch9wavefront6targetE1EEEvT1_.uses_vcc, 0
	.set _ZN7rocprim17ROCPRIM_400000_NS6detail17trampoline_kernelINS0_14default_configENS1_25transform_config_selectorIlLb1EEEZNS1_14transform_implILb1ES3_S5_PlS7_NS0_8identityIlEEEE10hipError_tT2_T3_mT4_P12ihipStream_tbEUlT_E_NS1_11comp_targetILNS1_3genE10ELNS1_11target_archE1201ELNS1_3gpuE5ELNS1_3repE0EEENS1_30default_config_static_selectorELNS0_4arch9wavefront6targetE1EEEvT1_.uses_flat_scratch, 0
	.set _ZN7rocprim17ROCPRIM_400000_NS6detail17trampoline_kernelINS0_14default_configENS1_25transform_config_selectorIlLb1EEEZNS1_14transform_implILb1ES3_S5_PlS7_NS0_8identityIlEEEE10hipError_tT2_T3_mT4_P12ihipStream_tbEUlT_E_NS1_11comp_targetILNS1_3genE10ELNS1_11target_archE1201ELNS1_3gpuE5ELNS1_3repE0EEENS1_30default_config_static_selectorELNS0_4arch9wavefront6targetE1EEEvT1_.has_dyn_sized_stack, 0
	.set _ZN7rocprim17ROCPRIM_400000_NS6detail17trampoline_kernelINS0_14default_configENS1_25transform_config_selectorIlLb1EEEZNS1_14transform_implILb1ES3_S5_PlS7_NS0_8identityIlEEEE10hipError_tT2_T3_mT4_P12ihipStream_tbEUlT_E_NS1_11comp_targetILNS1_3genE10ELNS1_11target_archE1201ELNS1_3gpuE5ELNS1_3repE0EEENS1_30default_config_static_selectorELNS0_4arch9wavefront6targetE1EEEvT1_.has_recursion, 0
	.set _ZN7rocprim17ROCPRIM_400000_NS6detail17trampoline_kernelINS0_14default_configENS1_25transform_config_selectorIlLb1EEEZNS1_14transform_implILb1ES3_S5_PlS7_NS0_8identityIlEEEE10hipError_tT2_T3_mT4_P12ihipStream_tbEUlT_E_NS1_11comp_targetILNS1_3genE10ELNS1_11target_archE1201ELNS1_3gpuE5ELNS1_3repE0EEENS1_30default_config_static_selectorELNS0_4arch9wavefront6targetE1EEEvT1_.has_indirect_call, 0
	.section	.AMDGPU.csdata,"",@progbits
; Kernel info:
; codeLenInByte = 0
; TotalNumSgprs: 4
; NumVgprs: 0
; ScratchSize: 0
; MemoryBound: 0
; FloatMode: 240
; IeeeMode: 1
; LDSByteSize: 0 bytes/workgroup (compile time only)
; SGPRBlocks: 0
; VGPRBlocks: 0
; NumSGPRsForWavesPerEU: 4
; NumVGPRsForWavesPerEU: 1
; Occupancy: 10
; WaveLimiterHint : 0
; COMPUTE_PGM_RSRC2:SCRATCH_EN: 0
; COMPUTE_PGM_RSRC2:USER_SGPR: 6
; COMPUTE_PGM_RSRC2:TRAP_HANDLER: 0
; COMPUTE_PGM_RSRC2:TGID_X_EN: 1
; COMPUTE_PGM_RSRC2:TGID_Y_EN: 0
; COMPUTE_PGM_RSRC2:TGID_Z_EN: 0
; COMPUTE_PGM_RSRC2:TIDIG_COMP_CNT: 0
	.section	.text._ZN7rocprim17ROCPRIM_400000_NS6detail17trampoline_kernelINS0_14default_configENS1_25transform_config_selectorIlLb1EEEZNS1_14transform_implILb1ES3_S5_PlS7_NS0_8identityIlEEEE10hipError_tT2_T3_mT4_P12ihipStream_tbEUlT_E_NS1_11comp_targetILNS1_3genE5ELNS1_11target_archE942ELNS1_3gpuE9ELNS1_3repE0EEENS1_30default_config_static_selectorELNS0_4arch9wavefront6targetE1EEEvT1_,"axG",@progbits,_ZN7rocprim17ROCPRIM_400000_NS6detail17trampoline_kernelINS0_14default_configENS1_25transform_config_selectorIlLb1EEEZNS1_14transform_implILb1ES3_S5_PlS7_NS0_8identityIlEEEE10hipError_tT2_T3_mT4_P12ihipStream_tbEUlT_E_NS1_11comp_targetILNS1_3genE5ELNS1_11target_archE942ELNS1_3gpuE9ELNS1_3repE0EEENS1_30default_config_static_selectorELNS0_4arch9wavefront6targetE1EEEvT1_,comdat
	.protected	_ZN7rocprim17ROCPRIM_400000_NS6detail17trampoline_kernelINS0_14default_configENS1_25transform_config_selectorIlLb1EEEZNS1_14transform_implILb1ES3_S5_PlS7_NS0_8identityIlEEEE10hipError_tT2_T3_mT4_P12ihipStream_tbEUlT_E_NS1_11comp_targetILNS1_3genE5ELNS1_11target_archE942ELNS1_3gpuE9ELNS1_3repE0EEENS1_30default_config_static_selectorELNS0_4arch9wavefront6targetE1EEEvT1_ ; -- Begin function _ZN7rocprim17ROCPRIM_400000_NS6detail17trampoline_kernelINS0_14default_configENS1_25transform_config_selectorIlLb1EEEZNS1_14transform_implILb1ES3_S5_PlS7_NS0_8identityIlEEEE10hipError_tT2_T3_mT4_P12ihipStream_tbEUlT_E_NS1_11comp_targetILNS1_3genE5ELNS1_11target_archE942ELNS1_3gpuE9ELNS1_3repE0EEENS1_30default_config_static_selectorELNS0_4arch9wavefront6targetE1EEEvT1_
	.globl	_ZN7rocprim17ROCPRIM_400000_NS6detail17trampoline_kernelINS0_14default_configENS1_25transform_config_selectorIlLb1EEEZNS1_14transform_implILb1ES3_S5_PlS7_NS0_8identityIlEEEE10hipError_tT2_T3_mT4_P12ihipStream_tbEUlT_E_NS1_11comp_targetILNS1_3genE5ELNS1_11target_archE942ELNS1_3gpuE9ELNS1_3repE0EEENS1_30default_config_static_selectorELNS0_4arch9wavefront6targetE1EEEvT1_
	.p2align	8
	.type	_ZN7rocprim17ROCPRIM_400000_NS6detail17trampoline_kernelINS0_14default_configENS1_25transform_config_selectorIlLb1EEEZNS1_14transform_implILb1ES3_S5_PlS7_NS0_8identityIlEEEE10hipError_tT2_T3_mT4_P12ihipStream_tbEUlT_E_NS1_11comp_targetILNS1_3genE5ELNS1_11target_archE942ELNS1_3gpuE9ELNS1_3repE0EEENS1_30default_config_static_selectorELNS0_4arch9wavefront6targetE1EEEvT1_,@function
_ZN7rocprim17ROCPRIM_400000_NS6detail17trampoline_kernelINS0_14default_configENS1_25transform_config_selectorIlLb1EEEZNS1_14transform_implILb1ES3_S5_PlS7_NS0_8identityIlEEEE10hipError_tT2_T3_mT4_P12ihipStream_tbEUlT_E_NS1_11comp_targetILNS1_3genE5ELNS1_11target_archE942ELNS1_3gpuE9ELNS1_3repE0EEENS1_30default_config_static_selectorELNS0_4arch9wavefront6targetE1EEEvT1_: ; @_ZN7rocprim17ROCPRIM_400000_NS6detail17trampoline_kernelINS0_14default_configENS1_25transform_config_selectorIlLb1EEEZNS1_14transform_implILb1ES3_S5_PlS7_NS0_8identityIlEEEE10hipError_tT2_T3_mT4_P12ihipStream_tbEUlT_E_NS1_11comp_targetILNS1_3genE5ELNS1_11target_archE942ELNS1_3gpuE9ELNS1_3repE0EEENS1_30default_config_static_selectorELNS0_4arch9wavefront6targetE1EEEvT1_
; %bb.0:
	.section	.rodata,"a",@progbits
	.p2align	6, 0x0
	.amdhsa_kernel _ZN7rocprim17ROCPRIM_400000_NS6detail17trampoline_kernelINS0_14default_configENS1_25transform_config_selectorIlLb1EEEZNS1_14transform_implILb1ES3_S5_PlS7_NS0_8identityIlEEEE10hipError_tT2_T3_mT4_P12ihipStream_tbEUlT_E_NS1_11comp_targetILNS1_3genE5ELNS1_11target_archE942ELNS1_3gpuE9ELNS1_3repE0EEENS1_30default_config_static_selectorELNS0_4arch9wavefront6targetE1EEEvT1_
		.amdhsa_group_segment_fixed_size 0
		.amdhsa_private_segment_fixed_size 0
		.amdhsa_kernarg_size 40
		.amdhsa_user_sgpr_count 6
		.amdhsa_user_sgpr_private_segment_buffer 1
		.amdhsa_user_sgpr_dispatch_ptr 0
		.amdhsa_user_sgpr_queue_ptr 0
		.amdhsa_user_sgpr_kernarg_segment_ptr 1
		.amdhsa_user_sgpr_dispatch_id 0
		.amdhsa_user_sgpr_flat_scratch_init 0
		.amdhsa_user_sgpr_private_segment_size 0
		.amdhsa_uses_dynamic_stack 0
		.amdhsa_system_sgpr_private_segment_wavefront_offset 0
		.amdhsa_system_sgpr_workgroup_id_x 1
		.amdhsa_system_sgpr_workgroup_id_y 0
		.amdhsa_system_sgpr_workgroup_id_z 0
		.amdhsa_system_sgpr_workgroup_info 0
		.amdhsa_system_vgpr_workitem_id 0
		.amdhsa_next_free_vgpr 1
		.amdhsa_next_free_sgpr 0
		.amdhsa_reserve_vcc 0
		.amdhsa_reserve_flat_scratch 0
		.amdhsa_float_round_mode_32 0
		.amdhsa_float_round_mode_16_64 0
		.amdhsa_float_denorm_mode_32 3
		.amdhsa_float_denorm_mode_16_64 3
		.amdhsa_dx10_clamp 1
		.amdhsa_ieee_mode 1
		.amdhsa_fp16_overflow 0
		.amdhsa_exception_fp_ieee_invalid_op 0
		.amdhsa_exception_fp_denorm_src 0
		.amdhsa_exception_fp_ieee_div_zero 0
		.amdhsa_exception_fp_ieee_overflow 0
		.amdhsa_exception_fp_ieee_underflow 0
		.amdhsa_exception_fp_ieee_inexact 0
		.amdhsa_exception_int_div_zero 0
	.end_amdhsa_kernel
	.section	.text._ZN7rocprim17ROCPRIM_400000_NS6detail17trampoline_kernelINS0_14default_configENS1_25transform_config_selectorIlLb1EEEZNS1_14transform_implILb1ES3_S5_PlS7_NS0_8identityIlEEEE10hipError_tT2_T3_mT4_P12ihipStream_tbEUlT_E_NS1_11comp_targetILNS1_3genE5ELNS1_11target_archE942ELNS1_3gpuE9ELNS1_3repE0EEENS1_30default_config_static_selectorELNS0_4arch9wavefront6targetE1EEEvT1_,"axG",@progbits,_ZN7rocprim17ROCPRIM_400000_NS6detail17trampoline_kernelINS0_14default_configENS1_25transform_config_selectorIlLb1EEEZNS1_14transform_implILb1ES3_S5_PlS7_NS0_8identityIlEEEE10hipError_tT2_T3_mT4_P12ihipStream_tbEUlT_E_NS1_11comp_targetILNS1_3genE5ELNS1_11target_archE942ELNS1_3gpuE9ELNS1_3repE0EEENS1_30default_config_static_selectorELNS0_4arch9wavefront6targetE1EEEvT1_,comdat
.Lfunc_end1060:
	.size	_ZN7rocprim17ROCPRIM_400000_NS6detail17trampoline_kernelINS0_14default_configENS1_25transform_config_selectorIlLb1EEEZNS1_14transform_implILb1ES3_S5_PlS7_NS0_8identityIlEEEE10hipError_tT2_T3_mT4_P12ihipStream_tbEUlT_E_NS1_11comp_targetILNS1_3genE5ELNS1_11target_archE942ELNS1_3gpuE9ELNS1_3repE0EEENS1_30default_config_static_selectorELNS0_4arch9wavefront6targetE1EEEvT1_, .Lfunc_end1060-_ZN7rocprim17ROCPRIM_400000_NS6detail17trampoline_kernelINS0_14default_configENS1_25transform_config_selectorIlLb1EEEZNS1_14transform_implILb1ES3_S5_PlS7_NS0_8identityIlEEEE10hipError_tT2_T3_mT4_P12ihipStream_tbEUlT_E_NS1_11comp_targetILNS1_3genE5ELNS1_11target_archE942ELNS1_3gpuE9ELNS1_3repE0EEENS1_30default_config_static_selectorELNS0_4arch9wavefront6targetE1EEEvT1_
                                        ; -- End function
	.set _ZN7rocprim17ROCPRIM_400000_NS6detail17trampoline_kernelINS0_14default_configENS1_25transform_config_selectorIlLb1EEEZNS1_14transform_implILb1ES3_S5_PlS7_NS0_8identityIlEEEE10hipError_tT2_T3_mT4_P12ihipStream_tbEUlT_E_NS1_11comp_targetILNS1_3genE5ELNS1_11target_archE942ELNS1_3gpuE9ELNS1_3repE0EEENS1_30default_config_static_selectorELNS0_4arch9wavefront6targetE1EEEvT1_.num_vgpr, 0
	.set _ZN7rocprim17ROCPRIM_400000_NS6detail17trampoline_kernelINS0_14default_configENS1_25transform_config_selectorIlLb1EEEZNS1_14transform_implILb1ES3_S5_PlS7_NS0_8identityIlEEEE10hipError_tT2_T3_mT4_P12ihipStream_tbEUlT_E_NS1_11comp_targetILNS1_3genE5ELNS1_11target_archE942ELNS1_3gpuE9ELNS1_3repE0EEENS1_30default_config_static_selectorELNS0_4arch9wavefront6targetE1EEEvT1_.num_agpr, 0
	.set _ZN7rocprim17ROCPRIM_400000_NS6detail17trampoline_kernelINS0_14default_configENS1_25transform_config_selectorIlLb1EEEZNS1_14transform_implILb1ES3_S5_PlS7_NS0_8identityIlEEEE10hipError_tT2_T3_mT4_P12ihipStream_tbEUlT_E_NS1_11comp_targetILNS1_3genE5ELNS1_11target_archE942ELNS1_3gpuE9ELNS1_3repE0EEENS1_30default_config_static_selectorELNS0_4arch9wavefront6targetE1EEEvT1_.numbered_sgpr, 0
	.set _ZN7rocprim17ROCPRIM_400000_NS6detail17trampoline_kernelINS0_14default_configENS1_25transform_config_selectorIlLb1EEEZNS1_14transform_implILb1ES3_S5_PlS7_NS0_8identityIlEEEE10hipError_tT2_T3_mT4_P12ihipStream_tbEUlT_E_NS1_11comp_targetILNS1_3genE5ELNS1_11target_archE942ELNS1_3gpuE9ELNS1_3repE0EEENS1_30default_config_static_selectorELNS0_4arch9wavefront6targetE1EEEvT1_.num_named_barrier, 0
	.set _ZN7rocprim17ROCPRIM_400000_NS6detail17trampoline_kernelINS0_14default_configENS1_25transform_config_selectorIlLb1EEEZNS1_14transform_implILb1ES3_S5_PlS7_NS0_8identityIlEEEE10hipError_tT2_T3_mT4_P12ihipStream_tbEUlT_E_NS1_11comp_targetILNS1_3genE5ELNS1_11target_archE942ELNS1_3gpuE9ELNS1_3repE0EEENS1_30default_config_static_selectorELNS0_4arch9wavefront6targetE1EEEvT1_.private_seg_size, 0
	.set _ZN7rocprim17ROCPRIM_400000_NS6detail17trampoline_kernelINS0_14default_configENS1_25transform_config_selectorIlLb1EEEZNS1_14transform_implILb1ES3_S5_PlS7_NS0_8identityIlEEEE10hipError_tT2_T3_mT4_P12ihipStream_tbEUlT_E_NS1_11comp_targetILNS1_3genE5ELNS1_11target_archE942ELNS1_3gpuE9ELNS1_3repE0EEENS1_30default_config_static_selectorELNS0_4arch9wavefront6targetE1EEEvT1_.uses_vcc, 0
	.set _ZN7rocprim17ROCPRIM_400000_NS6detail17trampoline_kernelINS0_14default_configENS1_25transform_config_selectorIlLb1EEEZNS1_14transform_implILb1ES3_S5_PlS7_NS0_8identityIlEEEE10hipError_tT2_T3_mT4_P12ihipStream_tbEUlT_E_NS1_11comp_targetILNS1_3genE5ELNS1_11target_archE942ELNS1_3gpuE9ELNS1_3repE0EEENS1_30default_config_static_selectorELNS0_4arch9wavefront6targetE1EEEvT1_.uses_flat_scratch, 0
	.set _ZN7rocprim17ROCPRIM_400000_NS6detail17trampoline_kernelINS0_14default_configENS1_25transform_config_selectorIlLb1EEEZNS1_14transform_implILb1ES3_S5_PlS7_NS0_8identityIlEEEE10hipError_tT2_T3_mT4_P12ihipStream_tbEUlT_E_NS1_11comp_targetILNS1_3genE5ELNS1_11target_archE942ELNS1_3gpuE9ELNS1_3repE0EEENS1_30default_config_static_selectorELNS0_4arch9wavefront6targetE1EEEvT1_.has_dyn_sized_stack, 0
	.set _ZN7rocprim17ROCPRIM_400000_NS6detail17trampoline_kernelINS0_14default_configENS1_25transform_config_selectorIlLb1EEEZNS1_14transform_implILb1ES3_S5_PlS7_NS0_8identityIlEEEE10hipError_tT2_T3_mT4_P12ihipStream_tbEUlT_E_NS1_11comp_targetILNS1_3genE5ELNS1_11target_archE942ELNS1_3gpuE9ELNS1_3repE0EEENS1_30default_config_static_selectorELNS0_4arch9wavefront6targetE1EEEvT1_.has_recursion, 0
	.set _ZN7rocprim17ROCPRIM_400000_NS6detail17trampoline_kernelINS0_14default_configENS1_25transform_config_selectorIlLb1EEEZNS1_14transform_implILb1ES3_S5_PlS7_NS0_8identityIlEEEE10hipError_tT2_T3_mT4_P12ihipStream_tbEUlT_E_NS1_11comp_targetILNS1_3genE5ELNS1_11target_archE942ELNS1_3gpuE9ELNS1_3repE0EEENS1_30default_config_static_selectorELNS0_4arch9wavefront6targetE1EEEvT1_.has_indirect_call, 0
	.section	.AMDGPU.csdata,"",@progbits
; Kernel info:
; codeLenInByte = 0
; TotalNumSgprs: 4
; NumVgprs: 0
; ScratchSize: 0
; MemoryBound: 0
; FloatMode: 240
; IeeeMode: 1
; LDSByteSize: 0 bytes/workgroup (compile time only)
; SGPRBlocks: 0
; VGPRBlocks: 0
; NumSGPRsForWavesPerEU: 4
; NumVGPRsForWavesPerEU: 1
; Occupancy: 10
; WaveLimiterHint : 0
; COMPUTE_PGM_RSRC2:SCRATCH_EN: 0
; COMPUTE_PGM_RSRC2:USER_SGPR: 6
; COMPUTE_PGM_RSRC2:TRAP_HANDLER: 0
; COMPUTE_PGM_RSRC2:TGID_X_EN: 1
; COMPUTE_PGM_RSRC2:TGID_Y_EN: 0
; COMPUTE_PGM_RSRC2:TGID_Z_EN: 0
; COMPUTE_PGM_RSRC2:TIDIG_COMP_CNT: 0
	.section	.text._ZN7rocprim17ROCPRIM_400000_NS6detail17trampoline_kernelINS0_14default_configENS1_25transform_config_selectorIlLb1EEEZNS1_14transform_implILb1ES3_S5_PlS7_NS0_8identityIlEEEE10hipError_tT2_T3_mT4_P12ihipStream_tbEUlT_E_NS1_11comp_targetILNS1_3genE4ELNS1_11target_archE910ELNS1_3gpuE8ELNS1_3repE0EEENS1_30default_config_static_selectorELNS0_4arch9wavefront6targetE1EEEvT1_,"axG",@progbits,_ZN7rocprim17ROCPRIM_400000_NS6detail17trampoline_kernelINS0_14default_configENS1_25transform_config_selectorIlLb1EEEZNS1_14transform_implILb1ES3_S5_PlS7_NS0_8identityIlEEEE10hipError_tT2_T3_mT4_P12ihipStream_tbEUlT_E_NS1_11comp_targetILNS1_3genE4ELNS1_11target_archE910ELNS1_3gpuE8ELNS1_3repE0EEENS1_30default_config_static_selectorELNS0_4arch9wavefront6targetE1EEEvT1_,comdat
	.protected	_ZN7rocprim17ROCPRIM_400000_NS6detail17trampoline_kernelINS0_14default_configENS1_25transform_config_selectorIlLb1EEEZNS1_14transform_implILb1ES3_S5_PlS7_NS0_8identityIlEEEE10hipError_tT2_T3_mT4_P12ihipStream_tbEUlT_E_NS1_11comp_targetILNS1_3genE4ELNS1_11target_archE910ELNS1_3gpuE8ELNS1_3repE0EEENS1_30default_config_static_selectorELNS0_4arch9wavefront6targetE1EEEvT1_ ; -- Begin function _ZN7rocprim17ROCPRIM_400000_NS6detail17trampoline_kernelINS0_14default_configENS1_25transform_config_selectorIlLb1EEEZNS1_14transform_implILb1ES3_S5_PlS7_NS0_8identityIlEEEE10hipError_tT2_T3_mT4_P12ihipStream_tbEUlT_E_NS1_11comp_targetILNS1_3genE4ELNS1_11target_archE910ELNS1_3gpuE8ELNS1_3repE0EEENS1_30default_config_static_selectorELNS0_4arch9wavefront6targetE1EEEvT1_
	.globl	_ZN7rocprim17ROCPRIM_400000_NS6detail17trampoline_kernelINS0_14default_configENS1_25transform_config_selectorIlLb1EEEZNS1_14transform_implILb1ES3_S5_PlS7_NS0_8identityIlEEEE10hipError_tT2_T3_mT4_P12ihipStream_tbEUlT_E_NS1_11comp_targetILNS1_3genE4ELNS1_11target_archE910ELNS1_3gpuE8ELNS1_3repE0EEENS1_30default_config_static_selectorELNS0_4arch9wavefront6targetE1EEEvT1_
	.p2align	8
	.type	_ZN7rocprim17ROCPRIM_400000_NS6detail17trampoline_kernelINS0_14default_configENS1_25transform_config_selectorIlLb1EEEZNS1_14transform_implILb1ES3_S5_PlS7_NS0_8identityIlEEEE10hipError_tT2_T3_mT4_P12ihipStream_tbEUlT_E_NS1_11comp_targetILNS1_3genE4ELNS1_11target_archE910ELNS1_3gpuE8ELNS1_3repE0EEENS1_30default_config_static_selectorELNS0_4arch9wavefront6targetE1EEEvT1_,@function
_ZN7rocprim17ROCPRIM_400000_NS6detail17trampoline_kernelINS0_14default_configENS1_25transform_config_selectorIlLb1EEEZNS1_14transform_implILb1ES3_S5_PlS7_NS0_8identityIlEEEE10hipError_tT2_T3_mT4_P12ihipStream_tbEUlT_E_NS1_11comp_targetILNS1_3genE4ELNS1_11target_archE910ELNS1_3gpuE8ELNS1_3repE0EEENS1_30default_config_static_selectorELNS0_4arch9wavefront6targetE1EEEvT1_: ; @_ZN7rocprim17ROCPRIM_400000_NS6detail17trampoline_kernelINS0_14default_configENS1_25transform_config_selectorIlLb1EEEZNS1_14transform_implILb1ES3_S5_PlS7_NS0_8identityIlEEEE10hipError_tT2_T3_mT4_P12ihipStream_tbEUlT_E_NS1_11comp_targetILNS1_3genE4ELNS1_11target_archE910ELNS1_3gpuE8ELNS1_3repE0EEENS1_30default_config_static_selectorELNS0_4arch9wavefront6targetE1EEEvT1_
; %bb.0:
	.section	.rodata,"a",@progbits
	.p2align	6, 0x0
	.amdhsa_kernel _ZN7rocprim17ROCPRIM_400000_NS6detail17trampoline_kernelINS0_14default_configENS1_25transform_config_selectorIlLb1EEEZNS1_14transform_implILb1ES3_S5_PlS7_NS0_8identityIlEEEE10hipError_tT2_T3_mT4_P12ihipStream_tbEUlT_E_NS1_11comp_targetILNS1_3genE4ELNS1_11target_archE910ELNS1_3gpuE8ELNS1_3repE0EEENS1_30default_config_static_selectorELNS0_4arch9wavefront6targetE1EEEvT1_
		.amdhsa_group_segment_fixed_size 0
		.amdhsa_private_segment_fixed_size 0
		.amdhsa_kernarg_size 40
		.amdhsa_user_sgpr_count 6
		.amdhsa_user_sgpr_private_segment_buffer 1
		.amdhsa_user_sgpr_dispatch_ptr 0
		.amdhsa_user_sgpr_queue_ptr 0
		.amdhsa_user_sgpr_kernarg_segment_ptr 1
		.amdhsa_user_sgpr_dispatch_id 0
		.amdhsa_user_sgpr_flat_scratch_init 0
		.amdhsa_user_sgpr_private_segment_size 0
		.amdhsa_uses_dynamic_stack 0
		.amdhsa_system_sgpr_private_segment_wavefront_offset 0
		.amdhsa_system_sgpr_workgroup_id_x 1
		.amdhsa_system_sgpr_workgroup_id_y 0
		.amdhsa_system_sgpr_workgroup_id_z 0
		.amdhsa_system_sgpr_workgroup_info 0
		.amdhsa_system_vgpr_workitem_id 0
		.amdhsa_next_free_vgpr 1
		.amdhsa_next_free_sgpr 0
		.amdhsa_reserve_vcc 0
		.amdhsa_reserve_flat_scratch 0
		.amdhsa_float_round_mode_32 0
		.amdhsa_float_round_mode_16_64 0
		.amdhsa_float_denorm_mode_32 3
		.amdhsa_float_denorm_mode_16_64 3
		.amdhsa_dx10_clamp 1
		.amdhsa_ieee_mode 1
		.amdhsa_fp16_overflow 0
		.amdhsa_exception_fp_ieee_invalid_op 0
		.amdhsa_exception_fp_denorm_src 0
		.amdhsa_exception_fp_ieee_div_zero 0
		.amdhsa_exception_fp_ieee_overflow 0
		.amdhsa_exception_fp_ieee_underflow 0
		.amdhsa_exception_fp_ieee_inexact 0
		.amdhsa_exception_int_div_zero 0
	.end_amdhsa_kernel
	.section	.text._ZN7rocprim17ROCPRIM_400000_NS6detail17trampoline_kernelINS0_14default_configENS1_25transform_config_selectorIlLb1EEEZNS1_14transform_implILb1ES3_S5_PlS7_NS0_8identityIlEEEE10hipError_tT2_T3_mT4_P12ihipStream_tbEUlT_E_NS1_11comp_targetILNS1_3genE4ELNS1_11target_archE910ELNS1_3gpuE8ELNS1_3repE0EEENS1_30default_config_static_selectorELNS0_4arch9wavefront6targetE1EEEvT1_,"axG",@progbits,_ZN7rocprim17ROCPRIM_400000_NS6detail17trampoline_kernelINS0_14default_configENS1_25transform_config_selectorIlLb1EEEZNS1_14transform_implILb1ES3_S5_PlS7_NS0_8identityIlEEEE10hipError_tT2_T3_mT4_P12ihipStream_tbEUlT_E_NS1_11comp_targetILNS1_3genE4ELNS1_11target_archE910ELNS1_3gpuE8ELNS1_3repE0EEENS1_30default_config_static_selectorELNS0_4arch9wavefront6targetE1EEEvT1_,comdat
.Lfunc_end1061:
	.size	_ZN7rocprim17ROCPRIM_400000_NS6detail17trampoline_kernelINS0_14default_configENS1_25transform_config_selectorIlLb1EEEZNS1_14transform_implILb1ES3_S5_PlS7_NS0_8identityIlEEEE10hipError_tT2_T3_mT4_P12ihipStream_tbEUlT_E_NS1_11comp_targetILNS1_3genE4ELNS1_11target_archE910ELNS1_3gpuE8ELNS1_3repE0EEENS1_30default_config_static_selectorELNS0_4arch9wavefront6targetE1EEEvT1_, .Lfunc_end1061-_ZN7rocprim17ROCPRIM_400000_NS6detail17trampoline_kernelINS0_14default_configENS1_25transform_config_selectorIlLb1EEEZNS1_14transform_implILb1ES3_S5_PlS7_NS0_8identityIlEEEE10hipError_tT2_T3_mT4_P12ihipStream_tbEUlT_E_NS1_11comp_targetILNS1_3genE4ELNS1_11target_archE910ELNS1_3gpuE8ELNS1_3repE0EEENS1_30default_config_static_selectorELNS0_4arch9wavefront6targetE1EEEvT1_
                                        ; -- End function
	.set _ZN7rocprim17ROCPRIM_400000_NS6detail17trampoline_kernelINS0_14default_configENS1_25transform_config_selectorIlLb1EEEZNS1_14transform_implILb1ES3_S5_PlS7_NS0_8identityIlEEEE10hipError_tT2_T3_mT4_P12ihipStream_tbEUlT_E_NS1_11comp_targetILNS1_3genE4ELNS1_11target_archE910ELNS1_3gpuE8ELNS1_3repE0EEENS1_30default_config_static_selectorELNS0_4arch9wavefront6targetE1EEEvT1_.num_vgpr, 0
	.set _ZN7rocprim17ROCPRIM_400000_NS6detail17trampoline_kernelINS0_14default_configENS1_25transform_config_selectorIlLb1EEEZNS1_14transform_implILb1ES3_S5_PlS7_NS0_8identityIlEEEE10hipError_tT2_T3_mT4_P12ihipStream_tbEUlT_E_NS1_11comp_targetILNS1_3genE4ELNS1_11target_archE910ELNS1_3gpuE8ELNS1_3repE0EEENS1_30default_config_static_selectorELNS0_4arch9wavefront6targetE1EEEvT1_.num_agpr, 0
	.set _ZN7rocprim17ROCPRIM_400000_NS6detail17trampoline_kernelINS0_14default_configENS1_25transform_config_selectorIlLb1EEEZNS1_14transform_implILb1ES3_S5_PlS7_NS0_8identityIlEEEE10hipError_tT2_T3_mT4_P12ihipStream_tbEUlT_E_NS1_11comp_targetILNS1_3genE4ELNS1_11target_archE910ELNS1_3gpuE8ELNS1_3repE0EEENS1_30default_config_static_selectorELNS0_4arch9wavefront6targetE1EEEvT1_.numbered_sgpr, 0
	.set _ZN7rocprim17ROCPRIM_400000_NS6detail17trampoline_kernelINS0_14default_configENS1_25transform_config_selectorIlLb1EEEZNS1_14transform_implILb1ES3_S5_PlS7_NS0_8identityIlEEEE10hipError_tT2_T3_mT4_P12ihipStream_tbEUlT_E_NS1_11comp_targetILNS1_3genE4ELNS1_11target_archE910ELNS1_3gpuE8ELNS1_3repE0EEENS1_30default_config_static_selectorELNS0_4arch9wavefront6targetE1EEEvT1_.num_named_barrier, 0
	.set _ZN7rocprim17ROCPRIM_400000_NS6detail17trampoline_kernelINS0_14default_configENS1_25transform_config_selectorIlLb1EEEZNS1_14transform_implILb1ES3_S5_PlS7_NS0_8identityIlEEEE10hipError_tT2_T3_mT4_P12ihipStream_tbEUlT_E_NS1_11comp_targetILNS1_3genE4ELNS1_11target_archE910ELNS1_3gpuE8ELNS1_3repE0EEENS1_30default_config_static_selectorELNS0_4arch9wavefront6targetE1EEEvT1_.private_seg_size, 0
	.set _ZN7rocprim17ROCPRIM_400000_NS6detail17trampoline_kernelINS0_14default_configENS1_25transform_config_selectorIlLb1EEEZNS1_14transform_implILb1ES3_S5_PlS7_NS0_8identityIlEEEE10hipError_tT2_T3_mT4_P12ihipStream_tbEUlT_E_NS1_11comp_targetILNS1_3genE4ELNS1_11target_archE910ELNS1_3gpuE8ELNS1_3repE0EEENS1_30default_config_static_selectorELNS0_4arch9wavefront6targetE1EEEvT1_.uses_vcc, 0
	.set _ZN7rocprim17ROCPRIM_400000_NS6detail17trampoline_kernelINS0_14default_configENS1_25transform_config_selectorIlLb1EEEZNS1_14transform_implILb1ES3_S5_PlS7_NS0_8identityIlEEEE10hipError_tT2_T3_mT4_P12ihipStream_tbEUlT_E_NS1_11comp_targetILNS1_3genE4ELNS1_11target_archE910ELNS1_3gpuE8ELNS1_3repE0EEENS1_30default_config_static_selectorELNS0_4arch9wavefront6targetE1EEEvT1_.uses_flat_scratch, 0
	.set _ZN7rocprim17ROCPRIM_400000_NS6detail17trampoline_kernelINS0_14default_configENS1_25transform_config_selectorIlLb1EEEZNS1_14transform_implILb1ES3_S5_PlS7_NS0_8identityIlEEEE10hipError_tT2_T3_mT4_P12ihipStream_tbEUlT_E_NS1_11comp_targetILNS1_3genE4ELNS1_11target_archE910ELNS1_3gpuE8ELNS1_3repE0EEENS1_30default_config_static_selectorELNS0_4arch9wavefront6targetE1EEEvT1_.has_dyn_sized_stack, 0
	.set _ZN7rocprim17ROCPRIM_400000_NS6detail17trampoline_kernelINS0_14default_configENS1_25transform_config_selectorIlLb1EEEZNS1_14transform_implILb1ES3_S5_PlS7_NS0_8identityIlEEEE10hipError_tT2_T3_mT4_P12ihipStream_tbEUlT_E_NS1_11comp_targetILNS1_3genE4ELNS1_11target_archE910ELNS1_3gpuE8ELNS1_3repE0EEENS1_30default_config_static_selectorELNS0_4arch9wavefront6targetE1EEEvT1_.has_recursion, 0
	.set _ZN7rocprim17ROCPRIM_400000_NS6detail17trampoline_kernelINS0_14default_configENS1_25transform_config_selectorIlLb1EEEZNS1_14transform_implILb1ES3_S5_PlS7_NS0_8identityIlEEEE10hipError_tT2_T3_mT4_P12ihipStream_tbEUlT_E_NS1_11comp_targetILNS1_3genE4ELNS1_11target_archE910ELNS1_3gpuE8ELNS1_3repE0EEENS1_30default_config_static_selectorELNS0_4arch9wavefront6targetE1EEEvT1_.has_indirect_call, 0
	.section	.AMDGPU.csdata,"",@progbits
; Kernel info:
; codeLenInByte = 0
; TotalNumSgprs: 4
; NumVgprs: 0
; ScratchSize: 0
; MemoryBound: 0
; FloatMode: 240
; IeeeMode: 1
; LDSByteSize: 0 bytes/workgroup (compile time only)
; SGPRBlocks: 0
; VGPRBlocks: 0
; NumSGPRsForWavesPerEU: 4
; NumVGPRsForWavesPerEU: 1
; Occupancy: 10
; WaveLimiterHint : 0
; COMPUTE_PGM_RSRC2:SCRATCH_EN: 0
; COMPUTE_PGM_RSRC2:USER_SGPR: 6
; COMPUTE_PGM_RSRC2:TRAP_HANDLER: 0
; COMPUTE_PGM_RSRC2:TGID_X_EN: 1
; COMPUTE_PGM_RSRC2:TGID_Y_EN: 0
; COMPUTE_PGM_RSRC2:TGID_Z_EN: 0
; COMPUTE_PGM_RSRC2:TIDIG_COMP_CNT: 0
	.section	.text._ZN7rocprim17ROCPRIM_400000_NS6detail17trampoline_kernelINS0_14default_configENS1_25transform_config_selectorIlLb1EEEZNS1_14transform_implILb1ES3_S5_PlS7_NS0_8identityIlEEEE10hipError_tT2_T3_mT4_P12ihipStream_tbEUlT_E_NS1_11comp_targetILNS1_3genE3ELNS1_11target_archE908ELNS1_3gpuE7ELNS1_3repE0EEENS1_30default_config_static_selectorELNS0_4arch9wavefront6targetE1EEEvT1_,"axG",@progbits,_ZN7rocprim17ROCPRIM_400000_NS6detail17trampoline_kernelINS0_14default_configENS1_25transform_config_selectorIlLb1EEEZNS1_14transform_implILb1ES3_S5_PlS7_NS0_8identityIlEEEE10hipError_tT2_T3_mT4_P12ihipStream_tbEUlT_E_NS1_11comp_targetILNS1_3genE3ELNS1_11target_archE908ELNS1_3gpuE7ELNS1_3repE0EEENS1_30default_config_static_selectorELNS0_4arch9wavefront6targetE1EEEvT1_,comdat
	.protected	_ZN7rocprim17ROCPRIM_400000_NS6detail17trampoline_kernelINS0_14default_configENS1_25transform_config_selectorIlLb1EEEZNS1_14transform_implILb1ES3_S5_PlS7_NS0_8identityIlEEEE10hipError_tT2_T3_mT4_P12ihipStream_tbEUlT_E_NS1_11comp_targetILNS1_3genE3ELNS1_11target_archE908ELNS1_3gpuE7ELNS1_3repE0EEENS1_30default_config_static_selectorELNS0_4arch9wavefront6targetE1EEEvT1_ ; -- Begin function _ZN7rocprim17ROCPRIM_400000_NS6detail17trampoline_kernelINS0_14default_configENS1_25transform_config_selectorIlLb1EEEZNS1_14transform_implILb1ES3_S5_PlS7_NS0_8identityIlEEEE10hipError_tT2_T3_mT4_P12ihipStream_tbEUlT_E_NS1_11comp_targetILNS1_3genE3ELNS1_11target_archE908ELNS1_3gpuE7ELNS1_3repE0EEENS1_30default_config_static_selectorELNS0_4arch9wavefront6targetE1EEEvT1_
	.globl	_ZN7rocprim17ROCPRIM_400000_NS6detail17trampoline_kernelINS0_14default_configENS1_25transform_config_selectorIlLb1EEEZNS1_14transform_implILb1ES3_S5_PlS7_NS0_8identityIlEEEE10hipError_tT2_T3_mT4_P12ihipStream_tbEUlT_E_NS1_11comp_targetILNS1_3genE3ELNS1_11target_archE908ELNS1_3gpuE7ELNS1_3repE0EEENS1_30default_config_static_selectorELNS0_4arch9wavefront6targetE1EEEvT1_
	.p2align	8
	.type	_ZN7rocprim17ROCPRIM_400000_NS6detail17trampoline_kernelINS0_14default_configENS1_25transform_config_selectorIlLb1EEEZNS1_14transform_implILb1ES3_S5_PlS7_NS0_8identityIlEEEE10hipError_tT2_T3_mT4_P12ihipStream_tbEUlT_E_NS1_11comp_targetILNS1_3genE3ELNS1_11target_archE908ELNS1_3gpuE7ELNS1_3repE0EEENS1_30default_config_static_selectorELNS0_4arch9wavefront6targetE1EEEvT1_,@function
_ZN7rocprim17ROCPRIM_400000_NS6detail17trampoline_kernelINS0_14default_configENS1_25transform_config_selectorIlLb1EEEZNS1_14transform_implILb1ES3_S5_PlS7_NS0_8identityIlEEEE10hipError_tT2_T3_mT4_P12ihipStream_tbEUlT_E_NS1_11comp_targetILNS1_3genE3ELNS1_11target_archE908ELNS1_3gpuE7ELNS1_3repE0EEENS1_30default_config_static_selectorELNS0_4arch9wavefront6targetE1EEEvT1_: ; @_ZN7rocprim17ROCPRIM_400000_NS6detail17trampoline_kernelINS0_14default_configENS1_25transform_config_selectorIlLb1EEEZNS1_14transform_implILb1ES3_S5_PlS7_NS0_8identityIlEEEE10hipError_tT2_T3_mT4_P12ihipStream_tbEUlT_E_NS1_11comp_targetILNS1_3genE3ELNS1_11target_archE908ELNS1_3gpuE7ELNS1_3repE0EEENS1_30default_config_static_selectorELNS0_4arch9wavefront6targetE1EEEvT1_
; %bb.0:
	.section	.rodata,"a",@progbits
	.p2align	6, 0x0
	.amdhsa_kernel _ZN7rocprim17ROCPRIM_400000_NS6detail17trampoline_kernelINS0_14default_configENS1_25transform_config_selectorIlLb1EEEZNS1_14transform_implILb1ES3_S5_PlS7_NS0_8identityIlEEEE10hipError_tT2_T3_mT4_P12ihipStream_tbEUlT_E_NS1_11comp_targetILNS1_3genE3ELNS1_11target_archE908ELNS1_3gpuE7ELNS1_3repE0EEENS1_30default_config_static_selectorELNS0_4arch9wavefront6targetE1EEEvT1_
		.amdhsa_group_segment_fixed_size 0
		.amdhsa_private_segment_fixed_size 0
		.amdhsa_kernarg_size 40
		.amdhsa_user_sgpr_count 6
		.amdhsa_user_sgpr_private_segment_buffer 1
		.amdhsa_user_sgpr_dispatch_ptr 0
		.amdhsa_user_sgpr_queue_ptr 0
		.amdhsa_user_sgpr_kernarg_segment_ptr 1
		.amdhsa_user_sgpr_dispatch_id 0
		.amdhsa_user_sgpr_flat_scratch_init 0
		.amdhsa_user_sgpr_private_segment_size 0
		.amdhsa_uses_dynamic_stack 0
		.amdhsa_system_sgpr_private_segment_wavefront_offset 0
		.amdhsa_system_sgpr_workgroup_id_x 1
		.amdhsa_system_sgpr_workgroup_id_y 0
		.amdhsa_system_sgpr_workgroup_id_z 0
		.amdhsa_system_sgpr_workgroup_info 0
		.amdhsa_system_vgpr_workitem_id 0
		.amdhsa_next_free_vgpr 1
		.amdhsa_next_free_sgpr 0
		.amdhsa_reserve_vcc 0
		.amdhsa_reserve_flat_scratch 0
		.amdhsa_float_round_mode_32 0
		.amdhsa_float_round_mode_16_64 0
		.amdhsa_float_denorm_mode_32 3
		.amdhsa_float_denorm_mode_16_64 3
		.amdhsa_dx10_clamp 1
		.amdhsa_ieee_mode 1
		.amdhsa_fp16_overflow 0
		.amdhsa_exception_fp_ieee_invalid_op 0
		.amdhsa_exception_fp_denorm_src 0
		.amdhsa_exception_fp_ieee_div_zero 0
		.amdhsa_exception_fp_ieee_overflow 0
		.amdhsa_exception_fp_ieee_underflow 0
		.amdhsa_exception_fp_ieee_inexact 0
		.amdhsa_exception_int_div_zero 0
	.end_amdhsa_kernel
	.section	.text._ZN7rocprim17ROCPRIM_400000_NS6detail17trampoline_kernelINS0_14default_configENS1_25transform_config_selectorIlLb1EEEZNS1_14transform_implILb1ES3_S5_PlS7_NS0_8identityIlEEEE10hipError_tT2_T3_mT4_P12ihipStream_tbEUlT_E_NS1_11comp_targetILNS1_3genE3ELNS1_11target_archE908ELNS1_3gpuE7ELNS1_3repE0EEENS1_30default_config_static_selectorELNS0_4arch9wavefront6targetE1EEEvT1_,"axG",@progbits,_ZN7rocprim17ROCPRIM_400000_NS6detail17trampoline_kernelINS0_14default_configENS1_25transform_config_selectorIlLb1EEEZNS1_14transform_implILb1ES3_S5_PlS7_NS0_8identityIlEEEE10hipError_tT2_T3_mT4_P12ihipStream_tbEUlT_E_NS1_11comp_targetILNS1_3genE3ELNS1_11target_archE908ELNS1_3gpuE7ELNS1_3repE0EEENS1_30default_config_static_selectorELNS0_4arch9wavefront6targetE1EEEvT1_,comdat
.Lfunc_end1062:
	.size	_ZN7rocprim17ROCPRIM_400000_NS6detail17trampoline_kernelINS0_14default_configENS1_25transform_config_selectorIlLb1EEEZNS1_14transform_implILb1ES3_S5_PlS7_NS0_8identityIlEEEE10hipError_tT2_T3_mT4_P12ihipStream_tbEUlT_E_NS1_11comp_targetILNS1_3genE3ELNS1_11target_archE908ELNS1_3gpuE7ELNS1_3repE0EEENS1_30default_config_static_selectorELNS0_4arch9wavefront6targetE1EEEvT1_, .Lfunc_end1062-_ZN7rocprim17ROCPRIM_400000_NS6detail17trampoline_kernelINS0_14default_configENS1_25transform_config_selectorIlLb1EEEZNS1_14transform_implILb1ES3_S5_PlS7_NS0_8identityIlEEEE10hipError_tT2_T3_mT4_P12ihipStream_tbEUlT_E_NS1_11comp_targetILNS1_3genE3ELNS1_11target_archE908ELNS1_3gpuE7ELNS1_3repE0EEENS1_30default_config_static_selectorELNS0_4arch9wavefront6targetE1EEEvT1_
                                        ; -- End function
	.set _ZN7rocprim17ROCPRIM_400000_NS6detail17trampoline_kernelINS0_14default_configENS1_25transform_config_selectorIlLb1EEEZNS1_14transform_implILb1ES3_S5_PlS7_NS0_8identityIlEEEE10hipError_tT2_T3_mT4_P12ihipStream_tbEUlT_E_NS1_11comp_targetILNS1_3genE3ELNS1_11target_archE908ELNS1_3gpuE7ELNS1_3repE0EEENS1_30default_config_static_selectorELNS0_4arch9wavefront6targetE1EEEvT1_.num_vgpr, 0
	.set _ZN7rocprim17ROCPRIM_400000_NS6detail17trampoline_kernelINS0_14default_configENS1_25transform_config_selectorIlLb1EEEZNS1_14transform_implILb1ES3_S5_PlS7_NS0_8identityIlEEEE10hipError_tT2_T3_mT4_P12ihipStream_tbEUlT_E_NS1_11comp_targetILNS1_3genE3ELNS1_11target_archE908ELNS1_3gpuE7ELNS1_3repE0EEENS1_30default_config_static_selectorELNS0_4arch9wavefront6targetE1EEEvT1_.num_agpr, 0
	.set _ZN7rocprim17ROCPRIM_400000_NS6detail17trampoline_kernelINS0_14default_configENS1_25transform_config_selectorIlLb1EEEZNS1_14transform_implILb1ES3_S5_PlS7_NS0_8identityIlEEEE10hipError_tT2_T3_mT4_P12ihipStream_tbEUlT_E_NS1_11comp_targetILNS1_3genE3ELNS1_11target_archE908ELNS1_3gpuE7ELNS1_3repE0EEENS1_30default_config_static_selectorELNS0_4arch9wavefront6targetE1EEEvT1_.numbered_sgpr, 0
	.set _ZN7rocprim17ROCPRIM_400000_NS6detail17trampoline_kernelINS0_14default_configENS1_25transform_config_selectorIlLb1EEEZNS1_14transform_implILb1ES3_S5_PlS7_NS0_8identityIlEEEE10hipError_tT2_T3_mT4_P12ihipStream_tbEUlT_E_NS1_11comp_targetILNS1_3genE3ELNS1_11target_archE908ELNS1_3gpuE7ELNS1_3repE0EEENS1_30default_config_static_selectorELNS0_4arch9wavefront6targetE1EEEvT1_.num_named_barrier, 0
	.set _ZN7rocprim17ROCPRIM_400000_NS6detail17trampoline_kernelINS0_14default_configENS1_25transform_config_selectorIlLb1EEEZNS1_14transform_implILb1ES3_S5_PlS7_NS0_8identityIlEEEE10hipError_tT2_T3_mT4_P12ihipStream_tbEUlT_E_NS1_11comp_targetILNS1_3genE3ELNS1_11target_archE908ELNS1_3gpuE7ELNS1_3repE0EEENS1_30default_config_static_selectorELNS0_4arch9wavefront6targetE1EEEvT1_.private_seg_size, 0
	.set _ZN7rocprim17ROCPRIM_400000_NS6detail17trampoline_kernelINS0_14default_configENS1_25transform_config_selectorIlLb1EEEZNS1_14transform_implILb1ES3_S5_PlS7_NS0_8identityIlEEEE10hipError_tT2_T3_mT4_P12ihipStream_tbEUlT_E_NS1_11comp_targetILNS1_3genE3ELNS1_11target_archE908ELNS1_3gpuE7ELNS1_3repE0EEENS1_30default_config_static_selectorELNS0_4arch9wavefront6targetE1EEEvT1_.uses_vcc, 0
	.set _ZN7rocprim17ROCPRIM_400000_NS6detail17trampoline_kernelINS0_14default_configENS1_25transform_config_selectorIlLb1EEEZNS1_14transform_implILb1ES3_S5_PlS7_NS0_8identityIlEEEE10hipError_tT2_T3_mT4_P12ihipStream_tbEUlT_E_NS1_11comp_targetILNS1_3genE3ELNS1_11target_archE908ELNS1_3gpuE7ELNS1_3repE0EEENS1_30default_config_static_selectorELNS0_4arch9wavefront6targetE1EEEvT1_.uses_flat_scratch, 0
	.set _ZN7rocprim17ROCPRIM_400000_NS6detail17trampoline_kernelINS0_14default_configENS1_25transform_config_selectorIlLb1EEEZNS1_14transform_implILb1ES3_S5_PlS7_NS0_8identityIlEEEE10hipError_tT2_T3_mT4_P12ihipStream_tbEUlT_E_NS1_11comp_targetILNS1_3genE3ELNS1_11target_archE908ELNS1_3gpuE7ELNS1_3repE0EEENS1_30default_config_static_selectorELNS0_4arch9wavefront6targetE1EEEvT1_.has_dyn_sized_stack, 0
	.set _ZN7rocprim17ROCPRIM_400000_NS6detail17trampoline_kernelINS0_14default_configENS1_25transform_config_selectorIlLb1EEEZNS1_14transform_implILb1ES3_S5_PlS7_NS0_8identityIlEEEE10hipError_tT2_T3_mT4_P12ihipStream_tbEUlT_E_NS1_11comp_targetILNS1_3genE3ELNS1_11target_archE908ELNS1_3gpuE7ELNS1_3repE0EEENS1_30default_config_static_selectorELNS0_4arch9wavefront6targetE1EEEvT1_.has_recursion, 0
	.set _ZN7rocprim17ROCPRIM_400000_NS6detail17trampoline_kernelINS0_14default_configENS1_25transform_config_selectorIlLb1EEEZNS1_14transform_implILb1ES3_S5_PlS7_NS0_8identityIlEEEE10hipError_tT2_T3_mT4_P12ihipStream_tbEUlT_E_NS1_11comp_targetILNS1_3genE3ELNS1_11target_archE908ELNS1_3gpuE7ELNS1_3repE0EEENS1_30default_config_static_selectorELNS0_4arch9wavefront6targetE1EEEvT1_.has_indirect_call, 0
	.section	.AMDGPU.csdata,"",@progbits
; Kernel info:
; codeLenInByte = 0
; TotalNumSgprs: 4
; NumVgprs: 0
; ScratchSize: 0
; MemoryBound: 0
; FloatMode: 240
; IeeeMode: 1
; LDSByteSize: 0 bytes/workgroup (compile time only)
; SGPRBlocks: 0
; VGPRBlocks: 0
; NumSGPRsForWavesPerEU: 4
; NumVGPRsForWavesPerEU: 1
; Occupancy: 10
; WaveLimiterHint : 0
; COMPUTE_PGM_RSRC2:SCRATCH_EN: 0
; COMPUTE_PGM_RSRC2:USER_SGPR: 6
; COMPUTE_PGM_RSRC2:TRAP_HANDLER: 0
; COMPUTE_PGM_RSRC2:TGID_X_EN: 1
; COMPUTE_PGM_RSRC2:TGID_Y_EN: 0
; COMPUTE_PGM_RSRC2:TGID_Z_EN: 0
; COMPUTE_PGM_RSRC2:TIDIG_COMP_CNT: 0
	.section	.text._ZN7rocprim17ROCPRIM_400000_NS6detail17trampoline_kernelINS0_14default_configENS1_25transform_config_selectorIlLb1EEEZNS1_14transform_implILb1ES3_S5_PlS7_NS0_8identityIlEEEE10hipError_tT2_T3_mT4_P12ihipStream_tbEUlT_E_NS1_11comp_targetILNS1_3genE2ELNS1_11target_archE906ELNS1_3gpuE6ELNS1_3repE0EEENS1_30default_config_static_selectorELNS0_4arch9wavefront6targetE1EEEvT1_,"axG",@progbits,_ZN7rocprim17ROCPRIM_400000_NS6detail17trampoline_kernelINS0_14default_configENS1_25transform_config_selectorIlLb1EEEZNS1_14transform_implILb1ES3_S5_PlS7_NS0_8identityIlEEEE10hipError_tT2_T3_mT4_P12ihipStream_tbEUlT_E_NS1_11comp_targetILNS1_3genE2ELNS1_11target_archE906ELNS1_3gpuE6ELNS1_3repE0EEENS1_30default_config_static_selectorELNS0_4arch9wavefront6targetE1EEEvT1_,comdat
	.protected	_ZN7rocprim17ROCPRIM_400000_NS6detail17trampoline_kernelINS0_14default_configENS1_25transform_config_selectorIlLb1EEEZNS1_14transform_implILb1ES3_S5_PlS7_NS0_8identityIlEEEE10hipError_tT2_T3_mT4_P12ihipStream_tbEUlT_E_NS1_11comp_targetILNS1_3genE2ELNS1_11target_archE906ELNS1_3gpuE6ELNS1_3repE0EEENS1_30default_config_static_selectorELNS0_4arch9wavefront6targetE1EEEvT1_ ; -- Begin function _ZN7rocprim17ROCPRIM_400000_NS6detail17trampoline_kernelINS0_14default_configENS1_25transform_config_selectorIlLb1EEEZNS1_14transform_implILb1ES3_S5_PlS7_NS0_8identityIlEEEE10hipError_tT2_T3_mT4_P12ihipStream_tbEUlT_E_NS1_11comp_targetILNS1_3genE2ELNS1_11target_archE906ELNS1_3gpuE6ELNS1_3repE0EEENS1_30default_config_static_selectorELNS0_4arch9wavefront6targetE1EEEvT1_
	.globl	_ZN7rocprim17ROCPRIM_400000_NS6detail17trampoline_kernelINS0_14default_configENS1_25transform_config_selectorIlLb1EEEZNS1_14transform_implILb1ES3_S5_PlS7_NS0_8identityIlEEEE10hipError_tT2_T3_mT4_P12ihipStream_tbEUlT_E_NS1_11comp_targetILNS1_3genE2ELNS1_11target_archE906ELNS1_3gpuE6ELNS1_3repE0EEENS1_30default_config_static_selectorELNS0_4arch9wavefront6targetE1EEEvT1_
	.p2align	8
	.type	_ZN7rocprim17ROCPRIM_400000_NS6detail17trampoline_kernelINS0_14default_configENS1_25transform_config_selectorIlLb1EEEZNS1_14transform_implILb1ES3_S5_PlS7_NS0_8identityIlEEEE10hipError_tT2_T3_mT4_P12ihipStream_tbEUlT_E_NS1_11comp_targetILNS1_3genE2ELNS1_11target_archE906ELNS1_3gpuE6ELNS1_3repE0EEENS1_30default_config_static_selectorELNS0_4arch9wavefront6targetE1EEEvT1_,@function
_ZN7rocprim17ROCPRIM_400000_NS6detail17trampoline_kernelINS0_14default_configENS1_25transform_config_selectorIlLb1EEEZNS1_14transform_implILb1ES3_S5_PlS7_NS0_8identityIlEEEE10hipError_tT2_T3_mT4_P12ihipStream_tbEUlT_E_NS1_11comp_targetILNS1_3genE2ELNS1_11target_archE906ELNS1_3gpuE6ELNS1_3repE0EEENS1_30default_config_static_selectorELNS0_4arch9wavefront6targetE1EEEvT1_: ; @_ZN7rocprim17ROCPRIM_400000_NS6detail17trampoline_kernelINS0_14default_configENS1_25transform_config_selectorIlLb1EEEZNS1_14transform_implILb1ES3_S5_PlS7_NS0_8identityIlEEEE10hipError_tT2_T3_mT4_P12ihipStream_tbEUlT_E_NS1_11comp_targetILNS1_3genE2ELNS1_11target_archE906ELNS1_3gpuE6ELNS1_3repE0EEENS1_30default_config_static_selectorELNS0_4arch9wavefront6targetE1EEEvT1_
; %bb.0:
	s_load_dword s1, s[4:5], 0x28
	s_load_dword s7, s[4:5], 0x10
	s_lshl_b32 s0, s6, 9
	s_waitcnt lgkmcnt(0)
	s_add_i32 s1, s1, -1
	s_cmp_lg_u32 s6, s1
	s_cselect_b64 s[2:3], -1, 0
	s_sub_i32 s1, s7, s0
	v_cmp_gt_u32_e32 vcc, s1, v0
	s_or_b64 s[2:3], vcc, s[2:3]
	s_and_saveexec_b64 s[6:7], s[2:3]
	s_cbranch_execz .LBB1063_2
; %bb.1:
	s_load_dwordx4 s[8:11], s[4:5], 0x0
	s_load_dwordx2 s[2:3], s[4:5], 0x18
	s_mov_b32 s1, 0
	v_lshlrev_b32_e32 v2, 3, v0
	s_waitcnt lgkmcnt(0)
	s_lshl_b64 s[4:5], s[10:11], 3
	s_add_u32 s6, s8, s4
	s_addc_u32 s7, s9, s5
	s_lshl_b64 s[0:1], s[0:1], 3
	s_add_u32 s6, s6, s0
	s_addc_u32 s7, s7, s1
	global_load_dwordx2 v[0:1], v2, s[6:7]
	s_add_u32 s2, s2, s4
	s_addc_u32 s3, s3, s5
	s_add_u32 s0, s2, s0
	s_addc_u32 s1, s3, s1
	s_waitcnt vmcnt(0)
	global_store_dwordx2 v2, v[0:1], s[0:1]
.LBB1063_2:
	s_endpgm
	.section	.rodata,"a",@progbits
	.p2align	6, 0x0
	.amdhsa_kernel _ZN7rocprim17ROCPRIM_400000_NS6detail17trampoline_kernelINS0_14default_configENS1_25transform_config_selectorIlLb1EEEZNS1_14transform_implILb1ES3_S5_PlS7_NS0_8identityIlEEEE10hipError_tT2_T3_mT4_P12ihipStream_tbEUlT_E_NS1_11comp_targetILNS1_3genE2ELNS1_11target_archE906ELNS1_3gpuE6ELNS1_3repE0EEENS1_30default_config_static_selectorELNS0_4arch9wavefront6targetE1EEEvT1_
		.amdhsa_group_segment_fixed_size 0
		.amdhsa_private_segment_fixed_size 0
		.amdhsa_kernarg_size 296
		.amdhsa_user_sgpr_count 6
		.amdhsa_user_sgpr_private_segment_buffer 1
		.amdhsa_user_sgpr_dispatch_ptr 0
		.amdhsa_user_sgpr_queue_ptr 0
		.amdhsa_user_sgpr_kernarg_segment_ptr 1
		.amdhsa_user_sgpr_dispatch_id 0
		.amdhsa_user_sgpr_flat_scratch_init 0
		.amdhsa_user_sgpr_private_segment_size 0
		.amdhsa_uses_dynamic_stack 0
		.amdhsa_system_sgpr_private_segment_wavefront_offset 0
		.amdhsa_system_sgpr_workgroup_id_x 1
		.amdhsa_system_sgpr_workgroup_id_y 0
		.amdhsa_system_sgpr_workgroup_id_z 0
		.amdhsa_system_sgpr_workgroup_info 0
		.amdhsa_system_vgpr_workitem_id 0
		.amdhsa_next_free_vgpr 3
		.amdhsa_next_free_sgpr 12
		.amdhsa_reserve_vcc 1
		.amdhsa_reserve_flat_scratch 0
		.amdhsa_float_round_mode_32 0
		.amdhsa_float_round_mode_16_64 0
		.amdhsa_float_denorm_mode_32 3
		.amdhsa_float_denorm_mode_16_64 3
		.amdhsa_dx10_clamp 1
		.amdhsa_ieee_mode 1
		.amdhsa_fp16_overflow 0
		.amdhsa_exception_fp_ieee_invalid_op 0
		.amdhsa_exception_fp_denorm_src 0
		.amdhsa_exception_fp_ieee_div_zero 0
		.amdhsa_exception_fp_ieee_overflow 0
		.amdhsa_exception_fp_ieee_underflow 0
		.amdhsa_exception_fp_ieee_inexact 0
		.amdhsa_exception_int_div_zero 0
	.end_amdhsa_kernel
	.section	.text._ZN7rocprim17ROCPRIM_400000_NS6detail17trampoline_kernelINS0_14default_configENS1_25transform_config_selectorIlLb1EEEZNS1_14transform_implILb1ES3_S5_PlS7_NS0_8identityIlEEEE10hipError_tT2_T3_mT4_P12ihipStream_tbEUlT_E_NS1_11comp_targetILNS1_3genE2ELNS1_11target_archE906ELNS1_3gpuE6ELNS1_3repE0EEENS1_30default_config_static_selectorELNS0_4arch9wavefront6targetE1EEEvT1_,"axG",@progbits,_ZN7rocprim17ROCPRIM_400000_NS6detail17trampoline_kernelINS0_14default_configENS1_25transform_config_selectorIlLb1EEEZNS1_14transform_implILb1ES3_S5_PlS7_NS0_8identityIlEEEE10hipError_tT2_T3_mT4_P12ihipStream_tbEUlT_E_NS1_11comp_targetILNS1_3genE2ELNS1_11target_archE906ELNS1_3gpuE6ELNS1_3repE0EEENS1_30default_config_static_selectorELNS0_4arch9wavefront6targetE1EEEvT1_,comdat
.Lfunc_end1063:
	.size	_ZN7rocprim17ROCPRIM_400000_NS6detail17trampoline_kernelINS0_14default_configENS1_25transform_config_selectorIlLb1EEEZNS1_14transform_implILb1ES3_S5_PlS7_NS0_8identityIlEEEE10hipError_tT2_T3_mT4_P12ihipStream_tbEUlT_E_NS1_11comp_targetILNS1_3genE2ELNS1_11target_archE906ELNS1_3gpuE6ELNS1_3repE0EEENS1_30default_config_static_selectorELNS0_4arch9wavefront6targetE1EEEvT1_, .Lfunc_end1063-_ZN7rocprim17ROCPRIM_400000_NS6detail17trampoline_kernelINS0_14default_configENS1_25transform_config_selectorIlLb1EEEZNS1_14transform_implILb1ES3_S5_PlS7_NS0_8identityIlEEEE10hipError_tT2_T3_mT4_P12ihipStream_tbEUlT_E_NS1_11comp_targetILNS1_3genE2ELNS1_11target_archE906ELNS1_3gpuE6ELNS1_3repE0EEENS1_30default_config_static_selectorELNS0_4arch9wavefront6targetE1EEEvT1_
                                        ; -- End function
	.set _ZN7rocprim17ROCPRIM_400000_NS6detail17trampoline_kernelINS0_14default_configENS1_25transform_config_selectorIlLb1EEEZNS1_14transform_implILb1ES3_S5_PlS7_NS0_8identityIlEEEE10hipError_tT2_T3_mT4_P12ihipStream_tbEUlT_E_NS1_11comp_targetILNS1_3genE2ELNS1_11target_archE906ELNS1_3gpuE6ELNS1_3repE0EEENS1_30default_config_static_selectorELNS0_4arch9wavefront6targetE1EEEvT1_.num_vgpr, 3
	.set _ZN7rocprim17ROCPRIM_400000_NS6detail17trampoline_kernelINS0_14default_configENS1_25transform_config_selectorIlLb1EEEZNS1_14transform_implILb1ES3_S5_PlS7_NS0_8identityIlEEEE10hipError_tT2_T3_mT4_P12ihipStream_tbEUlT_E_NS1_11comp_targetILNS1_3genE2ELNS1_11target_archE906ELNS1_3gpuE6ELNS1_3repE0EEENS1_30default_config_static_selectorELNS0_4arch9wavefront6targetE1EEEvT1_.num_agpr, 0
	.set _ZN7rocprim17ROCPRIM_400000_NS6detail17trampoline_kernelINS0_14default_configENS1_25transform_config_selectorIlLb1EEEZNS1_14transform_implILb1ES3_S5_PlS7_NS0_8identityIlEEEE10hipError_tT2_T3_mT4_P12ihipStream_tbEUlT_E_NS1_11comp_targetILNS1_3genE2ELNS1_11target_archE906ELNS1_3gpuE6ELNS1_3repE0EEENS1_30default_config_static_selectorELNS0_4arch9wavefront6targetE1EEEvT1_.numbered_sgpr, 12
	.set _ZN7rocprim17ROCPRIM_400000_NS6detail17trampoline_kernelINS0_14default_configENS1_25transform_config_selectorIlLb1EEEZNS1_14transform_implILb1ES3_S5_PlS7_NS0_8identityIlEEEE10hipError_tT2_T3_mT4_P12ihipStream_tbEUlT_E_NS1_11comp_targetILNS1_3genE2ELNS1_11target_archE906ELNS1_3gpuE6ELNS1_3repE0EEENS1_30default_config_static_selectorELNS0_4arch9wavefront6targetE1EEEvT1_.num_named_barrier, 0
	.set _ZN7rocprim17ROCPRIM_400000_NS6detail17trampoline_kernelINS0_14default_configENS1_25transform_config_selectorIlLb1EEEZNS1_14transform_implILb1ES3_S5_PlS7_NS0_8identityIlEEEE10hipError_tT2_T3_mT4_P12ihipStream_tbEUlT_E_NS1_11comp_targetILNS1_3genE2ELNS1_11target_archE906ELNS1_3gpuE6ELNS1_3repE0EEENS1_30default_config_static_selectorELNS0_4arch9wavefront6targetE1EEEvT1_.private_seg_size, 0
	.set _ZN7rocprim17ROCPRIM_400000_NS6detail17trampoline_kernelINS0_14default_configENS1_25transform_config_selectorIlLb1EEEZNS1_14transform_implILb1ES3_S5_PlS7_NS0_8identityIlEEEE10hipError_tT2_T3_mT4_P12ihipStream_tbEUlT_E_NS1_11comp_targetILNS1_3genE2ELNS1_11target_archE906ELNS1_3gpuE6ELNS1_3repE0EEENS1_30default_config_static_selectorELNS0_4arch9wavefront6targetE1EEEvT1_.uses_vcc, 1
	.set _ZN7rocprim17ROCPRIM_400000_NS6detail17trampoline_kernelINS0_14default_configENS1_25transform_config_selectorIlLb1EEEZNS1_14transform_implILb1ES3_S5_PlS7_NS0_8identityIlEEEE10hipError_tT2_T3_mT4_P12ihipStream_tbEUlT_E_NS1_11comp_targetILNS1_3genE2ELNS1_11target_archE906ELNS1_3gpuE6ELNS1_3repE0EEENS1_30default_config_static_selectorELNS0_4arch9wavefront6targetE1EEEvT1_.uses_flat_scratch, 0
	.set _ZN7rocprim17ROCPRIM_400000_NS6detail17trampoline_kernelINS0_14default_configENS1_25transform_config_selectorIlLb1EEEZNS1_14transform_implILb1ES3_S5_PlS7_NS0_8identityIlEEEE10hipError_tT2_T3_mT4_P12ihipStream_tbEUlT_E_NS1_11comp_targetILNS1_3genE2ELNS1_11target_archE906ELNS1_3gpuE6ELNS1_3repE0EEENS1_30default_config_static_selectorELNS0_4arch9wavefront6targetE1EEEvT1_.has_dyn_sized_stack, 0
	.set _ZN7rocprim17ROCPRIM_400000_NS6detail17trampoline_kernelINS0_14default_configENS1_25transform_config_selectorIlLb1EEEZNS1_14transform_implILb1ES3_S5_PlS7_NS0_8identityIlEEEE10hipError_tT2_T3_mT4_P12ihipStream_tbEUlT_E_NS1_11comp_targetILNS1_3genE2ELNS1_11target_archE906ELNS1_3gpuE6ELNS1_3repE0EEENS1_30default_config_static_selectorELNS0_4arch9wavefront6targetE1EEEvT1_.has_recursion, 0
	.set _ZN7rocprim17ROCPRIM_400000_NS6detail17trampoline_kernelINS0_14default_configENS1_25transform_config_selectorIlLb1EEEZNS1_14transform_implILb1ES3_S5_PlS7_NS0_8identityIlEEEE10hipError_tT2_T3_mT4_P12ihipStream_tbEUlT_E_NS1_11comp_targetILNS1_3genE2ELNS1_11target_archE906ELNS1_3gpuE6ELNS1_3repE0EEENS1_30default_config_static_selectorELNS0_4arch9wavefront6targetE1EEEvT1_.has_indirect_call, 0
	.section	.AMDGPU.csdata,"",@progbits
; Kernel info:
; codeLenInByte = 148
; TotalNumSgprs: 16
; NumVgprs: 3
; ScratchSize: 0
; MemoryBound: 0
; FloatMode: 240
; IeeeMode: 1
; LDSByteSize: 0 bytes/workgroup (compile time only)
; SGPRBlocks: 1
; VGPRBlocks: 0
; NumSGPRsForWavesPerEU: 16
; NumVGPRsForWavesPerEU: 3
; Occupancy: 10
; WaveLimiterHint : 0
; COMPUTE_PGM_RSRC2:SCRATCH_EN: 0
; COMPUTE_PGM_RSRC2:USER_SGPR: 6
; COMPUTE_PGM_RSRC2:TRAP_HANDLER: 0
; COMPUTE_PGM_RSRC2:TGID_X_EN: 1
; COMPUTE_PGM_RSRC2:TGID_Y_EN: 0
; COMPUTE_PGM_RSRC2:TGID_Z_EN: 0
; COMPUTE_PGM_RSRC2:TIDIG_COMP_CNT: 0
	.section	.text._ZN7rocprim17ROCPRIM_400000_NS6detail17trampoline_kernelINS0_14default_configENS1_25transform_config_selectorIlLb1EEEZNS1_14transform_implILb1ES3_S5_PlS7_NS0_8identityIlEEEE10hipError_tT2_T3_mT4_P12ihipStream_tbEUlT_E_NS1_11comp_targetILNS1_3genE9ELNS1_11target_archE1100ELNS1_3gpuE3ELNS1_3repE0EEENS1_30default_config_static_selectorELNS0_4arch9wavefront6targetE1EEEvT1_,"axG",@progbits,_ZN7rocprim17ROCPRIM_400000_NS6detail17trampoline_kernelINS0_14default_configENS1_25transform_config_selectorIlLb1EEEZNS1_14transform_implILb1ES3_S5_PlS7_NS0_8identityIlEEEE10hipError_tT2_T3_mT4_P12ihipStream_tbEUlT_E_NS1_11comp_targetILNS1_3genE9ELNS1_11target_archE1100ELNS1_3gpuE3ELNS1_3repE0EEENS1_30default_config_static_selectorELNS0_4arch9wavefront6targetE1EEEvT1_,comdat
	.protected	_ZN7rocprim17ROCPRIM_400000_NS6detail17trampoline_kernelINS0_14default_configENS1_25transform_config_selectorIlLb1EEEZNS1_14transform_implILb1ES3_S5_PlS7_NS0_8identityIlEEEE10hipError_tT2_T3_mT4_P12ihipStream_tbEUlT_E_NS1_11comp_targetILNS1_3genE9ELNS1_11target_archE1100ELNS1_3gpuE3ELNS1_3repE0EEENS1_30default_config_static_selectorELNS0_4arch9wavefront6targetE1EEEvT1_ ; -- Begin function _ZN7rocprim17ROCPRIM_400000_NS6detail17trampoline_kernelINS0_14default_configENS1_25transform_config_selectorIlLb1EEEZNS1_14transform_implILb1ES3_S5_PlS7_NS0_8identityIlEEEE10hipError_tT2_T3_mT4_P12ihipStream_tbEUlT_E_NS1_11comp_targetILNS1_3genE9ELNS1_11target_archE1100ELNS1_3gpuE3ELNS1_3repE0EEENS1_30default_config_static_selectorELNS0_4arch9wavefront6targetE1EEEvT1_
	.globl	_ZN7rocprim17ROCPRIM_400000_NS6detail17trampoline_kernelINS0_14default_configENS1_25transform_config_selectorIlLb1EEEZNS1_14transform_implILb1ES3_S5_PlS7_NS0_8identityIlEEEE10hipError_tT2_T3_mT4_P12ihipStream_tbEUlT_E_NS1_11comp_targetILNS1_3genE9ELNS1_11target_archE1100ELNS1_3gpuE3ELNS1_3repE0EEENS1_30default_config_static_selectorELNS0_4arch9wavefront6targetE1EEEvT1_
	.p2align	8
	.type	_ZN7rocprim17ROCPRIM_400000_NS6detail17trampoline_kernelINS0_14default_configENS1_25transform_config_selectorIlLb1EEEZNS1_14transform_implILb1ES3_S5_PlS7_NS0_8identityIlEEEE10hipError_tT2_T3_mT4_P12ihipStream_tbEUlT_E_NS1_11comp_targetILNS1_3genE9ELNS1_11target_archE1100ELNS1_3gpuE3ELNS1_3repE0EEENS1_30default_config_static_selectorELNS0_4arch9wavefront6targetE1EEEvT1_,@function
_ZN7rocprim17ROCPRIM_400000_NS6detail17trampoline_kernelINS0_14default_configENS1_25transform_config_selectorIlLb1EEEZNS1_14transform_implILb1ES3_S5_PlS7_NS0_8identityIlEEEE10hipError_tT2_T3_mT4_P12ihipStream_tbEUlT_E_NS1_11comp_targetILNS1_3genE9ELNS1_11target_archE1100ELNS1_3gpuE3ELNS1_3repE0EEENS1_30default_config_static_selectorELNS0_4arch9wavefront6targetE1EEEvT1_: ; @_ZN7rocprim17ROCPRIM_400000_NS6detail17trampoline_kernelINS0_14default_configENS1_25transform_config_selectorIlLb1EEEZNS1_14transform_implILb1ES3_S5_PlS7_NS0_8identityIlEEEE10hipError_tT2_T3_mT4_P12ihipStream_tbEUlT_E_NS1_11comp_targetILNS1_3genE9ELNS1_11target_archE1100ELNS1_3gpuE3ELNS1_3repE0EEENS1_30default_config_static_selectorELNS0_4arch9wavefront6targetE1EEEvT1_
; %bb.0:
	.section	.rodata,"a",@progbits
	.p2align	6, 0x0
	.amdhsa_kernel _ZN7rocprim17ROCPRIM_400000_NS6detail17trampoline_kernelINS0_14default_configENS1_25transform_config_selectorIlLb1EEEZNS1_14transform_implILb1ES3_S5_PlS7_NS0_8identityIlEEEE10hipError_tT2_T3_mT4_P12ihipStream_tbEUlT_E_NS1_11comp_targetILNS1_3genE9ELNS1_11target_archE1100ELNS1_3gpuE3ELNS1_3repE0EEENS1_30default_config_static_selectorELNS0_4arch9wavefront6targetE1EEEvT1_
		.amdhsa_group_segment_fixed_size 0
		.amdhsa_private_segment_fixed_size 0
		.amdhsa_kernarg_size 40
		.amdhsa_user_sgpr_count 6
		.amdhsa_user_sgpr_private_segment_buffer 1
		.amdhsa_user_sgpr_dispatch_ptr 0
		.amdhsa_user_sgpr_queue_ptr 0
		.amdhsa_user_sgpr_kernarg_segment_ptr 1
		.amdhsa_user_sgpr_dispatch_id 0
		.amdhsa_user_sgpr_flat_scratch_init 0
		.amdhsa_user_sgpr_private_segment_size 0
		.amdhsa_uses_dynamic_stack 0
		.amdhsa_system_sgpr_private_segment_wavefront_offset 0
		.amdhsa_system_sgpr_workgroup_id_x 1
		.amdhsa_system_sgpr_workgroup_id_y 0
		.amdhsa_system_sgpr_workgroup_id_z 0
		.amdhsa_system_sgpr_workgroup_info 0
		.amdhsa_system_vgpr_workitem_id 0
		.amdhsa_next_free_vgpr 1
		.amdhsa_next_free_sgpr 0
		.amdhsa_reserve_vcc 0
		.amdhsa_reserve_flat_scratch 0
		.amdhsa_float_round_mode_32 0
		.amdhsa_float_round_mode_16_64 0
		.amdhsa_float_denorm_mode_32 3
		.amdhsa_float_denorm_mode_16_64 3
		.amdhsa_dx10_clamp 1
		.amdhsa_ieee_mode 1
		.amdhsa_fp16_overflow 0
		.amdhsa_exception_fp_ieee_invalid_op 0
		.amdhsa_exception_fp_denorm_src 0
		.amdhsa_exception_fp_ieee_div_zero 0
		.amdhsa_exception_fp_ieee_overflow 0
		.amdhsa_exception_fp_ieee_underflow 0
		.amdhsa_exception_fp_ieee_inexact 0
		.amdhsa_exception_int_div_zero 0
	.end_amdhsa_kernel
	.section	.text._ZN7rocprim17ROCPRIM_400000_NS6detail17trampoline_kernelINS0_14default_configENS1_25transform_config_selectorIlLb1EEEZNS1_14transform_implILb1ES3_S5_PlS7_NS0_8identityIlEEEE10hipError_tT2_T3_mT4_P12ihipStream_tbEUlT_E_NS1_11comp_targetILNS1_3genE9ELNS1_11target_archE1100ELNS1_3gpuE3ELNS1_3repE0EEENS1_30default_config_static_selectorELNS0_4arch9wavefront6targetE1EEEvT1_,"axG",@progbits,_ZN7rocprim17ROCPRIM_400000_NS6detail17trampoline_kernelINS0_14default_configENS1_25transform_config_selectorIlLb1EEEZNS1_14transform_implILb1ES3_S5_PlS7_NS0_8identityIlEEEE10hipError_tT2_T3_mT4_P12ihipStream_tbEUlT_E_NS1_11comp_targetILNS1_3genE9ELNS1_11target_archE1100ELNS1_3gpuE3ELNS1_3repE0EEENS1_30default_config_static_selectorELNS0_4arch9wavefront6targetE1EEEvT1_,comdat
.Lfunc_end1064:
	.size	_ZN7rocprim17ROCPRIM_400000_NS6detail17trampoline_kernelINS0_14default_configENS1_25transform_config_selectorIlLb1EEEZNS1_14transform_implILb1ES3_S5_PlS7_NS0_8identityIlEEEE10hipError_tT2_T3_mT4_P12ihipStream_tbEUlT_E_NS1_11comp_targetILNS1_3genE9ELNS1_11target_archE1100ELNS1_3gpuE3ELNS1_3repE0EEENS1_30default_config_static_selectorELNS0_4arch9wavefront6targetE1EEEvT1_, .Lfunc_end1064-_ZN7rocprim17ROCPRIM_400000_NS6detail17trampoline_kernelINS0_14default_configENS1_25transform_config_selectorIlLb1EEEZNS1_14transform_implILb1ES3_S5_PlS7_NS0_8identityIlEEEE10hipError_tT2_T3_mT4_P12ihipStream_tbEUlT_E_NS1_11comp_targetILNS1_3genE9ELNS1_11target_archE1100ELNS1_3gpuE3ELNS1_3repE0EEENS1_30default_config_static_selectorELNS0_4arch9wavefront6targetE1EEEvT1_
                                        ; -- End function
	.set _ZN7rocprim17ROCPRIM_400000_NS6detail17trampoline_kernelINS0_14default_configENS1_25transform_config_selectorIlLb1EEEZNS1_14transform_implILb1ES3_S5_PlS7_NS0_8identityIlEEEE10hipError_tT2_T3_mT4_P12ihipStream_tbEUlT_E_NS1_11comp_targetILNS1_3genE9ELNS1_11target_archE1100ELNS1_3gpuE3ELNS1_3repE0EEENS1_30default_config_static_selectorELNS0_4arch9wavefront6targetE1EEEvT1_.num_vgpr, 0
	.set _ZN7rocprim17ROCPRIM_400000_NS6detail17trampoline_kernelINS0_14default_configENS1_25transform_config_selectorIlLb1EEEZNS1_14transform_implILb1ES3_S5_PlS7_NS0_8identityIlEEEE10hipError_tT2_T3_mT4_P12ihipStream_tbEUlT_E_NS1_11comp_targetILNS1_3genE9ELNS1_11target_archE1100ELNS1_3gpuE3ELNS1_3repE0EEENS1_30default_config_static_selectorELNS0_4arch9wavefront6targetE1EEEvT1_.num_agpr, 0
	.set _ZN7rocprim17ROCPRIM_400000_NS6detail17trampoline_kernelINS0_14default_configENS1_25transform_config_selectorIlLb1EEEZNS1_14transform_implILb1ES3_S5_PlS7_NS0_8identityIlEEEE10hipError_tT2_T3_mT4_P12ihipStream_tbEUlT_E_NS1_11comp_targetILNS1_3genE9ELNS1_11target_archE1100ELNS1_3gpuE3ELNS1_3repE0EEENS1_30default_config_static_selectorELNS0_4arch9wavefront6targetE1EEEvT1_.numbered_sgpr, 0
	.set _ZN7rocprim17ROCPRIM_400000_NS6detail17trampoline_kernelINS0_14default_configENS1_25transform_config_selectorIlLb1EEEZNS1_14transform_implILb1ES3_S5_PlS7_NS0_8identityIlEEEE10hipError_tT2_T3_mT4_P12ihipStream_tbEUlT_E_NS1_11comp_targetILNS1_3genE9ELNS1_11target_archE1100ELNS1_3gpuE3ELNS1_3repE0EEENS1_30default_config_static_selectorELNS0_4arch9wavefront6targetE1EEEvT1_.num_named_barrier, 0
	.set _ZN7rocprim17ROCPRIM_400000_NS6detail17trampoline_kernelINS0_14default_configENS1_25transform_config_selectorIlLb1EEEZNS1_14transform_implILb1ES3_S5_PlS7_NS0_8identityIlEEEE10hipError_tT2_T3_mT4_P12ihipStream_tbEUlT_E_NS1_11comp_targetILNS1_3genE9ELNS1_11target_archE1100ELNS1_3gpuE3ELNS1_3repE0EEENS1_30default_config_static_selectorELNS0_4arch9wavefront6targetE1EEEvT1_.private_seg_size, 0
	.set _ZN7rocprim17ROCPRIM_400000_NS6detail17trampoline_kernelINS0_14default_configENS1_25transform_config_selectorIlLb1EEEZNS1_14transform_implILb1ES3_S5_PlS7_NS0_8identityIlEEEE10hipError_tT2_T3_mT4_P12ihipStream_tbEUlT_E_NS1_11comp_targetILNS1_3genE9ELNS1_11target_archE1100ELNS1_3gpuE3ELNS1_3repE0EEENS1_30default_config_static_selectorELNS0_4arch9wavefront6targetE1EEEvT1_.uses_vcc, 0
	.set _ZN7rocprim17ROCPRIM_400000_NS6detail17trampoline_kernelINS0_14default_configENS1_25transform_config_selectorIlLb1EEEZNS1_14transform_implILb1ES3_S5_PlS7_NS0_8identityIlEEEE10hipError_tT2_T3_mT4_P12ihipStream_tbEUlT_E_NS1_11comp_targetILNS1_3genE9ELNS1_11target_archE1100ELNS1_3gpuE3ELNS1_3repE0EEENS1_30default_config_static_selectorELNS0_4arch9wavefront6targetE1EEEvT1_.uses_flat_scratch, 0
	.set _ZN7rocprim17ROCPRIM_400000_NS6detail17trampoline_kernelINS0_14default_configENS1_25transform_config_selectorIlLb1EEEZNS1_14transform_implILb1ES3_S5_PlS7_NS0_8identityIlEEEE10hipError_tT2_T3_mT4_P12ihipStream_tbEUlT_E_NS1_11comp_targetILNS1_3genE9ELNS1_11target_archE1100ELNS1_3gpuE3ELNS1_3repE0EEENS1_30default_config_static_selectorELNS0_4arch9wavefront6targetE1EEEvT1_.has_dyn_sized_stack, 0
	.set _ZN7rocprim17ROCPRIM_400000_NS6detail17trampoline_kernelINS0_14default_configENS1_25transform_config_selectorIlLb1EEEZNS1_14transform_implILb1ES3_S5_PlS7_NS0_8identityIlEEEE10hipError_tT2_T3_mT4_P12ihipStream_tbEUlT_E_NS1_11comp_targetILNS1_3genE9ELNS1_11target_archE1100ELNS1_3gpuE3ELNS1_3repE0EEENS1_30default_config_static_selectorELNS0_4arch9wavefront6targetE1EEEvT1_.has_recursion, 0
	.set _ZN7rocprim17ROCPRIM_400000_NS6detail17trampoline_kernelINS0_14default_configENS1_25transform_config_selectorIlLb1EEEZNS1_14transform_implILb1ES3_S5_PlS7_NS0_8identityIlEEEE10hipError_tT2_T3_mT4_P12ihipStream_tbEUlT_E_NS1_11comp_targetILNS1_3genE9ELNS1_11target_archE1100ELNS1_3gpuE3ELNS1_3repE0EEENS1_30default_config_static_selectorELNS0_4arch9wavefront6targetE1EEEvT1_.has_indirect_call, 0
	.section	.AMDGPU.csdata,"",@progbits
; Kernel info:
; codeLenInByte = 0
; TotalNumSgprs: 4
; NumVgprs: 0
; ScratchSize: 0
; MemoryBound: 0
; FloatMode: 240
; IeeeMode: 1
; LDSByteSize: 0 bytes/workgroup (compile time only)
; SGPRBlocks: 0
; VGPRBlocks: 0
; NumSGPRsForWavesPerEU: 4
; NumVGPRsForWavesPerEU: 1
; Occupancy: 10
; WaveLimiterHint : 0
; COMPUTE_PGM_RSRC2:SCRATCH_EN: 0
; COMPUTE_PGM_RSRC2:USER_SGPR: 6
; COMPUTE_PGM_RSRC2:TRAP_HANDLER: 0
; COMPUTE_PGM_RSRC2:TGID_X_EN: 1
; COMPUTE_PGM_RSRC2:TGID_Y_EN: 0
; COMPUTE_PGM_RSRC2:TGID_Z_EN: 0
; COMPUTE_PGM_RSRC2:TIDIG_COMP_CNT: 0
	.section	.text._ZN7rocprim17ROCPRIM_400000_NS6detail17trampoline_kernelINS0_14default_configENS1_25transform_config_selectorIlLb1EEEZNS1_14transform_implILb1ES3_S5_PlS7_NS0_8identityIlEEEE10hipError_tT2_T3_mT4_P12ihipStream_tbEUlT_E_NS1_11comp_targetILNS1_3genE8ELNS1_11target_archE1030ELNS1_3gpuE2ELNS1_3repE0EEENS1_30default_config_static_selectorELNS0_4arch9wavefront6targetE1EEEvT1_,"axG",@progbits,_ZN7rocprim17ROCPRIM_400000_NS6detail17trampoline_kernelINS0_14default_configENS1_25transform_config_selectorIlLb1EEEZNS1_14transform_implILb1ES3_S5_PlS7_NS0_8identityIlEEEE10hipError_tT2_T3_mT4_P12ihipStream_tbEUlT_E_NS1_11comp_targetILNS1_3genE8ELNS1_11target_archE1030ELNS1_3gpuE2ELNS1_3repE0EEENS1_30default_config_static_selectorELNS0_4arch9wavefront6targetE1EEEvT1_,comdat
	.protected	_ZN7rocprim17ROCPRIM_400000_NS6detail17trampoline_kernelINS0_14default_configENS1_25transform_config_selectorIlLb1EEEZNS1_14transform_implILb1ES3_S5_PlS7_NS0_8identityIlEEEE10hipError_tT2_T3_mT4_P12ihipStream_tbEUlT_E_NS1_11comp_targetILNS1_3genE8ELNS1_11target_archE1030ELNS1_3gpuE2ELNS1_3repE0EEENS1_30default_config_static_selectorELNS0_4arch9wavefront6targetE1EEEvT1_ ; -- Begin function _ZN7rocprim17ROCPRIM_400000_NS6detail17trampoline_kernelINS0_14default_configENS1_25transform_config_selectorIlLb1EEEZNS1_14transform_implILb1ES3_S5_PlS7_NS0_8identityIlEEEE10hipError_tT2_T3_mT4_P12ihipStream_tbEUlT_E_NS1_11comp_targetILNS1_3genE8ELNS1_11target_archE1030ELNS1_3gpuE2ELNS1_3repE0EEENS1_30default_config_static_selectorELNS0_4arch9wavefront6targetE1EEEvT1_
	.globl	_ZN7rocprim17ROCPRIM_400000_NS6detail17trampoline_kernelINS0_14default_configENS1_25transform_config_selectorIlLb1EEEZNS1_14transform_implILb1ES3_S5_PlS7_NS0_8identityIlEEEE10hipError_tT2_T3_mT4_P12ihipStream_tbEUlT_E_NS1_11comp_targetILNS1_3genE8ELNS1_11target_archE1030ELNS1_3gpuE2ELNS1_3repE0EEENS1_30default_config_static_selectorELNS0_4arch9wavefront6targetE1EEEvT1_
	.p2align	8
	.type	_ZN7rocprim17ROCPRIM_400000_NS6detail17trampoline_kernelINS0_14default_configENS1_25transform_config_selectorIlLb1EEEZNS1_14transform_implILb1ES3_S5_PlS7_NS0_8identityIlEEEE10hipError_tT2_T3_mT4_P12ihipStream_tbEUlT_E_NS1_11comp_targetILNS1_3genE8ELNS1_11target_archE1030ELNS1_3gpuE2ELNS1_3repE0EEENS1_30default_config_static_selectorELNS0_4arch9wavefront6targetE1EEEvT1_,@function
_ZN7rocprim17ROCPRIM_400000_NS6detail17trampoline_kernelINS0_14default_configENS1_25transform_config_selectorIlLb1EEEZNS1_14transform_implILb1ES3_S5_PlS7_NS0_8identityIlEEEE10hipError_tT2_T3_mT4_P12ihipStream_tbEUlT_E_NS1_11comp_targetILNS1_3genE8ELNS1_11target_archE1030ELNS1_3gpuE2ELNS1_3repE0EEENS1_30default_config_static_selectorELNS0_4arch9wavefront6targetE1EEEvT1_: ; @_ZN7rocprim17ROCPRIM_400000_NS6detail17trampoline_kernelINS0_14default_configENS1_25transform_config_selectorIlLb1EEEZNS1_14transform_implILb1ES3_S5_PlS7_NS0_8identityIlEEEE10hipError_tT2_T3_mT4_P12ihipStream_tbEUlT_E_NS1_11comp_targetILNS1_3genE8ELNS1_11target_archE1030ELNS1_3gpuE2ELNS1_3repE0EEENS1_30default_config_static_selectorELNS0_4arch9wavefront6targetE1EEEvT1_
; %bb.0:
	.section	.rodata,"a",@progbits
	.p2align	6, 0x0
	.amdhsa_kernel _ZN7rocprim17ROCPRIM_400000_NS6detail17trampoline_kernelINS0_14default_configENS1_25transform_config_selectorIlLb1EEEZNS1_14transform_implILb1ES3_S5_PlS7_NS0_8identityIlEEEE10hipError_tT2_T3_mT4_P12ihipStream_tbEUlT_E_NS1_11comp_targetILNS1_3genE8ELNS1_11target_archE1030ELNS1_3gpuE2ELNS1_3repE0EEENS1_30default_config_static_selectorELNS0_4arch9wavefront6targetE1EEEvT1_
		.amdhsa_group_segment_fixed_size 0
		.amdhsa_private_segment_fixed_size 0
		.amdhsa_kernarg_size 40
		.amdhsa_user_sgpr_count 6
		.amdhsa_user_sgpr_private_segment_buffer 1
		.amdhsa_user_sgpr_dispatch_ptr 0
		.amdhsa_user_sgpr_queue_ptr 0
		.amdhsa_user_sgpr_kernarg_segment_ptr 1
		.amdhsa_user_sgpr_dispatch_id 0
		.amdhsa_user_sgpr_flat_scratch_init 0
		.amdhsa_user_sgpr_private_segment_size 0
		.amdhsa_uses_dynamic_stack 0
		.amdhsa_system_sgpr_private_segment_wavefront_offset 0
		.amdhsa_system_sgpr_workgroup_id_x 1
		.amdhsa_system_sgpr_workgroup_id_y 0
		.amdhsa_system_sgpr_workgroup_id_z 0
		.amdhsa_system_sgpr_workgroup_info 0
		.amdhsa_system_vgpr_workitem_id 0
		.amdhsa_next_free_vgpr 1
		.amdhsa_next_free_sgpr 0
		.amdhsa_reserve_vcc 0
		.amdhsa_reserve_flat_scratch 0
		.amdhsa_float_round_mode_32 0
		.amdhsa_float_round_mode_16_64 0
		.amdhsa_float_denorm_mode_32 3
		.amdhsa_float_denorm_mode_16_64 3
		.amdhsa_dx10_clamp 1
		.amdhsa_ieee_mode 1
		.amdhsa_fp16_overflow 0
		.amdhsa_exception_fp_ieee_invalid_op 0
		.amdhsa_exception_fp_denorm_src 0
		.amdhsa_exception_fp_ieee_div_zero 0
		.amdhsa_exception_fp_ieee_overflow 0
		.amdhsa_exception_fp_ieee_underflow 0
		.amdhsa_exception_fp_ieee_inexact 0
		.amdhsa_exception_int_div_zero 0
	.end_amdhsa_kernel
	.section	.text._ZN7rocprim17ROCPRIM_400000_NS6detail17trampoline_kernelINS0_14default_configENS1_25transform_config_selectorIlLb1EEEZNS1_14transform_implILb1ES3_S5_PlS7_NS0_8identityIlEEEE10hipError_tT2_T3_mT4_P12ihipStream_tbEUlT_E_NS1_11comp_targetILNS1_3genE8ELNS1_11target_archE1030ELNS1_3gpuE2ELNS1_3repE0EEENS1_30default_config_static_selectorELNS0_4arch9wavefront6targetE1EEEvT1_,"axG",@progbits,_ZN7rocprim17ROCPRIM_400000_NS6detail17trampoline_kernelINS0_14default_configENS1_25transform_config_selectorIlLb1EEEZNS1_14transform_implILb1ES3_S5_PlS7_NS0_8identityIlEEEE10hipError_tT2_T3_mT4_P12ihipStream_tbEUlT_E_NS1_11comp_targetILNS1_3genE8ELNS1_11target_archE1030ELNS1_3gpuE2ELNS1_3repE0EEENS1_30default_config_static_selectorELNS0_4arch9wavefront6targetE1EEEvT1_,comdat
.Lfunc_end1065:
	.size	_ZN7rocprim17ROCPRIM_400000_NS6detail17trampoline_kernelINS0_14default_configENS1_25transform_config_selectorIlLb1EEEZNS1_14transform_implILb1ES3_S5_PlS7_NS0_8identityIlEEEE10hipError_tT2_T3_mT4_P12ihipStream_tbEUlT_E_NS1_11comp_targetILNS1_3genE8ELNS1_11target_archE1030ELNS1_3gpuE2ELNS1_3repE0EEENS1_30default_config_static_selectorELNS0_4arch9wavefront6targetE1EEEvT1_, .Lfunc_end1065-_ZN7rocprim17ROCPRIM_400000_NS6detail17trampoline_kernelINS0_14default_configENS1_25transform_config_selectorIlLb1EEEZNS1_14transform_implILb1ES3_S5_PlS7_NS0_8identityIlEEEE10hipError_tT2_T3_mT4_P12ihipStream_tbEUlT_E_NS1_11comp_targetILNS1_3genE8ELNS1_11target_archE1030ELNS1_3gpuE2ELNS1_3repE0EEENS1_30default_config_static_selectorELNS0_4arch9wavefront6targetE1EEEvT1_
                                        ; -- End function
	.set _ZN7rocprim17ROCPRIM_400000_NS6detail17trampoline_kernelINS0_14default_configENS1_25transform_config_selectorIlLb1EEEZNS1_14transform_implILb1ES3_S5_PlS7_NS0_8identityIlEEEE10hipError_tT2_T3_mT4_P12ihipStream_tbEUlT_E_NS1_11comp_targetILNS1_3genE8ELNS1_11target_archE1030ELNS1_3gpuE2ELNS1_3repE0EEENS1_30default_config_static_selectorELNS0_4arch9wavefront6targetE1EEEvT1_.num_vgpr, 0
	.set _ZN7rocprim17ROCPRIM_400000_NS6detail17trampoline_kernelINS0_14default_configENS1_25transform_config_selectorIlLb1EEEZNS1_14transform_implILb1ES3_S5_PlS7_NS0_8identityIlEEEE10hipError_tT2_T3_mT4_P12ihipStream_tbEUlT_E_NS1_11comp_targetILNS1_3genE8ELNS1_11target_archE1030ELNS1_3gpuE2ELNS1_3repE0EEENS1_30default_config_static_selectorELNS0_4arch9wavefront6targetE1EEEvT1_.num_agpr, 0
	.set _ZN7rocprim17ROCPRIM_400000_NS6detail17trampoline_kernelINS0_14default_configENS1_25transform_config_selectorIlLb1EEEZNS1_14transform_implILb1ES3_S5_PlS7_NS0_8identityIlEEEE10hipError_tT2_T3_mT4_P12ihipStream_tbEUlT_E_NS1_11comp_targetILNS1_3genE8ELNS1_11target_archE1030ELNS1_3gpuE2ELNS1_3repE0EEENS1_30default_config_static_selectorELNS0_4arch9wavefront6targetE1EEEvT1_.numbered_sgpr, 0
	.set _ZN7rocprim17ROCPRIM_400000_NS6detail17trampoline_kernelINS0_14default_configENS1_25transform_config_selectorIlLb1EEEZNS1_14transform_implILb1ES3_S5_PlS7_NS0_8identityIlEEEE10hipError_tT2_T3_mT4_P12ihipStream_tbEUlT_E_NS1_11comp_targetILNS1_3genE8ELNS1_11target_archE1030ELNS1_3gpuE2ELNS1_3repE0EEENS1_30default_config_static_selectorELNS0_4arch9wavefront6targetE1EEEvT1_.num_named_barrier, 0
	.set _ZN7rocprim17ROCPRIM_400000_NS6detail17trampoline_kernelINS0_14default_configENS1_25transform_config_selectorIlLb1EEEZNS1_14transform_implILb1ES3_S5_PlS7_NS0_8identityIlEEEE10hipError_tT2_T3_mT4_P12ihipStream_tbEUlT_E_NS1_11comp_targetILNS1_3genE8ELNS1_11target_archE1030ELNS1_3gpuE2ELNS1_3repE0EEENS1_30default_config_static_selectorELNS0_4arch9wavefront6targetE1EEEvT1_.private_seg_size, 0
	.set _ZN7rocprim17ROCPRIM_400000_NS6detail17trampoline_kernelINS0_14default_configENS1_25transform_config_selectorIlLb1EEEZNS1_14transform_implILb1ES3_S5_PlS7_NS0_8identityIlEEEE10hipError_tT2_T3_mT4_P12ihipStream_tbEUlT_E_NS1_11comp_targetILNS1_3genE8ELNS1_11target_archE1030ELNS1_3gpuE2ELNS1_3repE0EEENS1_30default_config_static_selectorELNS0_4arch9wavefront6targetE1EEEvT1_.uses_vcc, 0
	.set _ZN7rocprim17ROCPRIM_400000_NS6detail17trampoline_kernelINS0_14default_configENS1_25transform_config_selectorIlLb1EEEZNS1_14transform_implILb1ES3_S5_PlS7_NS0_8identityIlEEEE10hipError_tT2_T3_mT4_P12ihipStream_tbEUlT_E_NS1_11comp_targetILNS1_3genE8ELNS1_11target_archE1030ELNS1_3gpuE2ELNS1_3repE0EEENS1_30default_config_static_selectorELNS0_4arch9wavefront6targetE1EEEvT1_.uses_flat_scratch, 0
	.set _ZN7rocprim17ROCPRIM_400000_NS6detail17trampoline_kernelINS0_14default_configENS1_25transform_config_selectorIlLb1EEEZNS1_14transform_implILb1ES3_S5_PlS7_NS0_8identityIlEEEE10hipError_tT2_T3_mT4_P12ihipStream_tbEUlT_E_NS1_11comp_targetILNS1_3genE8ELNS1_11target_archE1030ELNS1_3gpuE2ELNS1_3repE0EEENS1_30default_config_static_selectorELNS0_4arch9wavefront6targetE1EEEvT1_.has_dyn_sized_stack, 0
	.set _ZN7rocprim17ROCPRIM_400000_NS6detail17trampoline_kernelINS0_14default_configENS1_25transform_config_selectorIlLb1EEEZNS1_14transform_implILb1ES3_S5_PlS7_NS0_8identityIlEEEE10hipError_tT2_T3_mT4_P12ihipStream_tbEUlT_E_NS1_11comp_targetILNS1_3genE8ELNS1_11target_archE1030ELNS1_3gpuE2ELNS1_3repE0EEENS1_30default_config_static_selectorELNS0_4arch9wavefront6targetE1EEEvT1_.has_recursion, 0
	.set _ZN7rocprim17ROCPRIM_400000_NS6detail17trampoline_kernelINS0_14default_configENS1_25transform_config_selectorIlLb1EEEZNS1_14transform_implILb1ES3_S5_PlS7_NS0_8identityIlEEEE10hipError_tT2_T3_mT4_P12ihipStream_tbEUlT_E_NS1_11comp_targetILNS1_3genE8ELNS1_11target_archE1030ELNS1_3gpuE2ELNS1_3repE0EEENS1_30default_config_static_selectorELNS0_4arch9wavefront6targetE1EEEvT1_.has_indirect_call, 0
	.section	.AMDGPU.csdata,"",@progbits
; Kernel info:
; codeLenInByte = 0
; TotalNumSgprs: 4
; NumVgprs: 0
; ScratchSize: 0
; MemoryBound: 0
; FloatMode: 240
; IeeeMode: 1
; LDSByteSize: 0 bytes/workgroup (compile time only)
; SGPRBlocks: 0
; VGPRBlocks: 0
; NumSGPRsForWavesPerEU: 4
; NumVGPRsForWavesPerEU: 1
; Occupancy: 10
; WaveLimiterHint : 0
; COMPUTE_PGM_RSRC2:SCRATCH_EN: 0
; COMPUTE_PGM_RSRC2:USER_SGPR: 6
; COMPUTE_PGM_RSRC2:TRAP_HANDLER: 0
; COMPUTE_PGM_RSRC2:TGID_X_EN: 1
; COMPUTE_PGM_RSRC2:TGID_Y_EN: 0
; COMPUTE_PGM_RSRC2:TGID_Z_EN: 0
; COMPUTE_PGM_RSRC2:TIDIG_COMP_CNT: 0
	.section	.text._ZN7rocprim17ROCPRIM_400000_NS6detail17trampoline_kernelINS0_14default_configENS1_38merge_sort_block_merge_config_selectorIllEEZZNS1_27merge_sort_block_merge_implIS3_PlN6thrust23THRUST_200600_302600_NS10device_ptrIlEEjNS1_19radix_merge_compareILb0ELb1ElNS0_19identity_decomposerEEEEE10hipError_tT0_T1_T2_jT3_P12ihipStream_tbPNSt15iterator_traitsISG_E10value_typeEPNSM_ISH_E10value_typeEPSI_NS1_7vsmem_tEENKUlT_SG_SH_SI_E_clIS7_S7_S7_SB_EESF_SV_SG_SH_SI_EUlSV_E_NS1_11comp_targetILNS1_3genE0ELNS1_11target_archE4294967295ELNS1_3gpuE0ELNS1_3repE0EEENS1_48merge_mergepath_partition_config_static_selectorELNS0_4arch9wavefront6targetE1EEEvSH_,"axG",@progbits,_ZN7rocprim17ROCPRIM_400000_NS6detail17trampoline_kernelINS0_14default_configENS1_38merge_sort_block_merge_config_selectorIllEEZZNS1_27merge_sort_block_merge_implIS3_PlN6thrust23THRUST_200600_302600_NS10device_ptrIlEEjNS1_19radix_merge_compareILb0ELb1ElNS0_19identity_decomposerEEEEE10hipError_tT0_T1_T2_jT3_P12ihipStream_tbPNSt15iterator_traitsISG_E10value_typeEPNSM_ISH_E10value_typeEPSI_NS1_7vsmem_tEENKUlT_SG_SH_SI_E_clIS7_S7_S7_SB_EESF_SV_SG_SH_SI_EUlSV_E_NS1_11comp_targetILNS1_3genE0ELNS1_11target_archE4294967295ELNS1_3gpuE0ELNS1_3repE0EEENS1_48merge_mergepath_partition_config_static_selectorELNS0_4arch9wavefront6targetE1EEEvSH_,comdat
	.protected	_ZN7rocprim17ROCPRIM_400000_NS6detail17trampoline_kernelINS0_14default_configENS1_38merge_sort_block_merge_config_selectorIllEEZZNS1_27merge_sort_block_merge_implIS3_PlN6thrust23THRUST_200600_302600_NS10device_ptrIlEEjNS1_19radix_merge_compareILb0ELb1ElNS0_19identity_decomposerEEEEE10hipError_tT0_T1_T2_jT3_P12ihipStream_tbPNSt15iterator_traitsISG_E10value_typeEPNSM_ISH_E10value_typeEPSI_NS1_7vsmem_tEENKUlT_SG_SH_SI_E_clIS7_S7_S7_SB_EESF_SV_SG_SH_SI_EUlSV_E_NS1_11comp_targetILNS1_3genE0ELNS1_11target_archE4294967295ELNS1_3gpuE0ELNS1_3repE0EEENS1_48merge_mergepath_partition_config_static_selectorELNS0_4arch9wavefront6targetE1EEEvSH_ ; -- Begin function _ZN7rocprim17ROCPRIM_400000_NS6detail17trampoline_kernelINS0_14default_configENS1_38merge_sort_block_merge_config_selectorIllEEZZNS1_27merge_sort_block_merge_implIS3_PlN6thrust23THRUST_200600_302600_NS10device_ptrIlEEjNS1_19radix_merge_compareILb0ELb1ElNS0_19identity_decomposerEEEEE10hipError_tT0_T1_T2_jT3_P12ihipStream_tbPNSt15iterator_traitsISG_E10value_typeEPNSM_ISH_E10value_typeEPSI_NS1_7vsmem_tEENKUlT_SG_SH_SI_E_clIS7_S7_S7_SB_EESF_SV_SG_SH_SI_EUlSV_E_NS1_11comp_targetILNS1_3genE0ELNS1_11target_archE4294967295ELNS1_3gpuE0ELNS1_3repE0EEENS1_48merge_mergepath_partition_config_static_selectorELNS0_4arch9wavefront6targetE1EEEvSH_
	.globl	_ZN7rocprim17ROCPRIM_400000_NS6detail17trampoline_kernelINS0_14default_configENS1_38merge_sort_block_merge_config_selectorIllEEZZNS1_27merge_sort_block_merge_implIS3_PlN6thrust23THRUST_200600_302600_NS10device_ptrIlEEjNS1_19radix_merge_compareILb0ELb1ElNS0_19identity_decomposerEEEEE10hipError_tT0_T1_T2_jT3_P12ihipStream_tbPNSt15iterator_traitsISG_E10value_typeEPNSM_ISH_E10value_typeEPSI_NS1_7vsmem_tEENKUlT_SG_SH_SI_E_clIS7_S7_S7_SB_EESF_SV_SG_SH_SI_EUlSV_E_NS1_11comp_targetILNS1_3genE0ELNS1_11target_archE4294967295ELNS1_3gpuE0ELNS1_3repE0EEENS1_48merge_mergepath_partition_config_static_selectorELNS0_4arch9wavefront6targetE1EEEvSH_
	.p2align	8
	.type	_ZN7rocprim17ROCPRIM_400000_NS6detail17trampoline_kernelINS0_14default_configENS1_38merge_sort_block_merge_config_selectorIllEEZZNS1_27merge_sort_block_merge_implIS3_PlN6thrust23THRUST_200600_302600_NS10device_ptrIlEEjNS1_19radix_merge_compareILb0ELb1ElNS0_19identity_decomposerEEEEE10hipError_tT0_T1_T2_jT3_P12ihipStream_tbPNSt15iterator_traitsISG_E10value_typeEPNSM_ISH_E10value_typeEPSI_NS1_7vsmem_tEENKUlT_SG_SH_SI_E_clIS7_S7_S7_SB_EESF_SV_SG_SH_SI_EUlSV_E_NS1_11comp_targetILNS1_3genE0ELNS1_11target_archE4294967295ELNS1_3gpuE0ELNS1_3repE0EEENS1_48merge_mergepath_partition_config_static_selectorELNS0_4arch9wavefront6targetE1EEEvSH_,@function
_ZN7rocprim17ROCPRIM_400000_NS6detail17trampoline_kernelINS0_14default_configENS1_38merge_sort_block_merge_config_selectorIllEEZZNS1_27merge_sort_block_merge_implIS3_PlN6thrust23THRUST_200600_302600_NS10device_ptrIlEEjNS1_19radix_merge_compareILb0ELb1ElNS0_19identity_decomposerEEEEE10hipError_tT0_T1_T2_jT3_P12ihipStream_tbPNSt15iterator_traitsISG_E10value_typeEPNSM_ISH_E10value_typeEPSI_NS1_7vsmem_tEENKUlT_SG_SH_SI_E_clIS7_S7_S7_SB_EESF_SV_SG_SH_SI_EUlSV_E_NS1_11comp_targetILNS1_3genE0ELNS1_11target_archE4294967295ELNS1_3gpuE0ELNS1_3repE0EEENS1_48merge_mergepath_partition_config_static_selectorELNS0_4arch9wavefront6targetE1EEEvSH_: ; @_ZN7rocprim17ROCPRIM_400000_NS6detail17trampoline_kernelINS0_14default_configENS1_38merge_sort_block_merge_config_selectorIllEEZZNS1_27merge_sort_block_merge_implIS3_PlN6thrust23THRUST_200600_302600_NS10device_ptrIlEEjNS1_19radix_merge_compareILb0ELb1ElNS0_19identity_decomposerEEEEE10hipError_tT0_T1_T2_jT3_P12ihipStream_tbPNSt15iterator_traitsISG_E10value_typeEPNSM_ISH_E10value_typeEPSI_NS1_7vsmem_tEENKUlT_SG_SH_SI_E_clIS7_S7_S7_SB_EESF_SV_SG_SH_SI_EUlSV_E_NS1_11comp_targetILNS1_3genE0ELNS1_11target_archE4294967295ELNS1_3gpuE0ELNS1_3repE0EEENS1_48merge_mergepath_partition_config_static_selectorELNS0_4arch9wavefront6targetE1EEEvSH_
; %bb.0:
	.section	.rodata,"a",@progbits
	.p2align	6, 0x0
	.amdhsa_kernel _ZN7rocprim17ROCPRIM_400000_NS6detail17trampoline_kernelINS0_14default_configENS1_38merge_sort_block_merge_config_selectorIllEEZZNS1_27merge_sort_block_merge_implIS3_PlN6thrust23THRUST_200600_302600_NS10device_ptrIlEEjNS1_19radix_merge_compareILb0ELb1ElNS0_19identity_decomposerEEEEE10hipError_tT0_T1_T2_jT3_P12ihipStream_tbPNSt15iterator_traitsISG_E10value_typeEPNSM_ISH_E10value_typeEPSI_NS1_7vsmem_tEENKUlT_SG_SH_SI_E_clIS7_S7_S7_SB_EESF_SV_SG_SH_SI_EUlSV_E_NS1_11comp_targetILNS1_3genE0ELNS1_11target_archE4294967295ELNS1_3gpuE0ELNS1_3repE0EEENS1_48merge_mergepath_partition_config_static_selectorELNS0_4arch9wavefront6targetE1EEEvSH_
		.amdhsa_group_segment_fixed_size 0
		.amdhsa_private_segment_fixed_size 0
		.amdhsa_kernarg_size 40
		.amdhsa_user_sgpr_count 6
		.amdhsa_user_sgpr_private_segment_buffer 1
		.amdhsa_user_sgpr_dispatch_ptr 0
		.amdhsa_user_sgpr_queue_ptr 0
		.amdhsa_user_sgpr_kernarg_segment_ptr 1
		.amdhsa_user_sgpr_dispatch_id 0
		.amdhsa_user_sgpr_flat_scratch_init 0
		.amdhsa_user_sgpr_private_segment_size 0
		.amdhsa_uses_dynamic_stack 0
		.amdhsa_system_sgpr_private_segment_wavefront_offset 0
		.amdhsa_system_sgpr_workgroup_id_x 1
		.amdhsa_system_sgpr_workgroup_id_y 0
		.amdhsa_system_sgpr_workgroup_id_z 0
		.amdhsa_system_sgpr_workgroup_info 0
		.amdhsa_system_vgpr_workitem_id 0
		.amdhsa_next_free_vgpr 1
		.amdhsa_next_free_sgpr 0
		.amdhsa_reserve_vcc 0
		.amdhsa_reserve_flat_scratch 0
		.amdhsa_float_round_mode_32 0
		.amdhsa_float_round_mode_16_64 0
		.amdhsa_float_denorm_mode_32 3
		.amdhsa_float_denorm_mode_16_64 3
		.amdhsa_dx10_clamp 1
		.amdhsa_ieee_mode 1
		.amdhsa_fp16_overflow 0
		.amdhsa_exception_fp_ieee_invalid_op 0
		.amdhsa_exception_fp_denorm_src 0
		.amdhsa_exception_fp_ieee_div_zero 0
		.amdhsa_exception_fp_ieee_overflow 0
		.amdhsa_exception_fp_ieee_underflow 0
		.amdhsa_exception_fp_ieee_inexact 0
		.amdhsa_exception_int_div_zero 0
	.end_amdhsa_kernel
	.section	.text._ZN7rocprim17ROCPRIM_400000_NS6detail17trampoline_kernelINS0_14default_configENS1_38merge_sort_block_merge_config_selectorIllEEZZNS1_27merge_sort_block_merge_implIS3_PlN6thrust23THRUST_200600_302600_NS10device_ptrIlEEjNS1_19radix_merge_compareILb0ELb1ElNS0_19identity_decomposerEEEEE10hipError_tT0_T1_T2_jT3_P12ihipStream_tbPNSt15iterator_traitsISG_E10value_typeEPNSM_ISH_E10value_typeEPSI_NS1_7vsmem_tEENKUlT_SG_SH_SI_E_clIS7_S7_S7_SB_EESF_SV_SG_SH_SI_EUlSV_E_NS1_11comp_targetILNS1_3genE0ELNS1_11target_archE4294967295ELNS1_3gpuE0ELNS1_3repE0EEENS1_48merge_mergepath_partition_config_static_selectorELNS0_4arch9wavefront6targetE1EEEvSH_,"axG",@progbits,_ZN7rocprim17ROCPRIM_400000_NS6detail17trampoline_kernelINS0_14default_configENS1_38merge_sort_block_merge_config_selectorIllEEZZNS1_27merge_sort_block_merge_implIS3_PlN6thrust23THRUST_200600_302600_NS10device_ptrIlEEjNS1_19radix_merge_compareILb0ELb1ElNS0_19identity_decomposerEEEEE10hipError_tT0_T1_T2_jT3_P12ihipStream_tbPNSt15iterator_traitsISG_E10value_typeEPNSM_ISH_E10value_typeEPSI_NS1_7vsmem_tEENKUlT_SG_SH_SI_E_clIS7_S7_S7_SB_EESF_SV_SG_SH_SI_EUlSV_E_NS1_11comp_targetILNS1_3genE0ELNS1_11target_archE4294967295ELNS1_3gpuE0ELNS1_3repE0EEENS1_48merge_mergepath_partition_config_static_selectorELNS0_4arch9wavefront6targetE1EEEvSH_,comdat
.Lfunc_end1066:
	.size	_ZN7rocprim17ROCPRIM_400000_NS6detail17trampoline_kernelINS0_14default_configENS1_38merge_sort_block_merge_config_selectorIllEEZZNS1_27merge_sort_block_merge_implIS3_PlN6thrust23THRUST_200600_302600_NS10device_ptrIlEEjNS1_19radix_merge_compareILb0ELb1ElNS0_19identity_decomposerEEEEE10hipError_tT0_T1_T2_jT3_P12ihipStream_tbPNSt15iterator_traitsISG_E10value_typeEPNSM_ISH_E10value_typeEPSI_NS1_7vsmem_tEENKUlT_SG_SH_SI_E_clIS7_S7_S7_SB_EESF_SV_SG_SH_SI_EUlSV_E_NS1_11comp_targetILNS1_3genE0ELNS1_11target_archE4294967295ELNS1_3gpuE0ELNS1_3repE0EEENS1_48merge_mergepath_partition_config_static_selectorELNS0_4arch9wavefront6targetE1EEEvSH_, .Lfunc_end1066-_ZN7rocprim17ROCPRIM_400000_NS6detail17trampoline_kernelINS0_14default_configENS1_38merge_sort_block_merge_config_selectorIllEEZZNS1_27merge_sort_block_merge_implIS3_PlN6thrust23THRUST_200600_302600_NS10device_ptrIlEEjNS1_19radix_merge_compareILb0ELb1ElNS0_19identity_decomposerEEEEE10hipError_tT0_T1_T2_jT3_P12ihipStream_tbPNSt15iterator_traitsISG_E10value_typeEPNSM_ISH_E10value_typeEPSI_NS1_7vsmem_tEENKUlT_SG_SH_SI_E_clIS7_S7_S7_SB_EESF_SV_SG_SH_SI_EUlSV_E_NS1_11comp_targetILNS1_3genE0ELNS1_11target_archE4294967295ELNS1_3gpuE0ELNS1_3repE0EEENS1_48merge_mergepath_partition_config_static_selectorELNS0_4arch9wavefront6targetE1EEEvSH_
                                        ; -- End function
	.set _ZN7rocprim17ROCPRIM_400000_NS6detail17trampoline_kernelINS0_14default_configENS1_38merge_sort_block_merge_config_selectorIllEEZZNS1_27merge_sort_block_merge_implIS3_PlN6thrust23THRUST_200600_302600_NS10device_ptrIlEEjNS1_19radix_merge_compareILb0ELb1ElNS0_19identity_decomposerEEEEE10hipError_tT0_T1_T2_jT3_P12ihipStream_tbPNSt15iterator_traitsISG_E10value_typeEPNSM_ISH_E10value_typeEPSI_NS1_7vsmem_tEENKUlT_SG_SH_SI_E_clIS7_S7_S7_SB_EESF_SV_SG_SH_SI_EUlSV_E_NS1_11comp_targetILNS1_3genE0ELNS1_11target_archE4294967295ELNS1_3gpuE0ELNS1_3repE0EEENS1_48merge_mergepath_partition_config_static_selectorELNS0_4arch9wavefront6targetE1EEEvSH_.num_vgpr, 0
	.set _ZN7rocprim17ROCPRIM_400000_NS6detail17trampoline_kernelINS0_14default_configENS1_38merge_sort_block_merge_config_selectorIllEEZZNS1_27merge_sort_block_merge_implIS3_PlN6thrust23THRUST_200600_302600_NS10device_ptrIlEEjNS1_19radix_merge_compareILb0ELb1ElNS0_19identity_decomposerEEEEE10hipError_tT0_T1_T2_jT3_P12ihipStream_tbPNSt15iterator_traitsISG_E10value_typeEPNSM_ISH_E10value_typeEPSI_NS1_7vsmem_tEENKUlT_SG_SH_SI_E_clIS7_S7_S7_SB_EESF_SV_SG_SH_SI_EUlSV_E_NS1_11comp_targetILNS1_3genE0ELNS1_11target_archE4294967295ELNS1_3gpuE0ELNS1_3repE0EEENS1_48merge_mergepath_partition_config_static_selectorELNS0_4arch9wavefront6targetE1EEEvSH_.num_agpr, 0
	.set _ZN7rocprim17ROCPRIM_400000_NS6detail17trampoline_kernelINS0_14default_configENS1_38merge_sort_block_merge_config_selectorIllEEZZNS1_27merge_sort_block_merge_implIS3_PlN6thrust23THRUST_200600_302600_NS10device_ptrIlEEjNS1_19radix_merge_compareILb0ELb1ElNS0_19identity_decomposerEEEEE10hipError_tT0_T1_T2_jT3_P12ihipStream_tbPNSt15iterator_traitsISG_E10value_typeEPNSM_ISH_E10value_typeEPSI_NS1_7vsmem_tEENKUlT_SG_SH_SI_E_clIS7_S7_S7_SB_EESF_SV_SG_SH_SI_EUlSV_E_NS1_11comp_targetILNS1_3genE0ELNS1_11target_archE4294967295ELNS1_3gpuE0ELNS1_3repE0EEENS1_48merge_mergepath_partition_config_static_selectorELNS0_4arch9wavefront6targetE1EEEvSH_.numbered_sgpr, 0
	.set _ZN7rocprim17ROCPRIM_400000_NS6detail17trampoline_kernelINS0_14default_configENS1_38merge_sort_block_merge_config_selectorIllEEZZNS1_27merge_sort_block_merge_implIS3_PlN6thrust23THRUST_200600_302600_NS10device_ptrIlEEjNS1_19radix_merge_compareILb0ELb1ElNS0_19identity_decomposerEEEEE10hipError_tT0_T1_T2_jT3_P12ihipStream_tbPNSt15iterator_traitsISG_E10value_typeEPNSM_ISH_E10value_typeEPSI_NS1_7vsmem_tEENKUlT_SG_SH_SI_E_clIS7_S7_S7_SB_EESF_SV_SG_SH_SI_EUlSV_E_NS1_11comp_targetILNS1_3genE0ELNS1_11target_archE4294967295ELNS1_3gpuE0ELNS1_3repE0EEENS1_48merge_mergepath_partition_config_static_selectorELNS0_4arch9wavefront6targetE1EEEvSH_.num_named_barrier, 0
	.set _ZN7rocprim17ROCPRIM_400000_NS6detail17trampoline_kernelINS0_14default_configENS1_38merge_sort_block_merge_config_selectorIllEEZZNS1_27merge_sort_block_merge_implIS3_PlN6thrust23THRUST_200600_302600_NS10device_ptrIlEEjNS1_19radix_merge_compareILb0ELb1ElNS0_19identity_decomposerEEEEE10hipError_tT0_T1_T2_jT3_P12ihipStream_tbPNSt15iterator_traitsISG_E10value_typeEPNSM_ISH_E10value_typeEPSI_NS1_7vsmem_tEENKUlT_SG_SH_SI_E_clIS7_S7_S7_SB_EESF_SV_SG_SH_SI_EUlSV_E_NS1_11comp_targetILNS1_3genE0ELNS1_11target_archE4294967295ELNS1_3gpuE0ELNS1_3repE0EEENS1_48merge_mergepath_partition_config_static_selectorELNS0_4arch9wavefront6targetE1EEEvSH_.private_seg_size, 0
	.set _ZN7rocprim17ROCPRIM_400000_NS6detail17trampoline_kernelINS0_14default_configENS1_38merge_sort_block_merge_config_selectorIllEEZZNS1_27merge_sort_block_merge_implIS3_PlN6thrust23THRUST_200600_302600_NS10device_ptrIlEEjNS1_19radix_merge_compareILb0ELb1ElNS0_19identity_decomposerEEEEE10hipError_tT0_T1_T2_jT3_P12ihipStream_tbPNSt15iterator_traitsISG_E10value_typeEPNSM_ISH_E10value_typeEPSI_NS1_7vsmem_tEENKUlT_SG_SH_SI_E_clIS7_S7_S7_SB_EESF_SV_SG_SH_SI_EUlSV_E_NS1_11comp_targetILNS1_3genE0ELNS1_11target_archE4294967295ELNS1_3gpuE0ELNS1_3repE0EEENS1_48merge_mergepath_partition_config_static_selectorELNS0_4arch9wavefront6targetE1EEEvSH_.uses_vcc, 0
	.set _ZN7rocprim17ROCPRIM_400000_NS6detail17trampoline_kernelINS0_14default_configENS1_38merge_sort_block_merge_config_selectorIllEEZZNS1_27merge_sort_block_merge_implIS3_PlN6thrust23THRUST_200600_302600_NS10device_ptrIlEEjNS1_19radix_merge_compareILb0ELb1ElNS0_19identity_decomposerEEEEE10hipError_tT0_T1_T2_jT3_P12ihipStream_tbPNSt15iterator_traitsISG_E10value_typeEPNSM_ISH_E10value_typeEPSI_NS1_7vsmem_tEENKUlT_SG_SH_SI_E_clIS7_S7_S7_SB_EESF_SV_SG_SH_SI_EUlSV_E_NS1_11comp_targetILNS1_3genE0ELNS1_11target_archE4294967295ELNS1_3gpuE0ELNS1_3repE0EEENS1_48merge_mergepath_partition_config_static_selectorELNS0_4arch9wavefront6targetE1EEEvSH_.uses_flat_scratch, 0
	.set _ZN7rocprim17ROCPRIM_400000_NS6detail17trampoline_kernelINS0_14default_configENS1_38merge_sort_block_merge_config_selectorIllEEZZNS1_27merge_sort_block_merge_implIS3_PlN6thrust23THRUST_200600_302600_NS10device_ptrIlEEjNS1_19radix_merge_compareILb0ELb1ElNS0_19identity_decomposerEEEEE10hipError_tT0_T1_T2_jT3_P12ihipStream_tbPNSt15iterator_traitsISG_E10value_typeEPNSM_ISH_E10value_typeEPSI_NS1_7vsmem_tEENKUlT_SG_SH_SI_E_clIS7_S7_S7_SB_EESF_SV_SG_SH_SI_EUlSV_E_NS1_11comp_targetILNS1_3genE0ELNS1_11target_archE4294967295ELNS1_3gpuE0ELNS1_3repE0EEENS1_48merge_mergepath_partition_config_static_selectorELNS0_4arch9wavefront6targetE1EEEvSH_.has_dyn_sized_stack, 0
	.set _ZN7rocprim17ROCPRIM_400000_NS6detail17trampoline_kernelINS0_14default_configENS1_38merge_sort_block_merge_config_selectorIllEEZZNS1_27merge_sort_block_merge_implIS3_PlN6thrust23THRUST_200600_302600_NS10device_ptrIlEEjNS1_19radix_merge_compareILb0ELb1ElNS0_19identity_decomposerEEEEE10hipError_tT0_T1_T2_jT3_P12ihipStream_tbPNSt15iterator_traitsISG_E10value_typeEPNSM_ISH_E10value_typeEPSI_NS1_7vsmem_tEENKUlT_SG_SH_SI_E_clIS7_S7_S7_SB_EESF_SV_SG_SH_SI_EUlSV_E_NS1_11comp_targetILNS1_3genE0ELNS1_11target_archE4294967295ELNS1_3gpuE0ELNS1_3repE0EEENS1_48merge_mergepath_partition_config_static_selectorELNS0_4arch9wavefront6targetE1EEEvSH_.has_recursion, 0
	.set _ZN7rocprim17ROCPRIM_400000_NS6detail17trampoline_kernelINS0_14default_configENS1_38merge_sort_block_merge_config_selectorIllEEZZNS1_27merge_sort_block_merge_implIS3_PlN6thrust23THRUST_200600_302600_NS10device_ptrIlEEjNS1_19radix_merge_compareILb0ELb1ElNS0_19identity_decomposerEEEEE10hipError_tT0_T1_T2_jT3_P12ihipStream_tbPNSt15iterator_traitsISG_E10value_typeEPNSM_ISH_E10value_typeEPSI_NS1_7vsmem_tEENKUlT_SG_SH_SI_E_clIS7_S7_S7_SB_EESF_SV_SG_SH_SI_EUlSV_E_NS1_11comp_targetILNS1_3genE0ELNS1_11target_archE4294967295ELNS1_3gpuE0ELNS1_3repE0EEENS1_48merge_mergepath_partition_config_static_selectorELNS0_4arch9wavefront6targetE1EEEvSH_.has_indirect_call, 0
	.section	.AMDGPU.csdata,"",@progbits
; Kernel info:
; codeLenInByte = 0
; TotalNumSgprs: 4
; NumVgprs: 0
; ScratchSize: 0
; MemoryBound: 0
; FloatMode: 240
; IeeeMode: 1
; LDSByteSize: 0 bytes/workgroup (compile time only)
; SGPRBlocks: 0
; VGPRBlocks: 0
; NumSGPRsForWavesPerEU: 4
; NumVGPRsForWavesPerEU: 1
; Occupancy: 10
; WaveLimiterHint : 0
; COMPUTE_PGM_RSRC2:SCRATCH_EN: 0
; COMPUTE_PGM_RSRC2:USER_SGPR: 6
; COMPUTE_PGM_RSRC2:TRAP_HANDLER: 0
; COMPUTE_PGM_RSRC2:TGID_X_EN: 1
; COMPUTE_PGM_RSRC2:TGID_Y_EN: 0
; COMPUTE_PGM_RSRC2:TGID_Z_EN: 0
; COMPUTE_PGM_RSRC2:TIDIG_COMP_CNT: 0
	.section	.text._ZN7rocprim17ROCPRIM_400000_NS6detail17trampoline_kernelINS0_14default_configENS1_38merge_sort_block_merge_config_selectorIllEEZZNS1_27merge_sort_block_merge_implIS3_PlN6thrust23THRUST_200600_302600_NS10device_ptrIlEEjNS1_19radix_merge_compareILb0ELb1ElNS0_19identity_decomposerEEEEE10hipError_tT0_T1_T2_jT3_P12ihipStream_tbPNSt15iterator_traitsISG_E10value_typeEPNSM_ISH_E10value_typeEPSI_NS1_7vsmem_tEENKUlT_SG_SH_SI_E_clIS7_S7_S7_SB_EESF_SV_SG_SH_SI_EUlSV_E_NS1_11comp_targetILNS1_3genE10ELNS1_11target_archE1201ELNS1_3gpuE5ELNS1_3repE0EEENS1_48merge_mergepath_partition_config_static_selectorELNS0_4arch9wavefront6targetE1EEEvSH_,"axG",@progbits,_ZN7rocprim17ROCPRIM_400000_NS6detail17trampoline_kernelINS0_14default_configENS1_38merge_sort_block_merge_config_selectorIllEEZZNS1_27merge_sort_block_merge_implIS3_PlN6thrust23THRUST_200600_302600_NS10device_ptrIlEEjNS1_19radix_merge_compareILb0ELb1ElNS0_19identity_decomposerEEEEE10hipError_tT0_T1_T2_jT3_P12ihipStream_tbPNSt15iterator_traitsISG_E10value_typeEPNSM_ISH_E10value_typeEPSI_NS1_7vsmem_tEENKUlT_SG_SH_SI_E_clIS7_S7_S7_SB_EESF_SV_SG_SH_SI_EUlSV_E_NS1_11comp_targetILNS1_3genE10ELNS1_11target_archE1201ELNS1_3gpuE5ELNS1_3repE0EEENS1_48merge_mergepath_partition_config_static_selectorELNS0_4arch9wavefront6targetE1EEEvSH_,comdat
	.protected	_ZN7rocprim17ROCPRIM_400000_NS6detail17trampoline_kernelINS0_14default_configENS1_38merge_sort_block_merge_config_selectorIllEEZZNS1_27merge_sort_block_merge_implIS3_PlN6thrust23THRUST_200600_302600_NS10device_ptrIlEEjNS1_19radix_merge_compareILb0ELb1ElNS0_19identity_decomposerEEEEE10hipError_tT0_T1_T2_jT3_P12ihipStream_tbPNSt15iterator_traitsISG_E10value_typeEPNSM_ISH_E10value_typeEPSI_NS1_7vsmem_tEENKUlT_SG_SH_SI_E_clIS7_S7_S7_SB_EESF_SV_SG_SH_SI_EUlSV_E_NS1_11comp_targetILNS1_3genE10ELNS1_11target_archE1201ELNS1_3gpuE5ELNS1_3repE0EEENS1_48merge_mergepath_partition_config_static_selectorELNS0_4arch9wavefront6targetE1EEEvSH_ ; -- Begin function _ZN7rocprim17ROCPRIM_400000_NS6detail17trampoline_kernelINS0_14default_configENS1_38merge_sort_block_merge_config_selectorIllEEZZNS1_27merge_sort_block_merge_implIS3_PlN6thrust23THRUST_200600_302600_NS10device_ptrIlEEjNS1_19radix_merge_compareILb0ELb1ElNS0_19identity_decomposerEEEEE10hipError_tT0_T1_T2_jT3_P12ihipStream_tbPNSt15iterator_traitsISG_E10value_typeEPNSM_ISH_E10value_typeEPSI_NS1_7vsmem_tEENKUlT_SG_SH_SI_E_clIS7_S7_S7_SB_EESF_SV_SG_SH_SI_EUlSV_E_NS1_11comp_targetILNS1_3genE10ELNS1_11target_archE1201ELNS1_3gpuE5ELNS1_3repE0EEENS1_48merge_mergepath_partition_config_static_selectorELNS0_4arch9wavefront6targetE1EEEvSH_
	.globl	_ZN7rocprim17ROCPRIM_400000_NS6detail17trampoline_kernelINS0_14default_configENS1_38merge_sort_block_merge_config_selectorIllEEZZNS1_27merge_sort_block_merge_implIS3_PlN6thrust23THRUST_200600_302600_NS10device_ptrIlEEjNS1_19radix_merge_compareILb0ELb1ElNS0_19identity_decomposerEEEEE10hipError_tT0_T1_T2_jT3_P12ihipStream_tbPNSt15iterator_traitsISG_E10value_typeEPNSM_ISH_E10value_typeEPSI_NS1_7vsmem_tEENKUlT_SG_SH_SI_E_clIS7_S7_S7_SB_EESF_SV_SG_SH_SI_EUlSV_E_NS1_11comp_targetILNS1_3genE10ELNS1_11target_archE1201ELNS1_3gpuE5ELNS1_3repE0EEENS1_48merge_mergepath_partition_config_static_selectorELNS0_4arch9wavefront6targetE1EEEvSH_
	.p2align	8
	.type	_ZN7rocprim17ROCPRIM_400000_NS6detail17trampoline_kernelINS0_14default_configENS1_38merge_sort_block_merge_config_selectorIllEEZZNS1_27merge_sort_block_merge_implIS3_PlN6thrust23THRUST_200600_302600_NS10device_ptrIlEEjNS1_19radix_merge_compareILb0ELb1ElNS0_19identity_decomposerEEEEE10hipError_tT0_T1_T2_jT3_P12ihipStream_tbPNSt15iterator_traitsISG_E10value_typeEPNSM_ISH_E10value_typeEPSI_NS1_7vsmem_tEENKUlT_SG_SH_SI_E_clIS7_S7_S7_SB_EESF_SV_SG_SH_SI_EUlSV_E_NS1_11comp_targetILNS1_3genE10ELNS1_11target_archE1201ELNS1_3gpuE5ELNS1_3repE0EEENS1_48merge_mergepath_partition_config_static_selectorELNS0_4arch9wavefront6targetE1EEEvSH_,@function
_ZN7rocprim17ROCPRIM_400000_NS6detail17trampoline_kernelINS0_14default_configENS1_38merge_sort_block_merge_config_selectorIllEEZZNS1_27merge_sort_block_merge_implIS3_PlN6thrust23THRUST_200600_302600_NS10device_ptrIlEEjNS1_19radix_merge_compareILb0ELb1ElNS0_19identity_decomposerEEEEE10hipError_tT0_T1_T2_jT3_P12ihipStream_tbPNSt15iterator_traitsISG_E10value_typeEPNSM_ISH_E10value_typeEPSI_NS1_7vsmem_tEENKUlT_SG_SH_SI_E_clIS7_S7_S7_SB_EESF_SV_SG_SH_SI_EUlSV_E_NS1_11comp_targetILNS1_3genE10ELNS1_11target_archE1201ELNS1_3gpuE5ELNS1_3repE0EEENS1_48merge_mergepath_partition_config_static_selectorELNS0_4arch9wavefront6targetE1EEEvSH_: ; @_ZN7rocprim17ROCPRIM_400000_NS6detail17trampoline_kernelINS0_14default_configENS1_38merge_sort_block_merge_config_selectorIllEEZZNS1_27merge_sort_block_merge_implIS3_PlN6thrust23THRUST_200600_302600_NS10device_ptrIlEEjNS1_19radix_merge_compareILb0ELb1ElNS0_19identity_decomposerEEEEE10hipError_tT0_T1_T2_jT3_P12ihipStream_tbPNSt15iterator_traitsISG_E10value_typeEPNSM_ISH_E10value_typeEPSI_NS1_7vsmem_tEENKUlT_SG_SH_SI_E_clIS7_S7_S7_SB_EESF_SV_SG_SH_SI_EUlSV_E_NS1_11comp_targetILNS1_3genE10ELNS1_11target_archE1201ELNS1_3gpuE5ELNS1_3repE0EEENS1_48merge_mergepath_partition_config_static_selectorELNS0_4arch9wavefront6targetE1EEEvSH_
; %bb.0:
	.section	.rodata,"a",@progbits
	.p2align	6, 0x0
	.amdhsa_kernel _ZN7rocprim17ROCPRIM_400000_NS6detail17trampoline_kernelINS0_14default_configENS1_38merge_sort_block_merge_config_selectorIllEEZZNS1_27merge_sort_block_merge_implIS3_PlN6thrust23THRUST_200600_302600_NS10device_ptrIlEEjNS1_19radix_merge_compareILb0ELb1ElNS0_19identity_decomposerEEEEE10hipError_tT0_T1_T2_jT3_P12ihipStream_tbPNSt15iterator_traitsISG_E10value_typeEPNSM_ISH_E10value_typeEPSI_NS1_7vsmem_tEENKUlT_SG_SH_SI_E_clIS7_S7_S7_SB_EESF_SV_SG_SH_SI_EUlSV_E_NS1_11comp_targetILNS1_3genE10ELNS1_11target_archE1201ELNS1_3gpuE5ELNS1_3repE0EEENS1_48merge_mergepath_partition_config_static_selectorELNS0_4arch9wavefront6targetE1EEEvSH_
		.amdhsa_group_segment_fixed_size 0
		.amdhsa_private_segment_fixed_size 0
		.amdhsa_kernarg_size 40
		.amdhsa_user_sgpr_count 6
		.amdhsa_user_sgpr_private_segment_buffer 1
		.amdhsa_user_sgpr_dispatch_ptr 0
		.amdhsa_user_sgpr_queue_ptr 0
		.amdhsa_user_sgpr_kernarg_segment_ptr 1
		.amdhsa_user_sgpr_dispatch_id 0
		.amdhsa_user_sgpr_flat_scratch_init 0
		.amdhsa_user_sgpr_private_segment_size 0
		.amdhsa_uses_dynamic_stack 0
		.amdhsa_system_sgpr_private_segment_wavefront_offset 0
		.amdhsa_system_sgpr_workgroup_id_x 1
		.amdhsa_system_sgpr_workgroup_id_y 0
		.amdhsa_system_sgpr_workgroup_id_z 0
		.amdhsa_system_sgpr_workgroup_info 0
		.amdhsa_system_vgpr_workitem_id 0
		.amdhsa_next_free_vgpr 1
		.amdhsa_next_free_sgpr 0
		.amdhsa_reserve_vcc 0
		.amdhsa_reserve_flat_scratch 0
		.amdhsa_float_round_mode_32 0
		.amdhsa_float_round_mode_16_64 0
		.amdhsa_float_denorm_mode_32 3
		.amdhsa_float_denorm_mode_16_64 3
		.amdhsa_dx10_clamp 1
		.amdhsa_ieee_mode 1
		.amdhsa_fp16_overflow 0
		.amdhsa_exception_fp_ieee_invalid_op 0
		.amdhsa_exception_fp_denorm_src 0
		.amdhsa_exception_fp_ieee_div_zero 0
		.amdhsa_exception_fp_ieee_overflow 0
		.amdhsa_exception_fp_ieee_underflow 0
		.amdhsa_exception_fp_ieee_inexact 0
		.amdhsa_exception_int_div_zero 0
	.end_amdhsa_kernel
	.section	.text._ZN7rocprim17ROCPRIM_400000_NS6detail17trampoline_kernelINS0_14default_configENS1_38merge_sort_block_merge_config_selectorIllEEZZNS1_27merge_sort_block_merge_implIS3_PlN6thrust23THRUST_200600_302600_NS10device_ptrIlEEjNS1_19radix_merge_compareILb0ELb1ElNS0_19identity_decomposerEEEEE10hipError_tT0_T1_T2_jT3_P12ihipStream_tbPNSt15iterator_traitsISG_E10value_typeEPNSM_ISH_E10value_typeEPSI_NS1_7vsmem_tEENKUlT_SG_SH_SI_E_clIS7_S7_S7_SB_EESF_SV_SG_SH_SI_EUlSV_E_NS1_11comp_targetILNS1_3genE10ELNS1_11target_archE1201ELNS1_3gpuE5ELNS1_3repE0EEENS1_48merge_mergepath_partition_config_static_selectorELNS0_4arch9wavefront6targetE1EEEvSH_,"axG",@progbits,_ZN7rocprim17ROCPRIM_400000_NS6detail17trampoline_kernelINS0_14default_configENS1_38merge_sort_block_merge_config_selectorIllEEZZNS1_27merge_sort_block_merge_implIS3_PlN6thrust23THRUST_200600_302600_NS10device_ptrIlEEjNS1_19radix_merge_compareILb0ELb1ElNS0_19identity_decomposerEEEEE10hipError_tT0_T1_T2_jT3_P12ihipStream_tbPNSt15iterator_traitsISG_E10value_typeEPNSM_ISH_E10value_typeEPSI_NS1_7vsmem_tEENKUlT_SG_SH_SI_E_clIS7_S7_S7_SB_EESF_SV_SG_SH_SI_EUlSV_E_NS1_11comp_targetILNS1_3genE10ELNS1_11target_archE1201ELNS1_3gpuE5ELNS1_3repE0EEENS1_48merge_mergepath_partition_config_static_selectorELNS0_4arch9wavefront6targetE1EEEvSH_,comdat
.Lfunc_end1067:
	.size	_ZN7rocprim17ROCPRIM_400000_NS6detail17trampoline_kernelINS0_14default_configENS1_38merge_sort_block_merge_config_selectorIllEEZZNS1_27merge_sort_block_merge_implIS3_PlN6thrust23THRUST_200600_302600_NS10device_ptrIlEEjNS1_19radix_merge_compareILb0ELb1ElNS0_19identity_decomposerEEEEE10hipError_tT0_T1_T2_jT3_P12ihipStream_tbPNSt15iterator_traitsISG_E10value_typeEPNSM_ISH_E10value_typeEPSI_NS1_7vsmem_tEENKUlT_SG_SH_SI_E_clIS7_S7_S7_SB_EESF_SV_SG_SH_SI_EUlSV_E_NS1_11comp_targetILNS1_3genE10ELNS1_11target_archE1201ELNS1_3gpuE5ELNS1_3repE0EEENS1_48merge_mergepath_partition_config_static_selectorELNS0_4arch9wavefront6targetE1EEEvSH_, .Lfunc_end1067-_ZN7rocprim17ROCPRIM_400000_NS6detail17trampoline_kernelINS0_14default_configENS1_38merge_sort_block_merge_config_selectorIllEEZZNS1_27merge_sort_block_merge_implIS3_PlN6thrust23THRUST_200600_302600_NS10device_ptrIlEEjNS1_19radix_merge_compareILb0ELb1ElNS0_19identity_decomposerEEEEE10hipError_tT0_T1_T2_jT3_P12ihipStream_tbPNSt15iterator_traitsISG_E10value_typeEPNSM_ISH_E10value_typeEPSI_NS1_7vsmem_tEENKUlT_SG_SH_SI_E_clIS7_S7_S7_SB_EESF_SV_SG_SH_SI_EUlSV_E_NS1_11comp_targetILNS1_3genE10ELNS1_11target_archE1201ELNS1_3gpuE5ELNS1_3repE0EEENS1_48merge_mergepath_partition_config_static_selectorELNS0_4arch9wavefront6targetE1EEEvSH_
                                        ; -- End function
	.set _ZN7rocprim17ROCPRIM_400000_NS6detail17trampoline_kernelINS0_14default_configENS1_38merge_sort_block_merge_config_selectorIllEEZZNS1_27merge_sort_block_merge_implIS3_PlN6thrust23THRUST_200600_302600_NS10device_ptrIlEEjNS1_19radix_merge_compareILb0ELb1ElNS0_19identity_decomposerEEEEE10hipError_tT0_T1_T2_jT3_P12ihipStream_tbPNSt15iterator_traitsISG_E10value_typeEPNSM_ISH_E10value_typeEPSI_NS1_7vsmem_tEENKUlT_SG_SH_SI_E_clIS7_S7_S7_SB_EESF_SV_SG_SH_SI_EUlSV_E_NS1_11comp_targetILNS1_3genE10ELNS1_11target_archE1201ELNS1_3gpuE5ELNS1_3repE0EEENS1_48merge_mergepath_partition_config_static_selectorELNS0_4arch9wavefront6targetE1EEEvSH_.num_vgpr, 0
	.set _ZN7rocprim17ROCPRIM_400000_NS6detail17trampoline_kernelINS0_14default_configENS1_38merge_sort_block_merge_config_selectorIllEEZZNS1_27merge_sort_block_merge_implIS3_PlN6thrust23THRUST_200600_302600_NS10device_ptrIlEEjNS1_19radix_merge_compareILb0ELb1ElNS0_19identity_decomposerEEEEE10hipError_tT0_T1_T2_jT3_P12ihipStream_tbPNSt15iterator_traitsISG_E10value_typeEPNSM_ISH_E10value_typeEPSI_NS1_7vsmem_tEENKUlT_SG_SH_SI_E_clIS7_S7_S7_SB_EESF_SV_SG_SH_SI_EUlSV_E_NS1_11comp_targetILNS1_3genE10ELNS1_11target_archE1201ELNS1_3gpuE5ELNS1_3repE0EEENS1_48merge_mergepath_partition_config_static_selectorELNS0_4arch9wavefront6targetE1EEEvSH_.num_agpr, 0
	.set _ZN7rocprim17ROCPRIM_400000_NS6detail17trampoline_kernelINS0_14default_configENS1_38merge_sort_block_merge_config_selectorIllEEZZNS1_27merge_sort_block_merge_implIS3_PlN6thrust23THRUST_200600_302600_NS10device_ptrIlEEjNS1_19radix_merge_compareILb0ELb1ElNS0_19identity_decomposerEEEEE10hipError_tT0_T1_T2_jT3_P12ihipStream_tbPNSt15iterator_traitsISG_E10value_typeEPNSM_ISH_E10value_typeEPSI_NS1_7vsmem_tEENKUlT_SG_SH_SI_E_clIS7_S7_S7_SB_EESF_SV_SG_SH_SI_EUlSV_E_NS1_11comp_targetILNS1_3genE10ELNS1_11target_archE1201ELNS1_3gpuE5ELNS1_3repE0EEENS1_48merge_mergepath_partition_config_static_selectorELNS0_4arch9wavefront6targetE1EEEvSH_.numbered_sgpr, 0
	.set _ZN7rocprim17ROCPRIM_400000_NS6detail17trampoline_kernelINS0_14default_configENS1_38merge_sort_block_merge_config_selectorIllEEZZNS1_27merge_sort_block_merge_implIS3_PlN6thrust23THRUST_200600_302600_NS10device_ptrIlEEjNS1_19radix_merge_compareILb0ELb1ElNS0_19identity_decomposerEEEEE10hipError_tT0_T1_T2_jT3_P12ihipStream_tbPNSt15iterator_traitsISG_E10value_typeEPNSM_ISH_E10value_typeEPSI_NS1_7vsmem_tEENKUlT_SG_SH_SI_E_clIS7_S7_S7_SB_EESF_SV_SG_SH_SI_EUlSV_E_NS1_11comp_targetILNS1_3genE10ELNS1_11target_archE1201ELNS1_3gpuE5ELNS1_3repE0EEENS1_48merge_mergepath_partition_config_static_selectorELNS0_4arch9wavefront6targetE1EEEvSH_.num_named_barrier, 0
	.set _ZN7rocprim17ROCPRIM_400000_NS6detail17trampoline_kernelINS0_14default_configENS1_38merge_sort_block_merge_config_selectorIllEEZZNS1_27merge_sort_block_merge_implIS3_PlN6thrust23THRUST_200600_302600_NS10device_ptrIlEEjNS1_19radix_merge_compareILb0ELb1ElNS0_19identity_decomposerEEEEE10hipError_tT0_T1_T2_jT3_P12ihipStream_tbPNSt15iterator_traitsISG_E10value_typeEPNSM_ISH_E10value_typeEPSI_NS1_7vsmem_tEENKUlT_SG_SH_SI_E_clIS7_S7_S7_SB_EESF_SV_SG_SH_SI_EUlSV_E_NS1_11comp_targetILNS1_3genE10ELNS1_11target_archE1201ELNS1_3gpuE5ELNS1_3repE0EEENS1_48merge_mergepath_partition_config_static_selectorELNS0_4arch9wavefront6targetE1EEEvSH_.private_seg_size, 0
	.set _ZN7rocprim17ROCPRIM_400000_NS6detail17trampoline_kernelINS0_14default_configENS1_38merge_sort_block_merge_config_selectorIllEEZZNS1_27merge_sort_block_merge_implIS3_PlN6thrust23THRUST_200600_302600_NS10device_ptrIlEEjNS1_19radix_merge_compareILb0ELb1ElNS0_19identity_decomposerEEEEE10hipError_tT0_T1_T2_jT3_P12ihipStream_tbPNSt15iterator_traitsISG_E10value_typeEPNSM_ISH_E10value_typeEPSI_NS1_7vsmem_tEENKUlT_SG_SH_SI_E_clIS7_S7_S7_SB_EESF_SV_SG_SH_SI_EUlSV_E_NS1_11comp_targetILNS1_3genE10ELNS1_11target_archE1201ELNS1_3gpuE5ELNS1_3repE0EEENS1_48merge_mergepath_partition_config_static_selectorELNS0_4arch9wavefront6targetE1EEEvSH_.uses_vcc, 0
	.set _ZN7rocprim17ROCPRIM_400000_NS6detail17trampoline_kernelINS0_14default_configENS1_38merge_sort_block_merge_config_selectorIllEEZZNS1_27merge_sort_block_merge_implIS3_PlN6thrust23THRUST_200600_302600_NS10device_ptrIlEEjNS1_19radix_merge_compareILb0ELb1ElNS0_19identity_decomposerEEEEE10hipError_tT0_T1_T2_jT3_P12ihipStream_tbPNSt15iterator_traitsISG_E10value_typeEPNSM_ISH_E10value_typeEPSI_NS1_7vsmem_tEENKUlT_SG_SH_SI_E_clIS7_S7_S7_SB_EESF_SV_SG_SH_SI_EUlSV_E_NS1_11comp_targetILNS1_3genE10ELNS1_11target_archE1201ELNS1_3gpuE5ELNS1_3repE0EEENS1_48merge_mergepath_partition_config_static_selectorELNS0_4arch9wavefront6targetE1EEEvSH_.uses_flat_scratch, 0
	.set _ZN7rocprim17ROCPRIM_400000_NS6detail17trampoline_kernelINS0_14default_configENS1_38merge_sort_block_merge_config_selectorIllEEZZNS1_27merge_sort_block_merge_implIS3_PlN6thrust23THRUST_200600_302600_NS10device_ptrIlEEjNS1_19radix_merge_compareILb0ELb1ElNS0_19identity_decomposerEEEEE10hipError_tT0_T1_T2_jT3_P12ihipStream_tbPNSt15iterator_traitsISG_E10value_typeEPNSM_ISH_E10value_typeEPSI_NS1_7vsmem_tEENKUlT_SG_SH_SI_E_clIS7_S7_S7_SB_EESF_SV_SG_SH_SI_EUlSV_E_NS1_11comp_targetILNS1_3genE10ELNS1_11target_archE1201ELNS1_3gpuE5ELNS1_3repE0EEENS1_48merge_mergepath_partition_config_static_selectorELNS0_4arch9wavefront6targetE1EEEvSH_.has_dyn_sized_stack, 0
	.set _ZN7rocprim17ROCPRIM_400000_NS6detail17trampoline_kernelINS0_14default_configENS1_38merge_sort_block_merge_config_selectorIllEEZZNS1_27merge_sort_block_merge_implIS3_PlN6thrust23THRUST_200600_302600_NS10device_ptrIlEEjNS1_19radix_merge_compareILb0ELb1ElNS0_19identity_decomposerEEEEE10hipError_tT0_T1_T2_jT3_P12ihipStream_tbPNSt15iterator_traitsISG_E10value_typeEPNSM_ISH_E10value_typeEPSI_NS1_7vsmem_tEENKUlT_SG_SH_SI_E_clIS7_S7_S7_SB_EESF_SV_SG_SH_SI_EUlSV_E_NS1_11comp_targetILNS1_3genE10ELNS1_11target_archE1201ELNS1_3gpuE5ELNS1_3repE0EEENS1_48merge_mergepath_partition_config_static_selectorELNS0_4arch9wavefront6targetE1EEEvSH_.has_recursion, 0
	.set _ZN7rocprim17ROCPRIM_400000_NS6detail17trampoline_kernelINS0_14default_configENS1_38merge_sort_block_merge_config_selectorIllEEZZNS1_27merge_sort_block_merge_implIS3_PlN6thrust23THRUST_200600_302600_NS10device_ptrIlEEjNS1_19radix_merge_compareILb0ELb1ElNS0_19identity_decomposerEEEEE10hipError_tT0_T1_T2_jT3_P12ihipStream_tbPNSt15iterator_traitsISG_E10value_typeEPNSM_ISH_E10value_typeEPSI_NS1_7vsmem_tEENKUlT_SG_SH_SI_E_clIS7_S7_S7_SB_EESF_SV_SG_SH_SI_EUlSV_E_NS1_11comp_targetILNS1_3genE10ELNS1_11target_archE1201ELNS1_3gpuE5ELNS1_3repE0EEENS1_48merge_mergepath_partition_config_static_selectorELNS0_4arch9wavefront6targetE1EEEvSH_.has_indirect_call, 0
	.section	.AMDGPU.csdata,"",@progbits
; Kernel info:
; codeLenInByte = 0
; TotalNumSgprs: 4
; NumVgprs: 0
; ScratchSize: 0
; MemoryBound: 0
; FloatMode: 240
; IeeeMode: 1
; LDSByteSize: 0 bytes/workgroup (compile time only)
; SGPRBlocks: 0
; VGPRBlocks: 0
; NumSGPRsForWavesPerEU: 4
; NumVGPRsForWavesPerEU: 1
; Occupancy: 10
; WaveLimiterHint : 0
; COMPUTE_PGM_RSRC2:SCRATCH_EN: 0
; COMPUTE_PGM_RSRC2:USER_SGPR: 6
; COMPUTE_PGM_RSRC2:TRAP_HANDLER: 0
; COMPUTE_PGM_RSRC2:TGID_X_EN: 1
; COMPUTE_PGM_RSRC2:TGID_Y_EN: 0
; COMPUTE_PGM_RSRC2:TGID_Z_EN: 0
; COMPUTE_PGM_RSRC2:TIDIG_COMP_CNT: 0
	.section	.text._ZN7rocprim17ROCPRIM_400000_NS6detail17trampoline_kernelINS0_14default_configENS1_38merge_sort_block_merge_config_selectorIllEEZZNS1_27merge_sort_block_merge_implIS3_PlN6thrust23THRUST_200600_302600_NS10device_ptrIlEEjNS1_19radix_merge_compareILb0ELb1ElNS0_19identity_decomposerEEEEE10hipError_tT0_T1_T2_jT3_P12ihipStream_tbPNSt15iterator_traitsISG_E10value_typeEPNSM_ISH_E10value_typeEPSI_NS1_7vsmem_tEENKUlT_SG_SH_SI_E_clIS7_S7_S7_SB_EESF_SV_SG_SH_SI_EUlSV_E_NS1_11comp_targetILNS1_3genE5ELNS1_11target_archE942ELNS1_3gpuE9ELNS1_3repE0EEENS1_48merge_mergepath_partition_config_static_selectorELNS0_4arch9wavefront6targetE1EEEvSH_,"axG",@progbits,_ZN7rocprim17ROCPRIM_400000_NS6detail17trampoline_kernelINS0_14default_configENS1_38merge_sort_block_merge_config_selectorIllEEZZNS1_27merge_sort_block_merge_implIS3_PlN6thrust23THRUST_200600_302600_NS10device_ptrIlEEjNS1_19radix_merge_compareILb0ELb1ElNS0_19identity_decomposerEEEEE10hipError_tT0_T1_T2_jT3_P12ihipStream_tbPNSt15iterator_traitsISG_E10value_typeEPNSM_ISH_E10value_typeEPSI_NS1_7vsmem_tEENKUlT_SG_SH_SI_E_clIS7_S7_S7_SB_EESF_SV_SG_SH_SI_EUlSV_E_NS1_11comp_targetILNS1_3genE5ELNS1_11target_archE942ELNS1_3gpuE9ELNS1_3repE0EEENS1_48merge_mergepath_partition_config_static_selectorELNS0_4arch9wavefront6targetE1EEEvSH_,comdat
	.protected	_ZN7rocprim17ROCPRIM_400000_NS6detail17trampoline_kernelINS0_14default_configENS1_38merge_sort_block_merge_config_selectorIllEEZZNS1_27merge_sort_block_merge_implIS3_PlN6thrust23THRUST_200600_302600_NS10device_ptrIlEEjNS1_19radix_merge_compareILb0ELb1ElNS0_19identity_decomposerEEEEE10hipError_tT0_T1_T2_jT3_P12ihipStream_tbPNSt15iterator_traitsISG_E10value_typeEPNSM_ISH_E10value_typeEPSI_NS1_7vsmem_tEENKUlT_SG_SH_SI_E_clIS7_S7_S7_SB_EESF_SV_SG_SH_SI_EUlSV_E_NS1_11comp_targetILNS1_3genE5ELNS1_11target_archE942ELNS1_3gpuE9ELNS1_3repE0EEENS1_48merge_mergepath_partition_config_static_selectorELNS0_4arch9wavefront6targetE1EEEvSH_ ; -- Begin function _ZN7rocprim17ROCPRIM_400000_NS6detail17trampoline_kernelINS0_14default_configENS1_38merge_sort_block_merge_config_selectorIllEEZZNS1_27merge_sort_block_merge_implIS3_PlN6thrust23THRUST_200600_302600_NS10device_ptrIlEEjNS1_19radix_merge_compareILb0ELb1ElNS0_19identity_decomposerEEEEE10hipError_tT0_T1_T2_jT3_P12ihipStream_tbPNSt15iterator_traitsISG_E10value_typeEPNSM_ISH_E10value_typeEPSI_NS1_7vsmem_tEENKUlT_SG_SH_SI_E_clIS7_S7_S7_SB_EESF_SV_SG_SH_SI_EUlSV_E_NS1_11comp_targetILNS1_3genE5ELNS1_11target_archE942ELNS1_3gpuE9ELNS1_3repE0EEENS1_48merge_mergepath_partition_config_static_selectorELNS0_4arch9wavefront6targetE1EEEvSH_
	.globl	_ZN7rocprim17ROCPRIM_400000_NS6detail17trampoline_kernelINS0_14default_configENS1_38merge_sort_block_merge_config_selectorIllEEZZNS1_27merge_sort_block_merge_implIS3_PlN6thrust23THRUST_200600_302600_NS10device_ptrIlEEjNS1_19radix_merge_compareILb0ELb1ElNS0_19identity_decomposerEEEEE10hipError_tT0_T1_T2_jT3_P12ihipStream_tbPNSt15iterator_traitsISG_E10value_typeEPNSM_ISH_E10value_typeEPSI_NS1_7vsmem_tEENKUlT_SG_SH_SI_E_clIS7_S7_S7_SB_EESF_SV_SG_SH_SI_EUlSV_E_NS1_11comp_targetILNS1_3genE5ELNS1_11target_archE942ELNS1_3gpuE9ELNS1_3repE0EEENS1_48merge_mergepath_partition_config_static_selectorELNS0_4arch9wavefront6targetE1EEEvSH_
	.p2align	8
	.type	_ZN7rocprim17ROCPRIM_400000_NS6detail17trampoline_kernelINS0_14default_configENS1_38merge_sort_block_merge_config_selectorIllEEZZNS1_27merge_sort_block_merge_implIS3_PlN6thrust23THRUST_200600_302600_NS10device_ptrIlEEjNS1_19radix_merge_compareILb0ELb1ElNS0_19identity_decomposerEEEEE10hipError_tT0_T1_T2_jT3_P12ihipStream_tbPNSt15iterator_traitsISG_E10value_typeEPNSM_ISH_E10value_typeEPSI_NS1_7vsmem_tEENKUlT_SG_SH_SI_E_clIS7_S7_S7_SB_EESF_SV_SG_SH_SI_EUlSV_E_NS1_11comp_targetILNS1_3genE5ELNS1_11target_archE942ELNS1_3gpuE9ELNS1_3repE0EEENS1_48merge_mergepath_partition_config_static_selectorELNS0_4arch9wavefront6targetE1EEEvSH_,@function
_ZN7rocprim17ROCPRIM_400000_NS6detail17trampoline_kernelINS0_14default_configENS1_38merge_sort_block_merge_config_selectorIllEEZZNS1_27merge_sort_block_merge_implIS3_PlN6thrust23THRUST_200600_302600_NS10device_ptrIlEEjNS1_19radix_merge_compareILb0ELb1ElNS0_19identity_decomposerEEEEE10hipError_tT0_T1_T2_jT3_P12ihipStream_tbPNSt15iterator_traitsISG_E10value_typeEPNSM_ISH_E10value_typeEPSI_NS1_7vsmem_tEENKUlT_SG_SH_SI_E_clIS7_S7_S7_SB_EESF_SV_SG_SH_SI_EUlSV_E_NS1_11comp_targetILNS1_3genE5ELNS1_11target_archE942ELNS1_3gpuE9ELNS1_3repE0EEENS1_48merge_mergepath_partition_config_static_selectorELNS0_4arch9wavefront6targetE1EEEvSH_: ; @_ZN7rocprim17ROCPRIM_400000_NS6detail17trampoline_kernelINS0_14default_configENS1_38merge_sort_block_merge_config_selectorIllEEZZNS1_27merge_sort_block_merge_implIS3_PlN6thrust23THRUST_200600_302600_NS10device_ptrIlEEjNS1_19radix_merge_compareILb0ELb1ElNS0_19identity_decomposerEEEEE10hipError_tT0_T1_T2_jT3_P12ihipStream_tbPNSt15iterator_traitsISG_E10value_typeEPNSM_ISH_E10value_typeEPSI_NS1_7vsmem_tEENKUlT_SG_SH_SI_E_clIS7_S7_S7_SB_EESF_SV_SG_SH_SI_EUlSV_E_NS1_11comp_targetILNS1_3genE5ELNS1_11target_archE942ELNS1_3gpuE9ELNS1_3repE0EEENS1_48merge_mergepath_partition_config_static_selectorELNS0_4arch9wavefront6targetE1EEEvSH_
; %bb.0:
	.section	.rodata,"a",@progbits
	.p2align	6, 0x0
	.amdhsa_kernel _ZN7rocprim17ROCPRIM_400000_NS6detail17trampoline_kernelINS0_14default_configENS1_38merge_sort_block_merge_config_selectorIllEEZZNS1_27merge_sort_block_merge_implIS3_PlN6thrust23THRUST_200600_302600_NS10device_ptrIlEEjNS1_19radix_merge_compareILb0ELb1ElNS0_19identity_decomposerEEEEE10hipError_tT0_T1_T2_jT3_P12ihipStream_tbPNSt15iterator_traitsISG_E10value_typeEPNSM_ISH_E10value_typeEPSI_NS1_7vsmem_tEENKUlT_SG_SH_SI_E_clIS7_S7_S7_SB_EESF_SV_SG_SH_SI_EUlSV_E_NS1_11comp_targetILNS1_3genE5ELNS1_11target_archE942ELNS1_3gpuE9ELNS1_3repE0EEENS1_48merge_mergepath_partition_config_static_selectorELNS0_4arch9wavefront6targetE1EEEvSH_
		.amdhsa_group_segment_fixed_size 0
		.amdhsa_private_segment_fixed_size 0
		.amdhsa_kernarg_size 40
		.amdhsa_user_sgpr_count 6
		.amdhsa_user_sgpr_private_segment_buffer 1
		.amdhsa_user_sgpr_dispatch_ptr 0
		.amdhsa_user_sgpr_queue_ptr 0
		.amdhsa_user_sgpr_kernarg_segment_ptr 1
		.amdhsa_user_sgpr_dispatch_id 0
		.amdhsa_user_sgpr_flat_scratch_init 0
		.amdhsa_user_sgpr_private_segment_size 0
		.amdhsa_uses_dynamic_stack 0
		.amdhsa_system_sgpr_private_segment_wavefront_offset 0
		.amdhsa_system_sgpr_workgroup_id_x 1
		.amdhsa_system_sgpr_workgroup_id_y 0
		.amdhsa_system_sgpr_workgroup_id_z 0
		.amdhsa_system_sgpr_workgroup_info 0
		.amdhsa_system_vgpr_workitem_id 0
		.amdhsa_next_free_vgpr 1
		.amdhsa_next_free_sgpr 0
		.amdhsa_reserve_vcc 0
		.amdhsa_reserve_flat_scratch 0
		.amdhsa_float_round_mode_32 0
		.amdhsa_float_round_mode_16_64 0
		.amdhsa_float_denorm_mode_32 3
		.amdhsa_float_denorm_mode_16_64 3
		.amdhsa_dx10_clamp 1
		.amdhsa_ieee_mode 1
		.amdhsa_fp16_overflow 0
		.amdhsa_exception_fp_ieee_invalid_op 0
		.amdhsa_exception_fp_denorm_src 0
		.amdhsa_exception_fp_ieee_div_zero 0
		.amdhsa_exception_fp_ieee_overflow 0
		.amdhsa_exception_fp_ieee_underflow 0
		.amdhsa_exception_fp_ieee_inexact 0
		.amdhsa_exception_int_div_zero 0
	.end_amdhsa_kernel
	.section	.text._ZN7rocprim17ROCPRIM_400000_NS6detail17trampoline_kernelINS0_14default_configENS1_38merge_sort_block_merge_config_selectorIllEEZZNS1_27merge_sort_block_merge_implIS3_PlN6thrust23THRUST_200600_302600_NS10device_ptrIlEEjNS1_19radix_merge_compareILb0ELb1ElNS0_19identity_decomposerEEEEE10hipError_tT0_T1_T2_jT3_P12ihipStream_tbPNSt15iterator_traitsISG_E10value_typeEPNSM_ISH_E10value_typeEPSI_NS1_7vsmem_tEENKUlT_SG_SH_SI_E_clIS7_S7_S7_SB_EESF_SV_SG_SH_SI_EUlSV_E_NS1_11comp_targetILNS1_3genE5ELNS1_11target_archE942ELNS1_3gpuE9ELNS1_3repE0EEENS1_48merge_mergepath_partition_config_static_selectorELNS0_4arch9wavefront6targetE1EEEvSH_,"axG",@progbits,_ZN7rocprim17ROCPRIM_400000_NS6detail17trampoline_kernelINS0_14default_configENS1_38merge_sort_block_merge_config_selectorIllEEZZNS1_27merge_sort_block_merge_implIS3_PlN6thrust23THRUST_200600_302600_NS10device_ptrIlEEjNS1_19radix_merge_compareILb0ELb1ElNS0_19identity_decomposerEEEEE10hipError_tT0_T1_T2_jT3_P12ihipStream_tbPNSt15iterator_traitsISG_E10value_typeEPNSM_ISH_E10value_typeEPSI_NS1_7vsmem_tEENKUlT_SG_SH_SI_E_clIS7_S7_S7_SB_EESF_SV_SG_SH_SI_EUlSV_E_NS1_11comp_targetILNS1_3genE5ELNS1_11target_archE942ELNS1_3gpuE9ELNS1_3repE0EEENS1_48merge_mergepath_partition_config_static_selectorELNS0_4arch9wavefront6targetE1EEEvSH_,comdat
.Lfunc_end1068:
	.size	_ZN7rocprim17ROCPRIM_400000_NS6detail17trampoline_kernelINS0_14default_configENS1_38merge_sort_block_merge_config_selectorIllEEZZNS1_27merge_sort_block_merge_implIS3_PlN6thrust23THRUST_200600_302600_NS10device_ptrIlEEjNS1_19radix_merge_compareILb0ELb1ElNS0_19identity_decomposerEEEEE10hipError_tT0_T1_T2_jT3_P12ihipStream_tbPNSt15iterator_traitsISG_E10value_typeEPNSM_ISH_E10value_typeEPSI_NS1_7vsmem_tEENKUlT_SG_SH_SI_E_clIS7_S7_S7_SB_EESF_SV_SG_SH_SI_EUlSV_E_NS1_11comp_targetILNS1_3genE5ELNS1_11target_archE942ELNS1_3gpuE9ELNS1_3repE0EEENS1_48merge_mergepath_partition_config_static_selectorELNS0_4arch9wavefront6targetE1EEEvSH_, .Lfunc_end1068-_ZN7rocprim17ROCPRIM_400000_NS6detail17trampoline_kernelINS0_14default_configENS1_38merge_sort_block_merge_config_selectorIllEEZZNS1_27merge_sort_block_merge_implIS3_PlN6thrust23THRUST_200600_302600_NS10device_ptrIlEEjNS1_19radix_merge_compareILb0ELb1ElNS0_19identity_decomposerEEEEE10hipError_tT0_T1_T2_jT3_P12ihipStream_tbPNSt15iterator_traitsISG_E10value_typeEPNSM_ISH_E10value_typeEPSI_NS1_7vsmem_tEENKUlT_SG_SH_SI_E_clIS7_S7_S7_SB_EESF_SV_SG_SH_SI_EUlSV_E_NS1_11comp_targetILNS1_3genE5ELNS1_11target_archE942ELNS1_3gpuE9ELNS1_3repE0EEENS1_48merge_mergepath_partition_config_static_selectorELNS0_4arch9wavefront6targetE1EEEvSH_
                                        ; -- End function
	.set _ZN7rocprim17ROCPRIM_400000_NS6detail17trampoline_kernelINS0_14default_configENS1_38merge_sort_block_merge_config_selectorIllEEZZNS1_27merge_sort_block_merge_implIS3_PlN6thrust23THRUST_200600_302600_NS10device_ptrIlEEjNS1_19radix_merge_compareILb0ELb1ElNS0_19identity_decomposerEEEEE10hipError_tT0_T1_T2_jT3_P12ihipStream_tbPNSt15iterator_traitsISG_E10value_typeEPNSM_ISH_E10value_typeEPSI_NS1_7vsmem_tEENKUlT_SG_SH_SI_E_clIS7_S7_S7_SB_EESF_SV_SG_SH_SI_EUlSV_E_NS1_11comp_targetILNS1_3genE5ELNS1_11target_archE942ELNS1_3gpuE9ELNS1_3repE0EEENS1_48merge_mergepath_partition_config_static_selectorELNS0_4arch9wavefront6targetE1EEEvSH_.num_vgpr, 0
	.set _ZN7rocprim17ROCPRIM_400000_NS6detail17trampoline_kernelINS0_14default_configENS1_38merge_sort_block_merge_config_selectorIllEEZZNS1_27merge_sort_block_merge_implIS3_PlN6thrust23THRUST_200600_302600_NS10device_ptrIlEEjNS1_19radix_merge_compareILb0ELb1ElNS0_19identity_decomposerEEEEE10hipError_tT0_T1_T2_jT3_P12ihipStream_tbPNSt15iterator_traitsISG_E10value_typeEPNSM_ISH_E10value_typeEPSI_NS1_7vsmem_tEENKUlT_SG_SH_SI_E_clIS7_S7_S7_SB_EESF_SV_SG_SH_SI_EUlSV_E_NS1_11comp_targetILNS1_3genE5ELNS1_11target_archE942ELNS1_3gpuE9ELNS1_3repE0EEENS1_48merge_mergepath_partition_config_static_selectorELNS0_4arch9wavefront6targetE1EEEvSH_.num_agpr, 0
	.set _ZN7rocprim17ROCPRIM_400000_NS6detail17trampoline_kernelINS0_14default_configENS1_38merge_sort_block_merge_config_selectorIllEEZZNS1_27merge_sort_block_merge_implIS3_PlN6thrust23THRUST_200600_302600_NS10device_ptrIlEEjNS1_19radix_merge_compareILb0ELb1ElNS0_19identity_decomposerEEEEE10hipError_tT0_T1_T2_jT3_P12ihipStream_tbPNSt15iterator_traitsISG_E10value_typeEPNSM_ISH_E10value_typeEPSI_NS1_7vsmem_tEENKUlT_SG_SH_SI_E_clIS7_S7_S7_SB_EESF_SV_SG_SH_SI_EUlSV_E_NS1_11comp_targetILNS1_3genE5ELNS1_11target_archE942ELNS1_3gpuE9ELNS1_3repE0EEENS1_48merge_mergepath_partition_config_static_selectorELNS0_4arch9wavefront6targetE1EEEvSH_.numbered_sgpr, 0
	.set _ZN7rocprim17ROCPRIM_400000_NS6detail17trampoline_kernelINS0_14default_configENS1_38merge_sort_block_merge_config_selectorIllEEZZNS1_27merge_sort_block_merge_implIS3_PlN6thrust23THRUST_200600_302600_NS10device_ptrIlEEjNS1_19radix_merge_compareILb0ELb1ElNS0_19identity_decomposerEEEEE10hipError_tT0_T1_T2_jT3_P12ihipStream_tbPNSt15iterator_traitsISG_E10value_typeEPNSM_ISH_E10value_typeEPSI_NS1_7vsmem_tEENKUlT_SG_SH_SI_E_clIS7_S7_S7_SB_EESF_SV_SG_SH_SI_EUlSV_E_NS1_11comp_targetILNS1_3genE5ELNS1_11target_archE942ELNS1_3gpuE9ELNS1_3repE0EEENS1_48merge_mergepath_partition_config_static_selectorELNS0_4arch9wavefront6targetE1EEEvSH_.num_named_barrier, 0
	.set _ZN7rocprim17ROCPRIM_400000_NS6detail17trampoline_kernelINS0_14default_configENS1_38merge_sort_block_merge_config_selectorIllEEZZNS1_27merge_sort_block_merge_implIS3_PlN6thrust23THRUST_200600_302600_NS10device_ptrIlEEjNS1_19radix_merge_compareILb0ELb1ElNS0_19identity_decomposerEEEEE10hipError_tT0_T1_T2_jT3_P12ihipStream_tbPNSt15iterator_traitsISG_E10value_typeEPNSM_ISH_E10value_typeEPSI_NS1_7vsmem_tEENKUlT_SG_SH_SI_E_clIS7_S7_S7_SB_EESF_SV_SG_SH_SI_EUlSV_E_NS1_11comp_targetILNS1_3genE5ELNS1_11target_archE942ELNS1_3gpuE9ELNS1_3repE0EEENS1_48merge_mergepath_partition_config_static_selectorELNS0_4arch9wavefront6targetE1EEEvSH_.private_seg_size, 0
	.set _ZN7rocprim17ROCPRIM_400000_NS6detail17trampoline_kernelINS0_14default_configENS1_38merge_sort_block_merge_config_selectorIllEEZZNS1_27merge_sort_block_merge_implIS3_PlN6thrust23THRUST_200600_302600_NS10device_ptrIlEEjNS1_19radix_merge_compareILb0ELb1ElNS0_19identity_decomposerEEEEE10hipError_tT0_T1_T2_jT3_P12ihipStream_tbPNSt15iterator_traitsISG_E10value_typeEPNSM_ISH_E10value_typeEPSI_NS1_7vsmem_tEENKUlT_SG_SH_SI_E_clIS7_S7_S7_SB_EESF_SV_SG_SH_SI_EUlSV_E_NS1_11comp_targetILNS1_3genE5ELNS1_11target_archE942ELNS1_3gpuE9ELNS1_3repE0EEENS1_48merge_mergepath_partition_config_static_selectorELNS0_4arch9wavefront6targetE1EEEvSH_.uses_vcc, 0
	.set _ZN7rocprim17ROCPRIM_400000_NS6detail17trampoline_kernelINS0_14default_configENS1_38merge_sort_block_merge_config_selectorIllEEZZNS1_27merge_sort_block_merge_implIS3_PlN6thrust23THRUST_200600_302600_NS10device_ptrIlEEjNS1_19radix_merge_compareILb0ELb1ElNS0_19identity_decomposerEEEEE10hipError_tT0_T1_T2_jT3_P12ihipStream_tbPNSt15iterator_traitsISG_E10value_typeEPNSM_ISH_E10value_typeEPSI_NS1_7vsmem_tEENKUlT_SG_SH_SI_E_clIS7_S7_S7_SB_EESF_SV_SG_SH_SI_EUlSV_E_NS1_11comp_targetILNS1_3genE5ELNS1_11target_archE942ELNS1_3gpuE9ELNS1_3repE0EEENS1_48merge_mergepath_partition_config_static_selectorELNS0_4arch9wavefront6targetE1EEEvSH_.uses_flat_scratch, 0
	.set _ZN7rocprim17ROCPRIM_400000_NS6detail17trampoline_kernelINS0_14default_configENS1_38merge_sort_block_merge_config_selectorIllEEZZNS1_27merge_sort_block_merge_implIS3_PlN6thrust23THRUST_200600_302600_NS10device_ptrIlEEjNS1_19radix_merge_compareILb0ELb1ElNS0_19identity_decomposerEEEEE10hipError_tT0_T1_T2_jT3_P12ihipStream_tbPNSt15iterator_traitsISG_E10value_typeEPNSM_ISH_E10value_typeEPSI_NS1_7vsmem_tEENKUlT_SG_SH_SI_E_clIS7_S7_S7_SB_EESF_SV_SG_SH_SI_EUlSV_E_NS1_11comp_targetILNS1_3genE5ELNS1_11target_archE942ELNS1_3gpuE9ELNS1_3repE0EEENS1_48merge_mergepath_partition_config_static_selectorELNS0_4arch9wavefront6targetE1EEEvSH_.has_dyn_sized_stack, 0
	.set _ZN7rocprim17ROCPRIM_400000_NS6detail17trampoline_kernelINS0_14default_configENS1_38merge_sort_block_merge_config_selectorIllEEZZNS1_27merge_sort_block_merge_implIS3_PlN6thrust23THRUST_200600_302600_NS10device_ptrIlEEjNS1_19radix_merge_compareILb0ELb1ElNS0_19identity_decomposerEEEEE10hipError_tT0_T1_T2_jT3_P12ihipStream_tbPNSt15iterator_traitsISG_E10value_typeEPNSM_ISH_E10value_typeEPSI_NS1_7vsmem_tEENKUlT_SG_SH_SI_E_clIS7_S7_S7_SB_EESF_SV_SG_SH_SI_EUlSV_E_NS1_11comp_targetILNS1_3genE5ELNS1_11target_archE942ELNS1_3gpuE9ELNS1_3repE0EEENS1_48merge_mergepath_partition_config_static_selectorELNS0_4arch9wavefront6targetE1EEEvSH_.has_recursion, 0
	.set _ZN7rocprim17ROCPRIM_400000_NS6detail17trampoline_kernelINS0_14default_configENS1_38merge_sort_block_merge_config_selectorIllEEZZNS1_27merge_sort_block_merge_implIS3_PlN6thrust23THRUST_200600_302600_NS10device_ptrIlEEjNS1_19radix_merge_compareILb0ELb1ElNS0_19identity_decomposerEEEEE10hipError_tT0_T1_T2_jT3_P12ihipStream_tbPNSt15iterator_traitsISG_E10value_typeEPNSM_ISH_E10value_typeEPSI_NS1_7vsmem_tEENKUlT_SG_SH_SI_E_clIS7_S7_S7_SB_EESF_SV_SG_SH_SI_EUlSV_E_NS1_11comp_targetILNS1_3genE5ELNS1_11target_archE942ELNS1_3gpuE9ELNS1_3repE0EEENS1_48merge_mergepath_partition_config_static_selectorELNS0_4arch9wavefront6targetE1EEEvSH_.has_indirect_call, 0
	.section	.AMDGPU.csdata,"",@progbits
; Kernel info:
; codeLenInByte = 0
; TotalNumSgprs: 4
; NumVgprs: 0
; ScratchSize: 0
; MemoryBound: 0
; FloatMode: 240
; IeeeMode: 1
; LDSByteSize: 0 bytes/workgroup (compile time only)
; SGPRBlocks: 0
; VGPRBlocks: 0
; NumSGPRsForWavesPerEU: 4
; NumVGPRsForWavesPerEU: 1
; Occupancy: 10
; WaveLimiterHint : 0
; COMPUTE_PGM_RSRC2:SCRATCH_EN: 0
; COMPUTE_PGM_RSRC2:USER_SGPR: 6
; COMPUTE_PGM_RSRC2:TRAP_HANDLER: 0
; COMPUTE_PGM_RSRC2:TGID_X_EN: 1
; COMPUTE_PGM_RSRC2:TGID_Y_EN: 0
; COMPUTE_PGM_RSRC2:TGID_Z_EN: 0
; COMPUTE_PGM_RSRC2:TIDIG_COMP_CNT: 0
	.section	.text._ZN7rocprim17ROCPRIM_400000_NS6detail17trampoline_kernelINS0_14default_configENS1_38merge_sort_block_merge_config_selectorIllEEZZNS1_27merge_sort_block_merge_implIS3_PlN6thrust23THRUST_200600_302600_NS10device_ptrIlEEjNS1_19radix_merge_compareILb0ELb1ElNS0_19identity_decomposerEEEEE10hipError_tT0_T1_T2_jT3_P12ihipStream_tbPNSt15iterator_traitsISG_E10value_typeEPNSM_ISH_E10value_typeEPSI_NS1_7vsmem_tEENKUlT_SG_SH_SI_E_clIS7_S7_S7_SB_EESF_SV_SG_SH_SI_EUlSV_E_NS1_11comp_targetILNS1_3genE4ELNS1_11target_archE910ELNS1_3gpuE8ELNS1_3repE0EEENS1_48merge_mergepath_partition_config_static_selectorELNS0_4arch9wavefront6targetE1EEEvSH_,"axG",@progbits,_ZN7rocprim17ROCPRIM_400000_NS6detail17trampoline_kernelINS0_14default_configENS1_38merge_sort_block_merge_config_selectorIllEEZZNS1_27merge_sort_block_merge_implIS3_PlN6thrust23THRUST_200600_302600_NS10device_ptrIlEEjNS1_19radix_merge_compareILb0ELb1ElNS0_19identity_decomposerEEEEE10hipError_tT0_T1_T2_jT3_P12ihipStream_tbPNSt15iterator_traitsISG_E10value_typeEPNSM_ISH_E10value_typeEPSI_NS1_7vsmem_tEENKUlT_SG_SH_SI_E_clIS7_S7_S7_SB_EESF_SV_SG_SH_SI_EUlSV_E_NS1_11comp_targetILNS1_3genE4ELNS1_11target_archE910ELNS1_3gpuE8ELNS1_3repE0EEENS1_48merge_mergepath_partition_config_static_selectorELNS0_4arch9wavefront6targetE1EEEvSH_,comdat
	.protected	_ZN7rocprim17ROCPRIM_400000_NS6detail17trampoline_kernelINS0_14default_configENS1_38merge_sort_block_merge_config_selectorIllEEZZNS1_27merge_sort_block_merge_implIS3_PlN6thrust23THRUST_200600_302600_NS10device_ptrIlEEjNS1_19radix_merge_compareILb0ELb1ElNS0_19identity_decomposerEEEEE10hipError_tT0_T1_T2_jT3_P12ihipStream_tbPNSt15iterator_traitsISG_E10value_typeEPNSM_ISH_E10value_typeEPSI_NS1_7vsmem_tEENKUlT_SG_SH_SI_E_clIS7_S7_S7_SB_EESF_SV_SG_SH_SI_EUlSV_E_NS1_11comp_targetILNS1_3genE4ELNS1_11target_archE910ELNS1_3gpuE8ELNS1_3repE0EEENS1_48merge_mergepath_partition_config_static_selectorELNS0_4arch9wavefront6targetE1EEEvSH_ ; -- Begin function _ZN7rocprim17ROCPRIM_400000_NS6detail17trampoline_kernelINS0_14default_configENS1_38merge_sort_block_merge_config_selectorIllEEZZNS1_27merge_sort_block_merge_implIS3_PlN6thrust23THRUST_200600_302600_NS10device_ptrIlEEjNS1_19radix_merge_compareILb0ELb1ElNS0_19identity_decomposerEEEEE10hipError_tT0_T1_T2_jT3_P12ihipStream_tbPNSt15iterator_traitsISG_E10value_typeEPNSM_ISH_E10value_typeEPSI_NS1_7vsmem_tEENKUlT_SG_SH_SI_E_clIS7_S7_S7_SB_EESF_SV_SG_SH_SI_EUlSV_E_NS1_11comp_targetILNS1_3genE4ELNS1_11target_archE910ELNS1_3gpuE8ELNS1_3repE0EEENS1_48merge_mergepath_partition_config_static_selectorELNS0_4arch9wavefront6targetE1EEEvSH_
	.globl	_ZN7rocprim17ROCPRIM_400000_NS6detail17trampoline_kernelINS0_14default_configENS1_38merge_sort_block_merge_config_selectorIllEEZZNS1_27merge_sort_block_merge_implIS3_PlN6thrust23THRUST_200600_302600_NS10device_ptrIlEEjNS1_19radix_merge_compareILb0ELb1ElNS0_19identity_decomposerEEEEE10hipError_tT0_T1_T2_jT3_P12ihipStream_tbPNSt15iterator_traitsISG_E10value_typeEPNSM_ISH_E10value_typeEPSI_NS1_7vsmem_tEENKUlT_SG_SH_SI_E_clIS7_S7_S7_SB_EESF_SV_SG_SH_SI_EUlSV_E_NS1_11comp_targetILNS1_3genE4ELNS1_11target_archE910ELNS1_3gpuE8ELNS1_3repE0EEENS1_48merge_mergepath_partition_config_static_selectorELNS0_4arch9wavefront6targetE1EEEvSH_
	.p2align	8
	.type	_ZN7rocprim17ROCPRIM_400000_NS6detail17trampoline_kernelINS0_14default_configENS1_38merge_sort_block_merge_config_selectorIllEEZZNS1_27merge_sort_block_merge_implIS3_PlN6thrust23THRUST_200600_302600_NS10device_ptrIlEEjNS1_19radix_merge_compareILb0ELb1ElNS0_19identity_decomposerEEEEE10hipError_tT0_T1_T2_jT3_P12ihipStream_tbPNSt15iterator_traitsISG_E10value_typeEPNSM_ISH_E10value_typeEPSI_NS1_7vsmem_tEENKUlT_SG_SH_SI_E_clIS7_S7_S7_SB_EESF_SV_SG_SH_SI_EUlSV_E_NS1_11comp_targetILNS1_3genE4ELNS1_11target_archE910ELNS1_3gpuE8ELNS1_3repE0EEENS1_48merge_mergepath_partition_config_static_selectorELNS0_4arch9wavefront6targetE1EEEvSH_,@function
_ZN7rocprim17ROCPRIM_400000_NS6detail17trampoline_kernelINS0_14default_configENS1_38merge_sort_block_merge_config_selectorIllEEZZNS1_27merge_sort_block_merge_implIS3_PlN6thrust23THRUST_200600_302600_NS10device_ptrIlEEjNS1_19radix_merge_compareILb0ELb1ElNS0_19identity_decomposerEEEEE10hipError_tT0_T1_T2_jT3_P12ihipStream_tbPNSt15iterator_traitsISG_E10value_typeEPNSM_ISH_E10value_typeEPSI_NS1_7vsmem_tEENKUlT_SG_SH_SI_E_clIS7_S7_S7_SB_EESF_SV_SG_SH_SI_EUlSV_E_NS1_11comp_targetILNS1_3genE4ELNS1_11target_archE910ELNS1_3gpuE8ELNS1_3repE0EEENS1_48merge_mergepath_partition_config_static_selectorELNS0_4arch9wavefront6targetE1EEEvSH_: ; @_ZN7rocprim17ROCPRIM_400000_NS6detail17trampoline_kernelINS0_14default_configENS1_38merge_sort_block_merge_config_selectorIllEEZZNS1_27merge_sort_block_merge_implIS3_PlN6thrust23THRUST_200600_302600_NS10device_ptrIlEEjNS1_19radix_merge_compareILb0ELb1ElNS0_19identity_decomposerEEEEE10hipError_tT0_T1_T2_jT3_P12ihipStream_tbPNSt15iterator_traitsISG_E10value_typeEPNSM_ISH_E10value_typeEPSI_NS1_7vsmem_tEENKUlT_SG_SH_SI_E_clIS7_S7_S7_SB_EESF_SV_SG_SH_SI_EUlSV_E_NS1_11comp_targetILNS1_3genE4ELNS1_11target_archE910ELNS1_3gpuE8ELNS1_3repE0EEENS1_48merge_mergepath_partition_config_static_selectorELNS0_4arch9wavefront6targetE1EEEvSH_
; %bb.0:
	.section	.rodata,"a",@progbits
	.p2align	6, 0x0
	.amdhsa_kernel _ZN7rocprim17ROCPRIM_400000_NS6detail17trampoline_kernelINS0_14default_configENS1_38merge_sort_block_merge_config_selectorIllEEZZNS1_27merge_sort_block_merge_implIS3_PlN6thrust23THRUST_200600_302600_NS10device_ptrIlEEjNS1_19radix_merge_compareILb0ELb1ElNS0_19identity_decomposerEEEEE10hipError_tT0_T1_T2_jT3_P12ihipStream_tbPNSt15iterator_traitsISG_E10value_typeEPNSM_ISH_E10value_typeEPSI_NS1_7vsmem_tEENKUlT_SG_SH_SI_E_clIS7_S7_S7_SB_EESF_SV_SG_SH_SI_EUlSV_E_NS1_11comp_targetILNS1_3genE4ELNS1_11target_archE910ELNS1_3gpuE8ELNS1_3repE0EEENS1_48merge_mergepath_partition_config_static_selectorELNS0_4arch9wavefront6targetE1EEEvSH_
		.amdhsa_group_segment_fixed_size 0
		.amdhsa_private_segment_fixed_size 0
		.amdhsa_kernarg_size 40
		.amdhsa_user_sgpr_count 6
		.amdhsa_user_sgpr_private_segment_buffer 1
		.amdhsa_user_sgpr_dispatch_ptr 0
		.amdhsa_user_sgpr_queue_ptr 0
		.amdhsa_user_sgpr_kernarg_segment_ptr 1
		.amdhsa_user_sgpr_dispatch_id 0
		.amdhsa_user_sgpr_flat_scratch_init 0
		.amdhsa_user_sgpr_private_segment_size 0
		.amdhsa_uses_dynamic_stack 0
		.amdhsa_system_sgpr_private_segment_wavefront_offset 0
		.amdhsa_system_sgpr_workgroup_id_x 1
		.amdhsa_system_sgpr_workgroup_id_y 0
		.amdhsa_system_sgpr_workgroup_id_z 0
		.amdhsa_system_sgpr_workgroup_info 0
		.amdhsa_system_vgpr_workitem_id 0
		.amdhsa_next_free_vgpr 1
		.amdhsa_next_free_sgpr 0
		.amdhsa_reserve_vcc 0
		.amdhsa_reserve_flat_scratch 0
		.amdhsa_float_round_mode_32 0
		.amdhsa_float_round_mode_16_64 0
		.amdhsa_float_denorm_mode_32 3
		.amdhsa_float_denorm_mode_16_64 3
		.amdhsa_dx10_clamp 1
		.amdhsa_ieee_mode 1
		.amdhsa_fp16_overflow 0
		.amdhsa_exception_fp_ieee_invalid_op 0
		.amdhsa_exception_fp_denorm_src 0
		.amdhsa_exception_fp_ieee_div_zero 0
		.amdhsa_exception_fp_ieee_overflow 0
		.amdhsa_exception_fp_ieee_underflow 0
		.amdhsa_exception_fp_ieee_inexact 0
		.amdhsa_exception_int_div_zero 0
	.end_amdhsa_kernel
	.section	.text._ZN7rocprim17ROCPRIM_400000_NS6detail17trampoline_kernelINS0_14default_configENS1_38merge_sort_block_merge_config_selectorIllEEZZNS1_27merge_sort_block_merge_implIS3_PlN6thrust23THRUST_200600_302600_NS10device_ptrIlEEjNS1_19radix_merge_compareILb0ELb1ElNS0_19identity_decomposerEEEEE10hipError_tT0_T1_T2_jT3_P12ihipStream_tbPNSt15iterator_traitsISG_E10value_typeEPNSM_ISH_E10value_typeEPSI_NS1_7vsmem_tEENKUlT_SG_SH_SI_E_clIS7_S7_S7_SB_EESF_SV_SG_SH_SI_EUlSV_E_NS1_11comp_targetILNS1_3genE4ELNS1_11target_archE910ELNS1_3gpuE8ELNS1_3repE0EEENS1_48merge_mergepath_partition_config_static_selectorELNS0_4arch9wavefront6targetE1EEEvSH_,"axG",@progbits,_ZN7rocprim17ROCPRIM_400000_NS6detail17trampoline_kernelINS0_14default_configENS1_38merge_sort_block_merge_config_selectorIllEEZZNS1_27merge_sort_block_merge_implIS3_PlN6thrust23THRUST_200600_302600_NS10device_ptrIlEEjNS1_19radix_merge_compareILb0ELb1ElNS0_19identity_decomposerEEEEE10hipError_tT0_T1_T2_jT3_P12ihipStream_tbPNSt15iterator_traitsISG_E10value_typeEPNSM_ISH_E10value_typeEPSI_NS1_7vsmem_tEENKUlT_SG_SH_SI_E_clIS7_S7_S7_SB_EESF_SV_SG_SH_SI_EUlSV_E_NS1_11comp_targetILNS1_3genE4ELNS1_11target_archE910ELNS1_3gpuE8ELNS1_3repE0EEENS1_48merge_mergepath_partition_config_static_selectorELNS0_4arch9wavefront6targetE1EEEvSH_,comdat
.Lfunc_end1069:
	.size	_ZN7rocprim17ROCPRIM_400000_NS6detail17trampoline_kernelINS0_14default_configENS1_38merge_sort_block_merge_config_selectorIllEEZZNS1_27merge_sort_block_merge_implIS3_PlN6thrust23THRUST_200600_302600_NS10device_ptrIlEEjNS1_19radix_merge_compareILb0ELb1ElNS0_19identity_decomposerEEEEE10hipError_tT0_T1_T2_jT3_P12ihipStream_tbPNSt15iterator_traitsISG_E10value_typeEPNSM_ISH_E10value_typeEPSI_NS1_7vsmem_tEENKUlT_SG_SH_SI_E_clIS7_S7_S7_SB_EESF_SV_SG_SH_SI_EUlSV_E_NS1_11comp_targetILNS1_3genE4ELNS1_11target_archE910ELNS1_3gpuE8ELNS1_3repE0EEENS1_48merge_mergepath_partition_config_static_selectorELNS0_4arch9wavefront6targetE1EEEvSH_, .Lfunc_end1069-_ZN7rocprim17ROCPRIM_400000_NS6detail17trampoline_kernelINS0_14default_configENS1_38merge_sort_block_merge_config_selectorIllEEZZNS1_27merge_sort_block_merge_implIS3_PlN6thrust23THRUST_200600_302600_NS10device_ptrIlEEjNS1_19radix_merge_compareILb0ELb1ElNS0_19identity_decomposerEEEEE10hipError_tT0_T1_T2_jT3_P12ihipStream_tbPNSt15iterator_traitsISG_E10value_typeEPNSM_ISH_E10value_typeEPSI_NS1_7vsmem_tEENKUlT_SG_SH_SI_E_clIS7_S7_S7_SB_EESF_SV_SG_SH_SI_EUlSV_E_NS1_11comp_targetILNS1_3genE4ELNS1_11target_archE910ELNS1_3gpuE8ELNS1_3repE0EEENS1_48merge_mergepath_partition_config_static_selectorELNS0_4arch9wavefront6targetE1EEEvSH_
                                        ; -- End function
	.set _ZN7rocprim17ROCPRIM_400000_NS6detail17trampoline_kernelINS0_14default_configENS1_38merge_sort_block_merge_config_selectorIllEEZZNS1_27merge_sort_block_merge_implIS3_PlN6thrust23THRUST_200600_302600_NS10device_ptrIlEEjNS1_19radix_merge_compareILb0ELb1ElNS0_19identity_decomposerEEEEE10hipError_tT0_T1_T2_jT3_P12ihipStream_tbPNSt15iterator_traitsISG_E10value_typeEPNSM_ISH_E10value_typeEPSI_NS1_7vsmem_tEENKUlT_SG_SH_SI_E_clIS7_S7_S7_SB_EESF_SV_SG_SH_SI_EUlSV_E_NS1_11comp_targetILNS1_3genE4ELNS1_11target_archE910ELNS1_3gpuE8ELNS1_3repE0EEENS1_48merge_mergepath_partition_config_static_selectorELNS0_4arch9wavefront6targetE1EEEvSH_.num_vgpr, 0
	.set _ZN7rocprim17ROCPRIM_400000_NS6detail17trampoline_kernelINS0_14default_configENS1_38merge_sort_block_merge_config_selectorIllEEZZNS1_27merge_sort_block_merge_implIS3_PlN6thrust23THRUST_200600_302600_NS10device_ptrIlEEjNS1_19radix_merge_compareILb0ELb1ElNS0_19identity_decomposerEEEEE10hipError_tT0_T1_T2_jT3_P12ihipStream_tbPNSt15iterator_traitsISG_E10value_typeEPNSM_ISH_E10value_typeEPSI_NS1_7vsmem_tEENKUlT_SG_SH_SI_E_clIS7_S7_S7_SB_EESF_SV_SG_SH_SI_EUlSV_E_NS1_11comp_targetILNS1_3genE4ELNS1_11target_archE910ELNS1_3gpuE8ELNS1_3repE0EEENS1_48merge_mergepath_partition_config_static_selectorELNS0_4arch9wavefront6targetE1EEEvSH_.num_agpr, 0
	.set _ZN7rocprim17ROCPRIM_400000_NS6detail17trampoline_kernelINS0_14default_configENS1_38merge_sort_block_merge_config_selectorIllEEZZNS1_27merge_sort_block_merge_implIS3_PlN6thrust23THRUST_200600_302600_NS10device_ptrIlEEjNS1_19radix_merge_compareILb0ELb1ElNS0_19identity_decomposerEEEEE10hipError_tT0_T1_T2_jT3_P12ihipStream_tbPNSt15iterator_traitsISG_E10value_typeEPNSM_ISH_E10value_typeEPSI_NS1_7vsmem_tEENKUlT_SG_SH_SI_E_clIS7_S7_S7_SB_EESF_SV_SG_SH_SI_EUlSV_E_NS1_11comp_targetILNS1_3genE4ELNS1_11target_archE910ELNS1_3gpuE8ELNS1_3repE0EEENS1_48merge_mergepath_partition_config_static_selectorELNS0_4arch9wavefront6targetE1EEEvSH_.numbered_sgpr, 0
	.set _ZN7rocprim17ROCPRIM_400000_NS6detail17trampoline_kernelINS0_14default_configENS1_38merge_sort_block_merge_config_selectorIllEEZZNS1_27merge_sort_block_merge_implIS3_PlN6thrust23THRUST_200600_302600_NS10device_ptrIlEEjNS1_19radix_merge_compareILb0ELb1ElNS0_19identity_decomposerEEEEE10hipError_tT0_T1_T2_jT3_P12ihipStream_tbPNSt15iterator_traitsISG_E10value_typeEPNSM_ISH_E10value_typeEPSI_NS1_7vsmem_tEENKUlT_SG_SH_SI_E_clIS7_S7_S7_SB_EESF_SV_SG_SH_SI_EUlSV_E_NS1_11comp_targetILNS1_3genE4ELNS1_11target_archE910ELNS1_3gpuE8ELNS1_3repE0EEENS1_48merge_mergepath_partition_config_static_selectorELNS0_4arch9wavefront6targetE1EEEvSH_.num_named_barrier, 0
	.set _ZN7rocprim17ROCPRIM_400000_NS6detail17trampoline_kernelINS0_14default_configENS1_38merge_sort_block_merge_config_selectorIllEEZZNS1_27merge_sort_block_merge_implIS3_PlN6thrust23THRUST_200600_302600_NS10device_ptrIlEEjNS1_19radix_merge_compareILb0ELb1ElNS0_19identity_decomposerEEEEE10hipError_tT0_T1_T2_jT3_P12ihipStream_tbPNSt15iterator_traitsISG_E10value_typeEPNSM_ISH_E10value_typeEPSI_NS1_7vsmem_tEENKUlT_SG_SH_SI_E_clIS7_S7_S7_SB_EESF_SV_SG_SH_SI_EUlSV_E_NS1_11comp_targetILNS1_3genE4ELNS1_11target_archE910ELNS1_3gpuE8ELNS1_3repE0EEENS1_48merge_mergepath_partition_config_static_selectorELNS0_4arch9wavefront6targetE1EEEvSH_.private_seg_size, 0
	.set _ZN7rocprim17ROCPRIM_400000_NS6detail17trampoline_kernelINS0_14default_configENS1_38merge_sort_block_merge_config_selectorIllEEZZNS1_27merge_sort_block_merge_implIS3_PlN6thrust23THRUST_200600_302600_NS10device_ptrIlEEjNS1_19radix_merge_compareILb0ELb1ElNS0_19identity_decomposerEEEEE10hipError_tT0_T1_T2_jT3_P12ihipStream_tbPNSt15iterator_traitsISG_E10value_typeEPNSM_ISH_E10value_typeEPSI_NS1_7vsmem_tEENKUlT_SG_SH_SI_E_clIS7_S7_S7_SB_EESF_SV_SG_SH_SI_EUlSV_E_NS1_11comp_targetILNS1_3genE4ELNS1_11target_archE910ELNS1_3gpuE8ELNS1_3repE0EEENS1_48merge_mergepath_partition_config_static_selectorELNS0_4arch9wavefront6targetE1EEEvSH_.uses_vcc, 0
	.set _ZN7rocprim17ROCPRIM_400000_NS6detail17trampoline_kernelINS0_14default_configENS1_38merge_sort_block_merge_config_selectorIllEEZZNS1_27merge_sort_block_merge_implIS3_PlN6thrust23THRUST_200600_302600_NS10device_ptrIlEEjNS1_19radix_merge_compareILb0ELb1ElNS0_19identity_decomposerEEEEE10hipError_tT0_T1_T2_jT3_P12ihipStream_tbPNSt15iterator_traitsISG_E10value_typeEPNSM_ISH_E10value_typeEPSI_NS1_7vsmem_tEENKUlT_SG_SH_SI_E_clIS7_S7_S7_SB_EESF_SV_SG_SH_SI_EUlSV_E_NS1_11comp_targetILNS1_3genE4ELNS1_11target_archE910ELNS1_3gpuE8ELNS1_3repE0EEENS1_48merge_mergepath_partition_config_static_selectorELNS0_4arch9wavefront6targetE1EEEvSH_.uses_flat_scratch, 0
	.set _ZN7rocprim17ROCPRIM_400000_NS6detail17trampoline_kernelINS0_14default_configENS1_38merge_sort_block_merge_config_selectorIllEEZZNS1_27merge_sort_block_merge_implIS3_PlN6thrust23THRUST_200600_302600_NS10device_ptrIlEEjNS1_19radix_merge_compareILb0ELb1ElNS0_19identity_decomposerEEEEE10hipError_tT0_T1_T2_jT3_P12ihipStream_tbPNSt15iterator_traitsISG_E10value_typeEPNSM_ISH_E10value_typeEPSI_NS1_7vsmem_tEENKUlT_SG_SH_SI_E_clIS7_S7_S7_SB_EESF_SV_SG_SH_SI_EUlSV_E_NS1_11comp_targetILNS1_3genE4ELNS1_11target_archE910ELNS1_3gpuE8ELNS1_3repE0EEENS1_48merge_mergepath_partition_config_static_selectorELNS0_4arch9wavefront6targetE1EEEvSH_.has_dyn_sized_stack, 0
	.set _ZN7rocprim17ROCPRIM_400000_NS6detail17trampoline_kernelINS0_14default_configENS1_38merge_sort_block_merge_config_selectorIllEEZZNS1_27merge_sort_block_merge_implIS3_PlN6thrust23THRUST_200600_302600_NS10device_ptrIlEEjNS1_19radix_merge_compareILb0ELb1ElNS0_19identity_decomposerEEEEE10hipError_tT0_T1_T2_jT3_P12ihipStream_tbPNSt15iterator_traitsISG_E10value_typeEPNSM_ISH_E10value_typeEPSI_NS1_7vsmem_tEENKUlT_SG_SH_SI_E_clIS7_S7_S7_SB_EESF_SV_SG_SH_SI_EUlSV_E_NS1_11comp_targetILNS1_3genE4ELNS1_11target_archE910ELNS1_3gpuE8ELNS1_3repE0EEENS1_48merge_mergepath_partition_config_static_selectorELNS0_4arch9wavefront6targetE1EEEvSH_.has_recursion, 0
	.set _ZN7rocprim17ROCPRIM_400000_NS6detail17trampoline_kernelINS0_14default_configENS1_38merge_sort_block_merge_config_selectorIllEEZZNS1_27merge_sort_block_merge_implIS3_PlN6thrust23THRUST_200600_302600_NS10device_ptrIlEEjNS1_19radix_merge_compareILb0ELb1ElNS0_19identity_decomposerEEEEE10hipError_tT0_T1_T2_jT3_P12ihipStream_tbPNSt15iterator_traitsISG_E10value_typeEPNSM_ISH_E10value_typeEPSI_NS1_7vsmem_tEENKUlT_SG_SH_SI_E_clIS7_S7_S7_SB_EESF_SV_SG_SH_SI_EUlSV_E_NS1_11comp_targetILNS1_3genE4ELNS1_11target_archE910ELNS1_3gpuE8ELNS1_3repE0EEENS1_48merge_mergepath_partition_config_static_selectorELNS0_4arch9wavefront6targetE1EEEvSH_.has_indirect_call, 0
	.section	.AMDGPU.csdata,"",@progbits
; Kernel info:
; codeLenInByte = 0
; TotalNumSgprs: 4
; NumVgprs: 0
; ScratchSize: 0
; MemoryBound: 0
; FloatMode: 240
; IeeeMode: 1
; LDSByteSize: 0 bytes/workgroup (compile time only)
; SGPRBlocks: 0
; VGPRBlocks: 0
; NumSGPRsForWavesPerEU: 4
; NumVGPRsForWavesPerEU: 1
; Occupancy: 10
; WaveLimiterHint : 0
; COMPUTE_PGM_RSRC2:SCRATCH_EN: 0
; COMPUTE_PGM_RSRC2:USER_SGPR: 6
; COMPUTE_PGM_RSRC2:TRAP_HANDLER: 0
; COMPUTE_PGM_RSRC2:TGID_X_EN: 1
; COMPUTE_PGM_RSRC2:TGID_Y_EN: 0
; COMPUTE_PGM_RSRC2:TGID_Z_EN: 0
; COMPUTE_PGM_RSRC2:TIDIG_COMP_CNT: 0
	.section	.text._ZN7rocprim17ROCPRIM_400000_NS6detail17trampoline_kernelINS0_14default_configENS1_38merge_sort_block_merge_config_selectorIllEEZZNS1_27merge_sort_block_merge_implIS3_PlN6thrust23THRUST_200600_302600_NS10device_ptrIlEEjNS1_19radix_merge_compareILb0ELb1ElNS0_19identity_decomposerEEEEE10hipError_tT0_T1_T2_jT3_P12ihipStream_tbPNSt15iterator_traitsISG_E10value_typeEPNSM_ISH_E10value_typeEPSI_NS1_7vsmem_tEENKUlT_SG_SH_SI_E_clIS7_S7_S7_SB_EESF_SV_SG_SH_SI_EUlSV_E_NS1_11comp_targetILNS1_3genE3ELNS1_11target_archE908ELNS1_3gpuE7ELNS1_3repE0EEENS1_48merge_mergepath_partition_config_static_selectorELNS0_4arch9wavefront6targetE1EEEvSH_,"axG",@progbits,_ZN7rocprim17ROCPRIM_400000_NS6detail17trampoline_kernelINS0_14default_configENS1_38merge_sort_block_merge_config_selectorIllEEZZNS1_27merge_sort_block_merge_implIS3_PlN6thrust23THRUST_200600_302600_NS10device_ptrIlEEjNS1_19radix_merge_compareILb0ELb1ElNS0_19identity_decomposerEEEEE10hipError_tT0_T1_T2_jT3_P12ihipStream_tbPNSt15iterator_traitsISG_E10value_typeEPNSM_ISH_E10value_typeEPSI_NS1_7vsmem_tEENKUlT_SG_SH_SI_E_clIS7_S7_S7_SB_EESF_SV_SG_SH_SI_EUlSV_E_NS1_11comp_targetILNS1_3genE3ELNS1_11target_archE908ELNS1_3gpuE7ELNS1_3repE0EEENS1_48merge_mergepath_partition_config_static_selectorELNS0_4arch9wavefront6targetE1EEEvSH_,comdat
	.protected	_ZN7rocprim17ROCPRIM_400000_NS6detail17trampoline_kernelINS0_14default_configENS1_38merge_sort_block_merge_config_selectorIllEEZZNS1_27merge_sort_block_merge_implIS3_PlN6thrust23THRUST_200600_302600_NS10device_ptrIlEEjNS1_19radix_merge_compareILb0ELb1ElNS0_19identity_decomposerEEEEE10hipError_tT0_T1_T2_jT3_P12ihipStream_tbPNSt15iterator_traitsISG_E10value_typeEPNSM_ISH_E10value_typeEPSI_NS1_7vsmem_tEENKUlT_SG_SH_SI_E_clIS7_S7_S7_SB_EESF_SV_SG_SH_SI_EUlSV_E_NS1_11comp_targetILNS1_3genE3ELNS1_11target_archE908ELNS1_3gpuE7ELNS1_3repE0EEENS1_48merge_mergepath_partition_config_static_selectorELNS0_4arch9wavefront6targetE1EEEvSH_ ; -- Begin function _ZN7rocprim17ROCPRIM_400000_NS6detail17trampoline_kernelINS0_14default_configENS1_38merge_sort_block_merge_config_selectorIllEEZZNS1_27merge_sort_block_merge_implIS3_PlN6thrust23THRUST_200600_302600_NS10device_ptrIlEEjNS1_19radix_merge_compareILb0ELb1ElNS0_19identity_decomposerEEEEE10hipError_tT0_T1_T2_jT3_P12ihipStream_tbPNSt15iterator_traitsISG_E10value_typeEPNSM_ISH_E10value_typeEPSI_NS1_7vsmem_tEENKUlT_SG_SH_SI_E_clIS7_S7_S7_SB_EESF_SV_SG_SH_SI_EUlSV_E_NS1_11comp_targetILNS1_3genE3ELNS1_11target_archE908ELNS1_3gpuE7ELNS1_3repE0EEENS1_48merge_mergepath_partition_config_static_selectorELNS0_4arch9wavefront6targetE1EEEvSH_
	.globl	_ZN7rocprim17ROCPRIM_400000_NS6detail17trampoline_kernelINS0_14default_configENS1_38merge_sort_block_merge_config_selectorIllEEZZNS1_27merge_sort_block_merge_implIS3_PlN6thrust23THRUST_200600_302600_NS10device_ptrIlEEjNS1_19radix_merge_compareILb0ELb1ElNS0_19identity_decomposerEEEEE10hipError_tT0_T1_T2_jT3_P12ihipStream_tbPNSt15iterator_traitsISG_E10value_typeEPNSM_ISH_E10value_typeEPSI_NS1_7vsmem_tEENKUlT_SG_SH_SI_E_clIS7_S7_S7_SB_EESF_SV_SG_SH_SI_EUlSV_E_NS1_11comp_targetILNS1_3genE3ELNS1_11target_archE908ELNS1_3gpuE7ELNS1_3repE0EEENS1_48merge_mergepath_partition_config_static_selectorELNS0_4arch9wavefront6targetE1EEEvSH_
	.p2align	8
	.type	_ZN7rocprim17ROCPRIM_400000_NS6detail17trampoline_kernelINS0_14default_configENS1_38merge_sort_block_merge_config_selectorIllEEZZNS1_27merge_sort_block_merge_implIS3_PlN6thrust23THRUST_200600_302600_NS10device_ptrIlEEjNS1_19radix_merge_compareILb0ELb1ElNS0_19identity_decomposerEEEEE10hipError_tT0_T1_T2_jT3_P12ihipStream_tbPNSt15iterator_traitsISG_E10value_typeEPNSM_ISH_E10value_typeEPSI_NS1_7vsmem_tEENKUlT_SG_SH_SI_E_clIS7_S7_S7_SB_EESF_SV_SG_SH_SI_EUlSV_E_NS1_11comp_targetILNS1_3genE3ELNS1_11target_archE908ELNS1_3gpuE7ELNS1_3repE0EEENS1_48merge_mergepath_partition_config_static_selectorELNS0_4arch9wavefront6targetE1EEEvSH_,@function
_ZN7rocprim17ROCPRIM_400000_NS6detail17trampoline_kernelINS0_14default_configENS1_38merge_sort_block_merge_config_selectorIllEEZZNS1_27merge_sort_block_merge_implIS3_PlN6thrust23THRUST_200600_302600_NS10device_ptrIlEEjNS1_19radix_merge_compareILb0ELb1ElNS0_19identity_decomposerEEEEE10hipError_tT0_T1_T2_jT3_P12ihipStream_tbPNSt15iterator_traitsISG_E10value_typeEPNSM_ISH_E10value_typeEPSI_NS1_7vsmem_tEENKUlT_SG_SH_SI_E_clIS7_S7_S7_SB_EESF_SV_SG_SH_SI_EUlSV_E_NS1_11comp_targetILNS1_3genE3ELNS1_11target_archE908ELNS1_3gpuE7ELNS1_3repE0EEENS1_48merge_mergepath_partition_config_static_selectorELNS0_4arch9wavefront6targetE1EEEvSH_: ; @_ZN7rocprim17ROCPRIM_400000_NS6detail17trampoline_kernelINS0_14default_configENS1_38merge_sort_block_merge_config_selectorIllEEZZNS1_27merge_sort_block_merge_implIS3_PlN6thrust23THRUST_200600_302600_NS10device_ptrIlEEjNS1_19radix_merge_compareILb0ELb1ElNS0_19identity_decomposerEEEEE10hipError_tT0_T1_T2_jT3_P12ihipStream_tbPNSt15iterator_traitsISG_E10value_typeEPNSM_ISH_E10value_typeEPSI_NS1_7vsmem_tEENKUlT_SG_SH_SI_E_clIS7_S7_S7_SB_EESF_SV_SG_SH_SI_EUlSV_E_NS1_11comp_targetILNS1_3genE3ELNS1_11target_archE908ELNS1_3gpuE7ELNS1_3repE0EEENS1_48merge_mergepath_partition_config_static_selectorELNS0_4arch9wavefront6targetE1EEEvSH_
; %bb.0:
	.section	.rodata,"a",@progbits
	.p2align	6, 0x0
	.amdhsa_kernel _ZN7rocprim17ROCPRIM_400000_NS6detail17trampoline_kernelINS0_14default_configENS1_38merge_sort_block_merge_config_selectorIllEEZZNS1_27merge_sort_block_merge_implIS3_PlN6thrust23THRUST_200600_302600_NS10device_ptrIlEEjNS1_19radix_merge_compareILb0ELb1ElNS0_19identity_decomposerEEEEE10hipError_tT0_T1_T2_jT3_P12ihipStream_tbPNSt15iterator_traitsISG_E10value_typeEPNSM_ISH_E10value_typeEPSI_NS1_7vsmem_tEENKUlT_SG_SH_SI_E_clIS7_S7_S7_SB_EESF_SV_SG_SH_SI_EUlSV_E_NS1_11comp_targetILNS1_3genE3ELNS1_11target_archE908ELNS1_3gpuE7ELNS1_3repE0EEENS1_48merge_mergepath_partition_config_static_selectorELNS0_4arch9wavefront6targetE1EEEvSH_
		.amdhsa_group_segment_fixed_size 0
		.amdhsa_private_segment_fixed_size 0
		.amdhsa_kernarg_size 40
		.amdhsa_user_sgpr_count 6
		.amdhsa_user_sgpr_private_segment_buffer 1
		.amdhsa_user_sgpr_dispatch_ptr 0
		.amdhsa_user_sgpr_queue_ptr 0
		.amdhsa_user_sgpr_kernarg_segment_ptr 1
		.amdhsa_user_sgpr_dispatch_id 0
		.amdhsa_user_sgpr_flat_scratch_init 0
		.amdhsa_user_sgpr_private_segment_size 0
		.amdhsa_uses_dynamic_stack 0
		.amdhsa_system_sgpr_private_segment_wavefront_offset 0
		.amdhsa_system_sgpr_workgroup_id_x 1
		.amdhsa_system_sgpr_workgroup_id_y 0
		.amdhsa_system_sgpr_workgroup_id_z 0
		.amdhsa_system_sgpr_workgroup_info 0
		.amdhsa_system_vgpr_workitem_id 0
		.amdhsa_next_free_vgpr 1
		.amdhsa_next_free_sgpr 0
		.amdhsa_reserve_vcc 0
		.amdhsa_reserve_flat_scratch 0
		.amdhsa_float_round_mode_32 0
		.amdhsa_float_round_mode_16_64 0
		.amdhsa_float_denorm_mode_32 3
		.amdhsa_float_denorm_mode_16_64 3
		.amdhsa_dx10_clamp 1
		.amdhsa_ieee_mode 1
		.amdhsa_fp16_overflow 0
		.amdhsa_exception_fp_ieee_invalid_op 0
		.amdhsa_exception_fp_denorm_src 0
		.amdhsa_exception_fp_ieee_div_zero 0
		.amdhsa_exception_fp_ieee_overflow 0
		.amdhsa_exception_fp_ieee_underflow 0
		.amdhsa_exception_fp_ieee_inexact 0
		.amdhsa_exception_int_div_zero 0
	.end_amdhsa_kernel
	.section	.text._ZN7rocprim17ROCPRIM_400000_NS6detail17trampoline_kernelINS0_14default_configENS1_38merge_sort_block_merge_config_selectorIllEEZZNS1_27merge_sort_block_merge_implIS3_PlN6thrust23THRUST_200600_302600_NS10device_ptrIlEEjNS1_19radix_merge_compareILb0ELb1ElNS0_19identity_decomposerEEEEE10hipError_tT0_T1_T2_jT3_P12ihipStream_tbPNSt15iterator_traitsISG_E10value_typeEPNSM_ISH_E10value_typeEPSI_NS1_7vsmem_tEENKUlT_SG_SH_SI_E_clIS7_S7_S7_SB_EESF_SV_SG_SH_SI_EUlSV_E_NS1_11comp_targetILNS1_3genE3ELNS1_11target_archE908ELNS1_3gpuE7ELNS1_3repE0EEENS1_48merge_mergepath_partition_config_static_selectorELNS0_4arch9wavefront6targetE1EEEvSH_,"axG",@progbits,_ZN7rocprim17ROCPRIM_400000_NS6detail17trampoline_kernelINS0_14default_configENS1_38merge_sort_block_merge_config_selectorIllEEZZNS1_27merge_sort_block_merge_implIS3_PlN6thrust23THRUST_200600_302600_NS10device_ptrIlEEjNS1_19radix_merge_compareILb0ELb1ElNS0_19identity_decomposerEEEEE10hipError_tT0_T1_T2_jT3_P12ihipStream_tbPNSt15iterator_traitsISG_E10value_typeEPNSM_ISH_E10value_typeEPSI_NS1_7vsmem_tEENKUlT_SG_SH_SI_E_clIS7_S7_S7_SB_EESF_SV_SG_SH_SI_EUlSV_E_NS1_11comp_targetILNS1_3genE3ELNS1_11target_archE908ELNS1_3gpuE7ELNS1_3repE0EEENS1_48merge_mergepath_partition_config_static_selectorELNS0_4arch9wavefront6targetE1EEEvSH_,comdat
.Lfunc_end1070:
	.size	_ZN7rocprim17ROCPRIM_400000_NS6detail17trampoline_kernelINS0_14default_configENS1_38merge_sort_block_merge_config_selectorIllEEZZNS1_27merge_sort_block_merge_implIS3_PlN6thrust23THRUST_200600_302600_NS10device_ptrIlEEjNS1_19radix_merge_compareILb0ELb1ElNS0_19identity_decomposerEEEEE10hipError_tT0_T1_T2_jT3_P12ihipStream_tbPNSt15iterator_traitsISG_E10value_typeEPNSM_ISH_E10value_typeEPSI_NS1_7vsmem_tEENKUlT_SG_SH_SI_E_clIS7_S7_S7_SB_EESF_SV_SG_SH_SI_EUlSV_E_NS1_11comp_targetILNS1_3genE3ELNS1_11target_archE908ELNS1_3gpuE7ELNS1_3repE0EEENS1_48merge_mergepath_partition_config_static_selectorELNS0_4arch9wavefront6targetE1EEEvSH_, .Lfunc_end1070-_ZN7rocprim17ROCPRIM_400000_NS6detail17trampoline_kernelINS0_14default_configENS1_38merge_sort_block_merge_config_selectorIllEEZZNS1_27merge_sort_block_merge_implIS3_PlN6thrust23THRUST_200600_302600_NS10device_ptrIlEEjNS1_19radix_merge_compareILb0ELb1ElNS0_19identity_decomposerEEEEE10hipError_tT0_T1_T2_jT3_P12ihipStream_tbPNSt15iterator_traitsISG_E10value_typeEPNSM_ISH_E10value_typeEPSI_NS1_7vsmem_tEENKUlT_SG_SH_SI_E_clIS7_S7_S7_SB_EESF_SV_SG_SH_SI_EUlSV_E_NS1_11comp_targetILNS1_3genE3ELNS1_11target_archE908ELNS1_3gpuE7ELNS1_3repE0EEENS1_48merge_mergepath_partition_config_static_selectorELNS0_4arch9wavefront6targetE1EEEvSH_
                                        ; -- End function
	.set _ZN7rocprim17ROCPRIM_400000_NS6detail17trampoline_kernelINS0_14default_configENS1_38merge_sort_block_merge_config_selectorIllEEZZNS1_27merge_sort_block_merge_implIS3_PlN6thrust23THRUST_200600_302600_NS10device_ptrIlEEjNS1_19radix_merge_compareILb0ELb1ElNS0_19identity_decomposerEEEEE10hipError_tT0_T1_T2_jT3_P12ihipStream_tbPNSt15iterator_traitsISG_E10value_typeEPNSM_ISH_E10value_typeEPSI_NS1_7vsmem_tEENKUlT_SG_SH_SI_E_clIS7_S7_S7_SB_EESF_SV_SG_SH_SI_EUlSV_E_NS1_11comp_targetILNS1_3genE3ELNS1_11target_archE908ELNS1_3gpuE7ELNS1_3repE0EEENS1_48merge_mergepath_partition_config_static_selectorELNS0_4arch9wavefront6targetE1EEEvSH_.num_vgpr, 0
	.set _ZN7rocprim17ROCPRIM_400000_NS6detail17trampoline_kernelINS0_14default_configENS1_38merge_sort_block_merge_config_selectorIllEEZZNS1_27merge_sort_block_merge_implIS3_PlN6thrust23THRUST_200600_302600_NS10device_ptrIlEEjNS1_19radix_merge_compareILb0ELb1ElNS0_19identity_decomposerEEEEE10hipError_tT0_T1_T2_jT3_P12ihipStream_tbPNSt15iterator_traitsISG_E10value_typeEPNSM_ISH_E10value_typeEPSI_NS1_7vsmem_tEENKUlT_SG_SH_SI_E_clIS7_S7_S7_SB_EESF_SV_SG_SH_SI_EUlSV_E_NS1_11comp_targetILNS1_3genE3ELNS1_11target_archE908ELNS1_3gpuE7ELNS1_3repE0EEENS1_48merge_mergepath_partition_config_static_selectorELNS0_4arch9wavefront6targetE1EEEvSH_.num_agpr, 0
	.set _ZN7rocprim17ROCPRIM_400000_NS6detail17trampoline_kernelINS0_14default_configENS1_38merge_sort_block_merge_config_selectorIllEEZZNS1_27merge_sort_block_merge_implIS3_PlN6thrust23THRUST_200600_302600_NS10device_ptrIlEEjNS1_19radix_merge_compareILb0ELb1ElNS0_19identity_decomposerEEEEE10hipError_tT0_T1_T2_jT3_P12ihipStream_tbPNSt15iterator_traitsISG_E10value_typeEPNSM_ISH_E10value_typeEPSI_NS1_7vsmem_tEENKUlT_SG_SH_SI_E_clIS7_S7_S7_SB_EESF_SV_SG_SH_SI_EUlSV_E_NS1_11comp_targetILNS1_3genE3ELNS1_11target_archE908ELNS1_3gpuE7ELNS1_3repE0EEENS1_48merge_mergepath_partition_config_static_selectorELNS0_4arch9wavefront6targetE1EEEvSH_.numbered_sgpr, 0
	.set _ZN7rocprim17ROCPRIM_400000_NS6detail17trampoline_kernelINS0_14default_configENS1_38merge_sort_block_merge_config_selectorIllEEZZNS1_27merge_sort_block_merge_implIS3_PlN6thrust23THRUST_200600_302600_NS10device_ptrIlEEjNS1_19radix_merge_compareILb0ELb1ElNS0_19identity_decomposerEEEEE10hipError_tT0_T1_T2_jT3_P12ihipStream_tbPNSt15iterator_traitsISG_E10value_typeEPNSM_ISH_E10value_typeEPSI_NS1_7vsmem_tEENKUlT_SG_SH_SI_E_clIS7_S7_S7_SB_EESF_SV_SG_SH_SI_EUlSV_E_NS1_11comp_targetILNS1_3genE3ELNS1_11target_archE908ELNS1_3gpuE7ELNS1_3repE0EEENS1_48merge_mergepath_partition_config_static_selectorELNS0_4arch9wavefront6targetE1EEEvSH_.num_named_barrier, 0
	.set _ZN7rocprim17ROCPRIM_400000_NS6detail17trampoline_kernelINS0_14default_configENS1_38merge_sort_block_merge_config_selectorIllEEZZNS1_27merge_sort_block_merge_implIS3_PlN6thrust23THRUST_200600_302600_NS10device_ptrIlEEjNS1_19radix_merge_compareILb0ELb1ElNS0_19identity_decomposerEEEEE10hipError_tT0_T1_T2_jT3_P12ihipStream_tbPNSt15iterator_traitsISG_E10value_typeEPNSM_ISH_E10value_typeEPSI_NS1_7vsmem_tEENKUlT_SG_SH_SI_E_clIS7_S7_S7_SB_EESF_SV_SG_SH_SI_EUlSV_E_NS1_11comp_targetILNS1_3genE3ELNS1_11target_archE908ELNS1_3gpuE7ELNS1_3repE0EEENS1_48merge_mergepath_partition_config_static_selectorELNS0_4arch9wavefront6targetE1EEEvSH_.private_seg_size, 0
	.set _ZN7rocprim17ROCPRIM_400000_NS6detail17trampoline_kernelINS0_14default_configENS1_38merge_sort_block_merge_config_selectorIllEEZZNS1_27merge_sort_block_merge_implIS3_PlN6thrust23THRUST_200600_302600_NS10device_ptrIlEEjNS1_19radix_merge_compareILb0ELb1ElNS0_19identity_decomposerEEEEE10hipError_tT0_T1_T2_jT3_P12ihipStream_tbPNSt15iterator_traitsISG_E10value_typeEPNSM_ISH_E10value_typeEPSI_NS1_7vsmem_tEENKUlT_SG_SH_SI_E_clIS7_S7_S7_SB_EESF_SV_SG_SH_SI_EUlSV_E_NS1_11comp_targetILNS1_3genE3ELNS1_11target_archE908ELNS1_3gpuE7ELNS1_3repE0EEENS1_48merge_mergepath_partition_config_static_selectorELNS0_4arch9wavefront6targetE1EEEvSH_.uses_vcc, 0
	.set _ZN7rocprim17ROCPRIM_400000_NS6detail17trampoline_kernelINS0_14default_configENS1_38merge_sort_block_merge_config_selectorIllEEZZNS1_27merge_sort_block_merge_implIS3_PlN6thrust23THRUST_200600_302600_NS10device_ptrIlEEjNS1_19radix_merge_compareILb0ELb1ElNS0_19identity_decomposerEEEEE10hipError_tT0_T1_T2_jT3_P12ihipStream_tbPNSt15iterator_traitsISG_E10value_typeEPNSM_ISH_E10value_typeEPSI_NS1_7vsmem_tEENKUlT_SG_SH_SI_E_clIS7_S7_S7_SB_EESF_SV_SG_SH_SI_EUlSV_E_NS1_11comp_targetILNS1_3genE3ELNS1_11target_archE908ELNS1_3gpuE7ELNS1_3repE0EEENS1_48merge_mergepath_partition_config_static_selectorELNS0_4arch9wavefront6targetE1EEEvSH_.uses_flat_scratch, 0
	.set _ZN7rocprim17ROCPRIM_400000_NS6detail17trampoline_kernelINS0_14default_configENS1_38merge_sort_block_merge_config_selectorIllEEZZNS1_27merge_sort_block_merge_implIS3_PlN6thrust23THRUST_200600_302600_NS10device_ptrIlEEjNS1_19radix_merge_compareILb0ELb1ElNS0_19identity_decomposerEEEEE10hipError_tT0_T1_T2_jT3_P12ihipStream_tbPNSt15iterator_traitsISG_E10value_typeEPNSM_ISH_E10value_typeEPSI_NS1_7vsmem_tEENKUlT_SG_SH_SI_E_clIS7_S7_S7_SB_EESF_SV_SG_SH_SI_EUlSV_E_NS1_11comp_targetILNS1_3genE3ELNS1_11target_archE908ELNS1_3gpuE7ELNS1_3repE0EEENS1_48merge_mergepath_partition_config_static_selectorELNS0_4arch9wavefront6targetE1EEEvSH_.has_dyn_sized_stack, 0
	.set _ZN7rocprim17ROCPRIM_400000_NS6detail17trampoline_kernelINS0_14default_configENS1_38merge_sort_block_merge_config_selectorIllEEZZNS1_27merge_sort_block_merge_implIS3_PlN6thrust23THRUST_200600_302600_NS10device_ptrIlEEjNS1_19radix_merge_compareILb0ELb1ElNS0_19identity_decomposerEEEEE10hipError_tT0_T1_T2_jT3_P12ihipStream_tbPNSt15iterator_traitsISG_E10value_typeEPNSM_ISH_E10value_typeEPSI_NS1_7vsmem_tEENKUlT_SG_SH_SI_E_clIS7_S7_S7_SB_EESF_SV_SG_SH_SI_EUlSV_E_NS1_11comp_targetILNS1_3genE3ELNS1_11target_archE908ELNS1_3gpuE7ELNS1_3repE0EEENS1_48merge_mergepath_partition_config_static_selectorELNS0_4arch9wavefront6targetE1EEEvSH_.has_recursion, 0
	.set _ZN7rocprim17ROCPRIM_400000_NS6detail17trampoline_kernelINS0_14default_configENS1_38merge_sort_block_merge_config_selectorIllEEZZNS1_27merge_sort_block_merge_implIS3_PlN6thrust23THRUST_200600_302600_NS10device_ptrIlEEjNS1_19radix_merge_compareILb0ELb1ElNS0_19identity_decomposerEEEEE10hipError_tT0_T1_T2_jT3_P12ihipStream_tbPNSt15iterator_traitsISG_E10value_typeEPNSM_ISH_E10value_typeEPSI_NS1_7vsmem_tEENKUlT_SG_SH_SI_E_clIS7_S7_S7_SB_EESF_SV_SG_SH_SI_EUlSV_E_NS1_11comp_targetILNS1_3genE3ELNS1_11target_archE908ELNS1_3gpuE7ELNS1_3repE0EEENS1_48merge_mergepath_partition_config_static_selectorELNS0_4arch9wavefront6targetE1EEEvSH_.has_indirect_call, 0
	.section	.AMDGPU.csdata,"",@progbits
; Kernel info:
; codeLenInByte = 0
; TotalNumSgprs: 4
; NumVgprs: 0
; ScratchSize: 0
; MemoryBound: 0
; FloatMode: 240
; IeeeMode: 1
; LDSByteSize: 0 bytes/workgroup (compile time only)
; SGPRBlocks: 0
; VGPRBlocks: 0
; NumSGPRsForWavesPerEU: 4
; NumVGPRsForWavesPerEU: 1
; Occupancy: 10
; WaveLimiterHint : 0
; COMPUTE_PGM_RSRC2:SCRATCH_EN: 0
; COMPUTE_PGM_RSRC2:USER_SGPR: 6
; COMPUTE_PGM_RSRC2:TRAP_HANDLER: 0
; COMPUTE_PGM_RSRC2:TGID_X_EN: 1
; COMPUTE_PGM_RSRC2:TGID_Y_EN: 0
; COMPUTE_PGM_RSRC2:TGID_Z_EN: 0
; COMPUTE_PGM_RSRC2:TIDIG_COMP_CNT: 0
	.section	.text._ZN7rocprim17ROCPRIM_400000_NS6detail17trampoline_kernelINS0_14default_configENS1_38merge_sort_block_merge_config_selectorIllEEZZNS1_27merge_sort_block_merge_implIS3_PlN6thrust23THRUST_200600_302600_NS10device_ptrIlEEjNS1_19radix_merge_compareILb0ELb1ElNS0_19identity_decomposerEEEEE10hipError_tT0_T1_T2_jT3_P12ihipStream_tbPNSt15iterator_traitsISG_E10value_typeEPNSM_ISH_E10value_typeEPSI_NS1_7vsmem_tEENKUlT_SG_SH_SI_E_clIS7_S7_S7_SB_EESF_SV_SG_SH_SI_EUlSV_E_NS1_11comp_targetILNS1_3genE2ELNS1_11target_archE906ELNS1_3gpuE6ELNS1_3repE0EEENS1_48merge_mergepath_partition_config_static_selectorELNS0_4arch9wavefront6targetE1EEEvSH_,"axG",@progbits,_ZN7rocprim17ROCPRIM_400000_NS6detail17trampoline_kernelINS0_14default_configENS1_38merge_sort_block_merge_config_selectorIllEEZZNS1_27merge_sort_block_merge_implIS3_PlN6thrust23THRUST_200600_302600_NS10device_ptrIlEEjNS1_19radix_merge_compareILb0ELb1ElNS0_19identity_decomposerEEEEE10hipError_tT0_T1_T2_jT3_P12ihipStream_tbPNSt15iterator_traitsISG_E10value_typeEPNSM_ISH_E10value_typeEPSI_NS1_7vsmem_tEENKUlT_SG_SH_SI_E_clIS7_S7_S7_SB_EESF_SV_SG_SH_SI_EUlSV_E_NS1_11comp_targetILNS1_3genE2ELNS1_11target_archE906ELNS1_3gpuE6ELNS1_3repE0EEENS1_48merge_mergepath_partition_config_static_selectorELNS0_4arch9wavefront6targetE1EEEvSH_,comdat
	.protected	_ZN7rocprim17ROCPRIM_400000_NS6detail17trampoline_kernelINS0_14default_configENS1_38merge_sort_block_merge_config_selectorIllEEZZNS1_27merge_sort_block_merge_implIS3_PlN6thrust23THRUST_200600_302600_NS10device_ptrIlEEjNS1_19radix_merge_compareILb0ELb1ElNS0_19identity_decomposerEEEEE10hipError_tT0_T1_T2_jT3_P12ihipStream_tbPNSt15iterator_traitsISG_E10value_typeEPNSM_ISH_E10value_typeEPSI_NS1_7vsmem_tEENKUlT_SG_SH_SI_E_clIS7_S7_S7_SB_EESF_SV_SG_SH_SI_EUlSV_E_NS1_11comp_targetILNS1_3genE2ELNS1_11target_archE906ELNS1_3gpuE6ELNS1_3repE0EEENS1_48merge_mergepath_partition_config_static_selectorELNS0_4arch9wavefront6targetE1EEEvSH_ ; -- Begin function _ZN7rocprim17ROCPRIM_400000_NS6detail17trampoline_kernelINS0_14default_configENS1_38merge_sort_block_merge_config_selectorIllEEZZNS1_27merge_sort_block_merge_implIS3_PlN6thrust23THRUST_200600_302600_NS10device_ptrIlEEjNS1_19radix_merge_compareILb0ELb1ElNS0_19identity_decomposerEEEEE10hipError_tT0_T1_T2_jT3_P12ihipStream_tbPNSt15iterator_traitsISG_E10value_typeEPNSM_ISH_E10value_typeEPSI_NS1_7vsmem_tEENKUlT_SG_SH_SI_E_clIS7_S7_S7_SB_EESF_SV_SG_SH_SI_EUlSV_E_NS1_11comp_targetILNS1_3genE2ELNS1_11target_archE906ELNS1_3gpuE6ELNS1_3repE0EEENS1_48merge_mergepath_partition_config_static_selectorELNS0_4arch9wavefront6targetE1EEEvSH_
	.globl	_ZN7rocprim17ROCPRIM_400000_NS6detail17trampoline_kernelINS0_14default_configENS1_38merge_sort_block_merge_config_selectorIllEEZZNS1_27merge_sort_block_merge_implIS3_PlN6thrust23THRUST_200600_302600_NS10device_ptrIlEEjNS1_19radix_merge_compareILb0ELb1ElNS0_19identity_decomposerEEEEE10hipError_tT0_T1_T2_jT3_P12ihipStream_tbPNSt15iterator_traitsISG_E10value_typeEPNSM_ISH_E10value_typeEPSI_NS1_7vsmem_tEENKUlT_SG_SH_SI_E_clIS7_S7_S7_SB_EESF_SV_SG_SH_SI_EUlSV_E_NS1_11comp_targetILNS1_3genE2ELNS1_11target_archE906ELNS1_3gpuE6ELNS1_3repE0EEENS1_48merge_mergepath_partition_config_static_selectorELNS0_4arch9wavefront6targetE1EEEvSH_
	.p2align	8
	.type	_ZN7rocprim17ROCPRIM_400000_NS6detail17trampoline_kernelINS0_14default_configENS1_38merge_sort_block_merge_config_selectorIllEEZZNS1_27merge_sort_block_merge_implIS3_PlN6thrust23THRUST_200600_302600_NS10device_ptrIlEEjNS1_19radix_merge_compareILb0ELb1ElNS0_19identity_decomposerEEEEE10hipError_tT0_T1_T2_jT3_P12ihipStream_tbPNSt15iterator_traitsISG_E10value_typeEPNSM_ISH_E10value_typeEPSI_NS1_7vsmem_tEENKUlT_SG_SH_SI_E_clIS7_S7_S7_SB_EESF_SV_SG_SH_SI_EUlSV_E_NS1_11comp_targetILNS1_3genE2ELNS1_11target_archE906ELNS1_3gpuE6ELNS1_3repE0EEENS1_48merge_mergepath_partition_config_static_selectorELNS0_4arch9wavefront6targetE1EEEvSH_,@function
_ZN7rocprim17ROCPRIM_400000_NS6detail17trampoline_kernelINS0_14default_configENS1_38merge_sort_block_merge_config_selectorIllEEZZNS1_27merge_sort_block_merge_implIS3_PlN6thrust23THRUST_200600_302600_NS10device_ptrIlEEjNS1_19radix_merge_compareILb0ELb1ElNS0_19identity_decomposerEEEEE10hipError_tT0_T1_T2_jT3_P12ihipStream_tbPNSt15iterator_traitsISG_E10value_typeEPNSM_ISH_E10value_typeEPSI_NS1_7vsmem_tEENKUlT_SG_SH_SI_E_clIS7_S7_S7_SB_EESF_SV_SG_SH_SI_EUlSV_E_NS1_11comp_targetILNS1_3genE2ELNS1_11target_archE906ELNS1_3gpuE6ELNS1_3repE0EEENS1_48merge_mergepath_partition_config_static_selectorELNS0_4arch9wavefront6targetE1EEEvSH_: ; @_ZN7rocprim17ROCPRIM_400000_NS6detail17trampoline_kernelINS0_14default_configENS1_38merge_sort_block_merge_config_selectorIllEEZZNS1_27merge_sort_block_merge_implIS3_PlN6thrust23THRUST_200600_302600_NS10device_ptrIlEEjNS1_19radix_merge_compareILb0ELb1ElNS0_19identity_decomposerEEEEE10hipError_tT0_T1_T2_jT3_P12ihipStream_tbPNSt15iterator_traitsISG_E10value_typeEPNSM_ISH_E10value_typeEPSI_NS1_7vsmem_tEENKUlT_SG_SH_SI_E_clIS7_S7_S7_SB_EESF_SV_SG_SH_SI_EUlSV_E_NS1_11comp_targetILNS1_3genE2ELNS1_11target_archE906ELNS1_3gpuE6ELNS1_3repE0EEENS1_48merge_mergepath_partition_config_static_selectorELNS0_4arch9wavefront6targetE1EEEvSH_
; %bb.0:
	s_load_dword s0, s[4:5], 0x0
	v_lshl_or_b32 v0, s6, 7, v0
	s_waitcnt lgkmcnt(0)
	v_cmp_gt_u32_e32 vcc, s0, v0
	s_and_saveexec_b64 s[0:1], vcc
	s_cbranch_execz .LBB1071_6
; %bb.1:
	s_load_dwordx2 s[6:7], s[4:5], 0x4
	s_load_dwordx4 s[0:3], s[4:5], 0x18
	s_waitcnt lgkmcnt(0)
	s_lshr_b32 s8, s6, 9
	s_and_b32 s8, s8, 0x7ffffe
	s_add_i32 s9, s8, -1
	s_sub_i32 s8, 0, s8
	v_and_b32_e32 v1, s8, v0
	v_lshlrev_b32_e32 v3, 10, v1
	v_min_u32_e32 v1, s7, v3
	v_add_u32_e32 v3, s6, v3
	v_min_u32_e32 v3, s7, v3
	v_add_u32_e32 v4, s6, v3
	v_and_b32_e32 v2, s9, v0
	v_min_u32_e32 v4, s7, v4
	v_sub_u32_e32 v5, v4, v1
	v_lshlrev_b32_e32 v2, 10, v2
	v_min_u32_e32 v6, v5, v2
	v_sub_u32_e32 v2, v3, v1
	v_sub_u32_e32 v4, v4, v3
	v_sub_u32_e64 v5, v6, v4 clamp
	v_min_u32_e32 v7, v6, v2
	v_cmp_lt_u32_e32 vcc, v5, v7
	s_and_saveexec_b64 s[6:7], vcc
	s_cbranch_execz .LBB1071_5
; %bb.2:
	s_load_dwordx2 s[4:5], s[4:5], 0x10
	v_mov_b32_e32 v4, 0
	v_mov_b32_e32 v2, v4
	v_lshlrev_b64 v[8:9], 3, v[1:2]
	s_waitcnt lgkmcnt(0)
	v_mov_b32_e32 v11, s5
	v_add_co_u32_e32 v2, vcc, s4, v8
	v_addc_co_u32_e32 v8, vcc, v11, v9, vcc
	v_lshlrev_b64 v[9:10], 3, v[3:4]
	v_add_co_u32_e32 v9, vcc, s4, v9
	v_addc_co_u32_e32 v10, vcc, v11, v10, vcc
	s_mov_b64 s[4:5], 0
.LBB1071_3:                             ; =>This Inner Loop Header: Depth=1
	v_add_u32_e32 v3, v7, v5
	v_lshrrev_b32_e32 v3, 1, v3
	v_lshlrev_b64 v[13:14], 3, v[3:4]
	v_mov_b32_e32 v12, v4
	v_xad_u32 v11, v3, -1, v6
	v_lshlrev_b64 v[11:12], 3, v[11:12]
	v_add_co_u32_e32 v13, vcc, v2, v13
	v_addc_co_u32_e32 v14, vcc, v8, v14, vcc
	v_add_co_u32_e32 v11, vcc, v9, v11
	v_addc_co_u32_e32 v12, vcc, v10, v12, vcc
	global_load_dwordx2 v[13:14], v[13:14], off
	v_add_u32_e32 v15, 1, v3
	global_load_dwordx2 v[11:12], v[11:12], off
	s_waitcnt vmcnt(1)
	v_and_b32_e32 v14, s1, v14
	v_and_b32_e32 v13, s0, v13
	s_waitcnt vmcnt(0)
	v_and_b32_e32 v12, s1, v12
	v_and_b32_e32 v11, s0, v11
	v_cmp_gt_i64_e32 vcc, v[13:14], v[11:12]
	v_cndmask_b32_e32 v7, v7, v3, vcc
	v_cndmask_b32_e32 v5, v15, v5, vcc
	v_cmp_ge_u32_e32 vcc, v5, v7
	s_or_b64 s[4:5], vcc, s[4:5]
	s_andn2_b64 exec, exec, s[4:5]
	s_cbranch_execnz .LBB1071_3
; %bb.4:
	s_or_b64 exec, exec, s[4:5]
.LBB1071_5:
	s_or_b64 exec, exec, s[6:7]
	v_add_u32_e32 v2, v5, v1
	v_mov_b32_e32 v1, 0
	v_lshlrev_b64 v[0:1], 2, v[0:1]
	v_mov_b32_e32 v3, s3
	v_add_co_u32_e32 v0, vcc, s2, v0
	v_addc_co_u32_e32 v1, vcc, v3, v1, vcc
	global_store_dword v[0:1], v2, off
.LBB1071_6:
	s_endpgm
	.section	.rodata,"a",@progbits
	.p2align	6, 0x0
	.amdhsa_kernel _ZN7rocprim17ROCPRIM_400000_NS6detail17trampoline_kernelINS0_14default_configENS1_38merge_sort_block_merge_config_selectorIllEEZZNS1_27merge_sort_block_merge_implIS3_PlN6thrust23THRUST_200600_302600_NS10device_ptrIlEEjNS1_19radix_merge_compareILb0ELb1ElNS0_19identity_decomposerEEEEE10hipError_tT0_T1_T2_jT3_P12ihipStream_tbPNSt15iterator_traitsISG_E10value_typeEPNSM_ISH_E10value_typeEPSI_NS1_7vsmem_tEENKUlT_SG_SH_SI_E_clIS7_S7_S7_SB_EESF_SV_SG_SH_SI_EUlSV_E_NS1_11comp_targetILNS1_3genE2ELNS1_11target_archE906ELNS1_3gpuE6ELNS1_3repE0EEENS1_48merge_mergepath_partition_config_static_selectorELNS0_4arch9wavefront6targetE1EEEvSH_
		.amdhsa_group_segment_fixed_size 0
		.amdhsa_private_segment_fixed_size 0
		.amdhsa_kernarg_size 40
		.amdhsa_user_sgpr_count 6
		.amdhsa_user_sgpr_private_segment_buffer 1
		.amdhsa_user_sgpr_dispatch_ptr 0
		.amdhsa_user_sgpr_queue_ptr 0
		.amdhsa_user_sgpr_kernarg_segment_ptr 1
		.amdhsa_user_sgpr_dispatch_id 0
		.amdhsa_user_sgpr_flat_scratch_init 0
		.amdhsa_user_sgpr_private_segment_size 0
		.amdhsa_uses_dynamic_stack 0
		.amdhsa_system_sgpr_private_segment_wavefront_offset 0
		.amdhsa_system_sgpr_workgroup_id_x 1
		.amdhsa_system_sgpr_workgroup_id_y 0
		.amdhsa_system_sgpr_workgroup_id_z 0
		.amdhsa_system_sgpr_workgroup_info 0
		.amdhsa_system_vgpr_workitem_id 0
		.amdhsa_next_free_vgpr 16
		.amdhsa_next_free_sgpr 10
		.amdhsa_reserve_vcc 1
		.amdhsa_reserve_flat_scratch 0
		.amdhsa_float_round_mode_32 0
		.amdhsa_float_round_mode_16_64 0
		.amdhsa_float_denorm_mode_32 3
		.amdhsa_float_denorm_mode_16_64 3
		.amdhsa_dx10_clamp 1
		.amdhsa_ieee_mode 1
		.amdhsa_fp16_overflow 0
		.amdhsa_exception_fp_ieee_invalid_op 0
		.amdhsa_exception_fp_denorm_src 0
		.amdhsa_exception_fp_ieee_div_zero 0
		.amdhsa_exception_fp_ieee_overflow 0
		.amdhsa_exception_fp_ieee_underflow 0
		.amdhsa_exception_fp_ieee_inexact 0
		.amdhsa_exception_int_div_zero 0
	.end_amdhsa_kernel
	.section	.text._ZN7rocprim17ROCPRIM_400000_NS6detail17trampoline_kernelINS0_14default_configENS1_38merge_sort_block_merge_config_selectorIllEEZZNS1_27merge_sort_block_merge_implIS3_PlN6thrust23THRUST_200600_302600_NS10device_ptrIlEEjNS1_19radix_merge_compareILb0ELb1ElNS0_19identity_decomposerEEEEE10hipError_tT0_T1_T2_jT3_P12ihipStream_tbPNSt15iterator_traitsISG_E10value_typeEPNSM_ISH_E10value_typeEPSI_NS1_7vsmem_tEENKUlT_SG_SH_SI_E_clIS7_S7_S7_SB_EESF_SV_SG_SH_SI_EUlSV_E_NS1_11comp_targetILNS1_3genE2ELNS1_11target_archE906ELNS1_3gpuE6ELNS1_3repE0EEENS1_48merge_mergepath_partition_config_static_selectorELNS0_4arch9wavefront6targetE1EEEvSH_,"axG",@progbits,_ZN7rocprim17ROCPRIM_400000_NS6detail17trampoline_kernelINS0_14default_configENS1_38merge_sort_block_merge_config_selectorIllEEZZNS1_27merge_sort_block_merge_implIS3_PlN6thrust23THRUST_200600_302600_NS10device_ptrIlEEjNS1_19radix_merge_compareILb0ELb1ElNS0_19identity_decomposerEEEEE10hipError_tT0_T1_T2_jT3_P12ihipStream_tbPNSt15iterator_traitsISG_E10value_typeEPNSM_ISH_E10value_typeEPSI_NS1_7vsmem_tEENKUlT_SG_SH_SI_E_clIS7_S7_S7_SB_EESF_SV_SG_SH_SI_EUlSV_E_NS1_11comp_targetILNS1_3genE2ELNS1_11target_archE906ELNS1_3gpuE6ELNS1_3repE0EEENS1_48merge_mergepath_partition_config_static_selectorELNS0_4arch9wavefront6targetE1EEEvSH_,comdat
.Lfunc_end1071:
	.size	_ZN7rocprim17ROCPRIM_400000_NS6detail17trampoline_kernelINS0_14default_configENS1_38merge_sort_block_merge_config_selectorIllEEZZNS1_27merge_sort_block_merge_implIS3_PlN6thrust23THRUST_200600_302600_NS10device_ptrIlEEjNS1_19radix_merge_compareILb0ELb1ElNS0_19identity_decomposerEEEEE10hipError_tT0_T1_T2_jT3_P12ihipStream_tbPNSt15iterator_traitsISG_E10value_typeEPNSM_ISH_E10value_typeEPSI_NS1_7vsmem_tEENKUlT_SG_SH_SI_E_clIS7_S7_S7_SB_EESF_SV_SG_SH_SI_EUlSV_E_NS1_11comp_targetILNS1_3genE2ELNS1_11target_archE906ELNS1_3gpuE6ELNS1_3repE0EEENS1_48merge_mergepath_partition_config_static_selectorELNS0_4arch9wavefront6targetE1EEEvSH_, .Lfunc_end1071-_ZN7rocprim17ROCPRIM_400000_NS6detail17trampoline_kernelINS0_14default_configENS1_38merge_sort_block_merge_config_selectorIllEEZZNS1_27merge_sort_block_merge_implIS3_PlN6thrust23THRUST_200600_302600_NS10device_ptrIlEEjNS1_19radix_merge_compareILb0ELb1ElNS0_19identity_decomposerEEEEE10hipError_tT0_T1_T2_jT3_P12ihipStream_tbPNSt15iterator_traitsISG_E10value_typeEPNSM_ISH_E10value_typeEPSI_NS1_7vsmem_tEENKUlT_SG_SH_SI_E_clIS7_S7_S7_SB_EESF_SV_SG_SH_SI_EUlSV_E_NS1_11comp_targetILNS1_3genE2ELNS1_11target_archE906ELNS1_3gpuE6ELNS1_3repE0EEENS1_48merge_mergepath_partition_config_static_selectorELNS0_4arch9wavefront6targetE1EEEvSH_
                                        ; -- End function
	.set _ZN7rocprim17ROCPRIM_400000_NS6detail17trampoline_kernelINS0_14default_configENS1_38merge_sort_block_merge_config_selectorIllEEZZNS1_27merge_sort_block_merge_implIS3_PlN6thrust23THRUST_200600_302600_NS10device_ptrIlEEjNS1_19radix_merge_compareILb0ELb1ElNS0_19identity_decomposerEEEEE10hipError_tT0_T1_T2_jT3_P12ihipStream_tbPNSt15iterator_traitsISG_E10value_typeEPNSM_ISH_E10value_typeEPSI_NS1_7vsmem_tEENKUlT_SG_SH_SI_E_clIS7_S7_S7_SB_EESF_SV_SG_SH_SI_EUlSV_E_NS1_11comp_targetILNS1_3genE2ELNS1_11target_archE906ELNS1_3gpuE6ELNS1_3repE0EEENS1_48merge_mergepath_partition_config_static_selectorELNS0_4arch9wavefront6targetE1EEEvSH_.num_vgpr, 16
	.set _ZN7rocprim17ROCPRIM_400000_NS6detail17trampoline_kernelINS0_14default_configENS1_38merge_sort_block_merge_config_selectorIllEEZZNS1_27merge_sort_block_merge_implIS3_PlN6thrust23THRUST_200600_302600_NS10device_ptrIlEEjNS1_19radix_merge_compareILb0ELb1ElNS0_19identity_decomposerEEEEE10hipError_tT0_T1_T2_jT3_P12ihipStream_tbPNSt15iterator_traitsISG_E10value_typeEPNSM_ISH_E10value_typeEPSI_NS1_7vsmem_tEENKUlT_SG_SH_SI_E_clIS7_S7_S7_SB_EESF_SV_SG_SH_SI_EUlSV_E_NS1_11comp_targetILNS1_3genE2ELNS1_11target_archE906ELNS1_3gpuE6ELNS1_3repE0EEENS1_48merge_mergepath_partition_config_static_selectorELNS0_4arch9wavefront6targetE1EEEvSH_.num_agpr, 0
	.set _ZN7rocprim17ROCPRIM_400000_NS6detail17trampoline_kernelINS0_14default_configENS1_38merge_sort_block_merge_config_selectorIllEEZZNS1_27merge_sort_block_merge_implIS3_PlN6thrust23THRUST_200600_302600_NS10device_ptrIlEEjNS1_19radix_merge_compareILb0ELb1ElNS0_19identity_decomposerEEEEE10hipError_tT0_T1_T2_jT3_P12ihipStream_tbPNSt15iterator_traitsISG_E10value_typeEPNSM_ISH_E10value_typeEPSI_NS1_7vsmem_tEENKUlT_SG_SH_SI_E_clIS7_S7_S7_SB_EESF_SV_SG_SH_SI_EUlSV_E_NS1_11comp_targetILNS1_3genE2ELNS1_11target_archE906ELNS1_3gpuE6ELNS1_3repE0EEENS1_48merge_mergepath_partition_config_static_selectorELNS0_4arch9wavefront6targetE1EEEvSH_.numbered_sgpr, 10
	.set _ZN7rocprim17ROCPRIM_400000_NS6detail17trampoline_kernelINS0_14default_configENS1_38merge_sort_block_merge_config_selectorIllEEZZNS1_27merge_sort_block_merge_implIS3_PlN6thrust23THRUST_200600_302600_NS10device_ptrIlEEjNS1_19radix_merge_compareILb0ELb1ElNS0_19identity_decomposerEEEEE10hipError_tT0_T1_T2_jT3_P12ihipStream_tbPNSt15iterator_traitsISG_E10value_typeEPNSM_ISH_E10value_typeEPSI_NS1_7vsmem_tEENKUlT_SG_SH_SI_E_clIS7_S7_S7_SB_EESF_SV_SG_SH_SI_EUlSV_E_NS1_11comp_targetILNS1_3genE2ELNS1_11target_archE906ELNS1_3gpuE6ELNS1_3repE0EEENS1_48merge_mergepath_partition_config_static_selectorELNS0_4arch9wavefront6targetE1EEEvSH_.num_named_barrier, 0
	.set _ZN7rocprim17ROCPRIM_400000_NS6detail17trampoline_kernelINS0_14default_configENS1_38merge_sort_block_merge_config_selectorIllEEZZNS1_27merge_sort_block_merge_implIS3_PlN6thrust23THRUST_200600_302600_NS10device_ptrIlEEjNS1_19radix_merge_compareILb0ELb1ElNS0_19identity_decomposerEEEEE10hipError_tT0_T1_T2_jT3_P12ihipStream_tbPNSt15iterator_traitsISG_E10value_typeEPNSM_ISH_E10value_typeEPSI_NS1_7vsmem_tEENKUlT_SG_SH_SI_E_clIS7_S7_S7_SB_EESF_SV_SG_SH_SI_EUlSV_E_NS1_11comp_targetILNS1_3genE2ELNS1_11target_archE906ELNS1_3gpuE6ELNS1_3repE0EEENS1_48merge_mergepath_partition_config_static_selectorELNS0_4arch9wavefront6targetE1EEEvSH_.private_seg_size, 0
	.set _ZN7rocprim17ROCPRIM_400000_NS6detail17trampoline_kernelINS0_14default_configENS1_38merge_sort_block_merge_config_selectorIllEEZZNS1_27merge_sort_block_merge_implIS3_PlN6thrust23THRUST_200600_302600_NS10device_ptrIlEEjNS1_19radix_merge_compareILb0ELb1ElNS0_19identity_decomposerEEEEE10hipError_tT0_T1_T2_jT3_P12ihipStream_tbPNSt15iterator_traitsISG_E10value_typeEPNSM_ISH_E10value_typeEPSI_NS1_7vsmem_tEENKUlT_SG_SH_SI_E_clIS7_S7_S7_SB_EESF_SV_SG_SH_SI_EUlSV_E_NS1_11comp_targetILNS1_3genE2ELNS1_11target_archE906ELNS1_3gpuE6ELNS1_3repE0EEENS1_48merge_mergepath_partition_config_static_selectorELNS0_4arch9wavefront6targetE1EEEvSH_.uses_vcc, 1
	.set _ZN7rocprim17ROCPRIM_400000_NS6detail17trampoline_kernelINS0_14default_configENS1_38merge_sort_block_merge_config_selectorIllEEZZNS1_27merge_sort_block_merge_implIS3_PlN6thrust23THRUST_200600_302600_NS10device_ptrIlEEjNS1_19radix_merge_compareILb0ELb1ElNS0_19identity_decomposerEEEEE10hipError_tT0_T1_T2_jT3_P12ihipStream_tbPNSt15iterator_traitsISG_E10value_typeEPNSM_ISH_E10value_typeEPSI_NS1_7vsmem_tEENKUlT_SG_SH_SI_E_clIS7_S7_S7_SB_EESF_SV_SG_SH_SI_EUlSV_E_NS1_11comp_targetILNS1_3genE2ELNS1_11target_archE906ELNS1_3gpuE6ELNS1_3repE0EEENS1_48merge_mergepath_partition_config_static_selectorELNS0_4arch9wavefront6targetE1EEEvSH_.uses_flat_scratch, 0
	.set _ZN7rocprim17ROCPRIM_400000_NS6detail17trampoline_kernelINS0_14default_configENS1_38merge_sort_block_merge_config_selectorIllEEZZNS1_27merge_sort_block_merge_implIS3_PlN6thrust23THRUST_200600_302600_NS10device_ptrIlEEjNS1_19radix_merge_compareILb0ELb1ElNS0_19identity_decomposerEEEEE10hipError_tT0_T1_T2_jT3_P12ihipStream_tbPNSt15iterator_traitsISG_E10value_typeEPNSM_ISH_E10value_typeEPSI_NS1_7vsmem_tEENKUlT_SG_SH_SI_E_clIS7_S7_S7_SB_EESF_SV_SG_SH_SI_EUlSV_E_NS1_11comp_targetILNS1_3genE2ELNS1_11target_archE906ELNS1_3gpuE6ELNS1_3repE0EEENS1_48merge_mergepath_partition_config_static_selectorELNS0_4arch9wavefront6targetE1EEEvSH_.has_dyn_sized_stack, 0
	.set _ZN7rocprim17ROCPRIM_400000_NS6detail17trampoline_kernelINS0_14default_configENS1_38merge_sort_block_merge_config_selectorIllEEZZNS1_27merge_sort_block_merge_implIS3_PlN6thrust23THRUST_200600_302600_NS10device_ptrIlEEjNS1_19radix_merge_compareILb0ELb1ElNS0_19identity_decomposerEEEEE10hipError_tT0_T1_T2_jT3_P12ihipStream_tbPNSt15iterator_traitsISG_E10value_typeEPNSM_ISH_E10value_typeEPSI_NS1_7vsmem_tEENKUlT_SG_SH_SI_E_clIS7_S7_S7_SB_EESF_SV_SG_SH_SI_EUlSV_E_NS1_11comp_targetILNS1_3genE2ELNS1_11target_archE906ELNS1_3gpuE6ELNS1_3repE0EEENS1_48merge_mergepath_partition_config_static_selectorELNS0_4arch9wavefront6targetE1EEEvSH_.has_recursion, 0
	.set _ZN7rocprim17ROCPRIM_400000_NS6detail17trampoline_kernelINS0_14default_configENS1_38merge_sort_block_merge_config_selectorIllEEZZNS1_27merge_sort_block_merge_implIS3_PlN6thrust23THRUST_200600_302600_NS10device_ptrIlEEjNS1_19radix_merge_compareILb0ELb1ElNS0_19identity_decomposerEEEEE10hipError_tT0_T1_T2_jT3_P12ihipStream_tbPNSt15iterator_traitsISG_E10value_typeEPNSM_ISH_E10value_typeEPSI_NS1_7vsmem_tEENKUlT_SG_SH_SI_E_clIS7_S7_S7_SB_EESF_SV_SG_SH_SI_EUlSV_E_NS1_11comp_targetILNS1_3genE2ELNS1_11target_archE906ELNS1_3gpuE6ELNS1_3repE0EEENS1_48merge_mergepath_partition_config_static_selectorELNS0_4arch9wavefront6targetE1EEEvSH_.has_indirect_call, 0
	.section	.AMDGPU.csdata,"",@progbits
; Kernel info:
; codeLenInByte = 380
; TotalNumSgprs: 14
; NumVgprs: 16
; ScratchSize: 0
; MemoryBound: 0
; FloatMode: 240
; IeeeMode: 1
; LDSByteSize: 0 bytes/workgroup (compile time only)
; SGPRBlocks: 1
; VGPRBlocks: 3
; NumSGPRsForWavesPerEU: 14
; NumVGPRsForWavesPerEU: 16
; Occupancy: 10
; WaveLimiterHint : 0
; COMPUTE_PGM_RSRC2:SCRATCH_EN: 0
; COMPUTE_PGM_RSRC2:USER_SGPR: 6
; COMPUTE_PGM_RSRC2:TRAP_HANDLER: 0
; COMPUTE_PGM_RSRC2:TGID_X_EN: 1
; COMPUTE_PGM_RSRC2:TGID_Y_EN: 0
; COMPUTE_PGM_RSRC2:TGID_Z_EN: 0
; COMPUTE_PGM_RSRC2:TIDIG_COMP_CNT: 0
	.section	.text._ZN7rocprim17ROCPRIM_400000_NS6detail17trampoline_kernelINS0_14default_configENS1_38merge_sort_block_merge_config_selectorIllEEZZNS1_27merge_sort_block_merge_implIS3_PlN6thrust23THRUST_200600_302600_NS10device_ptrIlEEjNS1_19radix_merge_compareILb0ELb1ElNS0_19identity_decomposerEEEEE10hipError_tT0_T1_T2_jT3_P12ihipStream_tbPNSt15iterator_traitsISG_E10value_typeEPNSM_ISH_E10value_typeEPSI_NS1_7vsmem_tEENKUlT_SG_SH_SI_E_clIS7_S7_S7_SB_EESF_SV_SG_SH_SI_EUlSV_E_NS1_11comp_targetILNS1_3genE9ELNS1_11target_archE1100ELNS1_3gpuE3ELNS1_3repE0EEENS1_48merge_mergepath_partition_config_static_selectorELNS0_4arch9wavefront6targetE1EEEvSH_,"axG",@progbits,_ZN7rocprim17ROCPRIM_400000_NS6detail17trampoline_kernelINS0_14default_configENS1_38merge_sort_block_merge_config_selectorIllEEZZNS1_27merge_sort_block_merge_implIS3_PlN6thrust23THRUST_200600_302600_NS10device_ptrIlEEjNS1_19radix_merge_compareILb0ELb1ElNS0_19identity_decomposerEEEEE10hipError_tT0_T1_T2_jT3_P12ihipStream_tbPNSt15iterator_traitsISG_E10value_typeEPNSM_ISH_E10value_typeEPSI_NS1_7vsmem_tEENKUlT_SG_SH_SI_E_clIS7_S7_S7_SB_EESF_SV_SG_SH_SI_EUlSV_E_NS1_11comp_targetILNS1_3genE9ELNS1_11target_archE1100ELNS1_3gpuE3ELNS1_3repE0EEENS1_48merge_mergepath_partition_config_static_selectorELNS0_4arch9wavefront6targetE1EEEvSH_,comdat
	.protected	_ZN7rocprim17ROCPRIM_400000_NS6detail17trampoline_kernelINS0_14default_configENS1_38merge_sort_block_merge_config_selectorIllEEZZNS1_27merge_sort_block_merge_implIS3_PlN6thrust23THRUST_200600_302600_NS10device_ptrIlEEjNS1_19radix_merge_compareILb0ELb1ElNS0_19identity_decomposerEEEEE10hipError_tT0_T1_T2_jT3_P12ihipStream_tbPNSt15iterator_traitsISG_E10value_typeEPNSM_ISH_E10value_typeEPSI_NS1_7vsmem_tEENKUlT_SG_SH_SI_E_clIS7_S7_S7_SB_EESF_SV_SG_SH_SI_EUlSV_E_NS1_11comp_targetILNS1_3genE9ELNS1_11target_archE1100ELNS1_3gpuE3ELNS1_3repE0EEENS1_48merge_mergepath_partition_config_static_selectorELNS0_4arch9wavefront6targetE1EEEvSH_ ; -- Begin function _ZN7rocprim17ROCPRIM_400000_NS6detail17trampoline_kernelINS0_14default_configENS1_38merge_sort_block_merge_config_selectorIllEEZZNS1_27merge_sort_block_merge_implIS3_PlN6thrust23THRUST_200600_302600_NS10device_ptrIlEEjNS1_19radix_merge_compareILb0ELb1ElNS0_19identity_decomposerEEEEE10hipError_tT0_T1_T2_jT3_P12ihipStream_tbPNSt15iterator_traitsISG_E10value_typeEPNSM_ISH_E10value_typeEPSI_NS1_7vsmem_tEENKUlT_SG_SH_SI_E_clIS7_S7_S7_SB_EESF_SV_SG_SH_SI_EUlSV_E_NS1_11comp_targetILNS1_3genE9ELNS1_11target_archE1100ELNS1_3gpuE3ELNS1_3repE0EEENS1_48merge_mergepath_partition_config_static_selectorELNS0_4arch9wavefront6targetE1EEEvSH_
	.globl	_ZN7rocprim17ROCPRIM_400000_NS6detail17trampoline_kernelINS0_14default_configENS1_38merge_sort_block_merge_config_selectorIllEEZZNS1_27merge_sort_block_merge_implIS3_PlN6thrust23THRUST_200600_302600_NS10device_ptrIlEEjNS1_19radix_merge_compareILb0ELb1ElNS0_19identity_decomposerEEEEE10hipError_tT0_T1_T2_jT3_P12ihipStream_tbPNSt15iterator_traitsISG_E10value_typeEPNSM_ISH_E10value_typeEPSI_NS1_7vsmem_tEENKUlT_SG_SH_SI_E_clIS7_S7_S7_SB_EESF_SV_SG_SH_SI_EUlSV_E_NS1_11comp_targetILNS1_3genE9ELNS1_11target_archE1100ELNS1_3gpuE3ELNS1_3repE0EEENS1_48merge_mergepath_partition_config_static_selectorELNS0_4arch9wavefront6targetE1EEEvSH_
	.p2align	8
	.type	_ZN7rocprim17ROCPRIM_400000_NS6detail17trampoline_kernelINS0_14default_configENS1_38merge_sort_block_merge_config_selectorIllEEZZNS1_27merge_sort_block_merge_implIS3_PlN6thrust23THRUST_200600_302600_NS10device_ptrIlEEjNS1_19radix_merge_compareILb0ELb1ElNS0_19identity_decomposerEEEEE10hipError_tT0_T1_T2_jT3_P12ihipStream_tbPNSt15iterator_traitsISG_E10value_typeEPNSM_ISH_E10value_typeEPSI_NS1_7vsmem_tEENKUlT_SG_SH_SI_E_clIS7_S7_S7_SB_EESF_SV_SG_SH_SI_EUlSV_E_NS1_11comp_targetILNS1_3genE9ELNS1_11target_archE1100ELNS1_3gpuE3ELNS1_3repE0EEENS1_48merge_mergepath_partition_config_static_selectorELNS0_4arch9wavefront6targetE1EEEvSH_,@function
_ZN7rocprim17ROCPRIM_400000_NS6detail17trampoline_kernelINS0_14default_configENS1_38merge_sort_block_merge_config_selectorIllEEZZNS1_27merge_sort_block_merge_implIS3_PlN6thrust23THRUST_200600_302600_NS10device_ptrIlEEjNS1_19radix_merge_compareILb0ELb1ElNS0_19identity_decomposerEEEEE10hipError_tT0_T1_T2_jT3_P12ihipStream_tbPNSt15iterator_traitsISG_E10value_typeEPNSM_ISH_E10value_typeEPSI_NS1_7vsmem_tEENKUlT_SG_SH_SI_E_clIS7_S7_S7_SB_EESF_SV_SG_SH_SI_EUlSV_E_NS1_11comp_targetILNS1_3genE9ELNS1_11target_archE1100ELNS1_3gpuE3ELNS1_3repE0EEENS1_48merge_mergepath_partition_config_static_selectorELNS0_4arch9wavefront6targetE1EEEvSH_: ; @_ZN7rocprim17ROCPRIM_400000_NS6detail17trampoline_kernelINS0_14default_configENS1_38merge_sort_block_merge_config_selectorIllEEZZNS1_27merge_sort_block_merge_implIS3_PlN6thrust23THRUST_200600_302600_NS10device_ptrIlEEjNS1_19radix_merge_compareILb0ELb1ElNS0_19identity_decomposerEEEEE10hipError_tT0_T1_T2_jT3_P12ihipStream_tbPNSt15iterator_traitsISG_E10value_typeEPNSM_ISH_E10value_typeEPSI_NS1_7vsmem_tEENKUlT_SG_SH_SI_E_clIS7_S7_S7_SB_EESF_SV_SG_SH_SI_EUlSV_E_NS1_11comp_targetILNS1_3genE9ELNS1_11target_archE1100ELNS1_3gpuE3ELNS1_3repE0EEENS1_48merge_mergepath_partition_config_static_selectorELNS0_4arch9wavefront6targetE1EEEvSH_
; %bb.0:
	.section	.rodata,"a",@progbits
	.p2align	6, 0x0
	.amdhsa_kernel _ZN7rocprim17ROCPRIM_400000_NS6detail17trampoline_kernelINS0_14default_configENS1_38merge_sort_block_merge_config_selectorIllEEZZNS1_27merge_sort_block_merge_implIS3_PlN6thrust23THRUST_200600_302600_NS10device_ptrIlEEjNS1_19radix_merge_compareILb0ELb1ElNS0_19identity_decomposerEEEEE10hipError_tT0_T1_T2_jT3_P12ihipStream_tbPNSt15iterator_traitsISG_E10value_typeEPNSM_ISH_E10value_typeEPSI_NS1_7vsmem_tEENKUlT_SG_SH_SI_E_clIS7_S7_S7_SB_EESF_SV_SG_SH_SI_EUlSV_E_NS1_11comp_targetILNS1_3genE9ELNS1_11target_archE1100ELNS1_3gpuE3ELNS1_3repE0EEENS1_48merge_mergepath_partition_config_static_selectorELNS0_4arch9wavefront6targetE1EEEvSH_
		.amdhsa_group_segment_fixed_size 0
		.amdhsa_private_segment_fixed_size 0
		.amdhsa_kernarg_size 40
		.amdhsa_user_sgpr_count 6
		.amdhsa_user_sgpr_private_segment_buffer 1
		.amdhsa_user_sgpr_dispatch_ptr 0
		.amdhsa_user_sgpr_queue_ptr 0
		.amdhsa_user_sgpr_kernarg_segment_ptr 1
		.amdhsa_user_sgpr_dispatch_id 0
		.amdhsa_user_sgpr_flat_scratch_init 0
		.amdhsa_user_sgpr_private_segment_size 0
		.amdhsa_uses_dynamic_stack 0
		.amdhsa_system_sgpr_private_segment_wavefront_offset 0
		.amdhsa_system_sgpr_workgroup_id_x 1
		.amdhsa_system_sgpr_workgroup_id_y 0
		.amdhsa_system_sgpr_workgroup_id_z 0
		.amdhsa_system_sgpr_workgroup_info 0
		.amdhsa_system_vgpr_workitem_id 0
		.amdhsa_next_free_vgpr 1
		.amdhsa_next_free_sgpr 0
		.amdhsa_reserve_vcc 0
		.amdhsa_reserve_flat_scratch 0
		.amdhsa_float_round_mode_32 0
		.amdhsa_float_round_mode_16_64 0
		.amdhsa_float_denorm_mode_32 3
		.amdhsa_float_denorm_mode_16_64 3
		.amdhsa_dx10_clamp 1
		.amdhsa_ieee_mode 1
		.amdhsa_fp16_overflow 0
		.amdhsa_exception_fp_ieee_invalid_op 0
		.amdhsa_exception_fp_denorm_src 0
		.amdhsa_exception_fp_ieee_div_zero 0
		.amdhsa_exception_fp_ieee_overflow 0
		.amdhsa_exception_fp_ieee_underflow 0
		.amdhsa_exception_fp_ieee_inexact 0
		.amdhsa_exception_int_div_zero 0
	.end_amdhsa_kernel
	.section	.text._ZN7rocprim17ROCPRIM_400000_NS6detail17trampoline_kernelINS0_14default_configENS1_38merge_sort_block_merge_config_selectorIllEEZZNS1_27merge_sort_block_merge_implIS3_PlN6thrust23THRUST_200600_302600_NS10device_ptrIlEEjNS1_19radix_merge_compareILb0ELb1ElNS0_19identity_decomposerEEEEE10hipError_tT0_T1_T2_jT3_P12ihipStream_tbPNSt15iterator_traitsISG_E10value_typeEPNSM_ISH_E10value_typeEPSI_NS1_7vsmem_tEENKUlT_SG_SH_SI_E_clIS7_S7_S7_SB_EESF_SV_SG_SH_SI_EUlSV_E_NS1_11comp_targetILNS1_3genE9ELNS1_11target_archE1100ELNS1_3gpuE3ELNS1_3repE0EEENS1_48merge_mergepath_partition_config_static_selectorELNS0_4arch9wavefront6targetE1EEEvSH_,"axG",@progbits,_ZN7rocprim17ROCPRIM_400000_NS6detail17trampoline_kernelINS0_14default_configENS1_38merge_sort_block_merge_config_selectorIllEEZZNS1_27merge_sort_block_merge_implIS3_PlN6thrust23THRUST_200600_302600_NS10device_ptrIlEEjNS1_19radix_merge_compareILb0ELb1ElNS0_19identity_decomposerEEEEE10hipError_tT0_T1_T2_jT3_P12ihipStream_tbPNSt15iterator_traitsISG_E10value_typeEPNSM_ISH_E10value_typeEPSI_NS1_7vsmem_tEENKUlT_SG_SH_SI_E_clIS7_S7_S7_SB_EESF_SV_SG_SH_SI_EUlSV_E_NS1_11comp_targetILNS1_3genE9ELNS1_11target_archE1100ELNS1_3gpuE3ELNS1_3repE0EEENS1_48merge_mergepath_partition_config_static_selectorELNS0_4arch9wavefront6targetE1EEEvSH_,comdat
.Lfunc_end1072:
	.size	_ZN7rocprim17ROCPRIM_400000_NS6detail17trampoline_kernelINS0_14default_configENS1_38merge_sort_block_merge_config_selectorIllEEZZNS1_27merge_sort_block_merge_implIS3_PlN6thrust23THRUST_200600_302600_NS10device_ptrIlEEjNS1_19radix_merge_compareILb0ELb1ElNS0_19identity_decomposerEEEEE10hipError_tT0_T1_T2_jT3_P12ihipStream_tbPNSt15iterator_traitsISG_E10value_typeEPNSM_ISH_E10value_typeEPSI_NS1_7vsmem_tEENKUlT_SG_SH_SI_E_clIS7_S7_S7_SB_EESF_SV_SG_SH_SI_EUlSV_E_NS1_11comp_targetILNS1_3genE9ELNS1_11target_archE1100ELNS1_3gpuE3ELNS1_3repE0EEENS1_48merge_mergepath_partition_config_static_selectorELNS0_4arch9wavefront6targetE1EEEvSH_, .Lfunc_end1072-_ZN7rocprim17ROCPRIM_400000_NS6detail17trampoline_kernelINS0_14default_configENS1_38merge_sort_block_merge_config_selectorIllEEZZNS1_27merge_sort_block_merge_implIS3_PlN6thrust23THRUST_200600_302600_NS10device_ptrIlEEjNS1_19radix_merge_compareILb0ELb1ElNS0_19identity_decomposerEEEEE10hipError_tT0_T1_T2_jT3_P12ihipStream_tbPNSt15iterator_traitsISG_E10value_typeEPNSM_ISH_E10value_typeEPSI_NS1_7vsmem_tEENKUlT_SG_SH_SI_E_clIS7_S7_S7_SB_EESF_SV_SG_SH_SI_EUlSV_E_NS1_11comp_targetILNS1_3genE9ELNS1_11target_archE1100ELNS1_3gpuE3ELNS1_3repE0EEENS1_48merge_mergepath_partition_config_static_selectorELNS0_4arch9wavefront6targetE1EEEvSH_
                                        ; -- End function
	.set _ZN7rocprim17ROCPRIM_400000_NS6detail17trampoline_kernelINS0_14default_configENS1_38merge_sort_block_merge_config_selectorIllEEZZNS1_27merge_sort_block_merge_implIS3_PlN6thrust23THRUST_200600_302600_NS10device_ptrIlEEjNS1_19radix_merge_compareILb0ELb1ElNS0_19identity_decomposerEEEEE10hipError_tT0_T1_T2_jT3_P12ihipStream_tbPNSt15iterator_traitsISG_E10value_typeEPNSM_ISH_E10value_typeEPSI_NS1_7vsmem_tEENKUlT_SG_SH_SI_E_clIS7_S7_S7_SB_EESF_SV_SG_SH_SI_EUlSV_E_NS1_11comp_targetILNS1_3genE9ELNS1_11target_archE1100ELNS1_3gpuE3ELNS1_3repE0EEENS1_48merge_mergepath_partition_config_static_selectorELNS0_4arch9wavefront6targetE1EEEvSH_.num_vgpr, 0
	.set _ZN7rocprim17ROCPRIM_400000_NS6detail17trampoline_kernelINS0_14default_configENS1_38merge_sort_block_merge_config_selectorIllEEZZNS1_27merge_sort_block_merge_implIS3_PlN6thrust23THRUST_200600_302600_NS10device_ptrIlEEjNS1_19radix_merge_compareILb0ELb1ElNS0_19identity_decomposerEEEEE10hipError_tT0_T1_T2_jT3_P12ihipStream_tbPNSt15iterator_traitsISG_E10value_typeEPNSM_ISH_E10value_typeEPSI_NS1_7vsmem_tEENKUlT_SG_SH_SI_E_clIS7_S7_S7_SB_EESF_SV_SG_SH_SI_EUlSV_E_NS1_11comp_targetILNS1_3genE9ELNS1_11target_archE1100ELNS1_3gpuE3ELNS1_3repE0EEENS1_48merge_mergepath_partition_config_static_selectorELNS0_4arch9wavefront6targetE1EEEvSH_.num_agpr, 0
	.set _ZN7rocprim17ROCPRIM_400000_NS6detail17trampoline_kernelINS0_14default_configENS1_38merge_sort_block_merge_config_selectorIllEEZZNS1_27merge_sort_block_merge_implIS3_PlN6thrust23THRUST_200600_302600_NS10device_ptrIlEEjNS1_19radix_merge_compareILb0ELb1ElNS0_19identity_decomposerEEEEE10hipError_tT0_T1_T2_jT3_P12ihipStream_tbPNSt15iterator_traitsISG_E10value_typeEPNSM_ISH_E10value_typeEPSI_NS1_7vsmem_tEENKUlT_SG_SH_SI_E_clIS7_S7_S7_SB_EESF_SV_SG_SH_SI_EUlSV_E_NS1_11comp_targetILNS1_3genE9ELNS1_11target_archE1100ELNS1_3gpuE3ELNS1_3repE0EEENS1_48merge_mergepath_partition_config_static_selectorELNS0_4arch9wavefront6targetE1EEEvSH_.numbered_sgpr, 0
	.set _ZN7rocprim17ROCPRIM_400000_NS6detail17trampoline_kernelINS0_14default_configENS1_38merge_sort_block_merge_config_selectorIllEEZZNS1_27merge_sort_block_merge_implIS3_PlN6thrust23THRUST_200600_302600_NS10device_ptrIlEEjNS1_19radix_merge_compareILb0ELb1ElNS0_19identity_decomposerEEEEE10hipError_tT0_T1_T2_jT3_P12ihipStream_tbPNSt15iterator_traitsISG_E10value_typeEPNSM_ISH_E10value_typeEPSI_NS1_7vsmem_tEENKUlT_SG_SH_SI_E_clIS7_S7_S7_SB_EESF_SV_SG_SH_SI_EUlSV_E_NS1_11comp_targetILNS1_3genE9ELNS1_11target_archE1100ELNS1_3gpuE3ELNS1_3repE0EEENS1_48merge_mergepath_partition_config_static_selectorELNS0_4arch9wavefront6targetE1EEEvSH_.num_named_barrier, 0
	.set _ZN7rocprim17ROCPRIM_400000_NS6detail17trampoline_kernelINS0_14default_configENS1_38merge_sort_block_merge_config_selectorIllEEZZNS1_27merge_sort_block_merge_implIS3_PlN6thrust23THRUST_200600_302600_NS10device_ptrIlEEjNS1_19radix_merge_compareILb0ELb1ElNS0_19identity_decomposerEEEEE10hipError_tT0_T1_T2_jT3_P12ihipStream_tbPNSt15iterator_traitsISG_E10value_typeEPNSM_ISH_E10value_typeEPSI_NS1_7vsmem_tEENKUlT_SG_SH_SI_E_clIS7_S7_S7_SB_EESF_SV_SG_SH_SI_EUlSV_E_NS1_11comp_targetILNS1_3genE9ELNS1_11target_archE1100ELNS1_3gpuE3ELNS1_3repE0EEENS1_48merge_mergepath_partition_config_static_selectorELNS0_4arch9wavefront6targetE1EEEvSH_.private_seg_size, 0
	.set _ZN7rocprim17ROCPRIM_400000_NS6detail17trampoline_kernelINS0_14default_configENS1_38merge_sort_block_merge_config_selectorIllEEZZNS1_27merge_sort_block_merge_implIS3_PlN6thrust23THRUST_200600_302600_NS10device_ptrIlEEjNS1_19radix_merge_compareILb0ELb1ElNS0_19identity_decomposerEEEEE10hipError_tT0_T1_T2_jT3_P12ihipStream_tbPNSt15iterator_traitsISG_E10value_typeEPNSM_ISH_E10value_typeEPSI_NS1_7vsmem_tEENKUlT_SG_SH_SI_E_clIS7_S7_S7_SB_EESF_SV_SG_SH_SI_EUlSV_E_NS1_11comp_targetILNS1_3genE9ELNS1_11target_archE1100ELNS1_3gpuE3ELNS1_3repE0EEENS1_48merge_mergepath_partition_config_static_selectorELNS0_4arch9wavefront6targetE1EEEvSH_.uses_vcc, 0
	.set _ZN7rocprim17ROCPRIM_400000_NS6detail17trampoline_kernelINS0_14default_configENS1_38merge_sort_block_merge_config_selectorIllEEZZNS1_27merge_sort_block_merge_implIS3_PlN6thrust23THRUST_200600_302600_NS10device_ptrIlEEjNS1_19radix_merge_compareILb0ELb1ElNS0_19identity_decomposerEEEEE10hipError_tT0_T1_T2_jT3_P12ihipStream_tbPNSt15iterator_traitsISG_E10value_typeEPNSM_ISH_E10value_typeEPSI_NS1_7vsmem_tEENKUlT_SG_SH_SI_E_clIS7_S7_S7_SB_EESF_SV_SG_SH_SI_EUlSV_E_NS1_11comp_targetILNS1_3genE9ELNS1_11target_archE1100ELNS1_3gpuE3ELNS1_3repE0EEENS1_48merge_mergepath_partition_config_static_selectorELNS0_4arch9wavefront6targetE1EEEvSH_.uses_flat_scratch, 0
	.set _ZN7rocprim17ROCPRIM_400000_NS6detail17trampoline_kernelINS0_14default_configENS1_38merge_sort_block_merge_config_selectorIllEEZZNS1_27merge_sort_block_merge_implIS3_PlN6thrust23THRUST_200600_302600_NS10device_ptrIlEEjNS1_19radix_merge_compareILb0ELb1ElNS0_19identity_decomposerEEEEE10hipError_tT0_T1_T2_jT3_P12ihipStream_tbPNSt15iterator_traitsISG_E10value_typeEPNSM_ISH_E10value_typeEPSI_NS1_7vsmem_tEENKUlT_SG_SH_SI_E_clIS7_S7_S7_SB_EESF_SV_SG_SH_SI_EUlSV_E_NS1_11comp_targetILNS1_3genE9ELNS1_11target_archE1100ELNS1_3gpuE3ELNS1_3repE0EEENS1_48merge_mergepath_partition_config_static_selectorELNS0_4arch9wavefront6targetE1EEEvSH_.has_dyn_sized_stack, 0
	.set _ZN7rocprim17ROCPRIM_400000_NS6detail17trampoline_kernelINS0_14default_configENS1_38merge_sort_block_merge_config_selectorIllEEZZNS1_27merge_sort_block_merge_implIS3_PlN6thrust23THRUST_200600_302600_NS10device_ptrIlEEjNS1_19radix_merge_compareILb0ELb1ElNS0_19identity_decomposerEEEEE10hipError_tT0_T1_T2_jT3_P12ihipStream_tbPNSt15iterator_traitsISG_E10value_typeEPNSM_ISH_E10value_typeEPSI_NS1_7vsmem_tEENKUlT_SG_SH_SI_E_clIS7_S7_S7_SB_EESF_SV_SG_SH_SI_EUlSV_E_NS1_11comp_targetILNS1_3genE9ELNS1_11target_archE1100ELNS1_3gpuE3ELNS1_3repE0EEENS1_48merge_mergepath_partition_config_static_selectorELNS0_4arch9wavefront6targetE1EEEvSH_.has_recursion, 0
	.set _ZN7rocprim17ROCPRIM_400000_NS6detail17trampoline_kernelINS0_14default_configENS1_38merge_sort_block_merge_config_selectorIllEEZZNS1_27merge_sort_block_merge_implIS3_PlN6thrust23THRUST_200600_302600_NS10device_ptrIlEEjNS1_19radix_merge_compareILb0ELb1ElNS0_19identity_decomposerEEEEE10hipError_tT0_T1_T2_jT3_P12ihipStream_tbPNSt15iterator_traitsISG_E10value_typeEPNSM_ISH_E10value_typeEPSI_NS1_7vsmem_tEENKUlT_SG_SH_SI_E_clIS7_S7_S7_SB_EESF_SV_SG_SH_SI_EUlSV_E_NS1_11comp_targetILNS1_3genE9ELNS1_11target_archE1100ELNS1_3gpuE3ELNS1_3repE0EEENS1_48merge_mergepath_partition_config_static_selectorELNS0_4arch9wavefront6targetE1EEEvSH_.has_indirect_call, 0
	.section	.AMDGPU.csdata,"",@progbits
; Kernel info:
; codeLenInByte = 0
; TotalNumSgprs: 4
; NumVgprs: 0
; ScratchSize: 0
; MemoryBound: 0
; FloatMode: 240
; IeeeMode: 1
; LDSByteSize: 0 bytes/workgroup (compile time only)
; SGPRBlocks: 0
; VGPRBlocks: 0
; NumSGPRsForWavesPerEU: 4
; NumVGPRsForWavesPerEU: 1
; Occupancy: 10
; WaveLimiterHint : 0
; COMPUTE_PGM_RSRC2:SCRATCH_EN: 0
; COMPUTE_PGM_RSRC2:USER_SGPR: 6
; COMPUTE_PGM_RSRC2:TRAP_HANDLER: 0
; COMPUTE_PGM_RSRC2:TGID_X_EN: 1
; COMPUTE_PGM_RSRC2:TGID_Y_EN: 0
; COMPUTE_PGM_RSRC2:TGID_Z_EN: 0
; COMPUTE_PGM_RSRC2:TIDIG_COMP_CNT: 0
	.section	.text._ZN7rocprim17ROCPRIM_400000_NS6detail17trampoline_kernelINS0_14default_configENS1_38merge_sort_block_merge_config_selectorIllEEZZNS1_27merge_sort_block_merge_implIS3_PlN6thrust23THRUST_200600_302600_NS10device_ptrIlEEjNS1_19radix_merge_compareILb0ELb1ElNS0_19identity_decomposerEEEEE10hipError_tT0_T1_T2_jT3_P12ihipStream_tbPNSt15iterator_traitsISG_E10value_typeEPNSM_ISH_E10value_typeEPSI_NS1_7vsmem_tEENKUlT_SG_SH_SI_E_clIS7_S7_S7_SB_EESF_SV_SG_SH_SI_EUlSV_E_NS1_11comp_targetILNS1_3genE8ELNS1_11target_archE1030ELNS1_3gpuE2ELNS1_3repE0EEENS1_48merge_mergepath_partition_config_static_selectorELNS0_4arch9wavefront6targetE1EEEvSH_,"axG",@progbits,_ZN7rocprim17ROCPRIM_400000_NS6detail17trampoline_kernelINS0_14default_configENS1_38merge_sort_block_merge_config_selectorIllEEZZNS1_27merge_sort_block_merge_implIS3_PlN6thrust23THRUST_200600_302600_NS10device_ptrIlEEjNS1_19radix_merge_compareILb0ELb1ElNS0_19identity_decomposerEEEEE10hipError_tT0_T1_T2_jT3_P12ihipStream_tbPNSt15iterator_traitsISG_E10value_typeEPNSM_ISH_E10value_typeEPSI_NS1_7vsmem_tEENKUlT_SG_SH_SI_E_clIS7_S7_S7_SB_EESF_SV_SG_SH_SI_EUlSV_E_NS1_11comp_targetILNS1_3genE8ELNS1_11target_archE1030ELNS1_3gpuE2ELNS1_3repE0EEENS1_48merge_mergepath_partition_config_static_selectorELNS0_4arch9wavefront6targetE1EEEvSH_,comdat
	.protected	_ZN7rocprim17ROCPRIM_400000_NS6detail17trampoline_kernelINS0_14default_configENS1_38merge_sort_block_merge_config_selectorIllEEZZNS1_27merge_sort_block_merge_implIS3_PlN6thrust23THRUST_200600_302600_NS10device_ptrIlEEjNS1_19radix_merge_compareILb0ELb1ElNS0_19identity_decomposerEEEEE10hipError_tT0_T1_T2_jT3_P12ihipStream_tbPNSt15iterator_traitsISG_E10value_typeEPNSM_ISH_E10value_typeEPSI_NS1_7vsmem_tEENKUlT_SG_SH_SI_E_clIS7_S7_S7_SB_EESF_SV_SG_SH_SI_EUlSV_E_NS1_11comp_targetILNS1_3genE8ELNS1_11target_archE1030ELNS1_3gpuE2ELNS1_3repE0EEENS1_48merge_mergepath_partition_config_static_selectorELNS0_4arch9wavefront6targetE1EEEvSH_ ; -- Begin function _ZN7rocprim17ROCPRIM_400000_NS6detail17trampoline_kernelINS0_14default_configENS1_38merge_sort_block_merge_config_selectorIllEEZZNS1_27merge_sort_block_merge_implIS3_PlN6thrust23THRUST_200600_302600_NS10device_ptrIlEEjNS1_19radix_merge_compareILb0ELb1ElNS0_19identity_decomposerEEEEE10hipError_tT0_T1_T2_jT3_P12ihipStream_tbPNSt15iterator_traitsISG_E10value_typeEPNSM_ISH_E10value_typeEPSI_NS1_7vsmem_tEENKUlT_SG_SH_SI_E_clIS7_S7_S7_SB_EESF_SV_SG_SH_SI_EUlSV_E_NS1_11comp_targetILNS1_3genE8ELNS1_11target_archE1030ELNS1_3gpuE2ELNS1_3repE0EEENS1_48merge_mergepath_partition_config_static_selectorELNS0_4arch9wavefront6targetE1EEEvSH_
	.globl	_ZN7rocprim17ROCPRIM_400000_NS6detail17trampoline_kernelINS0_14default_configENS1_38merge_sort_block_merge_config_selectorIllEEZZNS1_27merge_sort_block_merge_implIS3_PlN6thrust23THRUST_200600_302600_NS10device_ptrIlEEjNS1_19radix_merge_compareILb0ELb1ElNS0_19identity_decomposerEEEEE10hipError_tT0_T1_T2_jT3_P12ihipStream_tbPNSt15iterator_traitsISG_E10value_typeEPNSM_ISH_E10value_typeEPSI_NS1_7vsmem_tEENKUlT_SG_SH_SI_E_clIS7_S7_S7_SB_EESF_SV_SG_SH_SI_EUlSV_E_NS1_11comp_targetILNS1_3genE8ELNS1_11target_archE1030ELNS1_3gpuE2ELNS1_3repE0EEENS1_48merge_mergepath_partition_config_static_selectorELNS0_4arch9wavefront6targetE1EEEvSH_
	.p2align	8
	.type	_ZN7rocprim17ROCPRIM_400000_NS6detail17trampoline_kernelINS0_14default_configENS1_38merge_sort_block_merge_config_selectorIllEEZZNS1_27merge_sort_block_merge_implIS3_PlN6thrust23THRUST_200600_302600_NS10device_ptrIlEEjNS1_19radix_merge_compareILb0ELb1ElNS0_19identity_decomposerEEEEE10hipError_tT0_T1_T2_jT3_P12ihipStream_tbPNSt15iterator_traitsISG_E10value_typeEPNSM_ISH_E10value_typeEPSI_NS1_7vsmem_tEENKUlT_SG_SH_SI_E_clIS7_S7_S7_SB_EESF_SV_SG_SH_SI_EUlSV_E_NS1_11comp_targetILNS1_3genE8ELNS1_11target_archE1030ELNS1_3gpuE2ELNS1_3repE0EEENS1_48merge_mergepath_partition_config_static_selectorELNS0_4arch9wavefront6targetE1EEEvSH_,@function
_ZN7rocprim17ROCPRIM_400000_NS6detail17trampoline_kernelINS0_14default_configENS1_38merge_sort_block_merge_config_selectorIllEEZZNS1_27merge_sort_block_merge_implIS3_PlN6thrust23THRUST_200600_302600_NS10device_ptrIlEEjNS1_19radix_merge_compareILb0ELb1ElNS0_19identity_decomposerEEEEE10hipError_tT0_T1_T2_jT3_P12ihipStream_tbPNSt15iterator_traitsISG_E10value_typeEPNSM_ISH_E10value_typeEPSI_NS1_7vsmem_tEENKUlT_SG_SH_SI_E_clIS7_S7_S7_SB_EESF_SV_SG_SH_SI_EUlSV_E_NS1_11comp_targetILNS1_3genE8ELNS1_11target_archE1030ELNS1_3gpuE2ELNS1_3repE0EEENS1_48merge_mergepath_partition_config_static_selectorELNS0_4arch9wavefront6targetE1EEEvSH_: ; @_ZN7rocprim17ROCPRIM_400000_NS6detail17trampoline_kernelINS0_14default_configENS1_38merge_sort_block_merge_config_selectorIllEEZZNS1_27merge_sort_block_merge_implIS3_PlN6thrust23THRUST_200600_302600_NS10device_ptrIlEEjNS1_19radix_merge_compareILb0ELb1ElNS0_19identity_decomposerEEEEE10hipError_tT0_T1_T2_jT3_P12ihipStream_tbPNSt15iterator_traitsISG_E10value_typeEPNSM_ISH_E10value_typeEPSI_NS1_7vsmem_tEENKUlT_SG_SH_SI_E_clIS7_S7_S7_SB_EESF_SV_SG_SH_SI_EUlSV_E_NS1_11comp_targetILNS1_3genE8ELNS1_11target_archE1030ELNS1_3gpuE2ELNS1_3repE0EEENS1_48merge_mergepath_partition_config_static_selectorELNS0_4arch9wavefront6targetE1EEEvSH_
; %bb.0:
	.section	.rodata,"a",@progbits
	.p2align	6, 0x0
	.amdhsa_kernel _ZN7rocprim17ROCPRIM_400000_NS6detail17trampoline_kernelINS0_14default_configENS1_38merge_sort_block_merge_config_selectorIllEEZZNS1_27merge_sort_block_merge_implIS3_PlN6thrust23THRUST_200600_302600_NS10device_ptrIlEEjNS1_19radix_merge_compareILb0ELb1ElNS0_19identity_decomposerEEEEE10hipError_tT0_T1_T2_jT3_P12ihipStream_tbPNSt15iterator_traitsISG_E10value_typeEPNSM_ISH_E10value_typeEPSI_NS1_7vsmem_tEENKUlT_SG_SH_SI_E_clIS7_S7_S7_SB_EESF_SV_SG_SH_SI_EUlSV_E_NS1_11comp_targetILNS1_3genE8ELNS1_11target_archE1030ELNS1_3gpuE2ELNS1_3repE0EEENS1_48merge_mergepath_partition_config_static_selectorELNS0_4arch9wavefront6targetE1EEEvSH_
		.amdhsa_group_segment_fixed_size 0
		.amdhsa_private_segment_fixed_size 0
		.amdhsa_kernarg_size 40
		.amdhsa_user_sgpr_count 6
		.amdhsa_user_sgpr_private_segment_buffer 1
		.amdhsa_user_sgpr_dispatch_ptr 0
		.amdhsa_user_sgpr_queue_ptr 0
		.amdhsa_user_sgpr_kernarg_segment_ptr 1
		.amdhsa_user_sgpr_dispatch_id 0
		.amdhsa_user_sgpr_flat_scratch_init 0
		.amdhsa_user_sgpr_private_segment_size 0
		.amdhsa_uses_dynamic_stack 0
		.amdhsa_system_sgpr_private_segment_wavefront_offset 0
		.amdhsa_system_sgpr_workgroup_id_x 1
		.amdhsa_system_sgpr_workgroup_id_y 0
		.amdhsa_system_sgpr_workgroup_id_z 0
		.amdhsa_system_sgpr_workgroup_info 0
		.amdhsa_system_vgpr_workitem_id 0
		.amdhsa_next_free_vgpr 1
		.amdhsa_next_free_sgpr 0
		.amdhsa_reserve_vcc 0
		.amdhsa_reserve_flat_scratch 0
		.amdhsa_float_round_mode_32 0
		.amdhsa_float_round_mode_16_64 0
		.amdhsa_float_denorm_mode_32 3
		.amdhsa_float_denorm_mode_16_64 3
		.amdhsa_dx10_clamp 1
		.amdhsa_ieee_mode 1
		.amdhsa_fp16_overflow 0
		.amdhsa_exception_fp_ieee_invalid_op 0
		.amdhsa_exception_fp_denorm_src 0
		.amdhsa_exception_fp_ieee_div_zero 0
		.amdhsa_exception_fp_ieee_overflow 0
		.amdhsa_exception_fp_ieee_underflow 0
		.amdhsa_exception_fp_ieee_inexact 0
		.amdhsa_exception_int_div_zero 0
	.end_amdhsa_kernel
	.section	.text._ZN7rocprim17ROCPRIM_400000_NS6detail17trampoline_kernelINS0_14default_configENS1_38merge_sort_block_merge_config_selectorIllEEZZNS1_27merge_sort_block_merge_implIS3_PlN6thrust23THRUST_200600_302600_NS10device_ptrIlEEjNS1_19radix_merge_compareILb0ELb1ElNS0_19identity_decomposerEEEEE10hipError_tT0_T1_T2_jT3_P12ihipStream_tbPNSt15iterator_traitsISG_E10value_typeEPNSM_ISH_E10value_typeEPSI_NS1_7vsmem_tEENKUlT_SG_SH_SI_E_clIS7_S7_S7_SB_EESF_SV_SG_SH_SI_EUlSV_E_NS1_11comp_targetILNS1_3genE8ELNS1_11target_archE1030ELNS1_3gpuE2ELNS1_3repE0EEENS1_48merge_mergepath_partition_config_static_selectorELNS0_4arch9wavefront6targetE1EEEvSH_,"axG",@progbits,_ZN7rocprim17ROCPRIM_400000_NS6detail17trampoline_kernelINS0_14default_configENS1_38merge_sort_block_merge_config_selectorIllEEZZNS1_27merge_sort_block_merge_implIS3_PlN6thrust23THRUST_200600_302600_NS10device_ptrIlEEjNS1_19radix_merge_compareILb0ELb1ElNS0_19identity_decomposerEEEEE10hipError_tT0_T1_T2_jT3_P12ihipStream_tbPNSt15iterator_traitsISG_E10value_typeEPNSM_ISH_E10value_typeEPSI_NS1_7vsmem_tEENKUlT_SG_SH_SI_E_clIS7_S7_S7_SB_EESF_SV_SG_SH_SI_EUlSV_E_NS1_11comp_targetILNS1_3genE8ELNS1_11target_archE1030ELNS1_3gpuE2ELNS1_3repE0EEENS1_48merge_mergepath_partition_config_static_selectorELNS0_4arch9wavefront6targetE1EEEvSH_,comdat
.Lfunc_end1073:
	.size	_ZN7rocprim17ROCPRIM_400000_NS6detail17trampoline_kernelINS0_14default_configENS1_38merge_sort_block_merge_config_selectorIllEEZZNS1_27merge_sort_block_merge_implIS3_PlN6thrust23THRUST_200600_302600_NS10device_ptrIlEEjNS1_19radix_merge_compareILb0ELb1ElNS0_19identity_decomposerEEEEE10hipError_tT0_T1_T2_jT3_P12ihipStream_tbPNSt15iterator_traitsISG_E10value_typeEPNSM_ISH_E10value_typeEPSI_NS1_7vsmem_tEENKUlT_SG_SH_SI_E_clIS7_S7_S7_SB_EESF_SV_SG_SH_SI_EUlSV_E_NS1_11comp_targetILNS1_3genE8ELNS1_11target_archE1030ELNS1_3gpuE2ELNS1_3repE0EEENS1_48merge_mergepath_partition_config_static_selectorELNS0_4arch9wavefront6targetE1EEEvSH_, .Lfunc_end1073-_ZN7rocprim17ROCPRIM_400000_NS6detail17trampoline_kernelINS0_14default_configENS1_38merge_sort_block_merge_config_selectorIllEEZZNS1_27merge_sort_block_merge_implIS3_PlN6thrust23THRUST_200600_302600_NS10device_ptrIlEEjNS1_19radix_merge_compareILb0ELb1ElNS0_19identity_decomposerEEEEE10hipError_tT0_T1_T2_jT3_P12ihipStream_tbPNSt15iterator_traitsISG_E10value_typeEPNSM_ISH_E10value_typeEPSI_NS1_7vsmem_tEENKUlT_SG_SH_SI_E_clIS7_S7_S7_SB_EESF_SV_SG_SH_SI_EUlSV_E_NS1_11comp_targetILNS1_3genE8ELNS1_11target_archE1030ELNS1_3gpuE2ELNS1_3repE0EEENS1_48merge_mergepath_partition_config_static_selectorELNS0_4arch9wavefront6targetE1EEEvSH_
                                        ; -- End function
	.set _ZN7rocprim17ROCPRIM_400000_NS6detail17trampoline_kernelINS0_14default_configENS1_38merge_sort_block_merge_config_selectorIllEEZZNS1_27merge_sort_block_merge_implIS3_PlN6thrust23THRUST_200600_302600_NS10device_ptrIlEEjNS1_19radix_merge_compareILb0ELb1ElNS0_19identity_decomposerEEEEE10hipError_tT0_T1_T2_jT3_P12ihipStream_tbPNSt15iterator_traitsISG_E10value_typeEPNSM_ISH_E10value_typeEPSI_NS1_7vsmem_tEENKUlT_SG_SH_SI_E_clIS7_S7_S7_SB_EESF_SV_SG_SH_SI_EUlSV_E_NS1_11comp_targetILNS1_3genE8ELNS1_11target_archE1030ELNS1_3gpuE2ELNS1_3repE0EEENS1_48merge_mergepath_partition_config_static_selectorELNS0_4arch9wavefront6targetE1EEEvSH_.num_vgpr, 0
	.set _ZN7rocprim17ROCPRIM_400000_NS6detail17trampoline_kernelINS0_14default_configENS1_38merge_sort_block_merge_config_selectorIllEEZZNS1_27merge_sort_block_merge_implIS3_PlN6thrust23THRUST_200600_302600_NS10device_ptrIlEEjNS1_19radix_merge_compareILb0ELb1ElNS0_19identity_decomposerEEEEE10hipError_tT0_T1_T2_jT3_P12ihipStream_tbPNSt15iterator_traitsISG_E10value_typeEPNSM_ISH_E10value_typeEPSI_NS1_7vsmem_tEENKUlT_SG_SH_SI_E_clIS7_S7_S7_SB_EESF_SV_SG_SH_SI_EUlSV_E_NS1_11comp_targetILNS1_3genE8ELNS1_11target_archE1030ELNS1_3gpuE2ELNS1_3repE0EEENS1_48merge_mergepath_partition_config_static_selectorELNS0_4arch9wavefront6targetE1EEEvSH_.num_agpr, 0
	.set _ZN7rocprim17ROCPRIM_400000_NS6detail17trampoline_kernelINS0_14default_configENS1_38merge_sort_block_merge_config_selectorIllEEZZNS1_27merge_sort_block_merge_implIS3_PlN6thrust23THRUST_200600_302600_NS10device_ptrIlEEjNS1_19radix_merge_compareILb0ELb1ElNS0_19identity_decomposerEEEEE10hipError_tT0_T1_T2_jT3_P12ihipStream_tbPNSt15iterator_traitsISG_E10value_typeEPNSM_ISH_E10value_typeEPSI_NS1_7vsmem_tEENKUlT_SG_SH_SI_E_clIS7_S7_S7_SB_EESF_SV_SG_SH_SI_EUlSV_E_NS1_11comp_targetILNS1_3genE8ELNS1_11target_archE1030ELNS1_3gpuE2ELNS1_3repE0EEENS1_48merge_mergepath_partition_config_static_selectorELNS0_4arch9wavefront6targetE1EEEvSH_.numbered_sgpr, 0
	.set _ZN7rocprim17ROCPRIM_400000_NS6detail17trampoline_kernelINS0_14default_configENS1_38merge_sort_block_merge_config_selectorIllEEZZNS1_27merge_sort_block_merge_implIS3_PlN6thrust23THRUST_200600_302600_NS10device_ptrIlEEjNS1_19radix_merge_compareILb0ELb1ElNS0_19identity_decomposerEEEEE10hipError_tT0_T1_T2_jT3_P12ihipStream_tbPNSt15iterator_traitsISG_E10value_typeEPNSM_ISH_E10value_typeEPSI_NS1_7vsmem_tEENKUlT_SG_SH_SI_E_clIS7_S7_S7_SB_EESF_SV_SG_SH_SI_EUlSV_E_NS1_11comp_targetILNS1_3genE8ELNS1_11target_archE1030ELNS1_3gpuE2ELNS1_3repE0EEENS1_48merge_mergepath_partition_config_static_selectorELNS0_4arch9wavefront6targetE1EEEvSH_.num_named_barrier, 0
	.set _ZN7rocprim17ROCPRIM_400000_NS6detail17trampoline_kernelINS0_14default_configENS1_38merge_sort_block_merge_config_selectorIllEEZZNS1_27merge_sort_block_merge_implIS3_PlN6thrust23THRUST_200600_302600_NS10device_ptrIlEEjNS1_19radix_merge_compareILb0ELb1ElNS0_19identity_decomposerEEEEE10hipError_tT0_T1_T2_jT3_P12ihipStream_tbPNSt15iterator_traitsISG_E10value_typeEPNSM_ISH_E10value_typeEPSI_NS1_7vsmem_tEENKUlT_SG_SH_SI_E_clIS7_S7_S7_SB_EESF_SV_SG_SH_SI_EUlSV_E_NS1_11comp_targetILNS1_3genE8ELNS1_11target_archE1030ELNS1_3gpuE2ELNS1_3repE0EEENS1_48merge_mergepath_partition_config_static_selectorELNS0_4arch9wavefront6targetE1EEEvSH_.private_seg_size, 0
	.set _ZN7rocprim17ROCPRIM_400000_NS6detail17trampoline_kernelINS0_14default_configENS1_38merge_sort_block_merge_config_selectorIllEEZZNS1_27merge_sort_block_merge_implIS3_PlN6thrust23THRUST_200600_302600_NS10device_ptrIlEEjNS1_19radix_merge_compareILb0ELb1ElNS0_19identity_decomposerEEEEE10hipError_tT0_T1_T2_jT3_P12ihipStream_tbPNSt15iterator_traitsISG_E10value_typeEPNSM_ISH_E10value_typeEPSI_NS1_7vsmem_tEENKUlT_SG_SH_SI_E_clIS7_S7_S7_SB_EESF_SV_SG_SH_SI_EUlSV_E_NS1_11comp_targetILNS1_3genE8ELNS1_11target_archE1030ELNS1_3gpuE2ELNS1_3repE0EEENS1_48merge_mergepath_partition_config_static_selectorELNS0_4arch9wavefront6targetE1EEEvSH_.uses_vcc, 0
	.set _ZN7rocprim17ROCPRIM_400000_NS6detail17trampoline_kernelINS0_14default_configENS1_38merge_sort_block_merge_config_selectorIllEEZZNS1_27merge_sort_block_merge_implIS3_PlN6thrust23THRUST_200600_302600_NS10device_ptrIlEEjNS1_19radix_merge_compareILb0ELb1ElNS0_19identity_decomposerEEEEE10hipError_tT0_T1_T2_jT3_P12ihipStream_tbPNSt15iterator_traitsISG_E10value_typeEPNSM_ISH_E10value_typeEPSI_NS1_7vsmem_tEENKUlT_SG_SH_SI_E_clIS7_S7_S7_SB_EESF_SV_SG_SH_SI_EUlSV_E_NS1_11comp_targetILNS1_3genE8ELNS1_11target_archE1030ELNS1_3gpuE2ELNS1_3repE0EEENS1_48merge_mergepath_partition_config_static_selectorELNS0_4arch9wavefront6targetE1EEEvSH_.uses_flat_scratch, 0
	.set _ZN7rocprim17ROCPRIM_400000_NS6detail17trampoline_kernelINS0_14default_configENS1_38merge_sort_block_merge_config_selectorIllEEZZNS1_27merge_sort_block_merge_implIS3_PlN6thrust23THRUST_200600_302600_NS10device_ptrIlEEjNS1_19radix_merge_compareILb0ELb1ElNS0_19identity_decomposerEEEEE10hipError_tT0_T1_T2_jT3_P12ihipStream_tbPNSt15iterator_traitsISG_E10value_typeEPNSM_ISH_E10value_typeEPSI_NS1_7vsmem_tEENKUlT_SG_SH_SI_E_clIS7_S7_S7_SB_EESF_SV_SG_SH_SI_EUlSV_E_NS1_11comp_targetILNS1_3genE8ELNS1_11target_archE1030ELNS1_3gpuE2ELNS1_3repE0EEENS1_48merge_mergepath_partition_config_static_selectorELNS0_4arch9wavefront6targetE1EEEvSH_.has_dyn_sized_stack, 0
	.set _ZN7rocprim17ROCPRIM_400000_NS6detail17trampoline_kernelINS0_14default_configENS1_38merge_sort_block_merge_config_selectorIllEEZZNS1_27merge_sort_block_merge_implIS3_PlN6thrust23THRUST_200600_302600_NS10device_ptrIlEEjNS1_19radix_merge_compareILb0ELb1ElNS0_19identity_decomposerEEEEE10hipError_tT0_T1_T2_jT3_P12ihipStream_tbPNSt15iterator_traitsISG_E10value_typeEPNSM_ISH_E10value_typeEPSI_NS1_7vsmem_tEENKUlT_SG_SH_SI_E_clIS7_S7_S7_SB_EESF_SV_SG_SH_SI_EUlSV_E_NS1_11comp_targetILNS1_3genE8ELNS1_11target_archE1030ELNS1_3gpuE2ELNS1_3repE0EEENS1_48merge_mergepath_partition_config_static_selectorELNS0_4arch9wavefront6targetE1EEEvSH_.has_recursion, 0
	.set _ZN7rocprim17ROCPRIM_400000_NS6detail17trampoline_kernelINS0_14default_configENS1_38merge_sort_block_merge_config_selectorIllEEZZNS1_27merge_sort_block_merge_implIS3_PlN6thrust23THRUST_200600_302600_NS10device_ptrIlEEjNS1_19radix_merge_compareILb0ELb1ElNS0_19identity_decomposerEEEEE10hipError_tT0_T1_T2_jT3_P12ihipStream_tbPNSt15iterator_traitsISG_E10value_typeEPNSM_ISH_E10value_typeEPSI_NS1_7vsmem_tEENKUlT_SG_SH_SI_E_clIS7_S7_S7_SB_EESF_SV_SG_SH_SI_EUlSV_E_NS1_11comp_targetILNS1_3genE8ELNS1_11target_archE1030ELNS1_3gpuE2ELNS1_3repE0EEENS1_48merge_mergepath_partition_config_static_selectorELNS0_4arch9wavefront6targetE1EEEvSH_.has_indirect_call, 0
	.section	.AMDGPU.csdata,"",@progbits
; Kernel info:
; codeLenInByte = 0
; TotalNumSgprs: 4
; NumVgprs: 0
; ScratchSize: 0
; MemoryBound: 0
; FloatMode: 240
; IeeeMode: 1
; LDSByteSize: 0 bytes/workgroup (compile time only)
; SGPRBlocks: 0
; VGPRBlocks: 0
; NumSGPRsForWavesPerEU: 4
; NumVGPRsForWavesPerEU: 1
; Occupancy: 10
; WaveLimiterHint : 0
; COMPUTE_PGM_RSRC2:SCRATCH_EN: 0
; COMPUTE_PGM_RSRC2:USER_SGPR: 6
; COMPUTE_PGM_RSRC2:TRAP_HANDLER: 0
; COMPUTE_PGM_RSRC2:TGID_X_EN: 1
; COMPUTE_PGM_RSRC2:TGID_Y_EN: 0
; COMPUTE_PGM_RSRC2:TGID_Z_EN: 0
; COMPUTE_PGM_RSRC2:TIDIG_COMP_CNT: 0
	.section	.text._ZN7rocprim17ROCPRIM_400000_NS6detail17trampoline_kernelINS0_14default_configENS1_38merge_sort_block_merge_config_selectorIllEEZZNS1_27merge_sort_block_merge_implIS3_PlN6thrust23THRUST_200600_302600_NS10device_ptrIlEEjNS1_19radix_merge_compareILb0ELb1ElNS0_19identity_decomposerEEEEE10hipError_tT0_T1_T2_jT3_P12ihipStream_tbPNSt15iterator_traitsISG_E10value_typeEPNSM_ISH_E10value_typeEPSI_NS1_7vsmem_tEENKUlT_SG_SH_SI_E_clIS7_S7_S7_SB_EESF_SV_SG_SH_SI_EUlSV_E0_NS1_11comp_targetILNS1_3genE0ELNS1_11target_archE4294967295ELNS1_3gpuE0ELNS1_3repE0EEENS1_38merge_mergepath_config_static_selectorELNS0_4arch9wavefront6targetE1EEEvSH_,"axG",@progbits,_ZN7rocprim17ROCPRIM_400000_NS6detail17trampoline_kernelINS0_14default_configENS1_38merge_sort_block_merge_config_selectorIllEEZZNS1_27merge_sort_block_merge_implIS3_PlN6thrust23THRUST_200600_302600_NS10device_ptrIlEEjNS1_19radix_merge_compareILb0ELb1ElNS0_19identity_decomposerEEEEE10hipError_tT0_T1_T2_jT3_P12ihipStream_tbPNSt15iterator_traitsISG_E10value_typeEPNSM_ISH_E10value_typeEPSI_NS1_7vsmem_tEENKUlT_SG_SH_SI_E_clIS7_S7_S7_SB_EESF_SV_SG_SH_SI_EUlSV_E0_NS1_11comp_targetILNS1_3genE0ELNS1_11target_archE4294967295ELNS1_3gpuE0ELNS1_3repE0EEENS1_38merge_mergepath_config_static_selectorELNS0_4arch9wavefront6targetE1EEEvSH_,comdat
	.protected	_ZN7rocprim17ROCPRIM_400000_NS6detail17trampoline_kernelINS0_14default_configENS1_38merge_sort_block_merge_config_selectorIllEEZZNS1_27merge_sort_block_merge_implIS3_PlN6thrust23THRUST_200600_302600_NS10device_ptrIlEEjNS1_19radix_merge_compareILb0ELb1ElNS0_19identity_decomposerEEEEE10hipError_tT0_T1_T2_jT3_P12ihipStream_tbPNSt15iterator_traitsISG_E10value_typeEPNSM_ISH_E10value_typeEPSI_NS1_7vsmem_tEENKUlT_SG_SH_SI_E_clIS7_S7_S7_SB_EESF_SV_SG_SH_SI_EUlSV_E0_NS1_11comp_targetILNS1_3genE0ELNS1_11target_archE4294967295ELNS1_3gpuE0ELNS1_3repE0EEENS1_38merge_mergepath_config_static_selectorELNS0_4arch9wavefront6targetE1EEEvSH_ ; -- Begin function _ZN7rocprim17ROCPRIM_400000_NS6detail17trampoline_kernelINS0_14default_configENS1_38merge_sort_block_merge_config_selectorIllEEZZNS1_27merge_sort_block_merge_implIS3_PlN6thrust23THRUST_200600_302600_NS10device_ptrIlEEjNS1_19radix_merge_compareILb0ELb1ElNS0_19identity_decomposerEEEEE10hipError_tT0_T1_T2_jT3_P12ihipStream_tbPNSt15iterator_traitsISG_E10value_typeEPNSM_ISH_E10value_typeEPSI_NS1_7vsmem_tEENKUlT_SG_SH_SI_E_clIS7_S7_S7_SB_EESF_SV_SG_SH_SI_EUlSV_E0_NS1_11comp_targetILNS1_3genE0ELNS1_11target_archE4294967295ELNS1_3gpuE0ELNS1_3repE0EEENS1_38merge_mergepath_config_static_selectorELNS0_4arch9wavefront6targetE1EEEvSH_
	.globl	_ZN7rocprim17ROCPRIM_400000_NS6detail17trampoline_kernelINS0_14default_configENS1_38merge_sort_block_merge_config_selectorIllEEZZNS1_27merge_sort_block_merge_implIS3_PlN6thrust23THRUST_200600_302600_NS10device_ptrIlEEjNS1_19radix_merge_compareILb0ELb1ElNS0_19identity_decomposerEEEEE10hipError_tT0_T1_T2_jT3_P12ihipStream_tbPNSt15iterator_traitsISG_E10value_typeEPNSM_ISH_E10value_typeEPSI_NS1_7vsmem_tEENKUlT_SG_SH_SI_E_clIS7_S7_S7_SB_EESF_SV_SG_SH_SI_EUlSV_E0_NS1_11comp_targetILNS1_3genE0ELNS1_11target_archE4294967295ELNS1_3gpuE0ELNS1_3repE0EEENS1_38merge_mergepath_config_static_selectorELNS0_4arch9wavefront6targetE1EEEvSH_
	.p2align	8
	.type	_ZN7rocprim17ROCPRIM_400000_NS6detail17trampoline_kernelINS0_14default_configENS1_38merge_sort_block_merge_config_selectorIllEEZZNS1_27merge_sort_block_merge_implIS3_PlN6thrust23THRUST_200600_302600_NS10device_ptrIlEEjNS1_19radix_merge_compareILb0ELb1ElNS0_19identity_decomposerEEEEE10hipError_tT0_T1_T2_jT3_P12ihipStream_tbPNSt15iterator_traitsISG_E10value_typeEPNSM_ISH_E10value_typeEPSI_NS1_7vsmem_tEENKUlT_SG_SH_SI_E_clIS7_S7_S7_SB_EESF_SV_SG_SH_SI_EUlSV_E0_NS1_11comp_targetILNS1_3genE0ELNS1_11target_archE4294967295ELNS1_3gpuE0ELNS1_3repE0EEENS1_38merge_mergepath_config_static_selectorELNS0_4arch9wavefront6targetE1EEEvSH_,@function
_ZN7rocprim17ROCPRIM_400000_NS6detail17trampoline_kernelINS0_14default_configENS1_38merge_sort_block_merge_config_selectorIllEEZZNS1_27merge_sort_block_merge_implIS3_PlN6thrust23THRUST_200600_302600_NS10device_ptrIlEEjNS1_19radix_merge_compareILb0ELb1ElNS0_19identity_decomposerEEEEE10hipError_tT0_T1_T2_jT3_P12ihipStream_tbPNSt15iterator_traitsISG_E10value_typeEPNSM_ISH_E10value_typeEPSI_NS1_7vsmem_tEENKUlT_SG_SH_SI_E_clIS7_S7_S7_SB_EESF_SV_SG_SH_SI_EUlSV_E0_NS1_11comp_targetILNS1_3genE0ELNS1_11target_archE4294967295ELNS1_3gpuE0ELNS1_3repE0EEENS1_38merge_mergepath_config_static_selectorELNS0_4arch9wavefront6targetE1EEEvSH_: ; @_ZN7rocprim17ROCPRIM_400000_NS6detail17trampoline_kernelINS0_14default_configENS1_38merge_sort_block_merge_config_selectorIllEEZZNS1_27merge_sort_block_merge_implIS3_PlN6thrust23THRUST_200600_302600_NS10device_ptrIlEEjNS1_19radix_merge_compareILb0ELb1ElNS0_19identity_decomposerEEEEE10hipError_tT0_T1_T2_jT3_P12ihipStream_tbPNSt15iterator_traitsISG_E10value_typeEPNSM_ISH_E10value_typeEPSI_NS1_7vsmem_tEENKUlT_SG_SH_SI_E_clIS7_S7_S7_SB_EESF_SV_SG_SH_SI_EUlSV_E0_NS1_11comp_targetILNS1_3genE0ELNS1_11target_archE4294967295ELNS1_3gpuE0ELNS1_3repE0EEENS1_38merge_mergepath_config_static_selectorELNS0_4arch9wavefront6targetE1EEEvSH_
; %bb.0:
	.section	.rodata,"a",@progbits
	.p2align	6, 0x0
	.amdhsa_kernel _ZN7rocprim17ROCPRIM_400000_NS6detail17trampoline_kernelINS0_14default_configENS1_38merge_sort_block_merge_config_selectorIllEEZZNS1_27merge_sort_block_merge_implIS3_PlN6thrust23THRUST_200600_302600_NS10device_ptrIlEEjNS1_19radix_merge_compareILb0ELb1ElNS0_19identity_decomposerEEEEE10hipError_tT0_T1_T2_jT3_P12ihipStream_tbPNSt15iterator_traitsISG_E10value_typeEPNSM_ISH_E10value_typeEPSI_NS1_7vsmem_tEENKUlT_SG_SH_SI_E_clIS7_S7_S7_SB_EESF_SV_SG_SH_SI_EUlSV_E0_NS1_11comp_targetILNS1_3genE0ELNS1_11target_archE4294967295ELNS1_3gpuE0ELNS1_3repE0EEENS1_38merge_mergepath_config_static_selectorELNS0_4arch9wavefront6targetE1EEEvSH_
		.amdhsa_group_segment_fixed_size 0
		.amdhsa_private_segment_fixed_size 0
		.amdhsa_kernarg_size 72
		.amdhsa_user_sgpr_count 6
		.amdhsa_user_sgpr_private_segment_buffer 1
		.amdhsa_user_sgpr_dispatch_ptr 0
		.amdhsa_user_sgpr_queue_ptr 0
		.amdhsa_user_sgpr_kernarg_segment_ptr 1
		.amdhsa_user_sgpr_dispatch_id 0
		.amdhsa_user_sgpr_flat_scratch_init 0
		.amdhsa_user_sgpr_private_segment_size 0
		.amdhsa_uses_dynamic_stack 0
		.amdhsa_system_sgpr_private_segment_wavefront_offset 0
		.amdhsa_system_sgpr_workgroup_id_x 1
		.amdhsa_system_sgpr_workgroup_id_y 0
		.amdhsa_system_sgpr_workgroup_id_z 0
		.amdhsa_system_sgpr_workgroup_info 0
		.amdhsa_system_vgpr_workitem_id 0
		.amdhsa_next_free_vgpr 1
		.amdhsa_next_free_sgpr 0
		.amdhsa_reserve_vcc 0
		.amdhsa_reserve_flat_scratch 0
		.amdhsa_float_round_mode_32 0
		.amdhsa_float_round_mode_16_64 0
		.amdhsa_float_denorm_mode_32 3
		.amdhsa_float_denorm_mode_16_64 3
		.amdhsa_dx10_clamp 1
		.amdhsa_ieee_mode 1
		.amdhsa_fp16_overflow 0
		.amdhsa_exception_fp_ieee_invalid_op 0
		.amdhsa_exception_fp_denorm_src 0
		.amdhsa_exception_fp_ieee_div_zero 0
		.amdhsa_exception_fp_ieee_overflow 0
		.amdhsa_exception_fp_ieee_underflow 0
		.amdhsa_exception_fp_ieee_inexact 0
		.amdhsa_exception_int_div_zero 0
	.end_amdhsa_kernel
	.section	.text._ZN7rocprim17ROCPRIM_400000_NS6detail17trampoline_kernelINS0_14default_configENS1_38merge_sort_block_merge_config_selectorIllEEZZNS1_27merge_sort_block_merge_implIS3_PlN6thrust23THRUST_200600_302600_NS10device_ptrIlEEjNS1_19radix_merge_compareILb0ELb1ElNS0_19identity_decomposerEEEEE10hipError_tT0_T1_T2_jT3_P12ihipStream_tbPNSt15iterator_traitsISG_E10value_typeEPNSM_ISH_E10value_typeEPSI_NS1_7vsmem_tEENKUlT_SG_SH_SI_E_clIS7_S7_S7_SB_EESF_SV_SG_SH_SI_EUlSV_E0_NS1_11comp_targetILNS1_3genE0ELNS1_11target_archE4294967295ELNS1_3gpuE0ELNS1_3repE0EEENS1_38merge_mergepath_config_static_selectorELNS0_4arch9wavefront6targetE1EEEvSH_,"axG",@progbits,_ZN7rocprim17ROCPRIM_400000_NS6detail17trampoline_kernelINS0_14default_configENS1_38merge_sort_block_merge_config_selectorIllEEZZNS1_27merge_sort_block_merge_implIS3_PlN6thrust23THRUST_200600_302600_NS10device_ptrIlEEjNS1_19radix_merge_compareILb0ELb1ElNS0_19identity_decomposerEEEEE10hipError_tT0_T1_T2_jT3_P12ihipStream_tbPNSt15iterator_traitsISG_E10value_typeEPNSM_ISH_E10value_typeEPSI_NS1_7vsmem_tEENKUlT_SG_SH_SI_E_clIS7_S7_S7_SB_EESF_SV_SG_SH_SI_EUlSV_E0_NS1_11comp_targetILNS1_3genE0ELNS1_11target_archE4294967295ELNS1_3gpuE0ELNS1_3repE0EEENS1_38merge_mergepath_config_static_selectorELNS0_4arch9wavefront6targetE1EEEvSH_,comdat
.Lfunc_end1074:
	.size	_ZN7rocprim17ROCPRIM_400000_NS6detail17trampoline_kernelINS0_14default_configENS1_38merge_sort_block_merge_config_selectorIllEEZZNS1_27merge_sort_block_merge_implIS3_PlN6thrust23THRUST_200600_302600_NS10device_ptrIlEEjNS1_19radix_merge_compareILb0ELb1ElNS0_19identity_decomposerEEEEE10hipError_tT0_T1_T2_jT3_P12ihipStream_tbPNSt15iterator_traitsISG_E10value_typeEPNSM_ISH_E10value_typeEPSI_NS1_7vsmem_tEENKUlT_SG_SH_SI_E_clIS7_S7_S7_SB_EESF_SV_SG_SH_SI_EUlSV_E0_NS1_11comp_targetILNS1_3genE0ELNS1_11target_archE4294967295ELNS1_3gpuE0ELNS1_3repE0EEENS1_38merge_mergepath_config_static_selectorELNS0_4arch9wavefront6targetE1EEEvSH_, .Lfunc_end1074-_ZN7rocprim17ROCPRIM_400000_NS6detail17trampoline_kernelINS0_14default_configENS1_38merge_sort_block_merge_config_selectorIllEEZZNS1_27merge_sort_block_merge_implIS3_PlN6thrust23THRUST_200600_302600_NS10device_ptrIlEEjNS1_19radix_merge_compareILb0ELb1ElNS0_19identity_decomposerEEEEE10hipError_tT0_T1_T2_jT3_P12ihipStream_tbPNSt15iterator_traitsISG_E10value_typeEPNSM_ISH_E10value_typeEPSI_NS1_7vsmem_tEENKUlT_SG_SH_SI_E_clIS7_S7_S7_SB_EESF_SV_SG_SH_SI_EUlSV_E0_NS1_11comp_targetILNS1_3genE0ELNS1_11target_archE4294967295ELNS1_3gpuE0ELNS1_3repE0EEENS1_38merge_mergepath_config_static_selectorELNS0_4arch9wavefront6targetE1EEEvSH_
                                        ; -- End function
	.set _ZN7rocprim17ROCPRIM_400000_NS6detail17trampoline_kernelINS0_14default_configENS1_38merge_sort_block_merge_config_selectorIllEEZZNS1_27merge_sort_block_merge_implIS3_PlN6thrust23THRUST_200600_302600_NS10device_ptrIlEEjNS1_19radix_merge_compareILb0ELb1ElNS0_19identity_decomposerEEEEE10hipError_tT0_T1_T2_jT3_P12ihipStream_tbPNSt15iterator_traitsISG_E10value_typeEPNSM_ISH_E10value_typeEPSI_NS1_7vsmem_tEENKUlT_SG_SH_SI_E_clIS7_S7_S7_SB_EESF_SV_SG_SH_SI_EUlSV_E0_NS1_11comp_targetILNS1_3genE0ELNS1_11target_archE4294967295ELNS1_3gpuE0ELNS1_3repE0EEENS1_38merge_mergepath_config_static_selectorELNS0_4arch9wavefront6targetE1EEEvSH_.num_vgpr, 0
	.set _ZN7rocprim17ROCPRIM_400000_NS6detail17trampoline_kernelINS0_14default_configENS1_38merge_sort_block_merge_config_selectorIllEEZZNS1_27merge_sort_block_merge_implIS3_PlN6thrust23THRUST_200600_302600_NS10device_ptrIlEEjNS1_19radix_merge_compareILb0ELb1ElNS0_19identity_decomposerEEEEE10hipError_tT0_T1_T2_jT3_P12ihipStream_tbPNSt15iterator_traitsISG_E10value_typeEPNSM_ISH_E10value_typeEPSI_NS1_7vsmem_tEENKUlT_SG_SH_SI_E_clIS7_S7_S7_SB_EESF_SV_SG_SH_SI_EUlSV_E0_NS1_11comp_targetILNS1_3genE0ELNS1_11target_archE4294967295ELNS1_3gpuE0ELNS1_3repE0EEENS1_38merge_mergepath_config_static_selectorELNS0_4arch9wavefront6targetE1EEEvSH_.num_agpr, 0
	.set _ZN7rocprim17ROCPRIM_400000_NS6detail17trampoline_kernelINS0_14default_configENS1_38merge_sort_block_merge_config_selectorIllEEZZNS1_27merge_sort_block_merge_implIS3_PlN6thrust23THRUST_200600_302600_NS10device_ptrIlEEjNS1_19radix_merge_compareILb0ELb1ElNS0_19identity_decomposerEEEEE10hipError_tT0_T1_T2_jT3_P12ihipStream_tbPNSt15iterator_traitsISG_E10value_typeEPNSM_ISH_E10value_typeEPSI_NS1_7vsmem_tEENKUlT_SG_SH_SI_E_clIS7_S7_S7_SB_EESF_SV_SG_SH_SI_EUlSV_E0_NS1_11comp_targetILNS1_3genE0ELNS1_11target_archE4294967295ELNS1_3gpuE0ELNS1_3repE0EEENS1_38merge_mergepath_config_static_selectorELNS0_4arch9wavefront6targetE1EEEvSH_.numbered_sgpr, 0
	.set _ZN7rocprim17ROCPRIM_400000_NS6detail17trampoline_kernelINS0_14default_configENS1_38merge_sort_block_merge_config_selectorIllEEZZNS1_27merge_sort_block_merge_implIS3_PlN6thrust23THRUST_200600_302600_NS10device_ptrIlEEjNS1_19radix_merge_compareILb0ELb1ElNS0_19identity_decomposerEEEEE10hipError_tT0_T1_T2_jT3_P12ihipStream_tbPNSt15iterator_traitsISG_E10value_typeEPNSM_ISH_E10value_typeEPSI_NS1_7vsmem_tEENKUlT_SG_SH_SI_E_clIS7_S7_S7_SB_EESF_SV_SG_SH_SI_EUlSV_E0_NS1_11comp_targetILNS1_3genE0ELNS1_11target_archE4294967295ELNS1_3gpuE0ELNS1_3repE0EEENS1_38merge_mergepath_config_static_selectorELNS0_4arch9wavefront6targetE1EEEvSH_.num_named_barrier, 0
	.set _ZN7rocprim17ROCPRIM_400000_NS6detail17trampoline_kernelINS0_14default_configENS1_38merge_sort_block_merge_config_selectorIllEEZZNS1_27merge_sort_block_merge_implIS3_PlN6thrust23THRUST_200600_302600_NS10device_ptrIlEEjNS1_19radix_merge_compareILb0ELb1ElNS0_19identity_decomposerEEEEE10hipError_tT0_T1_T2_jT3_P12ihipStream_tbPNSt15iterator_traitsISG_E10value_typeEPNSM_ISH_E10value_typeEPSI_NS1_7vsmem_tEENKUlT_SG_SH_SI_E_clIS7_S7_S7_SB_EESF_SV_SG_SH_SI_EUlSV_E0_NS1_11comp_targetILNS1_3genE0ELNS1_11target_archE4294967295ELNS1_3gpuE0ELNS1_3repE0EEENS1_38merge_mergepath_config_static_selectorELNS0_4arch9wavefront6targetE1EEEvSH_.private_seg_size, 0
	.set _ZN7rocprim17ROCPRIM_400000_NS6detail17trampoline_kernelINS0_14default_configENS1_38merge_sort_block_merge_config_selectorIllEEZZNS1_27merge_sort_block_merge_implIS3_PlN6thrust23THRUST_200600_302600_NS10device_ptrIlEEjNS1_19radix_merge_compareILb0ELb1ElNS0_19identity_decomposerEEEEE10hipError_tT0_T1_T2_jT3_P12ihipStream_tbPNSt15iterator_traitsISG_E10value_typeEPNSM_ISH_E10value_typeEPSI_NS1_7vsmem_tEENKUlT_SG_SH_SI_E_clIS7_S7_S7_SB_EESF_SV_SG_SH_SI_EUlSV_E0_NS1_11comp_targetILNS1_3genE0ELNS1_11target_archE4294967295ELNS1_3gpuE0ELNS1_3repE0EEENS1_38merge_mergepath_config_static_selectorELNS0_4arch9wavefront6targetE1EEEvSH_.uses_vcc, 0
	.set _ZN7rocprim17ROCPRIM_400000_NS6detail17trampoline_kernelINS0_14default_configENS1_38merge_sort_block_merge_config_selectorIllEEZZNS1_27merge_sort_block_merge_implIS3_PlN6thrust23THRUST_200600_302600_NS10device_ptrIlEEjNS1_19radix_merge_compareILb0ELb1ElNS0_19identity_decomposerEEEEE10hipError_tT0_T1_T2_jT3_P12ihipStream_tbPNSt15iterator_traitsISG_E10value_typeEPNSM_ISH_E10value_typeEPSI_NS1_7vsmem_tEENKUlT_SG_SH_SI_E_clIS7_S7_S7_SB_EESF_SV_SG_SH_SI_EUlSV_E0_NS1_11comp_targetILNS1_3genE0ELNS1_11target_archE4294967295ELNS1_3gpuE0ELNS1_3repE0EEENS1_38merge_mergepath_config_static_selectorELNS0_4arch9wavefront6targetE1EEEvSH_.uses_flat_scratch, 0
	.set _ZN7rocprim17ROCPRIM_400000_NS6detail17trampoline_kernelINS0_14default_configENS1_38merge_sort_block_merge_config_selectorIllEEZZNS1_27merge_sort_block_merge_implIS3_PlN6thrust23THRUST_200600_302600_NS10device_ptrIlEEjNS1_19radix_merge_compareILb0ELb1ElNS0_19identity_decomposerEEEEE10hipError_tT0_T1_T2_jT3_P12ihipStream_tbPNSt15iterator_traitsISG_E10value_typeEPNSM_ISH_E10value_typeEPSI_NS1_7vsmem_tEENKUlT_SG_SH_SI_E_clIS7_S7_S7_SB_EESF_SV_SG_SH_SI_EUlSV_E0_NS1_11comp_targetILNS1_3genE0ELNS1_11target_archE4294967295ELNS1_3gpuE0ELNS1_3repE0EEENS1_38merge_mergepath_config_static_selectorELNS0_4arch9wavefront6targetE1EEEvSH_.has_dyn_sized_stack, 0
	.set _ZN7rocprim17ROCPRIM_400000_NS6detail17trampoline_kernelINS0_14default_configENS1_38merge_sort_block_merge_config_selectorIllEEZZNS1_27merge_sort_block_merge_implIS3_PlN6thrust23THRUST_200600_302600_NS10device_ptrIlEEjNS1_19radix_merge_compareILb0ELb1ElNS0_19identity_decomposerEEEEE10hipError_tT0_T1_T2_jT3_P12ihipStream_tbPNSt15iterator_traitsISG_E10value_typeEPNSM_ISH_E10value_typeEPSI_NS1_7vsmem_tEENKUlT_SG_SH_SI_E_clIS7_S7_S7_SB_EESF_SV_SG_SH_SI_EUlSV_E0_NS1_11comp_targetILNS1_3genE0ELNS1_11target_archE4294967295ELNS1_3gpuE0ELNS1_3repE0EEENS1_38merge_mergepath_config_static_selectorELNS0_4arch9wavefront6targetE1EEEvSH_.has_recursion, 0
	.set _ZN7rocprim17ROCPRIM_400000_NS6detail17trampoline_kernelINS0_14default_configENS1_38merge_sort_block_merge_config_selectorIllEEZZNS1_27merge_sort_block_merge_implIS3_PlN6thrust23THRUST_200600_302600_NS10device_ptrIlEEjNS1_19radix_merge_compareILb0ELb1ElNS0_19identity_decomposerEEEEE10hipError_tT0_T1_T2_jT3_P12ihipStream_tbPNSt15iterator_traitsISG_E10value_typeEPNSM_ISH_E10value_typeEPSI_NS1_7vsmem_tEENKUlT_SG_SH_SI_E_clIS7_S7_S7_SB_EESF_SV_SG_SH_SI_EUlSV_E0_NS1_11comp_targetILNS1_3genE0ELNS1_11target_archE4294967295ELNS1_3gpuE0ELNS1_3repE0EEENS1_38merge_mergepath_config_static_selectorELNS0_4arch9wavefront6targetE1EEEvSH_.has_indirect_call, 0
	.section	.AMDGPU.csdata,"",@progbits
; Kernel info:
; codeLenInByte = 0
; TotalNumSgprs: 4
; NumVgprs: 0
; ScratchSize: 0
; MemoryBound: 0
; FloatMode: 240
; IeeeMode: 1
; LDSByteSize: 0 bytes/workgroup (compile time only)
; SGPRBlocks: 0
; VGPRBlocks: 0
; NumSGPRsForWavesPerEU: 4
; NumVGPRsForWavesPerEU: 1
; Occupancy: 10
; WaveLimiterHint : 0
; COMPUTE_PGM_RSRC2:SCRATCH_EN: 0
; COMPUTE_PGM_RSRC2:USER_SGPR: 6
; COMPUTE_PGM_RSRC2:TRAP_HANDLER: 0
; COMPUTE_PGM_RSRC2:TGID_X_EN: 1
; COMPUTE_PGM_RSRC2:TGID_Y_EN: 0
; COMPUTE_PGM_RSRC2:TGID_Z_EN: 0
; COMPUTE_PGM_RSRC2:TIDIG_COMP_CNT: 0
	.section	.text._ZN7rocprim17ROCPRIM_400000_NS6detail17trampoline_kernelINS0_14default_configENS1_38merge_sort_block_merge_config_selectorIllEEZZNS1_27merge_sort_block_merge_implIS3_PlN6thrust23THRUST_200600_302600_NS10device_ptrIlEEjNS1_19radix_merge_compareILb0ELb1ElNS0_19identity_decomposerEEEEE10hipError_tT0_T1_T2_jT3_P12ihipStream_tbPNSt15iterator_traitsISG_E10value_typeEPNSM_ISH_E10value_typeEPSI_NS1_7vsmem_tEENKUlT_SG_SH_SI_E_clIS7_S7_S7_SB_EESF_SV_SG_SH_SI_EUlSV_E0_NS1_11comp_targetILNS1_3genE10ELNS1_11target_archE1201ELNS1_3gpuE5ELNS1_3repE0EEENS1_38merge_mergepath_config_static_selectorELNS0_4arch9wavefront6targetE1EEEvSH_,"axG",@progbits,_ZN7rocprim17ROCPRIM_400000_NS6detail17trampoline_kernelINS0_14default_configENS1_38merge_sort_block_merge_config_selectorIllEEZZNS1_27merge_sort_block_merge_implIS3_PlN6thrust23THRUST_200600_302600_NS10device_ptrIlEEjNS1_19radix_merge_compareILb0ELb1ElNS0_19identity_decomposerEEEEE10hipError_tT0_T1_T2_jT3_P12ihipStream_tbPNSt15iterator_traitsISG_E10value_typeEPNSM_ISH_E10value_typeEPSI_NS1_7vsmem_tEENKUlT_SG_SH_SI_E_clIS7_S7_S7_SB_EESF_SV_SG_SH_SI_EUlSV_E0_NS1_11comp_targetILNS1_3genE10ELNS1_11target_archE1201ELNS1_3gpuE5ELNS1_3repE0EEENS1_38merge_mergepath_config_static_selectorELNS0_4arch9wavefront6targetE1EEEvSH_,comdat
	.protected	_ZN7rocprim17ROCPRIM_400000_NS6detail17trampoline_kernelINS0_14default_configENS1_38merge_sort_block_merge_config_selectorIllEEZZNS1_27merge_sort_block_merge_implIS3_PlN6thrust23THRUST_200600_302600_NS10device_ptrIlEEjNS1_19radix_merge_compareILb0ELb1ElNS0_19identity_decomposerEEEEE10hipError_tT0_T1_T2_jT3_P12ihipStream_tbPNSt15iterator_traitsISG_E10value_typeEPNSM_ISH_E10value_typeEPSI_NS1_7vsmem_tEENKUlT_SG_SH_SI_E_clIS7_S7_S7_SB_EESF_SV_SG_SH_SI_EUlSV_E0_NS1_11comp_targetILNS1_3genE10ELNS1_11target_archE1201ELNS1_3gpuE5ELNS1_3repE0EEENS1_38merge_mergepath_config_static_selectorELNS0_4arch9wavefront6targetE1EEEvSH_ ; -- Begin function _ZN7rocprim17ROCPRIM_400000_NS6detail17trampoline_kernelINS0_14default_configENS1_38merge_sort_block_merge_config_selectorIllEEZZNS1_27merge_sort_block_merge_implIS3_PlN6thrust23THRUST_200600_302600_NS10device_ptrIlEEjNS1_19radix_merge_compareILb0ELb1ElNS0_19identity_decomposerEEEEE10hipError_tT0_T1_T2_jT3_P12ihipStream_tbPNSt15iterator_traitsISG_E10value_typeEPNSM_ISH_E10value_typeEPSI_NS1_7vsmem_tEENKUlT_SG_SH_SI_E_clIS7_S7_S7_SB_EESF_SV_SG_SH_SI_EUlSV_E0_NS1_11comp_targetILNS1_3genE10ELNS1_11target_archE1201ELNS1_3gpuE5ELNS1_3repE0EEENS1_38merge_mergepath_config_static_selectorELNS0_4arch9wavefront6targetE1EEEvSH_
	.globl	_ZN7rocprim17ROCPRIM_400000_NS6detail17trampoline_kernelINS0_14default_configENS1_38merge_sort_block_merge_config_selectorIllEEZZNS1_27merge_sort_block_merge_implIS3_PlN6thrust23THRUST_200600_302600_NS10device_ptrIlEEjNS1_19radix_merge_compareILb0ELb1ElNS0_19identity_decomposerEEEEE10hipError_tT0_T1_T2_jT3_P12ihipStream_tbPNSt15iterator_traitsISG_E10value_typeEPNSM_ISH_E10value_typeEPSI_NS1_7vsmem_tEENKUlT_SG_SH_SI_E_clIS7_S7_S7_SB_EESF_SV_SG_SH_SI_EUlSV_E0_NS1_11comp_targetILNS1_3genE10ELNS1_11target_archE1201ELNS1_3gpuE5ELNS1_3repE0EEENS1_38merge_mergepath_config_static_selectorELNS0_4arch9wavefront6targetE1EEEvSH_
	.p2align	8
	.type	_ZN7rocprim17ROCPRIM_400000_NS6detail17trampoline_kernelINS0_14default_configENS1_38merge_sort_block_merge_config_selectorIllEEZZNS1_27merge_sort_block_merge_implIS3_PlN6thrust23THRUST_200600_302600_NS10device_ptrIlEEjNS1_19radix_merge_compareILb0ELb1ElNS0_19identity_decomposerEEEEE10hipError_tT0_T1_T2_jT3_P12ihipStream_tbPNSt15iterator_traitsISG_E10value_typeEPNSM_ISH_E10value_typeEPSI_NS1_7vsmem_tEENKUlT_SG_SH_SI_E_clIS7_S7_S7_SB_EESF_SV_SG_SH_SI_EUlSV_E0_NS1_11comp_targetILNS1_3genE10ELNS1_11target_archE1201ELNS1_3gpuE5ELNS1_3repE0EEENS1_38merge_mergepath_config_static_selectorELNS0_4arch9wavefront6targetE1EEEvSH_,@function
_ZN7rocprim17ROCPRIM_400000_NS6detail17trampoline_kernelINS0_14default_configENS1_38merge_sort_block_merge_config_selectorIllEEZZNS1_27merge_sort_block_merge_implIS3_PlN6thrust23THRUST_200600_302600_NS10device_ptrIlEEjNS1_19radix_merge_compareILb0ELb1ElNS0_19identity_decomposerEEEEE10hipError_tT0_T1_T2_jT3_P12ihipStream_tbPNSt15iterator_traitsISG_E10value_typeEPNSM_ISH_E10value_typeEPSI_NS1_7vsmem_tEENKUlT_SG_SH_SI_E_clIS7_S7_S7_SB_EESF_SV_SG_SH_SI_EUlSV_E0_NS1_11comp_targetILNS1_3genE10ELNS1_11target_archE1201ELNS1_3gpuE5ELNS1_3repE0EEENS1_38merge_mergepath_config_static_selectorELNS0_4arch9wavefront6targetE1EEEvSH_: ; @_ZN7rocprim17ROCPRIM_400000_NS6detail17trampoline_kernelINS0_14default_configENS1_38merge_sort_block_merge_config_selectorIllEEZZNS1_27merge_sort_block_merge_implIS3_PlN6thrust23THRUST_200600_302600_NS10device_ptrIlEEjNS1_19radix_merge_compareILb0ELb1ElNS0_19identity_decomposerEEEEE10hipError_tT0_T1_T2_jT3_P12ihipStream_tbPNSt15iterator_traitsISG_E10value_typeEPNSM_ISH_E10value_typeEPSI_NS1_7vsmem_tEENKUlT_SG_SH_SI_E_clIS7_S7_S7_SB_EESF_SV_SG_SH_SI_EUlSV_E0_NS1_11comp_targetILNS1_3genE10ELNS1_11target_archE1201ELNS1_3gpuE5ELNS1_3repE0EEENS1_38merge_mergepath_config_static_selectorELNS0_4arch9wavefront6targetE1EEEvSH_
; %bb.0:
	.section	.rodata,"a",@progbits
	.p2align	6, 0x0
	.amdhsa_kernel _ZN7rocprim17ROCPRIM_400000_NS6detail17trampoline_kernelINS0_14default_configENS1_38merge_sort_block_merge_config_selectorIllEEZZNS1_27merge_sort_block_merge_implIS3_PlN6thrust23THRUST_200600_302600_NS10device_ptrIlEEjNS1_19radix_merge_compareILb0ELb1ElNS0_19identity_decomposerEEEEE10hipError_tT0_T1_T2_jT3_P12ihipStream_tbPNSt15iterator_traitsISG_E10value_typeEPNSM_ISH_E10value_typeEPSI_NS1_7vsmem_tEENKUlT_SG_SH_SI_E_clIS7_S7_S7_SB_EESF_SV_SG_SH_SI_EUlSV_E0_NS1_11comp_targetILNS1_3genE10ELNS1_11target_archE1201ELNS1_3gpuE5ELNS1_3repE0EEENS1_38merge_mergepath_config_static_selectorELNS0_4arch9wavefront6targetE1EEEvSH_
		.amdhsa_group_segment_fixed_size 0
		.amdhsa_private_segment_fixed_size 0
		.amdhsa_kernarg_size 72
		.amdhsa_user_sgpr_count 6
		.amdhsa_user_sgpr_private_segment_buffer 1
		.amdhsa_user_sgpr_dispatch_ptr 0
		.amdhsa_user_sgpr_queue_ptr 0
		.amdhsa_user_sgpr_kernarg_segment_ptr 1
		.amdhsa_user_sgpr_dispatch_id 0
		.amdhsa_user_sgpr_flat_scratch_init 0
		.amdhsa_user_sgpr_private_segment_size 0
		.amdhsa_uses_dynamic_stack 0
		.amdhsa_system_sgpr_private_segment_wavefront_offset 0
		.amdhsa_system_sgpr_workgroup_id_x 1
		.amdhsa_system_sgpr_workgroup_id_y 0
		.amdhsa_system_sgpr_workgroup_id_z 0
		.amdhsa_system_sgpr_workgroup_info 0
		.amdhsa_system_vgpr_workitem_id 0
		.amdhsa_next_free_vgpr 1
		.amdhsa_next_free_sgpr 0
		.amdhsa_reserve_vcc 0
		.amdhsa_reserve_flat_scratch 0
		.amdhsa_float_round_mode_32 0
		.amdhsa_float_round_mode_16_64 0
		.amdhsa_float_denorm_mode_32 3
		.amdhsa_float_denorm_mode_16_64 3
		.amdhsa_dx10_clamp 1
		.amdhsa_ieee_mode 1
		.amdhsa_fp16_overflow 0
		.amdhsa_exception_fp_ieee_invalid_op 0
		.amdhsa_exception_fp_denorm_src 0
		.amdhsa_exception_fp_ieee_div_zero 0
		.amdhsa_exception_fp_ieee_overflow 0
		.amdhsa_exception_fp_ieee_underflow 0
		.amdhsa_exception_fp_ieee_inexact 0
		.amdhsa_exception_int_div_zero 0
	.end_amdhsa_kernel
	.section	.text._ZN7rocprim17ROCPRIM_400000_NS6detail17trampoline_kernelINS0_14default_configENS1_38merge_sort_block_merge_config_selectorIllEEZZNS1_27merge_sort_block_merge_implIS3_PlN6thrust23THRUST_200600_302600_NS10device_ptrIlEEjNS1_19radix_merge_compareILb0ELb1ElNS0_19identity_decomposerEEEEE10hipError_tT0_T1_T2_jT3_P12ihipStream_tbPNSt15iterator_traitsISG_E10value_typeEPNSM_ISH_E10value_typeEPSI_NS1_7vsmem_tEENKUlT_SG_SH_SI_E_clIS7_S7_S7_SB_EESF_SV_SG_SH_SI_EUlSV_E0_NS1_11comp_targetILNS1_3genE10ELNS1_11target_archE1201ELNS1_3gpuE5ELNS1_3repE0EEENS1_38merge_mergepath_config_static_selectorELNS0_4arch9wavefront6targetE1EEEvSH_,"axG",@progbits,_ZN7rocprim17ROCPRIM_400000_NS6detail17trampoline_kernelINS0_14default_configENS1_38merge_sort_block_merge_config_selectorIllEEZZNS1_27merge_sort_block_merge_implIS3_PlN6thrust23THRUST_200600_302600_NS10device_ptrIlEEjNS1_19radix_merge_compareILb0ELb1ElNS0_19identity_decomposerEEEEE10hipError_tT0_T1_T2_jT3_P12ihipStream_tbPNSt15iterator_traitsISG_E10value_typeEPNSM_ISH_E10value_typeEPSI_NS1_7vsmem_tEENKUlT_SG_SH_SI_E_clIS7_S7_S7_SB_EESF_SV_SG_SH_SI_EUlSV_E0_NS1_11comp_targetILNS1_3genE10ELNS1_11target_archE1201ELNS1_3gpuE5ELNS1_3repE0EEENS1_38merge_mergepath_config_static_selectorELNS0_4arch9wavefront6targetE1EEEvSH_,comdat
.Lfunc_end1075:
	.size	_ZN7rocprim17ROCPRIM_400000_NS6detail17trampoline_kernelINS0_14default_configENS1_38merge_sort_block_merge_config_selectorIllEEZZNS1_27merge_sort_block_merge_implIS3_PlN6thrust23THRUST_200600_302600_NS10device_ptrIlEEjNS1_19radix_merge_compareILb0ELb1ElNS0_19identity_decomposerEEEEE10hipError_tT0_T1_T2_jT3_P12ihipStream_tbPNSt15iterator_traitsISG_E10value_typeEPNSM_ISH_E10value_typeEPSI_NS1_7vsmem_tEENKUlT_SG_SH_SI_E_clIS7_S7_S7_SB_EESF_SV_SG_SH_SI_EUlSV_E0_NS1_11comp_targetILNS1_3genE10ELNS1_11target_archE1201ELNS1_3gpuE5ELNS1_3repE0EEENS1_38merge_mergepath_config_static_selectorELNS0_4arch9wavefront6targetE1EEEvSH_, .Lfunc_end1075-_ZN7rocprim17ROCPRIM_400000_NS6detail17trampoline_kernelINS0_14default_configENS1_38merge_sort_block_merge_config_selectorIllEEZZNS1_27merge_sort_block_merge_implIS3_PlN6thrust23THRUST_200600_302600_NS10device_ptrIlEEjNS1_19radix_merge_compareILb0ELb1ElNS0_19identity_decomposerEEEEE10hipError_tT0_T1_T2_jT3_P12ihipStream_tbPNSt15iterator_traitsISG_E10value_typeEPNSM_ISH_E10value_typeEPSI_NS1_7vsmem_tEENKUlT_SG_SH_SI_E_clIS7_S7_S7_SB_EESF_SV_SG_SH_SI_EUlSV_E0_NS1_11comp_targetILNS1_3genE10ELNS1_11target_archE1201ELNS1_3gpuE5ELNS1_3repE0EEENS1_38merge_mergepath_config_static_selectorELNS0_4arch9wavefront6targetE1EEEvSH_
                                        ; -- End function
	.set _ZN7rocprim17ROCPRIM_400000_NS6detail17trampoline_kernelINS0_14default_configENS1_38merge_sort_block_merge_config_selectorIllEEZZNS1_27merge_sort_block_merge_implIS3_PlN6thrust23THRUST_200600_302600_NS10device_ptrIlEEjNS1_19radix_merge_compareILb0ELb1ElNS0_19identity_decomposerEEEEE10hipError_tT0_T1_T2_jT3_P12ihipStream_tbPNSt15iterator_traitsISG_E10value_typeEPNSM_ISH_E10value_typeEPSI_NS1_7vsmem_tEENKUlT_SG_SH_SI_E_clIS7_S7_S7_SB_EESF_SV_SG_SH_SI_EUlSV_E0_NS1_11comp_targetILNS1_3genE10ELNS1_11target_archE1201ELNS1_3gpuE5ELNS1_3repE0EEENS1_38merge_mergepath_config_static_selectorELNS0_4arch9wavefront6targetE1EEEvSH_.num_vgpr, 0
	.set _ZN7rocprim17ROCPRIM_400000_NS6detail17trampoline_kernelINS0_14default_configENS1_38merge_sort_block_merge_config_selectorIllEEZZNS1_27merge_sort_block_merge_implIS3_PlN6thrust23THRUST_200600_302600_NS10device_ptrIlEEjNS1_19radix_merge_compareILb0ELb1ElNS0_19identity_decomposerEEEEE10hipError_tT0_T1_T2_jT3_P12ihipStream_tbPNSt15iterator_traitsISG_E10value_typeEPNSM_ISH_E10value_typeEPSI_NS1_7vsmem_tEENKUlT_SG_SH_SI_E_clIS7_S7_S7_SB_EESF_SV_SG_SH_SI_EUlSV_E0_NS1_11comp_targetILNS1_3genE10ELNS1_11target_archE1201ELNS1_3gpuE5ELNS1_3repE0EEENS1_38merge_mergepath_config_static_selectorELNS0_4arch9wavefront6targetE1EEEvSH_.num_agpr, 0
	.set _ZN7rocprim17ROCPRIM_400000_NS6detail17trampoline_kernelINS0_14default_configENS1_38merge_sort_block_merge_config_selectorIllEEZZNS1_27merge_sort_block_merge_implIS3_PlN6thrust23THRUST_200600_302600_NS10device_ptrIlEEjNS1_19radix_merge_compareILb0ELb1ElNS0_19identity_decomposerEEEEE10hipError_tT0_T1_T2_jT3_P12ihipStream_tbPNSt15iterator_traitsISG_E10value_typeEPNSM_ISH_E10value_typeEPSI_NS1_7vsmem_tEENKUlT_SG_SH_SI_E_clIS7_S7_S7_SB_EESF_SV_SG_SH_SI_EUlSV_E0_NS1_11comp_targetILNS1_3genE10ELNS1_11target_archE1201ELNS1_3gpuE5ELNS1_3repE0EEENS1_38merge_mergepath_config_static_selectorELNS0_4arch9wavefront6targetE1EEEvSH_.numbered_sgpr, 0
	.set _ZN7rocprim17ROCPRIM_400000_NS6detail17trampoline_kernelINS0_14default_configENS1_38merge_sort_block_merge_config_selectorIllEEZZNS1_27merge_sort_block_merge_implIS3_PlN6thrust23THRUST_200600_302600_NS10device_ptrIlEEjNS1_19radix_merge_compareILb0ELb1ElNS0_19identity_decomposerEEEEE10hipError_tT0_T1_T2_jT3_P12ihipStream_tbPNSt15iterator_traitsISG_E10value_typeEPNSM_ISH_E10value_typeEPSI_NS1_7vsmem_tEENKUlT_SG_SH_SI_E_clIS7_S7_S7_SB_EESF_SV_SG_SH_SI_EUlSV_E0_NS1_11comp_targetILNS1_3genE10ELNS1_11target_archE1201ELNS1_3gpuE5ELNS1_3repE0EEENS1_38merge_mergepath_config_static_selectorELNS0_4arch9wavefront6targetE1EEEvSH_.num_named_barrier, 0
	.set _ZN7rocprim17ROCPRIM_400000_NS6detail17trampoline_kernelINS0_14default_configENS1_38merge_sort_block_merge_config_selectorIllEEZZNS1_27merge_sort_block_merge_implIS3_PlN6thrust23THRUST_200600_302600_NS10device_ptrIlEEjNS1_19radix_merge_compareILb0ELb1ElNS0_19identity_decomposerEEEEE10hipError_tT0_T1_T2_jT3_P12ihipStream_tbPNSt15iterator_traitsISG_E10value_typeEPNSM_ISH_E10value_typeEPSI_NS1_7vsmem_tEENKUlT_SG_SH_SI_E_clIS7_S7_S7_SB_EESF_SV_SG_SH_SI_EUlSV_E0_NS1_11comp_targetILNS1_3genE10ELNS1_11target_archE1201ELNS1_3gpuE5ELNS1_3repE0EEENS1_38merge_mergepath_config_static_selectorELNS0_4arch9wavefront6targetE1EEEvSH_.private_seg_size, 0
	.set _ZN7rocprim17ROCPRIM_400000_NS6detail17trampoline_kernelINS0_14default_configENS1_38merge_sort_block_merge_config_selectorIllEEZZNS1_27merge_sort_block_merge_implIS3_PlN6thrust23THRUST_200600_302600_NS10device_ptrIlEEjNS1_19radix_merge_compareILb0ELb1ElNS0_19identity_decomposerEEEEE10hipError_tT0_T1_T2_jT3_P12ihipStream_tbPNSt15iterator_traitsISG_E10value_typeEPNSM_ISH_E10value_typeEPSI_NS1_7vsmem_tEENKUlT_SG_SH_SI_E_clIS7_S7_S7_SB_EESF_SV_SG_SH_SI_EUlSV_E0_NS1_11comp_targetILNS1_3genE10ELNS1_11target_archE1201ELNS1_3gpuE5ELNS1_3repE0EEENS1_38merge_mergepath_config_static_selectorELNS0_4arch9wavefront6targetE1EEEvSH_.uses_vcc, 0
	.set _ZN7rocprim17ROCPRIM_400000_NS6detail17trampoline_kernelINS0_14default_configENS1_38merge_sort_block_merge_config_selectorIllEEZZNS1_27merge_sort_block_merge_implIS3_PlN6thrust23THRUST_200600_302600_NS10device_ptrIlEEjNS1_19radix_merge_compareILb0ELb1ElNS0_19identity_decomposerEEEEE10hipError_tT0_T1_T2_jT3_P12ihipStream_tbPNSt15iterator_traitsISG_E10value_typeEPNSM_ISH_E10value_typeEPSI_NS1_7vsmem_tEENKUlT_SG_SH_SI_E_clIS7_S7_S7_SB_EESF_SV_SG_SH_SI_EUlSV_E0_NS1_11comp_targetILNS1_3genE10ELNS1_11target_archE1201ELNS1_3gpuE5ELNS1_3repE0EEENS1_38merge_mergepath_config_static_selectorELNS0_4arch9wavefront6targetE1EEEvSH_.uses_flat_scratch, 0
	.set _ZN7rocprim17ROCPRIM_400000_NS6detail17trampoline_kernelINS0_14default_configENS1_38merge_sort_block_merge_config_selectorIllEEZZNS1_27merge_sort_block_merge_implIS3_PlN6thrust23THRUST_200600_302600_NS10device_ptrIlEEjNS1_19radix_merge_compareILb0ELb1ElNS0_19identity_decomposerEEEEE10hipError_tT0_T1_T2_jT3_P12ihipStream_tbPNSt15iterator_traitsISG_E10value_typeEPNSM_ISH_E10value_typeEPSI_NS1_7vsmem_tEENKUlT_SG_SH_SI_E_clIS7_S7_S7_SB_EESF_SV_SG_SH_SI_EUlSV_E0_NS1_11comp_targetILNS1_3genE10ELNS1_11target_archE1201ELNS1_3gpuE5ELNS1_3repE0EEENS1_38merge_mergepath_config_static_selectorELNS0_4arch9wavefront6targetE1EEEvSH_.has_dyn_sized_stack, 0
	.set _ZN7rocprim17ROCPRIM_400000_NS6detail17trampoline_kernelINS0_14default_configENS1_38merge_sort_block_merge_config_selectorIllEEZZNS1_27merge_sort_block_merge_implIS3_PlN6thrust23THRUST_200600_302600_NS10device_ptrIlEEjNS1_19radix_merge_compareILb0ELb1ElNS0_19identity_decomposerEEEEE10hipError_tT0_T1_T2_jT3_P12ihipStream_tbPNSt15iterator_traitsISG_E10value_typeEPNSM_ISH_E10value_typeEPSI_NS1_7vsmem_tEENKUlT_SG_SH_SI_E_clIS7_S7_S7_SB_EESF_SV_SG_SH_SI_EUlSV_E0_NS1_11comp_targetILNS1_3genE10ELNS1_11target_archE1201ELNS1_3gpuE5ELNS1_3repE0EEENS1_38merge_mergepath_config_static_selectorELNS0_4arch9wavefront6targetE1EEEvSH_.has_recursion, 0
	.set _ZN7rocprim17ROCPRIM_400000_NS6detail17trampoline_kernelINS0_14default_configENS1_38merge_sort_block_merge_config_selectorIllEEZZNS1_27merge_sort_block_merge_implIS3_PlN6thrust23THRUST_200600_302600_NS10device_ptrIlEEjNS1_19radix_merge_compareILb0ELb1ElNS0_19identity_decomposerEEEEE10hipError_tT0_T1_T2_jT3_P12ihipStream_tbPNSt15iterator_traitsISG_E10value_typeEPNSM_ISH_E10value_typeEPSI_NS1_7vsmem_tEENKUlT_SG_SH_SI_E_clIS7_S7_S7_SB_EESF_SV_SG_SH_SI_EUlSV_E0_NS1_11comp_targetILNS1_3genE10ELNS1_11target_archE1201ELNS1_3gpuE5ELNS1_3repE0EEENS1_38merge_mergepath_config_static_selectorELNS0_4arch9wavefront6targetE1EEEvSH_.has_indirect_call, 0
	.section	.AMDGPU.csdata,"",@progbits
; Kernel info:
; codeLenInByte = 0
; TotalNumSgprs: 4
; NumVgprs: 0
; ScratchSize: 0
; MemoryBound: 0
; FloatMode: 240
; IeeeMode: 1
; LDSByteSize: 0 bytes/workgroup (compile time only)
; SGPRBlocks: 0
; VGPRBlocks: 0
; NumSGPRsForWavesPerEU: 4
; NumVGPRsForWavesPerEU: 1
; Occupancy: 10
; WaveLimiterHint : 0
; COMPUTE_PGM_RSRC2:SCRATCH_EN: 0
; COMPUTE_PGM_RSRC2:USER_SGPR: 6
; COMPUTE_PGM_RSRC2:TRAP_HANDLER: 0
; COMPUTE_PGM_RSRC2:TGID_X_EN: 1
; COMPUTE_PGM_RSRC2:TGID_Y_EN: 0
; COMPUTE_PGM_RSRC2:TGID_Z_EN: 0
; COMPUTE_PGM_RSRC2:TIDIG_COMP_CNT: 0
	.section	.text._ZN7rocprim17ROCPRIM_400000_NS6detail17trampoline_kernelINS0_14default_configENS1_38merge_sort_block_merge_config_selectorIllEEZZNS1_27merge_sort_block_merge_implIS3_PlN6thrust23THRUST_200600_302600_NS10device_ptrIlEEjNS1_19radix_merge_compareILb0ELb1ElNS0_19identity_decomposerEEEEE10hipError_tT0_T1_T2_jT3_P12ihipStream_tbPNSt15iterator_traitsISG_E10value_typeEPNSM_ISH_E10value_typeEPSI_NS1_7vsmem_tEENKUlT_SG_SH_SI_E_clIS7_S7_S7_SB_EESF_SV_SG_SH_SI_EUlSV_E0_NS1_11comp_targetILNS1_3genE5ELNS1_11target_archE942ELNS1_3gpuE9ELNS1_3repE0EEENS1_38merge_mergepath_config_static_selectorELNS0_4arch9wavefront6targetE1EEEvSH_,"axG",@progbits,_ZN7rocprim17ROCPRIM_400000_NS6detail17trampoline_kernelINS0_14default_configENS1_38merge_sort_block_merge_config_selectorIllEEZZNS1_27merge_sort_block_merge_implIS3_PlN6thrust23THRUST_200600_302600_NS10device_ptrIlEEjNS1_19radix_merge_compareILb0ELb1ElNS0_19identity_decomposerEEEEE10hipError_tT0_T1_T2_jT3_P12ihipStream_tbPNSt15iterator_traitsISG_E10value_typeEPNSM_ISH_E10value_typeEPSI_NS1_7vsmem_tEENKUlT_SG_SH_SI_E_clIS7_S7_S7_SB_EESF_SV_SG_SH_SI_EUlSV_E0_NS1_11comp_targetILNS1_3genE5ELNS1_11target_archE942ELNS1_3gpuE9ELNS1_3repE0EEENS1_38merge_mergepath_config_static_selectorELNS0_4arch9wavefront6targetE1EEEvSH_,comdat
	.protected	_ZN7rocprim17ROCPRIM_400000_NS6detail17trampoline_kernelINS0_14default_configENS1_38merge_sort_block_merge_config_selectorIllEEZZNS1_27merge_sort_block_merge_implIS3_PlN6thrust23THRUST_200600_302600_NS10device_ptrIlEEjNS1_19radix_merge_compareILb0ELb1ElNS0_19identity_decomposerEEEEE10hipError_tT0_T1_T2_jT3_P12ihipStream_tbPNSt15iterator_traitsISG_E10value_typeEPNSM_ISH_E10value_typeEPSI_NS1_7vsmem_tEENKUlT_SG_SH_SI_E_clIS7_S7_S7_SB_EESF_SV_SG_SH_SI_EUlSV_E0_NS1_11comp_targetILNS1_3genE5ELNS1_11target_archE942ELNS1_3gpuE9ELNS1_3repE0EEENS1_38merge_mergepath_config_static_selectorELNS0_4arch9wavefront6targetE1EEEvSH_ ; -- Begin function _ZN7rocprim17ROCPRIM_400000_NS6detail17trampoline_kernelINS0_14default_configENS1_38merge_sort_block_merge_config_selectorIllEEZZNS1_27merge_sort_block_merge_implIS3_PlN6thrust23THRUST_200600_302600_NS10device_ptrIlEEjNS1_19radix_merge_compareILb0ELb1ElNS0_19identity_decomposerEEEEE10hipError_tT0_T1_T2_jT3_P12ihipStream_tbPNSt15iterator_traitsISG_E10value_typeEPNSM_ISH_E10value_typeEPSI_NS1_7vsmem_tEENKUlT_SG_SH_SI_E_clIS7_S7_S7_SB_EESF_SV_SG_SH_SI_EUlSV_E0_NS1_11comp_targetILNS1_3genE5ELNS1_11target_archE942ELNS1_3gpuE9ELNS1_3repE0EEENS1_38merge_mergepath_config_static_selectorELNS0_4arch9wavefront6targetE1EEEvSH_
	.globl	_ZN7rocprim17ROCPRIM_400000_NS6detail17trampoline_kernelINS0_14default_configENS1_38merge_sort_block_merge_config_selectorIllEEZZNS1_27merge_sort_block_merge_implIS3_PlN6thrust23THRUST_200600_302600_NS10device_ptrIlEEjNS1_19radix_merge_compareILb0ELb1ElNS0_19identity_decomposerEEEEE10hipError_tT0_T1_T2_jT3_P12ihipStream_tbPNSt15iterator_traitsISG_E10value_typeEPNSM_ISH_E10value_typeEPSI_NS1_7vsmem_tEENKUlT_SG_SH_SI_E_clIS7_S7_S7_SB_EESF_SV_SG_SH_SI_EUlSV_E0_NS1_11comp_targetILNS1_3genE5ELNS1_11target_archE942ELNS1_3gpuE9ELNS1_3repE0EEENS1_38merge_mergepath_config_static_selectorELNS0_4arch9wavefront6targetE1EEEvSH_
	.p2align	8
	.type	_ZN7rocprim17ROCPRIM_400000_NS6detail17trampoline_kernelINS0_14default_configENS1_38merge_sort_block_merge_config_selectorIllEEZZNS1_27merge_sort_block_merge_implIS3_PlN6thrust23THRUST_200600_302600_NS10device_ptrIlEEjNS1_19radix_merge_compareILb0ELb1ElNS0_19identity_decomposerEEEEE10hipError_tT0_T1_T2_jT3_P12ihipStream_tbPNSt15iterator_traitsISG_E10value_typeEPNSM_ISH_E10value_typeEPSI_NS1_7vsmem_tEENKUlT_SG_SH_SI_E_clIS7_S7_S7_SB_EESF_SV_SG_SH_SI_EUlSV_E0_NS1_11comp_targetILNS1_3genE5ELNS1_11target_archE942ELNS1_3gpuE9ELNS1_3repE0EEENS1_38merge_mergepath_config_static_selectorELNS0_4arch9wavefront6targetE1EEEvSH_,@function
_ZN7rocprim17ROCPRIM_400000_NS6detail17trampoline_kernelINS0_14default_configENS1_38merge_sort_block_merge_config_selectorIllEEZZNS1_27merge_sort_block_merge_implIS3_PlN6thrust23THRUST_200600_302600_NS10device_ptrIlEEjNS1_19radix_merge_compareILb0ELb1ElNS0_19identity_decomposerEEEEE10hipError_tT0_T1_T2_jT3_P12ihipStream_tbPNSt15iterator_traitsISG_E10value_typeEPNSM_ISH_E10value_typeEPSI_NS1_7vsmem_tEENKUlT_SG_SH_SI_E_clIS7_S7_S7_SB_EESF_SV_SG_SH_SI_EUlSV_E0_NS1_11comp_targetILNS1_3genE5ELNS1_11target_archE942ELNS1_3gpuE9ELNS1_3repE0EEENS1_38merge_mergepath_config_static_selectorELNS0_4arch9wavefront6targetE1EEEvSH_: ; @_ZN7rocprim17ROCPRIM_400000_NS6detail17trampoline_kernelINS0_14default_configENS1_38merge_sort_block_merge_config_selectorIllEEZZNS1_27merge_sort_block_merge_implIS3_PlN6thrust23THRUST_200600_302600_NS10device_ptrIlEEjNS1_19radix_merge_compareILb0ELb1ElNS0_19identity_decomposerEEEEE10hipError_tT0_T1_T2_jT3_P12ihipStream_tbPNSt15iterator_traitsISG_E10value_typeEPNSM_ISH_E10value_typeEPSI_NS1_7vsmem_tEENKUlT_SG_SH_SI_E_clIS7_S7_S7_SB_EESF_SV_SG_SH_SI_EUlSV_E0_NS1_11comp_targetILNS1_3genE5ELNS1_11target_archE942ELNS1_3gpuE9ELNS1_3repE0EEENS1_38merge_mergepath_config_static_selectorELNS0_4arch9wavefront6targetE1EEEvSH_
; %bb.0:
	.section	.rodata,"a",@progbits
	.p2align	6, 0x0
	.amdhsa_kernel _ZN7rocprim17ROCPRIM_400000_NS6detail17trampoline_kernelINS0_14default_configENS1_38merge_sort_block_merge_config_selectorIllEEZZNS1_27merge_sort_block_merge_implIS3_PlN6thrust23THRUST_200600_302600_NS10device_ptrIlEEjNS1_19radix_merge_compareILb0ELb1ElNS0_19identity_decomposerEEEEE10hipError_tT0_T1_T2_jT3_P12ihipStream_tbPNSt15iterator_traitsISG_E10value_typeEPNSM_ISH_E10value_typeEPSI_NS1_7vsmem_tEENKUlT_SG_SH_SI_E_clIS7_S7_S7_SB_EESF_SV_SG_SH_SI_EUlSV_E0_NS1_11comp_targetILNS1_3genE5ELNS1_11target_archE942ELNS1_3gpuE9ELNS1_3repE0EEENS1_38merge_mergepath_config_static_selectorELNS0_4arch9wavefront6targetE1EEEvSH_
		.amdhsa_group_segment_fixed_size 0
		.amdhsa_private_segment_fixed_size 0
		.amdhsa_kernarg_size 72
		.amdhsa_user_sgpr_count 6
		.amdhsa_user_sgpr_private_segment_buffer 1
		.amdhsa_user_sgpr_dispatch_ptr 0
		.amdhsa_user_sgpr_queue_ptr 0
		.amdhsa_user_sgpr_kernarg_segment_ptr 1
		.amdhsa_user_sgpr_dispatch_id 0
		.amdhsa_user_sgpr_flat_scratch_init 0
		.amdhsa_user_sgpr_private_segment_size 0
		.amdhsa_uses_dynamic_stack 0
		.amdhsa_system_sgpr_private_segment_wavefront_offset 0
		.amdhsa_system_sgpr_workgroup_id_x 1
		.amdhsa_system_sgpr_workgroup_id_y 0
		.amdhsa_system_sgpr_workgroup_id_z 0
		.amdhsa_system_sgpr_workgroup_info 0
		.amdhsa_system_vgpr_workitem_id 0
		.amdhsa_next_free_vgpr 1
		.amdhsa_next_free_sgpr 0
		.amdhsa_reserve_vcc 0
		.amdhsa_reserve_flat_scratch 0
		.amdhsa_float_round_mode_32 0
		.amdhsa_float_round_mode_16_64 0
		.amdhsa_float_denorm_mode_32 3
		.amdhsa_float_denorm_mode_16_64 3
		.amdhsa_dx10_clamp 1
		.amdhsa_ieee_mode 1
		.amdhsa_fp16_overflow 0
		.amdhsa_exception_fp_ieee_invalid_op 0
		.amdhsa_exception_fp_denorm_src 0
		.amdhsa_exception_fp_ieee_div_zero 0
		.amdhsa_exception_fp_ieee_overflow 0
		.amdhsa_exception_fp_ieee_underflow 0
		.amdhsa_exception_fp_ieee_inexact 0
		.amdhsa_exception_int_div_zero 0
	.end_amdhsa_kernel
	.section	.text._ZN7rocprim17ROCPRIM_400000_NS6detail17trampoline_kernelINS0_14default_configENS1_38merge_sort_block_merge_config_selectorIllEEZZNS1_27merge_sort_block_merge_implIS3_PlN6thrust23THRUST_200600_302600_NS10device_ptrIlEEjNS1_19radix_merge_compareILb0ELb1ElNS0_19identity_decomposerEEEEE10hipError_tT0_T1_T2_jT3_P12ihipStream_tbPNSt15iterator_traitsISG_E10value_typeEPNSM_ISH_E10value_typeEPSI_NS1_7vsmem_tEENKUlT_SG_SH_SI_E_clIS7_S7_S7_SB_EESF_SV_SG_SH_SI_EUlSV_E0_NS1_11comp_targetILNS1_3genE5ELNS1_11target_archE942ELNS1_3gpuE9ELNS1_3repE0EEENS1_38merge_mergepath_config_static_selectorELNS0_4arch9wavefront6targetE1EEEvSH_,"axG",@progbits,_ZN7rocprim17ROCPRIM_400000_NS6detail17trampoline_kernelINS0_14default_configENS1_38merge_sort_block_merge_config_selectorIllEEZZNS1_27merge_sort_block_merge_implIS3_PlN6thrust23THRUST_200600_302600_NS10device_ptrIlEEjNS1_19radix_merge_compareILb0ELb1ElNS0_19identity_decomposerEEEEE10hipError_tT0_T1_T2_jT3_P12ihipStream_tbPNSt15iterator_traitsISG_E10value_typeEPNSM_ISH_E10value_typeEPSI_NS1_7vsmem_tEENKUlT_SG_SH_SI_E_clIS7_S7_S7_SB_EESF_SV_SG_SH_SI_EUlSV_E0_NS1_11comp_targetILNS1_3genE5ELNS1_11target_archE942ELNS1_3gpuE9ELNS1_3repE0EEENS1_38merge_mergepath_config_static_selectorELNS0_4arch9wavefront6targetE1EEEvSH_,comdat
.Lfunc_end1076:
	.size	_ZN7rocprim17ROCPRIM_400000_NS6detail17trampoline_kernelINS0_14default_configENS1_38merge_sort_block_merge_config_selectorIllEEZZNS1_27merge_sort_block_merge_implIS3_PlN6thrust23THRUST_200600_302600_NS10device_ptrIlEEjNS1_19radix_merge_compareILb0ELb1ElNS0_19identity_decomposerEEEEE10hipError_tT0_T1_T2_jT3_P12ihipStream_tbPNSt15iterator_traitsISG_E10value_typeEPNSM_ISH_E10value_typeEPSI_NS1_7vsmem_tEENKUlT_SG_SH_SI_E_clIS7_S7_S7_SB_EESF_SV_SG_SH_SI_EUlSV_E0_NS1_11comp_targetILNS1_3genE5ELNS1_11target_archE942ELNS1_3gpuE9ELNS1_3repE0EEENS1_38merge_mergepath_config_static_selectorELNS0_4arch9wavefront6targetE1EEEvSH_, .Lfunc_end1076-_ZN7rocprim17ROCPRIM_400000_NS6detail17trampoline_kernelINS0_14default_configENS1_38merge_sort_block_merge_config_selectorIllEEZZNS1_27merge_sort_block_merge_implIS3_PlN6thrust23THRUST_200600_302600_NS10device_ptrIlEEjNS1_19radix_merge_compareILb0ELb1ElNS0_19identity_decomposerEEEEE10hipError_tT0_T1_T2_jT3_P12ihipStream_tbPNSt15iterator_traitsISG_E10value_typeEPNSM_ISH_E10value_typeEPSI_NS1_7vsmem_tEENKUlT_SG_SH_SI_E_clIS7_S7_S7_SB_EESF_SV_SG_SH_SI_EUlSV_E0_NS1_11comp_targetILNS1_3genE5ELNS1_11target_archE942ELNS1_3gpuE9ELNS1_3repE0EEENS1_38merge_mergepath_config_static_selectorELNS0_4arch9wavefront6targetE1EEEvSH_
                                        ; -- End function
	.set _ZN7rocprim17ROCPRIM_400000_NS6detail17trampoline_kernelINS0_14default_configENS1_38merge_sort_block_merge_config_selectorIllEEZZNS1_27merge_sort_block_merge_implIS3_PlN6thrust23THRUST_200600_302600_NS10device_ptrIlEEjNS1_19radix_merge_compareILb0ELb1ElNS0_19identity_decomposerEEEEE10hipError_tT0_T1_T2_jT3_P12ihipStream_tbPNSt15iterator_traitsISG_E10value_typeEPNSM_ISH_E10value_typeEPSI_NS1_7vsmem_tEENKUlT_SG_SH_SI_E_clIS7_S7_S7_SB_EESF_SV_SG_SH_SI_EUlSV_E0_NS1_11comp_targetILNS1_3genE5ELNS1_11target_archE942ELNS1_3gpuE9ELNS1_3repE0EEENS1_38merge_mergepath_config_static_selectorELNS0_4arch9wavefront6targetE1EEEvSH_.num_vgpr, 0
	.set _ZN7rocprim17ROCPRIM_400000_NS6detail17trampoline_kernelINS0_14default_configENS1_38merge_sort_block_merge_config_selectorIllEEZZNS1_27merge_sort_block_merge_implIS3_PlN6thrust23THRUST_200600_302600_NS10device_ptrIlEEjNS1_19radix_merge_compareILb0ELb1ElNS0_19identity_decomposerEEEEE10hipError_tT0_T1_T2_jT3_P12ihipStream_tbPNSt15iterator_traitsISG_E10value_typeEPNSM_ISH_E10value_typeEPSI_NS1_7vsmem_tEENKUlT_SG_SH_SI_E_clIS7_S7_S7_SB_EESF_SV_SG_SH_SI_EUlSV_E0_NS1_11comp_targetILNS1_3genE5ELNS1_11target_archE942ELNS1_3gpuE9ELNS1_3repE0EEENS1_38merge_mergepath_config_static_selectorELNS0_4arch9wavefront6targetE1EEEvSH_.num_agpr, 0
	.set _ZN7rocprim17ROCPRIM_400000_NS6detail17trampoline_kernelINS0_14default_configENS1_38merge_sort_block_merge_config_selectorIllEEZZNS1_27merge_sort_block_merge_implIS3_PlN6thrust23THRUST_200600_302600_NS10device_ptrIlEEjNS1_19radix_merge_compareILb0ELb1ElNS0_19identity_decomposerEEEEE10hipError_tT0_T1_T2_jT3_P12ihipStream_tbPNSt15iterator_traitsISG_E10value_typeEPNSM_ISH_E10value_typeEPSI_NS1_7vsmem_tEENKUlT_SG_SH_SI_E_clIS7_S7_S7_SB_EESF_SV_SG_SH_SI_EUlSV_E0_NS1_11comp_targetILNS1_3genE5ELNS1_11target_archE942ELNS1_3gpuE9ELNS1_3repE0EEENS1_38merge_mergepath_config_static_selectorELNS0_4arch9wavefront6targetE1EEEvSH_.numbered_sgpr, 0
	.set _ZN7rocprim17ROCPRIM_400000_NS6detail17trampoline_kernelINS0_14default_configENS1_38merge_sort_block_merge_config_selectorIllEEZZNS1_27merge_sort_block_merge_implIS3_PlN6thrust23THRUST_200600_302600_NS10device_ptrIlEEjNS1_19radix_merge_compareILb0ELb1ElNS0_19identity_decomposerEEEEE10hipError_tT0_T1_T2_jT3_P12ihipStream_tbPNSt15iterator_traitsISG_E10value_typeEPNSM_ISH_E10value_typeEPSI_NS1_7vsmem_tEENKUlT_SG_SH_SI_E_clIS7_S7_S7_SB_EESF_SV_SG_SH_SI_EUlSV_E0_NS1_11comp_targetILNS1_3genE5ELNS1_11target_archE942ELNS1_3gpuE9ELNS1_3repE0EEENS1_38merge_mergepath_config_static_selectorELNS0_4arch9wavefront6targetE1EEEvSH_.num_named_barrier, 0
	.set _ZN7rocprim17ROCPRIM_400000_NS6detail17trampoline_kernelINS0_14default_configENS1_38merge_sort_block_merge_config_selectorIllEEZZNS1_27merge_sort_block_merge_implIS3_PlN6thrust23THRUST_200600_302600_NS10device_ptrIlEEjNS1_19radix_merge_compareILb0ELb1ElNS0_19identity_decomposerEEEEE10hipError_tT0_T1_T2_jT3_P12ihipStream_tbPNSt15iterator_traitsISG_E10value_typeEPNSM_ISH_E10value_typeEPSI_NS1_7vsmem_tEENKUlT_SG_SH_SI_E_clIS7_S7_S7_SB_EESF_SV_SG_SH_SI_EUlSV_E0_NS1_11comp_targetILNS1_3genE5ELNS1_11target_archE942ELNS1_3gpuE9ELNS1_3repE0EEENS1_38merge_mergepath_config_static_selectorELNS0_4arch9wavefront6targetE1EEEvSH_.private_seg_size, 0
	.set _ZN7rocprim17ROCPRIM_400000_NS6detail17trampoline_kernelINS0_14default_configENS1_38merge_sort_block_merge_config_selectorIllEEZZNS1_27merge_sort_block_merge_implIS3_PlN6thrust23THRUST_200600_302600_NS10device_ptrIlEEjNS1_19radix_merge_compareILb0ELb1ElNS0_19identity_decomposerEEEEE10hipError_tT0_T1_T2_jT3_P12ihipStream_tbPNSt15iterator_traitsISG_E10value_typeEPNSM_ISH_E10value_typeEPSI_NS1_7vsmem_tEENKUlT_SG_SH_SI_E_clIS7_S7_S7_SB_EESF_SV_SG_SH_SI_EUlSV_E0_NS1_11comp_targetILNS1_3genE5ELNS1_11target_archE942ELNS1_3gpuE9ELNS1_3repE0EEENS1_38merge_mergepath_config_static_selectorELNS0_4arch9wavefront6targetE1EEEvSH_.uses_vcc, 0
	.set _ZN7rocprim17ROCPRIM_400000_NS6detail17trampoline_kernelINS0_14default_configENS1_38merge_sort_block_merge_config_selectorIllEEZZNS1_27merge_sort_block_merge_implIS3_PlN6thrust23THRUST_200600_302600_NS10device_ptrIlEEjNS1_19radix_merge_compareILb0ELb1ElNS0_19identity_decomposerEEEEE10hipError_tT0_T1_T2_jT3_P12ihipStream_tbPNSt15iterator_traitsISG_E10value_typeEPNSM_ISH_E10value_typeEPSI_NS1_7vsmem_tEENKUlT_SG_SH_SI_E_clIS7_S7_S7_SB_EESF_SV_SG_SH_SI_EUlSV_E0_NS1_11comp_targetILNS1_3genE5ELNS1_11target_archE942ELNS1_3gpuE9ELNS1_3repE0EEENS1_38merge_mergepath_config_static_selectorELNS0_4arch9wavefront6targetE1EEEvSH_.uses_flat_scratch, 0
	.set _ZN7rocprim17ROCPRIM_400000_NS6detail17trampoline_kernelINS0_14default_configENS1_38merge_sort_block_merge_config_selectorIllEEZZNS1_27merge_sort_block_merge_implIS3_PlN6thrust23THRUST_200600_302600_NS10device_ptrIlEEjNS1_19radix_merge_compareILb0ELb1ElNS0_19identity_decomposerEEEEE10hipError_tT0_T1_T2_jT3_P12ihipStream_tbPNSt15iterator_traitsISG_E10value_typeEPNSM_ISH_E10value_typeEPSI_NS1_7vsmem_tEENKUlT_SG_SH_SI_E_clIS7_S7_S7_SB_EESF_SV_SG_SH_SI_EUlSV_E0_NS1_11comp_targetILNS1_3genE5ELNS1_11target_archE942ELNS1_3gpuE9ELNS1_3repE0EEENS1_38merge_mergepath_config_static_selectorELNS0_4arch9wavefront6targetE1EEEvSH_.has_dyn_sized_stack, 0
	.set _ZN7rocprim17ROCPRIM_400000_NS6detail17trampoline_kernelINS0_14default_configENS1_38merge_sort_block_merge_config_selectorIllEEZZNS1_27merge_sort_block_merge_implIS3_PlN6thrust23THRUST_200600_302600_NS10device_ptrIlEEjNS1_19radix_merge_compareILb0ELb1ElNS0_19identity_decomposerEEEEE10hipError_tT0_T1_T2_jT3_P12ihipStream_tbPNSt15iterator_traitsISG_E10value_typeEPNSM_ISH_E10value_typeEPSI_NS1_7vsmem_tEENKUlT_SG_SH_SI_E_clIS7_S7_S7_SB_EESF_SV_SG_SH_SI_EUlSV_E0_NS1_11comp_targetILNS1_3genE5ELNS1_11target_archE942ELNS1_3gpuE9ELNS1_3repE0EEENS1_38merge_mergepath_config_static_selectorELNS0_4arch9wavefront6targetE1EEEvSH_.has_recursion, 0
	.set _ZN7rocprim17ROCPRIM_400000_NS6detail17trampoline_kernelINS0_14default_configENS1_38merge_sort_block_merge_config_selectorIllEEZZNS1_27merge_sort_block_merge_implIS3_PlN6thrust23THRUST_200600_302600_NS10device_ptrIlEEjNS1_19radix_merge_compareILb0ELb1ElNS0_19identity_decomposerEEEEE10hipError_tT0_T1_T2_jT3_P12ihipStream_tbPNSt15iterator_traitsISG_E10value_typeEPNSM_ISH_E10value_typeEPSI_NS1_7vsmem_tEENKUlT_SG_SH_SI_E_clIS7_S7_S7_SB_EESF_SV_SG_SH_SI_EUlSV_E0_NS1_11comp_targetILNS1_3genE5ELNS1_11target_archE942ELNS1_3gpuE9ELNS1_3repE0EEENS1_38merge_mergepath_config_static_selectorELNS0_4arch9wavefront6targetE1EEEvSH_.has_indirect_call, 0
	.section	.AMDGPU.csdata,"",@progbits
; Kernel info:
; codeLenInByte = 0
; TotalNumSgprs: 4
; NumVgprs: 0
; ScratchSize: 0
; MemoryBound: 0
; FloatMode: 240
; IeeeMode: 1
; LDSByteSize: 0 bytes/workgroup (compile time only)
; SGPRBlocks: 0
; VGPRBlocks: 0
; NumSGPRsForWavesPerEU: 4
; NumVGPRsForWavesPerEU: 1
; Occupancy: 10
; WaveLimiterHint : 0
; COMPUTE_PGM_RSRC2:SCRATCH_EN: 0
; COMPUTE_PGM_RSRC2:USER_SGPR: 6
; COMPUTE_PGM_RSRC2:TRAP_HANDLER: 0
; COMPUTE_PGM_RSRC2:TGID_X_EN: 1
; COMPUTE_PGM_RSRC2:TGID_Y_EN: 0
; COMPUTE_PGM_RSRC2:TGID_Z_EN: 0
; COMPUTE_PGM_RSRC2:TIDIG_COMP_CNT: 0
	.section	.text._ZN7rocprim17ROCPRIM_400000_NS6detail17trampoline_kernelINS0_14default_configENS1_38merge_sort_block_merge_config_selectorIllEEZZNS1_27merge_sort_block_merge_implIS3_PlN6thrust23THRUST_200600_302600_NS10device_ptrIlEEjNS1_19radix_merge_compareILb0ELb1ElNS0_19identity_decomposerEEEEE10hipError_tT0_T1_T2_jT3_P12ihipStream_tbPNSt15iterator_traitsISG_E10value_typeEPNSM_ISH_E10value_typeEPSI_NS1_7vsmem_tEENKUlT_SG_SH_SI_E_clIS7_S7_S7_SB_EESF_SV_SG_SH_SI_EUlSV_E0_NS1_11comp_targetILNS1_3genE4ELNS1_11target_archE910ELNS1_3gpuE8ELNS1_3repE0EEENS1_38merge_mergepath_config_static_selectorELNS0_4arch9wavefront6targetE1EEEvSH_,"axG",@progbits,_ZN7rocprim17ROCPRIM_400000_NS6detail17trampoline_kernelINS0_14default_configENS1_38merge_sort_block_merge_config_selectorIllEEZZNS1_27merge_sort_block_merge_implIS3_PlN6thrust23THRUST_200600_302600_NS10device_ptrIlEEjNS1_19radix_merge_compareILb0ELb1ElNS0_19identity_decomposerEEEEE10hipError_tT0_T1_T2_jT3_P12ihipStream_tbPNSt15iterator_traitsISG_E10value_typeEPNSM_ISH_E10value_typeEPSI_NS1_7vsmem_tEENKUlT_SG_SH_SI_E_clIS7_S7_S7_SB_EESF_SV_SG_SH_SI_EUlSV_E0_NS1_11comp_targetILNS1_3genE4ELNS1_11target_archE910ELNS1_3gpuE8ELNS1_3repE0EEENS1_38merge_mergepath_config_static_selectorELNS0_4arch9wavefront6targetE1EEEvSH_,comdat
	.protected	_ZN7rocprim17ROCPRIM_400000_NS6detail17trampoline_kernelINS0_14default_configENS1_38merge_sort_block_merge_config_selectorIllEEZZNS1_27merge_sort_block_merge_implIS3_PlN6thrust23THRUST_200600_302600_NS10device_ptrIlEEjNS1_19radix_merge_compareILb0ELb1ElNS0_19identity_decomposerEEEEE10hipError_tT0_T1_T2_jT3_P12ihipStream_tbPNSt15iterator_traitsISG_E10value_typeEPNSM_ISH_E10value_typeEPSI_NS1_7vsmem_tEENKUlT_SG_SH_SI_E_clIS7_S7_S7_SB_EESF_SV_SG_SH_SI_EUlSV_E0_NS1_11comp_targetILNS1_3genE4ELNS1_11target_archE910ELNS1_3gpuE8ELNS1_3repE0EEENS1_38merge_mergepath_config_static_selectorELNS0_4arch9wavefront6targetE1EEEvSH_ ; -- Begin function _ZN7rocprim17ROCPRIM_400000_NS6detail17trampoline_kernelINS0_14default_configENS1_38merge_sort_block_merge_config_selectorIllEEZZNS1_27merge_sort_block_merge_implIS3_PlN6thrust23THRUST_200600_302600_NS10device_ptrIlEEjNS1_19radix_merge_compareILb0ELb1ElNS0_19identity_decomposerEEEEE10hipError_tT0_T1_T2_jT3_P12ihipStream_tbPNSt15iterator_traitsISG_E10value_typeEPNSM_ISH_E10value_typeEPSI_NS1_7vsmem_tEENKUlT_SG_SH_SI_E_clIS7_S7_S7_SB_EESF_SV_SG_SH_SI_EUlSV_E0_NS1_11comp_targetILNS1_3genE4ELNS1_11target_archE910ELNS1_3gpuE8ELNS1_3repE0EEENS1_38merge_mergepath_config_static_selectorELNS0_4arch9wavefront6targetE1EEEvSH_
	.globl	_ZN7rocprim17ROCPRIM_400000_NS6detail17trampoline_kernelINS0_14default_configENS1_38merge_sort_block_merge_config_selectorIllEEZZNS1_27merge_sort_block_merge_implIS3_PlN6thrust23THRUST_200600_302600_NS10device_ptrIlEEjNS1_19radix_merge_compareILb0ELb1ElNS0_19identity_decomposerEEEEE10hipError_tT0_T1_T2_jT3_P12ihipStream_tbPNSt15iterator_traitsISG_E10value_typeEPNSM_ISH_E10value_typeEPSI_NS1_7vsmem_tEENKUlT_SG_SH_SI_E_clIS7_S7_S7_SB_EESF_SV_SG_SH_SI_EUlSV_E0_NS1_11comp_targetILNS1_3genE4ELNS1_11target_archE910ELNS1_3gpuE8ELNS1_3repE0EEENS1_38merge_mergepath_config_static_selectorELNS0_4arch9wavefront6targetE1EEEvSH_
	.p2align	8
	.type	_ZN7rocprim17ROCPRIM_400000_NS6detail17trampoline_kernelINS0_14default_configENS1_38merge_sort_block_merge_config_selectorIllEEZZNS1_27merge_sort_block_merge_implIS3_PlN6thrust23THRUST_200600_302600_NS10device_ptrIlEEjNS1_19radix_merge_compareILb0ELb1ElNS0_19identity_decomposerEEEEE10hipError_tT0_T1_T2_jT3_P12ihipStream_tbPNSt15iterator_traitsISG_E10value_typeEPNSM_ISH_E10value_typeEPSI_NS1_7vsmem_tEENKUlT_SG_SH_SI_E_clIS7_S7_S7_SB_EESF_SV_SG_SH_SI_EUlSV_E0_NS1_11comp_targetILNS1_3genE4ELNS1_11target_archE910ELNS1_3gpuE8ELNS1_3repE0EEENS1_38merge_mergepath_config_static_selectorELNS0_4arch9wavefront6targetE1EEEvSH_,@function
_ZN7rocprim17ROCPRIM_400000_NS6detail17trampoline_kernelINS0_14default_configENS1_38merge_sort_block_merge_config_selectorIllEEZZNS1_27merge_sort_block_merge_implIS3_PlN6thrust23THRUST_200600_302600_NS10device_ptrIlEEjNS1_19radix_merge_compareILb0ELb1ElNS0_19identity_decomposerEEEEE10hipError_tT0_T1_T2_jT3_P12ihipStream_tbPNSt15iterator_traitsISG_E10value_typeEPNSM_ISH_E10value_typeEPSI_NS1_7vsmem_tEENKUlT_SG_SH_SI_E_clIS7_S7_S7_SB_EESF_SV_SG_SH_SI_EUlSV_E0_NS1_11comp_targetILNS1_3genE4ELNS1_11target_archE910ELNS1_3gpuE8ELNS1_3repE0EEENS1_38merge_mergepath_config_static_selectorELNS0_4arch9wavefront6targetE1EEEvSH_: ; @_ZN7rocprim17ROCPRIM_400000_NS6detail17trampoline_kernelINS0_14default_configENS1_38merge_sort_block_merge_config_selectorIllEEZZNS1_27merge_sort_block_merge_implIS3_PlN6thrust23THRUST_200600_302600_NS10device_ptrIlEEjNS1_19radix_merge_compareILb0ELb1ElNS0_19identity_decomposerEEEEE10hipError_tT0_T1_T2_jT3_P12ihipStream_tbPNSt15iterator_traitsISG_E10value_typeEPNSM_ISH_E10value_typeEPSI_NS1_7vsmem_tEENKUlT_SG_SH_SI_E_clIS7_S7_S7_SB_EESF_SV_SG_SH_SI_EUlSV_E0_NS1_11comp_targetILNS1_3genE4ELNS1_11target_archE910ELNS1_3gpuE8ELNS1_3repE0EEENS1_38merge_mergepath_config_static_selectorELNS0_4arch9wavefront6targetE1EEEvSH_
; %bb.0:
	.section	.rodata,"a",@progbits
	.p2align	6, 0x0
	.amdhsa_kernel _ZN7rocprim17ROCPRIM_400000_NS6detail17trampoline_kernelINS0_14default_configENS1_38merge_sort_block_merge_config_selectorIllEEZZNS1_27merge_sort_block_merge_implIS3_PlN6thrust23THRUST_200600_302600_NS10device_ptrIlEEjNS1_19radix_merge_compareILb0ELb1ElNS0_19identity_decomposerEEEEE10hipError_tT0_T1_T2_jT3_P12ihipStream_tbPNSt15iterator_traitsISG_E10value_typeEPNSM_ISH_E10value_typeEPSI_NS1_7vsmem_tEENKUlT_SG_SH_SI_E_clIS7_S7_S7_SB_EESF_SV_SG_SH_SI_EUlSV_E0_NS1_11comp_targetILNS1_3genE4ELNS1_11target_archE910ELNS1_3gpuE8ELNS1_3repE0EEENS1_38merge_mergepath_config_static_selectorELNS0_4arch9wavefront6targetE1EEEvSH_
		.amdhsa_group_segment_fixed_size 0
		.amdhsa_private_segment_fixed_size 0
		.amdhsa_kernarg_size 72
		.amdhsa_user_sgpr_count 6
		.amdhsa_user_sgpr_private_segment_buffer 1
		.amdhsa_user_sgpr_dispatch_ptr 0
		.amdhsa_user_sgpr_queue_ptr 0
		.amdhsa_user_sgpr_kernarg_segment_ptr 1
		.amdhsa_user_sgpr_dispatch_id 0
		.amdhsa_user_sgpr_flat_scratch_init 0
		.amdhsa_user_sgpr_private_segment_size 0
		.amdhsa_uses_dynamic_stack 0
		.amdhsa_system_sgpr_private_segment_wavefront_offset 0
		.amdhsa_system_sgpr_workgroup_id_x 1
		.amdhsa_system_sgpr_workgroup_id_y 0
		.amdhsa_system_sgpr_workgroup_id_z 0
		.amdhsa_system_sgpr_workgroup_info 0
		.amdhsa_system_vgpr_workitem_id 0
		.amdhsa_next_free_vgpr 1
		.amdhsa_next_free_sgpr 0
		.amdhsa_reserve_vcc 0
		.amdhsa_reserve_flat_scratch 0
		.amdhsa_float_round_mode_32 0
		.amdhsa_float_round_mode_16_64 0
		.amdhsa_float_denorm_mode_32 3
		.amdhsa_float_denorm_mode_16_64 3
		.amdhsa_dx10_clamp 1
		.amdhsa_ieee_mode 1
		.amdhsa_fp16_overflow 0
		.amdhsa_exception_fp_ieee_invalid_op 0
		.amdhsa_exception_fp_denorm_src 0
		.amdhsa_exception_fp_ieee_div_zero 0
		.amdhsa_exception_fp_ieee_overflow 0
		.amdhsa_exception_fp_ieee_underflow 0
		.amdhsa_exception_fp_ieee_inexact 0
		.amdhsa_exception_int_div_zero 0
	.end_amdhsa_kernel
	.section	.text._ZN7rocprim17ROCPRIM_400000_NS6detail17trampoline_kernelINS0_14default_configENS1_38merge_sort_block_merge_config_selectorIllEEZZNS1_27merge_sort_block_merge_implIS3_PlN6thrust23THRUST_200600_302600_NS10device_ptrIlEEjNS1_19radix_merge_compareILb0ELb1ElNS0_19identity_decomposerEEEEE10hipError_tT0_T1_T2_jT3_P12ihipStream_tbPNSt15iterator_traitsISG_E10value_typeEPNSM_ISH_E10value_typeEPSI_NS1_7vsmem_tEENKUlT_SG_SH_SI_E_clIS7_S7_S7_SB_EESF_SV_SG_SH_SI_EUlSV_E0_NS1_11comp_targetILNS1_3genE4ELNS1_11target_archE910ELNS1_3gpuE8ELNS1_3repE0EEENS1_38merge_mergepath_config_static_selectorELNS0_4arch9wavefront6targetE1EEEvSH_,"axG",@progbits,_ZN7rocprim17ROCPRIM_400000_NS6detail17trampoline_kernelINS0_14default_configENS1_38merge_sort_block_merge_config_selectorIllEEZZNS1_27merge_sort_block_merge_implIS3_PlN6thrust23THRUST_200600_302600_NS10device_ptrIlEEjNS1_19radix_merge_compareILb0ELb1ElNS0_19identity_decomposerEEEEE10hipError_tT0_T1_T2_jT3_P12ihipStream_tbPNSt15iterator_traitsISG_E10value_typeEPNSM_ISH_E10value_typeEPSI_NS1_7vsmem_tEENKUlT_SG_SH_SI_E_clIS7_S7_S7_SB_EESF_SV_SG_SH_SI_EUlSV_E0_NS1_11comp_targetILNS1_3genE4ELNS1_11target_archE910ELNS1_3gpuE8ELNS1_3repE0EEENS1_38merge_mergepath_config_static_selectorELNS0_4arch9wavefront6targetE1EEEvSH_,comdat
.Lfunc_end1077:
	.size	_ZN7rocprim17ROCPRIM_400000_NS6detail17trampoline_kernelINS0_14default_configENS1_38merge_sort_block_merge_config_selectorIllEEZZNS1_27merge_sort_block_merge_implIS3_PlN6thrust23THRUST_200600_302600_NS10device_ptrIlEEjNS1_19radix_merge_compareILb0ELb1ElNS0_19identity_decomposerEEEEE10hipError_tT0_T1_T2_jT3_P12ihipStream_tbPNSt15iterator_traitsISG_E10value_typeEPNSM_ISH_E10value_typeEPSI_NS1_7vsmem_tEENKUlT_SG_SH_SI_E_clIS7_S7_S7_SB_EESF_SV_SG_SH_SI_EUlSV_E0_NS1_11comp_targetILNS1_3genE4ELNS1_11target_archE910ELNS1_3gpuE8ELNS1_3repE0EEENS1_38merge_mergepath_config_static_selectorELNS0_4arch9wavefront6targetE1EEEvSH_, .Lfunc_end1077-_ZN7rocprim17ROCPRIM_400000_NS6detail17trampoline_kernelINS0_14default_configENS1_38merge_sort_block_merge_config_selectorIllEEZZNS1_27merge_sort_block_merge_implIS3_PlN6thrust23THRUST_200600_302600_NS10device_ptrIlEEjNS1_19radix_merge_compareILb0ELb1ElNS0_19identity_decomposerEEEEE10hipError_tT0_T1_T2_jT3_P12ihipStream_tbPNSt15iterator_traitsISG_E10value_typeEPNSM_ISH_E10value_typeEPSI_NS1_7vsmem_tEENKUlT_SG_SH_SI_E_clIS7_S7_S7_SB_EESF_SV_SG_SH_SI_EUlSV_E0_NS1_11comp_targetILNS1_3genE4ELNS1_11target_archE910ELNS1_3gpuE8ELNS1_3repE0EEENS1_38merge_mergepath_config_static_selectorELNS0_4arch9wavefront6targetE1EEEvSH_
                                        ; -- End function
	.set _ZN7rocprim17ROCPRIM_400000_NS6detail17trampoline_kernelINS0_14default_configENS1_38merge_sort_block_merge_config_selectorIllEEZZNS1_27merge_sort_block_merge_implIS3_PlN6thrust23THRUST_200600_302600_NS10device_ptrIlEEjNS1_19radix_merge_compareILb0ELb1ElNS0_19identity_decomposerEEEEE10hipError_tT0_T1_T2_jT3_P12ihipStream_tbPNSt15iterator_traitsISG_E10value_typeEPNSM_ISH_E10value_typeEPSI_NS1_7vsmem_tEENKUlT_SG_SH_SI_E_clIS7_S7_S7_SB_EESF_SV_SG_SH_SI_EUlSV_E0_NS1_11comp_targetILNS1_3genE4ELNS1_11target_archE910ELNS1_3gpuE8ELNS1_3repE0EEENS1_38merge_mergepath_config_static_selectorELNS0_4arch9wavefront6targetE1EEEvSH_.num_vgpr, 0
	.set _ZN7rocprim17ROCPRIM_400000_NS6detail17trampoline_kernelINS0_14default_configENS1_38merge_sort_block_merge_config_selectorIllEEZZNS1_27merge_sort_block_merge_implIS3_PlN6thrust23THRUST_200600_302600_NS10device_ptrIlEEjNS1_19radix_merge_compareILb0ELb1ElNS0_19identity_decomposerEEEEE10hipError_tT0_T1_T2_jT3_P12ihipStream_tbPNSt15iterator_traitsISG_E10value_typeEPNSM_ISH_E10value_typeEPSI_NS1_7vsmem_tEENKUlT_SG_SH_SI_E_clIS7_S7_S7_SB_EESF_SV_SG_SH_SI_EUlSV_E0_NS1_11comp_targetILNS1_3genE4ELNS1_11target_archE910ELNS1_3gpuE8ELNS1_3repE0EEENS1_38merge_mergepath_config_static_selectorELNS0_4arch9wavefront6targetE1EEEvSH_.num_agpr, 0
	.set _ZN7rocprim17ROCPRIM_400000_NS6detail17trampoline_kernelINS0_14default_configENS1_38merge_sort_block_merge_config_selectorIllEEZZNS1_27merge_sort_block_merge_implIS3_PlN6thrust23THRUST_200600_302600_NS10device_ptrIlEEjNS1_19radix_merge_compareILb0ELb1ElNS0_19identity_decomposerEEEEE10hipError_tT0_T1_T2_jT3_P12ihipStream_tbPNSt15iterator_traitsISG_E10value_typeEPNSM_ISH_E10value_typeEPSI_NS1_7vsmem_tEENKUlT_SG_SH_SI_E_clIS7_S7_S7_SB_EESF_SV_SG_SH_SI_EUlSV_E0_NS1_11comp_targetILNS1_3genE4ELNS1_11target_archE910ELNS1_3gpuE8ELNS1_3repE0EEENS1_38merge_mergepath_config_static_selectorELNS0_4arch9wavefront6targetE1EEEvSH_.numbered_sgpr, 0
	.set _ZN7rocprim17ROCPRIM_400000_NS6detail17trampoline_kernelINS0_14default_configENS1_38merge_sort_block_merge_config_selectorIllEEZZNS1_27merge_sort_block_merge_implIS3_PlN6thrust23THRUST_200600_302600_NS10device_ptrIlEEjNS1_19radix_merge_compareILb0ELb1ElNS0_19identity_decomposerEEEEE10hipError_tT0_T1_T2_jT3_P12ihipStream_tbPNSt15iterator_traitsISG_E10value_typeEPNSM_ISH_E10value_typeEPSI_NS1_7vsmem_tEENKUlT_SG_SH_SI_E_clIS7_S7_S7_SB_EESF_SV_SG_SH_SI_EUlSV_E0_NS1_11comp_targetILNS1_3genE4ELNS1_11target_archE910ELNS1_3gpuE8ELNS1_3repE0EEENS1_38merge_mergepath_config_static_selectorELNS0_4arch9wavefront6targetE1EEEvSH_.num_named_barrier, 0
	.set _ZN7rocprim17ROCPRIM_400000_NS6detail17trampoline_kernelINS0_14default_configENS1_38merge_sort_block_merge_config_selectorIllEEZZNS1_27merge_sort_block_merge_implIS3_PlN6thrust23THRUST_200600_302600_NS10device_ptrIlEEjNS1_19radix_merge_compareILb0ELb1ElNS0_19identity_decomposerEEEEE10hipError_tT0_T1_T2_jT3_P12ihipStream_tbPNSt15iterator_traitsISG_E10value_typeEPNSM_ISH_E10value_typeEPSI_NS1_7vsmem_tEENKUlT_SG_SH_SI_E_clIS7_S7_S7_SB_EESF_SV_SG_SH_SI_EUlSV_E0_NS1_11comp_targetILNS1_3genE4ELNS1_11target_archE910ELNS1_3gpuE8ELNS1_3repE0EEENS1_38merge_mergepath_config_static_selectorELNS0_4arch9wavefront6targetE1EEEvSH_.private_seg_size, 0
	.set _ZN7rocprim17ROCPRIM_400000_NS6detail17trampoline_kernelINS0_14default_configENS1_38merge_sort_block_merge_config_selectorIllEEZZNS1_27merge_sort_block_merge_implIS3_PlN6thrust23THRUST_200600_302600_NS10device_ptrIlEEjNS1_19radix_merge_compareILb0ELb1ElNS0_19identity_decomposerEEEEE10hipError_tT0_T1_T2_jT3_P12ihipStream_tbPNSt15iterator_traitsISG_E10value_typeEPNSM_ISH_E10value_typeEPSI_NS1_7vsmem_tEENKUlT_SG_SH_SI_E_clIS7_S7_S7_SB_EESF_SV_SG_SH_SI_EUlSV_E0_NS1_11comp_targetILNS1_3genE4ELNS1_11target_archE910ELNS1_3gpuE8ELNS1_3repE0EEENS1_38merge_mergepath_config_static_selectorELNS0_4arch9wavefront6targetE1EEEvSH_.uses_vcc, 0
	.set _ZN7rocprim17ROCPRIM_400000_NS6detail17trampoline_kernelINS0_14default_configENS1_38merge_sort_block_merge_config_selectorIllEEZZNS1_27merge_sort_block_merge_implIS3_PlN6thrust23THRUST_200600_302600_NS10device_ptrIlEEjNS1_19radix_merge_compareILb0ELb1ElNS0_19identity_decomposerEEEEE10hipError_tT0_T1_T2_jT3_P12ihipStream_tbPNSt15iterator_traitsISG_E10value_typeEPNSM_ISH_E10value_typeEPSI_NS1_7vsmem_tEENKUlT_SG_SH_SI_E_clIS7_S7_S7_SB_EESF_SV_SG_SH_SI_EUlSV_E0_NS1_11comp_targetILNS1_3genE4ELNS1_11target_archE910ELNS1_3gpuE8ELNS1_3repE0EEENS1_38merge_mergepath_config_static_selectorELNS0_4arch9wavefront6targetE1EEEvSH_.uses_flat_scratch, 0
	.set _ZN7rocprim17ROCPRIM_400000_NS6detail17trampoline_kernelINS0_14default_configENS1_38merge_sort_block_merge_config_selectorIllEEZZNS1_27merge_sort_block_merge_implIS3_PlN6thrust23THRUST_200600_302600_NS10device_ptrIlEEjNS1_19radix_merge_compareILb0ELb1ElNS0_19identity_decomposerEEEEE10hipError_tT0_T1_T2_jT3_P12ihipStream_tbPNSt15iterator_traitsISG_E10value_typeEPNSM_ISH_E10value_typeEPSI_NS1_7vsmem_tEENKUlT_SG_SH_SI_E_clIS7_S7_S7_SB_EESF_SV_SG_SH_SI_EUlSV_E0_NS1_11comp_targetILNS1_3genE4ELNS1_11target_archE910ELNS1_3gpuE8ELNS1_3repE0EEENS1_38merge_mergepath_config_static_selectorELNS0_4arch9wavefront6targetE1EEEvSH_.has_dyn_sized_stack, 0
	.set _ZN7rocprim17ROCPRIM_400000_NS6detail17trampoline_kernelINS0_14default_configENS1_38merge_sort_block_merge_config_selectorIllEEZZNS1_27merge_sort_block_merge_implIS3_PlN6thrust23THRUST_200600_302600_NS10device_ptrIlEEjNS1_19radix_merge_compareILb0ELb1ElNS0_19identity_decomposerEEEEE10hipError_tT0_T1_T2_jT3_P12ihipStream_tbPNSt15iterator_traitsISG_E10value_typeEPNSM_ISH_E10value_typeEPSI_NS1_7vsmem_tEENKUlT_SG_SH_SI_E_clIS7_S7_S7_SB_EESF_SV_SG_SH_SI_EUlSV_E0_NS1_11comp_targetILNS1_3genE4ELNS1_11target_archE910ELNS1_3gpuE8ELNS1_3repE0EEENS1_38merge_mergepath_config_static_selectorELNS0_4arch9wavefront6targetE1EEEvSH_.has_recursion, 0
	.set _ZN7rocprim17ROCPRIM_400000_NS6detail17trampoline_kernelINS0_14default_configENS1_38merge_sort_block_merge_config_selectorIllEEZZNS1_27merge_sort_block_merge_implIS3_PlN6thrust23THRUST_200600_302600_NS10device_ptrIlEEjNS1_19radix_merge_compareILb0ELb1ElNS0_19identity_decomposerEEEEE10hipError_tT0_T1_T2_jT3_P12ihipStream_tbPNSt15iterator_traitsISG_E10value_typeEPNSM_ISH_E10value_typeEPSI_NS1_7vsmem_tEENKUlT_SG_SH_SI_E_clIS7_S7_S7_SB_EESF_SV_SG_SH_SI_EUlSV_E0_NS1_11comp_targetILNS1_3genE4ELNS1_11target_archE910ELNS1_3gpuE8ELNS1_3repE0EEENS1_38merge_mergepath_config_static_selectorELNS0_4arch9wavefront6targetE1EEEvSH_.has_indirect_call, 0
	.section	.AMDGPU.csdata,"",@progbits
; Kernel info:
; codeLenInByte = 0
; TotalNumSgprs: 4
; NumVgprs: 0
; ScratchSize: 0
; MemoryBound: 0
; FloatMode: 240
; IeeeMode: 1
; LDSByteSize: 0 bytes/workgroup (compile time only)
; SGPRBlocks: 0
; VGPRBlocks: 0
; NumSGPRsForWavesPerEU: 4
; NumVGPRsForWavesPerEU: 1
; Occupancy: 10
; WaveLimiterHint : 0
; COMPUTE_PGM_RSRC2:SCRATCH_EN: 0
; COMPUTE_PGM_RSRC2:USER_SGPR: 6
; COMPUTE_PGM_RSRC2:TRAP_HANDLER: 0
; COMPUTE_PGM_RSRC2:TGID_X_EN: 1
; COMPUTE_PGM_RSRC2:TGID_Y_EN: 0
; COMPUTE_PGM_RSRC2:TGID_Z_EN: 0
; COMPUTE_PGM_RSRC2:TIDIG_COMP_CNT: 0
	.section	.text._ZN7rocprim17ROCPRIM_400000_NS6detail17trampoline_kernelINS0_14default_configENS1_38merge_sort_block_merge_config_selectorIllEEZZNS1_27merge_sort_block_merge_implIS3_PlN6thrust23THRUST_200600_302600_NS10device_ptrIlEEjNS1_19radix_merge_compareILb0ELb1ElNS0_19identity_decomposerEEEEE10hipError_tT0_T1_T2_jT3_P12ihipStream_tbPNSt15iterator_traitsISG_E10value_typeEPNSM_ISH_E10value_typeEPSI_NS1_7vsmem_tEENKUlT_SG_SH_SI_E_clIS7_S7_S7_SB_EESF_SV_SG_SH_SI_EUlSV_E0_NS1_11comp_targetILNS1_3genE3ELNS1_11target_archE908ELNS1_3gpuE7ELNS1_3repE0EEENS1_38merge_mergepath_config_static_selectorELNS0_4arch9wavefront6targetE1EEEvSH_,"axG",@progbits,_ZN7rocprim17ROCPRIM_400000_NS6detail17trampoline_kernelINS0_14default_configENS1_38merge_sort_block_merge_config_selectorIllEEZZNS1_27merge_sort_block_merge_implIS3_PlN6thrust23THRUST_200600_302600_NS10device_ptrIlEEjNS1_19radix_merge_compareILb0ELb1ElNS0_19identity_decomposerEEEEE10hipError_tT0_T1_T2_jT3_P12ihipStream_tbPNSt15iterator_traitsISG_E10value_typeEPNSM_ISH_E10value_typeEPSI_NS1_7vsmem_tEENKUlT_SG_SH_SI_E_clIS7_S7_S7_SB_EESF_SV_SG_SH_SI_EUlSV_E0_NS1_11comp_targetILNS1_3genE3ELNS1_11target_archE908ELNS1_3gpuE7ELNS1_3repE0EEENS1_38merge_mergepath_config_static_selectorELNS0_4arch9wavefront6targetE1EEEvSH_,comdat
	.protected	_ZN7rocprim17ROCPRIM_400000_NS6detail17trampoline_kernelINS0_14default_configENS1_38merge_sort_block_merge_config_selectorIllEEZZNS1_27merge_sort_block_merge_implIS3_PlN6thrust23THRUST_200600_302600_NS10device_ptrIlEEjNS1_19radix_merge_compareILb0ELb1ElNS0_19identity_decomposerEEEEE10hipError_tT0_T1_T2_jT3_P12ihipStream_tbPNSt15iterator_traitsISG_E10value_typeEPNSM_ISH_E10value_typeEPSI_NS1_7vsmem_tEENKUlT_SG_SH_SI_E_clIS7_S7_S7_SB_EESF_SV_SG_SH_SI_EUlSV_E0_NS1_11comp_targetILNS1_3genE3ELNS1_11target_archE908ELNS1_3gpuE7ELNS1_3repE0EEENS1_38merge_mergepath_config_static_selectorELNS0_4arch9wavefront6targetE1EEEvSH_ ; -- Begin function _ZN7rocprim17ROCPRIM_400000_NS6detail17trampoline_kernelINS0_14default_configENS1_38merge_sort_block_merge_config_selectorIllEEZZNS1_27merge_sort_block_merge_implIS3_PlN6thrust23THRUST_200600_302600_NS10device_ptrIlEEjNS1_19radix_merge_compareILb0ELb1ElNS0_19identity_decomposerEEEEE10hipError_tT0_T1_T2_jT3_P12ihipStream_tbPNSt15iterator_traitsISG_E10value_typeEPNSM_ISH_E10value_typeEPSI_NS1_7vsmem_tEENKUlT_SG_SH_SI_E_clIS7_S7_S7_SB_EESF_SV_SG_SH_SI_EUlSV_E0_NS1_11comp_targetILNS1_3genE3ELNS1_11target_archE908ELNS1_3gpuE7ELNS1_3repE0EEENS1_38merge_mergepath_config_static_selectorELNS0_4arch9wavefront6targetE1EEEvSH_
	.globl	_ZN7rocprim17ROCPRIM_400000_NS6detail17trampoline_kernelINS0_14default_configENS1_38merge_sort_block_merge_config_selectorIllEEZZNS1_27merge_sort_block_merge_implIS3_PlN6thrust23THRUST_200600_302600_NS10device_ptrIlEEjNS1_19radix_merge_compareILb0ELb1ElNS0_19identity_decomposerEEEEE10hipError_tT0_T1_T2_jT3_P12ihipStream_tbPNSt15iterator_traitsISG_E10value_typeEPNSM_ISH_E10value_typeEPSI_NS1_7vsmem_tEENKUlT_SG_SH_SI_E_clIS7_S7_S7_SB_EESF_SV_SG_SH_SI_EUlSV_E0_NS1_11comp_targetILNS1_3genE3ELNS1_11target_archE908ELNS1_3gpuE7ELNS1_3repE0EEENS1_38merge_mergepath_config_static_selectorELNS0_4arch9wavefront6targetE1EEEvSH_
	.p2align	8
	.type	_ZN7rocprim17ROCPRIM_400000_NS6detail17trampoline_kernelINS0_14default_configENS1_38merge_sort_block_merge_config_selectorIllEEZZNS1_27merge_sort_block_merge_implIS3_PlN6thrust23THRUST_200600_302600_NS10device_ptrIlEEjNS1_19radix_merge_compareILb0ELb1ElNS0_19identity_decomposerEEEEE10hipError_tT0_T1_T2_jT3_P12ihipStream_tbPNSt15iterator_traitsISG_E10value_typeEPNSM_ISH_E10value_typeEPSI_NS1_7vsmem_tEENKUlT_SG_SH_SI_E_clIS7_S7_S7_SB_EESF_SV_SG_SH_SI_EUlSV_E0_NS1_11comp_targetILNS1_3genE3ELNS1_11target_archE908ELNS1_3gpuE7ELNS1_3repE0EEENS1_38merge_mergepath_config_static_selectorELNS0_4arch9wavefront6targetE1EEEvSH_,@function
_ZN7rocprim17ROCPRIM_400000_NS6detail17trampoline_kernelINS0_14default_configENS1_38merge_sort_block_merge_config_selectorIllEEZZNS1_27merge_sort_block_merge_implIS3_PlN6thrust23THRUST_200600_302600_NS10device_ptrIlEEjNS1_19radix_merge_compareILb0ELb1ElNS0_19identity_decomposerEEEEE10hipError_tT0_T1_T2_jT3_P12ihipStream_tbPNSt15iterator_traitsISG_E10value_typeEPNSM_ISH_E10value_typeEPSI_NS1_7vsmem_tEENKUlT_SG_SH_SI_E_clIS7_S7_S7_SB_EESF_SV_SG_SH_SI_EUlSV_E0_NS1_11comp_targetILNS1_3genE3ELNS1_11target_archE908ELNS1_3gpuE7ELNS1_3repE0EEENS1_38merge_mergepath_config_static_selectorELNS0_4arch9wavefront6targetE1EEEvSH_: ; @_ZN7rocprim17ROCPRIM_400000_NS6detail17trampoline_kernelINS0_14default_configENS1_38merge_sort_block_merge_config_selectorIllEEZZNS1_27merge_sort_block_merge_implIS3_PlN6thrust23THRUST_200600_302600_NS10device_ptrIlEEjNS1_19radix_merge_compareILb0ELb1ElNS0_19identity_decomposerEEEEE10hipError_tT0_T1_T2_jT3_P12ihipStream_tbPNSt15iterator_traitsISG_E10value_typeEPNSM_ISH_E10value_typeEPSI_NS1_7vsmem_tEENKUlT_SG_SH_SI_E_clIS7_S7_S7_SB_EESF_SV_SG_SH_SI_EUlSV_E0_NS1_11comp_targetILNS1_3genE3ELNS1_11target_archE908ELNS1_3gpuE7ELNS1_3repE0EEENS1_38merge_mergepath_config_static_selectorELNS0_4arch9wavefront6targetE1EEEvSH_
; %bb.0:
	.section	.rodata,"a",@progbits
	.p2align	6, 0x0
	.amdhsa_kernel _ZN7rocprim17ROCPRIM_400000_NS6detail17trampoline_kernelINS0_14default_configENS1_38merge_sort_block_merge_config_selectorIllEEZZNS1_27merge_sort_block_merge_implIS3_PlN6thrust23THRUST_200600_302600_NS10device_ptrIlEEjNS1_19radix_merge_compareILb0ELb1ElNS0_19identity_decomposerEEEEE10hipError_tT0_T1_T2_jT3_P12ihipStream_tbPNSt15iterator_traitsISG_E10value_typeEPNSM_ISH_E10value_typeEPSI_NS1_7vsmem_tEENKUlT_SG_SH_SI_E_clIS7_S7_S7_SB_EESF_SV_SG_SH_SI_EUlSV_E0_NS1_11comp_targetILNS1_3genE3ELNS1_11target_archE908ELNS1_3gpuE7ELNS1_3repE0EEENS1_38merge_mergepath_config_static_selectorELNS0_4arch9wavefront6targetE1EEEvSH_
		.amdhsa_group_segment_fixed_size 0
		.amdhsa_private_segment_fixed_size 0
		.amdhsa_kernarg_size 72
		.amdhsa_user_sgpr_count 6
		.amdhsa_user_sgpr_private_segment_buffer 1
		.amdhsa_user_sgpr_dispatch_ptr 0
		.amdhsa_user_sgpr_queue_ptr 0
		.amdhsa_user_sgpr_kernarg_segment_ptr 1
		.amdhsa_user_sgpr_dispatch_id 0
		.amdhsa_user_sgpr_flat_scratch_init 0
		.amdhsa_user_sgpr_private_segment_size 0
		.amdhsa_uses_dynamic_stack 0
		.amdhsa_system_sgpr_private_segment_wavefront_offset 0
		.amdhsa_system_sgpr_workgroup_id_x 1
		.amdhsa_system_sgpr_workgroup_id_y 0
		.amdhsa_system_sgpr_workgroup_id_z 0
		.amdhsa_system_sgpr_workgroup_info 0
		.amdhsa_system_vgpr_workitem_id 0
		.amdhsa_next_free_vgpr 1
		.amdhsa_next_free_sgpr 0
		.amdhsa_reserve_vcc 0
		.amdhsa_reserve_flat_scratch 0
		.amdhsa_float_round_mode_32 0
		.amdhsa_float_round_mode_16_64 0
		.amdhsa_float_denorm_mode_32 3
		.amdhsa_float_denorm_mode_16_64 3
		.amdhsa_dx10_clamp 1
		.amdhsa_ieee_mode 1
		.amdhsa_fp16_overflow 0
		.amdhsa_exception_fp_ieee_invalid_op 0
		.amdhsa_exception_fp_denorm_src 0
		.amdhsa_exception_fp_ieee_div_zero 0
		.amdhsa_exception_fp_ieee_overflow 0
		.amdhsa_exception_fp_ieee_underflow 0
		.amdhsa_exception_fp_ieee_inexact 0
		.amdhsa_exception_int_div_zero 0
	.end_amdhsa_kernel
	.section	.text._ZN7rocprim17ROCPRIM_400000_NS6detail17trampoline_kernelINS0_14default_configENS1_38merge_sort_block_merge_config_selectorIllEEZZNS1_27merge_sort_block_merge_implIS3_PlN6thrust23THRUST_200600_302600_NS10device_ptrIlEEjNS1_19radix_merge_compareILb0ELb1ElNS0_19identity_decomposerEEEEE10hipError_tT0_T1_T2_jT3_P12ihipStream_tbPNSt15iterator_traitsISG_E10value_typeEPNSM_ISH_E10value_typeEPSI_NS1_7vsmem_tEENKUlT_SG_SH_SI_E_clIS7_S7_S7_SB_EESF_SV_SG_SH_SI_EUlSV_E0_NS1_11comp_targetILNS1_3genE3ELNS1_11target_archE908ELNS1_3gpuE7ELNS1_3repE0EEENS1_38merge_mergepath_config_static_selectorELNS0_4arch9wavefront6targetE1EEEvSH_,"axG",@progbits,_ZN7rocprim17ROCPRIM_400000_NS6detail17trampoline_kernelINS0_14default_configENS1_38merge_sort_block_merge_config_selectorIllEEZZNS1_27merge_sort_block_merge_implIS3_PlN6thrust23THRUST_200600_302600_NS10device_ptrIlEEjNS1_19radix_merge_compareILb0ELb1ElNS0_19identity_decomposerEEEEE10hipError_tT0_T1_T2_jT3_P12ihipStream_tbPNSt15iterator_traitsISG_E10value_typeEPNSM_ISH_E10value_typeEPSI_NS1_7vsmem_tEENKUlT_SG_SH_SI_E_clIS7_S7_S7_SB_EESF_SV_SG_SH_SI_EUlSV_E0_NS1_11comp_targetILNS1_3genE3ELNS1_11target_archE908ELNS1_3gpuE7ELNS1_3repE0EEENS1_38merge_mergepath_config_static_selectorELNS0_4arch9wavefront6targetE1EEEvSH_,comdat
.Lfunc_end1078:
	.size	_ZN7rocprim17ROCPRIM_400000_NS6detail17trampoline_kernelINS0_14default_configENS1_38merge_sort_block_merge_config_selectorIllEEZZNS1_27merge_sort_block_merge_implIS3_PlN6thrust23THRUST_200600_302600_NS10device_ptrIlEEjNS1_19radix_merge_compareILb0ELb1ElNS0_19identity_decomposerEEEEE10hipError_tT0_T1_T2_jT3_P12ihipStream_tbPNSt15iterator_traitsISG_E10value_typeEPNSM_ISH_E10value_typeEPSI_NS1_7vsmem_tEENKUlT_SG_SH_SI_E_clIS7_S7_S7_SB_EESF_SV_SG_SH_SI_EUlSV_E0_NS1_11comp_targetILNS1_3genE3ELNS1_11target_archE908ELNS1_3gpuE7ELNS1_3repE0EEENS1_38merge_mergepath_config_static_selectorELNS0_4arch9wavefront6targetE1EEEvSH_, .Lfunc_end1078-_ZN7rocprim17ROCPRIM_400000_NS6detail17trampoline_kernelINS0_14default_configENS1_38merge_sort_block_merge_config_selectorIllEEZZNS1_27merge_sort_block_merge_implIS3_PlN6thrust23THRUST_200600_302600_NS10device_ptrIlEEjNS1_19radix_merge_compareILb0ELb1ElNS0_19identity_decomposerEEEEE10hipError_tT0_T1_T2_jT3_P12ihipStream_tbPNSt15iterator_traitsISG_E10value_typeEPNSM_ISH_E10value_typeEPSI_NS1_7vsmem_tEENKUlT_SG_SH_SI_E_clIS7_S7_S7_SB_EESF_SV_SG_SH_SI_EUlSV_E0_NS1_11comp_targetILNS1_3genE3ELNS1_11target_archE908ELNS1_3gpuE7ELNS1_3repE0EEENS1_38merge_mergepath_config_static_selectorELNS0_4arch9wavefront6targetE1EEEvSH_
                                        ; -- End function
	.set _ZN7rocprim17ROCPRIM_400000_NS6detail17trampoline_kernelINS0_14default_configENS1_38merge_sort_block_merge_config_selectorIllEEZZNS1_27merge_sort_block_merge_implIS3_PlN6thrust23THRUST_200600_302600_NS10device_ptrIlEEjNS1_19radix_merge_compareILb0ELb1ElNS0_19identity_decomposerEEEEE10hipError_tT0_T1_T2_jT3_P12ihipStream_tbPNSt15iterator_traitsISG_E10value_typeEPNSM_ISH_E10value_typeEPSI_NS1_7vsmem_tEENKUlT_SG_SH_SI_E_clIS7_S7_S7_SB_EESF_SV_SG_SH_SI_EUlSV_E0_NS1_11comp_targetILNS1_3genE3ELNS1_11target_archE908ELNS1_3gpuE7ELNS1_3repE0EEENS1_38merge_mergepath_config_static_selectorELNS0_4arch9wavefront6targetE1EEEvSH_.num_vgpr, 0
	.set _ZN7rocprim17ROCPRIM_400000_NS6detail17trampoline_kernelINS0_14default_configENS1_38merge_sort_block_merge_config_selectorIllEEZZNS1_27merge_sort_block_merge_implIS3_PlN6thrust23THRUST_200600_302600_NS10device_ptrIlEEjNS1_19radix_merge_compareILb0ELb1ElNS0_19identity_decomposerEEEEE10hipError_tT0_T1_T2_jT3_P12ihipStream_tbPNSt15iterator_traitsISG_E10value_typeEPNSM_ISH_E10value_typeEPSI_NS1_7vsmem_tEENKUlT_SG_SH_SI_E_clIS7_S7_S7_SB_EESF_SV_SG_SH_SI_EUlSV_E0_NS1_11comp_targetILNS1_3genE3ELNS1_11target_archE908ELNS1_3gpuE7ELNS1_3repE0EEENS1_38merge_mergepath_config_static_selectorELNS0_4arch9wavefront6targetE1EEEvSH_.num_agpr, 0
	.set _ZN7rocprim17ROCPRIM_400000_NS6detail17trampoline_kernelINS0_14default_configENS1_38merge_sort_block_merge_config_selectorIllEEZZNS1_27merge_sort_block_merge_implIS3_PlN6thrust23THRUST_200600_302600_NS10device_ptrIlEEjNS1_19radix_merge_compareILb0ELb1ElNS0_19identity_decomposerEEEEE10hipError_tT0_T1_T2_jT3_P12ihipStream_tbPNSt15iterator_traitsISG_E10value_typeEPNSM_ISH_E10value_typeEPSI_NS1_7vsmem_tEENKUlT_SG_SH_SI_E_clIS7_S7_S7_SB_EESF_SV_SG_SH_SI_EUlSV_E0_NS1_11comp_targetILNS1_3genE3ELNS1_11target_archE908ELNS1_3gpuE7ELNS1_3repE0EEENS1_38merge_mergepath_config_static_selectorELNS0_4arch9wavefront6targetE1EEEvSH_.numbered_sgpr, 0
	.set _ZN7rocprim17ROCPRIM_400000_NS6detail17trampoline_kernelINS0_14default_configENS1_38merge_sort_block_merge_config_selectorIllEEZZNS1_27merge_sort_block_merge_implIS3_PlN6thrust23THRUST_200600_302600_NS10device_ptrIlEEjNS1_19radix_merge_compareILb0ELb1ElNS0_19identity_decomposerEEEEE10hipError_tT0_T1_T2_jT3_P12ihipStream_tbPNSt15iterator_traitsISG_E10value_typeEPNSM_ISH_E10value_typeEPSI_NS1_7vsmem_tEENKUlT_SG_SH_SI_E_clIS7_S7_S7_SB_EESF_SV_SG_SH_SI_EUlSV_E0_NS1_11comp_targetILNS1_3genE3ELNS1_11target_archE908ELNS1_3gpuE7ELNS1_3repE0EEENS1_38merge_mergepath_config_static_selectorELNS0_4arch9wavefront6targetE1EEEvSH_.num_named_barrier, 0
	.set _ZN7rocprim17ROCPRIM_400000_NS6detail17trampoline_kernelINS0_14default_configENS1_38merge_sort_block_merge_config_selectorIllEEZZNS1_27merge_sort_block_merge_implIS3_PlN6thrust23THRUST_200600_302600_NS10device_ptrIlEEjNS1_19radix_merge_compareILb0ELb1ElNS0_19identity_decomposerEEEEE10hipError_tT0_T1_T2_jT3_P12ihipStream_tbPNSt15iterator_traitsISG_E10value_typeEPNSM_ISH_E10value_typeEPSI_NS1_7vsmem_tEENKUlT_SG_SH_SI_E_clIS7_S7_S7_SB_EESF_SV_SG_SH_SI_EUlSV_E0_NS1_11comp_targetILNS1_3genE3ELNS1_11target_archE908ELNS1_3gpuE7ELNS1_3repE0EEENS1_38merge_mergepath_config_static_selectorELNS0_4arch9wavefront6targetE1EEEvSH_.private_seg_size, 0
	.set _ZN7rocprim17ROCPRIM_400000_NS6detail17trampoline_kernelINS0_14default_configENS1_38merge_sort_block_merge_config_selectorIllEEZZNS1_27merge_sort_block_merge_implIS3_PlN6thrust23THRUST_200600_302600_NS10device_ptrIlEEjNS1_19radix_merge_compareILb0ELb1ElNS0_19identity_decomposerEEEEE10hipError_tT0_T1_T2_jT3_P12ihipStream_tbPNSt15iterator_traitsISG_E10value_typeEPNSM_ISH_E10value_typeEPSI_NS1_7vsmem_tEENKUlT_SG_SH_SI_E_clIS7_S7_S7_SB_EESF_SV_SG_SH_SI_EUlSV_E0_NS1_11comp_targetILNS1_3genE3ELNS1_11target_archE908ELNS1_3gpuE7ELNS1_3repE0EEENS1_38merge_mergepath_config_static_selectorELNS0_4arch9wavefront6targetE1EEEvSH_.uses_vcc, 0
	.set _ZN7rocprim17ROCPRIM_400000_NS6detail17trampoline_kernelINS0_14default_configENS1_38merge_sort_block_merge_config_selectorIllEEZZNS1_27merge_sort_block_merge_implIS3_PlN6thrust23THRUST_200600_302600_NS10device_ptrIlEEjNS1_19radix_merge_compareILb0ELb1ElNS0_19identity_decomposerEEEEE10hipError_tT0_T1_T2_jT3_P12ihipStream_tbPNSt15iterator_traitsISG_E10value_typeEPNSM_ISH_E10value_typeEPSI_NS1_7vsmem_tEENKUlT_SG_SH_SI_E_clIS7_S7_S7_SB_EESF_SV_SG_SH_SI_EUlSV_E0_NS1_11comp_targetILNS1_3genE3ELNS1_11target_archE908ELNS1_3gpuE7ELNS1_3repE0EEENS1_38merge_mergepath_config_static_selectorELNS0_4arch9wavefront6targetE1EEEvSH_.uses_flat_scratch, 0
	.set _ZN7rocprim17ROCPRIM_400000_NS6detail17trampoline_kernelINS0_14default_configENS1_38merge_sort_block_merge_config_selectorIllEEZZNS1_27merge_sort_block_merge_implIS3_PlN6thrust23THRUST_200600_302600_NS10device_ptrIlEEjNS1_19radix_merge_compareILb0ELb1ElNS0_19identity_decomposerEEEEE10hipError_tT0_T1_T2_jT3_P12ihipStream_tbPNSt15iterator_traitsISG_E10value_typeEPNSM_ISH_E10value_typeEPSI_NS1_7vsmem_tEENKUlT_SG_SH_SI_E_clIS7_S7_S7_SB_EESF_SV_SG_SH_SI_EUlSV_E0_NS1_11comp_targetILNS1_3genE3ELNS1_11target_archE908ELNS1_3gpuE7ELNS1_3repE0EEENS1_38merge_mergepath_config_static_selectorELNS0_4arch9wavefront6targetE1EEEvSH_.has_dyn_sized_stack, 0
	.set _ZN7rocprim17ROCPRIM_400000_NS6detail17trampoline_kernelINS0_14default_configENS1_38merge_sort_block_merge_config_selectorIllEEZZNS1_27merge_sort_block_merge_implIS3_PlN6thrust23THRUST_200600_302600_NS10device_ptrIlEEjNS1_19radix_merge_compareILb0ELb1ElNS0_19identity_decomposerEEEEE10hipError_tT0_T1_T2_jT3_P12ihipStream_tbPNSt15iterator_traitsISG_E10value_typeEPNSM_ISH_E10value_typeEPSI_NS1_7vsmem_tEENKUlT_SG_SH_SI_E_clIS7_S7_S7_SB_EESF_SV_SG_SH_SI_EUlSV_E0_NS1_11comp_targetILNS1_3genE3ELNS1_11target_archE908ELNS1_3gpuE7ELNS1_3repE0EEENS1_38merge_mergepath_config_static_selectorELNS0_4arch9wavefront6targetE1EEEvSH_.has_recursion, 0
	.set _ZN7rocprim17ROCPRIM_400000_NS6detail17trampoline_kernelINS0_14default_configENS1_38merge_sort_block_merge_config_selectorIllEEZZNS1_27merge_sort_block_merge_implIS3_PlN6thrust23THRUST_200600_302600_NS10device_ptrIlEEjNS1_19radix_merge_compareILb0ELb1ElNS0_19identity_decomposerEEEEE10hipError_tT0_T1_T2_jT3_P12ihipStream_tbPNSt15iterator_traitsISG_E10value_typeEPNSM_ISH_E10value_typeEPSI_NS1_7vsmem_tEENKUlT_SG_SH_SI_E_clIS7_S7_S7_SB_EESF_SV_SG_SH_SI_EUlSV_E0_NS1_11comp_targetILNS1_3genE3ELNS1_11target_archE908ELNS1_3gpuE7ELNS1_3repE0EEENS1_38merge_mergepath_config_static_selectorELNS0_4arch9wavefront6targetE1EEEvSH_.has_indirect_call, 0
	.section	.AMDGPU.csdata,"",@progbits
; Kernel info:
; codeLenInByte = 0
; TotalNumSgprs: 4
; NumVgprs: 0
; ScratchSize: 0
; MemoryBound: 0
; FloatMode: 240
; IeeeMode: 1
; LDSByteSize: 0 bytes/workgroup (compile time only)
; SGPRBlocks: 0
; VGPRBlocks: 0
; NumSGPRsForWavesPerEU: 4
; NumVGPRsForWavesPerEU: 1
; Occupancy: 10
; WaveLimiterHint : 0
; COMPUTE_PGM_RSRC2:SCRATCH_EN: 0
; COMPUTE_PGM_RSRC2:USER_SGPR: 6
; COMPUTE_PGM_RSRC2:TRAP_HANDLER: 0
; COMPUTE_PGM_RSRC2:TGID_X_EN: 1
; COMPUTE_PGM_RSRC2:TGID_Y_EN: 0
; COMPUTE_PGM_RSRC2:TGID_Z_EN: 0
; COMPUTE_PGM_RSRC2:TIDIG_COMP_CNT: 0
	.section	.text._ZN7rocprim17ROCPRIM_400000_NS6detail17trampoline_kernelINS0_14default_configENS1_38merge_sort_block_merge_config_selectorIllEEZZNS1_27merge_sort_block_merge_implIS3_PlN6thrust23THRUST_200600_302600_NS10device_ptrIlEEjNS1_19radix_merge_compareILb0ELb1ElNS0_19identity_decomposerEEEEE10hipError_tT0_T1_T2_jT3_P12ihipStream_tbPNSt15iterator_traitsISG_E10value_typeEPNSM_ISH_E10value_typeEPSI_NS1_7vsmem_tEENKUlT_SG_SH_SI_E_clIS7_S7_S7_SB_EESF_SV_SG_SH_SI_EUlSV_E0_NS1_11comp_targetILNS1_3genE2ELNS1_11target_archE906ELNS1_3gpuE6ELNS1_3repE0EEENS1_38merge_mergepath_config_static_selectorELNS0_4arch9wavefront6targetE1EEEvSH_,"axG",@progbits,_ZN7rocprim17ROCPRIM_400000_NS6detail17trampoline_kernelINS0_14default_configENS1_38merge_sort_block_merge_config_selectorIllEEZZNS1_27merge_sort_block_merge_implIS3_PlN6thrust23THRUST_200600_302600_NS10device_ptrIlEEjNS1_19radix_merge_compareILb0ELb1ElNS0_19identity_decomposerEEEEE10hipError_tT0_T1_T2_jT3_P12ihipStream_tbPNSt15iterator_traitsISG_E10value_typeEPNSM_ISH_E10value_typeEPSI_NS1_7vsmem_tEENKUlT_SG_SH_SI_E_clIS7_S7_S7_SB_EESF_SV_SG_SH_SI_EUlSV_E0_NS1_11comp_targetILNS1_3genE2ELNS1_11target_archE906ELNS1_3gpuE6ELNS1_3repE0EEENS1_38merge_mergepath_config_static_selectorELNS0_4arch9wavefront6targetE1EEEvSH_,comdat
	.protected	_ZN7rocprim17ROCPRIM_400000_NS6detail17trampoline_kernelINS0_14default_configENS1_38merge_sort_block_merge_config_selectorIllEEZZNS1_27merge_sort_block_merge_implIS3_PlN6thrust23THRUST_200600_302600_NS10device_ptrIlEEjNS1_19radix_merge_compareILb0ELb1ElNS0_19identity_decomposerEEEEE10hipError_tT0_T1_T2_jT3_P12ihipStream_tbPNSt15iterator_traitsISG_E10value_typeEPNSM_ISH_E10value_typeEPSI_NS1_7vsmem_tEENKUlT_SG_SH_SI_E_clIS7_S7_S7_SB_EESF_SV_SG_SH_SI_EUlSV_E0_NS1_11comp_targetILNS1_3genE2ELNS1_11target_archE906ELNS1_3gpuE6ELNS1_3repE0EEENS1_38merge_mergepath_config_static_selectorELNS0_4arch9wavefront6targetE1EEEvSH_ ; -- Begin function _ZN7rocprim17ROCPRIM_400000_NS6detail17trampoline_kernelINS0_14default_configENS1_38merge_sort_block_merge_config_selectorIllEEZZNS1_27merge_sort_block_merge_implIS3_PlN6thrust23THRUST_200600_302600_NS10device_ptrIlEEjNS1_19radix_merge_compareILb0ELb1ElNS0_19identity_decomposerEEEEE10hipError_tT0_T1_T2_jT3_P12ihipStream_tbPNSt15iterator_traitsISG_E10value_typeEPNSM_ISH_E10value_typeEPSI_NS1_7vsmem_tEENKUlT_SG_SH_SI_E_clIS7_S7_S7_SB_EESF_SV_SG_SH_SI_EUlSV_E0_NS1_11comp_targetILNS1_3genE2ELNS1_11target_archE906ELNS1_3gpuE6ELNS1_3repE0EEENS1_38merge_mergepath_config_static_selectorELNS0_4arch9wavefront6targetE1EEEvSH_
	.globl	_ZN7rocprim17ROCPRIM_400000_NS6detail17trampoline_kernelINS0_14default_configENS1_38merge_sort_block_merge_config_selectorIllEEZZNS1_27merge_sort_block_merge_implIS3_PlN6thrust23THRUST_200600_302600_NS10device_ptrIlEEjNS1_19radix_merge_compareILb0ELb1ElNS0_19identity_decomposerEEEEE10hipError_tT0_T1_T2_jT3_P12ihipStream_tbPNSt15iterator_traitsISG_E10value_typeEPNSM_ISH_E10value_typeEPSI_NS1_7vsmem_tEENKUlT_SG_SH_SI_E_clIS7_S7_S7_SB_EESF_SV_SG_SH_SI_EUlSV_E0_NS1_11comp_targetILNS1_3genE2ELNS1_11target_archE906ELNS1_3gpuE6ELNS1_3repE0EEENS1_38merge_mergepath_config_static_selectorELNS0_4arch9wavefront6targetE1EEEvSH_
	.p2align	8
	.type	_ZN7rocprim17ROCPRIM_400000_NS6detail17trampoline_kernelINS0_14default_configENS1_38merge_sort_block_merge_config_selectorIllEEZZNS1_27merge_sort_block_merge_implIS3_PlN6thrust23THRUST_200600_302600_NS10device_ptrIlEEjNS1_19radix_merge_compareILb0ELb1ElNS0_19identity_decomposerEEEEE10hipError_tT0_T1_T2_jT3_P12ihipStream_tbPNSt15iterator_traitsISG_E10value_typeEPNSM_ISH_E10value_typeEPSI_NS1_7vsmem_tEENKUlT_SG_SH_SI_E_clIS7_S7_S7_SB_EESF_SV_SG_SH_SI_EUlSV_E0_NS1_11comp_targetILNS1_3genE2ELNS1_11target_archE906ELNS1_3gpuE6ELNS1_3repE0EEENS1_38merge_mergepath_config_static_selectorELNS0_4arch9wavefront6targetE1EEEvSH_,@function
_ZN7rocprim17ROCPRIM_400000_NS6detail17trampoline_kernelINS0_14default_configENS1_38merge_sort_block_merge_config_selectorIllEEZZNS1_27merge_sort_block_merge_implIS3_PlN6thrust23THRUST_200600_302600_NS10device_ptrIlEEjNS1_19radix_merge_compareILb0ELb1ElNS0_19identity_decomposerEEEEE10hipError_tT0_T1_T2_jT3_P12ihipStream_tbPNSt15iterator_traitsISG_E10value_typeEPNSM_ISH_E10value_typeEPSI_NS1_7vsmem_tEENKUlT_SG_SH_SI_E_clIS7_S7_S7_SB_EESF_SV_SG_SH_SI_EUlSV_E0_NS1_11comp_targetILNS1_3genE2ELNS1_11target_archE906ELNS1_3gpuE6ELNS1_3repE0EEENS1_38merge_mergepath_config_static_selectorELNS0_4arch9wavefront6targetE1EEEvSH_: ; @_ZN7rocprim17ROCPRIM_400000_NS6detail17trampoline_kernelINS0_14default_configENS1_38merge_sort_block_merge_config_selectorIllEEZZNS1_27merge_sort_block_merge_implIS3_PlN6thrust23THRUST_200600_302600_NS10device_ptrIlEEjNS1_19radix_merge_compareILb0ELb1ElNS0_19identity_decomposerEEEEE10hipError_tT0_T1_T2_jT3_P12ihipStream_tbPNSt15iterator_traitsISG_E10value_typeEPNSM_ISH_E10value_typeEPSI_NS1_7vsmem_tEENKUlT_SG_SH_SI_E_clIS7_S7_S7_SB_EESF_SV_SG_SH_SI_EUlSV_E0_NS1_11comp_targetILNS1_3genE2ELNS1_11target_archE906ELNS1_3gpuE6ELNS1_3repE0EEENS1_38merge_mergepath_config_static_selectorELNS0_4arch9wavefront6targetE1EEEvSH_
; %bb.0:
	s_load_dwordx2 s[26:27], s[4:5], 0x48
	s_load_dword s1, s[4:5], 0x30
	s_add_u32 s24, s4, 0x48
	s_addc_u32 s25, s5, 0
	s_waitcnt lgkmcnt(0)
	s_mul_i32 s0, s27, s8
	s_add_i32 s0, s0, s7
	s_mul_i32 s0, s0, s26
	s_add_i32 s0, s0, s6
	s_cmp_ge_u32 s0, s1
	s_cbranch_scc1 .LBB1079_81
; %bb.1:
	s_load_dwordx8 s[12:19], s[4:5], 0x10
	s_load_dwordx2 s[30:31], s[4:5], 0x8
	s_load_dwordx2 s[2:3], s[4:5], 0x40
	s_mov_b32 s1, 0
	s_mov_b32 s23, s1
	s_waitcnt lgkmcnt(0)
	s_lshr_b32 s33, s18, 10
	s_cmp_lg_u32 s0, s33
	s_cselect_b64 s[20:21], -1, 0
	s_lshl_b64 s[8:9], s[0:1], 2
	s_add_u32 s2, s2, s8
	s_addc_u32 s3, s3, s9
	s_load_dwordx2 s[8:9], s[2:3], 0x0
	s_lshr_b32 s2, s19, 9
	s_and_b32 s2, s2, 0x7ffffe
	s_sub_i32 s2, 0, s2
	s_and_b32 s3, s0, s2
	s_lshl_b32 s7, s3, 10
	s_lshl_b32 s10, s0, 10
	;; [unrolled: 1-line block ×3, first 2 shown]
	s_sub_i32 s11, s10, s7
	s_add_i32 s3, s3, s19
	s_add_i32 s11, s3, s11
	s_waitcnt lgkmcnt(0)
	s_sub_i32 s22, s11, s8
	s_sub_i32 s11, s11, s9
	;; [unrolled: 1-line block ×3, first 2 shown]
	s_min_u32 s22, s18, s22
	s_addk_i32 s11, 0x400
	s_or_b32 s2, s0, s2
	s_min_u32 s7, s18, s3
	s_add_i32 s3, s3, s19
	s_cmp_eq_u32 s2, -1
	s_cselect_b32 s2, s3, s11
	s_cselect_b32 s3, s7, s9
	s_mov_b32 s9, s1
	s_min_u32 s19, s2, s18
	s_sub_i32 s11, s3, s8
	s_lshl_b64 s[2:3], s[8:9], 3
	s_add_u32 s27, s30, s2
	s_addc_u32 s28, s31, s3
	s_lshl_b64 s[8:9], s[22:23], 3
	s_add_u32 s23, s30, s8
	v_mov_b32_e32 v2, 0
	global_load_dword v1, v2, s[24:25] offset:14
	s_addc_u32 s29, s31, s9
	s_cmp_lt_u32 s6, s26
	s_cselect_b32 s1, 12, 18
	s_add_u32 s6, s24, s1
	s_addc_u32 s7, s25, 0
	global_load_ushort v3, v2, s[6:7]
	s_cmp_eq_u32 s0, s33
	v_lshlrev_b32_e32 v38, 3, v0
	s_waitcnt vmcnt(1)
	v_lshrrev_b32_e32 v4, 16, v1
	v_and_b32_e32 v1, 0xffff, v1
	v_mul_lo_u32 v1, v1, v4
	s_waitcnt vmcnt(0)
	v_mul_lo_u32 v39, v1, v3
	v_add_u32_e32 v34, v39, v0
	v_add_u32_e32 v32, v34, v39
	s_cbranch_scc1 .LBB1079_3
; %bb.2:
	v_mov_b32_e32 v1, s28
	v_add_co_u32_e32 v5, vcc, s27, v38
	v_addc_co_u32_e32 v6, vcc, 0, v1, vcc
	v_subrev_co_u32_e32 v1, vcc, s11, v0
	v_lshlrev_b64 v[3:4], 3, v[1:2]
	v_mov_b32_e32 v1, s29
	v_add_co_u32_e64 v3, s[0:1], s23, v3
	v_addc_co_u32_e64 v1, s[0:1], v1, v4, s[0:1]
	v_cndmask_b32_e32 v4, v1, v6, vcc
	v_cndmask_b32_e32 v3, v3, v5, vcc
	v_mov_b32_e32 v35, v2
	global_load_dwordx2 v[18:19], v[3:4], off
	v_lshlrev_b64 v[3:4], 3, v[34:35]
	v_mov_b32_e32 v1, s28
	v_add_co_u32_e32 v5, vcc, s27, v3
	v_addc_co_u32_e32 v6, vcc, v1, v4, vcc
	v_subrev_co_u32_e32 v1, vcc, s11, v34
	v_lshlrev_b64 v[3:4], 3, v[1:2]
	v_mov_b32_e32 v1, s29
	v_add_co_u32_e64 v3, s[0:1], s23, v3
	v_addc_co_u32_e64 v1, s[0:1], v1, v4, s[0:1]
	v_cndmask_b32_e32 v4, v1, v6, vcc
	v_cndmask_b32_e32 v3, v3, v5, vcc
	v_mov_b32_e32 v33, v2
	global_load_dwordx2 v[20:21], v[3:4], off
	v_lshlrev_b64 v[3:4], 3, v[32:33]
	v_mov_b32_e32 v1, s28
	v_add_co_u32_e32 v5, vcc, s27, v3
	v_addc_co_u32_e32 v6, vcc, v1, v4, vcc
	v_subrev_co_u32_e32 v1, vcc, s11, v32
	v_lshlrev_b64 v[3:4], 3, v[1:2]
	v_mov_b32_e32 v1, s29
	v_add_co_u32_e64 v3, s[0:1], s23, v3
	v_addc_co_u32_e64 v1, s[0:1], v1, v4, s[0:1]
	v_cndmask_b32_e32 v4, v1, v6, vcc
	v_cndmask_b32_e32 v3, v3, v5, vcc
	v_add_u32_e32 v1, v32, v39
	global_load_dwordx2 v[22:23], v[3:4], off
	v_lshlrev_b64 v[3:4], 3, v[1:2]
	v_mov_b32_e32 v5, s28
	v_add_co_u32_e32 v6, vcc, s27, v3
	v_addc_co_u32_e32 v5, vcc, v5, v4, vcc
	v_subrev_co_u32_e32 v3, vcc, s11, v1
	v_mov_b32_e32 v4, v2
	v_lshlrev_b64 v[3:4], 3, v[3:4]
	v_mov_b32_e32 v7, s29
	v_add_co_u32_e64 v3, s[0:1], s23, v3
	v_addc_co_u32_e64 v4, s[0:1], v7, v4, s[0:1]
	v_cndmask_b32_e32 v4, v4, v5, vcc
	v_cndmask_b32_e32 v3, v3, v6, vcc
	v_add_u32_e32 v1, v1, v39
	global_load_dwordx2 v[24:25], v[3:4], off
	v_lshlrev_b64 v[3:4], 3, v[1:2]
	v_mov_b32_e32 v5, s28
	v_add_co_u32_e32 v6, vcc, s27, v3
	v_addc_co_u32_e32 v5, vcc, v5, v4, vcc
	v_subrev_co_u32_e32 v3, vcc, s11, v1
	v_mov_b32_e32 v4, v2
	v_lshlrev_b64 v[3:4], 3, v[3:4]
	v_add_u32_e32 v1, v1, v39
	v_add_co_u32_e64 v3, s[0:1], s23, v3
	v_addc_co_u32_e64 v4, s[0:1], v7, v4, s[0:1]
	v_cndmask_b32_e32 v4, v4, v5, vcc
	v_cndmask_b32_e32 v3, v3, v6, vcc
	global_load_dwordx2 v[26:27], v[3:4], off
	v_lshlrev_b64 v[3:4], 3, v[1:2]
	v_mov_b32_e32 v5, s28
	v_add_co_u32_e32 v6, vcc, s27, v3
	v_addc_co_u32_e32 v5, vcc, v5, v4, vcc
	v_subrev_co_u32_e32 v3, vcc, s11, v1
	v_mov_b32_e32 v4, v2
	v_lshlrev_b64 v[3:4], 3, v[3:4]
	v_add_u32_e32 v1, v1, v39
	v_add_co_u32_e64 v3, s[0:1], s23, v3
	v_addc_co_u32_e64 v4, s[0:1], v7, v4, s[0:1]
	v_cndmask_b32_e32 v4, v4, v5, vcc
	v_cndmask_b32_e32 v3, v3, v6, vcc
	global_load_dwordx2 v[28:29], v[3:4], off
	v_lshlrev_b64 v[3:4], 3, v[1:2]
	v_mov_b32_e32 v5, s28
	v_add_co_u32_e32 v6, vcc, s27, v3
	v_addc_co_u32_e32 v5, vcc, v5, v4, vcc
	v_subrev_co_u32_e32 v3, vcc, s11, v1
	v_mov_b32_e32 v4, v2
	v_lshlrev_b64 v[2:3], 3, v[3:4]
	v_mov_b32_e32 v4, s29
	v_add_co_u32_e64 v2, s[0:1], s23, v2
	v_addc_co_u32_e64 v3, s[0:1], v4, v3, s[0:1]
	v_cndmask_b32_e32 v3, v3, v5, vcc
	v_cndmask_b32_e32 v2, v2, v6, vcc
	global_load_dwordx2 v[30:31], v[2:3], off
	v_add_u32_e32 v1, v1, v39
	s_mov_b64 s[0:1], -1
	s_sub_i32 s19, s19, s22
	s_cbranch_execz .LBB1079_4
	s_branch .LBB1079_19
.LBB1079_3:
	s_mov_b64 s[0:1], 0
                                        ; implicit-def: $vgpr1
                                        ; implicit-def: $vgpr30_vgpr31
                                        ; implicit-def: $vgpr28_vgpr29
                                        ; implicit-def: $vgpr24_vgpr25
                                        ; implicit-def: $vgpr20_vgpr21
                                        ; implicit-def: $vgpr26_vgpr27
                                        ; implicit-def: $vgpr22_vgpr23
                                        ; implicit-def: $vgpr18_vgpr19
	s_sub_i32 s19, s19, s22
.LBB1079_4:
	s_add_i32 s22, s19, s11
	v_cmp_gt_u32_e32 vcc, s22, v0
                                        ; implicit-def: $vgpr18_vgpr19
	s_and_saveexec_b64 s[6:7], vcc
	s_cbranch_execz .LBB1079_6
; %bb.5:
	v_mov_b32_e32 v1, s28
	v_add_co_u32_e32 v3, vcc, s27, v38
	v_addc_co_u32_e32 v4, vcc, 0, v1, vcc
	v_subrev_co_u32_e32 v1, vcc, s11, v0
	v_mov_b32_e32 v2, 0
	v_lshlrev_b64 v[1:2], 3, v[1:2]
	v_mov_b32_e32 v5, s29
	v_add_co_u32_e64 v1, s[0:1], s23, v1
	v_addc_co_u32_e64 v2, s[0:1], v5, v2, s[0:1]
	v_cndmask_b32_e32 v2, v2, v4, vcc
	v_cndmask_b32_e32 v1, v1, v3, vcc
	global_load_dwordx2 v[18:19], v[1:2], off
.LBB1079_6:
	s_or_b64 exec, exec, s[6:7]
	v_cmp_gt_u32_e32 vcc, s22, v34
	s_and_saveexec_b64 s[6:7], vcc
                                        ; implicit-def: $vgpr20_vgpr21
	s_cbranch_execz .LBB1079_8
; %bb.7:
	v_mov_b32_e32 v35, 0
	v_lshlrev_b64 v[1:2], 3, v[34:35]
	v_mov_b32_e32 v3, s28
	v_add_co_u32_e32 v4, vcc, s27, v1
	v_addc_co_u32_e32 v3, vcc, v3, v2, vcc
	v_subrev_co_u32_e32 v1, vcc, s11, v34
	v_mov_b32_e32 v2, v35
	v_lshlrev_b64 v[1:2], 3, v[1:2]
	v_mov_b32_e32 v5, s29
	v_add_co_u32_e64 v1, s[0:1], s23, v1
	v_addc_co_u32_e64 v2, s[0:1], v5, v2, s[0:1]
	v_cndmask_b32_e32 v2, v2, v3, vcc
	v_cndmask_b32_e32 v1, v1, v4, vcc
	global_load_dwordx2 v[20:21], v[1:2], off
.LBB1079_8:
	s_or_b64 exec, exec, s[6:7]
	v_cmp_gt_u32_e32 vcc, s22, v32
                                        ; implicit-def: $vgpr22_vgpr23
	s_and_saveexec_b64 s[6:7], vcc
	s_cbranch_execz .LBB1079_10
; %bb.9:
	v_mov_b32_e32 v33, 0
	v_lshlrev_b64 v[1:2], 3, v[32:33]
	v_mov_b32_e32 v3, s28
	v_add_co_u32_e32 v4, vcc, s27, v1
	v_addc_co_u32_e32 v3, vcc, v3, v2, vcc
	v_subrev_co_u32_e32 v1, vcc, s11, v32
	v_mov_b32_e32 v2, v33
	v_lshlrev_b64 v[1:2], 3, v[1:2]
	v_mov_b32_e32 v5, s29
	v_add_co_u32_e64 v1, s[0:1], s23, v1
	v_addc_co_u32_e64 v2, s[0:1], v5, v2, s[0:1]
	v_cndmask_b32_e32 v2, v2, v3, vcc
	v_cndmask_b32_e32 v1, v1, v4, vcc
	global_load_dwordx2 v[22:23], v[1:2], off
.LBB1079_10:
	s_or_b64 exec, exec, s[6:7]
	v_add_u32_e32 v1, v32, v39
	v_cmp_gt_u32_e32 vcc, s22, v1
	s_and_saveexec_b64 s[6:7], vcc
                                        ; implicit-def: $vgpr24_vgpr25
	s_cbranch_execz .LBB1079_12
; %bb.11:
	v_mov_b32_e32 v2, 0
	v_lshlrev_b64 v[3:4], 3, v[1:2]
	v_mov_b32_e32 v5, s28
	v_add_co_u32_e32 v6, vcc, s27, v3
	v_addc_co_u32_e32 v5, vcc, v5, v4, vcc
	v_subrev_co_u32_e32 v3, vcc, s11, v1
	v_mov_b32_e32 v4, v2
	v_lshlrev_b64 v[2:3], 3, v[3:4]
	v_mov_b32_e32 v4, s29
	v_add_co_u32_e64 v2, s[0:1], s23, v2
	v_addc_co_u32_e64 v3, s[0:1], v4, v3, s[0:1]
	v_cndmask_b32_e32 v3, v3, v5, vcc
	v_cndmask_b32_e32 v2, v2, v6, vcc
	global_load_dwordx2 v[24:25], v[2:3], off
.LBB1079_12:
	s_or_b64 exec, exec, s[6:7]
	v_add_u32_e32 v1, v1, v39
	v_cmp_gt_u32_e32 vcc, s22, v1
                                        ; implicit-def: $vgpr26_vgpr27
	s_and_saveexec_b64 s[6:7], vcc
	s_cbranch_execz .LBB1079_14
; %bb.13:
	v_mov_b32_e32 v2, 0
	v_lshlrev_b64 v[3:4], 3, v[1:2]
	v_mov_b32_e32 v5, s28
	v_add_co_u32_e32 v6, vcc, s27, v3
	v_addc_co_u32_e32 v5, vcc, v5, v4, vcc
	v_subrev_co_u32_e32 v3, vcc, s11, v1
	v_mov_b32_e32 v4, v2
	v_lshlrev_b64 v[2:3], 3, v[3:4]
	v_mov_b32_e32 v4, s29
	v_add_co_u32_e64 v2, s[0:1], s23, v2
	v_addc_co_u32_e64 v3, s[0:1], v4, v3, s[0:1]
	v_cndmask_b32_e32 v3, v3, v5, vcc
	v_cndmask_b32_e32 v2, v2, v6, vcc
	global_load_dwordx2 v[26:27], v[2:3], off
.LBB1079_14:
	s_or_b64 exec, exec, s[6:7]
	v_add_u32_e32 v1, v1, v39
	v_cmp_gt_u32_e32 vcc, s22, v1
	s_and_saveexec_b64 s[6:7], vcc
                                        ; implicit-def: $vgpr28_vgpr29
	s_cbranch_execz .LBB1079_16
; %bb.15:
	v_mov_b32_e32 v2, 0
	v_lshlrev_b64 v[3:4], 3, v[1:2]
	v_mov_b32_e32 v5, s28
	v_add_co_u32_e32 v6, vcc, s27, v3
	v_addc_co_u32_e32 v5, vcc, v5, v4, vcc
	v_subrev_co_u32_e32 v3, vcc, s11, v1
	v_mov_b32_e32 v4, v2
	v_lshlrev_b64 v[2:3], 3, v[3:4]
	v_mov_b32_e32 v4, s29
	v_add_co_u32_e64 v2, s[0:1], s23, v2
	v_addc_co_u32_e64 v3, s[0:1], v4, v3, s[0:1]
	v_cndmask_b32_e32 v3, v3, v5, vcc
	v_cndmask_b32_e32 v2, v2, v6, vcc
	global_load_dwordx2 v[28:29], v[2:3], off
.LBB1079_16:
	s_or_b64 exec, exec, s[6:7]
	v_add_u32_e32 v1, v1, v39
	v_cmp_gt_u32_e32 vcc, s22, v1
                                        ; implicit-def: $vgpr30_vgpr31
	s_and_saveexec_b64 s[6:7], vcc
	s_cbranch_execz .LBB1079_18
; %bb.17:
	v_mov_b32_e32 v2, 0
	v_lshlrev_b64 v[3:4], 3, v[1:2]
	v_mov_b32_e32 v5, s28
	v_add_co_u32_e32 v6, vcc, s27, v3
	v_addc_co_u32_e32 v5, vcc, v5, v4, vcc
	v_subrev_co_u32_e32 v3, vcc, s11, v1
	v_mov_b32_e32 v4, v2
	v_lshlrev_b64 v[2:3], 3, v[3:4]
	v_mov_b32_e32 v4, s29
	v_add_co_u32_e64 v2, s[0:1], s23, v2
	v_addc_co_u32_e64 v3, s[0:1], v4, v3, s[0:1]
	v_cndmask_b32_e32 v3, v3, v5, vcc
	v_cndmask_b32_e32 v2, v2, v6, vcc
	global_load_dwordx2 v[30:31], v[2:3], off
.LBB1079_18:
	s_or_b64 exec, exec, s[6:7]
	v_add_u32_e32 v1, v1, v39
	v_cmp_gt_u32_e64 s[0:1], s22, v1
.LBB1079_19:
	s_and_saveexec_b64 s[6:7], s[0:1]
                                        ; implicit-def: $vgpr36_vgpr37
	s_cbranch_execz .LBB1079_21
; %bb.20:
	v_mov_b32_e32 v2, 0
	v_lshlrev_b64 v[3:4], 3, v[1:2]
	v_mov_b32_e32 v5, s28
	v_add_co_u32_e32 v3, vcc, s27, v3
	v_addc_co_u32_e32 v4, vcc, v5, v4, vcc
	v_subrev_co_u32_e32 v1, vcc, s11, v1
	v_lshlrev_b64 v[1:2], 3, v[1:2]
	v_mov_b32_e32 v5, s29
	v_add_co_u32_e64 v1, s[0:1], s23, v1
	v_addc_co_u32_e64 v2, s[0:1], v5, v2, s[0:1]
	v_cndmask_b32_e32 v2, v2, v4, vcc
	v_cndmask_b32_e32 v1, v1, v3, vcc
	global_load_dwordx2 v[36:37], v[1:2], off
.LBB1079_21:
	s_or_b64 exec, exec, s[6:7]
	s_add_u32 s22, s14, s2
	s_addc_u32 s23, s15, s3
	s_add_u32 s6, s14, s8
	v_mov_b32_e32 v16, 0
	s_addc_u32 s7, s15, s9
	s_andn2_b64 vcc, exec, s[20:21]
	s_waitcnt vmcnt(0)
	ds_write2st64_b64 v38, v[18:19], v[20:21] offset1:2
	ds_write2st64_b64 v38, v[22:23], v[24:25] offset0:4 offset1:6
	ds_write2st64_b64 v38, v[26:27], v[28:29] offset0:8 offset1:10
	;; [unrolled: 1-line block ×3, first 2 shown]
	s_cbranch_vccnz .LBB1079_23
; %bb.22:
	v_mov_b32_e32 v1, s23
	v_add_co_u32_e32 v3, vcc, s22, v38
	v_addc_co_u32_e32 v4, vcc, 0, v1, vcc
	v_subrev_co_u32_e32 v15, vcc, s11, v0
	v_lshlrev_b64 v[1:2], 3, v[15:16]
	v_mov_b32_e32 v5, s7
	v_add_co_u32_e64 v1, s[0:1], s6, v1
	v_addc_co_u32_e64 v2, s[0:1], v5, v2, s[0:1]
	v_mov_b32_e32 v35, v16
	v_cndmask_b32_e32 v2, v2, v4, vcc
	v_cndmask_b32_e32 v1, v1, v3, vcc
	v_lshlrev_b64 v[3:4], 3, v[34:35]
	v_mov_b32_e32 v5, s23
	v_add_co_u32_e32 v6, vcc, s22, v3
	v_addc_co_u32_e32 v5, vcc, v5, v4, vcc
	v_subrev_co_u32_e32 v15, vcc, s11, v34
	v_lshlrev_b64 v[3:4], 3, v[15:16]
	v_mov_b32_e32 v7, s7
	v_add_co_u32_e64 v3, s[0:1], s6, v3
	v_addc_co_u32_e64 v4, s[0:1], v7, v4, s[0:1]
	v_mov_b32_e32 v33, v16
	v_cndmask_b32_e32 v4, v4, v5, vcc
	v_cndmask_b32_e32 v3, v3, v6, vcc
	v_lshlrev_b64 v[5:6], 3, v[32:33]
	v_mov_b32_e32 v7, s23
	v_add_co_u32_e32 v8, vcc, s22, v5
	v_addc_co_u32_e32 v7, vcc, v7, v6, vcc
	v_subrev_co_u32_e32 v15, vcc, s11, v32
	v_lshlrev_b64 v[5:6], 3, v[15:16]
	v_mov_b32_e32 v9, s7
	v_add_co_u32_e64 v5, s[0:1], s6, v5
	v_addc_co_u32_e64 v6, s[0:1], v9, v6, s[0:1]
	v_add_u32_e32 v15, v32, v39
	v_cndmask_b32_e32 v6, v6, v7, vcc
	v_cndmask_b32_e32 v5, v5, v8, vcc
	v_lshlrev_b64 v[7:8], 3, v[15:16]
	v_mov_b32_e32 v9, s23
	v_add_co_u32_e32 v10, vcc, s22, v7
	v_addc_co_u32_e32 v9, vcc, v9, v8, vcc
	v_subrev_co_u32_e32 v7, vcc, s11, v15
	v_mov_b32_e32 v8, v16
	v_lshlrev_b64 v[7:8], 3, v[7:8]
	v_mov_b32_e32 v11, s7
	v_add_co_u32_e64 v7, s[0:1], s6, v7
	v_addc_co_u32_e64 v8, s[0:1], v11, v8, s[0:1]
	v_add_u32_e32 v15, v15, v39
	v_cndmask_b32_e32 v8, v8, v9, vcc
	v_cndmask_b32_e32 v7, v7, v10, vcc
	v_lshlrev_b64 v[9:10], 3, v[15:16]
	v_mov_b32_e32 v11, s23
	v_add_co_u32_e32 v12, vcc, s22, v9
	v_addc_co_u32_e32 v11, vcc, v11, v10, vcc
	v_subrev_co_u32_e32 v9, vcc, s11, v15
	v_mov_b32_e32 v10, v16
	;; [unrolled: 13-line block ×4, first 2 shown]
	v_lshlrev_b64 v[13:14], 3, v[13:14]
	v_add_u32_e32 v15, v15, v39
	v_mov_b32_e32 v35, s7
	v_add_co_u32_e64 v13, s[0:1], s6, v13
	v_lshlrev_b64 v[40:41], 3, v[15:16]
	v_addc_co_u32_e64 v14, s[0:1], v35, v14, s[0:1]
	v_cndmask_b32_e32 v14, v14, v17, vcc
	v_cndmask_b32_e32 v13, v13, v33, vcc
	v_mov_b32_e32 v17, s23
	v_add_co_u32_e32 v33, vcc, s22, v40
	v_addc_co_u32_e32 v17, vcc, v17, v41, vcc
	v_subrev_co_u32_e32 v15, vcc, s11, v15
	v_lshlrev_b64 v[15:16], 3, v[15:16]
	global_load_dwordx2 v[1:2], v[1:2], off
	v_add_co_u32_e64 v15, s[0:1], s6, v15
	v_addc_co_u32_e64 v16, s[0:1], v35, v16, s[0:1]
	v_cndmask_b32_e32 v16, v16, v17, vcc
	v_cndmask_b32_e32 v15, v15, v33, vcc
	global_load_dwordx2 v[3:4], v[3:4], off
	s_add_i32 s24, s19, s11
	global_load_dwordx2 v[5:6], v[5:6], off
	s_nop 0
	global_load_dwordx2 v[7:8], v[7:8], off
	s_nop 0
	;; [unrolled: 2-line block ×5, first 2 shown]
	global_load_dwordx2 v[15:16], v[15:16], off
	s_load_dwordx2 s[14:15], s[4:5], 0x38
	s_cbranch_execz .LBB1079_24
	s_branch .LBB1079_39
.LBB1079_23:
                                        ; implicit-def: $vgpr1_vgpr2_vgpr3_vgpr4_vgpr5_vgpr6_vgpr7_vgpr8_vgpr9_vgpr10_vgpr11_vgpr12_vgpr13_vgpr14_vgpr15_vgpr16
                                        ; implicit-def: $sgpr24
	s_load_dwordx2 s[14:15], s[4:5], 0x38
.LBB1079_24:
	s_add_i32 s24, s19, s11
	s_waitcnt vmcnt(7)
	v_mov_b32_e32 v1, 0
	v_cmp_gt_u32_e32 vcc, s24, v0
	v_mov_b32_e32 v2, v1
	s_waitcnt vmcnt(6)
	v_mov_b32_e32 v3, v1
	v_mov_b32_e32 v4, v1
	s_waitcnt vmcnt(5)
	v_mov_b32_e32 v5, v1
	;; [unrolled: 3-line block ×7, first 2 shown]
	v_mov_b32_e32 v16, v1
	s_and_saveexec_b64 s[2:3], vcc
	s_cbranch_execz .LBB1079_51
; %bb.25:
	v_mov_b32_e32 v2, s23
	v_add_co_u32_e32 v4, vcc, s22, v38
	v_addc_co_u32_e32 v5, vcc, 0, v2, vcc
	v_subrev_co_u32_e32 v2, vcc, s11, v0
	v_mov_b32_e32 v3, v1
	v_lshlrev_b64 v[2:3], 3, v[2:3]
	v_mov_b32_e32 v6, s7
	v_add_co_u32_e64 v2, s[0:1], s6, v2
	v_addc_co_u32_e64 v3, s[0:1], v6, v3, s[0:1]
	v_cndmask_b32_e32 v3, v3, v5, vcc
	v_cndmask_b32_e32 v2, v2, v4, vcc
	global_load_dwordx2 v[2:3], v[2:3], off
	v_mov_b32_e32 v4, v1
	v_mov_b32_e32 v5, v1
	;; [unrolled: 1-line block ×14, first 2 shown]
	s_waitcnt vmcnt(0)
	v_mov_b32_e32 v1, v2
	v_mov_b32_e32 v2, v3
	;; [unrolled: 1-line block ×16, first 2 shown]
	s_or_b64 exec, exec, s[2:3]
	v_cmp_gt_u32_e32 vcc, s24, v34
	s_and_saveexec_b64 s[2:3], vcc
	s_cbranch_execnz .LBB1079_52
.LBB1079_26:
	s_or_b64 exec, exec, s[2:3]
	v_cmp_gt_u32_e32 vcc, s24, v32
	s_and_saveexec_b64 s[2:3], vcc
	s_cbranch_execz .LBB1079_28
.LBB1079_27:
	v_mov_b32_e32 v33, 0
	v_lshlrev_b64 v[5:6], 3, v[32:33]
	v_mov_b32_e32 v17, s23
	v_add_co_u32_e32 v34, vcc, s22, v5
	v_addc_co_u32_e32 v17, vcc, v17, v6, vcc
	v_subrev_co_u32_e32 v5, vcc, s11, v32
	v_mov_b32_e32 v6, v33
	v_lshlrev_b64 v[5:6], 3, v[5:6]
	v_mov_b32_e32 v33, s7
	v_add_co_u32_e64 v5, s[0:1], s6, v5
	v_addc_co_u32_e64 v6, s[0:1], v33, v6, s[0:1]
	v_cndmask_b32_e32 v6, v6, v17, vcc
	v_cndmask_b32_e32 v5, v5, v34, vcc
	global_load_dwordx2 v[5:6], v[5:6], off
.LBB1079_28:
	s_or_b64 exec, exec, s[2:3]
	v_add_u32_e32 v32, v32, v39
	v_cmp_gt_u32_e32 vcc, s24, v32
	s_and_saveexec_b64 s[2:3], vcc
	s_cbranch_execz .LBB1079_30
; %bb.29:
	v_mov_b32_e32 v33, 0
	v_lshlrev_b64 v[7:8], 3, v[32:33]
	v_mov_b32_e32 v17, s23
	v_add_co_u32_e32 v34, vcc, s22, v7
	v_addc_co_u32_e32 v17, vcc, v17, v8, vcc
	v_subrev_co_u32_e32 v7, vcc, s11, v32
	v_mov_b32_e32 v8, v33
	v_lshlrev_b64 v[7:8], 3, v[7:8]
	v_mov_b32_e32 v33, s7
	v_add_co_u32_e64 v7, s[0:1], s6, v7
	v_addc_co_u32_e64 v8, s[0:1], v33, v8, s[0:1]
	v_cndmask_b32_e32 v8, v8, v17, vcc
	v_cndmask_b32_e32 v7, v7, v34, vcc
	global_load_dwordx2 v[7:8], v[7:8], off
.LBB1079_30:
	s_or_b64 exec, exec, s[2:3]
	v_add_u32_e32 v32, v32, v39
	v_cmp_gt_u32_e32 vcc, s24, v32
	s_and_saveexec_b64 s[2:3], vcc
	s_cbranch_execz .LBB1079_32
; %bb.31:
	v_mov_b32_e32 v33, 0
	v_lshlrev_b64 v[9:10], 3, v[32:33]
	v_mov_b32_e32 v17, s23
	v_add_co_u32_e32 v34, vcc, s22, v9
	v_addc_co_u32_e32 v17, vcc, v17, v10, vcc
	v_subrev_co_u32_e32 v9, vcc, s11, v32
	v_mov_b32_e32 v10, v33
	v_lshlrev_b64 v[9:10], 3, v[9:10]
	v_mov_b32_e32 v33, s7
	v_add_co_u32_e64 v9, s[0:1], s6, v9
	v_addc_co_u32_e64 v10, s[0:1], v33, v10, s[0:1]
	v_cndmask_b32_e32 v10, v10, v17, vcc
	v_cndmask_b32_e32 v9, v9, v34, vcc
	global_load_dwordx2 v[9:10], v[9:10], off
.LBB1079_32:
	s_or_b64 exec, exec, s[2:3]
	v_add_u32_e32 v32, v32, v39
	v_cmp_gt_u32_e32 vcc, s24, v32
	s_and_saveexec_b64 s[2:3], vcc
	s_cbranch_execz .LBB1079_34
; %bb.33:
	v_mov_b32_e32 v33, 0
	v_lshlrev_b64 v[11:12], 3, v[32:33]
	v_mov_b32_e32 v17, s23
	v_add_co_u32_e32 v34, vcc, s22, v11
	v_addc_co_u32_e32 v17, vcc, v17, v12, vcc
	v_subrev_co_u32_e32 v11, vcc, s11, v32
	v_mov_b32_e32 v12, v33
	v_lshlrev_b64 v[11:12], 3, v[11:12]
	v_mov_b32_e32 v33, s7
	v_add_co_u32_e64 v11, s[0:1], s6, v11
	v_addc_co_u32_e64 v12, s[0:1], v33, v12, s[0:1]
	v_cndmask_b32_e32 v12, v12, v17, vcc
	v_cndmask_b32_e32 v11, v11, v34, vcc
	global_load_dwordx2 v[11:12], v[11:12], off
.LBB1079_34:
	s_or_b64 exec, exec, s[2:3]
	v_add_u32_e32 v32, v32, v39
	v_cmp_gt_u32_e32 vcc, s24, v32
	s_and_saveexec_b64 s[2:3], vcc
	s_cbranch_execz .LBB1079_36
; %bb.35:
	v_mov_b32_e32 v33, 0
	v_lshlrev_b64 v[13:14], 3, v[32:33]
	v_mov_b32_e32 v17, s23
	v_add_co_u32_e32 v34, vcc, s22, v13
	v_addc_co_u32_e32 v17, vcc, v17, v14, vcc
	v_subrev_co_u32_e32 v13, vcc, s11, v32
	v_mov_b32_e32 v14, v33
	v_lshlrev_b64 v[13:14], 3, v[13:14]
	v_mov_b32_e32 v33, s7
	v_add_co_u32_e64 v13, s[0:1], s6, v13
	v_addc_co_u32_e64 v14, s[0:1], v33, v14, s[0:1]
	v_cndmask_b32_e32 v14, v14, v17, vcc
	v_cndmask_b32_e32 v13, v13, v34, vcc
	global_load_dwordx2 v[13:14], v[13:14], off
.LBB1079_36:
	s_or_b64 exec, exec, s[2:3]
	v_add_u32_e32 v32, v32, v39
	v_cmp_gt_u32_e32 vcc, s24, v32
	s_and_saveexec_b64 s[2:3], vcc
	s_cbranch_execz .LBB1079_38
; %bb.37:
	v_mov_b32_e32 v33, 0
	v_lshlrev_b64 v[15:16], 3, v[32:33]
	v_mov_b32_e32 v17, s23
	v_add_co_u32_e32 v34, vcc, s22, v15
	v_addc_co_u32_e32 v17, vcc, v17, v16, vcc
	v_subrev_co_u32_e32 v32, vcc, s11, v32
	v_lshlrev_b64 v[15:16], 3, v[32:33]
	v_mov_b32_e32 v32, s7
	v_add_co_u32_e64 v15, s[0:1], s6, v15
	v_addc_co_u32_e64 v16, s[0:1], v32, v16, s[0:1]
	v_cndmask_b32_e32 v16, v16, v17, vcc
	v_cndmask_b32_e32 v15, v15, v34, vcc
	global_load_dwordx2 v[15:16], v[15:16], off
.LBB1079_38:
	s_or_b64 exec, exec, s[2:3]
.LBB1079_39:
	v_min_u32_e32 v17, s24, v38
	v_sub_u32_e64 v40, v17, s19 clamp
	v_min_u32_e32 v32, s11, v17
	v_cmp_lt_u32_e32 vcc, v40, v32
	s_waitcnt vmcnt(0) lgkmcnt(0)
	s_barrier
	s_and_saveexec_b64 s[0:1], vcc
	s_cbranch_execz .LBB1079_43
; %bb.40:
	v_lshlrev_b32_e32 v33, 3, v17
	v_lshl_add_u32 v33, s11, 3, v33
	s_mov_b64 s[2:3], 0
.LBB1079_41:                            ; =>This Inner Loop Header: Depth=1
	v_add_u32_e32 v34, v32, v40
	v_lshrrev_b32_e32 v39, 1, v34
	v_not_b32_e32 v41, v39
	v_lshlrev_b32_e32 v34, 3, v39
	v_lshl_add_u32 v41, v41, 3, v33
	ds_read_b64 v[34:35], v34
	ds_read_b64 v[41:42], v41
	v_add_u32_e32 v43, 1, v39
	s_waitcnt lgkmcnt(1)
	v_and_b32_e32 v35, s15, v35
	v_and_b32_e32 v34, s14, v34
	s_waitcnt lgkmcnt(0)
	v_and_b32_e32 v42, s15, v42
	v_and_b32_e32 v41, s14, v41
	v_cmp_gt_i64_e32 vcc, v[34:35], v[41:42]
	v_cndmask_b32_e32 v32, v32, v39, vcc
	v_cndmask_b32_e32 v40, v43, v40, vcc
	v_cmp_ge_u32_e32 vcc, v40, v32
	s_or_b64 s[2:3], vcc, s[2:3]
	s_andn2_b64 exec, exec, s[2:3]
	s_cbranch_execnz .LBB1079_41
; %bb.42:
	s_or_b64 exec, exec, s[2:3]
.LBB1079_43:
	s_or_b64 exec, exec, s[0:1]
	v_sub_u32_e32 v17, v17, v40
	v_add_u32_e32 v43, s11, v17
	v_cmp_ge_u32_e32 vcc, s11, v40
	v_cmp_ge_u32_e64 s[0:1], s24, v43
	s_or_b64 s[0:1], vcc, s[0:1]
	v_mov_b32_e32 v32, 0
	v_mov_b32_e32 v33, 0
	;; [unrolled: 1-line block ×8, first 2 shown]
	s_and_saveexec_b64 s[22:23], s[0:1]
	s_cbranch_execz .LBB1079_49
; %bb.44:
	v_cmp_gt_u32_e32 vcc, s11, v40
                                        ; implicit-def: $vgpr17_vgpr18
	s_and_saveexec_b64 s[0:1], vcc
; %bb.45:
	v_lshlrev_b32_e32 v17, 3, v40
	ds_read_b64 v[17:18], v17
; %bb.46:
	s_or_b64 exec, exec, s[0:1]
	v_cmp_le_u32_e64 s[0:1], s24, v43
	v_cmp_gt_u32_e64 s[2:3], s24, v43
                                        ; implicit-def: $vgpr20_vgpr21
	s_and_saveexec_b64 s[4:5], s[2:3]
; %bb.47:
	v_lshlrev_b32_e32 v19, 3, v43
	ds_read_b64 v[20:21], v19
; %bb.48:
	s_or_b64 exec, exec, s[4:5]
	s_waitcnt lgkmcnt(0)
	v_and_b32_e32 v23, s15, v21
	v_and_b32_e32 v22, s14, v20
	;; [unrolled: 1-line block ×4, first 2 shown]
	v_cmp_le_i64_e64 s[2:3], v[24:25], v[22:23]
	v_mov_b32_e32 v36, s24
	s_and_b64 s[2:3], vcc, s[2:3]
	s_or_b64 vcc, s[0:1], s[2:3]
	v_mov_b32_e32 v37, s11
	v_cndmask_b32_e32 v32, v43, v40, vcc
	v_cndmask_b32_e32 v19, v36, v37, vcc
	v_add_u32_e32 v24, 1, v32
	v_add_u32_e32 v19, -1, v19
	v_min_u32_e32 v19, v24, v19
	v_lshlrev_b32_e32 v19, 3, v19
	ds_read_b64 v[22:23], v19
	v_cndmask_b32_e32 v19, v24, v43, vcc
	v_cndmask_b32_e32 v30, v40, v24, vcc
	v_cmp_gt_u32_e64 s[4:5], s11, v30
	v_cmp_le_u32_e64 s[0:1], s24, v19
	s_waitcnt lgkmcnt(0)
	v_cndmask_b32_e32 v26, v23, v21, vcc
	v_cndmask_b32_e32 v27, v22, v20, vcc
	;; [unrolled: 1-line block ×4, first 2 shown]
	v_and_b32_e32 v23, s15, v26
	v_and_b32_e32 v22, s14, v27
	;; [unrolled: 1-line block ×4, first 2 shown]
	v_cmp_le_i64_e64 s[2:3], v[24:25], v[22:23]
	s_and_b64 s[2:3], s[4:5], s[2:3]
	s_or_b64 s[0:1], s[0:1], s[2:3]
	v_cndmask_b32_e64 v33, v19, v30, s[0:1]
	v_cndmask_b32_e64 v22, v36, v37, s[0:1]
	v_add_u32_e32 v24, 1, v33
	v_add_u32_e32 v22, -1, v22
	v_min_u32_e32 v22, v24, v22
	v_lshlrev_b32_e32 v22, 3, v22
	ds_read_b64 v[22:23], v22
	v_cndmask_b32_e64 v19, v24, v19, s[0:1]
	v_cndmask_b32_e64 v30, v30, v24, s[0:1]
	v_cmp_gt_u32_e64 s[6:7], s11, v30
	v_cmp_le_u32_e64 s[2:3], s24, v19
	s_waitcnt lgkmcnt(0)
	v_cndmask_b32_e64 v31, v23, v26, s[0:1]
	v_cndmask_b32_e64 v39, v22, v27, s[0:1]
	;; [unrolled: 1-line block ×4, first 2 shown]
	v_and_b32_e32 v23, s15, v31
	v_and_b32_e32 v22, s14, v39
	;; [unrolled: 1-line block ×4, first 2 shown]
	v_cmp_le_i64_e64 s[4:5], v[24:25], v[22:23]
	s_and_b64 s[4:5], s[6:7], s[4:5]
	s_or_b64 s[2:3], s[2:3], s[4:5]
	v_cndmask_b32_e64 v34, v19, v30, s[2:3]
	v_cndmask_b32_e64 v22, v36, v37, s[2:3]
	v_add_u32_e32 v24, 1, v34
	v_add_u32_e32 v22, -1, v22
	v_min_u32_e32 v22, v24, v22
	v_lshlrev_b32_e32 v22, 3, v22
	ds_read_b64 v[22:23], v22
	v_cndmask_b32_e64 v46, v24, v19, s[2:3]
	v_cndmask_b32_e64 v30, v30, v24, s[2:3]
	v_cmp_gt_u32_e64 s[8:9], s11, v30
	v_cmp_le_u32_e64 s[4:5], s24, v46
	s_waitcnt lgkmcnt(0)
	v_cndmask_b32_e64 v42, v23, v31, s[2:3]
	v_cndmask_b32_e64 v43, v22, v39, s[2:3]
	;; [unrolled: 1-line block ×4, first 2 shown]
	v_and_b32_e32 v23, s15, v42
	v_and_b32_e32 v22, s14, v43
	;; [unrolled: 1-line block ×4, first 2 shown]
	v_cmp_le_i64_e64 s[6:7], v[24:25], v[22:23]
	s_and_b64 s[6:7], s[8:9], s[6:7]
	s_or_b64 s[4:5], s[4:5], s[6:7]
	v_cndmask_b32_e64 v35, v46, v30, s[4:5]
	v_cndmask_b32_e64 v19, v36, v37, s[4:5]
	v_add_u32_e32 v24, 1, v35
	v_add_u32_e32 v19, -1, v19
	v_min_u32_e32 v19, v24, v19
	v_lshlrev_b32_e32 v19, 3, v19
	ds_read_b64 v[22:23], v19
	v_cndmask_b32_e32 v19, v21, v18, vcc
	v_cndmask_b32_e32 v18, v20, v17, vcc
	v_cndmask_b32_e64 v30, v30, v24, s[4:5]
	v_cndmask_b32_e64 v46, v24, v46, s[4:5]
	s_waitcnt lgkmcnt(0)
	v_cndmask_b32_e64 v47, v23, v42, s[4:5]
	v_cndmask_b32_e64 v48, v22, v43, s[4:5]
	;; [unrolled: 1-line block ×4, first 2 shown]
	v_and_b32_e32 v21, s15, v47
	v_and_b32_e32 v20, s14, v48
	;; [unrolled: 1-line block ×4, first 2 shown]
	v_cmp_le_i64_e64 s[6:7], v[22:23], v[20:21]
	v_cmp_gt_u32_e64 s[8:9], s11, v30
	v_cmp_le_u32_e32 vcc, s24, v46
	s_and_b64 s[6:7], s[8:9], s[6:7]
	s_or_b64 vcc, vcc, s[6:7]
	v_cndmask_b32_e32 v17, v46, v30, vcc
	v_cndmask_b32_e32 v20, v36, v37, vcc
	v_add_u32_e32 v51, 1, v17
	v_add_u32_e32 v20, -1, v20
	v_min_u32_e32 v20, v51, v20
	v_lshlrev_b32_e32 v20, 3, v20
	ds_read_b64 v[24:25], v20
	v_cndmask_b32_e64 v23, v31, v40, s[2:3]
	v_cndmask_b32_e64 v21, v26, v28, s[0:1]
	;; [unrolled: 1-line block ×4, first 2 shown]
	s_waitcnt lgkmcnt(0)
	v_cndmask_b32_e32 v40, v25, v47, vcc
	v_cndmask_b32_e32 v52, v24, v48, vcc
	;; [unrolled: 1-line block ×4, first 2 shown]
	v_and_b32_e32 v25, s15, v40
	v_and_b32_e32 v24, s14, v52
	;; [unrolled: 1-line block ×4, first 2 shown]
	v_cndmask_b32_e32 v30, v30, v51, vcc
	v_cmp_le_i64_e64 s[2:3], v[26:27], v[24:25]
	v_cndmask_b32_e32 v31, v51, v46, vcc
	v_cmp_gt_u32_e64 s[6:7], s11, v30
	v_cmp_le_u32_e64 s[0:1], s24, v31
	s_and_b64 s[2:3], s[6:7], s[2:3]
	s_or_b64 s[0:1], s[0:1], s[2:3]
	v_cndmask_b32_e64 v39, v31, v30, s[0:1]
	v_cndmask_b32_e64 v24, v36, v37, s[0:1]
	v_add_u32_e32 v41, 1, v39
	v_add_u32_e32 v24, -1, v24
	v_min_u32_e32 v24, v41, v24
	v_lshlrev_b32_e32 v24, 3, v24
	ds_read_b64 v[28:29], v24
	v_cndmask_b32_e64 v25, v42, v44, s[4:5]
	v_cndmask_b32_e64 v24, v43, v45, s[4:5]
	v_cndmask_b32_e32 v27, v47, v49, vcc
	v_cndmask_b32_e64 v46, v41, v31, s[0:1]
	s_waitcnt lgkmcnt(0)
	v_cndmask_b32_e64 v42, v29, v40, s[0:1]
	v_cndmask_b32_e64 v43, v28, v52, s[0:1]
	;; [unrolled: 1-line block ×5, first 2 shown]
	v_and_b32_e32 v29, s15, v42
	v_and_b32_e32 v28, s14, v43
	;; [unrolled: 1-line block ×4, first 2 shown]
	v_cmp_le_i64_e64 s[2:3], v[30:31], v[28:29]
	v_cmp_gt_u32_e64 s[4:5], s11, v47
	v_cndmask_b32_e32 v26, v48, v50, vcc
	v_cmp_le_u32_e32 vcc, s24, v46
	s_and_b64 s[2:3], s[4:5], s[2:3]
	s_or_b64 vcc, vcc, s[2:3]
	v_cndmask_b32_e32 v41, v46, v47, vcc
	v_cndmask_b32_e32 v28, v36, v37, vcc
	v_add_u32_e32 v48, 1, v41
	v_add_u32_e32 v28, -1, v28
	v_min_u32_e32 v28, v48, v28
	v_lshlrev_b32_e32 v28, 3, v28
	ds_read_b64 v[36:37], v28
	v_cndmask_b32_e64 v29, v40, v53, s[0:1]
	v_cndmask_b32_e32 v31, v42, v44, vcc
	v_cndmask_b32_e32 v30, v43, v45, vcc
	v_cndmask_b32_e64 v28, v52, v54, s[0:1]
	s_waitcnt lgkmcnt(0)
	v_cndmask_b32_e32 v40, v37, v42, vcc
	v_cndmask_b32_e32 v49, v36, v43, vcc
	;; [unrolled: 1-line block ×4, first 2 shown]
	v_and_b32_e32 v37, s15, v40
	v_and_b32_e32 v36, s14, v49
	;; [unrolled: 1-line block ×4, first 2 shown]
	v_cndmask_b32_e32 v47, v47, v48, vcc
	v_cmp_le_i64_e64 s[0:1], v[42:43], v[36:37]
	v_cndmask_b32_e32 v46, v48, v46, vcc
	v_cmp_gt_u32_e64 s[2:3], s11, v47
	v_cmp_le_u32_e32 vcc, s24, v46
	s_and_b64 s[0:1], s[2:3], s[0:1]
	s_or_b64 vcc, vcc, s[0:1]
	v_cndmask_b32_e32 v42, v46, v47, vcc
	v_cndmask_b32_e32 v37, v40, v44, vcc
	;; [unrolled: 1-line block ×3, first 2 shown]
.LBB1079_49:
	s_or_b64 exec, exec, s[22:23]
	s_barrier
	ds_write2st64_b64 v38, v[1:2], v[3:4] offset1:2
	ds_write2st64_b64 v38, v[5:6], v[7:8] offset0:4 offset1:6
	ds_write2st64_b64 v38, v[9:10], v[11:12] offset0:8 offset1:10
	ds_write2st64_b64 v38, v[13:14], v[15:16] offset0:12 offset1:14
	v_lshlrev_b32_e32 v1, 3, v32
	v_lshlrev_b32_e32 v2, 3, v33
	;; [unrolled: 1-line block ×3, first 2 shown]
	s_waitcnt lgkmcnt(0)
	s_barrier
	v_lshlrev_b32_e32 v4, 3, v35
	ds_read_b64 v[9:10], v1
	ds_read_b64 v[13:14], v2
	;; [unrolled: 1-line block ×4, first 2 shown]
	v_lshlrev_b32_e32 v3, 3, v17
	v_lshrrev_b32_e32 v17, 2, v0
	v_lshlrev_b32_e32 v32, 3, v38
	v_lshl_add_u32 v33, v17, 3, v32
	v_and_b32_e32 v17, 24, v17
	v_or_b32_e32 v49, 0x80, v0
	v_add_u32_e32 v34, v17, v38
	v_lshrrev_b32_e32 v17, 2, v49
	v_and_b32_e32 v17, 56, v17
	v_or_b32_e32 v48, 0x100, v0
	v_add_u32_e32 v35, v17, v38
	v_lshrrev_b32_e32 v17, 2, v48
	v_lshlrev_b32_e32 v4, 3, v39
	v_lshlrev_b32_e32 v7, 3, v41
	;; [unrolled: 1-line block ×3, first 2 shown]
	v_and_b32_e32 v17, 0x58, v17
	v_or_b32_e32 v47, 0x180, v0
	ds_read_b64 v[11:12], v3
	ds_read_b64 v[15:16], v4
	ds_read_b64 v[3:4], v7
	ds_read_b64 v[7:8], v8
	s_waitcnt lgkmcnt(0)
	s_barrier
	s_barrier
	ds_write2_b64 v33, v[18:19], v[20:21] offset1:1
	ds_write2_b64 v33, v[22:23], v[24:25] offset0:2 offset1:3
	ds_write2_b64 v33, v[26:27], v[28:29] offset0:4 offset1:5
	;; [unrolled: 1-line block ×3, first 2 shown]
	v_add_u32_e32 v36, v17, v38
	v_lshrrev_b32_e32 v17, 2, v47
	v_and_b32_e32 v17, 0x78, v17
	v_or_b32_e32 v46, 0x200, v0
	v_add_u32_e32 v37, v17, v38
	v_lshrrev_b32_e32 v17, 2, v46
	v_and_b32_e32 v17, 0x98, v17
	v_or_b32_e32 v45, 0x280, v0
	v_add_u32_e32 v39, v17, v38
	v_lshrrev_b32_e32 v17, 2, v45
	v_and_b32_e32 v17, 0xb8, v17
	v_or_b32_e32 v44, 0x300, v0
	s_mov_b32 s11, 0
	v_add_u32_e32 v40, v17, v38
	v_lshrrev_b32_e32 v17, 2, v44
	s_lshl_b64 s[14:15], s[10:11], 3
	v_and_b32_e32 v17, 0xd8, v17
	v_or_b32_e32 v43, 0x380, v0
	s_add_u32 s0, s12, s14
	v_add_u32_e32 v41, v17, v38
	v_lshrrev_b32_e32 v17, 2, v43
	s_addc_u32 s1, s13, s15
	v_and_b32_e32 v17, 0xf8, v17
	v_add_u32_e32 v42, v17, v38
	v_mov_b32_e32 v18, s1
	v_add_co_u32_e32 v17, vcc, s0, v38
	v_addc_co_u32_e32 v18, vcc, 0, v18, vcc
	s_and_b64 vcc, exec, s[20:21]
	s_waitcnt lgkmcnt(0)
	s_cbranch_vccz .LBB1079_53
; %bb.50:
	s_barrier
	ds_read_b64 v[19:20], v34
	ds_read_b64 v[21:22], v35 offset:1024
	ds_read_b64 v[23:24], v36 offset:2048
	;; [unrolled: 1-line block ×7, first 2 shown]
	s_waitcnt lgkmcnt(7)
	global_store_dwordx2 v[17:18], v[19:20], off
	s_waitcnt lgkmcnt(6)
	global_store_dwordx2 v[17:18], v[21:22], off offset:1024
	s_waitcnt lgkmcnt(5)
	global_store_dwordx2 v[17:18], v[23:24], off offset:2048
	s_waitcnt lgkmcnt(4)
	global_store_dwordx2 v[17:18], v[25:26], off offset:3072
	v_add_co_u32_e32 v19, vcc, 0x1000, v17
	s_add_u32 s0, s16, s14
	v_addc_co_u32_e32 v20, vcc, 0, v18, vcc
	s_addc_u32 s1, s17, s15
	s_waitcnt lgkmcnt(3)
	global_store_dwordx2 v[19:20], v[27:28], off
	s_waitcnt lgkmcnt(2)
	global_store_dwordx2 v[19:20], v[29:30], off offset:1024
	s_waitcnt lgkmcnt(1)
	global_store_dwordx2 v[19:20], v[31:32], off offset:2048
	;; [unrolled: 2-line block ×3, first 2 shown]
	s_waitcnt vmcnt(0)
	s_barrier
	ds_write2_b64 v33, v[9:10], v[13:14] offset1:1
	ds_write2_b64 v33, v[1:2], v[5:6] offset0:2 offset1:3
	ds_write2_b64 v33, v[11:12], v[15:16] offset0:4 offset1:5
	;; [unrolled: 1-line block ×3, first 2 shown]
	s_waitcnt lgkmcnt(0)
	s_barrier
	ds_read_b64 v[21:22], v34
	ds_read_b64 v[23:24], v35 offset:1024
	ds_read_b64 v[25:26], v36 offset:2048
	;; [unrolled: 1-line block ×7, first 2 shown]
	v_mov_b32_e32 v52, s1
	v_add_co_u32_e32 v53, vcc, s0, v38
	v_addc_co_u32_e32 v52, vcc, 0, v52, vcc
	s_waitcnt lgkmcnt(7)
	global_store_dwordx2 v38, v[21:22], s[0:1]
	s_waitcnt lgkmcnt(6)
	global_store_dwordx2 v38, v[23:24], s[0:1] offset:1024
	s_waitcnt lgkmcnt(5)
	global_store_dwordx2 v38, v[25:26], s[0:1] offset:2048
	;; [unrolled: 2-line block ×3, first 2 shown]
	v_add_co_u32_e32 v21, vcc, 0x1000, v53
	v_addc_co_u32_e32 v22, vcc, 0, v52, vcc
	s_waitcnt lgkmcnt(3)
	global_store_dwordx2 v[21:22], v[29:30], off
	s_waitcnt lgkmcnt(2)
	global_store_dwordx2 v[21:22], v[31:32], off offset:1024
	s_waitcnt lgkmcnt(1)
	global_store_dwordx2 v[21:22], v[50:51], off offset:2048
	s_mov_b64 s[20:21], -1
	s_cbranch_execz .LBB1079_54
	s_branch .LBB1079_79
.LBB1079_51:
	s_or_b64 exec, exec, s[2:3]
	v_cmp_gt_u32_e32 vcc, s24, v34
	s_and_saveexec_b64 s[2:3], vcc
	s_cbranch_execz .LBB1079_26
.LBB1079_52:
	v_mov_b32_e32 v35, 0
	v_lshlrev_b64 v[3:4], 3, v[34:35]
	v_mov_b32_e32 v17, s23
	v_add_co_u32_e32 v33, vcc, s22, v3
	v_addc_co_u32_e32 v17, vcc, v17, v4, vcc
	v_subrev_co_u32_e32 v34, vcc, s11, v34
	v_lshlrev_b64 v[3:4], 3, v[34:35]
	v_mov_b32_e32 v34, s7
	v_add_co_u32_e64 v3, s[0:1], s6, v3
	v_addc_co_u32_e64 v4, s[0:1], v34, v4, s[0:1]
	v_cndmask_b32_e32 v4, v4, v17, vcc
	v_cndmask_b32_e32 v3, v3, v33, vcc
	global_load_dwordx2 v[3:4], v[3:4], off
	s_or_b64 exec, exec, s[2:3]
	v_cmp_gt_u32_e32 vcc, s24, v32
	s_and_saveexec_b64 s[2:3], vcc
	s_cbranch_execnz .LBB1079_27
	s_branch .LBB1079_28
.LBB1079_53:
	s_mov_b64 s[20:21], 0
                                        ; implicit-def: $vgpr19_vgpr20
.LBB1079_54:
	s_waitcnt vmcnt(0) lgkmcnt(0)
	s_barrier
	ds_read_b64 v[31:32], v35 offset:1024
	ds_read_b64 v[29:30], v36 offset:2048
	;; [unrolled: 1-line block ×7, first 2 shown]
	s_sub_i32 s20, s18, s10
	v_cmp_gt_u32_e64 s[0:1], s20, v0
	s_and_saveexec_b64 s[2:3], s[0:1]
	s_cbranch_execz .LBB1079_62
; %bb.55:
	ds_read_b64 v[50:51], v34
	s_waitcnt lgkmcnt(0)
	global_store_dwordx2 v[17:18], v[50:51], off
	s_or_b64 exec, exec, s[2:3]
	v_cmp_gt_u32_e64 s[2:3], s20, v49
	s_and_saveexec_b64 s[4:5], s[2:3]
	s_cbranch_execnz .LBB1079_63
.LBB1079_56:
	s_or_b64 exec, exec, s[4:5]
	v_cmp_gt_u32_e64 s[4:5], s20, v48
	s_and_saveexec_b64 s[6:7], s[4:5]
	s_cbranch_execz .LBB1079_64
.LBB1079_57:
	s_waitcnt lgkmcnt(5)
	global_store_dwordx2 v[17:18], v[29:30], off offset:2048
	s_or_b64 exec, exec, s[6:7]
	v_cmp_gt_u32_e64 s[6:7], s20, v47
	s_and_saveexec_b64 s[8:9], s[6:7]
	s_cbranch_execnz .LBB1079_65
.LBB1079_58:
	s_or_b64 exec, exec, s[8:9]
	v_cmp_gt_u32_e64 s[8:9], s20, v46
	s_and_saveexec_b64 s[10:11], s[8:9]
	s_cbranch_execz .LBB1079_66
.LBB1079_59:
	s_waitcnt lgkmcnt(4)
	v_add_co_u32_e32 v27, vcc, 0x1000, v17
	v_addc_co_u32_e32 v28, vcc, 0, v18, vcc
	s_waitcnt lgkmcnt(3)
	global_store_dwordx2 v[27:28], v[25:26], off
	s_or_b64 exec, exec, s[10:11]
	v_cmp_gt_u32_e64 s[10:11], s20, v45
	s_and_saveexec_b64 s[12:13], s[10:11]
	s_cbranch_execnz .LBB1079_67
.LBB1079_60:
	s_or_b64 exec, exec, s[12:13]
	v_cmp_gt_u32_e64 s[12:13], s20, v44
	s_and_saveexec_b64 s[18:19], s[12:13]
	s_cbranch_execz .LBB1079_68
.LBB1079_61:
	s_waitcnt lgkmcnt(2)
	v_add_co_u32_e32 v23, vcc, 0x1000, v17
	v_addc_co_u32_e32 v24, vcc, 0, v18, vcc
	s_waitcnt lgkmcnt(1)
	global_store_dwordx2 v[23:24], v[21:22], off offset:2048
	s_or_b64 exec, exec, s[18:19]
	v_cmp_gt_u32_e64 s[20:21], s20, v43
	s_and_saveexec_b64 s[18:19], s[20:21]
	s_cbranch_execnz .LBB1079_69
	s_branch .LBB1079_70
.LBB1079_62:
	s_or_b64 exec, exec, s[2:3]
	v_cmp_gt_u32_e64 s[2:3], s20, v49
	s_and_saveexec_b64 s[4:5], s[2:3]
	s_cbranch_execz .LBB1079_56
.LBB1079_63:
	s_waitcnt lgkmcnt(6)
	global_store_dwordx2 v[17:18], v[31:32], off offset:1024
	s_or_b64 exec, exec, s[4:5]
	v_cmp_gt_u32_e64 s[4:5], s20, v48
	s_and_saveexec_b64 s[6:7], s[4:5]
	s_cbranch_execnz .LBB1079_57
.LBB1079_64:
	s_or_b64 exec, exec, s[6:7]
	v_cmp_gt_u32_e64 s[6:7], s20, v47
	s_and_saveexec_b64 s[8:9], s[6:7]
	s_cbranch_execz .LBB1079_58
.LBB1079_65:
	s_waitcnt lgkmcnt(4)
	global_store_dwordx2 v[17:18], v[27:28], off offset:3072
	s_or_b64 exec, exec, s[8:9]
	v_cmp_gt_u32_e64 s[8:9], s20, v46
	s_and_saveexec_b64 s[10:11], s[8:9]
	s_cbranch_execnz .LBB1079_59
.LBB1079_66:
	s_or_b64 exec, exec, s[10:11]
	v_cmp_gt_u32_e64 s[10:11], s20, v45
	s_and_saveexec_b64 s[12:13], s[10:11]
	s_cbranch_execz .LBB1079_60
.LBB1079_67:
	s_waitcnt lgkmcnt(3)
	v_add_co_u32_e32 v25, vcc, 0x1000, v17
	v_addc_co_u32_e32 v26, vcc, 0, v18, vcc
	s_waitcnt lgkmcnt(2)
	global_store_dwordx2 v[25:26], v[23:24], off offset:1024
	s_or_b64 exec, exec, s[12:13]
	v_cmp_gt_u32_e64 s[12:13], s20, v44
	s_and_saveexec_b64 s[18:19], s[12:13]
	s_cbranch_execnz .LBB1079_61
.LBB1079_68:
	s_or_b64 exec, exec, s[18:19]
	v_cmp_gt_u32_e64 s[20:21], s20, v43
	s_and_saveexec_b64 s[18:19], s[20:21]
	s_cbranch_execz .LBB1079_70
.LBB1079_69:
	v_add_co_u32_e32 v17, vcc, 0x1000, v17
	v_addc_co_u32_e32 v18, vcc, 0, v18, vcc
	s_waitcnt lgkmcnt(0)
	global_store_dwordx2 v[17:18], v[19:20], off offset:3072
.LBB1079_70:
	s_or_b64 exec, exec, s[18:19]
	s_waitcnt vmcnt(0) lgkmcnt(0)
	s_barrier
	ds_write2_b64 v33, v[9:10], v[13:14] offset1:1
	ds_write2_b64 v33, v[1:2], v[5:6] offset0:2 offset1:3
	ds_write2_b64 v33, v[11:12], v[15:16] offset0:4 offset1:5
	;; [unrolled: 1-line block ×3, first 2 shown]
	s_waitcnt lgkmcnt(0)
	s_barrier
	ds_read_b64 v[12:13], v35 offset:1024
	ds_read_b64 v[10:11], v36 offset:2048
	;; [unrolled: 1-line block ×7, first 2 shown]
	s_add_u32 s18, s16, s14
	s_addc_u32 s19, s17, s15
	v_mov_b32_e32 v3, s19
	v_add_co_u32_e32 v2, vcc, s18, v38
	v_addc_co_u32_e32 v3, vcc, 0, v3, vcc
	s_and_saveexec_b64 s[18:19], s[0:1]
	s_cbranch_execz .LBB1079_82
; %bb.71:
	ds_read_b64 v[14:15], v34
	s_waitcnt lgkmcnt(0)
	global_store_dwordx2 v[2:3], v[14:15], off
	s_or_b64 exec, exec, s[18:19]
	s_and_saveexec_b64 s[0:1], s[2:3]
	s_cbranch_execnz .LBB1079_83
.LBB1079_72:
	s_or_b64 exec, exec, s[0:1]
	s_and_saveexec_b64 s[0:1], s[4:5]
	s_cbranch_execz .LBB1079_84
.LBB1079_73:
	s_waitcnt lgkmcnt(5)
	global_store_dwordx2 v[2:3], v[10:11], off offset:2048
	s_or_b64 exec, exec, s[0:1]
	s_and_saveexec_b64 s[0:1], s[6:7]
	s_cbranch_execnz .LBB1079_85
.LBB1079_74:
	s_or_b64 exec, exec, s[0:1]
	s_and_saveexec_b64 s[0:1], s[8:9]
	s_cbranch_execz .LBB1079_86
.LBB1079_75:
	s_waitcnt lgkmcnt(4)
	v_add_co_u32_e32 v8, vcc, 0x1000, v2
	v_addc_co_u32_e32 v9, vcc, 0, v3, vcc
	s_waitcnt lgkmcnt(3)
	global_store_dwordx2 v[8:9], v[6:7], off
	s_or_b64 exec, exec, s[0:1]
	s_and_saveexec_b64 s[0:1], s[10:11]
	s_cbranch_execnz .LBB1079_87
.LBB1079_76:
	s_or_b64 exec, exec, s[0:1]
	s_and_saveexec_b64 s[0:1], s[12:13]
	s_cbranch_execz .LBB1079_78
.LBB1079_77:
	v_add_co_u32_e32 v2, vcc, 0x1000, v2
	v_addc_co_u32_e32 v3, vcc, 0, v3, vcc
	s_waitcnt lgkmcnt(1)
	global_store_dwordx2 v[2:3], v[0:1], off offset:2048
.LBB1079_78:
	s_or_b64 exec, exec, s[0:1]
.LBB1079_79:
	s_and_saveexec_b64 s[0:1], s[20:21]
	s_cbranch_execz .LBB1079_81
; %bb.80:
	s_add_u32 s0, s16, s14
	s_addc_u32 s1, s17, s15
	s_waitcnt lgkmcnt(1)
	v_mov_b32_e32 v0, s1
	v_add_co_u32_e32 v1, vcc, s0, v38
	v_addc_co_u32_e32 v2, vcc, 0, v0, vcc
	v_add_co_u32_e32 v0, vcc, 0x1000, v1
	v_addc_co_u32_e32 v1, vcc, 0, v2, vcc
	s_waitcnt lgkmcnt(0)
	global_store_dwordx2 v[0:1], v[19:20], off offset:3072
.LBB1079_81:
	s_endpgm
.LBB1079_82:
	s_or_b64 exec, exec, s[18:19]
	s_and_saveexec_b64 s[0:1], s[2:3]
	s_cbranch_execz .LBB1079_72
.LBB1079_83:
	s_waitcnt lgkmcnt(6)
	global_store_dwordx2 v[2:3], v[12:13], off offset:1024
	s_or_b64 exec, exec, s[0:1]
	s_and_saveexec_b64 s[0:1], s[4:5]
	s_cbranch_execnz .LBB1079_73
.LBB1079_84:
	s_or_b64 exec, exec, s[0:1]
	s_and_saveexec_b64 s[0:1], s[6:7]
	s_cbranch_execz .LBB1079_74
.LBB1079_85:
	s_waitcnt lgkmcnt(4)
	global_store_dwordx2 v[2:3], v[8:9], off offset:3072
	s_or_b64 exec, exec, s[0:1]
	s_and_saveexec_b64 s[0:1], s[8:9]
	s_cbranch_execnz .LBB1079_75
.LBB1079_86:
	s_or_b64 exec, exec, s[0:1]
	s_and_saveexec_b64 s[0:1], s[10:11]
	s_cbranch_execz .LBB1079_76
.LBB1079_87:
	s_waitcnt lgkmcnt(3)
	v_add_co_u32_e32 v6, vcc, 0x1000, v2
	v_addc_co_u32_e32 v7, vcc, 0, v3, vcc
	s_waitcnt lgkmcnt(2)
	global_store_dwordx2 v[6:7], v[4:5], off offset:1024
	s_or_b64 exec, exec, s[0:1]
	s_and_saveexec_b64 s[0:1], s[12:13]
	s_cbranch_execnz .LBB1079_77
	s_branch .LBB1079_78
	.section	.rodata,"a",@progbits
	.p2align	6, 0x0
	.amdhsa_kernel _ZN7rocprim17ROCPRIM_400000_NS6detail17trampoline_kernelINS0_14default_configENS1_38merge_sort_block_merge_config_selectorIllEEZZNS1_27merge_sort_block_merge_implIS3_PlN6thrust23THRUST_200600_302600_NS10device_ptrIlEEjNS1_19radix_merge_compareILb0ELb1ElNS0_19identity_decomposerEEEEE10hipError_tT0_T1_T2_jT3_P12ihipStream_tbPNSt15iterator_traitsISG_E10value_typeEPNSM_ISH_E10value_typeEPSI_NS1_7vsmem_tEENKUlT_SG_SH_SI_E_clIS7_S7_S7_SB_EESF_SV_SG_SH_SI_EUlSV_E0_NS1_11comp_targetILNS1_3genE2ELNS1_11target_archE906ELNS1_3gpuE6ELNS1_3repE0EEENS1_38merge_mergepath_config_static_selectorELNS0_4arch9wavefront6targetE1EEEvSH_
		.amdhsa_group_segment_fixed_size 8448
		.amdhsa_private_segment_fixed_size 0
		.amdhsa_kernarg_size 328
		.amdhsa_user_sgpr_count 6
		.amdhsa_user_sgpr_private_segment_buffer 1
		.amdhsa_user_sgpr_dispatch_ptr 0
		.amdhsa_user_sgpr_queue_ptr 0
		.amdhsa_user_sgpr_kernarg_segment_ptr 1
		.amdhsa_user_sgpr_dispatch_id 0
		.amdhsa_user_sgpr_flat_scratch_init 0
		.amdhsa_user_sgpr_private_segment_size 0
		.amdhsa_uses_dynamic_stack 0
		.amdhsa_system_sgpr_private_segment_wavefront_offset 0
		.amdhsa_system_sgpr_workgroup_id_x 1
		.amdhsa_system_sgpr_workgroup_id_y 1
		.amdhsa_system_sgpr_workgroup_id_z 1
		.amdhsa_system_sgpr_workgroup_info 0
		.amdhsa_system_vgpr_workitem_id 0
		.amdhsa_next_free_vgpr 55
		.amdhsa_next_free_sgpr 98
		.amdhsa_reserve_vcc 1
		.amdhsa_reserve_flat_scratch 0
		.amdhsa_float_round_mode_32 0
		.amdhsa_float_round_mode_16_64 0
		.amdhsa_float_denorm_mode_32 3
		.amdhsa_float_denorm_mode_16_64 3
		.amdhsa_dx10_clamp 1
		.amdhsa_ieee_mode 1
		.amdhsa_fp16_overflow 0
		.amdhsa_exception_fp_ieee_invalid_op 0
		.amdhsa_exception_fp_denorm_src 0
		.amdhsa_exception_fp_ieee_div_zero 0
		.amdhsa_exception_fp_ieee_overflow 0
		.amdhsa_exception_fp_ieee_underflow 0
		.amdhsa_exception_fp_ieee_inexact 0
		.amdhsa_exception_int_div_zero 0
	.end_amdhsa_kernel
	.section	.text._ZN7rocprim17ROCPRIM_400000_NS6detail17trampoline_kernelINS0_14default_configENS1_38merge_sort_block_merge_config_selectorIllEEZZNS1_27merge_sort_block_merge_implIS3_PlN6thrust23THRUST_200600_302600_NS10device_ptrIlEEjNS1_19radix_merge_compareILb0ELb1ElNS0_19identity_decomposerEEEEE10hipError_tT0_T1_T2_jT3_P12ihipStream_tbPNSt15iterator_traitsISG_E10value_typeEPNSM_ISH_E10value_typeEPSI_NS1_7vsmem_tEENKUlT_SG_SH_SI_E_clIS7_S7_S7_SB_EESF_SV_SG_SH_SI_EUlSV_E0_NS1_11comp_targetILNS1_3genE2ELNS1_11target_archE906ELNS1_3gpuE6ELNS1_3repE0EEENS1_38merge_mergepath_config_static_selectorELNS0_4arch9wavefront6targetE1EEEvSH_,"axG",@progbits,_ZN7rocprim17ROCPRIM_400000_NS6detail17trampoline_kernelINS0_14default_configENS1_38merge_sort_block_merge_config_selectorIllEEZZNS1_27merge_sort_block_merge_implIS3_PlN6thrust23THRUST_200600_302600_NS10device_ptrIlEEjNS1_19radix_merge_compareILb0ELb1ElNS0_19identity_decomposerEEEEE10hipError_tT0_T1_T2_jT3_P12ihipStream_tbPNSt15iterator_traitsISG_E10value_typeEPNSM_ISH_E10value_typeEPSI_NS1_7vsmem_tEENKUlT_SG_SH_SI_E_clIS7_S7_S7_SB_EESF_SV_SG_SH_SI_EUlSV_E0_NS1_11comp_targetILNS1_3genE2ELNS1_11target_archE906ELNS1_3gpuE6ELNS1_3repE0EEENS1_38merge_mergepath_config_static_selectorELNS0_4arch9wavefront6targetE1EEEvSH_,comdat
.Lfunc_end1079:
	.size	_ZN7rocprim17ROCPRIM_400000_NS6detail17trampoline_kernelINS0_14default_configENS1_38merge_sort_block_merge_config_selectorIllEEZZNS1_27merge_sort_block_merge_implIS3_PlN6thrust23THRUST_200600_302600_NS10device_ptrIlEEjNS1_19radix_merge_compareILb0ELb1ElNS0_19identity_decomposerEEEEE10hipError_tT0_T1_T2_jT3_P12ihipStream_tbPNSt15iterator_traitsISG_E10value_typeEPNSM_ISH_E10value_typeEPSI_NS1_7vsmem_tEENKUlT_SG_SH_SI_E_clIS7_S7_S7_SB_EESF_SV_SG_SH_SI_EUlSV_E0_NS1_11comp_targetILNS1_3genE2ELNS1_11target_archE906ELNS1_3gpuE6ELNS1_3repE0EEENS1_38merge_mergepath_config_static_selectorELNS0_4arch9wavefront6targetE1EEEvSH_, .Lfunc_end1079-_ZN7rocprim17ROCPRIM_400000_NS6detail17trampoline_kernelINS0_14default_configENS1_38merge_sort_block_merge_config_selectorIllEEZZNS1_27merge_sort_block_merge_implIS3_PlN6thrust23THRUST_200600_302600_NS10device_ptrIlEEjNS1_19radix_merge_compareILb0ELb1ElNS0_19identity_decomposerEEEEE10hipError_tT0_T1_T2_jT3_P12ihipStream_tbPNSt15iterator_traitsISG_E10value_typeEPNSM_ISH_E10value_typeEPSI_NS1_7vsmem_tEENKUlT_SG_SH_SI_E_clIS7_S7_S7_SB_EESF_SV_SG_SH_SI_EUlSV_E0_NS1_11comp_targetILNS1_3genE2ELNS1_11target_archE906ELNS1_3gpuE6ELNS1_3repE0EEENS1_38merge_mergepath_config_static_selectorELNS0_4arch9wavefront6targetE1EEEvSH_
                                        ; -- End function
	.set _ZN7rocprim17ROCPRIM_400000_NS6detail17trampoline_kernelINS0_14default_configENS1_38merge_sort_block_merge_config_selectorIllEEZZNS1_27merge_sort_block_merge_implIS3_PlN6thrust23THRUST_200600_302600_NS10device_ptrIlEEjNS1_19radix_merge_compareILb0ELb1ElNS0_19identity_decomposerEEEEE10hipError_tT0_T1_T2_jT3_P12ihipStream_tbPNSt15iterator_traitsISG_E10value_typeEPNSM_ISH_E10value_typeEPSI_NS1_7vsmem_tEENKUlT_SG_SH_SI_E_clIS7_S7_S7_SB_EESF_SV_SG_SH_SI_EUlSV_E0_NS1_11comp_targetILNS1_3genE2ELNS1_11target_archE906ELNS1_3gpuE6ELNS1_3repE0EEENS1_38merge_mergepath_config_static_selectorELNS0_4arch9wavefront6targetE1EEEvSH_.num_vgpr, 55
	.set _ZN7rocprim17ROCPRIM_400000_NS6detail17trampoline_kernelINS0_14default_configENS1_38merge_sort_block_merge_config_selectorIllEEZZNS1_27merge_sort_block_merge_implIS3_PlN6thrust23THRUST_200600_302600_NS10device_ptrIlEEjNS1_19radix_merge_compareILb0ELb1ElNS0_19identity_decomposerEEEEE10hipError_tT0_T1_T2_jT3_P12ihipStream_tbPNSt15iterator_traitsISG_E10value_typeEPNSM_ISH_E10value_typeEPSI_NS1_7vsmem_tEENKUlT_SG_SH_SI_E_clIS7_S7_S7_SB_EESF_SV_SG_SH_SI_EUlSV_E0_NS1_11comp_targetILNS1_3genE2ELNS1_11target_archE906ELNS1_3gpuE6ELNS1_3repE0EEENS1_38merge_mergepath_config_static_selectorELNS0_4arch9wavefront6targetE1EEEvSH_.num_agpr, 0
	.set _ZN7rocprim17ROCPRIM_400000_NS6detail17trampoline_kernelINS0_14default_configENS1_38merge_sort_block_merge_config_selectorIllEEZZNS1_27merge_sort_block_merge_implIS3_PlN6thrust23THRUST_200600_302600_NS10device_ptrIlEEjNS1_19radix_merge_compareILb0ELb1ElNS0_19identity_decomposerEEEEE10hipError_tT0_T1_T2_jT3_P12ihipStream_tbPNSt15iterator_traitsISG_E10value_typeEPNSM_ISH_E10value_typeEPSI_NS1_7vsmem_tEENKUlT_SG_SH_SI_E_clIS7_S7_S7_SB_EESF_SV_SG_SH_SI_EUlSV_E0_NS1_11comp_targetILNS1_3genE2ELNS1_11target_archE906ELNS1_3gpuE6ELNS1_3repE0EEENS1_38merge_mergepath_config_static_selectorELNS0_4arch9wavefront6targetE1EEEvSH_.numbered_sgpr, 34
	.set _ZN7rocprim17ROCPRIM_400000_NS6detail17trampoline_kernelINS0_14default_configENS1_38merge_sort_block_merge_config_selectorIllEEZZNS1_27merge_sort_block_merge_implIS3_PlN6thrust23THRUST_200600_302600_NS10device_ptrIlEEjNS1_19radix_merge_compareILb0ELb1ElNS0_19identity_decomposerEEEEE10hipError_tT0_T1_T2_jT3_P12ihipStream_tbPNSt15iterator_traitsISG_E10value_typeEPNSM_ISH_E10value_typeEPSI_NS1_7vsmem_tEENKUlT_SG_SH_SI_E_clIS7_S7_S7_SB_EESF_SV_SG_SH_SI_EUlSV_E0_NS1_11comp_targetILNS1_3genE2ELNS1_11target_archE906ELNS1_3gpuE6ELNS1_3repE0EEENS1_38merge_mergepath_config_static_selectorELNS0_4arch9wavefront6targetE1EEEvSH_.num_named_barrier, 0
	.set _ZN7rocprim17ROCPRIM_400000_NS6detail17trampoline_kernelINS0_14default_configENS1_38merge_sort_block_merge_config_selectorIllEEZZNS1_27merge_sort_block_merge_implIS3_PlN6thrust23THRUST_200600_302600_NS10device_ptrIlEEjNS1_19radix_merge_compareILb0ELb1ElNS0_19identity_decomposerEEEEE10hipError_tT0_T1_T2_jT3_P12ihipStream_tbPNSt15iterator_traitsISG_E10value_typeEPNSM_ISH_E10value_typeEPSI_NS1_7vsmem_tEENKUlT_SG_SH_SI_E_clIS7_S7_S7_SB_EESF_SV_SG_SH_SI_EUlSV_E0_NS1_11comp_targetILNS1_3genE2ELNS1_11target_archE906ELNS1_3gpuE6ELNS1_3repE0EEENS1_38merge_mergepath_config_static_selectorELNS0_4arch9wavefront6targetE1EEEvSH_.private_seg_size, 0
	.set _ZN7rocprim17ROCPRIM_400000_NS6detail17trampoline_kernelINS0_14default_configENS1_38merge_sort_block_merge_config_selectorIllEEZZNS1_27merge_sort_block_merge_implIS3_PlN6thrust23THRUST_200600_302600_NS10device_ptrIlEEjNS1_19radix_merge_compareILb0ELb1ElNS0_19identity_decomposerEEEEE10hipError_tT0_T1_T2_jT3_P12ihipStream_tbPNSt15iterator_traitsISG_E10value_typeEPNSM_ISH_E10value_typeEPSI_NS1_7vsmem_tEENKUlT_SG_SH_SI_E_clIS7_S7_S7_SB_EESF_SV_SG_SH_SI_EUlSV_E0_NS1_11comp_targetILNS1_3genE2ELNS1_11target_archE906ELNS1_3gpuE6ELNS1_3repE0EEENS1_38merge_mergepath_config_static_selectorELNS0_4arch9wavefront6targetE1EEEvSH_.uses_vcc, 1
	.set _ZN7rocprim17ROCPRIM_400000_NS6detail17trampoline_kernelINS0_14default_configENS1_38merge_sort_block_merge_config_selectorIllEEZZNS1_27merge_sort_block_merge_implIS3_PlN6thrust23THRUST_200600_302600_NS10device_ptrIlEEjNS1_19radix_merge_compareILb0ELb1ElNS0_19identity_decomposerEEEEE10hipError_tT0_T1_T2_jT3_P12ihipStream_tbPNSt15iterator_traitsISG_E10value_typeEPNSM_ISH_E10value_typeEPSI_NS1_7vsmem_tEENKUlT_SG_SH_SI_E_clIS7_S7_S7_SB_EESF_SV_SG_SH_SI_EUlSV_E0_NS1_11comp_targetILNS1_3genE2ELNS1_11target_archE906ELNS1_3gpuE6ELNS1_3repE0EEENS1_38merge_mergepath_config_static_selectorELNS0_4arch9wavefront6targetE1EEEvSH_.uses_flat_scratch, 0
	.set _ZN7rocprim17ROCPRIM_400000_NS6detail17trampoline_kernelINS0_14default_configENS1_38merge_sort_block_merge_config_selectorIllEEZZNS1_27merge_sort_block_merge_implIS3_PlN6thrust23THRUST_200600_302600_NS10device_ptrIlEEjNS1_19radix_merge_compareILb0ELb1ElNS0_19identity_decomposerEEEEE10hipError_tT0_T1_T2_jT3_P12ihipStream_tbPNSt15iterator_traitsISG_E10value_typeEPNSM_ISH_E10value_typeEPSI_NS1_7vsmem_tEENKUlT_SG_SH_SI_E_clIS7_S7_S7_SB_EESF_SV_SG_SH_SI_EUlSV_E0_NS1_11comp_targetILNS1_3genE2ELNS1_11target_archE906ELNS1_3gpuE6ELNS1_3repE0EEENS1_38merge_mergepath_config_static_selectorELNS0_4arch9wavefront6targetE1EEEvSH_.has_dyn_sized_stack, 0
	.set _ZN7rocprim17ROCPRIM_400000_NS6detail17trampoline_kernelINS0_14default_configENS1_38merge_sort_block_merge_config_selectorIllEEZZNS1_27merge_sort_block_merge_implIS3_PlN6thrust23THRUST_200600_302600_NS10device_ptrIlEEjNS1_19radix_merge_compareILb0ELb1ElNS0_19identity_decomposerEEEEE10hipError_tT0_T1_T2_jT3_P12ihipStream_tbPNSt15iterator_traitsISG_E10value_typeEPNSM_ISH_E10value_typeEPSI_NS1_7vsmem_tEENKUlT_SG_SH_SI_E_clIS7_S7_S7_SB_EESF_SV_SG_SH_SI_EUlSV_E0_NS1_11comp_targetILNS1_3genE2ELNS1_11target_archE906ELNS1_3gpuE6ELNS1_3repE0EEENS1_38merge_mergepath_config_static_selectorELNS0_4arch9wavefront6targetE1EEEvSH_.has_recursion, 0
	.set _ZN7rocprim17ROCPRIM_400000_NS6detail17trampoline_kernelINS0_14default_configENS1_38merge_sort_block_merge_config_selectorIllEEZZNS1_27merge_sort_block_merge_implIS3_PlN6thrust23THRUST_200600_302600_NS10device_ptrIlEEjNS1_19radix_merge_compareILb0ELb1ElNS0_19identity_decomposerEEEEE10hipError_tT0_T1_T2_jT3_P12ihipStream_tbPNSt15iterator_traitsISG_E10value_typeEPNSM_ISH_E10value_typeEPSI_NS1_7vsmem_tEENKUlT_SG_SH_SI_E_clIS7_S7_S7_SB_EESF_SV_SG_SH_SI_EUlSV_E0_NS1_11comp_targetILNS1_3genE2ELNS1_11target_archE906ELNS1_3gpuE6ELNS1_3repE0EEENS1_38merge_mergepath_config_static_selectorELNS0_4arch9wavefront6targetE1EEEvSH_.has_indirect_call, 0
	.section	.AMDGPU.csdata,"",@progbits
; Kernel info:
; codeLenInByte = 6452
; TotalNumSgprs: 38
; NumVgprs: 55
; ScratchSize: 0
; MemoryBound: 0
; FloatMode: 240
; IeeeMode: 1
; LDSByteSize: 8448 bytes/workgroup (compile time only)
; SGPRBlocks: 12
; VGPRBlocks: 13
; NumSGPRsForWavesPerEU: 102
; NumVGPRsForWavesPerEU: 55
; Occupancy: 4
; WaveLimiterHint : 1
; COMPUTE_PGM_RSRC2:SCRATCH_EN: 0
; COMPUTE_PGM_RSRC2:USER_SGPR: 6
; COMPUTE_PGM_RSRC2:TRAP_HANDLER: 0
; COMPUTE_PGM_RSRC2:TGID_X_EN: 1
; COMPUTE_PGM_RSRC2:TGID_Y_EN: 1
; COMPUTE_PGM_RSRC2:TGID_Z_EN: 1
; COMPUTE_PGM_RSRC2:TIDIG_COMP_CNT: 0
	.section	.text._ZN7rocprim17ROCPRIM_400000_NS6detail17trampoline_kernelINS0_14default_configENS1_38merge_sort_block_merge_config_selectorIllEEZZNS1_27merge_sort_block_merge_implIS3_PlN6thrust23THRUST_200600_302600_NS10device_ptrIlEEjNS1_19radix_merge_compareILb0ELb1ElNS0_19identity_decomposerEEEEE10hipError_tT0_T1_T2_jT3_P12ihipStream_tbPNSt15iterator_traitsISG_E10value_typeEPNSM_ISH_E10value_typeEPSI_NS1_7vsmem_tEENKUlT_SG_SH_SI_E_clIS7_S7_S7_SB_EESF_SV_SG_SH_SI_EUlSV_E0_NS1_11comp_targetILNS1_3genE9ELNS1_11target_archE1100ELNS1_3gpuE3ELNS1_3repE0EEENS1_38merge_mergepath_config_static_selectorELNS0_4arch9wavefront6targetE1EEEvSH_,"axG",@progbits,_ZN7rocprim17ROCPRIM_400000_NS6detail17trampoline_kernelINS0_14default_configENS1_38merge_sort_block_merge_config_selectorIllEEZZNS1_27merge_sort_block_merge_implIS3_PlN6thrust23THRUST_200600_302600_NS10device_ptrIlEEjNS1_19radix_merge_compareILb0ELb1ElNS0_19identity_decomposerEEEEE10hipError_tT0_T1_T2_jT3_P12ihipStream_tbPNSt15iterator_traitsISG_E10value_typeEPNSM_ISH_E10value_typeEPSI_NS1_7vsmem_tEENKUlT_SG_SH_SI_E_clIS7_S7_S7_SB_EESF_SV_SG_SH_SI_EUlSV_E0_NS1_11comp_targetILNS1_3genE9ELNS1_11target_archE1100ELNS1_3gpuE3ELNS1_3repE0EEENS1_38merge_mergepath_config_static_selectorELNS0_4arch9wavefront6targetE1EEEvSH_,comdat
	.protected	_ZN7rocprim17ROCPRIM_400000_NS6detail17trampoline_kernelINS0_14default_configENS1_38merge_sort_block_merge_config_selectorIllEEZZNS1_27merge_sort_block_merge_implIS3_PlN6thrust23THRUST_200600_302600_NS10device_ptrIlEEjNS1_19radix_merge_compareILb0ELb1ElNS0_19identity_decomposerEEEEE10hipError_tT0_T1_T2_jT3_P12ihipStream_tbPNSt15iterator_traitsISG_E10value_typeEPNSM_ISH_E10value_typeEPSI_NS1_7vsmem_tEENKUlT_SG_SH_SI_E_clIS7_S7_S7_SB_EESF_SV_SG_SH_SI_EUlSV_E0_NS1_11comp_targetILNS1_3genE9ELNS1_11target_archE1100ELNS1_3gpuE3ELNS1_3repE0EEENS1_38merge_mergepath_config_static_selectorELNS0_4arch9wavefront6targetE1EEEvSH_ ; -- Begin function _ZN7rocprim17ROCPRIM_400000_NS6detail17trampoline_kernelINS0_14default_configENS1_38merge_sort_block_merge_config_selectorIllEEZZNS1_27merge_sort_block_merge_implIS3_PlN6thrust23THRUST_200600_302600_NS10device_ptrIlEEjNS1_19radix_merge_compareILb0ELb1ElNS0_19identity_decomposerEEEEE10hipError_tT0_T1_T2_jT3_P12ihipStream_tbPNSt15iterator_traitsISG_E10value_typeEPNSM_ISH_E10value_typeEPSI_NS1_7vsmem_tEENKUlT_SG_SH_SI_E_clIS7_S7_S7_SB_EESF_SV_SG_SH_SI_EUlSV_E0_NS1_11comp_targetILNS1_3genE9ELNS1_11target_archE1100ELNS1_3gpuE3ELNS1_3repE0EEENS1_38merge_mergepath_config_static_selectorELNS0_4arch9wavefront6targetE1EEEvSH_
	.globl	_ZN7rocprim17ROCPRIM_400000_NS6detail17trampoline_kernelINS0_14default_configENS1_38merge_sort_block_merge_config_selectorIllEEZZNS1_27merge_sort_block_merge_implIS3_PlN6thrust23THRUST_200600_302600_NS10device_ptrIlEEjNS1_19radix_merge_compareILb0ELb1ElNS0_19identity_decomposerEEEEE10hipError_tT0_T1_T2_jT3_P12ihipStream_tbPNSt15iterator_traitsISG_E10value_typeEPNSM_ISH_E10value_typeEPSI_NS1_7vsmem_tEENKUlT_SG_SH_SI_E_clIS7_S7_S7_SB_EESF_SV_SG_SH_SI_EUlSV_E0_NS1_11comp_targetILNS1_3genE9ELNS1_11target_archE1100ELNS1_3gpuE3ELNS1_3repE0EEENS1_38merge_mergepath_config_static_selectorELNS0_4arch9wavefront6targetE1EEEvSH_
	.p2align	8
	.type	_ZN7rocprim17ROCPRIM_400000_NS6detail17trampoline_kernelINS0_14default_configENS1_38merge_sort_block_merge_config_selectorIllEEZZNS1_27merge_sort_block_merge_implIS3_PlN6thrust23THRUST_200600_302600_NS10device_ptrIlEEjNS1_19radix_merge_compareILb0ELb1ElNS0_19identity_decomposerEEEEE10hipError_tT0_T1_T2_jT3_P12ihipStream_tbPNSt15iterator_traitsISG_E10value_typeEPNSM_ISH_E10value_typeEPSI_NS1_7vsmem_tEENKUlT_SG_SH_SI_E_clIS7_S7_S7_SB_EESF_SV_SG_SH_SI_EUlSV_E0_NS1_11comp_targetILNS1_3genE9ELNS1_11target_archE1100ELNS1_3gpuE3ELNS1_3repE0EEENS1_38merge_mergepath_config_static_selectorELNS0_4arch9wavefront6targetE1EEEvSH_,@function
_ZN7rocprim17ROCPRIM_400000_NS6detail17trampoline_kernelINS0_14default_configENS1_38merge_sort_block_merge_config_selectorIllEEZZNS1_27merge_sort_block_merge_implIS3_PlN6thrust23THRUST_200600_302600_NS10device_ptrIlEEjNS1_19radix_merge_compareILb0ELb1ElNS0_19identity_decomposerEEEEE10hipError_tT0_T1_T2_jT3_P12ihipStream_tbPNSt15iterator_traitsISG_E10value_typeEPNSM_ISH_E10value_typeEPSI_NS1_7vsmem_tEENKUlT_SG_SH_SI_E_clIS7_S7_S7_SB_EESF_SV_SG_SH_SI_EUlSV_E0_NS1_11comp_targetILNS1_3genE9ELNS1_11target_archE1100ELNS1_3gpuE3ELNS1_3repE0EEENS1_38merge_mergepath_config_static_selectorELNS0_4arch9wavefront6targetE1EEEvSH_: ; @_ZN7rocprim17ROCPRIM_400000_NS6detail17trampoline_kernelINS0_14default_configENS1_38merge_sort_block_merge_config_selectorIllEEZZNS1_27merge_sort_block_merge_implIS3_PlN6thrust23THRUST_200600_302600_NS10device_ptrIlEEjNS1_19radix_merge_compareILb0ELb1ElNS0_19identity_decomposerEEEEE10hipError_tT0_T1_T2_jT3_P12ihipStream_tbPNSt15iterator_traitsISG_E10value_typeEPNSM_ISH_E10value_typeEPSI_NS1_7vsmem_tEENKUlT_SG_SH_SI_E_clIS7_S7_S7_SB_EESF_SV_SG_SH_SI_EUlSV_E0_NS1_11comp_targetILNS1_3genE9ELNS1_11target_archE1100ELNS1_3gpuE3ELNS1_3repE0EEENS1_38merge_mergepath_config_static_selectorELNS0_4arch9wavefront6targetE1EEEvSH_
; %bb.0:
	.section	.rodata,"a",@progbits
	.p2align	6, 0x0
	.amdhsa_kernel _ZN7rocprim17ROCPRIM_400000_NS6detail17trampoline_kernelINS0_14default_configENS1_38merge_sort_block_merge_config_selectorIllEEZZNS1_27merge_sort_block_merge_implIS3_PlN6thrust23THRUST_200600_302600_NS10device_ptrIlEEjNS1_19radix_merge_compareILb0ELb1ElNS0_19identity_decomposerEEEEE10hipError_tT0_T1_T2_jT3_P12ihipStream_tbPNSt15iterator_traitsISG_E10value_typeEPNSM_ISH_E10value_typeEPSI_NS1_7vsmem_tEENKUlT_SG_SH_SI_E_clIS7_S7_S7_SB_EESF_SV_SG_SH_SI_EUlSV_E0_NS1_11comp_targetILNS1_3genE9ELNS1_11target_archE1100ELNS1_3gpuE3ELNS1_3repE0EEENS1_38merge_mergepath_config_static_selectorELNS0_4arch9wavefront6targetE1EEEvSH_
		.amdhsa_group_segment_fixed_size 0
		.amdhsa_private_segment_fixed_size 0
		.amdhsa_kernarg_size 72
		.amdhsa_user_sgpr_count 6
		.amdhsa_user_sgpr_private_segment_buffer 1
		.amdhsa_user_sgpr_dispatch_ptr 0
		.amdhsa_user_sgpr_queue_ptr 0
		.amdhsa_user_sgpr_kernarg_segment_ptr 1
		.amdhsa_user_sgpr_dispatch_id 0
		.amdhsa_user_sgpr_flat_scratch_init 0
		.amdhsa_user_sgpr_private_segment_size 0
		.amdhsa_uses_dynamic_stack 0
		.amdhsa_system_sgpr_private_segment_wavefront_offset 0
		.amdhsa_system_sgpr_workgroup_id_x 1
		.amdhsa_system_sgpr_workgroup_id_y 0
		.amdhsa_system_sgpr_workgroup_id_z 0
		.amdhsa_system_sgpr_workgroup_info 0
		.amdhsa_system_vgpr_workitem_id 0
		.amdhsa_next_free_vgpr 1
		.amdhsa_next_free_sgpr 0
		.amdhsa_reserve_vcc 0
		.amdhsa_reserve_flat_scratch 0
		.amdhsa_float_round_mode_32 0
		.amdhsa_float_round_mode_16_64 0
		.amdhsa_float_denorm_mode_32 3
		.amdhsa_float_denorm_mode_16_64 3
		.amdhsa_dx10_clamp 1
		.amdhsa_ieee_mode 1
		.amdhsa_fp16_overflow 0
		.amdhsa_exception_fp_ieee_invalid_op 0
		.amdhsa_exception_fp_denorm_src 0
		.amdhsa_exception_fp_ieee_div_zero 0
		.amdhsa_exception_fp_ieee_overflow 0
		.amdhsa_exception_fp_ieee_underflow 0
		.amdhsa_exception_fp_ieee_inexact 0
		.amdhsa_exception_int_div_zero 0
	.end_amdhsa_kernel
	.section	.text._ZN7rocprim17ROCPRIM_400000_NS6detail17trampoline_kernelINS0_14default_configENS1_38merge_sort_block_merge_config_selectorIllEEZZNS1_27merge_sort_block_merge_implIS3_PlN6thrust23THRUST_200600_302600_NS10device_ptrIlEEjNS1_19radix_merge_compareILb0ELb1ElNS0_19identity_decomposerEEEEE10hipError_tT0_T1_T2_jT3_P12ihipStream_tbPNSt15iterator_traitsISG_E10value_typeEPNSM_ISH_E10value_typeEPSI_NS1_7vsmem_tEENKUlT_SG_SH_SI_E_clIS7_S7_S7_SB_EESF_SV_SG_SH_SI_EUlSV_E0_NS1_11comp_targetILNS1_3genE9ELNS1_11target_archE1100ELNS1_3gpuE3ELNS1_3repE0EEENS1_38merge_mergepath_config_static_selectorELNS0_4arch9wavefront6targetE1EEEvSH_,"axG",@progbits,_ZN7rocprim17ROCPRIM_400000_NS6detail17trampoline_kernelINS0_14default_configENS1_38merge_sort_block_merge_config_selectorIllEEZZNS1_27merge_sort_block_merge_implIS3_PlN6thrust23THRUST_200600_302600_NS10device_ptrIlEEjNS1_19radix_merge_compareILb0ELb1ElNS0_19identity_decomposerEEEEE10hipError_tT0_T1_T2_jT3_P12ihipStream_tbPNSt15iterator_traitsISG_E10value_typeEPNSM_ISH_E10value_typeEPSI_NS1_7vsmem_tEENKUlT_SG_SH_SI_E_clIS7_S7_S7_SB_EESF_SV_SG_SH_SI_EUlSV_E0_NS1_11comp_targetILNS1_3genE9ELNS1_11target_archE1100ELNS1_3gpuE3ELNS1_3repE0EEENS1_38merge_mergepath_config_static_selectorELNS0_4arch9wavefront6targetE1EEEvSH_,comdat
.Lfunc_end1080:
	.size	_ZN7rocprim17ROCPRIM_400000_NS6detail17trampoline_kernelINS0_14default_configENS1_38merge_sort_block_merge_config_selectorIllEEZZNS1_27merge_sort_block_merge_implIS3_PlN6thrust23THRUST_200600_302600_NS10device_ptrIlEEjNS1_19radix_merge_compareILb0ELb1ElNS0_19identity_decomposerEEEEE10hipError_tT0_T1_T2_jT3_P12ihipStream_tbPNSt15iterator_traitsISG_E10value_typeEPNSM_ISH_E10value_typeEPSI_NS1_7vsmem_tEENKUlT_SG_SH_SI_E_clIS7_S7_S7_SB_EESF_SV_SG_SH_SI_EUlSV_E0_NS1_11comp_targetILNS1_3genE9ELNS1_11target_archE1100ELNS1_3gpuE3ELNS1_3repE0EEENS1_38merge_mergepath_config_static_selectorELNS0_4arch9wavefront6targetE1EEEvSH_, .Lfunc_end1080-_ZN7rocprim17ROCPRIM_400000_NS6detail17trampoline_kernelINS0_14default_configENS1_38merge_sort_block_merge_config_selectorIllEEZZNS1_27merge_sort_block_merge_implIS3_PlN6thrust23THRUST_200600_302600_NS10device_ptrIlEEjNS1_19radix_merge_compareILb0ELb1ElNS0_19identity_decomposerEEEEE10hipError_tT0_T1_T2_jT3_P12ihipStream_tbPNSt15iterator_traitsISG_E10value_typeEPNSM_ISH_E10value_typeEPSI_NS1_7vsmem_tEENKUlT_SG_SH_SI_E_clIS7_S7_S7_SB_EESF_SV_SG_SH_SI_EUlSV_E0_NS1_11comp_targetILNS1_3genE9ELNS1_11target_archE1100ELNS1_3gpuE3ELNS1_3repE0EEENS1_38merge_mergepath_config_static_selectorELNS0_4arch9wavefront6targetE1EEEvSH_
                                        ; -- End function
	.set _ZN7rocprim17ROCPRIM_400000_NS6detail17trampoline_kernelINS0_14default_configENS1_38merge_sort_block_merge_config_selectorIllEEZZNS1_27merge_sort_block_merge_implIS3_PlN6thrust23THRUST_200600_302600_NS10device_ptrIlEEjNS1_19radix_merge_compareILb0ELb1ElNS0_19identity_decomposerEEEEE10hipError_tT0_T1_T2_jT3_P12ihipStream_tbPNSt15iterator_traitsISG_E10value_typeEPNSM_ISH_E10value_typeEPSI_NS1_7vsmem_tEENKUlT_SG_SH_SI_E_clIS7_S7_S7_SB_EESF_SV_SG_SH_SI_EUlSV_E0_NS1_11comp_targetILNS1_3genE9ELNS1_11target_archE1100ELNS1_3gpuE3ELNS1_3repE0EEENS1_38merge_mergepath_config_static_selectorELNS0_4arch9wavefront6targetE1EEEvSH_.num_vgpr, 0
	.set _ZN7rocprim17ROCPRIM_400000_NS6detail17trampoline_kernelINS0_14default_configENS1_38merge_sort_block_merge_config_selectorIllEEZZNS1_27merge_sort_block_merge_implIS3_PlN6thrust23THRUST_200600_302600_NS10device_ptrIlEEjNS1_19radix_merge_compareILb0ELb1ElNS0_19identity_decomposerEEEEE10hipError_tT0_T1_T2_jT3_P12ihipStream_tbPNSt15iterator_traitsISG_E10value_typeEPNSM_ISH_E10value_typeEPSI_NS1_7vsmem_tEENKUlT_SG_SH_SI_E_clIS7_S7_S7_SB_EESF_SV_SG_SH_SI_EUlSV_E0_NS1_11comp_targetILNS1_3genE9ELNS1_11target_archE1100ELNS1_3gpuE3ELNS1_3repE0EEENS1_38merge_mergepath_config_static_selectorELNS0_4arch9wavefront6targetE1EEEvSH_.num_agpr, 0
	.set _ZN7rocprim17ROCPRIM_400000_NS6detail17trampoline_kernelINS0_14default_configENS1_38merge_sort_block_merge_config_selectorIllEEZZNS1_27merge_sort_block_merge_implIS3_PlN6thrust23THRUST_200600_302600_NS10device_ptrIlEEjNS1_19radix_merge_compareILb0ELb1ElNS0_19identity_decomposerEEEEE10hipError_tT0_T1_T2_jT3_P12ihipStream_tbPNSt15iterator_traitsISG_E10value_typeEPNSM_ISH_E10value_typeEPSI_NS1_7vsmem_tEENKUlT_SG_SH_SI_E_clIS7_S7_S7_SB_EESF_SV_SG_SH_SI_EUlSV_E0_NS1_11comp_targetILNS1_3genE9ELNS1_11target_archE1100ELNS1_3gpuE3ELNS1_3repE0EEENS1_38merge_mergepath_config_static_selectorELNS0_4arch9wavefront6targetE1EEEvSH_.numbered_sgpr, 0
	.set _ZN7rocprim17ROCPRIM_400000_NS6detail17trampoline_kernelINS0_14default_configENS1_38merge_sort_block_merge_config_selectorIllEEZZNS1_27merge_sort_block_merge_implIS3_PlN6thrust23THRUST_200600_302600_NS10device_ptrIlEEjNS1_19radix_merge_compareILb0ELb1ElNS0_19identity_decomposerEEEEE10hipError_tT0_T1_T2_jT3_P12ihipStream_tbPNSt15iterator_traitsISG_E10value_typeEPNSM_ISH_E10value_typeEPSI_NS1_7vsmem_tEENKUlT_SG_SH_SI_E_clIS7_S7_S7_SB_EESF_SV_SG_SH_SI_EUlSV_E0_NS1_11comp_targetILNS1_3genE9ELNS1_11target_archE1100ELNS1_3gpuE3ELNS1_3repE0EEENS1_38merge_mergepath_config_static_selectorELNS0_4arch9wavefront6targetE1EEEvSH_.num_named_barrier, 0
	.set _ZN7rocprim17ROCPRIM_400000_NS6detail17trampoline_kernelINS0_14default_configENS1_38merge_sort_block_merge_config_selectorIllEEZZNS1_27merge_sort_block_merge_implIS3_PlN6thrust23THRUST_200600_302600_NS10device_ptrIlEEjNS1_19radix_merge_compareILb0ELb1ElNS0_19identity_decomposerEEEEE10hipError_tT0_T1_T2_jT3_P12ihipStream_tbPNSt15iterator_traitsISG_E10value_typeEPNSM_ISH_E10value_typeEPSI_NS1_7vsmem_tEENKUlT_SG_SH_SI_E_clIS7_S7_S7_SB_EESF_SV_SG_SH_SI_EUlSV_E0_NS1_11comp_targetILNS1_3genE9ELNS1_11target_archE1100ELNS1_3gpuE3ELNS1_3repE0EEENS1_38merge_mergepath_config_static_selectorELNS0_4arch9wavefront6targetE1EEEvSH_.private_seg_size, 0
	.set _ZN7rocprim17ROCPRIM_400000_NS6detail17trampoline_kernelINS0_14default_configENS1_38merge_sort_block_merge_config_selectorIllEEZZNS1_27merge_sort_block_merge_implIS3_PlN6thrust23THRUST_200600_302600_NS10device_ptrIlEEjNS1_19radix_merge_compareILb0ELb1ElNS0_19identity_decomposerEEEEE10hipError_tT0_T1_T2_jT3_P12ihipStream_tbPNSt15iterator_traitsISG_E10value_typeEPNSM_ISH_E10value_typeEPSI_NS1_7vsmem_tEENKUlT_SG_SH_SI_E_clIS7_S7_S7_SB_EESF_SV_SG_SH_SI_EUlSV_E0_NS1_11comp_targetILNS1_3genE9ELNS1_11target_archE1100ELNS1_3gpuE3ELNS1_3repE0EEENS1_38merge_mergepath_config_static_selectorELNS0_4arch9wavefront6targetE1EEEvSH_.uses_vcc, 0
	.set _ZN7rocprim17ROCPRIM_400000_NS6detail17trampoline_kernelINS0_14default_configENS1_38merge_sort_block_merge_config_selectorIllEEZZNS1_27merge_sort_block_merge_implIS3_PlN6thrust23THRUST_200600_302600_NS10device_ptrIlEEjNS1_19radix_merge_compareILb0ELb1ElNS0_19identity_decomposerEEEEE10hipError_tT0_T1_T2_jT3_P12ihipStream_tbPNSt15iterator_traitsISG_E10value_typeEPNSM_ISH_E10value_typeEPSI_NS1_7vsmem_tEENKUlT_SG_SH_SI_E_clIS7_S7_S7_SB_EESF_SV_SG_SH_SI_EUlSV_E0_NS1_11comp_targetILNS1_3genE9ELNS1_11target_archE1100ELNS1_3gpuE3ELNS1_3repE0EEENS1_38merge_mergepath_config_static_selectorELNS0_4arch9wavefront6targetE1EEEvSH_.uses_flat_scratch, 0
	.set _ZN7rocprim17ROCPRIM_400000_NS6detail17trampoline_kernelINS0_14default_configENS1_38merge_sort_block_merge_config_selectorIllEEZZNS1_27merge_sort_block_merge_implIS3_PlN6thrust23THRUST_200600_302600_NS10device_ptrIlEEjNS1_19radix_merge_compareILb0ELb1ElNS0_19identity_decomposerEEEEE10hipError_tT0_T1_T2_jT3_P12ihipStream_tbPNSt15iterator_traitsISG_E10value_typeEPNSM_ISH_E10value_typeEPSI_NS1_7vsmem_tEENKUlT_SG_SH_SI_E_clIS7_S7_S7_SB_EESF_SV_SG_SH_SI_EUlSV_E0_NS1_11comp_targetILNS1_3genE9ELNS1_11target_archE1100ELNS1_3gpuE3ELNS1_3repE0EEENS1_38merge_mergepath_config_static_selectorELNS0_4arch9wavefront6targetE1EEEvSH_.has_dyn_sized_stack, 0
	.set _ZN7rocprim17ROCPRIM_400000_NS6detail17trampoline_kernelINS0_14default_configENS1_38merge_sort_block_merge_config_selectorIllEEZZNS1_27merge_sort_block_merge_implIS3_PlN6thrust23THRUST_200600_302600_NS10device_ptrIlEEjNS1_19radix_merge_compareILb0ELb1ElNS0_19identity_decomposerEEEEE10hipError_tT0_T1_T2_jT3_P12ihipStream_tbPNSt15iterator_traitsISG_E10value_typeEPNSM_ISH_E10value_typeEPSI_NS1_7vsmem_tEENKUlT_SG_SH_SI_E_clIS7_S7_S7_SB_EESF_SV_SG_SH_SI_EUlSV_E0_NS1_11comp_targetILNS1_3genE9ELNS1_11target_archE1100ELNS1_3gpuE3ELNS1_3repE0EEENS1_38merge_mergepath_config_static_selectorELNS0_4arch9wavefront6targetE1EEEvSH_.has_recursion, 0
	.set _ZN7rocprim17ROCPRIM_400000_NS6detail17trampoline_kernelINS0_14default_configENS1_38merge_sort_block_merge_config_selectorIllEEZZNS1_27merge_sort_block_merge_implIS3_PlN6thrust23THRUST_200600_302600_NS10device_ptrIlEEjNS1_19radix_merge_compareILb0ELb1ElNS0_19identity_decomposerEEEEE10hipError_tT0_T1_T2_jT3_P12ihipStream_tbPNSt15iterator_traitsISG_E10value_typeEPNSM_ISH_E10value_typeEPSI_NS1_7vsmem_tEENKUlT_SG_SH_SI_E_clIS7_S7_S7_SB_EESF_SV_SG_SH_SI_EUlSV_E0_NS1_11comp_targetILNS1_3genE9ELNS1_11target_archE1100ELNS1_3gpuE3ELNS1_3repE0EEENS1_38merge_mergepath_config_static_selectorELNS0_4arch9wavefront6targetE1EEEvSH_.has_indirect_call, 0
	.section	.AMDGPU.csdata,"",@progbits
; Kernel info:
; codeLenInByte = 0
; TotalNumSgprs: 4
; NumVgprs: 0
; ScratchSize: 0
; MemoryBound: 0
; FloatMode: 240
; IeeeMode: 1
; LDSByteSize: 0 bytes/workgroup (compile time only)
; SGPRBlocks: 0
; VGPRBlocks: 0
; NumSGPRsForWavesPerEU: 4
; NumVGPRsForWavesPerEU: 1
; Occupancy: 10
; WaveLimiterHint : 0
; COMPUTE_PGM_RSRC2:SCRATCH_EN: 0
; COMPUTE_PGM_RSRC2:USER_SGPR: 6
; COMPUTE_PGM_RSRC2:TRAP_HANDLER: 0
; COMPUTE_PGM_RSRC2:TGID_X_EN: 1
; COMPUTE_PGM_RSRC2:TGID_Y_EN: 0
; COMPUTE_PGM_RSRC2:TGID_Z_EN: 0
; COMPUTE_PGM_RSRC2:TIDIG_COMP_CNT: 0
	.section	.text._ZN7rocprim17ROCPRIM_400000_NS6detail17trampoline_kernelINS0_14default_configENS1_38merge_sort_block_merge_config_selectorIllEEZZNS1_27merge_sort_block_merge_implIS3_PlN6thrust23THRUST_200600_302600_NS10device_ptrIlEEjNS1_19radix_merge_compareILb0ELb1ElNS0_19identity_decomposerEEEEE10hipError_tT0_T1_T2_jT3_P12ihipStream_tbPNSt15iterator_traitsISG_E10value_typeEPNSM_ISH_E10value_typeEPSI_NS1_7vsmem_tEENKUlT_SG_SH_SI_E_clIS7_S7_S7_SB_EESF_SV_SG_SH_SI_EUlSV_E0_NS1_11comp_targetILNS1_3genE8ELNS1_11target_archE1030ELNS1_3gpuE2ELNS1_3repE0EEENS1_38merge_mergepath_config_static_selectorELNS0_4arch9wavefront6targetE1EEEvSH_,"axG",@progbits,_ZN7rocprim17ROCPRIM_400000_NS6detail17trampoline_kernelINS0_14default_configENS1_38merge_sort_block_merge_config_selectorIllEEZZNS1_27merge_sort_block_merge_implIS3_PlN6thrust23THRUST_200600_302600_NS10device_ptrIlEEjNS1_19radix_merge_compareILb0ELb1ElNS0_19identity_decomposerEEEEE10hipError_tT0_T1_T2_jT3_P12ihipStream_tbPNSt15iterator_traitsISG_E10value_typeEPNSM_ISH_E10value_typeEPSI_NS1_7vsmem_tEENKUlT_SG_SH_SI_E_clIS7_S7_S7_SB_EESF_SV_SG_SH_SI_EUlSV_E0_NS1_11comp_targetILNS1_3genE8ELNS1_11target_archE1030ELNS1_3gpuE2ELNS1_3repE0EEENS1_38merge_mergepath_config_static_selectorELNS0_4arch9wavefront6targetE1EEEvSH_,comdat
	.protected	_ZN7rocprim17ROCPRIM_400000_NS6detail17trampoline_kernelINS0_14default_configENS1_38merge_sort_block_merge_config_selectorIllEEZZNS1_27merge_sort_block_merge_implIS3_PlN6thrust23THRUST_200600_302600_NS10device_ptrIlEEjNS1_19radix_merge_compareILb0ELb1ElNS0_19identity_decomposerEEEEE10hipError_tT0_T1_T2_jT3_P12ihipStream_tbPNSt15iterator_traitsISG_E10value_typeEPNSM_ISH_E10value_typeEPSI_NS1_7vsmem_tEENKUlT_SG_SH_SI_E_clIS7_S7_S7_SB_EESF_SV_SG_SH_SI_EUlSV_E0_NS1_11comp_targetILNS1_3genE8ELNS1_11target_archE1030ELNS1_3gpuE2ELNS1_3repE0EEENS1_38merge_mergepath_config_static_selectorELNS0_4arch9wavefront6targetE1EEEvSH_ ; -- Begin function _ZN7rocprim17ROCPRIM_400000_NS6detail17trampoline_kernelINS0_14default_configENS1_38merge_sort_block_merge_config_selectorIllEEZZNS1_27merge_sort_block_merge_implIS3_PlN6thrust23THRUST_200600_302600_NS10device_ptrIlEEjNS1_19radix_merge_compareILb0ELb1ElNS0_19identity_decomposerEEEEE10hipError_tT0_T1_T2_jT3_P12ihipStream_tbPNSt15iterator_traitsISG_E10value_typeEPNSM_ISH_E10value_typeEPSI_NS1_7vsmem_tEENKUlT_SG_SH_SI_E_clIS7_S7_S7_SB_EESF_SV_SG_SH_SI_EUlSV_E0_NS1_11comp_targetILNS1_3genE8ELNS1_11target_archE1030ELNS1_3gpuE2ELNS1_3repE0EEENS1_38merge_mergepath_config_static_selectorELNS0_4arch9wavefront6targetE1EEEvSH_
	.globl	_ZN7rocprim17ROCPRIM_400000_NS6detail17trampoline_kernelINS0_14default_configENS1_38merge_sort_block_merge_config_selectorIllEEZZNS1_27merge_sort_block_merge_implIS3_PlN6thrust23THRUST_200600_302600_NS10device_ptrIlEEjNS1_19radix_merge_compareILb0ELb1ElNS0_19identity_decomposerEEEEE10hipError_tT0_T1_T2_jT3_P12ihipStream_tbPNSt15iterator_traitsISG_E10value_typeEPNSM_ISH_E10value_typeEPSI_NS1_7vsmem_tEENKUlT_SG_SH_SI_E_clIS7_S7_S7_SB_EESF_SV_SG_SH_SI_EUlSV_E0_NS1_11comp_targetILNS1_3genE8ELNS1_11target_archE1030ELNS1_3gpuE2ELNS1_3repE0EEENS1_38merge_mergepath_config_static_selectorELNS0_4arch9wavefront6targetE1EEEvSH_
	.p2align	8
	.type	_ZN7rocprim17ROCPRIM_400000_NS6detail17trampoline_kernelINS0_14default_configENS1_38merge_sort_block_merge_config_selectorIllEEZZNS1_27merge_sort_block_merge_implIS3_PlN6thrust23THRUST_200600_302600_NS10device_ptrIlEEjNS1_19radix_merge_compareILb0ELb1ElNS0_19identity_decomposerEEEEE10hipError_tT0_T1_T2_jT3_P12ihipStream_tbPNSt15iterator_traitsISG_E10value_typeEPNSM_ISH_E10value_typeEPSI_NS1_7vsmem_tEENKUlT_SG_SH_SI_E_clIS7_S7_S7_SB_EESF_SV_SG_SH_SI_EUlSV_E0_NS1_11comp_targetILNS1_3genE8ELNS1_11target_archE1030ELNS1_3gpuE2ELNS1_3repE0EEENS1_38merge_mergepath_config_static_selectorELNS0_4arch9wavefront6targetE1EEEvSH_,@function
_ZN7rocprim17ROCPRIM_400000_NS6detail17trampoline_kernelINS0_14default_configENS1_38merge_sort_block_merge_config_selectorIllEEZZNS1_27merge_sort_block_merge_implIS3_PlN6thrust23THRUST_200600_302600_NS10device_ptrIlEEjNS1_19radix_merge_compareILb0ELb1ElNS0_19identity_decomposerEEEEE10hipError_tT0_T1_T2_jT3_P12ihipStream_tbPNSt15iterator_traitsISG_E10value_typeEPNSM_ISH_E10value_typeEPSI_NS1_7vsmem_tEENKUlT_SG_SH_SI_E_clIS7_S7_S7_SB_EESF_SV_SG_SH_SI_EUlSV_E0_NS1_11comp_targetILNS1_3genE8ELNS1_11target_archE1030ELNS1_3gpuE2ELNS1_3repE0EEENS1_38merge_mergepath_config_static_selectorELNS0_4arch9wavefront6targetE1EEEvSH_: ; @_ZN7rocprim17ROCPRIM_400000_NS6detail17trampoline_kernelINS0_14default_configENS1_38merge_sort_block_merge_config_selectorIllEEZZNS1_27merge_sort_block_merge_implIS3_PlN6thrust23THRUST_200600_302600_NS10device_ptrIlEEjNS1_19radix_merge_compareILb0ELb1ElNS0_19identity_decomposerEEEEE10hipError_tT0_T1_T2_jT3_P12ihipStream_tbPNSt15iterator_traitsISG_E10value_typeEPNSM_ISH_E10value_typeEPSI_NS1_7vsmem_tEENKUlT_SG_SH_SI_E_clIS7_S7_S7_SB_EESF_SV_SG_SH_SI_EUlSV_E0_NS1_11comp_targetILNS1_3genE8ELNS1_11target_archE1030ELNS1_3gpuE2ELNS1_3repE0EEENS1_38merge_mergepath_config_static_selectorELNS0_4arch9wavefront6targetE1EEEvSH_
; %bb.0:
	.section	.rodata,"a",@progbits
	.p2align	6, 0x0
	.amdhsa_kernel _ZN7rocprim17ROCPRIM_400000_NS6detail17trampoline_kernelINS0_14default_configENS1_38merge_sort_block_merge_config_selectorIllEEZZNS1_27merge_sort_block_merge_implIS3_PlN6thrust23THRUST_200600_302600_NS10device_ptrIlEEjNS1_19radix_merge_compareILb0ELb1ElNS0_19identity_decomposerEEEEE10hipError_tT0_T1_T2_jT3_P12ihipStream_tbPNSt15iterator_traitsISG_E10value_typeEPNSM_ISH_E10value_typeEPSI_NS1_7vsmem_tEENKUlT_SG_SH_SI_E_clIS7_S7_S7_SB_EESF_SV_SG_SH_SI_EUlSV_E0_NS1_11comp_targetILNS1_3genE8ELNS1_11target_archE1030ELNS1_3gpuE2ELNS1_3repE0EEENS1_38merge_mergepath_config_static_selectorELNS0_4arch9wavefront6targetE1EEEvSH_
		.amdhsa_group_segment_fixed_size 0
		.amdhsa_private_segment_fixed_size 0
		.amdhsa_kernarg_size 72
		.amdhsa_user_sgpr_count 6
		.amdhsa_user_sgpr_private_segment_buffer 1
		.amdhsa_user_sgpr_dispatch_ptr 0
		.amdhsa_user_sgpr_queue_ptr 0
		.amdhsa_user_sgpr_kernarg_segment_ptr 1
		.amdhsa_user_sgpr_dispatch_id 0
		.amdhsa_user_sgpr_flat_scratch_init 0
		.amdhsa_user_sgpr_private_segment_size 0
		.amdhsa_uses_dynamic_stack 0
		.amdhsa_system_sgpr_private_segment_wavefront_offset 0
		.amdhsa_system_sgpr_workgroup_id_x 1
		.amdhsa_system_sgpr_workgroup_id_y 0
		.amdhsa_system_sgpr_workgroup_id_z 0
		.amdhsa_system_sgpr_workgroup_info 0
		.amdhsa_system_vgpr_workitem_id 0
		.amdhsa_next_free_vgpr 1
		.amdhsa_next_free_sgpr 0
		.amdhsa_reserve_vcc 0
		.amdhsa_reserve_flat_scratch 0
		.amdhsa_float_round_mode_32 0
		.amdhsa_float_round_mode_16_64 0
		.amdhsa_float_denorm_mode_32 3
		.amdhsa_float_denorm_mode_16_64 3
		.amdhsa_dx10_clamp 1
		.amdhsa_ieee_mode 1
		.amdhsa_fp16_overflow 0
		.amdhsa_exception_fp_ieee_invalid_op 0
		.amdhsa_exception_fp_denorm_src 0
		.amdhsa_exception_fp_ieee_div_zero 0
		.amdhsa_exception_fp_ieee_overflow 0
		.amdhsa_exception_fp_ieee_underflow 0
		.amdhsa_exception_fp_ieee_inexact 0
		.amdhsa_exception_int_div_zero 0
	.end_amdhsa_kernel
	.section	.text._ZN7rocprim17ROCPRIM_400000_NS6detail17trampoline_kernelINS0_14default_configENS1_38merge_sort_block_merge_config_selectorIllEEZZNS1_27merge_sort_block_merge_implIS3_PlN6thrust23THRUST_200600_302600_NS10device_ptrIlEEjNS1_19radix_merge_compareILb0ELb1ElNS0_19identity_decomposerEEEEE10hipError_tT0_T1_T2_jT3_P12ihipStream_tbPNSt15iterator_traitsISG_E10value_typeEPNSM_ISH_E10value_typeEPSI_NS1_7vsmem_tEENKUlT_SG_SH_SI_E_clIS7_S7_S7_SB_EESF_SV_SG_SH_SI_EUlSV_E0_NS1_11comp_targetILNS1_3genE8ELNS1_11target_archE1030ELNS1_3gpuE2ELNS1_3repE0EEENS1_38merge_mergepath_config_static_selectorELNS0_4arch9wavefront6targetE1EEEvSH_,"axG",@progbits,_ZN7rocprim17ROCPRIM_400000_NS6detail17trampoline_kernelINS0_14default_configENS1_38merge_sort_block_merge_config_selectorIllEEZZNS1_27merge_sort_block_merge_implIS3_PlN6thrust23THRUST_200600_302600_NS10device_ptrIlEEjNS1_19radix_merge_compareILb0ELb1ElNS0_19identity_decomposerEEEEE10hipError_tT0_T1_T2_jT3_P12ihipStream_tbPNSt15iterator_traitsISG_E10value_typeEPNSM_ISH_E10value_typeEPSI_NS1_7vsmem_tEENKUlT_SG_SH_SI_E_clIS7_S7_S7_SB_EESF_SV_SG_SH_SI_EUlSV_E0_NS1_11comp_targetILNS1_3genE8ELNS1_11target_archE1030ELNS1_3gpuE2ELNS1_3repE0EEENS1_38merge_mergepath_config_static_selectorELNS0_4arch9wavefront6targetE1EEEvSH_,comdat
.Lfunc_end1081:
	.size	_ZN7rocprim17ROCPRIM_400000_NS6detail17trampoline_kernelINS0_14default_configENS1_38merge_sort_block_merge_config_selectorIllEEZZNS1_27merge_sort_block_merge_implIS3_PlN6thrust23THRUST_200600_302600_NS10device_ptrIlEEjNS1_19radix_merge_compareILb0ELb1ElNS0_19identity_decomposerEEEEE10hipError_tT0_T1_T2_jT3_P12ihipStream_tbPNSt15iterator_traitsISG_E10value_typeEPNSM_ISH_E10value_typeEPSI_NS1_7vsmem_tEENKUlT_SG_SH_SI_E_clIS7_S7_S7_SB_EESF_SV_SG_SH_SI_EUlSV_E0_NS1_11comp_targetILNS1_3genE8ELNS1_11target_archE1030ELNS1_3gpuE2ELNS1_3repE0EEENS1_38merge_mergepath_config_static_selectorELNS0_4arch9wavefront6targetE1EEEvSH_, .Lfunc_end1081-_ZN7rocprim17ROCPRIM_400000_NS6detail17trampoline_kernelINS0_14default_configENS1_38merge_sort_block_merge_config_selectorIllEEZZNS1_27merge_sort_block_merge_implIS3_PlN6thrust23THRUST_200600_302600_NS10device_ptrIlEEjNS1_19radix_merge_compareILb0ELb1ElNS0_19identity_decomposerEEEEE10hipError_tT0_T1_T2_jT3_P12ihipStream_tbPNSt15iterator_traitsISG_E10value_typeEPNSM_ISH_E10value_typeEPSI_NS1_7vsmem_tEENKUlT_SG_SH_SI_E_clIS7_S7_S7_SB_EESF_SV_SG_SH_SI_EUlSV_E0_NS1_11comp_targetILNS1_3genE8ELNS1_11target_archE1030ELNS1_3gpuE2ELNS1_3repE0EEENS1_38merge_mergepath_config_static_selectorELNS0_4arch9wavefront6targetE1EEEvSH_
                                        ; -- End function
	.set _ZN7rocprim17ROCPRIM_400000_NS6detail17trampoline_kernelINS0_14default_configENS1_38merge_sort_block_merge_config_selectorIllEEZZNS1_27merge_sort_block_merge_implIS3_PlN6thrust23THRUST_200600_302600_NS10device_ptrIlEEjNS1_19radix_merge_compareILb0ELb1ElNS0_19identity_decomposerEEEEE10hipError_tT0_T1_T2_jT3_P12ihipStream_tbPNSt15iterator_traitsISG_E10value_typeEPNSM_ISH_E10value_typeEPSI_NS1_7vsmem_tEENKUlT_SG_SH_SI_E_clIS7_S7_S7_SB_EESF_SV_SG_SH_SI_EUlSV_E0_NS1_11comp_targetILNS1_3genE8ELNS1_11target_archE1030ELNS1_3gpuE2ELNS1_3repE0EEENS1_38merge_mergepath_config_static_selectorELNS0_4arch9wavefront6targetE1EEEvSH_.num_vgpr, 0
	.set _ZN7rocprim17ROCPRIM_400000_NS6detail17trampoline_kernelINS0_14default_configENS1_38merge_sort_block_merge_config_selectorIllEEZZNS1_27merge_sort_block_merge_implIS3_PlN6thrust23THRUST_200600_302600_NS10device_ptrIlEEjNS1_19radix_merge_compareILb0ELb1ElNS0_19identity_decomposerEEEEE10hipError_tT0_T1_T2_jT3_P12ihipStream_tbPNSt15iterator_traitsISG_E10value_typeEPNSM_ISH_E10value_typeEPSI_NS1_7vsmem_tEENKUlT_SG_SH_SI_E_clIS7_S7_S7_SB_EESF_SV_SG_SH_SI_EUlSV_E0_NS1_11comp_targetILNS1_3genE8ELNS1_11target_archE1030ELNS1_3gpuE2ELNS1_3repE0EEENS1_38merge_mergepath_config_static_selectorELNS0_4arch9wavefront6targetE1EEEvSH_.num_agpr, 0
	.set _ZN7rocprim17ROCPRIM_400000_NS6detail17trampoline_kernelINS0_14default_configENS1_38merge_sort_block_merge_config_selectorIllEEZZNS1_27merge_sort_block_merge_implIS3_PlN6thrust23THRUST_200600_302600_NS10device_ptrIlEEjNS1_19radix_merge_compareILb0ELb1ElNS0_19identity_decomposerEEEEE10hipError_tT0_T1_T2_jT3_P12ihipStream_tbPNSt15iterator_traitsISG_E10value_typeEPNSM_ISH_E10value_typeEPSI_NS1_7vsmem_tEENKUlT_SG_SH_SI_E_clIS7_S7_S7_SB_EESF_SV_SG_SH_SI_EUlSV_E0_NS1_11comp_targetILNS1_3genE8ELNS1_11target_archE1030ELNS1_3gpuE2ELNS1_3repE0EEENS1_38merge_mergepath_config_static_selectorELNS0_4arch9wavefront6targetE1EEEvSH_.numbered_sgpr, 0
	.set _ZN7rocprim17ROCPRIM_400000_NS6detail17trampoline_kernelINS0_14default_configENS1_38merge_sort_block_merge_config_selectorIllEEZZNS1_27merge_sort_block_merge_implIS3_PlN6thrust23THRUST_200600_302600_NS10device_ptrIlEEjNS1_19radix_merge_compareILb0ELb1ElNS0_19identity_decomposerEEEEE10hipError_tT0_T1_T2_jT3_P12ihipStream_tbPNSt15iterator_traitsISG_E10value_typeEPNSM_ISH_E10value_typeEPSI_NS1_7vsmem_tEENKUlT_SG_SH_SI_E_clIS7_S7_S7_SB_EESF_SV_SG_SH_SI_EUlSV_E0_NS1_11comp_targetILNS1_3genE8ELNS1_11target_archE1030ELNS1_3gpuE2ELNS1_3repE0EEENS1_38merge_mergepath_config_static_selectorELNS0_4arch9wavefront6targetE1EEEvSH_.num_named_barrier, 0
	.set _ZN7rocprim17ROCPRIM_400000_NS6detail17trampoline_kernelINS0_14default_configENS1_38merge_sort_block_merge_config_selectorIllEEZZNS1_27merge_sort_block_merge_implIS3_PlN6thrust23THRUST_200600_302600_NS10device_ptrIlEEjNS1_19radix_merge_compareILb0ELb1ElNS0_19identity_decomposerEEEEE10hipError_tT0_T1_T2_jT3_P12ihipStream_tbPNSt15iterator_traitsISG_E10value_typeEPNSM_ISH_E10value_typeEPSI_NS1_7vsmem_tEENKUlT_SG_SH_SI_E_clIS7_S7_S7_SB_EESF_SV_SG_SH_SI_EUlSV_E0_NS1_11comp_targetILNS1_3genE8ELNS1_11target_archE1030ELNS1_3gpuE2ELNS1_3repE0EEENS1_38merge_mergepath_config_static_selectorELNS0_4arch9wavefront6targetE1EEEvSH_.private_seg_size, 0
	.set _ZN7rocprim17ROCPRIM_400000_NS6detail17trampoline_kernelINS0_14default_configENS1_38merge_sort_block_merge_config_selectorIllEEZZNS1_27merge_sort_block_merge_implIS3_PlN6thrust23THRUST_200600_302600_NS10device_ptrIlEEjNS1_19radix_merge_compareILb0ELb1ElNS0_19identity_decomposerEEEEE10hipError_tT0_T1_T2_jT3_P12ihipStream_tbPNSt15iterator_traitsISG_E10value_typeEPNSM_ISH_E10value_typeEPSI_NS1_7vsmem_tEENKUlT_SG_SH_SI_E_clIS7_S7_S7_SB_EESF_SV_SG_SH_SI_EUlSV_E0_NS1_11comp_targetILNS1_3genE8ELNS1_11target_archE1030ELNS1_3gpuE2ELNS1_3repE0EEENS1_38merge_mergepath_config_static_selectorELNS0_4arch9wavefront6targetE1EEEvSH_.uses_vcc, 0
	.set _ZN7rocprim17ROCPRIM_400000_NS6detail17trampoline_kernelINS0_14default_configENS1_38merge_sort_block_merge_config_selectorIllEEZZNS1_27merge_sort_block_merge_implIS3_PlN6thrust23THRUST_200600_302600_NS10device_ptrIlEEjNS1_19radix_merge_compareILb0ELb1ElNS0_19identity_decomposerEEEEE10hipError_tT0_T1_T2_jT3_P12ihipStream_tbPNSt15iterator_traitsISG_E10value_typeEPNSM_ISH_E10value_typeEPSI_NS1_7vsmem_tEENKUlT_SG_SH_SI_E_clIS7_S7_S7_SB_EESF_SV_SG_SH_SI_EUlSV_E0_NS1_11comp_targetILNS1_3genE8ELNS1_11target_archE1030ELNS1_3gpuE2ELNS1_3repE0EEENS1_38merge_mergepath_config_static_selectorELNS0_4arch9wavefront6targetE1EEEvSH_.uses_flat_scratch, 0
	.set _ZN7rocprim17ROCPRIM_400000_NS6detail17trampoline_kernelINS0_14default_configENS1_38merge_sort_block_merge_config_selectorIllEEZZNS1_27merge_sort_block_merge_implIS3_PlN6thrust23THRUST_200600_302600_NS10device_ptrIlEEjNS1_19radix_merge_compareILb0ELb1ElNS0_19identity_decomposerEEEEE10hipError_tT0_T1_T2_jT3_P12ihipStream_tbPNSt15iterator_traitsISG_E10value_typeEPNSM_ISH_E10value_typeEPSI_NS1_7vsmem_tEENKUlT_SG_SH_SI_E_clIS7_S7_S7_SB_EESF_SV_SG_SH_SI_EUlSV_E0_NS1_11comp_targetILNS1_3genE8ELNS1_11target_archE1030ELNS1_3gpuE2ELNS1_3repE0EEENS1_38merge_mergepath_config_static_selectorELNS0_4arch9wavefront6targetE1EEEvSH_.has_dyn_sized_stack, 0
	.set _ZN7rocprim17ROCPRIM_400000_NS6detail17trampoline_kernelINS0_14default_configENS1_38merge_sort_block_merge_config_selectorIllEEZZNS1_27merge_sort_block_merge_implIS3_PlN6thrust23THRUST_200600_302600_NS10device_ptrIlEEjNS1_19radix_merge_compareILb0ELb1ElNS0_19identity_decomposerEEEEE10hipError_tT0_T1_T2_jT3_P12ihipStream_tbPNSt15iterator_traitsISG_E10value_typeEPNSM_ISH_E10value_typeEPSI_NS1_7vsmem_tEENKUlT_SG_SH_SI_E_clIS7_S7_S7_SB_EESF_SV_SG_SH_SI_EUlSV_E0_NS1_11comp_targetILNS1_3genE8ELNS1_11target_archE1030ELNS1_3gpuE2ELNS1_3repE0EEENS1_38merge_mergepath_config_static_selectorELNS0_4arch9wavefront6targetE1EEEvSH_.has_recursion, 0
	.set _ZN7rocprim17ROCPRIM_400000_NS6detail17trampoline_kernelINS0_14default_configENS1_38merge_sort_block_merge_config_selectorIllEEZZNS1_27merge_sort_block_merge_implIS3_PlN6thrust23THRUST_200600_302600_NS10device_ptrIlEEjNS1_19radix_merge_compareILb0ELb1ElNS0_19identity_decomposerEEEEE10hipError_tT0_T1_T2_jT3_P12ihipStream_tbPNSt15iterator_traitsISG_E10value_typeEPNSM_ISH_E10value_typeEPSI_NS1_7vsmem_tEENKUlT_SG_SH_SI_E_clIS7_S7_S7_SB_EESF_SV_SG_SH_SI_EUlSV_E0_NS1_11comp_targetILNS1_3genE8ELNS1_11target_archE1030ELNS1_3gpuE2ELNS1_3repE0EEENS1_38merge_mergepath_config_static_selectorELNS0_4arch9wavefront6targetE1EEEvSH_.has_indirect_call, 0
	.section	.AMDGPU.csdata,"",@progbits
; Kernel info:
; codeLenInByte = 0
; TotalNumSgprs: 4
; NumVgprs: 0
; ScratchSize: 0
; MemoryBound: 0
; FloatMode: 240
; IeeeMode: 1
; LDSByteSize: 0 bytes/workgroup (compile time only)
; SGPRBlocks: 0
; VGPRBlocks: 0
; NumSGPRsForWavesPerEU: 4
; NumVGPRsForWavesPerEU: 1
; Occupancy: 10
; WaveLimiterHint : 0
; COMPUTE_PGM_RSRC2:SCRATCH_EN: 0
; COMPUTE_PGM_RSRC2:USER_SGPR: 6
; COMPUTE_PGM_RSRC2:TRAP_HANDLER: 0
; COMPUTE_PGM_RSRC2:TGID_X_EN: 1
; COMPUTE_PGM_RSRC2:TGID_Y_EN: 0
; COMPUTE_PGM_RSRC2:TGID_Z_EN: 0
; COMPUTE_PGM_RSRC2:TIDIG_COMP_CNT: 0
	.section	.text._ZN7rocprim17ROCPRIM_400000_NS6detail17trampoline_kernelINS0_14default_configENS1_38merge_sort_block_merge_config_selectorIllEEZZNS1_27merge_sort_block_merge_implIS3_PlN6thrust23THRUST_200600_302600_NS10device_ptrIlEEjNS1_19radix_merge_compareILb0ELb1ElNS0_19identity_decomposerEEEEE10hipError_tT0_T1_T2_jT3_P12ihipStream_tbPNSt15iterator_traitsISG_E10value_typeEPNSM_ISH_E10value_typeEPSI_NS1_7vsmem_tEENKUlT_SG_SH_SI_E_clIS7_S7_S7_SB_EESF_SV_SG_SH_SI_EUlSV_E1_NS1_11comp_targetILNS1_3genE0ELNS1_11target_archE4294967295ELNS1_3gpuE0ELNS1_3repE0EEENS1_36merge_oddeven_config_static_selectorELNS0_4arch9wavefront6targetE1EEEvSH_,"axG",@progbits,_ZN7rocprim17ROCPRIM_400000_NS6detail17trampoline_kernelINS0_14default_configENS1_38merge_sort_block_merge_config_selectorIllEEZZNS1_27merge_sort_block_merge_implIS3_PlN6thrust23THRUST_200600_302600_NS10device_ptrIlEEjNS1_19radix_merge_compareILb0ELb1ElNS0_19identity_decomposerEEEEE10hipError_tT0_T1_T2_jT3_P12ihipStream_tbPNSt15iterator_traitsISG_E10value_typeEPNSM_ISH_E10value_typeEPSI_NS1_7vsmem_tEENKUlT_SG_SH_SI_E_clIS7_S7_S7_SB_EESF_SV_SG_SH_SI_EUlSV_E1_NS1_11comp_targetILNS1_3genE0ELNS1_11target_archE4294967295ELNS1_3gpuE0ELNS1_3repE0EEENS1_36merge_oddeven_config_static_selectorELNS0_4arch9wavefront6targetE1EEEvSH_,comdat
	.protected	_ZN7rocprim17ROCPRIM_400000_NS6detail17trampoline_kernelINS0_14default_configENS1_38merge_sort_block_merge_config_selectorIllEEZZNS1_27merge_sort_block_merge_implIS3_PlN6thrust23THRUST_200600_302600_NS10device_ptrIlEEjNS1_19radix_merge_compareILb0ELb1ElNS0_19identity_decomposerEEEEE10hipError_tT0_T1_T2_jT3_P12ihipStream_tbPNSt15iterator_traitsISG_E10value_typeEPNSM_ISH_E10value_typeEPSI_NS1_7vsmem_tEENKUlT_SG_SH_SI_E_clIS7_S7_S7_SB_EESF_SV_SG_SH_SI_EUlSV_E1_NS1_11comp_targetILNS1_3genE0ELNS1_11target_archE4294967295ELNS1_3gpuE0ELNS1_3repE0EEENS1_36merge_oddeven_config_static_selectorELNS0_4arch9wavefront6targetE1EEEvSH_ ; -- Begin function _ZN7rocprim17ROCPRIM_400000_NS6detail17trampoline_kernelINS0_14default_configENS1_38merge_sort_block_merge_config_selectorIllEEZZNS1_27merge_sort_block_merge_implIS3_PlN6thrust23THRUST_200600_302600_NS10device_ptrIlEEjNS1_19radix_merge_compareILb0ELb1ElNS0_19identity_decomposerEEEEE10hipError_tT0_T1_T2_jT3_P12ihipStream_tbPNSt15iterator_traitsISG_E10value_typeEPNSM_ISH_E10value_typeEPSI_NS1_7vsmem_tEENKUlT_SG_SH_SI_E_clIS7_S7_S7_SB_EESF_SV_SG_SH_SI_EUlSV_E1_NS1_11comp_targetILNS1_3genE0ELNS1_11target_archE4294967295ELNS1_3gpuE0ELNS1_3repE0EEENS1_36merge_oddeven_config_static_selectorELNS0_4arch9wavefront6targetE1EEEvSH_
	.globl	_ZN7rocprim17ROCPRIM_400000_NS6detail17trampoline_kernelINS0_14default_configENS1_38merge_sort_block_merge_config_selectorIllEEZZNS1_27merge_sort_block_merge_implIS3_PlN6thrust23THRUST_200600_302600_NS10device_ptrIlEEjNS1_19radix_merge_compareILb0ELb1ElNS0_19identity_decomposerEEEEE10hipError_tT0_T1_T2_jT3_P12ihipStream_tbPNSt15iterator_traitsISG_E10value_typeEPNSM_ISH_E10value_typeEPSI_NS1_7vsmem_tEENKUlT_SG_SH_SI_E_clIS7_S7_S7_SB_EESF_SV_SG_SH_SI_EUlSV_E1_NS1_11comp_targetILNS1_3genE0ELNS1_11target_archE4294967295ELNS1_3gpuE0ELNS1_3repE0EEENS1_36merge_oddeven_config_static_selectorELNS0_4arch9wavefront6targetE1EEEvSH_
	.p2align	8
	.type	_ZN7rocprim17ROCPRIM_400000_NS6detail17trampoline_kernelINS0_14default_configENS1_38merge_sort_block_merge_config_selectorIllEEZZNS1_27merge_sort_block_merge_implIS3_PlN6thrust23THRUST_200600_302600_NS10device_ptrIlEEjNS1_19radix_merge_compareILb0ELb1ElNS0_19identity_decomposerEEEEE10hipError_tT0_T1_T2_jT3_P12ihipStream_tbPNSt15iterator_traitsISG_E10value_typeEPNSM_ISH_E10value_typeEPSI_NS1_7vsmem_tEENKUlT_SG_SH_SI_E_clIS7_S7_S7_SB_EESF_SV_SG_SH_SI_EUlSV_E1_NS1_11comp_targetILNS1_3genE0ELNS1_11target_archE4294967295ELNS1_3gpuE0ELNS1_3repE0EEENS1_36merge_oddeven_config_static_selectorELNS0_4arch9wavefront6targetE1EEEvSH_,@function
_ZN7rocprim17ROCPRIM_400000_NS6detail17trampoline_kernelINS0_14default_configENS1_38merge_sort_block_merge_config_selectorIllEEZZNS1_27merge_sort_block_merge_implIS3_PlN6thrust23THRUST_200600_302600_NS10device_ptrIlEEjNS1_19radix_merge_compareILb0ELb1ElNS0_19identity_decomposerEEEEE10hipError_tT0_T1_T2_jT3_P12ihipStream_tbPNSt15iterator_traitsISG_E10value_typeEPNSM_ISH_E10value_typeEPSI_NS1_7vsmem_tEENKUlT_SG_SH_SI_E_clIS7_S7_S7_SB_EESF_SV_SG_SH_SI_EUlSV_E1_NS1_11comp_targetILNS1_3genE0ELNS1_11target_archE4294967295ELNS1_3gpuE0ELNS1_3repE0EEENS1_36merge_oddeven_config_static_selectorELNS0_4arch9wavefront6targetE1EEEvSH_: ; @_ZN7rocprim17ROCPRIM_400000_NS6detail17trampoline_kernelINS0_14default_configENS1_38merge_sort_block_merge_config_selectorIllEEZZNS1_27merge_sort_block_merge_implIS3_PlN6thrust23THRUST_200600_302600_NS10device_ptrIlEEjNS1_19radix_merge_compareILb0ELb1ElNS0_19identity_decomposerEEEEE10hipError_tT0_T1_T2_jT3_P12ihipStream_tbPNSt15iterator_traitsISG_E10value_typeEPNSM_ISH_E10value_typeEPSI_NS1_7vsmem_tEENKUlT_SG_SH_SI_E_clIS7_S7_S7_SB_EESF_SV_SG_SH_SI_EUlSV_E1_NS1_11comp_targetILNS1_3genE0ELNS1_11target_archE4294967295ELNS1_3gpuE0ELNS1_3repE0EEENS1_36merge_oddeven_config_static_selectorELNS0_4arch9wavefront6targetE1EEEvSH_
; %bb.0:
	.section	.rodata,"a",@progbits
	.p2align	6, 0x0
	.amdhsa_kernel _ZN7rocprim17ROCPRIM_400000_NS6detail17trampoline_kernelINS0_14default_configENS1_38merge_sort_block_merge_config_selectorIllEEZZNS1_27merge_sort_block_merge_implIS3_PlN6thrust23THRUST_200600_302600_NS10device_ptrIlEEjNS1_19radix_merge_compareILb0ELb1ElNS0_19identity_decomposerEEEEE10hipError_tT0_T1_T2_jT3_P12ihipStream_tbPNSt15iterator_traitsISG_E10value_typeEPNSM_ISH_E10value_typeEPSI_NS1_7vsmem_tEENKUlT_SG_SH_SI_E_clIS7_S7_S7_SB_EESF_SV_SG_SH_SI_EUlSV_E1_NS1_11comp_targetILNS1_3genE0ELNS1_11target_archE4294967295ELNS1_3gpuE0ELNS1_3repE0EEENS1_36merge_oddeven_config_static_selectorELNS0_4arch9wavefront6targetE1EEEvSH_
		.amdhsa_group_segment_fixed_size 0
		.amdhsa_private_segment_fixed_size 0
		.amdhsa_kernarg_size 48
		.amdhsa_user_sgpr_count 6
		.amdhsa_user_sgpr_private_segment_buffer 1
		.amdhsa_user_sgpr_dispatch_ptr 0
		.amdhsa_user_sgpr_queue_ptr 0
		.amdhsa_user_sgpr_kernarg_segment_ptr 1
		.amdhsa_user_sgpr_dispatch_id 0
		.amdhsa_user_sgpr_flat_scratch_init 0
		.amdhsa_user_sgpr_private_segment_size 0
		.amdhsa_uses_dynamic_stack 0
		.amdhsa_system_sgpr_private_segment_wavefront_offset 0
		.amdhsa_system_sgpr_workgroup_id_x 1
		.amdhsa_system_sgpr_workgroup_id_y 0
		.amdhsa_system_sgpr_workgroup_id_z 0
		.amdhsa_system_sgpr_workgroup_info 0
		.amdhsa_system_vgpr_workitem_id 0
		.amdhsa_next_free_vgpr 1
		.amdhsa_next_free_sgpr 0
		.amdhsa_reserve_vcc 0
		.amdhsa_reserve_flat_scratch 0
		.amdhsa_float_round_mode_32 0
		.amdhsa_float_round_mode_16_64 0
		.amdhsa_float_denorm_mode_32 3
		.amdhsa_float_denorm_mode_16_64 3
		.amdhsa_dx10_clamp 1
		.amdhsa_ieee_mode 1
		.amdhsa_fp16_overflow 0
		.amdhsa_exception_fp_ieee_invalid_op 0
		.amdhsa_exception_fp_denorm_src 0
		.amdhsa_exception_fp_ieee_div_zero 0
		.amdhsa_exception_fp_ieee_overflow 0
		.amdhsa_exception_fp_ieee_underflow 0
		.amdhsa_exception_fp_ieee_inexact 0
		.amdhsa_exception_int_div_zero 0
	.end_amdhsa_kernel
	.section	.text._ZN7rocprim17ROCPRIM_400000_NS6detail17trampoline_kernelINS0_14default_configENS1_38merge_sort_block_merge_config_selectorIllEEZZNS1_27merge_sort_block_merge_implIS3_PlN6thrust23THRUST_200600_302600_NS10device_ptrIlEEjNS1_19radix_merge_compareILb0ELb1ElNS0_19identity_decomposerEEEEE10hipError_tT0_T1_T2_jT3_P12ihipStream_tbPNSt15iterator_traitsISG_E10value_typeEPNSM_ISH_E10value_typeEPSI_NS1_7vsmem_tEENKUlT_SG_SH_SI_E_clIS7_S7_S7_SB_EESF_SV_SG_SH_SI_EUlSV_E1_NS1_11comp_targetILNS1_3genE0ELNS1_11target_archE4294967295ELNS1_3gpuE0ELNS1_3repE0EEENS1_36merge_oddeven_config_static_selectorELNS0_4arch9wavefront6targetE1EEEvSH_,"axG",@progbits,_ZN7rocprim17ROCPRIM_400000_NS6detail17trampoline_kernelINS0_14default_configENS1_38merge_sort_block_merge_config_selectorIllEEZZNS1_27merge_sort_block_merge_implIS3_PlN6thrust23THRUST_200600_302600_NS10device_ptrIlEEjNS1_19radix_merge_compareILb0ELb1ElNS0_19identity_decomposerEEEEE10hipError_tT0_T1_T2_jT3_P12ihipStream_tbPNSt15iterator_traitsISG_E10value_typeEPNSM_ISH_E10value_typeEPSI_NS1_7vsmem_tEENKUlT_SG_SH_SI_E_clIS7_S7_S7_SB_EESF_SV_SG_SH_SI_EUlSV_E1_NS1_11comp_targetILNS1_3genE0ELNS1_11target_archE4294967295ELNS1_3gpuE0ELNS1_3repE0EEENS1_36merge_oddeven_config_static_selectorELNS0_4arch9wavefront6targetE1EEEvSH_,comdat
.Lfunc_end1082:
	.size	_ZN7rocprim17ROCPRIM_400000_NS6detail17trampoline_kernelINS0_14default_configENS1_38merge_sort_block_merge_config_selectorIllEEZZNS1_27merge_sort_block_merge_implIS3_PlN6thrust23THRUST_200600_302600_NS10device_ptrIlEEjNS1_19radix_merge_compareILb0ELb1ElNS0_19identity_decomposerEEEEE10hipError_tT0_T1_T2_jT3_P12ihipStream_tbPNSt15iterator_traitsISG_E10value_typeEPNSM_ISH_E10value_typeEPSI_NS1_7vsmem_tEENKUlT_SG_SH_SI_E_clIS7_S7_S7_SB_EESF_SV_SG_SH_SI_EUlSV_E1_NS1_11comp_targetILNS1_3genE0ELNS1_11target_archE4294967295ELNS1_3gpuE0ELNS1_3repE0EEENS1_36merge_oddeven_config_static_selectorELNS0_4arch9wavefront6targetE1EEEvSH_, .Lfunc_end1082-_ZN7rocprim17ROCPRIM_400000_NS6detail17trampoline_kernelINS0_14default_configENS1_38merge_sort_block_merge_config_selectorIllEEZZNS1_27merge_sort_block_merge_implIS3_PlN6thrust23THRUST_200600_302600_NS10device_ptrIlEEjNS1_19radix_merge_compareILb0ELb1ElNS0_19identity_decomposerEEEEE10hipError_tT0_T1_T2_jT3_P12ihipStream_tbPNSt15iterator_traitsISG_E10value_typeEPNSM_ISH_E10value_typeEPSI_NS1_7vsmem_tEENKUlT_SG_SH_SI_E_clIS7_S7_S7_SB_EESF_SV_SG_SH_SI_EUlSV_E1_NS1_11comp_targetILNS1_3genE0ELNS1_11target_archE4294967295ELNS1_3gpuE0ELNS1_3repE0EEENS1_36merge_oddeven_config_static_selectorELNS0_4arch9wavefront6targetE1EEEvSH_
                                        ; -- End function
	.set _ZN7rocprim17ROCPRIM_400000_NS6detail17trampoline_kernelINS0_14default_configENS1_38merge_sort_block_merge_config_selectorIllEEZZNS1_27merge_sort_block_merge_implIS3_PlN6thrust23THRUST_200600_302600_NS10device_ptrIlEEjNS1_19radix_merge_compareILb0ELb1ElNS0_19identity_decomposerEEEEE10hipError_tT0_T1_T2_jT3_P12ihipStream_tbPNSt15iterator_traitsISG_E10value_typeEPNSM_ISH_E10value_typeEPSI_NS1_7vsmem_tEENKUlT_SG_SH_SI_E_clIS7_S7_S7_SB_EESF_SV_SG_SH_SI_EUlSV_E1_NS1_11comp_targetILNS1_3genE0ELNS1_11target_archE4294967295ELNS1_3gpuE0ELNS1_3repE0EEENS1_36merge_oddeven_config_static_selectorELNS0_4arch9wavefront6targetE1EEEvSH_.num_vgpr, 0
	.set _ZN7rocprim17ROCPRIM_400000_NS6detail17trampoline_kernelINS0_14default_configENS1_38merge_sort_block_merge_config_selectorIllEEZZNS1_27merge_sort_block_merge_implIS3_PlN6thrust23THRUST_200600_302600_NS10device_ptrIlEEjNS1_19radix_merge_compareILb0ELb1ElNS0_19identity_decomposerEEEEE10hipError_tT0_T1_T2_jT3_P12ihipStream_tbPNSt15iterator_traitsISG_E10value_typeEPNSM_ISH_E10value_typeEPSI_NS1_7vsmem_tEENKUlT_SG_SH_SI_E_clIS7_S7_S7_SB_EESF_SV_SG_SH_SI_EUlSV_E1_NS1_11comp_targetILNS1_3genE0ELNS1_11target_archE4294967295ELNS1_3gpuE0ELNS1_3repE0EEENS1_36merge_oddeven_config_static_selectorELNS0_4arch9wavefront6targetE1EEEvSH_.num_agpr, 0
	.set _ZN7rocprim17ROCPRIM_400000_NS6detail17trampoline_kernelINS0_14default_configENS1_38merge_sort_block_merge_config_selectorIllEEZZNS1_27merge_sort_block_merge_implIS3_PlN6thrust23THRUST_200600_302600_NS10device_ptrIlEEjNS1_19radix_merge_compareILb0ELb1ElNS0_19identity_decomposerEEEEE10hipError_tT0_T1_T2_jT3_P12ihipStream_tbPNSt15iterator_traitsISG_E10value_typeEPNSM_ISH_E10value_typeEPSI_NS1_7vsmem_tEENKUlT_SG_SH_SI_E_clIS7_S7_S7_SB_EESF_SV_SG_SH_SI_EUlSV_E1_NS1_11comp_targetILNS1_3genE0ELNS1_11target_archE4294967295ELNS1_3gpuE0ELNS1_3repE0EEENS1_36merge_oddeven_config_static_selectorELNS0_4arch9wavefront6targetE1EEEvSH_.numbered_sgpr, 0
	.set _ZN7rocprim17ROCPRIM_400000_NS6detail17trampoline_kernelINS0_14default_configENS1_38merge_sort_block_merge_config_selectorIllEEZZNS1_27merge_sort_block_merge_implIS3_PlN6thrust23THRUST_200600_302600_NS10device_ptrIlEEjNS1_19radix_merge_compareILb0ELb1ElNS0_19identity_decomposerEEEEE10hipError_tT0_T1_T2_jT3_P12ihipStream_tbPNSt15iterator_traitsISG_E10value_typeEPNSM_ISH_E10value_typeEPSI_NS1_7vsmem_tEENKUlT_SG_SH_SI_E_clIS7_S7_S7_SB_EESF_SV_SG_SH_SI_EUlSV_E1_NS1_11comp_targetILNS1_3genE0ELNS1_11target_archE4294967295ELNS1_3gpuE0ELNS1_3repE0EEENS1_36merge_oddeven_config_static_selectorELNS0_4arch9wavefront6targetE1EEEvSH_.num_named_barrier, 0
	.set _ZN7rocprim17ROCPRIM_400000_NS6detail17trampoline_kernelINS0_14default_configENS1_38merge_sort_block_merge_config_selectorIllEEZZNS1_27merge_sort_block_merge_implIS3_PlN6thrust23THRUST_200600_302600_NS10device_ptrIlEEjNS1_19radix_merge_compareILb0ELb1ElNS0_19identity_decomposerEEEEE10hipError_tT0_T1_T2_jT3_P12ihipStream_tbPNSt15iterator_traitsISG_E10value_typeEPNSM_ISH_E10value_typeEPSI_NS1_7vsmem_tEENKUlT_SG_SH_SI_E_clIS7_S7_S7_SB_EESF_SV_SG_SH_SI_EUlSV_E1_NS1_11comp_targetILNS1_3genE0ELNS1_11target_archE4294967295ELNS1_3gpuE0ELNS1_3repE0EEENS1_36merge_oddeven_config_static_selectorELNS0_4arch9wavefront6targetE1EEEvSH_.private_seg_size, 0
	.set _ZN7rocprim17ROCPRIM_400000_NS6detail17trampoline_kernelINS0_14default_configENS1_38merge_sort_block_merge_config_selectorIllEEZZNS1_27merge_sort_block_merge_implIS3_PlN6thrust23THRUST_200600_302600_NS10device_ptrIlEEjNS1_19radix_merge_compareILb0ELb1ElNS0_19identity_decomposerEEEEE10hipError_tT0_T1_T2_jT3_P12ihipStream_tbPNSt15iterator_traitsISG_E10value_typeEPNSM_ISH_E10value_typeEPSI_NS1_7vsmem_tEENKUlT_SG_SH_SI_E_clIS7_S7_S7_SB_EESF_SV_SG_SH_SI_EUlSV_E1_NS1_11comp_targetILNS1_3genE0ELNS1_11target_archE4294967295ELNS1_3gpuE0ELNS1_3repE0EEENS1_36merge_oddeven_config_static_selectorELNS0_4arch9wavefront6targetE1EEEvSH_.uses_vcc, 0
	.set _ZN7rocprim17ROCPRIM_400000_NS6detail17trampoline_kernelINS0_14default_configENS1_38merge_sort_block_merge_config_selectorIllEEZZNS1_27merge_sort_block_merge_implIS3_PlN6thrust23THRUST_200600_302600_NS10device_ptrIlEEjNS1_19radix_merge_compareILb0ELb1ElNS0_19identity_decomposerEEEEE10hipError_tT0_T1_T2_jT3_P12ihipStream_tbPNSt15iterator_traitsISG_E10value_typeEPNSM_ISH_E10value_typeEPSI_NS1_7vsmem_tEENKUlT_SG_SH_SI_E_clIS7_S7_S7_SB_EESF_SV_SG_SH_SI_EUlSV_E1_NS1_11comp_targetILNS1_3genE0ELNS1_11target_archE4294967295ELNS1_3gpuE0ELNS1_3repE0EEENS1_36merge_oddeven_config_static_selectorELNS0_4arch9wavefront6targetE1EEEvSH_.uses_flat_scratch, 0
	.set _ZN7rocprim17ROCPRIM_400000_NS6detail17trampoline_kernelINS0_14default_configENS1_38merge_sort_block_merge_config_selectorIllEEZZNS1_27merge_sort_block_merge_implIS3_PlN6thrust23THRUST_200600_302600_NS10device_ptrIlEEjNS1_19radix_merge_compareILb0ELb1ElNS0_19identity_decomposerEEEEE10hipError_tT0_T1_T2_jT3_P12ihipStream_tbPNSt15iterator_traitsISG_E10value_typeEPNSM_ISH_E10value_typeEPSI_NS1_7vsmem_tEENKUlT_SG_SH_SI_E_clIS7_S7_S7_SB_EESF_SV_SG_SH_SI_EUlSV_E1_NS1_11comp_targetILNS1_3genE0ELNS1_11target_archE4294967295ELNS1_3gpuE0ELNS1_3repE0EEENS1_36merge_oddeven_config_static_selectorELNS0_4arch9wavefront6targetE1EEEvSH_.has_dyn_sized_stack, 0
	.set _ZN7rocprim17ROCPRIM_400000_NS6detail17trampoline_kernelINS0_14default_configENS1_38merge_sort_block_merge_config_selectorIllEEZZNS1_27merge_sort_block_merge_implIS3_PlN6thrust23THRUST_200600_302600_NS10device_ptrIlEEjNS1_19radix_merge_compareILb0ELb1ElNS0_19identity_decomposerEEEEE10hipError_tT0_T1_T2_jT3_P12ihipStream_tbPNSt15iterator_traitsISG_E10value_typeEPNSM_ISH_E10value_typeEPSI_NS1_7vsmem_tEENKUlT_SG_SH_SI_E_clIS7_S7_S7_SB_EESF_SV_SG_SH_SI_EUlSV_E1_NS1_11comp_targetILNS1_3genE0ELNS1_11target_archE4294967295ELNS1_3gpuE0ELNS1_3repE0EEENS1_36merge_oddeven_config_static_selectorELNS0_4arch9wavefront6targetE1EEEvSH_.has_recursion, 0
	.set _ZN7rocprim17ROCPRIM_400000_NS6detail17trampoline_kernelINS0_14default_configENS1_38merge_sort_block_merge_config_selectorIllEEZZNS1_27merge_sort_block_merge_implIS3_PlN6thrust23THRUST_200600_302600_NS10device_ptrIlEEjNS1_19radix_merge_compareILb0ELb1ElNS0_19identity_decomposerEEEEE10hipError_tT0_T1_T2_jT3_P12ihipStream_tbPNSt15iterator_traitsISG_E10value_typeEPNSM_ISH_E10value_typeEPSI_NS1_7vsmem_tEENKUlT_SG_SH_SI_E_clIS7_S7_S7_SB_EESF_SV_SG_SH_SI_EUlSV_E1_NS1_11comp_targetILNS1_3genE0ELNS1_11target_archE4294967295ELNS1_3gpuE0ELNS1_3repE0EEENS1_36merge_oddeven_config_static_selectorELNS0_4arch9wavefront6targetE1EEEvSH_.has_indirect_call, 0
	.section	.AMDGPU.csdata,"",@progbits
; Kernel info:
; codeLenInByte = 0
; TotalNumSgprs: 4
; NumVgprs: 0
; ScratchSize: 0
; MemoryBound: 0
; FloatMode: 240
; IeeeMode: 1
; LDSByteSize: 0 bytes/workgroup (compile time only)
; SGPRBlocks: 0
; VGPRBlocks: 0
; NumSGPRsForWavesPerEU: 4
; NumVGPRsForWavesPerEU: 1
; Occupancy: 10
; WaveLimiterHint : 0
; COMPUTE_PGM_RSRC2:SCRATCH_EN: 0
; COMPUTE_PGM_RSRC2:USER_SGPR: 6
; COMPUTE_PGM_RSRC2:TRAP_HANDLER: 0
; COMPUTE_PGM_RSRC2:TGID_X_EN: 1
; COMPUTE_PGM_RSRC2:TGID_Y_EN: 0
; COMPUTE_PGM_RSRC2:TGID_Z_EN: 0
; COMPUTE_PGM_RSRC2:TIDIG_COMP_CNT: 0
	.section	.text._ZN7rocprim17ROCPRIM_400000_NS6detail17trampoline_kernelINS0_14default_configENS1_38merge_sort_block_merge_config_selectorIllEEZZNS1_27merge_sort_block_merge_implIS3_PlN6thrust23THRUST_200600_302600_NS10device_ptrIlEEjNS1_19radix_merge_compareILb0ELb1ElNS0_19identity_decomposerEEEEE10hipError_tT0_T1_T2_jT3_P12ihipStream_tbPNSt15iterator_traitsISG_E10value_typeEPNSM_ISH_E10value_typeEPSI_NS1_7vsmem_tEENKUlT_SG_SH_SI_E_clIS7_S7_S7_SB_EESF_SV_SG_SH_SI_EUlSV_E1_NS1_11comp_targetILNS1_3genE10ELNS1_11target_archE1201ELNS1_3gpuE5ELNS1_3repE0EEENS1_36merge_oddeven_config_static_selectorELNS0_4arch9wavefront6targetE1EEEvSH_,"axG",@progbits,_ZN7rocprim17ROCPRIM_400000_NS6detail17trampoline_kernelINS0_14default_configENS1_38merge_sort_block_merge_config_selectorIllEEZZNS1_27merge_sort_block_merge_implIS3_PlN6thrust23THRUST_200600_302600_NS10device_ptrIlEEjNS1_19radix_merge_compareILb0ELb1ElNS0_19identity_decomposerEEEEE10hipError_tT0_T1_T2_jT3_P12ihipStream_tbPNSt15iterator_traitsISG_E10value_typeEPNSM_ISH_E10value_typeEPSI_NS1_7vsmem_tEENKUlT_SG_SH_SI_E_clIS7_S7_S7_SB_EESF_SV_SG_SH_SI_EUlSV_E1_NS1_11comp_targetILNS1_3genE10ELNS1_11target_archE1201ELNS1_3gpuE5ELNS1_3repE0EEENS1_36merge_oddeven_config_static_selectorELNS0_4arch9wavefront6targetE1EEEvSH_,comdat
	.protected	_ZN7rocprim17ROCPRIM_400000_NS6detail17trampoline_kernelINS0_14default_configENS1_38merge_sort_block_merge_config_selectorIllEEZZNS1_27merge_sort_block_merge_implIS3_PlN6thrust23THRUST_200600_302600_NS10device_ptrIlEEjNS1_19radix_merge_compareILb0ELb1ElNS0_19identity_decomposerEEEEE10hipError_tT0_T1_T2_jT3_P12ihipStream_tbPNSt15iterator_traitsISG_E10value_typeEPNSM_ISH_E10value_typeEPSI_NS1_7vsmem_tEENKUlT_SG_SH_SI_E_clIS7_S7_S7_SB_EESF_SV_SG_SH_SI_EUlSV_E1_NS1_11comp_targetILNS1_3genE10ELNS1_11target_archE1201ELNS1_3gpuE5ELNS1_3repE0EEENS1_36merge_oddeven_config_static_selectorELNS0_4arch9wavefront6targetE1EEEvSH_ ; -- Begin function _ZN7rocprim17ROCPRIM_400000_NS6detail17trampoline_kernelINS0_14default_configENS1_38merge_sort_block_merge_config_selectorIllEEZZNS1_27merge_sort_block_merge_implIS3_PlN6thrust23THRUST_200600_302600_NS10device_ptrIlEEjNS1_19radix_merge_compareILb0ELb1ElNS0_19identity_decomposerEEEEE10hipError_tT0_T1_T2_jT3_P12ihipStream_tbPNSt15iterator_traitsISG_E10value_typeEPNSM_ISH_E10value_typeEPSI_NS1_7vsmem_tEENKUlT_SG_SH_SI_E_clIS7_S7_S7_SB_EESF_SV_SG_SH_SI_EUlSV_E1_NS1_11comp_targetILNS1_3genE10ELNS1_11target_archE1201ELNS1_3gpuE5ELNS1_3repE0EEENS1_36merge_oddeven_config_static_selectorELNS0_4arch9wavefront6targetE1EEEvSH_
	.globl	_ZN7rocprim17ROCPRIM_400000_NS6detail17trampoline_kernelINS0_14default_configENS1_38merge_sort_block_merge_config_selectorIllEEZZNS1_27merge_sort_block_merge_implIS3_PlN6thrust23THRUST_200600_302600_NS10device_ptrIlEEjNS1_19radix_merge_compareILb0ELb1ElNS0_19identity_decomposerEEEEE10hipError_tT0_T1_T2_jT3_P12ihipStream_tbPNSt15iterator_traitsISG_E10value_typeEPNSM_ISH_E10value_typeEPSI_NS1_7vsmem_tEENKUlT_SG_SH_SI_E_clIS7_S7_S7_SB_EESF_SV_SG_SH_SI_EUlSV_E1_NS1_11comp_targetILNS1_3genE10ELNS1_11target_archE1201ELNS1_3gpuE5ELNS1_3repE0EEENS1_36merge_oddeven_config_static_selectorELNS0_4arch9wavefront6targetE1EEEvSH_
	.p2align	8
	.type	_ZN7rocprim17ROCPRIM_400000_NS6detail17trampoline_kernelINS0_14default_configENS1_38merge_sort_block_merge_config_selectorIllEEZZNS1_27merge_sort_block_merge_implIS3_PlN6thrust23THRUST_200600_302600_NS10device_ptrIlEEjNS1_19radix_merge_compareILb0ELb1ElNS0_19identity_decomposerEEEEE10hipError_tT0_T1_T2_jT3_P12ihipStream_tbPNSt15iterator_traitsISG_E10value_typeEPNSM_ISH_E10value_typeEPSI_NS1_7vsmem_tEENKUlT_SG_SH_SI_E_clIS7_S7_S7_SB_EESF_SV_SG_SH_SI_EUlSV_E1_NS1_11comp_targetILNS1_3genE10ELNS1_11target_archE1201ELNS1_3gpuE5ELNS1_3repE0EEENS1_36merge_oddeven_config_static_selectorELNS0_4arch9wavefront6targetE1EEEvSH_,@function
_ZN7rocprim17ROCPRIM_400000_NS6detail17trampoline_kernelINS0_14default_configENS1_38merge_sort_block_merge_config_selectorIllEEZZNS1_27merge_sort_block_merge_implIS3_PlN6thrust23THRUST_200600_302600_NS10device_ptrIlEEjNS1_19radix_merge_compareILb0ELb1ElNS0_19identity_decomposerEEEEE10hipError_tT0_T1_T2_jT3_P12ihipStream_tbPNSt15iterator_traitsISG_E10value_typeEPNSM_ISH_E10value_typeEPSI_NS1_7vsmem_tEENKUlT_SG_SH_SI_E_clIS7_S7_S7_SB_EESF_SV_SG_SH_SI_EUlSV_E1_NS1_11comp_targetILNS1_3genE10ELNS1_11target_archE1201ELNS1_3gpuE5ELNS1_3repE0EEENS1_36merge_oddeven_config_static_selectorELNS0_4arch9wavefront6targetE1EEEvSH_: ; @_ZN7rocprim17ROCPRIM_400000_NS6detail17trampoline_kernelINS0_14default_configENS1_38merge_sort_block_merge_config_selectorIllEEZZNS1_27merge_sort_block_merge_implIS3_PlN6thrust23THRUST_200600_302600_NS10device_ptrIlEEjNS1_19radix_merge_compareILb0ELb1ElNS0_19identity_decomposerEEEEE10hipError_tT0_T1_T2_jT3_P12ihipStream_tbPNSt15iterator_traitsISG_E10value_typeEPNSM_ISH_E10value_typeEPSI_NS1_7vsmem_tEENKUlT_SG_SH_SI_E_clIS7_S7_S7_SB_EESF_SV_SG_SH_SI_EUlSV_E1_NS1_11comp_targetILNS1_3genE10ELNS1_11target_archE1201ELNS1_3gpuE5ELNS1_3repE0EEENS1_36merge_oddeven_config_static_selectorELNS0_4arch9wavefront6targetE1EEEvSH_
; %bb.0:
	.section	.rodata,"a",@progbits
	.p2align	6, 0x0
	.amdhsa_kernel _ZN7rocprim17ROCPRIM_400000_NS6detail17trampoline_kernelINS0_14default_configENS1_38merge_sort_block_merge_config_selectorIllEEZZNS1_27merge_sort_block_merge_implIS3_PlN6thrust23THRUST_200600_302600_NS10device_ptrIlEEjNS1_19radix_merge_compareILb0ELb1ElNS0_19identity_decomposerEEEEE10hipError_tT0_T1_T2_jT3_P12ihipStream_tbPNSt15iterator_traitsISG_E10value_typeEPNSM_ISH_E10value_typeEPSI_NS1_7vsmem_tEENKUlT_SG_SH_SI_E_clIS7_S7_S7_SB_EESF_SV_SG_SH_SI_EUlSV_E1_NS1_11comp_targetILNS1_3genE10ELNS1_11target_archE1201ELNS1_3gpuE5ELNS1_3repE0EEENS1_36merge_oddeven_config_static_selectorELNS0_4arch9wavefront6targetE1EEEvSH_
		.amdhsa_group_segment_fixed_size 0
		.amdhsa_private_segment_fixed_size 0
		.amdhsa_kernarg_size 48
		.amdhsa_user_sgpr_count 6
		.amdhsa_user_sgpr_private_segment_buffer 1
		.amdhsa_user_sgpr_dispatch_ptr 0
		.amdhsa_user_sgpr_queue_ptr 0
		.amdhsa_user_sgpr_kernarg_segment_ptr 1
		.amdhsa_user_sgpr_dispatch_id 0
		.amdhsa_user_sgpr_flat_scratch_init 0
		.amdhsa_user_sgpr_private_segment_size 0
		.amdhsa_uses_dynamic_stack 0
		.amdhsa_system_sgpr_private_segment_wavefront_offset 0
		.amdhsa_system_sgpr_workgroup_id_x 1
		.amdhsa_system_sgpr_workgroup_id_y 0
		.amdhsa_system_sgpr_workgroup_id_z 0
		.amdhsa_system_sgpr_workgroup_info 0
		.amdhsa_system_vgpr_workitem_id 0
		.amdhsa_next_free_vgpr 1
		.amdhsa_next_free_sgpr 0
		.amdhsa_reserve_vcc 0
		.amdhsa_reserve_flat_scratch 0
		.amdhsa_float_round_mode_32 0
		.amdhsa_float_round_mode_16_64 0
		.amdhsa_float_denorm_mode_32 3
		.amdhsa_float_denorm_mode_16_64 3
		.amdhsa_dx10_clamp 1
		.amdhsa_ieee_mode 1
		.amdhsa_fp16_overflow 0
		.amdhsa_exception_fp_ieee_invalid_op 0
		.amdhsa_exception_fp_denorm_src 0
		.amdhsa_exception_fp_ieee_div_zero 0
		.amdhsa_exception_fp_ieee_overflow 0
		.amdhsa_exception_fp_ieee_underflow 0
		.amdhsa_exception_fp_ieee_inexact 0
		.amdhsa_exception_int_div_zero 0
	.end_amdhsa_kernel
	.section	.text._ZN7rocprim17ROCPRIM_400000_NS6detail17trampoline_kernelINS0_14default_configENS1_38merge_sort_block_merge_config_selectorIllEEZZNS1_27merge_sort_block_merge_implIS3_PlN6thrust23THRUST_200600_302600_NS10device_ptrIlEEjNS1_19radix_merge_compareILb0ELb1ElNS0_19identity_decomposerEEEEE10hipError_tT0_T1_T2_jT3_P12ihipStream_tbPNSt15iterator_traitsISG_E10value_typeEPNSM_ISH_E10value_typeEPSI_NS1_7vsmem_tEENKUlT_SG_SH_SI_E_clIS7_S7_S7_SB_EESF_SV_SG_SH_SI_EUlSV_E1_NS1_11comp_targetILNS1_3genE10ELNS1_11target_archE1201ELNS1_3gpuE5ELNS1_3repE0EEENS1_36merge_oddeven_config_static_selectorELNS0_4arch9wavefront6targetE1EEEvSH_,"axG",@progbits,_ZN7rocprim17ROCPRIM_400000_NS6detail17trampoline_kernelINS0_14default_configENS1_38merge_sort_block_merge_config_selectorIllEEZZNS1_27merge_sort_block_merge_implIS3_PlN6thrust23THRUST_200600_302600_NS10device_ptrIlEEjNS1_19radix_merge_compareILb0ELb1ElNS0_19identity_decomposerEEEEE10hipError_tT0_T1_T2_jT3_P12ihipStream_tbPNSt15iterator_traitsISG_E10value_typeEPNSM_ISH_E10value_typeEPSI_NS1_7vsmem_tEENKUlT_SG_SH_SI_E_clIS7_S7_S7_SB_EESF_SV_SG_SH_SI_EUlSV_E1_NS1_11comp_targetILNS1_3genE10ELNS1_11target_archE1201ELNS1_3gpuE5ELNS1_3repE0EEENS1_36merge_oddeven_config_static_selectorELNS0_4arch9wavefront6targetE1EEEvSH_,comdat
.Lfunc_end1083:
	.size	_ZN7rocprim17ROCPRIM_400000_NS6detail17trampoline_kernelINS0_14default_configENS1_38merge_sort_block_merge_config_selectorIllEEZZNS1_27merge_sort_block_merge_implIS3_PlN6thrust23THRUST_200600_302600_NS10device_ptrIlEEjNS1_19radix_merge_compareILb0ELb1ElNS0_19identity_decomposerEEEEE10hipError_tT0_T1_T2_jT3_P12ihipStream_tbPNSt15iterator_traitsISG_E10value_typeEPNSM_ISH_E10value_typeEPSI_NS1_7vsmem_tEENKUlT_SG_SH_SI_E_clIS7_S7_S7_SB_EESF_SV_SG_SH_SI_EUlSV_E1_NS1_11comp_targetILNS1_3genE10ELNS1_11target_archE1201ELNS1_3gpuE5ELNS1_3repE0EEENS1_36merge_oddeven_config_static_selectorELNS0_4arch9wavefront6targetE1EEEvSH_, .Lfunc_end1083-_ZN7rocprim17ROCPRIM_400000_NS6detail17trampoline_kernelINS0_14default_configENS1_38merge_sort_block_merge_config_selectorIllEEZZNS1_27merge_sort_block_merge_implIS3_PlN6thrust23THRUST_200600_302600_NS10device_ptrIlEEjNS1_19radix_merge_compareILb0ELb1ElNS0_19identity_decomposerEEEEE10hipError_tT0_T1_T2_jT3_P12ihipStream_tbPNSt15iterator_traitsISG_E10value_typeEPNSM_ISH_E10value_typeEPSI_NS1_7vsmem_tEENKUlT_SG_SH_SI_E_clIS7_S7_S7_SB_EESF_SV_SG_SH_SI_EUlSV_E1_NS1_11comp_targetILNS1_3genE10ELNS1_11target_archE1201ELNS1_3gpuE5ELNS1_3repE0EEENS1_36merge_oddeven_config_static_selectorELNS0_4arch9wavefront6targetE1EEEvSH_
                                        ; -- End function
	.set _ZN7rocprim17ROCPRIM_400000_NS6detail17trampoline_kernelINS0_14default_configENS1_38merge_sort_block_merge_config_selectorIllEEZZNS1_27merge_sort_block_merge_implIS3_PlN6thrust23THRUST_200600_302600_NS10device_ptrIlEEjNS1_19radix_merge_compareILb0ELb1ElNS0_19identity_decomposerEEEEE10hipError_tT0_T1_T2_jT3_P12ihipStream_tbPNSt15iterator_traitsISG_E10value_typeEPNSM_ISH_E10value_typeEPSI_NS1_7vsmem_tEENKUlT_SG_SH_SI_E_clIS7_S7_S7_SB_EESF_SV_SG_SH_SI_EUlSV_E1_NS1_11comp_targetILNS1_3genE10ELNS1_11target_archE1201ELNS1_3gpuE5ELNS1_3repE0EEENS1_36merge_oddeven_config_static_selectorELNS0_4arch9wavefront6targetE1EEEvSH_.num_vgpr, 0
	.set _ZN7rocprim17ROCPRIM_400000_NS6detail17trampoline_kernelINS0_14default_configENS1_38merge_sort_block_merge_config_selectorIllEEZZNS1_27merge_sort_block_merge_implIS3_PlN6thrust23THRUST_200600_302600_NS10device_ptrIlEEjNS1_19radix_merge_compareILb0ELb1ElNS0_19identity_decomposerEEEEE10hipError_tT0_T1_T2_jT3_P12ihipStream_tbPNSt15iterator_traitsISG_E10value_typeEPNSM_ISH_E10value_typeEPSI_NS1_7vsmem_tEENKUlT_SG_SH_SI_E_clIS7_S7_S7_SB_EESF_SV_SG_SH_SI_EUlSV_E1_NS1_11comp_targetILNS1_3genE10ELNS1_11target_archE1201ELNS1_3gpuE5ELNS1_3repE0EEENS1_36merge_oddeven_config_static_selectorELNS0_4arch9wavefront6targetE1EEEvSH_.num_agpr, 0
	.set _ZN7rocprim17ROCPRIM_400000_NS6detail17trampoline_kernelINS0_14default_configENS1_38merge_sort_block_merge_config_selectorIllEEZZNS1_27merge_sort_block_merge_implIS3_PlN6thrust23THRUST_200600_302600_NS10device_ptrIlEEjNS1_19radix_merge_compareILb0ELb1ElNS0_19identity_decomposerEEEEE10hipError_tT0_T1_T2_jT3_P12ihipStream_tbPNSt15iterator_traitsISG_E10value_typeEPNSM_ISH_E10value_typeEPSI_NS1_7vsmem_tEENKUlT_SG_SH_SI_E_clIS7_S7_S7_SB_EESF_SV_SG_SH_SI_EUlSV_E1_NS1_11comp_targetILNS1_3genE10ELNS1_11target_archE1201ELNS1_3gpuE5ELNS1_3repE0EEENS1_36merge_oddeven_config_static_selectorELNS0_4arch9wavefront6targetE1EEEvSH_.numbered_sgpr, 0
	.set _ZN7rocprim17ROCPRIM_400000_NS6detail17trampoline_kernelINS0_14default_configENS1_38merge_sort_block_merge_config_selectorIllEEZZNS1_27merge_sort_block_merge_implIS3_PlN6thrust23THRUST_200600_302600_NS10device_ptrIlEEjNS1_19radix_merge_compareILb0ELb1ElNS0_19identity_decomposerEEEEE10hipError_tT0_T1_T2_jT3_P12ihipStream_tbPNSt15iterator_traitsISG_E10value_typeEPNSM_ISH_E10value_typeEPSI_NS1_7vsmem_tEENKUlT_SG_SH_SI_E_clIS7_S7_S7_SB_EESF_SV_SG_SH_SI_EUlSV_E1_NS1_11comp_targetILNS1_3genE10ELNS1_11target_archE1201ELNS1_3gpuE5ELNS1_3repE0EEENS1_36merge_oddeven_config_static_selectorELNS0_4arch9wavefront6targetE1EEEvSH_.num_named_barrier, 0
	.set _ZN7rocprim17ROCPRIM_400000_NS6detail17trampoline_kernelINS0_14default_configENS1_38merge_sort_block_merge_config_selectorIllEEZZNS1_27merge_sort_block_merge_implIS3_PlN6thrust23THRUST_200600_302600_NS10device_ptrIlEEjNS1_19radix_merge_compareILb0ELb1ElNS0_19identity_decomposerEEEEE10hipError_tT0_T1_T2_jT3_P12ihipStream_tbPNSt15iterator_traitsISG_E10value_typeEPNSM_ISH_E10value_typeEPSI_NS1_7vsmem_tEENKUlT_SG_SH_SI_E_clIS7_S7_S7_SB_EESF_SV_SG_SH_SI_EUlSV_E1_NS1_11comp_targetILNS1_3genE10ELNS1_11target_archE1201ELNS1_3gpuE5ELNS1_3repE0EEENS1_36merge_oddeven_config_static_selectorELNS0_4arch9wavefront6targetE1EEEvSH_.private_seg_size, 0
	.set _ZN7rocprim17ROCPRIM_400000_NS6detail17trampoline_kernelINS0_14default_configENS1_38merge_sort_block_merge_config_selectorIllEEZZNS1_27merge_sort_block_merge_implIS3_PlN6thrust23THRUST_200600_302600_NS10device_ptrIlEEjNS1_19radix_merge_compareILb0ELb1ElNS0_19identity_decomposerEEEEE10hipError_tT0_T1_T2_jT3_P12ihipStream_tbPNSt15iterator_traitsISG_E10value_typeEPNSM_ISH_E10value_typeEPSI_NS1_7vsmem_tEENKUlT_SG_SH_SI_E_clIS7_S7_S7_SB_EESF_SV_SG_SH_SI_EUlSV_E1_NS1_11comp_targetILNS1_3genE10ELNS1_11target_archE1201ELNS1_3gpuE5ELNS1_3repE0EEENS1_36merge_oddeven_config_static_selectorELNS0_4arch9wavefront6targetE1EEEvSH_.uses_vcc, 0
	.set _ZN7rocprim17ROCPRIM_400000_NS6detail17trampoline_kernelINS0_14default_configENS1_38merge_sort_block_merge_config_selectorIllEEZZNS1_27merge_sort_block_merge_implIS3_PlN6thrust23THRUST_200600_302600_NS10device_ptrIlEEjNS1_19radix_merge_compareILb0ELb1ElNS0_19identity_decomposerEEEEE10hipError_tT0_T1_T2_jT3_P12ihipStream_tbPNSt15iterator_traitsISG_E10value_typeEPNSM_ISH_E10value_typeEPSI_NS1_7vsmem_tEENKUlT_SG_SH_SI_E_clIS7_S7_S7_SB_EESF_SV_SG_SH_SI_EUlSV_E1_NS1_11comp_targetILNS1_3genE10ELNS1_11target_archE1201ELNS1_3gpuE5ELNS1_3repE0EEENS1_36merge_oddeven_config_static_selectorELNS0_4arch9wavefront6targetE1EEEvSH_.uses_flat_scratch, 0
	.set _ZN7rocprim17ROCPRIM_400000_NS6detail17trampoline_kernelINS0_14default_configENS1_38merge_sort_block_merge_config_selectorIllEEZZNS1_27merge_sort_block_merge_implIS3_PlN6thrust23THRUST_200600_302600_NS10device_ptrIlEEjNS1_19radix_merge_compareILb0ELb1ElNS0_19identity_decomposerEEEEE10hipError_tT0_T1_T2_jT3_P12ihipStream_tbPNSt15iterator_traitsISG_E10value_typeEPNSM_ISH_E10value_typeEPSI_NS1_7vsmem_tEENKUlT_SG_SH_SI_E_clIS7_S7_S7_SB_EESF_SV_SG_SH_SI_EUlSV_E1_NS1_11comp_targetILNS1_3genE10ELNS1_11target_archE1201ELNS1_3gpuE5ELNS1_3repE0EEENS1_36merge_oddeven_config_static_selectorELNS0_4arch9wavefront6targetE1EEEvSH_.has_dyn_sized_stack, 0
	.set _ZN7rocprim17ROCPRIM_400000_NS6detail17trampoline_kernelINS0_14default_configENS1_38merge_sort_block_merge_config_selectorIllEEZZNS1_27merge_sort_block_merge_implIS3_PlN6thrust23THRUST_200600_302600_NS10device_ptrIlEEjNS1_19radix_merge_compareILb0ELb1ElNS0_19identity_decomposerEEEEE10hipError_tT0_T1_T2_jT3_P12ihipStream_tbPNSt15iterator_traitsISG_E10value_typeEPNSM_ISH_E10value_typeEPSI_NS1_7vsmem_tEENKUlT_SG_SH_SI_E_clIS7_S7_S7_SB_EESF_SV_SG_SH_SI_EUlSV_E1_NS1_11comp_targetILNS1_3genE10ELNS1_11target_archE1201ELNS1_3gpuE5ELNS1_3repE0EEENS1_36merge_oddeven_config_static_selectorELNS0_4arch9wavefront6targetE1EEEvSH_.has_recursion, 0
	.set _ZN7rocprim17ROCPRIM_400000_NS6detail17trampoline_kernelINS0_14default_configENS1_38merge_sort_block_merge_config_selectorIllEEZZNS1_27merge_sort_block_merge_implIS3_PlN6thrust23THRUST_200600_302600_NS10device_ptrIlEEjNS1_19radix_merge_compareILb0ELb1ElNS0_19identity_decomposerEEEEE10hipError_tT0_T1_T2_jT3_P12ihipStream_tbPNSt15iterator_traitsISG_E10value_typeEPNSM_ISH_E10value_typeEPSI_NS1_7vsmem_tEENKUlT_SG_SH_SI_E_clIS7_S7_S7_SB_EESF_SV_SG_SH_SI_EUlSV_E1_NS1_11comp_targetILNS1_3genE10ELNS1_11target_archE1201ELNS1_3gpuE5ELNS1_3repE0EEENS1_36merge_oddeven_config_static_selectorELNS0_4arch9wavefront6targetE1EEEvSH_.has_indirect_call, 0
	.section	.AMDGPU.csdata,"",@progbits
; Kernel info:
; codeLenInByte = 0
; TotalNumSgprs: 4
; NumVgprs: 0
; ScratchSize: 0
; MemoryBound: 0
; FloatMode: 240
; IeeeMode: 1
; LDSByteSize: 0 bytes/workgroup (compile time only)
; SGPRBlocks: 0
; VGPRBlocks: 0
; NumSGPRsForWavesPerEU: 4
; NumVGPRsForWavesPerEU: 1
; Occupancy: 10
; WaveLimiterHint : 0
; COMPUTE_PGM_RSRC2:SCRATCH_EN: 0
; COMPUTE_PGM_RSRC2:USER_SGPR: 6
; COMPUTE_PGM_RSRC2:TRAP_HANDLER: 0
; COMPUTE_PGM_RSRC2:TGID_X_EN: 1
; COMPUTE_PGM_RSRC2:TGID_Y_EN: 0
; COMPUTE_PGM_RSRC2:TGID_Z_EN: 0
; COMPUTE_PGM_RSRC2:TIDIG_COMP_CNT: 0
	.section	.text._ZN7rocprim17ROCPRIM_400000_NS6detail17trampoline_kernelINS0_14default_configENS1_38merge_sort_block_merge_config_selectorIllEEZZNS1_27merge_sort_block_merge_implIS3_PlN6thrust23THRUST_200600_302600_NS10device_ptrIlEEjNS1_19radix_merge_compareILb0ELb1ElNS0_19identity_decomposerEEEEE10hipError_tT0_T1_T2_jT3_P12ihipStream_tbPNSt15iterator_traitsISG_E10value_typeEPNSM_ISH_E10value_typeEPSI_NS1_7vsmem_tEENKUlT_SG_SH_SI_E_clIS7_S7_S7_SB_EESF_SV_SG_SH_SI_EUlSV_E1_NS1_11comp_targetILNS1_3genE5ELNS1_11target_archE942ELNS1_3gpuE9ELNS1_3repE0EEENS1_36merge_oddeven_config_static_selectorELNS0_4arch9wavefront6targetE1EEEvSH_,"axG",@progbits,_ZN7rocprim17ROCPRIM_400000_NS6detail17trampoline_kernelINS0_14default_configENS1_38merge_sort_block_merge_config_selectorIllEEZZNS1_27merge_sort_block_merge_implIS3_PlN6thrust23THRUST_200600_302600_NS10device_ptrIlEEjNS1_19radix_merge_compareILb0ELb1ElNS0_19identity_decomposerEEEEE10hipError_tT0_T1_T2_jT3_P12ihipStream_tbPNSt15iterator_traitsISG_E10value_typeEPNSM_ISH_E10value_typeEPSI_NS1_7vsmem_tEENKUlT_SG_SH_SI_E_clIS7_S7_S7_SB_EESF_SV_SG_SH_SI_EUlSV_E1_NS1_11comp_targetILNS1_3genE5ELNS1_11target_archE942ELNS1_3gpuE9ELNS1_3repE0EEENS1_36merge_oddeven_config_static_selectorELNS0_4arch9wavefront6targetE1EEEvSH_,comdat
	.protected	_ZN7rocprim17ROCPRIM_400000_NS6detail17trampoline_kernelINS0_14default_configENS1_38merge_sort_block_merge_config_selectorIllEEZZNS1_27merge_sort_block_merge_implIS3_PlN6thrust23THRUST_200600_302600_NS10device_ptrIlEEjNS1_19radix_merge_compareILb0ELb1ElNS0_19identity_decomposerEEEEE10hipError_tT0_T1_T2_jT3_P12ihipStream_tbPNSt15iterator_traitsISG_E10value_typeEPNSM_ISH_E10value_typeEPSI_NS1_7vsmem_tEENKUlT_SG_SH_SI_E_clIS7_S7_S7_SB_EESF_SV_SG_SH_SI_EUlSV_E1_NS1_11comp_targetILNS1_3genE5ELNS1_11target_archE942ELNS1_3gpuE9ELNS1_3repE0EEENS1_36merge_oddeven_config_static_selectorELNS0_4arch9wavefront6targetE1EEEvSH_ ; -- Begin function _ZN7rocprim17ROCPRIM_400000_NS6detail17trampoline_kernelINS0_14default_configENS1_38merge_sort_block_merge_config_selectorIllEEZZNS1_27merge_sort_block_merge_implIS3_PlN6thrust23THRUST_200600_302600_NS10device_ptrIlEEjNS1_19radix_merge_compareILb0ELb1ElNS0_19identity_decomposerEEEEE10hipError_tT0_T1_T2_jT3_P12ihipStream_tbPNSt15iterator_traitsISG_E10value_typeEPNSM_ISH_E10value_typeEPSI_NS1_7vsmem_tEENKUlT_SG_SH_SI_E_clIS7_S7_S7_SB_EESF_SV_SG_SH_SI_EUlSV_E1_NS1_11comp_targetILNS1_3genE5ELNS1_11target_archE942ELNS1_3gpuE9ELNS1_3repE0EEENS1_36merge_oddeven_config_static_selectorELNS0_4arch9wavefront6targetE1EEEvSH_
	.globl	_ZN7rocprim17ROCPRIM_400000_NS6detail17trampoline_kernelINS0_14default_configENS1_38merge_sort_block_merge_config_selectorIllEEZZNS1_27merge_sort_block_merge_implIS3_PlN6thrust23THRUST_200600_302600_NS10device_ptrIlEEjNS1_19radix_merge_compareILb0ELb1ElNS0_19identity_decomposerEEEEE10hipError_tT0_T1_T2_jT3_P12ihipStream_tbPNSt15iterator_traitsISG_E10value_typeEPNSM_ISH_E10value_typeEPSI_NS1_7vsmem_tEENKUlT_SG_SH_SI_E_clIS7_S7_S7_SB_EESF_SV_SG_SH_SI_EUlSV_E1_NS1_11comp_targetILNS1_3genE5ELNS1_11target_archE942ELNS1_3gpuE9ELNS1_3repE0EEENS1_36merge_oddeven_config_static_selectorELNS0_4arch9wavefront6targetE1EEEvSH_
	.p2align	8
	.type	_ZN7rocprim17ROCPRIM_400000_NS6detail17trampoline_kernelINS0_14default_configENS1_38merge_sort_block_merge_config_selectorIllEEZZNS1_27merge_sort_block_merge_implIS3_PlN6thrust23THRUST_200600_302600_NS10device_ptrIlEEjNS1_19radix_merge_compareILb0ELb1ElNS0_19identity_decomposerEEEEE10hipError_tT0_T1_T2_jT3_P12ihipStream_tbPNSt15iterator_traitsISG_E10value_typeEPNSM_ISH_E10value_typeEPSI_NS1_7vsmem_tEENKUlT_SG_SH_SI_E_clIS7_S7_S7_SB_EESF_SV_SG_SH_SI_EUlSV_E1_NS1_11comp_targetILNS1_3genE5ELNS1_11target_archE942ELNS1_3gpuE9ELNS1_3repE0EEENS1_36merge_oddeven_config_static_selectorELNS0_4arch9wavefront6targetE1EEEvSH_,@function
_ZN7rocprim17ROCPRIM_400000_NS6detail17trampoline_kernelINS0_14default_configENS1_38merge_sort_block_merge_config_selectorIllEEZZNS1_27merge_sort_block_merge_implIS3_PlN6thrust23THRUST_200600_302600_NS10device_ptrIlEEjNS1_19radix_merge_compareILb0ELb1ElNS0_19identity_decomposerEEEEE10hipError_tT0_T1_T2_jT3_P12ihipStream_tbPNSt15iterator_traitsISG_E10value_typeEPNSM_ISH_E10value_typeEPSI_NS1_7vsmem_tEENKUlT_SG_SH_SI_E_clIS7_S7_S7_SB_EESF_SV_SG_SH_SI_EUlSV_E1_NS1_11comp_targetILNS1_3genE5ELNS1_11target_archE942ELNS1_3gpuE9ELNS1_3repE0EEENS1_36merge_oddeven_config_static_selectorELNS0_4arch9wavefront6targetE1EEEvSH_: ; @_ZN7rocprim17ROCPRIM_400000_NS6detail17trampoline_kernelINS0_14default_configENS1_38merge_sort_block_merge_config_selectorIllEEZZNS1_27merge_sort_block_merge_implIS3_PlN6thrust23THRUST_200600_302600_NS10device_ptrIlEEjNS1_19radix_merge_compareILb0ELb1ElNS0_19identity_decomposerEEEEE10hipError_tT0_T1_T2_jT3_P12ihipStream_tbPNSt15iterator_traitsISG_E10value_typeEPNSM_ISH_E10value_typeEPSI_NS1_7vsmem_tEENKUlT_SG_SH_SI_E_clIS7_S7_S7_SB_EESF_SV_SG_SH_SI_EUlSV_E1_NS1_11comp_targetILNS1_3genE5ELNS1_11target_archE942ELNS1_3gpuE9ELNS1_3repE0EEENS1_36merge_oddeven_config_static_selectorELNS0_4arch9wavefront6targetE1EEEvSH_
; %bb.0:
	.section	.rodata,"a",@progbits
	.p2align	6, 0x0
	.amdhsa_kernel _ZN7rocprim17ROCPRIM_400000_NS6detail17trampoline_kernelINS0_14default_configENS1_38merge_sort_block_merge_config_selectorIllEEZZNS1_27merge_sort_block_merge_implIS3_PlN6thrust23THRUST_200600_302600_NS10device_ptrIlEEjNS1_19radix_merge_compareILb0ELb1ElNS0_19identity_decomposerEEEEE10hipError_tT0_T1_T2_jT3_P12ihipStream_tbPNSt15iterator_traitsISG_E10value_typeEPNSM_ISH_E10value_typeEPSI_NS1_7vsmem_tEENKUlT_SG_SH_SI_E_clIS7_S7_S7_SB_EESF_SV_SG_SH_SI_EUlSV_E1_NS1_11comp_targetILNS1_3genE5ELNS1_11target_archE942ELNS1_3gpuE9ELNS1_3repE0EEENS1_36merge_oddeven_config_static_selectorELNS0_4arch9wavefront6targetE1EEEvSH_
		.amdhsa_group_segment_fixed_size 0
		.amdhsa_private_segment_fixed_size 0
		.amdhsa_kernarg_size 48
		.amdhsa_user_sgpr_count 6
		.amdhsa_user_sgpr_private_segment_buffer 1
		.amdhsa_user_sgpr_dispatch_ptr 0
		.amdhsa_user_sgpr_queue_ptr 0
		.amdhsa_user_sgpr_kernarg_segment_ptr 1
		.amdhsa_user_sgpr_dispatch_id 0
		.amdhsa_user_sgpr_flat_scratch_init 0
		.amdhsa_user_sgpr_private_segment_size 0
		.amdhsa_uses_dynamic_stack 0
		.amdhsa_system_sgpr_private_segment_wavefront_offset 0
		.amdhsa_system_sgpr_workgroup_id_x 1
		.amdhsa_system_sgpr_workgroup_id_y 0
		.amdhsa_system_sgpr_workgroup_id_z 0
		.amdhsa_system_sgpr_workgroup_info 0
		.amdhsa_system_vgpr_workitem_id 0
		.amdhsa_next_free_vgpr 1
		.amdhsa_next_free_sgpr 0
		.amdhsa_reserve_vcc 0
		.amdhsa_reserve_flat_scratch 0
		.amdhsa_float_round_mode_32 0
		.amdhsa_float_round_mode_16_64 0
		.amdhsa_float_denorm_mode_32 3
		.amdhsa_float_denorm_mode_16_64 3
		.amdhsa_dx10_clamp 1
		.amdhsa_ieee_mode 1
		.amdhsa_fp16_overflow 0
		.amdhsa_exception_fp_ieee_invalid_op 0
		.amdhsa_exception_fp_denorm_src 0
		.amdhsa_exception_fp_ieee_div_zero 0
		.amdhsa_exception_fp_ieee_overflow 0
		.amdhsa_exception_fp_ieee_underflow 0
		.amdhsa_exception_fp_ieee_inexact 0
		.amdhsa_exception_int_div_zero 0
	.end_amdhsa_kernel
	.section	.text._ZN7rocprim17ROCPRIM_400000_NS6detail17trampoline_kernelINS0_14default_configENS1_38merge_sort_block_merge_config_selectorIllEEZZNS1_27merge_sort_block_merge_implIS3_PlN6thrust23THRUST_200600_302600_NS10device_ptrIlEEjNS1_19radix_merge_compareILb0ELb1ElNS0_19identity_decomposerEEEEE10hipError_tT0_T1_T2_jT3_P12ihipStream_tbPNSt15iterator_traitsISG_E10value_typeEPNSM_ISH_E10value_typeEPSI_NS1_7vsmem_tEENKUlT_SG_SH_SI_E_clIS7_S7_S7_SB_EESF_SV_SG_SH_SI_EUlSV_E1_NS1_11comp_targetILNS1_3genE5ELNS1_11target_archE942ELNS1_3gpuE9ELNS1_3repE0EEENS1_36merge_oddeven_config_static_selectorELNS0_4arch9wavefront6targetE1EEEvSH_,"axG",@progbits,_ZN7rocprim17ROCPRIM_400000_NS6detail17trampoline_kernelINS0_14default_configENS1_38merge_sort_block_merge_config_selectorIllEEZZNS1_27merge_sort_block_merge_implIS3_PlN6thrust23THRUST_200600_302600_NS10device_ptrIlEEjNS1_19radix_merge_compareILb0ELb1ElNS0_19identity_decomposerEEEEE10hipError_tT0_T1_T2_jT3_P12ihipStream_tbPNSt15iterator_traitsISG_E10value_typeEPNSM_ISH_E10value_typeEPSI_NS1_7vsmem_tEENKUlT_SG_SH_SI_E_clIS7_S7_S7_SB_EESF_SV_SG_SH_SI_EUlSV_E1_NS1_11comp_targetILNS1_3genE5ELNS1_11target_archE942ELNS1_3gpuE9ELNS1_3repE0EEENS1_36merge_oddeven_config_static_selectorELNS0_4arch9wavefront6targetE1EEEvSH_,comdat
.Lfunc_end1084:
	.size	_ZN7rocprim17ROCPRIM_400000_NS6detail17trampoline_kernelINS0_14default_configENS1_38merge_sort_block_merge_config_selectorIllEEZZNS1_27merge_sort_block_merge_implIS3_PlN6thrust23THRUST_200600_302600_NS10device_ptrIlEEjNS1_19radix_merge_compareILb0ELb1ElNS0_19identity_decomposerEEEEE10hipError_tT0_T1_T2_jT3_P12ihipStream_tbPNSt15iterator_traitsISG_E10value_typeEPNSM_ISH_E10value_typeEPSI_NS1_7vsmem_tEENKUlT_SG_SH_SI_E_clIS7_S7_S7_SB_EESF_SV_SG_SH_SI_EUlSV_E1_NS1_11comp_targetILNS1_3genE5ELNS1_11target_archE942ELNS1_3gpuE9ELNS1_3repE0EEENS1_36merge_oddeven_config_static_selectorELNS0_4arch9wavefront6targetE1EEEvSH_, .Lfunc_end1084-_ZN7rocprim17ROCPRIM_400000_NS6detail17trampoline_kernelINS0_14default_configENS1_38merge_sort_block_merge_config_selectorIllEEZZNS1_27merge_sort_block_merge_implIS3_PlN6thrust23THRUST_200600_302600_NS10device_ptrIlEEjNS1_19radix_merge_compareILb0ELb1ElNS0_19identity_decomposerEEEEE10hipError_tT0_T1_T2_jT3_P12ihipStream_tbPNSt15iterator_traitsISG_E10value_typeEPNSM_ISH_E10value_typeEPSI_NS1_7vsmem_tEENKUlT_SG_SH_SI_E_clIS7_S7_S7_SB_EESF_SV_SG_SH_SI_EUlSV_E1_NS1_11comp_targetILNS1_3genE5ELNS1_11target_archE942ELNS1_3gpuE9ELNS1_3repE0EEENS1_36merge_oddeven_config_static_selectorELNS0_4arch9wavefront6targetE1EEEvSH_
                                        ; -- End function
	.set _ZN7rocprim17ROCPRIM_400000_NS6detail17trampoline_kernelINS0_14default_configENS1_38merge_sort_block_merge_config_selectorIllEEZZNS1_27merge_sort_block_merge_implIS3_PlN6thrust23THRUST_200600_302600_NS10device_ptrIlEEjNS1_19radix_merge_compareILb0ELb1ElNS0_19identity_decomposerEEEEE10hipError_tT0_T1_T2_jT3_P12ihipStream_tbPNSt15iterator_traitsISG_E10value_typeEPNSM_ISH_E10value_typeEPSI_NS1_7vsmem_tEENKUlT_SG_SH_SI_E_clIS7_S7_S7_SB_EESF_SV_SG_SH_SI_EUlSV_E1_NS1_11comp_targetILNS1_3genE5ELNS1_11target_archE942ELNS1_3gpuE9ELNS1_3repE0EEENS1_36merge_oddeven_config_static_selectorELNS0_4arch9wavefront6targetE1EEEvSH_.num_vgpr, 0
	.set _ZN7rocprim17ROCPRIM_400000_NS6detail17trampoline_kernelINS0_14default_configENS1_38merge_sort_block_merge_config_selectorIllEEZZNS1_27merge_sort_block_merge_implIS3_PlN6thrust23THRUST_200600_302600_NS10device_ptrIlEEjNS1_19radix_merge_compareILb0ELb1ElNS0_19identity_decomposerEEEEE10hipError_tT0_T1_T2_jT3_P12ihipStream_tbPNSt15iterator_traitsISG_E10value_typeEPNSM_ISH_E10value_typeEPSI_NS1_7vsmem_tEENKUlT_SG_SH_SI_E_clIS7_S7_S7_SB_EESF_SV_SG_SH_SI_EUlSV_E1_NS1_11comp_targetILNS1_3genE5ELNS1_11target_archE942ELNS1_3gpuE9ELNS1_3repE0EEENS1_36merge_oddeven_config_static_selectorELNS0_4arch9wavefront6targetE1EEEvSH_.num_agpr, 0
	.set _ZN7rocprim17ROCPRIM_400000_NS6detail17trampoline_kernelINS0_14default_configENS1_38merge_sort_block_merge_config_selectorIllEEZZNS1_27merge_sort_block_merge_implIS3_PlN6thrust23THRUST_200600_302600_NS10device_ptrIlEEjNS1_19radix_merge_compareILb0ELb1ElNS0_19identity_decomposerEEEEE10hipError_tT0_T1_T2_jT3_P12ihipStream_tbPNSt15iterator_traitsISG_E10value_typeEPNSM_ISH_E10value_typeEPSI_NS1_7vsmem_tEENKUlT_SG_SH_SI_E_clIS7_S7_S7_SB_EESF_SV_SG_SH_SI_EUlSV_E1_NS1_11comp_targetILNS1_3genE5ELNS1_11target_archE942ELNS1_3gpuE9ELNS1_3repE0EEENS1_36merge_oddeven_config_static_selectorELNS0_4arch9wavefront6targetE1EEEvSH_.numbered_sgpr, 0
	.set _ZN7rocprim17ROCPRIM_400000_NS6detail17trampoline_kernelINS0_14default_configENS1_38merge_sort_block_merge_config_selectorIllEEZZNS1_27merge_sort_block_merge_implIS3_PlN6thrust23THRUST_200600_302600_NS10device_ptrIlEEjNS1_19radix_merge_compareILb0ELb1ElNS0_19identity_decomposerEEEEE10hipError_tT0_T1_T2_jT3_P12ihipStream_tbPNSt15iterator_traitsISG_E10value_typeEPNSM_ISH_E10value_typeEPSI_NS1_7vsmem_tEENKUlT_SG_SH_SI_E_clIS7_S7_S7_SB_EESF_SV_SG_SH_SI_EUlSV_E1_NS1_11comp_targetILNS1_3genE5ELNS1_11target_archE942ELNS1_3gpuE9ELNS1_3repE0EEENS1_36merge_oddeven_config_static_selectorELNS0_4arch9wavefront6targetE1EEEvSH_.num_named_barrier, 0
	.set _ZN7rocprim17ROCPRIM_400000_NS6detail17trampoline_kernelINS0_14default_configENS1_38merge_sort_block_merge_config_selectorIllEEZZNS1_27merge_sort_block_merge_implIS3_PlN6thrust23THRUST_200600_302600_NS10device_ptrIlEEjNS1_19radix_merge_compareILb0ELb1ElNS0_19identity_decomposerEEEEE10hipError_tT0_T1_T2_jT3_P12ihipStream_tbPNSt15iterator_traitsISG_E10value_typeEPNSM_ISH_E10value_typeEPSI_NS1_7vsmem_tEENKUlT_SG_SH_SI_E_clIS7_S7_S7_SB_EESF_SV_SG_SH_SI_EUlSV_E1_NS1_11comp_targetILNS1_3genE5ELNS1_11target_archE942ELNS1_3gpuE9ELNS1_3repE0EEENS1_36merge_oddeven_config_static_selectorELNS0_4arch9wavefront6targetE1EEEvSH_.private_seg_size, 0
	.set _ZN7rocprim17ROCPRIM_400000_NS6detail17trampoline_kernelINS0_14default_configENS1_38merge_sort_block_merge_config_selectorIllEEZZNS1_27merge_sort_block_merge_implIS3_PlN6thrust23THRUST_200600_302600_NS10device_ptrIlEEjNS1_19radix_merge_compareILb0ELb1ElNS0_19identity_decomposerEEEEE10hipError_tT0_T1_T2_jT3_P12ihipStream_tbPNSt15iterator_traitsISG_E10value_typeEPNSM_ISH_E10value_typeEPSI_NS1_7vsmem_tEENKUlT_SG_SH_SI_E_clIS7_S7_S7_SB_EESF_SV_SG_SH_SI_EUlSV_E1_NS1_11comp_targetILNS1_3genE5ELNS1_11target_archE942ELNS1_3gpuE9ELNS1_3repE0EEENS1_36merge_oddeven_config_static_selectorELNS0_4arch9wavefront6targetE1EEEvSH_.uses_vcc, 0
	.set _ZN7rocprim17ROCPRIM_400000_NS6detail17trampoline_kernelINS0_14default_configENS1_38merge_sort_block_merge_config_selectorIllEEZZNS1_27merge_sort_block_merge_implIS3_PlN6thrust23THRUST_200600_302600_NS10device_ptrIlEEjNS1_19radix_merge_compareILb0ELb1ElNS0_19identity_decomposerEEEEE10hipError_tT0_T1_T2_jT3_P12ihipStream_tbPNSt15iterator_traitsISG_E10value_typeEPNSM_ISH_E10value_typeEPSI_NS1_7vsmem_tEENKUlT_SG_SH_SI_E_clIS7_S7_S7_SB_EESF_SV_SG_SH_SI_EUlSV_E1_NS1_11comp_targetILNS1_3genE5ELNS1_11target_archE942ELNS1_3gpuE9ELNS1_3repE0EEENS1_36merge_oddeven_config_static_selectorELNS0_4arch9wavefront6targetE1EEEvSH_.uses_flat_scratch, 0
	.set _ZN7rocprim17ROCPRIM_400000_NS6detail17trampoline_kernelINS0_14default_configENS1_38merge_sort_block_merge_config_selectorIllEEZZNS1_27merge_sort_block_merge_implIS3_PlN6thrust23THRUST_200600_302600_NS10device_ptrIlEEjNS1_19radix_merge_compareILb0ELb1ElNS0_19identity_decomposerEEEEE10hipError_tT0_T1_T2_jT3_P12ihipStream_tbPNSt15iterator_traitsISG_E10value_typeEPNSM_ISH_E10value_typeEPSI_NS1_7vsmem_tEENKUlT_SG_SH_SI_E_clIS7_S7_S7_SB_EESF_SV_SG_SH_SI_EUlSV_E1_NS1_11comp_targetILNS1_3genE5ELNS1_11target_archE942ELNS1_3gpuE9ELNS1_3repE0EEENS1_36merge_oddeven_config_static_selectorELNS0_4arch9wavefront6targetE1EEEvSH_.has_dyn_sized_stack, 0
	.set _ZN7rocprim17ROCPRIM_400000_NS6detail17trampoline_kernelINS0_14default_configENS1_38merge_sort_block_merge_config_selectorIllEEZZNS1_27merge_sort_block_merge_implIS3_PlN6thrust23THRUST_200600_302600_NS10device_ptrIlEEjNS1_19radix_merge_compareILb0ELb1ElNS0_19identity_decomposerEEEEE10hipError_tT0_T1_T2_jT3_P12ihipStream_tbPNSt15iterator_traitsISG_E10value_typeEPNSM_ISH_E10value_typeEPSI_NS1_7vsmem_tEENKUlT_SG_SH_SI_E_clIS7_S7_S7_SB_EESF_SV_SG_SH_SI_EUlSV_E1_NS1_11comp_targetILNS1_3genE5ELNS1_11target_archE942ELNS1_3gpuE9ELNS1_3repE0EEENS1_36merge_oddeven_config_static_selectorELNS0_4arch9wavefront6targetE1EEEvSH_.has_recursion, 0
	.set _ZN7rocprim17ROCPRIM_400000_NS6detail17trampoline_kernelINS0_14default_configENS1_38merge_sort_block_merge_config_selectorIllEEZZNS1_27merge_sort_block_merge_implIS3_PlN6thrust23THRUST_200600_302600_NS10device_ptrIlEEjNS1_19radix_merge_compareILb0ELb1ElNS0_19identity_decomposerEEEEE10hipError_tT0_T1_T2_jT3_P12ihipStream_tbPNSt15iterator_traitsISG_E10value_typeEPNSM_ISH_E10value_typeEPSI_NS1_7vsmem_tEENKUlT_SG_SH_SI_E_clIS7_S7_S7_SB_EESF_SV_SG_SH_SI_EUlSV_E1_NS1_11comp_targetILNS1_3genE5ELNS1_11target_archE942ELNS1_3gpuE9ELNS1_3repE0EEENS1_36merge_oddeven_config_static_selectorELNS0_4arch9wavefront6targetE1EEEvSH_.has_indirect_call, 0
	.section	.AMDGPU.csdata,"",@progbits
; Kernel info:
; codeLenInByte = 0
; TotalNumSgprs: 4
; NumVgprs: 0
; ScratchSize: 0
; MemoryBound: 0
; FloatMode: 240
; IeeeMode: 1
; LDSByteSize: 0 bytes/workgroup (compile time only)
; SGPRBlocks: 0
; VGPRBlocks: 0
; NumSGPRsForWavesPerEU: 4
; NumVGPRsForWavesPerEU: 1
; Occupancy: 10
; WaveLimiterHint : 0
; COMPUTE_PGM_RSRC2:SCRATCH_EN: 0
; COMPUTE_PGM_RSRC2:USER_SGPR: 6
; COMPUTE_PGM_RSRC2:TRAP_HANDLER: 0
; COMPUTE_PGM_RSRC2:TGID_X_EN: 1
; COMPUTE_PGM_RSRC2:TGID_Y_EN: 0
; COMPUTE_PGM_RSRC2:TGID_Z_EN: 0
; COMPUTE_PGM_RSRC2:TIDIG_COMP_CNT: 0
	.section	.text._ZN7rocprim17ROCPRIM_400000_NS6detail17trampoline_kernelINS0_14default_configENS1_38merge_sort_block_merge_config_selectorIllEEZZNS1_27merge_sort_block_merge_implIS3_PlN6thrust23THRUST_200600_302600_NS10device_ptrIlEEjNS1_19radix_merge_compareILb0ELb1ElNS0_19identity_decomposerEEEEE10hipError_tT0_T1_T2_jT3_P12ihipStream_tbPNSt15iterator_traitsISG_E10value_typeEPNSM_ISH_E10value_typeEPSI_NS1_7vsmem_tEENKUlT_SG_SH_SI_E_clIS7_S7_S7_SB_EESF_SV_SG_SH_SI_EUlSV_E1_NS1_11comp_targetILNS1_3genE4ELNS1_11target_archE910ELNS1_3gpuE8ELNS1_3repE0EEENS1_36merge_oddeven_config_static_selectorELNS0_4arch9wavefront6targetE1EEEvSH_,"axG",@progbits,_ZN7rocprim17ROCPRIM_400000_NS6detail17trampoline_kernelINS0_14default_configENS1_38merge_sort_block_merge_config_selectorIllEEZZNS1_27merge_sort_block_merge_implIS3_PlN6thrust23THRUST_200600_302600_NS10device_ptrIlEEjNS1_19radix_merge_compareILb0ELb1ElNS0_19identity_decomposerEEEEE10hipError_tT0_T1_T2_jT3_P12ihipStream_tbPNSt15iterator_traitsISG_E10value_typeEPNSM_ISH_E10value_typeEPSI_NS1_7vsmem_tEENKUlT_SG_SH_SI_E_clIS7_S7_S7_SB_EESF_SV_SG_SH_SI_EUlSV_E1_NS1_11comp_targetILNS1_3genE4ELNS1_11target_archE910ELNS1_3gpuE8ELNS1_3repE0EEENS1_36merge_oddeven_config_static_selectorELNS0_4arch9wavefront6targetE1EEEvSH_,comdat
	.protected	_ZN7rocprim17ROCPRIM_400000_NS6detail17trampoline_kernelINS0_14default_configENS1_38merge_sort_block_merge_config_selectorIllEEZZNS1_27merge_sort_block_merge_implIS3_PlN6thrust23THRUST_200600_302600_NS10device_ptrIlEEjNS1_19radix_merge_compareILb0ELb1ElNS0_19identity_decomposerEEEEE10hipError_tT0_T1_T2_jT3_P12ihipStream_tbPNSt15iterator_traitsISG_E10value_typeEPNSM_ISH_E10value_typeEPSI_NS1_7vsmem_tEENKUlT_SG_SH_SI_E_clIS7_S7_S7_SB_EESF_SV_SG_SH_SI_EUlSV_E1_NS1_11comp_targetILNS1_3genE4ELNS1_11target_archE910ELNS1_3gpuE8ELNS1_3repE0EEENS1_36merge_oddeven_config_static_selectorELNS0_4arch9wavefront6targetE1EEEvSH_ ; -- Begin function _ZN7rocprim17ROCPRIM_400000_NS6detail17trampoline_kernelINS0_14default_configENS1_38merge_sort_block_merge_config_selectorIllEEZZNS1_27merge_sort_block_merge_implIS3_PlN6thrust23THRUST_200600_302600_NS10device_ptrIlEEjNS1_19radix_merge_compareILb0ELb1ElNS0_19identity_decomposerEEEEE10hipError_tT0_T1_T2_jT3_P12ihipStream_tbPNSt15iterator_traitsISG_E10value_typeEPNSM_ISH_E10value_typeEPSI_NS1_7vsmem_tEENKUlT_SG_SH_SI_E_clIS7_S7_S7_SB_EESF_SV_SG_SH_SI_EUlSV_E1_NS1_11comp_targetILNS1_3genE4ELNS1_11target_archE910ELNS1_3gpuE8ELNS1_3repE0EEENS1_36merge_oddeven_config_static_selectorELNS0_4arch9wavefront6targetE1EEEvSH_
	.globl	_ZN7rocprim17ROCPRIM_400000_NS6detail17trampoline_kernelINS0_14default_configENS1_38merge_sort_block_merge_config_selectorIllEEZZNS1_27merge_sort_block_merge_implIS3_PlN6thrust23THRUST_200600_302600_NS10device_ptrIlEEjNS1_19radix_merge_compareILb0ELb1ElNS0_19identity_decomposerEEEEE10hipError_tT0_T1_T2_jT3_P12ihipStream_tbPNSt15iterator_traitsISG_E10value_typeEPNSM_ISH_E10value_typeEPSI_NS1_7vsmem_tEENKUlT_SG_SH_SI_E_clIS7_S7_S7_SB_EESF_SV_SG_SH_SI_EUlSV_E1_NS1_11comp_targetILNS1_3genE4ELNS1_11target_archE910ELNS1_3gpuE8ELNS1_3repE0EEENS1_36merge_oddeven_config_static_selectorELNS0_4arch9wavefront6targetE1EEEvSH_
	.p2align	8
	.type	_ZN7rocprim17ROCPRIM_400000_NS6detail17trampoline_kernelINS0_14default_configENS1_38merge_sort_block_merge_config_selectorIllEEZZNS1_27merge_sort_block_merge_implIS3_PlN6thrust23THRUST_200600_302600_NS10device_ptrIlEEjNS1_19radix_merge_compareILb0ELb1ElNS0_19identity_decomposerEEEEE10hipError_tT0_T1_T2_jT3_P12ihipStream_tbPNSt15iterator_traitsISG_E10value_typeEPNSM_ISH_E10value_typeEPSI_NS1_7vsmem_tEENKUlT_SG_SH_SI_E_clIS7_S7_S7_SB_EESF_SV_SG_SH_SI_EUlSV_E1_NS1_11comp_targetILNS1_3genE4ELNS1_11target_archE910ELNS1_3gpuE8ELNS1_3repE0EEENS1_36merge_oddeven_config_static_selectorELNS0_4arch9wavefront6targetE1EEEvSH_,@function
_ZN7rocprim17ROCPRIM_400000_NS6detail17trampoline_kernelINS0_14default_configENS1_38merge_sort_block_merge_config_selectorIllEEZZNS1_27merge_sort_block_merge_implIS3_PlN6thrust23THRUST_200600_302600_NS10device_ptrIlEEjNS1_19radix_merge_compareILb0ELb1ElNS0_19identity_decomposerEEEEE10hipError_tT0_T1_T2_jT3_P12ihipStream_tbPNSt15iterator_traitsISG_E10value_typeEPNSM_ISH_E10value_typeEPSI_NS1_7vsmem_tEENKUlT_SG_SH_SI_E_clIS7_S7_S7_SB_EESF_SV_SG_SH_SI_EUlSV_E1_NS1_11comp_targetILNS1_3genE4ELNS1_11target_archE910ELNS1_3gpuE8ELNS1_3repE0EEENS1_36merge_oddeven_config_static_selectorELNS0_4arch9wavefront6targetE1EEEvSH_: ; @_ZN7rocprim17ROCPRIM_400000_NS6detail17trampoline_kernelINS0_14default_configENS1_38merge_sort_block_merge_config_selectorIllEEZZNS1_27merge_sort_block_merge_implIS3_PlN6thrust23THRUST_200600_302600_NS10device_ptrIlEEjNS1_19radix_merge_compareILb0ELb1ElNS0_19identity_decomposerEEEEE10hipError_tT0_T1_T2_jT3_P12ihipStream_tbPNSt15iterator_traitsISG_E10value_typeEPNSM_ISH_E10value_typeEPSI_NS1_7vsmem_tEENKUlT_SG_SH_SI_E_clIS7_S7_S7_SB_EESF_SV_SG_SH_SI_EUlSV_E1_NS1_11comp_targetILNS1_3genE4ELNS1_11target_archE910ELNS1_3gpuE8ELNS1_3repE0EEENS1_36merge_oddeven_config_static_selectorELNS0_4arch9wavefront6targetE1EEEvSH_
; %bb.0:
	.section	.rodata,"a",@progbits
	.p2align	6, 0x0
	.amdhsa_kernel _ZN7rocprim17ROCPRIM_400000_NS6detail17trampoline_kernelINS0_14default_configENS1_38merge_sort_block_merge_config_selectorIllEEZZNS1_27merge_sort_block_merge_implIS3_PlN6thrust23THRUST_200600_302600_NS10device_ptrIlEEjNS1_19radix_merge_compareILb0ELb1ElNS0_19identity_decomposerEEEEE10hipError_tT0_T1_T2_jT3_P12ihipStream_tbPNSt15iterator_traitsISG_E10value_typeEPNSM_ISH_E10value_typeEPSI_NS1_7vsmem_tEENKUlT_SG_SH_SI_E_clIS7_S7_S7_SB_EESF_SV_SG_SH_SI_EUlSV_E1_NS1_11comp_targetILNS1_3genE4ELNS1_11target_archE910ELNS1_3gpuE8ELNS1_3repE0EEENS1_36merge_oddeven_config_static_selectorELNS0_4arch9wavefront6targetE1EEEvSH_
		.amdhsa_group_segment_fixed_size 0
		.amdhsa_private_segment_fixed_size 0
		.amdhsa_kernarg_size 48
		.amdhsa_user_sgpr_count 6
		.amdhsa_user_sgpr_private_segment_buffer 1
		.amdhsa_user_sgpr_dispatch_ptr 0
		.amdhsa_user_sgpr_queue_ptr 0
		.amdhsa_user_sgpr_kernarg_segment_ptr 1
		.amdhsa_user_sgpr_dispatch_id 0
		.amdhsa_user_sgpr_flat_scratch_init 0
		.amdhsa_user_sgpr_private_segment_size 0
		.amdhsa_uses_dynamic_stack 0
		.amdhsa_system_sgpr_private_segment_wavefront_offset 0
		.amdhsa_system_sgpr_workgroup_id_x 1
		.amdhsa_system_sgpr_workgroup_id_y 0
		.amdhsa_system_sgpr_workgroup_id_z 0
		.amdhsa_system_sgpr_workgroup_info 0
		.amdhsa_system_vgpr_workitem_id 0
		.amdhsa_next_free_vgpr 1
		.amdhsa_next_free_sgpr 0
		.amdhsa_reserve_vcc 0
		.amdhsa_reserve_flat_scratch 0
		.amdhsa_float_round_mode_32 0
		.amdhsa_float_round_mode_16_64 0
		.amdhsa_float_denorm_mode_32 3
		.amdhsa_float_denorm_mode_16_64 3
		.amdhsa_dx10_clamp 1
		.amdhsa_ieee_mode 1
		.amdhsa_fp16_overflow 0
		.amdhsa_exception_fp_ieee_invalid_op 0
		.amdhsa_exception_fp_denorm_src 0
		.amdhsa_exception_fp_ieee_div_zero 0
		.amdhsa_exception_fp_ieee_overflow 0
		.amdhsa_exception_fp_ieee_underflow 0
		.amdhsa_exception_fp_ieee_inexact 0
		.amdhsa_exception_int_div_zero 0
	.end_amdhsa_kernel
	.section	.text._ZN7rocprim17ROCPRIM_400000_NS6detail17trampoline_kernelINS0_14default_configENS1_38merge_sort_block_merge_config_selectorIllEEZZNS1_27merge_sort_block_merge_implIS3_PlN6thrust23THRUST_200600_302600_NS10device_ptrIlEEjNS1_19radix_merge_compareILb0ELb1ElNS0_19identity_decomposerEEEEE10hipError_tT0_T1_T2_jT3_P12ihipStream_tbPNSt15iterator_traitsISG_E10value_typeEPNSM_ISH_E10value_typeEPSI_NS1_7vsmem_tEENKUlT_SG_SH_SI_E_clIS7_S7_S7_SB_EESF_SV_SG_SH_SI_EUlSV_E1_NS1_11comp_targetILNS1_3genE4ELNS1_11target_archE910ELNS1_3gpuE8ELNS1_3repE0EEENS1_36merge_oddeven_config_static_selectorELNS0_4arch9wavefront6targetE1EEEvSH_,"axG",@progbits,_ZN7rocprim17ROCPRIM_400000_NS6detail17trampoline_kernelINS0_14default_configENS1_38merge_sort_block_merge_config_selectorIllEEZZNS1_27merge_sort_block_merge_implIS3_PlN6thrust23THRUST_200600_302600_NS10device_ptrIlEEjNS1_19radix_merge_compareILb0ELb1ElNS0_19identity_decomposerEEEEE10hipError_tT0_T1_T2_jT3_P12ihipStream_tbPNSt15iterator_traitsISG_E10value_typeEPNSM_ISH_E10value_typeEPSI_NS1_7vsmem_tEENKUlT_SG_SH_SI_E_clIS7_S7_S7_SB_EESF_SV_SG_SH_SI_EUlSV_E1_NS1_11comp_targetILNS1_3genE4ELNS1_11target_archE910ELNS1_3gpuE8ELNS1_3repE0EEENS1_36merge_oddeven_config_static_selectorELNS0_4arch9wavefront6targetE1EEEvSH_,comdat
.Lfunc_end1085:
	.size	_ZN7rocprim17ROCPRIM_400000_NS6detail17trampoline_kernelINS0_14default_configENS1_38merge_sort_block_merge_config_selectorIllEEZZNS1_27merge_sort_block_merge_implIS3_PlN6thrust23THRUST_200600_302600_NS10device_ptrIlEEjNS1_19radix_merge_compareILb0ELb1ElNS0_19identity_decomposerEEEEE10hipError_tT0_T1_T2_jT3_P12ihipStream_tbPNSt15iterator_traitsISG_E10value_typeEPNSM_ISH_E10value_typeEPSI_NS1_7vsmem_tEENKUlT_SG_SH_SI_E_clIS7_S7_S7_SB_EESF_SV_SG_SH_SI_EUlSV_E1_NS1_11comp_targetILNS1_3genE4ELNS1_11target_archE910ELNS1_3gpuE8ELNS1_3repE0EEENS1_36merge_oddeven_config_static_selectorELNS0_4arch9wavefront6targetE1EEEvSH_, .Lfunc_end1085-_ZN7rocprim17ROCPRIM_400000_NS6detail17trampoline_kernelINS0_14default_configENS1_38merge_sort_block_merge_config_selectorIllEEZZNS1_27merge_sort_block_merge_implIS3_PlN6thrust23THRUST_200600_302600_NS10device_ptrIlEEjNS1_19radix_merge_compareILb0ELb1ElNS0_19identity_decomposerEEEEE10hipError_tT0_T1_T2_jT3_P12ihipStream_tbPNSt15iterator_traitsISG_E10value_typeEPNSM_ISH_E10value_typeEPSI_NS1_7vsmem_tEENKUlT_SG_SH_SI_E_clIS7_S7_S7_SB_EESF_SV_SG_SH_SI_EUlSV_E1_NS1_11comp_targetILNS1_3genE4ELNS1_11target_archE910ELNS1_3gpuE8ELNS1_3repE0EEENS1_36merge_oddeven_config_static_selectorELNS0_4arch9wavefront6targetE1EEEvSH_
                                        ; -- End function
	.set _ZN7rocprim17ROCPRIM_400000_NS6detail17trampoline_kernelINS0_14default_configENS1_38merge_sort_block_merge_config_selectorIllEEZZNS1_27merge_sort_block_merge_implIS3_PlN6thrust23THRUST_200600_302600_NS10device_ptrIlEEjNS1_19radix_merge_compareILb0ELb1ElNS0_19identity_decomposerEEEEE10hipError_tT0_T1_T2_jT3_P12ihipStream_tbPNSt15iterator_traitsISG_E10value_typeEPNSM_ISH_E10value_typeEPSI_NS1_7vsmem_tEENKUlT_SG_SH_SI_E_clIS7_S7_S7_SB_EESF_SV_SG_SH_SI_EUlSV_E1_NS1_11comp_targetILNS1_3genE4ELNS1_11target_archE910ELNS1_3gpuE8ELNS1_3repE0EEENS1_36merge_oddeven_config_static_selectorELNS0_4arch9wavefront6targetE1EEEvSH_.num_vgpr, 0
	.set _ZN7rocprim17ROCPRIM_400000_NS6detail17trampoline_kernelINS0_14default_configENS1_38merge_sort_block_merge_config_selectorIllEEZZNS1_27merge_sort_block_merge_implIS3_PlN6thrust23THRUST_200600_302600_NS10device_ptrIlEEjNS1_19radix_merge_compareILb0ELb1ElNS0_19identity_decomposerEEEEE10hipError_tT0_T1_T2_jT3_P12ihipStream_tbPNSt15iterator_traitsISG_E10value_typeEPNSM_ISH_E10value_typeEPSI_NS1_7vsmem_tEENKUlT_SG_SH_SI_E_clIS7_S7_S7_SB_EESF_SV_SG_SH_SI_EUlSV_E1_NS1_11comp_targetILNS1_3genE4ELNS1_11target_archE910ELNS1_3gpuE8ELNS1_3repE0EEENS1_36merge_oddeven_config_static_selectorELNS0_4arch9wavefront6targetE1EEEvSH_.num_agpr, 0
	.set _ZN7rocprim17ROCPRIM_400000_NS6detail17trampoline_kernelINS0_14default_configENS1_38merge_sort_block_merge_config_selectorIllEEZZNS1_27merge_sort_block_merge_implIS3_PlN6thrust23THRUST_200600_302600_NS10device_ptrIlEEjNS1_19radix_merge_compareILb0ELb1ElNS0_19identity_decomposerEEEEE10hipError_tT0_T1_T2_jT3_P12ihipStream_tbPNSt15iterator_traitsISG_E10value_typeEPNSM_ISH_E10value_typeEPSI_NS1_7vsmem_tEENKUlT_SG_SH_SI_E_clIS7_S7_S7_SB_EESF_SV_SG_SH_SI_EUlSV_E1_NS1_11comp_targetILNS1_3genE4ELNS1_11target_archE910ELNS1_3gpuE8ELNS1_3repE0EEENS1_36merge_oddeven_config_static_selectorELNS0_4arch9wavefront6targetE1EEEvSH_.numbered_sgpr, 0
	.set _ZN7rocprim17ROCPRIM_400000_NS6detail17trampoline_kernelINS0_14default_configENS1_38merge_sort_block_merge_config_selectorIllEEZZNS1_27merge_sort_block_merge_implIS3_PlN6thrust23THRUST_200600_302600_NS10device_ptrIlEEjNS1_19radix_merge_compareILb0ELb1ElNS0_19identity_decomposerEEEEE10hipError_tT0_T1_T2_jT3_P12ihipStream_tbPNSt15iterator_traitsISG_E10value_typeEPNSM_ISH_E10value_typeEPSI_NS1_7vsmem_tEENKUlT_SG_SH_SI_E_clIS7_S7_S7_SB_EESF_SV_SG_SH_SI_EUlSV_E1_NS1_11comp_targetILNS1_3genE4ELNS1_11target_archE910ELNS1_3gpuE8ELNS1_3repE0EEENS1_36merge_oddeven_config_static_selectorELNS0_4arch9wavefront6targetE1EEEvSH_.num_named_barrier, 0
	.set _ZN7rocprim17ROCPRIM_400000_NS6detail17trampoline_kernelINS0_14default_configENS1_38merge_sort_block_merge_config_selectorIllEEZZNS1_27merge_sort_block_merge_implIS3_PlN6thrust23THRUST_200600_302600_NS10device_ptrIlEEjNS1_19radix_merge_compareILb0ELb1ElNS0_19identity_decomposerEEEEE10hipError_tT0_T1_T2_jT3_P12ihipStream_tbPNSt15iterator_traitsISG_E10value_typeEPNSM_ISH_E10value_typeEPSI_NS1_7vsmem_tEENKUlT_SG_SH_SI_E_clIS7_S7_S7_SB_EESF_SV_SG_SH_SI_EUlSV_E1_NS1_11comp_targetILNS1_3genE4ELNS1_11target_archE910ELNS1_3gpuE8ELNS1_3repE0EEENS1_36merge_oddeven_config_static_selectorELNS0_4arch9wavefront6targetE1EEEvSH_.private_seg_size, 0
	.set _ZN7rocprim17ROCPRIM_400000_NS6detail17trampoline_kernelINS0_14default_configENS1_38merge_sort_block_merge_config_selectorIllEEZZNS1_27merge_sort_block_merge_implIS3_PlN6thrust23THRUST_200600_302600_NS10device_ptrIlEEjNS1_19radix_merge_compareILb0ELb1ElNS0_19identity_decomposerEEEEE10hipError_tT0_T1_T2_jT3_P12ihipStream_tbPNSt15iterator_traitsISG_E10value_typeEPNSM_ISH_E10value_typeEPSI_NS1_7vsmem_tEENKUlT_SG_SH_SI_E_clIS7_S7_S7_SB_EESF_SV_SG_SH_SI_EUlSV_E1_NS1_11comp_targetILNS1_3genE4ELNS1_11target_archE910ELNS1_3gpuE8ELNS1_3repE0EEENS1_36merge_oddeven_config_static_selectorELNS0_4arch9wavefront6targetE1EEEvSH_.uses_vcc, 0
	.set _ZN7rocprim17ROCPRIM_400000_NS6detail17trampoline_kernelINS0_14default_configENS1_38merge_sort_block_merge_config_selectorIllEEZZNS1_27merge_sort_block_merge_implIS3_PlN6thrust23THRUST_200600_302600_NS10device_ptrIlEEjNS1_19radix_merge_compareILb0ELb1ElNS0_19identity_decomposerEEEEE10hipError_tT0_T1_T2_jT3_P12ihipStream_tbPNSt15iterator_traitsISG_E10value_typeEPNSM_ISH_E10value_typeEPSI_NS1_7vsmem_tEENKUlT_SG_SH_SI_E_clIS7_S7_S7_SB_EESF_SV_SG_SH_SI_EUlSV_E1_NS1_11comp_targetILNS1_3genE4ELNS1_11target_archE910ELNS1_3gpuE8ELNS1_3repE0EEENS1_36merge_oddeven_config_static_selectorELNS0_4arch9wavefront6targetE1EEEvSH_.uses_flat_scratch, 0
	.set _ZN7rocprim17ROCPRIM_400000_NS6detail17trampoline_kernelINS0_14default_configENS1_38merge_sort_block_merge_config_selectorIllEEZZNS1_27merge_sort_block_merge_implIS3_PlN6thrust23THRUST_200600_302600_NS10device_ptrIlEEjNS1_19radix_merge_compareILb0ELb1ElNS0_19identity_decomposerEEEEE10hipError_tT0_T1_T2_jT3_P12ihipStream_tbPNSt15iterator_traitsISG_E10value_typeEPNSM_ISH_E10value_typeEPSI_NS1_7vsmem_tEENKUlT_SG_SH_SI_E_clIS7_S7_S7_SB_EESF_SV_SG_SH_SI_EUlSV_E1_NS1_11comp_targetILNS1_3genE4ELNS1_11target_archE910ELNS1_3gpuE8ELNS1_3repE0EEENS1_36merge_oddeven_config_static_selectorELNS0_4arch9wavefront6targetE1EEEvSH_.has_dyn_sized_stack, 0
	.set _ZN7rocprim17ROCPRIM_400000_NS6detail17trampoline_kernelINS0_14default_configENS1_38merge_sort_block_merge_config_selectorIllEEZZNS1_27merge_sort_block_merge_implIS3_PlN6thrust23THRUST_200600_302600_NS10device_ptrIlEEjNS1_19radix_merge_compareILb0ELb1ElNS0_19identity_decomposerEEEEE10hipError_tT0_T1_T2_jT3_P12ihipStream_tbPNSt15iterator_traitsISG_E10value_typeEPNSM_ISH_E10value_typeEPSI_NS1_7vsmem_tEENKUlT_SG_SH_SI_E_clIS7_S7_S7_SB_EESF_SV_SG_SH_SI_EUlSV_E1_NS1_11comp_targetILNS1_3genE4ELNS1_11target_archE910ELNS1_3gpuE8ELNS1_3repE0EEENS1_36merge_oddeven_config_static_selectorELNS0_4arch9wavefront6targetE1EEEvSH_.has_recursion, 0
	.set _ZN7rocprim17ROCPRIM_400000_NS6detail17trampoline_kernelINS0_14default_configENS1_38merge_sort_block_merge_config_selectorIllEEZZNS1_27merge_sort_block_merge_implIS3_PlN6thrust23THRUST_200600_302600_NS10device_ptrIlEEjNS1_19radix_merge_compareILb0ELb1ElNS0_19identity_decomposerEEEEE10hipError_tT0_T1_T2_jT3_P12ihipStream_tbPNSt15iterator_traitsISG_E10value_typeEPNSM_ISH_E10value_typeEPSI_NS1_7vsmem_tEENKUlT_SG_SH_SI_E_clIS7_S7_S7_SB_EESF_SV_SG_SH_SI_EUlSV_E1_NS1_11comp_targetILNS1_3genE4ELNS1_11target_archE910ELNS1_3gpuE8ELNS1_3repE0EEENS1_36merge_oddeven_config_static_selectorELNS0_4arch9wavefront6targetE1EEEvSH_.has_indirect_call, 0
	.section	.AMDGPU.csdata,"",@progbits
; Kernel info:
; codeLenInByte = 0
; TotalNumSgprs: 4
; NumVgprs: 0
; ScratchSize: 0
; MemoryBound: 0
; FloatMode: 240
; IeeeMode: 1
; LDSByteSize: 0 bytes/workgroup (compile time only)
; SGPRBlocks: 0
; VGPRBlocks: 0
; NumSGPRsForWavesPerEU: 4
; NumVGPRsForWavesPerEU: 1
; Occupancy: 10
; WaveLimiterHint : 0
; COMPUTE_PGM_RSRC2:SCRATCH_EN: 0
; COMPUTE_PGM_RSRC2:USER_SGPR: 6
; COMPUTE_PGM_RSRC2:TRAP_HANDLER: 0
; COMPUTE_PGM_RSRC2:TGID_X_EN: 1
; COMPUTE_PGM_RSRC2:TGID_Y_EN: 0
; COMPUTE_PGM_RSRC2:TGID_Z_EN: 0
; COMPUTE_PGM_RSRC2:TIDIG_COMP_CNT: 0
	.section	.text._ZN7rocprim17ROCPRIM_400000_NS6detail17trampoline_kernelINS0_14default_configENS1_38merge_sort_block_merge_config_selectorIllEEZZNS1_27merge_sort_block_merge_implIS3_PlN6thrust23THRUST_200600_302600_NS10device_ptrIlEEjNS1_19radix_merge_compareILb0ELb1ElNS0_19identity_decomposerEEEEE10hipError_tT0_T1_T2_jT3_P12ihipStream_tbPNSt15iterator_traitsISG_E10value_typeEPNSM_ISH_E10value_typeEPSI_NS1_7vsmem_tEENKUlT_SG_SH_SI_E_clIS7_S7_S7_SB_EESF_SV_SG_SH_SI_EUlSV_E1_NS1_11comp_targetILNS1_3genE3ELNS1_11target_archE908ELNS1_3gpuE7ELNS1_3repE0EEENS1_36merge_oddeven_config_static_selectorELNS0_4arch9wavefront6targetE1EEEvSH_,"axG",@progbits,_ZN7rocprim17ROCPRIM_400000_NS6detail17trampoline_kernelINS0_14default_configENS1_38merge_sort_block_merge_config_selectorIllEEZZNS1_27merge_sort_block_merge_implIS3_PlN6thrust23THRUST_200600_302600_NS10device_ptrIlEEjNS1_19radix_merge_compareILb0ELb1ElNS0_19identity_decomposerEEEEE10hipError_tT0_T1_T2_jT3_P12ihipStream_tbPNSt15iterator_traitsISG_E10value_typeEPNSM_ISH_E10value_typeEPSI_NS1_7vsmem_tEENKUlT_SG_SH_SI_E_clIS7_S7_S7_SB_EESF_SV_SG_SH_SI_EUlSV_E1_NS1_11comp_targetILNS1_3genE3ELNS1_11target_archE908ELNS1_3gpuE7ELNS1_3repE0EEENS1_36merge_oddeven_config_static_selectorELNS0_4arch9wavefront6targetE1EEEvSH_,comdat
	.protected	_ZN7rocprim17ROCPRIM_400000_NS6detail17trampoline_kernelINS0_14default_configENS1_38merge_sort_block_merge_config_selectorIllEEZZNS1_27merge_sort_block_merge_implIS3_PlN6thrust23THRUST_200600_302600_NS10device_ptrIlEEjNS1_19radix_merge_compareILb0ELb1ElNS0_19identity_decomposerEEEEE10hipError_tT0_T1_T2_jT3_P12ihipStream_tbPNSt15iterator_traitsISG_E10value_typeEPNSM_ISH_E10value_typeEPSI_NS1_7vsmem_tEENKUlT_SG_SH_SI_E_clIS7_S7_S7_SB_EESF_SV_SG_SH_SI_EUlSV_E1_NS1_11comp_targetILNS1_3genE3ELNS1_11target_archE908ELNS1_3gpuE7ELNS1_3repE0EEENS1_36merge_oddeven_config_static_selectorELNS0_4arch9wavefront6targetE1EEEvSH_ ; -- Begin function _ZN7rocprim17ROCPRIM_400000_NS6detail17trampoline_kernelINS0_14default_configENS1_38merge_sort_block_merge_config_selectorIllEEZZNS1_27merge_sort_block_merge_implIS3_PlN6thrust23THRUST_200600_302600_NS10device_ptrIlEEjNS1_19radix_merge_compareILb0ELb1ElNS0_19identity_decomposerEEEEE10hipError_tT0_T1_T2_jT3_P12ihipStream_tbPNSt15iterator_traitsISG_E10value_typeEPNSM_ISH_E10value_typeEPSI_NS1_7vsmem_tEENKUlT_SG_SH_SI_E_clIS7_S7_S7_SB_EESF_SV_SG_SH_SI_EUlSV_E1_NS1_11comp_targetILNS1_3genE3ELNS1_11target_archE908ELNS1_3gpuE7ELNS1_3repE0EEENS1_36merge_oddeven_config_static_selectorELNS0_4arch9wavefront6targetE1EEEvSH_
	.globl	_ZN7rocprim17ROCPRIM_400000_NS6detail17trampoline_kernelINS0_14default_configENS1_38merge_sort_block_merge_config_selectorIllEEZZNS1_27merge_sort_block_merge_implIS3_PlN6thrust23THRUST_200600_302600_NS10device_ptrIlEEjNS1_19radix_merge_compareILb0ELb1ElNS0_19identity_decomposerEEEEE10hipError_tT0_T1_T2_jT3_P12ihipStream_tbPNSt15iterator_traitsISG_E10value_typeEPNSM_ISH_E10value_typeEPSI_NS1_7vsmem_tEENKUlT_SG_SH_SI_E_clIS7_S7_S7_SB_EESF_SV_SG_SH_SI_EUlSV_E1_NS1_11comp_targetILNS1_3genE3ELNS1_11target_archE908ELNS1_3gpuE7ELNS1_3repE0EEENS1_36merge_oddeven_config_static_selectorELNS0_4arch9wavefront6targetE1EEEvSH_
	.p2align	8
	.type	_ZN7rocprim17ROCPRIM_400000_NS6detail17trampoline_kernelINS0_14default_configENS1_38merge_sort_block_merge_config_selectorIllEEZZNS1_27merge_sort_block_merge_implIS3_PlN6thrust23THRUST_200600_302600_NS10device_ptrIlEEjNS1_19radix_merge_compareILb0ELb1ElNS0_19identity_decomposerEEEEE10hipError_tT0_T1_T2_jT3_P12ihipStream_tbPNSt15iterator_traitsISG_E10value_typeEPNSM_ISH_E10value_typeEPSI_NS1_7vsmem_tEENKUlT_SG_SH_SI_E_clIS7_S7_S7_SB_EESF_SV_SG_SH_SI_EUlSV_E1_NS1_11comp_targetILNS1_3genE3ELNS1_11target_archE908ELNS1_3gpuE7ELNS1_3repE0EEENS1_36merge_oddeven_config_static_selectorELNS0_4arch9wavefront6targetE1EEEvSH_,@function
_ZN7rocprim17ROCPRIM_400000_NS6detail17trampoline_kernelINS0_14default_configENS1_38merge_sort_block_merge_config_selectorIllEEZZNS1_27merge_sort_block_merge_implIS3_PlN6thrust23THRUST_200600_302600_NS10device_ptrIlEEjNS1_19radix_merge_compareILb0ELb1ElNS0_19identity_decomposerEEEEE10hipError_tT0_T1_T2_jT3_P12ihipStream_tbPNSt15iterator_traitsISG_E10value_typeEPNSM_ISH_E10value_typeEPSI_NS1_7vsmem_tEENKUlT_SG_SH_SI_E_clIS7_S7_S7_SB_EESF_SV_SG_SH_SI_EUlSV_E1_NS1_11comp_targetILNS1_3genE3ELNS1_11target_archE908ELNS1_3gpuE7ELNS1_3repE0EEENS1_36merge_oddeven_config_static_selectorELNS0_4arch9wavefront6targetE1EEEvSH_: ; @_ZN7rocprim17ROCPRIM_400000_NS6detail17trampoline_kernelINS0_14default_configENS1_38merge_sort_block_merge_config_selectorIllEEZZNS1_27merge_sort_block_merge_implIS3_PlN6thrust23THRUST_200600_302600_NS10device_ptrIlEEjNS1_19radix_merge_compareILb0ELb1ElNS0_19identity_decomposerEEEEE10hipError_tT0_T1_T2_jT3_P12ihipStream_tbPNSt15iterator_traitsISG_E10value_typeEPNSM_ISH_E10value_typeEPSI_NS1_7vsmem_tEENKUlT_SG_SH_SI_E_clIS7_S7_S7_SB_EESF_SV_SG_SH_SI_EUlSV_E1_NS1_11comp_targetILNS1_3genE3ELNS1_11target_archE908ELNS1_3gpuE7ELNS1_3repE0EEENS1_36merge_oddeven_config_static_selectorELNS0_4arch9wavefront6targetE1EEEvSH_
; %bb.0:
	.section	.rodata,"a",@progbits
	.p2align	6, 0x0
	.amdhsa_kernel _ZN7rocprim17ROCPRIM_400000_NS6detail17trampoline_kernelINS0_14default_configENS1_38merge_sort_block_merge_config_selectorIllEEZZNS1_27merge_sort_block_merge_implIS3_PlN6thrust23THRUST_200600_302600_NS10device_ptrIlEEjNS1_19radix_merge_compareILb0ELb1ElNS0_19identity_decomposerEEEEE10hipError_tT0_T1_T2_jT3_P12ihipStream_tbPNSt15iterator_traitsISG_E10value_typeEPNSM_ISH_E10value_typeEPSI_NS1_7vsmem_tEENKUlT_SG_SH_SI_E_clIS7_S7_S7_SB_EESF_SV_SG_SH_SI_EUlSV_E1_NS1_11comp_targetILNS1_3genE3ELNS1_11target_archE908ELNS1_3gpuE7ELNS1_3repE0EEENS1_36merge_oddeven_config_static_selectorELNS0_4arch9wavefront6targetE1EEEvSH_
		.amdhsa_group_segment_fixed_size 0
		.amdhsa_private_segment_fixed_size 0
		.amdhsa_kernarg_size 48
		.amdhsa_user_sgpr_count 6
		.amdhsa_user_sgpr_private_segment_buffer 1
		.amdhsa_user_sgpr_dispatch_ptr 0
		.amdhsa_user_sgpr_queue_ptr 0
		.amdhsa_user_sgpr_kernarg_segment_ptr 1
		.amdhsa_user_sgpr_dispatch_id 0
		.amdhsa_user_sgpr_flat_scratch_init 0
		.amdhsa_user_sgpr_private_segment_size 0
		.amdhsa_uses_dynamic_stack 0
		.amdhsa_system_sgpr_private_segment_wavefront_offset 0
		.amdhsa_system_sgpr_workgroup_id_x 1
		.amdhsa_system_sgpr_workgroup_id_y 0
		.amdhsa_system_sgpr_workgroup_id_z 0
		.amdhsa_system_sgpr_workgroup_info 0
		.amdhsa_system_vgpr_workitem_id 0
		.amdhsa_next_free_vgpr 1
		.amdhsa_next_free_sgpr 0
		.amdhsa_reserve_vcc 0
		.amdhsa_reserve_flat_scratch 0
		.amdhsa_float_round_mode_32 0
		.amdhsa_float_round_mode_16_64 0
		.amdhsa_float_denorm_mode_32 3
		.amdhsa_float_denorm_mode_16_64 3
		.amdhsa_dx10_clamp 1
		.amdhsa_ieee_mode 1
		.amdhsa_fp16_overflow 0
		.amdhsa_exception_fp_ieee_invalid_op 0
		.amdhsa_exception_fp_denorm_src 0
		.amdhsa_exception_fp_ieee_div_zero 0
		.amdhsa_exception_fp_ieee_overflow 0
		.amdhsa_exception_fp_ieee_underflow 0
		.amdhsa_exception_fp_ieee_inexact 0
		.amdhsa_exception_int_div_zero 0
	.end_amdhsa_kernel
	.section	.text._ZN7rocprim17ROCPRIM_400000_NS6detail17trampoline_kernelINS0_14default_configENS1_38merge_sort_block_merge_config_selectorIllEEZZNS1_27merge_sort_block_merge_implIS3_PlN6thrust23THRUST_200600_302600_NS10device_ptrIlEEjNS1_19radix_merge_compareILb0ELb1ElNS0_19identity_decomposerEEEEE10hipError_tT0_T1_T2_jT3_P12ihipStream_tbPNSt15iterator_traitsISG_E10value_typeEPNSM_ISH_E10value_typeEPSI_NS1_7vsmem_tEENKUlT_SG_SH_SI_E_clIS7_S7_S7_SB_EESF_SV_SG_SH_SI_EUlSV_E1_NS1_11comp_targetILNS1_3genE3ELNS1_11target_archE908ELNS1_3gpuE7ELNS1_3repE0EEENS1_36merge_oddeven_config_static_selectorELNS0_4arch9wavefront6targetE1EEEvSH_,"axG",@progbits,_ZN7rocprim17ROCPRIM_400000_NS6detail17trampoline_kernelINS0_14default_configENS1_38merge_sort_block_merge_config_selectorIllEEZZNS1_27merge_sort_block_merge_implIS3_PlN6thrust23THRUST_200600_302600_NS10device_ptrIlEEjNS1_19radix_merge_compareILb0ELb1ElNS0_19identity_decomposerEEEEE10hipError_tT0_T1_T2_jT3_P12ihipStream_tbPNSt15iterator_traitsISG_E10value_typeEPNSM_ISH_E10value_typeEPSI_NS1_7vsmem_tEENKUlT_SG_SH_SI_E_clIS7_S7_S7_SB_EESF_SV_SG_SH_SI_EUlSV_E1_NS1_11comp_targetILNS1_3genE3ELNS1_11target_archE908ELNS1_3gpuE7ELNS1_3repE0EEENS1_36merge_oddeven_config_static_selectorELNS0_4arch9wavefront6targetE1EEEvSH_,comdat
.Lfunc_end1086:
	.size	_ZN7rocprim17ROCPRIM_400000_NS6detail17trampoline_kernelINS0_14default_configENS1_38merge_sort_block_merge_config_selectorIllEEZZNS1_27merge_sort_block_merge_implIS3_PlN6thrust23THRUST_200600_302600_NS10device_ptrIlEEjNS1_19radix_merge_compareILb0ELb1ElNS0_19identity_decomposerEEEEE10hipError_tT0_T1_T2_jT3_P12ihipStream_tbPNSt15iterator_traitsISG_E10value_typeEPNSM_ISH_E10value_typeEPSI_NS1_7vsmem_tEENKUlT_SG_SH_SI_E_clIS7_S7_S7_SB_EESF_SV_SG_SH_SI_EUlSV_E1_NS1_11comp_targetILNS1_3genE3ELNS1_11target_archE908ELNS1_3gpuE7ELNS1_3repE0EEENS1_36merge_oddeven_config_static_selectorELNS0_4arch9wavefront6targetE1EEEvSH_, .Lfunc_end1086-_ZN7rocprim17ROCPRIM_400000_NS6detail17trampoline_kernelINS0_14default_configENS1_38merge_sort_block_merge_config_selectorIllEEZZNS1_27merge_sort_block_merge_implIS3_PlN6thrust23THRUST_200600_302600_NS10device_ptrIlEEjNS1_19radix_merge_compareILb0ELb1ElNS0_19identity_decomposerEEEEE10hipError_tT0_T1_T2_jT3_P12ihipStream_tbPNSt15iterator_traitsISG_E10value_typeEPNSM_ISH_E10value_typeEPSI_NS1_7vsmem_tEENKUlT_SG_SH_SI_E_clIS7_S7_S7_SB_EESF_SV_SG_SH_SI_EUlSV_E1_NS1_11comp_targetILNS1_3genE3ELNS1_11target_archE908ELNS1_3gpuE7ELNS1_3repE0EEENS1_36merge_oddeven_config_static_selectorELNS0_4arch9wavefront6targetE1EEEvSH_
                                        ; -- End function
	.set _ZN7rocprim17ROCPRIM_400000_NS6detail17trampoline_kernelINS0_14default_configENS1_38merge_sort_block_merge_config_selectorIllEEZZNS1_27merge_sort_block_merge_implIS3_PlN6thrust23THRUST_200600_302600_NS10device_ptrIlEEjNS1_19radix_merge_compareILb0ELb1ElNS0_19identity_decomposerEEEEE10hipError_tT0_T1_T2_jT3_P12ihipStream_tbPNSt15iterator_traitsISG_E10value_typeEPNSM_ISH_E10value_typeEPSI_NS1_7vsmem_tEENKUlT_SG_SH_SI_E_clIS7_S7_S7_SB_EESF_SV_SG_SH_SI_EUlSV_E1_NS1_11comp_targetILNS1_3genE3ELNS1_11target_archE908ELNS1_3gpuE7ELNS1_3repE0EEENS1_36merge_oddeven_config_static_selectorELNS0_4arch9wavefront6targetE1EEEvSH_.num_vgpr, 0
	.set _ZN7rocprim17ROCPRIM_400000_NS6detail17trampoline_kernelINS0_14default_configENS1_38merge_sort_block_merge_config_selectorIllEEZZNS1_27merge_sort_block_merge_implIS3_PlN6thrust23THRUST_200600_302600_NS10device_ptrIlEEjNS1_19radix_merge_compareILb0ELb1ElNS0_19identity_decomposerEEEEE10hipError_tT0_T1_T2_jT3_P12ihipStream_tbPNSt15iterator_traitsISG_E10value_typeEPNSM_ISH_E10value_typeEPSI_NS1_7vsmem_tEENKUlT_SG_SH_SI_E_clIS7_S7_S7_SB_EESF_SV_SG_SH_SI_EUlSV_E1_NS1_11comp_targetILNS1_3genE3ELNS1_11target_archE908ELNS1_3gpuE7ELNS1_3repE0EEENS1_36merge_oddeven_config_static_selectorELNS0_4arch9wavefront6targetE1EEEvSH_.num_agpr, 0
	.set _ZN7rocprim17ROCPRIM_400000_NS6detail17trampoline_kernelINS0_14default_configENS1_38merge_sort_block_merge_config_selectorIllEEZZNS1_27merge_sort_block_merge_implIS3_PlN6thrust23THRUST_200600_302600_NS10device_ptrIlEEjNS1_19radix_merge_compareILb0ELb1ElNS0_19identity_decomposerEEEEE10hipError_tT0_T1_T2_jT3_P12ihipStream_tbPNSt15iterator_traitsISG_E10value_typeEPNSM_ISH_E10value_typeEPSI_NS1_7vsmem_tEENKUlT_SG_SH_SI_E_clIS7_S7_S7_SB_EESF_SV_SG_SH_SI_EUlSV_E1_NS1_11comp_targetILNS1_3genE3ELNS1_11target_archE908ELNS1_3gpuE7ELNS1_3repE0EEENS1_36merge_oddeven_config_static_selectorELNS0_4arch9wavefront6targetE1EEEvSH_.numbered_sgpr, 0
	.set _ZN7rocprim17ROCPRIM_400000_NS6detail17trampoline_kernelINS0_14default_configENS1_38merge_sort_block_merge_config_selectorIllEEZZNS1_27merge_sort_block_merge_implIS3_PlN6thrust23THRUST_200600_302600_NS10device_ptrIlEEjNS1_19radix_merge_compareILb0ELb1ElNS0_19identity_decomposerEEEEE10hipError_tT0_T1_T2_jT3_P12ihipStream_tbPNSt15iterator_traitsISG_E10value_typeEPNSM_ISH_E10value_typeEPSI_NS1_7vsmem_tEENKUlT_SG_SH_SI_E_clIS7_S7_S7_SB_EESF_SV_SG_SH_SI_EUlSV_E1_NS1_11comp_targetILNS1_3genE3ELNS1_11target_archE908ELNS1_3gpuE7ELNS1_3repE0EEENS1_36merge_oddeven_config_static_selectorELNS0_4arch9wavefront6targetE1EEEvSH_.num_named_barrier, 0
	.set _ZN7rocprim17ROCPRIM_400000_NS6detail17trampoline_kernelINS0_14default_configENS1_38merge_sort_block_merge_config_selectorIllEEZZNS1_27merge_sort_block_merge_implIS3_PlN6thrust23THRUST_200600_302600_NS10device_ptrIlEEjNS1_19radix_merge_compareILb0ELb1ElNS0_19identity_decomposerEEEEE10hipError_tT0_T1_T2_jT3_P12ihipStream_tbPNSt15iterator_traitsISG_E10value_typeEPNSM_ISH_E10value_typeEPSI_NS1_7vsmem_tEENKUlT_SG_SH_SI_E_clIS7_S7_S7_SB_EESF_SV_SG_SH_SI_EUlSV_E1_NS1_11comp_targetILNS1_3genE3ELNS1_11target_archE908ELNS1_3gpuE7ELNS1_3repE0EEENS1_36merge_oddeven_config_static_selectorELNS0_4arch9wavefront6targetE1EEEvSH_.private_seg_size, 0
	.set _ZN7rocprim17ROCPRIM_400000_NS6detail17trampoline_kernelINS0_14default_configENS1_38merge_sort_block_merge_config_selectorIllEEZZNS1_27merge_sort_block_merge_implIS3_PlN6thrust23THRUST_200600_302600_NS10device_ptrIlEEjNS1_19radix_merge_compareILb0ELb1ElNS0_19identity_decomposerEEEEE10hipError_tT0_T1_T2_jT3_P12ihipStream_tbPNSt15iterator_traitsISG_E10value_typeEPNSM_ISH_E10value_typeEPSI_NS1_7vsmem_tEENKUlT_SG_SH_SI_E_clIS7_S7_S7_SB_EESF_SV_SG_SH_SI_EUlSV_E1_NS1_11comp_targetILNS1_3genE3ELNS1_11target_archE908ELNS1_3gpuE7ELNS1_3repE0EEENS1_36merge_oddeven_config_static_selectorELNS0_4arch9wavefront6targetE1EEEvSH_.uses_vcc, 0
	.set _ZN7rocprim17ROCPRIM_400000_NS6detail17trampoline_kernelINS0_14default_configENS1_38merge_sort_block_merge_config_selectorIllEEZZNS1_27merge_sort_block_merge_implIS3_PlN6thrust23THRUST_200600_302600_NS10device_ptrIlEEjNS1_19radix_merge_compareILb0ELb1ElNS0_19identity_decomposerEEEEE10hipError_tT0_T1_T2_jT3_P12ihipStream_tbPNSt15iterator_traitsISG_E10value_typeEPNSM_ISH_E10value_typeEPSI_NS1_7vsmem_tEENKUlT_SG_SH_SI_E_clIS7_S7_S7_SB_EESF_SV_SG_SH_SI_EUlSV_E1_NS1_11comp_targetILNS1_3genE3ELNS1_11target_archE908ELNS1_3gpuE7ELNS1_3repE0EEENS1_36merge_oddeven_config_static_selectorELNS0_4arch9wavefront6targetE1EEEvSH_.uses_flat_scratch, 0
	.set _ZN7rocprim17ROCPRIM_400000_NS6detail17trampoline_kernelINS0_14default_configENS1_38merge_sort_block_merge_config_selectorIllEEZZNS1_27merge_sort_block_merge_implIS3_PlN6thrust23THRUST_200600_302600_NS10device_ptrIlEEjNS1_19radix_merge_compareILb0ELb1ElNS0_19identity_decomposerEEEEE10hipError_tT0_T1_T2_jT3_P12ihipStream_tbPNSt15iterator_traitsISG_E10value_typeEPNSM_ISH_E10value_typeEPSI_NS1_7vsmem_tEENKUlT_SG_SH_SI_E_clIS7_S7_S7_SB_EESF_SV_SG_SH_SI_EUlSV_E1_NS1_11comp_targetILNS1_3genE3ELNS1_11target_archE908ELNS1_3gpuE7ELNS1_3repE0EEENS1_36merge_oddeven_config_static_selectorELNS0_4arch9wavefront6targetE1EEEvSH_.has_dyn_sized_stack, 0
	.set _ZN7rocprim17ROCPRIM_400000_NS6detail17trampoline_kernelINS0_14default_configENS1_38merge_sort_block_merge_config_selectorIllEEZZNS1_27merge_sort_block_merge_implIS3_PlN6thrust23THRUST_200600_302600_NS10device_ptrIlEEjNS1_19radix_merge_compareILb0ELb1ElNS0_19identity_decomposerEEEEE10hipError_tT0_T1_T2_jT3_P12ihipStream_tbPNSt15iterator_traitsISG_E10value_typeEPNSM_ISH_E10value_typeEPSI_NS1_7vsmem_tEENKUlT_SG_SH_SI_E_clIS7_S7_S7_SB_EESF_SV_SG_SH_SI_EUlSV_E1_NS1_11comp_targetILNS1_3genE3ELNS1_11target_archE908ELNS1_3gpuE7ELNS1_3repE0EEENS1_36merge_oddeven_config_static_selectorELNS0_4arch9wavefront6targetE1EEEvSH_.has_recursion, 0
	.set _ZN7rocprim17ROCPRIM_400000_NS6detail17trampoline_kernelINS0_14default_configENS1_38merge_sort_block_merge_config_selectorIllEEZZNS1_27merge_sort_block_merge_implIS3_PlN6thrust23THRUST_200600_302600_NS10device_ptrIlEEjNS1_19radix_merge_compareILb0ELb1ElNS0_19identity_decomposerEEEEE10hipError_tT0_T1_T2_jT3_P12ihipStream_tbPNSt15iterator_traitsISG_E10value_typeEPNSM_ISH_E10value_typeEPSI_NS1_7vsmem_tEENKUlT_SG_SH_SI_E_clIS7_S7_S7_SB_EESF_SV_SG_SH_SI_EUlSV_E1_NS1_11comp_targetILNS1_3genE3ELNS1_11target_archE908ELNS1_3gpuE7ELNS1_3repE0EEENS1_36merge_oddeven_config_static_selectorELNS0_4arch9wavefront6targetE1EEEvSH_.has_indirect_call, 0
	.section	.AMDGPU.csdata,"",@progbits
; Kernel info:
; codeLenInByte = 0
; TotalNumSgprs: 4
; NumVgprs: 0
; ScratchSize: 0
; MemoryBound: 0
; FloatMode: 240
; IeeeMode: 1
; LDSByteSize: 0 bytes/workgroup (compile time only)
; SGPRBlocks: 0
; VGPRBlocks: 0
; NumSGPRsForWavesPerEU: 4
; NumVGPRsForWavesPerEU: 1
; Occupancy: 10
; WaveLimiterHint : 0
; COMPUTE_PGM_RSRC2:SCRATCH_EN: 0
; COMPUTE_PGM_RSRC2:USER_SGPR: 6
; COMPUTE_PGM_RSRC2:TRAP_HANDLER: 0
; COMPUTE_PGM_RSRC2:TGID_X_EN: 1
; COMPUTE_PGM_RSRC2:TGID_Y_EN: 0
; COMPUTE_PGM_RSRC2:TGID_Z_EN: 0
; COMPUTE_PGM_RSRC2:TIDIG_COMP_CNT: 0
	.section	.text._ZN7rocprim17ROCPRIM_400000_NS6detail17trampoline_kernelINS0_14default_configENS1_38merge_sort_block_merge_config_selectorIllEEZZNS1_27merge_sort_block_merge_implIS3_PlN6thrust23THRUST_200600_302600_NS10device_ptrIlEEjNS1_19radix_merge_compareILb0ELb1ElNS0_19identity_decomposerEEEEE10hipError_tT0_T1_T2_jT3_P12ihipStream_tbPNSt15iterator_traitsISG_E10value_typeEPNSM_ISH_E10value_typeEPSI_NS1_7vsmem_tEENKUlT_SG_SH_SI_E_clIS7_S7_S7_SB_EESF_SV_SG_SH_SI_EUlSV_E1_NS1_11comp_targetILNS1_3genE2ELNS1_11target_archE906ELNS1_3gpuE6ELNS1_3repE0EEENS1_36merge_oddeven_config_static_selectorELNS0_4arch9wavefront6targetE1EEEvSH_,"axG",@progbits,_ZN7rocprim17ROCPRIM_400000_NS6detail17trampoline_kernelINS0_14default_configENS1_38merge_sort_block_merge_config_selectorIllEEZZNS1_27merge_sort_block_merge_implIS3_PlN6thrust23THRUST_200600_302600_NS10device_ptrIlEEjNS1_19radix_merge_compareILb0ELb1ElNS0_19identity_decomposerEEEEE10hipError_tT0_T1_T2_jT3_P12ihipStream_tbPNSt15iterator_traitsISG_E10value_typeEPNSM_ISH_E10value_typeEPSI_NS1_7vsmem_tEENKUlT_SG_SH_SI_E_clIS7_S7_S7_SB_EESF_SV_SG_SH_SI_EUlSV_E1_NS1_11comp_targetILNS1_3genE2ELNS1_11target_archE906ELNS1_3gpuE6ELNS1_3repE0EEENS1_36merge_oddeven_config_static_selectorELNS0_4arch9wavefront6targetE1EEEvSH_,comdat
	.protected	_ZN7rocprim17ROCPRIM_400000_NS6detail17trampoline_kernelINS0_14default_configENS1_38merge_sort_block_merge_config_selectorIllEEZZNS1_27merge_sort_block_merge_implIS3_PlN6thrust23THRUST_200600_302600_NS10device_ptrIlEEjNS1_19radix_merge_compareILb0ELb1ElNS0_19identity_decomposerEEEEE10hipError_tT0_T1_T2_jT3_P12ihipStream_tbPNSt15iterator_traitsISG_E10value_typeEPNSM_ISH_E10value_typeEPSI_NS1_7vsmem_tEENKUlT_SG_SH_SI_E_clIS7_S7_S7_SB_EESF_SV_SG_SH_SI_EUlSV_E1_NS1_11comp_targetILNS1_3genE2ELNS1_11target_archE906ELNS1_3gpuE6ELNS1_3repE0EEENS1_36merge_oddeven_config_static_selectorELNS0_4arch9wavefront6targetE1EEEvSH_ ; -- Begin function _ZN7rocprim17ROCPRIM_400000_NS6detail17trampoline_kernelINS0_14default_configENS1_38merge_sort_block_merge_config_selectorIllEEZZNS1_27merge_sort_block_merge_implIS3_PlN6thrust23THRUST_200600_302600_NS10device_ptrIlEEjNS1_19radix_merge_compareILb0ELb1ElNS0_19identity_decomposerEEEEE10hipError_tT0_T1_T2_jT3_P12ihipStream_tbPNSt15iterator_traitsISG_E10value_typeEPNSM_ISH_E10value_typeEPSI_NS1_7vsmem_tEENKUlT_SG_SH_SI_E_clIS7_S7_S7_SB_EESF_SV_SG_SH_SI_EUlSV_E1_NS1_11comp_targetILNS1_3genE2ELNS1_11target_archE906ELNS1_3gpuE6ELNS1_3repE0EEENS1_36merge_oddeven_config_static_selectorELNS0_4arch9wavefront6targetE1EEEvSH_
	.globl	_ZN7rocprim17ROCPRIM_400000_NS6detail17trampoline_kernelINS0_14default_configENS1_38merge_sort_block_merge_config_selectorIllEEZZNS1_27merge_sort_block_merge_implIS3_PlN6thrust23THRUST_200600_302600_NS10device_ptrIlEEjNS1_19radix_merge_compareILb0ELb1ElNS0_19identity_decomposerEEEEE10hipError_tT0_T1_T2_jT3_P12ihipStream_tbPNSt15iterator_traitsISG_E10value_typeEPNSM_ISH_E10value_typeEPSI_NS1_7vsmem_tEENKUlT_SG_SH_SI_E_clIS7_S7_S7_SB_EESF_SV_SG_SH_SI_EUlSV_E1_NS1_11comp_targetILNS1_3genE2ELNS1_11target_archE906ELNS1_3gpuE6ELNS1_3repE0EEENS1_36merge_oddeven_config_static_selectorELNS0_4arch9wavefront6targetE1EEEvSH_
	.p2align	8
	.type	_ZN7rocprim17ROCPRIM_400000_NS6detail17trampoline_kernelINS0_14default_configENS1_38merge_sort_block_merge_config_selectorIllEEZZNS1_27merge_sort_block_merge_implIS3_PlN6thrust23THRUST_200600_302600_NS10device_ptrIlEEjNS1_19radix_merge_compareILb0ELb1ElNS0_19identity_decomposerEEEEE10hipError_tT0_T1_T2_jT3_P12ihipStream_tbPNSt15iterator_traitsISG_E10value_typeEPNSM_ISH_E10value_typeEPSI_NS1_7vsmem_tEENKUlT_SG_SH_SI_E_clIS7_S7_S7_SB_EESF_SV_SG_SH_SI_EUlSV_E1_NS1_11comp_targetILNS1_3genE2ELNS1_11target_archE906ELNS1_3gpuE6ELNS1_3repE0EEENS1_36merge_oddeven_config_static_selectorELNS0_4arch9wavefront6targetE1EEEvSH_,@function
_ZN7rocprim17ROCPRIM_400000_NS6detail17trampoline_kernelINS0_14default_configENS1_38merge_sort_block_merge_config_selectorIllEEZZNS1_27merge_sort_block_merge_implIS3_PlN6thrust23THRUST_200600_302600_NS10device_ptrIlEEjNS1_19radix_merge_compareILb0ELb1ElNS0_19identity_decomposerEEEEE10hipError_tT0_T1_T2_jT3_P12ihipStream_tbPNSt15iterator_traitsISG_E10value_typeEPNSM_ISH_E10value_typeEPSI_NS1_7vsmem_tEENKUlT_SG_SH_SI_E_clIS7_S7_S7_SB_EESF_SV_SG_SH_SI_EUlSV_E1_NS1_11comp_targetILNS1_3genE2ELNS1_11target_archE906ELNS1_3gpuE6ELNS1_3repE0EEENS1_36merge_oddeven_config_static_selectorELNS0_4arch9wavefront6targetE1EEEvSH_: ; @_ZN7rocprim17ROCPRIM_400000_NS6detail17trampoline_kernelINS0_14default_configENS1_38merge_sort_block_merge_config_selectorIllEEZZNS1_27merge_sort_block_merge_implIS3_PlN6thrust23THRUST_200600_302600_NS10device_ptrIlEEjNS1_19radix_merge_compareILb0ELb1ElNS0_19identity_decomposerEEEEE10hipError_tT0_T1_T2_jT3_P12ihipStream_tbPNSt15iterator_traitsISG_E10value_typeEPNSM_ISH_E10value_typeEPSI_NS1_7vsmem_tEENKUlT_SG_SH_SI_E_clIS7_S7_S7_SB_EESF_SV_SG_SH_SI_EUlSV_E1_NS1_11comp_targetILNS1_3genE2ELNS1_11target_archE906ELNS1_3gpuE6ELNS1_3repE0EEENS1_36merge_oddeven_config_static_selectorELNS0_4arch9wavefront6targetE1EEEvSH_
; %bb.0:
	s_load_dword s20, s[4:5], 0x20
	s_waitcnt lgkmcnt(0)
	s_lshr_b32 s0, s20, 8
	s_cmp_eq_u32 s6, s0
	s_cselect_b64 s[16:17], -1, 0
	s_cmp_lg_u32 s6, s0
	s_cselect_b64 s[0:1], -1, 0
	s_lshl_b32 s18, s6, 8
	s_sub_i32 s2, s20, s18
	v_cmp_gt_u32_e64 s[2:3], s2, v0
	s_or_b64 s[0:1], s[0:1], s[2:3]
	s_and_saveexec_b64 s[8:9], s[0:1]
	s_cbranch_execz .LBB1087_24
; %bb.1:
	s_load_dwordx8 s[8:15], s[4:5], 0x0
	s_mov_b32 s19, 0
	s_lshl_b64 s[0:1], s[18:19], 3
	v_lshlrev_b32_e32 v5, 3, v0
	s_load_dword s19, s[4:5], 0x24
	s_waitcnt lgkmcnt(0)
	s_add_u32 s22, s8, s0
	s_addc_u32 s23, s9, s1
	s_add_u32 s0, s12, s0
	s_addc_u32 s1, s13, s1
	global_load_dwordx2 v[1:2], v5, s[0:1]
	global_load_dwordx2 v[3:4], v5, s[22:23]
	s_lshr_b32 s0, s19, 8
	s_sub_i32 s1, 0, s0
	s_and_b32 s1, s6, s1
	s_and_b32 s0, s1, s0
	s_lshl_b32 s21, s1, 8
	s_sub_i32 s12, 0, s19
	s_cmp_eq_u32 s0, 0
	s_cselect_b64 s[0:1], -1, 0
	s_and_b64 s[6:7], s[0:1], exec
	s_cselect_b32 s12, s19, s12
	s_add_i32 s12, s12, s21
	s_mov_b64 s[6:7], -1
	s_cmp_gt_u32 s20, s12
	v_add_u32_e32 v5, s18, v0
	s_cbranch_scc1 .LBB1087_9
; %bb.2:
	s_and_b64 vcc, exec, s[16:17]
	s_cbranch_vccz .LBB1087_6
; %bb.3:
	v_cmp_gt_u32_e32 vcc, s20, v5
	s_and_saveexec_b64 s[6:7], vcc
	s_cbranch_execz .LBB1087_5
; %bb.4:
	v_mov_b32_e32 v6, 0
	v_lshlrev_b64 v[6:7], 3, v[5:6]
	v_mov_b32_e32 v0, s11
	v_add_co_u32_e32 v8, vcc, s10, v6
	v_addc_co_u32_e32 v9, vcc, v0, v7, vcc
	v_mov_b32_e32 v0, s15
	v_add_co_u32_e32 v6, vcc, s14, v6
	v_addc_co_u32_e32 v7, vcc, v0, v7, vcc
	s_waitcnt vmcnt(0)
	global_store_dwordx2 v[8:9], v[3:4], off
	global_store_dwordx2 v[6:7], v[1:2], off
.LBB1087_5:
	s_or_b64 exec, exec, s[6:7]
	s_mov_b64 s[6:7], 0
.LBB1087_6:
	s_andn2_b64 vcc, exec, s[6:7]
	s_cbranch_vccnz .LBB1087_8
; %bb.7:
	v_mov_b32_e32 v6, 0
	v_lshlrev_b64 v[6:7], 3, v[5:6]
	v_mov_b32_e32 v0, s11
	v_add_co_u32_e32 v8, vcc, s10, v6
	v_addc_co_u32_e32 v9, vcc, v0, v7, vcc
	v_mov_b32_e32 v0, s15
	v_add_co_u32_e32 v6, vcc, s14, v6
	v_addc_co_u32_e32 v7, vcc, v0, v7, vcc
	s_waitcnt vmcnt(0)
	global_store_dwordx2 v[8:9], v[3:4], off
	global_store_dwordx2 v[6:7], v[1:2], off
.LBB1087_8:
	s_mov_b64 s[6:7], 0
.LBB1087_9:
	s_andn2_b64 vcc, exec, s[6:7]
	s_cbranch_vccnz .LBB1087_24
; %bb.10:
	s_load_dwordx2 s[4:5], s[4:5], 0x28
	s_min_u32 s13, s12, s20
	s_add_i32 s6, s13, s19
	s_min_u32 s18, s6, s20
	s_min_u32 s6, s21, s13
	s_add_i32 s21, s21, s13
	v_subrev_u32_e32 v0, s21, v5
	v_add_u32_e32 v0, s6, v0
	s_waitcnt vmcnt(0) lgkmcnt(0)
	v_and_b32_e32 v6, s5, v4
	v_and_b32_e32 v5, s4, v3
	s_mov_b64 s[6:7], -1
	s_and_b64 vcc, exec, s[16:17]
	s_cbranch_vccz .LBB1087_18
; %bb.11:
	s_and_saveexec_b64 s[6:7], s[2:3]
	s_cbranch_execz .LBB1087_17
; %bb.12:
	s_cmp_ge_u32 s12, s18
	v_mov_b32_e32 v9, s13
	s_cbranch_scc1 .LBB1087_16
; %bb.13:
	s_mov_b64 s[2:3], 0
	v_mov_b32_e32 v10, s18
	v_mov_b32_e32 v9, s13
	v_mov_b32_e32 v8, 0
	v_mov_b32_e32 v11, s9
.LBB1087_14:                            ; =>This Inner Loop Header: Depth=1
	v_add_u32_e32 v7, v9, v10
	v_lshrrev_b32_e32 v7, 1, v7
	v_lshlrev_b64 v[12:13], 3, v[7:8]
	v_add_u32_e32 v14, 1, v7
	v_add_co_u32_e32 v12, vcc, s8, v12
	v_addc_co_u32_e32 v13, vcc, v11, v13, vcc
	global_load_dwordx2 v[12:13], v[12:13], off
	s_waitcnt vmcnt(0)
	v_and_b32_e32 v13, s5, v13
	v_and_b32_e32 v12, s4, v12
	v_cmp_gt_i64_e32 vcc, v[5:6], v[12:13]
	v_cndmask_b32_e64 v15, 0, 1, vcc
	v_cmp_le_i64_e32 vcc, v[12:13], v[5:6]
	v_cndmask_b32_e64 v12, 0, 1, vcc
	v_cndmask_b32_e64 v12, v12, v15, s[0:1]
	v_and_b32_e32 v12, 1, v12
	v_cmp_eq_u32_e32 vcc, 1, v12
	v_cndmask_b32_e32 v10, v7, v10, vcc
	v_cndmask_b32_e32 v9, v9, v14, vcc
	v_cmp_ge_u32_e32 vcc, v9, v10
	s_or_b64 s[2:3], vcc, s[2:3]
	s_andn2_b64 exec, exec, s[2:3]
	s_cbranch_execnz .LBB1087_14
; %bb.15:
	s_or_b64 exec, exec, s[2:3]
.LBB1087_16:
	v_add_u32_e32 v7, v9, v0
	v_mov_b32_e32 v8, 0
	v_lshlrev_b64 v[7:8], 3, v[7:8]
	v_mov_b32_e32 v10, s11
	v_add_co_u32_e32 v9, vcc, s10, v7
	v_addc_co_u32_e32 v10, vcc, v10, v8, vcc
	global_store_dwordx2 v[9:10], v[3:4], off
	v_mov_b32_e32 v9, s15
	v_add_co_u32_e32 v7, vcc, s14, v7
	v_addc_co_u32_e32 v8, vcc, v9, v8, vcc
	global_store_dwordx2 v[7:8], v[1:2], off
.LBB1087_17:
	s_or_b64 exec, exec, s[6:7]
	s_mov_b64 s[6:7], 0
.LBB1087_18:
	s_andn2_b64 vcc, exec, s[6:7]
	s_cbranch_vccnz .LBB1087_24
; %bb.19:
	s_cmp_ge_u32 s12, s18
	v_mov_b32_e32 v9, s13
	s_cbranch_scc1 .LBB1087_23
; %bb.20:
	s_mov_b64 s[2:3], 0
	v_mov_b32_e32 v10, s18
	v_mov_b32_e32 v9, s13
	;; [unrolled: 1-line block ×4, first 2 shown]
.LBB1087_21:                            ; =>This Inner Loop Header: Depth=1
	v_add_u32_e32 v7, v9, v10
	v_lshrrev_b32_e32 v7, 1, v7
	v_lshlrev_b64 v[12:13], 3, v[7:8]
	v_add_u32_e32 v14, 1, v7
	v_add_co_u32_e32 v12, vcc, s8, v12
	v_addc_co_u32_e32 v13, vcc, v11, v13, vcc
	global_load_dwordx2 v[12:13], v[12:13], off
	s_waitcnt vmcnt(0)
	v_and_b32_e32 v13, s5, v13
	v_and_b32_e32 v12, s4, v12
	v_cmp_gt_i64_e32 vcc, v[5:6], v[12:13]
	v_cndmask_b32_e64 v15, 0, 1, vcc
	v_cmp_le_i64_e32 vcc, v[12:13], v[5:6]
	v_cndmask_b32_e64 v12, 0, 1, vcc
	v_cndmask_b32_e64 v12, v12, v15, s[0:1]
	v_and_b32_e32 v12, 1, v12
	v_cmp_eq_u32_e32 vcc, 1, v12
	v_cndmask_b32_e32 v10, v7, v10, vcc
	v_cndmask_b32_e32 v9, v9, v14, vcc
	v_cmp_ge_u32_e32 vcc, v9, v10
	s_or_b64 s[2:3], vcc, s[2:3]
	s_andn2_b64 exec, exec, s[2:3]
	s_cbranch_execnz .LBB1087_21
; %bb.22:
	s_or_b64 exec, exec, s[2:3]
.LBB1087_23:
	v_add_u32_e32 v5, v9, v0
	v_mov_b32_e32 v6, 0
	v_lshlrev_b64 v[5:6], 3, v[5:6]
	v_mov_b32_e32 v0, s11
	v_add_co_u32_e32 v7, vcc, s10, v5
	v_addc_co_u32_e32 v8, vcc, v0, v6, vcc
	global_store_dwordx2 v[7:8], v[3:4], off
	v_mov_b32_e32 v0, s15
	v_add_co_u32_e32 v3, vcc, s14, v5
	v_addc_co_u32_e32 v4, vcc, v0, v6, vcc
	global_store_dwordx2 v[3:4], v[1:2], off
.LBB1087_24:
	s_endpgm
	.section	.rodata,"a",@progbits
	.p2align	6, 0x0
	.amdhsa_kernel _ZN7rocprim17ROCPRIM_400000_NS6detail17trampoline_kernelINS0_14default_configENS1_38merge_sort_block_merge_config_selectorIllEEZZNS1_27merge_sort_block_merge_implIS3_PlN6thrust23THRUST_200600_302600_NS10device_ptrIlEEjNS1_19radix_merge_compareILb0ELb1ElNS0_19identity_decomposerEEEEE10hipError_tT0_T1_T2_jT3_P12ihipStream_tbPNSt15iterator_traitsISG_E10value_typeEPNSM_ISH_E10value_typeEPSI_NS1_7vsmem_tEENKUlT_SG_SH_SI_E_clIS7_S7_S7_SB_EESF_SV_SG_SH_SI_EUlSV_E1_NS1_11comp_targetILNS1_3genE2ELNS1_11target_archE906ELNS1_3gpuE6ELNS1_3repE0EEENS1_36merge_oddeven_config_static_selectorELNS0_4arch9wavefront6targetE1EEEvSH_
		.amdhsa_group_segment_fixed_size 0
		.amdhsa_private_segment_fixed_size 0
		.amdhsa_kernarg_size 48
		.amdhsa_user_sgpr_count 6
		.amdhsa_user_sgpr_private_segment_buffer 1
		.amdhsa_user_sgpr_dispatch_ptr 0
		.amdhsa_user_sgpr_queue_ptr 0
		.amdhsa_user_sgpr_kernarg_segment_ptr 1
		.amdhsa_user_sgpr_dispatch_id 0
		.amdhsa_user_sgpr_flat_scratch_init 0
		.amdhsa_user_sgpr_private_segment_size 0
		.amdhsa_uses_dynamic_stack 0
		.amdhsa_system_sgpr_private_segment_wavefront_offset 0
		.amdhsa_system_sgpr_workgroup_id_x 1
		.amdhsa_system_sgpr_workgroup_id_y 0
		.amdhsa_system_sgpr_workgroup_id_z 0
		.amdhsa_system_sgpr_workgroup_info 0
		.amdhsa_system_vgpr_workitem_id 0
		.amdhsa_next_free_vgpr 16
		.amdhsa_next_free_sgpr 24
		.amdhsa_reserve_vcc 1
		.amdhsa_reserve_flat_scratch 0
		.amdhsa_float_round_mode_32 0
		.amdhsa_float_round_mode_16_64 0
		.amdhsa_float_denorm_mode_32 3
		.amdhsa_float_denorm_mode_16_64 3
		.amdhsa_dx10_clamp 1
		.amdhsa_ieee_mode 1
		.amdhsa_fp16_overflow 0
		.amdhsa_exception_fp_ieee_invalid_op 0
		.amdhsa_exception_fp_denorm_src 0
		.amdhsa_exception_fp_ieee_div_zero 0
		.amdhsa_exception_fp_ieee_overflow 0
		.amdhsa_exception_fp_ieee_underflow 0
		.amdhsa_exception_fp_ieee_inexact 0
		.amdhsa_exception_int_div_zero 0
	.end_amdhsa_kernel
	.section	.text._ZN7rocprim17ROCPRIM_400000_NS6detail17trampoline_kernelINS0_14default_configENS1_38merge_sort_block_merge_config_selectorIllEEZZNS1_27merge_sort_block_merge_implIS3_PlN6thrust23THRUST_200600_302600_NS10device_ptrIlEEjNS1_19radix_merge_compareILb0ELb1ElNS0_19identity_decomposerEEEEE10hipError_tT0_T1_T2_jT3_P12ihipStream_tbPNSt15iterator_traitsISG_E10value_typeEPNSM_ISH_E10value_typeEPSI_NS1_7vsmem_tEENKUlT_SG_SH_SI_E_clIS7_S7_S7_SB_EESF_SV_SG_SH_SI_EUlSV_E1_NS1_11comp_targetILNS1_3genE2ELNS1_11target_archE906ELNS1_3gpuE6ELNS1_3repE0EEENS1_36merge_oddeven_config_static_selectorELNS0_4arch9wavefront6targetE1EEEvSH_,"axG",@progbits,_ZN7rocprim17ROCPRIM_400000_NS6detail17trampoline_kernelINS0_14default_configENS1_38merge_sort_block_merge_config_selectorIllEEZZNS1_27merge_sort_block_merge_implIS3_PlN6thrust23THRUST_200600_302600_NS10device_ptrIlEEjNS1_19radix_merge_compareILb0ELb1ElNS0_19identity_decomposerEEEEE10hipError_tT0_T1_T2_jT3_P12ihipStream_tbPNSt15iterator_traitsISG_E10value_typeEPNSM_ISH_E10value_typeEPSI_NS1_7vsmem_tEENKUlT_SG_SH_SI_E_clIS7_S7_S7_SB_EESF_SV_SG_SH_SI_EUlSV_E1_NS1_11comp_targetILNS1_3genE2ELNS1_11target_archE906ELNS1_3gpuE6ELNS1_3repE0EEENS1_36merge_oddeven_config_static_selectorELNS0_4arch9wavefront6targetE1EEEvSH_,comdat
.Lfunc_end1087:
	.size	_ZN7rocprim17ROCPRIM_400000_NS6detail17trampoline_kernelINS0_14default_configENS1_38merge_sort_block_merge_config_selectorIllEEZZNS1_27merge_sort_block_merge_implIS3_PlN6thrust23THRUST_200600_302600_NS10device_ptrIlEEjNS1_19radix_merge_compareILb0ELb1ElNS0_19identity_decomposerEEEEE10hipError_tT0_T1_T2_jT3_P12ihipStream_tbPNSt15iterator_traitsISG_E10value_typeEPNSM_ISH_E10value_typeEPSI_NS1_7vsmem_tEENKUlT_SG_SH_SI_E_clIS7_S7_S7_SB_EESF_SV_SG_SH_SI_EUlSV_E1_NS1_11comp_targetILNS1_3genE2ELNS1_11target_archE906ELNS1_3gpuE6ELNS1_3repE0EEENS1_36merge_oddeven_config_static_selectorELNS0_4arch9wavefront6targetE1EEEvSH_, .Lfunc_end1087-_ZN7rocprim17ROCPRIM_400000_NS6detail17trampoline_kernelINS0_14default_configENS1_38merge_sort_block_merge_config_selectorIllEEZZNS1_27merge_sort_block_merge_implIS3_PlN6thrust23THRUST_200600_302600_NS10device_ptrIlEEjNS1_19radix_merge_compareILb0ELb1ElNS0_19identity_decomposerEEEEE10hipError_tT0_T1_T2_jT3_P12ihipStream_tbPNSt15iterator_traitsISG_E10value_typeEPNSM_ISH_E10value_typeEPSI_NS1_7vsmem_tEENKUlT_SG_SH_SI_E_clIS7_S7_S7_SB_EESF_SV_SG_SH_SI_EUlSV_E1_NS1_11comp_targetILNS1_3genE2ELNS1_11target_archE906ELNS1_3gpuE6ELNS1_3repE0EEENS1_36merge_oddeven_config_static_selectorELNS0_4arch9wavefront6targetE1EEEvSH_
                                        ; -- End function
	.set _ZN7rocprim17ROCPRIM_400000_NS6detail17trampoline_kernelINS0_14default_configENS1_38merge_sort_block_merge_config_selectorIllEEZZNS1_27merge_sort_block_merge_implIS3_PlN6thrust23THRUST_200600_302600_NS10device_ptrIlEEjNS1_19radix_merge_compareILb0ELb1ElNS0_19identity_decomposerEEEEE10hipError_tT0_T1_T2_jT3_P12ihipStream_tbPNSt15iterator_traitsISG_E10value_typeEPNSM_ISH_E10value_typeEPSI_NS1_7vsmem_tEENKUlT_SG_SH_SI_E_clIS7_S7_S7_SB_EESF_SV_SG_SH_SI_EUlSV_E1_NS1_11comp_targetILNS1_3genE2ELNS1_11target_archE906ELNS1_3gpuE6ELNS1_3repE0EEENS1_36merge_oddeven_config_static_selectorELNS0_4arch9wavefront6targetE1EEEvSH_.num_vgpr, 16
	.set _ZN7rocprim17ROCPRIM_400000_NS6detail17trampoline_kernelINS0_14default_configENS1_38merge_sort_block_merge_config_selectorIllEEZZNS1_27merge_sort_block_merge_implIS3_PlN6thrust23THRUST_200600_302600_NS10device_ptrIlEEjNS1_19radix_merge_compareILb0ELb1ElNS0_19identity_decomposerEEEEE10hipError_tT0_T1_T2_jT3_P12ihipStream_tbPNSt15iterator_traitsISG_E10value_typeEPNSM_ISH_E10value_typeEPSI_NS1_7vsmem_tEENKUlT_SG_SH_SI_E_clIS7_S7_S7_SB_EESF_SV_SG_SH_SI_EUlSV_E1_NS1_11comp_targetILNS1_3genE2ELNS1_11target_archE906ELNS1_3gpuE6ELNS1_3repE0EEENS1_36merge_oddeven_config_static_selectorELNS0_4arch9wavefront6targetE1EEEvSH_.num_agpr, 0
	.set _ZN7rocprim17ROCPRIM_400000_NS6detail17trampoline_kernelINS0_14default_configENS1_38merge_sort_block_merge_config_selectorIllEEZZNS1_27merge_sort_block_merge_implIS3_PlN6thrust23THRUST_200600_302600_NS10device_ptrIlEEjNS1_19radix_merge_compareILb0ELb1ElNS0_19identity_decomposerEEEEE10hipError_tT0_T1_T2_jT3_P12ihipStream_tbPNSt15iterator_traitsISG_E10value_typeEPNSM_ISH_E10value_typeEPSI_NS1_7vsmem_tEENKUlT_SG_SH_SI_E_clIS7_S7_S7_SB_EESF_SV_SG_SH_SI_EUlSV_E1_NS1_11comp_targetILNS1_3genE2ELNS1_11target_archE906ELNS1_3gpuE6ELNS1_3repE0EEENS1_36merge_oddeven_config_static_selectorELNS0_4arch9wavefront6targetE1EEEvSH_.numbered_sgpr, 24
	.set _ZN7rocprim17ROCPRIM_400000_NS6detail17trampoline_kernelINS0_14default_configENS1_38merge_sort_block_merge_config_selectorIllEEZZNS1_27merge_sort_block_merge_implIS3_PlN6thrust23THRUST_200600_302600_NS10device_ptrIlEEjNS1_19radix_merge_compareILb0ELb1ElNS0_19identity_decomposerEEEEE10hipError_tT0_T1_T2_jT3_P12ihipStream_tbPNSt15iterator_traitsISG_E10value_typeEPNSM_ISH_E10value_typeEPSI_NS1_7vsmem_tEENKUlT_SG_SH_SI_E_clIS7_S7_S7_SB_EESF_SV_SG_SH_SI_EUlSV_E1_NS1_11comp_targetILNS1_3genE2ELNS1_11target_archE906ELNS1_3gpuE6ELNS1_3repE0EEENS1_36merge_oddeven_config_static_selectorELNS0_4arch9wavefront6targetE1EEEvSH_.num_named_barrier, 0
	.set _ZN7rocprim17ROCPRIM_400000_NS6detail17trampoline_kernelINS0_14default_configENS1_38merge_sort_block_merge_config_selectorIllEEZZNS1_27merge_sort_block_merge_implIS3_PlN6thrust23THRUST_200600_302600_NS10device_ptrIlEEjNS1_19radix_merge_compareILb0ELb1ElNS0_19identity_decomposerEEEEE10hipError_tT0_T1_T2_jT3_P12ihipStream_tbPNSt15iterator_traitsISG_E10value_typeEPNSM_ISH_E10value_typeEPSI_NS1_7vsmem_tEENKUlT_SG_SH_SI_E_clIS7_S7_S7_SB_EESF_SV_SG_SH_SI_EUlSV_E1_NS1_11comp_targetILNS1_3genE2ELNS1_11target_archE906ELNS1_3gpuE6ELNS1_3repE0EEENS1_36merge_oddeven_config_static_selectorELNS0_4arch9wavefront6targetE1EEEvSH_.private_seg_size, 0
	.set _ZN7rocprim17ROCPRIM_400000_NS6detail17trampoline_kernelINS0_14default_configENS1_38merge_sort_block_merge_config_selectorIllEEZZNS1_27merge_sort_block_merge_implIS3_PlN6thrust23THRUST_200600_302600_NS10device_ptrIlEEjNS1_19radix_merge_compareILb0ELb1ElNS0_19identity_decomposerEEEEE10hipError_tT0_T1_T2_jT3_P12ihipStream_tbPNSt15iterator_traitsISG_E10value_typeEPNSM_ISH_E10value_typeEPSI_NS1_7vsmem_tEENKUlT_SG_SH_SI_E_clIS7_S7_S7_SB_EESF_SV_SG_SH_SI_EUlSV_E1_NS1_11comp_targetILNS1_3genE2ELNS1_11target_archE906ELNS1_3gpuE6ELNS1_3repE0EEENS1_36merge_oddeven_config_static_selectorELNS0_4arch9wavefront6targetE1EEEvSH_.uses_vcc, 1
	.set _ZN7rocprim17ROCPRIM_400000_NS6detail17trampoline_kernelINS0_14default_configENS1_38merge_sort_block_merge_config_selectorIllEEZZNS1_27merge_sort_block_merge_implIS3_PlN6thrust23THRUST_200600_302600_NS10device_ptrIlEEjNS1_19radix_merge_compareILb0ELb1ElNS0_19identity_decomposerEEEEE10hipError_tT0_T1_T2_jT3_P12ihipStream_tbPNSt15iterator_traitsISG_E10value_typeEPNSM_ISH_E10value_typeEPSI_NS1_7vsmem_tEENKUlT_SG_SH_SI_E_clIS7_S7_S7_SB_EESF_SV_SG_SH_SI_EUlSV_E1_NS1_11comp_targetILNS1_3genE2ELNS1_11target_archE906ELNS1_3gpuE6ELNS1_3repE0EEENS1_36merge_oddeven_config_static_selectorELNS0_4arch9wavefront6targetE1EEEvSH_.uses_flat_scratch, 0
	.set _ZN7rocprim17ROCPRIM_400000_NS6detail17trampoline_kernelINS0_14default_configENS1_38merge_sort_block_merge_config_selectorIllEEZZNS1_27merge_sort_block_merge_implIS3_PlN6thrust23THRUST_200600_302600_NS10device_ptrIlEEjNS1_19radix_merge_compareILb0ELb1ElNS0_19identity_decomposerEEEEE10hipError_tT0_T1_T2_jT3_P12ihipStream_tbPNSt15iterator_traitsISG_E10value_typeEPNSM_ISH_E10value_typeEPSI_NS1_7vsmem_tEENKUlT_SG_SH_SI_E_clIS7_S7_S7_SB_EESF_SV_SG_SH_SI_EUlSV_E1_NS1_11comp_targetILNS1_3genE2ELNS1_11target_archE906ELNS1_3gpuE6ELNS1_3repE0EEENS1_36merge_oddeven_config_static_selectorELNS0_4arch9wavefront6targetE1EEEvSH_.has_dyn_sized_stack, 0
	.set _ZN7rocprim17ROCPRIM_400000_NS6detail17trampoline_kernelINS0_14default_configENS1_38merge_sort_block_merge_config_selectorIllEEZZNS1_27merge_sort_block_merge_implIS3_PlN6thrust23THRUST_200600_302600_NS10device_ptrIlEEjNS1_19radix_merge_compareILb0ELb1ElNS0_19identity_decomposerEEEEE10hipError_tT0_T1_T2_jT3_P12ihipStream_tbPNSt15iterator_traitsISG_E10value_typeEPNSM_ISH_E10value_typeEPSI_NS1_7vsmem_tEENKUlT_SG_SH_SI_E_clIS7_S7_S7_SB_EESF_SV_SG_SH_SI_EUlSV_E1_NS1_11comp_targetILNS1_3genE2ELNS1_11target_archE906ELNS1_3gpuE6ELNS1_3repE0EEENS1_36merge_oddeven_config_static_selectorELNS0_4arch9wavefront6targetE1EEEvSH_.has_recursion, 0
	.set _ZN7rocprim17ROCPRIM_400000_NS6detail17trampoline_kernelINS0_14default_configENS1_38merge_sort_block_merge_config_selectorIllEEZZNS1_27merge_sort_block_merge_implIS3_PlN6thrust23THRUST_200600_302600_NS10device_ptrIlEEjNS1_19radix_merge_compareILb0ELb1ElNS0_19identity_decomposerEEEEE10hipError_tT0_T1_T2_jT3_P12ihipStream_tbPNSt15iterator_traitsISG_E10value_typeEPNSM_ISH_E10value_typeEPSI_NS1_7vsmem_tEENKUlT_SG_SH_SI_E_clIS7_S7_S7_SB_EESF_SV_SG_SH_SI_EUlSV_E1_NS1_11comp_targetILNS1_3genE2ELNS1_11target_archE906ELNS1_3gpuE6ELNS1_3repE0EEENS1_36merge_oddeven_config_static_selectorELNS0_4arch9wavefront6targetE1EEEvSH_.has_indirect_call, 0
	.section	.AMDGPU.csdata,"",@progbits
; Kernel info:
; codeLenInByte = 840
; TotalNumSgprs: 28
; NumVgprs: 16
; ScratchSize: 0
; MemoryBound: 0
; FloatMode: 240
; IeeeMode: 1
; LDSByteSize: 0 bytes/workgroup (compile time only)
; SGPRBlocks: 3
; VGPRBlocks: 3
; NumSGPRsForWavesPerEU: 28
; NumVGPRsForWavesPerEU: 16
; Occupancy: 10
; WaveLimiterHint : 0
; COMPUTE_PGM_RSRC2:SCRATCH_EN: 0
; COMPUTE_PGM_RSRC2:USER_SGPR: 6
; COMPUTE_PGM_RSRC2:TRAP_HANDLER: 0
; COMPUTE_PGM_RSRC2:TGID_X_EN: 1
; COMPUTE_PGM_RSRC2:TGID_Y_EN: 0
; COMPUTE_PGM_RSRC2:TGID_Z_EN: 0
; COMPUTE_PGM_RSRC2:TIDIG_COMP_CNT: 0
	.section	.text._ZN7rocprim17ROCPRIM_400000_NS6detail17trampoline_kernelINS0_14default_configENS1_38merge_sort_block_merge_config_selectorIllEEZZNS1_27merge_sort_block_merge_implIS3_PlN6thrust23THRUST_200600_302600_NS10device_ptrIlEEjNS1_19radix_merge_compareILb0ELb1ElNS0_19identity_decomposerEEEEE10hipError_tT0_T1_T2_jT3_P12ihipStream_tbPNSt15iterator_traitsISG_E10value_typeEPNSM_ISH_E10value_typeEPSI_NS1_7vsmem_tEENKUlT_SG_SH_SI_E_clIS7_S7_S7_SB_EESF_SV_SG_SH_SI_EUlSV_E1_NS1_11comp_targetILNS1_3genE9ELNS1_11target_archE1100ELNS1_3gpuE3ELNS1_3repE0EEENS1_36merge_oddeven_config_static_selectorELNS0_4arch9wavefront6targetE1EEEvSH_,"axG",@progbits,_ZN7rocprim17ROCPRIM_400000_NS6detail17trampoline_kernelINS0_14default_configENS1_38merge_sort_block_merge_config_selectorIllEEZZNS1_27merge_sort_block_merge_implIS3_PlN6thrust23THRUST_200600_302600_NS10device_ptrIlEEjNS1_19radix_merge_compareILb0ELb1ElNS0_19identity_decomposerEEEEE10hipError_tT0_T1_T2_jT3_P12ihipStream_tbPNSt15iterator_traitsISG_E10value_typeEPNSM_ISH_E10value_typeEPSI_NS1_7vsmem_tEENKUlT_SG_SH_SI_E_clIS7_S7_S7_SB_EESF_SV_SG_SH_SI_EUlSV_E1_NS1_11comp_targetILNS1_3genE9ELNS1_11target_archE1100ELNS1_3gpuE3ELNS1_3repE0EEENS1_36merge_oddeven_config_static_selectorELNS0_4arch9wavefront6targetE1EEEvSH_,comdat
	.protected	_ZN7rocprim17ROCPRIM_400000_NS6detail17trampoline_kernelINS0_14default_configENS1_38merge_sort_block_merge_config_selectorIllEEZZNS1_27merge_sort_block_merge_implIS3_PlN6thrust23THRUST_200600_302600_NS10device_ptrIlEEjNS1_19radix_merge_compareILb0ELb1ElNS0_19identity_decomposerEEEEE10hipError_tT0_T1_T2_jT3_P12ihipStream_tbPNSt15iterator_traitsISG_E10value_typeEPNSM_ISH_E10value_typeEPSI_NS1_7vsmem_tEENKUlT_SG_SH_SI_E_clIS7_S7_S7_SB_EESF_SV_SG_SH_SI_EUlSV_E1_NS1_11comp_targetILNS1_3genE9ELNS1_11target_archE1100ELNS1_3gpuE3ELNS1_3repE0EEENS1_36merge_oddeven_config_static_selectorELNS0_4arch9wavefront6targetE1EEEvSH_ ; -- Begin function _ZN7rocprim17ROCPRIM_400000_NS6detail17trampoline_kernelINS0_14default_configENS1_38merge_sort_block_merge_config_selectorIllEEZZNS1_27merge_sort_block_merge_implIS3_PlN6thrust23THRUST_200600_302600_NS10device_ptrIlEEjNS1_19radix_merge_compareILb0ELb1ElNS0_19identity_decomposerEEEEE10hipError_tT0_T1_T2_jT3_P12ihipStream_tbPNSt15iterator_traitsISG_E10value_typeEPNSM_ISH_E10value_typeEPSI_NS1_7vsmem_tEENKUlT_SG_SH_SI_E_clIS7_S7_S7_SB_EESF_SV_SG_SH_SI_EUlSV_E1_NS1_11comp_targetILNS1_3genE9ELNS1_11target_archE1100ELNS1_3gpuE3ELNS1_3repE0EEENS1_36merge_oddeven_config_static_selectorELNS0_4arch9wavefront6targetE1EEEvSH_
	.globl	_ZN7rocprim17ROCPRIM_400000_NS6detail17trampoline_kernelINS0_14default_configENS1_38merge_sort_block_merge_config_selectorIllEEZZNS1_27merge_sort_block_merge_implIS3_PlN6thrust23THRUST_200600_302600_NS10device_ptrIlEEjNS1_19radix_merge_compareILb0ELb1ElNS0_19identity_decomposerEEEEE10hipError_tT0_T1_T2_jT3_P12ihipStream_tbPNSt15iterator_traitsISG_E10value_typeEPNSM_ISH_E10value_typeEPSI_NS1_7vsmem_tEENKUlT_SG_SH_SI_E_clIS7_S7_S7_SB_EESF_SV_SG_SH_SI_EUlSV_E1_NS1_11comp_targetILNS1_3genE9ELNS1_11target_archE1100ELNS1_3gpuE3ELNS1_3repE0EEENS1_36merge_oddeven_config_static_selectorELNS0_4arch9wavefront6targetE1EEEvSH_
	.p2align	8
	.type	_ZN7rocprim17ROCPRIM_400000_NS6detail17trampoline_kernelINS0_14default_configENS1_38merge_sort_block_merge_config_selectorIllEEZZNS1_27merge_sort_block_merge_implIS3_PlN6thrust23THRUST_200600_302600_NS10device_ptrIlEEjNS1_19radix_merge_compareILb0ELb1ElNS0_19identity_decomposerEEEEE10hipError_tT0_T1_T2_jT3_P12ihipStream_tbPNSt15iterator_traitsISG_E10value_typeEPNSM_ISH_E10value_typeEPSI_NS1_7vsmem_tEENKUlT_SG_SH_SI_E_clIS7_S7_S7_SB_EESF_SV_SG_SH_SI_EUlSV_E1_NS1_11comp_targetILNS1_3genE9ELNS1_11target_archE1100ELNS1_3gpuE3ELNS1_3repE0EEENS1_36merge_oddeven_config_static_selectorELNS0_4arch9wavefront6targetE1EEEvSH_,@function
_ZN7rocprim17ROCPRIM_400000_NS6detail17trampoline_kernelINS0_14default_configENS1_38merge_sort_block_merge_config_selectorIllEEZZNS1_27merge_sort_block_merge_implIS3_PlN6thrust23THRUST_200600_302600_NS10device_ptrIlEEjNS1_19radix_merge_compareILb0ELb1ElNS0_19identity_decomposerEEEEE10hipError_tT0_T1_T2_jT3_P12ihipStream_tbPNSt15iterator_traitsISG_E10value_typeEPNSM_ISH_E10value_typeEPSI_NS1_7vsmem_tEENKUlT_SG_SH_SI_E_clIS7_S7_S7_SB_EESF_SV_SG_SH_SI_EUlSV_E1_NS1_11comp_targetILNS1_3genE9ELNS1_11target_archE1100ELNS1_3gpuE3ELNS1_3repE0EEENS1_36merge_oddeven_config_static_selectorELNS0_4arch9wavefront6targetE1EEEvSH_: ; @_ZN7rocprim17ROCPRIM_400000_NS6detail17trampoline_kernelINS0_14default_configENS1_38merge_sort_block_merge_config_selectorIllEEZZNS1_27merge_sort_block_merge_implIS3_PlN6thrust23THRUST_200600_302600_NS10device_ptrIlEEjNS1_19radix_merge_compareILb0ELb1ElNS0_19identity_decomposerEEEEE10hipError_tT0_T1_T2_jT3_P12ihipStream_tbPNSt15iterator_traitsISG_E10value_typeEPNSM_ISH_E10value_typeEPSI_NS1_7vsmem_tEENKUlT_SG_SH_SI_E_clIS7_S7_S7_SB_EESF_SV_SG_SH_SI_EUlSV_E1_NS1_11comp_targetILNS1_3genE9ELNS1_11target_archE1100ELNS1_3gpuE3ELNS1_3repE0EEENS1_36merge_oddeven_config_static_selectorELNS0_4arch9wavefront6targetE1EEEvSH_
; %bb.0:
	.section	.rodata,"a",@progbits
	.p2align	6, 0x0
	.amdhsa_kernel _ZN7rocprim17ROCPRIM_400000_NS6detail17trampoline_kernelINS0_14default_configENS1_38merge_sort_block_merge_config_selectorIllEEZZNS1_27merge_sort_block_merge_implIS3_PlN6thrust23THRUST_200600_302600_NS10device_ptrIlEEjNS1_19radix_merge_compareILb0ELb1ElNS0_19identity_decomposerEEEEE10hipError_tT0_T1_T2_jT3_P12ihipStream_tbPNSt15iterator_traitsISG_E10value_typeEPNSM_ISH_E10value_typeEPSI_NS1_7vsmem_tEENKUlT_SG_SH_SI_E_clIS7_S7_S7_SB_EESF_SV_SG_SH_SI_EUlSV_E1_NS1_11comp_targetILNS1_3genE9ELNS1_11target_archE1100ELNS1_3gpuE3ELNS1_3repE0EEENS1_36merge_oddeven_config_static_selectorELNS0_4arch9wavefront6targetE1EEEvSH_
		.amdhsa_group_segment_fixed_size 0
		.amdhsa_private_segment_fixed_size 0
		.amdhsa_kernarg_size 48
		.amdhsa_user_sgpr_count 6
		.amdhsa_user_sgpr_private_segment_buffer 1
		.amdhsa_user_sgpr_dispatch_ptr 0
		.amdhsa_user_sgpr_queue_ptr 0
		.amdhsa_user_sgpr_kernarg_segment_ptr 1
		.amdhsa_user_sgpr_dispatch_id 0
		.amdhsa_user_sgpr_flat_scratch_init 0
		.amdhsa_user_sgpr_private_segment_size 0
		.amdhsa_uses_dynamic_stack 0
		.amdhsa_system_sgpr_private_segment_wavefront_offset 0
		.amdhsa_system_sgpr_workgroup_id_x 1
		.amdhsa_system_sgpr_workgroup_id_y 0
		.amdhsa_system_sgpr_workgroup_id_z 0
		.amdhsa_system_sgpr_workgroup_info 0
		.amdhsa_system_vgpr_workitem_id 0
		.amdhsa_next_free_vgpr 1
		.amdhsa_next_free_sgpr 0
		.amdhsa_reserve_vcc 0
		.amdhsa_reserve_flat_scratch 0
		.amdhsa_float_round_mode_32 0
		.amdhsa_float_round_mode_16_64 0
		.amdhsa_float_denorm_mode_32 3
		.amdhsa_float_denorm_mode_16_64 3
		.amdhsa_dx10_clamp 1
		.amdhsa_ieee_mode 1
		.amdhsa_fp16_overflow 0
		.amdhsa_exception_fp_ieee_invalid_op 0
		.amdhsa_exception_fp_denorm_src 0
		.amdhsa_exception_fp_ieee_div_zero 0
		.amdhsa_exception_fp_ieee_overflow 0
		.amdhsa_exception_fp_ieee_underflow 0
		.amdhsa_exception_fp_ieee_inexact 0
		.amdhsa_exception_int_div_zero 0
	.end_amdhsa_kernel
	.section	.text._ZN7rocprim17ROCPRIM_400000_NS6detail17trampoline_kernelINS0_14default_configENS1_38merge_sort_block_merge_config_selectorIllEEZZNS1_27merge_sort_block_merge_implIS3_PlN6thrust23THRUST_200600_302600_NS10device_ptrIlEEjNS1_19radix_merge_compareILb0ELb1ElNS0_19identity_decomposerEEEEE10hipError_tT0_T1_T2_jT3_P12ihipStream_tbPNSt15iterator_traitsISG_E10value_typeEPNSM_ISH_E10value_typeEPSI_NS1_7vsmem_tEENKUlT_SG_SH_SI_E_clIS7_S7_S7_SB_EESF_SV_SG_SH_SI_EUlSV_E1_NS1_11comp_targetILNS1_3genE9ELNS1_11target_archE1100ELNS1_3gpuE3ELNS1_3repE0EEENS1_36merge_oddeven_config_static_selectorELNS0_4arch9wavefront6targetE1EEEvSH_,"axG",@progbits,_ZN7rocprim17ROCPRIM_400000_NS6detail17trampoline_kernelINS0_14default_configENS1_38merge_sort_block_merge_config_selectorIllEEZZNS1_27merge_sort_block_merge_implIS3_PlN6thrust23THRUST_200600_302600_NS10device_ptrIlEEjNS1_19radix_merge_compareILb0ELb1ElNS0_19identity_decomposerEEEEE10hipError_tT0_T1_T2_jT3_P12ihipStream_tbPNSt15iterator_traitsISG_E10value_typeEPNSM_ISH_E10value_typeEPSI_NS1_7vsmem_tEENKUlT_SG_SH_SI_E_clIS7_S7_S7_SB_EESF_SV_SG_SH_SI_EUlSV_E1_NS1_11comp_targetILNS1_3genE9ELNS1_11target_archE1100ELNS1_3gpuE3ELNS1_3repE0EEENS1_36merge_oddeven_config_static_selectorELNS0_4arch9wavefront6targetE1EEEvSH_,comdat
.Lfunc_end1088:
	.size	_ZN7rocprim17ROCPRIM_400000_NS6detail17trampoline_kernelINS0_14default_configENS1_38merge_sort_block_merge_config_selectorIllEEZZNS1_27merge_sort_block_merge_implIS3_PlN6thrust23THRUST_200600_302600_NS10device_ptrIlEEjNS1_19radix_merge_compareILb0ELb1ElNS0_19identity_decomposerEEEEE10hipError_tT0_T1_T2_jT3_P12ihipStream_tbPNSt15iterator_traitsISG_E10value_typeEPNSM_ISH_E10value_typeEPSI_NS1_7vsmem_tEENKUlT_SG_SH_SI_E_clIS7_S7_S7_SB_EESF_SV_SG_SH_SI_EUlSV_E1_NS1_11comp_targetILNS1_3genE9ELNS1_11target_archE1100ELNS1_3gpuE3ELNS1_3repE0EEENS1_36merge_oddeven_config_static_selectorELNS0_4arch9wavefront6targetE1EEEvSH_, .Lfunc_end1088-_ZN7rocprim17ROCPRIM_400000_NS6detail17trampoline_kernelINS0_14default_configENS1_38merge_sort_block_merge_config_selectorIllEEZZNS1_27merge_sort_block_merge_implIS3_PlN6thrust23THRUST_200600_302600_NS10device_ptrIlEEjNS1_19radix_merge_compareILb0ELb1ElNS0_19identity_decomposerEEEEE10hipError_tT0_T1_T2_jT3_P12ihipStream_tbPNSt15iterator_traitsISG_E10value_typeEPNSM_ISH_E10value_typeEPSI_NS1_7vsmem_tEENKUlT_SG_SH_SI_E_clIS7_S7_S7_SB_EESF_SV_SG_SH_SI_EUlSV_E1_NS1_11comp_targetILNS1_3genE9ELNS1_11target_archE1100ELNS1_3gpuE3ELNS1_3repE0EEENS1_36merge_oddeven_config_static_selectorELNS0_4arch9wavefront6targetE1EEEvSH_
                                        ; -- End function
	.set _ZN7rocprim17ROCPRIM_400000_NS6detail17trampoline_kernelINS0_14default_configENS1_38merge_sort_block_merge_config_selectorIllEEZZNS1_27merge_sort_block_merge_implIS3_PlN6thrust23THRUST_200600_302600_NS10device_ptrIlEEjNS1_19radix_merge_compareILb0ELb1ElNS0_19identity_decomposerEEEEE10hipError_tT0_T1_T2_jT3_P12ihipStream_tbPNSt15iterator_traitsISG_E10value_typeEPNSM_ISH_E10value_typeEPSI_NS1_7vsmem_tEENKUlT_SG_SH_SI_E_clIS7_S7_S7_SB_EESF_SV_SG_SH_SI_EUlSV_E1_NS1_11comp_targetILNS1_3genE9ELNS1_11target_archE1100ELNS1_3gpuE3ELNS1_3repE0EEENS1_36merge_oddeven_config_static_selectorELNS0_4arch9wavefront6targetE1EEEvSH_.num_vgpr, 0
	.set _ZN7rocprim17ROCPRIM_400000_NS6detail17trampoline_kernelINS0_14default_configENS1_38merge_sort_block_merge_config_selectorIllEEZZNS1_27merge_sort_block_merge_implIS3_PlN6thrust23THRUST_200600_302600_NS10device_ptrIlEEjNS1_19radix_merge_compareILb0ELb1ElNS0_19identity_decomposerEEEEE10hipError_tT0_T1_T2_jT3_P12ihipStream_tbPNSt15iterator_traitsISG_E10value_typeEPNSM_ISH_E10value_typeEPSI_NS1_7vsmem_tEENKUlT_SG_SH_SI_E_clIS7_S7_S7_SB_EESF_SV_SG_SH_SI_EUlSV_E1_NS1_11comp_targetILNS1_3genE9ELNS1_11target_archE1100ELNS1_3gpuE3ELNS1_3repE0EEENS1_36merge_oddeven_config_static_selectorELNS0_4arch9wavefront6targetE1EEEvSH_.num_agpr, 0
	.set _ZN7rocprim17ROCPRIM_400000_NS6detail17trampoline_kernelINS0_14default_configENS1_38merge_sort_block_merge_config_selectorIllEEZZNS1_27merge_sort_block_merge_implIS3_PlN6thrust23THRUST_200600_302600_NS10device_ptrIlEEjNS1_19radix_merge_compareILb0ELb1ElNS0_19identity_decomposerEEEEE10hipError_tT0_T1_T2_jT3_P12ihipStream_tbPNSt15iterator_traitsISG_E10value_typeEPNSM_ISH_E10value_typeEPSI_NS1_7vsmem_tEENKUlT_SG_SH_SI_E_clIS7_S7_S7_SB_EESF_SV_SG_SH_SI_EUlSV_E1_NS1_11comp_targetILNS1_3genE9ELNS1_11target_archE1100ELNS1_3gpuE3ELNS1_3repE0EEENS1_36merge_oddeven_config_static_selectorELNS0_4arch9wavefront6targetE1EEEvSH_.numbered_sgpr, 0
	.set _ZN7rocprim17ROCPRIM_400000_NS6detail17trampoline_kernelINS0_14default_configENS1_38merge_sort_block_merge_config_selectorIllEEZZNS1_27merge_sort_block_merge_implIS3_PlN6thrust23THRUST_200600_302600_NS10device_ptrIlEEjNS1_19radix_merge_compareILb0ELb1ElNS0_19identity_decomposerEEEEE10hipError_tT0_T1_T2_jT3_P12ihipStream_tbPNSt15iterator_traitsISG_E10value_typeEPNSM_ISH_E10value_typeEPSI_NS1_7vsmem_tEENKUlT_SG_SH_SI_E_clIS7_S7_S7_SB_EESF_SV_SG_SH_SI_EUlSV_E1_NS1_11comp_targetILNS1_3genE9ELNS1_11target_archE1100ELNS1_3gpuE3ELNS1_3repE0EEENS1_36merge_oddeven_config_static_selectorELNS0_4arch9wavefront6targetE1EEEvSH_.num_named_barrier, 0
	.set _ZN7rocprim17ROCPRIM_400000_NS6detail17trampoline_kernelINS0_14default_configENS1_38merge_sort_block_merge_config_selectorIllEEZZNS1_27merge_sort_block_merge_implIS3_PlN6thrust23THRUST_200600_302600_NS10device_ptrIlEEjNS1_19radix_merge_compareILb0ELb1ElNS0_19identity_decomposerEEEEE10hipError_tT0_T1_T2_jT3_P12ihipStream_tbPNSt15iterator_traitsISG_E10value_typeEPNSM_ISH_E10value_typeEPSI_NS1_7vsmem_tEENKUlT_SG_SH_SI_E_clIS7_S7_S7_SB_EESF_SV_SG_SH_SI_EUlSV_E1_NS1_11comp_targetILNS1_3genE9ELNS1_11target_archE1100ELNS1_3gpuE3ELNS1_3repE0EEENS1_36merge_oddeven_config_static_selectorELNS0_4arch9wavefront6targetE1EEEvSH_.private_seg_size, 0
	.set _ZN7rocprim17ROCPRIM_400000_NS6detail17trampoline_kernelINS0_14default_configENS1_38merge_sort_block_merge_config_selectorIllEEZZNS1_27merge_sort_block_merge_implIS3_PlN6thrust23THRUST_200600_302600_NS10device_ptrIlEEjNS1_19radix_merge_compareILb0ELb1ElNS0_19identity_decomposerEEEEE10hipError_tT0_T1_T2_jT3_P12ihipStream_tbPNSt15iterator_traitsISG_E10value_typeEPNSM_ISH_E10value_typeEPSI_NS1_7vsmem_tEENKUlT_SG_SH_SI_E_clIS7_S7_S7_SB_EESF_SV_SG_SH_SI_EUlSV_E1_NS1_11comp_targetILNS1_3genE9ELNS1_11target_archE1100ELNS1_3gpuE3ELNS1_3repE0EEENS1_36merge_oddeven_config_static_selectorELNS0_4arch9wavefront6targetE1EEEvSH_.uses_vcc, 0
	.set _ZN7rocprim17ROCPRIM_400000_NS6detail17trampoline_kernelINS0_14default_configENS1_38merge_sort_block_merge_config_selectorIllEEZZNS1_27merge_sort_block_merge_implIS3_PlN6thrust23THRUST_200600_302600_NS10device_ptrIlEEjNS1_19radix_merge_compareILb0ELb1ElNS0_19identity_decomposerEEEEE10hipError_tT0_T1_T2_jT3_P12ihipStream_tbPNSt15iterator_traitsISG_E10value_typeEPNSM_ISH_E10value_typeEPSI_NS1_7vsmem_tEENKUlT_SG_SH_SI_E_clIS7_S7_S7_SB_EESF_SV_SG_SH_SI_EUlSV_E1_NS1_11comp_targetILNS1_3genE9ELNS1_11target_archE1100ELNS1_3gpuE3ELNS1_3repE0EEENS1_36merge_oddeven_config_static_selectorELNS0_4arch9wavefront6targetE1EEEvSH_.uses_flat_scratch, 0
	.set _ZN7rocprim17ROCPRIM_400000_NS6detail17trampoline_kernelINS0_14default_configENS1_38merge_sort_block_merge_config_selectorIllEEZZNS1_27merge_sort_block_merge_implIS3_PlN6thrust23THRUST_200600_302600_NS10device_ptrIlEEjNS1_19radix_merge_compareILb0ELb1ElNS0_19identity_decomposerEEEEE10hipError_tT0_T1_T2_jT3_P12ihipStream_tbPNSt15iterator_traitsISG_E10value_typeEPNSM_ISH_E10value_typeEPSI_NS1_7vsmem_tEENKUlT_SG_SH_SI_E_clIS7_S7_S7_SB_EESF_SV_SG_SH_SI_EUlSV_E1_NS1_11comp_targetILNS1_3genE9ELNS1_11target_archE1100ELNS1_3gpuE3ELNS1_3repE0EEENS1_36merge_oddeven_config_static_selectorELNS0_4arch9wavefront6targetE1EEEvSH_.has_dyn_sized_stack, 0
	.set _ZN7rocprim17ROCPRIM_400000_NS6detail17trampoline_kernelINS0_14default_configENS1_38merge_sort_block_merge_config_selectorIllEEZZNS1_27merge_sort_block_merge_implIS3_PlN6thrust23THRUST_200600_302600_NS10device_ptrIlEEjNS1_19radix_merge_compareILb0ELb1ElNS0_19identity_decomposerEEEEE10hipError_tT0_T1_T2_jT3_P12ihipStream_tbPNSt15iterator_traitsISG_E10value_typeEPNSM_ISH_E10value_typeEPSI_NS1_7vsmem_tEENKUlT_SG_SH_SI_E_clIS7_S7_S7_SB_EESF_SV_SG_SH_SI_EUlSV_E1_NS1_11comp_targetILNS1_3genE9ELNS1_11target_archE1100ELNS1_3gpuE3ELNS1_3repE0EEENS1_36merge_oddeven_config_static_selectorELNS0_4arch9wavefront6targetE1EEEvSH_.has_recursion, 0
	.set _ZN7rocprim17ROCPRIM_400000_NS6detail17trampoline_kernelINS0_14default_configENS1_38merge_sort_block_merge_config_selectorIllEEZZNS1_27merge_sort_block_merge_implIS3_PlN6thrust23THRUST_200600_302600_NS10device_ptrIlEEjNS1_19radix_merge_compareILb0ELb1ElNS0_19identity_decomposerEEEEE10hipError_tT0_T1_T2_jT3_P12ihipStream_tbPNSt15iterator_traitsISG_E10value_typeEPNSM_ISH_E10value_typeEPSI_NS1_7vsmem_tEENKUlT_SG_SH_SI_E_clIS7_S7_S7_SB_EESF_SV_SG_SH_SI_EUlSV_E1_NS1_11comp_targetILNS1_3genE9ELNS1_11target_archE1100ELNS1_3gpuE3ELNS1_3repE0EEENS1_36merge_oddeven_config_static_selectorELNS0_4arch9wavefront6targetE1EEEvSH_.has_indirect_call, 0
	.section	.AMDGPU.csdata,"",@progbits
; Kernel info:
; codeLenInByte = 0
; TotalNumSgprs: 4
; NumVgprs: 0
; ScratchSize: 0
; MemoryBound: 0
; FloatMode: 240
; IeeeMode: 1
; LDSByteSize: 0 bytes/workgroup (compile time only)
; SGPRBlocks: 0
; VGPRBlocks: 0
; NumSGPRsForWavesPerEU: 4
; NumVGPRsForWavesPerEU: 1
; Occupancy: 10
; WaveLimiterHint : 0
; COMPUTE_PGM_RSRC2:SCRATCH_EN: 0
; COMPUTE_PGM_RSRC2:USER_SGPR: 6
; COMPUTE_PGM_RSRC2:TRAP_HANDLER: 0
; COMPUTE_PGM_RSRC2:TGID_X_EN: 1
; COMPUTE_PGM_RSRC2:TGID_Y_EN: 0
; COMPUTE_PGM_RSRC2:TGID_Z_EN: 0
; COMPUTE_PGM_RSRC2:TIDIG_COMP_CNT: 0
	.section	.text._ZN7rocprim17ROCPRIM_400000_NS6detail17trampoline_kernelINS0_14default_configENS1_38merge_sort_block_merge_config_selectorIllEEZZNS1_27merge_sort_block_merge_implIS3_PlN6thrust23THRUST_200600_302600_NS10device_ptrIlEEjNS1_19radix_merge_compareILb0ELb1ElNS0_19identity_decomposerEEEEE10hipError_tT0_T1_T2_jT3_P12ihipStream_tbPNSt15iterator_traitsISG_E10value_typeEPNSM_ISH_E10value_typeEPSI_NS1_7vsmem_tEENKUlT_SG_SH_SI_E_clIS7_S7_S7_SB_EESF_SV_SG_SH_SI_EUlSV_E1_NS1_11comp_targetILNS1_3genE8ELNS1_11target_archE1030ELNS1_3gpuE2ELNS1_3repE0EEENS1_36merge_oddeven_config_static_selectorELNS0_4arch9wavefront6targetE1EEEvSH_,"axG",@progbits,_ZN7rocprim17ROCPRIM_400000_NS6detail17trampoline_kernelINS0_14default_configENS1_38merge_sort_block_merge_config_selectorIllEEZZNS1_27merge_sort_block_merge_implIS3_PlN6thrust23THRUST_200600_302600_NS10device_ptrIlEEjNS1_19radix_merge_compareILb0ELb1ElNS0_19identity_decomposerEEEEE10hipError_tT0_T1_T2_jT3_P12ihipStream_tbPNSt15iterator_traitsISG_E10value_typeEPNSM_ISH_E10value_typeEPSI_NS1_7vsmem_tEENKUlT_SG_SH_SI_E_clIS7_S7_S7_SB_EESF_SV_SG_SH_SI_EUlSV_E1_NS1_11comp_targetILNS1_3genE8ELNS1_11target_archE1030ELNS1_3gpuE2ELNS1_3repE0EEENS1_36merge_oddeven_config_static_selectorELNS0_4arch9wavefront6targetE1EEEvSH_,comdat
	.protected	_ZN7rocprim17ROCPRIM_400000_NS6detail17trampoline_kernelINS0_14default_configENS1_38merge_sort_block_merge_config_selectorIllEEZZNS1_27merge_sort_block_merge_implIS3_PlN6thrust23THRUST_200600_302600_NS10device_ptrIlEEjNS1_19radix_merge_compareILb0ELb1ElNS0_19identity_decomposerEEEEE10hipError_tT0_T1_T2_jT3_P12ihipStream_tbPNSt15iterator_traitsISG_E10value_typeEPNSM_ISH_E10value_typeEPSI_NS1_7vsmem_tEENKUlT_SG_SH_SI_E_clIS7_S7_S7_SB_EESF_SV_SG_SH_SI_EUlSV_E1_NS1_11comp_targetILNS1_3genE8ELNS1_11target_archE1030ELNS1_3gpuE2ELNS1_3repE0EEENS1_36merge_oddeven_config_static_selectorELNS0_4arch9wavefront6targetE1EEEvSH_ ; -- Begin function _ZN7rocprim17ROCPRIM_400000_NS6detail17trampoline_kernelINS0_14default_configENS1_38merge_sort_block_merge_config_selectorIllEEZZNS1_27merge_sort_block_merge_implIS3_PlN6thrust23THRUST_200600_302600_NS10device_ptrIlEEjNS1_19radix_merge_compareILb0ELb1ElNS0_19identity_decomposerEEEEE10hipError_tT0_T1_T2_jT3_P12ihipStream_tbPNSt15iterator_traitsISG_E10value_typeEPNSM_ISH_E10value_typeEPSI_NS1_7vsmem_tEENKUlT_SG_SH_SI_E_clIS7_S7_S7_SB_EESF_SV_SG_SH_SI_EUlSV_E1_NS1_11comp_targetILNS1_3genE8ELNS1_11target_archE1030ELNS1_3gpuE2ELNS1_3repE0EEENS1_36merge_oddeven_config_static_selectorELNS0_4arch9wavefront6targetE1EEEvSH_
	.globl	_ZN7rocprim17ROCPRIM_400000_NS6detail17trampoline_kernelINS0_14default_configENS1_38merge_sort_block_merge_config_selectorIllEEZZNS1_27merge_sort_block_merge_implIS3_PlN6thrust23THRUST_200600_302600_NS10device_ptrIlEEjNS1_19radix_merge_compareILb0ELb1ElNS0_19identity_decomposerEEEEE10hipError_tT0_T1_T2_jT3_P12ihipStream_tbPNSt15iterator_traitsISG_E10value_typeEPNSM_ISH_E10value_typeEPSI_NS1_7vsmem_tEENKUlT_SG_SH_SI_E_clIS7_S7_S7_SB_EESF_SV_SG_SH_SI_EUlSV_E1_NS1_11comp_targetILNS1_3genE8ELNS1_11target_archE1030ELNS1_3gpuE2ELNS1_3repE0EEENS1_36merge_oddeven_config_static_selectorELNS0_4arch9wavefront6targetE1EEEvSH_
	.p2align	8
	.type	_ZN7rocprim17ROCPRIM_400000_NS6detail17trampoline_kernelINS0_14default_configENS1_38merge_sort_block_merge_config_selectorIllEEZZNS1_27merge_sort_block_merge_implIS3_PlN6thrust23THRUST_200600_302600_NS10device_ptrIlEEjNS1_19radix_merge_compareILb0ELb1ElNS0_19identity_decomposerEEEEE10hipError_tT0_T1_T2_jT3_P12ihipStream_tbPNSt15iterator_traitsISG_E10value_typeEPNSM_ISH_E10value_typeEPSI_NS1_7vsmem_tEENKUlT_SG_SH_SI_E_clIS7_S7_S7_SB_EESF_SV_SG_SH_SI_EUlSV_E1_NS1_11comp_targetILNS1_3genE8ELNS1_11target_archE1030ELNS1_3gpuE2ELNS1_3repE0EEENS1_36merge_oddeven_config_static_selectorELNS0_4arch9wavefront6targetE1EEEvSH_,@function
_ZN7rocprim17ROCPRIM_400000_NS6detail17trampoline_kernelINS0_14default_configENS1_38merge_sort_block_merge_config_selectorIllEEZZNS1_27merge_sort_block_merge_implIS3_PlN6thrust23THRUST_200600_302600_NS10device_ptrIlEEjNS1_19radix_merge_compareILb0ELb1ElNS0_19identity_decomposerEEEEE10hipError_tT0_T1_T2_jT3_P12ihipStream_tbPNSt15iterator_traitsISG_E10value_typeEPNSM_ISH_E10value_typeEPSI_NS1_7vsmem_tEENKUlT_SG_SH_SI_E_clIS7_S7_S7_SB_EESF_SV_SG_SH_SI_EUlSV_E1_NS1_11comp_targetILNS1_3genE8ELNS1_11target_archE1030ELNS1_3gpuE2ELNS1_3repE0EEENS1_36merge_oddeven_config_static_selectorELNS0_4arch9wavefront6targetE1EEEvSH_: ; @_ZN7rocprim17ROCPRIM_400000_NS6detail17trampoline_kernelINS0_14default_configENS1_38merge_sort_block_merge_config_selectorIllEEZZNS1_27merge_sort_block_merge_implIS3_PlN6thrust23THRUST_200600_302600_NS10device_ptrIlEEjNS1_19radix_merge_compareILb0ELb1ElNS0_19identity_decomposerEEEEE10hipError_tT0_T1_T2_jT3_P12ihipStream_tbPNSt15iterator_traitsISG_E10value_typeEPNSM_ISH_E10value_typeEPSI_NS1_7vsmem_tEENKUlT_SG_SH_SI_E_clIS7_S7_S7_SB_EESF_SV_SG_SH_SI_EUlSV_E1_NS1_11comp_targetILNS1_3genE8ELNS1_11target_archE1030ELNS1_3gpuE2ELNS1_3repE0EEENS1_36merge_oddeven_config_static_selectorELNS0_4arch9wavefront6targetE1EEEvSH_
; %bb.0:
	.section	.rodata,"a",@progbits
	.p2align	6, 0x0
	.amdhsa_kernel _ZN7rocprim17ROCPRIM_400000_NS6detail17trampoline_kernelINS0_14default_configENS1_38merge_sort_block_merge_config_selectorIllEEZZNS1_27merge_sort_block_merge_implIS3_PlN6thrust23THRUST_200600_302600_NS10device_ptrIlEEjNS1_19radix_merge_compareILb0ELb1ElNS0_19identity_decomposerEEEEE10hipError_tT0_T1_T2_jT3_P12ihipStream_tbPNSt15iterator_traitsISG_E10value_typeEPNSM_ISH_E10value_typeEPSI_NS1_7vsmem_tEENKUlT_SG_SH_SI_E_clIS7_S7_S7_SB_EESF_SV_SG_SH_SI_EUlSV_E1_NS1_11comp_targetILNS1_3genE8ELNS1_11target_archE1030ELNS1_3gpuE2ELNS1_3repE0EEENS1_36merge_oddeven_config_static_selectorELNS0_4arch9wavefront6targetE1EEEvSH_
		.amdhsa_group_segment_fixed_size 0
		.amdhsa_private_segment_fixed_size 0
		.amdhsa_kernarg_size 48
		.amdhsa_user_sgpr_count 6
		.amdhsa_user_sgpr_private_segment_buffer 1
		.amdhsa_user_sgpr_dispatch_ptr 0
		.amdhsa_user_sgpr_queue_ptr 0
		.amdhsa_user_sgpr_kernarg_segment_ptr 1
		.amdhsa_user_sgpr_dispatch_id 0
		.amdhsa_user_sgpr_flat_scratch_init 0
		.amdhsa_user_sgpr_private_segment_size 0
		.amdhsa_uses_dynamic_stack 0
		.amdhsa_system_sgpr_private_segment_wavefront_offset 0
		.amdhsa_system_sgpr_workgroup_id_x 1
		.amdhsa_system_sgpr_workgroup_id_y 0
		.amdhsa_system_sgpr_workgroup_id_z 0
		.amdhsa_system_sgpr_workgroup_info 0
		.amdhsa_system_vgpr_workitem_id 0
		.amdhsa_next_free_vgpr 1
		.amdhsa_next_free_sgpr 0
		.amdhsa_reserve_vcc 0
		.amdhsa_reserve_flat_scratch 0
		.amdhsa_float_round_mode_32 0
		.amdhsa_float_round_mode_16_64 0
		.amdhsa_float_denorm_mode_32 3
		.amdhsa_float_denorm_mode_16_64 3
		.amdhsa_dx10_clamp 1
		.amdhsa_ieee_mode 1
		.amdhsa_fp16_overflow 0
		.amdhsa_exception_fp_ieee_invalid_op 0
		.amdhsa_exception_fp_denorm_src 0
		.amdhsa_exception_fp_ieee_div_zero 0
		.amdhsa_exception_fp_ieee_overflow 0
		.amdhsa_exception_fp_ieee_underflow 0
		.amdhsa_exception_fp_ieee_inexact 0
		.amdhsa_exception_int_div_zero 0
	.end_amdhsa_kernel
	.section	.text._ZN7rocprim17ROCPRIM_400000_NS6detail17trampoline_kernelINS0_14default_configENS1_38merge_sort_block_merge_config_selectorIllEEZZNS1_27merge_sort_block_merge_implIS3_PlN6thrust23THRUST_200600_302600_NS10device_ptrIlEEjNS1_19radix_merge_compareILb0ELb1ElNS0_19identity_decomposerEEEEE10hipError_tT0_T1_T2_jT3_P12ihipStream_tbPNSt15iterator_traitsISG_E10value_typeEPNSM_ISH_E10value_typeEPSI_NS1_7vsmem_tEENKUlT_SG_SH_SI_E_clIS7_S7_S7_SB_EESF_SV_SG_SH_SI_EUlSV_E1_NS1_11comp_targetILNS1_3genE8ELNS1_11target_archE1030ELNS1_3gpuE2ELNS1_3repE0EEENS1_36merge_oddeven_config_static_selectorELNS0_4arch9wavefront6targetE1EEEvSH_,"axG",@progbits,_ZN7rocprim17ROCPRIM_400000_NS6detail17trampoline_kernelINS0_14default_configENS1_38merge_sort_block_merge_config_selectorIllEEZZNS1_27merge_sort_block_merge_implIS3_PlN6thrust23THRUST_200600_302600_NS10device_ptrIlEEjNS1_19radix_merge_compareILb0ELb1ElNS0_19identity_decomposerEEEEE10hipError_tT0_T1_T2_jT3_P12ihipStream_tbPNSt15iterator_traitsISG_E10value_typeEPNSM_ISH_E10value_typeEPSI_NS1_7vsmem_tEENKUlT_SG_SH_SI_E_clIS7_S7_S7_SB_EESF_SV_SG_SH_SI_EUlSV_E1_NS1_11comp_targetILNS1_3genE8ELNS1_11target_archE1030ELNS1_3gpuE2ELNS1_3repE0EEENS1_36merge_oddeven_config_static_selectorELNS0_4arch9wavefront6targetE1EEEvSH_,comdat
.Lfunc_end1089:
	.size	_ZN7rocprim17ROCPRIM_400000_NS6detail17trampoline_kernelINS0_14default_configENS1_38merge_sort_block_merge_config_selectorIllEEZZNS1_27merge_sort_block_merge_implIS3_PlN6thrust23THRUST_200600_302600_NS10device_ptrIlEEjNS1_19radix_merge_compareILb0ELb1ElNS0_19identity_decomposerEEEEE10hipError_tT0_T1_T2_jT3_P12ihipStream_tbPNSt15iterator_traitsISG_E10value_typeEPNSM_ISH_E10value_typeEPSI_NS1_7vsmem_tEENKUlT_SG_SH_SI_E_clIS7_S7_S7_SB_EESF_SV_SG_SH_SI_EUlSV_E1_NS1_11comp_targetILNS1_3genE8ELNS1_11target_archE1030ELNS1_3gpuE2ELNS1_3repE0EEENS1_36merge_oddeven_config_static_selectorELNS0_4arch9wavefront6targetE1EEEvSH_, .Lfunc_end1089-_ZN7rocprim17ROCPRIM_400000_NS6detail17trampoline_kernelINS0_14default_configENS1_38merge_sort_block_merge_config_selectorIllEEZZNS1_27merge_sort_block_merge_implIS3_PlN6thrust23THRUST_200600_302600_NS10device_ptrIlEEjNS1_19radix_merge_compareILb0ELb1ElNS0_19identity_decomposerEEEEE10hipError_tT0_T1_T2_jT3_P12ihipStream_tbPNSt15iterator_traitsISG_E10value_typeEPNSM_ISH_E10value_typeEPSI_NS1_7vsmem_tEENKUlT_SG_SH_SI_E_clIS7_S7_S7_SB_EESF_SV_SG_SH_SI_EUlSV_E1_NS1_11comp_targetILNS1_3genE8ELNS1_11target_archE1030ELNS1_3gpuE2ELNS1_3repE0EEENS1_36merge_oddeven_config_static_selectorELNS0_4arch9wavefront6targetE1EEEvSH_
                                        ; -- End function
	.set _ZN7rocprim17ROCPRIM_400000_NS6detail17trampoline_kernelINS0_14default_configENS1_38merge_sort_block_merge_config_selectorIllEEZZNS1_27merge_sort_block_merge_implIS3_PlN6thrust23THRUST_200600_302600_NS10device_ptrIlEEjNS1_19radix_merge_compareILb0ELb1ElNS0_19identity_decomposerEEEEE10hipError_tT0_T1_T2_jT3_P12ihipStream_tbPNSt15iterator_traitsISG_E10value_typeEPNSM_ISH_E10value_typeEPSI_NS1_7vsmem_tEENKUlT_SG_SH_SI_E_clIS7_S7_S7_SB_EESF_SV_SG_SH_SI_EUlSV_E1_NS1_11comp_targetILNS1_3genE8ELNS1_11target_archE1030ELNS1_3gpuE2ELNS1_3repE0EEENS1_36merge_oddeven_config_static_selectorELNS0_4arch9wavefront6targetE1EEEvSH_.num_vgpr, 0
	.set _ZN7rocprim17ROCPRIM_400000_NS6detail17trampoline_kernelINS0_14default_configENS1_38merge_sort_block_merge_config_selectorIllEEZZNS1_27merge_sort_block_merge_implIS3_PlN6thrust23THRUST_200600_302600_NS10device_ptrIlEEjNS1_19radix_merge_compareILb0ELb1ElNS0_19identity_decomposerEEEEE10hipError_tT0_T1_T2_jT3_P12ihipStream_tbPNSt15iterator_traitsISG_E10value_typeEPNSM_ISH_E10value_typeEPSI_NS1_7vsmem_tEENKUlT_SG_SH_SI_E_clIS7_S7_S7_SB_EESF_SV_SG_SH_SI_EUlSV_E1_NS1_11comp_targetILNS1_3genE8ELNS1_11target_archE1030ELNS1_3gpuE2ELNS1_3repE0EEENS1_36merge_oddeven_config_static_selectorELNS0_4arch9wavefront6targetE1EEEvSH_.num_agpr, 0
	.set _ZN7rocprim17ROCPRIM_400000_NS6detail17trampoline_kernelINS0_14default_configENS1_38merge_sort_block_merge_config_selectorIllEEZZNS1_27merge_sort_block_merge_implIS3_PlN6thrust23THRUST_200600_302600_NS10device_ptrIlEEjNS1_19radix_merge_compareILb0ELb1ElNS0_19identity_decomposerEEEEE10hipError_tT0_T1_T2_jT3_P12ihipStream_tbPNSt15iterator_traitsISG_E10value_typeEPNSM_ISH_E10value_typeEPSI_NS1_7vsmem_tEENKUlT_SG_SH_SI_E_clIS7_S7_S7_SB_EESF_SV_SG_SH_SI_EUlSV_E1_NS1_11comp_targetILNS1_3genE8ELNS1_11target_archE1030ELNS1_3gpuE2ELNS1_3repE0EEENS1_36merge_oddeven_config_static_selectorELNS0_4arch9wavefront6targetE1EEEvSH_.numbered_sgpr, 0
	.set _ZN7rocprim17ROCPRIM_400000_NS6detail17trampoline_kernelINS0_14default_configENS1_38merge_sort_block_merge_config_selectorIllEEZZNS1_27merge_sort_block_merge_implIS3_PlN6thrust23THRUST_200600_302600_NS10device_ptrIlEEjNS1_19radix_merge_compareILb0ELb1ElNS0_19identity_decomposerEEEEE10hipError_tT0_T1_T2_jT3_P12ihipStream_tbPNSt15iterator_traitsISG_E10value_typeEPNSM_ISH_E10value_typeEPSI_NS1_7vsmem_tEENKUlT_SG_SH_SI_E_clIS7_S7_S7_SB_EESF_SV_SG_SH_SI_EUlSV_E1_NS1_11comp_targetILNS1_3genE8ELNS1_11target_archE1030ELNS1_3gpuE2ELNS1_3repE0EEENS1_36merge_oddeven_config_static_selectorELNS0_4arch9wavefront6targetE1EEEvSH_.num_named_barrier, 0
	.set _ZN7rocprim17ROCPRIM_400000_NS6detail17trampoline_kernelINS0_14default_configENS1_38merge_sort_block_merge_config_selectorIllEEZZNS1_27merge_sort_block_merge_implIS3_PlN6thrust23THRUST_200600_302600_NS10device_ptrIlEEjNS1_19radix_merge_compareILb0ELb1ElNS0_19identity_decomposerEEEEE10hipError_tT0_T1_T2_jT3_P12ihipStream_tbPNSt15iterator_traitsISG_E10value_typeEPNSM_ISH_E10value_typeEPSI_NS1_7vsmem_tEENKUlT_SG_SH_SI_E_clIS7_S7_S7_SB_EESF_SV_SG_SH_SI_EUlSV_E1_NS1_11comp_targetILNS1_3genE8ELNS1_11target_archE1030ELNS1_3gpuE2ELNS1_3repE0EEENS1_36merge_oddeven_config_static_selectorELNS0_4arch9wavefront6targetE1EEEvSH_.private_seg_size, 0
	.set _ZN7rocprim17ROCPRIM_400000_NS6detail17trampoline_kernelINS0_14default_configENS1_38merge_sort_block_merge_config_selectorIllEEZZNS1_27merge_sort_block_merge_implIS3_PlN6thrust23THRUST_200600_302600_NS10device_ptrIlEEjNS1_19radix_merge_compareILb0ELb1ElNS0_19identity_decomposerEEEEE10hipError_tT0_T1_T2_jT3_P12ihipStream_tbPNSt15iterator_traitsISG_E10value_typeEPNSM_ISH_E10value_typeEPSI_NS1_7vsmem_tEENKUlT_SG_SH_SI_E_clIS7_S7_S7_SB_EESF_SV_SG_SH_SI_EUlSV_E1_NS1_11comp_targetILNS1_3genE8ELNS1_11target_archE1030ELNS1_3gpuE2ELNS1_3repE0EEENS1_36merge_oddeven_config_static_selectorELNS0_4arch9wavefront6targetE1EEEvSH_.uses_vcc, 0
	.set _ZN7rocprim17ROCPRIM_400000_NS6detail17trampoline_kernelINS0_14default_configENS1_38merge_sort_block_merge_config_selectorIllEEZZNS1_27merge_sort_block_merge_implIS3_PlN6thrust23THRUST_200600_302600_NS10device_ptrIlEEjNS1_19radix_merge_compareILb0ELb1ElNS0_19identity_decomposerEEEEE10hipError_tT0_T1_T2_jT3_P12ihipStream_tbPNSt15iterator_traitsISG_E10value_typeEPNSM_ISH_E10value_typeEPSI_NS1_7vsmem_tEENKUlT_SG_SH_SI_E_clIS7_S7_S7_SB_EESF_SV_SG_SH_SI_EUlSV_E1_NS1_11comp_targetILNS1_3genE8ELNS1_11target_archE1030ELNS1_3gpuE2ELNS1_3repE0EEENS1_36merge_oddeven_config_static_selectorELNS0_4arch9wavefront6targetE1EEEvSH_.uses_flat_scratch, 0
	.set _ZN7rocprim17ROCPRIM_400000_NS6detail17trampoline_kernelINS0_14default_configENS1_38merge_sort_block_merge_config_selectorIllEEZZNS1_27merge_sort_block_merge_implIS3_PlN6thrust23THRUST_200600_302600_NS10device_ptrIlEEjNS1_19radix_merge_compareILb0ELb1ElNS0_19identity_decomposerEEEEE10hipError_tT0_T1_T2_jT3_P12ihipStream_tbPNSt15iterator_traitsISG_E10value_typeEPNSM_ISH_E10value_typeEPSI_NS1_7vsmem_tEENKUlT_SG_SH_SI_E_clIS7_S7_S7_SB_EESF_SV_SG_SH_SI_EUlSV_E1_NS1_11comp_targetILNS1_3genE8ELNS1_11target_archE1030ELNS1_3gpuE2ELNS1_3repE0EEENS1_36merge_oddeven_config_static_selectorELNS0_4arch9wavefront6targetE1EEEvSH_.has_dyn_sized_stack, 0
	.set _ZN7rocprim17ROCPRIM_400000_NS6detail17trampoline_kernelINS0_14default_configENS1_38merge_sort_block_merge_config_selectorIllEEZZNS1_27merge_sort_block_merge_implIS3_PlN6thrust23THRUST_200600_302600_NS10device_ptrIlEEjNS1_19radix_merge_compareILb0ELb1ElNS0_19identity_decomposerEEEEE10hipError_tT0_T1_T2_jT3_P12ihipStream_tbPNSt15iterator_traitsISG_E10value_typeEPNSM_ISH_E10value_typeEPSI_NS1_7vsmem_tEENKUlT_SG_SH_SI_E_clIS7_S7_S7_SB_EESF_SV_SG_SH_SI_EUlSV_E1_NS1_11comp_targetILNS1_3genE8ELNS1_11target_archE1030ELNS1_3gpuE2ELNS1_3repE0EEENS1_36merge_oddeven_config_static_selectorELNS0_4arch9wavefront6targetE1EEEvSH_.has_recursion, 0
	.set _ZN7rocprim17ROCPRIM_400000_NS6detail17trampoline_kernelINS0_14default_configENS1_38merge_sort_block_merge_config_selectorIllEEZZNS1_27merge_sort_block_merge_implIS3_PlN6thrust23THRUST_200600_302600_NS10device_ptrIlEEjNS1_19radix_merge_compareILb0ELb1ElNS0_19identity_decomposerEEEEE10hipError_tT0_T1_T2_jT3_P12ihipStream_tbPNSt15iterator_traitsISG_E10value_typeEPNSM_ISH_E10value_typeEPSI_NS1_7vsmem_tEENKUlT_SG_SH_SI_E_clIS7_S7_S7_SB_EESF_SV_SG_SH_SI_EUlSV_E1_NS1_11comp_targetILNS1_3genE8ELNS1_11target_archE1030ELNS1_3gpuE2ELNS1_3repE0EEENS1_36merge_oddeven_config_static_selectorELNS0_4arch9wavefront6targetE1EEEvSH_.has_indirect_call, 0
	.section	.AMDGPU.csdata,"",@progbits
; Kernel info:
; codeLenInByte = 0
; TotalNumSgprs: 4
; NumVgprs: 0
; ScratchSize: 0
; MemoryBound: 0
; FloatMode: 240
; IeeeMode: 1
; LDSByteSize: 0 bytes/workgroup (compile time only)
; SGPRBlocks: 0
; VGPRBlocks: 0
; NumSGPRsForWavesPerEU: 4
; NumVGPRsForWavesPerEU: 1
; Occupancy: 10
; WaveLimiterHint : 0
; COMPUTE_PGM_RSRC2:SCRATCH_EN: 0
; COMPUTE_PGM_RSRC2:USER_SGPR: 6
; COMPUTE_PGM_RSRC2:TRAP_HANDLER: 0
; COMPUTE_PGM_RSRC2:TGID_X_EN: 1
; COMPUTE_PGM_RSRC2:TGID_Y_EN: 0
; COMPUTE_PGM_RSRC2:TGID_Z_EN: 0
; COMPUTE_PGM_RSRC2:TIDIG_COMP_CNT: 0
	.section	.text._ZN7rocprim17ROCPRIM_400000_NS6detail17trampoline_kernelINS0_14default_configENS1_38merge_sort_block_merge_config_selectorIllEEZZNS1_27merge_sort_block_merge_implIS3_PlN6thrust23THRUST_200600_302600_NS10device_ptrIlEEjNS1_19radix_merge_compareILb0ELb1ElNS0_19identity_decomposerEEEEE10hipError_tT0_T1_T2_jT3_P12ihipStream_tbPNSt15iterator_traitsISG_E10value_typeEPNSM_ISH_E10value_typeEPSI_NS1_7vsmem_tEENKUlT_SG_SH_SI_E_clIS7_S7_SB_S7_EESF_SV_SG_SH_SI_EUlSV_E_NS1_11comp_targetILNS1_3genE0ELNS1_11target_archE4294967295ELNS1_3gpuE0ELNS1_3repE0EEENS1_48merge_mergepath_partition_config_static_selectorELNS0_4arch9wavefront6targetE1EEEvSH_,"axG",@progbits,_ZN7rocprim17ROCPRIM_400000_NS6detail17trampoline_kernelINS0_14default_configENS1_38merge_sort_block_merge_config_selectorIllEEZZNS1_27merge_sort_block_merge_implIS3_PlN6thrust23THRUST_200600_302600_NS10device_ptrIlEEjNS1_19radix_merge_compareILb0ELb1ElNS0_19identity_decomposerEEEEE10hipError_tT0_T1_T2_jT3_P12ihipStream_tbPNSt15iterator_traitsISG_E10value_typeEPNSM_ISH_E10value_typeEPSI_NS1_7vsmem_tEENKUlT_SG_SH_SI_E_clIS7_S7_SB_S7_EESF_SV_SG_SH_SI_EUlSV_E_NS1_11comp_targetILNS1_3genE0ELNS1_11target_archE4294967295ELNS1_3gpuE0ELNS1_3repE0EEENS1_48merge_mergepath_partition_config_static_selectorELNS0_4arch9wavefront6targetE1EEEvSH_,comdat
	.protected	_ZN7rocprim17ROCPRIM_400000_NS6detail17trampoline_kernelINS0_14default_configENS1_38merge_sort_block_merge_config_selectorIllEEZZNS1_27merge_sort_block_merge_implIS3_PlN6thrust23THRUST_200600_302600_NS10device_ptrIlEEjNS1_19radix_merge_compareILb0ELb1ElNS0_19identity_decomposerEEEEE10hipError_tT0_T1_T2_jT3_P12ihipStream_tbPNSt15iterator_traitsISG_E10value_typeEPNSM_ISH_E10value_typeEPSI_NS1_7vsmem_tEENKUlT_SG_SH_SI_E_clIS7_S7_SB_S7_EESF_SV_SG_SH_SI_EUlSV_E_NS1_11comp_targetILNS1_3genE0ELNS1_11target_archE4294967295ELNS1_3gpuE0ELNS1_3repE0EEENS1_48merge_mergepath_partition_config_static_selectorELNS0_4arch9wavefront6targetE1EEEvSH_ ; -- Begin function _ZN7rocprim17ROCPRIM_400000_NS6detail17trampoline_kernelINS0_14default_configENS1_38merge_sort_block_merge_config_selectorIllEEZZNS1_27merge_sort_block_merge_implIS3_PlN6thrust23THRUST_200600_302600_NS10device_ptrIlEEjNS1_19radix_merge_compareILb0ELb1ElNS0_19identity_decomposerEEEEE10hipError_tT0_T1_T2_jT3_P12ihipStream_tbPNSt15iterator_traitsISG_E10value_typeEPNSM_ISH_E10value_typeEPSI_NS1_7vsmem_tEENKUlT_SG_SH_SI_E_clIS7_S7_SB_S7_EESF_SV_SG_SH_SI_EUlSV_E_NS1_11comp_targetILNS1_3genE0ELNS1_11target_archE4294967295ELNS1_3gpuE0ELNS1_3repE0EEENS1_48merge_mergepath_partition_config_static_selectorELNS0_4arch9wavefront6targetE1EEEvSH_
	.globl	_ZN7rocprim17ROCPRIM_400000_NS6detail17trampoline_kernelINS0_14default_configENS1_38merge_sort_block_merge_config_selectorIllEEZZNS1_27merge_sort_block_merge_implIS3_PlN6thrust23THRUST_200600_302600_NS10device_ptrIlEEjNS1_19radix_merge_compareILb0ELb1ElNS0_19identity_decomposerEEEEE10hipError_tT0_T1_T2_jT3_P12ihipStream_tbPNSt15iterator_traitsISG_E10value_typeEPNSM_ISH_E10value_typeEPSI_NS1_7vsmem_tEENKUlT_SG_SH_SI_E_clIS7_S7_SB_S7_EESF_SV_SG_SH_SI_EUlSV_E_NS1_11comp_targetILNS1_3genE0ELNS1_11target_archE4294967295ELNS1_3gpuE0ELNS1_3repE0EEENS1_48merge_mergepath_partition_config_static_selectorELNS0_4arch9wavefront6targetE1EEEvSH_
	.p2align	8
	.type	_ZN7rocprim17ROCPRIM_400000_NS6detail17trampoline_kernelINS0_14default_configENS1_38merge_sort_block_merge_config_selectorIllEEZZNS1_27merge_sort_block_merge_implIS3_PlN6thrust23THRUST_200600_302600_NS10device_ptrIlEEjNS1_19radix_merge_compareILb0ELb1ElNS0_19identity_decomposerEEEEE10hipError_tT0_T1_T2_jT3_P12ihipStream_tbPNSt15iterator_traitsISG_E10value_typeEPNSM_ISH_E10value_typeEPSI_NS1_7vsmem_tEENKUlT_SG_SH_SI_E_clIS7_S7_SB_S7_EESF_SV_SG_SH_SI_EUlSV_E_NS1_11comp_targetILNS1_3genE0ELNS1_11target_archE4294967295ELNS1_3gpuE0ELNS1_3repE0EEENS1_48merge_mergepath_partition_config_static_selectorELNS0_4arch9wavefront6targetE1EEEvSH_,@function
_ZN7rocprim17ROCPRIM_400000_NS6detail17trampoline_kernelINS0_14default_configENS1_38merge_sort_block_merge_config_selectorIllEEZZNS1_27merge_sort_block_merge_implIS3_PlN6thrust23THRUST_200600_302600_NS10device_ptrIlEEjNS1_19radix_merge_compareILb0ELb1ElNS0_19identity_decomposerEEEEE10hipError_tT0_T1_T2_jT3_P12ihipStream_tbPNSt15iterator_traitsISG_E10value_typeEPNSM_ISH_E10value_typeEPSI_NS1_7vsmem_tEENKUlT_SG_SH_SI_E_clIS7_S7_SB_S7_EESF_SV_SG_SH_SI_EUlSV_E_NS1_11comp_targetILNS1_3genE0ELNS1_11target_archE4294967295ELNS1_3gpuE0ELNS1_3repE0EEENS1_48merge_mergepath_partition_config_static_selectorELNS0_4arch9wavefront6targetE1EEEvSH_: ; @_ZN7rocprim17ROCPRIM_400000_NS6detail17trampoline_kernelINS0_14default_configENS1_38merge_sort_block_merge_config_selectorIllEEZZNS1_27merge_sort_block_merge_implIS3_PlN6thrust23THRUST_200600_302600_NS10device_ptrIlEEjNS1_19radix_merge_compareILb0ELb1ElNS0_19identity_decomposerEEEEE10hipError_tT0_T1_T2_jT3_P12ihipStream_tbPNSt15iterator_traitsISG_E10value_typeEPNSM_ISH_E10value_typeEPSI_NS1_7vsmem_tEENKUlT_SG_SH_SI_E_clIS7_S7_SB_S7_EESF_SV_SG_SH_SI_EUlSV_E_NS1_11comp_targetILNS1_3genE0ELNS1_11target_archE4294967295ELNS1_3gpuE0ELNS1_3repE0EEENS1_48merge_mergepath_partition_config_static_selectorELNS0_4arch9wavefront6targetE1EEEvSH_
; %bb.0:
	.section	.rodata,"a",@progbits
	.p2align	6, 0x0
	.amdhsa_kernel _ZN7rocprim17ROCPRIM_400000_NS6detail17trampoline_kernelINS0_14default_configENS1_38merge_sort_block_merge_config_selectorIllEEZZNS1_27merge_sort_block_merge_implIS3_PlN6thrust23THRUST_200600_302600_NS10device_ptrIlEEjNS1_19radix_merge_compareILb0ELb1ElNS0_19identity_decomposerEEEEE10hipError_tT0_T1_T2_jT3_P12ihipStream_tbPNSt15iterator_traitsISG_E10value_typeEPNSM_ISH_E10value_typeEPSI_NS1_7vsmem_tEENKUlT_SG_SH_SI_E_clIS7_S7_SB_S7_EESF_SV_SG_SH_SI_EUlSV_E_NS1_11comp_targetILNS1_3genE0ELNS1_11target_archE4294967295ELNS1_3gpuE0ELNS1_3repE0EEENS1_48merge_mergepath_partition_config_static_selectorELNS0_4arch9wavefront6targetE1EEEvSH_
		.amdhsa_group_segment_fixed_size 0
		.amdhsa_private_segment_fixed_size 0
		.amdhsa_kernarg_size 40
		.amdhsa_user_sgpr_count 6
		.amdhsa_user_sgpr_private_segment_buffer 1
		.amdhsa_user_sgpr_dispatch_ptr 0
		.amdhsa_user_sgpr_queue_ptr 0
		.amdhsa_user_sgpr_kernarg_segment_ptr 1
		.amdhsa_user_sgpr_dispatch_id 0
		.amdhsa_user_sgpr_flat_scratch_init 0
		.amdhsa_user_sgpr_private_segment_size 0
		.amdhsa_uses_dynamic_stack 0
		.amdhsa_system_sgpr_private_segment_wavefront_offset 0
		.amdhsa_system_sgpr_workgroup_id_x 1
		.amdhsa_system_sgpr_workgroup_id_y 0
		.amdhsa_system_sgpr_workgroup_id_z 0
		.amdhsa_system_sgpr_workgroup_info 0
		.amdhsa_system_vgpr_workitem_id 0
		.amdhsa_next_free_vgpr 1
		.amdhsa_next_free_sgpr 0
		.amdhsa_reserve_vcc 0
		.amdhsa_reserve_flat_scratch 0
		.amdhsa_float_round_mode_32 0
		.amdhsa_float_round_mode_16_64 0
		.amdhsa_float_denorm_mode_32 3
		.amdhsa_float_denorm_mode_16_64 3
		.amdhsa_dx10_clamp 1
		.amdhsa_ieee_mode 1
		.amdhsa_fp16_overflow 0
		.amdhsa_exception_fp_ieee_invalid_op 0
		.amdhsa_exception_fp_denorm_src 0
		.amdhsa_exception_fp_ieee_div_zero 0
		.amdhsa_exception_fp_ieee_overflow 0
		.amdhsa_exception_fp_ieee_underflow 0
		.amdhsa_exception_fp_ieee_inexact 0
		.amdhsa_exception_int_div_zero 0
	.end_amdhsa_kernel
	.section	.text._ZN7rocprim17ROCPRIM_400000_NS6detail17trampoline_kernelINS0_14default_configENS1_38merge_sort_block_merge_config_selectorIllEEZZNS1_27merge_sort_block_merge_implIS3_PlN6thrust23THRUST_200600_302600_NS10device_ptrIlEEjNS1_19radix_merge_compareILb0ELb1ElNS0_19identity_decomposerEEEEE10hipError_tT0_T1_T2_jT3_P12ihipStream_tbPNSt15iterator_traitsISG_E10value_typeEPNSM_ISH_E10value_typeEPSI_NS1_7vsmem_tEENKUlT_SG_SH_SI_E_clIS7_S7_SB_S7_EESF_SV_SG_SH_SI_EUlSV_E_NS1_11comp_targetILNS1_3genE0ELNS1_11target_archE4294967295ELNS1_3gpuE0ELNS1_3repE0EEENS1_48merge_mergepath_partition_config_static_selectorELNS0_4arch9wavefront6targetE1EEEvSH_,"axG",@progbits,_ZN7rocprim17ROCPRIM_400000_NS6detail17trampoline_kernelINS0_14default_configENS1_38merge_sort_block_merge_config_selectorIllEEZZNS1_27merge_sort_block_merge_implIS3_PlN6thrust23THRUST_200600_302600_NS10device_ptrIlEEjNS1_19radix_merge_compareILb0ELb1ElNS0_19identity_decomposerEEEEE10hipError_tT0_T1_T2_jT3_P12ihipStream_tbPNSt15iterator_traitsISG_E10value_typeEPNSM_ISH_E10value_typeEPSI_NS1_7vsmem_tEENKUlT_SG_SH_SI_E_clIS7_S7_SB_S7_EESF_SV_SG_SH_SI_EUlSV_E_NS1_11comp_targetILNS1_3genE0ELNS1_11target_archE4294967295ELNS1_3gpuE0ELNS1_3repE0EEENS1_48merge_mergepath_partition_config_static_selectorELNS0_4arch9wavefront6targetE1EEEvSH_,comdat
.Lfunc_end1090:
	.size	_ZN7rocprim17ROCPRIM_400000_NS6detail17trampoline_kernelINS0_14default_configENS1_38merge_sort_block_merge_config_selectorIllEEZZNS1_27merge_sort_block_merge_implIS3_PlN6thrust23THRUST_200600_302600_NS10device_ptrIlEEjNS1_19radix_merge_compareILb0ELb1ElNS0_19identity_decomposerEEEEE10hipError_tT0_T1_T2_jT3_P12ihipStream_tbPNSt15iterator_traitsISG_E10value_typeEPNSM_ISH_E10value_typeEPSI_NS1_7vsmem_tEENKUlT_SG_SH_SI_E_clIS7_S7_SB_S7_EESF_SV_SG_SH_SI_EUlSV_E_NS1_11comp_targetILNS1_3genE0ELNS1_11target_archE4294967295ELNS1_3gpuE0ELNS1_3repE0EEENS1_48merge_mergepath_partition_config_static_selectorELNS0_4arch9wavefront6targetE1EEEvSH_, .Lfunc_end1090-_ZN7rocprim17ROCPRIM_400000_NS6detail17trampoline_kernelINS0_14default_configENS1_38merge_sort_block_merge_config_selectorIllEEZZNS1_27merge_sort_block_merge_implIS3_PlN6thrust23THRUST_200600_302600_NS10device_ptrIlEEjNS1_19radix_merge_compareILb0ELb1ElNS0_19identity_decomposerEEEEE10hipError_tT0_T1_T2_jT3_P12ihipStream_tbPNSt15iterator_traitsISG_E10value_typeEPNSM_ISH_E10value_typeEPSI_NS1_7vsmem_tEENKUlT_SG_SH_SI_E_clIS7_S7_SB_S7_EESF_SV_SG_SH_SI_EUlSV_E_NS1_11comp_targetILNS1_3genE0ELNS1_11target_archE4294967295ELNS1_3gpuE0ELNS1_3repE0EEENS1_48merge_mergepath_partition_config_static_selectorELNS0_4arch9wavefront6targetE1EEEvSH_
                                        ; -- End function
	.set _ZN7rocprim17ROCPRIM_400000_NS6detail17trampoline_kernelINS0_14default_configENS1_38merge_sort_block_merge_config_selectorIllEEZZNS1_27merge_sort_block_merge_implIS3_PlN6thrust23THRUST_200600_302600_NS10device_ptrIlEEjNS1_19radix_merge_compareILb0ELb1ElNS0_19identity_decomposerEEEEE10hipError_tT0_T1_T2_jT3_P12ihipStream_tbPNSt15iterator_traitsISG_E10value_typeEPNSM_ISH_E10value_typeEPSI_NS1_7vsmem_tEENKUlT_SG_SH_SI_E_clIS7_S7_SB_S7_EESF_SV_SG_SH_SI_EUlSV_E_NS1_11comp_targetILNS1_3genE0ELNS1_11target_archE4294967295ELNS1_3gpuE0ELNS1_3repE0EEENS1_48merge_mergepath_partition_config_static_selectorELNS0_4arch9wavefront6targetE1EEEvSH_.num_vgpr, 0
	.set _ZN7rocprim17ROCPRIM_400000_NS6detail17trampoline_kernelINS0_14default_configENS1_38merge_sort_block_merge_config_selectorIllEEZZNS1_27merge_sort_block_merge_implIS3_PlN6thrust23THRUST_200600_302600_NS10device_ptrIlEEjNS1_19radix_merge_compareILb0ELb1ElNS0_19identity_decomposerEEEEE10hipError_tT0_T1_T2_jT3_P12ihipStream_tbPNSt15iterator_traitsISG_E10value_typeEPNSM_ISH_E10value_typeEPSI_NS1_7vsmem_tEENKUlT_SG_SH_SI_E_clIS7_S7_SB_S7_EESF_SV_SG_SH_SI_EUlSV_E_NS1_11comp_targetILNS1_3genE0ELNS1_11target_archE4294967295ELNS1_3gpuE0ELNS1_3repE0EEENS1_48merge_mergepath_partition_config_static_selectorELNS0_4arch9wavefront6targetE1EEEvSH_.num_agpr, 0
	.set _ZN7rocprim17ROCPRIM_400000_NS6detail17trampoline_kernelINS0_14default_configENS1_38merge_sort_block_merge_config_selectorIllEEZZNS1_27merge_sort_block_merge_implIS3_PlN6thrust23THRUST_200600_302600_NS10device_ptrIlEEjNS1_19radix_merge_compareILb0ELb1ElNS0_19identity_decomposerEEEEE10hipError_tT0_T1_T2_jT3_P12ihipStream_tbPNSt15iterator_traitsISG_E10value_typeEPNSM_ISH_E10value_typeEPSI_NS1_7vsmem_tEENKUlT_SG_SH_SI_E_clIS7_S7_SB_S7_EESF_SV_SG_SH_SI_EUlSV_E_NS1_11comp_targetILNS1_3genE0ELNS1_11target_archE4294967295ELNS1_3gpuE0ELNS1_3repE0EEENS1_48merge_mergepath_partition_config_static_selectorELNS0_4arch9wavefront6targetE1EEEvSH_.numbered_sgpr, 0
	.set _ZN7rocprim17ROCPRIM_400000_NS6detail17trampoline_kernelINS0_14default_configENS1_38merge_sort_block_merge_config_selectorIllEEZZNS1_27merge_sort_block_merge_implIS3_PlN6thrust23THRUST_200600_302600_NS10device_ptrIlEEjNS1_19radix_merge_compareILb0ELb1ElNS0_19identity_decomposerEEEEE10hipError_tT0_T1_T2_jT3_P12ihipStream_tbPNSt15iterator_traitsISG_E10value_typeEPNSM_ISH_E10value_typeEPSI_NS1_7vsmem_tEENKUlT_SG_SH_SI_E_clIS7_S7_SB_S7_EESF_SV_SG_SH_SI_EUlSV_E_NS1_11comp_targetILNS1_3genE0ELNS1_11target_archE4294967295ELNS1_3gpuE0ELNS1_3repE0EEENS1_48merge_mergepath_partition_config_static_selectorELNS0_4arch9wavefront6targetE1EEEvSH_.num_named_barrier, 0
	.set _ZN7rocprim17ROCPRIM_400000_NS6detail17trampoline_kernelINS0_14default_configENS1_38merge_sort_block_merge_config_selectorIllEEZZNS1_27merge_sort_block_merge_implIS3_PlN6thrust23THRUST_200600_302600_NS10device_ptrIlEEjNS1_19radix_merge_compareILb0ELb1ElNS0_19identity_decomposerEEEEE10hipError_tT0_T1_T2_jT3_P12ihipStream_tbPNSt15iterator_traitsISG_E10value_typeEPNSM_ISH_E10value_typeEPSI_NS1_7vsmem_tEENKUlT_SG_SH_SI_E_clIS7_S7_SB_S7_EESF_SV_SG_SH_SI_EUlSV_E_NS1_11comp_targetILNS1_3genE0ELNS1_11target_archE4294967295ELNS1_3gpuE0ELNS1_3repE0EEENS1_48merge_mergepath_partition_config_static_selectorELNS0_4arch9wavefront6targetE1EEEvSH_.private_seg_size, 0
	.set _ZN7rocprim17ROCPRIM_400000_NS6detail17trampoline_kernelINS0_14default_configENS1_38merge_sort_block_merge_config_selectorIllEEZZNS1_27merge_sort_block_merge_implIS3_PlN6thrust23THRUST_200600_302600_NS10device_ptrIlEEjNS1_19radix_merge_compareILb0ELb1ElNS0_19identity_decomposerEEEEE10hipError_tT0_T1_T2_jT3_P12ihipStream_tbPNSt15iterator_traitsISG_E10value_typeEPNSM_ISH_E10value_typeEPSI_NS1_7vsmem_tEENKUlT_SG_SH_SI_E_clIS7_S7_SB_S7_EESF_SV_SG_SH_SI_EUlSV_E_NS1_11comp_targetILNS1_3genE0ELNS1_11target_archE4294967295ELNS1_3gpuE0ELNS1_3repE0EEENS1_48merge_mergepath_partition_config_static_selectorELNS0_4arch9wavefront6targetE1EEEvSH_.uses_vcc, 0
	.set _ZN7rocprim17ROCPRIM_400000_NS6detail17trampoline_kernelINS0_14default_configENS1_38merge_sort_block_merge_config_selectorIllEEZZNS1_27merge_sort_block_merge_implIS3_PlN6thrust23THRUST_200600_302600_NS10device_ptrIlEEjNS1_19radix_merge_compareILb0ELb1ElNS0_19identity_decomposerEEEEE10hipError_tT0_T1_T2_jT3_P12ihipStream_tbPNSt15iterator_traitsISG_E10value_typeEPNSM_ISH_E10value_typeEPSI_NS1_7vsmem_tEENKUlT_SG_SH_SI_E_clIS7_S7_SB_S7_EESF_SV_SG_SH_SI_EUlSV_E_NS1_11comp_targetILNS1_3genE0ELNS1_11target_archE4294967295ELNS1_3gpuE0ELNS1_3repE0EEENS1_48merge_mergepath_partition_config_static_selectorELNS0_4arch9wavefront6targetE1EEEvSH_.uses_flat_scratch, 0
	.set _ZN7rocprim17ROCPRIM_400000_NS6detail17trampoline_kernelINS0_14default_configENS1_38merge_sort_block_merge_config_selectorIllEEZZNS1_27merge_sort_block_merge_implIS3_PlN6thrust23THRUST_200600_302600_NS10device_ptrIlEEjNS1_19radix_merge_compareILb0ELb1ElNS0_19identity_decomposerEEEEE10hipError_tT0_T1_T2_jT3_P12ihipStream_tbPNSt15iterator_traitsISG_E10value_typeEPNSM_ISH_E10value_typeEPSI_NS1_7vsmem_tEENKUlT_SG_SH_SI_E_clIS7_S7_SB_S7_EESF_SV_SG_SH_SI_EUlSV_E_NS1_11comp_targetILNS1_3genE0ELNS1_11target_archE4294967295ELNS1_3gpuE0ELNS1_3repE0EEENS1_48merge_mergepath_partition_config_static_selectorELNS0_4arch9wavefront6targetE1EEEvSH_.has_dyn_sized_stack, 0
	.set _ZN7rocprim17ROCPRIM_400000_NS6detail17trampoline_kernelINS0_14default_configENS1_38merge_sort_block_merge_config_selectorIllEEZZNS1_27merge_sort_block_merge_implIS3_PlN6thrust23THRUST_200600_302600_NS10device_ptrIlEEjNS1_19radix_merge_compareILb0ELb1ElNS0_19identity_decomposerEEEEE10hipError_tT0_T1_T2_jT3_P12ihipStream_tbPNSt15iterator_traitsISG_E10value_typeEPNSM_ISH_E10value_typeEPSI_NS1_7vsmem_tEENKUlT_SG_SH_SI_E_clIS7_S7_SB_S7_EESF_SV_SG_SH_SI_EUlSV_E_NS1_11comp_targetILNS1_3genE0ELNS1_11target_archE4294967295ELNS1_3gpuE0ELNS1_3repE0EEENS1_48merge_mergepath_partition_config_static_selectorELNS0_4arch9wavefront6targetE1EEEvSH_.has_recursion, 0
	.set _ZN7rocprim17ROCPRIM_400000_NS6detail17trampoline_kernelINS0_14default_configENS1_38merge_sort_block_merge_config_selectorIllEEZZNS1_27merge_sort_block_merge_implIS3_PlN6thrust23THRUST_200600_302600_NS10device_ptrIlEEjNS1_19radix_merge_compareILb0ELb1ElNS0_19identity_decomposerEEEEE10hipError_tT0_T1_T2_jT3_P12ihipStream_tbPNSt15iterator_traitsISG_E10value_typeEPNSM_ISH_E10value_typeEPSI_NS1_7vsmem_tEENKUlT_SG_SH_SI_E_clIS7_S7_SB_S7_EESF_SV_SG_SH_SI_EUlSV_E_NS1_11comp_targetILNS1_3genE0ELNS1_11target_archE4294967295ELNS1_3gpuE0ELNS1_3repE0EEENS1_48merge_mergepath_partition_config_static_selectorELNS0_4arch9wavefront6targetE1EEEvSH_.has_indirect_call, 0
	.section	.AMDGPU.csdata,"",@progbits
; Kernel info:
; codeLenInByte = 0
; TotalNumSgprs: 4
; NumVgprs: 0
; ScratchSize: 0
; MemoryBound: 0
; FloatMode: 240
; IeeeMode: 1
; LDSByteSize: 0 bytes/workgroup (compile time only)
; SGPRBlocks: 0
; VGPRBlocks: 0
; NumSGPRsForWavesPerEU: 4
; NumVGPRsForWavesPerEU: 1
; Occupancy: 10
; WaveLimiterHint : 0
; COMPUTE_PGM_RSRC2:SCRATCH_EN: 0
; COMPUTE_PGM_RSRC2:USER_SGPR: 6
; COMPUTE_PGM_RSRC2:TRAP_HANDLER: 0
; COMPUTE_PGM_RSRC2:TGID_X_EN: 1
; COMPUTE_PGM_RSRC2:TGID_Y_EN: 0
; COMPUTE_PGM_RSRC2:TGID_Z_EN: 0
; COMPUTE_PGM_RSRC2:TIDIG_COMP_CNT: 0
	.section	.text._ZN7rocprim17ROCPRIM_400000_NS6detail17trampoline_kernelINS0_14default_configENS1_38merge_sort_block_merge_config_selectorIllEEZZNS1_27merge_sort_block_merge_implIS3_PlN6thrust23THRUST_200600_302600_NS10device_ptrIlEEjNS1_19radix_merge_compareILb0ELb1ElNS0_19identity_decomposerEEEEE10hipError_tT0_T1_T2_jT3_P12ihipStream_tbPNSt15iterator_traitsISG_E10value_typeEPNSM_ISH_E10value_typeEPSI_NS1_7vsmem_tEENKUlT_SG_SH_SI_E_clIS7_S7_SB_S7_EESF_SV_SG_SH_SI_EUlSV_E_NS1_11comp_targetILNS1_3genE10ELNS1_11target_archE1201ELNS1_3gpuE5ELNS1_3repE0EEENS1_48merge_mergepath_partition_config_static_selectorELNS0_4arch9wavefront6targetE1EEEvSH_,"axG",@progbits,_ZN7rocprim17ROCPRIM_400000_NS6detail17trampoline_kernelINS0_14default_configENS1_38merge_sort_block_merge_config_selectorIllEEZZNS1_27merge_sort_block_merge_implIS3_PlN6thrust23THRUST_200600_302600_NS10device_ptrIlEEjNS1_19radix_merge_compareILb0ELb1ElNS0_19identity_decomposerEEEEE10hipError_tT0_T1_T2_jT3_P12ihipStream_tbPNSt15iterator_traitsISG_E10value_typeEPNSM_ISH_E10value_typeEPSI_NS1_7vsmem_tEENKUlT_SG_SH_SI_E_clIS7_S7_SB_S7_EESF_SV_SG_SH_SI_EUlSV_E_NS1_11comp_targetILNS1_3genE10ELNS1_11target_archE1201ELNS1_3gpuE5ELNS1_3repE0EEENS1_48merge_mergepath_partition_config_static_selectorELNS0_4arch9wavefront6targetE1EEEvSH_,comdat
	.protected	_ZN7rocprim17ROCPRIM_400000_NS6detail17trampoline_kernelINS0_14default_configENS1_38merge_sort_block_merge_config_selectorIllEEZZNS1_27merge_sort_block_merge_implIS3_PlN6thrust23THRUST_200600_302600_NS10device_ptrIlEEjNS1_19radix_merge_compareILb0ELb1ElNS0_19identity_decomposerEEEEE10hipError_tT0_T1_T2_jT3_P12ihipStream_tbPNSt15iterator_traitsISG_E10value_typeEPNSM_ISH_E10value_typeEPSI_NS1_7vsmem_tEENKUlT_SG_SH_SI_E_clIS7_S7_SB_S7_EESF_SV_SG_SH_SI_EUlSV_E_NS1_11comp_targetILNS1_3genE10ELNS1_11target_archE1201ELNS1_3gpuE5ELNS1_3repE0EEENS1_48merge_mergepath_partition_config_static_selectorELNS0_4arch9wavefront6targetE1EEEvSH_ ; -- Begin function _ZN7rocprim17ROCPRIM_400000_NS6detail17trampoline_kernelINS0_14default_configENS1_38merge_sort_block_merge_config_selectorIllEEZZNS1_27merge_sort_block_merge_implIS3_PlN6thrust23THRUST_200600_302600_NS10device_ptrIlEEjNS1_19radix_merge_compareILb0ELb1ElNS0_19identity_decomposerEEEEE10hipError_tT0_T1_T2_jT3_P12ihipStream_tbPNSt15iterator_traitsISG_E10value_typeEPNSM_ISH_E10value_typeEPSI_NS1_7vsmem_tEENKUlT_SG_SH_SI_E_clIS7_S7_SB_S7_EESF_SV_SG_SH_SI_EUlSV_E_NS1_11comp_targetILNS1_3genE10ELNS1_11target_archE1201ELNS1_3gpuE5ELNS1_3repE0EEENS1_48merge_mergepath_partition_config_static_selectorELNS0_4arch9wavefront6targetE1EEEvSH_
	.globl	_ZN7rocprim17ROCPRIM_400000_NS6detail17trampoline_kernelINS0_14default_configENS1_38merge_sort_block_merge_config_selectorIllEEZZNS1_27merge_sort_block_merge_implIS3_PlN6thrust23THRUST_200600_302600_NS10device_ptrIlEEjNS1_19radix_merge_compareILb0ELb1ElNS0_19identity_decomposerEEEEE10hipError_tT0_T1_T2_jT3_P12ihipStream_tbPNSt15iterator_traitsISG_E10value_typeEPNSM_ISH_E10value_typeEPSI_NS1_7vsmem_tEENKUlT_SG_SH_SI_E_clIS7_S7_SB_S7_EESF_SV_SG_SH_SI_EUlSV_E_NS1_11comp_targetILNS1_3genE10ELNS1_11target_archE1201ELNS1_3gpuE5ELNS1_3repE0EEENS1_48merge_mergepath_partition_config_static_selectorELNS0_4arch9wavefront6targetE1EEEvSH_
	.p2align	8
	.type	_ZN7rocprim17ROCPRIM_400000_NS6detail17trampoline_kernelINS0_14default_configENS1_38merge_sort_block_merge_config_selectorIllEEZZNS1_27merge_sort_block_merge_implIS3_PlN6thrust23THRUST_200600_302600_NS10device_ptrIlEEjNS1_19radix_merge_compareILb0ELb1ElNS0_19identity_decomposerEEEEE10hipError_tT0_T1_T2_jT3_P12ihipStream_tbPNSt15iterator_traitsISG_E10value_typeEPNSM_ISH_E10value_typeEPSI_NS1_7vsmem_tEENKUlT_SG_SH_SI_E_clIS7_S7_SB_S7_EESF_SV_SG_SH_SI_EUlSV_E_NS1_11comp_targetILNS1_3genE10ELNS1_11target_archE1201ELNS1_3gpuE5ELNS1_3repE0EEENS1_48merge_mergepath_partition_config_static_selectorELNS0_4arch9wavefront6targetE1EEEvSH_,@function
_ZN7rocprim17ROCPRIM_400000_NS6detail17trampoline_kernelINS0_14default_configENS1_38merge_sort_block_merge_config_selectorIllEEZZNS1_27merge_sort_block_merge_implIS3_PlN6thrust23THRUST_200600_302600_NS10device_ptrIlEEjNS1_19radix_merge_compareILb0ELb1ElNS0_19identity_decomposerEEEEE10hipError_tT0_T1_T2_jT3_P12ihipStream_tbPNSt15iterator_traitsISG_E10value_typeEPNSM_ISH_E10value_typeEPSI_NS1_7vsmem_tEENKUlT_SG_SH_SI_E_clIS7_S7_SB_S7_EESF_SV_SG_SH_SI_EUlSV_E_NS1_11comp_targetILNS1_3genE10ELNS1_11target_archE1201ELNS1_3gpuE5ELNS1_3repE0EEENS1_48merge_mergepath_partition_config_static_selectorELNS0_4arch9wavefront6targetE1EEEvSH_: ; @_ZN7rocprim17ROCPRIM_400000_NS6detail17trampoline_kernelINS0_14default_configENS1_38merge_sort_block_merge_config_selectorIllEEZZNS1_27merge_sort_block_merge_implIS3_PlN6thrust23THRUST_200600_302600_NS10device_ptrIlEEjNS1_19radix_merge_compareILb0ELb1ElNS0_19identity_decomposerEEEEE10hipError_tT0_T1_T2_jT3_P12ihipStream_tbPNSt15iterator_traitsISG_E10value_typeEPNSM_ISH_E10value_typeEPSI_NS1_7vsmem_tEENKUlT_SG_SH_SI_E_clIS7_S7_SB_S7_EESF_SV_SG_SH_SI_EUlSV_E_NS1_11comp_targetILNS1_3genE10ELNS1_11target_archE1201ELNS1_3gpuE5ELNS1_3repE0EEENS1_48merge_mergepath_partition_config_static_selectorELNS0_4arch9wavefront6targetE1EEEvSH_
; %bb.0:
	.section	.rodata,"a",@progbits
	.p2align	6, 0x0
	.amdhsa_kernel _ZN7rocprim17ROCPRIM_400000_NS6detail17trampoline_kernelINS0_14default_configENS1_38merge_sort_block_merge_config_selectorIllEEZZNS1_27merge_sort_block_merge_implIS3_PlN6thrust23THRUST_200600_302600_NS10device_ptrIlEEjNS1_19radix_merge_compareILb0ELb1ElNS0_19identity_decomposerEEEEE10hipError_tT0_T1_T2_jT3_P12ihipStream_tbPNSt15iterator_traitsISG_E10value_typeEPNSM_ISH_E10value_typeEPSI_NS1_7vsmem_tEENKUlT_SG_SH_SI_E_clIS7_S7_SB_S7_EESF_SV_SG_SH_SI_EUlSV_E_NS1_11comp_targetILNS1_3genE10ELNS1_11target_archE1201ELNS1_3gpuE5ELNS1_3repE0EEENS1_48merge_mergepath_partition_config_static_selectorELNS0_4arch9wavefront6targetE1EEEvSH_
		.amdhsa_group_segment_fixed_size 0
		.amdhsa_private_segment_fixed_size 0
		.amdhsa_kernarg_size 40
		.amdhsa_user_sgpr_count 6
		.amdhsa_user_sgpr_private_segment_buffer 1
		.amdhsa_user_sgpr_dispatch_ptr 0
		.amdhsa_user_sgpr_queue_ptr 0
		.amdhsa_user_sgpr_kernarg_segment_ptr 1
		.amdhsa_user_sgpr_dispatch_id 0
		.amdhsa_user_sgpr_flat_scratch_init 0
		.amdhsa_user_sgpr_private_segment_size 0
		.amdhsa_uses_dynamic_stack 0
		.amdhsa_system_sgpr_private_segment_wavefront_offset 0
		.amdhsa_system_sgpr_workgroup_id_x 1
		.amdhsa_system_sgpr_workgroup_id_y 0
		.amdhsa_system_sgpr_workgroup_id_z 0
		.amdhsa_system_sgpr_workgroup_info 0
		.amdhsa_system_vgpr_workitem_id 0
		.amdhsa_next_free_vgpr 1
		.amdhsa_next_free_sgpr 0
		.amdhsa_reserve_vcc 0
		.amdhsa_reserve_flat_scratch 0
		.amdhsa_float_round_mode_32 0
		.amdhsa_float_round_mode_16_64 0
		.amdhsa_float_denorm_mode_32 3
		.amdhsa_float_denorm_mode_16_64 3
		.amdhsa_dx10_clamp 1
		.amdhsa_ieee_mode 1
		.amdhsa_fp16_overflow 0
		.amdhsa_exception_fp_ieee_invalid_op 0
		.amdhsa_exception_fp_denorm_src 0
		.amdhsa_exception_fp_ieee_div_zero 0
		.amdhsa_exception_fp_ieee_overflow 0
		.amdhsa_exception_fp_ieee_underflow 0
		.amdhsa_exception_fp_ieee_inexact 0
		.amdhsa_exception_int_div_zero 0
	.end_amdhsa_kernel
	.section	.text._ZN7rocprim17ROCPRIM_400000_NS6detail17trampoline_kernelINS0_14default_configENS1_38merge_sort_block_merge_config_selectorIllEEZZNS1_27merge_sort_block_merge_implIS3_PlN6thrust23THRUST_200600_302600_NS10device_ptrIlEEjNS1_19radix_merge_compareILb0ELb1ElNS0_19identity_decomposerEEEEE10hipError_tT0_T1_T2_jT3_P12ihipStream_tbPNSt15iterator_traitsISG_E10value_typeEPNSM_ISH_E10value_typeEPSI_NS1_7vsmem_tEENKUlT_SG_SH_SI_E_clIS7_S7_SB_S7_EESF_SV_SG_SH_SI_EUlSV_E_NS1_11comp_targetILNS1_3genE10ELNS1_11target_archE1201ELNS1_3gpuE5ELNS1_3repE0EEENS1_48merge_mergepath_partition_config_static_selectorELNS0_4arch9wavefront6targetE1EEEvSH_,"axG",@progbits,_ZN7rocprim17ROCPRIM_400000_NS6detail17trampoline_kernelINS0_14default_configENS1_38merge_sort_block_merge_config_selectorIllEEZZNS1_27merge_sort_block_merge_implIS3_PlN6thrust23THRUST_200600_302600_NS10device_ptrIlEEjNS1_19radix_merge_compareILb0ELb1ElNS0_19identity_decomposerEEEEE10hipError_tT0_T1_T2_jT3_P12ihipStream_tbPNSt15iterator_traitsISG_E10value_typeEPNSM_ISH_E10value_typeEPSI_NS1_7vsmem_tEENKUlT_SG_SH_SI_E_clIS7_S7_SB_S7_EESF_SV_SG_SH_SI_EUlSV_E_NS1_11comp_targetILNS1_3genE10ELNS1_11target_archE1201ELNS1_3gpuE5ELNS1_3repE0EEENS1_48merge_mergepath_partition_config_static_selectorELNS0_4arch9wavefront6targetE1EEEvSH_,comdat
.Lfunc_end1091:
	.size	_ZN7rocprim17ROCPRIM_400000_NS6detail17trampoline_kernelINS0_14default_configENS1_38merge_sort_block_merge_config_selectorIllEEZZNS1_27merge_sort_block_merge_implIS3_PlN6thrust23THRUST_200600_302600_NS10device_ptrIlEEjNS1_19radix_merge_compareILb0ELb1ElNS0_19identity_decomposerEEEEE10hipError_tT0_T1_T2_jT3_P12ihipStream_tbPNSt15iterator_traitsISG_E10value_typeEPNSM_ISH_E10value_typeEPSI_NS1_7vsmem_tEENKUlT_SG_SH_SI_E_clIS7_S7_SB_S7_EESF_SV_SG_SH_SI_EUlSV_E_NS1_11comp_targetILNS1_3genE10ELNS1_11target_archE1201ELNS1_3gpuE5ELNS1_3repE0EEENS1_48merge_mergepath_partition_config_static_selectorELNS0_4arch9wavefront6targetE1EEEvSH_, .Lfunc_end1091-_ZN7rocprim17ROCPRIM_400000_NS6detail17trampoline_kernelINS0_14default_configENS1_38merge_sort_block_merge_config_selectorIllEEZZNS1_27merge_sort_block_merge_implIS3_PlN6thrust23THRUST_200600_302600_NS10device_ptrIlEEjNS1_19radix_merge_compareILb0ELb1ElNS0_19identity_decomposerEEEEE10hipError_tT0_T1_T2_jT3_P12ihipStream_tbPNSt15iterator_traitsISG_E10value_typeEPNSM_ISH_E10value_typeEPSI_NS1_7vsmem_tEENKUlT_SG_SH_SI_E_clIS7_S7_SB_S7_EESF_SV_SG_SH_SI_EUlSV_E_NS1_11comp_targetILNS1_3genE10ELNS1_11target_archE1201ELNS1_3gpuE5ELNS1_3repE0EEENS1_48merge_mergepath_partition_config_static_selectorELNS0_4arch9wavefront6targetE1EEEvSH_
                                        ; -- End function
	.set _ZN7rocprim17ROCPRIM_400000_NS6detail17trampoline_kernelINS0_14default_configENS1_38merge_sort_block_merge_config_selectorIllEEZZNS1_27merge_sort_block_merge_implIS3_PlN6thrust23THRUST_200600_302600_NS10device_ptrIlEEjNS1_19radix_merge_compareILb0ELb1ElNS0_19identity_decomposerEEEEE10hipError_tT0_T1_T2_jT3_P12ihipStream_tbPNSt15iterator_traitsISG_E10value_typeEPNSM_ISH_E10value_typeEPSI_NS1_7vsmem_tEENKUlT_SG_SH_SI_E_clIS7_S7_SB_S7_EESF_SV_SG_SH_SI_EUlSV_E_NS1_11comp_targetILNS1_3genE10ELNS1_11target_archE1201ELNS1_3gpuE5ELNS1_3repE0EEENS1_48merge_mergepath_partition_config_static_selectorELNS0_4arch9wavefront6targetE1EEEvSH_.num_vgpr, 0
	.set _ZN7rocprim17ROCPRIM_400000_NS6detail17trampoline_kernelINS0_14default_configENS1_38merge_sort_block_merge_config_selectorIllEEZZNS1_27merge_sort_block_merge_implIS3_PlN6thrust23THRUST_200600_302600_NS10device_ptrIlEEjNS1_19radix_merge_compareILb0ELb1ElNS0_19identity_decomposerEEEEE10hipError_tT0_T1_T2_jT3_P12ihipStream_tbPNSt15iterator_traitsISG_E10value_typeEPNSM_ISH_E10value_typeEPSI_NS1_7vsmem_tEENKUlT_SG_SH_SI_E_clIS7_S7_SB_S7_EESF_SV_SG_SH_SI_EUlSV_E_NS1_11comp_targetILNS1_3genE10ELNS1_11target_archE1201ELNS1_3gpuE5ELNS1_3repE0EEENS1_48merge_mergepath_partition_config_static_selectorELNS0_4arch9wavefront6targetE1EEEvSH_.num_agpr, 0
	.set _ZN7rocprim17ROCPRIM_400000_NS6detail17trampoline_kernelINS0_14default_configENS1_38merge_sort_block_merge_config_selectorIllEEZZNS1_27merge_sort_block_merge_implIS3_PlN6thrust23THRUST_200600_302600_NS10device_ptrIlEEjNS1_19radix_merge_compareILb0ELb1ElNS0_19identity_decomposerEEEEE10hipError_tT0_T1_T2_jT3_P12ihipStream_tbPNSt15iterator_traitsISG_E10value_typeEPNSM_ISH_E10value_typeEPSI_NS1_7vsmem_tEENKUlT_SG_SH_SI_E_clIS7_S7_SB_S7_EESF_SV_SG_SH_SI_EUlSV_E_NS1_11comp_targetILNS1_3genE10ELNS1_11target_archE1201ELNS1_3gpuE5ELNS1_3repE0EEENS1_48merge_mergepath_partition_config_static_selectorELNS0_4arch9wavefront6targetE1EEEvSH_.numbered_sgpr, 0
	.set _ZN7rocprim17ROCPRIM_400000_NS6detail17trampoline_kernelINS0_14default_configENS1_38merge_sort_block_merge_config_selectorIllEEZZNS1_27merge_sort_block_merge_implIS3_PlN6thrust23THRUST_200600_302600_NS10device_ptrIlEEjNS1_19radix_merge_compareILb0ELb1ElNS0_19identity_decomposerEEEEE10hipError_tT0_T1_T2_jT3_P12ihipStream_tbPNSt15iterator_traitsISG_E10value_typeEPNSM_ISH_E10value_typeEPSI_NS1_7vsmem_tEENKUlT_SG_SH_SI_E_clIS7_S7_SB_S7_EESF_SV_SG_SH_SI_EUlSV_E_NS1_11comp_targetILNS1_3genE10ELNS1_11target_archE1201ELNS1_3gpuE5ELNS1_3repE0EEENS1_48merge_mergepath_partition_config_static_selectorELNS0_4arch9wavefront6targetE1EEEvSH_.num_named_barrier, 0
	.set _ZN7rocprim17ROCPRIM_400000_NS6detail17trampoline_kernelINS0_14default_configENS1_38merge_sort_block_merge_config_selectorIllEEZZNS1_27merge_sort_block_merge_implIS3_PlN6thrust23THRUST_200600_302600_NS10device_ptrIlEEjNS1_19radix_merge_compareILb0ELb1ElNS0_19identity_decomposerEEEEE10hipError_tT0_T1_T2_jT3_P12ihipStream_tbPNSt15iterator_traitsISG_E10value_typeEPNSM_ISH_E10value_typeEPSI_NS1_7vsmem_tEENKUlT_SG_SH_SI_E_clIS7_S7_SB_S7_EESF_SV_SG_SH_SI_EUlSV_E_NS1_11comp_targetILNS1_3genE10ELNS1_11target_archE1201ELNS1_3gpuE5ELNS1_3repE0EEENS1_48merge_mergepath_partition_config_static_selectorELNS0_4arch9wavefront6targetE1EEEvSH_.private_seg_size, 0
	.set _ZN7rocprim17ROCPRIM_400000_NS6detail17trampoline_kernelINS0_14default_configENS1_38merge_sort_block_merge_config_selectorIllEEZZNS1_27merge_sort_block_merge_implIS3_PlN6thrust23THRUST_200600_302600_NS10device_ptrIlEEjNS1_19radix_merge_compareILb0ELb1ElNS0_19identity_decomposerEEEEE10hipError_tT0_T1_T2_jT3_P12ihipStream_tbPNSt15iterator_traitsISG_E10value_typeEPNSM_ISH_E10value_typeEPSI_NS1_7vsmem_tEENKUlT_SG_SH_SI_E_clIS7_S7_SB_S7_EESF_SV_SG_SH_SI_EUlSV_E_NS1_11comp_targetILNS1_3genE10ELNS1_11target_archE1201ELNS1_3gpuE5ELNS1_3repE0EEENS1_48merge_mergepath_partition_config_static_selectorELNS0_4arch9wavefront6targetE1EEEvSH_.uses_vcc, 0
	.set _ZN7rocprim17ROCPRIM_400000_NS6detail17trampoline_kernelINS0_14default_configENS1_38merge_sort_block_merge_config_selectorIllEEZZNS1_27merge_sort_block_merge_implIS3_PlN6thrust23THRUST_200600_302600_NS10device_ptrIlEEjNS1_19radix_merge_compareILb0ELb1ElNS0_19identity_decomposerEEEEE10hipError_tT0_T1_T2_jT3_P12ihipStream_tbPNSt15iterator_traitsISG_E10value_typeEPNSM_ISH_E10value_typeEPSI_NS1_7vsmem_tEENKUlT_SG_SH_SI_E_clIS7_S7_SB_S7_EESF_SV_SG_SH_SI_EUlSV_E_NS1_11comp_targetILNS1_3genE10ELNS1_11target_archE1201ELNS1_3gpuE5ELNS1_3repE0EEENS1_48merge_mergepath_partition_config_static_selectorELNS0_4arch9wavefront6targetE1EEEvSH_.uses_flat_scratch, 0
	.set _ZN7rocprim17ROCPRIM_400000_NS6detail17trampoline_kernelINS0_14default_configENS1_38merge_sort_block_merge_config_selectorIllEEZZNS1_27merge_sort_block_merge_implIS3_PlN6thrust23THRUST_200600_302600_NS10device_ptrIlEEjNS1_19radix_merge_compareILb0ELb1ElNS0_19identity_decomposerEEEEE10hipError_tT0_T1_T2_jT3_P12ihipStream_tbPNSt15iterator_traitsISG_E10value_typeEPNSM_ISH_E10value_typeEPSI_NS1_7vsmem_tEENKUlT_SG_SH_SI_E_clIS7_S7_SB_S7_EESF_SV_SG_SH_SI_EUlSV_E_NS1_11comp_targetILNS1_3genE10ELNS1_11target_archE1201ELNS1_3gpuE5ELNS1_3repE0EEENS1_48merge_mergepath_partition_config_static_selectorELNS0_4arch9wavefront6targetE1EEEvSH_.has_dyn_sized_stack, 0
	.set _ZN7rocprim17ROCPRIM_400000_NS6detail17trampoline_kernelINS0_14default_configENS1_38merge_sort_block_merge_config_selectorIllEEZZNS1_27merge_sort_block_merge_implIS3_PlN6thrust23THRUST_200600_302600_NS10device_ptrIlEEjNS1_19radix_merge_compareILb0ELb1ElNS0_19identity_decomposerEEEEE10hipError_tT0_T1_T2_jT3_P12ihipStream_tbPNSt15iterator_traitsISG_E10value_typeEPNSM_ISH_E10value_typeEPSI_NS1_7vsmem_tEENKUlT_SG_SH_SI_E_clIS7_S7_SB_S7_EESF_SV_SG_SH_SI_EUlSV_E_NS1_11comp_targetILNS1_3genE10ELNS1_11target_archE1201ELNS1_3gpuE5ELNS1_3repE0EEENS1_48merge_mergepath_partition_config_static_selectorELNS0_4arch9wavefront6targetE1EEEvSH_.has_recursion, 0
	.set _ZN7rocprim17ROCPRIM_400000_NS6detail17trampoline_kernelINS0_14default_configENS1_38merge_sort_block_merge_config_selectorIllEEZZNS1_27merge_sort_block_merge_implIS3_PlN6thrust23THRUST_200600_302600_NS10device_ptrIlEEjNS1_19radix_merge_compareILb0ELb1ElNS0_19identity_decomposerEEEEE10hipError_tT0_T1_T2_jT3_P12ihipStream_tbPNSt15iterator_traitsISG_E10value_typeEPNSM_ISH_E10value_typeEPSI_NS1_7vsmem_tEENKUlT_SG_SH_SI_E_clIS7_S7_SB_S7_EESF_SV_SG_SH_SI_EUlSV_E_NS1_11comp_targetILNS1_3genE10ELNS1_11target_archE1201ELNS1_3gpuE5ELNS1_3repE0EEENS1_48merge_mergepath_partition_config_static_selectorELNS0_4arch9wavefront6targetE1EEEvSH_.has_indirect_call, 0
	.section	.AMDGPU.csdata,"",@progbits
; Kernel info:
; codeLenInByte = 0
; TotalNumSgprs: 4
; NumVgprs: 0
; ScratchSize: 0
; MemoryBound: 0
; FloatMode: 240
; IeeeMode: 1
; LDSByteSize: 0 bytes/workgroup (compile time only)
; SGPRBlocks: 0
; VGPRBlocks: 0
; NumSGPRsForWavesPerEU: 4
; NumVGPRsForWavesPerEU: 1
; Occupancy: 10
; WaveLimiterHint : 0
; COMPUTE_PGM_RSRC2:SCRATCH_EN: 0
; COMPUTE_PGM_RSRC2:USER_SGPR: 6
; COMPUTE_PGM_RSRC2:TRAP_HANDLER: 0
; COMPUTE_PGM_RSRC2:TGID_X_EN: 1
; COMPUTE_PGM_RSRC2:TGID_Y_EN: 0
; COMPUTE_PGM_RSRC2:TGID_Z_EN: 0
; COMPUTE_PGM_RSRC2:TIDIG_COMP_CNT: 0
	.section	.text._ZN7rocprim17ROCPRIM_400000_NS6detail17trampoline_kernelINS0_14default_configENS1_38merge_sort_block_merge_config_selectorIllEEZZNS1_27merge_sort_block_merge_implIS3_PlN6thrust23THRUST_200600_302600_NS10device_ptrIlEEjNS1_19radix_merge_compareILb0ELb1ElNS0_19identity_decomposerEEEEE10hipError_tT0_T1_T2_jT3_P12ihipStream_tbPNSt15iterator_traitsISG_E10value_typeEPNSM_ISH_E10value_typeEPSI_NS1_7vsmem_tEENKUlT_SG_SH_SI_E_clIS7_S7_SB_S7_EESF_SV_SG_SH_SI_EUlSV_E_NS1_11comp_targetILNS1_3genE5ELNS1_11target_archE942ELNS1_3gpuE9ELNS1_3repE0EEENS1_48merge_mergepath_partition_config_static_selectorELNS0_4arch9wavefront6targetE1EEEvSH_,"axG",@progbits,_ZN7rocprim17ROCPRIM_400000_NS6detail17trampoline_kernelINS0_14default_configENS1_38merge_sort_block_merge_config_selectorIllEEZZNS1_27merge_sort_block_merge_implIS3_PlN6thrust23THRUST_200600_302600_NS10device_ptrIlEEjNS1_19radix_merge_compareILb0ELb1ElNS0_19identity_decomposerEEEEE10hipError_tT0_T1_T2_jT3_P12ihipStream_tbPNSt15iterator_traitsISG_E10value_typeEPNSM_ISH_E10value_typeEPSI_NS1_7vsmem_tEENKUlT_SG_SH_SI_E_clIS7_S7_SB_S7_EESF_SV_SG_SH_SI_EUlSV_E_NS1_11comp_targetILNS1_3genE5ELNS1_11target_archE942ELNS1_3gpuE9ELNS1_3repE0EEENS1_48merge_mergepath_partition_config_static_selectorELNS0_4arch9wavefront6targetE1EEEvSH_,comdat
	.protected	_ZN7rocprim17ROCPRIM_400000_NS6detail17trampoline_kernelINS0_14default_configENS1_38merge_sort_block_merge_config_selectorIllEEZZNS1_27merge_sort_block_merge_implIS3_PlN6thrust23THRUST_200600_302600_NS10device_ptrIlEEjNS1_19radix_merge_compareILb0ELb1ElNS0_19identity_decomposerEEEEE10hipError_tT0_T1_T2_jT3_P12ihipStream_tbPNSt15iterator_traitsISG_E10value_typeEPNSM_ISH_E10value_typeEPSI_NS1_7vsmem_tEENKUlT_SG_SH_SI_E_clIS7_S7_SB_S7_EESF_SV_SG_SH_SI_EUlSV_E_NS1_11comp_targetILNS1_3genE5ELNS1_11target_archE942ELNS1_3gpuE9ELNS1_3repE0EEENS1_48merge_mergepath_partition_config_static_selectorELNS0_4arch9wavefront6targetE1EEEvSH_ ; -- Begin function _ZN7rocprim17ROCPRIM_400000_NS6detail17trampoline_kernelINS0_14default_configENS1_38merge_sort_block_merge_config_selectorIllEEZZNS1_27merge_sort_block_merge_implIS3_PlN6thrust23THRUST_200600_302600_NS10device_ptrIlEEjNS1_19radix_merge_compareILb0ELb1ElNS0_19identity_decomposerEEEEE10hipError_tT0_T1_T2_jT3_P12ihipStream_tbPNSt15iterator_traitsISG_E10value_typeEPNSM_ISH_E10value_typeEPSI_NS1_7vsmem_tEENKUlT_SG_SH_SI_E_clIS7_S7_SB_S7_EESF_SV_SG_SH_SI_EUlSV_E_NS1_11comp_targetILNS1_3genE5ELNS1_11target_archE942ELNS1_3gpuE9ELNS1_3repE0EEENS1_48merge_mergepath_partition_config_static_selectorELNS0_4arch9wavefront6targetE1EEEvSH_
	.globl	_ZN7rocprim17ROCPRIM_400000_NS6detail17trampoline_kernelINS0_14default_configENS1_38merge_sort_block_merge_config_selectorIllEEZZNS1_27merge_sort_block_merge_implIS3_PlN6thrust23THRUST_200600_302600_NS10device_ptrIlEEjNS1_19radix_merge_compareILb0ELb1ElNS0_19identity_decomposerEEEEE10hipError_tT0_T1_T2_jT3_P12ihipStream_tbPNSt15iterator_traitsISG_E10value_typeEPNSM_ISH_E10value_typeEPSI_NS1_7vsmem_tEENKUlT_SG_SH_SI_E_clIS7_S7_SB_S7_EESF_SV_SG_SH_SI_EUlSV_E_NS1_11comp_targetILNS1_3genE5ELNS1_11target_archE942ELNS1_3gpuE9ELNS1_3repE0EEENS1_48merge_mergepath_partition_config_static_selectorELNS0_4arch9wavefront6targetE1EEEvSH_
	.p2align	8
	.type	_ZN7rocprim17ROCPRIM_400000_NS6detail17trampoline_kernelINS0_14default_configENS1_38merge_sort_block_merge_config_selectorIllEEZZNS1_27merge_sort_block_merge_implIS3_PlN6thrust23THRUST_200600_302600_NS10device_ptrIlEEjNS1_19radix_merge_compareILb0ELb1ElNS0_19identity_decomposerEEEEE10hipError_tT0_T1_T2_jT3_P12ihipStream_tbPNSt15iterator_traitsISG_E10value_typeEPNSM_ISH_E10value_typeEPSI_NS1_7vsmem_tEENKUlT_SG_SH_SI_E_clIS7_S7_SB_S7_EESF_SV_SG_SH_SI_EUlSV_E_NS1_11comp_targetILNS1_3genE5ELNS1_11target_archE942ELNS1_3gpuE9ELNS1_3repE0EEENS1_48merge_mergepath_partition_config_static_selectorELNS0_4arch9wavefront6targetE1EEEvSH_,@function
_ZN7rocprim17ROCPRIM_400000_NS6detail17trampoline_kernelINS0_14default_configENS1_38merge_sort_block_merge_config_selectorIllEEZZNS1_27merge_sort_block_merge_implIS3_PlN6thrust23THRUST_200600_302600_NS10device_ptrIlEEjNS1_19radix_merge_compareILb0ELb1ElNS0_19identity_decomposerEEEEE10hipError_tT0_T1_T2_jT3_P12ihipStream_tbPNSt15iterator_traitsISG_E10value_typeEPNSM_ISH_E10value_typeEPSI_NS1_7vsmem_tEENKUlT_SG_SH_SI_E_clIS7_S7_SB_S7_EESF_SV_SG_SH_SI_EUlSV_E_NS1_11comp_targetILNS1_3genE5ELNS1_11target_archE942ELNS1_3gpuE9ELNS1_3repE0EEENS1_48merge_mergepath_partition_config_static_selectorELNS0_4arch9wavefront6targetE1EEEvSH_: ; @_ZN7rocprim17ROCPRIM_400000_NS6detail17trampoline_kernelINS0_14default_configENS1_38merge_sort_block_merge_config_selectorIllEEZZNS1_27merge_sort_block_merge_implIS3_PlN6thrust23THRUST_200600_302600_NS10device_ptrIlEEjNS1_19radix_merge_compareILb0ELb1ElNS0_19identity_decomposerEEEEE10hipError_tT0_T1_T2_jT3_P12ihipStream_tbPNSt15iterator_traitsISG_E10value_typeEPNSM_ISH_E10value_typeEPSI_NS1_7vsmem_tEENKUlT_SG_SH_SI_E_clIS7_S7_SB_S7_EESF_SV_SG_SH_SI_EUlSV_E_NS1_11comp_targetILNS1_3genE5ELNS1_11target_archE942ELNS1_3gpuE9ELNS1_3repE0EEENS1_48merge_mergepath_partition_config_static_selectorELNS0_4arch9wavefront6targetE1EEEvSH_
; %bb.0:
	.section	.rodata,"a",@progbits
	.p2align	6, 0x0
	.amdhsa_kernel _ZN7rocprim17ROCPRIM_400000_NS6detail17trampoline_kernelINS0_14default_configENS1_38merge_sort_block_merge_config_selectorIllEEZZNS1_27merge_sort_block_merge_implIS3_PlN6thrust23THRUST_200600_302600_NS10device_ptrIlEEjNS1_19radix_merge_compareILb0ELb1ElNS0_19identity_decomposerEEEEE10hipError_tT0_T1_T2_jT3_P12ihipStream_tbPNSt15iterator_traitsISG_E10value_typeEPNSM_ISH_E10value_typeEPSI_NS1_7vsmem_tEENKUlT_SG_SH_SI_E_clIS7_S7_SB_S7_EESF_SV_SG_SH_SI_EUlSV_E_NS1_11comp_targetILNS1_3genE5ELNS1_11target_archE942ELNS1_3gpuE9ELNS1_3repE0EEENS1_48merge_mergepath_partition_config_static_selectorELNS0_4arch9wavefront6targetE1EEEvSH_
		.amdhsa_group_segment_fixed_size 0
		.amdhsa_private_segment_fixed_size 0
		.amdhsa_kernarg_size 40
		.amdhsa_user_sgpr_count 6
		.amdhsa_user_sgpr_private_segment_buffer 1
		.amdhsa_user_sgpr_dispatch_ptr 0
		.amdhsa_user_sgpr_queue_ptr 0
		.amdhsa_user_sgpr_kernarg_segment_ptr 1
		.amdhsa_user_sgpr_dispatch_id 0
		.amdhsa_user_sgpr_flat_scratch_init 0
		.amdhsa_user_sgpr_private_segment_size 0
		.amdhsa_uses_dynamic_stack 0
		.amdhsa_system_sgpr_private_segment_wavefront_offset 0
		.amdhsa_system_sgpr_workgroup_id_x 1
		.amdhsa_system_sgpr_workgroup_id_y 0
		.amdhsa_system_sgpr_workgroup_id_z 0
		.amdhsa_system_sgpr_workgroup_info 0
		.amdhsa_system_vgpr_workitem_id 0
		.amdhsa_next_free_vgpr 1
		.amdhsa_next_free_sgpr 0
		.amdhsa_reserve_vcc 0
		.amdhsa_reserve_flat_scratch 0
		.amdhsa_float_round_mode_32 0
		.amdhsa_float_round_mode_16_64 0
		.amdhsa_float_denorm_mode_32 3
		.amdhsa_float_denorm_mode_16_64 3
		.amdhsa_dx10_clamp 1
		.amdhsa_ieee_mode 1
		.amdhsa_fp16_overflow 0
		.amdhsa_exception_fp_ieee_invalid_op 0
		.amdhsa_exception_fp_denorm_src 0
		.amdhsa_exception_fp_ieee_div_zero 0
		.amdhsa_exception_fp_ieee_overflow 0
		.amdhsa_exception_fp_ieee_underflow 0
		.amdhsa_exception_fp_ieee_inexact 0
		.amdhsa_exception_int_div_zero 0
	.end_amdhsa_kernel
	.section	.text._ZN7rocprim17ROCPRIM_400000_NS6detail17trampoline_kernelINS0_14default_configENS1_38merge_sort_block_merge_config_selectorIllEEZZNS1_27merge_sort_block_merge_implIS3_PlN6thrust23THRUST_200600_302600_NS10device_ptrIlEEjNS1_19radix_merge_compareILb0ELb1ElNS0_19identity_decomposerEEEEE10hipError_tT0_T1_T2_jT3_P12ihipStream_tbPNSt15iterator_traitsISG_E10value_typeEPNSM_ISH_E10value_typeEPSI_NS1_7vsmem_tEENKUlT_SG_SH_SI_E_clIS7_S7_SB_S7_EESF_SV_SG_SH_SI_EUlSV_E_NS1_11comp_targetILNS1_3genE5ELNS1_11target_archE942ELNS1_3gpuE9ELNS1_3repE0EEENS1_48merge_mergepath_partition_config_static_selectorELNS0_4arch9wavefront6targetE1EEEvSH_,"axG",@progbits,_ZN7rocprim17ROCPRIM_400000_NS6detail17trampoline_kernelINS0_14default_configENS1_38merge_sort_block_merge_config_selectorIllEEZZNS1_27merge_sort_block_merge_implIS3_PlN6thrust23THRUST_200600_302600_NS10device_ptrIlEEjNS1_19radix_merge_compareILb0ELb1ElNS0_19identity_decomposerEEEEE10hipError_tT0_T1_T2_jT3_P12ihipStream_tbPNSt15iterator_traitsISG_E10value_typeEPNSM_ISH_E10value_typeEPSI_NS1_7vsmem_tEENKUlT_SG_SH_SI_E_clIS7_S7_SB_S7_EESF_SV_SG_SH_SI_EUlSV_E_NS1_11comp_targetILNS1_3genE5ELNS1_11target_archE942ELNS1_3gpuE9ELNS1_3repE0EEENS1_48merge_mergepath_partition_config_static_selectorELNS0_4arch9wavefront6targetE1EEEvSH_,comdat
.Lfunc_end1092:
	.size	_ZN7rocprim17ROCPRIM_400000_NS6detail17trampoline_kernelINS0_14default_configENS1_38merge_sort_block_merge_config_selectorIllEEZZNS1_27merge_sort_block_merge_implIS3_PlN6thrust23THRUST_200600_302600_NS10device_ptrIlEEjNS1_19radix_merge_compareILb0ELb1ElNS0_19identity_decomposerEEEEE10hipError_tT0_T1_T2_jT3_P12ihipStream_tbPNSt15iterator_traitsISG_E10value_typeEPNSM_ISH_E10value_typeEPSI_NS1_7vsmem_tEENKUlT_SG_SH_SI_E_clIS7_S7_SB_S7_EESF_SV_SG_SH_SI_EUlSV_E_NS1_11comp_targetILNS1_3genE5ELNS1_11target_archE942ELNS1_3gpuE9ELNS1_3repE0EEENS1_48merge_mergepath_partition_config_static_selectorELNS0_4arch9wavefront6targetE1EEEvSH_, .Lfunc_end1092-_ZN7rocprim17ROCPRIM_400000_NS6detail17trampoline_kernelINS0_14default_configENS1_38merge_sort_block_merge_config_selectorIllEEZZNS1_27merge_sort_block_merge_implIS3_PlN6thrust23THRUST_200600_302600_NS10device_ptrIlEEjNS1_19radix_merge_compareILb0ELb1ElNS0_19identity_decomposerEEEEE10hipError_tT0_T1_T2_jT3_P12ihipStream_tbPNSt15iterator_traitsISG_E10value_typeEPNSM_ISH_E10value_typeEPSI_NS1_7vsmem_tEENKUlT_SG_SH_SI_E_clIS7_S7_SB_S7_EESF_SV_SG_SH_SI_EUlSV_E_NS1_11comp_targetILNS1_3genE5ELNS1_11target_archE942ELNS1_3gpuE9ELNS1_3repE0EEENS1_48merge_mergepath_partition_config_static_selectorELNS0_4arch9wavefront6targetE1EEEvSH_
                                        ; -- End function
	.set _ZN7rocprim17ROCPRIM_400000_NS6detail17trampoline_kernelINS0_14default_configENS1_38merge_sort_block_merge_config_selectorIllEEZZNS1_27merge_sort_block_merge_implIS3_PlN6thrust23THRUST_200600_302600_NS10device_ptrIlEEjNS1_19radix_merge_compareILb0ELb1ElNS0_19identity_decomposerEEEEE10hipError_tT0_T1_T2_jT3_P12ihipStream_tbPNSt15iterator_traitsISG_E10value_typeEPNSM_ISH_E10value_typeEPSI_NS1_7vsmem_tEENKUlT_SG_SH_SI_E_clIS7_S7_SB_S7_EESF_SV_SG_SH_SI_EUlSV_E_NS1_11comp_targetILNS1_3genE5ELNS1_11target_archE942ELNS1_3gpuE9ELNS1_3repE0EEENS1_48merge_mergepath_partition_config_static_selectorELNS0_4arch9wavefront6targetE1EEEvSH_.num_vgpr, 0
	.set _ZN7rocprim17ROCPRIM_400000_NS6detail17trampoline_kernelINS0_14default_configENS1_38merge_sort_block_merge_config_selectorIllEEZZNS1_27merge_sort_block_merge_implIS3_PlN6thrust23THRUST_200600_302600_NS10device_ptrIlEEjNS1_19radix_merge_compareILb0ELb1ElNS0_19identity_decomposerEEEEE10hipError_tT0_T1_T2_jT3_P12ihipStream_tbPNSt15iterator_traitsISG_E10value_typeEPNSM_ISH_E10value_typeEPSI_NS1_7vsmem_tEENKUlT_SG_SH_SI_E_clIS7_S7_SB_S7_EESF_SV_SG_SH_SI_EUlSV_E_NS1_11comp_targetILNS1_3genE5ELNS1_11target_archE942ELNS1_3gpuE9ELNS1_3repE0EEENS1_48merge_mergepath_partition_config_static_selectorELNS0_4arch9wavefront6targetE1EEEvSH_.num_agpr, 0
	.set _ZN7rocprim17ROCPRIM_400000_NS6detail17trampoline_kernelINS0_14default_configENS1_38merge_sort_block_merge_config_selectorIllEEZZNS1_27merge_sort_block_merge_implIS3_PlN6thrust23THRUST_200600_302600_NS10device_ptrIlEEjNS1_19radix_merge_compareILb0ELb1ElNS0_19identity_decomposerEEEEE10hipError_tT0_T1_T2_jT3_P12ihipStream_tbPNSt15iterator_traitsISG_E10value_typeEPNSM_ISH_E10value_typeEPSI_NS1_7vsmem_tEENKUlT_SG_SH_SI_E_clIS7_S7_SB_S7_EESF_SV_SG_SH_SI_EUlSV_E_NS1_11comp_targetILNS1_3genE5ELNS1_11target_archE942ELNS1_3gpuE9ELNS1_3repE0EEENS1_48merge_mergepath_partition_config_static_selectorELNS0_4arch9wavefront6targetE1EEEvSH_.numbered_sgpr, 0
	.set _ZN7rocprim17ROCPRIM_400000_NS6detail17trampoline_kernelINS0_14default_configENS1_38merge_sort_block_merge_config_selectorIllEEZZNS1_27merge_sort_block_merge_implIS3_PlN6thrust23THRUST_200600_302600_NS10device_ptrIlEEjNS1_19radix_merge_compareILb0ELb1ElNS0_19identity_decomposerEEEEE10hipError_tT0_T1_T2_jT3_P12ihipStream_tbPNSt15iterator_traitsISG_E10value_typeEPNSM_ISH_E10value_typeEPSI_NS1_7vsmem_tEENKUlT_SG_SH_SI_E_clIS7_S7_SB_S7_EESF_SV_SG_SH_SI_EUlSV_E_NS1_11comp_targetILNS1_3genE5ELNS1_11target_archE942ELNS1_3gpuE9ELNS1_3repE0EEENS1_48merge_mergepath_partition_config_static_selectorELNS0_4arch9wavefront6targetE1EEEvSH_.num_named_barrier, 0
	.set _ZN7rocprim17ROCPRIM_400000_NS6detail17trampoline_kernelINS0_14default_configENS1_38merge_sort_block_merge_config_selectorIllEEZZNS1_27merge_sort_block_merge_implIS3_PlN6thrust23THRUST_200600_302600_NS10device_ptrIlEEjNS1_19radix_merge_compareILb0ELb1ElNS0_19identity_decomposerEEEEE10hipError_tT0_T1_T2_jT3_P12ihipStream_tbPNSt15iterator_traitsISG_E10value_typeEPNSM_ISH_E10value_typeEPSI_NS1_7vsmem_tEENKUlT_SG_SH_SI_E_clIS7_S7_SB_S7_EESF_SV_SG_SH_SI_EUlSV_E_NS1_11comp_targetILNS1_3genE5ELNS1_11target_archE942ELNS1_3gpuE9ELNS1_3repE0EEENS1_48merge_mergepath_partition_config_static_selectorELNS0_4arch9wavefront6targetE1EEEvSH_.private_seg_size, 0
	.set _ZN7rocprim17ROCPRIM_400000_NS6detail17trampoline_kernelINS0_14default_configENS1_38merge_sort_block_merge_config_selectorIllEEZZNS1_27merge_sort_block_merge_implIS3_PlN6thrust23THRUST_200600_302600_NS10device_ptrIlEEjNS1_19radix_merge_compareILb0ELb1ElNS0_19identity_decomposerEEEEE10hipError_tT0_T1_T2_jT3_P12ihipStream_tbPNSt15iterator_traitsISG_E10value_typeEPNSM_ISH_E10value_typeEPSI_NS1_7vsmem_tEENKUlT_SG_SH_SI_E_clIS7_S7_SB_S7_EESF_SV_SG_SH_SI_EUlSV_E_NS1_11comp_targetILNS1_3genE5ELNS1_11target_archE942ELNS1_3gpuE9ELNS1_3repE0EEENS1_48merge_mergepath_partition_config_static_selectorELNS0_4arch9wavefront6targetE1EEEvSH_.uses_vcc, 0
	.set _ZN7rocprim17ROCPRIM_400000_NS6detail17trampoline_kernelINS0_14default_configENS1_38merge_sort_block_merge_config_selectorIllEEZZNS1_27merge_sort_block_merge_implIS3_PlN6thrust23THRUST_200600_302600_NS10device_ptrIlEEjNS1_19radix_merge_compareILb0ELb1ElNS0_19identity_decomposerEEEEE10hipError_tT0_T1_T2_jT3_P12ihipStream_tbPNSt15iterator_traitsISG_E10value_typeEPNSM_ISH_E10value_typeEPSI_NS1_7vsmem_tEENKUlT_SG_SH_SI_E_clIS7_S7_SB_S7_EESF_SV_SG_SH_SI_EUlSV_E_NS1_11comp_targetILNS1_3genE5ELNS1_11target_archE942ELNS1_3gpuE9ELNS1_3repE0EEENS1_48merge_mergepath_partition_config_static_selectorELNS0_4arch9wavefront6targetE1EEEvSH_.uses_flat_scratch, 0
	.set _ZN7rocprim17ROCPRIM_400000_NS6detail17trampoline_kernelINS0_14default_configENS1_38merge_sort_block_merge_config_selectorIllEEZZNS1_27merge_sort_block_merge_implIS3_PlN6thrust23THRUST_200600_302600_NS10device_ptrIlEEjNS1_19radix_merge_compareILb0ELb1ElNS0_19identity_decomposerEEEEE10hipError_tT0_T1_T2_jT3_P12ihipStream_tbPNSt15iterator_traitsISG_E10value_typeEPNSM_ISH_E10value_typeEPSI_NS1_7vsmem_tEENKUlT_SG_SH_SI_E_clIS7_S7_SB_S7_EESF_SV_SG_SH_SI_EUlSV_E_NS1_11comp_targetILNS1_3genE5ELNS1_11target_archE942ELNS1_3gpuE9ELNS1_3repE0EEENS1_48merge_mergepath_partition_config_static_selectorELNS0_4arch9wavefront6targetE1EEEvSH_.has_dyn_sized_stack, 0
	.set _ZN7rocprim17ROCPRIM_400000_NS6detail17trampoline_kernelINS0_14default_configENS1_38merge_sort_block_merge_config_selectorIllEEZZNS1_27merge_sort_block_merge_implIS3_PlN6thrust23THRUST_200600_302600_NS10device_ptrIlEEjNS1_19radix_merge_compareILb0ELb1ElNS0_19identity_decomposerEEEEE10hipError_tT0_T1_T2_jT3_P12ihipStream_tbPNSt15iterator_traitsISG_E10value_typeEPNSM_ISH_E10value_typeEPSI_NS1_7vsmem_tEENKUlT_SG_SH_SI_E_clIS7_S7_SB_S7_EESF_SV_SG_SH_SI_EUlSV_E_NS1_11comp_targetILNS1_3genE5ELNS1_11target_archE942ELNS1_3gpuE9ELNS1_3repE0EEENS1_48merge_mergepath_partition_config_static_selectorELNS0_4arch9wavefront6targetE1EEEvSH_.has_recursion, 0
	.set _ZN7rocprim17ROCPRIM_400000_NS6detail17trampoline_kernelINS0_14default_configENS1_38merge_sort_block_merge_config_selectorIllEEZZNS1_27merge_sort_block_merge_implIS3_PlN6thrust23THRUST_200600_302600_NS10device_ptrIlEEjNS1_19radix_merge_compareILb0ELb1ElNS0_19identity_decomposerEEEEE10hipError_tT0_T1_T2_jT3_P12ihipStream_tbPNSt15iterator_traitsISG_E10value_typeEPNSM_ISH_E10value_typeEPSI_NS1_7vsmem_tEENKUlT_SG_SH_SI_E_clIS7_S7_SB_S7_EESF_SV_SG_SH_SI_EUlSV_E_NS1_11comp_targetILNS1_3genE5ELNS1_11target_archE942ELNS1_3gpuE9ELNS1_3repE0EEENS1_48merge_mergepath_partition_config_static_selectorELNS0_4arch9wavefront6targetE1EEEvSH_.has_indirect_call, 0
	.section	.AMDGPU.csdata,"",@progbits
; Kernel info:
; codeLenInByte = 0
; TotalNumSgprs: 4
; NumVgprs: 0
; ScratchSize: 0
; MemoryBound: 0
; FloatMode: 240
; IeeeMode: 1
; LDSByteSize: 0 bytes/workgroup (compile time only)
; SGPRBlocks: 0
; VGPRBlocks: 0
; NumSGPRsForWavesPerEU: 4
; NumVGPRsForWavesPerEU: 1
; Occupancy: 10
; WaveLimiterHint : 0
; COMPUTE_PGM_RSRC2:SCRATCH_EN: 0
; COMPUTE_PGM_RSRC2:USER_SGPR: 6
; COMPUTE_PGM_RSRC2:TRAP_HANDLER: 0
; COMPUTE_PGM_RSRC2:TGID_X_EN: 1
; COMPUTE_PGM_RSRC2:TGID_Y_EN: 0
; COMPUTE_PGM_RSRC2:TGID_Z_EN: 0
; COMPUTE_PGM_RSRC2:TIDIG_COMP_CNT: 0
	.section	.text._ZN7rocprim17ROCPRIM_400000_NS6detail17trampoline_kernelINS0_14default_configENS1_38merge_sort_block_merge_config_selectorIllEEZZNS1_27merge_sort_block_merge_implIS3_PlN6thrust23THRUST_200600_302600_NS10device_ptrIlEEjNS1_19radix_merge_compareILb0ELb1ElNS0_19identity_decomposerEEEEE10hipError_tT0_T1_T2_jT3_P12ihipStream_tbPNSt15iterator_traitsISG_E10value_typeEPNSM_ISH_E10value_typeEPSI_NS1_7vsmem_tEENKUlT_SG_SH_SI_E_clIS7_S7_SB_S7_EESF_SV_SG_SH_SI_EUlSV_E_NS1_11comp_targetILNS1_3genE4ELNS1_11target_archE910ELNS1_3gpuE8ELNS1_3repE0EEENS1_48merge_mergepath_partition_config_static_selectorELNS0_4arch9wavefront6targetE1EEEvSH_,"axG",@progbits,_ZN7rocprim17ROCPRIM_400000_NS6detail17trampoline_kernelINS0_14default_configENS1_38merge_sort_block_merge_config_selectorIllEEZZNS1_27merge_sort_block_merge_implIS3_PlN6thrust23THRUST_200600_302600_NS10device_ptrIlEEjNS1_19radix_merge_compareILb0ELb1ElNS0_19identity_decomposerEEEEE10hipError_tT0_T1_T2_jT3_P12ihipStream_tbPNSt15iterator_traitsISG_E10value_typeEPNSM_ISH_E10value_typeEPSI_NS1_7vsmem_tEENKUlT_SG_SH_SI_E_clIS7_S7_SB_S7_EESF_SV_SG_SH_SI_EUlSV_E_NS1_11comp_targetILNS1_3genE4ELNS1_11target_archE910ELNS1_3gpuE8ELNS1_3repE0EEENS1_48merge_mergepath_partition_config_static_selectorELNS0_4arch9wavefront6targetE1EEEvSH_,comdat
	.protected	_ZN7rocprim17ROCPRIM_400000_NS6detail17trampoline_kernelINS0_14default_configENS1_38merge_sort_block_merge_config_selectorIllEEZZNS1_27merge_sort_block_merge_implIS3_PlN6thrust23THRUST_200600_302600_NS10device_ptrIlEEjNS1_19radix_merge_compareILb0ELb1ElNS0_19identity_decomposerEEEEE10hipError_tT0_T1_T2_jT3_P12ihipStream_tbPNSt15iterator_traitsISG_E10value_typeEPNSM_ISH_E10value_typeEPSI_NS1_7vsmem_tEENKUlT_SG_SH_SI_E_clIS7_S7_SB_S7_EESF_SV_SG_SH_SI_EUlSV_E_NS1_11comp_targetILNS1_3genE4ELNS1_11target_archE910ELNS1_3gpuE8ELNS1_3repE0EEENS1_48merge_mergepath_partition_config_static_selectorELNS0_4arch9wavefront6targetE1EEEvSH_ ; -- Begin function _ZN7rocprim17ROCPRIM_400000_NS6detail17trampoline_kernelINS0_14default_configENS1_38merge_sort_block_merge_config_selectorIllEEZZNS1_27merge_sort_block_merge_implIS3_PlN6thrust23THRUST_200600_302600_NS10device_ptrIlEEjNS1_19radix_merge_compareILb0ELb1ElNS0_19identity_decomposerEEEEE10hipError_tT0_T1_T2_jT3_P12ihipStream_tbPNSt15iterator_traitsISG_E10value_typeEPNSM_ISH_E10value_typeEPSI_NS1_7vsmem_tEENKUlT_SG_SH_SI_E_clIS7_S7_SB_S7_EESF_SV_SG_SH_SI_EUlSV_E_NS1_11comp_targetILNS1_3genE4ELNS1_11target_archE910ELNS1_3gpuE8ELNS1_3repE0EEENS1_48merge_mergepath_partition_config_static_selectorELNS0_4arch9wavefront6targetE1EEEvSH_
	.globl	_ZN7rocprim17ROCPRIM_400000_NS6detail17trampoline_kernelINS0_14default_configENS1_38merge_sort_block_merge_config_selectorIllEEZZNS1_27merge_sort_block_merge_implIS3_PlN6thrust23THRUST_200600_302600_NS10device_ptrIlEEjNS1_19radix_merge_compareILb0ELb1ElNS0_19identity_decomposerEEEEE10hipError_tT0_T1_T2_jT3_P12ihipStream_tbPNSt15iterator_traitsISG_E10value_typeEPNSM_ISH_E10value_typeEPSI_NS1_7vsmem_tEENKUlT_SG_SH_SI_E_clIS7_S7_SB_S7_EESF_SV_SG_SH_SI_EUlSV_E_NS1_11comp_targetILNS1_3genE4ELNS1_11target_archE910ELNS1_3gpuE8ELNS1_3repE0EEENS1_48merge_mergepath_partition_config_static_selectorELNS0_4arch9wavefront6targetE1EEEvSH_
	.p2align	8
	.type	_ZN7rocprim17ROCPRIM_400000_NS6detail17trampoline_kernelINS0_14default_configENS1_38merge_sort_block_merge_config_selectorIllEEZZNS1_27merge_sort_block_merge_implIS3_PlN6thrust23THRUST_200600_302600_NS10device_ptrIlEEjNS1_19radix_merge_compareILb0ELb1ElNS0_19identity_decomposerEEEEE10hipError_tT0_T1_T2_jT3_P12ihipStream_tbPNSt15iterator_traitsISG_E10value_typeEPNSM_ISH_E10value_typeEPSI_NS1_7vsmem_tEENKUlT_SG_SH_SI_E_clIS7_S7_SB_S7_EESF_SV_SG_SH_SI_EUlSV_E_NS1_11comp_targetILNS1_3genE4ELNS1_11target_archE910ELNS1_3gpuE8ELNS1_3repE0EEENS1_48merge_mergepath_partition_config_static_selectorELNS0_4arch9wavefront6targetE1EEEvSH_,@function
_ZN7rocprim17ROCPRIM_400000_NS6detail17trampoline_kernelINS0_14default_configENS1_38merge_sort_block_merge_config_selectorIllEEZZNS1_27merge_sort_block_merge_implIS3_PlN6thrust23THRUST_200600_302600_NS10device_ptrIlEEjNS1_19radix_merge_compareILb0ELb1ElNS0_19identity_decomposerEEEEE10hipError_tT0_T1_T2_jT3_P12ihipStream_tbPNSt15iterator_traitsISG_E10value_typeEPNSM_ISH_E10value_typeEPSI_NS1_7vsmem_tEENKUlT_SG_SH_SI_E_clIS7_S7_SB_S7_EESF_SV_SG_SH_SI_EUlSV_E_NS1_11comp_targetILNS1_3genE4ELNS1_11target_archE910ELNS1_3gpuE8ELNS1_3repE0EEENS1_48merge_mergepath_partition_config_static_selectorELNS0_4arch9wavefront6targetE1EEEvSH_: ; @_ZN7rocprim17ROCPRIM_400000_NS6detail17trampoline_kernelINS0_14default_configENS1_38merge_sort_block_merge_config_selectorIllEEZZNS1_27merge_sort_block_merge_implIS3_PlN6thrust23THRUST_200600_302600_NS10device_ptrIlEEjNS1_19radix_merge_compareILb0ELb1ElNS0_19identity_decomposerEEEEE10hipError_tT0_T1_T2_jT3_P12ihipStream_tbPNSt15iterator_traitsISG_E10value_typeEPNSM_ISH_E10value_typeEPSI_NS1_7vsmem_tEENKUlT_SG_SH_SI_E_clIS7_S7_SB_S7_EESF_SV_SG_SH_SI_EUlSV_E_NS1_11comp_targetILNS1_3genE4ELNS1_11target_archE910ELNS1_3gpuE8ELNS1_3repE0EEENS1_48merge_mergepath_partition_config_static_selectorELNS0_4arch9wavefront6targetE1EEEvSH_
; %bb.0:
	.section	.rodata,"a",@progbits
	.p2align	6, 0x0
	.amdhsa_kernel _ZN7rocprim17ROCPRIM_400000_NS6detail17trampoline_kernelINS0_14default_configENS1_38merge_sort_block_merge_config_selectorIllEEZZNS1_27merge_sort_block_merge_implIS3_PlN6thrust23THRUST_200600_302600_NS10device_ptrIlEEjNS1_19radix_merge_compareILb0ELb1ElNS0_19identity_decomposerEEEEE10hipError_tT0_T1_T2_jT3_P12ihipStream_tbPNSt15iterator_traitsISG_E10value_typeEPNSM_ISH_E10value_typeEPSI_NS1_7vsmem_tEENKUlT_SG_SH_SI_E_clIS7_S7_SB_S7_EESF_SV_SG_SH_SI_EUlSV_E_NS1_11comp_targetILNS1_3genE4ELNS1_11target_archE910ELNS1_3gpuE8ELNS1_3repE0EEENS1_48merge_mergepath_partition_config_static_selectorELNS0_4arch9wavefront6targetE1EEEvSH_
		.amdhsa_group_segment_fixed_size 0
		.amdhsa_private_segment_fixed_size 0
		.amdhsa_kernarg_size 40
		.amdhsa_user_sgpr_count 6
		.amdhsa_user_sgpr_private_segment_buffer 1
		.amdhsa_user_sgpr_dispatch_ptr 0
		.amdhsa_user_sgpr_queue_ptr 0
		.amdhsa_user_sgpr_kernarg_segment_ptr 1
		.amdhsa_user_sgpr_dispatch_id 0
		.amdhsa_user_sgpr_flat_scratch_init 0
		.amdhsa_user_sgpr_private_segment_size 0
		.amdhsa_uses_dynamic_stack 0
		.amdhsa_system_sgpr_private_segment_wavefront_offset 0
		.amdhsa_system_sgpr_workgroup_id_x 1
		.amdhsa_system_sgpr_workgroup_id_y 0
		.amdhsa_system_sgpr_workgroup_id_z 0
		.amdhsa_system_sgpr_workgroup_info 0
		.amdhsa_system_vgpr_workitem_id 0
		.amdhsa_next_free_vgpr 1
		.amdhsa_next_free_sgpr 0
		.amdhsa_reserve_vcc 0
		.amdhsa_reserve_flat_scratch 0
		.amdhsa_float_round_mode_32 0
		.amdhsa_float_round_mode_16_64 0
		.amdhsa_float_denorm_mode_32 3
		.amdhsa_float_denorm_mode_16_64 3
		.amdhsa_dx10_clamp 1
		.amdhsa_ieee_mode 1
		.amdhsa_fp16_overflow 0
		.amdhsa_exception_fp_ieee_invalid_op 0
		.amdhsa_exception_fp_denorm_src 0
		.amdhsa_exception_fp_ieee_div_zero 0
		.amdhsa_exception_fp_ieee_overflow 0
		.amdhsa_exception_fp_ieee_underflow 0
		.amdhsa_exception_fp_ieee_inexact 0
		.amdhsa_exception_int_div_zero 0
	.end_amdhsa_kernel
	.section	.text._ZN7rocprim17ROCPRIM_400000_NS6detail17trampoline_kernelINS0_14default_configENS1_38merge_sort_block_merge_config_selectorIllEEZZNS1_27merge_sort_block_merge_implIS3_PlN6thrust23THRUST_200600_302600_NS10device_ptrIlEEjNS1_19radix_merge_compareILb0ELb1ElNS0_19identity_decomposerEEEEE10hipError_tT0_T1_T2_jT3_P12ihipStream_tbPNSt15iterator_traitsISG_E10value_typeEPNSM_ISH_E10value_typeEPSI_NS1_7vsmem_tEENKUlT_SG_SH_SI_E_clIS7_S7_SB_S7_EESF_SV_SG_SH_SI_EUlSV_E_NS1_11comp_targetILNS1_3genE4ELNS1_11target_archE910ELNS1_3gpuE8ELNS1_3repE0EEENS1_48merge_mergepath_partition_config_static_selectorELNS0_4arch9wavefront6targetE1EEEvSH_,"axG",@progbits,_ZN7rocprim17ROCPRIM_400000_NS6detail17trampoline_kernelINS0_14default_configENS1_38merge_sort_block_merge_config_selectorIllEEZZNS1_27merge_sort_block_merge_implIS3_PlN6thrust23THRUST_200600_302600_NS10device_ptrIlEEjNS1_19radix_merge_compareILb0ELb1ElNS0_19identity_decomposerEEEEE10hipError_tT0_T1_T2_jT3_P12ihipStream_tbPNSt15iterator_traitsISG_E10value_typeEPNSM_ISH_E10value_typeEPSI_NS1_7vsmem_tEENKUlT_SG_SH_SI_E_clIS7_S7_SB_S7_EESF_SV_SG_SH_SI_EUlSV_E_NS1_11comp_targetILNS1_3genE4ELNS1_11target_archE910ELNS1_3gpuE8ELNS1_3repE0EEENS1_48merge_mergepath_partition_config_static_selectorELNS0_4arch9wavefront6targetE1EEEvSH_,comdat
.Lfunc_end1093:
	.size	_ZN7rocprim17ROCPRIM_400000_NS6detail17trampoline_kernelINS0_14default_configENS1_38merge_sort_block_merge_config_selectorIllEEZZNS1_27merge_sort_block_merge_implIS3_PlN6thrust23THRUST_200600_302600_NS10device_ptrIlEEjNS1_19radix_merge_compareILb0ELb1ElNS0_19identity_decomposerEEEEE10hipError_tT0_T1_T2_jT3_P12ihipStream_tbPNSt15iterator_traitsISG_E10value_typeEPNSM_ISH_E10value_typeEPSI_NS1_7vsmem_tEENKUlT_SG_SH_SI_E_clIS7_S7_SB_S7_EESF_SV_SG_SH_SI_EUlSV_E_NS1_11comp_targetILNS1_3genE4ELNS1_11target_archE910ELNS1_3gpuE8ELNS1_3repE0EEENS1_48merge_mergepath_partition_config_static_selectorELNS0_4arch9wavefront6targetE1EEEvSH_, .Lfunc_end1093-_ZN7rocprim17ROCPRIM_400000_NS6detail17trampoline_kernelINS0_14default_configENS1_38merge_sort_block_merge_config_selectorIllEEZZNS1_27merge_sort_block_merge_implIS3_PlN6thrust23THRUST_200600_302600_NS10device_ptrIlEEjNS1_19radix_merge_compareILb0ELb1ElNS0_19identity_decomposerEEEEE10hipError_tT0_T1_T2_jT3_P12ihipStream_tbPNSt15iterator_traitsISG_E10value_typeEPNSM_ISH_E10value_typeEPSI_NS1_7vsmem_tEENKUlT_SG_SH_SI_E_clIS7_S7_SB_S7_EESF_SV_SG_SH_SI_EUlSV_E_NS1_11comp_targetILNS1_3genE4ELNS1_11target_archE910ELNS1_3gpuE8ELNS1_3repE0EEENS1_48merge_mergepath_partition_config_static_selectorELNS0_4arch9wavefront6targetE1EEEvSH_
                                        ; -- End function
	.set _ZN7rocprim17ROCPRIM_400000_NS6detail17trampoline_kernelINS0_14default_configENS1_38merge_sort_block_merge_config_selectorIllEEZZNS1_27merge_sort_block_merge_implIS3_PlN6thrust23THRUST_200600_302600_NS10device_ptrIlEEjNS1_19radix_merge_compareILb0ELb1ElNS0_19identity_decomposerEEEEE10hipError_tT0_T1_T2_jT3_P12ihipStream_tbPNSt15iterator_traitsISG_E10value_typeEPNSM_ISH_E10value_typeEPSI_NS1_7vsmem_tEENKUlT_SG_SH_SI_E_clIS7_S7_SB_S7_EESF_SV_SG_SH_SI_EUlSV_E_NS1_11comp_targetILNS1_3genE4ELNS1_11target_archE910ELNS1_3gpuE8ELNS1_3repE0EEENS1_48merge_mergepath_partition_config_static_selectorELNS0_4arch9wavefront6targetE1EEEvSH_.num_vgpr, 0
	.set _ZN7rocprim17ROCPRIM_400000_NS6detail17trampoline_kernelINS0_14default_configENS1_38merge_sort_block_merge_config_selectorIllEEZZNS1_27merge_sort_block_merge_implIS3_PlN6thrust23THRUST_200600_302600_NS10device_ptrIlEEjNS1_19radix_merge_compareILb0ELb1ElNS0_19identity_decomposerEEEEE10hipError_tT0_T1_T2_jT3_P12ihipStream_tbPNSt15iterator_traitsISG_E10value_typeEPNSM_ISH_E10value_typeEPSI_NS1_7vsmem_tEENKUlT_SG_SH_SI_E_clIS7_S7_SB_S7_EESF_SV_SG_SH_SI_EUlSV_E_NS1_11comp_targetILNS1_3genE4ELNS1_11target_archE910ELNS1_3gpuE8ELNS1_3repE0EEENS1_48merge_mergepath_partition_config_static_selectorELNS0_4arch9wavefront6targetE1EEEvSH_.num_agpr, 0
	.set _ZN7rocprim17ROCPRIM_400000_NS6detail17trampoline_kernelINS0_14default_configENS1_38merge_sort_block_merge_config_selectorIllEEZZNS1_27merge_sort_block_merge_implIS3_PlN6thrust23THRUST_200600_302600_NS10device_ptrIlEEjNS1_19radix_merge_compareILb0ELb1ElNS0_19identity_decomposerEEEEE10hipError_tT0_T1_T2_jT3_P12ihipStream_tbPNSt15iterator_traitsISG_E10value_typeEPNSM_ISH_E10value_typeEPSI_NS1_7vsmem_tEENKUlT_SG_SH_SI_E_clIS7_S7_SB_S7_EESF_SV_SG_SH_SI_EUlSV_E_NS1_11comp_targetILNS1_3genE4ELNS1_11target_archE910ELNS1_3gpuE8ELNS1_3repE0EEENS1_48merge_mergepath_partition_config_static_selectorELNS0_4arch9wavefront6targetE1EEEvSH_.numbered_sgpr, 0
	.set _ZN7rocprim17ROCPRIM_400000_NS6detail17trampoline_kernelINS0_14default_configENS1_38merge_sort_block_merge_config_selectorIllEEZZNS1_27merge_sort_block_merge_implIS3_PlN6thrust23THRUST_200600_302600_NS10device_ptrIlEEjNS1_19radix_merge_compareILb0ELb1ElNS0_19identity_decomposerEEEEE10hipError_tT0_T1_T2_jT3_P12ihipStream_tbPNSt15iterator_traitsISG_E10value_typeEPNSM_ISH_E10value_typeEPSI_NS1_7vsmem_tEENKUlT_SG_SH_SI_E_clIS7_S7_SB_S7_EESF_SV_SG_SH_SI_EUlSV_E_NS1_11comp_targetILNS1_3genE4ELNS1_11target_archE910ELNS1_3gpuE8ELNS1_3repE0EEENS1_48merge_mergepath_partition_config_static_selectorELNS0_4arch9wavefront6targetE1EEEvSH_.num_named_barrier, 0
	.set _ZN7rocprim17ROCPRIM_400000_NS6detail17trampoline_kernelINS0_14default_configENS1_38merge_sort_block_merge_config_selectorIllEEZZNS1_27merge_sort_block_merge_implIS3_PlN6thrust23THRUST_200600_302600_NS10device_ptrIlEEjNS1_19radix_merge_compareILb0ELb1ElNS0_19identity_decomposerEEEEE10hipError_tT0_T1_T2_jT3_P12ihipStream_tbPNSt15iterator_traitsISG_E10value_typeEPNSM_ISH_E10value_typeEPSI_NS1_7vsmem_tEENKUlT_SG_SH_SI_E_clIS7_S7_SB_S7_EESF_SV_SG_SH_SI_EUlSV_E_NS1_11comp_targetILNS1_3genE4ELNS1_11target_archE910ELNS1_3gpuE8ELNS1_3repE0EEENS1_48merge_mergepath_partition_config_static_selectorELNS0_4arch9wavefront6targetE1EEEvSH_.private_seg_size, 0
	.set _ZN7rocprim17ROCPRIM_400000_NS6detail17trampoline_kernelINS0_14default_configENS1_38merge_sort_block_merge_config_selectorIllEEZZNS1_27merge_sort_block_merge_implIS3_PlN6thrust23THRUST_200600_302600_NS10device_ptrIlEEjNS1_19radix_merge_compareILb0ELb1ElNS0_19identity_decomposerEEEEE10hipError_tT0_T1_T2_jT3_P12ihipStream_tbPNSt15iterator_traitsISG_E10value_typeEPNSM_ISH_E10value_typeEPSI_NS1_7vsmem_tEENKUlT_SG_SH_SI_E_clIS7_S7_SB_S7_EESF_SV_SG_SH_SI_EUlSV_E_NS1_11comp_targetILNS1_3genE4ELNS1_11target_archE910ELNS1_3gpuE8ELNS1_3repE0EEENS1_48merge_mergepath_partition_config_static_selectorELNS0_4arch9wavefront6targetE1EEEvSH_.uses_vcc, 0
	.set _ZN7rocprim17ROCPRIM_400000_NS6detail17trampoline_kernelINS0_14default_configENS1_38merge_sort_block_merge_config_selectorIllEEZZNS1_27merge_sort_block_merge_implIS3_PlN6thrust23THRUST_200600_302600_NS10device_ptrIlEEjNS1_19radix_merge_compareILb0ELb1ElNS0_19identity_decomposerEEEEE10hipError_tT0_T1_T2_jT3_P12ihipStream_tbPNSt15iterator_traitsISG_E10value_typeEPNSM_ISH_E10value_typeEPSI_NS1_7vsmem_tEENKUlT_SG_SH_SI_E_clIS7_S7_SB_S7_EESF_SV_SG_SH_SI_EUlSV_E_NS1_11comp_targetILNS1_3genE4ELNS1_11target_archE910ELNS1_3gpuE8ELNS1_3repE0EEENS1_48merge_mergepath_partition_config_static_selectorELNS0_4arch9wavefront6targetE1EEEvSH_.uses_flat_scratch, 0
	.set _ZN7rocprim17ROCPRIM_400000_NS6detail17trampoline_kernelINS0_14default_configENS1_38merge_sort_block_merge_config_selectorIllEEZZNS1_27merge_sort_block_merge_implIS3_PlN6thrust23THRUST_200600_302600_NS10device_ptrIlEEjNS1_19radix_merge_compareILb0ELb1ElNS0_19identity_decomposerEEEEE10hipError_tT0_T1_T2_jT3_P12ihipStream_tbPNSt15iterator_traitsISG_E10value_typeEPNSM_ISH_E10value_typeEPSI_NS1_7vsmem_tEENKUlT_SG_SH_SI_E_clIS7_S7_SB_S7_EESF_SV_SG_SH_SI_EUlSV_E_NS1_11comp_targetILNS1_3genE4ELNS1_11target_archE910ELNS1_3gpuE8ELNS1_3repE0EEENS1_48merge_mergepath_partition_config_static_selectorELNS0_4arch9wavefront6targetE1EEEvSH_.has_dyn_sized_stack, 0
	.set _ZN7rocprim17ROCPRIM_400000_NS6detail17trampoline_kernelINS0_14default_configENS1_38merge_sort_block_merge_config_selectorIllEEZZNS1_27merge_sort_block_merge_implIS3_PlN6thrust23THRUST_200600_302600_NS10device_ptrIlEEjNS1_19radix_merge_compareILb0ELb1ElNS0_19identity_decomposerEEEEE10hipError_tT0_T1_T2_jT3_P12ihipStream_tbPNSt15iterator_traitsISG_E10value_typeEPNSM_ISH_E10value_typeEPSI_NS1_7vsmem_tEENKUlT_SG_SH_SI_E_clIS7_S7_SB_S7_EESF_SV_SG_SH_SI_EUlSV_E_NS1_11comp_targetILNS1_3genE4ELNS1_11target_archE910ELNS1_3gpuE8ELNS1_3repE0EEENS1_48merge_mergepath_partition_config_static_selectorELNS0_4arch9wavefront6targetE1EEEvSH_.has_recursion, 0
	.set _ZN7rocprim17ROCPRIM_400000_NS6detail17trampoline_kernelINS0_14default_configENS1_38merge_sort_block_merge_config_selectorIllEEZZNS1_27merge_sort_block_merge_implIS3_PlN6thrust23THRUST_200600_302600_NS10device_ptrIlEEjNS1_19radix_merge_compareILb0ELb1ElNS0_19identity_decomposerEEEEE10hipError_tT0_T1_T2_jT3_P12ihipStream_tbPNSt15iterator_traitsISG_E10value_typeEPNSM_ISH_E10value_typeEPSI_NS1_7vsmem_tEENKUlT_SG_SH_SI_E_clIS7_S7_SB_S7_EESF_SV_SG_SH_SI_EUlSV_E_NS1_11comp_targetILNS1_3genE4ELNS1_11target_archE910ELNS1_3gpuE8ELNS1_3repE0EEENS1_48merge_mergepath_partition_config_static_selectorELNS0_4arch9wavefront6targetE1EEEvSH_.has_indirect_call, 0
	.section	.AMDGPU.csdata,"",@progbits
; Kernel info:
; codeLenInByte = 0
; TotalNumSgprs: 4
; NumVgprs: 0
; ScratchSize: 0
; MemoryBound: 0
; FloatMode: 240
; IeeeMode: 1
; LDSByteSize: 0 bytes/workgroup (compile time only)
; SGPRBlocks: 0
; VGPRBlocks: 0
; NumSGPRsForWavesPerEU: 4
; NumVGPRsForWavesPerEU: 1
; Occupancy: 10
; WaveLimiterHint : 0
; COMPUTE_PGM_RSRC2:SCRATCH_EN: 0
; COMPUTE_PGM_RSRC2:USER_SGPR: 6
; COMPUTE_PGM_RSRC2:TRAP_HANDLER: 0
; COMPUTE_PGM_RSRC2:TGID_X_EN: 1
; COMPUTE_PGM_RSRC2:TGID_Y_EN: 0
; COMPUTE_PGM_RSRC2:TGID_Z_EN: 0
; COMPUTE_PGM_RSRC2:TIDIG_COMP_CNT: 0
	.section	.text._ZN7rocprim17ROCPRIM_400000_NS6detail17trampoline_kernelINS0_14default_configENS1_38merge_sort_block_merge_config_selectorIllEEZZNS1_27merge_sort_block_merge_implIS3_PlN6thrust23THRUST_200600_302600_NS10device_ptrIlEEjNS1_19radix_merge_compareILb0ELb1ElNS0_19identity_decomposerEEEEE10hipError_tT0_T1_T2_jT3_P12ihipStream_tbPNSt15iterator_traitsISG_E10value_typeEPNSM_ISH_E10value_typeEPSI_NS1_7vsmem_tEENKUlT_SG_SH_SI_E_clIS7_S7_SB_S7_EESF_SV_SG_SH_SI_EUlSV_E_NS1_11comp_targetILNS1_3genE3ELNS1_11target_archE908ELNS1_3gpuE7ELNS1_3repE0EEENS1_48merge_mergepath_partition_config_static_selectorELNS0_4arch9wavefront6targetE1EEEvSH_,"axG",@progbits,_ZN7rocprim17ROCPRIM_400000_NS6detail17trampoline_kernelINS0_14default_configENS1_38merge_sort_block_merge_config_selectorIllEEZZNS1_27merge_sort_block_merge_implIS3_PlN6thrust23THRUST_200600_302600_NS10device_ptrIlEEjNS1_19radix_merge_compareILb0ELb1ElNS0_19identity_decomposerEEEEE10hipError_tT0_T1_T2_jT3_P12ihipStream_tbPNSt15iterator_traitsISG_E10value_typeEPNSM_ISH_E10value_typeEPSI_NS1_7vsmem_tEENKUlT_SG_SH_SI_E_clIS7_S7_SB_S7_EESF_SV_SG_SH_SI_EUlSV_E_NS1_11comp_targetILNS1_3genE3ELNS1_11target_archE908ELNS1_3gpuE7ELNS1_3repE0EEENS1_48merge_mergepath_partition_config_static_selectorELNS0_4arch9wavefront6targetE1EEEvSH_,comdat
	.protected	_ZN7rocprim17ROCPRIM_400000_NS6detail17trampoline_kernelINS0_14default_configENS1_38merge_sort_block_merge_config_selectorIllEEZZNS1_27merge_sort_block_merge_implIS3_PlN6thrust23THRUST_200600_302600_NS10device_ptrIlEEjNS1_19radix_merge_compareILb0ELb1ElNS0_19identity_decomposerEEEEE10hipError_tT0_T1_T2_jT3_P12ihipStream_tbPNSt15iterator_traitsISG_E10value_typeEPNSM_ISH_E10value_typeEPSI_NS1_7vsmem_tEENKUlT_SG_SH_SI_E_clIS7_S7_SB_S7_EESF_SV_SG_SH_SI_EUlSV_E_NS1_11comp_targetILNS1_3genE3ELNS1_11target_archE908ELNS1_3gpuE7ELNS1_3repE0EEENS1_48merge_mergepath_partition_config_static_selectorELNS0_4arch9wavefront6targetE1EEEvSH_ ; -- Begin function _ZN7rocprim17ROCPRIM_400000_NS6detail17trampoline_kernelINS0_14default_configENS1_38merge_sort_block_merge_config_selectorIllEEZZNS1_27merge_sort_block_merge_implIS3_PlN6thrust23THRUST_200600_302600_NS10device_ptrIlEEjNS1_19radix_merge_compareILb0ELb1ElNS0_19identity_decomposerEEEEE10hipError_tT0_T1_T2_jT3_P12ihipStream_tbPNSt15iterator_traitsISG_E10value_typeEPNSM_ISH_E10value_typeEPSI_NS1_7vsmem_tEENKUlT_SG_SH_SI_E_clIS7_S7_SB_S7_EESF_SV_SG_SH_SI_EUlSV_E_NS1_11comp_targetILNS1_3genE3ELNS1_11target_archE908ELNS1_3gpuE7ELNS1_3repE0EEENS1_48merge_mergepath_partition_config_static_selectorELNS0_4arch9wavefront6targetE1EEEvSH_
	.globl	_ZN7rocprim17ROCPRIM_400000_NS6detail17trampoline_kernelINS0_14default_configENS1_38merge_sort_block_merge_config_selectorIllEEZZNS1_27merge_sort_block_merge_implIS3_PlN6thrust23THRUST_200600_302600_NS10device_ptrIlEEjNS1_19radix_merge_compareILb0ELb1ElNS0_19identity_decomposerEEEEE10hipError_tT0_T1_T2_jT3_P12ihipStream_tbPNSt15iterator_traitsISG_E10value_typeEPNSM_ISH_E10value_typeEPSI_NS1_7vsmem_tEENKUlT_SG_SH_SI_E_clIS7_S7_SB_S7_EESF_SV_SG_SH_SI_EUlSV_E_NS1_11comp_targetILNS1_3genE3ELNS1_11target_archE908ELNS1_3gpuE7ELNS1_3repE0EEENS1_48merge_mergepath_partition_config_static_selectorELNS0_4arch9wavefront6targetE1EEEvSH_
	.p2align	8
	.type	_ZN7rocprim17ROCPRIM_400000_NS6detail17trampoline_kernelINS0_14default_configENS1_38merge_sort_block_merge_config_selectorIllEEZZNS1_27merge_sort_block_merge_implIS3_PlN6thrust23THRUST_200600_302600_NS10device_ptrIlEEjNS1_19radix_merge_compareILb0ELb1ElNS0_19identity_decomposerEEEEE10hipError_tT0_T1_T2_jT3_P12ihipStream_tbPNSt15iterator_traitsISG_E10value_typeEPNSM_ISH_E10value_typeEPSI_NS1_7vsmem_tEENKUlT_SG_SH_SI_E_clIS7_S7_SB_S7_EESF_SV_SG_SH_SI_EUlSV_E_NS1_11comp_targetILNS1_3genE3ELNS1_11target_archE908ELNS1_3gpuE7ELNS1_3repE0EEENS1_48merge_mergepath_partition_config_static_selectorELNS0_4arch9wavefront6targetE1EEEvSH_,@function
_ZN7rocprim17ROCPRIM_400000_NS6detail17trampoline_kernelINS0_14default_configENS1_38merge_sort_block_merge_config_selectorIllEEZZNS1_27merge_sort_block_merge_implIS3_PlN6thrust23THRUST_200600_302600_NS10device_ptrIlEEjNS1_19radix_merge_compareILb0ELb1ElNS0_19identity_decomposerEEEEE10hipError_tT0_T1_T2_jT3_P12ihipStream_tbPNSt15iterator_traitsISG_E10value_typeEPNSM_ISH_E10value_typeEPSI_NS1_7vsmem_tEENKUlT_SG_SH_SI_E_clIS7_S7_SB_S7_EESF_SV_SG_SH_SI_EUlSV_E_NS1_11comp_targetILNS1_3genE3ELNS1_11target_archE908ELNS1_3gpuE7ELNS1_3repE0EEENS1_48merge_mergepath_partition_config_static_selectorELNS0_4arch9wavefront6targetE1EEEvSH_: ; @_ZN7rocprim17ROCPRIM_400000_NS6detail17trampoline_kernelINS0_14default_configENS1_38merge_sort_block_merge_config_selectorIllEEZZNS1_27merge_sort_block_merge_implIS3_PlN6thrust23THRUST_200600_302600_NS10device_ptrIlEEjNS1_19radix_merge_compareILb0ELb1ElNS0_19identity_decomposerEEEEE10hipError_tT0_T1_T2_jT3_P12ihipStream_tbPNSt15iterator_traitsISG_E10value_typeEPNSM_ISH_E10value_typeEPSI_NS1_7vsmem_tEENKUlT_SG_SH_SI_E_clIS7_S7_SB_S7_EESF_SV_SG_SH_SI_EUlSV_E_NS1_11comp_targetILNS1_3genE3ELNS1_11target_archE908ELNS1_3gpuE7ELNS1_3repE0EEENS1_48merge_mergepath_partition_config_static_selectorELNS0_4arch9wavefront6targetE1EEEvSH_
; %bb.0:
	.section	.rodata,"a",@progbits
	.p2align	6, 0x0
	.amdhsa_kernel _ZN7rocprim17ROCPRIM_400000_NS6detail17trampoline_kernelINS0_14default_configENS1_38merge_sort_block_merge_config_selectorIllEEZZNS1_27merge_sort_block_merge_implIS3_PlN6thrust23THRUST_200600_302600_NS10device_ptrIlEEjNS1_19radix_merge_compareILb0ELb1ElNS0_19identity_decomposerEEEEE10hipError_tT0_T1_T2_jT3_P12ihipStream_tbPNSt15iterator_traitsISG_E10value_typeEPNSM_ISH_E10value_typeEPSI_NS1_7vsmem_tEENKUlT_SG_SH_SI_E_clIS7_S7_SB_S7_EESF_SV_SG_SH_SI_EUlSV_E_NS1_11comp_targetILNS1_3genE3ELNS1_11target_archE908ELNS1_3gpuE7ELNS1_3repE0EEENS1_48merge_mergepath_partition_config_static_selectorELNS0_4arch9wavefront6targetE1EEEvSH_
		.amdhsa_group_segment_fixed_size 0
		.amdhsa_private_segment_fixed_size 0
		.amdhsa_kernarg_size 40
		.amdhsa_user_sgpr_count 6
		.amdhsa_user_sgpr_private_segment_buffer 1
		.amdhsa_user_sgpr_dispatch_ptr 0
		.amdhsa_user_sgpr_queue_ptr 0
		.amdhsa_user_sgpr_kernarg_segment_ptr 1
		.amdhsa_user_sgpr_dispatch_id 0
		.amdhsa_user_sgpr_flat_scratch_init 0
		.amdhsa_user_sgpr_private_segment_size 0
		.amdhsa_uses_dynamic_stack 0
		.amdhsa_system_sgpr_private_segment_wavefront_offset 0
		.amdhsa_system_sgpr_workgroup_id_x 1
		.amdhsa_system_sgpr_workgroup_id_y 0
		.amdhsa_system_sgpr_workgroup_id_z 0
		.amdhsa_system_sgpr_workgroup_info 0
		.amdhsa_system_vgpr_workitem_id 0
		.amdhsa_next_free_vgpr 1
		.amdhsa_next_free_sgpr 0
		.amdhsa_reserve_vcc 0
		.amdhsa_reserve_flat_scratch 0
		.amdhsa_float_round_mode_32 0
		.amdhsa_float_round_mode_16_64 0
		.amdhsa_float_denorm_mode_32 3
		.amdhsa_float_denorm_mode_16_64 3
		.amdhsa_dx10_clamp 1
		.amdhsa_ieee_mode 1
		.amdhsa_fp16_overflow 0
		.amdhsa_exception_fp_ieee_invalid_op 0
		.amdhsa_exception_fp_denorm_src 0
		.amdhsa_exception_fp_ieee_div_zero 0
		.amdhsa_exception_fp_ieee_overflow 0
		.amdhsa_exception_fp_ieee_underflow 0
		.amdhsa_exception_fp_ieee_inexact 0
		.amdhsa_exception_int_div_zero 0
	.end_amdhsa_kernel
	.section	.text._ZN7rocprim17ROCPRIM_400000_NS6detail17trampoline_kernelINS0_14default_configENS1_38merge_sort_block_merge_config_selectorIllEEZZNS1_27merge_sort_block_merge_implIS3_PlN6thrust23THRUST_200600_302600_NS10device_ptrIlEEjNS1_19radix_merge_compareILb0ELb1ElNS0_19identity_decomposerEEEEE10hipError_tT0_T1_T2_jT3_P12ihipStream_tbPNSt15iterator_traitsISG_E10value_typeEPNSM_ISH_E10value_typeEPSI_NS1_7vsmem_tEENKUlT_SG_SH_SI_E_clIS7_S7_SB_S7_EESF_SV_SG_SH_SI_EUlSV_E_NS1_11comp_targetILNS1_3genE3ELNS1_11target_archE908ELNS1_3gpuE7ELNS1_3repE0EEENS1_48merge_mergepath_partition_config_static_selectorELNS0_4arch9wavefront6targetE1EEEvSH_,"axG",@progbits,_ZN7rocprim17ROCPRIM_400000_NS6detail17trampoline_kernelINS0_14default_configENS1_38merge_sort_block_merge_config_selectorIllEEZZNS1_27merge_sort_block_merge_implIS3_PlN6thrust23THRUST_200600_302600_NS10device_ptrIlEEjNS1_19radix_merge_compareILb0ELb1ElNS0_19identity_decomposerEEEEE10hipError_tT0_T1_T2_jT3_P12ihipStream_tbPNSt15iterator_traitsISG_E10value_typeEPNSM_ISH_E10value_typeEPSI_NS1_7vsmem_tEENKUlT_SG_SH_SI_E_clIS7_S7_SB_S7_EESF_SV_SG_SH_SI_EUlSV_E_NS1_11comp_targetILNS1_3genE3ELNS1_11target_archE908ELNS1_3gpuE7ELNS1_3repE0EEENS1_48merge_mergepath_partition_config_static_selectorELNS0_4arch9wavefront6targetE1EEEvSH_,comdat
.Lfunc_end1094:
	.size	_ZN7rocprim17ROCPRIM_400000_NS6detail17trampoline_kernelINS0_14default_configENS1_38merge_sort_block_merge_config_selectorIllEEZZNS1_27merge_sort_block_merge_implIS3_PlN6thrust23THRUST_200600_302600_NS10device_ptrIlEEjNS1_19radix_merge_compareILb0ELb1ElNS0_19identity_decomposerEEEEE10hipError_tT0_T1_T2_jT3_P12ihipStream_tbPNSt15iterator_traitsISG_E10value_typeEPNSM_ISH_E10value_typeEPSI_NS1_7vsmem_tEENKUlT_SG_SH_SI_E_clIS7_S7_SB_S7_EESF_SV_SG_SH_SI_EUlSV_E_NS1_11comp_targetILNS1_3genE3ELNS1_11target_archE908ELNS1_3gpuE7ELNS1_3repE0EEENS1_48merge_mergepath_partition_config_static_selectorELNS0_4arch9wavefront6targetE1EEEvSH_, .Lfunc_end1094-_ZN7rocprim17ROCPRIM_400000_NS6detail17trampoline_kernelINS0_14default_configENS1_38merge_sort_block_merge_config_selectorIllEEZZNS1_27merge_sort_block_merge_implIS3_PlN6thrust23THRUST_200600_302600_NS10device_ptrIlEEjNS1_19radix_merge_compareILb0ELb1ElNS0_19identity_decomposerEEEEE10hipError_tT0_T1_T2_jT3_P12ihipStream_tbPNSt15iterator_traitsISG_E10value_typeEPNSM_ISH_E10value_typeEPSI_NS1_7vsmem_tEENKUlT_SG_SH_SI_E_clIS7_S7_SB_S7_EESF_SV_SG_SH_SI_EUlSV_E_NS1_11comp_targetILNS1_3genE3ELNS1_11target_archE908ELNS1_3gpuE7ELNS1_3repE0EEENS1_48merge_mergepath_partition_config_static_selectorELNS0_4arch9wavefront6targetE1EEEvSH_
                                        ; -- End function
	.set _ZN7rocprim17ROCPRIM_400000_NS6detail17trampoline_kernelINS0_14default_configENS1_38merge_sort_block_merge_config_selectorIllEEZZNS1_27merge_sort_block_merge_implIS3_PlN6thrust23THRUST_200600_302600_NS10device_ptrIlEEjNS1_19radix_merge_compareILb0ELb1ElNS0_19identity_decomposerEEEEE10hipError_tT0_T1_T2_jT3_P12ihipStream_tbPNSt15iterator_traitsISG_E10value_typeEPNSM_ISH_E10value_typeEPSI_NS1_7vsmem_tEENKUlT_SG_SH_SI_E_clIS7_S7_SB_S7_EESF_SV_SG_SH_SI_EUlSV_E_NS1_11comp_targetILNS1_3genE3ELNS1_11target_archE908ELNS1_3gpuE7ELNS1_3repE0EEENS1_48merge_mergepath_partition_config_static_selectorELNS0_4arch9wavefront6targetE1EEEvSH_.num_vgpr, 0
	.set _ZN7rocprim17ROCPRIM_400000_NS6detail17trampoline_kernelINS0_14default_configENS1_38merge_sort_block_merge_config_selectorIllEEZZNS1_27merge_sort_block_merge_implIS3_PlN6thrust23THRUST_200600_302600_NS10device_ptrIlEEjNS1_19radix_merge_compareILb0ELb1ElNS0_19identity_decomposerEEEEE10hipError_tT0_T1_T2_jT3_P12ihipStream_tbPNSt15iterator_traitsISG_E10value_typeEPNSM_ISH_E10value_typeEPSI_NS1_7vsmem_tEENKUlT_SG_SH_SI_E_clIS7_S7_SB_S7_EESF_SV_SG_SH_SI_EUlSV_E_NS1_11comp_targetILNS1_3genE3ELNS1_11target_archE908ELNS1_3gpuE7ELNS1_3repE0EEENS1_48merge_mergepath_partition_config_static_selectorELNS0_4arch9wavefront6targetE1EEEvSH_.num_agpr, 0
	.set _ZN7rocprim17ROCPRIM_400000_NS6detail17trampoline_kernelINS0_14default_configENS1_38merge_sort_block_merge_config_selectorIllEEZZNS1_27merge_sort_block_merge_implIS3_PlN6thrust23THRUST_200600_302600_NS10device_ptrIlEEjNS1_19radix_merge_compareILb0ELb1ElNS0_19identity_decomposerEEEEE10hipError_tT0_T1_T2_jT3_P12ihipStream_tbPNSt15iterator_traitsISG_E10value_typeEPNSM_ISH_E10value_typeEPSI_NS1_7vsmem_tEENKUlT_SG_SH_SI_E_clIS7_S7_SB_S7_EESF_SV_SG_SH_SI_EUlSV_E_NS1_11comp_targetILNS1_3genE3ELNS1_11target_archE908ELNS1_3gpuE7ELNS1_3repE0EEENS1_48merge_mergepath_partition_config_static_selectorELNS0_4arch9wavefront6targetE1EEEvSH_.numbered_sgpr, 0
	.set _ZN7rocprim17ROCPRIM_400000_NS6detail17trampoline_kernelINS0_14default_configENS1_38merge_sort_block_merge_config_selectorIllEEZZNS1_27merge_sort_block_merge_implIS3_PlN6thrust23THRUST_200600_302600_NS10device_ptrIlEEjNS1_19radix_merge_compareILb0ELb1ElNS0_19identity_decomposerEEEEE10hipError_tT0_T1_T2_jT3_P12ihipStream_tbPNSt15iterator_traitsISG_E10value_typeEPNSM_ISH_E10value_typeEPSI_NS1_7vsmem_tEENKUlT_SG_SH_SI_E_clIS7_S7_SB_S7_EESF_SV_SG_SH_SI_EUlSV_E_NS1_11comp_targetILNS1_3genE3ELNS1_11target_archE908ELNS1_3gpuE7ELNS1_3repE0EEENS1_48merge_mergepath_partition_config_static_selectorELNS0_4arch9wavefront6targetE1EEEvSH_.num_named_barrier, 0
	.set _ZN7rocprim17ROCPRIM_400000_NS6detail17trampoline_kernelINS0_14default_configENS1_38merge_sort_block_merge_config_selectorIllEEZZNS1_27merge_sort_block_merge_implIS3_PlN6thrust23THRUST_200600_302600_NS10device_ptrIlEEjNS1_19radix_merge_compareILb0ELb1ElNS0_19identity_decomposerEEEEE10hipError_tT0_T1_T2_jT3_P12ihipStream_tbPNSt15iterator_traitsISG_E10value_typeEPNSM_ISH_E10value_typeEPSI_NS1_7vsmem_tEENKUlT_SG_SH_SI_E_clIS7_S7_SB_S7_EESF_SV_SG_SH_SI_EUlSV_E_NS1_11comp_targetILNS1_3genE3ELNS1_11target_archE908ELNS1_3gpuE7ELNS1_3repE0EEENS1_48merge_mergepath_partition_config_static_selectorELNS0_4arch9wavefront6targetE1EEEvSH_.private_seg_size, 0
	.set _ZN7rocprim17ROCPRIM_400000_NS6detail17trampoline_kernelINS0_14default_configENS1_38merge_sort_block_merge_config_selectorIllEEZZNS1_27merge_sort_block_merge_implIS3_PlN6thrust23THRUST_200600_302600_NS10device_ptrIlEEjNS1_19radix_merge_compareILb0ELb1ElNS0_19identity_decomposerEEEEE10hipError_tT0_T1_T2_jT3_P12ihipStream_tbPNSt15iterator_traitsISG_E10value_typeEPNSM_ISH_E10value_typeEPSI_NS1_7vsmem_tEENKUlT_SG_SH_SI_E_clIS7_S7_SB_S7_EESF_SV_SG_SH_SI_EUlSV_E_NS1_11comp_targetILNS1_3genE3ELNS1_11target_archE908ELNS1_3gpuE7ELNS1_3repE0EEENS1_48merge_mergepath_partition_config_static_selectorELNS0_4arch9wavefront6targetE1EEEvSH_.uses_vcc, 0
	.set _ZN7rocprim17ROCPRIM_400000_NS6detail17trampoline_kernelINS0_14default_configENS1_38merge_sort_block_merge_config_selectorIllEEZZNS1_27merge_sort_block_merge_implIS3_PlN6thrust23THRUST_200600_302600_NS10device_ptrIlEEjNS1_19radix_merge_compareILb0ELb1ElNS0_19identity_decomposerEEEEE10hipError_tT0_T1_T2_jT3_P12ihipStream_tbPNSt15iterator_traitsISG_E10value_typeEPNSM_ISH_E10value_typeEPSI_NS1_7vsmem_tEENKUlT_SG_SH_SI_E_clIS7_S7_SB_S7_EESF_SV_SG_SH_SI_EUlSV_E_NS1_11comp_targetILNS1_3genE3ELNS1_11target_archE908ELNS1_3gpuE7ELNS1_3repE0EEENS1_48merge_mergepath_partition_config_static_selectorELNS0_4arch9wavefront6targetE1EEEvSH_.uses_flat_scratch, 0
	.set _ZN7rocprim17ROCPRIM_400000_NS6detail17trampoline_kernelINS0_14default_configENS1_38merge_sort_block_merge_config_selectorIllEEZZNS1_27merge_sort_block_merge_implIS3_PlN6thrust23THRUST_200600_302600_NS10device_ptrIlEEjNS1_19radix_merge_compareILb0ELb1ElNS0_19identity_decomposerEEEEE10hipError_tT0_T1_T2_jT3_P12ihipStream_tbPNSt15iterator_traitsISG_E10value_typeEPNSM_ISH_E10value_typeEPSI_NS1_7vsmem_tEENKUlT_SG_SH_SI_E_clIS7_S7_SB_S7_EESF_SV_SG_SH_SI_EUlSV_E_NS1_11comp_targetILNS1_3genE3ELNS1_11target_archE908ELNS1_3gpuE7ELNS1_3repE0EEENS1_48merge_mergepath_partition_config_static_selectorELNS0_4arch9wavefront6targetE1EEEvSH_.has_dyn_sized_stack, 0
	.set _ZN7rocprim17ROCPRIM_400000_NS6detail17trampoline_kernelINS0_14default_configENS1_38merge_sort_block_merge_config_selectorIllEEZZNS1_27merge_sort_block_merge_implIS3_PlN6thrust23THRUST_200600_302600_NS10device_ptrIlEEjNS1_19radix_merge_compareILb0ELb1ElNS0_19identity_decomposerEEEEE10hipError_tT0_T1_T2_jT3_P12ihipStream_tbPNSt15iterator_traitsISG_E10value_typeEPNSM_ISH_E10value_typeEPSI_NS1_7vsmem_tEENKUlT_SG_SH_SI_E_clIS7_S7_SB_S7_EESF_SV_SG_SH_SI_EUlSV_E_NS1_11comp_targetILNS1_3genE3ELNS1_11target_archE908ELNS1_3gpuE7ELNS1_3repE0EEENS1_48merge_mergepath_partition_config_static_selectorELNS0_4arch9wavefront6targetE1EEEvSH_.has_recursion, 0
	.set _ZN7rocprim17ROCPRIM_400000_NS6detail17trampoline_kernelINS0_14default_configENS1_38merge_sort_block_merge_config_selectorIllEEZZNS1_27merge_sort_block_merge_implIS3_PlN6thrust23THRUST_200600_302600_NS10device_ptrIlEEjNS1_19radix_merge_compareILb0ELb1ElNS0_19identity_decomposerEEEEE10hipError_tT0_T1_T2_jT3_P12ihipStream_tbPNSt15iterator_traitsISG_E10value_typeEPNSM_ISH_E10value_typeEPSI_NS1_7vsmem_tEENKUlT_SG_SH_SI_E_clIS7_S7_SB_S7_EESF_SV_SG_SH_SI_EUlSV_E_NS1_11comp_targetILNS1_3genE3ELNS1_11target_archE908ELNS1_3gpuE7ELNS1_3repE0EEENS1_48merge_mergepath_partition_config_static_selectorELNS0_4arch9wavefront6targetE1EEEvSH_.has_indirect_call, 0
	.section	.AMDGPU.csdata,"",@progbits
; Kernel info:
; codeLenInByte = 0
; TotalNumSgprs: 4
; NumVgprs: 0
; ScratchSize: 0
; MemoryBound: 0
; FloatMode: 240
; IeeeMode: 1
; LDSByteSize: 0 bytes/workgroup (compile time only)
; SGPRBlocks: 0
; VGPRBlocks: 0
; NumSGPRsForWavesPerEU: 4
; NumVGPRsForWavesPerEU: 1
; Occupancy: 10
; WaveLimiterHint : 0
; COMPUTE_PGM_RSRC2:SCRATCH_EN: 0
; COMPUTE_PGM_RSRC2:USER_SGPR: 6
; COMPUTE_PGM_RSRC2:TRAP_HANDLER: 0
; COMPUTE_PGM_RSRC2:TGID_X_EN: 1
; COMPUTE_PGM_RSRC2:TGID_Y_EN: 0
; COMPUTE_PGM_RSRC2:TGID_Z_EN: 0
; COMPUTE_PGM_RSRC2:TIDIG_COMP_CNT: 0
	.section	.text._ZN7rocprim17ROCPRIM_400000_NS6detail17trampoline_kernelINS0_14default_configENS1_38merge_sort_block_merge_config_selectorIllEEZZNS1_27merge_sort_block_merge_implIS3_PlN6thrust23THRUST_200600_302600_NS10device_ptrIlEEjNS1_19radix_merge_compareILb0ELb1ElNS0_19identity_decomposerEEEEE10hipError_tT0_T1_T2_jT3_P12ihipStream_tbPNSt15iterator_traitsISG_E10value_typeEPNSM_ISH_E10value_typeEPSI_NS1_7vsmem_tEENKUlT_SG_SH_SI_E_clIS7_S7_SB_S7_EESF_SV_SG_SH_SI_EUlSV_E_NS1_11comp_targetILNS1_3genE2ELNS1_11target_archE906ELNS1_3gpuE6ELNS1_3repE0EEENS1_48merge_mergepath_partition_config_static_selectorELNS0_4arch9wavefront6targetE1EEEvSH_,"axG",@progbits,_ZN7rocprim17ROCPRIM_400000_NS6detail17trampoline_kernelINS0_14default_configENS1_38merge_sort_block_merge_config_selectorIllEEZZNS1_27merge_sort_block_merge_implIS3_PlN6thrust23THRUST_200600_302600_NS10device_ptrIlEEjNS1_19radix_merge_compareILb0ELb1ElNS0_19identity_decomposerEEEEE10hipError_tT0_T1_T2_jT3_P12ihipStream_tbPNSt15iterator_traitsISG_E10value_typeEPNSM_ISH_E10value_typeEPSI_NS1_7vsmem_tEENKUlT_SG_SH_SI_E_clIS7_S7_SB_S7_EESF_SV_SG_SH_SI_EUlSV_E_NS1_11comp_targetILNS1_3genE2ELNS1_11target_archE906ELNS1_3gpuE6ELNS1_3repE0EEENS1_48merge_mergepath_partition_config_static_selectorELNS0_4arch9wavefront6targetE1EEEvSH_,comdat
	.protected	_ZN7rocprim17ROCPRIM_400000_NS6detail17trampoline_kernelINS0_14default_configENS1_38merge_sort_block_merge_config_selectorIllEEZZNS1_27merge_sort_block_merge_implIS3_PlN6thrust23THRUST_200600_302600_NS10device_ptrIlEEjNS1_19radix_merge_compareILb0ELb1ElNS0_19identity_decomposerEEEEE10hipError_tT0_T1_T2_jT3_P12ihipStream_tbPNSt15iterator_traitsISG_E10value_typeEPNSM_ISH_E10value_typeEPSI_NS1_7vsmem_tEENKUlT_SG_SH_SI_E_clIS7_S7_SB_S7_EESF_SV_SG_SH_SI_EUlSV_E_NS1_11comp_targetILNS1_3genE2ELNS1_11target_archE906ELNS1_3gpuE6ELNS1_3repE0EEENS1_48merge_mergepath_partition_config_static_selectorELNS0_4arch9wavefront6targetE1EEEvSH_ ; -- Begin function _ZN7rocprim17ROCPRIM_400000_NS6detail17trampoline_kernelINS0_14default_configENS1_38merge_sort_block_merge_config_selectorIllEEZZNS1_27merge_sort_block_merge_implIS3_PlN6thrust23THRUST_200600_302600_NS10device_ptrIlEEjNS1_19radix_merge_compareILb0ELb1ElNS0_19identity_decomposerEEEEE10hipError_tT0_T1_T2_jT3_P12ihipStream_tbPNSt15iterator_traitsISG_E10value_typeEPNSM_ISH_E10value_typeEPSI_NS1_7vsmem_tEENKUlT_SG_SH_SI_E_clIS7_S7_SB_S7_EESF_SV_SG_SH_SI_EUlSV_E_NS1_11comp_targetILNS1_3genE2ELNS1_11target_archE906ELNS1_3gpuE6ELNS1_3repE0EEENS1_48merge_mergepath_partition_config_static_selectorELNS0_4arch9wavefront6targetE1EEEvSH_
	.globl	_ZN7rocprim17ROCPRIM_400000_NS6detail17trampoline_kernelINS0_14default_configENS1_38merge_sort_block_merge_config_selectorIllEEZZNS1_27merge_sort_block_merge_implIS3_PlN6thrust23THRUST_200600_302600_NS10device_ptrIlEEjNS1_19radix_merge_compareILb0ELb1ElNS0_19identity_decomposerEEEEE10hipError_tT0_T1_T2_jT3_P12ihipStream_tbPNSt15iterator_traitsISG_E10value_typeEPNSM_ISH_E10value_typeEPSI_NS1_7vsmem_tEENKUlT_SG_SH_SI_E_clIS7_S7_SB_S7_EESF_SV_SG_SH_SI_EUlSV_E_NS1_11comp_targetILNS1_3genE2ELNS1_11target_archE906ELNS1_3gpuE6ELNS1_3repE0EEENS1_48merge_mergepath_partition_config_static_selectorELNS0_4arch9wavefront6targetE1EEEvSH_
	.p2align	8
	.type	_ZN7rocprim17ROCPRIM_400000_NS6detail17trampoline_kernelINS0_14default_configENS1_38merge_sort_block_merge_config_selectorIllEEZZNS1_27merge_sort_block_merge_implIS3_PlN6thrust23THRUST_200600_302600_NS10device_ptrIlEEjNS1_19radix_merge_compareILb0ELb1ElNS0_19identity_decomposerEEEEE10hipError_tT0_T1_T2_jT3_P12ihipStream_tbPNSt15iterator_traitsISG_E10value_typeEPNSM_ISH_E10value_typeEPSI_NS1_7vsmem_tEENKUlT_SG_SH_SI_E_clIS7_S7_SB_S7_EESF_SV_SG_SH_SI_EUlSV_E_NS1_11comp_targetILNS1_3genE2ELNS1_11target_archE906ELNS1_3gpuE6ELNS1_3repE0EEENS1_48merge_mergepath_partition_config_static_selectorELNS0_4arch9wavefront6targetE1EEEvSH_,@function
_ZN7rocprim17ROCPRIM_400000_NS6detail17trampoline_kernelINS0_14default_configENS1_38merge_sort_block_merge_config_selectorIllEEZZNS1_27merge_sort_block_merge_implIS3_PlN6thrust23THRUST_200600_302600_NS10device_ptrIlEEjNS1_19radix_merge_compareILb0ELb1ElNS0_19identity_decomposerEEEEE10hipError_tT0_T1_T2_jT3_P12ihipStream_tbPNSt15iterator_traitsISG_E10value_typeEPNSM_ISH_E10value_typeEPSI_NS1_7vsmem_tEENKUlT_SG_SH_SI_E_clIS7_S7_SB_S7_EESF_SV_SG_SH_SI_EUlSV_E_NS1_11comp_targetILNS1_3genE2ELNS1_11target_archE906ELNS1_3gpuE6ELNS1_3repE0EEENS1_48merge_mergepath_partition_config_static_selectorELNS0_4arch9wavefront6targetE1EEEvSH_: ; @_ZN7rocprim17ROCPRIM_400000_NS6detail17trampoline_kernelINS0_14default_configENS1_38merge_sort_block_merge_config_selectorIllEEZZNS1_27merge_sort_block_merge_implIS3_PlN6thrust23THRUST_200600_302600_NS10device_ptrIlEEjNS1_19radix_merge_compareILb0ELb1ElNS0_19identity_decomposerEEEEE10hipError_tT0_T1_T2_jT3_P12ihipStream_tbPNSt15iterator_traitsISG_E10value_typeEPNSM_ISH_E10value_typeEPSI_NS1_7vsmem_tEENKUlT_SG_SH_SI_E_clIS7_S7_SB_S7_EESF_SV_SG_SH_SI_EUlSV_E_NS1_11comp_targetILNS1_3genE2ELNS1_11target_archE906ELNS1_3gpuE6ELNS1_3repE0EEENS1_48merge_mergepath_partition_config_static_selectorELNS0_4arch9wavefront6targetE1EEEvSH_
; %bb.0:
	s_load_dword s0, s[4:5], 0x0
	v_lshl_or_b32 v0, s6, 7, v0
	s_waitcnt lgkmcnt(0)
	v_cmp_gt_u32_e32 vcc, s0, v0
	s_and_saveexec_b64 s[0:1], vcc
	s_cbranch_execz .LBB1095_6
; %bb.1:
	s_load_dwordx2 s[6:7], s[4:5], 0x4
	s_load_dwordx4 s[0:3], s[4:5], 0x18
	s_waitcnt lgkmcnt(0)
	s_lshr_b32 s8, s6, 9
	s_and_b32 s8, s8, 0x7ffffe
	s_add_i32 s9, s8, -1
	s_sub_i32 s8, 0, s8
	v_and_b32_e32 v1, s8, v0
	v_lshlrev_b32_e32 v3, 10, v1
	v_min_u32_e32 v1, s7, v3
	v_add_u32_e32 v3, s6, v3
	v_min_u32_e32 v3, s7, v3
	v_add_u32_e32 v4, s6, v3
	v_and_b32_e32 v2, s9, v0
	v_min_u32_e32 v4, s7, v4
	v_sub_u32_e32 v5, v4, v1
	v_lshlrev_b32_e32 v2, 10, v2
	v_min_u32_e32 v6, v5, v2
	v_sub_u32_e32 v2, v3, v1
	v_sub_u32_e32 v4, v4, v3
	v_sub_u32_e64 v5, v6, v4 clamp
	v_min_u32_e32 v7, v6, v2
	v_cmp_lt_u32_e32 vcc, v5, v7
	s_and_saveexec_b64 s[6:7], vcc
	s_cbranch_execz .LBB1095_5
; %bb.2:
	s_load_dwordx2 s[4:5], s[4:5], 0x10
	v_mov_b32_e32 v4, 0
	v_mov_b32_e32 v2, v4
	v_lshlrev_b64 v[8:9], 3, v[1:2]
	s_waitcnt lgkmcnt(0)
	v_mov_b32_e32 v11, s5
	v_add_co_u32_e32 v2, vcc, s4, v8
	v_addc_co_u32_e32 v8, vcc, v11, v9, vcc
	v_lshlrev_b64 v[9:10], 3, v[3:4]
	v_add_co_u32_e32 v9, vcc, s4, v9
	v_addc_co_u32_e32 v10, vcc, v11, v10, vcc
	s_mov_b64 s[4:5], 0
.LBB1095_3:                             ; =>This Inner Loop Header: Depth=1
	v_add_u32_e32 v3, v7, v5
	v_lshrrev_b32_e32 v3, 1, v3
	v_lshlrev_b64 v[13:14], 3, v[3:4]
	v_mov_b32_e32 v12, v4
	v_xad_u32 v11, v3, -1, v6
	v_lshlrev_b64 v[11:12], 3, v[11:12]
	v_add_co_u32_e32 v13, vcc, v2, v13
	v_addc_co_u32_e32 v14, vcc, v8, v14, vcc
	v_add_co_u32_e32 v11, vcc, v9, v11
	v_addc_co_u32_e32 v12, vcc, v10, v12, vcc
	global_load_dwordx2 v[13:14], v[13:14], off
	v_add_u32_e32 v15, 1, v3
	global_load_dwordx2 v[11:12], v[11:12], off
	s_waitcnt vmcnt(1)
	v_and_b32_e32 v14, s1, v14
	v_and_b32_e32 v13, s0, v13
	s_waitcnt vmcnt(0)
	v_and_b32_e32 v12, s1, v12
	v_and_b32_e32 v11, s0, v11
	v_cmp_gt_i64_e32 vcc, v[13:14], v[11:12]
	v_cndmask_b32_e32 v7, v7, v3, vcc
	v_cndmask_b32_e32 v5, v15, v5, vcc
	v_cmp_ge_u32_e32 vcc, v5, v7
	s_or_b64 s[4:5], vcc, s[4:5]
	s_andn2_b64 exec, exec, s[4:5]
	s_cbranch_execnz .LBB1095_3
; %bb.4:
	s_or_b64 exec, exec, s[4:5]
.LBB1095_5:
	s_or_b64 exec, exec, s[6:7]
	v_add_u32_e32 v2, v5, v1
	v_mov_b32_e32 v1, 0
	v_lshlrev_b64 v[0:1], 2, v[0:1]
	v_mov_b32_e32 v3, s3
	v_add_co_u32_e32 v0, vcc, s2, v0
	v_addc_co_u32_e32 v1, vcc, v3, v1, vcc
	global_store_dword v[0:1], v2, off
.LBB1095_6:
	s_endpgm
	.section	.rodata,"a",@progbits
	.p2align	6, 0x0
	.amdhsa_kernel _ZN7rocprim17ROCPRIM_400000_NS6detail17trampoline_kernelINS0_14default_configENS1_38merge_sort_block_merge_config_selectorIllEEZZNS1_27merge_sort_block_merge_implIS3_PlN6thrust23THRUST_200600_302600_NS10device_ptrIlEEjNS1_19radix_merge_compareILb0ELb1ElNS0_19identity_decomposerEEEEE10hipError_tT0_T1_T2_jT3_P12ihipStream_tbPNSt15iterator_traitsISG_E10value_typeEPNSM_ISH_E10value_typeEPSI_NS1_7vsmem_tEENKUlT_SG_SH_SI_E_clIS7_S7_SB_S7_EESF_SV_SG_SH_SI_EUlSV_E_NS1_11comp_targetILNS1_3genE2ELNS1_11target_archE906ELNS1_3gpuE6ELNS1_3repE0EEENS1_48merge_mergepath_partition_config_static_selectorELNS0_4arch9wavefront6targetE1EEEvSH_
		.amdhsa_group_segment_fixed_size 0
		.amdhsa_private_segment_fixed_size 0
		.amdhsa_kernarg_size 40
		.amdhsa_user_sgpr_count 6
		.amdhsa_user_sgpr_private_segment_buffer 1
		.amdhsa_user_sgpr_dispatch_ptr 0
		.amdhsa_user_sgpr_queue_ptr 0
		.amdhsa_user_sgpr_kernarg_segment_ptr 1
		.amdhsa_user_sgpr_dispatch_id 0
		.amdhsa_user_sgpr_flat_scratch_init 0
		.amdhsa_user_sgpr_private_segment_size 0
		.amdhsa_uses_dynamic_stack 0
		.amdhsa_system_sgpr_private_segment_wavefront_offset 0
		.amdhsa_system_sgpr_workgroup_id_x 1
		.amdhsa_system_sgpr_workgroup_id_y 0
		.amdhsa_system_sgpr_workgroup_id_z 0
		.amdhsa_system_sgpr_workgroup_info 0
		.amdhsa_system_vgpr_workitem_id 0
		.amdhsa_next_free_vgpr 16
		.amdhsa_next_free_sgpr 10
		.amdhsa_reserve_vcc 1
		.amdhsa_reserve_flat_scratch 0
		.amdhsa_float_round_mode_32 0
		.amdhsa_float_round_mode_16_64 0
		.amdhsa_float_denorm_mode_32 3
		.amdhsa_float_denorm_mode_16_64 3
		.amdhsa_dx10_clamp 1
		.amdhsa_ieee_mode 1
		.amdhsa_fp16_overflow 0
		.amdhsa_exception_fp_ieee_invalid_op 0
		.amdhsa_exception_fp_denorm_src 0
		.amdhsa_exception_fp_ieee_div_zero 0
		.amdhsa_exception_fp_ieee_overflow 0
		.amdhsa_exception_fp_ieee_underflow 0
		.amdhsa_exception_fp_ieee_inexact 0
		.amdhsa_exception_int_div_zero 0
	.end_amdhsa_kernel
	.section	.text._ZN7rocprim17ROCPRIM_400000_NS6detail17trampoline_kernelINS0_14default_configENS1_38merge_sort_block_merge_config_selectorIllEEZZNS1_27merge_sort_block_merge_implIS3_PlN6thrust23THRUST_200600_302600_NS10device_ptrIlEEjNS1_19radix_merge_compareILb0ELb1ElNS0_19identity_decomposerEEEEE10hipError_tT0_T1_T2_jT3_P12ihipStream_tbPNSt15iterator_traitsISG_E10value_typeEPNSM_ISH_E10value_typeEPSI_NS1_7vsmem_tEENKUlT_SG_SH_SI_E_clIS7_S7_SB_S7_EESF_SV_SG_SH_SI_EUlSV_E_NS1_11comp_targetILNS1_3genE2ELNS1_11target_archE906ELNS1_3gpuE6ELNS1_3repE0EEENS1_48merge_mergepath_partition_config_static_selectorELNS0_4arch9wavefront6targetE1EEEvSH_,"axG",@progbits,_ZN7rocprim17ROCPRIM_400000_NS6detail17trampoline_kernelINS0_14default_configENS1_38merge_sort_block_merge_config_selectorIllEEZZNS1_27merge_sort_block_merge_implIS3_PlN6thrust23THRUST_200600_302600_NS10device_ptrIlEEjNS1_19radix_merge_compareILb0ELb1ElNS0_19identity_decomposerEEEEE10hipError_tT0_T1_T2_jT3_P12ihipStream_tbPNSt15iterator_traitsISG_E10value_typeEPNSM_ISH_E10value_typeEPSI_NS1_7vsmem_tEENKUlT_SG_SH_SI_E_clIS7_S7_SB_S7_EESF_SV_SG_SH_SI_EUlSV_E_NS1_11comp_targetILNS1_3genE2ELNS1_11target_archE906ELNS1_3gpuE6ELNS1_3repE0EEENS1_48merge_mergepath_partition_config_static_selectorELNS0_4arch9wavefront6targetE1EEEvSH_,comdat
.Lfunc_end1095:
	.size	_ZN7rocprim17ROCPRIM_400000_NS6detail17trampoline_kernelINS0_14default_configENS1_38merge_sort_block_merge_config_selectorIllEEZZNS1_27merge_sort_block_merge_implIS3_PlN6thrust23THRUST_200600_302600_NS10device_ptrIlEEjNS1_19radix_merge_compareILb0ELb1ElNS0_19identity_decomposerEEEEE10hipError_tT0_T1_T2_jT3_P12ihipStream_tbPNSt15iterator_traitsISG_E10value_typeEPNSM_ISH_E10value_typeEPSI_NS1_7vsmem_tEENKUlT_SG_SH_SI_E_clIS7_S7_SB_S7_EESF_SV_SG_SH_SI_EUlSV_E_NS1_11comp_targetILNS1_3genE2ELNS1_11target_archE906ELNS1_3gpuE6ELNS1_3repE0EEENS1_48merge_mergepath_partition_config_static_selectorELNS0_4arch9wavefront6targetE1EEEvSH_, .Lfunc_end1095-_ZN7rocprim17ROCPRIM_400000_NS6detail17trampoline_kernelINS0_14default_configENS1_38merge_sort_block_merge_config_selectorIllEEZZNS1_27merge_sort_block_merge_implIS3_PlN6thrust23THRUST_200600_302600_NS10device_ptrIlEEjNS1_19radix_merge_compareILb0ELb1ElNS0_19identity_decomposerEEEEE10hipError_tT0_T1_T2_jT3_P12ihipStream_tbPNSt15iterator_traitsISG_E10value_typeEPNSM_ISH_E10value_typeEPSI_NS1_7vsmem_tEENKUlT_SG_SH_SI_E_clIS7_S7_SB_S7_EESF_SV_SG_SH_SI_EUlSV_E_NS1_11comp_targetILNS1_3genE2ELNS1_11target_archE906ELNS1_3gpuE6ELNS1_3repE0EEENS1_48merge_mergepath_partition_config_static_selectorELNS0_4arch9wavefront6targetE1EEEvSH_
                                        ; -- End function
	.set _ZN7rocprim17ROCPRIM_400000_NS6detail17trampoline_kernelINS0_14default_configENS1_38merge_sort_block_merge_config_selectorIllEEZZNS1_27merge_sort_block_merge_implIS3_PlN6thrust23THRUST_200600_302600_NS10device_ptrIlEEjNS1_19radix_merge_compareILb0ELb1ElNS0_19identity_decomposerEEEEE10hipError_tT0_T1_T2_jT3_P12ihipStream_tbPNSt15iterator_traitsISG_E10value_typeEPNSM_ISH_E10value_typeEPSI_NS1_7vsmem_tEENKUlT_SG_SH_SI_E_clIS7_S7_SB_S7_EESF_SV_SG_SH_SI_EUlSV_E_NS1_11comp_targetILNS1_3genE2ELNS1_11target_archE906ELNS1_3gpuE6ELNS1_3repE0EEENS1_48merge_mergepath_partition_config_static_selectorELNS0_4arch9wavefront6targetE1EEEvSH_.num_vgpr, 16
	.set _ZN7rocprim17ROCPRIM_400000_NS6detail17trampoline_kernelINS0_14default_configENS1_38merge_sort_block_merge_config_selectorIllEEZZNS1_27merge_sort_block_merge_implIS3_PlN6thrust23THRUST_200600_302600_NS10device_ptrIlEEjNS1_19radix_merge_compareILb0ELb1ElNS0_19identity_decomposerEEEEE10hipError_tT0_T1_T2_jT3_P12ihipStream_tbPNSt15iterator_traitsISG_E10value_typeEPNSM_ISH_E10value_typeEPSI_NS1_7vsmem_tEENKUlT_SG_SH_SI_E_clIS7_S7_SB_S7_EESF_SV_SG_SH_SI_EUlSV_E_NS1_11comp_targetILNS1_3genE2ELNS1_11target_archE906ELNS1_3gpuE6ELNS1_3repE0EEENS1_48merge_mergepath_partition_config_static_selectorELNS0_4arch9wavefront6targetE1EEEvSH_.num_agpr, 0
	.set _ZN7rocprim17ROCPRIM_400000_NS6detail17trampoline_kernelINS0_14default_configENS1_38merge_sort_block_merge_config_selectorIllEEZZNS1_27merge_sort_block_merge_implIS3_PlN6thrust23THRUST_200600_302600_NS10device_ptrIlEEjNS1_19radix_merge_compareILb0ELb1ElNS0_19identity_decomposerEEEEE10hipError_tT0_T1_T2_jT3_P12ihipStream_tbPNSt15iterator_traitsISG_E10value_typeEPNSM_ISH_E10value_typeEPSI_NS1_7vsmem_tEENKUlT_SG_SH_SI_E_clIS7_S7_SB_S7_EESF_SV_SG_SH_SI_EUlSV_E_NS1_11comp_targetILNS1_3genE2ELNS1_11target_archE906ELNS1_3gpuE6ELNS1_3repE0EEENS1_48merge_mergepath_partition_config_static_selectorELNS0_4arch9wavefront6targetE1EEEvSH_.numbered_sgpr, 10
	.set _ZN7rocprim17ROCPRIM_400000_NS6detail17trampoline_kernelINS0_14default_configENS1_38merge_sort_block_merge_config_selectorIllEEZZNS1_27merge_sort_block_merge_implIS3_PlN6thrust23THRUST_200600_302600_NS10device_ptrIlEEjNS1_19radix_merge_compareILb0ELb1ElNS0_19identity_decomposerEEEEE10hipError_tT0_T1_T2_jT3_P12ihipStream_tbPNSt15iterator_traitsISG_E10value_typeEPNSM_ISH_E10value_typeEPSI_NS1_7vsmem_tEENKUlT_SG_SH_SI_E_clIS7_S7_SB_S7_EESF_SV_SG_SH_SI_EUlSV_E_NS1_11comp_targetILNS1_3genE2ELNS1_11target_archE906ELNS1_3gpuE6ELNS1_3repE0EEENS1_48merge_mergepath_partition_config_static_selectorELNS0_4arch9wavefront6targetE1EEEvSH_.num_named_barrier, 0
	.set _ZN7rocprim17ROCPRIM_400000_NS6detail17trampoline_kernelINS0_14default_configENS1_38merge_sort_block_merge_config_selectorIllEEZZNS1_27merge_sort_block_merge_implIS3_PlN6thrust23THRUST_200600_302600_NS10device_ptrIlEEjNS1_19radix_merge_compareILb0ELb1ElNS0_19identity_decomposerEEEEE10hipError_tT0_T1_T2_jT3_P12ihipStream_tbPNSt15iterator_traitsISG_E10value_typeEPNSM_ISH_E10value_typeEPSI_NS1_7vsmem_tEENKUlT_SG_SH_SI_E_clIS7_S7_SB_S7_EESF_SV_SG_SH_SI_EUlSV_E_NS1_11comp_targetILNS1_3genE2ELNS1_11target_archE906ELNS1_3gpuE6ELNS1_3repE0EEENS1_48merge_mergepath_partition_config_static_selectorELNS0_4arch9wavefront6targetE1EEEvSH_.private_seg_size, 0
	.set _ZN7rocprim17ROCPRIM_400000_NS6detail17trampoline_kernelINS0_14default_configENS1_38merge_sort_block_merge_config_selectorIllEEZZNS1_27merge_sort_block_merge_implIS3_PlN6thrust23THRUST_200600_302600_NS10device_ptrIlEEjNS1_19radix_merge_compareILb0ELb1ElNS0_19identity_decomposerEEEEE10hipError_tT0_T1_T2_jT3_P12ihipStream_tbPNSt15iterator_traitsISG_E10value_typeEPNSM_ISH_E10value_typeEPSI_NS1_7vsmem_tEENKUlT_SG_SH_SI_E_clIS7_S7_SB_S7_EESF_SV_SG_SH_SI_EUlSV_E_NS1_11comp_targetILNS1_3genE2ELNS1_11target_archE906ELNS1_3gpuE6ELNS1_3repE0EEENS1_48merge_mergepath_partition_config_static_selectorELNS0_4arch9wavefront6targetE1EEEvSH_.uses_vcc, 1
	.set _ZN7rocprim17ROCPRIM_400000_NS6detail17trampoline_kernelINS0_14default_configENS1_38merge_sort_block_merge_config_selectorIllEEZZNS1_27merge_sort_block_merge_implIS3_PlN6thrust23THRUST_200600_302600_NS10device_ptrIlEEjNS1_19radix_merge_compareILb0ELb1ElNS0_19identity_decomposerEEEEE10hipError_tT0_T1_T2_jT3_P12ihipStream_tbPNSt15iterator_traitsISG_E10value_typeEPNSM_ISH_E10value_typeEPSI_NS1_7vsmem_tEENKUlT_SG_SH_SI_E_clIS7_S7_SB_S7_EESF_SV_SG_SH_SI_EUlSV_E_NS1_11comp_targetILNS1_3genE2ELNS1_11target_archE906ELNS1_3gpuE6ELNS1_3repE0EEENS1_48merge_mergepath_partition_config_static_selectorELNS0_4arch9wavefront6targetE1EEEvSH_.uses_flat_scratch, 0
	.set _ZN7rocprim17ROCPRIM_400000_NS6detail17trampoline_kernelINS0_14default_configENS1_38merge_sort_block_merge_config_selectorIllEEZZNS1_27merge_sort_block_merge_implIS3_PlN6thrust23THRUST_200600_302600_NS10device_ptrIlEEjNS1_19radix_merge_compareILb0ELb1ElNS0_19identity_decomposerEEEEE10hipError_tT0_T1_T2_jT3_P12ihipStream_tbPNSt15iterator_traitsISG_E10value_typeEPNSM_ISH_E10value_typeEPSI_NS1_7vsmem_tEENKUlT_SG_SH_SI_E_clIS7_S7_SB_S7_EESF_SV_SG_SH_SI_EUlSV_E_NS1_11comp_targetILNS1_3genE2ELNS1_11target_archE906ELNS1_3gpuE6ELNS1_3repE0EEENS1_48merge_mergepath_partition_config_static_selectorELNS0_4arch9wavefront6targetE1EEEvSH_.has_dyn_sized_stack, 0
	.set _ZN7rocprim17ROCPRIM_400000_NS6detail17trampoline_kernelINS0_14default_configENS1_38merge_sort_block_merge_config_selectorIllEEZZNS1_27merge_sort_block_merge_implIS3_PlN6thrust23THRUST_200600_302600_NS10device_ptrIlEEjNS1_19radix_merge_compareILb0ELb1ElNS0_19identity_decomposerEEEEE10hipError_tT0_T1_T2_jT3_P12ihipStream_tbPNSt15iterator_traitsISG_E10value_typeEPNSM_ISH_E10value_typeEPSI_NS1_7vsmem_tEENKUlT_SG_SH_SI_E_clIS7_S7_SB_S7_EESF_SV_SG_SH_SI_EUlSV_E_NS1_11comp_targetILNS1_3genE2ELNS1_11target_archE906ELNS1_3gpuE6ELNS1_3repE0EEENS1_48merge_mergepath_partition_config_static_selectorELNS0_4arch9wavefront6targetE1EEEvSH_.has_recursion, 0
	.set _ZN7rocprim17ROCPRIM_400000_NS6detail17trampoline_kernelINS0_14default_configENS1_38merge_sort_block_merge_config_selectorIllEEZZNS1_27merge_sort_block_merge_implIS3_PlN6thrust23THRUST_200600_302600_NS10device_ptrIlEEjNS1_19radix_merge_compareILb0ELb1ElNS0_19identity_decomposerEEEEE10hipError_tT0_T1_T2_jT3_P12ihipStream_tbPNSt15iterator_traitsISG_E10value_typeEPNSM_ISH_E10value_typeEPSI_NS1_7vsmem_tEENKUlT_SG_SH_SI_E_clIS7_S7_SB_S7_EESF_SV_SG_SH_SI_EUlSV_E_NS1_11comp_targetILNS1_3genE2ELNS1_11target_archE906ELNS1_3gpuE6ELNS1_3repE0EEENS1_48merge_mergepath_partition_config_static_selectorELNS0_4arch9wavefront6targetE1EEEvSH_.has_indirect_call, 0
	.section	.AMDGPU.csdata,"",@progbits
; Kernel info:
; codeLenInByte = 380
; TotalNumSgprs: 14
; NumVgprs: 16
; ScratchSize: 0
; MemoryBound: 0
; FloatMode: 240
; IeeeMode: 1
; LDSByteSize: 0 bytes/workgroup (compile time only)
; SGPRBlocks: 1
; VGPRBlocks: 3
; NumSGPRsForWavesPerEU: 14
; NumVGPRsForWavesPerEU: 16
; Occupancy: 10
; WaveLimiterHint : 0
; COMPUTE_PGM_RSRC2:SCRATCH_EN: 0
; COMPUTE_PGM_RSRC2:USER_SGPR: 6
; COMPUTE_PGM_RSRC2:TRAP_HANDLER: 0
; COMPUTE_PGM_RSRC2:TGID_X_EN: 1
; COMPUTE_PGM_RSRC2:TGID_Y_EN: 0
; COMPUTE_PGM_RSRC2:TGID_Z_EN: 0
; COMPUTE_PGM_RSRC2:TIDIG_COMP_CNT: 0
	.section	.text._ZN7rocprim17ROCPRIM_400000_NS6detail17trampoline_kernelINS0_14default_configENS1_38merge_sort_block_merge_config_selectorIllEEZZNS1_27merge_sort_block_merge_implIS3_PlN6thrust23THRUST_200600_302600_NS10device_ptrIlEEjNS1_19radix_merge_compareILb0ELb1ElNS0_19identity_decomposerEEEEE10hipError_tT0_T1_T2_jT3_P12ihipStream_tbPNSt15iterator_traitsISG_E10value_typeEPNSM_ISH_E10value_typeEPSI_NS1_7vsmem_tEENKUlT_SG_SH_SI_E_clIS7_S7_SB_S7_EESF_SV_SG_SH_SI_EUlSV_E_NS1_11comp_targetILNS1_3genE9ELNS1_11target_archE1100ELNS1_3gpuE3ELNS1_3repE0EEENS1_48merge_mergepath_partition_config_static_selectorELNS0_4arch9wavefront6targetE1EEEvSH_,"axG",@progbits,_ZN7rocprim17ROCPRIM_400000_NS6detail17trampoline_kernelINS0_14default_configENS1_38merge_sort_block_merge_config_selectorIllEEZZNS1_27merge_sort_block_merge_implIS3_PlN6thrust23THRUST_200600_302600_NS10device_ptrIlEEjNS1_19radix_merge_compareILb0ELb1ElNS0_19identity_decomposerEEEEE10hipError_tT0_T1_T2_jT3_P12ihipStream_tbPNSt15iterator_traitsISG_E10value_typeEPNSM_ISH_E10value_typeEPSI_NS1_7vsmem_tEENKUlT_SG_SH_SI_E_clIS7_S7_SB_S7_EESF_SV_SG_SH_SI_EUlSV_E_NS1_11comp_targetILNS1_3genE9ELNS1_11target_archE1100ELNS1_3gpuE3ELNS1_3repE0EEENS1_48merge_mergepath_partition_config_static_selectorELNS0_4arch9wavefront6targetE1EEEvSH_,comdat
	.protected	_ZN7rocprim17ROCPRIM_400000_NS6detail17trampoline_kernelINS0_14default_configENS1_38merge_sort_block_merge_config_selectorIllEEZZNS1_27merge_sort_block_merge_implIS3_PlN6thrust23THRUST_200600_302600_NS10device_ptrIlEEjNS1_19radix_merge_compareILb0ELb1ElNS0_19identity_decomposerEEEEE10hipError_tT0_T1_T2_jT3_P12ihipStream_tbPNSt15iterator_traitsISG_E10value_typeEPNSM_ISH_E10value_typeEPSI_NS1_7vsmem_tEENKUlT_SG_SH_SI_E_clIS7_S7_SB_S7_EESF_SV_SG_SH_SI_EUlSV_E_NS1_11comp_targetILNS1_3genE9ELNS1_11target_archE1100ELNS1_3gpuE3ELNS1_3repE0EEENS1_48merge_mergepath_partition_config_static_selectorELNS0_4arch9wavefront6targetE1EEEvSH_ ; -- Begin function _ZN7rocprim17ROCPRIM_400000_NS6detail17trampoline_kernelINS0_14default_configENS1_38merge_sort_block_merge_config_selectorIllEEZZNS1_27merge_sort_block_merge_implIS3_PlN6thrust23THRUST_200600_302600_NS10device_ptrIlEEjNS1_19radix_merge_compareILb0ELb1ElNS0_19identity_decomposerEEEEE10hipError_tT0_T1_T2_jT3_P12ihipStream_tbPNSt15iterator_traitsISG_E10value_typeEPNSM_ISH_E10value_typeEPSI_NS1_7vsmem_tEENKUlT_SG_SH_SI_E_clIS7_S7_SB_S7_EESF_SV_SG_SH_SI_EUlSV_E_NS1_11comp_targetILNS1_3genE9ELNS1_11target_archE1100ELNS1_3gpuE3ELNS1_3repE0EEENS1_48merge_mergepath_partition_config_static_selectorELNS0_4arch9wavefront6targetE1EEEvSH_
	.globl	_ZN7rocprim17ROCPRIM_400000_NS6detail17trampoline_kernelINS0_14default_configENS1_38merge_sort_block_merge_config_selectorIllEEZZNS1_27merge_sort_block_merge_implIS3_PlN6thrust23THRUST_200600_302600_NS10device_ptrIlEEjNS1_19radix_merge_compareILb0ELb1ElNS0_19identity_decomposerEEEEE10hipError_tT0_T1_T2_jT3_P12ihipStream_tbPNSt15iterator_traitsISG_E10value_typeEPNSM_ISH_E10value_typeEPSI_NS1_7vsmem_tEENKUlT_SG_SH_SI_E_clIS7_S7_SB_S7_EESF_SV_SG_SH_SI_EUlSV_E_NS1_11comp_targetILNS1_3genE9ELNS1_11target_archE1100ELNS1_3gpuE3ELNS1_3repE0EEENS1_48merge_mergepath_partition_config_static_selectorELNS0_4arch9wavefront6targetE1EEEvSH_
	.p2align	8
	.type	_ZN7rocprim17ROCPRIM_400000_NS6detail17trampoline_kernelINS0_14default_configENS1_38merge_sort_block_merge_config_selectorIllEEZZNS1_27merge_sort_block_merge_implIS3_PlN6thrust23THRUST_200600_302600_NS10device_ptrIlEEjNS1_19radix_merge_compareILb0ELb1ElNS0_19identity_decomposerEEEEE10hipError_tT0_T1_T2_jT3_P12ihipStream_tbPNSt15iterator_traitsISG_E10value_typeEPNSM_ISH_E10value_typeEPSI_NS1_7vsmem_tEENKUlT_SG_SH_SI_E_clIS7_S7_SB_S7_EESF_SV_SG_SH_SI_EUlSV_E_NS1_11comp_targetILNS1_3genE9ELNS1_11target_archE1100ELNS1_3gpuE3ELNS1_3repE0EEENS1_48merge_mergepath_partition_config_static_selectorELNS0_4arch9wavefront6targetE1EEEvSH_,@function
_ZN7rocprim17ROCPRIM_400000_NS6detail17trampoline_kernelINS0_14default_configENS1_38merge_sort_block_merge_config_selectorIllEEZZNS1_27merge_sort_block_merge_implIS3_PlN6thrust23THRUST_200600_302600_NS10device_ptrIlEEjNS1_19radix_merge_compareILb0ELb1ElNS0_19identity_decomposerEEEEE10hipError_tT0_T1_T2_jT3_P12ihipStream_tbPNSt15iterator_traitsISG_E10value_typeEPNSM_ISH_E10value_typeEPSI_NS1_7vsmem_tEENKUlT_SG_SH_SI_E_clIS7_S7_SB_S7_EESF_SV_SG_SH_SI_EUlSV_E_NS1_11comp_targetILNS1_3genE9ELNS1_11target_archE1100ELNS1_3gpuE3ELNS1_3repE0EEENS1_48merge_mergepath_partition_config_static_selectorELNS0_4arch9wavefront6targetE1EEEvSH_: ; @_ZN7rocprim17ROCPRIM_400000_NS6detail17trampoline_kernelINS0_14default_configENS1_38merge_sort_block_merge_config_selectorIllEEZZNS1_27merge_sort_block_merge_implIS3_PlN6thrust23THRUST_200600_302600_NS10device_ptrIlEEjNS1_19radix_merge_compareILb0ELb1ElNS0_19identity_decomposerEEEEE10hipError_tT0_T1_T2_jT3_P12ihipStream_tbPNSt15iterator_traitsISG_E10value_typeEPNSM_ISH_E10value_typeEPSI_NS1_7vsmem_tEENKUlT_SG_SH_SI_E_clIS7_S7_SB_S7_EESF_SV_SG_SH_SI_EUlSV_E_NS1_11comp_targetILNS1_3genE9ELNS1_11target_archE1100ELNS1_3gpuE3ELNS1_3repE0EEENS1_48merge_mergepath_partition_config_static_selectorELNS0_4arch9wavefront6targetE1EEEvSH_
; %bb.0:
	.section	.rodata,"a",@progbits
	.p2align	6, 0x0
	.amdhsa_kernel _ZN7rocprim17ROCPRIM_400000_NS6detail17trampoline_kernelINS0_14default_configENS1_38merge_sort_block_merge_config_selectorIllEEZZNS1_27merge_sort_block_merge_implIS3_PlN6thrust23THRUST_200600_302600_NS10device_ptrIlEEjNS1_19radix_merge_compareILb0ELb1ElNS0_19identity_decomposerEEEEE10hipError_tT0_T1_T2_jT3_P12ihipStream_tbPNSt15iterator_traitsISG_E10value_typeEPNSM_ISH_E10value_typeEPSI_NS1_7vsmem_tEENKUlT_SG_SH_SI_E_clIS7_S7_SB_S7_EESF_SV_SG_SH_SI_EUlSV_E_NS1_11comp_targetILNS1_3genE9ELNS1_11target_archE1100ELNS1_3gpuE3ELNS1_3repE0EEENS1_48merge_mergepath_partition_config_static_selectorELNS0_4arch9wavefront6targetE1EEEvSH_
		.amdhsa_group_segment_fixed_size 0
		.amdhsa_private_segment_fixed_size 0
		.amdhsa_kernarg_size 40
		.amdhsa_user_sgpr_count 6
		.amdhsa_user_sgpr_private_segment_buffer 1
		.amdhsa_user_sgpr_dispatch_ptr 0
		.amdhsa_user_sgpr_queue_ptr 0
		.amdhsa_user_sgpr_kernarg_segment_ptr 1
		.amdhsa_user_sgpr_dispatch_id 0
		.amdhsa_user_sgpr_flat_scratch_init 0
		.amdhsa_user_sgpr_private_segment_size 0
		.amdhsa_uses_dynamic_stack 0
		.amdhsa_system_sgpr_private_segment_wavefront_offset 0
		.amdhsa_system_sgpr_workgroup_id_x 1
		.amdhsa_system_sgpr_workgroup_id_y 0
		.amdhsa_system_sgpr_workgroup_id_z 0
		.amdhsa_system_sgpr_workgroup_info 0
		.amdhsa_system_vgpr_workitem_id 0
		.amdhsa_next_free_vgpr 1
		.amdhsa_next_free_sgpr 0
		.amdhsa_reserve_vcc 0
		.amdhsa_reserve_flat_scratch 0
		.amdhsa_float_round_mode_32 0
		.amdhsa_float_round_mode_16_64 0
		.amdhsa_float_denorm_mode_32 3
		.amdhsa_float_denorm_mode_16_64 3
		.amdhsa_dx10_clamp 1
		.amdhsa_ieee_mode 1
		.amdhsa_fp16_overflow 0
		.amdhsa_exception_fp_ieee_invalid_op 0
		.amdhsa_exception_fp_denorm_src 0
		.amdhsa_exception_fp_ieee_div_zero 0
		.amdhsa_exception_fp_ieee_overflow 0
		.amdhsa_exception_fp_ieee_underflow 0
		.amdhsa_exception_fp_ieee_inexact 0
		.amdhsa_exception_int_div_zero 0
	.end_amdhsa_kernel
	.section	.text._ZN7rocprim17ROCPRIM_400000_NS6detail17trampoline_kernelINS0_14default_configENS1_38merge_sort_block_merge_config_selectorIllEEZZNS1_27merge_sort_block_merge_implIS3_PlN6thrust23THRUST_200600_302600_NS10device_ptrIlEEjNS1_19radix_merge_compareILb0ELb1ElNS0_19identity_decomposerEEEEE10hipError_tT0_T1_T2_jT3_P12ihipStream_tbPNSt15iterator_traitsISG_E10value_typeEPNSM_ISH_E10value_typeEPSI_NS1_7vsmem_tEENKUlT_SG_SH_SI_E_clIS7_S7_SB_S7_EESF_SV_SG_SH_SI_EUlSV_E_NS1_11comp_targetILNS1_3genE9ELNS1_11target_archE1100ELNS1_3gpuE3ELNS1_3repE0EEENS1_48merge_mergepath_partition_config_static_selectorELNS0_4arch9wavefront6targetE1EEEvSH_,"axG",@progbits,_ZN7rocprim17ROCPRIM_400000_NS6detail17trampoline_kernelINS0_14default_configENS1_38merge_sort_block_merge_config_selectorIllEEZZNS1_27merge_sort_block_merge_implIS3_PlN6thrust23THRUST_200600_302600_NS10device_ptrIlEEjNS1_19radix_merge_compareILb0ELb1ElNS0_19identity_decomposerEEEEE10hipError_tT0_T1_T2_jT3_P12ihipStream_tbPNSt15iterator_traitsISG_E10value_typeEPNSM_ISH_E10value_typeEPSI_NS1_7vsmem_tEENKUlT_SG_SH_SI_E_clIS7_S7_SB_S7_EESF_SV_SG_SH_SI_EUlSV_E_NS1_11comp_targetILNS1_3genE9ELNS1_11target_archE1100ELNS1_3gpuE3ELNS1_3repE0EEENS1_48merge_mergepath_partition_config_static_selectorELNS0_4arch9wavefront6targetE1EEEvSH_,comdat
.Lfunc_end1096:
	.size	_ZN7rocprim17ROCPRIM_400000_NS6detail17trampoline_kernelINS0_14default_configENS1_38merge_sort_block_merge_config_selectorIllEEZZNS1_27merge_sort_block_merge_implIS3_PlN6thrust23THRUST_200600_302600_NS10device_ptrIlEEjNS1_19radix_merge_compareILb0ELb1ElNS0_19identity_decomposerEEEEE10hipError_tT0_T1_T2_jT3_P12ihipStream_tbPNSt15iterator_traitsISG_E10value_typeEPNSM_ISH_E10value_typeEPSI_NS1_7vsmem_tEENKUlT_SG_SH_SI_E_clIS7_S7_SB_S7_EESF_SV_SG_SH_SI_EUlSV_E_NS1_11comp_targetILNS1_3genE9ELNS1_11target_archE1100ELNS1_3gpuE3ELNS1_3repE0EEENS1_48merge_mergepath_partition_config_static_selectorELNS0_4arch9wavefront6targetE1EEEvSH_, .Lfunc_end1096-_ZN7rocprim17ROCPRIM_400000_NS6detail17trampoline_kernelINS0_14default_configENS1_38merge_sort_block_merge_config_selectorIllEEZZNS1_27merge_sort_block_merge_implIS3_PlN6thrust23THRUST_200600_302600_NS10device_ptrIlEEjNS1_19radix_merge_compareILb0ELb1ElNS0_19identity_decomposerEEEEE10hipError_tT0_T1_T2_jT3_P12ihipStream_tbPNSt15iterator_traitsISG_E10value_typeEPNSM_ISH_E10value_typeEPSI_NS1_7vsmem_tEENKUlT_SG_SH_SI_E_clIS7_S7_SB_S7_EESF_SV_SG_SH_SI_EUlSV_E_NS1_11comp_targetILNS1_3genE9ELNS1_11target_archE1100ELNS1_3gpuE3ELNS1_3repE0EEENS1_48merge_mergepath_partition_config_static_selectorELNS0_4arch9wavefront6targetE1EEEvSH_
                                        ; -- End function
	.set _ZN7rocprim17ROCPRIM_400000_NS6detail17trampoline_kernelINS0_14default_configENS1_38merge_sort_block_merge_config_selectorIllEEZZNS1_27merge_sort_block_merge_implIS3_PlN6thrust23THRUST_200600_302600_NS10device_ptrIlEEjNS1_19radix_merge_compareILb0ELb1ElNS0_19identity_decomposerEEEEE10hipError_tT0_T1_T2_jT3_P12ihipStream_tbPNSt15iterator_traitsISG_E10value_typeEPNSM_ISH_E10value_typeEPSI_NS1_7vsmem_tEENKUlT_SG_SH_SI_E_clIS7_S7_SB_S7_EESF_SV_SG_SH_SI_EUlSV_E_NS1_11comp_targetILNS1_3genE9ELNS1_11target_archE1100ELNS1_3gpuE3ELNS1_3repE0EEENS1_48merge_mergepath_partition_config_static_selectorELNS0_4arch9wavefront6targetE1EEEvSH_.num_vgpr, 0
	.set _ZN7rocprim17ROCPRIM_400000_NS6detail17trampoline_kernelINS0_14default_configENS1_38merge_sort_block_merge_config_selectorIllEEZZNS1_27merge_sort_block_merge_implIS3_PlN6thrust23THRUST_200600_302600_NS10device_ptrIlEEjNS1_19radix_merge_compareILb0ELb1ElNS0_19identity_decomposerEEEEE10hipError_tT0_T1_T2_jT3_P12ihipStream_tbPNSt15iterator_traitsISG_E10value_typeEPNSM_ISH_E10value_typeEPSI_NS1_7vsmem_tEENKUlT_SG_SH_SI_E_clIS7_S7_SB_S7_EESF_SV_SG_SH_SI_EUlSV_E_NS1_11comp_targetILNS1_3genE9ELNS1_11target_archE1100ELNS1_3gpuE3ELNS1_3repE0EEENS1_48merge_mergepath_partition_config_static_selectorELNS0_4arch9wavefront6targetE1EEEvSH_.num_agpr, 0
	.set _ZN7rocprim17ROCPRIM_400000_NS6detail17trampoline_kernelINS0_14default_configENS1_38merge_sort_block_merge_config_selectorIllEEZZNS1_27merge_sort_block_merge_implIS3_PlN6thrust23THRUST_200600_302600_NS10device_ptrIlEEjNS1_19radix_merge_compareILb0ELb1ElNS0_19identity_decomposerEEEEE10hipError_tT0_T1_T2_jT3_P12ihipStream_tbPNSt15iterator_traitsISG_E10value_typeEPNSM_ISH_E10value_typeEPSI_NS1_7vsmem_tEENKUlT_SG_SH_SI_E_clIS7_S7_SB_S7_EESF_SV_SG_SH_SI_EUlSV_E_NS1_11comp_targetILNS1_3genE9ELNS1_11target_archE1100ELNS1_3gpuE3ELNS1_3repE0EEENS1_48merge_mergepath_partition_config_static_selectorELNS0_4arch9wavefront6targetE1EEEvSH_.numbered_sgpr, 0
	.set _ZN7rocprim17ROCPRIM_400000_NS6detail17trampoline_kernelINS0_14default_configENS1_38merge_sort_block_merge_config_selectorIllEEZZNS1_27merge_sort_block_merge_implIS3_PlN6thrust23THRUST_200600_302600_NS10device_ptrIlEEjNS1_19radix_merge_compareILb0ELb1ElNS0_19identity_decomposerEEEEE10hipError_tT0_T1_T2_jT3_P12ihipStream_tbPNSt15iterator_traitsISG_E10value_typeEPNSM_ISH_E10value_typeEPSI_NS1_7vsmem_tEENKUlT_SG_SH_SI_E_clIS7_S7_SB_S7_EESF_SV_SG_SH_SI_EUlSV_E_NS1_11comp_targetILNS1_3genE9ELNS1_11target_archE1100ELNS1_3gpuE3ELNS1_3repE0EEENS1_48merge_mergepath_partition_config_static_selectorELNS0_4arch9wavefront6targetE1EEEvSH_.num_named_barrier, 0
	.set _ZN7rocprim17ROCPRIM_400000_NS6detail17trampoline_kernelINS0_14default_configENS1_38merge_sort_block_merge_config_selectorIllEEZZNS1_27merge_sort_block_merge_implIS3_PlN6thrust23THRUST_200600_302600_NS10device_ptrIlEEjNS1_19radix_merge_compareILb0ELb1ElNS0_19identity_decomposerEEEEE10hipError_tT0_T1_T2_jT3_P12ihipStream_tbPNSt15iterator_traitsISG_E10value_typeEPNSM_ISH_E10value_typeEPSI_NS1_7vsmem_tEENKUlT_SG_SH_SI_E_clIS7_S7_SB_S7_EESF_SV_SG_SH_SI_EUlSV_E_NS1_11comp_targetILNS1_3genE9ELNS1_11target_archE1100ELNS1_3gpuE3ELNS1_3repE0EEENS1_48merge_mergepath_partition_config_static_selectorELNS0_4arch9wavefront6targetE1EEEvSH_.private_seg_size, 0
	.set _ZN7rocprim17ROCPRIM_400000_NS6detail17trampoline_kernelINS0_14default_configENS1_38merge_sort_block_merge_config_selectorIllEEZZNS1_27merge_sort_block_merge_implIS3_PlN6thrust23THRUST_200600_302600_NS10device_ptrIlEEjNS1_19radix_merge_compareILb0ELb1ElNS0_19identity_decomposerEEEEE10hipError_tT0_T1_T2_jT3_P12ihipStream_tbPNSt15iterator_traitsISG_E10value_typeEPNSM_ISH_E10value_typeEPSI_NS1_7vsmem_tEENKUlT_SG_SH_SI_E_clIS7_S7_SB_S7_EESF_SV_SG_SH_SI_EUlSV_E_NS1_11comp_targetILNS1_3genE9ELNS1_11target_archE1100ELNS1_3gpuE3ELNS1_3repE0EEENS1_48merge_mergepath_partition_config_static_selectorELNS0_4arch9wavefront6targetE1EEEvSH_.uses_vcc, 0
	.set _ZN7rocprim17ROCPRIM_400000_NS6detail17trampoline_kernelINS0_14default_configENS1_38merge_sort_block_merge_config_selectorIllEEZZNS1_27merge_sort_block_merge_implIS3_PlN6thrust23THRUST_200600_302600_NS10device_ptrIlEEjNS1_19radix_merge_compareILb0ELb1ElNS0_19identity_decomposerEEEEE10hipError_tT0_T1_T2_jT3_P12ihipStream_tbPNSt15iterator_traitsISG_E10value_typeEPNSM_ISH_E10value_typeEPSI_NS1_7vsmem_tEENKUlT_SG_SH_SI_E_clIS7_S7_SB_S7_EESF_SV_SG_SH_SI_EUlSV_E_NS1_11comp_targetILNS1_3genE9ELNS1_11target_archE1100ELNS1_3gpuE3ELNS1_3repE0EEENS1_48merge_mergepath_partition_config_static_selectorELNS0_4arch9wavefront6targetE1EEEvSH_.uses_flat_scratch, 0
	.set _ZN7rocprim17ROCPRIM_400000_NS6detail17trampoline_kernelINS0_14default_configENS1_38merge_sort_block_merge_config_selectorIllEEZZNS1_27merge_sort_block_merge_implIS3_PlN6thrust23THRUST_200600_302600_NS10device_ptrIlEEjNS1_19radix_merge_compareILb0ELb1ElNS0_19identity_decomposerEEEEE10hipError_tT0_T1_T2_jT3_P12ihipStream_tbPNSt15iterator_traitsISG_E10value_typeEPNSM_ISH_E10value_typeEPSI_NS1_7vsmem_tEENKUlT_SG_SH_SI_E_clIS7_S7_SB_S7_EESF_SV_SG_SH_SI_EUlSV_E_NS1_11comp_targetILNS1_3genE9ELNS1_11target_archE1100ELNS1_3gpuE3ELNS1_3repE0EEENS1_48merge_mergepath_partition_config_static_selectorELNS0_4arch9wavefront6targetE1EEEvSH_.has_dyn_sized_stack, 0
	.set _ZN7rocprim17ROCPRIM_400000_NS6detail17trampoline_kernelINS0_14default_configENS1_38merge_sort_block_merge_config_selectorIllEEZZNS1_27merge_sort_block_merge_implIS3_PlN6thrust23THRUST_200600_302600_NS10device_ptrIlEEjNS1_19radix_merge_compareILb0ELb1ElNS0_19identity_decomposerEEEEE10hipError_tT0_T1_T2_jT3_P12ihipStream_tbPNSt15iterator_traitsISG_E10value_typeEPNSM_ISH_E10value_typeEPSI_NS1_7vsmem_tEENKUlT_SG_SH_SI_E_clIS7_S7_SB_S7_EESF_SV_SG_SH_SI_EUlSV_E_NS1_11comp_targetILNS1_3genE9ELNS1_11target_archE1100ELNS1_3gpuE3ELNS1_3repE0EEENS1_48merge_mergepath_partition_config_static_selectorELNS0_4arch9wavefront6targetE1EEEvSH_.has_recursion, 0
	.set _ZN7rocprim17ROCPRIM_400000_NS6detail17trampoline_kernelINS0_14default_configENS1_38merge_sort_block_merge_config_selectorIllEEZZNS1_27merge_sort_block_merge_implIS3_PlN6thrust23THRUST_200600_302600_NS10device_ptrIlEEjNS1_19radix_merge_compareILb0ELb1ElNS0_19identity_decomposerEEEEE10hipError_tT0_T1_T2_jT3_P12ihipStream_tbPNSt15iterator_traitsISG_E10value_typeEPNSM_ISH_E10value_typeEPSI_NS1_7vsmem_tEENKUlT_SG_SH_SI_E_clIS7_S7_SB_S7_EESF_SV_SG_SH_SI_EUlSV_E_NS1_11comp_targetILNS1_3genE9ELNS1_11target_archE1100ELNS1_3gpuE3ELNS1_3repE0EEENS1_48merge_mergepath_partition_config_static_selectorELNS0_4arch9wavefront6targetE1EEEvSH_.has_indirect_call, 0
	.section	.AMDGPU.csdata,"",@progbits
; Kernel info:
; codeLenInByte = 0
; TotalNumSgprs: 4
; NumVgprs: 0
; ScratchSize: 0
; MemoryBound: 0
; FloatMode: 240
; IeeeMode: 1
; LDSByteSize: 0 bytes/workgroup (compile time only)
; SGPRBlocks: 0
; VGPRBlocks: 0
; NumSGPRsForWavesPerEU: 4
; NumVGPRsForWavesPerEU: 1
; Occupancy: 10
; WaveLimiterHint : 0
; COMPUTE_PGM_RSRC2:SCRATCH_EN: 0
; COMPUTE_PGM_RSRC2:USER_SGPR: 6
; COMPUTE_PGM_RSRC2:TRAP_HANDLER: 0
; COMPUTE_PGM_RSRC2:TGID_X_EN: 1
; COMPUTE_PGM_RSRC2:TGID_Y_EN: 0
; COMPUTE_PGM_RSRC2:TGID_Z_EN: 0
; COMPUTE_PGM_RSRC2:TIDIG_COMP_CNT: 0
	.section	.text._ZN7rocprim17ROCPRIM_400000_NS6detail17trampoline_kernelINS0_14default_configENS1_38merge_sort_block_merge_config_selectorIllEEZZNS1_27merge_sort_block_merge_implIS3_PlN6thrust23THRUST_200600_302600_NS10device_ptrIlEEjNS1_19radix_merge_compareILb0ELb1ElNS0_19identity_decomposerEEEEE10hipError_tT0_T1_T2_jT3_P12ihipStream_tbPNSt15iterator_traitsISG_E10value_typeEPNSM_ISH_E10value_typeEPSI_NS1_7vsmem_tEENKUlT_SG_SH_SI_E_clIS7_S7_SB_S7_EESF_SV_SG_SH_SI_EUlSV_E_NS1_11comp_targetILNS1_3genE8ELNS1_11target_archE1030ELNS1_3gpuE2ELNS1_3repE0EEENS1_48merge_mergepath_partition_config_static_selectorELNS0_4arch9wavefront6targetE1EEEvSH_,"axG",@progbits,_ZN7rocprim17ROCPRIM_400000_NS6detail17trampoline_kernelINS0_14default_configENS1_38merge_sort_block_merge_config_selectorIllEEZZNS1_27merge_sort_block_merge_implIS3_PlN6thrust23THRUST_200600_302600_NS10device_ptrIlEEjNS1_19radix_merge_compareILb0ELb1ElNS0_19identity_decomposerEEEEE10hipError_tT0_T1_T2_jT3_P12ihipStream_tbPNSt15iterator_traitsISG_E10value_typeEPNSM_ISH_E10value_typeEPSI_NS1_7vsmem_tEENKUlT_SG_SH_SI_E_clIS7_S7_SB_S7_EESF_SV_SG_SH_SI_EUlSV_E_NS1_11comp_targetILNS1_3genE8ELNS1_11target_archE1030ELNS1_3gpuE2ELNS1_3repE0EEENS1_48merge_mergepath_partition_config_static_selectorELNS0_4arch9wavefront6targetE1EEEvSH_,comdat
	.protected	_ZN7rocprim17ROCPRIM_400000_NS6detail17trampoline_kernelINS0_14default_configENS1_38merge_sort_block_merge_config_selectorIllEEZZNS1_27merge_sort_block_merge_implIS3_PlN6thrust23THRUST_200600_302600_NS10device_ptrIlEEjNS1_19radix_merge_compareILb0ELb1ElNS0_19identity_decomposerEEEEE10hipError_tT0_T1_T2_jT3_P12ihipStream_tbPNSt15iterator_traitsISG_E10value_typeEPNSM_ISH_E10value_typeEPSI_NS1_7vsmem_tEENKUlT_SG_SH_SI_E_clIS7_S7_SB_S7_EESF_SV_SG_SH_SI_EUlSV_E_NS1_11comp_targetILNS1_3genE8ELNS1_11target_archE1030ELNS1_3gpuE2ELNS1_3repE0EEENS1_48merge_mergepath_partition_config_static_selectorELNS0_4arch9wavefront6targetE1EEEvSH_ ; -- Begin function _ZN7rocprim17ROCPRIM_400000_NS6detail17trampoline_kernelINS0_14default_configENS1_38merge_sort_block_merge_config_selectorIllEEZZNS1_27merge_sort_block_merge_implIS3_PlN6thrust23THRUST_200600_302600_NS10device_ptrIlEEjNS1_19radix_merge_compareILb0ELb1ElNS0_19identity_decomposerEEEEE10hipError_tT0_T1_T2_jT3_P12ihipStream_tbPNSt15iterator_traitsISG_E10value_typeEPNSM_ISH_E10value_typeEPSI_NS1_7vsmem_tEENKUlT_SG_SH_SI_E_clIS7_S7_SB_S7_EESF_SV_SG_SH_SI_EUlSV_E_NS1_11comp_targetILNS1_3genE8ELNS1_11target_archE1030ELNS1_3gpuE2ELNS1_3repE0EEENS1_48merge_mergepath_partition_config_static_selectorELNS0_4arch9wavefront6targetE1EEEvSH_
	.globl	_ZN7rocprim17ROCPRIM_400000_NS6detail17trampoline_kernelINS0_14default_configENS1_38merge_sort_block_merge_config_selectorIllEEZZNS1_27merge_sort_block_merge_implIS3_PlN6thrust23THRUST_200600_302600_NS10device_ptrIlEEjNS1_19radix_merge_compareILb0ELb1ElNS0_19identity_decomposerEEEEE10hipError_tT0_T1_T2_jT3_P12ihipStream_tbPNSt15iterator_traitsISG_E10value_typeEPNSM_ISH_E10value_typeEPSI_NS1_7vsmem_tEENKUlT_SG_SH_SI_E_clIS7_S7_SB_S7_EESF_SV_SG_SH_SI_EUlSV_E_NS1_11comp_targetILNS1_3genE8ELNS1_11target_archE1030ELNS1_3gpuE2ELNS1_3repE0EEENS1_48merge_mergepath_partition_config_static_selectorELNS0_4arch9wavefront6targetE1EEEvSH_
	.p2align	8
	.type	_ZN7rocprim17ROCPRIM_400000_NS6detail17trampoline_kernelINS0_14default_configENS1_38merge_sort_block_merge_config_selectorIllEEZZNS1_27merge_sort_block_merge_implIS3_PlN6thrust23THRUST_200600_302600_NS10device_ptrIlEEjNS1_19radix_merge_compareILb0ELb1ElNS0_19identity_decomposerEEEEE10hipError_tT0_T1_T2_jT3_P12ihipStream_tbPNSt15iterator_traitsISG_E10value_typeEPNSM_ISH_E10value_typeEPSI_NS1_7vsmem_tEENKUlT_SG_SH_SI_E_clIS7_S7_SB_S7_EESF_SV_SG_SH_SI_EUlSV_E_NS1_11comp_targetILNS1_3genE8ELNS1_11target_archE1030ELNS1_3gpuE2ELNS1_3repE0EEENS1_48merge_mergepath_partition_config_static_selectorELNS0_4arch9wavefront6targetE1EEEvSH_,@function
_ZN7rocprim17ROCPRIM_400000_NS6detail17trampoline_kernelINS0_14default_configENS1_38merge_sort_block_merge_config_selectorIllEEZZNS1_27merge_sort_block_merge_implIS3_PlN6thrust23THRUST_200600_302600_NS10device_ptrIlEEjNS1_19radix_merge_compareILb0ELb1ElNS0_19identity_decomposerEEEEE10hipError_tT0_T1_T2_jT3_P12ihipStream_tbPNSt15iterator_traitsISG_E10value_typeEPNSM_ISH_E10value_typeEPSI_NS1_7vsmem_tEENKUlT_SG_SH_SI_E_clIS7_S7_SB_S7_EESF_SV_SG_SH_SI_EUlSV_E_NS1_11comp_targetILNS1_3genE8ELNS1_11target_archE1030ELNS1_3gpuE2ELNS1_3repE0EEENS1_48merge_mergepath_partition_config_static_selectorELNS0_4arch9wavefront6targetE1EEEvSH_: ; @_ZN7rocprim17ROCPRIM_400000_NS6detail17trampoline_kernelINS0_14default_configENS1_38merge_sort_block_merge_config_selectorIllEEZZNS1_27merge_sort_block_merge_implIS3_PlN6thrust23THRUST_200600_302600_NS10device_ptrIlEEjNS1_19radix_merge_compareILb0ELb1ElNS0_19identity_decomposerEEEEE10hipError_tT0_T1_T2_jT3_P12ihipStream_tbPNSt15iterator_traitsISG_E10value_typeEPNSM_ISH_E10value_typeEPSI_NS1_7vsmem_tEENKUlT_SG_SH_SI_E_clIS7_S7_SB_S7_EESF_SV_SG_SH_SI_EUlSV_E_NS1_11comp_targetILNS1_3genE8ELNS1_11target_archE1030ELNS1_3gpuE2ELNS1_3repE0EEENS1_48merge_mergepath_partition_config_static_selectorELNS0_4arch9wavefront6targetE1EEEvSH_
; %bb.0:
	.section	.rodata,"a",@progbits
	.p2align	6, 0x0
	.amdhsa_kernel _ZN7rocprim17ROCPRIM_400000_NS6detail17trampoline_kernelINS0_14default_configENS1_38merge_sort_block_merge_config_selectorIllEEZZNS1_27merge_sort_block_merge_implIS3_PlN6thrust23THRUST_200600_302600_NS10device_ptrIlEEjNS1_19radix_merge_compareILb0ELb1ElNS0_19identity_decomposerEEEEE10hipError_tT0_T1_T2_jT3_P12ihipStream_tbPNSt15iterator_traitsISG_E10value_typeEPNSM_ISH_E10value_typeEPSI_NS1_7vsmem_tEENKUlT_SG_SH_SI_E_clIS7_S7_SB_S7_EESF_SV_SG_SH_SI_EUlSV_E_NS1_11comp_targetILNS1_3genE8ELNS1_11target_archE1030ELNS1_3gpuE2ELNS1_3repE0EEENS1_48merge_mergepath_partition_config_static_selectorELNS0_4arch9wavefront6targetE1EEEvSH_
		.amdhsa_group_segment_fixed_size 0
		.amdhsa_private_segment_fixed_size 0
		.amdhsa_kernarg_size 40
		.amdhsa_user_sgpr_count 6
		.amdhsa_user_sgpr_private_segment_buffer 1
		.amdhsa_user_sgpr_dispatch_ptr 0
		.amdhsa_user_sgpr_queue_ptr 0
		.amdhsa_user_sgpr_kernarg_segment_ptr 1
		.amdhsa_user_sgpr_dispatch_id 0
		.amdhsa_user_sgpr_flat_scratch_init 0
		.amdhsa_user_sgpr_private_segment_size 0
		.amdhsa_uses_dynamic_stack 0
		.amdhsa_system_sgpr_private_segment_wavefront_offset 0
		.amdhsa_system_sgpr_workgroup_id_x 1
		.amdhsa_system_sgpr_workgroup_id_y 0
		.amdhsa_system_sgpr_workgroup_id_z 0
		.amdhsa_system_sgpr_workgroup_info 0
		.amdhsa_system_vgpr_workitem_id 0
		.amdhsa_next_free_vgpr 1
		.amdhsa_next_free_sgpr 0
		.amdhsa_reserve_vcc 0
		.amdhsa_reserve_flat_scratch 0
		.amdhsa_float_round_mode_32 0
		.amdhsa_float_round_mode_16_64 0
		.amdhsa_float_denorm_mode_32 3
		.amdhsa_float_denorm_mode_16_64 3
		.amdhsa_dx10_clamp 1
		.amdhsa_ieee_mode 1
		.amdhsa_fp16_overflow 0
		.amdhsa_exception_fp_ieee_invalid_op 0
		.amdhsa_exception_fp_denorm_src 0
		.amdhsa_exception_fp_ieee_div_zero 0
		.amdhsa_exception_fp_ieee_overflow 0
		.amdhsa_exception_fp_ieee_underflow 0
		.amdhsa_exception_fp_ieee_inexact 0
		.amdhsa_exception_int_div_zero 0
	.end_amdhsa_kernel
	.section	.text._ZN7rocprim17ROCPRIM_400000_NS6detail17trampoline_kernelINS0_14default_configENS1_38merge_sort_block_merge_config_selectorIllEEZZNS1_27merge_sort_block_merge_implIS3_PlN6thrust23THRUST_200600_302600_NS10device_ptrIlEEjNS1_19radix_merge_compareILb0ELb1ElNS0_19identity_decomposerEEEEE10hipError_tT0_T1_T2_jT3_P12ihipStream_tbPNSt15iterator_traitsISG_E10value_typeEPNSM_ISH_E10value_typeEPSI_NS1_7vsmem_tEENKUlT_SG_SH_SI_E_clIS7_S7_SB_S7_EESF_SV_SG_SH_SI_EUlSV_E_NS1_11comp_targetILNS1_3genE8ELNS1_11target_archE1030ELNS1_3gpuE2ELNS1_3repE0EEENS1_48merge_mergepath_partition_config_static_selectorELNS0_4arch9wavefront6targetE1EEEvSH_,"axG",@progbits,_ZN7rocprim17ROCPRIM_400000_NS6detail17trampoline_kernelINS0_14default_configENS1_38merge_sort_block_merge_config_selectorIllEEZZNS1_27merge_sort_block_merge_implIS3_PlN6thrust23THRUST_200600_302600_NS10device_ptrIlEEjNS1_19radix_merge_compareILb0ELb1ElNS0_19identity_decomposerEEEEE10hipError_tT0_T1_T2_jT3_P12ihipStream_tbPNSt15iterator_traitsISG_E10value_typeEPNSM_ISH_E10value_typeEPSI_NS1_7vsmem_tEENKUlT_SG_SH_SI_E_clIS7_S7_SB_S7_EESF_SV_SG_SH_SI_EUlSV_E_NS1_11comp_targetILNS1_3genE8ELNS1_11target_archE1030ELNS1_3gpuE2ELNS1_3repE0EEENS1_48merge_mergepath_partition_config_static_selectorELNS0_4arch9wavefront6targetE1EEEvSH_,comdat
.Lfunc_end1097:
	.size	_ZN7rocprim17ROCPRIM_400000_NS6detail17trampoline_kernelINS0_14default_configENS1_38merge_sort_block_merge_config_selectorIllEEZZNS1_27merge_sort_block_merge_implIS3_PlN6thrust23THRUST_200600_302600_NS10device_ptrIlEEjNS1_19radix_merge_compareILb0ELb1ElNS0_19identity_decomposerEEEEE10hipError_tT0_T1_T2_jT3_P12ihipStream_tbPNSt15iterator_traitsISG_E10value_typeEPNSM_ISH_E10value_typeEPSI_NS1_7vsmem_tEENKUlT_SG_SH_SI_E_clIS7_S7_SB_S7_EESF_SV_SG_SH_SI_EUlSV_E_NS1_11comp_targetILNS1_3genE8ELNS1_11target_archE1030ELNS1_3gpuE2ELNS1_3repE0EEENS1_48merge_mergepath_partition_config_static_selectorELNS0_4arch9wavefront6targetE1EEEvSH_, .Lfunc_end1097-_ZN7rocprim17ROCPRIM_400000_NS6detail17trampoline_kernelINS0_14default_configENS1_38merge_sort_block_merge_config_selectorIllEEZZNS1_27merge_sort_block_merge_implIS3_PlN6thrust23THRUST_200600_302600_NS10device_ptrIlEEjNS1_19radix_merge_compareILb0ELb1ElNS0_19identity_decomposerEEEEE10hipError_tT0_T1_T2_jT3_P12ihipStream_tbPNSt15iterator_traitsISG_E10value_typeEPNSM_ISH_E10value_typeEPSI_NS1_7vsmem_tEENKUlT_SG_SH_SI_E_clIS7_S7_SB_S7_EESF_SV_SG_SH_SI_EUlSV_E_NS1_11comp_targetILNS1_3genE8ELNS1_11target_archE1030ELNS1_3gpuE2ELNS1_3repE0EEENS1_48merge_mergepath_partition_config_static_selectorELNS0_4arch9wavefront6targetE1EEEvSH_
                                        ; -- End function
	.set _ZN7rocprim17ROCPRIM_400000_NS6detail17trampoline_kernelINS0_14default_configENS1_38merge_sort_block_merge_config_selectorIllEEZZNS1_27merge_sort_block_merge_implIS3_PlN6thrust23THRUST_200600_302600_NS10device_ptrIlEEjNS1_19radix_merge_compareILb0ELb1ElNS0_19identity_decomposerEEEEE10hipError_tT0_T1_T2_jT3_P12ihipStream_tbPNSt15iterator_traitsISG_E10value_typeEPNSM_ISH_E10value_typeEPSI_NS1_7vsmem_tEENKUlT_SG_SH_SI_E_clIS7_S7_SB_S7_EESF_SV_SG_SH_SI_EUlSV_E_NS1_11comp_targetILNS1_3genE8ELNS1_11target_archE1030ELNS1_3gpuE2ELNS1_3repE0EEENS1_48merge_mergepath_partition_config_static_selectorELNS0_4arch9wavefront6targetE1EEEvSH_.num_vgpr, 0
	.set _ZN7rocprim17ROCPRIM_400000_NS6detail17trampoline_kernelINS0_14default_configENS1_38merge_sort_block_merge_config_selectorIllEEZZNS1_27merge_sort_block_merge_implIS3_PlN6thrust23THRUST_200600_302600_NS10device_ptrIlEEjNS1_19radix_merge_compareILb0ELb1ElNS0_19identity_decomposerEEEEE10hipError_tT0_T1_T2_jT3_P12ihipStream_tbPNSt15iterator_traitsISG_E10value_typeEPNSM_ISH_E10value_typeEPSI_NS1_7vsmem_tEENKUlT_SG_SH_SI_E_clIS7_S7_SB_S7_EESF_SV_SG_SH_SI_EUlSV_E_NS1_11comp_targetILNS1_3genE8ELNS1_11target_archE1030ELNS1_3gpuE2ELNS1_3repE0EEENS1_48merge_mergepath_partition_config_static_selectorELNS0_4arch9wavefront6targetE1EEEvSH_.num_agpr, 0
	.set _ZN7rocprim17ROCPRIM_400000_NS6detail17trampoline_kernelINS0_14default_configENS1_38merge_sort_block_merge_config_selectorIllEEZZNS1_27merge_sort_block_merge_implIS3_PlN6thrust23THRUST_200600_302600_NS10device_ptrIlEEjNS1_19radix_merge_compareILb0ELb1ElNS0_19identity_decomposerEEEEE10hipError_tT0_T1_T2_jT3_P12ihipStream_tbPNSt15iterator_traitsISG_E10value_typeEPNSM_ISH_E10value_typeEPSI_NS1_7vsmem_tEENKUlT_SG_SH_SI_E_clIS7_S7_SB_S7_EESF_SV_SG_SH_SI_EUlSV_E_NS1_11comp_targetILNS1_3genE8ELNS1_11target_archE1030ELNS1_3gpuE2ELNS1_3repE0EEENS1_48merge_mergepath_partition_config_static_selectorELNS0_4arch9wavefront6targetE1EEEvSH_.numbered_sgpr, 0
	.set _ZN7rocprim17ROCPRIM_400000_NS6detail17trampoline_kernelINS0_14default_configENS1_38merge_sort_block_merge_config_selectorIllEEZZNS1_27merge_sort_block_merge_implIS3_PlN6thrust23THRUST_200600_302600_NS10device_ptrIlEEjNS1_19radix_merge_compareILb0ELb1ElNS0_19identity_decomposerEEEEE10hipError_tT0_T1_T2_jT3_P12ihipStream_tbPNSt15iterator_traitsISG_E10value_typeEPNSM_ISH_E10value_typeEPSI_NS1_7vsmem_tEENKUlT_SG_SH_SI_E_clIS7_S7_SB_S7_EESF_SV_SG_SH_SI_EUlSV_E_NS1_11comp_targetILNS1_3genE8ELNS1_11target_archE1030ELNS1_3gpuE2ELNS1_3repE0EEENS1_48merge_mergepath_partition_config_static_selectorELNS0_4arch9wavefront6targetE1EEEvSH_.num_named_barrier, 0
	.set _ZN7rocprim17ROCPRIM_400000_NS6detail17trampoline_kernelINS0_14default_configENS1_38merge_sort_block_merge_config_selectorIllEEZZNS1_27merge_sort_block_merge_implIS3_PlN6thrust23THRUST_200600_302600_NS10device_ptrIlEEjNS1_19radix_merge_compareILb0ELb1ElNS0_19identity_decomposerEEEEE10hipError_tT0_T1_T2_jT3_P12ihipStream_tbPNSt15iterator_traitsISG_E10value_typeEPNSM_ISH_E10value_typeEPSI_NS1_7vsmem_tEENKUlT_SG_SH_SI_E_clIS7_S7_SB_S7_EESF_SV_SG_SH_SI_EUlSV_E_NS1_11comp_targetILNS1_3genE8ELNS1_11target_archE1030ELNS1_3gpuE2ELNS1_3repE0EEENS1_48merge_mergepath_partition_config_static_selectorELNS0_4arch9wavefront6targetE1EEEvSH_.private_seg_size, 0
	.set _ZN7rocprim17ROCPRIM_400000_NS6detail17trampoline_kernelINS0_14default_configENS1_38merge_sort_block_merge_config_selectorIllEEZZNS1_27merge_sort_block_merge_implIS3_PlN6thrust23THRUST_200600_302600_NS10device_ptrIlEEjNS1_19radix_merge_compareILb0ELb1ElNS0_19identity_decomposerEEEEE10hipError_tT0_T1_T2_jT3_P12ihipStream_tbPNSt15iterator_traitsISG_E10value_typeEPNSM_ISH_E10value_typeEPSI_NS1_7vsmem_tEENKUlT_SG_SH_SI_E_clIS7_S7_SB_S7_EESF_SV_SG_SH_SI_EUlSV_E_NS1_11comp_targetILNS1_3genE8ELNS1_11target_archE1030ELNS1_3gpuE2ELNS1_3repE0EEENS1_48merge_mergepath_partition_config_static_selectorELNS0_4arch9wavefront6targetE1EEEvSH_.uses_vcc, 0
	.set _ZN7rocprim17ROCPRIM_400000_NS6detail17trampoline_kernelINS0_14default_configENS1_38merge_sort_block_merge_config_selectorIllEEZZNS1_27merge_sort_block_merge_implIS3_PlN6thrust23THRUST_200600_302600_NS10device_ptrIlEEjNS1_19radix_merge_compareILb0ELb1ElNS0_19identity_decomposerEEEEE10hipError_tT0_T1_T2_jT3_P12ihipStream_tbPNSt15iterator_traitsISG_E10value_typeEPNSM_ISH_E10value_typeEPSI_NS1_7vsmem_tEENKUlT_SG_SH_SI_E_clIS7_S7_SB_S7_EESF_SV_SG_SH_SI_EUlSV_E_NS1_11comp_targetILNS1_3genE8ELNS1_11target_archE1030ELNS1_3gpuE2ELNS1_3repE0EEENS1_48merge_mergepath_partition_config_static_selectorELNS0_4arch9wavefront6targetE1EEEvSH_.uses_flat_scratch, 0
	.set _ZN7rocprim17ROCPRIM_400000_NS6detail17trampoline_kernelINS0_14default_configENS1_38merge_sort_block_merge_config_selectorIllEEZZNS1_27merge_sort_block_merge_implIS3_PlN6thrust23THRUST_200600_302600_NS10device_ptrIlEEjNS1_19radix_merge_compareILb0ELb1ElNS0_19identity_decomposerEEEEE10hipError_tT0_T1_T2_jT3_P12ihipStream_tbPNSt15iterator_traitsISG_E10value_typeEPNSM_ISH_E10value_typeEPSI_NS1_7vsmem_tEENKUlT_SG_SH_SI_E_clIS7_S7_SB_S7_EESF_SV_SG_SH_SI_EUlSV_E_NS1_11comp_targetILNS1_3genE8ELNS1_11target_archE1030ELNS1_3gpuE2ELNS1_3repE0EEENS1_48merge_mergepath_partition_config_static_selectorELNS0_4arch9wavefront6targetE1EEEvSH_.has_dyn_sized_stack, 0
	.set _ZN7rocprim17ROCPRIM_400000_NS6detail17trampoline_kernelINS0_14default_configENS1_38merge_sort_block_merge_config_selectorIllEEZZNS1_27merge_sort_block_merge_implIS3_PlN6thrust23THRUST_200600_302600_NS10device_ptrIlEEjNS1_19radix_merge_compareILb0ELb1ElNS0_19identity_decomposerEEEEE10hipError_tT0_T1_T2_jT3_P12ihipStream_tbPNSt15iterator_traitsISG_E10value_typeEPNSM_ISH_E10value_typeEPSI_NS1_7vsmem_tEENKUlT_SG_SH_SI_E_clIS7_S7_SB_S7_EESF_SV_SG_SH_SI_EUlSV_E_NS1_11comp_targetILNS1_3genE8ELNS1_11target_archE1030ELNS1_3gpuE2ELNS1_3repE0EEENS1_48merge_mergepath_partition_config_static_selectorELNS0_4arch9wavefront6targetE1EEEvSH_.has_recursion, 0
	.set _ZN7rocprim17ROCPRIM_400000_NS6detail17trampoline_kernelINS0_14default_configENS1_38merge_sort_block_merge_config_selectorIllEEZZNS1_27merge_sort_block_merge_implIS3_PlN6thrust23THRUST_200600_302600_NS10device_ptrIlEEjNS1_19radix_merge_compareILb0ELb1ElNS0_19identity_decomposerEEEEE10hipError_tT0_T1_T2_jT3_P12ihipStream_tbPNSt15iterator_traitsISG_E10value_typeEPNSM_ISH_E10value_typeEPSI_NS1_7vsmem_tEENKUlT_SG_SH_SI_E_clIS7_S7_SB_S7_EESF_SV_SG_SH_SI_EUlSV_E_NS1_11comp_targetILNS1_3genE8ELNS1_11target_archE1030ELNS1_3gpuE2ELNS1_3repE0EEENS1_48merge_mergepath_partition_config_static_selectorELNS0_4arch9wavefront6targetE1EEEvSH_.has_indirect_call, 0
	.section	.AMDGPU.csdata,"",@progbits
; Kernel info:
; codeLenInByte = 0
; TotalNumSgprs: 4
; NumVgprs: 0
; ScratchSize: 0
; MemoryBound: 0
; FloatMode: 240
; IeeeMode: 1
; LDSByteSize: 0 bytes/workgroup (compile time only)
; SGPRBlocks: 0
; VGPRBlocks: 0
; NumSGPRsForWavesPerEU: 4
; NumVGPRsForWavesPerEU: 1
; Occupancy: 10
; WaveLimiterHint : 0
; COMPUTE_PGM_RSRC2:SCRATCH_EN: 0
; COMPUTE_PGM_RSRC2:USER_SGPR: 6
; COMPUTE_PGM_RSRC2:TRAP_HANDLER: 0
; COMPUTE_PGM_RSRC2:TGID_X_EN: 1
; COMPUTE_PGM_RSRC2:TGID_Y_EN: 0
; COMPUTE_PGM_RSRC2:TGID_Z_EN: 0
; COMPUTE_PGM_RSRC2:TIDIG_COMP_CNT: 0
	.section	.text._ZN7rocprim17ROCPRIM_400000_NS6detail17trampoline_kernelINS0_14default_configENS1_38merge_sort_block_merge_config_selectorIllEEZZNS1_27merge_sort_block_merge_implIS3_PlN6thrust23THRUST_200600_302600_NS10device_ptrIlEEjNS1_19radix_merge_compareILb0ELb1ElNS0_19identity_decomposerEEEEE10hipError_tT0_T1_T2_jT3_P12ihipStream_tbPNSt15iterator_traitsISG_E10value_typeEPNSM_ISH_E10value_typeEPSI_NS1_7vsmem_tEENKUlT_SG_SH_SI_E_clIS7_S7_SB_S7_EESF_SV_SG_SH_SI_EUlSV_E0_NS1_11comp_targetILNS1_3genE0ELNS1_11target_archE4294967295ELNS1_3gpuE0ELNS1_3repE0EEENS1_38merge_mergepath_config_static_selectorELNS0_4arch9wavefront6targetE1EEEvSH_,"axG",@progbits,_ZN7rocprim17ROCPRIM_400000_NS6detail17trampoline_kernelINS0_14default_configENS1_38merge_sort_block_merge_config_selectorIllEEZZNS1_27merge_sort_block_merge_implIS3_PlN6thrust23THRUST_200600_302600_NS10device_ptrIlEEjNS1_19radix_merge_compareILb0ELb1ElNS0_19identity_decomposerEEEEE10hipError_tT0_T1_T2_jT3_P12ihipStream_tbPNSt15iterator_traitsISG_E10value_typeEPNSM_ISH_E10value_typeEPSI_NS1_7vsmem_tEENKUlT_SG_SH_SI_E_clIS7_S7_SB_S7_EESF_SV_SG_SH_SI_EUlSV_E0_NS1_11comp_targetILNS1_3genE0ELNS1_11target_archE4294967295ELNS1_3gpuE0ELNS1_3repE0EEENS1_38merge_mergepath_config_static_selectorELNS0_4arch9wavefront6targetE1EEEvSH_,comdat
	.protected	_ZN7rocprim17ROCPRIM_400000_NS6detail17trampoline_kernelINS0_14default_configENS1_38merge_sort_block_merge_config_selectorIllEEZZNS1_27merge_sort_block_merge_implIS3_PlN6thrust23THRUST_200600_302600_NS10device_ptrIlEEjNS1_19radix_merge_compareILb0ELb1ElNS0_19identity_decomposerEEEEE10hipError_tT0_T1_T2_jT3_P12ihipStream_tbPNSt15iterator_traitsISG_E10value_typeEPNSM_ISH_E10value_typeEPSI_NS1_7vsmem_tEENKUlT_SG_SH_SI_E_clIS7_S7_SB_S7_EESF_SV_SG_SH_SI_EUlSV_E0_NS1_11comp_targetILNS1_3genE0ELNS1_11target_archE4294967295ELNS1_3gpuE0ELNS1_3repE0EEENS1_38merge_mergepath_config_static_selectorELNS0_4arch9wavefront6targetE1EEEvSH_ ; -- Begin function _ZN7rocprim17ROCPRIM_400000_NS6detail17trampoline_kernelINS0_14default_configENS1_38merge_sort_block_merge_config_selectorIllEEZZNS1_27merge_sort_block_merge_implIS3_PlN6thrust23THRUST_200600_302600_NS10device_ptrIlEEjNS1_19radix_merge_compareILb0ELb1ElNS0_19identity_decomposerEEEEE10hipError_tT0_T1_T2_jT3_P12ihipStream_tbPNSt15iterator_traitsISG_E10value_typeEPNSM_ISH_E10value_typeEPSI_NS1_7vsmem_tEENKUlT_SG_SH_SI_E_clIS7_S7_SB_S7_EESF_SV_SG_SH_SI_EUlSV_E0_NS1_11comp_targetILNS1_3genE0ELNS1_11target_archE4294967295ELNS1_3gpuE0ELNS1_3repE0EEENS1_38merge_mergepath_config_static_selectorELNS0_4arch9wavefront6targetE1EEEvSH_
	.globl	_ZN7rocprim17ROCPRIM_400000_NS6detail17trampoline_kernelINS0_14default_configENS1_38merge_sort_block_merge_config_selectorIllEEZZNS1_27merge_sort_block_merge_implIS3_PlN6thrust23THRUST_200600_302600_NS10device_ptrIlEEjNS1_19radix_merge_compareILb0ELb1ElNS0_19identity_decomposerEEEEE10hipError_tT0_T1_T2_jT3_P12ihipStream_tbPNSt15iterator_traitsISG_E10value_typeEPNSM_ISH_E10value_typeEPSI_NS1_7vsmem_tEENKUlT_SG_SH_SI_E_clIS7_S7_SB_S7_EESF_SV_SG_SH_SI_EUlSV_E0_NS1_11comp_targetILNS1_3genE0ELNS1_11target_archE4294967295ELNS1_3gpuE0ELNS1_3repE0EEENS1_38merge_mergepath_config_static_selectorELNS0_4arch9wavefront6targetE1EEEvSH_
	.p2align	8
	.type	_ZN7rocprim17ROCPRIM_400000_NS6detail17trampoline_kernelINS0_14default_configENS1_38merge_sort_block_merge_config_selectorIllEEZZNS1_27merge_sort_block_merge_implIS3_PlN6thrust23THRUST_200600_302600_NS10device_ptrIlEEjNS1_19radix_merge_compareILb0ELb1ElNS0_19identity_decomposerEEEEE10hipError_tT0_T1_T2_jT3_P12ihipStream_tbPNSt15iterator_traitsISG_E10value_typeEPNSM_ISH_E10value_typeEPSI_NS1_7vsmem_tEENKUlT_SG_SH_SI_E_clIS7_S7_SB_S7_EESF_SV_SG_SH_SI_EUlSV_E0_NS1_11comp_targetILNS1_3genE0ELNS1_11target_archE4294967295ELNS1_3gpuE0ELNS1_3repE0EEENS1_38merge_mergepath_config_static_selectorELNS0_4arch9wavefront6targetE1EEEvSH_,@function
_ZN7rocprim17ROCPRIM_400000_NS6detail17trampoline_kernelINS0_14default_configENS1_38merge_sort_block_merge_config_selectorIllEEZZNS1_27merge_sort_block_merge_implIS3_PlN6thrust23THRUST_200600_302600_NS10device_ptrIlEEjNS1_19radix_merge_compareILb0ELb1ElNS0_19identity_decomposerEEEEE10hipError_tT0_T1_T2_jT3_P12ihipStream_tbPNSt15iterator_traitsISG_E10value_typeEPNSM_ISH_E10value_typeEPSI_NS1_7vsmem_tEENKUlT_SG_SH_SI_E_clIS7_S7_SB_S7_EESF_SV_SG_SH_SI_EUlSV_E0_NS1_11comp_targetILNS1_3genE0ELNS1_11target_archE4294967295ELNS1_3gpuE0ELNS1_3repE0EEENS1_38merge_mergepath_config_static_selectorELNS0_4arch9wavefront6targetE1EEEvSH_: ; @_ZN7rocprim17ROCPRIM_400000_NS6detail17trampoline_kernelINS0_14default_configENS1_38merge_sort_block_merge_config_selectorIllEEZZNS1_27merge_sort_block_merge_implIS3_PlN6thrust23THRUST_200600_302600_NS10device_ptrIlEEjNS1_19radix_merge_compareILb0ELb1ElNS0_19identity_decomposerEEEEE10hipError_tT0_T1_T2_jT3_P12ihipStream_tbPNSt15iterator_traitsISG_E10value_typeEPNSM_ISH_E10value_typeEPSI_NS1_7vsmem_tEENKUlT_SG_SH_SI_E_clIS7_S7_SB_S7_EESF_SV_SG_SH_SI_EUlSV_E0_NS1_11comp_targetILNS1_3genE0ELNS1_11target_archE4294967295ELNS1_3gpuE0ELNS1_3repE0EEENS1_38merge_mergepath_config_static_selectorELNS0_4arch9wavefront6targetE1EEEvSH_
; %bb.0:
	.section	.rodata,"a",@progbits
	.p2align	6, 0x0
	.amdhsa_kernel _ZN7rocprim17ROCPRIM_400000_NS6detail17trampoline_kernelINS0_14default_configENS1_38merge_sort_block_merge_config_selectorIllEEZZNS1_27merge_sort_block_merge_implIS3_PlN6thrust23THRUST_200600_302600_NS10device_ptrIlEEjNS1_19radix_merge_compareILb0ELb1ElNS0_19identity_decomposerEEEEE10hipError_tT0_T1_T2_jT3_P12ihipStream_tbPNSt15iterator_traitsISG_E10value_typeEPNSM_ISH_E10value_typeEPSI_NS1_7vsmem_tEENKUlT_SG_SH_SI_E_clIS7_S7_SB_S7_EESF_SV_SG_SH_SI_EUlSV_E0_NS1_11comp_targetILNS1_3genE0ELNS1_11target_archE4294967295ELNS1_3gpuE0ELNS1_3repE0EEENS1_38merge_mergepath_config_static_selectorELNS0_4arch9wavefront6targetE1EEEvSH_
		.amdhsa_group_segment_fixed_size 0
		.amdhsa_private_segment_fixed_size 0
		.amdhsa_kernarg_size 72
		.amdhsa_user_sgpr_count 6
		.amdhsa_user_sgpr_private_segment_buffer 1
		.amdhsa_user_sgpr_dispatch_ptr 0
		.amdhsa_user_sgpr_queue_ptr 0
		.amdhsa_user_sgpr_kernarg_segment_ptr 1
		.amdhsa_user_sgpr_dispatch_id 0
		.amdhsa_user_sgpr_flat_scratch_init 0
		.amdhsa_user_sgpr_private_segment_size 0
		.amdhsa_uses_dynamic_stack 0
		.amdhsa_system_sgpr_private_segment_wavefront_offset 0
		.amdhsa_system_sgpr_workgroup_id_x 1
		.amdhsa_system_sgpr_workgroup_id_y 0
		.amdhsa_system_sgpr_workgroup_id_z 0
		.amdhsa_system_sgpr_workgroup_info 0
		.amdhsa_system_vgpr_workitem_id 0
		.amdhsa_next_free_vgpr 1
		.amdhsa_next_free_sgpr 0
		.amdhsa_reserve_vcc 0
		.amdhsa_reserve_flat_scratch 0
		.amdhsa_float_round_mode_32 0
		.amdhsa_float_round_mode_16_64 0
		.amdhsa_float_denorm_mode_32 3
		.amdhsa_float_denorm_mode_16_64 3
		.amdhsa_dx10_clamp 1
		.amdhsa_ieee_mode 1
		.amdhsa_fp16_overflow 0
		.amdhsa_exception_fp_ieee_invalid_op 0
		.amdhsa_exception_fp_denorm_src 0
		.amdhsa_exception_fp_ieee_div_zero 0
		.amdhsa_exception_fp_ieee_overflow 0
		.amdhsa_exception_fp_ieee_underflow 0
		.amdhsa_exception_fp_ieee_inexact 0
		.amdhsa_exception_int_div_zero 0
	.end_amdhsa_kernel
	.section	.text._ZN7rocprim17ROCPRIM_400000_NS6detail17trampoline_kernelINS0_14default_configENS1_38merge_sort_block_merge_config_selectorIllEEZZNS1_27merge_sort_block_merge_implIS3_PlN6thrust23THRUST_200600_302600_NS10device_ptrIlEEjNS1_19radix_merge_compareILb0ELb1ElNS0_19identity_decomposerEEEEE10hipError_tT0_T1_T2_jT3_P12ihipStream_tbPNSt15iterator_traitsISG_E10value_typeEPNSM_ISH_E10value_typeEPSI_NS1_7vsmem_tEENKUlT_SG_SH_SI_E_clIS7_S7_SB_S7_EESF_SV_SG_SH_SI_EUlSV_E0_NS1_11comp_targetILNS1_3genE0ELNS1_11target_archE4294967295ELNS1_3gpuE0ELNS1_3repE0EEENS1_38merge_mergepath_config_static_selectorELNS0_4arch9wavefront6targetE1EEEvSH_,"axG",@progbits,_ZN7rocprim17ROCPRIM_400000_NS6detail17trampoline_kernelINS0_14default_configENS1_38merge_sort_block_merge_config_selectorIllEEZZNS1_27merge_sort_block_merge_implIS3_PlN6thrust23THRUST_200600_302600_NS10device_ptrIlEEjNS1_19radix_merge_compareILb0ELb1ElNS0_19identity_decomposerEEEEE10hipError_tT0_T1_T2_jT3_P12ihipStream_tbPNSt15iterator_traitsISG_E10value_typeEPNSM_ISH_E10value_typeEPSI_NS1_7vsmem_tEENKUlT_SG_SH_SI_E_clIS7_S7_SB_S7_EESF_SV_SG_SH_SI_EUlSV_E0_NS1_11comp_targetILNS1_3genE0ELNS1_11target_archE4294967295ELNS1_3gpuE0ELNS1_3repE0EEENS1_38merge_mergepath_config_static_selectorELNS0_4arch9wavefront6targetE1EEEvSH_,comdat
.Lfunc_end1098:
	.size	_ZN7rocprim17ROCPRIM_400000_NS6detail17trampoline_kernelINS0_14default_configENS1_38merge_sort_block_merge_config_selectorIllEEZZNS1_27merge_sort_block_merge_implIS3_PlN6thrust23THRUST_200600_302600_NS10device_ptrIlEEjNS1_19radix_merge_compareILb0ELb1ElNS0_19identity_decomposerEEEEE10hipError_tT0_T1_T2_jT3_P12ihipStream_tbPNSt15iterator_traitsISG_E10value_typeEPNSM_ISH_E10value_typeEPSI_NS1_7vsmem_tEENKUlT_SG_SH_SI_E_clIS7_S7_SB_S7_EESF_SV_SG_SH_SI_EUlSV_E0_NS1_11comp_targetILNS1_3genE0ELNS1_11target_archE4294967295ELNS1_3gpuE0ELNS1_3repE0EEENS1_38merge_mergepath_config_static_selectorELNS0_4arch9wavefront6targetE1EEEvSH_, .Lfunc_end1098-_ZN7rocprim17ROCPRIM_400000_NS6detail17trampoline_kernelINS0_14default_configENS1_38merge_sort_block_merge_config_selectorIllEEZZNS1_27merge_sort_block_merge_implIS3_PlN6thrust23THRUST_200600_302600_NS10device_ptrIlEEjNS1_19radix_merge_compareILb0ELb1ElNS0_19identity_decomposerEEEEE10hipError_tT0_T1_T2_jT3_P12ihipStream_tbPNSt15iterator_traitsISG_E10value_typeEPNSM_ISH_E10value_typeEPSI_NS1_7vsmem_tEENKUlT_SG_SH_SI_E_clIS7_S7_SB_S7_EESF_SV_SG_SH_SI_EUlSV_E0_NS1_11comp_targetILNS1_3genE0ELNS1_11target_archE4294967295ELNS1_3gpuE0ELNS1_3repE0EEENS1_38merge_mergepath_config_static_selectorELNS0_4arch9wavefront6targetE1EEEvSH_
                                        ; -- End function
	.set _ZN7rocprim17ROCPRIM_400000_NS6detail17trampoline_kernelINS0_14default_configENS1_38merge_sort_block_merge_config_selectorIllEEZZNS1_27merge_sort_block_merge_implIS3_PlN6thrust23THRUST_200600_302600_NS10device_ptrIlEEjNS1_19radix_merge_compareILb0ELb1ElNS0_19identity_decomposerEEEEE10hipError_tT0_T1_T2_jT3_P12ihipStream_tbPNSt15iterator_traitsISG_E10value_typeEPNSM_ISH_E10value_typeEPSI_NS1_7vsmem_tEENKUlT_SG_SH_SI_E_clIS7_S7_SB_S7_EESF_SV_SG_SH_SI_EUlSV_E0_NS1_11comp_targetILNS1_3genE0ELNS1_11target_archE4294967295ELNS1_3gpuE0ELNS1_3repE0EEENS1_38merge_mergepath_config_static_selectorELNS0_4arch9wavefront6targetE1EEEvSH_.num_vgpr, 0
	.set _ZN7rocprim17ROCPRIM_400000_NS6detail17trampoline_kernelINS0_14default_configENS1_38merge_sort_block_merge_config_selectorIllEEZZNS1_27merge_sort_block_merge_implIS3_PlN6thrust23THRUST_200600_302600_NS10device_ptrIlEEjNS1_19radix_merge_compareILb0ELb1ElNS0_19identity_decomposerEEEEE10hipError_tT0_T1_T2_jT3_P12ihipStream_tbPNSt15iterator_traitsISG_E10value_typeEPNSM_ISH_E10value_typeEPSI_NS1_7vsmem_tEENKUlT_SG_SH_SI_E_clIS7_S7_SB_S7_EESF_SV_SG_SH_SI_EUlSV_E0_NS1_11comp_targetILNS1_3genE0ELNS1_11target_archE4294967295ELNS1_3gpuE0ELNS1_3repE0EEENS1_38merge_mergepath_config_static_selectorELNS0_4arch9wavefront6targetE1EEEvSH_.num_agpr, 0
	.set _ZN7rocprim17ROCPRIM_400000_NS6detail17trampoline_kernelINS0_14default_configENS1_38merge_sort_block_merge_config_selectorIllEEZZNS1_27merge_sort_block_merge_implIS3_PlN6thrust23THRUST_200600_302600_NS10device_ptrIlEEjNS1_19radix_merge_compareILb0ELb1ElNS0_19identity_decomposerEEEEE10hipError_tT0_T1_T2_jT3_P12ihipStream_tbPNSt15iterator_traitsISG_E10value_typeEPNSM_ISH_E10value_typeEPSI_NS1_7vsmem_tEENKUlT_SG_SH_SI_E_clIS7_S7_SB_S7_EESF_SV_SG_SH_SI_EUlSV_E0_NS1_11comp_targetILNS1_3genE0ELNS1_11target_archE4294967295ELNS1_3gpuE0ELNS1_3repE0EEENS1_38merge_mergepath_config_static_selectorELNS0_4arch9wavefront6targetE1EEEvSH_.numbered_sgpr, 0
	.set _ZN7rocprim17ROCPRIM_400000_NS6detail17trampoline_kernelINS0_14default_configENS1_38merge_sort_block_merge_config_selectorIllEEZZNS1_27merge_sort_block_merge_implIS3_PlN6thrust23THRUST_200600_302600_NS10device_ptrIlEEjNS1_19radix_merge_compareILb0ELb1ElNS0_19identity_decomposerEEEEE10hipError_tT0_T1_T2_jT3_P12ihipStream_tbPNSt15iterator_traitsISG_E10value_typeEPNSM_ISH_E10value_typeEPSI_NS1_7vsmem_tEENKUlT_SG_SH_SI_E_clIS7_S7_SB_S7_EESF_SV_SG_SH_SI_EUlSV_E0_NS1_11comp_targetILNS1_3genE0ELNS1_11target_archE4294967295ELNS1_3gpuE0ELNS1_3repE0EEENS1_38merge_mergepath_config_static_selectorELNS0_4arch9wavefront6targetE1EEEvSH_.num_named_barrier, 0
	.set _ZN7rocprim17ROCPRIM_400000_NS6detail17trampoline_kernelINS0_14default_configENS1_38merge_sort_block_merge_config_selectorIllEEZZNS1_27merge_sort_block_merge_implIS3_PlN6thrust23THRUST_200600_302600_NS10device_ptrIlEEjNS1_19radix_merge_compareILb0ELb1ElNS0_19identity_decomposerEEEEE10hipError_tT0_T1_T2_jT3_P12ihipStream_tbPNSt15iterator_traitsISG_E10value_typeEPNSM_ISH_E10value_typeEPSI_NS1_7vsmem_tEENKUlT_SG_SH_SI_E_clIS7_S7_SB_S7_EESF_SV_SG_SH_SI_EUlSV_E0_NS1_11comp_targetILNS1_3genE0ELNS1_11target_archE4294967295ELNS1_3gpuE0ELNS1_3repE0EEENS1_38merge_mergepath_config_static_selectorELNS0_4arch9wavefront6targetE1EEEvSH_.private_seg_size, 0
	.set _ZN7rocprim17ROCPRIM_400000_NS6detail17trampoline_kernelINS0_14default_configENS1_38merge_sort_block_merge_config_selectorIllEEZZNS1_27merge_sort_block_merge_implIS3_PlN6thrust23THRUST_200600_302600_NS10device_ptrIlEEjNS1_19radix_merge_compareILb0ELb1ElNS0_19identity_decomposerEEEEE10hipError_tT0_T1_T2_jT3_P12ihipStream_tbPNSt15iterator_traitsISG_E10value_typeEPNSM_ISH_E10value_typeEPSI_NS1_7vsmem_tEENKUlT_SG_SH_SI_E_clIS7_S7_SB_S7_EESF_SV_SG_SH_SI_EUlSV_E0_NS1_11comp_targetILNS1_3genE0ELNS1_11target_archE4294967295ELNS1_3gpuE0ELNS1_3repE0EEENS1_38merge_mergepath_config_static_selectorELNS0_4arch9wavefront6targetE1EEEvSH_.uses_vcc, 0
	.set _ZN7rocprim17ROCPRIM_400000_NS6detail17trampoline_kernelINS0_14default_configENS1_38merge_sort_block_merge_config_selectorIllEEZZNS1_27merge_sort_block_merge_implIS3_PlN6thrust23THRUST_200600_302600_NS10device_ptrIlEEjNS1_19radix_merge_compareILb0ELb1ElNS0_19identity_decomposerEEEEE10hipError_tT0_T1_T2_jT3_P12ihipStream_tbPNSt15iterator_traitsISG_E10value_typeEPNSM_ISH_E10value_typeEPSI_NS1_7vsmem_tEENKUlT_SG_SH_SI_E_clIS7_S7_SB_S7_EESF_SV_SG_SH_SI_EUlSV_E0_NS1_11comp_targetILNS1_3genE0ELNS1_11target_archE4294967295ELNS1_3gpuE0ELNS1_3repE0EEENS1_38merge_mergepath_config_static_selectorELNS0_4arch9wavefront6targetE1EEEvSH_.uses_flat_scratch, 0
	.set _ZN7rocprim17ROCPRIM_400000_NS6detail17trampoline_kernelINS0_14default_configENS1_38merge_sort_block_merge_config_selectorIllEEZZNS1_27merge_sort_block_merge_implIS3_PlN6thrust23THRUST_200600_302600_NS10device_ptrIlEEjNS1_19radix_merge_compareILb0ELb1ElNS0_19identity_decomposerEEEEE10hipError_tT0_T1_T2_jT3_P12ihipStream_tbPNSt15iterator_traitsISG_E10value_typeEPNSM_ISH_E10value_typeEPSI_NS1_7vsmem_tEENKUlT_SG_SH_SI_E_clIS7_S7_SB_S7_EESF_SV_SG_SH_SI_EUlSV_E0_NS1_11comp_targetILNS1_3genE0ELNS1_11target_archE4294967295ELNS1_3gpuE0ELNS1_3repE0EEENS1_38merge_mergepath_config_static_selectorELNS0_4arch9wavefront6targetE1EEEvSH_.has_dyn_sized_stack, 0
	.set _ZN7rocprim17ROCPRIM_400000_NS6detail17trampoline_kernelINS0_14default_configENS1_38merge_sort_block_merge_config_selectorIllEEZZNS1_27merge_sort_block_merge_implIS3_PlN6thrust23THRUST_200600_302600_NS10device_ptrIlEEjNS1_19radix_merge_compareILb0ELb1ElNS0_19identity_decomposerEEEEE10hipError_tT0_T1_T2_jT3_P12ihipStream_tbPNSt15iterator_traitsISG_E10value_typeEPNSM_ISH_E10value_typeEPSI_NS1_7vsmem_tEENKUlT_SG_SH_SI_E_clIS7_S7_SB_S7_EESF_SV_SG_SH_SI_EUlSV_E0_NS1_11comp_targetILNS1_3genE0ELNS1_11target_archE4294967295ELNS1_3gpuE0ELNS1_3repE0EEENS1_38merge_mergepath_config_static_selectorELNS0_4arch9wavefront6targetE1EEEvSH_.has_recursion, 0
	.set _ZN7rocprim17ROCPRIM_400000_NS6detail17trampoline_kernelINS0_14default_configENS1_38merge_sort_block_merge_config_selectorIllEEZZNS1_27merge_sort_block_merge_implIS3_PlN6thrust23THRUST_200600_302600_NS10device_ptrIlEEjNS1_19radix_merge_compareILb0ELb1ElNS0_19identity_decomposerEEEEE10hipError_tT0_T1_T2_jT3_P12ihipStream_tbPNSt15iterator_traitsISG_E10value_typeEPNSM_ISH_E10value_typeEPSI_NS1_7vsmem_tEENKUlT_SG_SH_SI_E_clIS7_S7_SB_S7_EESF_SV_SG_SH_SI_EUlSV_E0_NS1_11comp_targetILNS1_3genE0ELNS1_11target_archE4294967295ELNS1_3gpuE0ELNS1_3repE0EEENS1_38merge_mergepath_config_static_selectorELNS0_4arch9wavefront6targetE1EEEvSH_.has_indirect_call, 0
	.section	.AMDGPU.csdata,"",@progbits
; Kernel info:
; codeLenInByte = 0
; TotalNumSgprs: 4
; NumVgprs: 0
; ScratchSize: 0
; MemoryBound: 0
; FloatMode: 240
; IeeeMode: 1
; LDSByteSize: 0 bytes/workgroup (compile time only)
; SGPRBlocks: 0
; VGPRBlocks: 0
; NumSGPRsForWavesPerEU: 4
; NumVGPRsForWavesPerEU: 1
; Occupancy: 10
; WaveLimiterHint : 0
; COMPUTE_PGM_RSRC2:SCRATCH_EN: 0
; COMPUTE_PGM_RSRC2:USER_SGPR: 6
; COMPUTE_PGM_RSRC2:TRAP_HANDLER: 0
; COMPUTE_PGM_RSRC2:TGID_X_EN: 1
; COMPUTE_PGM_RSRC2:TGID_Y_EN: 0
; COMPUTE_PGM_RSRC2:TGID_Z_EN: 0
; COMPUTE_PGM_RSRC2:TIDIG_COMP_CNT: 0
	.section	.text._ZN7rocprim17ROCPRIM_400000_NS6detail17trampoline_kernelINS0_14default_configENS1_38merge_sort_block_merge_config_selectorIllEEZZNS1_27merge_sort_block_merge_implIS3_PlN6thrust23THRUST_200600_302600_NS10device_ptrIlEEjNS1_19radix_merge_compareILb0ELb1ElNS0_19identity_decomposerEEEEE10hipError_tT0_T1_T2_jT3_P12ihipStream_tbPNSt15iterator_traitsISG_E10value_typeEPNSM_ISH_E10value_typeEPSI_NS1_7vsmem_tEENKUlT_SG_SH_SI_E_clIS7_S7_SB_S7_EESF_SV_SG_SH_SI_EUlSV_E0_NS1_11comp_targetILNS1_3genE10ELNS1_11target_archE1201ELNS1_3gpuE5ELNS1_3repE0EEENS1_38merge_mergepath_config_static_selectorELNS0_4arch9wavefront6targetE1EEEvSH_,"axG",@progbits,_ZN7rocprim17ROCPRIM_400000_NS6detail17trampoline_kernelINS0_14default_configENS1_38merge_sort_block_merge_config_selectorIllEEZZNS1_27merge_sort_block_merge_implIS3_PlN6thrust23THRUST_200600_302600_NS10device_ptrIlEEjNS1_19radix_merge_compareILb0ELb1ElNS0_19identity_decomposerEEEEE10hipError_tT0_T1_T2_jT3_P12ihipStream_tbPNSt15iterator_traitsISG_E10value_typeEPNSM_ISH_E10value_typeEPSI_NS1_7vsmem_tEENKUlT_SG_SH_SI_E_clIS7_S7_SB_S7_EESF_SV_SG_SH_SI_EUlSV_E0_NS1_11comp_targetILNS1_3genE10ELNS1_11target_archE1201ELNS1_3gpuE5ELNS1_3repE0EEENS1_38merge_mergepath_config_static_selectorELNS0_4arch9wavefront6targetE1EEEvSH_,comdat
	.protected	_ZN7rocprim17ROCPRIM_400000_NS6detail17trampoline_kernelINS0_14default_configENS1_38merge_sort_block_merge_config_selectorIllEEZZNS1_27merge_sort_block_merge_implIS3_PlN6thrust23THRUST_200600_302600_NS10device_ptrIlEEjNS1_19radix_merge_compareILb0ELb1ElNS0_19identity_decomposerEEEEE10hipError_tT0_T1_T2_jT3_P12ihipStream_tbPNSt15iterator_traitsISG_E10value_typeEPNSM_ISH_E10value_typeEPSI_NS1_7vsmem_tEENKUlT_SG_SH_SI_E_clIS7_S7_SB_S7_EESF_SV_SG_SH_SI_EUlSV_E0_NS1_11comp_targetILNS1_3genE10ELNS1_11target_archE1201ELNS1_3gpuE5ELNS1_3repE0EEENS1_38merge_mergepath_config_static_selectorELNS0_4arch9wavefront6targetE1EEEvSH_ ; -- Begin function _ZN7rocprim17ROCPRIM_400000_NS6detail17trampoline_kernelINS0_14default_configENS1_38merge_sort_block_merge_config_selectorIllEEZZNS1_27merge_sort_block_merge_implIS3_PlN6thrust23THRUST_200600_302600_NS10device_ptrIlEEjNS1_19radix_merge_compareILb0ELb1ElNS0_19identity_decomposerEEEEE10hipError_tT0_T1_T2_jT3_P12ihipStream_tbPNSt15iterator_traitsISG_E10value_typeEPNSM_ISH_E10value_typeEPSI_NS1_7vsmem_tEENKUlT_SG_SH_SI_E_clIS7_S7_SB_S7_EESF_SV_SG_SH_SI_EUlSV_E0_NS1_11comp_targetILNS1_3genE10ELNS1_11target_archE1201ELNS1_3gpuE5ELNS1_3repE0EEENS1_38merge_mergepath_config_static_selectorELNS0_4arch9wavefront6targetE1EEEvSH_
	.globl	_ZN7rocprim17ROCPRIM_400000_NS6detail17trampoline_kernelINS0_14default_configENS1_38merge_sort_block_merge_config_selectorIllEEZZNS1_27merge_sort_block_merge_implIS3_PlN6thrust23THRUST_200600_302600_NS10device_ptrIlEEjNS1_19radix_merge_compareILb0ELb1ElNS0_19identity_decomposerEEEEE10hipError_tT0_T1_T2_jT3_P12ihipStream_tbPNSt15iterator_traitsISG_E10value_typeEPNSM_ISH_E10value_typeEPSI_NS1_7vsmem_tEENKUlT_SG_SH_SI_E_clIS7_S7_SB_S7_EESF_SV_SG_SH_SI_EUlSV_E0_NS1_11comp_targetILNS1_3genE10ELNS1_11target_archE1201ELNS1_3gpuE5ELNS1_3repE0EEENS1_38merge_mergepath_config_static_selectorELNS0_4arch9wavefront6targetE1EEEvSH_
	.p2align	8
	.type	_ZN7rocprim17ROCPRIM_400000_NS6detail17trampoline_kernelINS0_14default_configENS1_38merge_sort_block_merge_config_selectorIllEEZZNS1_27merge_sort_block_merge_implIS3_PlN6thrust23THRUST_200600_302600_NS10device_ptrIlEEjNS1_19radix_merge_compareILb0ELb1ElNS0_19identity_decomposerEEEEE10hipError_tT0_T1_T2_jT3_P12ihipStream_tbPNSt15iterator_traitsISG_E10value_typeEPNSM_ISH_E10value_typeEPSI_NS1_7vsmem_tEENKUlT_SG_SH_SI_E_clIS7_S7_SB_S7_EESF_SV_SG_SH_SI_EUlSV_E0_NS1_11comp_targetILNS1_3genE10ELNS1_11target_archE1201ELNS1_3gpuE5ELNS1_3repE0EEENS1_38merge_mergepath_config_static_selectorELNS0_4arch9wavefront6targetE1EEEvSH_,@function
_ZN7rocprim17ROCPRIM_400000_NS6detail17trampoline_kernelINS0_14default_configENS1_38merge_sort_block_merge_config_selectorIllEEZZNS1_27merge_sort_block_merge_implIS3_PlN6thrust23THRUST_200600_302600_NS10device_ptrIlEEjNS1_19radix_merge_compareILb0ELb1ElNS0_19identity_decomposerEEEEE10hipError_tT0_T1_T2_jT3_P12ihipStream_tbPNSt15iterator_traitsISG_E10value_typeEPNSM_ISH_E10value_typeEPSI_NS1_7vsmem_tEENKUlT_SG_SH_SI_E_clIS7_S7_SB_S7_EESF_SV_SG_SH_SI_EUlSV_E0_NS1_11comp_targetILNS1_3genE10ELNS1_11target_archE1201ELNS1_3gpuE5ELNS1_3repE0EEENS1_38merge_mergepath_config_static_selectorELNS0_4arch9wavefront6targetE1EEEvSH_: ; @_ZN7rocprim17ROCPRIM_400000_NS6detail17trampoline_kernelINS0_14default_configENS1_38merge_sort_block_merge_config_selectorIllEEZZNS1_27merge_sort_block_merge_implIS3_PlN6thrust23THRUST_200600_302600_NS10device_ptrIlEEjNS1_19radix_merge_compareILb0ELb1ElNS0_19identity_decomposerEEEEE10hipError_tT0_T1_T2_jT3_P12ihipStream_tbPNSt15iterator_traitsISG_E10value_typeEPNSM_ISH_E10value_typeEPSI_NS1_7vsmem_tEENKUlT_SG_SH_SI_E_clIS7_S7_SB_S7_EESF_SV_SG_SH_SI_EUlSV_E0_NS1_11comp_targetILNS1_3genE10ELNS1_11target_archE1201ELNS1_3gpuE5ELNS1_3repE0EEENS1_38merge_mergepath_config_static_selectorELNS0_4arch9wavefront6targetE1EEEvSH_
; %bb.0:
	.section	.rodata,"a",@progbits
	.p2align	6, 0x0
	.amdhsa_kernel _ZN7rocprim17ROCPRIM_400000_NS6detail17trampoline_kernelINS0_14default_configENS1_38merge_sort_block_merge_config_selectorIllEEZZNS1_27merge_sort_block_merge_implIS3_PlN6thrust23THRUST_200600_302600_NS10device_ptrIlEEjNS1_19radix_merge_compareILb0ELb1ElNS0_19identity_decomposerEEEEE10hipError_tT0_T1_T2_jT3_P12ihipStream_tbPNSt15iterator_traitsISG_E10value_typeEPNSM_ISH_E10value_typeEPSI_NS1_7vsmem_tEENKUlT_SG_SH_SI_E_clIS7_S7_SB_S7_EESF_SV_SG_SH_SI_EUlSV_E0_NS1_11comp_targetILNS1_3genE10ELNS1_11target_archE1201ELNS1_3gpuE5ELNS1_3repE0EEENS1_38merge_mergepath_config_static_selectorELNS0_4arch9wavefront6targetE1EEEvSH_
		.amdhsa_group_segment_fixed_size 0
		.amdhsa_private_segment_fixed_size 0
		.amdhsa_kernarg_size 72
		.amdhsa_user_sgpr_count 6
		.amdhsa_user_sgpr_private_segment_buffer 1
		.amdhsa_user_sgpr_dispatch_ptr 0
		.amdhsa_user_sgpr_queue_ptr 0
		.amdhsa_user_sgpr_kernarg_segment_ptr 1
		.amdhsa_user_sgpr_dispatch_id 0
		.amdhsa_user_sgpr_flat_scratch_init 0
		.amdhsa_user_sgpr_private_segment_size 0
		.amdhsa_uses_dynamic_stack 0
		.amdhsa_system_sgpr_private_segment_wavefront_offset 0
		.amdhsa_system_sgpr_workgroup_id_x 1
		.amdhsa_system_sgpr_workgroup_id_y 0
		.amdhsa_system_sgpr_workgroup_id_z 0
		.amdhsa_system_sgpr_workgroup_info 0
		.amdhsa_system_vgpr_workitem_id 0
		.amdhsa_next_free_vgpr 1
		.amdhsa_next_free_sgpr 0
		.amdhsa_reserve_vcc 0
		.amdhsa_reserve_flat_scratch 0
		.amdhsa_float_round_mode_32 0
		.amdhsa_float_round_mode_16_64 0
		.amdhsa_float_denorm_mode_32 3
		.amdhsa_float_denorm_mode_16_64 3
		.amdhsa_dx10_clamp 1
		.amdhsa_ieee_mode 1
		.amdhsa_fp16_overflow 0
		.amdhsa_exception_fp_ieee_invalid_op 0
		.amdhsa_exception_fp_denorm_src 0
		.amdhsa_exception_fp_ieee_div_zero 0
		.amdhsa_exception_fp_ieee_overflow 0
		.amdhsa_exception_fp_ieee_underflow 0
		.amdhsa_exception_fp_ieee_inexact 0
		.amdhsa_exception_int_div_zero 0
	.end_amdhsa_kernel
	.section	.text._ZN7rocprim17ROCPRIM_400000_NS6detail17trampoline_kernelINS0_14default_configENS1_38merge_sort_block_merge_config_selectorIllEEZZNS1_27merge_sort_block_merge_implIS3_PlN6thrust23THRUST_200600_302600_NS10device_ptrIlEEjNS1_19radix_merge_compareILb0ELb1ElNS0_19identity_decomposerEEEEE10hipError_tT0_T1_T2_jT3_P12ihipStream_tbPNSt15iterator_traitsISG_E10value_typeEPNSM_ISH_E10value_typeEPSI_NS1_7vsmem_tEENKUlT_SG_SH_SI_E_clIS7_S7_SB_S7_EESF_SV_SG_SH_SI_EUlSV_E0_NS1_11comp_targetILNS1_3genE10ELNS1_11target_archE1201ELNS1_3gpuE5ELNS1_3repE0EEENS1_38merge_mergepath_config_static_selectorELNS0_4arch9wavefront6targetE1EEEvSH_,"axG",@progbits,_ZN7rocprim17ROCPRIM_400000_NS6detail17trampoline_kernelINS0_14default_configENS1_38merge_sort_block_merge_config_selectorIllEEZZNS1_27merge_sort_block_merge_implIS3_PlN6thrust23THRUST_200600_302600_NS10device_ptrIlEEjNS1_19radix_merge_compareILb0ELb1ElNS0_19identity_decomposerEEEEE10hipError_tT0_T1_T2_jT3_P12ihipStream_tbPNSt15iterator_traitsISG_E10value_typeEPNSM_ISH_E10value_typeEPSI_NS1_7vsmem_tEENKUlT_SG_SH_SI_E_clIS7_S7_SB_S7_EESF_SV_SG_SH_SI_EUlSV_E0_NS1_11comp_targetILNS1_3genE10ELNS1_11target_archE1201ELNS1_3gpuE5ELNS1_3repE0EEENS1_38merge_mergepath_config_static_selectorELNS0_4arch9wavefront6targetE1EEEvSH_,comdat
.Lfunc_end1099:
	.size	_ZN7rocprim17ROCPRIM_400000_NS6detail17trampoline_kernelINS0_14default_configENS1_38merge_sort_block_merge_config_selectorIllEEZZNS1_27merge_sort_block_merge_implIS3_PlN6thrust23THRUST_200600_302600_NS10device_ptrIlEEjNS1_19radix_merge_compareILb0ELb1ElNS0_19identity_decomposerEEEEE10hipError_tT0_T1_T2_jT3_P12ihipStream_tbPNSt15iterator_traitsISG_E10value_typeEPNSM_ISH_E10value_typeEPSI_NS1_7vsmem_tEENKUlT_SG_SH_SI_E_clIS7_S7_SB_S7_EESF_SV_SG_SH_SI_EUlSV_E0_NS1_11comp_targetILNS1_3genE10ELNS1_11target_archE1201ELNS1_3gpuE5ELNS1_3repE0EEENS1_38merge_mergepath_config_static_selectorELNS0_4arch9wavefront6targetE1EEEvSH_, .Lfunc_end1099-_ZN7rocprim17ROCPRIM_400000_NS6detail17trampoline_kernelINS0_14default_configENS1_38merge_sort_block_merge_config_selectorIllEEZZNS1_27merge_sort_block_merge_implIS3_PlN6thrust23THRUST_200600_302600_NS10device_ptrIlEEjNS1_19radix_merge_compareILb0ELb1ElNS0_19identity_decomposerEEEEE10hipError_tT0_T1_T2_jT3_P12ihipStream_tbPNSt15iterator_traitsISG_E10value_typeEPNSM_ISH_E10value_typeEPSI_NS1_7vsmem_tEENKUlT_SG_SH_SI_E_clIS7_S7_SB_S7_EESF_SV_SG_SH_SI_EUlSV_E0_NS1_11comp_targetILNS1_3genE10ELNS1_11target_archE1201ELNS1_3gpuE5ELNS1_3repE0EEENS1_38merge_mergepath_config_static_selectorELNS0_4arch9wavefront6targetE1EEEvSH_
                                        ; -- End function
	.set _ZN7rocprim17ROCPRIM_400000_NS6detail17trampoline_kernelINS0_14default_configENS1_38merge_sort_block_merge_config_selectorIllEEZZNS1_27merge_sort_block_merge_implIS3_PlN6thrust23THRUST_200600_302600_NS10device_ptrIlEEjNS1_19radix_merge_compareILb0ELb1ElNS0_19identity_decomposerEEEEE10hipError_tT0_T1_T2_jT3_P12ihipStream_tbPNSt15iterator_traitsISG_E10value_typeEPNSM_ISH_E10value_typeEPSI_NS1_7vsmem_tEENKUlT_SG_SH_SI_E_clIS7_S7_SB_S7_EESF_SV_SG_SH_SI_EUlSV_E0_NS1_11comp_targetILNS1_3genE10ELNS1_11target_archE1201ELNS1_3gpuE5ELNS1_3repE0EEENS1_38merge_mergepath_config_static_selectorELNS0_4arch9wavefront6targetE1EEEvSH_.num_vgpr, 0
	.set _ZN7rocprim17ROCPRIM_400000_NS6detail17trampoline_kernelINS0_14default_configENS1_38merge_sort_block_merge_config_selectorIllEEZZNS1_27merge_sort_block_merge_implIS3_PlN6thrust23THRUST_200600_302600_NS10device_ptrIlEEjNS1_19radix_merge_compareILb0ELb1ElNS0_19identity_decomposerEEEEE10hipError_tT0_T1_T2_jT3_P12ihipStream_tbPNSt15iterator_traitsISG_E10value_typeEPNSM_ISH_E10value_typeEPSI_NS1_7vsmem_tEENKUlT_SG_SH_SI_E_clIS7_S7_SB_S7_EESF_SV_SG_SH_SI_EUlSV_E0_NS1_11comp_targetILNS1_3genE10ELNS1_11target_archE1201ELNS1_3gpuE5ELNS1_3repE0EEENS1_38merge_mergepath_config_static_selectorELNS0_4arch9wavefront6targetE1EEEvSH_.num_agpr, 0
	.set _ZN7rocprim17ROCPRIM_400000_NS6detail17trampoline_kernelINS0_14default_configENS1_38merge_sort_block_merge_config_selectorIllEEZZNS1_27merge_sort_block_merge_implIS3_PlN6thrust23THRUST_200600_302600_NS10device_ptrIlEEjNS1_19radix_merge_compareILb0ELb1ElNS0_19identity_decomposerEEEEE10hipError_tT0_T1_T2_jT3_P12ihipStream_tbPNSt15iterator_traitsISG_E10value_typeEPNSM_ISH_E10value_typeEPSI_NS1_7vsmem_tEENKUlT_SG_SH_SI_E_clIS7_S7_SB_S7_EESF_SV_SG_SH_SI_EUlSV_E0_NS1_11comp_targetILNS1_3genE10ELNS1_11target_archE1201ELNS1_3gpuE5ELNS1_3repE0EEENS1_38merge_mergepath_config_static_selectorELNS0_4arch9wavefront6targetE1EEEvSH_.numbered_sgpr, 0
	.set _ZN7rocprim17ROCPRIM_400000_NS6detail17trampoline_kernelINS0_14default_configENS1_38merge_sort_block_merge_config_selectorIllEEZZNS1_27merge_sort_block_merge_implIS3_PlN6thrust23THRUST_200600_302600_NS10device_ptrIlEEjNS1_19radix_merge_compareILb0ELb1ElNS0_19identity_decomposerEEEEE10hipError_tT0_T1_T2_jT3_P12ihipStream_tbPNSt15iterator_traitsISG_E10value_typeEPNSM_ISH_E10value_typeEPSI_NS1_7vsmem_tEENKUlT_SG_SH_SI_E_clIS7_S7_SB_S7_EESF_SV_SG_SH_SI_EUlSV_E0_NS1_11comp_targetILNS1_3genE10ELNS1_11target_archE1201ELNS1_3gpuE5ELNS1_3repE0EEENS1_38merge_mergepath_config_static_selectorELNS0_4arch9wavefront6targetE1EEEvSH_.num_named_barrier, 0
	.set _ZN7rocprim17ROCPRIM_400000_NS6detail17trampoline_kernelINS0_14default_configENS1_38merge_sort_block_merge_config_selectorIllEEZZNS1_27merge_sort_block_merge_implIS3_PlN6thrust23THRUST_200600_302600_NS10device_ptrIlEEjNS1_19radix_merge_compareILb0ELb1ElNS0_19identity_decomposerEEEEE10hipError_tT0_T1_T2_jT3_P12ihipStream_tbPNSt15iterator_traitsISG_E10value_typeEPNSM_ISH_E10value_typeEPSI_NS1_7vsmem_tEENKUlT_SG_SH_SI_E_clIS7_S7_SB_S7_EESF_SV_SG_SH_SI_EUlSV_E0_NS1_11comp_targetILNS1_3genE10ELNS1_11target_archE1201ELNS1_3gpuE5ELNS1_3repE0EEENS1_38merge_mergepath_config_static_selectorELNS0_4arch9wavefront6targetE1EEEvSH_.private_seg_size, 0
	.set _ZN7rocprim17ROCPRIM_400000_NS6detail17trampoline_kernelINS0_14default_configENS1_38merge_sort_block_merge_config_selectorIllEEZZNS1_27merge_sort_block_merge_implIS3_PlN6thrust23THRUST_200600_302600_NS10device_ptrIlEEjNS1_19radix_merge_compareILb0ELb1ElNS0_19identity_decomposerEEEEE10hipError_tT0_T1_T2_jT3_P12ihipStream_tbPNSt15iterator_traitsISG_E10value_typeEPNSM_ISH_E10value_typeEPSI_NS1_7vsmem_tEENKUlT_SG_SH_SI_E_clIS7_S7_SB_S7_EESF_SV_SG_SH_SI_EUlSV_E0_NS1_11comp_targetILNS1_3genE10ELNS1_11target_archE1201ELNS1_3gpuE5ELNS1_3repE0EEENS1_38merge_mergepath_config_static_selectorELNS0_4arch9wavefront6targetE1EEEvSH_.uses_vcc, 0
	.set _ZN7rocprim17ROCPRIM_400000_NS6detail17trampoline_kernelINS0_14default_configENS1_38merge_sort_block_merge_config_selectorIllEEZZNS1_27merge_sort_block_merge_implIS3_PlN6thrust23THRUST_200600_302600_NS10device_ptrIlEEjNS1_19radix_merge_compareILb0ELb1ElNS0_19identity_decomposerEEEEE10hipError_tT0_T1_T2_jT3_P12ihipStream_tbPNSt15iterator_traitsISG_E10value_typeEPNSM_ISH_E10value_typeEPSI_NS1_7vsmem_tEENKUlT_SG_SH_SI_E_clIS7_S7_SB_S7_EESF_SV_SG_SH_SI_EUlSV_E0_NS1_11comp_targetILNS1_3genE10ELNS1_11target_archE1201ELNS1_3gpuE5ELNS1_3repE0EEENS1_38merge_mergepath_config_static_selectorELNS0_4arch9wavefront6targetE1EEEvSH_.uses_flat_scratch, 0
	.set _ZN7rocprim17ROCPRIM_400000_NS6detail17trampoline_kernelINS0_14default_configENS1_38merge_sort_block_merge_config_selectorIllEEZZNS1_27merge_sort_block_merge_implIS3_PlN6thrust23THRUST_200600_302600_NS10device_ptrIlEEjNS1_19radix_merge_compareILb0ELb1ElNS0_19identity_decomposerEEEEE10hipError_tT0_T1_T2_jT3_P12ihipStream_tbPNSt15iterator_traitsISG_E10value_typeEPNSM_ISH_E10value_typeEPSI_NS1_7vsmem_tEENKUlT_SG_SH_SI_E_clIS7_S7_SB_S7_EESF_SV_SG_SH_SI_EUlSV_E0_NS1_11comp_targetILNS1_3genE10ELNS1_11target_archE1201ELNS1_3gpuE5ELNS1_3repE0EEENS1_38merge_mergepath_config_static_selectorELNS0_4arch9wavefront6targetE1EEEvSH_.has_dyn_sized_stack, 0
	.set _ZN7rocprim17ROCPRIM_400000_NS6detail17trampoline_kernelINS0_14default_configENS1_38merge_sort_block_merge_config_selectorIllEEZZNS1_27merge_sort_block_merge_implIS3_PlN6thrust23THRUST_200600_302600_NS10device_ptrIlEEjNS1_19radix_merge_compareILb0ELb1ElNS0_19identity_decomposerEEEEE10hipError_tT0_T1_T2_jT3_P12ihipStream_tbPNSt15iterator_traitsISG_E10value_typeEPNSM_ISH_E10value_typeEPSI_NS1_7vsmem_tEENKUlT_SG_SH_SI_E_clIS7_S7_SB_S7_EESF_SV_SG_SH_SI_EUlSV_E0_NS1_11comp_targetILNS1_3genE10ELNS1_11target_archE1201ELNS1_3gpuE5ELNS1_3repE0EEENS1_38merge_mergepath_config_static_selectorELNS0_4arch9wavefront6targetE1EEEvSH_.has_recursion, 0
	.set _ZN7rocprim17ROCPRIM_400000_NS6detail17trampoline_kernelINS0_14default_configENS1_38merge_sort_block_merge_config_selectorIllEEZZNS1_27merge_sort_block_merge_implIS3_PlN6thrust23THRUST_200600_302600_NS10device_ptrIlEEjNS1_19radix_merge_compareILb0ELb1ElNS0_19identity_decomposerEEEEE10hipError_tT0_T1_T2_jT3_P12ihipStream_tbPNSt15iterator_traitsISG_E10value_typeEPNSM_ISH_E10value_typeEPSI_NS1_7vsmem_tEENKUlT_SG_SH_SI_E_clIS7_S7_SB_S7_EESF_SV_SG_SH_SI_EUlSV_E0_NS1_11comp_targetILNS1_3genE10ELNS1_11target_archE1201ELNS1_3gpuE5ELNS1_3repE0EEENS1_38merge_mergepath_config_static_selectorELNS0_4arch9wavefront6targetE1EEEvSH_.has_indirect_call, 0
	.section	.AMDGPU.csdata,"",@progbits
; Kernel info:
; codeLenInByte = 0
; TotalNumSgprs: 4
; NumVgprs: 0
; ScratchSize: 0
; MemoryBound: 0
; FloatMode: 240
; IeeeMode: 1
; LDSByteSize: 0 bytes/workgroup (compile time only)
; SGPRBlocks: 0
; VGPRBlocks: 0
; NumSGPRsForWavesPerEU: 4
; NumVGPRsForWavesPerEU: 1
; Occupancy: 10
; WaveLimiterHint : 0
; COMPUTE_PGM_RSRC2:SCRATCH_EN: 0
; COMPUTE_PGM_RSRC2:USER_SGPR: 6
; COMPUTE_PGM_RSRC2:TRAP_HANDLER: 0
; COMPUTE_PGM_RSRC2:TGID_X_EN: 1
; COMPUTE_PGM_RSRC2:TGID_Y_EN: 0
; COMPUTE_PGM_RSRC2:TGID_Z_EN: 0
; COMPUTE_PGM_RSRC2:TIDIG_COMP_CNT: 0
	.section	.text._ZN7rocprim17ROCPRIM_400000_NS6detail17trampoline_kernelINS0_14default_configENS1_38merge_sort_block_merge_config_selectorIllEEZZNS1_27merge_sort_block_merge_implIS3_PlN6thrust23THRUST_200600_302600_NS10device_ptrIlEEjNS1_19radix_merge_compareILb0ELb1ElNS0_19identity_decomposerEEEEE10hipError_tT0_T1_T2_jT3_P12ihipStream_tbPNSt15iterator_traitsISG_E10value_typeEPNSM_ISH_E10value_typeEPSI_NS1_7vsmem_tEENKUlT_SG_SH_SI_E_clIS7_S7_SB_S7_EESF_SV_SG_SH_SI_EUlSV_E0_NS1_11comp_targetILNS1_3genE5ELNS1_11target_archE942ELNS1_3gpuE9ELNS1_3repE0EEENS1_38merge_mergepath_config_static_selectorELNS0_4arch9wavefront6targetE1EEEvSH_,"axG",@progbits,_ZN7rocprim17ROCPRIM_400000_NS6detail17trampoline_kernelINS0_14default_configENS1_38merge_sort_block_merge_config_selectorIllEEZZNS1_27merge_sort_block_merge_implIS3_PlN6thrust23THRUST_200600_302600_NS10device_ptrIlEEjNS1_19radix_merge_compareILb0ELb1ElNS0_19identity_decomposerEEEEE10hipError_tT0_T1_T2_jT3_P12ihipStream_tbPNSt15iterator_traitsISG_E10value_typeEPNSM_ISH_E10value_typeEPSI_NS1_7vsmem_tEENKUlT_SG_SH_SI_E_clIS7_S7_SB_S7_EESF_SV_SG_SH_SI_EUlSV_E0_NS1_11comp_targetILNS1_3genE5ELNS1_11target_archE942ELNS1_3gpuE9ELNS1_3repE0EEENS1_38merge_mergepath_config_static_selectorELNS0_4arch9wavefront6targetE1EEEvSH_,comdat
	.protected	_ZN7rocprim17ROCPRIM_400000_NS6detail17trampoline_kernelINS0_14default_configENS1_38merge_sort_block_merge_config_selectorIllEEZZNS1_27merge_sort_block_merge_implIS3_PlN6thrust23THRUST_200600_302600_NS10device_ptrIlEEjNS1_19radix_merge_compareILb0ELb1ElNS0_19identity_decomposerEEEEE10hipError_tT0_T1_T2_jT3_P12ihipStream_tbPNSt15iterator_traitsISG_E10value_typeEPNSM_ISH_E10value_typeEPSI_NS1_7vsmem_tEENKUlT_SG_SH_SI_E_clIS7_S7_SB_S7_EESF_SV_SG_SH_SI_EUlSV_E0_NS1_11comp_targetILNS1_3genE5ELNS1_11target_archE942ELNS1_3gpuE9ELNS1_3repE0EEENS1_38merge_mergepath_config_static_selectorELNS0_4arch9wavefront6targetE1EEEvSH_ ; -- Begin function _ZN7rocprim17ROCPRIM_400000_NS6detail17trampoline_kernelINS0_14default_configENS1_38merge_sort_block_merge_config_selectorIllEEZZNS1_27merge_sort_block_merge_implIS3_PlN6thrust23THRUST_200600_302600_NS10device_ptrIlEEjNS1_19radix_merge_compareILb0ELb1ElNS0_19identity_decomposerEEEEE10hipError_tT0_T1_T2_jT3_P12ihipStream_tbPNSt15iterator_traitsISG_E10value_typeEPNSM_ISH_E10value_typeEPSI_NS1_7vsmem_tEENKUlT_SG_SH_SI_E_clIS7_S7_SB_S7_EESF_SV_SG_SH_SI_EUlSV_E0_NS1_11comp_targetILNS1_3genE5ELNS1_11target_archE942ELNS1_3gpuE9ELNS1_3repE0EEENS1_38merge_mergepath_config_static_selectorELNS0_4arch9wavefront6targetE1EEEvSH_
	.globl	_ZN7rocprim17ROCPRIM_400000_NS6detail17trampoline_kernelINS0_14default_configENS1_38merge_sort_block_merge_config_selectorIllEEZZNS1_27merge_sort_block_merge_implIS3_PlN6thrust23THRUST_200600_302600_NS10device_ptrIlEEjNS1_19radix_merge_compareILb0ELb1ElNS0_19identity_decomposerEEEEE10hipError_tT0_T1_T2_jT3_P12ihipStream_tbPNSt15iterator_traitsISG_E10value_typeEPNSM_ISH_E10value_typeEPSI_NS1_7vsmem_tEENKUlT_SG_SH_SI_E_clIS7_S7_SB_S7_EESF_SV_SG_SH_SI_EUlSV_E0_NS1_11comp_targetILNS1_3genE5ELNS1_11target_archE942ELNS1_3gpuE9ELNS1_3repE0EEENS1_38merge_mergepath_config_static_selectorELNS0_4arch9wavefront6targetE1EEEvSH_
	.p2align	8
	.type	_ZN7rocprim17ROCPRIM_400000_NS6detail17trampoline_kernelINS0_14default_configENS1_38merge_sort_block_merge_config_selectorIllEEZZNS1_27merge_sort_block_merge_implIS3_PlN6thrust23THRUST_200600_302600_NS10device_ptrIlEEjNS1_19radix_merge_compareILb0ELb1ElNS0_19identity_decomposerEEEEE10hipError_tT0_T1_T2_jT3_P12ihipStream_tbPNSt15iterator_traitsISG_E10value_typeEPNSM_ISH_E10value_typeEPSI_NS1_7vsmem_tEENKUlT_SG_SH_SI_E_clIS7_S7_SB_S7_EESF_SV_SG_SH_SI_EUlSV_E0_NS1_11comp_targetILNS1_3genE5ELNS1_11target_archE942ELNS1_3gpuE9ELNS1_3repE0EEENS1_38merge_mergepath_config_static_selectorELNS0_4arch9wavefront6targetE1EEEvSH_,@function
_ZN7rocprim17ROCPRIM_400000_NS6detail17trampoline_kernelINS0_14default_configENS1_38merge_sort_block_merge_config_selectorIllEEZZNS1_27merge_sort_block_merge_implIS3_PlN6thrust23THRUST_200600_302600_NS10device_ptrIlEEjNS1_19radix_merge_compareILb0ELb1ElNS0_19identity_decomposerEEEEE10hipError_tT0_T1_T2_jT3_P12ihipStream_tbPNSt15iterator_traitsISG_E10value_typeEPNSM_ISH_E10value_typeEPSI_NS1_7vsmem_tEENKUlT_SG_SH_SI_E_clIS7_S7_SB_S7_EESF_SV_SG_SH_SI_EUlSV_E0_NS1_11comp_targetILNS1_3genE5ELNS1_11target_archE942ELNS1_3gpuE9ELNS1_3repE0EEENS1_38merge_mergepath_config_static_selectorELNS0_4arch9wavefront6targetE1EEEvSH_: ; @_ZN7rocprim17ROCPRIM_400000_NS6detail17trampoline_kernelINS0_14default_configENS1_38merge_sort_block_merge_config_selectorIllEEZZNS1_27merge_sort_block_merge_implIS3_PlN6thrust23THRUST_200600_302600_NS10device_ptrIlEEjNS1_19radix_merge_compareILb0ELb1ElNS0_19identity_decomposerEEEEE10hipError_tT0_T1_T2_jT3_P12ihipStream_tbPNSt15iterator_traitsISG_E10value_typeEPNSM_ISH_E10value_typeEPSI_NS1_7vsmem_tEENKUlT_SG_SH_SI_E_clIS7_S7_SB_S7_EESF_SV_SG_SH_SI_EUlSV_E0_NS1_11comp_targetILNS1_3genE5ELNS1_11target_archE942ELNS1_3gpuE9ELNS1_3repE0EEENS1_38merge_mergepath_config_static_selectorELNS0_4arch9wavefront6targetE1EEEvSH_
; %bb.0:
	.section	.rodata,"a",@progbits
	.p2align	6, 0x0
	.amdhsa_kernel _ZN7rocprim17ROCPRIM_400000_NS6detail17trampoline_kernelINS0_14default_configENS1_38merge_sort_block_merge_config_selectorIllEEZZNS1_27merge_sort_block_merge_implIS3_PlN6thrust23THRUST_200600_302600_NS10device_ptrIlEEjNS1_19radix_merge_compareILb0ELb1ElNS0_19identity_decomposerEEEEE10hipError_tT0_T1_T2_jT3_P12ihipStream_tbPNSt15iterator_traitsISG_E10value_typeEPNSM_ISH_E10value_typeEPSI_NS1_7vsmem_tEENKUlT_SG_SH_SI_E_clIS7_S7_SB_S7_EESF_SV_SG_SH_SI_EUlSV_E0_NS1_11comp_targetILNS1_3genE5ELNS1_11target_archE942ELNS1_3gpuE9ELNS1_3repE0EEENS1_38merge_mergepath_config_static_selectorELNS0_4arch9wavefront6targetE1EEEvSH_
		.amdhsa_group_segment_fixed_size 0
		.amdhsa_private_segment_fixed_size 0
		.amdhsa_kernarg_size 72
		.amdhsa_user_sgpr_count 6
		.amdhsa_user_sgpr_private_segment_buffer 1
		.amdhsa_user_sgpr_dispatch_ptr 0
		.amdhsa_user_sgpr_queue_ptr 0
		.amdhsa_user_sgpr_kernarg_segment_ptr 1
		.amdhsa_user_sgpr_dispatch_id 0
		.amdhsa_user_sgpr_flat_scratch_init 0
		.amdhsa_user_sgpr_private_segment_size 0
		.amdhsa_uses_dynamic_stack 0
		.amdhsa_system_sgpr_private_segment_wavefront_offset 0
		.amdhsa_system_sgpr_workgroup_id_x 1
		.amdhsa_system_sgpr_workgroup_id_y 0
		.amdhsa_system_sgpr_workgroup_id_z 0
		.amdhsa_system_sgpr_workgroup_info 0
		.amdhsa_system_vgpr_workitem_id 0
		.amdhsa_next_free_vgpr 1
		.amdhsa_next_free_sgpr 0
		.amdhsa_reserve_vcc 0
		.amdhsa_reserve_flat_scratch 0
		.amdhsa_float_round_mode_32 0
		.amdhsa_float_round_mode_16_64 0
		.amdhsa_float_denorm_mode_32 3
		.amdhsa_float_denorm_mode_16_64 3
		.amdhsa_dx10_clamp 1
		.amdhsa_ieee_mode 1
		.amdhsa_fp16_overflow 0
		.amdhsa_exception_fp_ieee_invalid_op 0
		.amdhsa_exception_fp_denorm_src 0
		.amdhsa_exception_fp_ieee_div_zero 0
		.amdhsa_exception_fp_ieee_overflow 0
		.amdhsa_exception_fp_ieee_underflow 0
		.amdhsa_exception_fp_ieee_inexact 0
		.amdhsa_exception_int_div_zero 0
	.end_amdhsa_kernel
	.section	.text._ZN7rocprim17ROCPRIM_400000_NS6detail17trampoline_kernelINS0_14default_configENS1_38merge_sort_block_merge_config_selectorIllEEZZNS1_27merge_sort_block_merge_implIS3_PlN6thrust23THRUST_200600_302600_NS10device_ptrIlEEjNS1_19radix_merge_compareILb0ELb1ElNS0_19identity_decomposerEEEEE10hipError_tT0_T1_T2_jT3_P12ihipStream_tbPNSt15iterator_traitsISG_E10value_typeEPNSM_ISH_E10value_typeEPSI_NS1_7vsmem_tEENKUlT_SG_SH_SI_E_clIS7_S7_SB_S7_EESF_SV_SG_SH_SI_EUlSV_E0_NS1_11comp_targetILNS1_3genE5ELNS1_11target_archE942ELNS1_3gpuE9ELNS1_3repE0EEENS1_38merge_mergepath_config_static_selectorELNS0_4arch9wavefront6targetE1EEEvSH_,"axG",@progbits,_ZN7rocprim17ROCPRIM_400000_NS6detail17trampoline_kernelINS0_14default_configENS1_38merge_sort_block_merge_config_selectorIllEEZZNS1_27merge_sort_block_merge_implIS3_PlN6thrust23THRUST_200600_302600_NS10device_ptrIlEEjNS1_19radix_merge_compareILb0ELb1ElNS0_19identity_decomposerEEEEE10hipError_tT0_T1_T2_jT3_P12ihipStream_tbPNSt15iterator_traitsISG_E10value_typeEPNSM_ISH_E10value_typeEPSI_NS1_7vsmem_tEENKUlT_SG_SH_SI_E_clIS7_S7_SB_S7_EESF_SV_SG_SH_SI_EUlSV_E0_NS1_11comp_targetILNS1_3genE5ELNS1_11target_archE942ELNS1_3gpuE9ELNS1_3repE0EEENS1_38merge_mergepath_config_static_selectorELNS0_4arch9wavefront6targetE1EEEvSH_,comdat
.Lfunc_end1100:
	.size	_ZN7rocprim17ROCPRIM_400000_NS6detail17trampoline_kernelINS0_14default_configENS1_38merge_sort_block_merge_config_selectorIllEEZZNS1_27merge_sort_block_merge_implIS3_PlN6thrust23THRUST_200600_302600_NS10device_ptrIlEEjNS1_19radix_merge_compareILb0ELb1ElNS0_19identity_decomposerEEEEE10hipError_tT0_T1_T2_jT3_P12ihipStream_tbPNSt15iterator_traitsISG_E10value_typeEPNSM_ISH_E10value_typeEPSI_NS1_7vsmem_tEENKUlT_SG_SH_SI_E_clIS7_S7_SB_S7_EESF_SV_SG_SH_SI_EUlSV_E0_NS1_11comp_targetILNS1_3genE5ELNS1_11target_archE942ELNS1_3gpuE9ELNS1_3repE0EEENS1_38merge_mergepath_config_static_selectorELNS0_4arch9wavefront6targetE1EEEvSH_, .Lfunc_end1100-_ZN7rocprim17ROCPRIM_400000_NS6detail17trampoline_kernelINS0_14default_configENS1_38merge_sort_block_merge_config_selectorIllEEZZNS1_27merge_sort_block_merge_implIS3_PlN6thrust23THRUST_200600_302600_NS10device_ptrIlEEjNS1_19radix_merge_compareILb0ELb1ElNS0_19identity_decomposerEEEEE10hipError_tT0_T1_T2_jT3_P12ihipStream_tbPNSt15iterator_traitsISG_E10value_typeEPNSM_ISH_E10value_typeEPSI_NS1_7vsmem_tEENKUlT_SG_SH_SI_E_clIS7_S7_SB_S7_EESF_SV_SG_SH_SI_EUlSV_E0_NS1_11comp_targetILNS1_3genE5ELNS1_11target_archE942ELNS1_3gpuE9ELNS1_3repE0EEENS1_38merge_mergepath_config_static_selectorELNS0_4arch9wavefront6targetE1EEEvSH_
                                        ; -- End function
	.set _ZN7rocprim17ROCPRIM_400000_NS6detail17trampoline_kernelINS0_14default_configENS1_38merge_sort_block_merge_config_selectorIllEEZZNS1_27merge_sort_block_merge_implIS3_PlN6thrust23THRUST_200600_302600_NS10device_ptrIlEEjNS1_19radix_merge_compareILb0ELb1ElNS0_19identity_decomposerEEEEE10hipError_tT0_T1_T2_jT3_P12ihipStream_tbPNSt15iterator_traitsISG_E10value_typeEPNSM_ISH_E10value_typeEPSI_NS1_7vsmem_tEENKUlT_SG_SH_SI_E_clIS7_S7_SB_S7_EESF_SV_SG_SH_SI_EUlSV_E0_NS1_11comp_targetILNS1_3genE5ELNS1_11target_archE942ELNS1_3gpuE9ELNS1_3repE0EEENS1_38merge_mergepath_config_static_selectorELNS0_4arch9wavefront6targetE1EEEvSH_.num_vgpr, 0
	.set _ZN7rocprim17ROCPRIM_400000_NS6detail17trampoline_kernelINS0_14default_configENS1_38merge_sort_block_merge_config_selectorIllEEZZNS1_27merge_sort_block_merge_implIS3_PlN6thrust23THRUST_200600_302600_NS10device_ptrIlEEjNS1_19radix_merge_compareILb0ELb1ElNS0_19identity_decomposerEEEEE10hipError_tT0_T1_T2_jT3_P12ihipStream_tbPNSt15iterator_traitsISG_E10value_typeEPNSM_ISH_E10value_typeEPSI_NS1_7vsmem_tEENKUlT_SG_SH_SI_E_clIS7_S7_SB_S7_EESF_SV_SG_SH_SI_EUlSV_E0_NS1_11comp_targetILNS1_3genE5ELNS1_11target_archE942ELNS1_3gpuE9ELNS1_3repE0EEENS1_38merge_mergepath_config_static_selectorELNS0_4arch9wavefront6targetE1EEEvSH_.num_agpr, 0
	.set _ZN7rocprim17ROCPRIM_400000_NS6detail17trampoline_kernelINS0_14default_configENS1_38merge_sort_block_merge_config_selectorIllEEZZNS1_27merge_sort_block_merge_implIS3_PlN6thrust23THRUST_200600_302600_NS10device_ptrIlEEjNS1_19radix_merge_compareILb0ELb1ElNS0_19identity_decomposerEEEEE10hipError_tT0_T1_T2_jT3_P12ihipStream_tbPNSt15iterator_traitsISG_E10value_typeEPNSM_ISH_E10value_typeEPSI_NS1_7vsmem_tEENKUlT_SG_SH_SI_E_clIS7_S7_SB_S7_EESF_SV_SG_SH_SI_EUlSV_E0_NS1_11comp_targetILNS1_3genE5ELNS1_11target_archE942ELNS1_3gpuE9ELNS1_3repE0EEENS1_38merge_mergepath_config_static_selectorELNS0_4arch9wavefront6targetE1EEEvSH_.numbered_sgpr, 0
	.set _ZN7rocprim17ROCPRIM_400000_NS6detail17trampoline_kernelINS0_14default_configENS1_38merge_sort_block_merge_config_selectorIllEEZZNS1_27merge_sort_block_merge_implIS3_PlN6thrust23THRUST_200600_302600_NS10device_ptrIlEEjNS1_19radix_merge_compareILb0ELb1ElNS0_19identity_decomposerEEEEE10hipError_tT0_T1_T2_jT3_P12ihipStream_tbPNSt15iterator_traitsISG_E10value_typeEPNSM_ISH_E10value_typeEPSI_NS1_7vsmem_tEENKUlT_SG_SH_SI_E_clIS7_S7_SB_S7_EESF_SV_SG_SH_SI_EUlSV_E0_NS1_11comp_targetILNS1_3genE5ELNS1_11target_archE942ELNS1_3gpuE9ELNS1_3repE0EEENS1_38merge_mergepath_config_static_selectorELNS0_4arch9wavefront6targetE1EEEvSH_.num_named_barrier, 0
	.set _ZN7rocprim17ROCPRIM_400000_NS6detail17trampoline_kernelINS0_14default_configENS1_38merge_sort_block_merge_config_selectorIllEEZZNS1_27merge_sort_block_merge_implIS3_PlN6thrust23THRUST_200600_302600_NS10device_ptrIlEEjNS1_19radix_merge_compareILb0ELb1ElNS0_19identity_decomposerEEEEE10hipError_tT0_T1_T2_jT3_P12ihipStream_tbPNSt15iterator_traitsISG_E10value_typeEPNSM_ISH_E10value_typeEPSI_NS1_7vsmem_tEENKUlT_SG_SH_SI_E_clIS7_S7_SB_S7_EESF_SV_SG_SH_SI_EUlSV_E0_NS1_11comp_targetILNS1_3genE5ELNS1_11target_archE942ELNS1_3gpuE9ELNS1_3repE0EEENS1_38merge_mergepath_config_static_selectorELNS0_4arch9wavefront6targetE1EEEvSH_.private_seg_size, 0
	.set _ZN7rocprim17ROCPRIM_400000_NS6detail17trampoline_kernelINS0_14default_configENS1_38merge_sort_block_merge_config_selectorIllEEZZNS1_27merge_sort_block_merge_implIS3_PlN6thrust23THRUST_200600_302600_NS10device_ptrIlEEjNS1_19radix_merge_compareILb0ELb1ElNS0_19identity_decomposerEEEEE10hipError_tT0_T1_T2_jT3_P12ihipStream_tbPNSt15iterator_traitsISG_E10value_typeEPNSM_ISH_E10value_typeEPSI_NS1_7vsmem_tEENKUlT_SG_SH_SI_E_clIS7_S7_SB_S7_EESF_SV_SG_SH_SI_EUlSV_E0_NS1_11comp_targetILNS1_3genE5ELNS1_11target_archE942ELNS1_3gpuE9ELNS1_3repE0EEENS1_38merge_mergepath_config_static_selectorELNS0_4arch9wavefront6targetE1EEEvSH_.uses_vcc, 0
	.set _ZN7rocprim17ROCPRIM_400000_NS6detail17trampoline_kernelINS0_14default_configENS1_38merge_sort_block_merge_config_selectorIllEEZZNS1_27merge_sort_block_merge_implIS3_PlN6thrust23THRUST_200600_302600_NS10device_ptrIlEEjNS1_19radix_merge_compareILb0ELb1ElNS0_19identity_decomposerEEEEE10hipError_tT0_T1_T2_jT3_P12ihipStream_tbPNSt15iterator_traitsISG_E10value_typeEPNSM_ISH_E10value_typeEPSI_NS1_7vsmem_tEENKUlT_SG_SH_SI_E_clIS7_S7_SB_S7_EESF_SV_SG_SH_SI_EUlSV_E0_NS1_11comp_targetILNS1_3genE5ELNS1_11target_archE942ELNS1_3gpuE9ELNS1_3repE0EEENS1_38merge_mergepath_config_static_selectorELNS0_4arch9wavefront6targetE1EEEvSH_.uses_flat_scratch, 0
	.set _ZN7rocprim17ROCPRIM_400000_NS6detail17trampoline_kernelINS0_14default_configENS1_38merge_sort_block_merge_config_selectorIllEEZZNS1_27merge_sort_block_merge_implIS3_PlN6thrust23THRUST_200600_302600_NS10device_ptrIlEEjNS1_19radix_merge_compareILb0ELb1ElNS0_19identity_decomposerEEEEE10hipError_tT0_T1_T2_jT3_P12ihipStream_tbPNSt15iterator_traitsISG_E10value_typeEPNSM_ISH_E10value_typeEPSI_NS1_7vsmem_tEENKUlT_SG_SH_SI_E_clIS7_S7_SB_S7_EESF_SV_SG_SH_SI_EUlSV_E0_NS1_11comp_targetILNS1_3genE5ELNS1_11target_archE942ELNS1_3gpuE9ELNS1_3repE0EEENS1_38merge_mergepath_config_static_selectorELNS0_4arch9wavefront6targetE1EEEvSH_.has_dyn_sized_stack, 0
	.set _ZN7rocprim17ROCPRIM_400000_NS6detail17trampoline_kernelINS0_14default_configENS1_38merge_sort_block_merge_config_selectorIllEEZZNS1_27merge_sort_block_merge_implIS3_PlN6thrust23THRUST_200600_302600_NS10device_ptrIlEEjNS1_19radix_merge_compareILb0ELb1ElNS0_19identity_decomposerEEEEE10hipError_tT0_T1_T2_jT3_P12ihipStream_tbPNSt15iterator_traitsISG_E10value_typeEPNSM_ISH_E10value_typeEPSI_NS1_7vsmem_tEENKUlT_SG_SH_SI_E_clIS7_S7_SB_S7_EESF_SV_SG_SH_SI_EUlSV_E0_NS1_11comp_targetILNS1_3genE5ELNS1_11target_archE942ELNS1_3gpuE9ELNS1_3repE0EEENS1_38merge_mergepath_config_static_selectorELNS0_4arch9wavefront6targetE1EEEvSH_.has_recursion, 0
	.set _ZN7rocprim17ROCPRIM_400000_NS6detail17trampoline_kernelINS0_14default_configENS1_38merge_sort_block_merge_config_selectorIllEEZZNS1_27merge_sort_block_merge_implIS3_PlN6thrust23THRUST_200600_302600_NS10device_ptrIlEEjNS1_19radix_merge_compareILb0ELb1ElNS0_19identity_decomposerEEEEE10hipError_tT0_T1_T2_jT3_P12ihipStream_tbPNSt15iterator_traitsISG_E10value_typeEPNSM_ISH_E10value_typeEPSI_NS1_7vsmem_tEENKUlT_SG_SH_SI_E_clIS7_S7_SB_S7_EESF_SV_SG_SH_SI_EUlSV_E0_NS1_11comp_targetILNS1_3genE5ELNS1_11target_archE942ELNS1_3gpuE9ELNS1_3repE0EEENS1_38merge_mergepath_config_static_selectorELNS0_4arch9wavefront6targetE1EEEvSH_.has_indirect_call, 0
	.section	.AMDGPU.csdata,"",@progbits
; Kernel info:
; codeLenInByte = 0
; TotalNumSgprs: 4
; NumVgprs: 0
; ScratchSize: 0
; MemoryBound: 0
; FloatMode: 240
; IeeeMode: 1
; LDSByteSize: 0 bytes/workgroup (compile time only)
; SGPRBlocks: 0
; VGPRBlocks: 0
; NumSGPRsForWavesPerEU: 4
; NumVGPRsForWavesPerEU: 1
; Occupancy: 10
; WaveLimiterHint : 0
; COMPUTE_PGM_RSRC2:SCRATCH_EN: 0
; COMPUTE_PGM_RSRC2:USER_SGPR: 6
; COMPUTE_PGM_RSRC2:TRAP_HANDLER: 0
; COMPUTE_PGM_RSRC2:TGID_X_EN: 1
; COMPUTE_PGM_RSRC2:TGID_Y_EN: 0
; COMPUTE_PGM_RSRC2:TGID_Z_EN: 0
; COMPUTE_PGM_RSRC2:TIDIG_COMP_CNT: 0
	.section	.text._ZN7rocprim17ROCPRIM_400000_NS6detail17trampoline_kernelINS0_14default_configENS1_38merge_sort_block_merge_config_selectorIllEEZZNS1_27merge_sort_block_merge_implIS3_PlN6thrust23THRUST_200600_302600_NS10device_ptrIlEEjNS1_19radix_merge_compareILb0ELb1ElNS0_19identity_decomposerEEEEE10hipError_tT0_T1_T2_jT3_P12ihipStream_tbPNSt15iterator_traitsISG_E10value_typeEPNSM_ISH_E10value_typeEPSI_NS1_7vsmem_tEENKUlT_SG_SH_SI_E_clIS7_S7_SB_S7_EESF_SV_SG_SH_SI_EUlSV_E0_NS1_11comp_targetILNS1_3genE4ELNS1_11target_archE910ELNS1_3gpuE8ELNS1_3repE0EEENS1_38merge_mergepath_config_static_selectorELNS0_4arch9wavefront6targetE1EEEvSH_,"axG",@progbits,_ZN7rocprim17ROCPRIM_400000_NS6detail17trampoline_kernelINS0_14default_configENS1_38merge_sort_block_merge_config_selectorIllEEZZNS1_27merge_sort_block_merge_implIS3_PlN6thrust23THRUST_200600_302600_NS10device_ptrIlEEjNS1_19radix_merge_compareILb0ELb1ElNS0_19identity_decomposerEEEEE10hipError_tT0_T1_T2_jT3_P12ihipStream_tbPNSt15iterator_traitsISG_E10value_typeEPNSM_ISH_E10value_typeEPSI_NS1_7vsmem_tEENKUlT_SG_SH_SI_E_clIS7_S7_SB_S7_EESF_SV_SG_SH_SI_EUlSV_E0_NS1_11comp_targetILNS1_3genE4ELNS1_11target_archE910ELNS1_3gpuE8ELNS1_3repE0EEENS1_38merge_mergepath_config_static_selectorELNS0_4arch9wavefront6targetE1EEEvSH_,comdat
	.protected	_ZN7rocprim17ROCPRIM_400000_NS6detail17trampoline_kernelINS0_14default_configENS1_38merge_sort_block_merge_config_selectorIllEEZZNS1_27merge_sort_block_merge_implIS3_PlN6thrust23THRUST_200600_302600_NS10device_ptrIlEEjNS1_19radix_merge_compareILb0ELb1ElNS0_19identity_decomposerEEEEE10hipError_tT0_T1_T2_jT3_P12ihipStream_tbPNSt15iterator_traitsISG_E10value_typeEPNSM_ISH_E10value_typeEPSI_NS1_7vsmem_tEENKUlT_SG_SH_SI_E_clIS7_S7_SB_S7_EESF_SV_SG_SH_SI_EUlSV_E0_NS1_11comp_targetILNS1_3genE4ELNS1_11target_archE910ELNS1_3gpuE8ELNS1_3repE0EEENS1_38merge_mergepath_config_static_selectorELNS0_4arch9wavefront6targetE1EEEvSH_ ; -- Begin function _ZN7rocprim17ROCPRIM_400000_NS6detail17trampoline_kernelINS0_14default_configENS1_38merge_sort_block_merge_config_selectorIllEEZZNS1_27merge_sort_block_merge_implIS3_PlN6thrust23THRUST_200600_302600_NS10device_ptrIlEEjNS1_19radix_merge_compareILb0ELb1ElNS0_19identity_decomposerEEEEE10hipError_tT0_T1_T2_jT3_P12ihipStream_tbPNSt15iterator_traitsISG_E10value_typeEPNSM_ISH_E10value_typeEPSI_NS1_7vsmem_tEENKUlT_SG_SH_SI_E_clIS7_S7_SB_S7_EESF_SV_SG_SH_SI_EUlSV_E0_NS1_11comp_targetILNS1_3genE4ELNS1_11target_archE910ELNS1_3gpuE8ELNS1_3repE0EEENS1_38merge_mergepath_config_static_selectorELNS0_4arch9wavefront6targetE1EEEvSH_
	.globl	_ZN7rocprim17ROCPRIM_400000_NS6detail17trampoline_kernelINS0_14default_configENS1_38merge_sort_block_merge_config_selectorIllEEZZNS1_27merge_sort_block_merge_implIS3_PlN6thrust23THRUST_200600_302600_NS10device_ptrIlEEjNS1_19radix_merge_compareILb0ELb1ElNS0_19identity_decomposerEEEEE10hipError_tT0_T1_T2_jT3_P12ihipStream_tbPNSt15iterator_traitsISG_E10value_typeEPNSM_ISH_E10value_typeEPSI_NS1_7vsmem_tEENKUlT_SG_SH_SI_E_clIS7_S7_SB_S7_EESF_SV_SG_SH_SI_EUlSV_E0_NS1_11comp_targetILNS1_3genE4ELNS1_11target_archE910ELNS1_3gpuE8ELNS1_3repE0EEENS1_38merge_mergepath_config_static_selectorELNS0_4arch9wavefront6targetE1EEEvSH_
	.p2align	8
	.type	_ZN7rocprim17ROCPRIM_400000_NS6detail17trampoline_kernelINS0_14default_configENS1_38merge_sort_block_merge_config_selectorIllEEZZNS1_27merge_sort_block_merge_implIS3_PlN6thrust23THRUST_200600_302600_NS10device_ptrIlEEjNS1_19radix_merge_compareILb0ELb1ElNS0_19identity_decomposerEEEEE10hipError_tT0_T1_T2_jT3_P12ihipStream_tbPNSt15iterator_traitsISG_E10value_typeEPNSM_ISH_E10value_typeEPSI_NS1_7vsmem_tEENKUlT_SG_SH_SI_E_clIS7_S7_SB_S7_EESF_SV_SG_SH_SI_EUlSV_E0_NS1_11comp_targetILNS1_3genE4ELNS1_11target_archE910ELNS1_3gpuE8ELNS1_3repE0EEENS1_38merge_mergepath_config_static_selectorELNS0_4arch9wavefront6targetE1EEEvSH_,@function
_ZN7rocprim17ROCPRIM_400000_NS6detail17trampoline_kernelINS0_14default_configENS1_38merge_sort_block_merge_config_selectorIllEEZZNS1_27merge_sort_block_merge_implIS3_PlN6thrust23THRUST_200600_302600_NS10device_ptrIlEEjNS1_19radix_merge_compareILb0ELb1ElNS0_19identity_decomposerEEEEE10hipError_tT0_T1_T2_jT3_P12ihipStream_tbPNSt15iterator_traitsISG_E10value_typeEPNSM_ISH_E10value_typeEPSI_NS1_7vsmem_tEENKUlT_SG_SH_SI_E_clIS7_S7_SB_S7_EESF_SV_SG_SH_SI_EUlSV_E0_NS1_11comp_targetILNS1_3genE4ELNS1_11target_archE910ELNS1_3gpuE8ELNS1_3repE0EEENS1_38merge_mergepath_config_static_selectorELNS0_4arch9wavefront6targetE1EEEvSH_: ; @_ZN7rocprim17ROCPRIM_400000_NS6detail17trampoline_kernelINS0_14default_configENS1_38merge_sort_block_merge_config_selectorIllEEZZNS1_27merge_sort_block_merge_implIS3_PlN6thrust23THRUST_200600_302600_NS10device_ptrIlEEjNS1_19radix_merge_compareILb0ELb1ElNS0_19identity_decomposerEEEEE10hipError_tT0_T1_T2_jT3_P12ihipStream_tbPNSt15iterator_traitsISG_E10value_typeEPNSM_ISH_E10value_typeEPSI_NS1_7vsmem_tEENKUlT_SG_SH_SI_E_clIS7_S7_SB_S7_EESF_SV_SG_SH_SI_EUlSV_E0_NS1_11comp_targetILNS1_3genE4ELNS1_11target_archE910ELNS1_3gpuE8ELNS1_3repE0EEENS1_38merge_mergepath_config_static_selectorELNS0_4arch9wavefront6targetE1EEEvSH_
; %bb.0:
	.section	.rodata,"a",@progbits
	.p2align	6, 0x0
	.amdhsa_kernel _ZN7rocprim17ROCPRIM_400000_NS6detail17trampoline_kernelINS0_14default_configENS1_38merge_sort_block_merge_config_selectorIllEEZZNS1_27merge_sort_block_merge_implIS3_PlN6thrust23THRUST_200600_302600_NS10device_ptrIlEEjNS1_19radix_merge_compareILb0ELb1ElNS0_19identity_decomposerEEEEE10hipError_tT0_T1_T2_jT3_P12ihipStream_tbPNSt15iterator_traitsISG_E10value_typeEPNSM_ISH_E10value_typeEPSI_NS1_7vsmem_tEENKUlT_SG_SH_SI_E_clIS7_S7_SB_S7_EESF_SV_SG_SH_SI_EUlSV_E0_NS1_11comp_targetILNS1_3genE4ELNS1_11target_archE910ELNS1_3gpuE8ELNS1_3repE0EEENS1_38merge_mergepath_config_static_selectorELNS0_4arch9wavefront6targetE1EEEvSH_
		.amdhsa_group_segment_fixed_size 0
		.amdhsa_private_segment_fixed_size 0
		.amdhsa_kernarg_size 72
		.amdhsa_user_sgpr_count 6
		.amdhsa_user_sgpr_private_segment_buffer 1
		.amdhsa_user_sgpr_dispatch_ptr 0
		.amdhsa_user_sgpr_queue_ptr 0
		.amdhsa_user_sgpr_kernarg_segment_ptr 1
		.amdhsa_user_sgpr_dispatch_id 0
		.amdhsa_user_sgpr_flat_scratch_init 0
		.amdhsa_user_sgpr_private_segment_size 0
		.amdhsa_uses_dynamic_stack 0
		.amdhsa_system_sgpr_private_segment_wavefront_offset 0
		.amdhsa_system_sgpr_workgroup_id_x 1
		.amdhsa_system_sgpr_workgroup_id_y 0
		.amdhsa_system_sgpr_workgroup_id_z 0
		.amdhsa_system_sgpr_workgroup_info 0
		.amdhsa_system_vgpr_workitem_id 0
		.amdhsa_next_free_vgpr 1
		.amdhsa_next_free_sgpr 0
		.amdhsa_reserve_vcc 0
		.amdhsa_reserve_flat_scratch 0
		.amdhsa_float_round_mode_32 0
		.amdhsa_float_round_mode_16_64 0
		.amdhsa_float_denorm_mode_32 3
		.amdhsa_float_denorm_mode_16_64 3
		.amdhsa_dx10_clamp 1
		.amdhsa_ieee_mode 1
		.amdhsa_fp16_overflow 0
		.amdhsa_exception_fp_ieee_invalid_op 0
		.amdhsa_exception_fp_denorm_src 0
		.amdhsa_exception_fp_ieee_div_zero 0
		.amdhsa_exception_fp_ieee_overflow 0
		.amdhsa_exception_fp_ieee_underflow 0
		.amdhsa_exception_fp_ieee_inexact 0
		.amdhsa_exception_int_div_zero 0
	.end_amdhsa_kernel
	.section	.text._ZN7rocprim17ROCPRIM_400000_NS6detail17trampoline_kernelINS0_14default_configENS1_38merge_sort_block_merge_config_selectorIllEEZZNS1_27merge_sort_block_merge_implIS3_PlN6thrust23THRUST_200600_302600_NS10device_ptrIlEEjNS1_19radix_merge_compareILb0ELb1ElNS0_19identity_decomposerEEEEE10hipError_tT0_T1_T2_jT3_P12ihipStream_tbPNSt15iterator_traitsISG_E10value_typeEPNSM_ISH_E10value_typeEPSI_NS1_7vsmem_tEENKUlT_SG_SH_SI_E_clIS7_S7_SB_S7_EESF_SV_SG_SH_SI_EUlSV_E0_NS1_11comp_targetILNS1_3genE4ELNS1_11target_archE910ELNS1_3gpuE8ELNS1_3repE0EEENS1_38merge_mergepath_config_static_selectorELNS0_4arch9wavefront6targetE1EEEvSH_,"axG",@progbits,_ZN7rocprim17ROCPRIM_400000_NS6detail17trampoline_kernelINS0_14default_configENS1_38merge_sort_block_merge_config_selectorIllEEZZNS1_27merge_sort_block_merge_implIS3_PlN6thrust23THRUST_200600_302600_NS10device_ptrIlEEjNS1_19radix_merge_compareILb0ELb1ElNS0_19identity_decomposerEEEEE10hipError_tT0_T1_T2_jT3_P12ihipStream_tbPNSt15iterator_traitsISG_E10value_typeEPNSM_ISH_E10value_typeEPSI_NS1_7vsmem_tEENKUlT_SG_SH_SI_E_clIS7_S7_SB_S7_EESF_SV_SG_SH_SI_EUlSV_E0_NS1_11comp_targetILNS1_3genE4ELNS1_11target_archE910ELNS1_3gpuE8ELNS1_3repE0EEENS1_38merge_mergepath_config_static_selectorELNS0_4arch9wavefront6targetE1EEEvSH_,comdat
.Lfunc_end1101:
	.size	_ZN7rocprim17ROCPRIM_400000_NS6detail17trampoline_kernelINS0_14default_configENS1_38merge_sort_block_merge_config_selectorIllEEZZNS1_27merge_sort_block_merge_implIS3_PlN6thrust23THRUST_200600_302600_NS10device_ptrIlEEjNS1_19radix_merge_compareILb0ELb1ElNS0_19identity_decomposerEEEEE10hipError_tT0_T1_T2_jT3_P12ihipStream_tbPNSt15iterator_traitsISG_E10value_typeEPNSM_ISH_E10value_typeEPSI_NS1_7vsmem_tEENKUlT_SG_SH_SI_E_clIS7_S7_SB_S7_EESF_SV_SG_SH_SI_EUlSV_E0_NS1_11comp_targetILNS1_3genE4ELNS1_11target_archE910ELNS1_3gpuE8ELNS1_3repE0EEENS1_38merge_mergepath_config_static_selectorELNS0_4arch9wavefront6targetE1EEEvSH_, .Lfunc_end1101-_ZN7rocprim17ROCPRIM_400000_NS6detail17trampoline_kernelINS0_14default_configENS1_38merge_sort_block_merge_config_selectorIllEEZZNS1_27merge_sort_block_merge_implIS3_PlN6thrust23THRUST_200600_302600_NS10device_ptrIlEEjNS1_19radix_merge_compareILb0ELb1ElNS0_19identity_decomposerEEEEE10hipError_tT0_T1_T2_jT3_P12ihipStream_tbPNSt15iterator_traitsISG_E10value_typeEPNSM_ISH_E10value_typeEPSI_NS1_7vsmem_tEENKUlT_SG_SH_SI_E_clIS7_S7_SB_S7_EESF_SV_SG_SH_SI_EUlSV_E0_NS1_11comp_targetILNS1_3genE4ELNS1_11target_archE910ELNS1_3gpuE8ELNS1_3repE0EEENS1_38merge_mergepath_config_static_selectorELNS0_4arch9wavefront6targetE1EEEvSH_
                                        ; -- End function
	.set _ZN7rocprim17ROCPRIM_400000_NS6detail17trampoline_kernelINS0_14default_configENS1_38merge_sort_block_merge_config_selectorIllEEZZNS1_27merge_sort_block_merge_implIS3_PlN6thrust23THRUST_200600_302600_NS10device_ptrIlEEjNS1_19radix_merge_compareILb0ELb1ElNS0_19identity_decomposerEEEEE10hipError_tT0_T1_T2_jT3_P12ihipStream_tbPNSt15iterator_traitsISG_E10value_typeEPNSM_ISH_E10value_typeEPSI_NS1_7vsmem_tEENKUlT_SG_SH_SI_E_clIS7_S7_SB_S7_EESF_SV_SG_SH_SI_EUlSV_E0_NS1_11comp_targetILNS1_3genE4ELNS1_11target_archE910ELNS1_3gpuE8ELNS1_3repE0EEENS1_38merge_mergepath_config_static_selectorELNS0_4arch9wavefront6targetE1EEEvSH_.num_vgpr, 0
	.set _ZN7rocprim17ROCPRIM_400000_NS6detail17trampoline_kernelINS0_14default_configENS1_38merge_sort_block_merge_config_selectorIllEEZZNS1_27merge_sort_block_merge_implIS3_PlN6thrust23THRUST_200600_302600_NS10device_ptrIlEEjNS1_19radix_merge_compareILb0ELb1ElNS0_19identity_decomposerEEEEE10hipError_tT0_T1_T2_jT3_P12ihipStream_tbPNSt15iterator_traitsISG_E10value_typeEPNSM_ISH_E10value_typeEPSI_NS1_7vsmem_tEENKUlT_SG_SH_SI_E_clIS7_S7_SB_S7_EESF_SV_SG_SH_SI_EUlSV_E0_NS1_11comp_targetILNS1_3genE4ELNS1_11target_archE910ELNS1_3gpuE8ELNS1_3repE0EEENS1_38merge_mergepath_config_static_selectorELNS0_4arch9wavefront6targetE1EEEvSH_.num_agpr, 0
	.set _ZN7rocprim17ROCPRIM_400000_NS6detail17trampoline_kernelINS0_14default_configENS1_38merge_sort_block_merge_config_selectorIllEEZZNS1_27merge_sort_block_merge_implIS3_PlN6thrust23THRUST_200600_302600_NS10device_ptrIlEEjNS1_19radix_merge_compareILb0ELb1ElNS0_19identity_decomposerEEEEE10hipError_tT0_T1_T2_jT3_P12ihipStream_tbPNSt15iterator_traitsISG_E10value_typeEPNSM_ISH_E10value_typeEPSI_NS1_7vsmem_tEENKUlT_SG_SH_SI_E_clIS7_S7_SB_S7_EESF_SV_SG_SH_SI_EUlSV_E0_NS1_11comp_targetILNS1_3genE4ELNS1_11target_archE910ELNS1_3gpuE8ELNS1_3repE0EEENS1_38merge_mergepath_config_static_selectorELNS0_4arch9wavefront6targetE1EEEvSH_.numbered_sgpr, 0
	.set _ZN7rocprim17ROCPRIM_400000_NS6detail17trampoline_kernelINS0_14default_configENS1_38merge_sort_block_merge_config_selectorIllEEZZNS1_27merge_sort_block_merge_implIS3_PlN6thrust23THRUST_200600_302600_NS10device_ptrIlEEjNS1_19radix_merge_compareILb0ELb1ElNS0_19identity_decomposerEEEEE10hipError_tT0_T1_T2_jT3_P12ihipStream_tbPNSt15iterator_traitsISG_E10value_typeEPNSM_ISH_E10value_typeEPSI_NS1_7vsmem_tEENKUlT_SG_SH_SI_E_clIS7_S7_SB_S7_EESF_SV_SG_SH_SI_EUlSV_E0_NS1_11comp_targetILNS1_3genE4ELNS1_11target_archE910ELNS1_3gpuE8ELNS1_3repE0EEENS1_38merge_mergepath_config_static_selectorELNS0_4arch9wavefront6targetE1EEEvSH_.num_named_barrier, 0
	.set _ZN7rocprim17ROCPRIM_400000_NS6detail17trampoline_kernelINS0_14default_configENS1_38merge_sort_block_merge_config_selectorIllEEZZNS1_27merge_sort_block_merge_implIS3_PlN6thrust23THRUST_200600_302600_NS10device_ptrIlEEjNS1_19radix_merge_compareILb0ELb1ElNS0_19identity_decomposerEEEEE10hipError_tT0_T1_T2_jT3_P12ihipStream_tbPNSt15iterator_traitsISG_E10value_typeEPNSM_ISH_E10value_typeEPSI_NS1_7vsmem_tEENKUlT_SG_SH_SI_E_clIS7_S7_SB_S7_EESF_SV_SG_SH_SI_EUlSV_E0_NS1_11comp_targetILNS1_3genE4ELNS1_11target_archE910ELNS1_3gpuE8ELNS1_3repE0EEENS1_38merge_mergepath_config_static_selectorELNS0_4arch9wavefront6targetE1EEEvSH_.private_seg_size, 0
	.set _ZN7rocprim17ROCPRIM_400000_NS6detail17trampoline_kernelINS0_14default_configENS1_38merge_sort_block_merge_config_selectorIllEEZZNS1_27merge_sort_block_merge_implIS3_PlN6thrust23THRUST_200600_302600_NS10device_ptrIlEEjNS1_19radix_merge_compareILb0ELb1ElNS0_19identity_decomposerEEEEE10hipError_tT0_T1_T2_jT3_P12ihipStream_tbPNSt15iterator_traitsISG_E10value_typeEPNSM_ISH_E10value_typeEPSI_NS1_7vsmem_tEENKUlT_SG_SH_SI_E_clIS7_S7_SB_S7_EESF_SV_SG_SH_SI_EUlSV_E0_NS1_11comp_targetILNS1_3genE4ELNS1_11target_archE910ELNS1_3gpuE8ELNS1_3repE0EEENS1_38merge_mergepath_config_static_selectorELNS0_4arch9wavefront6targetE1EEEvSH_.uses_vcc, 0
	.set _ZN7rocprim17ROCPRIM_400000_NS6detail17trampoline_kernelINS0_14default_configENS1_38merge_sort_block_merge_config_selectorIllEEZZNS1_27merge_sort_block_merge_implIS3_PlN6thrust23THRUST_200600_302600_NS10device_ptrIlEEjNS1_19radix_merge_compareILb0ELb1ElNS0_19identity_decomposerEEEEE10hipError_tT0_T1_T2_jT3_P12ihipStream_tbPNSt15iterator_traitsISG_E10value_typeEPNSM_ISH_E10value_typeEPSI_NS1_7vsmem_tEENKUlT_SG_SH_SI_E_clIS7_S7_SB_S7_EESF_SV_SG_SH_SI_EUlSV_E0_NS1_11comp_targetILNS1_3genE4ELNS1_11target_archE910ELNS1_3gpuE8ELNS1_3repE0EEENS1_38merge_mergepath_config_static_selectorELNS0_4arch9wavefront6targetE1EEEvSH_.uses_flat_scratch, 0
	.set _ZN7rocprim17ROCPRIM_400000_NS6detail17trampoline_kernelINS0_14default_configENS1_38merge_sort_block_merge_config_selectorIllEEZZNS1_27merge_sort_block_merge_implIS3_PlN6thrust23THRUST_200600_302600_NS10device_ptrIlEEjNS1_19radix_merge_compareILb0ELb1ElNS0_19identity_decomposerEEEEE10hipError_tT0_T1_T2_jT3_P12ihipStream_tbPNSt15iterator_traitsISG_E10value_typeEPNSM_ISH_E10value_typeEPSI_NS1_7vsmem_tEENKUlT_SG_SH_SI_E_clIS7_S7_SB_S7_EESF_SV_SG_SH_SI_EUlSV_E0_NS1_11comp_targetILNS1_3genE4ELNS1_11target_archE910ELNS1_3gpuE8ELNS1_3repE0EEENS1_38merge_mergepath_config_static_selectorELNS0_4arch9wavefront6targetE1EEEvSH_.has_dyn_sized_stack, 0
	.set _ZN7rocprim17ROCPRIM_400000_NS6detail17trampoline_kernelINS0_14default_configENS1_38merge_sort_block_merge_config_selectorIllEEZZNS1_27merge_sort_block_merge_implIS3_PlN6thrust23THRUST_200600_302600_NS10device_ptrIlEEjNS1_19radix_merge_compareILb0ELb1ElNS0_19identity_decomposerEEEEE10hipError_tT0_T1_T2_jT3_P12ihipStream_tbPNSt15iterator_traitsISG_E10value_typeEPNSM_ISH_E10value_typeEPSI_NS1_7vsmem_tEENKUlT_SG_SH_SI_E_clIS7_S7_SB_S7_EESF_SV_SG_SH_SI_EUlSV_E0_NS1_11comp_targetILNS1_3genE4ELNS1_11target_archE910ELNS1_3gpuE8ELNS1_3repE0EEENS1_38merge_mergepath_config_static_selectorELNS0_4arch9wavefront6targetE1EEEvSH_.has_recursion, 0
	.set _ZN7rocprim17ROCPRIM_400000_NS6detail17trampoline_kernelINS0_14default_configENS1_38merge_sort_block_merge_config_selectorIllEEZZNS1_27merge_sort_block_merge_implIS3_PlN6thrust23THRUST_200600_302600_NS10device_ptrIlEEjNS1_19radix_merge_compareILb0ELb1ElNS0_19identity_decomposerEEEEE10hipError_tT0_T1_T2_jT3_P12ihipStream_tbPNSt15iterator_traitsISG_E10value_typeEPNSM_ISH_E10value_typeEPSI_NS1_7vsmem_tEENKUlT_SG_SH_SI_E_clIS7_S7_SB_S7_EESF_SV_SG_SH_SI_EUlSV_E0_NS1_11comp_targetILNS1_3genE4ELNS1_11target_archE910ELNS1_3gpuE8ELNS1_3repE0EEENS1_38merge_mergepath_config_static_selectorELNS0_4arch9wavefront6targetE1EEEvSH_.has_indirect_call, 0
	.section	.AMDGPU.csdata,"",@progbits
; Kernel info:
; codeLenInByte = 0
; TotalNumSgprs: 4
; NumVgprs: 0
; ScratchSize: 0
; MemoryBound: 0
; FloatMode: 240
; IeeeMode: 1
; LDSByteSize: 0 bytes/workgroup (compile time only)
; SGPRBlocks: 0
; VGPRBlocks: 0
; NumSGPRsForWavesPerEU: 4
; NumVGPRsForWavesPerEU: 1
; Occupancy: 10
; WaveLimiterHint : 0
; COMPUTE_PGM_RSRC2:SCRATCH_EN: 0
; COMPUTE_PGM_RSRC2:USER_SGPR: 6
; COMPUTE_PGM_RSRC2:TRAP_HANDLER: 0
; COMPUTE_PGM_RSRC2:TGID_X_EN: 1
; COMPUTE_PGM_RSRC2:TGID_Y_EN: 0
; COMPUTE_PGM_RSRC2:TGID_Z_EN: 0
; COMPUTE_PGM_RSRC2:TIDIG_COMP_CNT: 0
	.section	.text._ZN7rocprim17ROCPRIM_400000_NS6detail17trampoline_kernelINS0_14default_configENS1_38merge_sort_block_merge_config_selectorIllEEZZNS1_27merge_sort_block_merge_implIS3_PlN6thrust23THRUST_200600_302600_NS10device_ptrIlEEjNS1_19radix_merge_compareILb0ELb1ElNS0_19identity_decomposerEEEEE10hipError_tT0_T1_T2_jT3_P12ihipStream_tbPNSt15iterator_traitsISG_E10value_typeEPNSM_ISH_E10value_typeEPSI_NS1_7vsmem_tEENKUlT_SG_SH_SI_E_clIS7_S7_SB_S7_EESF_SV_SG_SH_SI_EUlSV_E0_NS1_11comp_targetILNS1_3genE3ELNS1_11target_archE908ELNS1_3gpuE7ELNS1_3repE0EEENS1_38merge_mergepath_config_static_selectorELNS0_4arch9wavefront6targetE1EEEvSH_,"axG",@progbits,_ZN7rocprim17ROCPRIM_400000_NS6detail17trampoline_kernelINS0_14default_configENS1_38merge_sort_block_merge_config_selectorIllEEZZNS1_27merge_sort_block_merge_implIS3_PlN6thrust23THRUST_200600_302600_NS10device_ptrIlEEjNS1_19radix_merge_compareILb0ELb1ElNS0_19identity_decomposerEEEEE10hipError_tT0_T1_T2_jT3_P12ihipStream_tbPNSt15iterator_traitsISG_E10value_typeEPNSM_ISH_E10value_typeEPSI_NS1_7vsmem_tEENKUlT_SG_SH_SI_E_clIS7_S7_SB_S7_EESF_SV_SG_SH_SI_EUlSV_E0_NS1_11comp_targetILNS1_3genE3ELNS1_11target_archE908ELNS1_3gpuE7ELNS1_3repE0EEENS1_38merge_mergepath_config_static_selectorELNS0_4arch9wavefront6targetE1EEEvSH_,comdat
	.protected	_ZN7rocprim17ROCPRIM_400000_NS6detail17trampoline_kernelINS0_14default_configENS1_38merge_sort_block_merge_config_selectorIllEEZZNS1_27merge_sort_block_merge_implIS3_PlN6thrust23THRUST_200600_302600_NS10device_ptrIlEEjNS1_19radix_merge_compareILb0ELb1ElNS0_19identity_decomposerEEEEE10hipError_tT0_T1_T2_jT3_P12ihipStream_tbPNSt15iterator_traitsISG_E10value_typeEPNSM_ISH_E10value_typeEPSI_NS1_7vsmem_tEENKUlT_SG_SH_SI_E_clIS7_S7_SB_S7_EESF_SV_SG_SH_SI_EUlSV_E0_NS1_11comp_targetILNS1_3genE3ELNS1_11target_archE908ELNS1_3gpuE7ELNS1_3repE0EEENS1_38merge_mergepath_config_static_selectorELNS0_4arch9wavefront6targetE1EEEvSH_ ; -- Begin function _ZN7rocprim17ROCPRIM_400000_NS6detail17trampoline_kernelINS0_14default_configENS1_38merge_sort_block_merge_config_selectorIllEEZZNS1_27merge_sort_block_merge_implIS3_PlN6thrust23THRUST_200600_302600_NS10device_ptrIlEEjNS1_19radix_merge_compareILb0ELb1ElNS0_19identity_decomposerEEEEE10hipError_tT0_T1_T2_jT3_P12ihipStream_tbPNSt15iterator_traitsISG_E10value_typeEPNSM_ISH_E10value_typeEPSI_NS1_7vsmem_tEENKUlT_SG_SH_SI_E_clIS7_S7_SB_S7_EESF_SV_SG_SH_SI_EUlSV_E0_NS1_11comp_targetILNS1_3genE3ELNS1_11target_archE908ELNS1_3gpuE7ELNS1_3repE0EEENS1_38merge_mergepath_config_static_selectorELNS0_4arch9wavefront6targetE1EEEvSH_
	.globl	_ZN7rocprim17ROCPRIM_400000_NS6detail17trampoline_kernelINS0_14default_configENS1_38merge_sort_block_merge_config_selectorIllEEZZNS1_27merge_sort_block_merge_implIS3_PlN6thrust23THRUST_200600_302600_NS10device_ptrIlEEjNS1_19radix_merge_compareILb0ELb1ElNS0_19identity_decomposerEEEEE10hipError_tT0_T1_T2_jT3_P12ihipStream_tbPNSt15iterator_traitsISG_E10value_typeEPNSM_ISH_E10value_typeEPSI_NS1_7vsmem_tEENKUlT_SG_SH_SI_E_clIS7_S7_SB_S7_EESF_SV_SG_SH_SI_EUlSV_E0_NS1_11comp_targetILNS1_3genE3ELNS1_11target_archE908ELNS1_3gpuE7ELNS1_3repE0EEENS1_38merge_mergepath_config_static_selectorELNS0_4arch9wavefront6targetE1EEEvSH_
	.p2align	8
	.type	_ZN7rocprim17ROCPRIM_400000_NS6detail17trampoline_kernelINS0_14default_configENS1_38merge_sort_block_merge_config_selectorIllEEZZNS1_27merge_sort_block_merge_implIS3_PlN6thrust23THRUST_200600_302600_NS10device_ptrIlEEjNS1_19radix_merge_compareILb0ELb1ElNS0_19identity_decomposerEEEEE10hipError_tT0_T1_T2_jT3_P12ihipStream_tbPNSt15iterator_traitsISG_E10value_typeEPNSM_ISH_E10value_typeEPSI_NS1_7vsmem_tEENKUlT_SG_SH_SI_E_clIS7_S7_SB_S7_EESF_SV_SG_SH_SI_EUlSV_E0_NS1_11comp_targetILNS1_3genE3ELNS1_11target_archE908ELNS1_3gpuE7ELNS1_3repE0EEENS1_38merge_mergepath_config_static_selectorELNS0_4arch9wavefront6targetE1EEEvSH_,@function
_ZN7rocprim17ROCPRIM_400000_NS6detail17trampoline_kernelINS0_14default_configENS1_38merge_sort_block_merge_config_selectorIllEEZZNS1_27merge_sort_block_merge_implIS3_PlN6thrust23THRUST_200600_302600_NS10device_ptrIlEEjNS1_19radix_merge_compareILb0ELb1ElNS0_19identity_decomposerEEEEE10hipError_tT0_T1_T2_jT3_P12ihipStream_tbPNSt15iterator_traitsISG_E10value_typeEPNSM_ISH_E10value_typeEPSI_NS1_7vsmem_tEENKUlT_SG_SH_SI_E_clIS7_S7_SB_S7_EESF_SV_SG_SH_SI_EUlSV_E0_NS1_11comp_targetILNS1_3genE3ELNS1_11target_archE908ELNS1_3gpuE7ELNS1_3repE0EEENS1_38merge_mergepath_config_static_selectorELNS0_4arch9wavefront6targetE1EEEvSH_: ; @_ZN7rocprim17ROCPRIM_400000_NS6detail17trampoline_kernelINS0_14default_configENS1_38merge_sort_block_merge_config_selectorIllEEZZNS1_27merge_sort_block_merge_implIS3_PlN6thrust23THRUST_200600_302600_NS10device_ptrIlEEjNS1_19radix_merge_compareILb0ELb1ElNS0_19identity_decomposerEEEEE10hipError_tT0_T1_T2_jT3_P12ihipStream_tbPNSt15iterator_traitsISG_E10value_typeEPNSM_ISH_E10value_typeEPSI_NS1_7vsmem_tEENKUlT_SG_SH_SI_E_clIS7_S7_SB_S7_EESF_SV_SG_SH_SI_EUlSV_E0_NS1_11comp_targetILNS1_3genE3ELNS1_11target_archE908ELNS1_3gpuE7ELNS1_3repE0EEENS1_38merge_mergepath_config_static_selectorELNS0_4arch9wavefront6targetE1EEEvSH_
; %bb.0:
	.section	.rodata,"a",@progbits
	.p2align	6, 0x0
	.amdhsa_kernel _ZN7rocprim17ROCPRIM_400000_NS6detail17trampoline_kernelINS0_14default_configENS1_38merge_sort_block_merge_config_selectorIllEEZZNS1_27merge_sort_block_merge_implIS3_PlN6thrust23THRUST_200600_302600_NS10device_ptrIlEEjNS1_19radix_merge_compareILb0ELb1ElNS0_19identity_decomposerEEEEE10hipError_tT0_T1_T2_jT3_P12ihipStream_tbPNSt15iterator_traitsISG_E10value_typeEPNSM_ISH_E10value_typeEPSI_NS1_7vsmem_tEENKUlT_SG_SH_SI_E_clIS7_S7_SB_S7_EESF_SV_SG_SH_SI_EUlSV_E0_NS1_11comp_targetILNS1_3genE3ELNS1_11target_archE908ELNS1_3gpuE7ELNS1_3repE0EEENS1_38merge_mergepath_config_static_selectorELNS0_4arch9wavefront6targetE1EEEvSH_
		.amdhsa_group_segment_fixed_size 0
		.amdhsa_private_segment_fixed_size 0
		.amdhsa_kernarg_size 72
		.amdhsa_user_sgpr_count 6
		.amdhsa_user_sgpr_private_segment_buffer 1
		.amdhsa_user_sgpr_dispatch_ptr 0
		.amdhsa_user_sgpr_queue_ptr 0
		.amdhsa_user_sgpr_kernarg_segment_ptr 1
		.amdhsa_user_sgpr_dispatch_id 0
		.amdhsa_user_sgpr_flat_scratch_init 0
		.amdhsa_user_sgpr_private_segment_size 0
		.amdhsa_uses_dynamic_stack 0
		.amdhsa_system_sgpr_private_segment_wavefront_offset 0
		.amdhsa_system_sgpr_workgroup_id_x 1
		.amdhsa_system_sgpr_workgroup_id_y 0
		.amdhsa_system_sgpr_workgroup_id_z 0
		.amdhsa_system_sgpr_workgroup_info 0
		.amdhsa_system_vgpr_workitem_id 0
		.amdhsa_next_free_vgpr 1
		.amdhsa_next_free_sgpr 0
		.amdhsa_reserve_vcc 0
		.amdhsa_reserve_flat_scratch 0
		.amdhsa_float_round_mode_32 0
		.amdhsa_float_round_mode_16_64 0
		.amdhsa_float_denorm_mode_32 3
		.amdhsa_float_denorm_mode_16_64 3
		.amdhsa_dx10_clamp 1
		.amdhsa_ieee_mode 1
		.amdhsa_fp16_overflow 0
		.amdhsa_exception_fp_ieee_invalid_op 0
		.amdhsa_exception_fp_denorm_src 0
		.amdhsa_exception_fp_ieee_div_zero 0
		.amdhsa_exception_fp_ieee_overflow 0
		.amdhsa_exception_fp_ieee_underflow 0
		.amdhsa_exception_fp_ieee_inexact 0
		.amdhsa_exception_int_div_zero 0
	.end_amdhsa_kernel
	.section	.text._ZN7rocprim17ROCPRIM_400000_NS6detail17trampoline_kernelINS0_14default_configENS1_38merge_sort_block_merge_config_selectorIllEEZZNS1_27merge_sort_block_merge_implIS3_PlN6thrust23THRUST_200600_302600_NS10device_ptrIlEEjNS1_19radix_merge_compareILb0ELb1ElNS0_19identity_decomposerEEEEE10hipError_tT0_T1_T2_jT3_P12ihipStream_tbPNSt15iterator_traitsISG_E10value_typeEPNSM_ISH_E10value_typeEPSI_NS1_7vsmem_tEENKUlT_SG_SH_SI_E_clIS7_S7_SB_S7_EESF_SV_SG_SH_SI_EUlSV_E0_NS1_11comp_targetILNS1_3genE3ELNS1_11target_archE908ELNS1_3gpuE7ELNS1_3repE0EEENS1_38merge_mergepath_config_static_selectorELNS0_4arch9wavefront6targetE1EEEvSH_,"axG",@progbits,_ZN7rocprim17ROCPRIM_400000_NS6detail17trampoline_kernelINS0_14default_configENS1_38merge_sort_block_merge_config_selectorIllEEZZNS1_27merge_sort_block_merge_implIS3_PlN6thrust23THRUST_200600_302600_NS10device_ptrIlEEjNS1_19radix_merge_compareILb0ELb1ElNS0_19identity_decomposerEEEEE10hipError_tT0_T1_T2_jT3_P12ihipStream_tbPNSt15iterator_traitsISG_E10value_typeEPNSM_ISH_E10value_typeEPSI_NS1_7vsmem_tEENKUlT_SG_SH_SI_E_clIS7_S7_SB_S7_EESF_SV_SG_SH_SI_EUlSV_E0_NS1_11comp_targetILNS1_3genE3ELNS1_11target_archE908ELNS1_3gpuE7ELNS1_3repE0EEENS1_38merge_mergepath_config_static_selectorELNS0_4arch9wavefront6targetE1EEEvSH_,comdat
.Lfunc_end1102:
	.size	_ZN7rocprim17ROCPRIM_400000_NS6detail17trampoline_kernelINS0_14default_configENS1_38merge_sort_block_merge_config_selectorIllEEZZNS1_27merge_sort_block_merge_implIS3_PlN6thrust23THRUST_200600_302600_NS10device_ptrIlEEjNS1_19radix_merge_compareILb0ELb1ElNS0_19identity_decomposerEEEEE10hipError_tT0_T1_T2_jT3_P12ihipStream_tbPNSt15iterator_traitsISG_E10value_typeEPNSM_ISH_E10value_typeEPSI_NS1_7vsmem_tEENKUlT_SG_SH_SI_E_clIS7_S7_SB_S7_EESF_SV_SG_SH_SI_EUlSV_E0_NS1_11comp_targetILNS1_3genE3ELNS1_11target_archE908ELNS1_3gpuE7ELNS1_3repE0EEENS1_38merge_mergepath_config_static_selectorELNS0_4arch9wavefront6targetE1EEEvSH_, .Lfunc_end1102-_ZN7rocprim17ROCPRIM_400000_NS6detail17trampoline_kernelINS0_14default_configENS1_38merge_sort_block_merge_config_selectorIllEEZZNS1_27merge_sort_block_merge_implIS3_PlN6thrust23THRUST_200600_302600_NS10device_ptrIlEEjNS1_19radix_merge_compareILb0ELb1ElNS0_19identity_decomposerEEEEE10hipError_tT0_T1_T2_jT3_P12ihipStream_tbPNSt15iterator_traitsISG_E10value_typeEPNSM_ISH_E10value_typeEPSI_NS1_7vsmem_tEENKUlT_SG_SH_SI_E_clIS7_S7_SB_S7_EESF_SV_SG_SH_SI_EUlSV_E0_NS1_11comp_targetILNS1_3genE3ELNS1_11target_archE908ELNS1_3gpuE7ELNS1_3repE0EEENS1_38merge_mergepath_config_static_selectorELNS0_4arch9wavefront6targetE1EEEvSH_
                                        ; -- End function
	.set _ZN7rocprim17ROCPRIM_400000_NS6detail17trampoline_kernelINS0_14default_configENS1_38merge_sort_block_merge_config_selectorIllEEZZNS1_27merge_sort_block_merge_implIS3_PlN6thrust23THRUST_200600_302600_NS10device_ptrIlEEjNS1_19radix_merge_compareILb0ELb1ElNS0_19identity_decomposerEEEEE10hipError_tT0_T1_T2_jT3_P12ihipStream_tbPNSt15iterator_traitsISG_E10value_typeEPNSM_ISH_E10value_typeEPSI_NS1_7vsmem_tEENKUlT_SG_SH_SI_E_clIS7_S7_SB_S7_EESF_SV_SG_SH_SI_EUlSV_E0_NS1_11comp_targetILNS1_3genE3ELNS1_11target_archE908ELNS1_3gpuE7ELNS1_3repE0EEENS1_38merge_mergepath_config_static_selectorELNS0_4arch9wavefront6targetE1EEEvSH_.num_vgpr, 0
	.set _ZN7rocprim17ROCPRIM_400000_NS6detail17trampoline_kernelINS0_14default_configENS1_38merge_sort_block_merge_config_selectorIllEEZZNS1_27merge_sort_block_merge_implIS3_PlN6thrust23THRUST_200600_302600_NS10device_ptrIlEEjNS1_19radix_merge_compareILb0ELb1ElNS0_19identity_decomposerEEEEE10hipError_tT0_T1_T2_jT3_P12ihipStream_tbPNSt15iterator_traitsISG_E10value_typeEPNSM_ISH_E10value_typeEPSI_NS1_7vsmem_tEENKUlT_SG_SH_SI_E_clIS7_S7_SB_S7_EESF_SV_SG_SH_SI_EUlSV_E0_NS1_11comp_targetILNS1_3genE3ELNS1_11target_archE908ELNS1_3gpuE7ELNS1_3repE0EEENS1_38merge_mergepath_config_static_selectorELNS0_4arch9wavefront6targetE1EEEvSH_.num_agpr, 0
	.set _ZN7rocprim17ROCPRIM_400000_NS6detail17trampoline_kernelINS0_14default_configENS1_38merge_sort_block_merge_config_selectorIllEEZZNS1_27merge_sort_block_merge_implIS3_PlN6thrust23THRUST_200600_302600_NS10device_ptrIlEEjNS1_19radix_merge_compareILb0ELb1ElNS0_19identity_decomposerEEEEE10hipError_tT0_T1_T2_jT3_P12ihipStream_tbPNSt15iterator_traitsISG_E10value_typeEPNSM_ISH_E10value_typeEPSI_NS1_7vsmem_tEENKUlT_SG_SH_SI_E_clIS7_S7_SB_S7_EESF_SV_SG_SH_SI_EUlSV_E0_NS1_11comp_targetILNS1_3genE3ELNS1_11target_archE908ELNS1_3gpuE7ELNS1_3repE0EEENS1_38merge_mergepath_config_static_selectorELNS0_4arch9wavefront6targetE1EEEvSH_.numbered_sgpr, 0
	.set _ZN7rocprim17ROCPRIM_400000_NS6detail17trampoline_kernelINS0_14default_configENS1_38merge_sort_block_merge_config_selectorIllEEZZNS1_27merge_sort_block_merge_implIS3_PlN6thrust23THRUST_200600_302600_NS10device_ptrIlEEjNS1_19radix_merge_compareILb0ELb1ElNS0_19identity_decomposerEEEEE10hipError_tT0_T1_T2_jT3_P12ihipStream_tbPNSt15iterator_traitsISG_E10value_typeEPNSM_ISH_E10value_typeEPSI_NS1_7vsmem_tEENKUlT_SG_SH_SI_E_clIS7_S7_SB_S7_EESF_SV_SG_SH_SI_EUlSV_E0_NS1_11comp_targetILNS1_3genE3ELNS1_11target_archE908ELNS1_3gpuE7ELNS1_3repE0EEENS1_38merge_mergepath_config_static_selectorELNS0_4arch9wavefront6targetE1EEEvSH_.num_named_barrier, 0
	.set _ZN7rocprim17ROCPRIM_400000_NS6detail17trampoline_kernelINS0_14default_configENS1_38merge_sort_block_merge_config_selectorIllEEZZNS1_27merge_sort_block_merge_implIS3_PlN6thrust23THRUST_200600_302600_NS10device_ptrIlEEjNS1_19radix_merge_compareILb0ELb1ElNS0_19identity_decomposerEEEEE10hipError_tT0_T1_T2_jT3_P12ihipStream_tbPNSt15iterator_traitsISG_E10value_typeEPNSM_ISH_E10value_typeEPSI_NS1_7vsmem_tEENKUlT_SG_SH_SI_E_clIS7_S7_SB_S7_EESF_SV_SG_SH_SI_EUlSV_E0_NS1_11comp_targetILNS1_3genE3ELNS1_11target_archE908ELNS1_3gpuE7ELNS1_3repE0EEENS1_38merge_mergepath_config_static_selectorELNS0_4arch9wavefront6targetE1EEEvSH_.private_seg_size, 0
	.set _ZN7rocprim17ROCPRIM_400000_NS6detail17trampoline_kernelINS0_14default_configENS1_38merge_sort_block_merge_config_selectorIllEEZZNS1_27merge_sort_block_merge_implIS3_PlN6thrust23THRUST_200600_302600_NS10device_ptrIlEEjNS1_19radix_merge_compareILb0ELb1ElNS0_19identity_decomposerEEEEE10hipError_tT0_T1_T2_jT3_P12ihipStream_tbPNSt15iterator_traitsISG_E10value_typeEPNSM_ISH_E10value_typeEPSI_NS1_7vsmem_tEENKUlT_SG_SH_SI_E_clIS7_S7_SB_S7_EESF_SV_SG_SH_SI_EUlSV_E0_NS1_11comp_targetILNS1_3genE3ELNS1_11target_archE908ELNS1_3gpuE7ELNS1_3repE0EEENS1_38merge_mergepath_config_static_selectorELNS0_4arch9wavefront6targetE1EEEvSH_.uses_vcc, 0
	.set _ZN7rocprim17ROCPRIM_400000_NS6detail17trampoline_kernelINS0_14default_configENS1_38merge_sort_block_merge_config_selectorIllEEZZNS1_27merge_sort_block_merge_implIS3_PlN6thrust23THRUST_200600_302600_NS10device_ptrIlEEjNS1_19radix_merge_compareILb0ELb1ElNS0_19identity_decomposerEEEEE10hipError_tT0_T1_T2_jT3_P12ihipStream_tbPNSt15iterator_traitsISG_E10value_typeEPNSM_ISH_E10value_typeEPSI_NS1_7vsmem_tEENKUlT_SG_SH_SI_E_clIS7_S7_SB_S7_EESF_SV_SG_SH_SI_EUlSV_E0_NS1_11comp_targetILNS1_3genE3ELNS1_11target_archE908ELNS1_3gpuE7ELNS1_3repE0EEENS1_38merge_mergepath_config_static_selectorELNS0_4arch9wavefront6targetE1EEEvSH_.uses_flat_scratch, 0
	.set _ZN7rocprim17ROCPRIM_400000_NS6detail17trampoline_kernelINS0_14default_configENS1_38merge_sort_block_merge_config_selectorIllEEZZNS1_27merge_sort_block_merge_implIS3_PlN6thrust23THRUST_200600_302600_NS10device_ptrIlEEjNS1_19radix_merge_compareILb0ELb1ElNS0_19identity_decomposerEEEEE10hipError_tT0_T1_T2_jT3_P12ihipStream_tbPNSt15iterator_traitsISG_E10value_typeEPNSM_ISH_E10value_typeEPSI_NS1_7vsmem_tEENKUlT_SG_SH_SI_E_clIS7_S7_SB_S7_EESF_SV_SG_SH_SI_EUlSV_E0_NS1_11comp_targetILNS1_3genE3ELNS1_11target_archE908ELNS1_3gpuE7ELNS1_3repE0EEENS1_38merge_mergepath_config_static_selectorELNS0_4arch9wavefront6targetE1EEEvSH_.has_dyn_sized_stack, 0
	.set _ZN7rocprim17ROCPRIM_400000_NS6detail17trampoline_kernelINS0_14default_configENS1_38merge_sort_block_merge_config_selectorIllEEZZNS1_27merge_sort_block_merge_implIS3_PlN6thrust23THRUST_200600_302600_NS10device_ptrIlEEjNS1_19radix_merge_compareILb0ELb1ElNS0_19identity_decomposerEEEEE10hipError_tT0_T1_T2_jT3_P12ihipStream_tbPNSt15iterator_traitsISG_E10value_typeEPNSM_ISH_E10value_typeEPSI_NS1_7vsmem_tEENKUlT_SG_SH_SI_E_clIS7_S7_SB_S7_EESF_SV_SG_SH_SI_EUlSV_E0_NS1_11comp_targetILNS1_3genE3ELNS1_11target_archE908ELNS1_3gpuE7ELNS1_3repE0EEENS1_38merge_mergepath_config_static_selectorELNS0_4arch9wavefront6targetE1EEEvSH_.has_recursion, 0
	.set _ZN7rocprim17ROCPRIM_400000_NS6detail17trampoline_kernelINS0_14default_configENS1_38merge_sort_block_merge_config_selectorIllEEZZNS1_27merge_sort_block_merge_implIS3_PlN6thrust23THRUST_200600_302600_NS10device_ptrIlEEjNS1_19radix_merge_compareILb0ELb1ElNS0_19identity_decomposerEEEEE10hipError_tT0_T1_T2_jT3_P12ihipStream_tbPNSt15iterator_traitsISG_E10value_typeEPNSM_ISH_E10value_typeEPSI_NS1_7vsmem_tEENKUlT_SG_SH_SI_E_clIS7_S7_SB_S7_EESF_SV_SG_SH_SI_EUlSV_E0_NS1_11comp_targetILNS1_3genE3ELNS1_11target_archE908ELNS1_3gpuE7ELNS1_3repE0EEENS1_38merge_mergepath_config_static_selectorELNS0_4arch9wavefront6targetE1EEEvSH_.has_indirect_call, 0
	.section	.AMDGPU.csdata,"",@progbits
; Kernel info:
; codeLenInByte = 0
; TotalNumSgprs: 4
; NumVgprs: 0
; ScratchSize: 0
; MemoryBound: 0
; FloatMode: 240
; IeeeMode: 1
; LDSByteSize: 0 bytes/workgroup (compile time only)
; SGPRBlocks: 0
; VGPRBlocks: 0
; NumSGPRsForWavesPerEU: 4
; NumVGPRsForWavesPerEU: 1
; Occupancy: 10
; WaveLimiterHint : 0
; COMPUTE_PGM_RSRC2:SCRATCH_EN: 0
; COMPUTE_PGM_RSRC2:USER_SGPR: 6
; COMPUTE_PGM_RSRC2:TRAP_HANDLER: 0
; COMPUTE_PGM_RSRC2:TGID_X_EN: 1
; COMPUTE_PGM_RSRC2:TGID_Y_EN: 0
; COMPUTE_PGM_RSRC2:TGID_Z_EN: 0
; COMPUTE_PGM_RSRC2:TIDIG_COMP_CNT: 0
	.section	.text._ZN7rocprim17ROCPRIM_400000_NS6detail17trampoline_kernelINS0_14default_configENS1_38merge_sort_block_merge_config_selectorIllEEZZNS1_27merge_sort_block_merge_implIS3_PlN6thrust23THRUST_200600_302600_NS10device_ptrIlEEjNS1_19radix_merge_compareILb0ELb1ElNS0_19identity_decomposerEEEEE10hipError_tT0_T1_T2_jT3_P12ihipStream_tbPNSt15iterator_traitsISG_E10value_typeEPNSM_ISH_E10value_typeEPSI_NS1_7vsmem_tEENKUlT_SG_SH_SI_E_clIS7_S7_SB_S7_EESF_SV_SG_SH_SI_EUlSV_E0_NS1_11comp_targetILNS1_3genE2ELNS1_11target_archE906ELNS1_3gpuE6ELNS1_3repE0EEENS1_38merge_mergepath_config_static_selectorELNS0_4arch9wavefront6targetE1EEEvSH_,"axG",@progbits,_ZN7rocprim17ROCPRIM_400000_NS6detail17trampoline_kernelINS0_14default_configENS1_38merge_sort_block_merge_config_selectorIllEEZZNS1_27merge_sort_block_merge_implIS3_PlN6thrust23THRUST_200600_302600_NS10device_ptrIlEEjNS1_19radix_merge_compareILb0ELb1ElNS0_19identity_decomposerEEEEE10hipError_tT0_T1_T2_jT3_P12ihipStream_tbPNSt15iterator_traitsISG_E10value_typeEPNSM_ISH_E10value_typeEPSI_NS1_7vsmem_tEENKUlT_SG_SH_SI_E_clIS7_S7_SB_S7_EESF_SV_SG_SH_SI_EUlSV_E0_NS1_11comp_targetILNS1_3genE2ELNS1_11target_archE906ELNS1_3gpuE6ELNS1_3repE0EEENS1_38merge_mergepath_config_static_selectorELNS0_4arch9wavefront6targetE1EEEvSH_,comdat
	.protected	_ZN7rocprim17ROCPRIM_400000_NS6detail17trampoline_kernelINS0_14default_configENS1_38merge_sort_block_merge_config_selectorIllEEZZNS1_27merge_sort_block_merge_implIS3_PlN6thrust23THRUST_200600_302600_NS10device_ptrIlEEjNS1_19radix_merge_compareILb0ELb1ElNS0_19identity_decomposerEEEEE10hipError_tT0_T1_T2_jT3_P12ihipStream_tbPNSt15iterator_traitsISG_E10value_typeEPNSM_ISH_E10value_typeEPSI_NS1_7vsmem_tEENKUlT_SG_SH_SI_E_clIS7_S7_SB_S7_EESF_SV_SG_SH_SI_EUlSV_E0_NS1_11comp_targetILNS1_3genE2ELNS1_11target_archE906ELNS1_3gpuE6ELNS1_3repE0EEENS1_38merge_mergepath_config_static_selectorELNS0_4arch9wavefront6targetE1EEEvSH_ ; -- Begin function _ZN7rocprim17ROCPRIM_400000_NS6detail17trampoline_kernelINS0_14default_configENS1_38merge_sort_block_merge_config_selectorIllEEZZNS1_27merge_sort_block_merge_implIS3_PlN6thrust23THRUST_200600_302600_NS10device_ptrIlEEjNS1_19radix_merge_compareILb0ELb1ElNS0_19identity_decomposerEEEEE10hipError_tT0_T1_T2_jT3_P12ihipStream_tbPNSt15iterator_traitsISG_E10value_typeEPNSM_ISH_E10value_typeEPSI_NS1_7vsmem_tEENKUlT_SG_SH_SI_E_clIS7_S7_SB_S7_EESF_SV_SG_SH_SI_EUlSV_E0_NS1_11comp_targetILNS1_3genE2ELNS1_11target_archE906ELNS1_3gpuE6ELNS1_3repE0EEENS1_38merge_mergepath_config_static_selectorELNS0_4arch9wavefront6targetE1EEEvSH_
	.globl	_ZN7rocprim17ROCPRIM_400000_NS6detail17trampoline_kernelINS0_14default_configENS1_38merge_sort_block_merge_config_selectorIllEEZZNS1_27merge_sort_block_merge_implIS3_PlN6thrust23THRUST_200600_302600_NS10device_ptrIlEEjNS1_19radix_merge_compareILb0ELb1ElNS0_19identity_decomposerEEEEE10hipError_tT0_T1_T2_jT3_P12ihipStream_tbPNSt15iterator_traitsISG_E10value_typeEPNSM_ISH_E10value_typeEPSI_NS1_7vsmem_tEENKUlT_SG_SH_SI_E_clIS7_S7_SB_S7_EESF_SV_SG_SH_SI_EUlSV_E0_NS1_11comp_targetILNS1_3genE2ELNS1_11target_archE906ELNS1_3gpuE6ELNS1_3repE0EEENS1_38merge_mergepath_config_static_selectorELNS0_4arch9wavefront6targetE1EEEvSH_
	.p2align	8
	.type	_ZN7rocprim17ROCPRIM_400000_NS6detail17trampoline_kernelINS0_14default_configENS1_38merge_sort_block_merge_config_selectorIllEEZZNS1_27merge_sort_block_merge_implIS3_PlN6thrust23THRUST_200600_302600_NS10device_ptrIlEEjNS1_19radix_merge_compareILb0ELb1ElNS0_19identity_decomposerEEEEE10hipError_tT0_T1_T2_jT3_P12ihipStream_tbPNSt15iterator_traitsISG_E10value_typeEPNSM_ISH_E10value_typeEPSI_NS1_7vsmem_tEENKUlT_SG_SH_SI_E_clIS7_S7_SB_S7_EESF_SV_SG_SH_SI_EUlSV_E0_NS1_11comp_targetILNS1_3genE2ELNS1_11target_archE906ELNS1_3gpuE6ELNS1_3repE0EEENS1_38merge_mergepath_config_static_selectorELNS0_4arch9wavefront6targetE1EEEvSH_,@function
_ZN7rocprim17ROCPRIM_400000_NS6detail17trampoline_kernelINS0_14default_configENS1_38merge_sort_block_merge_config_selectorIllEEZZNS1_27merge_sort_block_merge_implIS3_PlN6thrust23THRUST_200600_302600_NS10device_ptrIlEEjNS1_19radix_merge_compareILb0ELb1ElNS0_19identity_decomposerEEEEE10hipError_tT0_T1_T2_jT3_P12ihipStream_tbPNSt15iterator_traitsISG_E10value_typeEPNSM_ISH_E10value_typeEPSI_NS1_7vsmem_tEENKUlT_SG_SH_SI_E_clIS7_S7_SB_S7_EESF_SV_SG_SH_SI_EUlSV_E0_NS1_11comp_targetILNS1_3genE2ELNS1_11target_archE906ELNS1_3gpuE6ELNS1_3repE0EEENS1_38merge_mergepath_config_static_selectorELNS0_4arch9wavefront6targetE1EEEvSH_: ; @_ZN7rocprim17ROCPRIM_400000_NS6detail17trampoline_kernelINS0_14default_configENS1_38merge_sort_block_merge_config_selectorIllEEZZNS1_27merge_sort_block_merge_implIS3_PlN6thrust23THRUST_200600_302600_NS10device_ptrIlEEjNS1_19radix_merge_compareILb0ELb1ElNS0_19identity_decomposerEEEEE10hipError_tT0_T1_T2_jT3_P12ihipStream_tbPNSt15iterator_traitsISG_E10value_typeEPNSM_ISH_E10value_typeEPSI_NS1_7vsmem_tEENKUlT_SG_SH_SI_E_clIS7_S7_SB_S7_EESF_SV_SG_SH_SI_EUlSV_E0_NS1_11comp_targetILNS1_3genE2ELNS1_11target_archE906ELNS1_3gpuE6ELNS1_3repE0EEENS1_38merge_mergepath_config_static_selectorELNS0_4arch9wavefront6targetE1EEEvSH_
; %bb.0:
	s_load_dwordx2 s[26:27], s[4:5], 0x48
	s_load_dword s1, s[4:5], 0x30
	s_add_u32 s24, s4, 0x48
	s_addc_u32 s25, s5, 0
	s_waitcnt lgkmcnt(0)
	s_mul_i32 s0, s27, s8
	s_add_i32 s0, s0, s7
	s_mul_i32 s0, s0, s26
	s_add_i32 s0, s0, s6
	s_cmp_ge_u32 s0, s1
	s_cbranch_scc1 .LBB1103_81
; %bb.1:
	s_load_dwordx8 s[12:19], s[4:5], 0x10
	s_load_dwordx2 s[30:31], s[4:5], 0x8
	s_load_dwordx2 s[2:3], s[4:5], 0x40
	s_mov_b32 s1, 0
	s_mov_b32 s23, s1
	s_waitcnt lgkmcnt(0)
	s_lshr_b32 s33, s18, 10
	s_cmp_lg_u32 s0, s33
	s_cselect_b64 s[20:21], -1, 0
	s_lshl_b64 s[8:9], s[0:1], 2
	s_add_u32 s2, s2, s8
	s_addc_u32 s3, s3, s9
	s_load_dwordx2 s[8:9], s[2:3], 0x0
	s_lshr_b32 s2, s19, 9
	s_and_b32 s2, s2, 0x7ffffe
	s_sub_i32 s2, 0, s2
	s_and_b32 s3, s0, s2
	s_lshl_b32 s7, s3, 10
	s_lshl_b32 s10, s0, 10
	;; [unrolled: 1-line block ×3, first 2 shown]
	s_sub_i32 s11, s10, s7
	s_add_i32 s3, s3, s19
	s_add_i32 s11, s3, s11
	s_waitcnt lgkmcnt(0)
	s_sub_i32 s22, s11, s8
	s_sub_i32 s11, s11, s9
	;; [unrolled: 1-line block ×3, first 2 shown]
	s_min_u32 s22, s18, s22
	s_addk_i32 s11, 0x400
	s_or_b32 s2, s0, s2
	s_min_u32 s7, s18, s3
	s_add_i32 s3, s3, s19
	s_cmp_eq_u32 s2, -1
	s_cselect_b32 s2, s3, s11
	s_cselect_b32 s3, s7, s9
	s_mov_b32 s9, s1
	s_min_u32 s19, s2, s18
	s_sub_i32 s11, s3, s8
	s_lshl_b64 s[2:3], s[8:9], 3
	s_add_u32 s27, s30, s2
	s_addc_u32 s28, s31, s3
	s_lshl_b64 s[8:9], s[22:23], 3
	s_add_u32 s23, s30, s8
	v_mov_b32_e32 v2, 0
	global_load_dword v1, v2, s[24:25] offset:14
	s_addc_u32 s29, s31, s9
	s_cmp_lt_u32 s6, s26
	s_cselect_b32 s1, 12, 18
	s_add_u32 s6, s24, s1
	s_addc_u32 s7, s25, 0
	global_load_ushort v3, v2, s[6:7]
	s_cmp_eq_u32 s0, s33
	v_lshlrev_b32_e32 v38, 3, v0
	s_waitcnt vmcnt(1)
	v_lshrrev_b32_e32 v4, 16, v1
	v_and_b32_e32 v1, 0xffff, v1
	v_mul_lo_u32 v1, v1, v4
	s_waitcnt vmcnt(0)
	v_mul_lo_u32 v39, v1, v3
	v_add_u32_e32 v34, v39, v0
	v_add_u32_e32 v32, v34, v39
	s_cbranch_scc1 .LBB1103_3
; %bb.2:
	v_mov_b32_e32 v1, s28
	v_add_co_u32_e32 v5, vcc, s27, v38
	v_addc_co_u32_e32 v6, vcc, 0, v1, vcc
	v_subrev_co_u32_e32 v1, vcc, s11, v0
	v_lshlrev_b64 v[3:4], 3, v[1:2]
	v_mov_b32_e32 v1, s29
	v_add_co_u32_e64 v3, s[0:1], s23, v3
	v_addc_co_u32_e64 v1, s[0:1], v1, v4, s[0:1]
	v_cndmask_b32_e32 v4, v1, v6, vcc
	v_cndmask_b32_e32 v3, v3, v5, vcc
	v_mov_b32_e32 v35, v2
	global_load_dwordx2 v[18:19], v[3:4], off
	v_lshlrev_b64 v[3:4], 3, v[34:35]
	v_mov_b32_e32 v1, s28
	v_add_co_u32_e32 v5, vcc, s27, v3
	v_addc_co_u32_e32 v6, vcc, v1, v4, vcc
	v_subrev_co_u32_e32 v1, vcc, s11, v34
	v_lshlrev_b64 v[3:4], 3, v[1:2]
	v_mov_b32_e32 v1, s29
	v_add_co_u32_e64 v3, s[0:1], s23, v3
	v_addc_co_u32_e64 v1, s[0:1], v1, v4, s[0:1]
	v_cndmask_b32_e32 v4, v1, v6, vcc
	v_cndmask_b32_e32 v3, v3, v5, vcc
	v_mov_b32_e32 v33, v2
	global_load_dwordx2 v[20:21], v[3:4], off
	v_lshlrev_b64 v[3:4], 3, v[32:33]
	v_mov_b32_e32 v1, s28
	v_add_co_u32_e32 v5, vcc, s27, v3
	v_addc_co_u32_e32 v6, vcc, v1, v4, vcc
	v_subrev_co_u32_e32 v1, vcc, s11, v32
	v_lshlrev_b64 v[3:4], 3, v[1:2]
	v_mov_b32_e32 v1, s29
	v_add_co_u32_e64 v3, s[0:1], s23, v3
	v_addc_co_u32_e64 v1, s[0:1], v1, v4, s[0:1]
	v_cndmask_b32_e32 v4, v1, v6, vcc
	v_cndmask_b32_e32 v3, v3, v5, vcc
	v_add_u32_e32 v1, v32, v39
	global_load_dwordx2 v[22:23], v[3:4], off
	v_lshlrev_b64 v[3:4], 3, v[1:2]
	v_mov_b32_e32 v5, s28
	v_add_co_u32_e32 v6, vcc, s27, v3
	v_addc_co_u32_e32 v5, vcc, v5, v4, vcc
	v_subrev_co_u32_e32 v3, vcc, s11, v1
	v_mov_b32_e32 v4, v2
	v_lshlrev_b64 v[3:4], 3, v[3:4]
	v_mov_b32_e32 v7, s29
	v_add_co_u32_e64 v3, s[0:1], s23, v3
	v_addc_co_u32_e64 v4, s[0:1], v7, v4, s[0:1]
	v_cndmask_b32_e32 v4, v4, v5, vcc
	v_cndmask_b32_e32 v3, v3, v6, vcc
	v_add_u32_e32 v1, v1, v39
	global_load_dwordx2 v[24:25], v[3:4], off
	v_lshlrev_b64 v[3:4], 3, v[1:2]
	v_mov_b32_e32 v5, s28
	v_add_co_u32_e32 v6, vcc, s27, v3
	v_addc_co_u32_e32 v5, vcc, v5, v4, vcc
	v_subrev_co_u32_e32 v3, vcc, s11, v1
	v_mov_b32_e32 v4, v2
	v_lshlrev_b64 v[3:4], 3, v[3:4]
	v_add_u32_e32 v1, v1, v39
	v_add_co_u32_e64 v3, s[0:1], s23, v3
	v_addc_co_u32_e64 v4, s[0:1], v7, v4, s[0:1]
	v_cndmask_b32_e32 v4, v4, v5, vcc
	v_cndmask_b32_e32 v3, v3, v6, vcc
	global_load_dwordx2 v[26:27], v[3:4], off
	v_lshlrev_b64 v[3:4], 3, v[1:2]
	v_mov_b32_e32 v5, s28
	v_add_co_u32_e32 v6, vcc, s27, v3
	v_addc_co_u32_e32 v5, vcc, v5, v4, vcc
	v_subrev_co_u32_e32 v3, vcc, s11, v1
	v_mov_b32_e32 v4, v2
	v_lshlrev_b64 v[3:4], 3, v[3:4]
	v_add_u32_e32 v1, v1, v39
	v_add_co_u32_e64 v3, s[0:1], s23, v3
	v_addc_co_u32_e64 v4, s[0:1], v7, v4, s[0:1]
	v_cndmask_b32_e32 v4, v4, v5, vcc
	v_cndmask_b32_e32 v3, v3, v6, vcc
	global_load_dwordx2 v[28:29], v[3:4], off
	v_lshlrev_b64 v[3:4], 3, v[1:2]
	v_mov_b32_e32 v5, s28
	v_add_co_u32_e32 v6, vcc, s27, v3
	v_addc_co_u32_e32 v5, vcc, v5, v4, vcc
	v_subrev_co_u32_e32 v3, vcc, s11, v1
	v_mov_b32_e32 v4, v2
	v_lshlrev_b64 v[2:3], 3, v[3:4]
	v_mov_b32_e32 v4, s29
	v_add_co_u32_e64 v2, s[0:1], s23, v2
	v_addc_co_u32_e64 v3, s[0:1], v4, v3, s[0:1]
	v_cndmask_b32_e32 v3, v3, v5, vcc
	v_cndmask_b32_e32 v2, v2, v6, vcc
	global_load_dwordx2 v[30:31], v[2:3], off
	v_add_u32_e32 v1, v1, v39
	s_mov_b64 s[0:1], -1
	s_sub_i32 s19, s19, s22
	s_cbranch_execz .LBB1103_4
	s_branch .LBB1103_19
.LBB1103_3:
	s_mov_b64 s[0:1], 0
                                        ; implicit-def: $vgpr1
                                        ; implicit-def: $vgpr30_vgpr31
                                        ; implicit-def: $vgpr28_vgpr29
                                        ; implicit-def: $vgpr24_vgpr25
                                        ; implicit-def: $vgpr20_vgpr21
                                        ; implicit-def: $vgpr26_vgpr27
                                        ; implicit-def: $vgpr22_vgpr23
                                        ; implicit-def: $vgpr18_vgpr19
	s_sub_i32 s19, s19, s22
.LBB1103_4:
	s_add_i32 s22, s19, s11
	v_cmp_gt_u32_e32 vcc, s22, v0
                                        ; implicit-def: $vgpr18_vgpr19
	s_and_saveexec_b64 s[6:7], vcc
	s_cbranch_execz .LBB1103_6
; %bb.5:
	v_mov_b32_e32 v1, s28
	v_add_co_u32_e32 v3, vcc, s27, v38
	v_addc_co_u32_e32 v4, vcc, 0, v1, vcc
	v_subrev_co_u32_e32 v1, vcc, s11, v0
	v_mov_b32_e32 v2, 0
	v_lshlrev_b64 v[1:2], 3, v[1:2]
	v_mov_b32_e32 v5, s29
	v_add_co_u32_e64 v1, s[0:1], s23, v1
	v_addc_co_u32_e64 v2, s[0:1], v5, v2, s[0:1]
	v_cndmask_b32_e32 v2, v2, v4, vcc
	v_cndmask_b32_e32 v1, v1, v3, vcc
	global_load_dwordx2 v[18:19], v[1:2], off
.LBB1103_6:
	s_or_b64 exec, exec, s[6:7]
	v_cmp_gt_u32_e32 vcc, s22, v34
	s_and_saveexec_b64 s[6:7], vcc
                                        ; implicit-def: $vgpr20_vgpr21
	s_cbranch_execz .LBB1103_8
; %bb.7:
	v_mov_b32_e32 v35, 0
	v_lshlrev_b64 v[1:2], 3, v[34:35]
	v_mov_b32_e32 v3, s28
	v_add_co_u32_e32 v4, vcc, s27, v1
	v_addc_co_u32_e32 v3, vcc, v3, v2, vcc
	v_subrev_co_u32_e32 v1, vcc, s11, v34
	v_mov_b32_e32 v2, v35
	v_lshlrev_b64 v[1:2], 3, v[1:2]
	v_mov_b32_e32 v5, s29
	v_add_co_u32_e64 v1, s[0:1], s23, v1
	v_addc_co_u32_e64 v2, s[0:1], v5, v2, s[0:1]
	v_cndmask_b32_e32 v2, v2, v3, vcc
	v_cndmask_b32_e32 v1, v1, v4, vcc
	global_load_dwordx2 v[20:21], v[1:2], off
.LBB1103_8:
	s_or_b64 exec, exec, s[6:7]
	v_cmp_gt_u32_e32 vcc, s22, v32
                                        ; implicit-def: $vgpr22_vgpr23
	s_and_saveexec_b64 s[6:7], vcc
	s_cbranch_execz .LBB1103_10
; %bb.9:
	v_mov_b32_e32 v33, 0
	v_lshlrev_b64 v[1:2], 3, v[32:33]
	v_mov_b32_e32 v3, s28
	v_add_co_u32_e32 v4, vcc, s27, v1
	v_addc_co_u32_e32 v3, vcc, v3, v2, vcc
	v_subrev_co_u32_e32 v1, vcc, s11, v32
	v_mov_b32_e32 v2, v33
	v_lshlrev_b64 v[1:2], 3, v[1:2]
	v_mov_b32_e32 v5, s29
	v_add_co_u32_e64 v1, s[0:1], s23, v1
	v_addc_co_u32_e64 v2, s[0:1], v5, v2, s[0:1]
	v_cndmask_b32_e32 v2, v2, v3, vcc
	v_cndmask_b32_e32 v1, v1, v4, vcc
	global_load_dwordx2 v[22:23], v[1:2], off
.LBB1103_10:
	s_or_b64 exec, exec, s[6:7]
	v_add_u32_e32 v1, v32, v39
	v_cmp_gt_u32_e32 vcc, s22, v1
	s_and_saveexec_b64 s[6:7], vcc
                                        ; implicit-def: $vgpr24_vgpr25
	s_cbranch_execz .LBB1103_12
; %bb.11:
	v_mov_b32_e32 v2, 0
	v_lshlrev_b64 v[3:4], 3, v[1:2]
	v_mov_b32_e32 v5, s28
	v_add_co_u32_e32 v6, vcc, s27, v3
	v_addc_co_u32_e32 v5, vcc, v5, v4, vcc
	v_subrev_co_u32_e32 v3, vcc, s11, v1
	v_mov_b32_e32 v4, v2
	v_lshlrev_b64 v[2:3], 3, v[3:4]
	v_mov_b32_e32 v4, s29
	v_add_co_u32_e64 v2, s[0:1], s23, v2
	v_addc_co_u32_e64 v3, s[0:1], v4, v3, s[0:1]
	v_cndmask_b32_e32 v3, v3, v5, vcc
	v_cndmask_b32_e32 v2, v2, v6, vcc
	global_load_dwordx2 v[24:25], v[2:3], off
.LBB1103_12:
	s_or_b64 exec, exec, s[6:7]
	v_add_u32_e32 v1, v1, v39
	v_cmp_gt_u32_e32 vcc, s22, v1
                                        ; implicit-def: $vgpr26_vgpr27
	s_and_saveexec_b64 s[6:7], vcc
	s_cbranch_execz .LBB1103_14
; %bb.13:
	v_mov_b32_e32 v2, 0
	v_lshlrev_b64 v[3:4], 3, v[1:2]
	v_mov_b32_e32 v5, s28
	v_add_co_u32_e32 v6, vcc, s27, v3
	v_addc_co_u32_e32 v5, vcc, v5, v4, vcc
	v_subrev_co_u32_e32 v3, vcc, s11, v1
	v_mov_b32_e32 v4, v2
	v_lshlrev_b64 v[2:3], 3, v[3:4]
	v_mov_b32_e32 v4, s29
	v_add_co_u32_e64 v2, s[0:1], s23, v2
	v_addc_co_u32_e64 v3, s[0:1], v4, v3, s[0:1]
	v_cndmask_b32_e32 v3, v3, v5, vcc
	v_cndmask_b32_e32 v2, v2, v6, vcc
	global_load_dwordx2 v[26:27], v[2:3], off
.LBB1103_14:
	s_or_b64 exec, exec, s[6:7]
	v_add_u32_e32 v1, v1, v39
	v_cmp_gt_u32_e32 vcc, s22, v1
	s_and_saveexec_b64 s[6:7], vcc
                                        ; implicit-def: $vgpr28_vgpr29
	s_cbranch_execz .LBB1103_16
; %bb.15:
	v_mov_b32_e32 v2, 0
	v_lshlrev_b64 v[3:4], 3, v[1:2]
	v_mov_b32_e32 v5, s28
	v_add_co_u32_e32 v6, vcc, s27, v3
	v_addc_co_u32_e32 v5, vcc, v5, v4, vcc
	v_subrev_co_u32_e32 v3, vcc, s11, v1
	v_mov_b32_e32 v4, v2
	v_lshlrev_b64 v[2:3], 3, v[3:4]
	v_mov_b32_e32 v4, s29
	v_add_co_u32_e64 v2, s[0:1], s23, v2
	v_addc_co_u32_e64 v3, s[0:1], v4, v3, s[0:1]
	v_cndmask_b32_e32 v3, v3, v5, vcc
	v_cndmask_b32_e32 v2, v2, v6, vcc
	global_load_dwordx2 v[28:29], v[2:3], off
.LBB1103_16:
	s_or_b64 exec, exec, s[6:7]
	v_add_u32_e32 v1, v1, v39
	v_cmp_gt_u32_e32 vcc, s22, v1
                                        ; implicit-def: $vgpr30_vgpr31
	s_and_saveexec_b64 s[6:7], vcc
	s_cbranch_execz .LBB1103_18
; %bb.17:
	v_mov_b32_e32 v2, 0
	v_lshlrev_b64 v[3:4], 3, v[1:2]
	v_mov_b32_e32 v5, s28
	v_add_co_u32_e32 v6, vcc, s27, v3
	v_addc_co_u32_e32 v5, vcc, v5, v4, vcc
	v_subrev_co_u32_e32 v3, vcc, s11, v1
	v_mov_b32_e32 v4, v2
	v_lshlrev_b64 v[2:3], 3, v[3:4]
	v_mov_b32_e32 v4, s29
	v_add_co_u32_e64 v2, s[0:1], s23, v2
	v_addc_co_u32_e64 v3, s[0:1], v4, v3, s[0:1]
	v_cndmask_b32_e32 v3, v3, v5, vcc
	v_cndmask_b32_e32 v2, v2, v6, vcc
	global_load_dwordx2 v[30:31], v[2:3], off
.LBB1103_18:
	s_or_b64 exec, exec, s[6:7]
	v_add_u32_e32 v1, v1, v39
	v_cmp_gt_u32_e64 s[0:1], s22, v1
.LBB1103_19:
	s_and_saveexec_b64 s[6:7], s[0:1]
                                        ; implicit-def: $vgpr36_vgpr37
	s_cbranch_execz .LBB1103_21
; %bb.20:
	v_mov_b32_e32 v2, 0
	v_lshlrev_b64 v[3:4], 3, v[1:2]
	v_mov_b32_e32 v5, s28
	v_add_co_u32_e32 v3, vcc, s27, v3
	v_addc_co_u32_e32 v4, vcc, v5, v4, vcc
	v_subrev_co_u32_e32 v1, vcc, s11, v1
	v_lshlrev_b64 v[1:2], 3, v[1:2]
	v_mov_b32_e32 v5, s29
	v_add_co_u32_e64 v1, s[0:1], s23, v1
	v_addc_co_u32_e64 v2, s[0:1], v5, v2, s[0:1]
	v_cndmask_b32_e32 v2, v2, v4, vcc
	v_cndmask_b32_e32 v1, v1, v3, vcc
	global_load_dwordx2 v[36:37], v[1:2], off
.LBB1103_21:
	s_or_b64 exec, exec, s[6:7]
	s_add_u32 s22, s14, s2
	s_addc_u32 s23, s15, s3
	s_add_u32 s6, s14, s8
	v_mov_b32_e32 v15, 0
	s_addc_u32 s7, s15, s9
	s_andn2_b64 vcc, exec, s[20:21]
	s_waitcnt vmcnt(0)
	ds_write2st64_b64 v38, v[18:19], v[20:21] offset1:2
	ds_write2st64_b64 v38, v[22:23], v[24:25] offset0:4 offset1:6
	ds_write2st64_b64 v38, v[26:27], v[28:29] offset0:8 offset1:10
	;; [unrolled: 1-line block ×3, first 2 shown]
	s_cbranch_vccnz .LBB1103_23
; %bb.22:
	v_mov_b32_e32 v1, s23
	v_add_co_u32_e32 v3, vcc, s22, v38
	v_addc_co_u32_e32 v4, vcc, 0, v1, vcc
	v_subrev_co_u32_e32 v14, vcc, s11, v0
	v_lshlrev_b64 v[1:2], 3, v[14:15]
	v_mov_b32_e32 v5, s7
	v_add_co_u32_e64 v1, s[0:1], s6, v1
	v_addc_co_u32_e64 v2, s[0:1], v5, v2, s[0:1]
	v_mov_b32_e32 v35, v15
	v_cndmask_b32_e32 v2, v2, v4, vcc
	v_cndmask_b32_e32 v1, v1, v3, vcc
	v_lshlrev_b64 v[3:4], 3, v[34:35]
	v_mov_b32_e32 v5, s23
	v_add_co_u32_e32 v6, vcc, s22, v3
	v_addc_co_u32_e32 v5, vcc, v5, v4, vcc
	v_subrev_co_u32_e32 v14, vcc, s11, v34
	v_lshlrev_b64 v[3:4], 3, v[14:15]
	v_mov_b32_e32 v7, s7
	v_add_co_u32_e64 v3, s[0:1], s6, v3
	v_addc_co_u32_e64 v4, s[0:1], v7, v4, s[0:1]
	v_mov_b32_e32 v33, v15
	v_cndmask_b32_e32 v4, v4, v5, vcc
	v_cndmask_b32_e32 v3, v3, v6, vcc
	v_lshlrev_b64 v[5:6], 3, v[32:33]
	v_mov_b32_e32 v7, s23
	v_add_co_u32_e32 v8, vcc, s22, v5
	v_addc_co_u32_e32 v7, vcc, v7, v6, vcc
	v_subrev_co_u32_e32 v14, vcc, s11, v32
	v_lshlrev_b64 v[5:6], 3, v[14:15]
	v_mov_b32_e32 v9, s7
	v_add_co_u32_e64 v5, s[0:1], s6, v5
	v_addc_co_u32_e64 v6, s[0:1], v9, v6, s[0:1]
	v_add_u32_e32 v9, v32, v39
	v_mov_b32_e32 v10, v15
	v_cndmask_b32_e32 v6, v6, v7, vcc
	v_cndmask_b32_e32 v5, v5, v8, vcc
	v_lshlrev_b64 v[7:8], 3, v[9:10]
	v_mov_b32_e32 v10, s23
	v_add_co_u32_e32 v11, vcc, s22, v7
	v_addc_co_u32_e32 v10, vcc, v10, v8, vcc
	v_subrev_co_u32_e32 v14, vcc, s11, v9
	v_lshlrev_b64 v[7:8], 3, v[14:15]
	v_mov_b32_e32 v12, s7
	v_add_co_u32_e64 v7, s[0:1], s6, v7
	v_addc_co_u32_e64 v8, s[0:1], v12, v8, s[0:1]
	v_cndmask_b32_e32 v7, v7, v11, vcc
	v_add_u32_e32 v11, v9, v39
	v_mov_b32_e32 v12, v15
	v_cndmask_b32_e32 v8, v8, v10, vcc
	v_lshlrev_b64 v[9:10], 3, v[11:12]
	v_mov_b32_e32 v12, s23
	v_add_co_u32_e32 v13, vcc, s22, v9
	v_addc_co_u32_e32 v12, vcc, v12, v10, vcc
	v_subrev_co_u32_e32 v14, vcc, s11, v11
	v_lshlrev_b64 v[9:10], 3, v[14:15]
	v_mov_b32_e32 v14, s7
	v_add_co_u32_e64 v9, s[0:1], s6, v9
	v_addc_co_u32_e64 v10, s[0:1], v14, v10, s[0:1]
	v_cndmask_b32_e32 v9, v9, v13, vcc
	v_add_u32_e32 v13, v11, v39
	v_mov_b32_e32 v14, v15
	v_cndmask_b32_e32 v10, v10, v12, vcc
	v_lshlrev_b64 v[11:12], 3, v[13:14]
	v_mov_b32_e32 v14, s23
	v_add_co_u32_e32 v16, vcc, s22, v11
	v_addc_co_u32_e32 v17, vcc, v14, v12, vcc
	v_subrev_co_u32_e32 v14, vcc, s11, v13
	v_lshlrev_b64 v[11:12], 3, v[14:15]
	v_mov_b32_e32 v14, s7
	v_add_co_u32_e64 v11, s[0:1], s6, v11
	v_add_u32_e32 v40, v13, v39
	v_mov_b32_e32 v41, v15
	v_addc_co_u32_e64 v12, s[0:1], v14, v12, s[0:1]
	v_lshlrev_b64 v[13:14], 3, v[40:41]
	v_cndmask_b32_e32 v12, v12, v17, vcc
	v_cndmask_b32_e32 v11, v11, v16, vcc
	v_mov_b32_e32 v16, s23
	v_add_co_u32_e32 v17, vcc, s22, v13
	v_addc_co_u32_e32 v16, vcc, v16, v14, vcc
	v_subrev_co_u32_e32 v14, vcc, s11, v40
	v_lshlrev_b64 v[13:14], 3, v[14:15]
	v_mov_b32_e32 v33, s7
	v_add_co_u32_e64 v13, s[0:1], s6, v13
	v_addc_co_u32_e64 v14, s[0:1], v33, v14, s[0:1]
	v_cndmask_b32_e32 v14, v14, v16, vcc
	v_cndmask_b32_e32 v13, v13, v17, vcc
	global_load_dwordx2 v[1:2], v[1:2], off
	s_add_i32 s8, s19, s11
	global_load_dwordx2 v[3:4], v[3:4], off
	v_mov_b32_e32 v16, v15
	global_load_dwordx2 v[5:6], v[5:6], off
	v_add_u32_e32 v33, v40, v39
	global_load_dwordx2 v[7:8], v[7:8], off
	s_nop 0
	global_load_dwordx2 v[9:10], v[9:10], off
	s_mov_b64 s[0:1], -1
	global_load_dwordx2 v[11:12], v[11:12], off
	v_mov_b32_e32 v35, s8
	global_load_dwordx2 v[13:14], v[13:14], off
	s_cbranch_execz .LBB1103_24
	s_branch .LBB1103_37
.LBB1103_23:
	s_mov_b64 s[0:1], 0
                                        ; implicit-def: $vgpr33
                                        ; implicit-def: $vgpr1_vgpr2_vgpr3_vgpr4_vgpr5_vgpr6_vgpr7_vgpr8_vgpr9_vgpr10_vgpr11_vgpr12_vgpr13_vgpr14_vgpr15_vgpr16
                                        ; implicit-def: $vgpr35
.LBB1103_24:
	s_add_i32 s8, s19, s11
	s_waitcnt vmcnt(6)
	v_mov_b32_e32 v1, 0
	v_cmp_gt_u32_e32 vcc, s8, v0
	v_mov_b32_e32 v2, v1
	s_waitcnt vmcnt(5)
	v_mov_b32_e32 v3, v1
	v_mov_b32_e32 v4, v1
	s_waitcnt vmcnt(4)
	v_mov_b32_e32 v5, v1
	;; [unrolled: 3-line block ×6, first 2 shown]
	v_mov_b32_e32 v14, v1
	v_mov_b32_e32 v15, v1
	v_mov_b32_e32 v16, v1
	s_and_saveexec_b64 s[2:3], vcc
	s_cbranch_execz .LBB1103_51
; %bb.25:
	v_mov_b32_e32 v2, s23
	v_add_co_u32_e32 v4, vcc, s22, v38
	v_addc_co_u32_e32 v5, vcc, 0, v2, vcc
	v_subrev_co_u32_e32 v2, vcc, s11, v0
	v_mov_b32_e32 v3, v1
	v_lshlrev_b64 v[2:3], 3, v[2:3]
	v_mov_b32_e32 v6, s7
	v_add_co_u32_e64 v2, s[0:1], s6, v2
	v_addc_co_u32_e64 v3, s[0:1], v6, v3, s[0:1]
	v_cndmask_b32_e32 v3, v3, v5, vcc
	v_cndmask_b32_e32 v2, v2, v4, vcc
	global_load_dwordx2 v[2:3], v[2:3], off
	v_mov_b32_e32 v4, v1
	v_mov_b32_e32 v5, v1
	;; [unrolled: 1-line block ×14, first 2 shown]
	s_waitcnt vmcnt(0)
	v_mov_b32_e32 v1, v2
	v_mov_b32_e32 v2, v3
	;; [unrolled: 1-line block ×16, first 2 shown]
	s_or_b64 exec, exec, s[2:3]
	v_cmp_gt_u32_e32 vcc, s8, v34
	s_and_saveexec_b64 s[2:3], vcc
	s_cbranch_execnz .LBB1103_52
.LBB1103_26:
	s_or_b64 exec, exec, s[2:3]
	v_cmp_gt_u32_e32 vcc, s8, v32
	s_and_saveexec_b64 s[2:3], vcc
	s_cbranch_execz .LBB1103_28
.LBB1103_27:
	v_mov_b32_e32 v33, 0
	v_lshlrev_b64 v[5:6], 3, v[32:33]
	v_mov_b32_e32 v17, s23
	v_add_co_u32_e32 v34, vcc, s22, v5
	v_addc_co_u32_e32 v17, vcc, v17, v6, vcc
	v_subrev_co_u32_e32 v5, vcc, s11, v32
	v_mov_b32_e32 v6, v33
	v_lshlrev_b64 v[5:6], 3, v[5:6]
	v_mov_b32_e32 v33, s7
	v_add_co_u32_e64 v5, s[0:1], s6, v5
	v_addc_co_u32_e64 v6, s[0:1], v33, v6, s[0:1]
	v_cndmask_b32_e32 v6, v6, v17, vcc
	v_cndmask_b32_e32 v5, v5, v34, vcc
	global_load_dwordx2 v[5:6], v[5:6], off
.LBB1103_28:
	s_or_b64 exec, exec, s[2:3]
	v_add_u32_e32 v32, v32, v39
	v_cmp_gt_u32_e32 vcc, s8, v32
	s_and_saveexec_b64 s[2:3], vcc
	s_cbranch_execz .LBB1103_30
; %bb.29:
	v_mov_b32_e32 v33, 0
	v_lshlrev_b64 v[7:8], 3, v[32:33]
	v_mov_b32_e32 v17, s23
	v_add_co_u32_e32 v34, vcc, s22, v7
	v_addc_co_u32_e32 v17, vcc, v17, v8, vcc
	v_subrev_co_u32_e32 v7, vcc, s11, v32
	v_mov_b32_e32 v8, v33
	v_lshlrev_b64 v[7:8], 3, v[7:8]
	v_mov_b32_e32 v33, s7
	v_add_co_u32_e64 v7, s[0:1], s6, v7
	v_addc_co_u32_e64 v8, s[0:1], v33, v8, s[0:1]
	v_cndmask_b32_e32 v8, v8, v17, vcc
	v_cndmask_b32_e32 v7, v7, v34, vcc
	global_load_dwordx2 v[7:8], v[7:8], off
.LBB1103_30:
	s_or_b64 exec, exec, s[2:3]
	v_add_u32_e32 v32, v32, v39
	v_cmp_gt_u32_e32 vcc, s8, v32
	s_and_saveexec_b64 s[2:3], vcc
	s_cbranch_execz .LBB1103_32
; %bb.31:
	v_mov_b32_e32 v33, 0
	v_lshlrev_b64 v[9:10], 3, v[32:33]
	v_mov_b32_e32 v17, s23
	v_add_co_u32_e32 v34, vcc, s22, v9
	v_addc_co_u32_e32 v17, vcc, v17, v10, vcc
	v_subrev_co_u32_e32 v9, vcc, s11, v32
	v_mov_b32_e32 v10, v33
	v_lshlrev_b64 v[9:10], 3, v[9:10]
	v_mov_b32_e32 v33, s7
	v_add_co_u32_e64 v9, s[0:1], s6, v9
	v_addc_co_u32_e64 v10, s[0:1], v33, v10, s[0:1]
	v_cndmask_b32_e32 v10, v10, v17, vcc
	v_cndmask_b32_e32 v9, v9, v34, vcc
	global_load_dwordx2 v[9:10], v[9:10], off
.LBB1103_32:
	;; [unrolled: 21-line block ×4, first 2 shown]
	s_or_b64 exec, exec, s[2:3]
	v_add_u32_e32 v33, v32, v39
	v_cmp_gt_u32_e64 s[0:1], s8, v33
	v_mov_b32_e32 v35, s8
.LBB1103_37:
	s_load_dwordx2 s[14:15], s[4:5], 0x38
	s_and_saveexec_b64 s[2:3], s[0:1]
	s_cbranch_execz .LBB1103_39
; %bb.38:
	v_mov_b32_e32 v16, 0
	v_mov_b32_e32 v34, v16
	v_lshlrev_b64 v[39:40], 3, v[33:34]
	v_mov_b32_e32 v15, s23
	v_add_co_u32_e32 v17, vcc, s22, v39
	v_addc_co_u32_e32 v32, vcc, v15, v40, vcc
	v_subrev_co_u32_e32 v15, vcc, s11, v33
	v_lshlrev_b64 v[15:16], 3, v[15:16]
	v_mov_b32_e32 v33, s7
	v_add_co_u32_e64 v15, s[0:1], s6, v15
	v_addc_co_u32_e64 v16, s[0:1], v33, v16, s[0:1]
	v_cndmask_b32_e32 v16, v16, v32, vcc
	v_cndmask_b32_e32 v15, v15, v17, vcc
	global_load_dwordx2 v[15:16], v[15:16], off
.LBB1103_39:
	s_or_b64 exec, exec, s[2:3]
	v_min_u32_e32 v17, v35, v38
	v_sub_u32_e64 v41, v17, s19 clamp
	v_min_u32_e32 v32, s11, v17
	v_cmp_lt_u32_e32 vcc, v41, v32
	s_waitcnt vmcnt(0) lgkmcnt(0)
	s_barrier
	s_and_saveexec_b64 s[0:1], vcc
	s_cbranch_execz .LBB1103_43
; %bb.40:
	v_lshlrev_b32_e32 v33, 3, v17
	v_lshl_add_u32 v33, s11, 3, v33
	s_mov_b64 s[2:3], 0
.LBB1103_41:                            ; =>This Inner Loop Header: Depth=1
	v_add_u32_e32 v34, v32, v41
	v_lshrrev_b32_e32 v34, 1, v34
	v_not_b32_e32 v42, v34
	v_lshlrev_b32_e32 v39, 3, v34
	v_lshl_add_u32 v42, v42, 3, v33
	ds_read_b64 v[39:40], v39
	ds_read_b64 v[42:43], v42
	v_add_u32_e32 v44, 1, v34
	s_waitcnt lgkmcnt(1)
	v_and_b32_e32 v40, s15, v40
	v_and_b32_e32 v39, s14, v39
	s_waitcnt lgkmcnt(0)
	v_and_b32_e32 v43, s15, v43
	v_and_b32_e32 v42, s14, v42
	v_cmp_gt_i64_e32 vcc, v[39:40], v[42:43]
	v_cndmask_b32_e32 v32, v32, v34, vcc
	v_cndmask_b32_e32 v41, v44, v41, vcc
	v_cmp_ge_u32_e32 vcc, v41, v32
	s_or_b64 s[2:3], vcc, s[2:3]
	s_andn2_b64 exec, exec, s[2:3]
	s_cbranch_execnz .LBB1103_41
; %bb.42:
	s_or_b64 exec, exec, s[2:3]
.LBB1103_43:
	s_or_b64 exec, exec, s[0:1]
	v_sub_u32_e32 v17, v17, v41
	v_add_u32_e32 v44, s11, v17
	v_cmp_ge_u32_e32 vcc, s11, v41
	v_cmp_le_u32_e64 s[0:1], v44, v35
	s_or_b64 s[0:1], vcc, s[0:1]
	v_mov_b32_e32 v32, 0
	v_mov_b32_e32 v33, 0
	;; [unrolled: 1-line block ×8, first 2 shown]
	s_and_saveexec_b64 s[22:23], s[0:1]
	s_cbranch_execz .LBB1103_49
; %bb.44:
	v_cmp_gt_u32_e32 vcc, s11, v41
                                        ; implicit-def: $vgpr17_vgpr18
	s_and_saveexec_b64 s[0:1], vcc
; %bb.45:
	v_lshlrev_b32_e32 v17, 3, v41
	ds_read_b64 v[17:18], v17
; %bb.46:
	s_or_b64 exec, exec, s[0:1]
	v_cmp_ge_u32_e64 s[0:1], v44, v35
	v_cmp_lt_u32_e64 s[2:3], v44, v35
                                        ; implicit-def: $vgpr20_vgpr21
	s_and_saveexec_b64 s[4:5], s[2:3]
; %bb.47:
	v_lshlrev_b32_e32 v19, 3, v44
	ds_read_b64 v[20:21], v19
; %bb.48:
	s_or_b64 exec, exec, s[4:5]
	s_waitcnt lgkmcnt(0)
	v_and_b32_e32 v23, s15, v21
	v_and_b32_e32 v22, s14, v20
	v_and_b32_e32 v25, s15, v18
	v_and_b32_e32 v24, s14, v17
	v_cmp_le_i64_e64 s[2:3], v[24:25], v[22:23]
	v_mov_b32_e32 v36, s11
	s_and_b64 s[2:3], vcc, s[2:3]
	s_or_b64 s[0:1], s[0:1], s[2:3]
	v_cndmask_b32_e64 v32, v44, v41, s[0:1]
	v_cndmask_b32_e64 v19, v35, v36, s[0:1]
	v_add_u32_e32 v24, 1, v32
	v_add_u32_e32 v19, -1, v19
	v_min_u32_e32 v19, v24, v19
	v_lshlrev_b32_e32 v19, 3, v19
	ds_read_b64 v[22:23], v19
	v_cndmask_b32_e64 v19, v24, v44, s[0:1]
	v_cndmask_b32_e64 v30, v41, v24, s[0:1]
	v_cmp_gt_u32_e64 s[4:5], s11, v30
	v_cmp_ge_u32_e32 vcc, v19, v35
	s_waitcnt lgkmcnt(0)
	v_cndmask_b32_e64 v26, v23, v21, s[0:1]
	v_cndmask_b32_e64 v27, v22, v20, s[0:1]
	v_cndmask_b32_e64 v28, v18, v23, s[0:1]
	v_cndmask_b32_e64 v29, v17, v22, s[0:1]
	v_and_b32_e32 v23, s15, v26
	v_and_b32_e32 v22, s14, v27
	;; [unrolled: 1-line block ×4, first 2 shown]
	v_cmp_le_i64_e64 s[2:3], v[24:25], v[22:23]
	s_and_b64 s[2:3], s[4:5], s[2:3]
	s_or_b64 vcc, vcc, s[2:3]
	v_cndmask_b32_e32 v33, v19, v30, vcc
	v_cndmask_b32_e32 v22, v35, v36, vcc
	v_add_u32_e32 v24, 1, v33
	v_add_u32_e32 v22, -1, v22
	v_min_u32_e32 v22, v24, v22
	v_lshlrev_b32_e32 v22, 3, v22
	ds_read_b64 v[22:23], v22
	v_cndmask_b32_e32 v19, v24, v19, vcc
	v_cndmask_b32_e32 v30, v30, v24, vcc
	v_cmp_gt_u32_e64 s[6:7], s11, v30
	v_cmp_ge_u32_e64 s[2:3], v19, v35
	s_waitcnt lgkmcnt(0)
	v_cndmask_b32_e32 v31, v23, v26, vcc
	v_cndmask_b32_e32 v37, v22, v27, vcc
	;; [unrolled: 1-line block ×4, first 2 shown]
	v_and_b32_e32 v23, s15, v31
	v_and_b32_e32 v22, s14, v37
	;; [unrolled: 1-line block ×4, first 2 shown]
	v_cmp_le_i64_e64 s[4:5], v[24:25], v[22:23]
	s_and_b64 s[4:5], s[6:7], s[4:5]
	s_or_b64 s[2:3], s[2:3], s[4:5]
	v_cndmask_b32_e64 v34, v19, v30, s[2:3]
	v_cndmask_b32_e64 v22, v35, v36, s[2:3]
	v_add_u32_e32 v24, 1, v34
	v_add_u32_e32 v22, -1, v22
	v_min_u32_e32 v22, v24, v22
	v_lshlrev_b32_e32 v22, 3, v22
	ds_read_b64 v[22:23], v22
	v_cndmask_b32_e64 v46, v24, v19, s[2:3]
	v_cndmask_b32_e64 v30, v30, v24, s[2:3]
	v_cmp_gt_u32_e64 s[8:9], s11, v30
	v_cmp_ge_u32_e64 s[4:5], v46, v35
	s_waitcnt lgkmcnt(0)
	v_cndmask_b32_e64 v42, v23, v31, s[2:3]
	v_cndmask_b32_e64 v43, v22, v37, s[2:3]
	;; [unrolled: 1-line block ×4, first 2 shown]
	v_and_b32_e32 v23, s15, v42
	v_and_b32_e32 v22, s14, v43
	;; [unrolled: 1-line block ×4, first 2 shown]
	v_cmp_le_i64_e64 s[6:7], v[24:25], v[22:23]
	s_and_b64 s[6:7], s[8:9], s[6:7]
	s_or_b64 s[4:5], s[4:5], s[6:7]
	v_cndmask_b32_e64 v39, v46, v30, s[4:5]
	v_cndmask_b32_e64 v19, v35, v36, s[4:5]
	v_add_u32_e32 v24, 1, v39
	v_add_u32_e32 v19, -1, v19
	v_min_u32_e32 v19, v24, v19
	v_lshlrev_b32_e32 v19, 3, v19
	ds_read_b64 v[22:23], v19
	v_cndmask_b32_e64 v19, v21, v18, s[0:1]
	v_cndmask_b32_e64 v18, v20, v17, s[0:1]
	;; [unrolled: 1-line block ×4, first 2 shown]
	s_waitcnt lgkmcnt(0)
	v_cndmask_b32_e64 v47, v23, v42, s[4:5]
	v_cndmask_b32_e64 v48, v22, v43, s[4:5]
	;; [unrolled: 1-line block ×4, first 2 shown]
	v_and_b32_e32 v21, s15, v47
	v_and_b32_e32 v20, s14, v48
	;; [unrolled: 1-line block ×4, first 2 shown]
	v_cmp_le_i64_e64 s[6:7], v[22:23], v[20:21]
	v_cmp_gt_u32_e64 s[8:9], s11, v30
	v_cmp_ge_u32_e64 s[0:1], v46, v35
	s_and_b64 s[6:7], s[8:9], s[6:7]
	s_or_b64 s[0:1], s[0:1], s[6:7]
	v_cndmask_b32_e64 v17, v46, v30, s[0:1]
	v_cndmask_b32_e64 v20, v35, v36, s[0:1]
	v_add_u32_e32 v51, 1, v17
	v_add_u32_e32 v20, -1, v20
	v_min_u32_e32 v20, v51, v20
	v_lshlrev_b32_e32 v20, 3, v20
	ds_read_b64 v[24:25], v20
	v_cndmask_b32_e64 v22, v37, v41, s[2:3]
	v_cndmask_b32_e32 v21, v26, v28, vcc
	v_cndmask_b32_e32 v20, v27, v29, vcc
	v_cndmask_b32_e64 v23, v31, v40, s[2:3]
	s_waitcnt lgkmcnt(0)
	v_cndmask_b32_e64 v41, v25, v47, s[0:1]
	v_cndmask_b32_e64 v52, v24, v48, s[0:1]
	;; [unrolled: 1-line block ×4, first 2 shown]
	v_and_b32_e32 v25, s15, v41
	v_and_b32_e32 v24, s14, v52
	;; [unrolled: 1-line block ×4, first 2 shown]
	v_cndmask_b32_e64 v30, v30, v51, s[0:1]
	v_cmp_le_i64_e64 s[2:3], v[26:27], v[24:25]
	v_cndmask_b32_e64 v31, v51, v46, s[0:1]
	v_cmp_gt_u32_e64 s[6:7], s11, v30
	v_cmp_ge_u32_e32 vcc, v31, v35
	s_and_b64 s[2:3], s[6:7], s[2:3]
	s_or_b64 vcc, vcc, s[2:3]
	v_cndmask_b32_e32 v40, v31, v30, vcc
	v_cndmask_b32_e32 v24, v35, v36, vcc
	v_add_u32_e32 v37, 1, v40
	v_add_u32_e32 v24, -1, v24
	v_min_u32_e32 v24, v37, v24
	v_lshlrev_b32_e32 v24, 3, v24
	ds_read_b64 v[28:29], v24
	v_cndmask_b32_e64 v25, v42, v44, s[4:5]
	v_cndmask_b32_e64 v24, v43, v45, s[4:5]
	;; [unrolled: 1-line block ×4, first 2 shown]
	s_waitcnt lgkmcnt(0)
	v_cndmask_b32_e32 v43, v29, v41, vcc
	v_cndmask_b32_e32 v44, v28, v52, vcc
	;; [unrolled: 1-line block ×6, first 2 shown]
	v_and_b32_e32 v29, s15, v43
	v_and_b32_e32 v28, s14, v44
	;; [unrolled: 1-line block ×4, first 2 shown]
	v_cmp_le_i64_e64 s[2:3], v[30:31], v[28:29]
	v_cmp_gt_u32_e64 s[4:5], s11, v48
	v_cmp_ge_u32_e64 s[0:1], v47, v35
	s_and_b64 s[2:3], s[4:5], s[2:3]
	s_or_b64 s[0:1], s[0:1], s[2:3]
	v_cndmask_b32_e64 v42, v47, v48, s[0:1]
	v_cndmask_b32_e64 v28, v35, v36, s[0:1]
	v_add_u32_e32 v49, 1, v42
	v_add_u32_e32 v28, -1, v28
	v_min_u32_e32 v28, v49, v28
	v_lshlrev_b32_e32 v28, 3, v28
	ds_read_b64 v[36:37], v28
	v_cndmask_b32_e32 v29, v41, v53, vcc
	v_cndmask_b32_e64 v31, v43, v45, s[0:1]
	v_cndmask_b32_e64 v30, v44, v46, s[0:1]
	v_cndmask_b32_e32 v28, v52, v54, vcc
	s_waitcnt lgkmcnt(0)
	v_cndmask_b32_e64 v41, v37, v43, s[0:1]
	v_cndmask_b32_e64 v50, v36, v44, s[0:1]
	;; [unrolled: 1-line block ×5, first 2 shown]
	v_cmp_ge_u32_e32 vcc, v46, v35
	v_and_b32_e32 v36, s15, v41
	v_and_b32_e32 v35, s14, v50
	;; [unrolled: 1-line block ×4, first 2 shown]
	v_cndmask_b32_e64 v47, v48, v49, s[0:1]
	v_cmp_le_i64_e64 s[0:1], v[43:44], v[35:36]
	v_cmp_gt_u32_e64 s[2:3], s11, v47
	s_and_b64 s[0:1], s[2:3], s[0:1]
	s_or_b64 vcc, vcc, s[0:1]
	v_cndmask_b32_e32 v43, v46, v47, vcc
	v_cndmask_b32_e32 v37, v41, v37, vcc
	;; [unrolled: 1-line block ×3, first 2 shown]
.LBB1103_49:
	s_or_b64 exec, exec, s[22:23]
	s_barrier
	ds_write2st64_b64 v38, v[1:2], v[3:4] offset1:2
	ds_write2st64_b64 v38, v[5:6], v[7:8] offset0:4 offset1:6
	ds_write2st64_b64 v38, v[9:10], v[11:12] offset0:8 offset1:10
	;; [unrolled: 1-line block ×3, first 2 shown]
	v_lshlrev_b32_e32 v1, 3, v32
	v_lshlrev_b32_e32 v2, 3, v33
	v_lshlrev_b32_e32 v3, 3, v34
	s_waitcnt lgkmcnt(0)
	s_barrier
	v_lshlrev_b32_e32 v4, 3, v39
	ds_read_b64 v[9:10], v1
	ds_read_b64 v[13:14], v2
	;; [unrolled: 1-line block ×4, first 2 shown]
	v_lshlrev_b32_e32 v3, 3, v17
	v_lshrrev_b32_e32 v17, 2, v0
	v_lshlrev_b32_e32 v32, 3, v38
	v_lshl_add_u32 v33, v17, 3, v32
	v_and_b32_e32 v17, 24, v17
	v_or_b32_e32 v49, 0x80, v0
	v_add_u32_e32 v34, v17, v38
	v_lshrrev_b32_e32 v17, 2, v49
	v_and_b32_e32 v17, 56, v17
	v_or_b32_e32 v48, 0x100, v0
	v_add_u32_e32 v35, v17, v38
	v_lshrrev_b32_e32 v17, 2, v48
	v_lshlrev_b32_e32 v4, 3, v40
	v_lshlrev_b32_e32 v7, 3, v42
	v_lshlrev_b32_e32 v8, 3, v43
	v_and_b32_e32 v17, 0x58, v17
	v_or_b32_e32 v47, 0x180, v0
	ds_read_b64 v[11:12], v3
	ds_read_b64 v[15:16], v4
	;; [unrolled: 1-line block ×4, first 2 shown]
	s_waitcnt lgkmcnt(0)
	s_barrier
	s_barrier
	ds_write2_b64 v33, v[18:19], v[20:21] offset1:1
	ds_write2_b64 v33, v[22:23], v[24:25] offset0:2 offset1:3
	ds_write2_b64 v33, v[26:27], v[28:29] offset0:4 offset1:5
	;; [unrolled: 1-line block ×3, first 2 shown]
	v_add_u32_e32 v36, v17, v38
	v_lshrrev_b32_e32 v17, 2, v47
	v_and_b32_e32 v17, 0x78, v17
	v_or_b32_e32 v46, 0x200, v0
	v_add_u32_e32 v37, v17, v38
	v_lshrrev_b32_e32 v17, 2, v46
	v_and_b32_e32 v17, 0x98, v17
	v_or_b32_e32 v45, 0x280, v0
	;; [unrolled: 4-line block ×3, first 2 shown]
	s_mov_b32 s11, 0
	v_add_u32_e32 v40, v17, v38
	v_lshrrev_b32_e32 v17, 2, v44
	s_lshl_b64 s[14:15], s[10:11], 3
	v_and_b32_e32 v17, 0xd8, v17
	v_or_b32_e32 v43, 0x380, v0
	s_add_u32 s0, s12, s14
	v_add_u32_e32 v41, v17, v38
	v_lshrrev_b32_e32 v17, 2, v43
	s_addc_u32 s1, s13, s15
	v_and_b32_e32 v17, 0xf8, v17
	v_add_u32_e32 v42, v17, v38
	v_mov_b32_e32 v18, s1
	v_add_co_u32_e32 v17, vcc, s0, v38
	v_addc_co_u32_e32 v18, vcc, 0, v18, vcc
	s_and_b64 vcc, exec, s[20:21]
	s_waitcnt lgkmcnt(0)
	s_cbranch_vccz .LBB1103_53
; %bb.50:
	s_barrier
	ds_read_b64 v[19:20], v34
	ds_read_b64 v[21:22], v35 offset:1024
	ds_read_b64 v[23:24], v36 offset:2048
	;; [unrolled: 1-line block ×7, first 2 shown]
	s_waitcnt lgkmcnt(7)
	global_store_dwordx2 v[17:18], v[19:20], off
	s_waitcnt lgkmcnt(6)
	global_store_dwordx2 v[17:18], v[21:22], off offset:1024
	s_waitcnt lgkmcnt(5)
	global_store_dwordx2 v[17:18], v[23:24], off offset:2048
	;; [unrolled: 2-line block ×3, first 2 shown]
	v_add_co_u32_e32 v19, vcc, 0x1000, v17
	s_add_u32 s0, s16, s14
	v_addc_co_u32_e32 v20, vcc, 0, v18, vcc
	s_addc_u32 s1, s17, s15
	s_waitcnt lgkmcnt(3)
	global_store_dwordx2 v[19:20], v[27:28], off
	s_waitcnt lgkmcnt(2)
	global_store_dwordx2 v[19:20], v[29:30], off offset:1024
	s_waitcnt lgkmcnt(1)
	global_store_dwordx2 v[19:20], v[31:32], off offset:2048
	;; [unrolled: 2-line block ×3, first 2 shown]
	s_waitcnt vmcnt(0)
	s_barrier
	ds_write2_b64 v33, v[9:10], v[13:14] offset1:1
	ds_write2_b64 v33, v[1:2], v[5:6] offset0:2 offset1:3
	ds_write2_b64 v33, v[11:12], v[15:16] offset0:4 offset1:5
	;; [unrolled: 1-line block ×3, first 2 shown]
	s_waitcnt lgkmcnt(0)
	s_barrier
	ds_read_b64 v[21:22], v34
	ds_read_b64 v[23:24], v35 offset:1024
	ds_read_b64 v[25:26], v36 offset:2048
	;; [unrolled: 1-line block ×7, first 2 shown]
	v_mov_b32_e32 v52, s1
	v_add_co_u32_e32 v53, vcc, s0, v38
	v_addc_co_u32_e32 v52, vcc, 0, v52, vcc
	s_waitcnt lgkmcnt(7)
	global_store_dwordx2 v38, v[21:22], s[0:1]
	s_waitcnt lgkmcnt(6)
	global_store_dwordx2 v38, v[23:24], s[0:1] offset:1024
	s_waitcnt lgkmcnt(5)
	global_store_dwordx2 v38, v[25:26], s[0:1] offset:2048
	;; [unrolled: 2-line block ×3, first 2 shown]
	v_add_co_u32_e32 v21, vcc, 0x1000, v53
	v_addc_co_u32_e32 v22, vcc, 0, v52, vcc
	s_waitcnt lgkmcnt(3)
	global_store_dwordx2 v[21:22], v[29:30], off
	s_waitcnt lgkmcnt(2)
	global_store_dwordx2 v[21:22], v[31:32], off offset:1024
	s_waitcnt lgkmcnt(1)
	global_store_dwordx2 v[21:22], v[50:51], off offset:2048
	s_mov_b64 s[20:21], -1
	s_cbranch_execz .LBB1103_54
	s_branch .LBB1103_79
.LBB1103_51:
	s_or_b64 exec, exec, s[2:3]
	v_cmp_gt_u32_e32 vcc, s8, v34
	s_and_saveexec_b64 s[2:3], vcc
	s_cbranch_execz .LBB1103_26
.LBB1103_52:
	v_mov_b32_e32 v35, 0
	v_lshlrev_b64 v[3:4], 3, v[34:35]
	v_mov_b32_e32 v17, s23
	v_add_co_u32_e32 v33, vcc, s22, v3
	v_addc_co_u32_e32 v17, vcc, v17, v4, vcc
	v_subrev_co_u32_e32 v34, vcc, s11, v34
	v_lshlrev_b64 v[3:4], 3, v[34:35]
	v_mov_b32_e32 v34, s7
	v_add_co_u32_e64 v3, s[0:1], s6, v3
	v_addc_co_u32_e64 v4, s[0:1], v34, v4, s[0:1]
	v_cndmask_b32_e32 v4, v4, v17, vcc
	v_cndmask_b32_e32 v3, v3, v33, vcc
	global_load_dwordx2 v[3:4], v[3:4], off
	s_or_b64 exec, exec, s[2:3]
	v_cmp_gt_u32_e32 vcc, s8, v32
	s_and_saveexec_b64 s[2:3], vcc
	s_cbranch_execnz .LBB1103_27
	s_branch .LBB1103_28
.LBB1103_53:
	s_mov_b64 s[20:21], 0
                                        ; implicit-def: $vgpr19_vgpr20
.LBB1103_54:
	s_waitcnt vmcnt(0) lgkmcnt(0)
	s_barrier
	ds_read_b64 v[31:32], v35 offset:1024
	ds_read_b64 v[29:30], v36 offset:2048
	;; [unrolled: 1-line block ×7, first 2 shown]
	s_sub_i32 s20, s18, s10
	v_cmp_gt_u32_e64 s[0:1], s20, v0
	s_and_saveexec_b64 s[2:3], s[0:1]
	s_cbranch_execz .LBB1103_62
; %bb.55:
	ds_read_b64 v[50:51], v34
	s_waitcnt lgkmcnt(0)
	global_store_dwordx2 v[17:18], v[50:51], off
	s_or_b64 exec, exec, s[2:3]
	v_cmp_gt_u32_e64 s[2:3], s20, v49
	s_and_saveexec_b64 s[4:5], s[2:3]
	s_cbranch_execnz .LBB1103_63
.LBB1103_56:
	s_or_b64 exec, exec, s[4:5]
	v_cmp_gt_u32_e64 s[4:5], s20, v48
	s_and_saveexec_b64 s[6:7], s[4:5]
	s_cbranch_execz .LBB1103_64
.LBB1103_57:
	s_waitcnt lgkmcnt(5)
	global_store_dwordx2 v[17:18], v[29:30], off offset:2048
	s_or_b64 exec, exec, s[6:7]
	v_cmp_gt_u32_e64 s[6:7], s20, v47
	s_and_saveexec_b64 s[8:9], s[6:7]
	s_cbranch_execnz .LBB1103_65
.LBB1103_58:
	s_or_b64 exec, exec, s[8:9]
	v_cmp_gt_u32_e64 s[8:9], s20, v46
	s_and_saveexec_b64 s[10:11], s[8:9]
	s_cbranch_execz .LBB1103_66
.LBB1103_59:
	s_waitcnt lgkmcnt(4)
	v_add_co_u32_e32 v27, vcc, 0x1000, v17
	v_addc_co_u32_e32 v28, vcc, 0, v18, vcc
	s_waitcnt lgkmcnt(3)
	global_store_dwordx2 v[27:28], v[25:26], off
	s_or_b64 exec, exec, s[10:11]
	v_cmp_gt_u32_e64 s[10:11], s20, v45
	s_and_saveexec_b64 s[12:13], s[10:11]
	s_cbranch_execnz .LBB1103_67
.LBB1103_60:
	s_or_b64 exec, exec, s[12:13]
	v_cmp_gt_u32_e64 s[12:13], s20, v44
	s_and_saveexec_b64 s[18:19], s[12:13]
	s_cbranch_execz .LBB1103_68
.LBB1103_61:
	s_waitcnt lgkmcnt(2)
	v_add_co_u32_e32 v23, vcc, 0x1000, v17
	v_addc_co_u32_e32 v24, vcc, 0, v18, vcc
	s_waitcnt lgkmcnt(1)
	global_store_dwordx2 v[23:24], v[21:22], off offset:2048
	s_or_b64 exec, exec, s[18:19]
	v_cmp_gt_u32_e64 s[20:21], s20, v43
	s_and_saveexec_b64 s[18:19], s[20:21]
	s_cbranch_execnz .LBB1103_69
	s_branch .LBB1103_70
.LBB1103_62:
	s_or_b64 exec, exec, s[2:3]
	v_cmp_gt_u32_e64 s[2:3], s20, v49
	s_and_saveexec_b64 s[4:5], s[2:3]
	s_cbranch_execz .LBB1103_56
.LBB1103_63:
	s_waitcnt lgkmcnt(6)
	global_store_dwordx2 v[17:18], v[31:32], off offset:1024
	s_or_b64 exec, exec, s[4:5]
	v_cmp_gt_u32_e64 s[4:5], s20, v48
	s_and_saveexec_b64 s[6:7], s[4:5]
	s_cbranch_execnz .LBB1103_57
.LBB1103_64:
	s_or_b64 exec, exec, s[6:7]
	v_cmp_gt_u32_e64 s[6:7], s20, v47
	s_and_saveexec_b64 s[8:9], s[6:7]
	s_cbranch_execz .LBB1103_58
.LBB1103_65:
	s_waitcnt lgkmcnt(4)
	global_store_dwordx2 v[17:18], v[27:28], off offset:3072
	s_or_b64 exec, exec, s[8:9]
	v_cmp_gt_u32_e64 s[8:9], s20, v46
	s_and_saveexec_b64 s[10:11], s[8:9]
	s_cbranch_execnz .LBB1103_59
.LBB1103_66:
	s_or_b64 exec, exec, s[10:11]
	v_cmp_gt_u32_e64 s[10:11], s20, v45
	s_and_saveexec_b64 s[12:13], s[10:11]
	s_cbranch_execz .LBB1103_60
.LBB1103_67:
	s_waitcnt lgkmcnt(3)
	v_add_co_u32_e32 v25, vcc, 0x1000, v17
	v_addc_co_u32_e32 v26, vcc, 0, v18, vcc
	s_waitcnt lgkmcnt(2)
	global_store_dwordx2 v[25:26], v[23:24], off offset:1024
	s_or_b64 exec, exec, s[12:13]
	v_cmp_gt_u32_e64 s[12:13], s20, v44
	s_and_saveexec_b64 s[18:19], s[12:13]
	s_cbranch_execnz .LBB1103_61
.LBB1103_68:
	s_or_b64 exec, exec, s[18:19]
	v_cmp_gt_u32_e64 s[20:21], s20, v43
	s_and_saveexec_b64 s[18:19], s[20:21]
	s_cbranch_execz .LBB1103_70
.LBB1103_69:
	v_add_co_u32_e32 v17, vcc, 0x1000, v17
	v_addc_co_u32_e32 v18, vcc, 0, v18, vcc
	s_waitcnt lgkmcnt(0)
	global_store_dwordx2 v[17:18], v[19:20], off offset:3072
.LBB1103_70:
	s_or_b64 exec, exec, s[18:19]
	s_waitcnt vmcnt(0) lgkmcnt(0)
	s_barrier
	ds_write2_b64 v33, v[9:10], v[13:14] offset1:1
	ds_write2_b64 v33, v[1:2], v[5:6] offset0:2 offset1:3
	ds_write2_b64 v33, v[11:12], v[15:16] offset0:4 offset1:5
	;; [unrolled: 1-line block ×3, first 2 shown]
	s_waitcnt lgkmcnt(0)
	s_barrier
	ds_read_b64 v[12:13], v35 offset:1024
	ds_read_b64 v[10:11], v36 offset:2048
	ds_read_b64 v[8:9], v37 offset:3072
	ds_read_b64 v[6:7], v39 offset:4096
	ds_read_b64 v[4:5], v40 offset:5120
	ds_read_b64 v[0:1], v41 offset:6144
	ds_read_b64 v[19:20], v42 offset:7168
	s_add_u32 s18, s16, s14
	s_addc_u32 s19, s17, s15
	v_mov_b32_e32 v3, s19
	v_add_co_u32_e32 v2, vcc, s18, v38
	v_addc_co_u32_e32 v3, vcc, 0, v3, vcc
	s_and_saveexec_b64 s[18:19], s[0:1]
	s_cbranch_execz .LBB1103_82
; %bb.71:
	ds_read_b64 v[14:15], v34
	s_waitcnt lgkmcnt(0)
	global_store_dwordx2 v[2:3], v[14:15], off
	s_or_b64 exec, exec, s[18:19]
	s_and_saveexec_b64 s[0:1], s[2:3]
	s_cbranch_execnz .LBB1103_83
.LBB1103_72:
	s_or_b64 exec, exec, s[0:1]
	s_and_saveexec_b64 s[0:1], s[4:5]
	s_cbranch_execz .LBB1103_84
.LBB1103_73:
	s_waitcnt lgkmcnt(5)
	global_store_dwordx2 v[2:3], v[10:11], off offset:2048
	s_or_b64 exec, exec, s[0:1]
	s_and_saveexec_b64 s[0:1], s[6:7]
	s_cbranch_execnz .LBB1103_85
.LBB1103_74:
	s_or_b64 exec, exec, s[0:1]
	s_and_saveexec_b64 s[0:1], s[8:9]
	s_cbranch_execz .LBB1103_86
.LBB1103_75:
	s_waitcnt lgkmcnt(4)
	v_add_co_u32_e32 v8, vcc, 0x1000, v2
	v_addc_co_u32_e32 v9, vcc, 0, v3, vcc
	s_waitcnt lgkmcnt(3)
	global_store_dwordx2 v[8:9], v[6:7], off
	s_or_b64 exec, exec, s[0:1]
	s_and_saveexec_b64 s[0:1], s[10:11]
	s_cbranch_execnz .LBB1103_87
.LBB1103_76:
	s_or_b64 exec, exec, s[0:1]
	s_and_saveexec_b64 s[0:1], s[12:13]
	s_cbranch_execz .LBB1103_78
.LBB1103_77:
	v_add_co_u32_e32 v2, vcc, 0x1000, v2
	v_addc_co_u32_e32 v3, vcc, 0, v3, vcc
	s_waitcnt lgkmcnt(1)
	global_store_dwordx2 v[2:3], v[0:1], off offset:2048
.LBB1103_78:
	s_or_b64 exec, exec, s[0:1]
.LBB1103_79:
	s_and_saveexec_b64 s[0:1], s[20:21]
	s_cbranch_execz .LBB1103_81
; %bb.80:
	s_add_u32 s0, s16, s14
	s_addc_u32 s1, s17, s15
	s_waitcnt lgkmcnt(1)
	v_mov_b32_e32 v0, s1
	v_add_co_u32_e32 v1, vcc, s0, v38
	v_addc_co_u32_e32 v2, vcc, 0, v0, vcc
	v_add_co_u32_e32 v0, vcc, 0x1000, v1
	v_addc_co_u32_e32 v1, vcc, 0, v2, vcc
	s_waitcnt lgkmcnt(0)
	global_store_dwordx2 v[0:1], v[19:20], off offset:3072
.LBB1103_81:
	s_endpgm
.LBB1103_82:
	s_or_b64 exec, exec, s[18:19]
	s_and_saveexec_b64 s[0:1], s[2:3]
	s_cbranch_execz .LBB1103_72
.LBB1103_83:
	s_waitcnt lgkmcnt(6)
	global_store_dwordx2 v[2:3], v[12:13], off offset:1024
	s_or_b64 exec, exec, s[0:1]
	s_and_saveexec_b64 s[0:1], s[4:5]
	s_cbranch_execnz .LBB1103_73
.LBB1103_84:
	s_or_b64 exec, exec, s[0:1]
	s_and_saveexec_b64 s[0:1], s[6:7]
	s_cbranch_execz .LBB1103_74
.LBB1103_85:
	s_waitcnt lgkmcnt(4)
	global_store_dwordx2 v[2:3], v[8:9], off offset:3072
	s_or_b64 exec, exec, s[0:1]
	s_and_saveexec_b64 s[0:1], s[8:9]
	s_cbranch_execnz .LBB1103_75
.LBB1103_86:
	s_or_b64 exec, exec, s[0:1]
	s_and_saveexec_b64 s[0:1], s[10:11]
	s_cbranch_execz .LBB1103_76
.LBB1103_87:
	s_waitcnt lgkmcnt(3)
	v_add_co_u32_e32 v6, vcc, 0x1000, v2
	v_addc_co_u32_e32 v7, vcc, 0, v3, vcc
	s_waitcnt lgkmcnt(2)
	global_store_dwordx2 v[6:7], v[4:5], off offset:1024
	s_or_b64 exec, exec, s[0:1]
	s_and_saveexec_b64 s[0:1], s[12:13]
	s_cbranch_execnz .LBB1103_77
	s_branch .LBB1103_78
	.section	.rodata,"a",@progbits
	.p2align	6, 0x0
	.amdhsa_kernel _ZN7rocprim17ROCPRIM_400000_NS6detail17trampoline_kernelINS0_14default_configENS1_38merge_sort_block_merge_config_selectorIllEEZZNS1_27merge_sort_block_merge_implIS3_PlN6thrust23THRUST_200600_302600_NS10device_ptrIlEEjNS1_19radix_merge_compareILb0ELb1ElNS0_19identity_decomposerEEEEE10hipError_tT0_T1_T2_jT3_P12ihipStream_tbPNSt15iterator_traitsISG_E10value_typeEPNSM_ISH_E10value_typeEPSI_NS1_7vsmem_tEENKUlT_SG_SH_SI_E_clIS7_S7_SB_S7_EESF_SV_SG_SH_SI_EUlSV_E0_NS1_11comp_targetILNS1_3genE2ELNS1_11target_archE906ELNS1_3gpuE6ELNS1_3repE0EEENS1_38merge_mergepath_config_static_selectorELNS0_4arch9wavefront6targetE1EEEvSH_
		.amdhsa_group_segment_fixed_size 8448
		.amdhsa_private_segment_fixed_size 0
		.amdhsa_kernarg_size 328
		.amdhsa_user_sgpr_count 6
		.amdhsa_user_sgpr_private_segment_buffer 1
		.amdhsa_user_sgpr_dispatch_ptr 0
		.amdhsa_user_sgpr_queue_ptr 0
		.amdhsa_user_sgpr_kernarg_segment_ptr 1
		.amdhsa_user_sgpr_dispatch_id 0
		.amdhsa_user_sgpr_flat_scratch_init 0
		.amdhsa_user_sgpr_private_segment_size 0
		.amdhsa_uses_dynamic_stack 0
		.amdhsa_system_sgpr_private_segment_wavefront_offset 0
		.amdhsa_system_sgpr_workgroup_id_x 1
		.amdhsa_system_sgpr_workgroup_id_y 1
		.amdhsa_system_sgpr_workgroup_id_z 1
		.amdhsa_system_sgpr_workgroup_info 0
		.amdhsa_system_vgpr_workitem_id 0
		.amdhsa_next_free_vgpr 55
		.amdhsa_next_free_sgpr 98
		.amdhsa_reserve_vcc 1
		.amdhsa_reserve_flat_scratch 0
		.amdhsa_float_round_mode_32 0
		.amdhsa_float_round_mode_16_64 0
		.amdhsa_float_denorm_mode_32 3
		.amdhsa_float_denorm_mode_16_64 3
		.amdhsa_dx10_clamp 1
		.amdhsa_ieee_mode 1
		.amdhsa_fp16_overflow 0
		.amdhsa_exception_fp_ieee_invalid_op 0
		.amdhsa_exception_fp_denorm_src 0
		.amdhsa_exception_fp_ieee_div_zero 0
		.amdhsa_exception_fp_ieee_overflow 0
		.amdhsa_exception_fp_ieee_underflow 0
		.amdhsa_exception_fp_ieee_inexact 0
		.amdhsa_exception_int_div_zero 0
	.end_amdhsa_kernel
	.section	.text._ZN7rocprim17ROCPRIM_400000_NS6detail17trampoline_kernelINS0_14default_configENS1_38merge_sort_block_merge_config_selectorIllEEZZNS1_27merge_sort_block_merge_implIS3_PlN6thrust23THRUST_200600_302600_NS10device_ptrIlEEjNS1_19radix_merge_compareILb0ELb1ElNS0_19identity_decomposerEEEEE10hipError_tT0_T1_T2_jT3_P12ihipStream_tbPNSt15iterator_traitsISG_E10value_typeEPNSM_ISH_E10value_typeEPSI_NS1_7vsmem_tEENKUlT_SG_SH_SI_E_clIS7_S7_SB_S7_EESF_SV_SG_SH_SI_EUlSV_E0_NS1_11comp_targetILNS1_3genE2ELNS1_11target_archE906ELNS1_3gpuE6ELNS1_3repE0EEENS1_38merge_mergepath_config_static_selectorELNS0_4arch9wavefront6targetE1EEEvSH_,"axG",@progbits,_ZN7rocprim17ROCPRIM_400000_NS6detail17trampoline_kernelINS0_14default_configENS1_38merge_sort_block_merge_config_selectorIllEEZZNS1_27merge_sort_block_merge_implIS3_PlN6thrust23THRUST_200600_302600_NS10device_ptrIlEEjNS1_19radix_merge_compareILb0ELb1ElNS0_19identity_decomposerEEEEE10hipError_tT0_T1_T2_jT3_P12ihipStream_tbPNSt15iterator_traitsISG_E10value_typeEPNSM_ISH_E10value_typeEPSI_NS1_7vsmem_tEENKUlT_SG_SH_SI_E_clIS7_S7_SB_S7_EESF_SV_SG_SH_SI_EUlSV_E0_NS1_11comp_targetILNS1_3genE2ELNS1_11target_archE906ELNS1_3gpuE6ELNS1_3repE0EEENS1_38merge_mergepath_config_static_selectorELNS0_4arch9wavefront6targetE1EEEvSH_,comdat
.Lfunc_end1103:
	.size	_ZN7rocprim17ROCPRIM_400000_NS6detail17trampoline_kernelINS0_14default_configENS1_38merge_sort_block_merge_config_selectorIllEEZZNS1_27merge_sort_block_merge_implIS3_PlN6thrust23THRUST_200600_302600_NS10device_ptrIlEEjNS1_19radix_merge_compareILb0ELb1ElNS0_19identity_decomposerEEEEE10hipError_tT0_T1_T2_jT3_P12ihipStream_tbPNSt15iterator_traitsISG_E10value_typeEPNSM_ISH_E10value_typeEPSI_NS1_7vsmem_tEENKUlT_SG_SH_SI_E_clIS7_S7_SB_S7_EESF_SV_SG_SH_SI_EUlSV_E0_NS1_11comp_targetILNS1_3genE2ELNS1_11target_archE906ELNS1_3gpuE6ELNS1_3repE0EEENS1_38merge_mergepath_config_static_selectorELNS0_4arch9wavefront6targetE1EEEvSH_, .Lfunc_end1103-_ZN7rocprim17ROCPRIM_400000_NS6detail17trampoline_kernelINS0_14default_configENS1_38merge_sort_block_merge_config_selectorIllEEZZNS1_27merge_sort_block_merge_implIS3_PlN6thrust23THRUST_200600_302600_NS10device_ptrIlEEjNS1_19radix_merge_compareILb0ELb1ElNS0_19identity_decomposerEEEEE10hipError_tT0_T1_T2_jT3_P12ihipStream_tbPNSt15iterator_traitsISG_E10value_typeEPNSM_ISH_E10value_typeEPSI_NS1_7vsmem_tEENKUlT_SG_SH_SI_E_clIS7_S7_SB_S7_EESF_SV_SG_SH_SI_EUlSV_E0_NS1_11comp_targetILNS1_3genE2ELNS1_11target_archE906ELNS1_3gpuE6ELNS1_3repE0EEENS1_38merge_mergepath_config_static_selectorELNS0_4arch9wavefront6targetE1EEEvSH_
                                        ; -- End function
	.set _ZN7rocprim17ROCPRIM_400000_NS6detail17trampoline_kernelINS0_14default_configENS1_38merge_sort_block_merge_config_selectorIllEEZZNS1_27merge_sort_block_merge_implIS3_PlN6thrust23THRUST_200600_302600_NS10device_ptrIlEEjNS1_19radix_merge_compareILb0ELb1ElNS0_19identity_decomposerEEEEE10hipError_tT0_T1_T2_jT3_P12ihipStream_tbPNSt15iterator_traitsISG_E10value_typeEPNSM_ISH_E10value_typeEPSI_NS1_7vsmem_tEENKUlT_SG_SH_SI_E_clIS7_S7_SB_S7_EESF_SV_SG_SH_SI_EUlSV_E0_NS1_11comp_targetILNS1_3genE2ELNS1_11target_archE906ELNS1_3gpuE6ELNS1_3repE0EEENS1_38merge_mergepath_config_static_selectorELNS0_4arch9wavefront6targetE1EEEvSH_.num_vgpr, 55
	.set _ZN7rocprim17ROCPRIM_400000_NS6detail17trampoline_kernelINS0_14default_configENS1_38merge_sort_block_merge_config_selectorIllEEZZNS1_27merge_sort_block_merge_implIS3_PlN6thrust23THRUST_200600_302600_NS10device_ptrIlEEjNS1_19radix_merge_compareILb0ELb1ElNS0_19identity_decomposerEEEEE10hipError_tT0_T1_T2_jT3_P12ihipStream_tbPNSt15iterator_traitsISG_E10value_typeEPNSM_ISH_E10value_typeEPSI_NS1_7vsmem_tEENKUlT_SG_SH_SI_E_clIS7_S7_SB_S7_EESF_SV_SG_SH_SI_EUlSV_E0_NS1_11comp_targetILNS1_3genE2ELNS1_11target_archE906ELNS1_3gpuE6ELNS1_3repE0EEENS1_38merge_mergepath_config_static_selectorELNS0_4arch9wavefront6targetE1EEEvSH_.num_agpr, 0
	.set _ZN7rocprim17ROCPRIM_400000_NS6detail17trampoline_kernelINS0_14default_configENS1_38merge_sort_block_merge_config_selectorIllEEZZNS1_27merge_sort_block_merge_implIS3_PlN6thrust23THRUST_200600_302600_NS10device_ptrIlEEjNS1_19radix_merge_compareILb0ELb1ElNS0_19identity_decomposerEEEEE10hipError_tT0_T1_T2_jT3_P12ihipStream_tbPNSt15iterator_traitsISG_E10value_typeEPNSM_ISH_E10value_typeEPSI_NS1_7vsmem_tEENKUlT_SG_SH_SI_E_clIS7_S7_SB_S7_EESF_SV_SG_SH_SI_EUlSV_E0_NS1_11comp_targetILNS1_3genE2ELNS1_11target_archE906ELNS1_3gpuE6ELNS1_3repE0EEENS1_38merge_mergepath_config_static_selectorELNS0_4arch9wavefront6targetE1EEEvSH_.numbered_sgpr, 34
	.set _ZN7rocprim17ROCPRIM_400000_NS6detail17trampoline_kernelINS0_14default_configENS1_38merge_sort_block_merge_config_selectorIllEEZZNS1_27merge_sort_block_merge_implIS3_PlN6thrust23THRUST_200600_302600_NS10device_ptrIlEEjNS1_19radix_merge_compareILb0ELb1ElNS0_19identity_decomposerEEEEE10hipError_tT0_T1_T2_jT3_P12ihipStream_tbPNSt15iterator_traitsISG_E10value_typeEPNSM_ISH_E10value_typeEPSI_NS1_7vsmem_tEENKUlT_SG_SH_SI_E_clIS7_S7_SB_S7_EESF_SV_SG_SH_SI_EUlSV_E0_NS1_11comp_targetILNS1_3genE2ELNS1_11target_archE906ELNS1_3gpuE6ELNS1_3repE0EEENS1_38merge_mergepath_config_static_selectorELNS0_4arch9wavefront6targetE1EEEvSH_.num_named_barrier, 0
	.set _ZN7rocprim17ROCPRIM_400000_NS6detail17trampoline_kernelINS0_14default_configENS1_38merge_sort_block_merge_config_selectorIllEEZZNS1_27merge_sort_block_merge_implIS3_PlN6thrust23THRUST_200600_302600_NS10device_ptrIlEEjNS1_19radix_merge_compareILb0ELb1ElNS0_19identity_decomposerEEEEE10hipError_tT0_T1_T2_jT3_P12ihipStream_tbPNSt15iterator_traitsISG_E10value_typeEPNSM_ISH_E10value_typeEPSI_NS1_7vsmem_tEENKUlT_SG_SH_SI_E_clIS7_S7_SB_S7_EESF_SV_SG_SH_SI_EUlSV_E0_NS1_11comp_targetILNS1_3genE2ELNS1_11target_archE906ELNS1_3gpuE6ELNS1_3repE0EEENS1_38merge_mergepath_config_static_selectorELNS0_4arch9wavefront6targetE1EEEvSH_.private_seg_size, 0
	.set _ZN7rocprim17ROCPRIM_400000_NS6detail17trampoline_kernelINS0_14default_configENS1_38merge_sort_block_merge_config_selectorIllEEZZNS1_27merge_sort_block_merge_implIS3_PlN6thrust23THRUST_200600_302600_NS10device_ptrIlEEjNS1_19radix_merge_compareILb0ELb1ElNS0_19identity_decomposerEEEEE10hipError_tT0_T1_T2_jT3_P12ihipStream_tbPNSt15iterator_traitsISG_E10value_typeEPNSM_ISH_E10value_typeEPSI_NS1_7vsmem_tEENKUlT_SG_SH_SI_E_clIS7_S7_SB_S7_EESF_SV_SG_SH_SI_EUlSV_E0_NS1_11comp_targetILNS1_3genE2ELNS1_11target_archE906ELNS1_3gpuE6ELNS1_3repE0EEENS1_38merge_mergepath_config_static_selectorELNS0_4arch9wavefront6targetE1EEEvSH_.uses_vcc, 1
	.set _ZN7rocprim17ROCPRIM_400000_NS6detail17trampoline_kernelINS0_14default_configENS1_38merge_sort_block_merge_config_selectorIllEEZZNS1_27merge_sort_block_merge_implIS3_PlN6thrust23THRUST_200600_302600_NS10device_ptrIlEEjNS1_19radix_merge_compareILb0ELb1ElNS0_19identity_decomposerEEEEE10hipError_tT0_T1_T2_jT3_P12ihipStream_tbPNSt15iterator_traitsISG_E10value_typeEPNSM_ISH_E10value_typeEPSI_NS1_7vsmem_tEENKUlT_SG_SH_SI_E_clIS7_S7_SB_S7_EESF_SV_SG_SH_SI_EUlSV_E0_NS1_11comp_targetILNS1_3genE2ELNS1_11target_archE906ELNS1_3gpuE6ELNS1_3repE0EEENS1_38merge_mergepath_config_static_selectorELNS0_4arch9wavefront6targetE1EEEvSH_.uses_flat_scratch, 0
	.set _ZN7rocprim17ROCPRIM_400000_NS6detail17trampoline_kernelINS0_14default_configENS1_38merge_sort_block_merge_config_selectorIllEEZZNS1_27merge_sort_block_merge_implIS3_PlN6thrust23THRUST_200600_302600_NS10device_ptrIlEEjNS1_19radix_merge_compareILb0ELb1ElNS0_19identity_decomposerEEEEE10hipError_tT0_T1_T2_jT3_P12ihipStream_tbPNSt15iterator_traitsISG_E10value_typeEPNSM_ISH_E10value_typeEPSI_NS1_7vsmem_tEENKUlT_SG_SH_SI_E_clIS7_S7_SB_S7_EESF_SV_SG_SH_SI_EUlSV_E0_NS1_11comp_targetILNS1_3genE2ELNS1_11target_archE906ELNS1_3gpuE6ELNS1_3repE0EEENS1_38merge_mergepath_config_static_selectorELNS0_4arch9wavefront6targetE1EEEvSH_.has_dyn_sized_stack, 0
	.set _ZN7rocprim17ROCPRIM_400000_NS6detail17trampoline_kernelINS0_14default_configENS1_38merge_sort_block_merge_config_selectorIllEEZZNS1_27merge_sort_block_merge_implIS3_PlN6thrust23THRUST_200600_302600_NS10device_ptrIlEEjNS1_19radix_merge_compareILb0ELb1ElNS0_19identity_decomposerEEEEE10hipError_tT0_T1_T2_jT3_P12ihipStream_tbPNSt15iterator_traitsISG_E10value_typeEPNSM_ISH_E10value_typeEPSI_NS1_7vsmem_tEENKUlT_SG_SH_SI_E_clIS7_S7_SB_S7_EESF_SV_SG_SH_SI_EUlSV_E0_NS1_11comp_targetILNS1_3genE2ELNS1_11target_archE906ELNS1_3gpuE6ELNS1_3repE0EEENS1_38merge_mergepath_config_static_selectorELNS0_4arch9wavefront6targetE1EEEvSH_.has_recursion, 0
	.set _ZN7rocprim17ROCPRIM_400000_NS6detail17trampoline_kernelINS0_14default_configENS1_38merge_sort_block_merge_config_selectorIllEEZZNS1_27merge_sort_block_merge_implIS3_PlN6thrust23THRUST_200600_302600_NS10device_ptrIlEEjNS1_19radix_merge_compareILb0ELb1ElNS0_19identity_decomposerEEEEE10hipError_tT0_T1_T2_jT3_P12ihipStream_tbPNSt15iterator_traitsISG_E10value_typeEPNSM_ISH_E10value_typeEPSI_NS1_7vsmem_tEENKUlT_SG_SH_SI_E_clIS7_S7_SB_S7_EESF_SV_SG_SH_SI_EUlSV_E0_NS1_11comp_targetILNS1_3genE2ELNS1_11target_archE906ELNS1_3gpuE6ELNS1_3repE0EEENS1_38merge_mergepath_config_static_selectorELNS0_4arch9wavefront6targetE1EEEvSH_.has_indirect_call, 0
	.section	.AMDGPU.csdata,"",@progbits
; Kernel info:
; codeLenInByte = 6424
; TotalNumSgprs: 38
; NumVgprs: 55
; ScratchSize: 0
; MemoryBound: 0
; FloatMode: 240
; IeeeMode: 1
; LDSByteSize: 8448 bytes/workgroup (compile time only)
; SGPRBlocks: 12
; VGPRBlocks: 13
; NumSGPRsForWavesPerEU: 102
; NumVGPRsForWavesPerEU: 55
; Occupancy: 4
; WaveLimiterHint : 1
; COMPUTE_PGM_RSRC2:SCRATCH_EN: 0
; COMPUTE_PGM_RSRC2:USER_SGPR: 6
; COMPUTE_PGM_RSRC2:TRAP_HANDLER: 0
; COMPUTE_PGM_RSRC2:TGID_X_EN: 1
; COMPUTE_PGM_RSRC2:TGID_Y_EN: 1
; COMPUTE_PGM_RSRC2:TGID_Z_EN: 1
; COMPUTE_PGM_RSRC2:TIDIG_COMP_CNT: 0
	.section	.text._ZN7rocprim17ROCPRIM_400000_NS6detail17trampoline_kernelINS0_14default_configENS1_38merge_sort_block_merge_config_selectorIllEEZZNS1_27merge_sort_block_merge_implIS3_PlN6thrust23THRUST_200600_302600_NS10device_ptrIlEEjNS1_19radix_merge_compareILb0ELb1ElNS0_19identity_decomposerEEEEE10hipError_tT0_T1_T2_jT3_P12ihipStream_tbPNSt15iterator_traitsISG_E10value_typeEPNSM_ISH_E10value_typeEPSI_NS1_7vsmem_tEENKUlT_SG_SH_SI_E_clIS7_S7_SB_S7_EESF_SV_SG_SH_SI_EUlSV_E0_NS1_11comp_targetILNS1_3genE9ELNS1_11target_archE1100ELNS1_3gpuE3ELNS1_3repE0EEENS1_38merge_mergepath_config_static_selectorELNS0_4arch9wavefront6targetE1EEEvSH_,"axG",@progbits,_ZN7rocprim17ROCPRIM_400000_NS6detail17trampoline_kernelINS0_14default_configENS1_38merge_sort_block_merge_config_selectorIllEEZZNS1_27merge_sort_block_merge_implIS3_PlN6thrust23THRUST_200600_302600_NS10device_ptrIlEEjNS1_19radix_merge_compareILb0ELb1ElNS0_19identity_decomposerEEEEE10hipError_tT0_T1_T2_jT3_P12ihipStream_tbPNSt15iterator_traitsISG_E10value_typeEPNSM_ISH_E10value_typeEPSI_NS1_7vsmem_tEENKUlT_SG_SH_SI_E_clIS7_S7_SB_S7_EESF_SV_SG_SH_SI_EUlSV_E0_NS1_11comp_targetILNS1_3genE9ELNS1_11target_archE1100ELNS1_3gpuE3ELNS1_3repE0EEENS1_38merge_mergepath_config_static_selectorELNS0_4arch9wavefront6targetE1EEEvSH_,comdat
	.protected	_ZN7rocprim17ROCPRIM_400000_NS6detail17trampoline_kernelINS0_14default_configENS1_38merge_sort_block_merge_config_selectorIllEEZZNS1_27merge_sort_block_merge_implIS3_PlN6thrust23THRUST_200600_302600_NS10device_ptrIlEEjNS1_19radix_merge_compareILb0ELb1ElNS0_19identity_decomposerEEEEE10hipError_tT0_T1_T2_jT3_P12ihipStream_tbPNSt15iterator_traitsISG_E10value_typeEPNSM_ISH_E10value_typeEPSI_NS1_7vsmem_tEENKUlT_SG_SH_SI_E_clIS7_S7_SB_S7_EESF_SV_SG_SH_SI_EUlSV_E0_NS1_11comp_targetILNS1_3genE9ELNS1_11target_archE1100ELNS1_3gpuE3ELNS1_3repE0EEENS1_38merge_mergepath_config_static_selectorELNS0_4arch9wavefront6targetE1EEEvSH_ ; -- Begin function _ZN7rocprim17ROCPRIM_400000_NS6detail17trampoline_kernelINS0_14default_configENS1_38merge_sort_block_merge_config_selectorIllEEZZNS1_27merge_sort_block_merge_implIS3_PlN6thrust23THRUST_200600_302600_NS10device_ptrIlEEjNS1_19radix_merge_compareILb0ELb1ElNS0_19identity_decomposerEEEEE10hipError_tT0_T1_T2_jT3_P12ihipStream_tbPNSt15iterator_traitsISG_E10value_typeEPNSM_ISH_E10value_typeEPSI_NS1_7vsmem_tEENKUlT_SG_SH_SI_E_clIS7_S7_SB_S7_EESF_SV_SG_SH_SI_EUlSV_E0_NS1_11comp_targetILNS1_3genE9ELNS1_11target_archE1100ELNS1_3gpuE3ELNS1_3repE0EEENS1_38merge_mergepath_config_static_selectorELNS0_4arch9wavefront6targetE1EEEvSH_
	.globl	_ZN7rocprim17ROCPRIM_400000_NS6detail17trampoline_kernelINS0_14default_configENS1_38merge_sort_block_merge_config_selectorIllEEZZNS1_27merge_sort_block_merge_implIS3_PlN6thrust23THRUST_200600_302600_NS10device_ptrIlEEjNS1_19radix_merge_compareILb0ELb1ElNS0_19identity_decomposerEEEEE10hipError_tT0_T1_T2_jT3_P12ihipStream_tbPNSt15iterator_traitsISG_E10value_typeEPNSM_ISH_E10value_typeEPSI_NS1_7vsmem_tEENKUlT_SG_SH_SI_E_clIS7_S7_SB_S7_EESF_SV_SG_SH_SI_EUlSV_E0_NS1_11comp_targetILNS1_3genE9ELNS1_11target_archE1100ELNS1_3gpuE3ELNS1_3repE0EEENS1_38merge_mergepath_config_static_selectorELNS0_4arch9wavefront6targetE1EEEvSH_
	.p2align	8
	.type	_ZN7rocprim17ROCPRIM_400000_NS6detail17trampoline_kernelINS0_14default_configENS1_38merge_sort_block_merge_config_selectorIllEEZZNS1_27merge_sort_block_merge_implIS3_PlN6thrust23THRUST_200600_302600_NS10device_ptrIlEEjNS1_19radix_merge_compareILb0ELb1ElNS0_19identity_decomposerEEEEE10hipError_tT0_T1_T2_jT3_P12ihipStream_tbPNSt15iterator_traitsISG_E10value_typeEPNSM_ISH_E10value_typeEPSI_NS1_7vsmem_tEENKUlT_SG_SH_SI_E_clIS7_S7_SB_S7_EESF_SV_SG_SH_SI_EUlSV_E0_NS1_11comp_targetILNS1_3genE9ELNS1_11target_archE1100ELNS1_3gpuE3ELNS1_3repE0EEENS1_38merge_mergepath_config_static_selectorELNS0_4arch9wavefront6targetE1EEEvSH_,@function
_ZN7rocprim17ROCPRIM_400000_NS6detail17trampoline_kernelINS0_14default_configENS1_38merge_sort_block_merge_config_selectorIllEEZZNS1_27merge_sort_block_merge_implIS3_PlN6thrust23THRUST_200600_302600_NS10device_ptrIlEEjNS1_19radix_merge_compareILb0ELb1ElNS0_19identity_decomposerEEEEE10hipError_tT0_T1_T2_jT3_P12ihipStream_tbPNSt15iterator_traitsISG_E10value_typeEPNSM_ISH_E10value_typeEPSI_NS1_7vsmem_tEENKUlT_SG_SH_SI_E_clIS7_S7_SB_S7_EESF_SV_SG_SH_SI_EUlSV_E0_NS1_11comp_targetILNS1_3genE9ELNS1_11target_archE1100ELNS1_3gpuE3ELNS1_3repE0EEENS1_38merge_mergepath_config_static_selectorELNS0_4arch9wavefront6targetE1EEEvSH_: ; @_ZN7rocprim17ROCPRIM_400000_NS6detail17trampoline_kernelINS0_14default_configENS1_38merge_sort_block_merge_config_selectorIllEEZZNS1_27merge_sort_block_merge_implIS3_PlN6thrust23THRUST_200600_302600_NS10device_ptrIlEEjNS1_19radix_merge_compareILb0ELb1ElNS0_19identity_decomposerEEEEE10hipError_tT0_T1_T2_jT3_P12ihipStream_tbPNSt15iterator_traitsISG_E10value_typeEPNSM_ISH_E10value_typeEPSI_NS1_7vsmem_tEENKUlT_SG_SH_SI_E_clIS7_S7_SB_S7_EESF_SV_SG_SH_SI_EUlSV_E0_NS1_11comp_targetILNS1_3genE9ELNS1_11target_archE1100ELNS1_3gpuE3ELNS1_3repE0EEENS1_38merge_mergepath_config_static_selectorELNS0_4arch9wavefront6targetE1EEEvSH_
; %bb.0:
	.section	.rodata,"a",@progbits
	.p2align	6, 0x0
	.amdhsa_kernel _ZN7rocprim17ROCPRIM_400000_NS6detail17trampoline_kernelINS0_14default_configENS1_38merge_sort_block_merge_config_selectorIllEEZZNS1_27merge_sort_block_merge_implIS3_PlN6thrust23THRUST_200600_302600_NS10device_ptrIlEEjNS1_19radix_merge_compareILb0ELb1ElNS0_19identity_decomposerEEEEE10hipError_tT0_T1_T2_jT3_P12ihipStream_tbPNSt15iterator_traitsISG_E10value_typeEPNSM_ISH_E10value_typeEPSI_NS1_7vsmem_tEENKUlT_SG_SH_SI_E_clIS7_S7_SB_S7_EESF_SV_SG_SH_SI_EUlSV_E0_NS1_11comp_targetILNS1_3genE9ELNS1_11target_archE1100ELNS1_3gpuE3ELNS1_3repE0EEENS1_38merge_mergepath_config_static_selectorELNS0_4arch9wavefront6targetE1EEEvSH_
		.amdhsa_group_segment_fixed_size 0
		.amdhsa_private_segment_fixed_size 0
		.amdhsa_kernarg_size 72
		.amdhsa_user_sgpr_count 6
		.amdhsa_user_sgpr_private_segment_buffer 1
		.amdhsa_user_sgpr_dispatch_ptr 0
		.amdhsa_user_sgpr_queue_ptr 0
		.amdhsa_user_sgpr_kernarg_segment_ptr 1
		.amdhsa_user_sgpr_dispatch_id 0
		.amdhsa_user_sgpr_flat_scratch_init 0
		.amdhsa_user_sgpr_private_segment_size 0
		.amdhsa_uses_dynamic_stack 0
		.amdhsa_system_sgpr_private_segment_wavefront_offset 0
		.amdhsa_system_sgpr_workgroup_id_x 1
		.amdhsa_system_sgpr_workgroup_id_y 0
		.amdhsa_system_sgpr_workgroup_id_z 0
		.amdhsa_system_sgpr_workgroup_info 0
		.amdhsa_system_vgpr_workitem_id 0
		.amdhsa_next_free_vgpr 1
		.amdhsa_next_free_sgpr 0
		.amdhsa_reserve_vcc 0
		.amdhsa_reserve_flat_scratch 0
		.amdhsa_float_round_mode_32 0
		.amdhsa_float_round_mode_16_64 0
		.amdhsa_float_denorm_mode_32 3
		.amdhsa_float_denorm_mode_16_64 3
		.amdhsa_dx10_clamp 1
		.amdhsa_ieee_mode 1
		.amdhsa_fp16_overflow 0
		.amdhsa_exception_fp_ieee_invalid_op 0
		.amdhsa_exception_fp_denorm_src 0
		.amdhsa_exception_fp_ieee_div_zero 0
		.amdhsa_exception_fp_ieee_overflow 0
		.amdhsa_exception_fp_ieee_underflow 0
		.amdhsa_exception_fp_ieee_inexact 0
		.amdhsa_exception_int_div_zero 0
	.end_amdhsa_kernel
	.section	.text._ZN7rocprim17ROCPRIM_400000_NS6detail17trampoline_kernelINS0_14default_configENS1_38merge_sort_block_merge_config_selectorIllEEZZNS1_27merge_sort_block_merge_implIS3_PlN6thrust23THRUST_200600_302600_NS10device_ptrIlEEjNS1_19radix_merge_compareILb0ELb1ElNS0_19identity_decomposerEEEEE10hipError_tT0_T1_T2_jT3_P12ihipStream_tbPNSt15iterator_traitsISG_E10value_typeEPNSM_ISH_E10value_typeEPSI_NS1_7vsmem_tEENKUlT_SG_SH_SI_E_clIS7_S7_SB_S7_EESF_SV_SG_SH_SI_EUlSV_E0_NS1_11comp_targetILNS1_3genE9ELNS1_11target_archE1100ELNS1_3gpuE3ELNS1_3repE0EEENS1_38merge_mergepath_config_static_selectorELNS0_4arch9wavefront6targetE1EEEvSH_,"axG",@progbits,_ZN7rocprim17ROCPRIM_400000_NS6detail17trampoline_kernelINS0_14default_configENS1_38merge_sort_block_merge_config_selectorIllEEZZNS1_27merge_sort_block_merge_implIS3_PlN6thrust23THRUST_200600_302600_NS10device_ptrIlEEjNS1_19radix_merge_compareILb0ELb1ElNS0_19identity_decomposerEEEEE10hipError_tT0_T1_T2_jT3_P12ihipStream_tbPNSt15iterator_traitsISG_E10value_typeEPNSM_ISH_E10value_typeEPSI_NS1_7vsmem_tEENKUlT_SG_SH_SI_E_clIS7_S7_SB_S7_EESF_SV_SG_SH_SI_EUlSV_E0_NS1_11comp_targetILNS1_3genE9ELNS1_11target_archE1100ELNS1_3gpuE3ELNS1_3repE0EEENS1_38merge_mergepath_config_static_selectorELNS0_4arch9wavefront6targetE1EEEvSH_,comdat
.Lfunc_end1104:
	.size	_ZN7rocprim17ROCPRIM_400000_NS6detail17trampoline_kernelINS0_14default_configENS1_38merge_sort_block_merge_config_selectorIllEEZZNS1_27merge_sort_block_merge_implIS3_PlN6thrust23THRUST_200600_302600_NS10device_ptrIlEEjNS1_19radix_merge_compareILb0ELb1ElNS0_19identity_decomposerEEEEE10hipError_tT0_T1_T2_jT3_P12ihipStream_tbPNSt15iterator_traitsISG_E10value_typeEPNSM_ISH_E10value_typeEPSI_NS1_7vsmem_tEENKUlT_SG_SH_SI_E_clIS7_S7_SB_S7_EESF_SV_SG_SH_SI_EUlSV_E0_NS1_11comp_targetILNS1_3genE9ELNS1_11target_archE1100ELNS1_3gpuE3ELNS1_3repE0EEENS1_38merge_mergepath_config_static_selectorELNS0_4arch9wavefront6targetE1EEEvSH_, .Lfunc_end1104-_ZN7rocprim17ROCPRIM_400000_NS6detail17trampoline_kernelINS0_14default_configENS1_38merge_sort_block_merge_config_selectorIllEEZZNS1_27merge_sort_block_merge_implIS3_PlN6thrust23THRUST_200600_302600_NS10device_ptrIlEEjNS1_19radix_merge_compareILb0ELb1ElNS0_19identity_decomposerEEEEE10hipError_tT0_T1_T2_jT3_P12ihipStream_tbPNSt15iterator_traitsISG_E10value_typeEPNSM_ISH_E10value_typeEPSI_NS1_7vsmem_tEENKUlT_SG_SH_SI_E_clIS7_S7_SB_S7_EESF_SV_SG_SH_SI_EUlSV_E0_NS1_11comp_targetILNS1_3genE9ELNS1_11target_archE1100ELNS1_3gpuE3ELNS1_3repE0EEENS1_38merge_mergepath_config_static_selectorELNS0_4arch9wavefront6targetE1EEEvSH_
                                        ; -- End function
	.set _ZN7rocprim17ROCPRIM_400000_NS6detail17trampoline_kernelINS0_14default_configENS1_38merge_sort_block_merge_config_selectorIllEEZZNS1_27merge_sort_block_merge_implIS3_PlN6thrust23THRUST_200600_302600_NS10device_ptrIlEEjNS1_19radix_merge_compareILb0ELb1ElNS0_19identity_decomposerEEEEE10hipError_tT0_T1_T2_jT3_P12ihipStream_tbPNSt15iterator_traitsISG_E10value_typeEPNSM_ISH_E10value_typeEPSI_NS1_7vsmem_tEENKUlT_SG_SH_SI_E_clIS7_S7_SB_S7_EESF_SV_SG_SH_SI_EUlSV_E0_NS1_11comp_targetILNS1_3genE9ELNS1_11target_archE1100ELNS1_3gpuE3ELNS1_3repE0EEENS1_38merge_mergepath_config_static_selectorELNS0_4arch9wavefront6targetE1EEEvSH_.num_vgpr, 0
	.set _ZN7rocprim17ROCPRIM_400000_NS6detail17trampoline_kernelINS0_14default_configENS1_38merge_sort_block_merge_config_selectorIllEEZZNS1_27merge_sort_block_merge_implIS3_PlN6thrust23THRUST_200600_302600_NS10device_ptrIlEEjNS1_19radix_merge_compareILb0ELb1ElNS0_19identity_decomposerEEEEE10hipError_tT0_T1_T2_jT3_P12ihipStream_tbPNSt15iterator_traitsISG_E10value_typeEPNSM_ISH_E10value_typeEPSI_NS1_7vsmem_tEENKUlT_SG_SH_SI_E_clIS7_S7_SB_S7_EESF_SV_SG_SH_SI_EUlSV_E0_NS1_11comp_targetILNS1_3genE9ELNS1_11target_archE1100ELNS1_3gpuE3ELNS1_3repE0EEENS1_38merge_mergepath_config_static_selectorELNS0_4arch9wavefront6targetE1EEEvSH_.num_agpr, 0
	.set _ZN7rocprim17ROCPRIM_400000_NS6detail17trampoline_kernelINS0_14default_configENS1_38merge_sort_block_merge_config_selectorIllEEZZNS1_27merge_sort_block_merge_implIS3_PlN6thrust23THRUST_200600_302600_NS10device_ptrIlEEjNS1_19radix_merge_compareILb0ELb1ElNS0_19identity_decomposerEEEEE10hipError_tT0_T1_T2_jT3_P12ihipStream_tbPNSt15iterator_traitsISG_E10value_typeEPNSM_ISH_E10value_typeEPSI_NS1_7vsmem_tEENKUlT_SG_SH_SI_E_clIS7_S7_SB_S7_EESF_SV_SG_SH_SI_EUlSV_E0_NS1_11comp_targetILNS1_3genE9ELNS1_11target_archE1100ELNS1_3gpuE3ELNS1_3repE0EEENS1_38merge_mergepath_config_static_selectorELNS0_4arch9wavefront6targetE1EEEvSH_.numbered_sgpr, 0
	.set _ZN7rocprim17ROCPRIM_400000_NS6detail17trampoline_kernelINS0_14default_configENS1_38merge_sort_block_merge_config_selectorIllEEZZNS1_27merge_sort_block_merge_implIS3_PlN6thrust23THRUST_200600_302600_NS10device_ptrIlEEjNS1_19radix_merge_compareILb0ELb1ElNS0_19identity_decomposerEEEEE10hipError_tT0_T1_T2_jT3_P12ihipStream_tbPNSt15iterator_traitsISG_E10value_typeEPNSM_ISH_E10value_typeEPSI_NS1_7vsmem_tEENKUlT_SG_SH_SI_E_clIS7_S7_SB_S7_EESF_SV_SG_SH_SI_EUlSV_E0_NS1_11comp_targetILNS1_3genE9ELNS1_11target_archE1100ELNS1_3gpuE3ELNS1_3repE0EEENS1_38merge_mergepath_config_static_selectorELNS0_4arch9wavefront6targetE1EEEvSH_.num_named_barrier, 0
	.set _ZN7rocprim17ROCPRIM_400000_NS6detail17trampoline_kernelINS0_14default_configENS1_38merge_sort_block_merge_config_selectorIllEEZZNS1_27merge_sort_block_merge_implIS3_PlN6thrust23THRUST_200600_302600_NS10device_ptrIlEEjNS1_19radix_merge_compareILb0ELb1ElNS0_19identity_decomposerEEEEE10hipError_tT0_T1_T2_jT3_P12ihipStream_tbPNSt15iterator_traitsISG_E10value_typeEPNSM_ISH_E10value_typeEPSI_NS1_7vsmem_tEENKUlT_SG_SH_SI_E_clIS7_S7_SB_S7_EESF_SV_SG_SH_SI_EUlSV_E0_NS1_11comp_targetILNS1_3genE9ELNS1_11target_archE1100ELNS1_3gpuE3ELNS1_3repE0EEENS1_38merge_mergepath_config_static_selectorELNS0_4arch9wavefront6targetE1EEEvSH_.private_seg_size, 0
	.set _ZN7rocprim17ROCPRIM_400000_NS6detail17trampoline_kernelINS0_14default_configENS1_38merge_sort_block_merge_config_selectorIllEEZZNS1_27merge_sort_block_merge_implIS3_PlN6thrust23THRUST_200600_302600_NS10device_ptrIlEEjNS1_19radix_merge_compareILb0ELb1ElNS0_19identity_decomposerEEEEE10hipError_tT0_T1_T2_jT3_P12ihipStream_tbPNSt15iterator_traitsISG_E10value_typeEPNSM_ISH_E10value_typeEPSI_NS1_7vsmem_tEENKUlT_SG_SH_SI_E_clIS7_S7_SB_S7_EESF_SV_SG_SH_SI_EUlSV_E0_NS1_11comp_targetILNS1_3genE9ELNS1_11target_archE1100ELNS1_3gpuE3ELNS1_3repE0EEENS1_38merge_mergepath_config_static_selectorELNS0_4arch9wavefront6targetE1EEEvSH_.uses_vcc, 0
	.set _ZN7rocprim17ROCPRIM_400000_NS6detail17trampoline_kernelINS0_14default_configENS1_38merge_sort_block_merge_config_selectorIllEEZZNS1_27merge_sort_block_merge_implIS3_PlN6thrust23THRUST_200600_302600_NS10device_ptrIlEEjNS1_19radix_merge_compareILb0ELb1ElNS0_19identity_decomposerEEEEE10hipError_tT0_T1_T2_jT3_P12ihipStream_tbPNSt15iterator_traitsISG_E10value_typeEPNSM_ISH_E10value_typeEPSI_NS1_7vsmem_tEENKUlT_SG_SH_SI_E_clIS7_S7_SB_S7_EESF_SV_SG_SH_SI_EUlSV_E0_NS1_11comp_targetILNS1_3genE9ELNS1_11target_archE1100ELNS1_3gpuE3ELNS1_3repE0EEENS1_38merge_mergepath_config_static_selectorELNS0_4arch9wavefront6targetE1EEEvSH_.uses_flat_scratch, 0
	.set _ZN7rocprim17ROCPRIM_400000_NS6detail17trampoline_kernelINS0_14default_configENS1_38merge_sort_block_merge_config_selectorIllEEZZNS1_27merge_sort_block_merge_implIS3_PlN6thrust23THRUST_200600_302600_NS10device_ptrIlEEjNS1_19radix_merge_compareILb0ELb1ElNS0_19identity_decomposerEEEEE10hipError_tT0_T1_T2_jT3_P12ihipStream_tbPNSt15iterator_traitsISG_E10value_typeEPNSM_ISH_E10value_typeEPSI_NS1_7vsmem_tEENKUlT_SG_SH_SI_E_clIS7_S7_SB_S7_EESF_SV_SG_SH_SI_EUlSV_E0_NS1_11comp_targetILNS1_3genE9ELNS1_11target_archE1100ELNS1_3gpuE3ELNS1_3repE0EEENS1_38merge_mergepath_config_static_selectorELNS0_4arch9wavefront6targetE1EEEvSH_.has_dyn_sized_stack, 0
	.set _ZN7rocprim17ROCPRIM_400000_NS6detail17trampoline_kernelINS0_14default_configENS1_38merge_sort_block_merge_config_selectorIllEEZZNS1_27merge_sort_block_merge_implIS3_PlN6thrust23THRUST_200600_302600_NS10device_ptrIlEEjNS1_19radix_merge_compareILb0ELb1ElNS0_19identity_decomposerEEEEE10hipError_tT0_T1_T2_jT3_P12ihipStream_tbPNSt15iterator_traitsISG_E10value_typeEPNSM_ISH_E10value_typeEPSI_NS1_7vsmem_tEENKUlT_SG_SH_SI_E_clIS7_S7_SB_S7_EESF_SV_SG_SH_SI_EUlSV_E0_NS1_11comp_targetILNS1_3genE9ELNS1_11target_archE1100ELNS1_3gpuE3ELNS1_3repE0EEENS1_38merge_mergepath_config_static_selectorELNS0_4arch9wavefront6targetE1EEEvSH_.has_recursion, 0
	.set _ZN7rocprim17ROCPRIM_400000_NS6detail17trampoline_kernelINS0_14default_configENS1_38merge_sort_block_merge_config_selectorIllEEZZNS1_27merge_sort_block_merge_implIS3_PlN6thrust23THRUST_200600_302600_NS10device_ptrIlEEjNS1_19radix_merge_compareILb0ELb1ElNS0_19identity_decomposerEEEEE10hipError_tT0_T1_T2_jT3_P12ihipStream_tbPNSt15iterator_traitsISG_E10value_typeEPNSM_ISH_E10value_typeEPSI_NS1_7vsmem_tEENKUlT_SG_SH_SI_E_clIS7_S7_SB_S7_EESF_SV_SG_SH_SI_EUlSV_E0_NS1_11comp_targetILNS1_3genE9ELNS1_11target_archE1100ELNS1_3gpuE3ELNS1_3repE0EEENS1_38merge_mergepath_config_static_selectorELNS0_4arch9wavefront6targetE1EEEvSH_.has_indirect_call, 0
	.section	.AMDGPU.csdata,"",@progbits
; Kernel info:
; codeLenInByte = 0
; TotalNumSgprs: 4
; NumVgprs: 0
; ScratchSize: 0
; MemoryBound: 0
; FloatMode: 240
; IeeeMode: 1
; LDSByteSize: 0 bytes/workgroup (compile time only)
; SGPRBlocks: 0
; VGPRBlocks: 0
; NumSGPRsForWavesPerEU: 4
; NumVGPRsForWavesPerEU: 1
; Occupancy: 10
; WaveLimiterHint : 0
; COMPUTE_PGM_RSRC2:SCRATCH_EN: 0
; COMPUTE_PGM_RSRC2:USER_SGPR: 6
; COMPUTE_PGM_RSRC2:TRAP_HANDLER: 0
; COMPUTE_PGM_RSRC2:TGID_X_EN: 1
; COMPUTE_PGM_RSRC2:TGID_Y_EN: 0
; COMPUTE_PGM_RSRC2:TGID_Z_EN: 0
; COMPUTE_PGM_RSRC2:TIDIG_COMP_CNT: 0
	.section	.text._ZN7rocprim17ROCPRIM_400000_NS6detail17trampoline_kernelINS0_14default_configENS1_38merge_sort_block_merge_config_selectorIllEEZZNS1_27merge_sort_block_merge_implIS3_PlN6thrust23THRUST_200600_302600_NS10device_ptrIlEEjNS1_19radix_merge_compareILb0ELb1ElNS0_19identity_decomposerEEEEE10hipError_tT0_T1_T2_jT3_P12ihipStream_tbPNSt15iterator_traitsISG_E10value_typeEPNSM_ISH_E10value_typeEPSI_NS1_7vsmem_tEENKUlT_SG_SH_SI_E_clIS7_S7_SB_S7_EESF_SV_SG_SH_SI_EUlSV_E0_NS1_11comp_targetILNS1_3genE8ELNS1_11target_archE1030ELNS1_3gpuE2ELNS1_3repE0EEENS1_38merge_mergepath_config_static_selectorELNS0_4arch9wavefront6targetE1EEEvSH_,"axG",@progbits,_ZN7rocprim17ROCPRIM_400000_NS6detail17trampoline_kernelINS0_14default_configENS1_38merge_sort_block_merge_config_selectorIllEEZZNS1_27merge_sort_block_merge_implIS3_PlN6thrust23THRUST_200600_302600_NS10device_ptrIlEEjNS1_19radix_merge_compareILb0ELb1ElNS0_19identity_decomposerEEEEE10hipError_tT0_T1_T2_jT3_P12ihipStream_tbPNSt15iterator_traitsISG_E10value_typeEPNSM_ISH_E10value_typeEPSI_NS1_7vsmem_tEENKUlT_SG_SH_SI_E_clIS7_S7_SB_S7_EESF_SV_SG_SH_SI_EUlSV_E0_NS1_11comp_targetILNS1_3genE8ELNS1_11target_archE1030ELNS1_3gpuE2ELNS1_3repE0EEENS1_38merge_mergepath_config_static_selectorELNS0_4arch9wavefront6targetE1EEEvSH_,comdat
	.protected	_ZN7rocprim17ROCPRIM_400000_NS6detail17trampoline_kernelINS0_14default_configENS1_38merge_sort_block_merge_config_selectorIllEEZZNS1_27merge_sort_block_merge_implIS3_PlN6thrust23THRUST_200600_302600_NS10device_ptrIlEEjNS1_19radix_merge_compareILb0ELb1ElNS0_19identity_decomposerEEEEE10hipError_tT0_T1_T2_jT3_P12ihipStream_tbPNSt15iterator_traitsISG_E10value_typeEPNSM_ISH_E10value_typeEPSI_NS1_7vsmem_tEENKUlT_SG_SH_SI_E_clIS7_S7_SB_S7_EESF_SV_SG_SH_SI_EUlSV_E0_NS1_11comp_targetILNS1_3genE8ELNS1_11target_archE1030ELNS1_3gpuE2ELNS1_3repE0EEENS1_38merge_mergepath_config_static_selectorELNS0_4arch9wavefront6targetE1EEEvSH_ ; -- Begin function _ZN7rocprim17ROCPRIM_400000_NS6detail17trampoline_kernelINS0_14default_configENS1_38merge_sort_block_merge_config_selectorIllEEZZNS1_27merge_sort_block_merge_implIS3_PlN6thrust23THRUST_200600_302600_NS10device_ptrIlEEjNS1_19radix_merge_compareILb0ELb1ElNS0_19identity_decomposerEEEEE10hipError_tT0_T1_T2_jT3_P12ihipStream_tbPNSt15iterator_traitsISG_E10value_typeEPNSM_ISH_E10value_typeEPSI_NS1_7vsmem_tEENKUlT_SG_SH_SI_E_clIS7_S7_SB_S7_EESF_SV_SG_SH_SI_EUlSV_E0_NS1_11comp_targetILNS1_3genE8ELNS1_11target_archE1030ELNS1_3gpuE2ELNS1_3repE0EEENS1_38merge_mergepath_config_static_selectorELNS0_4arch9wavefront6targetE1EEEvSH_
	.globl	_ZN7rocprim17ROCPRIM_400000_NS6detail17trampoline_kernelINS0_14default_configENS1_38merge_sort_block_merge_config_selectorIllEEZZNS1_27merge_sort_block_merge_implIS3_PlN6thrust23THRUST_200600_302600_NS10device_ptrIlEEjNS1_19radix_merge_compareILb0ELb1ElNS0_19identity_decomposerEEEEE10hipError_tT0_T1_T2_jT3_P12ihipStream_tbPNSt15iterator_traitsISG_E10value_typeEPNSM_ISH_E10value_typeEPSI_NS1_7vsmem_tEENKUlT_SG_SH_SI_E_clIS7_S7_SB_S7_EESF_SV_SG_SH_SI_EUlSV_E0_NS1_11comp_targetILNS1_3genE8ELNS1_11target_archE1030ELNS1_3gpuE2ELNS1_3repE0EEENS1_38merge_mergepath_config_static_selectorELNS0_4arch9wavefront6targetE1EEEvSH_
	.p2align	8
	.type	_ZN7rocprim17ROCPRIM_400000_NS6detail17trampoline_kernelINS0_14default_configENS1_38merge_sort_block_merge_config_selectorIllEEZZNS1_27merge_sort_block_merge_implIS3_PlN6thrust23THRUST_200600_302600_NS10device_ptrIlEEjNS1_19radix_merge_compareILb0ELb1ElNS0_19identity_decomposerEEEEE10hipError_tT0_T1_T2_jT3_P12ihipStream_tbPNSt15iterator_traitsISG_E10value_typeEPNSM_ISH_E10value_typeEPSI_NS1_7vsmem_tEENKUlT_SG_SH_SI_E_clIS7_S7_SB_S7_EESF_SV_SG_SH_SI_EUlSV_E0_NS1_11comp_targetILNS1_3genE8ELNS1_11target_archE1030ELNS1_3gpuE2ELNS1_3repE0EEENS1_38merge_mergepath_config_static_selectorELNS0_4arch9wavefront6targetE1EEEvSH_,@function
_ZN7rocprim17ROCPRIM_400000_NS6detail17trampoline_kernelINS0_14default_configENS1_38merge_sort_block_merge_config_selectorIllEEZZNS1_27merge_sort_block_merge_implIS3_PlN6thrust23THRUST_200600_302600_NS10device_ptrIlEEjNS1_19radix_merge_compareILb0ELb1ElNS0_19identity_decomposerEEEEE10hipError_tT0_T1_T2_jT3_P12ihipStream_tbPNSt15iterator_traitsISG_E10value_typeEPNSM_ISH_E10value_typeEPSI_NS1_7vsmem_tEENKUlT_SG_SH_SI_E_clIS7_S7_SB_S7_EESF_SV_SG_SH_SI_EUlSV_E0_NS1_11comp_targetILNS1_3genE8ELNS1_11target_archE1030ELNS1_3gpuE2ELNS1_3repE0EEENS1_38merge_mergepath_config_static_selectorELNS0_4arch9wavefront6targetE1EEEvSH_: ; @_ZN7rocprim17ROCPRIM_400000_NS6detail17trampoline_kernelINS0_14default_configENS1_38merge_sort_block_merge_config_selectorIllEEZZNS1_27merge_sort_block_merge_implIS3_PlN6thrust23THRUST_200600_302600_NS10device_ptrIlEEjNS1_19radix_merge_compareILb0ELb1ElNS0_19identity_decomposerEEEEE10hipError_tT0_T1_T2_jT3_P12ihipStream_tbPNSt15iterator_traitsISG_E10value_typeEPNSM_ISH_E10value_typeEPSI_NS1_7vsmem_tEENKUlT_SG_SH_SI_E_clIS7_S7_SB_S7_EESF_SV_SG_SH_SI_EUlSV_E0_NS1_11comp_targetILNS1_3genE8ELNS1_11target_archE1030ELNS1_3gpuE2ELNS1_3repE0EEENS1_38merge_mergepath_config_static_selectorELNS0_4arch9wavefront6targetE1EEEvSH_
; %bb.0:
	.section	.rodata,"a",@progbits
	.p2align	6, 0x0
	.amdhsa_kernel _ZN7rocprim17ROCPRIM_400000_NS6detail17trampoline_kernelINS0_14default_configENS1_38merge_sort_block_merge_config_selectorIllEEZZNS1_27merge_sort_block_merge_implIS3_PlN6thrust23THRUST_200600_302600_NS10device_ptrIlEEjNS1_19radix_merge_compareILb0ELb1ElNS0_19identity_decomposerEEEEE10hipError_tT0_T1_T2_jT3_P12ihipStream_tbPNSt15iterator_traitsISG_E10value_typeEPNSM_ISH_E10value_typeEPSI_NS1_7vsmem_tEENKUlT_SG_SH_SI_E_clIS7_S7_SB_S7_EESF_SV_SG_SH_SI_EUlSV_E0_NS1_11comp_targetILNS1_3genE8ELNS1_11target_archE1030ELNS1_3gpuE2ELNS1_3repE0EEENS1_38merge_mergepath_config_static_selectorELNS0_4arch9wavefront6targetE1EEEvSH_
		.amdhsa_group_segment_fixed_size 0
		.amdhsa_private_segment_fixed_size 0
		.amdhsa_kernarg_size 72
		.amdhsa_user_sgpr_count 6
		.amdhsa_user_sgpr_private_segment_buffer 1
		.amdhsa_user_sgpr_dispatch_ptr 0
		.amdhsa_user_sgpr_queue_ptr 0
		.amdhsa_user_sgpr_kernarg_segment_ptr 1
		.amdhsa_user_sgpr_dispatch_id 0
		.amdhsa_user_sgpr_flat_scratch_init 0
		.amdhsa_user_sgpr_private_segment_size 0
		.amdhsa_uses_dynamic_stack 0
		.amdhsa_system_sgpr_private_segment_wavefront_offset 0
		.amdhsa_system_sgpr_workgroup_id_x 1
		.amdhsa_system_sgpr_workgroup_id_y 0
		.amdhsa_system_sgpr_workgroup_id_z 0
		.amdhsa_system_sgpr_workgroup_info 0
		.amdhsa_system_vgpr_workitem_id 0
		.amdhsa_next_free_vgpr 1
		.amdhsa_next_free_sgpr 0
		.amdhsa_reserve_vcc 0
		.amdhsa_reserve_flat_scratch 0
		.amdhsa_float_round_mode_32 0
		.amdhsa_float_round_mode_16_64 0
		.amdhsa_float_denorm_mode_32 3
		.amdhsa_float_denorm_mode_16_64 3
		.amdhsa_dx10_clamp 1
		.amdhsa_ieee_mode 1
		.amdhsa_fp16_overflow 0
		.amdhsa_exception_fp_ieee_invalid_op 0
		.amdhsa_exception_fp_denorm_src 0
		.amdhsa_exception_fp_ieee_div_zero 0
		.amdhsa_exception_fp_ieee_overflow 0
		.amdhsa_exception_fp_ieee_underflow 0
		.amdhsa_exception_fp_ieee_inexact 0
		.amdhsa_exception_int_div_zero 0
	.end_amdhsa_kernel
	.section	.text._ZN7rocprim17ROCPRIM_400000_NS6detail17trampoline_kernelINS0_14default_configENS1_38merge_sort_block_merge_config_selectorIllEEZZNS1_27merge_sort_block_merge_implIS3_PlN6thrust23THRUST_200600_302600_NS10device_ptrIlEEjNS1_19radix_merge_compareILb0ELb1ElNS0_19identity_decomposerEEEEE10hipError_tT0_T1_T2_jT3_P12ihipStream_tbPNSt15iterator_traitsISG_E10value_typeEPNSM_ISH_E10value_typeEPSI_NS1_7vsmem_tEENKUlT_SG_SH_SI_E_clIS7_S7_SB_S7_EESF_SV_SG_SH_SI_EUlSV_E0_NS1_11comp_targetILNS1_3genE8ELNS1_11target_archE1030ELNS1_3gpuE2ELNS1_3repE0EEENS1_38merge_mergepath_config_static_selectorELNS0_4arch9wavefront6targetE1EEEvSH_,"axG",@progbits,_ZN7rocprim17ROCPRIM_400000_NS6detail17trampoline_kernelINS0_14default_configENS1_38merge_sort_block_merge_config_selectorIllEEZZNS1_27merge_sort_block_merge_implIS3_PlN6thrust23THRUST_200600_302600_NS10device_ptrIlEEjNS1_19radix_merge_compareILb0ELb1ElNS0_19identity_decomposerEEEEE10hipError_tT0_T1_T2_jT3_P12ihipStream_tbPNSt15iterator_traitsISG_E10value_typeEPNSM_ISH_E10value_typeEPSI_NS1_7vsmem_tEENKUlT_SG_SH_SI_E_clIS7_S7_SB_S7_EESF_SV_SG_SH_SI_EUlSV_E0_NS1_11comp_targetILNS1_3genE8ELNS1_11target_archE1030ELNS1_3gpuE2ELNS1_3repE0EEENS1_38merge_mergepath_config_static_selectorELNS0_4arch9wavefront6targetE1EEEvSH_,comdat
.Lfunc_end1105:
	.size	_ZN7rocprim17ROCPRIM_400000_NS6detail17trampoline_kernelINS0_14default_configENS1_38merge_sort_block_merge_config_selectorIllEEZZNS1_27merge_sort_block_merge_implIS3_PlN6thrust23THRUST_200600_302600_NS10device_ptrIlEEjNS1_19radix_merge_compareILb0ELb1ElNS0_19identity_decomposerEEEEE10hipError_tT0_T1_T2_jT3_P12ihipStream_tbPNSt15iterator_traitsISG_E10value_typeEPNSM_ISH_E10value_typeEPSI_NS1_7vsmem_tEENKUlT_SG_SH_SI_E_clIS7_S7_SB_S7_EESF_SV_SG_SH_SI_EUlSV_E0_NS1_11comp_targetILNS1_3genE8ELNS1_11target_archE1030ELNS1_3gpuE2ELNS1_3repE0EEENS1_38merge_mergepath_config_static_selectorELNS0_4arch9wavefront6targetE1EEEvSH_, .Lfunc_end1105-_ZN7rocprim17ROCPRIM_400000_NS6detail17trampoline_kernelINS0_14default_configENS1_38merge_sort_block_merge_config_selectorIllEEZZNS1_27merge_sort_block_merge_implIS3_PlN6thrust23THRUST_200600_302600_NS10device_ptrIlEEjNS1_19radix_merge_compareILb0ELb1ElNS0_19identity_decomposerEEEEE10hipError_tT0_T1_T2_jT3_P12ihipStream_tbPNSt15iterator_traitsISG_E10value_typeEPNSM_ISH_E10value_typeEPSI_NS1_7vsmem_tEENKUlT_SG_SH_SI_E_clIS7_S7_SB_S7_EESF_SV_SG_SH_SI_EUlSV_E0_NS1_11comp_targetILNS1_3genE8ELNS1_11target_archE1030ELNS1_3gpuE2ELNS1_3repE0EEENS1_38merge_mergepath_config_static_selectorELNS0_4arch9wavefront6targetE1EEEvSH_
                                        ; -- End function
	.set _ZN7rocprim17ROCPRIM_400000_NS6detail17trampoline_kernelINS0_14default_configENS1_38merge_sort_block_merge_config_selectorIllEEZZNS1_27merge_sort_block_merge_implIS3_PlN6thrust23THRUST_200600_302600_NS10device_ptrIlEEjNS1_19radix_merge_compareILb0ELb1ElNS0_19identity_decomposerEEEEE10hipError_tT0_T1_T2_jT3_P12ihipStream_tbPNSt15iterator_traitsISG_E10value_typeEPNSM_ISH_E10value_typeEPSI_NS1_7vsmem_tEENKUlT_SG_SH_SI_E_clIS7_S7_SB_S7_EESF_SV_SG_SH_SI_EUlSV_E0_NS1_11comp_targetILNS1_3genE8ELNS1_11target_archE1030ELNS1_3gpuE2ELNS1_3repE0EEENS1_38merge_mergepath_config_static_selectorELNS0_4arch9wavefront6targetE1EEEvSH_.num_vgpr, 0
	.set _ZN7rocprim17ROCPRIM_400000_NS6detail17trampoline_kernelINS0_14default_configENS1_38merge_sort_block_merge_config_selectorIllEEZZNS1_27merge_sort_block_merge_implIS3_PlN6thrust23THRUST_200600_302600_NS10device_ptrIlEEjNS1_19radix_merge_compareILb0ELb1ElNS0_19identity_decomposerEEEEE10hipError_tT0_T1_T2_jT3_P12ihipStream_tbPNSt15iterator_traitsISG_E10value_typeEPNSM_ISH_E10value_typeEPSI_NS1_7vsmem_tEENKUlT_SG_SH_SI_E_clIS7_S7_SB_S7_EESF_SV_SG_SH_SI_EUlSV_E0_NS1_11comp_targetILNS1_3genE8ELNS1_11target_archE1030ELNS1_3gpuE2ELNS1_3repE0EEENS1_38merge_mergepath_config_static_selectorELNS0_4arch9wavefront6targetE1EEEvSH_.num_agpr, 0
	.set _ZN7rocprim17ROCPRIM_400000_NS6detail17trampoline_kernelINS0_14default_configENS1_38merge_sort_block_merge_config_selectorIllEEZZNS1_27merge_sort_block_merge_implIS3_PlN6thrust23THRUST_200600_302600_NS10device_ptrIlEEjNS1_19radix_merge_compareILb0ELb1ElNS0_19identity_decomposerEEEEE10hipError_tT0_T1_T2_jT3_P12ihipStream_tbPNSt15iterator_traitsISG_E10value_typeEPNSM_ISH_E10value_typeEPSI_NS1_7vsmem_tEENKUlT_SG_SH_SI_E_clIS7_S7_SB_S7_EESF_SV_SG_SH_SI_EUlSV_E0_NS1_11comp_targetILNS1_3genE8ELNS1_11target_archE1030ELNS1_3gpuE2ELNS1_3repE0EEENS1_38merge_mergepath_config_static_selectorELNS0_4arch9wavefront6targetE1EEEvSH_.numbered_sgpr, 0
	.set _ZN7rocprim17ROCPRIM_400000_NS6detail17trampoline_kernelINS0_14default_configENS1_38merge_sort_block_merge_config_selectorIllEEZZNS1_27merge_sort_block_merge_implIS3_PlN6thrust23THRUST_200600_302600_NS10device_ptrIlEEjNS1_19radix_merge_compareILb0ELb1ElNS0_19identity_decomposerEEEEE10hipError_tT0_T1_T2_jT3_P12ihipStream_tbPNSt15iterator_traitsISG_E10value_typeEPNSM_ISH_E10value_typeEPSI_NS1_7vsmem_tEENKUlT_SG_SH_SI_E_clIS7_S7_SB_S7_EESF_SV_SG_SH_SI_EUlSV_E0_NS1_11comp_targetILNS1_3genE8ELNS1_11target_archE1030ELNS1_3gpuE2ELNS1_3repE0EEENS1_38merge_mergepath_config_static_selectorELNS0_4arch9wavefront6targetE1EEEvSH_.num_named_barrier, 0
	.set _ZN7rocprim17ROCPRIM_400000_NS6detail17trampoline_kernelINS0_14default_configENS1_38merge_sort_block_merge_config_selectorIllEEZZNS1_27merge_sort_block_merge_implIS3_PlN6thrust23THRUST_200600_302600_NS10device_ptrIlEEjNS1_19radix_merge_compareILb0ELb1ElNS0_19identity_decomposerEEEEE10hipError_tT0_T1_T2_jT3_P12ihipStream_tbPNSt15iterator_traitsISG_E10value_typeEPNSM_ISH_E10value_typeEPSI_NS1_7vsmem_tEENKUlT_SG_SH_SI_E_clIS7_S7_SB_S7_EESF_SV_SG_SH_SI_EUlSV_E0_NS1_11comp_targetILNS1_3genE8ELNS1_11target_archE1030ELNS1_3gpuE2ELNS1_3repE0EEENS1_38merge_mergepath_config_static_selectorELNS0_4arch9wavefront6targetE1EEEvSH_.private_seg_size, 0
	.set _ZN7rocprim17ROCPRIM_400000_NS6detail17trampoline_kernelINS0_14default_configENS1_38merge_sort_block_merge_config_selectorIllEEZZNS1_27merge_sort_block_merge_implIS3_PlN6thrust23THRUST_200600_302600_NS10device_ptrIlEEjNS1_19radix_merge_compareILb0ELb1ElNS0_19identity_decomposerEEEEE10hipError_tT0_T1_T2_jT3_P12ihipStream_tbPNSt15iterator_traitsISG_E10value_typeEPNSM_ISH_E10value_typeEPSI_NS1_7vsmem_tEENKUlT_SG_SH_SI_E_clIS7_S7_SB_S7_EESF_SV_SG_SH_SI_EUlSV_E0_NS1_11comp_targetILNS1_3genE8ELNS1_11target_archE1030ELNS1_3gpuE2ELNS1_3repE0EEENS1_38merge_mergepath_config_static_selectorELNS0_4arch9wavefront6targetE1EEEvSH_.uses_vcc, 0
	.set _ZN7rocprim17ROCPRIM_400000_NS6detail17trampoline_kernelINS0_14default_configENS1_38merge_sort_block_merge_config_selectorIllEEZZNS1_27merge_sort_block_merge_implIS3_PlN6thrust23THRUST_200600_302600_NS10device_ptrIlEEjNS1_19radix_merge_compareILb0ELb1ElNS0_19identity_decomposerEEEEE10hipError_tT0_T1_T2_jT3_P12ihipStream_tbPNSt15iterator_traitsISG_E10value_typeEPNSM_ISH_E10value_typeEPSI_NS1_7vsmem_tEENKUlT_SG_SH_SI_E_clIS7_S7_SB_S7_EESF_SV_SG_SH_SI_EUlSV_E0_NS1_11comp_targetILNS1_3genE8ELNS1_11target_archE1030ELNS1_3gpuE2ELNS1_3repE0EEENS1_38merge_mergepath_config_static_selectorELNS0_4arch9wavefront6targetE1EEEvSH_.uses_flat_scratch, 0
	.set _ZN7rocprim17ROCPRIM_400000_NS6detail17trampoline_kernelINS0_14default_configENS1_38merge_sort_block_merge_config_selectorIllEEZZNS1_27merge_sort_block_merge_implIS3_PlN6thrust23THRUST_200600_302600_NS10device_ptrIlEEjNS1_19radix_merge_compareILb0ELb1ElNS0_19identity_decomposerEEEEE10hipError_tT0_T1_T2_jT3_P12ihipStream_tbPNSt15iterator_traitsISG_E10value_typeEPNSM_ISH_E10value_typeEPSI_NS1_7vsmem_tEENKUlT_SG_SH_SI_E_clIS7_S7_SB_S7_EESF_SV_SG_SH_SI_EUlSV_E0_NS1_11comp_targetILNS1_3genE8ELNS1_11target_archE1030ELNS1_3gpuE2ELNS1_3repE0EEENS1_38merge_mergepath_config_static_selectorELNS0_4arch9wavefront6targetE1EEEvSH_.has_dyn_sized_stack, 0
	.set _ZN7rocprim17ROCPRIM_400000_NS6detail17trampoline_kernelINS0_14default_configENS1_38merge_sort_block_merge_config_selectorIllEEZZNS1_27merge_sort_block_merge_implIS3_PlN6thrust23THRUST_200600_302600_NS10device_ptrIlEEjNS1_19radix_merge_compareILb0ELb1ElNS0_19identity_decomposerEEEEE10hipError_tT0_T1_T2_jT3_P12ihipStream_tbPNSt15iterator_traitsISG_E10value_typeEPNSM_ISH_E10value_typeEPSI_NS1_7vsmem_tEENKUlT_SG_SH_SI_E_clIS7_S7_SB_S7_EESF_SV_SG_SH_SI_EUlSV_E0_NS1_11comp_targetILNS1_3genE8ELNS1_11target_archE1030ELNS1_3gpuE2ELNS1_3repE0EEENS1_38merge_mergepath_config_static_selectorELNS0_4arch9wavefront6targetE1EEEvSH_.has_recursion, 0
	.set _ZN7rocprim17ROCPRIM_400000_NS6detail17trampoline_kernelINS0_14default_configENS1_38merge_sort_block_merge_config_selectorIllEEZZNS1_27merge_sort_block_merge_implIS3_PlN6thrust23THRUST_200600_302600_NS10device_ptrIlEEjNS1_19radix_merge_compareILb0ELb1ElNS0_19identity_decomposerEEEEE10hipError_tT0_T1_T2_jT3_P12ihipStream_tbPNSt15iterator_traitsISG_E10value_typeEPNSM_ISH_E10value_typeEPSI_NS1_7vsmem_tEENKUlT_SG_SH_SI_E_clIS7_S7_SB_S7_EESF_SV_SG_SH_SI_EUlSV_E0_NS1_11comp_targetILNS1_3genE8ELNS1_11target_archE1030ELNS1_3gpuE2ELNS1_3repE0EEENS1_38merge_mergepath_config_static_selectorELNS0_4arch9wavefront6targetE1EEEvSH_.has_indirect_call, 0
	.section	.AMDGPU.csdata,"",@progbits
; Kernel info:
; codeLenInByte = 0
; TotalNumSgprs: 4
; NumVgprs: 0
; ScratchSize: 0
; MemoryBound: 0
; FloatMode: 240
; IeeeMode: 1
; LDSByteSize: 0 bytes/workgroup (compile time only)
; SGPRBlocks: 0
; VGPRBlocks: 0
; NumSGPRsForWavesPerEU: 4
; NumVGPRsForWavesPerEU: 1
; Occupancy: 10
; WaveLimiterHint : 0
; COMPUTE_PGM_RSRC2:SCRATCH_EN: 0
; COMPUTE_PGM_RSRC2:USER_SGPR: 6
; COMPUTE_PGM_RSRC2:TRAP_HANDLER: 0
; COMPUTE_PGM_RSRC2:TGID_X_EN: 1
; COMPUTE_PGM_RSRC2:TGID_Y_EN: 0
; COMPUTE_PGM_RSRC2:TGID_Z_EN: 0
; COMPUTE_PGM_RSRC2:TIDIG_COMP_CNT: 0
	.section	.text._ZN7rocprim17ROCPRIM_400000_NS6detail17trampoline_kernelINS0_14default_configENS1_38merge_sort_block_merge_config_selectorIllEEZZNS1_27merge_sort_block_merge_implIS3_PlN6thrust23THRUST_200600_302600_NS10device_ptrIlEEjNS1_19radix_merge_compareILb0ELb1ElNS0_19identity_decomposerEEEEE10hipError_tT0_T1_T2_jT3_P12ihipStream_tbPNSt15iterator_traitsISG_E10value_typeEPNSM_ISH_E10value_typeEPSI_NS1_7vsmem_tEENKUlT_SG_SH_SI_E_clIS7_S7_SB_S7_EESF_SV_SG_SH_SI_EUlSV_E1_NS1_11comp_targetILNS1_3genE0ELNS1_11target_archE4294967295ELNS1_3gpuE0ELNS1_3repE0EEENS1_36merge_oddeven_config_static_selectorELNS0_4arch9wavefront6targetE1EEEvSH_,"axG",@progbits,_ZN7rocprim17ROCPRIM_400000_NS6detail17trampoline_kernelINS0_14default_configENS1_38merge_sort_block_merge_config_selectorIllEEZZNS1_27merge_sort_block_merge_implIS3_PlN6thrust23THRUST_200600_302600_NS10device_ptrIlEEjNS1_19radix_merge_compareILb0ELb1ElNS0_19identity_decomposerEEEEE10hipError_tT0_T1_T2_jT3_P12ihipStream_tbPNSt15iterator_traitsISG_E10value_typeEPNSM_ISH_E10value_typeEPSI_NS1_7vsmem_tEENKUlT_SG_SH_SI_E_clIS7_S7_SB_S7_EESF_SV_SG_SH_SI_EUlSV_E1_NS1_11comp_targetILNS1_3genE0ELNS1_11target_archE4294967295ELNS1_3gpuE0ELNS1_3repE0EEENS1_36merge_oddeven_config_static_selectorELNS0_4arch9wavefront6targetE1EEEvSH_,comdat
	.protected	_ZN7rocprim17ROCPRIM_400000_NS6detail17trampoline_kernelINS0_14default_configENS1_38merge_sort_block_merge_config_selectorIllEEZZNS1_27merge_sort_block_merge_implIS3_PlN6thrust23THRUST_200600_302600_NS10device_ptrIlEEjNS1_19radix_merge_compareILb0ELb1ElNS0_19identity_decomposerEEEEE10hipError_tT0_T1_T2_jT3_P12ihipStream_tbPNSt15iterator_traitsISG_E10value_typeEPNSM_ISH_E10value_typeEPSI_NS1_7vsmem_tEENKUlT_SG_SH_SI_E_clIS7_S7_SB_S7_EESF_SV_SG_SH_SI_EUlSV_E1_NS1_11comp_targetILNS1_3genE0ELNS1_11target_archE4294967295ELNS1_3gpuE0ELNS1_3repE0EEENS1_36merge_oddeven_config_static_selectorELNS0_4arch9wavefront6targetE1EEEvSH_ ; -- Begin function _ZN7rocprim17ROCPRIM_400000_NS6detail17trampoline_kernelINS0_14default_configENS1_38merge_sort_block_merge_config_selectorIllEEZZNS1_27merge_sort_block_merge_implIS3_PlN6thrust23THRUST_200600_302600_NS10device_ptrIlEEjNS1_19radix_merge_compareILb0ELb1ElNS0_19identity_decomposerEEEEE10hipError_tT0_T1_T2_jT3_P12ihipStream_tbPNSt15iterator_traitsISG_E10value_typeEPNSM_ISH_E10value_typeEPSI_NS1_7vsmem_tEENKUlT_SG_SH_SI_E_clIS7_S7_SB_S7_EESF_SV_SG_SH_SI_EUlSV_E1_NS1_11comp_targetILNS1_3genE0ELNS1_11target_archE4294967295ELNS1_3gpuE0ELNS1_3repE0EEENS1_36merge_oddeven_config_static_selectorELNS0_4arch9wavefront6targetE1EEEvSH_
	.globl	_ZN7rocprim17ROCPRIM_400000_NS6detail17trampoline_kernelINS0_14default_configENS1_38merge_sort_block_merge_config_selectorIllEEZZNS1_27merge_sort_block_merge_implIS3_PlN6thrust23THRUST_200600_302600_NS10device_ptrIlEEjNS1_19radix_merge_compareILb0ELb1ElNS0_19identity_decomposerEEEEE10hipError_tT0_T1_T2_jT3_P12ihipStream_tbPNSt15iterator_traitsISG_E10value_typeEPNSM_ISH_E10value_typeEPSI_NS1_7vsmem_tEENKUlT_SG_SH_SI_E_clIS7_S7_SB_S7_EESF_SV_SG_SH_SI_EUlSV_E1_NS1_11comp_targetILNS1_3genE0ELNS1_11target_archE4294967295ELNS1_3gpuE0ELNS1_3repE0EEENS1_36merge_oddeven_config_static_selectorELNS0_4arch9wavefront6targetE1EEEvSH_
	.p2align	8
	.type	_ZN7rocprim17ROCPRIM_400000_NS6detail17trampoline_kernelINS0_14default_configENS1_38merge_sort_block_merge_config_selectorIllEEZZNS1_27merge_sort_block_merge_implIS3_PlN6thrust23THRUST_200600_302600_NS10device_ptrIlEEjNS1_19radix_merge_compareILb0ELb1ElNS0_19identity_decomposerEEEEE10hipError_tT0_T1_T2_jT3_P12ihipStream_tbPNSt15iterator_traitsISG_E10value_typeEPNSM_ISH_E10value_typeEPSI_NS1_7vsmem_tEENKUlT_SG_SH_SI_E_clIS7_S7_SB_S7_EESF_SV_SG_SH_SI_EUlSV_E1_NS1_11comp_targetILNS1_3genE0ELNS1_11target_archE4294967295ELNS1_3gpuE0ELNS1_3repE0EEENS1_36merge_oddeven_config_static_selectorELNS0_4arch9wavefront6targetE1EEEvSH_,@function
_ZN7rocprim17ROCPRIM_400000_NS6detail17trampoline_kernelINS0_14default_configENS1_38merge_sort_block_merge_config_selectorIllEEZZNS1_27merge_sort_block_merge_implIS3_PlN6thrust23THRUST_200600_302600_NS10device_ptrIlEEjNS1_19radix_merge_compareILb0ELb1ElNS0_19identity_decomposerEEEEE10hipError_tT0_T1_T2_jT3_P12ihipStream_tbPNSt15iterator_traitsISG_E10value_typeEPNSM_ISH_E10value_typeEPSI_NS1_7vsmem_tEENKUlT_SG_SH_SI_E_clIS7_S7_SB_S7_EESF_SV_SG_SH_SI_EUlSV_E1_NS1_11comp_targetILNS1_3genE0ELNS1_11target_archE4294967295ELNS1_3gpuE0ELNS1_3repE0EEENS1_36merge_oddeven_config_static_selectorELNS0_4arch9wavefront6targetE1EEEvSH_: ; @_ZN7rocprim17ROCPRIM_400000_NS6detail17trampoline_kernelINS0_14default_configENS1_38merge_sort_block_merge_config_selectorIllEEZZNS1_27merge_sort_block_merge_implIS3_PlN6thrust23THRUST_200600_302600_NS10device_ptrIlEEjNS1_19radix_merge_compareILb0ELb1ElNS0_19identity_decomposerEEEEE10hipError_tT0_T1_T2_jT3_P12ihipStream_tbPNSt15iterator_traitsISG_E10value_typeEPNSM_ISH_E10value_typeEPSI_NS1_7vsmem_tEENKUlT_SG_SH_SI_E_clIS7_S7_SB_S7_EESF_SV_SG_SH_SI_EUlSV_E1_NS1_11comp_targetILNS1_3genE0ELNS1_11target_archE4294967295ELNS1_3gpuE0ELNS1_3repE0EEENS1_36merge_oddeven_config_static_selectorELNS0_4arch9wavefront6targetE1EEEvSH_
; %bb.0:
	.section	.rodata,"a",@progbits
	.p2align	6, 0x0
	.amdhsa_kernel _ZN7rocprim17ROCPRIM_400000_NS6detail17trampoline_kernelINS0_14default_configENS1_38merge_sort_block_merge_config_selectorIllEEZZNS1_27merge_sort_block_merge_implIS3_PlN6thrust23THRUST_200600_302600_NS10device_ptrIlEEjNS1_19radix_merge_compareILb0ELb1ElNS0_19identity_decomposerEEEEE10hipError_tT0_T1_T2_jT3_P12ihipStream_tbPNSt15iterator_traitsISG_E10value_typeEPNSM_ISH_E10value_typeEPSI_NS1_7vsmem_tEENKUlT_SG_SH_SI_E_clIS7_S7_SB_S7_EESF_SV_SG_SH_SI_EUlSV_E1_NS1_11comp_targetILNS1_3genE0ELNS1_11target_archE4294967295ELNS1_3gpuE0ELNS1_3repE0EEENS1_36merge_oddeven_config_static_selectorELNS0_4arch9wavefront6targetE1EEEvSH_
		.amdhsa_group_segment_fixed_size 0
		.amdhsa_private_segment_fixed_size 0
		.amdhsa_kernarg_size 48
		.amdhsa_user_sgpr_count 6
		.amdhsa_user_sgpr_private_segment_buffer 1
		.amdhsa_user_sgpr_dispatch_ptr 0
		.amdhsa_user_sgpr_queue_ptr 0
		.amdhsa_user_sgpr_kernarg_segment_ptr 1
		.amdhsa_user_sgpr_dispatch_id 0
		.amdhsa_user_sgpr_flat_scratch_init 0
		.amdhsa_user_sgpr_private_segment_size 0
		.amdhsa_uses_dynamic_stack 0
		.amdhsa_system_sgpr_private_segment_wavefront_offset 0
		.amdhsa_system_sgpr_workgroup_id_x 1
		.amdhsa_system_sgpr_workgroup_id_y 0
		.amdhsa_system_sgpr_workgroup_id_z 0
		.amdhsa_system_sgpr_workgroup_info 0
		.amdhsa_system_vgpr_workitem_id 0
		.amdhsa_next_free_vgpr 1
		.amdhsa_next_free_sgpr 0
		.amdhsa_reserve_vcc 0
		.amdhsa_reserve_flat_scratch 0
		.amdhsa_float_round_mode_32 0
		.amdhsa_float_round_mode_16_64 0
		.amdhsa_float_denorm_mode_32 3
		.amdhsa_float_denorm_mode_16_64 3
		.amdhsa_dx10_clamp 1
		.amdhsa_ieee_mode 1
		.amdhsa_fp16_overflow 0
		.amdhsa_exception_fp_ieee_invalid_op 0
		.amdhsa_exception_fp_denorm_src 0
		.amdhsa_exception_fp_ieee_div_zero 0
		.amdhsa_exception_fp_ieee_overflow 0
		.amdhsa_exception_fp_ieee_underflow 0
		.amdhsa_exception_fp_ieee_inexact 0
		.amdhsa_exception_int_div_zero 0
	.end_amdhsa_kernel
	.section	.text._ZN7rocprim17ROCPRIM_400000_NS6detail17trampoline_kernelINS0_14default_configENS1_38merge_sort_block_merge_config_selectorIllEEZZNS1_27merge_sort_block_merge_implIS3_PlN6thrust23THRUST_200600_302600_NS10device_ptrIlEEjNS1_19radix_merge_compareILb0ELb1ElNS0_19identity_decomposerEEEEE10hipError_tT0_T1_T2_jT3_P12ihipStream_tbPNSt15iterator_traitsISG_E10value_typeEPNSM_ISH_E10value_typeEPSI_NS1_7vsmem_tEENKUlT_SG_SH_SI_E_clIS7_S7_SB_S7_EESF_SV_SG_SH_SI_EUlSV_E1_NS1_11comp_targetILNS1_3genE0ELNS1_11target_archE4294967295ELNS1_3gpuE0ELNS1_3repE0EEENS1_36merge_oddeven_config_static_selectorELNS0_4arch9wavefront6targetE1EEEvSH_,"axG",@progbits,_ZN7rocprim17ROCPRIM_400000_NS6detail17trampoline_kernelINS0_14default_configENS1_38merge_sort_block_merge_config_selectorIllEEZZNS1_27merge_sort_block_merge_implIS3_PlN6thrust23THRUST_200600_302600_NS10device_ptrIlEEjNS1_19radix_merge_compareILb0ELb1ElNS0_19identity_decomposerEEEEE10hipError_tT0_T1_T2_jT3_P12ihipStream_tbPNSt15iterator_traitsISG_E10value_typeEPNSM_ISH_E10value_typeEPSI_NS1_7vsmem_tEENKUlT_SG_SH_SI_E_clIS7_S7_SB_S7_EESF_SV_SG_SH_SI_EUlSV_E1_NS1_11comp_targetILNS1_3genE0ELNS1_11target_archE4294967295ELNS1_3gpuE0ELNS1_3repE0EEENS1_36merge_oddeven_config_static_selectorELNS0_4arch9wavefront6targetE1EEEvSH_,comdat
.Lfunc_end1106:
	.size	_ZN7rocprim17ROCPRIM_400000_NS6detail17trampoline_kernelINS0_14default_configENS1_38merge_sort_block_merge_config_selectorIllEEZZNS1_27merge_sort_block_merge_implIS3_PlN6thrust23THRUST_200600_302600_NS10device_ptrIlEEjNS1_19radix_merge_compareILb0ELb1ElNS0_19identity_decomposerEEEEE10hipError_tT0_T1_T2_jT3_P12ihipStream_tbPNSt15iterator_traitsISG_E10value_typeEPNSM_ISH_E10value_typeEPSI_NS1_7vsmem_tEENKUlT_SG_SH_SI_E_clIS7_S7_SB_S7_EESF_SV_SG_SH_SI_EUlSV_E1_NS1_11comp_targetILNS1_3genE0ELNS1_11target_archE4294967295ELNS1_3gpuE0ELNS1_3repE0EEENS1_36merge_oddeven_config_static_selectorELNS0_4arch9wavefront6targetE1EEEvSH_, .Lfunc_end1106-_ZN7rocprim17ROCPRIM_400000_NS6detail17trampoline_kernelINS0_14default_configENS1_38merge_sort_block_merge_config_selectorIllEEZZNS1_27merge_sort_block_merge_implIS3_PlN6thrust23THRUST_200600_302600_NS10device_ptrIlEEjNS1_19radix_merge_compareILb0ELb1ElNS0_19identity_decomposerEEEEE10hipError_tT0_T1_T2_jT3_P12ihipStream_tbPNSt15iterator_traitsISG_E10value_typeEPNSM_ISH_E10value_typeEPSI_NS1_7vsmem_tEENKUlT_SG_SH_SI_E_clIS7_S7_SB_S7_EESF_SV_SG_SH_SI_EUlSV_E1_NS1_11comp_targetILNS1_3genE0ELNS1_11target_archE4294967295ELNS1_3gpuE0ELNS1_3repE0EEENS1_36merge_oddeven_config_static_selectorELNS0_4arch9wavefront6targetE1EEEvSH_
                                        ; -- End function
	.set _ZN7rocprim17ROCPRIM_400000_NS6detail17trampoline_kernelINS0_14default_configENS1_38merge_sort_block_merge_config_selectorIllEEZZNS1_27merge_sort_block_merge_implIS3_PlN6thrust23THRUST_200600_302600_NS10device_ptrIlEEjNS1_19radix_merge_compareILb0ELb1ElNS0_19identity_decomposerEEEEE10hipError_tT0_T1_T2_jT3_P12ihipStream_tbPNSt15iterator_traitsISG_E10value_typeEPNSM_ISH_E10value_typeEPSI_NS1_7vsmem_tEENKUlT_SG_SH_SI_E_clIS7_S7_SB_S7_EESF_SV_SG_SH_SI_EUlSV_E1_NS1_11comp_targetILNS1_3genE0ELNS1_11target_archE4294967295ELNS1_3gpuE0ELNS1_3repE0EEENS1_36merge_oddeven_config_static_selectorELNS0_4arch9wavefront6targetE1EEEvSH_.num_vgpr, 0
	.set _ZN7rocprim17ROCPRIM_400000_NS6detail17trampoline_kernelINS0_14default_configENS1_38merge_sort_block_merge_config_selectorIllEEZZNS1_27merge_sort_block_merge_implIS3_PlN6thrust23THRUST_200600_302600_NS10device_ptrIlEEjNS1_19radix_merge_compareILb0ELb1ElNS0_19identity_decomposerEEEEE10hipError_tT0_T1_T2_jT3_P12ihipStream_tbPNSt15iterator_traitsISG_E10value_typeEPNSM_ISH_E10value_typeEPSI_NS1_7vsmem_tEENKUlT_SG_SH_SI_E_clIS7_S7_SB_S7_EESF_SV_SG_SH_SI_EUlSV_E1_NS1_11comp_targetILNS1_3genE0ELNS1_11target_archE4294967295ELNS1_3gpuE0ELNS1_3repE0EEENS1_36merge_oddeven_config_static_selectorELNS0_4arch9wavefront6targetE1EEEvSH_.num_agpr, 0
	.set _ZN7rocprim17ROCPRIM_400000_NS6detail17trampoline_kernelINS0_14default_configENS1_38merge_sort_block_merge_config_selectorIllEEZZNS1_27merge_sort_block_merge_implIS3_PlN6thrust23THRUST_200600_302600_NS10device_ptrIlEEjNS1_19radix_merge_compareILb0ELb1ElNS0_19identity_decomposerEEEEE10hipError_tT0_T1_T2_jT3_P12ihipStream_tbPNSt15iterator_traitsISG_E10value_typeEPNSM_ISH_E10value_typeEPSI_NS1_7vsmem_tEENKUlT_SG_SH_SI_E_clIS7_S7_SB_S7_EESF_SV_SG_SH_SI_EUlSV_E1_NS1_11comp_targetILNS1_3genE0ELNS1_11target_archE4294967295ELNS1_3gpuE0ELNS1_3repE0EEENS1_36merge_oddeven_config_static_selectorELNS0_4arch9wavefront6targetE1EEEvSH_.numbered_sgpr, 0
	.set _ZN7rocprim17ROCPRIM_400000_NS6detail17trampoline_kernelINS0_14default_configENS1_38merge_sort_block_merge_config_selectorIllEEZZNS1_27merge_sort_block_merge_implIS3_PlN6thrust23THRUST_200600_302600_NS10device_ptrIlEEjNS1_19radix_merge_compareILb0ELb1ElNS0_19identity_decomposerEEEEE10hipError_tT0_T1_T2_jT3_P12ihipStream_tbPNSt15iterator_traitsISG_E10value_typeEPNSM_ISH_E10value_typeEPSI_NS1_7vsmem_tEENKUlT_SG_SH_SI_E_clIS7_S7_SB_S7_EESF_SV_SG_SH_SI_EUlSV_E1_NS1_11comp_targetILNS1_3genE0ELNS1_11target_archE4294967295ELNS1_3gpuE0ELNS1_3repE0EEENS1_36merge_oddeven_config_static_selectorELNS0_4arch9wavefront6targetE1EEEvSH_.num_named_barrier, 0
	.set _ZN7rocprim17ROCPRIM_400000_NS6detail17trampoline_kernelINS0_14default_configENS1_38merge_sort_block_merge_config_selectorIllEEZZNS1_27merge_sort_block_merge_implIS3_PlN6thrust23THRUST_200600_302600_NS10device_ptrIlEEjNS1_19radix_merge_compareILb0ELb1ElNS0_19identity_decomposerEEEEE10hipError_tT0_T1_T2_jT3_P12ihipStream_tbPNSt15iterator_traitsISG_E10value_typeEPNSM_ISH_E10value_typeEPSI_NS1_7vsmem_tEENKUlT_SG_SH_SI_E_clIS7_S7_SB_S7_EESF_SV_SG_SH_SI_EUlSV_E1_NS1_11comp_targetILNS1_3genE0ELNS1_11target_archE4294967295ELNS1_3gpuE0ELNS1_3repE0EEENS1_36merge_oddeven_config_static_selectorELNS0_4arch9wavefront6targetE1EEEvSH_.private_seg_size, 0
	.set _ZN7rocprim17ROCPRIM_400000_NS6detail17trampoline_kernelINS0_14default_configENS1_38merge_sort_block_merge_config_selectorIllEEZZNS1_27merge_sort_block_merge_implIS3_PlN6thrust23THRUST_200600_302600_NS10device_ptrIlEEjNS1_19radix_merge_compareILb0ELb1ElNS0_19identity_decomposerEEEEE10hipError_tT0_T1_T2_jT3_P12ihipStream_tbPNSt15iterator_traitsISG_E10value_typeEPNSM_ISH_E10value_typeEPSI_NS1_7vsmem_tEENKUlT_SG_SH_SI_E_clIS7_S7_SB_S7_EESF_SV_SG_SH_SI_EUlSV_E1_NS1_11comp_targetILNS1_3genE0ELNS1_11target_archE4294967295ELNS1_3gpuE0ELNS1_3repE0EEENS1_36merge_oddeven_config_static_selectorELNS0_4arch9wavefront6targetE1EEEvSH_.uses_vcc, 0
	.set _ZN7rocprim17ROCPRIM_400000_NS6detail17trampoline_kernelINS0_14default_configENS1_38merge_sort_block_merge_config_selectorIllEEZZNS1_27merge_sort_block_merge_implIS3_PlN6thrust23THRUST_200600_302600_NS10device_ptrIlEEjNS1_19radix_merge_compareILb0ELb1ElNS0_19identity_decomposerEEEEE10hipError_tT0_T1_T2_jT3_P12ihipStream_tbPNSt15iterator_traitsISG_E10value_typeEPNSM_ISH_E10value_typeEPSI_NS1_7vsmem_tEENKUlT_SG_SH_SI_E_clIS7_S7_SB_S7_EESF_SV_SG_SH_SI_EUlSV_E1_NS1_11comp_targetILNS1_3genE0ELNS1_11target_archE4294967295ELNS1_3gpuE0ELNS1_3repE0EEENS1_36merge_oddeven_config_static_selectorELNS0_4arch9wavefront6targetE1EEEvSH_.uses_flat_scratch, 0
	.set _ZN7rocprim17ROCPRIM_400000_NS6detail17trampoline_kernelINS0_14default_configENS1_38merge_sort_block_merge_config_selectorIllEEZZNS1_27merge_sort_block_merge_implIS3_PlN6thrust23THRUST_200600_302600_NS10device_ptrIlEEjNS1_19radix_merge_compareILb0ELb1ElNS0_19identity_decomposerEEEEE10hipError_tT0_T1_T2_jT3_P12ihipStream_tbPNSt15iterator_traitsISG_E10value_typeEPNSM_ISH_E10value_typeEPSI_NS1_7vsmem_tEENKUlT_SG_SH_SI_E_clIS7_S7_SB_S7_EESF_SV_SG_SH_SI_EUlSV_E1_NS1_11comp_targetILNS1_3genE0ELNS1_11target_archE4294967295ELNS1_3gpuE0ELNS1_3repE0EEENS1_36merge_oddeven_config_static_selectorELNS0_4arch9wavefront6targetE1EEEvSH_.has_dyn_sized_stack, 0
	.set _ZN7rocprim17ROCPRIM_400000_NS6detail17trampoline_kernelINS0_14default_configENS1_38merge_sort_block_merge_config_selectorIllEEZZNS1_27merge_sort_block_merge_implIS3_PlN6thrust23THRUST_200600_302600_NS10device_ptrIlEEjNS1_19radix_merge_compareILb0ELb1ElNS0_19identity_decomposerEEEEE10hipError_tT0_T1_T2_jT3_P12ihipStream_tbPNSt15iterator_traitsISG_E10value_typeEPNSM_ISH_E10value_typeEPSI_NS1_7vsmem_tEENKUlT_SG_SH_SI_E_clIS7_S7_SB_S7_EESF_SV_SG_SH_SI_EUlSV_E1_NS1_11comp_targetILNS1_3genE0ELNS1_11target_archE4294967295ELNS1_3gpuE0ELNS1_3repE0EEENS1_36merge_oddeven_config_static_selectorELNS0_4arch9wavefront6targetE1EEEvSH_.has_recursion, 0
	.set _ZN7rocprim17ROCPRIM_400000_NS6detail17trampoline_kernelINS0_14default_configENS1_38merge_sort_block_merge_config_selectorIllEEZZNS1_27merge_sort_block_merge_implIS3_PlN6thrust23THRUST_200600_302600_NS10device_ptrIlEEjNS1_19radix_merge_compareILb0ELb1ElNS0_19identity_decomposerEEEEE10hipError_tT0_T1_T2_jT3_P12ihipStream_tbPNSt15iterator_traitsISG_E10value_typeEPNSM_ISH_E10value_typeEPSI_NS1_7vsmem_tEENKUlT_SG_SH_SI_E_clIS7_S7_SB_S7_EESF_SV_SG_SH_SI_EUlSV_E1_NS1_11comp_targetILNS1_3genE0ELNS1_11target_archE4294967295ELNS1_3gpuE0ELNS1_3repE0EEENS1_36merge_oddeven_config_static_selectorELNS0_4arch9wavefront6targetE1EEEvSH_.has_indirect_call, 0
	.section	.AMDGPU.csdata,"",@progbits
; Kernel info:
; codeLenInByte = 0
; TotalNumSgprs: 4
; NumVgprs: 0
; ScratchSize: 0
; MemoryBound: 0
; FloatMode: 240
; IeeeMode: 1
; LDSByteSize: 0 bytes/workgroup (compile time only)
; SGPRBlocks: 0
; VGPRBlocks: 0
; NumSGPRsForWavesPerEU: 4
; NumVGPRsForWavesPerEU: 1
; Occupancy: 10
; WaveLimiterHint : 0
; COMPUTE_PGM_RSRC2:SCRATCH_EN: 0
; COMPUTE_PGM_RSRC2:USER_SGPR: 6
; COMPUTE_PGM_RSRC2:TRAP_HANDLER: 0
; COMPUTE_PGM_RSRC2:TGID_X_EN: 1
; COMPUTE_PGM_RSRC2:TGID_Y_EN: 0
; COMPUTE_PGM_RSRC2:TGID_Z_EN: 0
; COMPUTE_PGM_RSRC2:TIDIG_COMP_CNT: 0
	.section	.text._ZN7rocprim17ROCPRIM_400000_NS6detail17trampoline_kernelINS0_14default_configENS1_38merge_sort_block_merge_config_selectorIllEEZZNS1_27merge_sort_block_merge_implIS3_PlN6thrust23THRUST_200600_302600_NS10device_ptrIlEEjNS1_19radix_merge_compareILb0ELb1ElNS0_19identity_decomposerEEEEE10hipError_tT0_T1_T2_jT3_P12ihipStream_tbPNSt15iterator_traitsISG_E10value_typeEPNSM_ISH_E10value_typeEPSI_NS1_7vsmem_tEENKUlT_SG_SH_SI_E_clIS7_S7_SB_S7_EESF_SV_SG_SH_SI_EUlSV_E1_NS1_11comp_targetILNS1_3genE10ELNS1_11target_archE1201ELNS1_3gpuE5ELNS1_3repE0EEENS1_36merge_oddeven_config_static_selectorELNS0_4arch9wavefront6targetE1EEEvSH_,"axG",@progbits,_ZN7rocprim17ROCPRIM_400000_NS6detail17trampoline_kernelINS0_14default_configENS1_38merge_sort_block_merge_config_selectorIllEEZZNS1_27merge_sort_block_merge_implIS3_PlN6thrust23THRUST_200600_302600_NS10device_ptrIlEEjNS1_19radix_merge_compareILb0ELb1ElNS0_19identity_decomposerEEEEE10hipError_tT0_T1_T2_jT3_P12ihipStream_tbPNSt15iterator_traitsISG_E10value_typeEPNSM_ISH_E10value_typeEPSI_NS1_7vsmem_tEENKUlT_SG_SH_SI_E_clIS7_S7_SB_S7_EESF_SV_SG_SH_SI_EUlSV_E1_NS1_11comp_targetILNS1_3genE10ELNS1_11target_archE1201ELNS1_3gpuE5ELNS1_3repE0EEENS1_36merge_oddeven_config_static_selectorELNS0_4arch9wavefront6targetE1EEEvSH_,comdat
	.protected	_ZN7rocprim17ROCPRIM_400000_NS6detail17trampoline_kernelINS0_14default_configENS1_38merge_sort_block_merge_config_selectorIllEEZZNS1_27merge_sort_block_merge_implIS3_PlN6thrust23THRUST_200600_302600_NS10device_ptrIlEEjNS1_19radix_merge_compareILb0ELb1ElNS0_19identity_decomposerEEEEE10hipError_tT0_T1_T2_jT3_P12ihipStream_tbPNSt15iterator_traitsISG_E10value_typeEPNSM_ISH_E10value_typeEPSI_NS1_7vsmem_tEENKUlT_SG_SH_SI_E_clIS7_S7_SB_S7_EESF_SV_SG_SH_SI_EUlSV_E1_NS1_11comp_targetILNS1_3genE10ELNS1_11target_archE1201ELNS1_3gpuE5ELNS1_3repE0EEENS1_36merge_oddeven_config_static_selectorELNS0_4arch9wavefront6targetE1EEEvSH_ ; -- Begin function _ZN7rocprim17ROCPRIM_400000_NS6detail17trampoline_kernelINS0_14default_configENS1_38merge_sort_block_merge_config_selectorIllEEZZNS1_27merge_sort_block_merge_implIS3_PlN6thrust23THRUST_200600_302600_NS10device_ptrIlEEjNS1_19radix_merge_compareILb0ELb1ElNS0_19identity_decomposerEEEEE10hipError_tT0_T1_T2_jT3_P12ihipStream_tbPNSt15iterator_traitsISG_E10value_typeEPNSM_ISH_E10value_typeEPSI_NS1_7vsmem_tEENKUlT_SG_SH_SI_E_clIS7_S7_SB_S7_EESF_SV_SG_SH_SI_EUlSV_E1_NS1_11comp_targetILNS1_3genE10ELNS1_11target_archE1201ELNS1_3gpuE5ELNS1_3repE0EEENS1_36merge_oddeven_config_static_selectorELNS0_4arch9wavefront6targetE1EEEvSH_
	.globl	_ZN7rocprim17ROCPRIM_400000_NS6detail17trampoline_kernelINS0_14default_configENS1_38merge_sort_block_merge_config_selectorIllEEZZNS1_27merge_sort_block_merge_implIS3_PlN6thrust23THRUST_200600_302600_NS10device_ptrIlEEjNS1_19radix_merge_compareILb0ELb1ElNS0_19identity_decomposerEEEEE10hipError_tT0_T1_T2_jT3_P12ihipStream_tbPNSt15iterator_traitsISG_E10value_typeEPNSM_ISH_E10value_typeEPSI_NS1_7vsmem_tEENKUlT_SG_SH_SI_E_clIS7_S7_SB_S7_EESF_SV_SG_SH_SI_EUlSV_E1_NS1_11comp_targetILNS1_3genE10ELNS1_11target_archE1201ELNS1_3gpuE5ELNS1_3repE0EEENS1_36merge_oddeven_config_static_selectorELNS0_4arch9wavefront6targetE1EEEvSH_
	.p2align	8
	.type	_ZN7rocprim17ROCPRIM_400000_NS6detail17trampoline_kernelINS0_14default_configENS1_38merge_sort_block_merge_config_selectorIllEEZZNS1_27merge_sort_block_merge_implIS3_PlN6thrust23THRUST_200600_302600_NS10device_ptrIlEEjNS1_19radix_merge_compareILb0ELb1ElNS0_19identity_decomposerEEEEE10hipError_tT0_T1_T2_jT3_P12ihipStream_tbPNSt15iterator_traitsISG_E10value_typeEPNSM_ISH_E10value_typeEPSI_NS1_7vsmem_tEENKUlT_SG_SH_SI_E_clIS7_S7_SB_S7_EESF_SV_SG_SH_SI_EUlSV_E1_NS1_11comp_targetILNS1_3genE10ELNS1_11target_archE1201ELNS1_3gpuE5ELNS1_3repE0EEENS1_36merge_oddeven_config_static_selectorELNS0_4arch9wavefront6targetE1EEEvSH_,@function
_ZN7rocprim17ROCPRIM_400000_NS6detail17trampoline_kernelINS0_14default_configENS1_38merge_sort_block_merge_config_selectorIllEEZZNS1_27merge_sort_block_merge_implIS3_PlN6thrust23THRUST_200600_302600_NS10device_ptrIlEEjNS1_19radix_merge_compareILb0ELb1ElNS0_19identity_decomposerEEEEE10hipError_tT0_T1_T2_jT3_P12ihipStream_tbPNSt15iterator_traitsISG_E10value_typeEPNSM_ISH_E10value_typeEPSI_NS1_7vsmem_tEENKUlT_SG_SH_SI_E_clIS7_S7_SB_S7_EESF_SV_SG_SH_SI_EUlSV_E1_NS1_11comp_targetILNS1_3genE10ELNS1_11target_archE1201ELNS1_3gpuE5ELNS1_3repE0EEENS1_36merge_oddeven_config_static_selectorELNS0_4arch9wavefront6targetE1EEEvSH_: ; @_ZN7rocprim17ROCPRIM_400000_NS6detail17trampoline_kernelINS0_14default_configENS1_38merge_sort_block_merge_config_selectorIllEEZZNS1_27merge_sort_block_merge_implIS3_PlN6thrust23THRUST_200600_302600_NS10device_ptrIlEEjNS1_19radix_merge_compareILb0ELb1ElNS0_19identity_decomposerEEEEE10hipError_tT0_T1_T2_jT3_P12ihipStream_tbPNSt15iterator_traitsISG_E10value_typeEPNSM_ISH_E10value_typeEPSI_NS1_7vsmem_tEENKUlT_SG_SH_SI_E_clIS7_S7_SB_S7_EESF_SV_SG_SH_SI_EUlSV_E1_NS1_11comp_targetILNS1_3genE10ELNS1_11target_archE1201ELNS1_3gpuE5ELNS1_3repE0EEENS1_36merge_oddeven_config_static_selectorELNS0_4arch9wavefront6targetE1EEEvSH_
; %bb.0:
	.section	.rodata,"a",@progbits
	.p2align	6, 0x0
	.amdhsa_kernel _ZN7rocprim17ROCPRIM_400000_NS6detail17trampoline_kernelINS0_14default_configENS1_38merge_sort_block_merge_config_selectorIllEEZZNS1_27merge_sort_block_merge_implIS3_PlN6thrust23THRUST_200600_302600_NS10device_ptrIlEEjNS1_19radix_merge_compareILb0ELb1ElNS0_19identity_decomposerEEEEE10hipError_tT0_T1_T2_jT3_P12ihipStream_tbPNSt15iterator_traitsISG_E10value_typeEPNSM_ISH_E10value_typeEPSI_NS1_7vsmem_tEENKUlT_SG_SH_SI_E_clIS7_S7_SB_S7_EESF_SV_SG_SH_SI_EUlSV_E1_NS1_11comp_targetILNS1_3genE10ELNS1_11target_archE1201ELNS1_3gpuE5ELNS1_3repE0EEENS1_36merge_oddeven_config_static_selectorELNS0_4arch9wavefront6targetE1EEEvSH_
		.amdhsa_group_segment_fixed_size 0
		.amdhsa_private_segment_fixed_size 0
		.amdhsa_kernarg_size 48
		.amdhsa_user_sgpr_count 6
		.amdhsa_user_sgpr_private_segment_buffer 1
		.amdhsa_user_sgpr_dispatch_ptr 0
		.amdhsa_user_sgpr_queue_ptr 0
		.amdhsa_user_sgpr_kernarg_segment_ptr 1
		.amdhsa_user_sgpr_dispatch_id 0
		.amdhsa_user_sgpr_flat_scratch_init 0
		.amdhsa_user_sgpr_private_segment_size 0
		.amdhsa_uses_dynamic_stack 0
		.amdhsa_system_sgpr_private_segment_wavefront_offset 0
		.amdhsa_system_sgpr_workgroup_id_x 1
		.amdhsa_system_sgpr_workgroup_id_y 0
		.amdhsa_system_sgpr_workgroup_id_z 0
		.amdhsa_system_sgpr_workgroup_info 0
		.amdhsa_system_vgpr_workitem_id 0
		.amdhsa_next_free_vgpr 1
		.amdhsa_next_free_sgpr 0
		.amdhsa_reserve_vcc 0
		.amdhsa_reserve_flat_scratch 0
		.amdhsa_float_round_mode_32 0
		.amdhsa_float_round_mode_16_64 0
		.amdhsa_float_denorm_mode_32 3
		.amdhsa_float_denorm_mode_16_64 3
		.amdhsa_dx10_clamp 1
		.amdhsa_ieee_mode 1
		.amdhsa_fp16_overflow 0
		.amdhsa_exception_fp_ieee_invalid_op 0
		.amdhsa_exception_fp_denorm_src 0
		.amdhsa_exception_fp_ieee_div_zero 0
		.amdhsa_exception_fp_ieee_overflow 0
		.amdhsa_exception_fp_ieee_underflow 0
		.amdhsa_exception_fp_ieee_inexact 0
		.amdhsa_exception_int_div_zero 0
	.end_amdhsa_kernel
	.section	.text._ZN7rocprim17ROCPRIM_400000_NS6detail17trampoline_kernelINS0_14default_configENS1_38merge_sort_block_merge_config_selectorIllEEZZNS1_27merge_sort_block_merge_implIS3_PlN6thrust23THRUST_200600_302600_NS10device_ptrIlEEjNS1_19radix_merge_compareILb0ELb1ElNS0_19identity_decomposerEEEEE10hipError_tT0_T1_T2_jT3_P12ihipStream_tbPNSt15iterator_traitsISG_E10value_typeEPNSM_ISH_E10value_typeEPSI_NS1_7vsmem_tEENKUlT_SG_SH_SI_E_clIS7_S7_SB_S7_EESF_SV_SG_SH_SI_EUlSV_E1_NS1_11comp_targetILNS1_3genE10ELNS1_11target_archE1201ELNS1_3gpuE5ELNS1_3repE0EEENS1_36merge_oddeven_config_static_selectorELNS0_4arch9wavefront6targetE1EEEvSH_,"axG",@progbits,_ZN7rocprim17ROCPRIM_400000_NS6detail17trampoline_kernelINS0_14default_configENS1_38merge_sort_block_merge_config_selectorIllEEZZNS1_27merge_sort_block_merge_implIS3_PlN6thrust23THRUST_200600_302600_NS10device_ptrIlEEjNS1_19radix_merge_compareILb0ELb1ElNS0_19identity_decomposerEEEEE10hipError_tT0_T1_T2_jT3_P12ihipStream_tbPNSt15iterator_traitsISG_E10value_typeEPNSM_ISH_E10value_typeEPSI_NS1_7vsmem_tEENKUlT_SG_SH_SI_E_clIS7_S7_SB_S7_EESF_SV_SG_SH_SI_EUlSV_E1_NS1_11comp_targetILNS1_3genE10ELNS1_11target_archE1201ELNS1_3gpuE5ELNS1_3repE0EEENS1_36merge_oddeven_config_static_selectorELNS0_4arch9wavefront6targetE1EEEvSH_,comdat
.Lfunc_end1107:
	.size	_ZN7rocprim17ROCPRIM_400000_NS6detail17trampoline_kernelINS0_14default_configENS1_38merge_sort_block_merge_config_selectorIllEEZZNS1_27merge_sort_block_merge_implIS3_PlN6thrust23THRUST_200600_302600_NS10device_ptrIlEEjNS1_19radix_merge_compareILb0ELb1ElNS0_19identity_decomposerEEEEE10hipError_tT0_T1_T2_jT3_P12ihipStream_tbPNSt15iterator_traitsISG_E10value_typeEPNSM_ISH_E10value_typeEPSI_NS1_7vsmem_tEENKUlT_SG_SH_SI_E_clIS7_S7_SB_S7_EESF_SV_SG_SH_SI_EUlSV_E1_NS1_11comp_targetILNS1_3genE10ELNS1_11target_archE1201ELNS1_3gpuE5ELNS1_3repE0EEENS1_36merge_oddeven_config_static_selectorELNS0_4arch9wavefront6targetE1EEEvSH_, .Lfunc_end1107-_ZN7rocprim17ROCPRIM_400000_NS6detail17trampoline_kernelINS0_14default_configENS1_38merge_sort_block_merge_config_selectorIllEEZZNS1_27merge_sort_block_merge_implIS3_PlN6thrust23THRUST_200600_302600_NS10device_ptrIlEEjNS1_19radix_merge_compareILb0ELb1ElNS0_19identity_decomposerEEEEE10hipError_tT0_T1_T2_jT3_P12ihipStream_tbPNSt15iterator_traitsISG_E10value_typeEPNSM_ISH_E10value_typeEPSI_NS1_7vsmem_tEENKUlT_SG_SH_SI_E_clIS7_S7_SB_S7_EESF_SV_SG_SH_SI_EUlSV_E1_NS1_11comp_targetILNS1_3genE10ELNS1_11target_archE1201ELNS1_3gpuE5ELNS1_3repE0EEENS1_36merge_oddeven_config_static_selectorELNS0_4arch9wavefront6targetE1EEEvSH_
                                        ; -- End function
	.set _ZN7rocprim17ROCPRIM_400000_NS6detail17trampoline_kernelINS0_14default_configENS1_38merge_sort_block_merge_config_selectorIllEEZZNS1_27merge_sort_block_merge_implIS3_PlN6thrust23THRUST_200600_302600_NS10device_ptrIlEEjNS1_19radix_merge_compareILb0ELb1ElNS0_19identity_decomposerEEEEE10hipError_tT0_T1_T2_jT3_P12ihipStream_tbPNSt15iterator_traitsISG_E10value_typeEPNSM_ISH_E10value_typeEPSI_NS1_7vsmem_tEENKUlT_SG_SH_SI_E_clIS7_S7_SB_S7_EESF_SV_SG_SH_SI_EUlSV_E1_NS1_11comp_targetILNS1_3genE10ELNS1_11target_archE1201ELNS1_3gpuE5ELNS1_3repE0EEENS1_36merge_oddeven_config_static_selectorELNS0_4arch9wavefront6targetE1EEEvSH_.num_vgpr, 0
	.set _ZN7rocprim17ROCPRIM_400000_NS6detail17trampoline_kernelINS0_14default_configENS1_38merge_sort_block_merge_config_selectorIllEEZZNS1_27merge_sort_block_merge_implIS3_PlN6thrust23THRUST_200600_302600_NS10device_ptrIlEEjNS1_19radix_merge_compareILb0ELb1ElNS0_19identity_decomposerEEEEE10hipError_tT0_T1_T2_jT3_P12ihipStream_tbPNSt15iterator_traitsISG_E10value_typeEPNSM_ISH_E10value_typeEPSI_NS1_7vsmem_tEENKUlT_SG_SH_SI_E_clIS7_S7_SB_S7_EESF_SV_SG_SH_SI_EUlSV_E1_NS1_11comp_targetILNS1_3genE10ELNS1_11target_archE1201ELNS1_3gpuE5ELNS1_3repE0EEENS1_36merge_oddeven_config_static_selectorELNS0_4arch9wavefront6targetE1EEEvSH_.num_agpr, 0
	.set _ZN7rocprim17ROCPRIM_400000_NS6detail17trampoline_kernelINS0_14default_configENS1_38merge_sort_block_merge_config_selectorIllEEZZNS1_27merge_sort_block_merge_implIS3_PlN6thrust23THRUST_200600_302600_NS10device_ptrIlEEjNS1_19radix_merge_compareILb0ELb1ElNS0_19identity_decomposerEEEEE10hipError_tT0_T1_T2_jT3_P12ihipStream_tbPNSt15iterator_traitsISG_E10value_typeEPNSM_ISH_E10value_typeEPSI_NS1_7vsmem_tEENKUlT_SG_SH_SI_E_clIS7_S7_SB_S7_EESF_SV_SG_SH_SI_EUlSV_E1_NS1_11comp_targetILNS1_3genE10ELNS1_11target_archE1201ELNS1_3gpuE5ELNS1_3repE0EEENS1_36merge_oddeven_config_static_selectorELNS0_4arch9wavefront6targetE1EEEvSH_.numbered_sgpr, 0
	.set _ZN7rocprim17ROCPRIM_400000_NS6detail17trampoline_kernelINS0_14default_configENS1_38merge_sort_block_merge_config_selectorIllEEZZNS1_27merge_sort_block_merge_implIS3_PlN6thrust23THRUST_200600_302600_NS10device_ptrIlEEjNS1_19radix_merge_compareILb0ELb1ElNS0_19identity_decomposerEEEEE10hipError_tT0_T1_T2_jT3_P12ihipStream_tbPNSt15iterator_traitsISG_E10value_typeEPNSM_ISH_E10value_typeEPSI_NS1_7vsmem_tEENKUlT_SG_SH_SI_E_clIS7_S7_SB_S7_EESF_SV_SG_SH_SI_EUlSV_E1_NS1_11comp_targetILNS1_3genE10ELNS1_11target_archE1201ELNS1_3gpuE5ELNS1_3repE0EEENS1_36merge_oddeven_config_static_selectorELNS0_4arch9wavefront6targetE1EEEvSH_.num_named_barrier, 0
	.set _ZN7rocprim17ROCPRIM_400000_NS6detail17trampoline_kernelINS0_14default_configENS1_38merge_sort_block_merge_config_selectorIllEEZZNS1_27merge_sort_block_merge_implIS3_PlN6thrust23THRUST_200600_302600_NS10device_ptrIlEEjNS1_19radix_merge_compareILb0ELb1ElNS0_19identity_decomposerEEEEE10hipError_tT0_T1_T2_jT3_P12ihipStream_tbPNSt15iterator_traitsISG_E10value_typeEPNSM_ISH_E10value_typeEPSI_NS1_7vsmem_tEENKUlT_SG_SH_SI_E_clIS7_S7_SB_S7_EESF_SV_SG_SH_SI_EUlSV_E1_NS1_11comp_targetILNS1_3genE10ELNS1_11target_archE1201ELNS1_3gpuE5ELNS1_3repE0EEENS1_36merge_oddeven_config_static_selectorELNS0_4arch9wavefront6targetE1EEEvSH_.private_seg_size, 0
	.set _ZN7rocprim17ROCPRIM_400000_NS6detail17trampoline_kernelINS0_14default_configENS1_38merge_sort_block_merge_config_selectorIllEEZZNS1_27merge_sort_block_merge_implIS3_PlN6thrust23THRUST_200600_302600_NS10device_ptrIlEEjNS1_19radix_merge_compareILb0ELb1ElNS0_19identity_decomposerEEEEE10hipError_tT0_T1_T2_jT3_P12ihipStream_tbPNSt15iterator_traitsISG_E10value_typeEPNSM_ISH_E10value_typeEPSI_NS1_7vsmem_tEENKUlT_SG_SH_SI_E_clIS7_S7_SB_S7_EESF_SV_SG_SH_SI_EUlSV_E1_NS1_11comp_targetILNS1_3genE10ELNS1_11target_archE1201ELNS1_3gpuE5ELNS1_3repE0EEENS1_36merge_oddeven_config_static_selectorELNS0_4arch9wavefront6targetE1EEEvSH_.uses_vcc, 0
	.set _ZN7rocprim17ROCPRIM_400000_NS6detail17trampoline_kernelINS0_14default_configENS1_38merge_sort_block_merge_config_selectorIllEEZZNS1_27merge_sort_block_merge_implIS3_PlN6thrust23THRUST_200600_302600_NS10device_ptrIlEEjNS1_19radix_merge_compareILb0ELb1ElNS0_19identity_decomposerEEEEE10hipError_tT0_T1_T2_jT3_P12ihipStream_tbPNSt15iterator_traitsISG_E10value_typeEPNSM_ISH_E10value_typeEPSI_NS1_7vsmem_tEENKUlT_SG_SH_SI_E_clIS7_S7_SB_S7_EESF_SV_SG_SH_SI_EUlSV_E1_NS1_11comp_targetILNS1_3genE10ELNS1_11target_archE1201ELNS1_3gpuE5ELNS1_3repE0EEENS1_36merge_oddeven_config_static_selectorELNS0_4arch9wavefront6targetE1EEEvSH_.uses_flat_scratch, 0
	.set _ZN7rocprim17ROCPRIM_400000_NS6detail17trampoline_kernelINS0_14default_configENS1_38merge_sort_block_merge_config_selectorIllEEZZNS1_27merge_sort_block_merge_implIS3_PlN6thrust23THRUST_200600_302600_NS10device_ptrIlEEjNS1_19radix_merge_compareILb0ELb1ElNS0_19identity_decomposerEEEEE10hipError_tT0_T1_T2_jT3_P12ihipStream_tbPNSt15iterator_traitsISG_E10value_typeEPNSM_ISH_E10value_typeEPSI_NS1_7vsmem_tEENKUlT_SG_SH_SI_E_clIS7_S7_SB_S7_EESF_SV_SG_SH_SI_EUlSV_E1_NS1_11comp_targetILNS1_3genE10ELNS1_11target_archE1201ELNS1_3gpuE5ELNS1_3repE0EEENS1_36merge_oddeven_config_static_selectorELNS0_4arch9wavefront6targetE1EEEvSH_.has_dyn_sized_stack, 0
	.set _ZN7rocprim17ROCPRIM_400000_NS6detail17trampoline_kernelINS0_14default_configENS1_38merge_sort_block_merge_config_selectorIllEEZZNS1_27merge_sort_block_merge_implIS3_PlN6thrust23THRUST_200600_302600_NS10device_ptrIlEEjNS1_19radix_merge_compareILb0ELb1ElNS0_19identity_decomposerEEEEE10hipError_tT0_T1_T2_jT3_P12ihipStream_tbPNSt15iterator_traitsISG_E10value_typeEPNSM_ISH_E10value_typeEPSI_NS1_7vsmem_tEENKUlT_SG_SH_SI_E_clIS7_S7_SB_S7_EESF_SV_SG_SH_SI_EUlSV_E1_NS1_11comp_targetILNS1_3genE10ELNS1_11target_archE1201ELNS1_3gpuE5ELNS1_3repE0EEENS1_36merge_oddeven_config_static_selectorELNS0_4arch9wavefront6targetE1EEEvSH_.has_recursion, 0
	.set _ZN7rocprim17ROCPRIM_400000_NS6detail17trampoline_kernelINS0_14default_configENS1_38merge_sort_block_merge_config_selectorIllEEZZNS1_27merge_sort_block_merge_implIS3_PlN6thrust23THRUST_200600_302600_NS10device_ptrIlEEjNS1_19radix_merge_compareILb0ELb1ElNS0_19identity_decomposerEEEEE10hipError_tT0_T1_T2_jT3_P12ihipStream_tbPNSt15iterator_traitsISG_E10value_typeEPNSM_ISH_E10value_typeEPSI_NS1_7vsmem_tEENKUlT_SG_SH_SI_E_clIS7_S7_SB_S7_EESF_SV_SG_SH_SI_EUlSV_E1_NS1_11comp_targetILNS1_3genE10ELNS1_11target_archE1201ELNS1_3gpuE5ELNS1_3repE0EEENS1_36merge_oddeven_config_static_selectorELNS0_4arch9wavefront6targetE1EEEvSH_.has_indirect_call, 0
	.section	.AMDGPU.csdata,"",@progbits
; Kernel info:
; codeLenInByte = 0
; TotalNumSgprs: 4
; NumVgprs: 0
; ScratchSize: 0
; MemoryBound: 0
; FloatMode: 240
; IeeeMode: 1
; LDSByteSize: 0 bytes/workgroup (compile time only)
; SGPRBlocks: 0
; VGPRBlocks: 0
; NumSGPRsForWavesPerEU: 4
; NumVGPRsForWavesPerEU: 1
; Occupancy: 10
; WaveLimiterHint : 0
; COMPUTE_PGM_RSRC2:SCRATCH_EN: 0
; COMPUTE_PGM_RSRC2:USER_SGPR: 6
; COMPUTE_PGM_RSRC2:TRAP_HANDLER: 0
; COMPUTE_PGM_RSRC2:TGID_X_EN: 1
; COMPUTE_PGM_RSRC2:TGID_Y_EN: 0
; COMPUTE_PGM_RSRC2:TGID_Z_EN: 0
; COMPUTE_PGM_RSRC2:TIDIG_COMP_CNT: 0
	.section	.text._ZN7rocprim17ROCPRIM_400000_NS6detail17trampoline_kernelINS0_14default_configENS1_38merge_sort_block_merge_config_selectorIllEEZZNS1_27merge_sort_block_merge_implIS3_PlN6thrust23THRUST_200600_302600_NS10device_ptrIlEEjNS1_19radix_merge_compareILb0ELb1ElNS0_19identity_decomposerEEEEE10hipError_tT0_T1_T2_jT3_P12ihipStream_tbPNSt15iterator_traitsISG_E10value_typeEPNSM_ISH_E10value_typeEPSI_NS1_7vsmem_tEENKUlT_SG_SH_SI_E_clIS7_S7_SB_S7_EESF_SV_SG_SH_SI_EUlSV_E1_NS1_11comp_targetILNS1_3genE5ELNS1_11target_archE942ELNS1_3gpuE9ELNS1_3repE0EEENS1_36merge_oddeven_config_static_selectorELNS0_4arch9wavefront6targetE1EEEvSH_,"axG",@progbits,_ZN7rocprim17ROCPRIM_400000_NS6detail17trampoline_kernelINS0_14default_configENS1_38merge_sort_block_merge_config_selectorIllEEZZNS1_27merge_sort_block_merge_implIS3_PlN6thrust23THRUST_200600_302600_NS10device_ptrIlEEjNS1_19radix_merge_compareILb0ELb1ElNS0_19identity_decomposerEEEEE10hipError_tT0_T1_T2_jT3_P12ihipStream_tbPNSt15iterator_traitsISG_E10value_typeEPNSM_ISH_E10value_typeEPSI_NS1_7vsmem_tEENKUlT_SG_SH_SI_E_clIS7_S7_SB_S7_EESF_SV_SG_SH_SI_EUlSV_E1_NS1_11comp_targetILNS1_3genE5ELNS1_11target_archE942ELNS1_3gpuE9ELNS1_3repE0EEENS1_36merge_oddeven_config_static_selectorELNS0_4arch9wavefront6targetE1EEEvSH_,comdat
	.protected	_ZN7rocprim17ROCPRIM_400000_NS6detail17trampoline_kernelINS0_14default_configENS1_38merge_sort_block_merge_config_selectorIllEEZZNS1_27merge_sort_block_merge_implIS3_PlN6thrust23THRUST_200600_302600_NS10device_ptrIlEEjNS1_19radix_merge_compareILb0ELb1ElNS0_19identity_decomposerEEEEE10hipError_tT0_T1_T2_jT3_P12ihipStream_tbPNSt15iterator_traitsISG_E10value_typeEPNSM_ISH_E10value_typeEPSI_NS1_7vsmem_tEENKUlT_SG_SH_SI_E_clIS7_S7_SB_S7_EESF_SV_SG_SH_SI_EUlSV_E1_NS1_11comp_targetILNS1_3genE5ELNS1_11target_archE942ELNS1_3gpuE9ELNS1_3repE0EEENS1_36merge_oddeven_config_static_selectorELNS0_4arch9wavefront6targetE1EEEvSH_ ; -- Begin function _ZN7rocprim17ROCPRIM_400000_NS6detail17trampoline_kernelINS0_14default_configENS1_38merge_sort_block_merge_config_selectorIllEEZZNS1_27merge_sort_block_merge_implIS3_PlN6thrust23THRUST_200600_302600_NS10device_ptrIlEEjNS1_19radix_merge_compareILb0ELb1ElNS0_19identity_decomposerEEEEE10hipError_tT0_T1_T2_jT3_P12ihipStream_tbPNSt15iterator_traitsISG_E10value_typeEPNSM_ISH_E10value_typeEPSI_NS1_7vsmem_tEENKUlT_SG_SH_SI_E_clIS7_S7_SB_S7_EESF_SV_SG_SH_SI_EUlSV_E1_NS1_11comp_targetILNS1_3genE5ELNS1_11target_archE942ELNS1_3gpuE9ELNS1_3repE0EEENS1_36merge_oddeven_config_static_selectorELNS0_4arch9wavefront6targetE1EEEvSH_
	.globl	_ZN7rocprim17ROCPRIM_400000_NS6detail17trampoline_kernelINS0_14default_configENS1_38merge_sort_block_merge_config_selectorIllEEZZNS1_27merge_sort_block_merge_implIS3_PlN6thrust23THRUST_200600_302600_NS10device_ptrIlEEjNS1_19radix_merge_compareILb0ELb1ElNS0_19identity_decomposerEEEEE10hipError_tT0_T1_T2_jT3_P12ihipStream_tbPNSt15iterator_traitsISG_E10value_typeEPNSM_ISH_E10value_typeEPSI_NS1_7vsmem_tEENKUlT_SG_SH_SI_E_clIS7_S7_SB_S7_EESF_SV_SG_SH_SI_EUlSV_E1_NS1_11comp_targetILNS1_3genE5ELNS1_11target_archE942ELNS1_3gpuE9ELNS1_3repE0EEENS1_36merge_oddeven_config_static_selectorELNS0_4arch9wavefront6targetE1EEEvSH_
	.p2align	8
	.type	_ZN7rocprim17ROCPRIM_400000_NS6detail17trampoline_kernelINS0_14default_configENS1_38merge_sort_block_merge_config_selectorIllEEZZNS1_27merge_sort_block_merge_implIS3_PlN6thrust23THRUST_200600_302600_NS10device_ptrIlEEjNS1_19radix_merge_compareILb0ELb1ElNS0_19identity_decomposerEEEEE10hipError_tT0_T1_T2_jT3_P12ihipStream_tbPNSt15iterator_traitsISG_E10value_typeEPNSM_ISH_E10value_typeEPSI_NS1_7vsmem_tEENKUlT_SG_SH_SI_E_clIS7_S7_SB_S7_EESF_SV_SG_SH_SI_EUlSV_E1_NS1_11comp_targetILNS1_3genE5ELNS1_11target_archE942ELNS1_3gpuE9ELNS1_3repE0EEENS1_36merge_oddeven_config_static_selectorELNS0_4arch9wavefront6targetE1EEEvSH_,@function
_ZN7rocprim17ROCPRIM_400000_NS6detail17trampoline_kernelINS0_14default_configENS1_38merge_sort_block_merge_config_selectorIllEEZZNS1_27merge_sort_block_merge_implIS3_PlN6thrust23THRUST_200600_302600_NS10device_ptrIlEEjNS1_19radix_merge_compareILb0ELb1ElNS0_19identity_decomposerEEEEE10hipError_tT0_T1_T2_jT3_P12ihipStream_tbPNSt15iterator_traitsISG_E10value_typeEPNSM_ISH_E10value_typeEPSI_NS1_7vsmem_tEENKUlT_SG_SH_SI_E_clIS7_S7_SB_S7_EESF_SV_SG_SH_SI_EUlSV_E1_NS1_11comp_targetILNS1_3genE5ELNS1_11target_archE942ELNS1_3gpuE9ELNS1_3repE0EEENS1_36merge_oddeven_config_static_selectorELNS0_4arch9wavefront6targetE1EEEvSH_: ; @_ZN7rocprim17ROCPRIM_400000_NS6detail17trampoline_kernelINS0_14default_configENS1_38merge_sort_block_merge_config_selectorIllEEZZNS1_27merge_sort_block_merge_implIS3_PlN6thrust23THRUST_200600_302600_NS10device_ptrIlEEjNS1_19radix_merge_compareILb0ELb1ElNS0_19identity_decomposerEEEEE10hipError_tT0_T1_T2_jT3_P12ihipStream_tbPNSt15iterator_traitsISG_E10value_typeEPNSM_ISH_E10value_typeEPSI_NS1_7vsmem_tEENKUlT_SG_SH_SI_E_clIS7_S7_SB_S7_EESF_SV_SG_SH_SI_EUlSV_E1_NS1_11comp_targetILNS1_3genE5ELNS1_11target_archE942ELNS1_3gpuE9ELNS1_3repE0EEENS1_36merge_oddeven_config_static_selectorELNS0_4arch9wavefront6targetE1EEEvSH_
; %bb.0:
	.section	.rodata,"a",@progbits
	.p2align	6, 0x0
	.amdhsa_kernel _ZN7rocprim17ROCPRIM_400000_NS6detail17trampoline_kernelINS0_14default_configENS1_38merge_sort_block_merge_config_selectorIllEEZZNS1_27merge_sort_block_merge_implIS3_PlN6thrust23THRUST_200600_302600_NS10device_ptrIlEEjNS1_19radix_merge_compareILb0ELb1ElNS0_19identity_decomposerEEEEE10hipError_tT0_T1_T2_jT3_P12ihipStream_tbPNSt15iterator_traitsISG_E10value_typeEPNSM_ISH_E10value_typeEPSI_NS1_7vsmem_tEENKUlT_SG_SH_SI_E_clIS7_S7_SB_S7_EESF_SV_SG_SH_SI_EUlSV_E1_NS1_11comp_targetILNS1_3genE5ELNS1_11target_archE942ELNS1_3gpuE9ELNS1_3repE0EEENS1_36merge_oddeven_config_static_selectorELNS0_4arch9wavefront6targetE1EEEvSH_
		.amdhsa_group_segment_fixed_size 0
		.amdhsa_private_segment_fixed_size 0
		.amdhsa_kernarg_size 48
		.amdhsa_user_sgpr_count 6
		.amdhsa_user_sgpr_private_segment_buffer 1
		.amdhsa_user_sgpr_dispatch_ptr 0
		.amdhsa_user_sgpr_queue_ptr 0
		.amdhsa_user_sgpr_kernarg_segment_ptr 1
		.amdhsa_user_sgpr_dispatch_id 0
		.amdhsa_user_sgpr_flat_scratch_init 0
		.amdhsa_user_sgpr_private_segment_size 0
		.amdhsa_uses_dynamic_stack 0
		.amdhsa_system_sgpr_private_segment_wavefront_offset 0
		.amdhsa_system_sgpr_workgroup_id_x 1
		.amdhsa_system_sgpr_workgroup_id_y 0
		.amdhsa_system_sgpr_workgroup_id_z 0
		.amdhsa_system_sgpr_workgroup_info 0
		.amdhsa_system_vgpr_workitem_id 0
		.amdhsa_next_free_vgpr 1
		.amdhsa_next_free_sgpr 0
		.amdhsa_reserve_vcc 0
		.amdhsa_reserve_flat_scratch 0
		.amdhsa_float_round_mode_32 0
		.amdhsa_float_round_mode_16_64 0
		.amdhsa_float_denorm_mode_32 3
		.amdhsa_float_denorm_mode_16_64 3
		.amdhsa_dx10_clamp 1
		.amdhsa_ieee_mode 1
		.amdhsa_fp16_overflow 0
		.amdhsa_exception_fp_ieee_invalid_op 0
		.amdhsa_exception_fp_denorm_src 0
		.amdhsa_exception_fp_ieee_div_zero 0
		.amdhsa_exception_fp_ieee_overflow 0
		.amdhsa_exception_fp_ieee_underflow 0
		.amdhsa_exception_fp_ieee_inexact 0
		.amdhsa_exception_int_div_zero 0
	.end_amdhsa_kernel
	.section	.text._ZN7rocprim17ROCPRIM_400000_NS6detail17trampoline_kernelINS0_14default_configENS1_38merge_sort_block_merge_config_selectorIllEEZZNS1_27merge_sort_block_merge_implIS3_PlN6thrust23THRUST_200600_302600_NS10device_ptrIlEEjNS1_19radix_merge_compareILb0ELb1ElNS0_19identity_decomposerEEEEE10hipError_tT0_T1_T2_jT3_P12ihipStream_tbPNSt15iterator_traitsISG_E10value_typeEPNSM_ISH_E10value_typeEPSI_NS1_7vsmem_tEENKUlT_SG_SH_SI_E_clIS7_S7_SB_S7_EESF_SV_SG_SH_SI_EUlSV_E1_NS1_11comp_targetILNS1_3genE5ELNS1_11target_archE942ELNS1_3gpuE9ELNS1_3repE0EEENS1_36merge_oddeven_config_static_selectorELNS0_4arch9wavefront6targetE1EEEvSH_,"axG",@progbits,_ZN7rocprim17ROCPRIM_400000_NS6detail17trampoline_kernelINS0_14default_configENS1_38merge_sort_block_merge_config_selectorIllEEZZNS1_27merge_sort_block_merge_implIS3_PlN6thrust23THRUST_200600_302600_NS10device_ptrIlEEjNS1_19radix_merge_compareILb0ELb1ElNS0_19identity_decomposerEEEEE10hipError_tT0_T1_T2_jT3_P12ihipStream_tbPNSt15iterator_traitsISG_E10value_typeEPNSM_ISH_E10value_typeEPSI_NS1_7vsmem_tEENKUlT_SG_SH_SI_E_clIS7_S7_SB_S7_EESF_SV_SG_SH_SI_EUlSV_E1_NS1_11comp_targetILNS1_3genE5ELNS1_11target_archE942ELNS1_3gpuE9ELNS1_3repE0EEENS1_36merge_oddeven_config_static_selectorELNS0_4arch9wavefront6targetE1EEEvSH_,comdat
.Lfunc_end1108:
	.size	_ZN7rocprim17ROCPRIM_400000_NS6detail17trampoline_kernelINS0_14default_configENS1_38merge_sort_block_merge_config_selectorIllEEZZNS1_27merge_sort_block_merge_implIS3_PlN6thrust23THRUST_200600_302600_NS10device_ptrIlEEjNS1_19radix_merge_compareILb0ELb1ElNS0_19identity_decomposerEEEEE10hipError_tT0_T1_T2_jT3_P12ihipStream_tbPNSt15iterator_traitsISG_E10value_typeEPNSM_ISH_E10value_typeEPSI_NS1_7vsmem_tEENKUlT_SG_SH_SI_E_clIS7_S7_SB_S7_EESF_SV_SG_SH_SI_EUlSV_E1_NS1_11comp_targetILNS1_3genE5ELNS1_11target_archE942ELNS1_3gpuE9ELNS1_3repE0EEENS1_36merge_oddeven_config_static_selectorELNS0_4arch9wavefront6targetE1EEEvSH_, .Lfunc_end1108-_ZN7rocprim17ROCPRIM_400000_NS6detail17trampoline_kernelINS0_14default_configENS1_38merge_sort_block_merge_config_selectorIllEEZZNS1_27merge_sort_block_merge_implIS3_PlN6thrust23THRUST_200600_302600_NS10device_ptrIlEEjNS1_19radix_merge_compareILb0ELb1ElNS0_19identity_decomposerEEEEE10hipError_tT0_T1_T2_jT3_P12ihipStream_tbPNSt15iterator_traitsISG_E10value_typeEPNSM_ISH_E10value_typeEPSI_NS1_7vsmem_tEENKUlT_SG_SH_SI_E_clIS7_S7_SB_S7_EESF_SV_SG_SH_SI_EUlSV_E1_NS1_11comp_targetILNS1_3genE5ELNS1_11target_archE942ELNS1_3gpuE9ELNS1_3repE0EEENS1_36merge_oddeven_config_static_selectorELNS0_4arch9wavefront6targetE1EEEvSH_
                                        ; -- End function
	.set _ZN7rocprim17ROCPRIM_400000_NS6detail17trampoline_kernelINS0_14default_configENS1_38merge_sort_block_merge_config_selectorIllEEZZNS1_27merge_sort_block_merge_implIS3_PlN6thrust23THRUST_200600_302600_NS10device_ptrIlEEjNS1_19radix_merge_compareILb0ELb1ElNS0_19identity_decomposerEEEEE10hipError_tT0_T1_T2_jT3_P12ihipStream_tbPNSt15iterator_traitsISG_E10value_typeEPNSM_ISH_E10value_typeEPSI_NS1_7vsmem_tEENKUlT_SG_SH_SI_E_clIS7_S7_SB_S7_EESF_SV_SG_SH_SI_EUlSV_E1_NS1_11comp_targetILNS1_3genE5ELNS1_11target_archE942ELNS1_3gpuE9ELNS1_3repE0EEENS1_36merge_oddeven_config_static_selectorELNS0_4arch9wavefront6targetE1EEEvSH_.num_vgpr, 0
	.set _ZN7rocprim17ROCPRIM_400000_NS6detail17trampoline_kernelINS0_14default_configENS1_38merge_sort_block_merge_config_selectorIllEEZZNS1_27merge_sort_block_merge_implIS3_PlN6thrust23THRUST_200600_302600_NS10device_ptrIlEEjNS1_19radix_merge_compareILb0ELb1ElNS0_19identity_decomposerEEEEE10hipError_tT0_T1_T2_jT3_P12ihipStream_tbPNSt15iterator_traitsISG_E10value_typeEPNSM_ISH_E10value_typeEPSI_NS1_7vsmem_tEENKUlT_SG_SH_SI_E_clIS7_S7_SB_S7_EESF_SV_SG_SH_SI_EUlSV_E1_NS1_11comp_targetILNS1_3genE5ELNS1_11target_archE942ELNS1_3gpuE9ELNS1_3repE0EEENS1_36merge_oddeven_config_static_selectorELNS0_4arch9wavefront6targetE1EEEvSH_.num_agpr, 0
	.set _ZN7rocprim17ROCPRIM_400000_NS6detail17trampoline_kernelINS0_14default_configENS1_38merge_sort_block_merge_config_selectorIllEEZZNS1_27merge_sort_block_merge_implIS3_PlN6thrust23THRUST_200600_302600_NS10device_ptrIlEEjNS1_19radix_merge_compareILb0ELb1ElNS0_19identity_decomposerEEEEE10hipError_tT0_T1_T2_jT3_P12ihipStream_tbPNSt15iterator_traitsISG_E10value_typeEPNSM_ISH_E10value_typeEPSI_NS1_7vsmem_tEENKUlT_SG_SH_SI_E_clIS7_S7_SB_S7_EESF_SV_SG_SH_SI_EUlSV_E1_NS1_11comp_targetILNS1_3genE5ELNS1_11target_archE942ELNS1_3gpuE9ELNS1_3repE0EEENS1_36merge_oddeven_config_static_selectorELNS0_4arch9wavefront6targetE1EEEvSH_.numbered_sgpr, 0
	.set _ZN7rocprim17ROCPRIM_400000_NS6detail17trampoline_kernelINS0_14default_configENS1_38merge_sort_block_merge_config_selectorIllEEZZNS1_27merge_sort_block_merge_implIS3_PlN6thrust23THRUST_200600_302600_NS10device_ptrIlEEjNS1_19radix_merge_compareILb0ELb1ElNS0_19identity_decomposerEEEEE10hipError_tT0_T1_T2_jT3_P12ihipStream_tbPNSt15iterator_traitsISG_E10value_typeEPNSM_ISH_E10value_typeEPSI_NS1_7vsmem_tEENKUlT_SG_SH_SI_E_clIS7_S7_SB_S7_EESF_SV_SG_SH_SI_EUlSV_E1_NS1_11comp_targetILNS1_3genE5ELNS1_11target_archE942ELNS1_3gpuE9ELNS1_3repE0EEENS1_36merge_oddeven_config_static_selectorELNS0_4arch9wavefront6targetE1EEEvSH_.num_named_barrier, 0
	.set _ZN7rocprim17ROCPRIM_400000_NS6detail17trampoline_kernelINS0_14default_configENS1_38merge_sort_block_merge_config_selectorIllEEZZNS1_27merge_sort_block_merge_implIS3_PlN6thrust23THRUST_200600_302600_NS10device_ptrIlEEjNS1_19radix_merge_compareILb0ELb1ElNS0_19identity_decomposerEEEEE10hipError_tT0_T1_T2_jT3_P12ihipStream_tbPNSt15iterator_traitsISG_E10value_typeEPNSM_ISH_E10value_typeEPSI_NS1_7vsmem_tEENKUlT_SG_SH_SI_E_clIS7_S7_SB_S7_EESF_SV_SG_SH_SI_EUlSV_E1_NS1_11comp_targetILNS1_3genE5ELNS1_11target_archE942ELNS1_3gpuE9ELNS1_3repE0EEENS1_36merge_oddeven_config_static_selectorELNS0_4arch9wavefront6targetE1EEEvSH_.private_seg_size, 0
	.set _ZN7rocprim17ROCPRIM_400000_NS6detail17trampoline_kernelINS0_14default_configENS1_38merge_sort_block_merge_config_selectorIllEEZZNS1_27merge_sort_block_merge_implIS3_PlN6thrust23THRUST_200600_302600_NS10device_ptrIlEEjNS1_19radix_merge_compareILb0ELb1ElNS0_19identity_decomposerEEEEE10hipError_tT0_T1_T2_jT3_P12ihipStream_tbPNSt15iterator_traitsISG_E10value_typeEPNSM_ISH_E10value_typeEPSI_NS1_7vsmem_tEENKUlT_SG_SH_SI_E_clIS7_S7_SB_S7_EESF_SV_SG_SH_SI_EUlSV_E1_NS1_11comp_targetILNS1_3genE5ELNS1_11target_archE942ELNS1_3gpuE9ELNS1_3repE0EEENS1_36merge_oddeven_config_static_selectorELNS0_4arch9wavefront6targetE1EEEvSH_.uses_vcc, 0
	.set _ZN7rocprim17ROCPRIM_400000_NS6detail17trampoline_kernelINS0_14default_configENS1_38merge_sort_block_merge_config_selectorIllEEZZNS1_27merge_sort_block_merge_implIS3_PlN6thrust23THRUST_200600_302600_NS10device_ptrIlEEjNS1_19radix_merge_compareILb0ELb1ElNS0_19identity_decomposerEEEEE10hipError_tT0_T1_T2_jT3_P12ihipStream_tbPNSt15iterator_traitsISG_E10value_typeEPNSM_ISH_E10value_typeEPSI_NS1_7vsmem_tEENKUlT_SG_SH_SI_E_clIS7_S7_SB_S7_EESF_SV_SG_SH_SI_EUlSV_E1_NS1_11comp_targetILNS1_3genE5ELNS1_11target_archE942ELNS1_3gpuE9ELNS1_3repE0EEENS1_36merge_oddeven_config_static_selectorELNS0_4arch9wavefront6targetE1EEEvSH_.uses_flat_scratch, 0
	.set _ZN7rocprim17ROCPRIM_400000_NS6detail17trampoline_kernelINS0_14default_configENS1_38merge_sort_block_merge_config_selectorIllEEZZNS1_27merge_sort_block_merge_implIS3_PlN6thrust23THRUST_200600_302600_NS10device_ptrIlEEjNS1_19radix_merge_compareILb0ELb1ElNS0_19identity_decomposerEEEEE10hipError_tT0_T1_T2_jT3_P12ihipStream_tbPNSt15iterator_traitsISG_E10value_typeEPNSM_ISH_E10value_typeEPSI_NS1_7vsmem_tEENKUlT_SG_SH_SI_E_clIS7_S7_SB_S7_EESF_SV_SG_SH_SI_EUlSV_E1_NS1_11comp_targetILNS1_3genE5ELNS1_11target_archE942ELNS1_3gpuE9ELNS1_3repE0EEENS1_36merge_oddeven_config_static_selectorELNS0_4arch9wavefront6targetE1EEEvSH_.has_dyn_sized_stack, 0
	.set _ZN7rocprim17ROCPRIM_400000_NS6detail17trampoline_kernelINS0_14default_configENS1_38merge_sort_block_merge_config_selectorIllEEZZNS1_27merge_sort_block_merge_implIS3_PlN6thrust23THRUST_200600_302600_NS10device_ptrIlEEjNS1_19radix_merge_compareILb0ELb1ElNS0_19identity_decomposerEEEEE10hipError_tT0_T1_T2_jT3_P12ihipStream_tbPNSt15iterator_traitsISG_E10value_typeEPNSM_ISH_E10value_typeEPSI_NS1_7vsmem_tEENKUlT_SG_SH_SI_E_clIS7_S7_SB_S7_EESF_SV_SG_SH_SI_EUlSV_E1_NS1_11comp_targetILNS1_3genE5ELNS1_11target_archE942ELNS1_3gpuE9ELNS1_3repE0EEENS1_36merge_oddeven_config_static_selectorELNS0_4arch9wavefront6targetE1EEEvSH_.has_recursion, 0
	.set _ZN7rocprim17ROCPRIM_400000_NS6detail17trampoline_kernelINS0_14default_configENS1_38merge_sort_block_merge_config_selectorIllEEZZNS1_27merge_sort_block_merge_implIS3_PlN6thrust23THRUST_200600_302600_NS10device_ptrIlEEjNS1_19radix_merge_compareILb0ELb1ElNS0_19identity_decomposerEEEEE10hipError_tT0_T1_T2_jT3_P12ihipStream_tbPNSt15iterator_traitsISG_E10value_typeEPNSM_ISH_E10value_typeEPSI_NS1_7vsmem_tEENKUlT_SG_SH_SI_E_clIS7_S7_SB_S7_EESF_SV_SG_SH_SI_EUlSV_E1_NS1_11comp_targetILNS1_3genE5ELNS1_11target_archE942ELNS1_3gpuE9ELNS1_3repE0EEENS1_36merge_oddeven_config_static_selectorELNS0_4arch9wavefront6targetE1EEEvSH_.has_indirect_call, 0
	.section	.AMDGPU.csdata,"",@progbits
; Kernel info:
; codeLenInByte = 0
; TotalNumSgprs: 4
; NumVgprs: 0
; ScratchSize: 0
; MemoryBound: 0
; FloatMode: 240
; IeeeMode: 1
; LDSByteSize: 0 bytes/workgroup (compile time only)
; SGPRBlocks: 0
; VGPRBlocks: 0
; NumSGPRsForWavesPerEU: 4
; NumVGPRsForWavesPerEU: 1
; Occupancy: 10
; WaveLimiterHint : 0
; COMPUTE_PGM_RSRC2:SCRATCH_EN: 0
; COMPUTE_PGM_RSRC2:USER_SGPR: 6
; COMPUTE_PGM_RSRC2:TRAP_HANDLER: 0
; COMPUTE_PGM_RSRC2:TGID_X_EN: 1
; COMPUTE_PGM_RSRC2:TGID_Y_EN: 0
; COMPUTE_PGM_RSRC2:TGID_Z_EN: 0
; COMPUTE_PGM_RSRC2:TIDIG_COMP_CNT: 0
	.section	.text._ZN7rocprim17ROCPRIM_400000_NS6detail17trampoline_kernelINS0_14default_configENS1_38merge_sort_block_merge_config_selectorIllEEZZNS1_27merge_sort_block_merge_implIS3_PlN6thrust23THRUST_200600_302600_NS10device_ptrIlEEjNS1_19radix_merge_compareILb0ELb1ElNS0_19identity_decomposerEEEEE10hipError_tT0_T1_T2_jT3_P12ihipStream_tbPNSt15iterator_traitsISG_E10value_typeEPNSM_ISH_E10value_typeEPSI_NS1_7vsmem_tEENKUlT_SG_SH_SI_E_clIS7_S7_SB_S7_EESF_SV_SG_SH_SI_EUlSV_E1_NS1_11comp_targetILNS1_3genE4ELNS1_11target_archE910ELNS1_3gpuE8ELNS1_3repE0EEENS1_36merge_oddeven_config_static_selectorELNS0_4arch9wavefront6targetE1EEEvSH_,"axG",@progbits,_ZN7rocprim17ROCPRIM_400000_NS6detail17trampoline_kernelINS0_14default_configENS1_38merge_sort_block_merge_config_selectorIllEEZZNS1_27merge_sort_block_merge_implIS3_PlN6thrust23THRUST_200600_302600_NS10device_ptrIlEEjNS1_19radix_merge_compareILb0ELb1ElNS0_19identity_decomposerEEEEE10hipError_tT0_T1_T2_jT3_P12ihipStream_tbPNSt15iterator_traitsISG_E10value_typeEPNSM_ISH_E10value_typeEPSI_NS1_7vsmem_tEENKUlT_SG_SH_SI_E_clIS7_S7_SB_S7_EESF_SV_SG_SH_SI_EUlSV_E1_NS1_11comp_targetILNS1_3genE4ELNS1_11target_archE910ELNS1_3gpuE8ELNS1_3repE0EEENS1_36merge_oddeven_config_static_selectorELNS0_4arch9wavefront6targetE1EEEvSH_,comdat
	.protected	_ZN7rocprim17ROCPRIM_400000_NS6detail17trampoline_kernelINS0_14default_configENS1_38merge_sort_block_merge_config_selectorIllEEZZNS1_27merge_sort_block_merge_implIS3_PlN6thrust23THRUST_200600_302600_NS10device_ptrIlEEjNS1_19radix_merge_compareILb0ELb1ElNS0_19identity_decomposerEEEEE10hipError_tT0_T1_T2_jT3_P12ihipStream_tbPNSt15iterator_traitsISG_E10value_typeEPNSM_ISH_E10value_typeEPSI_NS1_7vsmem_tEENKUlT_SG_SH_SI_E_clIS7_S7_SB_S7_EESF_SV_SG_SH_SI_EUlSV_E1_NS1_11comp_targetILNS1_3genE4ELNS1_11target_archE910ELNS1_3gpuE8ELNS1_3repE0EEENS1_36merge_oddeven_config_static_selectorELNS0_4arch9wavefront6targetE1EEEvSH_ ; -- Begin function _ZN7rocprim17ROCPRIM_400000_NS6detail17trampoline_kernelINS0_14default_configENS1_38merge_sort_block_merge_config_selectorIllEEZZNS1_27merge_sort_block_merge_implIS3_PlN6thrust23THRUST_200600_302600_NS10device_ptrIlEEjNS1_19radix_merge_compareILb0ELb1ElNS0_19identity_decomposerEEEEE10hipError_tT0_T1_T2_jT3_P12ihipStream_tbPNSt15iterator_traitsISG_E10value_typeEPNSM_ISH_E10value_typeEPSI_NS1_7vsmem_tEENKUlT_SG_SH_SI_E_clIS7_S7_SB_S7_EESF_SV_SG_SH_SI_EUlSV_E1_NS1_11comp_targetILNS1_3genE4ELNS1_11target_archE910ELNS1_3gpuE8ELNS1_3repE0EEENS1_36merge_oddeven_config_static_selectorELNS0_4arch9wavefront6targetE1EEEvSH_
	.globl	_ZN7rocprim17ROCPRIM_400000_NS6detail17trampoline_kernelINS0_14default_configENS1_38merge_sort_block_merge_config_selectorIllEEZZNS1_27merge_sort_block_merge_implIS3_PlN6thrust23THRUST_200600_302600_NS10device_ptrIlEEjNS1_19radix_merge_compareILb0ELb1ElNS0_19identity_decomposerEEEEE10hipError_tT0_T1_T2_jT3_P12ihipStream_tbPNSt15iterator_traitsISG_E10value_typeEPNSM_ISH_E10value_typeEPSI_NS1_7vsmem_tEENKUlT_SG_SH_SI_E_clIS7_S7_SB_S7_EESF_SV_SG_SH_SI_EUlSV_E1_NS1_11comp_targetILNS1_3genE4ELNS1_11target_archE910ELNS1_3gpuE8ELNS1_3repE0EEENS1_36merge_oddeven_config_static_selectorELNS0_4arch9wavefront6targetE1EEEvSH_
	.p2align	8
	.type	_ZN7rocprim17ROCPRIM_400000_NS6detail17trampoline_kernelINS0_14default_configENS1_38merge_sort_block_merge_config_selectorIllEEZZNS1_27merge_sort_block_merge_implIS3_PlN6thrust23THRUST_200600_302600_NS10device_ptrIlEEjNS1_19radix_merge_compareILb0ELb1ElNS0_19identity_decomposerEEEEE10hipError_tT0_T1_T2_jT3_P12ihipStream_tbPNSt15iterator_traitsISG_E10value_typeEPNSM_ISH_E10value_typeEPSI_NS1_7vsmem_tEENKUlT_SG_SH_SI_E_clIS7_S7_SB_S7_EESF_SV_SG_SH_SI_EUlSV_E1_NS1_11comp_targetILNS1_3genE4ELNS1_11target_archE910ELNS1_3gpuE8ELNS1_3repE0EEENS1_36merge_oddeven_config_static_selectorELNS0_4arch9wavefront6targetE1EEEvSH_,@function
_ZN7rocprim17ROCPRIM_400000_NS6detail17trampoline_kernelINS0_14default_configENS1_38merge_sort_block_merge_config_selectorIllEEZZNS1_27merge_sort_block_merge_implIS3_PlN6thrust23THRUST_200600_302600_NS10device_ptrIlEEjNS1_19radix_merge_compareILb0ELb1ElNS0_19identity_decomposerEEEEE10hipError_tT0_T1_T2_jT3_P12ihipStream_tbPNSt15iterator_traitsISG_E10value_typeEPNSM_ISH_E10value_typeEPSI_NS1_7vsmem_tEENKUlT_SG_SH_SI_E_clIS7_S7_SB_S7_EESF_SV_SG_SH_SI_EUlSV_E1_NS1_11comp_targetILNS1_3genE4ELNS1_11target_archE910ELNS1_3gpuE8ELNS1_3repE0EEENS1_36merge_oddeven_config_static_selectorELNS0_4arch9wavefront6targetE1EEEvSH_: ; @_ZN7rocprim17ROCPRIM_400000_NS6detail17trampoline_kernelINS0_14default_configENS1_38merge_sort_block_merge_config_selectorIllEEZZNS1_27merge_sort_block_merge_implIS3_PlN6thrust23THRUST_200600_302600_NS10device_ptrIlEEjNS1_19radix_merge_compareILb0ELb1ElNS0_19identity_decomposerEEEEE10hipError_tT0_T1_T2_jT3_P12ihipStream_tbPNSt15iterator_traitsISG_E10value_typeEPNSM_ISH_E10value_typeEPSI_NS1_7vsmem_tEENKUlT_SG_SH_SI_E_clIS7_S7_SB_S7_EESF_SV_SG_SH_SI_EUlSV_E1_NS1_11comp_targetILNS1_3genE4ELNS1_11target_archE910ELNS1_3gpuE8ELNS1_3repE0EEENS1_36merge_oddeven_config_static_selectorELNS0_4arch9wavefront6targetE1EEEvSH_
; %bb.0:
	.section	.rodata,"a",@progbits
	.p2align	6, 0x0
	.amdhsa_kernel _ZN7rocprim17ROCPRIM_400000_NS6detail17trampoline_kernelINS0_14default_configENS1_38merge_sort_block_merge_config_selectorIllEEZZNS1_27merge_sort_block_merge_implIS3_PlN6thrust23THRUST_200600_302600_NS10device_ptrIlEEjNS1_19radix_merge_compareILb0ELb1ElNS0_19identity_decomposerEEEEE10hipError_tT0_T1_T2_jT3_P12ihipStream_tbPNSt15iterator_traitsISG_E10value_typeEPNSM_ISH_E10value_typeEPSI_NS1_7vsmem_tEENKUlT_SG_SH_SI_E_clIS7_S7_SB_S7_EESF_SV_SG_SH_SI_EUlSV_E1_NS1_11comp_targetILNS1_3genE4ELNS1_11target_archE910ELNS1_3gpuE8ELNS1_3repE0EEENS1_36merge_oddeven_config_static_selectorELNS0_4arch9wavefront6targetE1EEEvSH_
		.amdhsa_group_segment_fixed_size 0
		.amdhsa_private_segment_fixed_size 0
		.amdhsa_kernarg_size 48
		.amdhsa_user_sgpr_count 6
		.amdhsa_user_sgpr_private_segment_buffer 1
		.amdhsa_user_sgpr_dispatch_ptr 0
		.amdhsa_user_sgpr_queue_ptr 0
		.amdhsa_user_sgpr_kernarg_segment_ptr 1
		.amdhsa_user_sgpr_dispatch_id 0
		.amdhsa_user_sgpr_flat_scratch_init 0
		.amdhsa_user_sgpr_private_segment_size 0
		.amdhsa_uses_dynamic_stack 0
		.amdhsa_system_sgpr_private_segment_wavefront_offset 0
		.amdhsa_system_sgpr_workgroup_id_x 1
		.amdhsa_system_sgpr_workgroup_id_y 0
		.amdhsa_system_sgpr_workgroup_id_z 0
		.amdhsa_system_sgpr_workgroup_info 0
		.amdhsa_system_vgpr_workitem_id 0
		.amdhsa_next_free_vgpr 1
		.amdhsa_next_free_sgpr 0
		.amdhsa_reserve_vcc 0
		.amdhsa_reserve_flat_scratch 0
		.amdhsa_float_round_mode_32 0
		.amdhsa_float_round_mode_16_64 0
		.amdhsa_float_denorm_mode_32 3
		.amdhsa_float_denorm_mode_16_64 3
		.amdhsa_dx10_clamp 1
		.amdhsa_ieee_mode 1
		.amdhsa_fp16_overflow 0
		.amdhsa_exception_fp_ieee_invalid_op 0
		.amdhsa_exception_fp_denorm_src 0
		.amdhsa_exception_fp_ieee_div_zero 0
		.amdhsa_exception_fp_ieee_overflow 0
		.amdhsa_exception_fp_ieee_underflow 0
		.amdhsa_exception_fp_ieee_inexact 0
		.amdhsa_exception_int_div_zero 0
	.end_amdhsa_kernel
	.section	.text._ZN7rocprim17ROCPRIM_400000_NS6detail17trampoline_kernelINS0_14default_configENS1_38merge_sort_block_merge_config_selectorIllEEZZNS1_27merge_sort_block_merge_implIS3_PlN6thrust23THRUST_200600_302600_NS10device_ptrIlEEjNS1_19radix_merge_compareILb0ELb1ElNS0_19identity_decomposerEEEEE10hipError_tT0_T1_T2_jT3_P12ihipStream_tbPNSt15iterator_traitsISG_E10value_typeEPNSM_ISH_E10value_typeEPSI_NS1_7vsmem_tEENKUlT_SG_SH_SI_E_clIS7_S7_SB_S7_EESF_SV_SG_SH_SI_EUlSV_E1_NS1_11comp_targetILNS1_3genE4ELNS1_11target_archE910ELNS1_3gpuE8ELNS1_3repE0EEENS1_36merge_oddeven_config_static_selectorELNS0_4arch9wavefront6targetE1EEEvSH_,"axG",@progbits,_ZN7rocprim17ROCPRIM_400000_NS6detail17trampoline_kernelINS0_14default_configENS1_38merge_sort_block_merge_config_selectorIllEEZZNS1_27merge_sort_block_merge_implIS3_PlN6thrust23THRUST_200600_302600_NS10device_ptrIlEEjNS1_19radix_merge_compareILb0ELb1ElNS0_19identity_decomposerEEEEE10hipError_tT0_T1_T2_jT3_P12ihipStream_tbPNSt15iterator_traitsISG_E10value_typeEPNSM_ISH_E10value_typeEPSI_NS1_7vsmem_tEENKUlT_SG_SH_SI_E_clIS7_S7_SB_S7_EESF_SV_SG_SH_SI_EUlSV_E1_NS1_11comp_targetILNS1_3genE4ELNS1_11target_archE910ELNS1_3gpuE8ELNS1_3repE0EEENS1_36merge_oddeven_config_static_selectorELNS0_4arch9wavefront6targetE1EEEvSH_,comdat
.Lfunc_end1109:
	.size	_ZN7rocprim17ROCPRIM_400000_NS6detail17trampoline_kernelINS0_14default_configENS1_38merge_sort_block_merge_config_selectorIllEEZZNS1_27merge_sort_block_merge_implIS3_PlN6thrust23THRUST_200600_302600_NS10device_ptrIlEEjNS1_19radix_merge_compareILb0ELb1ElNS0_19identity_decomposerEEEEE10hipError_tT0_T1_T2_jT3_P12ihipStream_tbPNSt15iterator_traitsISG_E10value_typeEPNSM_ISH_E10value_typeEPSI_NS1_7vsmem_tEENKUlT_SG_SH_SI_E_clIS7_S7_SB_S7_EESF_SV_SG_SH_SI_EUlSV_E1_NS1_11comp_targetILNS1_3genE4ELNS1_11target_archE910ELNS1_3gpuE8ELNS1_3repE0EEENS1_36merge_oddeven_config_static_selectorELNS0_4arch9wavefront6targetE1EEEvSH_, .Lfunc_end1109-_ZN7rocprim17ROCPRIM_400000_NS6detail17trampoline_kernelINS0_14default_configENS1_38merge_sort_block_merge_config_selectorIllEEZZNS1_27merge_sort_block_merge_implIS3_PlN6thrust23THRUST_200600_302600_NS10device_ptrIlEEjNS1_19radix_merge_compareILb0ELb1ElNS0_19identity_decomposerEEEEE10hipError_tT0_T1_T2_jT3_P12ihipStream_tbPNSt15iterator_traitsISG_E10value_typeEPNSM_ISH_E10value_typeEPSI_NS1_7vsmem_tEENKUlT_SG_SH_SI_E_clIS7_S7_SB_S7_EESF_SV_SG_SH_SI_EUlSV_E1_NS1_11comp_targetILNS1_3genE4ELNS1_11target_archE910ELNS1_3gpuE8ELNS1_3repE0EEENS1_36merge_oddeven_config_static_selectorELNS0_4arch9wavefront6targetE1EEEvSH_
                                        ; -- End function
	.set _ZN7rocprim17ROCPRIM_400000_NS6detail17trampoline_kernelINS0_14default_configENS1_38merge_sort_block_merge_config_selectorIllEEZZNS1_27merge_sort_block_merge_implIS3_PlN6thrust23THRUST_200600_302600_NS10device_ptrIlEEjNS1_19radix_merge_compareILb0ELb1ElNS0_19identity_decomposerEEEEE10hipError_tT0_T1_T2_jT3_P12ihipStream_tbPNSt15iterator_traitsISG_E10value_typeEPNSM_ISH_E10value_typeEPSI_NS1_7vsmem_tEENKUlT_SG_SH_SI_E_clIS7_S7_SB_S7_EESF_SV_SG_SH_SI_EUlSV_E1_NS1_11comp_targetILNS1_3genE4ELNS1_11target_archE910ELNS1_3gpuE8ELNS1_3repE0EEENS1_36merge_oddeven_config_static_selectorELNS0_4arch9wavefront6targetE1EEEvSH_.num_vgpr, 0
	.set _ZN7rocprim17ROCPRIM_400000_NS6detail17trampoline_kernelINS0_14default_configENS1_38merge_sort_block_merge_config_selectorIllEEZZNS1_27merge_sort_block_merge_implIS3_PlN6thrust23THRUST_200600_302600_NS10device_ptrIlEEjNS1_19radix_merge_compareILb0ELb1ElNS0_19identity_decomposerEEEEE10hipError_tT0_T1_T2_jT3_P12ihipStream_tbPNSt15iterator_traitsISG_E10value_typeEPNSM_ISH_E10value_typeEPSI_NS1_7vsmem_tEENKUlT_SG_SH_SI_E_clIS7_S7_SB_S7_EESF_SV_SG_SH_SI_EUlSV_E1_NS1_11comp_targetILNS1_3genE4ELNS1_11target_archE910ELNS1_3gpuE8ELNS1_3repE0EEENS1_36merge_oddeven_config_static_selectorELNS0_4arch9wavefront6targetE1EEEvSH_.num_agpr, 0
	.set _ZN7rocprim17ROCPRIM_400000_NS6detail17trampoline_kernelINS0_14default_configENS1_38merge_sort_block_merge_config_selectorIllEEZZNS1_27merge_sort_block_merge_implIS3_PlN6thrust23THRUST_200600_302600_NS10device_ptrIlEEjNS1_19radix_merge_compareILb0ELb1ElNS0_19identity_decomposerEEEEE10hipError_tT0_T1_T2_jT3_P12ihipStream_tbPNSt15iterator_traitsISG_E10value_typeEPNSM_ISH_E10value_typeEPSI_NS1_7vsmem_tEENKUlT_SG_SH_SI_E_clIS7_S7_SB_S7_EESF_SV_SG_SH_SI_EUlSV_E1_NS1_11comp_targetILNS1_3genE4ELNS1_11target_archE910ELNS1_3gpuE8ELNS1_3repE0EEENS1_36merge_oddeven_config_static_selectorELNS0_4arch9wavefront6targetE1EEEvSH_.numbered_sgpr, 0
	.set _ZN7rocprim17ROCPRIM_400000_NS6detail17trampoline_kernelINS0_14default_configENS1_38merge_sort_block_merge_config_selectorIllEEZZNS1_27merge_sort_block_merge_implIS3_PlN6thrust23THRUST_200600_302600_NS10device_ptrIlEEjNS1_19radix_merge_compareILb0ELb1ElNS0_19identity_decomposerEEEEE10hipError_tT0_T1_T2_jT3_P12ihipStream_tbPNSt15iterator_traitsISG_E10value_typeEPNSM_ISH_E10value_typeEPSI_NS1_7vsmem_tEENKUlT_SG_SH_SI_E_clIS7_S7_SB_S7_EESF_SV_SG_SH_SI_EUlSV_E1_NS1_11comp_targetILNS1_3genE4ELNS1_11target_archE910ELNS1_3gpuE8ELNS1_3repE0EEENS1_36merge_oddeven_config_static_selectorELNS0_4arch9wavefront6targetE1EEEvSH_.num_named_barrier, 0
	.set _ZN7rocprim17ROCPRIM_400000_NS6detail17trampoline_kernelINS0_14default_configENS1_38merge_sort_block_merge_config_selectorIllEEZZNS1_27merge_sort_block_merge_implIS3_PlN6thrust23THRUST_200600_302600_NS10device_ptrIlEEjNS1_19radix_merge_compareILb0ELb1ElNS0_19identity_decomposerEEEEE10hipError_tT0_T1_T2_jT3_P12ihipStream_tbPNSt15iterator_traitsISG_E10value_typeEPNSM_ISH_E10value_typeEPSI_NS1_7vsmem_tEENKUlT_SG_SH_SI_E_clIS7_S7_SB_S7_EESF_SV_SG_SH_SI_EUlSV_E1_NS1_11comp_targetILNS1_3genE4ELNS1_11target_archE910ELNS1_3gpuE8ELNS1_3repE0EEENS1_36merge_oddeven_config_static_selectorELNS0_4arch9wavefront6targetE1EEEvSH_.private_seg_size, 0
	.set _ZN7rocprim17ROCPRIM_400000_NS6detail17trampoline_kernelINS0_14default_configENS1_38merge_sort_block_merge_config_selectorIllEEZZNS1_27merge_sort_block_merge_implIS3_PlN6thrust23THRUST_200600_302600_NS10device_ptrIlEEjNS1_19radix_merge_compareILb0ELb1ElNS0_19identity_decomposerEEEEE10hipError_tT0_T1_T2_jT3_P12ihipStream_tbPNSt15iterator_traitsISG_E10value_typeEPNSM_ISH_E10value_typeEPSI_NS1_7vsmem_tEENKUlT_SG_SH_SI_E_clIS7_S7_SB_S7_EESF_SV_SG_SH_SI_EUlSV_E1_NS1_11comp_targetILNS1_3genE4ELNS1_11target_archE910ELNS1_3gpuE8ELNS1_3repE0EEENS1_36merge_oddeven_config_static_selectorELNS0_4arch9wavefront6targetE1EEEvSH_.uses_vcc, 0
	.set _ZN7rocprim17ROCPRIM_400000_NS6detail17trampoline_kernelINS0_14default_configENS1_38merge_sort_block_merge_config_selectorIllEEZZNS1_27merge_sort_block_merge_implIS3_PlN6thrust23THRUST_200600_302600_NS10device_ptrIlEEjNS1_19radix_merge_compareILb0ELb1ElNS0_19identity_decomposerEEEEE10hipError_tT0_T1_T2_jT3_P12ihipStream_tbPNSt15iterator_traitsISG_E10value_typeEPNSM_ISH_E10value_typeEPSI_NS1_7vsmem_tEENKUlT_SG_SH_SI_E_clIS7_S7_SB_S7_EESF_SV_SG_SH_SI_EUlSV_E1_NS1_11comp_targetILNS1_3genE4ELNS1_11target_archE910ELNS1_3gpuE8ELNS1_3repE0EEENS1_36merge_oddeven_config_static_selectorELNS0_4arch9wavefront6targetE1EEEvSH_.uses_flat_scratch, 0
	.set _ZN7rocprim17ROCPRIM_400000_NS6detail17trampoline_kernelINS0_14default_configENS1_38merge_sort_block_merge_config_selectorIllEEZZNS1_27merge_sort_block_merge_implIS3_PlN6thrust23THRUST_200600_302600_NS10device_ptrIlEEjNS1_19radix_merge_compareILb0ELb1ElNS0_19identity_decomposerEEEEE10hipError_tT0_T1_T2_jT3_P12ihipStream_tbPNSt15iterator_traitsISG_E10value_typeEPNSM_ISH_E10value_typeEPSI_NS1_7vsmem_tEENKUlT_SG_SH_SI_E_clIS7_S7_SB_S7_EESF_SV_SG_SH_SI_EUlSV_E1_NS1_11comp_targetILNS1_3genE4ELNS1_11target_archE910ELNS1_3gpuE8ELNS1_3repE0EEENS1_36merge_oddeven_config_static_selectorELNS0_4arch9wavefront6targetE1EEEvSH_.has_dyn_sized_stack, 0
	.set _ZN7rocprim17ROCPRIM_400000_NS6detail17trampoline_kernelINS0_14default_configENS1_38merge_sort_block_merge_config_selectorIllEEZZNS1_27merge_sort_block_merge_implIS3_PlN6thrust23THRUST_200600_302600_NS10device_ptrIlEEjNS1_19radix_merge_compareILb0ELb1ElNS0_19identity_decomposerEEEEE10hipError_tT0_T1_T2_jT3_P12ihipStream_tbPNSt15iterator_traitsISG_E10value_typeEPNSM_ISH_E10value_typeEPSI_NS1_7vsmem_tEENKUlT_SG_SH_SI_E_clIS7_S7_SB_S7_EESF_SV_SG_SH_SI_EUlSV_E1_NS1_11comp_targetILNS1_3genE4ELNS1_11target_archE910ELNS1_3gpuE8ELNS1_3repE0EEENS1_36merge_oddeven_config_static_selectorELNS0_4arch9wavefront6targetE1EEEvSH_.has_recursion, 0
	.set _ZN7rocprim17ROCPRIM_400000_NS6detail17trampoline_kernelINS0_14default_configENS1_38merge_sort_block_merge_config_selectorIllEEZZNS1_27merge_sort_block_merge_implIS3_PlN6thrust23THRUST_200600_302600_NS10device_ptrIlEEjNS1_19radix_merge_compareILb0ELb1ElNS0_19identity_decomposerEEEEE10hipError_tT0_T1_T2_jT3_P12ihipStream_tbPNSt15iterator_traitsISG_E10value_typeEPNSM_ISH_E10value_typeEPSI_NS1_7vsmem_tEENKUlT_SG_SH_SI_E_clIS7_S7_SB_S7_EESF_SV_SG_SH_SI_EUlSV_E1_NS1_11comp_targetILNS1_3genE4ELNS1_11target_archE910ELNS1_3gpuE8ELNS1_3repE0EEENS1_36merge_oddeven_config_static_selectorELNS0_4arch9wavefront6targetE1EEEvSH_.has_indirect_call, 0
	.section	.AMDGPU.csdata,"",@progbits
; Kernel info:
; codeLenInByte = 0
; TotalNumSgprs: 4
; NumVgprs: 0
; ScratchSize: 0
; MemoryBound: 0
; FloatMode: 240
; IeeeMode: 1
; LDSByteSize: 0 bytes/workgroup (compile time only)
; SGPRBlocks: 0
; VGPRBlocks: 0
; NumSGPRsForWavesPerEU: 4
; NumVGPRsForWavesPerEU: 1
; Occupancy: 10
; WaveLimiterHint : 0
; COMPUTE_PGM_RSRC2:SCRATCH_EN: 0
; COMPUTE_PGM_RSRC2:USER_SGPR: 6
; COMPUTE_PGM_RSRC2:TRAP_HANDLER: 0
; COMPUTE_PGM_RSRC2:TGID_X_EN: 1
; COMPUTE_PGM_RSRC2:TGID_Y_EN: 0
; COMPUTE_PGM_RSRC2:TGID_Z_EN: 0
; COMPUTE_PGM_RSRC2:TIDIG_COMP_CNT: 0
	.section	.text._ZN7rocprim17ROCPRIM_400000_NS6detail17trampoline_kernelINS0_14default_configENS1_38merge_sort_block_merge_config_selectorIllEEZZNS1_27merge_sort_block_merge_implIS3_PlN6thrust23THRUST_200600_302600_NS10device_ptrIlEEjNS1_19radix_merge_compareILb0ELb1ElNS0_19identity_decomposerEEEEE10hipError_tT0_T1_T2_jT3_P12ihipStream_tbPNSt15iterator_traitsISG_E10value_typeEPNSM_ISH_E10value_typeEPSI_NS1_7vsmem_tEENKUlT_SG_SH_SI_E_clIS7_S7_SB_S7_EESF_SV_SG_SH_SI_EUlSV_E1_NS1_11comp_targetILNS1_3genE3ELNS1_11target_archE908ELNS1_3gpuE7ELNS1_3repE0EEENS1_36merge_oddeven_config_static_selectorELNS0_4arch9wavefront6targetE1EEEvSH_,"axG",@progbits,_ZN7rocprim17ROCPRIM_400000_NS6detail17trampoline_kernelINS0_14default_configENS1_38merge_sort_block_merge_config_selectorIllEEZZNS1_27merge_sort_block_merge_implIS3_PlN6thrust23THRUST_200600_302600_NS10device_ptrIlEEjNS1_19radix_merge_compareILb0ELb1ElNS0_19identity_decomposerEEEEE10hipError_tT0_T1_T2_jT3_P12ihipStream_tbPNSt15iterator_traitsISG_E10value_typeEPNSM_ISH_E10value_typeEPSI_NS1_7vsmem_tEENKUlT_SG_SH_SI_E_clIS7_S7_SB_S7_EESF_SV_SG_SH_SI_EUlSV_E1_NS1_11comp_targetILNS1_3genE3ELNS1_11target_archE908ELNS1_3gpuE7ELNS1_3repE0EEENS1_36merge_oddeven_config_static_selectorELNS0_4arch9wavefront6targetE1EEEvSH_,comdat
	.protected	_ZN7rocprim17ROCPRIM_400000_NS6detail17trampoline_kernelINS0_14default_configENS1_38merge_sort_block_merge_config_selectorIllEEZZNS1_27merge_sort_block_merge_implIS3_PlN6thrust23THRUST_200600_302600_NS10device_ptrIlEEjNS1_19radix_merge_compareILb0ELb1ElNS0_19identity_decomposerEEEEE10hipError_tT0_T1_T2_jT3_P12ihipStream_tbPNSt15iterator_traitsISG_E10value_typeEPNSM_ISH_E10value_typeEPSI_NS1_7vsmem_tEENKUlT_SG_SH_SI_E_clIS7_S7_SB_S7_EESF_SV_SG_SH_SI_EUlSV_E1_NS1_11comp_targetILNS1_3genE3ELNS1_11target_archE908ELNS1_3gpuE7ELNS1_3repE0EEENS1_36merge_oddeven_config_static_selectorELNS0_4arch9wavefront6targetE1EEEvSH_ ; -- Begin function _ZN7rocprim17ROCPRIM_400000_NS6detail17trampoline_kernelINS0_14default_configENS1_38merge_sort_block_merge_config_selectorIllEEZZNS1_27merge_sort_block_merge_implIS3_PlN6thrust23THRUST_200600_302600_NS10device_ptrIlEEjNS1_19radix_merge_compareILb0ELb1ElNS0_19identity_decomposerEEEEE10hipError_tT0_T1_T2_jT3_P12ihipStream_tbPNSt15iterator_traitsISG_E10value_typeEPNSM_ISH_E10value_typeEPSI_NS1_7vsmem_tEENKUlT_SG_SH_SI_E_clIS7_S7_SB_S7_EESF_SV_SG_SH_SI_EUlSV_E1_NS1_11comp_targetILNS1_3genE3ELNS1_11target_archE908ELNS1_3gpuE7ELNS1_3repE0EEENS1_36merge_oddeven_config_static_selectorELNS0_4arch9wavefront6targetE1EEEvSH_
	.globl	_ZN7rocprim17ROCPRIM_400000_NS6detail17trampoline_kernelINS0_14default_configENS1_38merge_sort_block_merge_config_selectorIllEEZZNS1_27merge_sort_block_merge_implIS3_PlN6thrust23THRUST_200600_302600_NS10device_ptrIlEEjNS1_19radix_merge_compareILb0ELb1ElNS0_19identity_decomposerEEEEE10hipError_tT0_T1_T2_jT3_P12ihipStream_tbPNSt15iterator_traitsISG_E10value_typeEPNSM_ISH_E10value_typeEPSI_NS1_7vsmem_tEENKUlT_SG_SH_SI_E_clIS7_S7_SB_S7_EESF_SV_SG_SH_SI_EUlSV_E1_NS1_11comp_targetILNS1_3genE3ELNS1_11target_archE908ELNS1_3gpuE7ELNS1_3repE0EEENS1_36merge_oddeven_config_static_selectorELNS0_4arch9wavefront6targetE1EEEvSH_
	.p2align	8
	.type	_ZN7rocprim17ROCPRIM_400000_NS6detail17trampoline_kernelINS0_14default_configENS1_38merge_sort_block_merge_config_selectorIllEEZZNS1_27merge_sort_block_merge_implIS3_PlN6thrust23THRUST_200600_302600_NS10device_ptrIlEEjNS1_19radix_merge_compareILb0ELb1ElNS0_19identity_decomposerEEEEE10hipError_tT0_T1_T2_jT3_P12ihipStream_tbPNSt15iterator_traitsISG_E10value_typeEPNSM_ISH_E10value_typeEPSI_NS1_7vsmem_tEENKUlT_SG_SH_SI_E_clIS7_S7_SB_S7_EESF_SV_SG_SH_SI_EUlSV_E1_NS1_11comp_targetILNS1_3genE3ELNS1_11target_archE908ELNS1_3gpuE7ELNS1_3repE0EEENS1_36merge_oddeven_config_static_selectorELNS0_4arch9wavefront6targetE1EEEvSH_,@function
_ZN7rocprim17ROCPRIM_400000_NS6detail17trampoline_kernelINS0_14default_configENS1_38merge_sort_block_merge_config_selectorIllEEZZNS1_27merge_sort_block_merge_implIS3_PlN6thrust23THRUST_200600_302600_NS10device_ptrIlEEjNS1_19radix_merge_compareILb0ELb1ElNS0_19identity_decomposerEEEEE10hipError_tT0_T1_T2_jT3_P12ihipStream_tbPNSt15iterator_traitsISG_E10value_typeEPNSM_ISH_E10value_typeEPSI_NS1_7vsmem_tEENKUlT_SG_SH_SI_E_clIS7_S7_SB_S7_EESF_SV_SG_SH_SI_EUlSV_E1_NS1_11comp_targetILNS1_3genE3ELNS1_11target_archE908ELNS1_3gpuE7ELNS1_3repE0EEENS1_36merge_oddeven_config_static_selectorELNS0_4arch9wavefront6targetE1EEEvSH_: ; @_ZN7rocprim17ROCPRIM_400000_NS6detail17trampoline_kernelINS0_14default_configENS1_38merge_sort_block_merge_config_selectorIllEEZZNS1_27merge_sort_block_merge_implIS3_PlN6thrust23THRUST_200600_302600_NS10device_ptrIlEEjNS1_19radix_merge_compareILb0ELb1ElNS0_19identity_decomposerEEEEE10hipError_tT0_T1_T2_jT3_P12ihipStream_tbPNSt15iterator_traitsISG_E10value_typeEPNSM_ISH_E10value_typeEPSI_NS1_7vsmem_tEENKUlT_SG_SH_SI_E_clIS7_S7_SB_S7_EESF_SV_SG_SH_SI_EUlSV_E1_NS1_11comp_targetILNS1_3genE3ELNS1_11target_archE908ELNS1_3gpuE7ELNS1_3repE0EEENS1_36merge_oddeven_config_static_selectorELNS0_4arch9wavefront6targetE1EEEvSH_
; %bb.0:
	.section	.rodata,"a",@progbits
	.p2align	6, 0x0
	.amdhsa_kernel _ZN7rocprim17ROCPRIM_400000_NS6detail17trampoline_kernelINS0_14default_configENS1_38merge_sort_block_merge_config_selectorIllEEZZNS1_27merge_sort_block_merge_implIS3_PlN6thrust23THRUST_200600_302600_NS10device_ptrIlEEjNS1_19radix_merge_compareILb0ELb1ElNS0_19identity_decomposerEEEEE10hipError_tT0_T1_T2_jT3_P12ihipStream_tbPNSt15iterator_traitsISG_E10value_typeEPNSM_ISH_E10value_typeEPSI_NS1_7vsmem_tEENKUlT_SG_SH_SI_E_clIS7_S7_SB_S7_EESF_SV_SG_SH_SI_EUlSV_E1_NS1_11comp_targetILNS1_3genE3ELNS1_11target_archE908ELNS1_3gpuE7ELNS1_3repE0EEENS1_36merge_oddeven_config_static_selectorELNS0_4arch9wavefront6targetE1EEEvSH_
		.amdhsa_group_segment_fixed_size 0
		.amdhsa_private_segment_fixed_size 0
		.amdhsa_kernarg_size 48
		.amdhsa_user_sgpr_count 6
		.amdhsa_user_sgpr_private_segment_buffer 1
		.amdhsa_user_sgpr_dispatch_ptr 0
		.amdhsa_user_sgpr_queue_ptr 0
		.amdhsa_user_sgpr_kernarg_segment_ptr 1
		.amdhsa_user_sgpr_dispatch_id 0
		.amdhsa_user_sgpr_flat_scratch_init 0
		.amdhsa_user_sgpr_private_segment_size 0
		.amdhsa_uses_dynamic_stack 0
		.amdhsa_system_sgpr_private_segment_wavefront_offset 0
		.amdhsa_system_sgpr_workgroup_id_x 1
		.amdhsa_system_sgpr_workgroup_id_y 0
		.amdhsa_system_sgpr_workgroup_id_z 0
		.amdhsa_system_sgpr_workgroup_info 0
		.amdhsa_system_vgpr_workitem_id 0
		.amdhsa_next_free_vgpr 1
		.amdhsa_next_free_sgpr 0
		.amdhsa_reserve_vcc 0
		.amdhsa_reserve_flat_scratch 0
		.amdhsa_float_round_mode_32 0
		.amdhsa_float_round_mode_16_64 0
		.amdhsa_float_denorm_mode_32 3
		.amdhsa_float_denorm_mode_16_64 3
		.amdhsa_dx10_clamp 1
		.amdhsa_ieee_mode 1
		.amdhsa_fp16_overflow 0
		.amdhsa_exception_fp_ieee_invalid_op 0
		.amdhsa_exception_fp_denorm_src 0
		.amdhsa_exception_fp_ieee_div_zero 0
		.amdhsa_exception_fp_ieee_overflow 0
		.amdhsa_exception_fp_ieee_underflow 0
		.amdhsa_exception_fp_ieee_inexact 0
		.amdhsa_exception_int_div_zero 0
	.end_amdhsa_kernel
	.section	.text._ZN7rocprim17ROCPRIM_400000_NS6detail17trampoline_kernelINS0_14default_configENS1_38merge_sort_block_merge_config_selectorIllEEZZNS1_27merge_sort_block_merge_implIS3_PlN6thrust23THRUST_200600_302600_NS10device_ptrIlEEjNS1_19radix_merge_compareILb0ELb1ElNS0_19identity_decomposerEEEEE10hipError_tT0_T1_T2_jT3_P12ihipStream_tbPNSt15iterator_traitsISG_E10value_typeEPNSM_ISH_E10value_typeEPSI_NS1_7vsmem_tEENKUlT_SG_SH_SI_E_clIS7_S7_SB_S7_EESF_SV_SG_SH_SI_EUlSV_E1_NS1_11comp_targetILNS1_3genE3ELNS1_11target_archE908ELNS1_3gpuE7ELNS1_3repE0EEENS1_36merge_oddeven_config_static_selectorELNS0_4arch9wavefront6targetE1EEEvSH_,"axG",@progbits,_ZN7rocprim17ROCPRIM_400000_NS6detail17trampoline_kernelINS0_14default_configENS1_38merge_sort_block_merge_config_selectorIllEEZZNS1_27merge_sort_block_merge_implIS3_PlN6thrust23THRUST_200600_302600_NS10device_ptrIlEEjNS1_19radix_merge_compareILb0ELb1ElNS0_19identity_decomposerEEEEE10hipError_tT0_T1_T2_jT3_P12ihipStream_tbPNSt15iterator_traitsISG_E10value_typeEPNSM_ISH_E10value_typeEPSI_NS1_7vsmem_tEENKUlT_SG_SH_SI_E_clIS7_S7_SB_S7_EESF_SV_SG_SH_SI_EUlSV_E1_NS1_11comp_targetILNS1_3genE3ELNS1_11target_archE908ELNS1_3gpuE7ELNS1_3repE0EEENS1_36merge_oddeven_config_static_selectorELNS0_4arch9wavefront6targetE1EEEvSH_,comdat
.Lfunc_end1110:
	.size	_ZN7rocprim17ROCPRIM_400000_NS6detail17trampoline_kernelINS0_14default_configENS1_38merge_sort_block_merge_config_selectorIllEEZZNS1_27merge_sort_block_merge_implIS3_PlN6thrust23THRUST_200600_302600_NS10device_ptrIlEEjNS1_19radix_merge_compareILb0ELb1ElNS0_19identity_decomposerEEEEE10hipError_tT0_T1_T2_jT3_P12ihipStream_tbPNSt15iterator_traitsISG_E10value_typeEPNSM_ISH_E10value_typeEPSI_NS1_7vsmem_tEENKUlT_SG_SH_SI_E_clIS7_S7_SB_S7_EESF_SV_SG_SH_SI_EUlSV_E1_NS1_11comp_targetILNS1_3genE3ELNS1_11target_archE908ELNS1_3gpuE7ELNS1_3repE0EEENS1_36merge_oddeven_config_static_selectorELNS0_4arch9wavefront6targetE1EEEvSH_, .Lfunc_end1110-_ZN7rocprim17ROCPRIM_400000_NS6detail17trampoline_kernelINS0_14default_configENS1_38merge_sort_block_merge_config_selectorIllEEZZNS1_27merge_sort_block_merge_implIS3_PlN6thrust23THRUST_200600_302600_NS10device_ptrIlEEjNS1_19radix_merge_compareILb0ELb1ElNS0_19identity_decomposerEEEEE10hipError_tT0_T1_T2_jT3_P12ihipStream_tbPNSt15iterator_traitsISG_E10value_typeEPNSM_ISH_E10value_typeEPSI_NS1_7vsmem_tEENKUlT_SG_SH_SI_E_clIS7_S7_SB_S7_EESF_SV_SG_SH_SI_EUlSV_E1_NS1_11comp_targetILNS1_3genE3ELNS1_11target_archE908ELNS1_3gpuE7ELNS1_3repE0EEENS1_36merge_oddeven_config_static_selectorELNS0_4arch9wavefront6targetE1EEEvSH_
                                        ; -- End function
	.set _ZN7rocprim17ROCPRIM_400000_NS6detail17trampoline_kernelINS0_14default_configENS1_38merge_sort_block_merge_config_selectorIllEEZZNS1_27merge_sort_block_merge_implIS3_PlN6thrust23THRUST_200600_302600_NS10device_ptrIlEEjNS1_19radix_merge_compareILb0ELb1ElNS0_19identity_decomposerEEEEE10hipError_tT0_T1_T2_jT3_P12ihipStream_tbPNSt15iterator_traitsISG_E10value_typeEPNSM_ISH_E10value_typeEPSI_NS1_7vsmem_tEENKUlT_SG_SH_SI_E_clIS7_S7_SB_S7_EESF_SV_SG_SH_SI_EUlSV_E1_NS1_11comp_targetILNS1_3genE3ELNS1_11target_archE908ELNS1_3gpuE7ELNS1_3repE0EEENS1_36merge_oddeven_config_static_selectorELNS0_4arch9wavefront6targetE1EEEvSH_.num_vgpr, 0
	.set _ZN7rocprim17ROCPRIM_400000_NS6detail17trampoline_kernelINS0_14default_configENS1_38merge_sort_block_merge_config_selectorIllEEZZNS1_27merge_sort_block_merge_implIS3_PlN6thrust23THRUST_200600_302600_NS10device_ptrIlEEjNS1_19radix_merge_compareILb0ELb1ElNS0_19identity_decomposerEEEEE10hipError_tT0_T1_T2_jT3_P12ihipStream_tbPNSt15iterator_traitsISG_E10value_typeEPNSM_ISH_E10value_typeEPSI_NS1_7vsmem_tEENKUlT_SG_SH_SI_E_clIS7_S7_SB_S7_EESF_SV_SG_SH_SI_EUlSV_E1_NS1_11comp_targetILNS1_3genE3ELNS1_11target_archE908ELNS1_3gpuE7ELNS1_3repE0EEENS1_36merge_oddeven_config_static_selectorELNS0_4arch9wavefront6targetE1EEEvSH_.num_agpr, 0
	.set _ZN7rocprim17ROCPRIM_400000_NS6detail17trampoline_kernelINS0_14default_configENS1_38merge_sort_block_merge_config_selectorIllEEZZNS1_27merge_sort_block_merge_implIS3_PlN6thrust23THRUST_200600_302600_NS10device_ptrIlEEjNS1_19radix_merge_compareILb0ELb1ElNS0_19identity_decomposerEEEEE10hipError_tT0_T1_T2_jT3_P12ihipStream_tbPNSt15iterator_traitsISG_E10value_typeEPNSM_ISH_E10value_typeEPSI_NS1_7vsmem_tEENKUlT_SG_SH_SI_E_clIS7_S7_SB_S7_EESF_SV_SG_SH_SI_EUlSV_E1_NS1_11comp_targetILNS1_3genE3ELNS1_11target_archE908ELNS1_3gpuE7ELNS1_3repE0EEENS1_36merge_oddeven_config_static_selectorELNS0_4arch9wavefront6targetE1EEEvSH_.numbered_sgpr, 0
	.set _ZN7rocprim17ROCPRIM_400000_NS6detail17trampoline_kernelINS0_14default_configENS1_38merge_sort_block_merge_config_selectorIllEEZZNS1_27merge_sort_block_merge_implIS3_PlN6thrust23THRUST_200600_302600_NS10device_ptrIlEEjNS1_19radix_merge_compareILb0ELb1ElNS0_19identity_decomposerEEEEE10hipError_tT0_T1_T2_jT3_P12ihipStream_tbPNSt15iterator_traitsISG_E10value_typeEPNSM_ISH_E10value_typeEPSI_NS1_7vsmem_tEENKUlT_SG_SH_SI_E_clIS7_S7_SB_S7_EESF_SV_SG_SH_SI_EUlSV_E1_NS1_11comp_targetILNS1_3genE3ELNS1_11target_archE908ELNS1_3gpuE7ELNS1_3repE0EEENS1_36merge_oddeven_config_static_selectorELNS0_4arch9wavefront6targetE1EEEvSH_.num_named_barrier, 0
	.set _ZN7rocprim17ROCPRIM_400000_NS6detail17trampoline_kernelINS0_14default_configENS1_38merge_sort_block_merge_config_selectorIllEEZZNS1_27merge_sort_block_merge_implIS3_PlN6thrust23THRUST_200600_302600_NS10device_ptrIlEEjNS1_19radix_merge_compareILb0ELb1ElNS0_19identity_decomposerEEEEE10hipError_tT0_T1_T2_jT3_P12ihipStream_tbPNSt15iterator_traitsISG_E10value_typeEPNSM_ISH_E10value_typeEPSI_NS1_7vsmem_tEENKUlT_SG_SH_SI_E_clIS7_S7_SB_S7_EESF_SV_SG_SH_SI_EUlSV_E1_NS1_11comp_targetILNS1_3genE3ELNS1_11target_archE908ELNS1_3gpuE7ELNS1_3repE0EEENS1_36merge_oddeven_config_static_selectorELNS0_4arch9wavefront6targetE1EEEvSH_.private_seg_size, 0
	.set _ZN7rocprim17ROCPRIM_400000_NS6detail17trampoline_kernelINS0_14default_configENS1_38merge_sort_block_merge_config_selectorIllEEZZNS1_27merge_sort_block_merge_implIS3_PlN6thrust23THRUST_200600_302600_NS10device_ptrIlEEjNS1_19radix_merge_compareILb0ELb1ElNS0_19identity_decomposerEEEEE10hipError_tT0_T1_T2_jT3_P12ihipStream_tbPNSt15iterator_traitsISG_E10value_typeEPNSM_ISH_E10value_typeEPSI_NS1_7vsmem_tEENKUlT_SG_SH_SI_E_clIS7_S7_SB_S7_EESF_SV_SG_SH_SI_EUlSV_E1_NS1_11comp_targetILNS1_3genE3ELNS1_11target_archE908ELNS1_3gpuE7ELNS1_3repE0EEENS1_36merge_oddeven_config_static_selectorELNS0_4arch9wavefront6targetE1EEEvSH_.uses_vcc, 0
	.set _ZN7rocprim17ROCPRIM_400000_NS6detail17trampoline_kernelINS0_14default_configENS1_38merge_sort_block_merge_config_selectorIllEEZZNS1_27merge_sort_block_merge_implIS3_PlN6thrust23THRUST_200600_302600_NS10device_ptrIlEEjNS1_19radix_merge_compareILb0ELb1ElNS0_19identity_decomposerEEEEE10hipError_tT0_T1_T2_jT3_P12ihipStream_tbPNSt15iterator_traitsISG_E10value_typeEPNSM_ISH_E10value_typeEPSI_NS1_7vsmem_tEENKUlT_SG_SH_SI_E_clIS7_S7_SB_S7_EESF_SV_SG_SH_SI_EUlSV_E1_NS1_11comp_targetILNS1_3genE3ELNS1_11target_archE908ELNS1_3gpuE7ELNS1_3repE0EEENS1_36merge_oddeven_config_static_selectorELNS0_4arch9wavefront6targetE1EEEvSH_.uses_flat_scratch, 0
	.set _ZN7rocprim17ROCPRIM_400000_NS6detail17trampoline_kernelINS0_14default_configENS1_38merge_sort_block_merge_config_selectorIllEEZZNS1_27merge_sort_block_merge_implIS3_PlN6thrust23THRUST_200600_302600_NS10device_ptrIlEEjNS1_19radix_merge_compareILb0ELb1ElNS0_19identity_decomposerEEEEE10hipError_tT0_T1_T2_jT3_P12ihipStream_tbPNSt15iterator_traitsISG_E10value_typeEPNSM_ISH_E10value_typeEPSI_NS1_7vsmem_tEENKUlT_SG_SH_SI_E_clIS7_S7_SB_S7_EESF_SV_SG_SH_SI_EUlSV_E1_NS1_11comp_targetILNS1_3genE3ELNS1_11target_archE908ELNS1_3gpuE7ELNS1_3repE0EEENS1_36merge_oddeven_config_static_selectorELNS0_4arch9wavefront6targetE1EEEvSH_.has_dyn_sized_stack, 0
	.set _ZN7rocprim17ROCPRIM_400000_NS6detail17trampoline_kernelINS0_14default_configENS1_38merge_sort_block_merge_config_selectorIllEEZZNS1_27merge_sort_block_merge_implIS3_PlN6thrust23THRUST_200600_302600_NS10device_ptrIlEEjNS1_19radix_merge_compareILb0ELb1ElNS0_19identity_decomposerEEEEE10hipError_tT0_T1_T2_jT3_P12ihipStream_tbPNSt15iterator_traitsISG_E10value_typeEPNSM_ISH_E10value_typeEPSI_NS1_7vsmem_tEENKUlT_SG_SH_SI_E_clIS7_S7_SB_S7_EESF_SV_SG_SH_SI_EUlSV_E1_NS1_11comp_targetILNS1_3genE3ELNS1_11target_archE908ELNS1_3gpuE7ELNS1_3repE0EEENS1_36merge_oddeven_config_static_selectorELNS0_4arch9wavefront6targetE1EEEvSH_.has_recursion, 0
	.set _ZN7rocprim17ROCPRIM_400000_NS6detail17trampoline_kernelINS0_14default_configENS1_38merge_sort_block_merge_config_selectorIllEEZZNS1_27merge_sort_block_merge_implIS3_PlN6thrust23THRUST_200600_302600_NS10device_ptrIlEEjNS1_19radix_merge_compareILb0ELb1ElNS0_19identity_decomposerEEEEE10hipError_tT0_T1_T2_jT3_P12ihipStream_tbPNSt15iterator_traitsISG_E10value_typeEPNSM_ISH_E10value_typeEPSI_NS1_7vsmem_tEENKUlT_SG_SH_SI_E_clIS7_S7_SB_S7_EESF_SV_SG_SH_SI_EUlSV_E1_NS1_11comp_targetILNS1_3genE3ELNS1_11target_archE908ELNS1_3gpuE7ELNS1_3repE0EEENS1_36merge_oddeven_config_static_selectorELNS0_4arch9wavefront6targetE1EEEvSH_.has_indirect_call, 0
	.section	.AMDGPU.csdata,"",@progbits
; Kernel info:
; codeLenInByte = 0
; TotalNumSgprs: 4
; NumVgprs: 0
; ScratchSize: 0
; MemoryBound: 0
; FloatMode: 240
; IeeeMode: 1
; LDSByteSize: 0 bytes/workgroup (compile time only)
; SGPRBlocks: 0
; VGPRBlocks: 0
; NumSGPRsForWavesPerEU: 4
; NumVGPRsForWavesPerEU: 1
; Occupancy: 10
; WaveLimiterHint : 0
; COMPUTE_PGM_RSRC2:SCRATCH_EN: 0
; COMPUTE_PGM_RSRC2:USER_SGPR: 6
; COMPUTE_PGM_RSRC2:TRAP_HANDLER: 0
; COMPUTE_PGM_RSRC2:TGID_X_EN: 1
; COMPUTE_PGM_RSRC2:TGID_Y_EN: 0
; COMPUTE_PGM_RSRC2:TGID_Z_EN: 0
; COMPUTE_PGM_RSRC2:TIDIG_COMP_CNT: 0
	.section	.text._ZN7rocprim17ROCPRIM_400000_NS6detail17trampoline_kernelINS0_14default_configENS1_38merge_sort_block_merge_config_selectorIllEEZZNS1_27merge_sort_block_merge_implIS3_PlN6thrust23THRUST_200600_302600_NS10device_ptrIlEEjNS1_19radix_merge_compareILb0ELb1ElNS0_19identity_decomposerEEEEE10hipError_tT0_T1_T2_jT3_P12ihipStream_tbPNSt15iterator_traitsISG_E10value_typeEPNSM_ISH_E10value_typeEPSI_NS1_7vsmem_tEENKUlT_SG_SH_SI_E_clIS7_S7_SB_S7_EESF_SV_SG_SH_SI_EUlSV_E1_NS1_11comp_targetILNS1_3genE2ELNS1_11target_archE906ELNS1_3gpuE6ELNS1_3repE0EEENS1_36merge_oddeven_config_static_selectorELNS0_4arch9wavefront6targetE1EEEvSH_,"axG",@progbits,_ZN7rocprim17ROCPRIM_400000_NS6detail17trampoline_kernelINS0_14default_configENS1_38merge_sort_block_merge_config_selectorIllEEZZNS1_27merge_sort_block_merge_implIS3_PlN6thrust23THRUST_200600_302600_NS10device_ptrIlEEjNS1_19radix_merge_compareILb0ELb1ElNS0_19identity_decomposerEEEEE10hipError_tT0_T1_T2_jT3_P12ihipStream_tbPNSt15iterator_traitsISG_E10value_typeEPNSM_ISH_E10value_typeEPSI_NS1_7vsmem_tEENKUlT_SG_SH_SI_E_clIS7_S7_SB_S7_EESF_SV_SG_SH_SI_EUlSV_E1_NS1_11comp_targetILNS1_3genE2ELNS1_11target_archE906ELNS1_3gpuE6ELNS1_3repE0EEENS1_36merge_oddeven_config_static_selectorELNS0_4arch9wavefront6targetE1EEEvSH_,comdat
	.protected	_ZN7rocprim17ROCPRIM_400000_NS6detail17trampoline_kernelINS0_14default_configENS1_38merge_sort_block_merge_config_selectorIllEEZZNS1_27merge_sort_block_merge_implIS3_PlN6thrust23THRUST_200600_302600_NS10device_ptrIlEEjNS1_19radix_merge_compareILb0ELb1ElNS0_19identity_decomposerEEEEE10hipError_tT0_T1_T2_jT3_P12ihipStream_tbPNSt15iterator_traitsISG_E10value_typeEPNSM_ISH_E10value_typeEPSI_NS1_7vsmem_tEENKUlT_SG_SH_SI_E_clIS7_S7_SB_S7_EESF_SV_SG_SH_SI_EUlSV_E1_NS1_11comp_targetILNS1_3genE2ELNS1_11target_archE906ELNS1_3gpuE6ELNS1_3repE0EEENS1_36merge_oddeven_config_static_selectorELNS0_4arch9wavefront6targetE1EEEvSH_ ; -- Begin function _ZN7rocprim17ROCPRIM_400000_NS6detail17trampoline_kernelINS0_14default_configENS1_38merge_sort_block_merge_config_selectorIllEEZZNS1_27merge_sort_block_merge_implIS3_PlN6thrust23THRUST_200600_302600_NS10device_ptrIlEEjNS1_19radix_merge_compareILb0ELb1ElNS0_19identity_decomposerEEEEE10hipError_tT0_T1_T2_jT3_P12ihipStream_tbPNSt15iterator_traitsISG_E10value_typeEPNSM_ISH_E10value_typeEPSI_NS1_7vsmem_tEENKUlT_SG_SH_SI_E_clIS7_S7_SB_S7_EESF_SV_SG_SH_SI_EUlSV_E1_NS1_11comp_targetILNS1_3genE2ELNS1_11target_archE906ELNS1_3gpuE6ELNS1_3repE0EEENS1_36merge_oddeven_config_static_selectorELNS0_4arch9wavefront6targetE1EEEvSH_
	.globl	_ZN7rocprim17ROCPRIM_400000_NS6detail17trampoline_kernelINS0_14default_configENS1_38merge_sort_block_merge_config_selectorIllEEZZNS1_27merge_sort_block_merge_implIS3_PlN6thrust23THRUST_200600_302600_NS10device_ptrIlEEjNS1_19radix_merge_compareILb0ELb1ElNS0_19identity_decomposerEEEEE10hipError_tT0_T1_T2_jT3_P12ihipStream_tbPNSt15iterator_traitsISG_E10value_typeEPNSM_ISH_E10value_typeEPSI_NS1_7vsmem_tEENKUlT_SG_SH_SI_E_clIS7_S7_SB_S7_EESF_SV_SG_SH_SI_EUlSV_E1_NS1_11comp_targetILNS1_3genE2ELNS1_11target_archE906ELNS1_3gpuE6ELNS1_3repE0EEENS1_36merge_oddeven_config_static_selectorELNS0_4arch9wavefront6targetE1EEEvSH_
	.p2align	8
	.type	_ZN7rocprim17ROCPRIM_400000_NS6detail17trampoline_kernelINS0_14default_configENS1_38merge_sort_block_merge_config_selectorIllEEZZNS1_27merge_sort_block_merge_implIS3_PlN6thrust23THRUST_200600_302600_NS10device_ptrIlEEjNS1_19radix_merge_compareILb0ELb1ElNS0_19identity_decomposerEEEEE10hipError_tT0_T1_T2_jT3_P12ihipStream_tbPNSt15iterator_traitsISG_E10value_typeEPNSM_ISH_E10value_typeEPSI_NS1_7vsmem_tEENKUlT_SG_SH_SI_E_clIS7_S7_SB_S7_EESF_SV_SG_SH_SI_EUlSV_E1_NS1_11comp_targetILNS1_3genE2ELNS1_11target_archE906ELNS1_3gpuE6ELNS1_3repE0EEENS1_36merge_oddeven_config_static_selectorELNS0_4arch9wavefront6targetE1EEEvSH_,@function
_ZN7rocprim17ROCPRIM_400000_NS6detail17trampoline_kernelINS0_14default_configENS1_38merge_sort_block_merge_config_selectorIllEEZZNS1_27merge_sort_block_merge_implIS3_PlN6thrust23THRUST_200600_302600_NS10device_ptrIlEEjNS1_19radix_merge_compareILb0ELb1ElNS0_19identity_decomposerEEEEE10hipError_tT0_T1_T2_jT3_P12ihipStream_tbPNSt15iterator_traitsISG_E10value_typeEPNSM_ISH_E10value_typeEPSI_NS1_7vsmem_tEENKUlT_SG_SH_SI_E_clIS7_S7_SB_S7_EESF_SV_SG_SH_SI_EUlSV_E1_NS1_11comp_targetILNS1_3genE2ELNS1_11target_archE906ELNS1_3gpuE6ELNS1_3repE0EEENS1_36merge_oddeven_config_static_selectorELNS0_4arch9wavefront6targetE1EEEvSH_: ; @_ZN7rocprim17ROCPRIM_400000_NS6detail17trampoline_kernelINS0_14default_configENS1_38merge_sort_block_merge_config_selectorIllEEZZNS1_27merge_sort_block_merge_implIS3_PlN6thrust23THRUST_200600_302600_NS10device_ptrIlEEjNS1_19radix_merge_compareILb0ELb1ElNS0_19identity_decomposerEEEEE10hipError_tT0_T1_T2_jT3_P12ihipStream_tbPNSt15iterator_traitsISG_E10value_typeEPNSM_ISH_E10value_typeEPSI_NS1_7vsmem_tEENKUlT_SG_SH_SI_E_clIS7_S7_SB_S7_EESF_SV_SG_SH_SI_EUlSV_E1_NS1_11comp_targetILNS1_3genE2ELNS1_11target_archE906ELNS1_3gpuE6ELNS1_3repE0EEENS1_36merge_oddeven_config_static_selectorELNS0_4arch9wavefront6targetE1EEEvSH_
; %bb.0:
	s_load_dword s20, s[4:5], 0x20
	s_waitcnt lgkmcnt(0)
	s_lshr_b32 s0, s20, 8
	s_cmp_eq_u32 s6, s0
	s_cselect_b64 s[16:17], -1, 0
	s_cmp_lg_u32 s6, s0
	s_cselect_b64 s[0:1], -1, 0
	s_lshl_b32 s18, s6, 8
	s_sub_i32 s2, s20, s18
	v_cmp_gt_u32_e64 s[2:3], s2, v0
	s_or_b64 s[0:1], s[0:1], s[2:3]
	s_and_saveexec_b64 s[8:9], s[0:1]
	s_cbranch_execz .LBB1111_24
; %bb.1:
	s_load_dwordx8 s[8:15], s[4:5], 0x0
	s_mov_b32 s19, 0
	s_lshl_b64 s[0:1], s[18:19], 3
	v_lshlrev_b32_e32 v5, 3, v0
	s_load_dword s19, s[4:5], 0x24
	s_waitcnt lgkmcnt(0)
	s_add_u32 s22, s8, s0
	s_addc_u32 s23, s9, s1
	s_add_u32 s0, s12, s0
	s_addc_u32 s1, s13, s1
	global_load_dwordx2 v[1:2], v5, s[0:1]
	global_load_dwordx2 v[3:4], v5, s[22:23]
	s_lshr_b32 s0, s19, 8
	s_sub_i32 s1, 0, s0
	s_and_b32 s1, s6, s1
	s_and_b32 s0, s1, s0
	s_lshl_b32 s21, s1, 8
	s_sub_i32 s12, 0, s19
	s_cmp_eq_u32 s0, 0
	s_cselect_b64 s[0:1], -1, 0
	s_and_b64 s[6:7], s[0:1], exec
	s_cselect_b32 s12, s19, s12
	s_add_i32 s12, s12, s21
	s_mov_b64 s[6:7], -1
	s_cmp_gt_u32 s20, s12
	v_add_u32_e32 v5, s18, v0
	s_cbranch_scc1 .LBB1111_9
; %bb.2:
	s_and_b64 vcc, exec, s[16:17]
	s_cbranch_vccz .LBB1111_6
; %bb.3:
	v_cmp_gt_u32_e32 vcc, s20, v5
	s_and_saveexec_b64 s[6:7], vcc
	s_cbranch_execz .LBB1111_5
; %bb.4:
	v_mov_b32_e32 v6, 0
	v_lshlrev_b64 v[6:7], 3, v[5:6]
	v_mov_b32_e32 v0, s11
	v_add_co_u32_e32 v8, vcc, s10, v6
	v_addc_co_u32_e32 v9, vcc, v0, v7, vcc
	v_mov_b32_e32 v0, s15
	v_add_co_u32_e32 v6, vcc, s14, v6
	v_addc_co_u32_e32 v7, vcc, v0, v7, vcc
	s_waitcnt vmcnt(0)
	global_store_dwordx2 v[8:9], v[3:4], off
	global_store_dwordx2 v[6:7], v[1:2], off
.LBB1111_5:
	s_or_b64 exec, exec, s[6:7]
	s_mov_b64 s[6:7], 0
.LBB1111_6:
	s_andn2_b64 vcc, exec, s[6:7]
	s_cbranch_vccnz .LBB1111_8
; %bb.7:
	v_mov_b32_e32 v6, 0
	v_lshlrev_b64 v[6:7], 3, v[5:6]
	v_mov_b32_e32 v0, s11
	v_add_co_u32_e32 v8, vcc, s10, v6
	v_addc_co_u32_e32 v9, vcc, v0, v7, vcc
	v_mov_b32_e32 v0, s15
	v_add_co_u32_e32 v6, vcc, s14, v6
	v_addc_co_u32_e32 v7, vcc, v0, v7, vcc
	s_waitcnt vmcnt(0)
	global_store_dwordx2 v[8:9], v[3:4], off
	global_store_dwordx2 v[6:7], v[1:2], off
.LBB1111_8:
	s_mov_b64 s[6:7], 0
.LBB1111_9:
	s_andn2_b64 vcc, exec, s[6:7]
	s_cbranch_vccnz .LBB1111_24
; %bb.10:
	s_load_dwordx2 s[4:5], s[4:5], 0x28
	s_min_u32 s13, s12, s20
	s_add_i32 s6, s13, s19
	s_min_u32 s18, s6, s20
	s_min_u32 s6, s21, s13
	s_add_i32 s21, s21, s13
	v_subrev_u32_e32 v0, s21, v5
	v_add_u32_e32 v0, s6, v0
	s_waitcnt vmcnt(0) lgkmcnt(0)
	v_and_b32_e32 v6, s5, v4
	v_and_b32_e32 v5, s4, v3
	s_mov_b64 s[6:7], -1
	s_and_b64 vcc, exec, s[16:17]
	s_cbranch_vccz .LBB1111_18
; %bb.11:
	s_and_saveexec_b64 s[6:7], s[2:3]
	s_cbranch_execz .LBB1111_17
; %bb.12:
	s_cmp_ge_u32 s12, s18
	v_mov_b32_e32 v9, s13
	s_cbranch_scc1 .LBB1111_16
; %bb.13:
	s_mov_b64 s[2:3], 0
	v_mov_b32_e32 v10, s18
	v_mov_b32_e32 v9, s13
	;; [unrolled: 1-line block ×4, first 2 shown]
.LBB1111_14:                            ; =>This Inner Loop Header: Depth=1
	v_add_u32_e32 v7, v9, v10
	v_lshrrev_b32_e32 v7, 1, v7
	v_lshlrev_b64 v[12:13], 3, v[7:8]
	v_add_u32_e32 v14, 1, v7
	v_add_co_u32_e32 v12, vcc, s8, v12
	v_addc_co_u32_e32 v13, vcc, v11, v13, vcc
	global_load_dwordx2 v[12:13], v[12:13], off
	s_waitcnt vmcnt(0)
	v_and_b32_e32 v13, s5, v13
	v_and_b32_e32 v12, s4, v12
	v_cmp_gt_i64_e32 vcc, v[5:6], v[12:13]
	v_cndmask_b32_e64 v15, 0, 1, vcc
	v_cmp_le_i64_e32 vcc, v[12:13], v[5:6]
	v_cndmask_b32_e64 v12, 0, 1, vcc
	v_cndmask_b32_e64 v12, v12, v15, s[0:1]
	v_and_b32_e32 v12, 1, v12
	v_cmp_eq_u32_e32 vcc, 1, v12
	v_cndmask_b32_e32 v10, v7, v10, vcc
	v_cndmask_b32_e32 v9, v9, v14, vcc
	v_cmp_ge_u32_e32 vcc, v9, v10
	s_or_b64 s[2:3], vcc, s[2:3]
	s_andn2_b64 exec, exec, s[2:3]
	s_cbranch_execnz .LBB1111_14
; %bb.15:
	s_or_b64 exec, exec, s[2:3]
.LBB1111_16:
	v_add_u32_e32 v7, v9, v0
	v_mov_b32_e32 v8, 0
	v_lshlrev_b64 v[7:8], 3, v[7:8]
	v_mov_b32_e32 v10, s11
	v_add_co_u32_e32 v9, vcc, s10, v7
	v_addc_co_u32_e32 v10, vcc, v10, v8, vcc
	global_store_dwordx2 v[9:10], v[3:4], off
	v_mov_b32_e32 v9, s15
	v_add_co_u32_e32 v7, vcc, s14, v7
	v_addc_co_u32_e32 v8, vcc, v9, v8, vcc
	global_store_dwordx2 v[7:8], v[1:2], off
.LBB1111_17:
	s_or_b64 exec, exec, s[6:7]
	s_mov_b64 s[6:7], 0
.LBB1111_18:
	s_andn2_b64 vcc, exec, s[6:7]
	s_cbranch_vccnz .LBB1111_24
; %bb.19:
	s_cmp_ge_u32 s12, s18
	v_mov_b32_e32 v9, s13
	s_cbranch_scc1 .LBB1111_23
; %bb.20:
	s_mov_b64 s[2:3], 0
	v_mov_b32_e32 v10, s18
	v_mov_b32_e32 v9, s13
	;; [unrolled: 1-line block ×4, first 2 shown]
.LBB1111_21:                            ; =>This Inner Loop Header: Depth=1
	v_add_u32_e32 v7, v9, v10
	v_lshrrev_b32_e32 v7, 1, v7
	v_lshlrev_b64 v[12:13], 3, v[7:8]
	v_add_u32_e32 v14, 1, v7
	v_add_co_u32_e32 v12, vcc, s8, v12
	v_addc_co_u32_e32 v13, vcc, v11, v13, vcc
	global_load_dwordx2 v[12:13], v[12:13], off
	s_waitcnt vmcnt(0)
	v_and_b32_e32 v13, s5, v13
	v_and_b32_e32 v12, s4, v12
	v_cmp_gt_i64_e32 vcc, v[5:6], v[12:13]
	v_cndmask_b32_e64 v15, 0, 1, vcc
	v_cmp_le_i64_e32 vcc, v[12:13], v[5:6]
	v_cndmask_b32_e64 v12, 0, 1, vcc
	v_cndmask_b32_e64 v12, v12, v15, s[0:1]
	v_and_b32_e32 v12, 1, v12
	v_cmp_eq_u32_e32 vcc, 1, v12
	v_cndmask_b32_e32 v10, v7, v10, vcc
	v_cndmask_b32_e32 v9, v9, v14, vcc
	v_cmp_ge_u32_e32 vcc, v9, v10
	s_or_b64 s[2:3], vcc, s[2:3]
	s_andn2_b64 exec, exec, s[2:3]
	s_cbranch_execnz .LBB1111_21
; %bb.22:
	s_or_b64 exec, exec, s[2:3]
.LBB1111_23:
	v_add_u32_e32 v5, v9, v0
	v_mov_b32_e32 v6, 0
	v_lshlrev_b64 v[5:6], 3, v[5:6]
	v_mov_b32_e32 v0, s11
	v_add_co_u32_e32 v7, vcc, s10, v5
	v_addc_co_u32_e32 v8, vcc, v0, v6, vcc
	global_store_dwordx2 v[7:8], v[3:4], off
	v_mov_b32_e32 v0, s15
	v_add_co_u32_e32 v3, vcc, s14, v5
	v_addc_co_u32_e32 v4, vcc, v0, v6, vcc
	global_store_dwordx2 v[3:4], v[1:2], off
.LBB1111_24:
	s_endpgm
	.section	.rodata,"a",@progbits
	.p2align	6, 0x0
	.amdhsa_kernel _ZN7rocprim17ROCPRIM_400000_NS6detail17trampoline_kernelINS0_14default_configENS1_38merge_sort_block_merge_config_selectorIllEEZZNS1_27merge_sort_block_merge_implIS3_PlN6thrust23THRUST_200600_302600_NS10device_ptrIlEEjNS1_19radix_merge_compareILb0ELb1ElNS0_19identity_decomposerEEEEE10hipError_tT0_T1_T2_jT3_P12ihipStream_tbPNSt15iterator_traitsISG_E10value_typeEPNSM_ISH_E10value_typeEPSI_NS1_7vsmem_tEENKUlT_SG_SH_SI_E_clIS7_S7_SB_S7_EESF_SV_SG_SH_SI_EUlSV_E1_NS1_11comp_targetILNS1_3genE2ELNS1_11target_archE906ELNS1_3gpuE6ELNS1_3repE0EEENS1_36merge_oddeven_config_static_selectorELNS0_4arch9wavefront6targetE1EEEvSH_
		.amdhsa_group_segment_fixed_size 0
		.amdhsa_private_segment_fixed_size 0
		.amdhsa_kernarg_size 48
		.amdhsa_user_sgpr_count 6
		.amdhsa_user_sgpr_private_segment_buffer 1
		.amdhsa_user_sgpr_dispatch_ptr 0
		.amdhsa_user_sgpr_queue_ptr 0
		.amdhsa_user_sgpr_kernarg_segment_ptr 1
		.amdhsa_user_sgpr_dispatch_id 0
		.amdhsa_user_sgpr_flat_scratch_init 0
		.amdhsa_user_sgpr_private_segment_size 0
		.amdhsa_uses_dynamic_stack 0
		.amdhsa_system_sgpr_private_segment_wavefront_offset 0
		.amdhsa_system_sgpr_workgroup_id_x 1
		.amdhsa_system_sgpr_workgroup_id_y 0
		.amdhsa_system_sgpr_workgroup_id_z 0
		.amdhsa_system_sgpr_workgroup_info 0
		.amdhsa_system_vgpr_workitem_id 0
		.amdhsa_next_free_vgpr 16
		.amdhsa_next_free_sgpr 24
		.amdhsa_reserve_vcc 1
		.amdhsa_reserve_flat_scratch 0
		.amdhsa_float_round_mode_32 0
		.amdhsa_float_round_mode_16_64 0
		.amdhsa_float_denorm_mode_32 3
		.amdhsa_float_denorm_mode_16_64 3
		.amdhsa_dx10_clamp 1
		.amdhsa_ieee_mode 1
		.amdhsa_fp16_overflow 0
		.amdhsa_exception_fp_ieee_invalid_op 0
		.amdhsa_exception_fp_denorm_src 0
		.amdhsa_exception_fp_ieee_div_zero 0
		.amdhsa_exception_fp_ieee_overflow 0
		.amdhsa_exception_fp_ieee_underflow 0
		.amdhsa_exception_fp_ieee_inexact 0
		.amdhsa_exception_int_div_zero 0
	.end_amdhsa_kernel
	.section	.text._ZN7rocprim17ROCPRIM_400000_NS6detail17trampoline_kernelINS0_14default_configENS1_38merge_sort_block_merge_config_selectorIllEEZZNS1_27merge_sort_block_merge_implIS3_PlN6thrust23THRUST_200600_302600_NS10device_ptrIlEEjNS1_19radix_merge_compareILb0ELb1ElNS0_19identity_decomposerEEEEE10hipError_tT0_T1_T2_jT3_P12ihipStream_tbPNSt15iterator_traitsISG_E10value_typeEPNSM_ISH_E10value_typeEPSI_NS1_7vsmem_tEENKUlT_SG_SH_SI_E_clIS7_S7_SB_S7_EESF_SV_SG_SH_SI_EUlSV_E1_NS1_11comp_targetILNS1_3genE2ELNS1_11target_archE906ELNS1_3gpuE6ELNS1_3repE0EEENS1_36merge_oddeven_config_static_selectorELNS0_4arch9wavefront6targetE1EEEvSH_,"axG",@progbits,_ZN7rocprim17ROCPRIM_400000_NS6detail17trampoline_kernelINS0_14default_configENS1_38merge_sort_block_merge_config_selectorIllEEZZNS1_27merge_sort_block_merge_implIS3_PlN6thrust23THRUST_200600_302600_NS10device_ptrIlEEjNS1_19radix_merge_compareILb0ELb1ElNS0_19identity_decomposerEEEEE10hipError_tT0_T1_T2_jT3_P12ihipStream_tbPNSt15iterator_traitsISG_E10value_typeEPNSM_ISH_E10value_typeEPSI_NS1_7vsmem_tEENKUlT_SG_SH_SI_E_clIS7_S7_SB_S7_EESF_SV_SG_SH_SI_EUlSV_E1_NS1_11comp_targetILNS1_3genE2ELNS1_11target_archE906ELNS1_3gpuE6ELNS1_3repE0EEENS1_36merge_oddeven_config_static_selectorELNS0_4arch9wavefront6targetE1EEEvSH_,comdat
.Lfunc_end1111:
	.size	_ZN7rocprim17ROCPRIM_400000_NS6detail17trampoline_kernelINS0_14default_configENS1_38merge_sort_block_merge_config_selectorIllEEZZNS1_27merge_sort_block_merge_implIS3_PlN6thrust23THRUST_200600_302600_NS10device_ptrIlEEjNS1_19radix_merge_compareILb0ELb1ElNS0_19identity_decomposerEEEEE10hipError_tT0_T1_T2_jT3_P12ihipStream_tbPNSt15iterator_traitsISG_E10value_typeEPNSM_ISH_E10value_typeEPSI_NS1_7vsmem_tEENKUlT_SG_SH_SI_E_clIS7_S7_SB_S7_EESF_SV_SG_SH_SI_EUlSV_E1_NS1_11comp_targetILNS1_3genE2ELNS1_11target_archE906ELNS1_3gpuE6ELNS1_3repE0EEENS1_36merge_oddeven_config_static_selectorELNS0_4arch9wavefront6targetE1EEEvSH_, .Lfunc_end1111-_ZN7rocprim17ROCPRIM_400000_NS6detail17trampoline_kernelINS0_14default_configENS1_38merge_sort_block_merge_config_selectorIllEEZZNS1_27merge_sort_block_merge_implIS3_PlN6thrust23THRUST_200600_302600_NS10device_ptrIlEEjNS1_19radix_merge_compareILb0ELb1ElNS0_19identity_decomposerEEEEE10hipError_tT0_T1_T2_jT3_P12ihipStream_tbPNSt15iterator_traitsISG_E10value_typeEPNSM_ISH_E10value_typeEPSI_NS1_7vsmem_tEENKUlT_SG_SH_SI_E_clIS7_S7_SB_S7_EESF_SV_SG_SH_SI_EUlSV_E1_NS1_11comp_targetILNS1_3genE2ELNS1_11target_archE906ELNS1_3gpuE6ELNS1_3repE0EEENS1_36merge_oddeven_config_static_selectorELNS0_4arch9wavefront6targetE1EEEvSH_
                                        ; -- End function
	.set _ZN7rocprim17ROCPRIM_400000_NS6detail17trampoline_kernelINS0_14default_configENS1_38merge_sort_block_merge_config_selectorIllEEZZNS1_27merge_sort_block_merge_implIS3_PlN6thrust23THRUST_200600_302600_NS10device_ptrIlEEjNS1_19radix_merge_compareILb0ELb1ElNS0_19identity_decomposerEEEEE10hipError_tT0_T1_T2_jT3_P12ihipStream_tbPNSt15iterator_traitsISG_E10value_typeEPNSM_ISH_E10value_typeEPSI_NS1_7vsmem_tEENKUlT_SG_SH_SI_E_clIS7_S7_SB_S7_EESF_SV_SG_SH_SI_EUlSV_E1_NS1_11comp_targetILNS1_3genE2ELNS1_11target_archE906ELNS1_3gpuE6ELNS1_3repE0EEENS1_36merge_oddeven_config_static_selectorELNS0_4arch9wavefront6targetE1EEEvSH_.num_vgpr, 16
	.set _ZN7rocprim17ROCPRIM_400000_NS6detail17trampoline_kernelINS0_14default_configENS1_38merge_sort_block_merge_config_selectorIllEEZZNS1_27merge_sort_block_merge_implIS3_PlN6thrust23THRUST_200600_302600_NS10device_ptrIlEEjNS1_19radix_merge_compareILb0ELb1ElNS0_19identity_decomposerEEEEE10hipError_tT0_T1_T2_jT3_P12ihipStream_tbPNSt15iterator_traitsISG_E10value_typeEPNSM_ISH_E10value_typeEPSI_NS1_7vsmem_tEENKUlT_SG_SH_SI_E_clIS7_S7_SB_S7_EESF_SV_SG_SH_SI_EUlSV_E1_NS1_11comp_targetILNS1_3genE2ELNS1_11target_archE906ELNS1_3gpuE6ELNS1_3repE0EEENS1_36merge_oddeven_config_static_selectorELNS0_4arch9wavefront6targetE1EEEvSH_.num_agpr, 0
	.set _ZN7rocprim17ROCPRIM_400000_NS6detail17trampoline_kernelINS0_14default_configENS1_38merge_sort_block_merge_config_selectorIllEEZZNS1_27merge_sort_block_merge_implIS3_PlN6thrust23THRUST_200600_302600_NS10device_ptrIlEEjNS1_19radix_merge_compareILb0ELb1ElNS0_19identity_decomposerEEEEE10hipError_tT0_T1_T2_jT3_P12ihipStream_tbPNSt15iterator_traitsISG_E10value_typeEPNSM_ISH_E10value_typeEPSI_NS1_7vsmem_tEENKUlT_SG_SH_SI_E_clIS7_S7_SB_S7_EESF_SV_SG_SH_SI_EUlSV_E1_NS1_11comp_targetILNS1_3genE2ELNS1_11target_archE906ELNS1_3gpuE6ELNS1_3repE0EEENS1_36merge_oddeven_config_static_selectorELNS0_4arch9wavefront6targetE1EEEvSH_.numbered_sgpr, 24
	.set _ZN7rocprim17ROCPRIM_400000_NS6detail17trampoline_kernelINS0_14default_configENS1_38merge_sort_block_merge_config_selectorIllEEZZNS1_27merge_sort_block_merge_implIS3_PlN6thrust23THRUST_200600_302600_NS10device_ptrIlEEjNS1_19radix_merge_compareILb0ELb1ElNS0_19identity_decomposerEEEEE10hipError_tT0_T1_T2_jT3_P12ihipStream_tbPNSt15iterator_traitsISG_E10value_typeEPNSM_ISH_E10value_typeEPSI_NS1_7vsmem_tEENKUlT_SG_SH_SI_E_clIS7_S7_SB_S7_EESF_SV_SG_SH_SI_EUlSV_E1_NS1_11comp_targetILNS1_3genE2ELNS1_11target_archE906ELNS1_3gpuE6ELNS1_3repE0EEENS1_36merge_oddeven_config_static_selectorELNS0_4arch9wavefront6targetE1EEEvSH_.num_named_barrier, 0
	.set _ZN7rocprim17ROCPRIM_400000_NS6detail17trampoline_kernelINS0_14default_configENS1_38merge_sort_block_merge_config_selectorIllEEZZNS1_27merge_sort_block_merge_implIS3_PlN6thrust23THRUST_200600_302600_NS10device_ptrIlEEjNS1_19radix_merge_compareILb0ELb1ElNS0_19identity_decomposerEEEEE10hipError_tT0_T1_T2_jT3_P12ihipStream_tbPNSt15iterator_traitsISG_E10value_typeEPNSM_ISH_E10value_typeEPSI_NS1_7vsmem_tEENKUlT_SG_SH_SI_E_clIS7_S7_SB_S7_EESF_SV_SG_SH_SI_EUlSV_E1_NS1_11comp_targetILNS1_3genE2ELNS1_11target_archE906ELNS1_3gpuE6ELNS1_3repE0EEENS1_36merge_oddeven_config_static_selectorELNS0_4arch9wavefront6targetE1EEEvSH_.private_seg_size, 0
	.set _ZN7rocprim17ROCPRIM_400000_NS6detail17trampoline_kernelINS0_14default_configENS1_38merge_sort_block_merge_config_selectorIllEEZZNS1_27merge_sort_block_merge_implIS3_PlN6thrust23THRUST_200600_302600_NS10device_ptrIlEEjNS1_19radix_merge_compareILb0ELb1ElNS0_19identity_decomposerEEEEE10hipError_tT0_T1_T2_jT3_P12ihipStream_tbPNSt15iterator_traitsISG_E10value_typeEPNSM_ISH_E10value_typeEPSI_NS1_7vsmem_tEENKUlT_SG_SH_SI_E_clIS7_S7_SB_S7_EESF_SV_SG_SH_SI_EUlSV_E1_NS1_11comp_targetILNS1_3genE2ELNS1_11target_archE906ELNS1_3gpuE6ELNS1_3repE0EEENS1_36merge_oddeven_config_static_selectorELNS0_4arch9wavefront6targetE1EEEvSH_.uses_vcc, 1
	.set _ZN7rocprim17ROCPRIM_400000_NS6detail17trampoline_kernelINS0_14default_configENS1_38merge_sort_block_merge_config_selectorIllEEZZNS1_27merge_sort_block_merge_implIS3_PlN6thrust23THRUST_200600_302600_NS10device_ptrIlEEjNS1_19radix_merge_compareILb0ELb1ElNS0_19identity_decomposerEEEEE10hipError_tT0_T1_T2_jT3_P12ihipStream_tbPNSt15iterator_traitsISG_E10value_typeEPNSM_ISH_E10value_typeEPSI_NS1_7vsmem_tEENKUlT_SG_SH_SI_E_clIS7_S7_SB_S7_EESF_SV_SG_SH_SI_EUlSV_E1_NS1_11comp_targetILNS1_3genE2ELNS1_11target_archE906ELNS1_3gpuE6ELNS1_3repE0EEENS1_36merge_oddeven_config_static_selectorELNS0_4arch9wavefront6targetE1EEEvSH_.uses_flat_scratch, 0
	.set _ZN7rocprim17ROCPRIM_400000_NS6detail17trampoline_kernelINS0_14default_configENS1_38merge_sort_block_merge_config_selectorIllEEZZNS1_27merge_sort_block_merge_implIS3_PlN6thrust23THRUST_200600_302600_NS10device_ptrIlEEjNS1_19radix_merge_compareILb0ELb1ElNS0_19identity_decomposerEEEEE10hipError_tT0_T1_T2_jT3_P12ihipStream_tbPNSt15iterator_traitsISG_E10value_typeEPNSM_ISH_E10value_typeEPSI_NS1_7vsmem_tEENKUlT_SG_SH_SI_E_clIS7_S7_SB_S7_EESF_SV_SG_SH_SI_EUlSV_E1_NS1_11comp_targetILNS1_3genE2ELNS1_11target_archE906ELNS1_3gpuE6ELNS1_3repE0EEENS1_36merge_oddeven_config_static_selectorELNS0_4arch9wavefront6targetE1EEEvSH_.has_dyn_sized_stack, 0
	.set _ZN7rocprim17ROCPRIM_400000_NS6detail17trampoline_kernelINS0_14default_configENS1_38merge_sort_block_merge_config_selectorIllEEZZNS1_27merge_sort_block_merge_implIS3_PlN6thrust23THRUST_200600_302600_NS10device_ptrIlEEjNS1_19radix_merge_compareILb0ELb1ElNS0_19identity_decomposerEEEEE10hipError_tT0_T1_T2_jT3_P12ihipStream_tbPNSt15iterator_traitsISG_E10value_typeEPNSM_ISH_E10value_typeEPSI_NS1_7vsmem_tEENKUlT_SG_SH_SI_E_clIS7_S7_SB_S7_EESF_SV_SG_SH_SI_EUlSV_E1_NS1_11comp_targetILNS1_3genE2ELNS1_11target_archE906ELNS1_3gpuE6ELNS1_3repE0EEENS1_36merge_oddeven_config_static_selectorELNS0_4arch9wavefront6targetE1EEEvSH_.has_recursion, 0
	.set _ZN7rocprim17ROCPRIM_400000_NS6detail17trampoline_kernelINS0_14default_configENS1_38merge_sort_block_merge_config_selectorIllEEZZNS1_27merge_sort_block_merge_implIS3_PlN6thrust23THRUST_200600_302600_NS10device_ptrIlEEjNS1_19radix_merge_compareILb0ELb1ElNS0_19identity_decomposerEEEEE10hipError_tT0_T1_T2_jT3_P12ihipStream_tbPNSt15iterator_traitsISG_E10value_typeEPNSM_ISH_E10value_typeEPSI_NS1_7vsmem_tEENKUlT_SG_SH_SI_E_clIS7_S7_SB_S7_EESF_SV_SG_SH_SI_EUlSV_E1_NS1_11comp_targetILNS1_3genE2ELNS1_11target_archE906ELNS1_3gpuE6ELNS1_3repE0EEENS1_36merge_oddeven_config_static_selectorELNS0_4arch9wavefront6targetE1EEEvSH_.has_indirect_call, 0
	.section	.AMDGPU.csdata,"",@progbits
; Kernel info:
; codeLenInByte = 840
; TotalNumSgprs: 28
; NumVgprs: 16
; ScratchSize: 0
; MemoryBound: 0
; FloatMode: 240
; IeeeMode: 1
; LDSByteSize: 0 bytes/workgroup (compile time only)
; SGPRBlocks: 3
; VGPRBlocks: 3
; NumSGPRsForWavesPerEU: 28
; NumVGPRsForWavesPerEU: 16
; Occupancy: 10
; WaveLimiterHint : 0
; COMPUTE_PGM_RSRC2:SCRATCH_EN: 0
; COMPUTE_PGM_RSRC2:USER_SGPR: 6
; COMPUTE_PGM_RSRC2:TRAP_HANDLER: 0
; COMPUTE_PGM_RSRC2:TGID_X_EN: 1
; COMPUTE_PGM_RSRC2:TGID_Y_EN: 0
; COMPUTE_PGM_RSRC2:TGID_Z_EN: 0
; COMPUTE_PGM_RSRC2:TIDIG_COMP_CNT: 0
	.section	.text._ZN7rocprim17ROCPRIM_400000_NS6detail17trampoline_kernelINS0_14default_configENS1_38merge_sort_block_merge_config_selectorIllEEZZNS1_27merge_sort_block_merge_implIS3_PlN6thrust23THRUST_200600_302600_NS10device_ptrIlEEjNS1_19radix_merge_compareILb0ELb1ElNS0_19identity_decomposerEEEEE10hipError_tT0_T1_T2_jT3_P12ihipStream_tbPNSt15iterator_traitsISG_E10value_typeEPNSM_ISH_E10value_typeEPSI_NS1_7vsmem_tEENKUlT_SG_SH_SI_E_clIS7_S7_SB_S7_EESF_SV_SG_SH_SI_EUlSV_E1_NS1_11comp_targetILNS1_3genE9ELNS1_11target_archE1100ELNS1_3gpuE3ELNS1_3repE0EEENS1_36merge_oddeven_config_static_selectorELNS0_4arch9wavefront6targetE1EEEvSH_,"axG",@progbits,_ZN7rocprim17ROCPRIM_400000_NS6detail17trampoline_kernelINS0_14default_configENS1_38merge_sort_block_merge_config_selectorIllEEZZNS1_27merge_sort_block_merge_implIS3_PlN6thrust23THRUST_200600_302600_NS10device_ptrIlEEjNS1_19radix_merge_compareILb0ELb1ElNS0_19identity_decomposerEEEEE10hipError_tT0_T1_T2_jT3_P12ihipStream_tbPNSt15iterator_traitsISG_E10value_typeEPNSM_ISH_E10value_typeEPSI_NS1_7vsmem_tEENKUlT_SG_SH_SI_E_clIS7_S7_SB_S7_EESF_SV_SG_SH_SI_EUlSV_E1_NS1_11comp_targetILNS1_3genE9ELNS1_11target_archE1100ELNS1_3gpuE3ELNS1_3repE0EEENS1_36merge_oddeven_config_static_selectorELNS0_4arch9wavefront6targetE1EEEvSH_,comdat
	.protected	_ZN7rocprim17ROCPRIM_400000_NS6detail17trampoline_kernelINS0_14default_configENS1_38merge_sort_block_merge_config_selectorIllEEZZNS1_27merge_sort_block_merge_implIS3_PlN6thrust23THRUST_200600_302600_NS10device_ptrIlEEjNS1_19radix_merge_compareILb0ELb1ElNS0_19identity_decomposerEEEEE10hipError_tT0_T1_T2_jT3_P12ihipStream_tbPNSt15iterator_traitsISG_E10value_typeEPNSM_ISH_E10value_typeEPSI_NS1_7vsmem_tEENKUlT_SG_SH_SI_E_clIS7_S7_SB_S7_EESF_SV_SG_SH_SI_EUlSV_E1_NS1_11comp_targetILNS1_3genE9ELNS1_11target_archE1100ELNS1_3gpuE3ELNS1_3repE0EEENS1_36merge_oddeven_config_static_selectorELNS0_4arch9wavefront6targetE1EEEvSH_ ; -- Begin function _ZN7rocprim17ROCPRIM_400000_NS6detail17trampoline_kernelINS0_14default_configENS1_38merge_sort_block_merge_config_selectorIllEEZZNS1_27merge_sort_block_merge_implIS3_PlN6thrust23THRUST_200600_302600_NS10device_ptrIlEEjNS1_19radix_merge_compareILb0ELb1ElNS0_19identity_decomposerEEEEE10hipError_tT0_T1_T2_jT3_P12ihipStream_tbPNSt15iterator_traitsISG_E10value_typeEPNSM_ISH_E10value_typeEPSI_NS1_7vsmem_tEENKUlT_SG_SH_SI_E_clIS7_S7_SB_S7_EESF_SV_SG_SH_SI_EUlSV_E1_NS1_11comp_targetILNS1_3genE9ELNS1_11target_archE1100ELNS1_3gpuE3ELNS1_3repE0EEENS1_36merge_oddeven_config_static_selectorELNS0_4arch9wavefront6targetE1EEEvSH_
	.globl	_ZN7rocprim17ROCPRIM_400000_NS6detail17trampoline_kernelINS0_14default_configENS1_38merge_sort_block_merge_config_selectorIllEEZZNS1_27merge_sort_block_merge_implIS3_PlN6thrust23THRUST_200600_302600_NS10device_ptrIlEEjNS1_19radix_merge_compareILb0ELb1ElNS0_19identity_decomposerEEEEE10hipError_tT0_T1_T2_jT3_P12ihipStream_tbPNSt15iterator_traitsISG_E10value_typeEPNSM_ISH_E10value_typeEPSI_NS1_7vsmem_tEENKUlT_SG_SH_SI_E_clIS7_S7_SB_S7_EESF_SV_SG_SH_SI_EUlSV_E1_NS1_11comp_targetILNS1_3genE9ELNS1_11target_archE1100ELNS1_3gpuE3ELNS1_3repE0EEENS1_36merge_oddeven_config_static_selectorELNS0_4arch9wavefront6targetE1EEEvSH_
	.p2align	8
	.type	_ZN7rocprim17ROCPRIM_400000_NS6detail17trampoline_kernelINS0_14default_configENS1_38merge_sort_block_merge_config_selectorIllEEZZNS1_27merge_sort_block_merge_implIS3_PlN6thrust23THRUST_200600_302600_NS10device_ptrIlEEjNS1_19radix_merge_compareILb0ELb1ElNS0_19identity_decomposerEEEEE10hipError_tT0_T1_T2_jT3_P12ihipStream_tbPNSt15iterator_traitsISG_E10value_typeEPNSM_ISH_E10value_typeEPSI_NS1_7vsmem_tEENKUlT_SG_SH_SI_E_clIS7_S7_SB_S7_EESF_SV_SG_SH_SI_EUlSV_E1_NS1_11comp_targetILNS1_3genE9ELNS1_11target_archE1100ELNS1_3gpuE3ELNS1_3repE0EEENS1_36merge_oddeven_config_static_selectorELNS0_4arch9wavefront6targetE1EEEvSH_,@function
_ZN7rocprim17ROCPRIM_400000_NS6detail17trampoline_kernelINS0_14default_configENS1_38merge_sort_block_merge_config_selectorIllEEZZNS1_27merge_sort_block_merge_implIS3_PlN6thrust23THRUST_200600_302600_NS10device_ptrIlEEjNS1_19radix_merge_compareILb0ELb1ElNS0_19identity_decomposerEEEEE10hipError_tT0_T1_T2_jT3_P12ihipStream_tbPNSt15iterator_traitsISG_E10value_typeEPNSM_ISH_E10value_typeEPSI_NS1_7vsmem_tEENKUlT_SG_SH_SI_E_clIS7_S7_SB_S7_EESF_SV_SG_SH_SI_EUlSV_E1_NS1_11comp_targetILNS1_3genE9ELNS1_11target_archE1100ELNS1_3gpuE3ELNS1_3repE0EEENS1_36merge_oddeven_config_static_selectorELNS0_4arch9wavefront6targetE1EEEvSH_: ; @_ZN7rocprim17ROCPRIM_400000_NS6detail17trampoline_kernelINS0_14default_configENS1_38merge_sort_block_merge_config_selectorIllEEZZNS1_27merge_sort_block_merge_implIS3_PlN6thrust23THRUST_200600_302600_NS10device_ptrIlEEjNS1_19radix_merge_compareILb0ELb1ElNS0_19identity_decomposerEEEEE10hipError_tT0_T1_T2_jT3_P12ihipStream_tbPNSt15iterator_traitsISG_E10value_typeEPNSM_ISH_E10value_typeEPSI_NS1_7vsmem_tEENKUlT_SG_SH_SI_E_clIS7_S7_SB_S7_EESF_SV_SG_SH_SI_EUlSV_E1_NS1_11comp_targetILNS1_3genE9ELNS1_11target_archE1100ELNS1_3gpuE3ELNS1_3repE0EEENS1_36merge_oddeven_config_static_selectorELNS0_4arch9wavefront6targetE1EEEvSH_
; %bb.0:
	.section	.rodata,"a",@progbits
	.p2align	6, 0x0
	.amdhsa_kernel _ZN7rocprim17ROCPRIM_400000_NS6detail17trampoline_kernelINS0_14default_configENS1_38merge_sort_block_merge_config_selectorIllEEZZNS1_27merge_sort_block_merge_implIS3_PlN6thrust23THRUST_200600_302600_NS10device_ptrIlEEjNS1_19radix_merge_compareILb0ELb1ElNS0_19identity_decomposerEEEEE10hipError_tT0_T1_T2_jT3_P12ihipStream_tbPNSt15iterator_traitsISG_E10value_typeEPNSM_ISH_E10value_typeEPSI_NS1_7vsmem_tEENKUlT_SG_SH_SI_E_clIS7_S7_SB_S7_EESF_SV_SG_SH_SI_EUlSV_E1_NS1_11comp_targetILNS1_3genE9ELNS1_11target_archE1100ELNS1_3gpuE3ELNS1_3repE0EEENS1_36merge_oddeven_config_static_selectorELNS0_4arch9wavefront6targetE1EEEvSH_
		.amdhsa_group_segment_fixed_size 0
		.amdhsa_private_segment_fixed_size 0
		.amdhsa_kernarg_size 48
		.amdhsa_user_sgpr_count 6
		.amdhsa_user_sgpr_private_segment_buffer 1
		.amdhsa_user_sgpr_dispatch_ptr 0
		.amdhsa_user_sgpr_queue_ptr 0
		.amdhsa_user_sgpr_kernarg_segment_ptr 1
		.amdhsa_user_sgpr_dispatch_id 0
		.amdhsa_user_sgpr_flat_scratch_init 0
		.amdhsa_user_sgpr_private_segment_size 0
		.amdhsa_uses_dynamic_stack 0
		.amdhsa_system_sgpr_private_segment_wavefront_offset 0
		.amdhsa_system_sgpr_workgroup_id_x 1
		.amdhsa_system_sgpr_workgroup_id_y 0
		.amdhsa_system_sgpr_workgroup_id_z 0
		.amdhsa_system_sgpr_workgroup_info 0
		.amdhsa_system_vgpr_workitem_id 0
		.amdhsa_next_free_vgpr 1
		.amdhsa_next_free_sgpr 0
		.amdhsa_reserve_vcc 0
		.amdhsa_reserve_flat_scratch 0
		.amdhsa_float_round_mode_32 0
		.amdhsa_float_round_mode_16_64 0
		.amdhsa_float_denorm_mode_32 3
		.amdhsa_float_denorm_mode_16_64 3
		.amdhsa_dx10_clamp 1
		.amdhsa_ieee_mode 1
		.amdhsa_fp16_overflow 0
		.amdhsa_exception_fp_ieee_invalid_op 0
		.amdhsa_exception_fp_denorm_src 0
		.amdhsa_exception_fp_ieee_div_zero 0
		.amdhsa_exception_fp_ieee_overflow 0
		.amdhsa_exception_fp_ieee_underflow 0
		.amdhsa_exception_fp_ieee_inexact 0
		.amdhsa_exception_int_div_zero 0
	.end_amdhsa_kernel
	.section	.text._ZN7rocprim17ROCPRIM_400000_NS6detail17trampoline_kernelINS0_14default_configENS1_38merge_sort_block_merge_config_selectorIllEEZZNS1_27merge_sort_block_merge_implIS3_PlN6thrust23THRUST_200600_302600_NS10device_ptrIlEEjNS1_19radix_merge_compareILb0ELb1ElNS0_19identity_decomposerEEEEE10hipError_tT0_T1_T2_jT3_P12ihipStream_tbPNSt15iterator_traitsISG_E10value_typeEPNSM_ISH_E10value_typeEPSI_NS1_7vsmem_tEENKUlT_SG_SH_SI_E_clIS7_S7_SB_S7_EESF_SV_SG_SH_SI_EUlSV_E1_NS1_11comp_targetILNS1_3genE9ELNS1_11target_archE1100ELNS1_3gpuE3ELNS1_3repE0EEENS1_36merge_oddeven_config_static_selectorELNS0_4arch9wavefront6targetE1EEEvSH_,"axG",@progbits,_ZN7rocprim17ROCPRIM_400000_NS6detail17trampoline_kernelINS0_14default_configENS1_38merge_sort_block_merge_config_selectorIllEEZZNS1_27merge_sort_block_merge_implIS3_PlN6thrust23THRUST_200600_302600_NS10device_ptrIlEEjNS1_19radix_merge_compareILb0ELb1ElNS0_19identity_decomposerEEEEE10hipError_tT0_T1_T2_jT3_P12ihipStream_tbPNSt15iterator_traitsISG_E10value_typeEPNSM_ISH_E10value_typeEPSI_NS1_7vsmem_tEENKUlT_SG_SH_SI_E_clIS7_S7_SB_S7_EESF_SV_SG_SH_SI_EUlSV_E1_NS1_11comp_targetILNS1_3genE9ELNS1_11target_archE1100ELNS1_3gpuE3ELNS1_3repE0EEENS1_36merge_oddeven_config_static_selectorELNS0_4arch9wavefront6targetE1EEEvSH_,comdat
.Lfunc_end1112:
	.size	_ZN7rocprim17ROCPRIM_400000_NS6detail17trampoline_kernelINS0_14default_configENS1_38merge_sort_block_merge_config_selectorIllEEZZNS1_27merge_sort_block_merge_implIS3_PlN6thrust23THRUST_200600_302600_NS10device_ptrIlEEjNS1_19radix_merge_compareILb0ELb1ElNS0_19identity_decomposerEEEEE10hipError_tT0_T1_T2_jT3_P12ihipStream_tbPNSt15iterator_traitsISG_E10value_typeEPNSM_ISH_E10value_typeEPSI_NS1_7vsmem_tEENKUlT_SG_SH_SI_E_clIS7_S7_SB_S7_EESF_SV_SG_SH_SI_EUlSV_E1_NS1_11comp_targetILNS1_3genE9ELNS1_11target_archE1100ELNS1_3gpuE3ELNS1_3repE0EEENS1_36merge_oddeven_config_static_selectorELNS0_4arch9wavefront6targetE1EEEvSH_, .Lfunc_end1112-_ZN7rocprim17ROCPRIM_400000_NS6detail17trampoline_kernelINS0_14default_configENS1_38merge_sort_block_merge_config_selectorIllEEZZNS1_27merge_sort_block_merge_implIS3_PlN6thrust23THRUST_200600_302600_NS10device_ptrIlEEjNS1_19radix_merge_compareILb0ELb1ElNS0_19identity_decomposerEEEEE10hipError_tT0_T1_T2_jT3_P12ihipStream_tbPNSt15iterator_traitsISG_E10value_typeEPNSM_ISH_E10value_typeEPSI_NS1_7vsmem_tEENKUlT_SG_SH_SI_E_clIS7_S7_SB_S7_EESF_SV_SG_SH_SI_EUlSV_E1_NS1_11comp_targetILNS1_3genE9ELNS1_11target_archE1100ELNS1_3gpuE3ELNS1_3repE0EEENS1_36merge_oddeven_config_static_selectorELNS0_4arch9wavefront6targetE1EEEvSH_
                                        ; -- End function
	.set _ZN7rocprim17ROCPRIM_400000_NS6detail17trampoline_kernelINS0_14default_configENS1_38merge_sort_block_merge_config_selectorIllEEZZNS1_27merge_sort_block_merge_implIS3_PlN6thrust23THRUST_200600_302600_NS10device_ptrIlEEjNS1_19radix_merge_compareILb0ELb1ElNS0_19identity_decomposerEEEEE10hipError_tT0_T1_T2_jT3_P12ihipStream_tbPNSt15iterator_traitsISG_E10value_typeEPNSM_ISH_E10value_typeEPSI_NS1_7vsmem_tEENKUlT_SG_SH_SI_E_clIS7_S7_SB_S7_EESF_SV_SG_SH_SI_EUlSV_E1_NS1_11comp_targetILNS1_3genE9ELNS1_11target_archE1100ELNS1_3gpuE3ELNS1_3repE0EEENS1_36merge_oddeven_config_static_selectorELNS0_4arch9wavefront6targetE1EEEvSH_.num_vgpr, 0
	.set _ZN7rocprim17ROCPRIM_400000_NS6detail17trampoline_kernelINS0_14default_configENS1_38merge_sort_block_merge_config_selectorIllEEZZNS1_27merge_sort_block_merge_implIS3_PlN6thrust23THRUST_200600_302600_NS10device_ptrIlEEjNS1_19radix_merge_compareILb0ELb1ElNS0_19identity_decomposerEEEEE10hipError_tT0_T1_T2_jT3_P12ihipStream_tbPNSt15iterator_traitsISG_E10value_typeEPNSM_ISH_E10value_typeEPSI_NS1_7vsmem_tEENKUlT_SG_SH_SI_E_clIS7_S7_SB_S7_EESF_SV_SG_SH_SI_EUlSV_E1_NS1_11comp_targetILNS1_3genE9ELNS1_11target_archE1100ELNS1_3gpuE3ELNS1_3repE0EEENS1_36merge_oddeven_config_static_selectorELNS0_4arch9wavefront6targetE1EEEvSH_.num_agpr, 0
	.set _ZN7rocprim17ROCPRIM_400000_NS6detail17trampoline_kernelINS0_14default_configENS1_38merge_sort_block_merge_config_selectorIllEEZZNS1_27merge_sort_block_merge_implIS3_PlN6thrust23THRUST_200600_302600_NS10device_ptrIlEEjNS1_19radix_merge_compareILb0ELb1ElNS0_19identity_decomposerEEEEE10hipError_tT0_T1_T2_jT3_P12ihipStream_tbPNSt15iterator_traitsISG_E10value_typeEPNSM_ISH_E10value_typeEPSI_NS1_7vsmem_tEENKUlT_SG_SH_SI_E_clIS7_S7_SB_S7_EESF_SV_SG_SH_SI_EUlSV_E1_NS1_11comp_targetILNS1_3genE9ELNS1_11target_archE1100ELNS1_3gpuE3ELNS1_3repE0EEENS1_36merge_oddeven_config_static_selectorELNS0_4arch9wavefront6targetE1EEEvSH_.numbered_sgpr, 0
	.set _ZN7rocprim17ROCPRIM_400000_NS6detail17trampoline_kernelINS0_14default_configENS1_38merge_sort_block_merge_config_selectorIllEEZZNS1_27merge_sort_block_merge_implIS3_PlN6thrust23THRUST_200600_302600_NS10device_ptrIlEEjNS1_19radix_merge_compareILb0ELb1ElNS0_19identity_decomposerEEEEE10hipError_tT0_T1_T2_jT3_P12ihipStream_tbPNSt15iterator_traitsISG_E10value_typeEPNSM_ISH_E10value_typeEPSI_NS1_7vsmem_tEENKUlT_SG_SH_SI_E_clIS7_S7_SB_S7_EESF_SV_SG_SH_SI_EUlSV_E1_NS1_11comp_targetILNS1_3genE9ELNS1_11target_archE1100ELNS1_3gpuE3ELNS1_3repE0EEENS1_36merge_oddeven_config_static_selectorELNS0_4arch9wavefront6targetE1EEEvSH_.num_named_barrier, 0
	.set _ZN7rocprim17ROCPRIM_400000_NS6detail17trampoline_kernelINS0_14default_configENS1_38merge_sort_block_merge_config_selectorIllEEZZNS1_27merge_sort_block_merge_implIS3_PlN6thrust23THRUST_200600_302600_NS10device_ptrIlEEjNS1_19radix_merge_compareILb0ELb1ElNS0_19identity_decomposerEEEEE10hipError_tT0_T1_T2_jT3_P12ihipStream_tbPNSt15iterator_traitsISG_E10value_typeEPNSM_ISH_E10value_typeEPSI_NS1_7vsmem_tEENKUlT_SG_SH_SI_E_clIS7_S7_SB_S7_EESF_SV_SG_SH_SI_EUlSV_E1_NS1_11comp_targetILNS1_3genE9ELNS1_11target_archE1100ELNS1_3gpuE3ELNS1_3repE0EEENS1_36merge_oddeven_config_static_selectorELNS0_4arch9wavefront6targetE1EEEvSH_.private_seg_size, 0
	.set _ZN7rocprim17ROCPRIM_400000_NS6detail17trampoline_kernelINS0_14default_configENS1_38merge_sort_block_merge_config_selectorIllEEZZNS1_27merge_sort_block_merge_implIS3_PlN6thrust23THRUST_200600_302600_NS10device_ptrIlEEjNS1_19radix_merge_compareILb0ELb1ElNS0_19identity_decomposerEEEEE10hipError_tT0_T1_T2_jT3_P12ihipStream_tbPNSt15iterator_traitsISG_E10value_typeEPNSM_ISH_E10value_typeEPSI_NS1_7vsmem_tEENKUlT_SG_SH_SI_E_clIS7_S7_SB_S7_EESF_SV_SG_SH_SI_EUlSV_E1_NS1_11comp_targetILNS1_3genE9ELNS1_11target_archE1100ELNS1_3gpuE3ELNS1_3repE0EEENS1_36merge_oddeven_config_static_selectorELNS0_4arch9wavefront6targetE1EEEvSH_.uses_vcc, 0
	.set _ZN7rocprim17ROCPRIM_400000_NS6detail17trampoline_kernelINS0_14default_configENS1_38merge_sort_block_merge_config_selectorIllEEZZNS1_27merge_sort_block_merge_implIS3_PlN6thrust23THRUST_200600_302600_NS10device_ptrIlEEjNS1_19radix_merge_compareILb0ELb1ElNS0_19identity_decomposerEEEEE10hipError_tT0_T1_T2_jT3_P12ihipStream_tbPNSt15iterator_traitsISG_E10value_typeEPNSM_ISH_E10value_typeEPSI_NS1_7vsmem_tEENKUlT_SG_SH_SI_E_clIS7_S7_SB_S7_EESF_SV_SG_SH_SI_EUlSV_E1_NS1_11comp_targetILNS1_3genE9ELNS1_11target_archE1100ELNS1_3gpuE3ELNS1_3repE0EEENS1_36merge_oddeven_config_static_selectorELNS0_4arch9wavefront6targetE1EEEvSH_.uses_flat_scratch, 0
	.set _ZN7rocprim17ROCPRIM_400000_NS6detail17trampoline_kernelINS0_14default_configENS1_38merge_sort_block_merge_config_selectorIllEEZZNS1_27merge_sort_block_merge_implIS3_PlN6thrust23THRUST_200600_302600_NS10device_ptrIlEEjNS1_19radix_merge_compareILb0ELb1ElNS0_19identity_decomposerEEEEE10hipError_tT0_T1_T2_jT3_P12ihipStream_tbPNSt15iterator_traitsISG_E10value_typeEPNSM_ISH_E10value_typeEPSI_NS1_7vsmem_tEENKUlT_SG_SH_SI_E_clIS7_S7_SB_S7_EESF_SV_SG_SH_SI_EUlSV_E1_NS1_11comp_targetILNS1_3genE9ELNS1_11target_archE1100ELNS1_3gpuE3ELNS1_3repE0EEENS1_36merge_oddeven_config_static_selectorELNS0_4arch9wavefront6targetE1EEEvSH_.has_dyn_sized_stack, 0
	.set _ZN7rocprim17ROCPRIM_400000_NS6detail17trampoline_kernelINS0_14default_configENS1_38merge_sort_block_merge_config_selectorIllEEZZNS1_27merge_sort_block_merge_implIS3_PlN6thrust23THRUST_200600_302600_NS10device_ptrIlEEjNS1_19radix_merge_compareILb0ELb1ElNS0_19identity_decomposerEEEEE10hipError_tT0_T1_T2_jT3_P12ihipStream_tbPNSt15iterator_traitsISG_E10value_typeEPNSM_ISH_E10value_typeEPSI_NS1_7vsmem_tEENKUlT_SG_SH_SI_E_clIS7_S7_SB_S7_EESF_SV_SG_SH_SI_EUlSV_E1_NS1_11comp_targetILNS1_3genE9ELNS1_11target_archE1100ELNS1_3gpuE3ELNS1_3repE0EEENS1_36merge_oddeven_config_static_selectorELNS0_4arch9wavefront6targetE1EEEvSH_.has_recursion, 0
	.set _ZN7rocprim17ROCPRIM_400000_NS6detail17trampoline_kernelINS0_14default_configENS1_38merge_sort_block_merge_config_selectorIllEEZZNS1_27merge_sort_block_merge_implIS3_PlN6thrust23THRUST_200600_302600_NS10device_ptrIlEEjNS1_19radix_merge_compareILb0ELb1ElNS0_19identity_decomposerEEEEE10hipError_tT0_T1_T2_jT3_P12ihipStream_tbPNSt15iterator_traitsISG_E10value_typeEPNSM_ISH_E10value_typeEPSI_NS1_7vsmem_tEENKUlT_SG_SH_SI_E_clIS7_S7_SB_S7_EESF_SV_SG_SH_SI_EUlSV_E1_NS1_11comp_targetILNS1_3genE9ELNS1_11target_archE1100ELNS1_3gpuE3ELNS1_3repE0EEENS1_36merge_oddeven_config_static_selectorELNS0_4arch9wavefront6targetE1EEEvSH_.has_indirect_call, 0
	.section	.AMDGPU.csdata,"",@progbits
; Kernel info:
; codeLenInByte = 0
; TotalNumSgprs: 4
; NumVgprs: 0
; ScratchSize: 0
; MemoryBound: 0
; FloatMode: 240
; IeeeMode: 1
; LDSByteSize: 0 bytes/workgroup (compile time only)
; SGPRBlocks: 0
; VGPRBlocks: 0
; NumSGPRsForWavesPerEU: 4
; NumVGPRsForWavesPerEU: 1
; Occupancy: 10
; WaveLimiterHint : 0
; COMPUTE_PGM_RSRC2:SCRATCH_EN: 0
; COMPUTE_PGM_RSRC2:USER_SGPR: 6
; COMPUTE_PGM_RSRC2:TRAP_HANDLER: 0
; COMPUTE_PGM_RSRC2:TGID_X_EN: 1
; COMPUTE_PGM_RSRC2:TGID_Y_EN: 0
; COMPUTE_PGM_RSRC2:TGID_Z_EN: 0
; COMPUTE_PGM_RSRC2:TIDIG_COMP_CNT: 0
	.section	.text._ZN7rocprim17ROCPRIM_400000_NS6detail17trampoline_kernelINS0_14default_configENS1_38merge_sort_block_merge_config_selectorIllEEZZNS1_27merge_sort_block_merge_implIS3_PlN6thrust23THRUST_200600_302600_NS10device_ptrIlEEjNS1_19radix_merge_compareILb0ELb1ElNS0_19identity_decomposerEEEEE10hipError_tT0_T1_T2_jT3_P12ihipStream_tbPNSt15iterator_traitsISG_E10value_typeEPNSM_ISH_E10value_typeEPSI_NS1_7vsmem_tEENKUlT_SG_SH_SI_E_clIS7_S7_SB_S7_EESF_SV_SG_SH_SI_EUlSV_E1_NS1_11comp_targetILNS1_3genE8ELNS1_11target_archE1030ELNS1_3gpuE2ELNS1_3repE0EEENS1_36merge_oddeven_config_static_selectorELNS0_4arch9wavefront6targetE1EEEvSH_,"axG",@progbits,_ZN7rocprim17ROCPRIM_400000_NS6detail17trampoline_kernelINS0_14default_configENS1_38merge_sort_block_merge_config_selectorIllEEZZNS1_27merge_sort_block_merge_implIS3_PlN6thrust23THRUST_200600_302600_NS10device_ptrIlEEjNS1_19radix_merge_compareILb0ELb1ElNS0_19identity_decomposerEEEEE10hipError_tT0_T1_T2_jT3_P12ihipStream_tbPNSt15iterator_traitsISG_E10value_typeEPNSM_ISH_E10value_typeEPSI_NS1_7vsmem_tEENKUlT_SG_SH_SI_E_clIS7_S7_SB_S7_EESF_SV_SG_SH_SI_EUlSV_E1_NS1_11comp_targetILNS1_3genE8ELNS1_11target_archE1030ELNS1_3gpuE2ELNS1_3repE0EEENS1_36merge_oddeven_config_static_selectorELNS0_4arch9wavefront6targetE1EEEvSH_,comdat
	.protected	_ZN7rocprim17ROCPRIM_400000_NS6detail17trampoline_kernelINS0_14default_configENS1_38merge_sort_block_merge_config_selectorIllEEZZNS1_27merge_sort_block_merge_implIS3_PlN6thrust23THRUST_200600_302600_NS10device_ptrIlEEjNS1_19radix_merge_compareILb0ELb1ElNS0_19identity_decomposerEEEEE10hipError_tT0_T1_T2_jT3_P12ihipStream_tbPNSt15iterator_traitsISG_E10value_typeEPNSM_ISH_E10value_typeEPSI_NS1_7vsmem_tEENKUlT_SG_SH_SI_E_clIS7_S7_SB_S7_EESF_SV_SG_SH_SI_EUlSV_E1_NS1_11comp_targetILNS1_3genE8ELNS1_11target_archE1030ELNS1_3gpuE2ELNS1_3repE0EEENS1_36merge_oddeven_config_static_selectorELNS0_4arch9wavefront6targetE1EEEvSH_ ; -- Begin function _ZN7rocprim17ROCPRIM_400000_NS6detail17trampoline_kernelINS0_14default_configENS1_38merge_sort_block_merge_config_selectorIllEEZZNS1_27merge_sort_block_merge_implIS3_PlN6thrust23THRUST_200600_302600_NS10device_ptrIlEEjNS1_19radix_merge_compareILb0ELb1ElNS0_19identity_decomposerEEEEE10hipError_tT0_T1_T2_jT3_P12ihipStream_tbPNSt15iterator_traitsISG_E10value_typeEPNSM_ISH_E10value_typeEPSI_NS1_7vsmem_tEENKUlT_SG_SH_SI_E_clIS7_S7_SB_S7_EESF_SV_SG_SH_SI_EUlSV_E1_NS1_11comp_targetILNS1_3genE8ELNS1_11target_archE1030ELNS1_3gpuE2ELNS1_3repE0EEENS1_36merge_oddeven_config_static_selectorELNS0_4arch9wavefront6targetE1EEEvSH_
	.globl	_ZN7rocprim17ROCPRIM_400000_NS6detail17trampoline_kernelINS0_14default_configENS1_38merge_sort_block_merge_config_selectorIllEEZZNS1_27merge_sort_block_merge_implIS3_PlN6thrust23THRUST_200600_302600_NS10device_ptrIlEEjNS1_19radix_merge_compareILb0ELb1ElNS0_19identity_decomposerEEEEE10hipError_tT0_T1_T2_jT3_P12ihipStream_tbPNSt15iterator_traitsISG_E10value_typeEPNSM_ISH_E10value_typeEPSI_NS1_7vsmem_tEENKUlT_SG_SH_SI_E_clIS7_S7_SB_S7_EESF_SV_SG_SH_SI_EUlSV_E1_NS1_11comp_targetILNS1_3genE8ELNS1_11target_archE1030ELNS1_3gpuE2ELNS1_3repE0EEENS1_36merge_oddeven_config_static_selectorELNS0_4arch9wavefront6targetE1EEEvSH_
	.p2align	8
	.type	_ZN7rocprim17ROCPRIM_400000_NS6detail17trampoline_kernelINS0_14default_configENS1_38merge_sort_block_merge_config_selectorIllEEZZNS1_27merge_sort_block_merge_implIS3_PlN6thrust23THRUST_200600_302600_NS10device_ptrIlEEjNS1_19radix_merge_compareILb0ELb1ElNS0_19identity_decomposerEEEEE10hipError_tT0_T1_T2_jT3_P12ihipStream_tbPNSt15iterator_traitsISG_E10value_typeEPNSM_ISH_E10value_typeEPSI_NS1_7vsmem_tEENKUlT_SG_SH_SI_E_clIS7_S7_SB_S7_EESF_SV_SG_SH_SI_EUlSV_E1_NS1_11comp_targetILNS1_3genE8ELNS1_11target_archE1030ELNS1_3gpuE2ELNS1_3repE0EEENS1_36merge_oddeven_config_static_selectorELNS0_4arch9wavefront6targetE1EEEvSH_,@function
_ZN7rocprim17ROCPRIM_400000_NS6detail17trampoline_kernelINS0_14default_configENS1_38merge_sort_block_merge_config_selectorIllEEZZNS1_27merge_sort_block_merge_implIS3_PlN6thrust23THRUST_200600_302600_NS10device_ptrIlEEjNS1_19radix_merge_compareILb0ELb1ElNS0_19identity_decomposerEEEEE10hipError_tT0_T1_T2_jT3_P12ihipStream_tbPNSt15iterator_traitsISG_E10value_typeEPNSM_ISH_E10value_typeEPSI_NS1_7vsmem_tEENKUlT_SG_SH_SI_E_clIS7_S7_SB_S7_EESF_SV_SG_SH_SI_EUlSV_E1_NS1_11comp_targetILNS1_3genE8ELNS1_11target_archE1030ELNS1_3gpuE2ELNS1_3repE0EEENS1_36merge_oddeven_config_static_selectorELNS0_4arch9wavefront6targetE1EEEvSH_: ; @_ZN7rocprim17ROCPRIM_400000_NS6detail17trampoline_kernelINS0_14default_configENS1_38merge_sort_block_merge_config_selectorIllEEZZNS1_27merge_sort_block_merge_implIS3_PlN6thrust23THRUST_200600_302600_NS10device_ptrIlEEjNS1_19radix_merge_compareILb0ELb1ElNS0_19identity_decomposerEEEEE10hipError_tT0_T1_T2_jT3_P12ihipStream_tbPNSt15iterator_traitsISG_E10value_typeEPNSM_ISH_E10value_typeEPSI_NS1_7vsmem_tEENKUlT_SG_SH_SI_E_clIS7_S7_SB_S7_EESF_SV_SG_SH_SI_EUlSV_E1_NS1_11comp_targetILNS1_3genE8ELNS1_11target_archE1030ELNS1_3gpuE2ELNS1_3repE0EEENS1_36merge_oddeven_config_static_selectorELNS0_4arch9wavefront6targetE1EEEvSH_
; %bb.0:
	.section	.rodata,"a",@progbits
	.p2align	6, 0x0
	.amdhsa_kernel _ZN7rocprim17ROCPRIM_400000_NS6detail17trampoline_kernelINS0_14default_configENS1_38merge_sort_block_merge_config_selectorIllEEZZNS1_27merge_sort_block_merge_implIS3_PlN6thrust23THRUST_200600_302600_NS10device_ptrIlEEjNS1_19radix_merge_compareILb0ELb1ElNS0_19identity_decomposerEEEEE10hipError_tT0_T1_T2_jT3_P12ihipStream_tbPNSt15iterator_traitsISG_E10value_typeEPNSM_ISH_E10value_typeEPSI_NS1_7vsmem_tEENKUlT_SG_SH_SI_E_clIS7_S7_SB_S7_EESF_SV_SG_SH_SI_EUlSV_E1_NS1_11comp_targetILNS1_3genE8ELNS1_11target_archE1030ELNS1_3gpuE2ELNS1_3repE0EEENS1_36merge_oddeven_config_static_selectorELNS0_4arch9wavefront6targetE1EEEvSH_
		.amdhsa_group_segment_fixed_size 0
		.amdhsa_private_segment_fixed_size 0
		.amdhsa_kernarg_size 48
		.amdhsa_user_sgpr_count 6
		.amdhsa_user_sgpr_private_segment_buffer 1
		.amdhsa_user_sgpr_dispatch_ptr 0
		.amdhsa_user_sgpr_queue_ptr 0
		.amdhsa_user_sgpr_kernarg_segment_ptr 1
		.amdhsa_user_sgpr_dispatch_id 0
		.amdhsa_user_sgpr_flat_scratch_init 0
		.amdhsa_user_sgpr_private_segment_size 0
		.amdhsa_uses_dynamic_stack 0
		.amdhsa_system_sgpr_private_segment_wavefront_offset 0
		.amdhsa_system_sgpr_workgroup_id_x 1
		.amdhsa_system_sgpr_workgroup_id_y 0
		.amdhsa_system_sgpr_workgroup_id_z 0
		.amdhsa_system_sgpr_workgroup_info 0
		.amdhsa_system_vgpr_workitem_id 0
		.amdhsa_next_free_vgpr 1
		.amdhsa_next_free_sgpr 0
		.amdhsa_reserve_vcc 0
		.amdhsa_reserve_flat_scratch 0
		.amdhsa_float_round_mode_32 0
		.amdhsa_float_round_mode_16_64 0
		.amdhsa_float_denorm_mode_32 3
		.amdhsa_float_denorm_mode_16_64 3
		.amdhsa_dx10_clamp 1
		.amdhsa_ieee_mode 1
		.amdhsa_fp16_overflow 0
		.amdhsa_exception_fp_ieee_invalid_op 0
		.amdhsa_exception_fp_denorm_src 0
		.amdhsa_exception_fp_ieee_div_zero 0
		.amdhsa_exception_fp_ieee_overflow 0
		.amdhsa_exception_fp_ieee_underflow 0
		.amdhsa_exception_fp_ieee_inexact 0
		.amdhsa_exception_int_div_zero 0
	.end_amdhsa_kernel
	.section	.text._ZN7rocprim17ROCPRIM_400000_NS6detail17trampoline_kernelINS0_14default_configENS1_38merge_sort_block_merge_config_selectorIllEEZZNS1_27merge_sort_block_merge_implIS3_PlN6thrust23THRUST_200600_302600_NS10device_ptrIlEEjNS1_19radix_merge_compareILb0ELb1ElNS0_19identity_decomposerEEEEE10hipError_tT0_T1_T2_jT3_P12ihipStream_tbPNSt15iterator_traitsISG_E10value_typeEPNSM_ISH_E10value_typeEPSI_NS1_7vsmem_tEENKUlT_SG_SH_SI_E_clIS7_S7_SB_S7_EESF_SV_SG_SH_SI_EUlSV_E1_NS1_11comp_targetILNS1_3genE8ELNS1_11target_archE1030ELNS1_3gpuE2ELNS1_3repE0EEENS1_36merge_oddeven_config_static_selectorELNS0_4arch9wavefront6targetE1EEEvSH_,"axG",@progbits,_ZN7rocprim17ROCPRIM_400000_NS6detail17trampoline_kernelINS0_14default_configENS1_38merge_sort_block_merge_config_selectorIllEEZZNS1_27merge_sort_block_merge_implIS3_PlN6thrust23THRUST_200600_302600_NS10device_ptrIlEEjNS1_19radix_merge_compareILb0ELb1ElNS0_19identity_decomposerEEEEE10hipError_tT0_T1_T2_jT3_P12ihipStream_tbPNSt15iterator_traitsISG_E10value_typeEPNSM_ISH_E10value_typeEPSI_NS1_7vsmem_tEENKUlT_SG_SH_SI_E_clIS7_S7_SB_S7_EESF_SV_SG_SH_SI_EUlSV_E1_NS1_11comp_targetILNS1_3genE8ELNS1_11target_archE1030ELNS1_3gpuE2ELNS1_3repE0EEENS1_36merge_oddeven_config_static_selectorELNS0_4arch9wavefront6targetE1EEEvSH_,comdat
.Lfunc_end1113:
	.size	_ZN7rocprim17ROCPRIM_400000_NS6detail17trampoline_kernelINS0_14default_configENS1_38merge_sort_block_merge_config_selectorIllEEZZNS1_27merge_sort_block_merge_implIS3_PlN6thrust23THRUST_200600_302600_NS10device_ptrIlEEjNS1_19radix_merge_compareILb0ELb1ElNS0_19identity_decomposerEEEEE10hipError_tT0_T1_T2_jT3_P12ihipStream_tbPNSt15iterator_traitsISG_E10value_typeEPNSM_ISH_E10value_typeEPSI_NS1_7vsmem_tEENKUlT_SG_SH_SI_E_clIS7_S7_SB_S7_EESF_SV_SG_SH_SI_EUlSV_E1_NS1_11comp_targetILNS1_3genE8ELNS1_11target_archE1030ELNS1_3gpuE2ELNS1_3repE0EEENS1_36merge_oddeven_config_static_selectorELNS0_4arch9wavefront6targetE1EEEvSH_, .Lfunc_end1113-_ZN7rocprim17ROCPRIM_400000_NS6detail17trampoline_kernelINS0_14default_configENS1_38merge_sort_block_merge_config_selectorIllEEZZNS1_27merge_sort_block_merge_implIS3_PlN6thrust23THRUST_200600_302600_NS10device_ptrIlEEjNS1_19radix_merge_compareILb0ELb1ElNS0_19identity_decomposerEEEEE10hipError_tT0_T1_T2_jT3_P12ihipStream_tbPNSt15iterator_traitsISG_E10value_typeEPNSM_ISH_E10value_typeEPSI_NS1_7vsmem_tEENKUlT_SG_SH_SI_E_clIS7_S7_SB_S7_EESF_SV_SG_SH_SI_EUlSV_E1_NS1_11comp_targetILNS1_3genE8ELNS1_11target_archE1030ELNS1_3gpuE2ELNS1_3repE0EEENS1_36merge_oddeven_config_static_selectorELNS0_4arch9wavefront6targetE1EEEvSH_
                                        ; -- End function
	.set _ZN7rocprim17ROCPRIM_400000_NS6detail17trampoline_kernelINS0_14default_configENS1_38merge_sort_block_merge_config_selectorIllEEZZNS1_27merge_sort_block_merge_implIS3_PlN6thrust23THRUST_200600_302600_NS10device_ptrIlEEjNS1_19radix_merge_compareILb0ELb1ElNS0_19identity_decomposerEEEEE10hipError_tT0_T1_T2_jT3_P12ihipStream_tbPNSt15iterator_traitsISG_E10value_typeEPNSM_ISH_E10value_typeEPSI_NS1_7vsmem_tEENKUlT_SG_SH_SI_E_clIS7_S7_SB_S7_EESF_SV_SG_SH_SI_EUlSV_E1_NS1_11comp_targetILNS1_3genE8ELNS1_11target_archE1030ELNS1_3gpuE2ELNS1_3repE0EEENS1_36merge_oddeven_config_static_selectorELNS0_4arch9wavefront6targetE1EEEvSH_.num_vgpr, 0
	.set _ZN7rocprim17ROCPRIM_400000_NS6detail17trampoline_kernelINS0_14default_configENS1_38merge_sort_block_merge_config_selectorIllEEZZNS1_27merge_sort_block_merge_implIS3_PlN6thrust23THRUST_200600_302600_NS10device_ptrIlEEjNS1_19radix_merge_compareILb0ELb1ElNS0_19identity_decomposerEEEEE10hipError_tT0_T1_T2_jT3_P12ihipStream_tbPNSt15iterator_traitsISG_E10value_typeEPNSM_ISH_E10value_typeEPSI_NS1_7vsmem_tEENKUlT_SG_SH_SI_E_clIS7_S7_SB_S7_EESF_SV_SG_SH_SI_EUlSV_E1_NS1_11comp_targetILNS1_3genE8ELNS1_11target_archE1030ELNS1_3gpuE2ELNS1_3repE0EEENS1_36merge_oddeven_config_static_selectorELNS0_4arch9wavefront6targetE1EEEvSH_.num_agpr, 0
	.set _ZN7rocprim17ROCPRIM_400000_NS6detail17trampoline_kernelINS0_14default_configENS1_38merge_sort_block_merge_config_selectorIllEEZZNS1_27merge_sort_block_merge_implIS3_PlN6thrust23THRUST_200600_302600_NS10device_ptrIlEEjNS1_19radix_merge_compareILb0ELb1ElNS0_19identity_decomposerEEEEE10hipError_tT0_T1_T2_jT3_P12ihipStream_tbPNSt15iterator_traitsISG_E10value_typeEPNSM_ISH_E10value_typeEPSI_NS1_7vsmem_tEENKUlT_SG_SH_SI_E_clIS7_S7_SB_S7_EESF_SV_SG_SH_SI_EUlSV_E1_NS1_11comp_targetILNS1_3genE8ELNS1_11target_archE1030ELNS1_3gpuE2ELNS1_3repE0EEENS1_36merge_oddeven_config_static_selectorELNS0_4arch9wavefront6targetE1EEEvSH_.numbered_sgpr, 0
	.set _ZN7rocprim17ROCPRIM_400000_NS6detail17trampoline_kernelINS0_14default_configENS1_38merge_sort_block_merge_config_selectorIllEEZZNS1_27merge_sort_block_merge_implIS3_PlN6thrust23THRUST_200600_302600_NS10device_ptrIlEEjNS1_19radix_merge_compareILb0ELb1ElNS0_19identity_decomposerEEEEE10hipError_tT0_T1_T2_jT3_P12ihipStream_tbPNSt15iterator_traitsISG_E10value_typeEPNSM_ISH_E10value_typeEPSI_NS1_7vsmem_tEENKUlT_SG_SH_SI_E_clIS7_S7_SB_S7_EESF_SV_SG_SH_SI_EUlSV_E1_NS1_11comp_targetILNS1_3genE8ELNS1_11target_archE1030ELNS1_3gpuE2ELNS1_3repE0EEENS1_36merge_oddeven_config_static_selectorELNS0_4arch9wavefront6targetE1EEEvSH_.num_named_barrier, 0
	.set _ZN7rocprim17ROCPRIM_400000_NS6detail17trampoline_kernelINS0_14default_configENS1_38merge_sort_block_merge_config_selectorIllEEZZNS1_27merge_sort_block_merge_implIS3_PlN6thrust23THRUST_200600_302600_NS10device_ptrIlEEjNS1_19radix_merge_compareILb0ELb1ElNS0_19identity_decomposerEEEEE10hipError_tT0_T1_T2_jT3_P12ihipStream_tbPNSt15iterator_traitsISG_E10value_typeEPNSM_ISH_E10value_typeEPSI_NS1_7vsmem_tEENKUlT_SG_SH_SI_E_clIS7_S7_SB_S7_EESF_SV_SG_SH_SI_EUlSV_E1_NS1_11comp_targetILNS1_3genE8ELNS1_11target_archE1030ELNS1_3gpuE2ELNS1_3repE0EEENS1_36merge_oddeven_config_static_selectorELNS0_4arch9wavefront6targetE1EEEvSH_.private_seg_size, 0
	.set _ZN7rocprim17ROCPRIM_400000_NS6detail17trampoline_kernelINS0_14default_configENS1_38merge_sort_block_merge_config_selectorIllEEZZNS1_27merge_sort_block_merge_implIS3_PlN6thrust23THRUST_200600_302600_NS10device_ptrIlEEjNS1_19radix_merge_compareILb0ELb1ElNS0_19identity_decomposerEEEEE10hipError_tT0_T1_T2_jT3_P12ihipStream_tbPNSt15iterator_traitsISG_E10value_typeEPNSM_ISH_E10value_typeEPSI_NS1_7vsmem_tEENKUlT_SG_SH_SI_E_clIS7_S7_SB_S7_EESF_SV_SG_SH_SI_EUlSV_E1_NS1_11comp_targetILNS1_3genE8ELNS1_11target_archE1030ELNS1_3gpuE2ELNS1_3repE0EEENS1_36merge_oddeven_config_static_selectorELNS0_4arch9wavefront6targetE1EEEvSH_.uses_vcc, 0
	.set _ZN7rocprim17ROCPRIM_400000_NS6detail17trampoline_kernelINS0_14default_configENS1_38merge_sort_block_merge_config_selectorIllEEZZNS1_27merge_sort_block_merge_implIS3_PlN6thrust23THRUST_200600_302600_NS10device_ptrIlEEjNS1_19radix_merge_compareILb0ELb1ElNS0_19identity_decomposerEEEEE10hipError_tT0_T1_T2_jT3_P12ihipStream_tbPNSt15iterator_traitsISG_E10value_typeEPNSM_ISH_E10value_typeEPSI_NS1_7vsmem_tEENKUlT_SG_SH_SI_E_clIS7_S7_SB_S7_EESF_SV_SG_SH_SI_EUlSV_E1_NS1_11comp_targetILNS1_3genE8ELNS1_11target_archE1030ELNS1_3gpuE2ELNS1_3repE0EEENS1_36merge_oddeven_config_static_selectorELNS0_4arch9wavefront6targetE1EEEvSH_.uses_flat_scratch, 0
	.set _ZN7rocprim17ROCPRIM_400000_NS6detail17trampoline_kernelINS0_14default_configENS1_38merge_sort_block_merge_config_selectorIllEEZZNS1_27merge_sort_block_merge_implIS3_PlN6thrust23THRUST_200600_302600_NS10device_ptrIlEEjNS1_19radix_merge_compareILb0ELb1ElNS0_19identity_decomposerEEEEE10hipError_tT0_T1_T2_jT3_P12ihipStream_tbPNSt15iterator_traitsISG_E10value_typeEPNSM_ISH_E10value_typeEPSI_NS1_7vsmem_tEENKUlT_SG_SH_SI_E_clIS7_S7_SB_S7_EESF_SV_SG_SH_SI_EUlSV_E1_NS1_11comp_targetILNS1_3genE8ELNS1_11target_archE1030ELNS1_3gpuE2ELNS1_3repE0EEENS1_36merge_oddeven_config_static_selectorELNS0_4arch9wavefront6targetE1EEEvSH_.has_dyn_sized_stack, 0
	.set _ZN7rocprim17ROCPRIM_400000_NS6detail17trampoline_kernelINS0_14default_configENS1_38merge_sort_block_merge_config_selectorIllEEZZNS1_27merge_sort_block_merge_implIS3_PlN6thrust23THRUST_200600_302600_NS10device_ptrIlEEjNS1_19radix_merge_compareILb0ELb1ElNS0_19identity_decomposerEEEEE10hipError_tT0_T1_T2_jT3_P12ihipStream_tbPNSt15iterator_traitsISG_E10value_typeEPNSM_ISH_E10value_typeEPSI_NS1_7vsmem_tEENKUlT_SG_SH_SI_E_clIS7_S7_SB_S7_EESF_SV_SG_SH_SI_EUlSV_E1_NS1_11comp_targetILNS1_3genE8ELNS1_11target_archE1030ELNS1_3gpuE2ELNS1_3repE0EEENS1_36merge_oddeven_config_static_selectorELNS0_4arch9wavefront6targetE1EEEvSH_.has_recursion, 0
	.set _ZN7rocprim17ROCPRIM_400000_NS6detail17trampoline_kernelINS0_14default_configENS1_38merge_sort_block_merge_config_selectorIllEEZZNS1_27merge_sort_block_merge_implIS3_PlN6thrust23THRUST_200600_302600_NS10device_ptrIlEEjNS1_19radix_merge_compareILb0ELb1ElNS0_19identity_decomposerEEEEE10hipError_tT0_T1_T2_jT3_P12ihipStream_tbPNSt15iterator_traitsISG_E10value_typeEPNSM_ISH_E10value_typeEPSI_NS1_7vsmem_tEENKUlT_SG_SH_SI_E_clIS7_S7_SB_S7_EESF_SV_SG_SH_SI_EUlSV_E1_NS1_11comp_targetILNS1_3genE8ELNS1_11target_archE1030ELNS1_3gpuE2ELNS1_3repE0EEENS1_36merge_oddeven_config_static_selectorELNS0_4arch9wavefront6targetE1EEEvSH_.has_indirect_call, 0
	.section	.AMDGPU.csdata,"",@progbits
; Kernel info:
; codeLenInByte = 0
; TotalNumSgprs: 4
; NumVgprs: 0
; ScratchSize: 0
; MemoryBound: 0
; FloatMode: 240
; IeeeMode: 1
; LDSByteSize: 0 bytes/workgroup (compile time only)
; SGPRBlocks: 0
; VGPRBlocks: 0
; NumSGPRsForWavesPerEU: 4
; NumVGPRsForWavesPerEU: 1
; Occupancy: 10
; WaveLimiterHint : 0
; COMPUTE_PGM_RSRC2:SCRATCH_EN: 0
; COMPUTE_PGM_RSRC2:USER_SGPR: 6
; COMPUTE_PGM_RSRC2:TRAP_HANDLER: 0
; COMPUTE_PGM_RSRC2:TGID_X_EN: 1
; COMPUTE_PGM_RSRC2:TGID_Y_EN: 0
; COMPUTE_PGM_RSRC2:TGID_Z_EN: 0
; COMPUTE_PGM_RSRC2:TIDIG_COMP_CNT: 0
	.section	.text._ZN7rocprim17ROCPRIM_400000_NS6detail17trampoline_kernelINS0_14default_configENS1_35radix_sort_onesweep_config_selectorIllEEZNS1_34radix_sort_onesweep_global_offsetsIS3_Lb0EPlN6thrust23THRUST_200600_302600_NS10device_ptrIlEEjNS0_19identity_decomposerEEE10hipError_tT1_T2_PT3_SG_jT4_jjP12ihipStream_tbEUlT_E_NS1_11comp_targetILNS1_3genE0ELNS1_11target_archE4294967295ELNS1_3gpuE0ELNS1_3repE0EEENS1_52radix_sort_onesweep_histogram_config_static_selectorELNS0_4arch9wavefront6targetE1EEEvSE_,"axG",@progbits,_ZN7rocprim17ROCPRIM_400000_NS6detail17trampoline_kernelINS0_14default_configENS1_35radix_sort_onesweep_config_selectorIllEEZNS1_34radix_sort_onesweep_global_offsetsIS3_Lb0EPlN6thrust23THRUST_200600_302600_NS10device_ptrIlEEjNS0_19identity_decomposerEEE10hipError_tT1_T2_PT3_SG_jT4_jjP12ihipStream_tbEUlT_E_NS1_11comp_targetILNS1_3genE0ELNS1_11target_archE4294967295ELNS1_3gpuE0ELNS1_3repE0EEENS1_52radix_sort_onesweep_histogram_config_static_selectorELNS0_4arch9wavefront6targetE1EEEvSE_,comdat
	.protected	_ZN7rocprim17ROCPRIM_400000_NS6detail17trampoline_kernelINS0_14default_configENS1_35radix_sort_onesweep_config_selectorIllEEZNS1_34radix_sort_onesweep_global_offsetsIS3_Lb0EPlN6thrust23THRUST_200600_302600_NS10device_ptrIlEEjNS0_19identity_decomposerEEE10hipError_tT1_T2_PT3_SG_jT4_jjP12ihipStream_tbEUlT_E_NS1_11comp_targetILNS1_3genE0ELNS1_11target_archE4294967295ELNS1_3gpuE0ELNS1_3repE0EEENS1_52radix_sort_onesweep_histogram_config_static_selectorELNS0_4arch9wavefront6targetE1EEEvSE_ ; -- Begin function _ZN7rocprim17ROCPRIM_400000_NS6detail17trampoline_kernelINS0_14default_configENS1_35radix_sort_onesweep_config_selectorIllEEZNS1_34radix_sort_onesweep_global_offsetsIS3_Lb0EPlN6thrust23THRUST_200600_302600_NS10device_ptrIlEEjNS0_19identity_decomposerEEE10hipError_tT1_T2_PT3_SG_jT4_jjP12ihipStream_tbEUlT_E_NS1_11comp_targetILNS1_3genE0ELNS1_11target_archE4294967295ELNS1_3gpuE0ELNS1_3repE0EEENS1_52radix_sort_onesweep_histogram_config_static_selectorELNS0_4arch9wavefront6targetE1EEEvSE_
	.globl	_ZN7rocprim17ROCPRIM_400000_NS6detail17trampoline_kernelINS0_14default_configENS1_35radix_sort_onesweep_config_selectorIllEEZNS1_34radix_sort_onesweep_global_offsetsIS3_Lb0EPlN6thrust23THRUST_200600_302600_NS10device_ptrIlEEjNS0_19identity_decomposerEEE10hipError_tT1_T2_PT3_SG_jT4_jjP12ihipStream_tbEUlT_E_NS1_11comp_targetILNS1_3genE0ELNS1_11target_archE4294967295ELNS1_3gpuE0ELNS1_3repE0EEENS1_52radix_sort_onesweep_histogram_config_static_selectorELNS0_4arch9wavefront6targetE1EEEvSE_
	.p2align	8
	.type	_ZN7rocprim17ROCPRIM_400000_NS6detail17trampoline_kernelINS0_14default_configENS1_35radix_sort_onesweep_config_selectorIllEEZNS1_34radix_sort_onesweep_global_offsetsIS3_Lb0EPlN6thrust23THRUST_200600_302600_NS10device_ptrIlEEjNS0_19identity_decomposerEEE10hipError_tT1_T2_PT3_SG_jT4_jjP12ihipStream_tbEUlT_E_NS1_11comp_targetILNS1_3genE0ELNS1_11target_archE4294967295ELNS1_3gpuE0ELNS1_3repE0EEENS1_52radix_sort_onesweep_histogram_config_static_selectorELNS0_4arch9wavefront6targetE1EEEvSE_,@function
_ZN7rocprim17ROCPRIM_400000_NS6detail17trampoline_kernelINS0_14default_configENS1_35radix_sort_onesweep_config_selectorIllEEZNS1_34radix_sort_onesweep_global_offsetsIS3_Lb0EPlN6thrust23THRUST_200600_302600_NS10device_ptrIlEEjNS0_19identity_decomposerEEE10hipError_tT1_T2_PT3_SG_jT4_jjP12ihipStream_tbEUlT_E_NS1_11comp_targetILNS1_3genE0ELNS1_11target_archE4294967295ELNS1_3gpuE0ELNS1_3repE0EEENS1_52radix_sort_onesweep_histogram_config_static_selectorELNS0_4arch9wavefront6targetE1EEEvSE_: ; @_ZN7rocprim17ROCPRIM_400000_NS6detail17trampoline_kernelINS0_14default_configENS1_35radix_sort_onesweep_config_selectorIllEEZNS1_34radix_sort_onesweep_global_offsetsIS3_Lb0EPlN6thrust23THRUST_200600_302600_NS10device_ptrIlEEjNS0_19identity_decomposerEEE10hipError_tT1_T2_PT3_SG_jT4_jjP12ihipStream_tbEUlT_E_NS1_11comp_targetILNS1_3genE0ELNS1_11target_archE4294967295ELNS1_3gpuE0ELNS1_3repE0EEENS1_52radix_sort_onesweep_histogram_config_static_selectorELNS0_4arch9wavefront6targetE1EEEvSE_
; %bb.0:
	.section	.rodata,"a",@progbits
	.p2align	6, 0x0
	.amdhsa_kernel _ZN7rocprim17ROCPRIM_400000_NS6detail17trampoline_kernelINS0_14default_configENS1_35radix_sort_onesweep_config_selectorIllEEZNS1_34radix_sort_onesweep_global_offsetsIS3_Lb0EPlN6thrust23THRUST_200600_302600_NS10device_ptrIlEEjNS0_19identity_decomposerEEE10hipError_tT1_T2_PT3_SG_jT4_jjP12ihipStream_tbEUlT_E_NS1_11comp_targetILNS1_3genE0ELNS1_11target_archE4294967295ELNS1_3gpuE0ELNS1_3repE0EEENS1_52radix_sort_onesweep_histogram_config_static_selectorELNS0_4arch9wavefront6targetE1EEEvSE_
		.amdhsa_group_segment_fixed_size 0
		.amdhsa_private_segment_fixed_size 0
		.amdhsa_kernarg_size 40
		.amdhsa_user_sgpr_count 6
		.amdhsa_user_sgpr_private_segment_buffer 1
		.amdhsa_user_sgpr_dispatch_ptr 0
		.amdhsa_user_sgpr_queue_ptr 0
		.amdhsa_user_sgpr_kernarg_segment_ptr 1
		.amdhsa_user_sgpr_dispatch_id 0
		.amdhsa_user_sgpr_flat_scratch_init 0
		.amdhsa_user_sgpr_private_segment_size 0
		.amdhsa_uses_dynamic_stack 0
		.amdhsa_system_sgpr_private_segment_wavefront_offset 0
		.amdhsa_system_sgpr_workgroup_id_x 1
		.amdhsa_system_sgpr_workgroup_id_y 0
		.amdhsa_system_sgpr_workgroup_id_z 0
		.amdhsa_system_sgpr_workgroup_info 0
		.amdhsa_system_vgpr_workitem_id 0
		.amdhsa_next_free_vgpr 1
		.amdhsa_next_free_sgpr 0
		.amdhsa_reserve_vcc 0
		.amdhsa_reserve_flat_scratch 0
		.amdhsa_float_round_mode_32 0
		.amdhsa_float_round_mode_16_64 0
		.amdhsa_float_denorm_mode_32 3
		.amdhsa_float_denorm_mode_16_64 3
		.amdhsa_dx10_clamp 1
		.amdhsa_ieee_mode 1
		.amdhsa_fp16_overflow 0
		.amdhsa_exception_fp_ieee_invalid_op 0
		.amdhsa_exception_fp_denorm_src 0
		.amdhsa_exception_fp_ieee_div_zero 0
		.amdhsa_exception_fp_ieee_overflow 0
		.amdhsa_exception_fp_ieee_underflow 0
		.amdhsa_exception_fp_ieee_inexact 0
		.amdhsa_exception_int_div_zero 0
	.end_amdhsa_kernel
	.section	.text._ZN7rocprim17ROCPRIM_400000_NS6detail17trampoline_kernelINS0_14default_configENS1_35radix_sort_onesweep_config_selectorIllEEZNS1_34radix_sort_onesweep_global_offsetsIS3_Lb0EPlN6thrust23THRUST_200600_302600_NS10device_ptrIlEEjNS0_19identity_decomposerEEE10hipError_tT1_T2_PT3_SG_jT4_jjP12ihipStream_tbEUlT_E_NS1_11comp_targetILNS1_3genE0ELNS1_11target_archE4294967295ELNS1_3gpuE0ELNS1_3repE0EEENS1_52radix_sort_onesweep_histogram_config_static_selectorELNS0_4arch9wavefront6targetE1EEEvSE_,"axG",@progbits,_ZN7rocprim17ROCPRIM_400000_NS6detail17trampoline_kernelINS0_14default_configENS1_35radix_sort_onesweep_config_selectorIllEEZNS1_34radix_sort_onesweep_global_offsetsIS3_Lb0EPlN6thrust23THRUST_200600_302600_NS10device_ptrIlEEjNS0_19identity_decomposerEEE10hipError_tT1_T2_PT3_SG_jT4_jjP12ihipStream_tbEUlT_E_NS1_11comp_targetILNS1_3genE0ELNS1_11target_archE4294967295ELNS1_3gpuE0ELNS1_3repE0EEENS1_52radix_sort_onesweep_histogram_config_static_selectorELNS0_4arch9wavefront6targetE1EEEvSE_,comdat
.Lfunc_end1114:
	.size	_ZN7rocprim17ROCPRIM_400000_NS6detail17trampoline_kernelINS0_14default_configENS1_35radix_sort_onesweep_config_selectorIllEEZNS1_34radix_sort_onesweep_global_offsetsIS3_Lb0EPlN6thrust23THRUST_200600_302600_NS10device_ptrIlEEjNS0_19identity_decomposerEEE10hipError_tT1_T2_PT3_SG_jT4_jjP12ihipStream_tbEUlT_E_NS1_11comp_targetILNS1_3genE0ELNS1_11target_archE4294967295ELNS1_3gpuE0ELNS1_3repE0EEENS1_52radix_sort_onesweep_histogram_config_static_selectorELNS0_4arch9wavefront6targetE1EEEvSE_, .Lfunc_end1114-_ZN7rocprim17ROCPRIM_400000_NS6detail17trampoline_kernelINS0_14default_configENS1_35radix_sort_onesweep_config_selectorIllEEZNS1_34radix_sort_onesweep_global_offsetsIS3_Lb0EPlN6thrust23THRUST_200600_302600_NS10device_ptrIlEEjNS0_19identity_decomposerEEE10hipError_tT1_T2_PT3_SG_jT4_jjP12ihipStream_tbEUlT_E_NS1_11comp_targetILNS1_3genE0ELNS1_11target_archE4294967295ELNS1_3gpuE0ELNS1_3repE0EEENS1_52radix_sort_onesweep_histogram_config_static_selectorELNS0_4arch9wavefront6targetE1EEEvSE_
                                        ; -- End function
	.set _ZN7rocprim17ROCPRIM_400000_NS6detail17trampoline_kernelINS0_14default_configENS1_35radix_sort_onesweep_config_selectorIllEEZNS1_34radix_sort_onesweep_global_offsetsIS3_Lb0EPlN6thrust23THRUST_200600_302600_NS10device_ptrIlEEjNS0_19identity_decomposerEEE10hipError_tT1_T2_PT3_SG_jT4_jjP12ihipStream_tbEUlT_E_NS1_11comp_targetILNS1_3genE0ELNS1_11target_archE4294967295ELNS1_3gpuE0ELNS1_3repE0EEENS1_52radix_sort_onesweep_histogram_config_static_selectorELNS0_4arch9wavefront6targetE1EEEvSE_.num_vgpr, 0
	.set _ZN7rocprim17ROCPRIM_400000_NS6detail17trampoline_kernelINS0_14default_configENS1_35radix_sort_onesweep_config_selectorIllEEZNS1_34radix_sort_onesweep_global_offsetsIS3_Lb0EPlN6thrust23THRUST_200600_302600_NS10device_ptrIlEEjNS0_19identity_decomposerEEE10hipError_tT1_T2_PT3_SG_jT4_jjP12ihipStream_tbEUlT_E_NS1_11comp_targetILNS1_3genE0ELNS1_11target_archE4294967295ELNS1_3gpuE0ELNS1_3repE0EEENS1_52radix_sort_onesweep_histogram_config_static_selectorELNS0_4arch9wavefront6targetE1EEEvSE_.num_agpr, 0
	.set _ZN7rocprim17ROCPRIM_400000_NS6detail17trampoline_kernelINS0_14default_configENS1_35radix_sort_onesweep_config_selectorIllEEZNS1_34radix_sort_onesweep_global_offsetsIS3_Lb0EPlN6thrust23THRUST_200600_302600_NS10device_ptrIlEEjNS0_19identity_decomposerEEE10hipError_tT1_T2_PT3_SG_jT4_jjP12ihipStream_tbEUlT_E_NS1_11comp_targetILNS1_3genE0ELNS1_11target_archE4294967295ELNS1_3gpuE0ELNS1_3repE0EEENS1_52radix_sort_onesweep_histogram_config_static_selectorELNS0_4arch9wavefront6targetE1EEEvSE_.numbered_sgpr, 0
	.set _ZN7rocprim17ROCPRIM_400000_NS6detail17trampoline_kernelINS0_14default_configENS1_35radix_sort_onesweep_config_selectorIllEEZNS1_34radix_sort_onesweep_global_offsetsIS3_Lb0EPlN6thrust23THRUST_200600_302600_NS10device_ptrIlEEjNS0_19identity_decomposerEEE10hipError_tT1_T2_PT3_SG_jT4_jjP12ihipStream_tbEUlT_E_NS1_11comp_targetILNS1_3genE0ELNS1_11target_archE4294967295ELNS1_3gpuE0ELNS1_3repE0EEENS1_52radix_sort_onesweep_histogram_config_static_selectorELNS0_4arch9wavefront6targetE1EEEvSE_.num_named_barrier, 0
	.set _ZN7rocprim17ROCPRIM_400000_NS6detail17trampoline_kernelINS0_14default_configENS1_35radix_sort_onesweep_config_selectorIllEEZNS1_34radix_sort_onesweep_global_offsetsIS3_Lb0EPlN6thrust23THRUST_200600_302600_NS10device_ptrIlEEjNS0_19identity_decomposerEEE10hipError_tT1_T2_PT3_SG_jT4_jjP12ihipStream_tbEUlT_E_NS1_11comp_targetILNS1_3genE0ELNS1_11target_archE4294967295ELNS1_3gpuE0ELNS1_3repE0EEENS1_52radix_sort_onesweep_histogram_config_static_selectorELNS0_4arch9wavefront6targetE1EEEvSE_.private_seg_size, 0
	.set _ZN7rocprim17ROCPRIM_400000_NS6detail17trampoline_kernelINS0_14default_configENS1_35radix_sort_onesweep_config_selectorIllEEZNS1_34radix_sort_onesweep_global_offsetsIS3_Lb0EPlN6thrust23THRUST_200600_302600_NS10device_ptrIlEEjNS0_19identity_decomposerEEE10hipError_tT1_T2_PT3_SG_jT4_jjP12ihipStream_tbEUlT_E_NS1_11comp_targetILNS1_3genE0ELNS1_11target_archE4294967295ELNS1_3gpuE0ELNS1_3repE0EEENS1_52radix_sort_onesweep_histogram_config_static_selectorELNS0_4arch9wavefront6targetE1EEEvSE_.uses_vcc, 0
	.set _ZN7rocprim17ROCPRIM_400000_NS6detail17trampoline_kernelINS0_14default_configENS1_35radix_sort_onesweep_config_selectorIllEEZNS1_34radix_sort_onesweep_global_offsetsIS3_Lb0EPlN6thrust23THRUST_200600_302600_NS10device_ptrIlEEjNS0_19identity_decomposerEEE10hipError_tT1_T2_PT3_SG_jT4_jjP12ihipStream_tbEUlT_E_NS1_11comp_targetILNS1_3genE0ELNS1_11target_archE4294967295ELNS1_3gpuE0ELNS1_3repE0EEENS1_52radix_sort_onesweep_histogram_config_static_selectorELNS0_4arch9wavefront6targetE1EEEvSE_.uses_flat_scratch, 0
	.set _ZN7rocprim17ROCPRIM_400000_NS6detail17trampoline_kernelINS0_14default_configENS1_35radix_sort_onesweep_config_selectorIllEEZNS1_34radix_sort_onesweep_global_offsetsIS3_Lb0EPlN6thrust23THRUST_200600_302600_NS10device_ptrIlEEjNS0_19identity_decomposerEEE10hipError_tT1_T2_PT3_SG_jT4_jjP12ihipStream_tbEUlT_E_NS1_11comp_targetILNS1_3genE0ELNS1_11target_archE4294967295ELNS1_3gpuE0ELNS1_3repE0EEENS1_52radix_sort_onesweep_histogram_config_static_selectorELNS0_4arch9wavefront6targetE1EEEvSE_.has_dyn_sized_stack, 0
	.set _ZN7rocprim17ROCPRIM_400000_NS6detail17trampoline_kernelINS0_14default_configENS1_35radix_sort_onesweep_config_selectorIllEEZNS1_34radix_sort_onesweep_global_offsetsIS3_Lb0EPlN6thrust23THRUST_200600_302600_NS10device_ptrIlEEjNS0_19identity_decomposerEEE10hipError_tT1_T2_PT3_SG_jT4_jjP12ihipStream_tbEUlT_E_NS1_11comp_targetILNS1_3genE0ELNS1_11target_archE4294967295ELNS1_3gpuE0ELNS1_3repE0EEENS1_52radix_sort_onesweep_histogram_config_static_selectorELNS0_4arch9wavefront6targetE1EEEvSE_.has_recursion, 0
	.set _ZN7rocprim17ROCPRIM_400000_NS6detail17trampoline_kernelINS0_14default_configENS1_35radix_sort_onesweep_config_selectorIllEEZNS1_34radix_sort_onesweep_global_offsetsIS3_Lb0EPlN6thrust23THRUST_200600_302600_NS10device_ptrIlEEjNS0_19identity_decomposerEEE10hipError_tT1_T2_PT3_SG_jT4_jjP12ihipStream_tbEUlT_E_NS1_11comp_targetILNS1_3genE0ELNS1_11target_archE4294967295ELNS1_3gpuE0ELNS1_3repE0EEENS1_52radix_sort_onesweep_histogram_config_static_selectorELNS0_4arch9wavefront6targetE1EEEvSE_.has_indirect_call, 0
	.section	.AMDGPU.csdata,"",@progbits
; Kernel info:
; codeLenInByte = 0
; TotalNumSgprs: 4
; NumVgprs: 0
; ScratchSize: 0
; MemoryBound: 0
; FloatMode: 240
; IeeeMode: 1
; LDSByteSize: 0 bytes/workgroup (compile time only)
; SGPRBlocks: 0
; VGPRBlocks: 0
; NumSGPRsForWavesPerEU: 4
; NumVGPRsForWavesPerEU: 1
; Occupancy: 10
; WaveLimiterHint : 0
; COMPUTE_PGM_RSRC2:SCRATCH_EN: 0
; COMPUTE_PGM_RSRC2:USER_SGPR: 6
; COMPUTE_PGM_RSRC2:TRAP_HANDLER: 0
; COMPUTE_PGM_RSRC2:TGID_X_EN: 1
; COMPUTE_PGM_RSRC2:TGID_Y_EN: 0
; COMPUTE_PGM_RSRC2:TGID_Z_EN: 0
; COMPUTE_PGM_RSRC2:TIDIG_COMP_CNT: 0
	.section	.text._ZN7rocprim17ROCPRIM_400000_NS6detail17trampoline_kernelINS0_14default_configENS1_35radix_sort_onesweep_config_selectorIllEEZNS1_34radix_sort_onesweep_global_offsetsIS3_Lb0EPlN6thrust23THRUST_200600_302600_NS10device_ptrIlEEjNS0_19identity_decomposerEEE10hipError_tT1_T2_PT3_SG_jT4_jjP12ihipStream_tbEUlT_E_NS1_11comp_targetILNS1_3genE6ELNS1_11target_archE950ELNS1_3gpuE13ELNS1_3repE0EEENS1_52radix_sort_onesweep_histogram_config_static_selectorELNS0_4arch9wavefront6targetE1EEEvSE_,"axG",@progbits,_ZN7rocprim17ROCPRIM_400000_NS6detail17trampoline_kernelINS0_14default_configENS1_35radix_sort_onesweep_config_selectorIllEEZNS1_34radix_sort_onesweep_global_offsetsIS3_Lb0EPlN6thrust23THRUST_200600_302600_NS10device_ptrIlEEjNS0_19identity_decomposerEEE10hipError_tT1_T2_PT3_SG_jT4_jjP12ihipStream_tbEUlT_E_NS1_11comp_targetILNS1_3genE6ELNS1_11target_archE950ELNS1_3gpuE13ELNS1_3repE0EEENS1_52radix_sort_onesweep_histogram_config_static_selectorELNS0_4arch9wavefront6targetE1EEEvSE_,comdat
	.protected	_ZN7rocprim17ROCPRIM_400000_NS6detail17trampoline_kernelINS0_14default_configENS1_35radix_sort_onesweep_config_selectorIllEEZNS1_34radix_sort_onesweep_global_offsetsIS3_Lb0EPlN6thrust23THRUST_200600_302600_NS10device_ptrIlEEjNS0_19identity_decomposerEEE10hipError_tT1_T2_PT3_SG_jT4_jjP12ihipStream_tbEUlT_E_NS1_11comp_targetILNS1_3genE6ELNS1_11target_archE950ELNS1_3gpuE13ELNS1_3repE0EEENS1_52radix_sort_onesweep_histogram_config_static_selectorELNS0_4arch9wavefront6targetE1EEEvSE_ ; -- Begin function _ZN7rocprim17ROCPRIM_400000_NS6detail17trampoline_kernelINS0_14default_configENS1_35radix_sort_onesweep_config_selectorIllEEZNS1_34radix_sort_onesweep_global_offsetsIS3_Lb0EPlN6thrust23THRUST_200600_302600_NS10device_ptrIlEEjNS0_19identity_decomposerEEE10hipError_tT1_T2_PT3_SG_jT4_jjP12ihipStream_tbEUlT_E_NS1_11comp_targetILNS1_3genE6ELNS1_11target_archE950ELNS1_3gpuE13ELNS1_3repE0EEENS1_52radix_sort_onesweep_histogram_config_static_selectorELNS0_4arch9wavefront6targetE1EEEvSE_
	.globl	_ZN7rocprim17ROCPRIM_400000_NS6detail17trampoline_kernelINS0_14default_configENS1_35radix_sort_onesweep_config_selectorIllEEZNS1_34radix_sort_onesweep_global_offsetsIS3_Lb0EPlN6thrust23THRUST_200600_302600_NS10device_ptrIlEEjNS0_19identity_decomposerEEE10hipError_tT1_T2_PT3_SG_jT4_jjP12ihipStream_tbEUlT_E_NS1_11comp_targetILNS1_3genE6ELNS1_11target_archE950ELNS1_3gpuE13ELNS1_3repE0EEENS1_52radix_sort_onesweep_histogram_config_static_selectorELNS0_4arch9wavefront6targetE1EEEvSE_
	.p2align	8
	.type	_ZN7rocprim17ROCPRIM_400000_NS6detail17trampoline_kernelINS0_14default_configENS1_35radix_sort_onesweep_config_selectorIllEEZNS1_34radix_sort_onesweep_global_offsetsIS3_Lb0EPlN6thrust23THRUST_200600_302600_NS10device_ptrIlEEjNS0_19identity_decomposerEEE10hipError_tT1_T2_PT3_SG_jT4_jjP12ihipStream_tbEUlT_E_NS1_11comp_targetILNS1_3genE6ELNS1_11target_archE950ELNS1_3gpuE13ELNS1_3repE0EEENS1_52radix_sort_onesweep_histogram_config_static_selectorELNS0_4arch9wavefront6targetE1EEEvSE_,@function
_ZN7rocprim17ROCPRIM_400000_NS6detail17trampoline_kernelINS0_14default_configENS1_35radix_sort_onesweep_config_selectorIllEEZNS1_34radix_sort_onesweep_global_offsetsIS3_Lb0EPlN6thrust23THRUST_200600_302600_NS10device_ptrIlEEjNS0_19identity_decomposerEEE10hipError_tT1_T2_PT3_SG_jT4_jjP12ihipStream_tbEUlT_E_NS1_11comp_targetILNS1_3genE6ELNS1_11target_archE950ELNS1_3gpuE13ELNS1_3repE0EEENS1_52radix_sort_onesweep_histogram_config_static_selectorELNS0_4arch9wavefront6targetE1EEEvSE_: ; @_ZN7rocprim17ROCPRIM_400000_NS6detail17trampoline_kernelINS0_14default_configENS1_35radix_sort_onesweep_config_selectorIllEEZNS1_34radix_sort_onesweep_global_offsetsIS3_Lb0EPlN6thrust23THRUST_200600_302600_NS10device_ptrIlEEjNS0_19identity_decomposerEEE10hipError_tT1_T2_PT3_SG_jT4_jjP12ihipStream_tbEUlT_E_NS1_11comp_targetILNS1_3genE6ELNS1_11target_archE950ELNS1_3gpuE13ELNS1_3repE0EEENS1_52radix_sort_onesweep_histogram_config_static_selectorELNS0_4arch9wavefront6targetE1EEEvSE_
; %bb.0:
	.section	.rodata,"a",@progbits
	.p2align	6, 0x0
	.amdhsa_kernel _ZN7rocprim17ROCPRIM_400000_NS6detail17trampoline_kernelINS0_14default_configENS1_35radix_sort_onesweep_config_selectorIllEEZNS1_34radix_sort_onesweep_global_offsetsIS3_Lb0EPlN6thrust23THRUST_200600_302600_NS10device_ptrIlEEjNS0_19identity_decomposerEEE10hipError_tT1_T2_PT3_SG_jT4_jjP12ihipStream_tbEUlT_E_NS1_11comp_targetILNS1_3genE6ELNS1_11target_archE950ELNS1_3gpuE13ELNS1_3repE0EEENS1_52radix_sort_onesweep_histogram_config_static_selectorELNS0_4arch9wavefront6targetE1EEEvSE_
		.amdhsa_group_segment_fixed_size 0
		.amdhsa_private_segment_fixed_size 0
		.amdhsa_kernarg_size 40
		.amdhsa_user_sgpr_count 6
		.amdhsa_user_sgpr_private_segment_buffer 1
		.amdhsa_user_sgpr_dispatch_ptr 0
		.amdhsa_user_sgpr_queue_ptr 0
		.amdhsa_user_sgpr_kernarg_segment_ptr 1
		.amdhsa_user_sgpr_dispatch_id 0
		.amdhsa_user_sgpr_flat_scratch_init 0
		.amdhsa_user_sgpr_private_segment_size 0
		.amdhsa_uses_dynamic_stack 0
		.amdhsa_system_sgpr_private_segment_wavefront_offset 0
		.amdhsa_system_sgpr_workgroup_id_x 1
		.amdhsa_system_sgpr_workgroup_id_y 0
		.amdhsa_system_sgpr_workgroup_id_z 0
		.amdhsa_system_sgpr_workgroup_info 0
		.amdhsa_system_vgpr_workitem_id 0
		.amdhsa_next_free_vgpr 1
		.amdhsa_next_free_sgpr 0
		.amdhsa_reserve_vcc 0
		.amdhsa_reserve_flat_scratch 0
		.amdhsa_float_round_mode_32 0
		.amdhsa_float_round_mode_16_64 0
		.amdhsa_float_denorm_mode_32 3
		.amdhsa_float_denorm_mode_16_64 3
		.amdhsa_dx10_clamp 1
		.amdhsa_ieee_mode 1
		.amdhsa_fp16_overflow 0
		.amdhsa_exception_fp_ieee_invalid_op 0
		.amdhsa_exception_fp_denorm_src 0
		.amdhsa_exception_fp_ieee_div_zero 0
		.amdhsa_exception_fp_ieee_overflow 0
		.amdhsa_exception_fp_ieee_underflow 0
		.amdhsa_exception_fp_ieee_inexact 0
		.amdhsa_exception_int_div_zero 0
	.end_amdhsa_kernel
	.section	.text._ZN7rocprim17ROCPRIM_400000_NS6detail17trampoline_kernelINS0_14default_configENS1_35radix_sort_onesweep_config_selectorIllEEZNS1_34radix_sort_onesweep_global_offsetsIS3_Lb0EPlN6thrust23THRUST_200600_302600_NS10device_ptrIlEEjNS0_19identity_decomposerEEE10hipError_tT1_T2_PT3_SG_jT4_jjP12ihipStream_tbEUlT_E_NS1_11comp_targetILNS1_3genE6ELNS1_11target_archE950ELNS1_3gpuE13ELNS1_3repE0EEENS1_52radix_sort_onesweep_histogram_config_static_selectorELNS0_4arch9wavefront6targetE1EEEvSE_,"axG",@progbits,_ZN7rocprim17ROCPRIM_400000_NS6detail17trampoline_kernelINS0_14default_configENS1_35radix_sort_onesweep_config_selectorIllEEZNS1_34radix_sort_onesweep_global_offsetsIS3_Lb0EPlN6thrust23THRUST_200600_302600_NS10device_ptrIlEEjNS0_19identity_decomposerEEE10hipError_tT1_T2_PT3_SG_jT4_jjP12ihipStream_tbEUlT_E_NS1_11comp_targetILNS1_3genE6ELNS1_11target_archE950ELNS1_3gpuE13ELNS1_3repE0EEENS1_52radix_sort_onesweep_histogram_config_static_selectorELNS0_4arch9wavefront6targetE1EEEvSE_,comdat
.Lfunc_end1115:
	.size	_ZN7rocprim17ROCPRIM_400000_NS6detail17trampoline_kernelINS0_14default_configENS1_35radix_sort_onesweep_config_selectorIllEEZNS1_34radix_sort_onesweep_global_offsetsIS3_Lb0EPlN6thrust23THRUST_200600_302600_NS10device_ptrIlEEjNS0_19identity_decomposerEEE10hipError_tT1_T2_PT3_SG_jT4_jjP12ihipStream_tbEUlT_E_NS1_11comp_targetILNS1_3genE6ELNS1_11target_archE950ELNS1_3gpuE13ELNS1_3repE0EEENS1_52radix_sort_onesweep_histogram_config_static_selectorELNS0_4arch9wavefront6targetE1EEEvSE_, .Lfunc_end1115-_ZN7rocprim17ROCPRIM_400000_NS6detail17trampoline_kernelINS0_14default_configENS1_35radix_sort_onesweep_config_selectorIllEEZNS1_34radix_sort_onesweep_global_offsetsIS3_Lb0EPlN6thrust23THRUST_200600_302600_NS10device_ptrIlEEjNS0_19identity_decomposerEEE10hipError_tT1_T2_PT3_SG_jT4_jjP12ihipStream_tbEUlT_E_NS1_11comp_targetILNS1_3genE6ELNS1_11target_archE950ELNS1_3gpuE13ELNS1_3repE0EEENS1_52radix_sort_onesweep_histogram_config_static_selectorELNS0_4arch9wavefront6targetE1EEEvSE_
                                        ; -- End function
	.set _ZN7rocprim17ROCPRIM_400000_NS6detail17trampoline_kernelINS0_14default_configENS1_35radix_sort_onesweep_config_selectorIllEEZNS1_34radix_sort_onesweep_global_offsetsIS3_Lb0EPlN6thrust23THRUST_200600_302600_NS10device_ptrIlEEjNS0_19identity_decomposerEEE10hipError_tT1_T2_PT3_SG_jT4_jjP12ihipStream_tbEUlT_E_NS1_11comp_targetILNS1_3genE6ELNS1_11target_archE950ELNS1_3gpuE13ELNS1_3repE0EEENS1_52radix_sort_onesweep_histogram_config_static_selectorELNS0_4arch9wavefront6targetE1EEEvSE_.num_vgpr, 0
	.set _ZN7rocprim17ROCPRIM_400000_NS6detail17trampoline_kernelINS0_14default_configENS1_35radix_sort_onesweep_config_selectorIllEEZNS1_34radix_sort_onesweep_global_offsetsIS3_Lb0EPlN6thrust23THRUST_200600_302600_NS10device_ptrIlEEjNS0_19identity_decomposerEEE10hipError_tT1_T2_PT3_SG_jT4_jjP12ihipStream_tbEUlT_E_NS1_11comp_targetILNS1_3genE6ELNS1_11target_archE950ELNS1_3gpuE13ELNS1_3repE0EEENS1_52radix_sort_onesweep_histogram_config_static_selectorELNS0_4arch9wavefront6targetE1EEEvSE_.num_agpr, 0
	.set _ZN7rocprim17ROCPRIM_400000_NS6detail17trampoline_kernelINS0_14default_configENS1_35radix_sort_onesweep_config_selectorIllEEZNS1_34radix_sort_onesweep_global_offsetsIS3_Lb0EPlN6thrust23THRUST_200600_302600_NS10device_ptrIlEEjNS0_19identity_decomposerEEE10hipError_tT1_T2_PT3_SG_jT4_jjP12ihipStream_tbEUlT_E_NS1_11comp_targetILNS1_3genE6ELNS1_11target_archE950ELNS1_3gpuE13ELNS1_3repE0EEENS1_52radix_sort_onesweep_histogram_config_static_selectorELNS0_4arch9wavefront6targetE1EEEvSE_.numbered_sgpr, 0
	.set _ZN7rocprim17ROCPRIM_400000_NS6detail17trampoline_kernelINS0_14default_configENS1_35radix_sort_onesweep_config_selectorIllEEZNS1_34radix_sort_onesweep_global_offsetsIS3_Lb0EPlN6thrust23THRUST_200600_302600_NS10device_ptrIlEEjNS0_19identity_decomposerEEE10hipError_tT1_T2_PT3_SG_jT4_jjP12ihipStream_tbEUlT_E_NS1_11comp_targetILNS1_3genE6ELNS1_11target_archE950ELNS1_3gpuE13ELNS1_3repE0EEENS1_52radix_sort_onesweep_histogram_config_static_selectorELNS0_4arch9wavefront6targetE1EEEvSE_.num_named_barrier, 0
	.set _ZN7rocprim17ROCPRIM_400000_NS6detail17trampoline_kernelINS0_14default_configENS1_35radix_sort_onesweep_config_selectorIllEEZNS1_34radix_sort_onesweep_global_offsetsIS3_Lb0EPlN6thrust23THRUST_200600_302600_NS10device_ptrIlEEjNS0_19identity_decomposerEEE10hipError_tT1_T2_PT3_SG_jT4_jjP12ihipStream_tbEUlT_E_NS1_11comp_targetILNS1_3genE6ELNS1_11target_archE950ELNS1_3gpuE13ELNS1_3repE0EEENS1_52radix_sort_onesweep_histogram_config_static_selectorELNS0_4arch9wavefront6targetE1EEEvSE_.private_seg_size, 0
	.set _ZN7rocprim17ROCPRIM_400000_NS6detail17trampoline_kernelINS0_14default_configENS1_35radix_sort_onesweep_config_selectorIllEEZNS1_34radix_sort_onesweep_global_offsetsIS3_Lb0EPlN6thrust23THRUST_200600_302600_NS10device_ptrIlEEjNS0_19identity_decomposerEEE10hipError_tT1_T2_PT3_SG_jT4_jjP12ihipStream_tbEUlT_E_NS1_11comp_targetILNS1_3genE6ELNS1_11target_archE950ELNS1_3gpuE13ELNS1_3repE0EEENS1_52radix_sort_onesweep_histogram_config_static_selectorELNS0_4arch9wavefront6targetE1EEEvSE_.uses_vcc, 0
	.set _ZN7rocprim17ROCPRIM_400000_NS6detail17trampoline_kernelINS0_14default_configENS1_35radix_sort_onesweep_config_selectorIllEEZNS1_34radix_sort_onesweep_global_offsetsIS3_Lb0EPlN6thrust23THRUST_200600_302600_NS10device_ptrIlEEjNS0_19identity_decomposerEEE10hipError_tT1_T2_PT3_SG_jT4_jjP12ihipStream_tbEUlT_E_NS1_11comp_targetILNS1_3genE6ELNS1_11target_archE950ELNS1_3gpuE13ELNS1_3repE0EEENS1_52radix_sort_onesweep_histogram_config_static_selectorELNS0_4arch9wavefront6targetE1EEEvSE_.uses_flat_scratch, 0
	.set _ZN7rocprim17ROCPRIM_400000_NS6detail17trampoline_kernelINS0_14default_configENS1_35radix_sort_onesweep_config_selectorIllEEZNS1_34radix_sort_onesweep_global_offsetsIS3_Lb0EPlN6thrust23THRUST_200600_302600_NS10device_ptrIlEEjNS0_19identity_decomposerEEE10hipError_tT1_T2_PT3_SG_jT4_jjP12ihipStream_tbEUlT_E_NS1_11comp_targetILNS1_3genE6ELNS1_11target_archE950ELNS1_3gpuE13ELNS1_3repE0EEENS1_52radix_sort_onesweep_histogram_config_static_selectorELNS0_4arch9wavefront6targetE1EEEvSE_.has_dyn_sized_stack, 0
	.set _ZN7rocprim17ROCPRIM_400000_NS6detail17trampoline_kernelINS0_14default_configENS1_35radix_sort_onesweep_config_selectorIllEEZNS1_34radix_sort_onesweep_global_offsetsIS3_Lb0EPlN6thrust23THRUST_200600_302600_NS10device_ptrIlEEjNS0_19identity_decomposerEEE10hipError_tT1_T2_PT3_SG_jT4_jjP12ihipStream_tbEUlT_E_NS1_11comp_targetILNS1_3genE6ELNS1_11target_archE950ELNS1_3gpuE13ELNS1_3repE0EEENS1_52radix_sort_onesweep_histogram_config_static_selectorELNS0_4arch9wavefront6targetE1EEEvSE_.has_recursion, 0
	.set _ZN7rocprim17ROCPRIM_400000_NS6detail17trampoline_kernelINS0_14default_configENS1_35radix_sort_onesweep_config_selectorIllEEZNS1_34radix_sort_onesweep_global_offsetsIS3_Lb0EPlN6thrust23THRUST_200600_302600_NS10device_ptrIlEEjNS0_19identity_decomposerEEE10hipError_tT1_T2_PT3_SG_jT4_jjP12ihipStream_tbEUlT_E_NS1_11comp_targetILNS1_3genE6ELNS1_11target_archE950ELNS1_3gpuE13ELNS1_3repE0EEENS1_52radix_sort_onesweep_histogram_config_static_selectorELNS0_4arch9wavefront6targetE1EEEvSE_.has_indirect_call, 0
	.section	.AMDGPU.csdata,"",@progbits
; Kernel info:
; codeLenInByte = 0
; TotalNumSgprs: 4
; NumVgprs: 0
; ScratchSize: 0
; MemoryBound: 0
; FloatMode: 240
; IeeeMode: 1
; LDSByteSize: 0 bytes/workgroup (compile time only)
; SGPRBlocks: 0
; VGPRBlocks: 0
; NumSGPRsForWavesPerEU: 4
; NumVGPRsForWavesPerEU: 1
; Occupancy: 10
; WaveLimiterHint : 0
; COMPUTE_PGM_RSRC2:SCRATCH_EN: 0
; COMPUTE_PGM_RSRC2:USER_SGPR: 6
; COMPUTE_PGM_RSRC2:TRAP_HANDLER: 0
; COMPUTE_PGM_RSRC2:TGID_X_EN: 1
; COMPUTE_PGM_RSRC2:TGID_Y_EN: 0
; COMPUTE_PGM_RSRC2:TGID_Z_EN: 0
; COMPUTE_PGM_RSRC2:TIDIG_COMP_CNT: 0
	.section	.text._ZN7rocprim17ROCPRIM_400000_NS6detail17trampoline_kernelINS0_14default_configENS1_35radix_sort_onesweep_config_selectorIllEEZNS1_34radix_sort_onesweep_global_offsetsIS3_Lb0EPlN6thrust23THRUST_200600_302600_NS10device_ptrIlEEjNS0_19identity_decomposerEEE10hipError_tT1_T2_PT3_SG_jT4_jjP12ihipStream_tbEUlT_E_NS1_11comp_targetILNS1_3genE5ELNS1_11target_archE942ELNS1_3gpuE9ELNS1_3repE0EEENS1_52radix_sort_onesweep_histogram_config_static_selectorELNS0_4arch9wavefront6targetE1EEEvSE_,"axG",@progbits,_ZN7rocprim17ROCPRIM_400000_NS6detail17trampoline_kernelINS0_14default_configENS1_35radix_sort_onesweep_config_selectorIllEEZNS1_34radix_sort_onesweep_global_offsetsIS3_Lb0EPlN6thrust23THRUST_200600_302600_NS10device_ptrIlEEjNS0_19identity_decomposerEEE10hipError_tT1_T2_PT3_SG_jT4_jjP12ihipStream_tbEUlT_E_NS1_11comp_targetILNS1_3genE5ELNS1_11target_archE942ELNS1_3gpuE9ELNS1_3repE0EEENS1_52radix_sort_onesweep_histogram_config_static_selectorELNS0_4arch9wavefront6targetE1EEEvSE_,comdat
	.protected	_ZN7rocprim17ROCPRIM_400000_NS6detail17trampoline_kernelINS0_14default_configENS1_35radix_sort_onesweep_config_selectorIllEEZNS1_34radix_sort_onesweep_global_offsetsIS3_Lb0EPlN6thrust23THRUST_200600_302600_NS10device_ptrIlEEjNS0_19identity_decomposerEEE10hipError_tT1_T2_PT3_SG_jT4_jjP12ihipStream_tbEUlT_E_NS1_11comp_targetILNS1_3genE5ELNS1_11target_archE942ELNS1_3gpuE9ELNS1_3repE0EEENS1_52radix_sort_onesweep_histogram_config_static_selectorELNS0_4arch9wavefront6targetE1EEEvSE_ ; -- Begin function _ZN7rocprim17ROCPRIM_400000_NS6detail17trampoline_kernelINS0_14default_configENS1_35radix_sort_onesweep_config_selectorIllEEZNS1_34radix_sort_onesweep_global_offsetsIS3_Lb0EPlN6thrust23THRUST_200600_302600_NS10device_ptrIlEEjNS0_19identity_decomposerEEE10hipError_tT1_T2_PT3_SG_jT4_jjP12ihipStream_tbEUlT_E_NS1_11comp_targetILNS1_3genE5ELNS1_11target_archE942ELNS1_3gpuE9ELNS1_3repE0EEENS1_52radix_sort_onesweep_histogram_config_static_selectorELNS0_4arch9wavefront6targetE1EEEvSE_
	.globl	_ZN7rocprim17ROCPRIM_400000_NS6detail17trampoline_kernelINS0_14default_configENS1_35radix_sort_onesweep_config_selectorIllEEZNS1_34radix_sort_onesweep_global_offsetsIS3_Lb0EPlN6thrust23THRUST_200600_302600_NS10device_ptrIlEEjNS0_19identity_decomposerEEE10hipError_tT1_T2_PT3_SG_jT4_jjP12ihipStream_tbEUlT_E_NS1_11comp_targetILNS1_3genE5ELNS1_11target_archE942ELNS1_3gpuE9ELNS1_3repE0EEENS1_52radix_sort_onesweep_histogram_config_static_selectorELNS0_4arch9wavefront6targetE1EEEvSE_
	.p2align	8
	.type	_ZN7rocprim17ROCPRIM_400000_NS6detail17trampoline_kernelINS0_14default_configENS1_35radix_sort_onesweep_config_selectorIllEEZNS1_34radix_sort_onesweep_global_offsetsIS3_Lb0EPlN6thrust23THRUST_200600_302600_NS10device_ptrIlEEjNS0_19identity_decomposerEEE10hipError_tT1_T2_PT3_SG_jT4_jjP12ihipStream_tbEUlT_E_NS1_11comp_targetILNS1_3genE5ELNS1_11target_archE942ELNS1_3gpuE9ELNS1_3repE0EEENS1_52radix_sort_onesweep_histogram_config_static_selectorELNS0_4arch9wavefront6targetE1EEEvSE_,@function
_ZN7rocprim17ROCPRIM_400000_NS6detail17trampoline_kernelINS0_14default_configENS1_35radix_sort_onesweep_config_selectorIllEEZNS1_34radix_sort_onesweep_global_offsetsIS3_Lb0EPlN6thrust23THRUST_200600_302600_NS10device_ptrIlEEjNS0_19identity_decomposerEEE10hipError_tT1_T2_PT3_SG_jT4_jjP12ihipStream_tbEUlT_E_NS1_11comp_targetILNS1_3genE5ELNS1_11target_archE942ELNS1_3gpuE9ELNS1_3repE0EEENS1_52radix_sort_onesweep_histogram_config_static_selectorELNS0_4arch9wavefront6targetE1EEEvSE_: ; @_ZN7rocprim17ROCPRIM_400000_NS6detail17trampoline_kernelINS0_14default_configENS1_35radix_sort_onesweep_config_selectorIllEEZNS1_34radix_sort_onesweep_global_offsetsIS3_Lb0EPlN6thrust23THRUST_200600_302600_NS10device_ptrIlEEjNS0_19identity_decomposerEEE10hipError_tT1_T2_PT3_SG_jT4_jjP12ihipStream_tbEUlT_E_NS1_11comp_targetILNS1_3genE5ELNS1_11target_archE942ELNS1_3gpuE9ELNS1_3repE0EEENS1_52radix_sort_onesweep_histogram_config_static_selectorELNS0_4arch9wavefront6targetE1EEEvSE_
; %bb.0:
	.section	.rodata,"a",@progbits
	.p2align	6, 0x0
	.amdhsa_kernel _ZN7rocprim17ROCPRIM_400000_NS6detail17trampoline_kernelINS0_14default_configENS1_35radix_sort_onesweep_config_selectorIllEEZNS1_34radix_sort_onesweep_global_offsetsIS3_Lb0EPlN6thrust23THRUST_200600_302600_NS10device_ptrIlEEjNS0_19identity_decomposerEEE10hipError_tT1_T2_PT3_SG_jT4_jjP12ihipStream_tbEUlT_E_NS1_11comp_targetILNS1_3genE5ELNS1_11target_archE942ELNS1_3gpuE9ELNS1_3repE0EEENS1_52radix_sort_onesweep_histogram_config_static_selectorELNS0_4arch9wavefront6targetE1EEEvSE_
		.amdhsa_group_segment_fixed_size 0
		.amdhsa_private_segment_fixed_size 0
		.amdhsa_kernarg_size 40
		.amdhsa_user_sgpr_count 6
		.amdhsa_user_sgpr_private_segment_buffer 1
		.amdhsa_user_sgpr_dispatch_ptr 0
		.amdhsa_user_sgpr_queue_ptr 0
		.amdhsa_user_sgpr_kernarg_segment_ptr 1
		.amdhsa_user_sgpr_dispatch_id 0
		.amdhsa_user_sgpr_flat_scratch_init 0
		.amdhsa_user_sgpr_private_segment_size 0
		.amdhsa_uses_dynamic_stack 0
		.amdhsa_system_sgpr_private_segment_wavefront_offset 0
		.amdhsa_system_sgpr_workgroup_id_x 1
		.amdhsa_system_sgpr_workgroup_id_y 0
		.amdhsa_system_sgpr_workgroup_id_z 0
		.amdhsa_system_sgpr_workgroup_info 0
		.amdhsa_system_vgpr_workitem_id 0
		.amdhsa_next_free_vgpr 1
		.amdhsa_next_free_sgpr 0
		.amdhsa_reserve_vcc 0
		.amdhsa_reserve_flat_scratch 0
		.amdhsa_float_round_mode_32 0
		.amdhsa_float_round_mode_16_64 0
		.amdhsa_float_denorm_mode_32 3
		.amdhsa_float_denorm_mode_16_64 3
		.amdhsa_dx10_clamp 1
		.amdhsa_ieee_mode 1
		.amdhsa_fp16_overflow 0
		.amdhsa_exception_fp_ieee_invalid_op 0
		.amdhsa_exception_fp_denorm_src 0
		.amdhsa_exception_fp_ieee_div_zero 0
		.amdhsa_exception_fp_ieee_overflow 0
		.amdhsa_exception_fp_ieee_underflow 0
		.amdhsa_exception_fp_ieee_inexact 0
		.amdhsa_exception_int_div_zero 0
	.end_amdhsa_kernel
	.section	.text._ZN7rocprim17ROCPRIM_400000_NS6detail17trampoline_kernelINS0_14default_configENS1_35radix_sort_onesweep_config_selectorIllEEZNS1_34radix_sort_onesweep_global_offsetsIS3_Lb0EPlN6thrust23THRUST_200600_302600_NS10device_ptrIlEEjNS0_19identity_decomposerEEE10hipError_tT1_T2_PT3_SG_jT4_jjP12ihipStream_tbEUlT_E_NS1_11comp_targetILNS1_3genE5ELNS1_11target_archE942ELNS1_3gpuE9ELNS1_3repE0EEENS1_52radix_sort_onesweep_histogram_config_static_selectorELNS0_4arch9wavefront6targetE1EEEvSE_,"axG",@progbits,_ZN7rocprim17ROCPRIM_400000_NS6detail17trampoline_kernelINS0_14default_configENS1_35radix_sort_onesweep_config_selectorIllEEZNS1_34radix_sort_onesweep_global_offsetsIS3_Lb0EPlN6thrust23THRUST_200600_302600_NS10device_ptrIlEEjNS0_19identity_decomposerEEE10hipError_tT1_T2_PT3_SG_jT4_jjP12ihipStream_tbEUlT_E_NS1_11comp_targetILNS1_3genE5ELNS1_11target_archE942ELNS1_3gpuE9ELNS1_3repE0EEENS1_52radix_sort_onesweep_histogram_config_static_selectorELNS0_4arch9wavefront6targetE1EEEvSE_,comdat
.Lfunc_end1116:
	.size	_ZN7rocprim17ROCPRIM_400000_NS6detail17trampoline_kernelINS0_14default_configENS1_35radix_sort_onesweep_config_selectorIllEEZNS1_34radix_sort_onesweep_global_offsetsIS3_Lb0EPlN6thrust23THRUST_200600_302600_NS10device_ptrIlEEjNS0_19identity_decomposerEEE10hipError_tT1_T2_PT3_SG_jT4_jjP12ihipStream_tbEUlT_E_NS1_11comp_targetILNS1_3genE5ELNS1_11target_archE942ELNS1_3gpuE9ELNS1_3repE0EEENS1_52radix_sort_onesweep_histogram_config_static_selectorELNS0_4arch9wavefront6targetE1EEEvSE_, .Lfunc_end1116-_ZN7rocprim17ROCPRIM_400000_NS6detail17trampoline_kernelINS0_14default_configENS1_35radix_sort_onesweep_config_selectorIllEEZNS1_34radix_sort_onesweep_global_offsetsIS3_Lb0EPlN6thrust23THRUST_200600_302600_NS10device_ptrIlEEjNS0_19identity_decomposerEEE10hipError_tT1_T2_PT3_SG_jT4_jjP12ihipStream_tbEUlT_E_NS1_11comp_targetILNS1_3genE5ELNS1_11target_archE942ELNS1_3gpuE9ELNS1_3repE0EEENS1_52radix_sort_onesweep_histogram_config_static_selectorELNS0_4arch9wavefront6targetE1EEEvSE_
                                        ; -- End function
	.set _ZN7rocprim17ROCPRIM_400000_NS6detail17trampoline_kernelINS0_14default_configENS1_35radix_sort_onesweep_config_selectorIllEEZNS1_34radix_sort_onesweep_global_offsetsIS3_Lb0EPlN6thrust23THRUST_200600_302600_NS10device_ptrIlEEjNS0_19identity_decomposerEEE10hipError_tT1_T2_PT3_SG_jT4_jjP12ihipStream_tbEUlT_E_NS1_11comp_targetILNS1_3genE5ELNS1_11target_archE942ELNS1_3gpuE9ELNS1_3repE0EEENS1_52radix_sort_onesweep_histogram_config_static_selectorELNS0_4arch9wavefront6targetE1EEEvSE_.num_vgpr, 0
	.set _ZN7rocprim17ROCPRIM_400000_NS6detail17trampoline_kernelINS0_14default_configENS1_35radix_sort_onesweep_config_selectorIllEEZNS1_34radix_sort_onesweep_global_offsetsIS3_Lb0EPlN6thrust23THRUST_200600_302600_NS10device_ptrIlEEjNS0_19identity_decomposerEEE10hipError_tT1_T2_PT3_SG_jT4_jjP12ihipStream_tbEUlT_E_NS1_11comp_targetILNS1_3genE5ELNS1_11target_archE942ELNS1_3gpuE9ELNS1_3repE0EEENS1_52radix_sort_onesweep_histogram_config_static_selectorELNS0_4arch9wavefront6targetE1EEEvSE_.num_agpr, 0
	.set _ZN7rocprim17ROCPRIM_400000_NS6detail17trampoline_kernelINS0_14default_configENS1_35radix_sort_onesweep_config_selectorIllEEZNS1_34radix_sort_onesweep_global_offsetsIS3_Lb0EPlN6thrust23THRUST_200600_302600_NS10device_ptrIlEEjNS0_19identity_decomposerEEE10hipError_tT1_T2_PT3_SG_jT4_jjP12ihipStream_tbEUlT_E_NS1_11comp_targetILNS1_3genE5ELNS1_11target_archE942ELNS1_3gpuE9ELNS1_3repE0EEENS1_52radix_sort_onesweep_histogram_config_static_selectorELNS0_4arch9wavefront6targetE1EEEvSE_.numbered_sgpr, 0
	.set _ZN7rocprim17ROCPRIM_400000_NS6detail17trampoline_kernelINS0_14default_configENS1_35radix_sort_onesweep_config_selectorIllEEZNS1_34radix_sort_onesweep_global_offsetsIS3_Lb0EPlN6thrust23THRUST_200600_302600_NS10device_ptrIlEEjNS0_19identity_decomposerEEE10hipError_tT1_T2_PT3_SG_jT4_jjP12ihipStream_tbEUlT_E_NS1_11comp_targetILNS1_3genE5ELNS1_11target_archE942ELNS1_3gpuE9ELNS1_3repE0EEENS1_52radix_sort_onesweep_histogram_config_static_selectorELNS0_4arch9wavefront6targetE1EEEvSE_.num_named_barrier, 0
	.set _ZN7rocprim17ROCPRIM_400000_NS6detail17trampoline_kernelINS0_14default_configENS1_35radix_sort_onesweep_config_selectorIllEEZNS1_34radix_sort_onesweep_global_offsetsIS3_Lb0EPlN6thrust23THRUST_200600_302600_NS10device_ptrIlEEjNS0_19identity_decomposerEEE10hipError_tT1_T2_PT3_SG_jT4_jjP12ihipStream_tbEUlT_E_NS1_11comp_targetILNS1_3genE5ELNS1_11target_archE942ELNS1_3gpuE9ELNS1_3repE0EEENS1_52radix_sort_onesweep_histogram_config_static_selectorELNS0_4arch9wavefront6targetE1EEEvSE_.private_seg_size, 0
	.set _ZN7rocprim17ROCPRIM_400000_NS6detail17trampoline_kernelINS0_14default_configENS1_35radix_sort_onesweep_config_selectorIllEEZNS1_34radix_sort_onesweep_global_offsetsIS3_Lb0EPlN6thrust23THRUST_200600_302600_NS10device_ptrIlEEjNS0_19identity_decomposerEEE10hipError_tT1_T2_PT3_SG_jT4_jjP12ihipStream_tbEUlT_E_NS1_11comp_targetILNS1_3genE5ELNS1_11target_archE942ELNS1_3gpuE9ELNS1_3repE0EEENS1_52radix_sort_onesweep_histogram_config_static_selectorELNS0_4arch9wavefront6targetE1EEEvSE_.uses_vcc, 0
	.set _ZN7rocprim17ROCPRIM_400000_NS6detail17trampoline_kernelINS0_14default_configENS1_35radix_sort_onesweep_config_selectorIllEEZNS1_34radix_sort_onesweep_global_offsetsIS3_Lb0EPlN6thrust23THRUST_200600_302600_NS10device_ptrIlEEjNS0_19identity_decomposerEEE10hipError_tT1_T2_PT3_SG_jT4_jjP12ihipStream_tbEUlT_E_NS1_11comp_targetILNS1_3genE5ELNS1_11target_archE942ELNS1_3gpuE9ELNS1_3repE0EEENS1_52radix_sort_onesweep_histogram_config_static_selectorELNS0_4arch9wavefront6targetE1EEEvSE_.uses_flat_scratch, 0
	.set _ZN7rocprim17ROCPRIM_400000_NS6detail17trampoline_kernelINS0_14default_configENS1_35radix_sort_onesweep_config_selectorIllEEZNS1_34radix_sort_onesweep_global_offsetsIS3_Lb0EPlN6thrust23THRUST_200600_302600_NS10device_ptrIlEEjNS0_19identity_decomposerEEE10hipError_tT1_T2_PT3_SG_jT4_jjP12ihipStream_tbEUlT_E_NS1_11comp_targetILNS1_3genE5ELNS1_11target_archE942ELNS1_3gpuE9ELNS1_3repE0EEENS1_52radix_sort_onesweep_histogram_config_static_selectorELNS0_4arch9wavefront6targetE1EEEvSE_.has_dyn_sized_stack, 0
	.set _ZN7rocprim17ROCPRIM_400000_NS6detail17trampoline_kernelINS0_14default_configENS1_35radix_sort_onesweep_config_selectorIllEEZNS1_34radix_sort_onesweep_global_offsetsIS3_Lb0EPlN6thrust23THRUST_200600_302600_NS10device_ptrIlEEjNS0_19identity_decomposerEEE10hipError_tT1_T2_PT3_SG_jT4_jjP12ihipStream_tbEUlT_E_NS1_11comp_targetILNS1_3genE5ELNS1_11target_archE942ELNS1_3gpuE9ELNS1_3repE0EEENS1_52radix_sort_onesweep_histogram_config_static_selectorELNS0_4arch9wavefront6targetE1EEEvSE_.has_recursion, 0
	.set _ZN7rocprim17ROCPRIM_400000_NS6detail17trampoline_kernelINS0_14default_configENS1_35radix_sort_onesweep_config_selectorIllEEZNS1_34radix_sort_onesweep_global_offsetsIS3_Lb0EPlN6thrust23THRUST_200600_302600_NS10device_ptrIlEEjNS0_19identity_decomposerEEE10hipError_tT1_T2_PT3_SG_jT4_jjP12ihipStream_tbEUlT_E_NS1_11comp_targetILNS1_3genE5ELNS1_11target_archE942ELNS1_3gpuE9ELNS1_3repE0EEENS1_52radix_sort_onesweep_histogram_config_static_selectorELNS0_4arch9wavefront6targetE1EEEvSE_.has_indirect_call, 0
	.section	.AMDGPU.csdata,"",@progbits
; Kernel info:
; codeLenInByte = 0
; TotalNumSgprs: 4
; NumVgprs: 0
; ScratchSize: 0
; MemoryBound: 0
; FloatMode: 240
; IeeeMode: 1
; LDSByteSize: 0 bytes/workgroup (compile time only)
; SGPRBlocks: 0
; VGPRBlocks: 0
; NumSGPRsForWavesPerEU: 4
; NumVGPRsForWavesPerEU: 1
; Occupancy: 10
; WaveLimiterHint : 0
; COMPUTE_PGM_RSRC2:SCRATCH_EN: 0
; COMPUTE_PGM_RSRC2:USER_SGPR: 6
; COMPUTE_PGM_RSRC2:TRAP_HANDLER: 0
; COMPUTE_PGM_RSRC2:TGID_X_EN: 1
; COMPUTE_PGM_RSRC2:TGID_Y_EN: 0
; COMPUTE_PGM_RSRC2:TGID_Z_EN: 0
; COMPUTE_PGM_RSRC2:TIDIG_COMP_CNT: 0
	.section	.text._ZN7rocprim17ROCPRIM_400000_NS6detail17trampoline_kernelINS0_14default_configENS1_35radix_sort_onesweep_config_selectorIllEEZNS1_34radix_sort_onesweep_global_offsetsIS3_Lb0EPlN6thrust23THRUST_200600_302600_NS10device_ptrIlEEjNS0_19identity_decomposerEEE10hipError_tT1_T2_PT3_SG_jT4_jjP12ihipStream_tbEUlT_E_NS1_11comp_targetILNS1_3genE2ELNS1_11target_archE906ELNS1_3gpuE6ELNS1_3repE0EEENS1_52radix_sort_onesweep_histogram_config_static_selectorELNS0_4arch9wavefront6targetE1EEEvSE_,"axG",@progbits,_ZN7rocprim17ROCPRIM_400000_NS6detail17trampoline_kernelINS0_14default_configENS1_35radix_sort_onesweep_config_selectorIllEEZNS1_34radix_sort_onesweep_global_offsetsIS3_Lb0EPlN6thrust23THRUST_200600_302600_NS10device_ptrIlEEjNS0_19identity_decomposerEEE10hipError_tT1_T2_PT3_SG_jT4_jjP12ihipStream_tbEUlT_E_NS1_11comp_targetILNS1_3genE2ELNS1_11target_archE906ELNS1_3gpuE6ELNS1_3repE0EEENS1_52radix_sort_onesweep_histogram_config_static_selectorELNS0_4arch9wavefront6targetE1EEEvSE_,comdat
	.protected	_ZN7rocprim17ROCPRIM_400000_NS6detail17trampoline_kernelINS0_14default_configENS1_35radix_sort_onesweep_config_selectorIllEEZNS1_34radix_sort_onesweep_global_offsetsIS3_Lb0EPlN6thrust23THRUST_200600_302600_NS10device_ptrIlEEjNS0_19identity_decomposerEEE10hipError_tT1_T2_PT3_SG_jT4_jjP12ihipStream_tbEUlT_E_NS1_11comp_targetILNS1_3genE2ELNS1_11target_archE906ELNS1_3gpuE6ELNS1_3repE0EEENS1_52radix_sort_onesweep_histogram_config_static_selectorELNS0_4arch9wavefront6targetE1EEEvSE_ ; -- Begin function _ZN7rocprim17ROCPRIM_400000_NS6detail17trampoline_kernelINS0_14default_configENS1_35radix_sort_onesweep_config_selectorIllEEZNS1_34radix_sort_onesweep_global_offsetsIS3_Lb0EPlN6thrust23THRUST_200600_302600_NS10device_ptrIlEEjNS0_19identity_decomposerEEE10hipError_tT1_T2_PT3_SG_jT4_jjP12ihipStream_tbEUlT_E_NS1_11comp_targetILNS1_3genE2ELNS1_11target_archE906ELNS1_3gpuE6ELNS1_3repE0EEENS1_52radix_sort_onesweep_histogram_config_static_selectorELNS0_4arch9wavefront6targetE1EEEvSE_
	.globl	_ZN7rocprim17ROCPRIM_400000_NS6detail17trampoline_kernelINS0_14default_configENS1_35radix_sort_onesweep_config_selectorIllEEZNS1_34radix_sort_onesweep_global_offsetsIS3_Lb0EPlN6thrust23THRUST_200600_302600_NS10device_ptrIlEEjNS0_19identity_decomposerEEE10hipError_tT1_T2_PT3_SG_jT4_jjP12ihipStream_tbEUlT_E_NS1_11comp_targetILNS1_3genE2ELNS1_11target_archE906ELNS1_3gpuE6ELNS1_3repE0EEENS1_52radix_sort_onesweep_histogram_config_static_selectorELNS0_4arch9wavefront6targetE1EEEvSE_
	.p2align	8
	.type	_ZN7rocprim17ROCPRIM_400000_NS6detail17trampoline_kernelINS0_14default_configENS1_35radix_sort_onesweep_config_selectorIllEEZNS1_34radix_sort_onesweep_global_offsetsIS3_Lb0EPlN6thrust23THRUST_200600_302600_NS10device_ptrIlEEjNS0_19identity_decomposerEEE10hipError_tT1_T2_PT3_SG_jT4_jjP12ihipStream_tbEUlT_E_NS1_11comp_targetILNS1_3genE2ELNS1_11target_archE906ELNS1_3gpuE6ELNS1_3repE0EEENS1_52radix_sort_onesweep_histogram_config_static_selectorELNS0_4arch9wavefront6targetE1EEEvSE_,@function
_ZN7rocprim17ROCPRIM_400000_NS6detail17trampoline_kernelINS0_14default_configENS1_35radix_sort_onesweep_config_selectorIllEEZNS1_34radix_sort_onesweep_global_offsetsIS3_Lb0EPlN6thrust23THRUST_200600_302600_NS10device_ptrIlEEjNS0_19identity_decomposerEEE10hipError_tT1_T2_PT3_SG_jT4_jjP12ihipStream_tbEUlT_E_NS1_11comp_targetILNS1_3genE2ELNS1_11target_archE906ELNS1_3gpuE6ELNS1_3repE0EEENS1_52radix_sort_onesweep_histogram_config_static_selectorELNS0_4arch9wavefront6targetE1EEEvSE_: ; @_ZN7rocprim17ROCPRIM_400000_NS6detail17trampoline_kernelINS0_14default_configENS1_35radix_sort_onesweep_config_selectorIllEEZNS1_34radix_sort_onesweep_global_offsetsIS3_Lb0EPlN6thrust23THRUST_200600_302600_NS10device_ptrIlEEjNS0_19identity_decomposerEEE10hipError_tT1_T2_PT3_SG_jT4_jjP12ihipStream_tbEUlT_E_NS1_11comp_targetILNS1_3genE2ELNS1_11target_archE906ELNS1_3gpuE6ELNS1_3repE0EEENS1_52radix_sort_onesweep_histogram_config_static_selectorELNS0_4arch9wavefront6targetE1EEEvSE_
; %bb.0:
	s_load_dword s7, s[4:5], 0x14
	s_load_dwordx4 s[8:11], s[4:5], 0x0
	s_load_dwordx2 s[2:3], s[4:5], 0x1c
	s_mul_i32 s12, s6, 0xc00
	s_mov_b64 s[0:1], -1
	s_waitcnt lgkmcnt(0)
	s_cmp_ge_u32 s6, s7
	s_cbranch_scc0 .LBB1117_243
; %bb.1:
	s_load_dword s4, s[4:5], 0x10
	s_mulk_i32 s7, 0xf400
	s_mov_b32 s13, 0
	s_lshl_b64 s[0:1], s[12:13], 3
                                        ; implicit-def: $vgpr11_vgpr12
	s_waitcnt lgkmcnt(0)
	s_add_i32 s13, s4, s7
	s_add_u32 s0, s8, s0
	s_addc_u32 s1, s9, s1
	v_cmp_gt_u32_e32 vcc, s13, v0
	s_and_saveexec_b64 s[4:5], vcc
	s_cbranch_execz .LBB1117_3
; %bb.2:
	v_lshlrev_b32_e32 v1, 3, v0
	global_load_dwordx2 v[11:12], v1, s[0:1]
	s_waitcnt vmcnt(0)
	v_xor_b32_e32 v12, 0x80000000, v12
.LBB1117_3:
	s_or_b64 exec, exec, s[4:5]
	v_or_b32_e32 v18, 0x200, v0
	v_cmp_gt_u32_e32 vcc, s13, v18
                                        ; implicit-def: $vgpr9_vgpr10
	s_and_saveexec_b64 s[4:5], vcc
	s_cbranch_execz .LBB1117_5
; %bb.4:
	v_lshlrev_b32_e32 v1, 3, v18
	global_load_dwordx2 v[9:10], v1, s[0:1]
	s_waitcnt vmcnt(0)
	v_xor_b32_e32 v10, 0x80000000, v10
.LBB1117_5:
	s_or_b64 exec, exec, s[4:5]
	v_or_b32_e32 v17, 0x400, v0
	v_cmp_gt_u32_e32 vcc, s13, v17
                                        ; implicit-def: $vgpr7_vgpr8
	s_and_saveexec_b64 s[4:5], vcc
	s_cbranch_execz .LBB1117_7
; %bb.6:
	v_lshlrev_b32_e32 v1, 3, v17
	global_load_dwordx2 v[7:8], v1, s[0:1]
	s_waitcnt vmcnt(0)
	v_xor_b32_e32 v8, 0x80000000, v8
.LBB1117_7:
	s_or_b64 exec, exec, s[4:5]
	v_or_b32_e32 v16, 0x600, v0
	v_cmp_gt_u32_e32 vcc, s13, v16
                                        ; implicit-def: $vgpr5_vgpr6
	s_and_saveexec_b64 s[4:5], vcc
	s_cbranch_execz .LBB1117_9
; %bb.8:
	v_lshlrev_b32_e32 v1, 3, v16
	global_load_dwordx2 v[5:6], v1, s[0:1]
	s_waitcnt vmcnt(0)
	v_xor_b32_e32 v6, 0x80000000, v6
.LBB1117_9:
	s_or_b64 exec, exec, s[4:5]
	v_or_b32_e32 v15, 0x800, v0
	v_cmp_gt_u32_e32 vcc, s13, v15
                                        ; implicit-def: $vgpr3_vgpr4
	s_and_saveexec_b64 s[4:5], vcc
	s_cbranch_execz .LBB1117_11
; %bb.10:
	v_lshlrev_b32_e32 v1, 3, v15
	global_load_dwordx2 v[3:4], v1, s[0:1]
	s_waitcnt vmcnt(0)
	v_xor_b32_e32 v4, 0x80000000, v4
.LBB1117_11:
	s_or_b64 exec, exec, s[4:5]
	v_or_b32_e32 v14, 0xa00, v0
	v_cmp_gt_u32_e32 vcc, s13, v14
                                        ; implicit-def: $vgpr1_vgpr2
	s_and_saveexec_b64 s[4:5], vcc
	s_cbranch_execz .LBB1117_13
; %bb.12:
	v_lshlrev_b32_e32 v1, 3, v14
	global_load_dwordx2 v[1:2], v1, s[0:1]
	s_waitcnt vmcnt(0)
	v_xor_b32_e32 v2, 0x80000000, v2
.LBB1117_13:
	s_or_b64 exec, exec, s[4:5]
	v_or_b32_e32 v13, 0xfffffe00, v0
	v_lshlrev_b32_e32 v19, 2, v0
	s_mov_b64 s[0:1], 0
	v_mov_b32_e32 v20, 0
	s_movk_i32 s4, 0x1dff
.LBB1117_14:                            ; =>This Inner Loop Header: Depth=1
	v_add_u32_e32 v13, 0x200, v13
	v_cmp_lt_u32_e32 vcc, s4, v13
	ds_write_b32 v19, v20
	s_or_b64 s[0:1], vcc, s[0:1]
	v_add_u32_e32 v19, 0x800, v19
	s_andn2_b64 exec, exec, s[0:1]
	s_cbranch_execnz .LBB1117_14
; %bb.15:
	s_or_b64 exec, exec, s[0:1]
	s_cmp_le_u32 s3, s2
	s_cselect_b64 s[4:5], -1, 0
	s_and_b64 s[0:1], s[4:5], exec
	v_cmp_le_u32_e32 vcc, s13, v0
	s_cselect_b32 s18, 8, 10
	v_and_b32_e32 v13, 3, v0
	s_nor_b64 s[6:7], s[4:5], vcc
	v_mov_b32_e32 v19, s18
	s_waitcnt lgkmcnt(0)
	s_barrier
	s_and_saveexec_b64 s[0:1], s[6:7]
	s_cbranch_execz .LBB1117_17
; %bb.16:
	s_sub_i32 s6, s3, s2
	v_lshrrev_b64 v[19:20], s2, v[11:12]
	s_min_u32 s6, s6, 8
	v_bfe_u32 v19, v19, 0, s6
	v_lshlrev_b32_e32 v20, 2, v13
	v_lshl_or_b32 v19, v19, 4, v20
	v_mov_b32_e32 v20, 1
	ds_add_u32 v19, v20
	v_mov_b32_e32 v19, 0
.LBB1117_17:
	s_or_b64 exec, exec, s[0:1]
	v_cmp_gt_i32_e64 s[0:1], 10, v19
	s_mov_b64 s[14:15], -1
	s_and_saveexec_b64 s[6:7], s[0:1]
; %bb.18:
	v_cmp_eq_u32_e64 s[0:1], 0, v19
	s_orn2_b64 s[14:15], s[0:1], exec
; %bb.19:
	s_or_b64 exec, exec, s[6:7]
	s_and_saveexec_b64 s[6:7], s[14:15]
	s_cbranch_execz .LBB1117_52
; %bb.20:
	s_add_i32 s14, s2, 8
	s_cmp_le_u32 s3, s14
	s_cselect_b64 s[0:1], -1, 0
	s_and_b64 s[16:17], s[0:1], exec
	s_cselect_b32 s15, 8, 10
	s_nor_b64 s[16:17], s[0:1], vcc
	v_mov_b32_e32 v19, s15
	s_and_saveexec_b64 s[0:1], s[16:17]
	s_cbranch_execz .LBB1117_22
; %bb.21:
	s_sub_i32 s15, s3, s14
	v_lshrrev_b64 v[19:20], s14, v[11:12]
	s_min_u32 s14, s15, 8
	v_bfe_u32 v19, v19, 0, s14
	v_lshlrev_b32_e32 v20, 2, v13
	v_lshl_or_b32 v19, v19, 4, v20
	v_mov_b32_e32 v20, 1
	ds_add_u32 v19, v20 offset:4096
	v_mov_b32_e32 v19, 0
.LBB1117_22:
	s_or_b64 exec, exec, s[0:1]
	v_cmp_gt_i32_e64 s[0:1], 10, v19
	s_mov_b64 s[14:15], -1
	s_and_saveexec_b64 s[16:17], s[0:1]
; %bb.23:
	v_cmp_eq_u32_e64 s[0:1], 0, v19
	s_orn2_b64 s[14:15], s[0:1], exec
; %bb.24:
	s_or_b64 exec, exec, s[16:17]
	s_and_b64 exec, exec, s[14:15]
	s_cbranch_execz .LBB1117_52
; %bb.25:
	s_add_i32 s14, s2, 16
	s_cmp_le_u32 s3, s14
	s_cselect_b64 s[0:1], -1, 0
	s_and_b64 s[16:17], s[0:1], exec
	s_cselect_b32 s15, 8, 10
	s_nor_b64 s[16:17], s[0:1], vcc
	v_mov_b32_e32 v19, s15
	s_and_saveexec_b64 s[0:1], s[16:17]
	s_cbranch_execz .LBB1117_27
; %bb.26:
	s_sub_i32 s15, s3, s14
	v_lshrrev_b64 v[19:20], s14, v[11:12]
	s_min_u32 s14, s15, 8
	v_bfe_u32 v19, v19, 0, s14
	v_lshlrev_b32_e32 v20, 2, v13
	v_lshl_or_b32 v19, v19, 4, v20
	v_mov_b32_e32 v20, 1
	ds_add_u32 v19, v20 offset:8192
	v_mov_b32_e32 v19, 0
.LBB1117_27:
	s_or_b64 exec, exec, s[0:1]
	v_cmp_gt_i32_e64 s[0:1], 10, v19
	s_mov_b64 s[14:15], -1
	s_and_saveexec_b64 s[16:17], s[0:1]
; %bb.28:
	v_cmp_eq_u32_e64 s[0:1], 0, v19
	s_orn2_b64 s[14:15], s[0:1], exec
; %bb.29:
	s_or_b64 exec, exec, s[16:17]
	s_and_b64 exec, exec, s[14:15]
	;; [unrolled: 32-line block ×6, first 2 shown]
	s_cbranch_execz .LBB1117_52
; %bb.50:
	s_add_i32 s0, s2, 56
	s_cmp_gt_u32 s3, s0
	s_cselect_b64 s[14:15], -1, 0
	s_xor_b64 s[16:17], vcc, -1
	s_and_b64 s[14:15], s[14:15], s[16:17]
	s_and_b64 exec, exec, s[14:15]
	s_cbranch_execz .LBB1117_52
; %bb.51:
	s_sub_i32 s1, s3, s0
	v_lshrrev_b64 v[11:12], s0, v[11:12]
	s_min_u32 s0, s1, 8
	v_bfe_u32 v11, v11, 0, s0
	v_lshlrev_b32_e32 v12, 2, v13
	v_lshl_or_b32 v11, v11, 4, v12
	v_mov_b32_e32 v12, 1
	ds_add_u32 v11, v12 offset:28672
.LBB1117_52:
	s_or_b64 exec, exec, s[6:7]
	v_cmp_le_u32_e32 vcc, s13, v18
	s_nor_b64 s[6:7], s[4:5], vcc
	v_mov_b32_e32 v11, s18
	s_and_saveexec_b64 s[0:1], s[6:7]
	s_cbranch_execz .LBB1117_54
; %bb.53:
	s_sub_i32 s6, s3, s2
	v_lshrrev_b64 v[11:12], s2, v[9:10]
	s_min_u32 s6, s6, 8
	v_bfe_u32 v11, v11, 0, s6
	v_lshlrev_b32_e32 v12, 2, v13
	v_lshl_or_b32 v11, v11, 4, v12
	v_mov_b32_e32 v12, 1
	ds_add_u32 v11, v12
	v_mov_b32_e32 v11, 0
.LBB1117_54:
	s_or_b64 exec, exec, s[0:1]
	v_cmp_gt_i32_e64 s[0:1], 10, v11
	s_mov_b64 s[14:15], -1
	s_and_saveexec_b64 s[6:7], s[0:1]
; %bb.55:
	v_cmp_eq_u32_e64 s[0:1], 0, v11
	s_orn2_b64 s[14:15], s[0:1], exec
; %bb.56:
	s_or_b64 exec, exec, s[6:7]
	s_and_saveexec_b64 s[6:7], s[14:15]
	s_cbranch_execz .LBB1117_89
; %bb.57:
	s_add_i32 s14, s2, 8
	s_cmp_le_u32 s3, s14
	s_cselect_b64 s[0:1], -1, 0
	s_and_b64 s[16:17], s[0:1], exec
	s_cselect_b32 s15, 8, 10
	s_nor_b64 s[16:17], s[0:1], vcc
	v_mov_b32_e32 v11, s15
	s_and_saveexec_b64 s[0:1], s[16:17]
	s_cbranch_execz .LBB1117_59
; %bb.58:
	s_sub_i32 s15, s3, s14
	v_lshrrev_b64 v[11:12], s14, v[9:10]
	s_min_u32 s14, s15, 8
	v_bfe_u32 v11, v11, 0, s14
	v_lshlrev_b32_e32 v12, 2, v13
	v_lshl_or_b32 v11, v11, 4, v12
	v_mov_b32_e32 v12, 1
	ds_add_u32 v11, v12 offset:4096
	v_mov_b32_e32 v11, 0
.LBB1117_59:
	s_or_b64 exec, exec, s[0:1]
	v_cmp_gt_i32_e64 s[0:1], 10, v11
	s_mov_b64 s[14:15], -1
	s_and_saveexec_b64 s[16:17], s[0:1]
; %bb.60:
	v_cmp_eq_u32_e64 s[0:1], 0, v11
	s_orn2_b64 s[14:15], s[0:1], exec
; %bb.61:
	s_or_b64 exec, exec, s[16:17]
	s_and_b64 exec, exec, s[14:15]
	s_cbranch_execz .LBB1117_89
; %bb.62:
	s_add_i32 s14, s2, 16
	s_cmp_le_u32 s3, s14
	s_cselect_b64 s[0:1], -1, 0
	s_and_b64 s[16:17], s[0:1], exec
	s_cselect_b32 s15, 8, 10
	s_nor_b64 s[16:17], s[0:1], vcc
	v_mov_b32_e32 v11, s15
	s_and_saveexec_b64 s[0:1], s[16:17]
	s_cbranch_execz .LBB1117_64
; %bb.63:
	s_sub_i32 s15, s3, s14
	v_lshrrev_b64 v[11:12], s14, v[9:10]
	s_min_u32 s14, s15, 8
	v_bfe_u32 v11, v11, 0, s14
	v_lshlrev_b32_e32 v12, 2, v13
	v_lshl_or_b32 v11, v11, 4, v12
	v_mov_b32_e32 v12, 1
	ds_add_u32 v11, v12 offset:8192
	v_mov_b32_e32 v11, 0
.LBB1117_64:
	s_or_b64 exec, exec, s[0:1]
	v_cmp_gt_i32_e64 s[0:1], 10, v11
	s_mov_b64 s[14:15], -1
	s_and_saveexec_b64 s[16:17], s[0:1]
; %bb.65:
	v_cmp_eq_u32_e64 s[0:1], 0, v11
	s_orn2_b64 s[14:15], s[0:1], exec
; %bb.66:
	s_or_b64 exec, exec, s[16:17]
	s_and_b64 exec, exec, s[14:15]
	;; [unrolled: 32-line block ×6, first 2 shown]
	s_cbranch_execz .LBB1117_89
; %bb.87:
	s_add_i32 s0, s2, 56
	s_cmp_gt_u32 s3, s0
	s_cselect_b64 s[14:15], -1, 0
	s_xor_b64 s[16:17], vcc, -1
	s_and_b64 s[14:15], s[14:15], s[16:17]
	s_and_b64 exec, exec, s[14:15]
	s_cbranch_execz .LBB1117_89
; %bb.88:
	s_sub_i32 s1, s3, s0
	v_lshrrev_b64 v[9:10], s0, v[9:10]
	s_min_u32 s0, s1, 8
	v_bfe_u32 v9, v9, 0, s0
	v_lshlrev_b32_e32 v10, 2, v13
	v_lshl_or_b32 v9, v9, 4, v10
	v_mov_b32_e32 v10, 1
	ds_add_u32 v9, v10 offset:28672
.LBB1117_89:
	s_or_b64 exec, exec, s[6:7]
	v_cmp_le_u32_e32 vcc, s13, v17
	s_nor_b64 s[6:7], s[4:5], vcc
	v_mov_b32_e32 v9, s18
	s_and_saveexec_b64 s[0:1], s[6:7]
	s_cbranch_execz .LBB1117_91
; %bb.90:
	s_sub_i32 s6, s3, s2
	v_lshrrev_b64 v[9:10], s2, v[7:8]
	s_min_u32 s6, s6, 8
	v_bfe_u32 v9, v9, 0, s6
	v_lshlrev_b32_e32 v10, 2, v13
	v_lshl_or_b32 v9, v9, 4, v10
	v_mov_b32_e32 v10, 1
	ds_add_u32 v9, v10
	v_mov_b32_e32 v9, 0
.LBB1117_91:
	s_or_b64 exec, exec, s[0:1]
	v_cmp_gt_i32_e64 s[0:1], 10, v9
	s_mov_b64 s[14:15], -1
	s_and_saveexec_b64 s[6:7], s[0:1]
; %bb.92:
	v_cmp_eq_u32_e64 s[0:1], 0, v9
	s_orn2_b64 s[14:15], s[0:1], exec
; %bb.93:
	s_or_b64 exec, exec, s[6:7]
	s_and_saveexec_b64 s[6:7], s[14:15]
	s_cbranch_execz .LBB1117_126
; %bb.94:
	s_add_i32 s14, s2, 8
	s_cmp_le_u32 s3, s14
	s_cselect_b64 s[0:1], -1, 0
	s_and_b64 s[16:17], s[0:1], exec
	s_cselect_b32 s15, 8, 10
	s_nor_b64 s[16:17], s[0:1], vcc
	v_mov_b32_e32 v9, s15
	s_and_saveexec_b64 s[0:1], s[16:17]
	s_cbranch_execz .LBB1117_96
; %bb.95:
	s_sub_i32 s15, s3, s14
	v_lshrrev_b64 v[9:10], s14, v[7:8]
	s_min_u32 s14, s15, 8
	v_bfe_u32 v9, v9, 0, s14
	v_lshlrev_b32_e32 v10, 2, v13
	v_lshl_or_b32 v9, v9, 4, v10
	v_mov_b32_e32 v10, 1
	ds_add_u32 v9, v10 offset:4096
	v_mov_b32_e32 v9, 0
.LBB1117_96:
	s_or_b64 exec, exec, s[0:1]
	v_cmp_gt_i32_e64 s[0:1], 10, v9
	s_mov_b64 s[14:15], -1
	s_and_saveexec_b64 s[16:17], s[0:1]
; %bb.97:
	v_cmp_eq_u32_e64 s[0:1], 0, v9
	s_orn2_b64 s[14:15], s[0:1], exec
; %bb.98:
	s_or_b64 exec, exec, s[16:17]
	s_and_b64 exec, exec, s[14:15]
	s_cbranch_execz .LBB1117_126
; %bb.99:
	s_add_i32 s14, s2, 16
	s_cmp_le_u32 s3, s14
	s_cselect_b64 s[0:1], -1, 0
	s_and_b64 s[16:17], s[0:1], exec
	s_cselect_b32 s15, 8, 10
	s_nor_b64 s[16:17], s[0:1], vcc
	v_mov_b32_e32 v9, s15
	s_and_saveexec_b64 s[0:1], s[16:17]
	s_cbranch_execz .LBB1117_101
; %bb.100:
	s_sub_i32 s15, s3, s14
	v_lshrrev_b64 v[9:10], s14, v[7:8]
	s_min_u32 s14, s15, 8
	v_bfe_u32 v9, v9, 0, s14
	v_lshlrev_b32_e32 v10, 2, v13
	v_lshl_or_b32 v9, v9, 4, v10
	v_mov_b32_e32 v10, 1
	ds_add_u32 v9, v10 offset:8192
	v_mov_b32_e32 v9, 0
.LBB1117_101:
	s_or_b64 exec, exec, s[0:1]
	v_cmp_gt_i32_e64 s[0:1], 10, v9
	s_mov_b64 s[14:15], -1
	s_and_saveexec_b64 s[16:17], s[0:1]
; %bb.102:
	v_cmp_eq_u32_e64 s[0:1], 0, v9
	s_orn2_b64 s[14:15], s[0:1], exec
; %bb.103:
	s_or_b64 exec, exec, s[16:17]
	s_and_b64 exec, exec, s[14:15]
	;; [unrolled: 32-line block ×6, first 2 shown]
	s_cbranch_execz .LBB1117_126
; %bb.124:
	s_add_i32 s0, s2, 56
	s_cmp_gt_u32 s3, s0
	s_cselect_b64 s[14:15], -1, 0
	s_xor_b64 s[16:17], vcc, -1
	s_and_b64 s[14:15], s[14:15], s[16:17]
	s_and_b64 exec, exec, s[14:15]
	s_cbranch_execz .LBB1117_126
; %bb.125:
	s_sub_i32 s1, s3, s0
	v_lshrrev_b64 v[7:8], s0, v[7:8]
	s_min_u32 s0, s1, 8
	v_bfe_u32 v7, v7, 0, s0
	v_lshlrev_b32_e32 v8, 2, v13
	v_lshl_or_b32 v7, v7, 4, v8
	v_mov_b32_e32 v8, 1
	ds_add_u32 v7, v8 offset:28672
.LBB1117_126:
	s_or_b64 exec, exec, s[6:7]
	v_cmp_le_u32_e32 vcc, s13, v16
	s_nor_b64 s[6:7], s[4:5], vcc
	v_mov_b32_e32 v7, s18
	s_and_saveexec_b64 s[0:1], s[6:7]
	s_cbranch_execz .LBB1117_128
; %bb.127:
	s_sub_i32 s6, s3, s2
	v_lshrrev_b64 v[7:8], s2, v[5:6]
	s_min_u32 s6, s6, 8
	v_bfe_u32 v7, v7, 0, s6
	v_lshlrev_b32_e32 v8, 2, v13
	v_lshl_or_b32 v7, v7, 4, v8
	v_mov_b32_e32 v8, 1
	ds_add_u32 v7, v8
	v_mov_b32_e32 v7, 0
.LBB1117_128:
	s_or_b64 exec, exec, s[0:1]
	v_cmp_gt_i32_e64 s[0:1], 10, v7
	s_mov_b64 s[14:15], -1
	s_and_saveexec_b64 s[6:7], s[0:1]
; %bb.129:
	v_cmp_eq_u32_e64 s[0:1], 0, v7
	s_orn2_b64 s[14:15], s[0:1], exec
; %bb.130:
	s_or_b64 exec, exec, s[6:7]
	s_and_saveexec_b64 s[6:7], s[14:15]
	s_cbranch_execz .LBB1117_163
; %bb.131:
	s_add_i32 s14, s2, 8
	s_cmp_le_u32 s3, s14
	s_cselect_b64 s[0:1], -1, 0
	s_and_b64 s[16:17], s[0:1], exec
	s_cselect_b32 s15, 8, 10
	s_nor_b64 s[16:17], s[0:1], vcc
	v_mov_b32_e32 v7, s15
	s_and_saveexec_b64 s[0:1], s[16:17]
	s_cbranch_execz .LBB1117_133
; %bb.132:
	s_sub_i32 s15, s3, s14
	v_lshrrev_b64 v[7:8], s14, v[5:6]
	s_min_u32 s14, s15, 8
	v_bfe_u32 v7, v7, 0, s14
	v_lshlrev_b32_e32 v8, 2, v13
	v_lshl_or_b32 v7, v7, 4, v8
	v_mov_b32_e32 v8, 1
	ds_add_u32 v7, v8 offset:4096
	v_mov_b32_e32 v7, 0
.LBB1117_133:
	s_or_b64 exec, exec, s[0:1]
	v_cmp_gt_i32_e64 s[0:1], 10, v7
	s_mov_b64 s[14:15], -1
	s_and_saveexec_b64 s[16:17], s[0:1]
; %bb.134:
	v_cmp_eq_u32_e64 s[0:1], 0, v7
	s_orn2_b64 s[14:15], s[0:1], exec
; %bb.135:
	s_or_b64 exec, exec, s[16:17]
	s_and_b64 exec, exec, s[14:15]
	s_cbranch_execz .LBB1117_163
; %bb.136:
	s_add_i32 s14, s2, 16
	s_cmp_le_u32 s3, s14
	s_cselect_b64 s[0:1], -1, 0
	s_and_b64 s[16:17], s[0:1], exec
	s_cselect_b32 s15, 8, 10
	s_nor_b64 s[16:17], s[0:1], vcc
	v_mov_b32_e32 v7, s15
	s_and_saveexec_b64 s[0:1], s[16:17]
	s_cbranch_execz .LBB1117_138
; %bb.137:
	s_sub_i32 s15, s3, s14
	v_lshrrev_b64 v[7:8], s14, v[5:6]
	s_min_u32 s14, s15, 8
	v_bfe_u32 v7, v7, 0, s14
	v_lshlrev_b32_e32 v8, 2, v13
	v_lshl_or_b32 v7, v7, 4, v8
	v_mov_b32_e32 v8, 1
	ds_add_u32 v7, v8 offset:8192
	v_mov_b32_e32 v7, 0
.LBB1117_138:
	s_or_b64 exec, exec, s[0:1]
	v_cmp_gt_i32_e64 s[0:1], 10, v7
	s_mov_b64 s[14:15], -1
	s_and_saveexec_b64 s[16:17], s[0:1]
; %bb.139:
	v_cmp_eq_u32_e64 s[0:1], 0, v7
	s_orn2_b64 s[14:15], s[0:1], exec
; %bb.140:
	s_or_b64 exec, exec, s[16:17]
	s_and_b64 exec, exec, s[14:15]
	;; [unrolled: 32-line block ×6, first 2 shown]
	s_cbranch_execz .LBB1117_163
; %bb.161:
	s_add_i32 s0, s2, 56
	s_cmp_gt_u32 s3, s0
	s_cselect_b64 s[14:15], -1, 0
	s_xor_b64 s[16:17], vcc, -1
	s_and_b64 s[14:15], s[14:15], s[16:17]
	s_and_b64 exec, exec, s[14:15]
	s_cbranch_execz .LBB1117_163
; %bb.162:
	s_sub_i32 s1, s3, s0
	v_lshrrev_b64 v[5:6], s0, v[5:6]
	s_min_u32 s0, s1, 8
	v_bfe_u32 v5, v5, 0, s0
	v_lshlrev_b32_e32 v6, 2, v13
	v_lshl_or_b32 v5, v5, 4, v6
	v_mov_b32_e32 v6, 1
	ds_add_u32 v5, v6 offset:28672
.LBB1117_163:
	s_or_b64 exec, exec, s[6:7]
	v_cmp_le_u32_e32 vcc, s13, v15
	s_nor_b64 s[6:7], s[4:5], vcc
	v_mov_b32_e32 v5, s18
	s_and_saveexec_b64 s[0:1], s[6:7]
	s_cbranch_execz .LBB1117_165
; %bb.164:
	s_sub_i32 s6, s3, s2
	v_lshrrev_b64 v[5:6], s2, v[3:4]
	s_min_u32 s6, s6, 8
	v_bfe_u32 v5, v5, 0, s6
	v_lshlrev_b32_e32 v6, 2, v13
	v_lshl_or_b32 v5, v5, 4, v6
	v_mov_b32_e32 v6, 1
	ds_add_u32 v5, v6
	v_mov_b32_e32 v5, 0
.LBB1117_165:
	s_or_b64 exec, exec, s[0:1]
	v_cmp_gt_i32_e64 s[0:1], 10, v5
	s_mov_b64 s[14:15], -1
	s_and_saveexec_b64 s[6:7], s[0:1]
; %bb.166:
	v_cmp_eq_u32_e64 s[0:1], 0, v5
	s_orn2_b64 s[14:15], s[0:1], exec
; %bb.167:
	s_or_b64 exec, exec, s[6:7]
	s_and_saveexec_b64 s[6:7], s[14:15]
	s_cbranch_execz .LBB1117_200
; %bb.168:
	s_add_i32 s14, s2, 8
	s_cmp_le_u32 s3, s14
	s_cselect_b64 s[0:1], -1, 0
	s_and_b64 s[16:17], s[0:1], exec
	s_cselect_b32 s15, 8, 10
	s_nor_b64 s[16:17], s[0:1], vcc
	v_mov_b32_e32 v5, s15
	s_and_saveexec_b64 s[0:1], s[16:17]
	s_cbranch_execz .LBB1117_170
; %bb.169:
	s_sub_i32 s15, s3, s14
	v_lshrrev_b64 v[5:6], s14, v[3:4]
	s_min_u32 s14, s15, 8
	v_bfe_u32 v5, v5, 0, s14
	v_lshlrev_b32_e32 v6, 2, v13
	v_lshl_or_b32 v5, v5, 4, v6
	v_mov_b32_e32 v6, 1
	ds_add_u32 v5, v6 offset:4096
	v_mov_b32_e32 v5, 0
.LBB1117_170:
	s_or_b64 exec, exec, s[0:1]
	v_cmp_gt_i32_e64 s[0:1], 10, v5
	s_mov_b64 s[14:15], -1
	s_and_saveexec_b64 s[16:17], s[0:1]
; %bb.171:
	v_cmp_eq_u32_e64 s[0:1], 0, v5
	s_orn2_b64 s[14:15], s[0:1], exec
; %bb.172:
	s_or_b64 exec, exec, s[16:17]
	s_and_b64 exec, exec, s[14:15]
	s_cbranch_execz .LBB1117_200
; %bb.173:
	s_add_i32 s14, s2, 16
	s_cmp_le_u32 s3, s14
	s_cselect_b64 s[0:1], -1, 0
	s_and_b64 s[16:17], s[0:1], exec
	s_cselect_b32 s15, 8, 10
	s_nor_b64 s[16:17], s[0:1], vcc
	v_mov_b32_e32 v5, s15
	s_and_saveexec_b64 s[0:1], s[16:17]
	s_cbranch_execz .LBB1117_175
; %bb.174:
	s_sub_i32 s15, s3, s14
	v_lshrrev_b64 v[5:6], s14, v[3:4]
	s_min_u32 s14, s15, 8
	v_bfe_u32 v5, v5, 0, s14
	v_lshlrev_b32_e32 v6, 2, v13
	v_lshl_or_b32 v5, v5, 4, v6
	v_mov_b32_e32 v6, 1
	ds_add_u32 v5, v6 offset:8192
	v_mov_b32_e32 v5, 0
.LBB1117_175:
	s_or_b64 exec, exec, s[0:1]
	v_cmp_gt_i32_e64 s[0:1], 10, v5
	s_mov_b64 s[14:15], -1
	s_and_saveexec_b64 s[16:17], s[0:1]
; %bb.176:
	v_cmp_eq_u32_e64 s[0:1], 0, v5
	s_orn2_b64 s[14:15], s[0:1], exec
; %bb.177:
	s_or_b64 exec, exec, s[16:17]
	s_and_b64 exec, exec, s[14:15]
	;; [unrolled: 32-line block ×6, first 2 shown]
	s_cbranch_execz .LBB1117_200
; %bb.198:
	s_add_i32 s0, s2, 56
	s_cmp_gt_u32 s3, s0
	s_cselect_b64 s[14:15], -1, 0
	s_xor_b64 s[16:17], vcc, -1
	s_and_b64 s[14:15], s[14:15], s[16:17]
	s_and_b64 exec, exec, s[14:15]
	s_cbranch_execz .LBB1117_200
; %bb.199:
	s_sub_i32 s1, s3, s0
	v_lshrrev_b64 v[3:4], s0, v[3:4]
	s_min_u32 s0, s1, 8
	v_bfe_u32 v3, v3, 0, s0
	v_lshlrev_b32_e32 v4, 2, v13
	v_lshl_or_b32 v3, v3, 4, v4
	v_mov_b32_e32 v4, 1
	ds_add_u32 v3, v4 offset:28672
.LBB1117_200:
	s_or_b64 exec, exec, s[6:7]
	v_cmp_le_u32_e32 vcc, s13, v14
	s_nor_b64 s[4:5], s[4:5], vcc
	v_mov_b32_e32 v3, s18
	s_and_saveexec_b64 s[0:1], s[4:5]
	s_cbranch_execz .LBB1117_202
; %bb.201:
	s_sub_i32 s4, s3, s2
	v_lshrrev_b64 v[3:4], s2, v[1:2]
	s_min_u32 s4, s4, 8
	v_bfe_u32 v3, v3, 0, s4
	v_lshlrev_b32_e32 v4, 2, v13
	v_lshl_or_b32 v3, v3, 4, v4
	v_mov_b32_e32 v4, 1
	ds_add_u32 v3, v4
	v_mov_b32_e32 v3, 0
.LBB1117_202:
	s_or_b64 exec, exec, s[0:1]
	v_cmp_gt_i32_e64 s[0:1], 10, v3
	s_mov_b64 s[6:7], -1
	s_and_saveexec_b64 s[4:5], s[0:1]
; %bb.203:
	v_cmp_eq_u32_e64 s[0:1], 0, v3
	s_orn2_b64 s[6:7], s[0:1], exec
; %bb.204:
	s_or_b64 exec, exec, s[4:5]
	s_and_saveexec_b64 s[4:5], s[6:7]
	s_cbranch_execz .LBB1117_237
; %bb.205:
	s_add_i32 s6, s2, 8
	s_cmp_le_u32 s3, s6
	s_cselect_b64 s[0:1], -1, 0
	s_and_b64 s[14:15], s[0:1], exec
	s_cselect_b32 s7, 8, 10
	s_nor_b64 s[14:15], s[0:1], vcc
	v_mov_b32_e32 v3, s7
	s_and_saveexec_b64 s[0:1], s[14:15]
	s_cbranch_execz .LBB1117_207
; %bb.206:
	s_sub_i32 s7, s3, s6
	v_lshrrev_b64 v[3:4], s6, v[1:2]
	s_min_u32 s6, s7, 8
	v_bfe_u32 v3, v3, 0, s6
	v_lshlrev_b32_e32 v4, 2, v13
	v_lshl_or_b32 v3, v3, 4, v4
	v_mov_b32_e32 v4, 1
	ds_add_u32 v3, v4 offset:4096
	v_mov_b32_e32 v3, 0
.LBB1117_207:
	s_or_b64 exec, exec, s[0:1]
	v_cmp_gt_i32_e64 s[0:1], 10, v3
	s_mov_b64 s[6:7], -1
	s_and_saveexec_b64 s[14:15], s[0:1]
; %bb.208:
	v_cmp_eq_u32_e64 s[0:1], 0, v3
	s_orn2_b64 s[6:7], s[0:1], exec
; %bb.209:
	s_or_b64 exec, exec, s[14:15]
	s_and_b64 exec, exec, s[6:7]
	s_cbranch_execz .LBB1117_237
; %bb.210:
	s_add_i32 s6, s2, 16
	s_cmp_le_u32 s3, s6
	s_cselect_b64 s[0:1], -1, 0
	s_and_b64 s[14:15], s[0:1], exec
	s_cselect_b32 s7, 8, 10
	s_nor_b64 s[14:15], s[0:1], vcc
	v_mov_b32_e32 v3, s7
	s_and_saveexec_b64 s[0:1], s[14:15]
	s_cbranch_execz .LBB1117_212
; %bb.211:
	s_sub_i32 s7, s3, s6
	v_lshrrev_b64 v[3:4], s6, v[1:2]
	s_min_u32 s6, s7, 8
	v_bfe_u32 v3, v3, 0, s6
	v_lshlrev_b32_e32 v4, 2, v13
	v_lshl_or_b32 v3, v3, 4, v4
	v_mov_b32_e32 v4, 1
	ds_add_u32 v3, v4 offset:8192
	v_mov_b32_e32 v3, 0
.LBB1117_212:
	s_or_b64 exec, exec, s[0:1]
	v_cmp_gt_i32_e64 s[0:1], 10, v3
	s_mov_b64 s[6:7], -1
	s_and_saveexec_b64 s[14:15], s[0:1]
; %bb.213:
	v_cmp_eq_u32_e64 s[0:1], 0, v3
	s_orn2_b64 s[6:7], s[0:1], exec
; %bb.214:
	s_or_b64 exec, exec, s[14:15]
	s_and_b64 exec, exec, s[6:7]
	;; [unrolled: 32-line block ×6, first 2 shown]
	s_cbranch_execz .LBB1117_237
; %bb.235:
	s_add_i32 s0, s2, 56
	s_cmp_gt_u32 s3, s0
	s_cselect_b64 s[6:7], -1, 0
	s_xor_b64 s[14:15], vcc, -1
	s_and_b64 s[6:7], s[6:7], s[14:15]
	s_and_b64 exec, exec, s[6:7]
	s_cbranch_execz .LBB1117_237
; %bb.236:
	s_sub_i32 s1, s3, s0
	v_lshrrev_b64 v[1:2], s0, v[1:2]
	s_min_u32 s0, s1, 8
	v_bfe_u32 v1, v1, 0, s0
	v_lshlrev_b32_e32 v2, 2, v13
	v_lshl_or_b32 v1, v1, 4, v2
	v_mov_b32_e32 v2, 1
	ds_add_u32 v1, v2 offset:28672
.LBB1117_237:
	s_or_b64 exec, exec, s[4:5]
	s_cmp_gt_u32 s3, s2
	s_waitcnt lgkmcnt(0)
	s_barrier
	s_cbranch_scc0 .LBB1117_242
; %bb.238:
	s_movk_i32 s0, 0x100
	v_cmp_gt_u32_e32 vcc, s0, v0
	v_lshlrev_b32_e32 v3, 4, v0
	v_mov_b32_e32 v2, 0
	v_mov_b32_e32 v1, v0
	s_mov_b32 s6, s2
	s_branch .LBB1117_240
.LBB1117_239:                           ;   in Loop: Header=BB1117_240 Depth=1
	s_or_b64 exec, exec, s[4:5]
	s_add_i32 s6, s6, 8
	v_add_u32_e32 v1, 0x100, v1
	s_cmp_lt_u32 s6, s3
	v_add_u32_e32 v3, 0x1000, v3
	s_cbranch_scc0 .LBB1117_242
.LBB1117_240:                           ; =>This Inner Loop Header: Depth=1
	s_and_saveexec_b64 s[4:5], vcc
	s_cbranch_execz .LBB1117_239
; %bb.241:                              ;   in Loop: Header=BB1117_240 Depth=1
	ds_read2_b32 v[4:5], v3 offset1:1
	ds_read2_b32 v[6:7], v3 offset0:2 offset1:3
	v_lshlrev_b64 v[8:9], 2, v[1:2]
	v_mov_b32_e32 v10, s11
	s_waitcnt lgkmcnt(1)
	v_add_u32_e32 v4, v5, v4
	s_waitcnt lgkmcnt(0)
	v_add3_u32 v6, v4, v6, v7
	v_add_co_u32_e64 v4, s[0:1], s10, v8
	v_addc_co_u32_e64 v5, s[0:1], v10, v9, s[0:1]
	global_atomic_add v[4:5], v6, off
	s_branch .LBB1117_239
.LBB1117_242:
	s_mov_b64 s[0:1], 0
.LBB1117_243:
	s_and_b64 vcc, exec, s[0:1]
	s_cbranch_vccz .LBB1117_319
; %bb.244:
	s_cmp_eq_u32 s2, 0
	s_cselect_b64 s[0:1], -1, 0
	s_cmp_eq_u32 s3, 64
	s_mov_b32 s13, 0
	s_cselect_b64 s[4:5], -1, 0
	s_and_b64 s[4:5], s[0:1], s[4:5]
	s_lshl_b64 s[0:1], s[12:13], 3
	s_add_u32 s0, s8, s0
	s_addc_u32 s1, s9, s1
	v_lshlrev_b32_e32 v19, 3, v0
	v_mov_b32_e32 v1, s1
	v_add_co_u32_e32 v3, vcc, s0, v19
	v_addc_co_u32_e32 v4, vcc, 0, v1, vcc
	s_movk_i32 s6, 0x2000
	v_add_co_u32_e32 v1, vcc, s6, v3
	v_addc_co_u32_e32 v2, vcc, 0, v4, vcc
	s_movk_i32 s6, 0x3000
	v_add_co_u32_e32 v13, vcc, s6, v3
	v_addc_co_u32_e32 v14, vcc, 0, v4, vcc
	v_add_co_u32_e32 v15, vcc, 0x4000, v3
	v_addc_co_u32_e32 v16, vcc, 0, v4, vcc
	v_add_co_u32_e32 v17, vcc, 0x5000, v3
	global_load_dwordx2 v[9:10], v[1:2], off offset:-4096
	global_load_dwordx2 v[7:8], v[1:2], off
	v_addc_co_u32_e32 v18, vcc, 0, v4, vcc
	global_load_dwordx2 v[11:12], v19, s[0:1]
	global_load_dwordx2 v[5:6], v[13:14], off
	global_load_dwordx2 v[3:4], v[15:16], off
	;; [unrolled: 1-line block ×3, first 2 shown]
	v_mov_b32_e32 v13, 0
	s_mov_b64 s[0:1], -1
	s_and_b64 vcc, exec, s[4:5]
	v_lshlrev_b32_e32 v19, 2, v0
	s_cbranch_vccnz .LBB1117_314
; %bb.245:
	v_or_b32_e32 v14, 0xfffffe00, v0
	v_lshlrev_b32_e32 v15, 2, v0
	s_mov_b64 s[0:1], 0
	s_movk_i32 s4, 0x1dff
.LBB1117_246:                           ; =>This Inner Loop Header: Depth=1
	v_add_u32_e32 v14, 0x200, v14
	v_cmp_lt_u32_e32 vcc, s4, v14
	ds_write_b32 v15, v13
	s_or_b64 s[0:1], vcc, s[0:1]
	v_add_u32_e32 v15, 0x800, v15
	s_andn2_b64 exec, exec, s[0:1]
	s_cbranch_execnz .LBB1117_246
; %bb.247:
	s_or_b64 exec, exec, s[0:1]
	s_cmp_gt_u32 s3, s2
	s_cselect_b64 s[0:1], -1, 0
	s_and_b64 vcc, exec, s[0:1]
	s_waitcnt vmcnt(0) lgkmcnt(0)
	s_barrier
	s_cbranch_vccz .LBB1117_308
; %bb.248:
	s_sub_i32 s4, s3, s2
	v_xor_b32_e32 v16, 0x80000000, v12
	v_mov_b32_e32 v15, v11
	s_min_u32 s4, s4, 8
	s_lshl_b32 s4, -1, s4
	v_lshrrev_b64 v[17:18], s2, v[15:16]
	v_and_b32_e32 v20, 3, v0
	s_not_b32 s12, s4
	v_and_b32_e32 v17, s12, v17
	v_lshlrev_b32_e32 v21, 2, v20
	v_lshl_or_b32 v17, v17, 4, v21
	v_mov_b32_e32 v18, 1
	ds_add_u32 v17, v18
	s_add_i32 s13, s2, 8
	v_xor_b32_e32 v14, 0x80000000, v10
	v_mov_b32_e32 v13, v9
	s_cmp_le_u32 s3, s13
	s_cselect_b64 s[4:5], -1, 0
	v_lshrrev_b64 v[17:18], s2, v[13:14]
	s_and_b64 vcc, exec, s[4:5]
	s_cbranch_vccz .LBB1117_250
; %bb.249:
	v_and_b32_e32 v18, s12, v17
	v_lshlrev_b32_e32 v18, 4, v18
	s_mov_b64 s[6:7], -1
	s_cbranch_execz .LBB1117_251
	s_branch .LBB1117_266
.LBB1117_250:
	s_mov_b64 s[6:7], 0
                                        ; implicit-def: $vgpr18
.LBB1117_251:
	s_sub_i32 s8, s3, s13
	s_min_u32 s8, s8, 8
	s_lshl_b32 s8, -1, s8
	v_lshrrev_b64 v[22:23], s13, v[15:16]
	s_not_b32 s15, s8
	v_and_b32_e32 v18, s15, v22
	v_lshl_or_b32 v22, v18, 4, v21
	v_mov_b32_e32 v18, 1
	ds_add_u32 v22, v18 offset:4096
	s_add_i32 s14, s2, 16
	s_cmp_gt_u32 s3, s14
	s_cselect_b64 s[8:9], -1, 0
	s_cmp_le_u32 s3, s14
	s_cbranch_scc1 .LBB1117_258
; %bb.252:
	s_sub_i32 s16, s3, s14
	v_lshrrev_b64 v[22:23], s14, v[15:16]
	s_min_u32 s16, s16, 8
	v_bfe_u32 v22, v22, 0, s16
	v_lshl_or_b32 v22, v22, 4, v21
	ds_add_u32 v22, v18 offset:8192
	s_add_i32 s16, s2, 24
	s_cmp_le_u32 s3, s16
	s_cbranch_scc1 .LBB1117_258
; %bb.253:
	s_sub_i32 s17, s3, s16
	v_lshrrev_b64 v[22:23], s16, v[15:16]
	s_min_u32 s16, s17, 8
	v_bfe_u32 v22, v22, 0, s16
	v_lshl_or_b32 v23, v22, 4, v21
	v_mov_b32_e32 v22, 1
	ds_add_u32 v23, v22 offset:12288
	s_add_i32 s16, s2, 32
	s_cmp_le_u32 s3, s16
	s_cbranch_scc1 .LBB1117_258
; %bb.254:
	s_sub_i32 s17, s3, s16
	v_lshrrev_b64 v[23:24], s16, v[15:16]
	s_min_u32 s16, s17, 8
	v_bfe_u32 v23, v23, 0, s16
	v_lshl_or_b32 v23, v23, 4, v21
	ds_add_u32 v23, v22 offset:16384
	s_add_i32 s16, s2, 40
	s_cmp_le_u32 s3, s16
	s_cbranch_scc1 .LBB1117_258
; %bb.255:
	s_sub_i32 s17, s3, s16
	v_lshrrev_b64 v[22:23], s16, v[15:16]
	s_min_u32 s16, s17, 8
	v_bfe_u32 v22, v22, 0, s16
	v_lshl_or_b32 v23, v22, 4, v21
	v_mov_b32_e32 v22, 1
	ds_add_u32 v23, v22 offset:20480
	s_add_i32 s16, s2, 48
	s_cmp_le_u32 s3, s16
	s_cbranch_scc1 .LBB1117_258
; %bb.256:
	s_sub_i32 s17, s3, s16
	v_lshrrev_b64 v[23:24], s16, v[15:16]
	s_min_u32 s16, s17, 8
	v_bfe_u32 v23, v23, 0, s16
	v_lshl_or_b32 v23, v23, 4, v21
	ds_add_u32 v23, v22 offset:24576
	s_add_i32 s16, s2, 56
	s_cmp_le_u32 s3, s16
	s_cbranch_scc1 .LBB1117_258
; %bb.257:
	s_sub_i32 s17, s3, s16
	v_lshrrev_b64 v[15:16], s16, v[15:16]
	s_min_u32 s16, s17, 8
	v_bfe_u32 v15, v15, 0, s16
	v_lshl_or_b32 v15, v15, 4, v21
	v_mov_b32_e32 v16, 1
	ds_add_u32 v15, v16 offset:28672
.LBB1117_258:
	v_and_b32_e32 v15, s12, v17
	v_lshl_or_b32 v17, v15, 4, v21
	v_lshrrev_b64 v[15:16], s13, v[13:14]
	ds_add_u32 v17, v18
	v_and_b32_e32 v15, s15, v15
	v_lshl_or_b32 v15, v15, 4, v21
	ds_add_u32 v15, v18 offset:4096
	s_andn2_b64 vcc, exec, s[8:9]
	s_cbranch_vccnz .LBB1117_265
; %bb.259:
	s_sub_i32 s8, s3, s14
	v_lshrrev_b64 v[15:16], s14, v[13:14]
	s_min_u32 s8, s8, 8
	v_bfe_u32 v15, v15, 0, s8
	v_lshl_or_b32 v16, v15, 4, v21
	v_mov_b32_e32 v15, 1
	ds_add_u32 v16, v15 offset:8192
	s_add_i32 s8, s2, 24
	s_cmp_gt_u32 s3, s8
	s_cbranch_scc0 .LBB1117_265
; %bb.260:
	s_sub_i32 s9, s3, s8
	v_lshrrev_b64 v[16:17], s8, v[13:14]
	s_min_u32 s8, s9, 8
	v_bfe_u32 v16, v16, 0, s8
	v_lshl_or_b32 v16, v16, 4, v21
	ds_add_u32 v16, v15 offset:12288
	s_add_i32 s8, s2, 32
	s_cmp_gt_u32 s3, s8
	s_cbranch_scc0 .LBB1117_265
; %bb.261:
	s_sub_i32 s9, s3, s8
	v_lshrrev_b64 v[15:16], s8, v[13:14]
	s_min_u32 s8, s9, 8
	v_bfe_u32 v15, v15, 0, s8
	v_lshl_or_b32 v16, v15, 4, v21
	v_mov_b32_e32 v15, 1
	ds_add_u32 v16, v15 offset:16384
	s_add_i32 s8, s2, 40
	s_cmp_gt_u32 s3, s8
	s_cbranch_scc0 .LBB1117_265
; %bb.262:
	s_sub_i32 s9, s3, s8
	v_lshrrev_b64 v[16:17], s8, v[13:14]
	s_min_u32 s8, s9, 8
	v_bfe_u32 v16, v16, 0, s8
	v_lshl_or_b32 v16, v16, 4, v21
	ds_add_u32 v16, v15 offset:20480
	s_add_i32 s8, s2, 48
	s_cmp_gt_u32 s3, s8
	s_cbranch_scc0 .LBB1117_265
; %bb.263:
	s_sub_i32 s9, s3, s8
	v_lshrrev_b64 v[15:16], s8, v[13:14]
	s_min_u32 s8, s9, 8
	v_bfe_u32 v15, v15, 0, s8
	v_lshl_or_b32 v15, v15, 4, v21
	v_mov_b32_e32 v16, 1
	ds_add_u32 v15, v16 offset:24576
	s_add_i32 s8, s2, 56
	s_cmp_gt_u32 s3, s8
                                        ; implicit-def: $vgpr18
	s_cbranch_scc0 .LBB1117_266
; %bb.264:
	s_sub_i32 s6, s3, s8
	v_lshrrev_b64 v[13:14], s8, v[13:14]
	s_min_u32 s6, s6, 8
	v_bfe_u32 v13, v13, 0, s6
	v_mov_b32_e32 v14, 0x7000
	v_lshl_add_u32 v18, v13, 4, v14
	s_mov_b64 s[6:7], -1
	s_branch .LBB1117_266
.LBB1117_265:
                                        ; implicit-def: $vgpr18
.LBB1117_266:
	s_and_b64 vcc, exec, s[6:7]
	s_cbranch_vccz .LBB1117_268
; %bb.267:
	v_lshl_add_u32 v13, v20, 2, v18
	v_mov_b32_e32 v14, 1
	ds_add_u32 v13, v14
.LBB1117_268:
	v_xor_b32_e32 v16, 0x80000000, v8
	v_mov_b32_e32 v15, v7
	v_lshrrev_b64 v[17:18], s2, v[15:16]
	v_mov_b32_e32 v18, 1
	v_and_b32_e32 v17, s12, v17
	v_lshl_or_b32 v17, v17, 4, v21
	ds_add_u32 v17, v18
	v_xor_b32_e32 v14, 0x80000000, v6
	v_mov_b32_e32 v13, v5
	v_lshrrev_b64 v[17:18], s2, v[13:14]
	s_and_b64 vcc, exec, s[4:5]
	s_cbranch_vccz .LBB1117_270
; %bb.269:
	v_and_b32_e32 v18, s12, v17
	v_lshlrev_b32_e32 v18, 4, v18
	s_mov_b64 s[6:7], -1
	s_cbranch_execz .LBB1117_271
	s_branch .LBB1117_286
.LBB1117_270:
	s_mov_b64 s[6:7], 0
                                        ; implicit-def: $vgpr18
.LBB1117_271:
	s_sub_i32 s8, s3, s13
	s_min_u32 s8, s8, 8
	s_lshl_b32 s8, -1, s8
	v_lshrrev_b64 v[22:23], s13, v[15:16]
	s_not_b32 s15, s8
	v_and_b32_e32 v18, s15, v22
	v_lshl_or_b32 v22, v18, 4, v21
	v_mov_b32_e32 v18, 1
	ds_add_u32 v22, v18 offset:4096
	s_add_i32 s14, s2, 16
	s_cmp_gt_u32 s3, s14
	s_cselect_b64 s[8:9], -1, 0
	s_cmp_le_u32 s3, s14
	s_cbranch_scc1 .LBB1117_278
; %bb.272:
	s_sub_i32 s16, s3, s14
	v_lshrrev_b64 v[22:23], s14, v[15:16]
	s_min_u32 s16, s16, 8
	v_bfe_u32 v22, v22, 0, s16
	v_lshl_or_b32 v22, v22, 4, v21
	ds_add_u32 v22, v18 offset:8192
	s_add_i32 s16, s2, 24
	s_cmp_le_u32 s3, s16
	s_cbranch_scc1 .LBB1117_278
; %bb.273:
	s_sub_i32 s17, s3, s16
	v_lshrrev_b64 v[22:23], s16, v[15:16]
	s_min_u32 s16, s17, 8
	v_bfe_u32 v22, v22, 0, s16
	v_lshl_or_b32 v23, v22, 4, v21
	v_mov_b32_e32 v22, 1
	ds_add_u32 v23, v22 offset:12288
	s_add_i32 s16, s2, 32
	s_cmp_le_u32 s3, s16
	s_cbranch_scc1 .LBB1117_278
; %bb.274:
	s_sub_i32 s17, s3, s16
	v_lshrrev_b64 v[23:24], s16, v[15:16]
	s_min_u32 s16, s17, 8
	v_bfe_u32 v23, v23, 0, s16
	v_lshl_or_b32 v23, v23, 4, v21
	ds_add_u32 v23, v22 offset:16384
	s_add_i32 s16, s2, 40
	s_cmp_le_u32 s3, s16
	s_cbranch_scc1 .LBB1117_278
; %bb.275:
	s_sub_i32 s17, s3, s16
	v_lshrrev_b64 v[22:23], s16, v[15:16]
	s_min_u32 s16, s17, 8
	v_bfe_u32 v22, v22, 0, s16
	v_lshl_or_b32 v23, v22, 4, v21
	v_mov_b32_e32 v22, 1
	ds_add_u32 v23, v22 offset:20480
	s_add_i32 s16, s2, 48
	s_cmp_le_u32 s3, s16
	s_cbranch_scc1 .LBB1117_278
; %bb.276:
	s_sub_i32 s17, s3, s16
	v_lshrrev_b64 v[23:24], s16, v[15:16]
	s_min_u32 s16, s17, 8
	v_bfe_u32 v23, v23, 0, s16
	v_lshl_or_b32 v23, v23, 4, v21
	ds_add_u32 v23, v22 offset:24576
	s_add_i32 s16, s2, 56
	s_cmp_le_u32 s3, s16
	s_cbranch_scc1 .LBB1117_278
; %bb.277:
	s_sub_i32 s17, s3, s16
	v_lshrrev_b64 v[15:16], s16, v[15:16]
	s_min_u32 s16, s17, 8
	v_bfe_u32 v15, v15, 0, s16
	v_lshl_or_b32 v15, v15, 4, v21
	v_mov_b32_e32 v16, 1
	ds_add_u32 v15, v16 offset:28672
.LBB1117_278:
	v_and_b32_e32 v15, s12, v17
	v_lshl_or_b32 v17, v15, 4, v21
	v_lshrrev_b64 v[15:16], s13, v[13:14]
	ds_add_u32 v17, v18
	v_and_b32_e32 v15, s15, v15
	v_lshl_or_b32 v15, v15, 4, v21
	ds_add_u32 v15, v18 offset:4096
	s_andn2_b64 vcc, exec, s[8:9]
	s_cbranch_vccnz .LBB1117_285
; %bb.279:
	s_sub_i32 s8, s3, s14
	v_lshrrev_b64 v[15:16], s14, v[13:14]
	s_min_u32 s8, s8, 8
	v_bfe_u32 v15, v15, 0, s8
	v_lshl_or_b32 v16, v15, 4, v21
	v_mov_b32_e32 v15, 1
	ds_add_u32 v16, v15 offset:8192
	s_add_i32 s8, s2, 24
	s_cmp_gt_u32 s3, s8
	s_cbranch_scc0 .LBB1117_285
; %bb.280:
	s_sub_i32 s9, s3, s8
	v_lshrrev_b64 v[16:17], s8, v[13:14]
	s_min_u32 s8, s9, 8
	v_bfe_u32 v16, v16, 0, s8
	v_lshl_or_b32 v16, v16, 4, v21
	ds_add_u32 v16, v15 offset:12288
	s_add_i32 s8, s2, 32
	s_cmp_gt_u32 s3, s8
	s_cbranch_scc0 .LBB1117_285
; %bb.281:
	s_sub_i32 s9, s3, s8
	v_lshrrev_b64 v[15:16], s8, v[13:14]
	s_min_u32 s8, s9, 8
	v_bfe_u32 v15, v15, 0, s8
	v_lshl_or_b32 v16, v15, 4, v21
	v_mov_b32_e32 v15, 1
	ds_add_u32 v16, v15 offset:16384
	s_add_i32 s8, s2, 40
	s_cmp_gt_u32 s3, s8
	s_cbranch_scc0 .LBB1117_285
; %bb.282:
	s_sub_i32 s9, s3, s8
	v_lshrrev_b64 v[16:17], s8, v[13:14]
	s_min_u32 s8, s9, 8
	v_bfe_u32 v16, v16, 0, s8
	v_lshl_or_b32 v16, v16, 4, v21
	ds_add_u32 v16, v15 offset:20480
	s_add_i32 s8, s2, 48
	s_cmp_gt_u32 s3, s8
	s_cbranch_scc0 .LBB1117_285
; %bb.283:
	s_sub_i32 s9, s3, s8
	v_lshrrev_b64 v[15:16], s8, v[13:14]
	s_min_u32 s8, s9, 8
	v_bfe_u32 v15, v15, 0, s8
	v_lshl_or_b32 v15, v15, 4, v21
	v_mov_b32_e32 v16, 1
	ds_add_u32 v15, v16 offset:24576
	s_add_i32 s8, s2, 56
	s_cmp_gt_u32 s3, s8
                                        ; implicit-def: $vgpr18
	s_cbranch_scc0 .LBB1117_286
; %bb.284:
	s_sub_i32 s6, s3, s8
	v_lshrrev_b64 v[13:14], s8, v[13:14]
	s_min_u32 s6, s6, 8
	v_bfe_u32 v13, v13, 0, s6
	v_mov_b32_e32 v14, 0x7000
	v_lshl_add_u32 v18, v13, 4, v14
	s_mov_b64 s[6:7], -1
	s_branch .LBB1117_286
.LBB1117_285:
                                        ; implicit-def: $vgpr18
.LBB1117_286:
	s_and_b64 vcc, exec, s[6:7]
	s_cbranch_vccz .LBB1117_288
; %bb.287:
	v_lshl_add_u32 v13, v20, 2, v18
	v_mov_b32_e32 v14, 1
	ds_add_u32 v13, v14
.LBB1117_288:
	v_xor_b32_e32 v16, 0x80000000, v4
	v_mov_b32_e32 v15, v3
	v_lshrrev_b64 v[17:18], s2, v[15:16]
	v_mov_b32_e32 v18, 1
	v_and_b32_e32 v17, s12, v17
	v_lshl_or_b32 v17, v17, 4, v21
	ds_add_u32 v17, v18
	v_xor_b32_e32 v14, 0x80000000, v2
	v_mov_b32_e32 v13, v1
	v_lshrrev_b64 v[17:18], s2, v[13:14]
	s_and_b64 vcc, exec, s[4:5]
	s_cbranch_vccz .LBB1117_290
; %bb.289:
	v_and_b32_e32 v18, s12, v17
	v_lshlrev_b32_e32 v18, 4, v18
	s_mov_b64 s[4:5], -1
	s_cbranch_execz .LBB1117_291
	s_branch .LBB1117_306
.LBB1117_290:
	s_mov_b64 s[4:5], 0
                                        ; implicit-def: $vgpr18
.LBB1117_291:
	s_sub_i32 s6, s3, s13
	s_min_u32 s6, s6, 8
	s_lshl_b32 s6, -1, s6
	v_lshrrev_b64 v[22:23], s13, v[15:16]
	s_not_b32 s9, s6
	v_and_b32_e32 v18, s9, v22
	v_lshl_or_b32 v22, v18, 4, v21
	v_mov_b32_e32 v18, 1
	ds_add_u32 v22, v18 offset:4096
	s_add_i32 s8, s2, 16
	s_cmp_gt_u32 s3, s8
	s_cselect_b64 s[6:7], -1, 0
	s_cmp_le_u32 s3, s8
	s_cbranch_scc1 .LBB1117_298
; %bb.292:
	s_sub_i32 s14, s3, s8
	v_lshrrev_b64 v[22:23], s8, v[15:16]
	s_min_u32 s14, s14, 8
	v_bfe_u32 v22, v22, 0, s14
	v_lshl_or_b32 v22, v22, 4, v21
	ds_add_u32 v22, v18 offset:8192
	s_add_i32 s14, s2, 24
	s_cmp_le_u32 s3, s14
	s_cbranch_scc1 .LBB1117_298
; %bb.293:
	s_sub_i32 s15, s3, s14
	v_lshrrev_b64 v[22:23], s14, v[15:16]
	s_min_u32 s14, s15, 8
	v_bfe_u32 v22, v22, 0, s14
	v_lshl_or_b32 v23, v22, 4, v21
	v_mov_b32_e32 v22, 1
	ds_add_u32 v23, v22 offset:12288
	s_add_i32 s14, s2, 32
	s_cmp_le_u32 s3, s14
	s_cbranch_scc1 .LBB1117_298
; %bb.294:
	s_sub_i32 s15, s3, s14
	v_lshrrev_b64 v[23:24], s14, v[15:16]
	s_min_u32 s14, s15, 8
	v_bfe_u32 v23, v23, 0, s14
	v_lshl_or_b32 v23, v23, 4, v21
	ds_add_u32 v23, v22 offset:16384
	s_add_i32 s14, s2, 40
	s_cmp_le_u32 s3, s14
	s_cbranch_scc1 .LBB1117_298
; %bb.295:
	s_sub_i32 s15, s3, s14
	v_lshrrev_b64 v[22:23], s14, v[15:16]
	s_min_u32 s14, s15, 8
	v_bfe_u32 v22, v22, 0, s14
	v_lshl_or_b32 v23, v22, 4, v21
	v_mov_b32_e32 v22, 1
	ds_add_u32 v23, v22 offset:20480
	s_add_i32 s14, s2, 48
	s_cmp_le_u32 s3, s14
	s_cbranch_scc1 .LBB1117_298
; %bb.296:
	s_sub_i32 s15, s3, s14
	v_lshrrev_b64 v[23:24], s14, v[15:16]
	s_min_u32 s14, s15, 8
	v_bfe_u32 v23, v23, 0, s14
	v_lshl_or_b32 v23, v23, 4, v21
	ds_add_u32 v23, v22 offset:24576
	s_add_i32 s14, s2, 56
	s_cmp_le_u32 s3, s14
	s_cbranch_scc1 .LBB1117_298
; %bb.297:
	s_sub_i32 s15, s3, s14
	v_lshrrev_b64 v[15:16], s14, v[15:16]
	s_min_u32 s14, s15, 8
	v_bfe_u32 v15, v15, 0, s14
	v_lshl_or_b32 v15, v15, 4, v21
	v_mov_b32_e32 v16, 1
	ds_add_u32 v15, v16 offset:28672
.LBB1117_298:
	v_and_b32_e32 v15, s12, v17
	v_lshl_or_b32 v17, v15, 4, v21
	v_lshrrev_b64 v[15:16], s13, v[13:14]
	ds_add_u32 v17, v18
	v_and_b32_e32 v15, s9, v15
	v_lshl_or_b32 v15, v15, 4, v21
	ds_add_u32 v15, v18 offset:4096
	s_andn2_b64 vcc, exec, s[6:7]
	s_cbranch_vccnz .LBB1117_305
; %bb.299:
	s_sub_i32 s6, s3, s8
	v_lshrrev_b64 v[15:16], s8, v[13:14]
	s_min_u32 s6, s6, 8
	v_bfe_u32 v15, v15, 0, s6
	v_lshl_or_b32 v16, v15, 4, v21
	v_mov_b32_e32 v15, 1
	ds_add_u32 v16, v15 offset:8192
	s_add_i32 s6, s2, 24
	s_cmp_gt_u32 s3, s6
	s_cbranch_scc0 .LBB1117_305
; %bb.300:
	s_sub_i32 s7, s3, s6
	v_lshrrev_b64 v[16:17], s6, v[13:14]
	s_min_u32 s6, s7, 8
	v_bfe_u32 v16, v16, 0, s6
	v_lshl_or_b32 v16, v16, 4, v21
	ds_add_u32 v16, v15 offset:12288
	s_add_i32 s6, s2, 32
	s_cmp_gt_u32 s3, s6
	s_cbranch_scc0 .LBB1117_305
; %bb.301:
	s_sub_i32 s7, s3, s6
	v_lshrrev_b64 v[15:16], s6, v[13:14]
	s_min_u32 s6, s7, 8
	v_bfe_u32 v15, v15, 0, s6
	v_lshl_or_b32 v16, v15, 4, v21
	v_mov_b32_e32 v15, 1
	ds_add_u32 v16, v15 offset:16384
	s_add_i32 s6, s2, 40
	s_cmp_gt_u32 s3, s6
	s_cbranch_scc0 .LBB1117_305
; %bb.302:
	s_sub_i32 s7, s3, s6
	v_lshrrev_b64 v[16:17], s6, v[13:14]
	s_min_u32 s6, s7, 8
	v_bfe_u32 v16, v16, 0, s6
	v_lshl_or_b32 v16, v16, 4, v21
	ds_add_u32 v16, v15 offset:20480
	s_add_i32 s6, s2, 48
	s_cmp_gt_u32 s3, s6
	s_cbranch_scc0 .LBB1117_305
; %bb.303:
	s_sub_i32 s7, s3, s6
	v_lshrrev_b64 v[15:16], s6, v[13:14]
	s_min_u32 s6, s7, 8
	v_bfe_u32 v15, v15, 0, s6
	v_lshl_or_b32 v15, v15, 4, v21
	v_mov_b32_e32 v16, 1
	ds_add_u32 v15, v16 offset:24576
	s_add_i32 s6, s2, 56
	s_cmp_gt_u32 s3, s6
                                        ; implicit-def: $vgpr18
	s_cbranch_scc0 .LBB1117_306
; %bb.304:
	s_sub_i32 s4, s3, s6
	v_lshrrev_b64 v[13:14], s6, v[13:14]
	s_min_u32 s4, s4, 8
	v_bfe_u32 v13, v13, 0, s4
	v_mov_b32_e32 v14, 0x7000
	v_lshl_add_u32 v18, v13, 4, v14
	s_mov_b64 s[4:5], -1
	s_branch .LBB1117_306
.LBB1117_305:
                                        ; implicit-def: $vgpr18
.LBB1117_306:
	s_and_b64 vcc, exec, s[4:5]
	s_cbranch_vccz .LBB1117_308
; %bb.307:
	v_lshl_add_u32 v13, v20, 2, v18
	v_mov_b32_e32 v14, 1
	ds_add_u32 v13, v14
.LBB1117_308:
	s_and_b64 vcc, exec, s[0:1]
	s_waitcnt lgkmcnt(0)
	s_barrier
	s_cbranch_vccz .LBB1117_313
; %bb.309:
	s_movk_i32 s0, 0x100
	v_cmp_gt_u32_e32 vcc, s0, v0
	v_lshlrev_b32_e32 v15, 4, v0
	v_mov_b32_e32 v14, 0
	v_mov_b32_e32 v13, v0
	s_branch .LBB1117_311
.LBB1117_310:                           ;   in Loop: Header=BB1117_311 Depth=1
	s_or_b64 exec, exec, s[4:5]
	s_add_i32 s2, s2, 8
	v_add_u32_e32 v13, 0x100, v13
	s_cmp_ge_u32 s2, s3
	v_add_u32_e32 v15, 0x1000, v15
	s_cbranch_scc1 .LBB1117_313
.LBB1117_311:                           ; =>This Inner Loop Header: Depth=1
	s_and_saveexec_b64 s[4:5], vcc
	s_cbranch_execz .LBB1117_310
; %bb.312:                              ;   in Loop: Header=BB1117_311 Depth=1
	ds_read2_b32 v[16:17], v15 offset1:1
	ds_read2_b32 v[20:21], v15 offset0:2 offset1:3
	v_lshlrev_b64 v[22:23], 2, v[13:14]
	v_mov_b32_e32 v18, s11
	s_waitcnt lgkmcnt(1)
	v_add_u32_e32 v16, v17, v16
	s_waitcnt lgkmcnt(0)
	v_add3_u32 v20, v16, v20, v21
	v_add_co_u32_e64 v16, s[0:1], s10, v22
	v_addc_co_u32_e64 v17, s[0:1], v18, v23, s[0:1]
	global_atomic_add v[16:17], v20, off
	s_branch .LBB1117_310
.LBB1117_313:
	s_mov_b64 s[0:1], 0
.LBB1117_314:
	s_and_b64 vcc, exec, s[0:1]
	s_cbranch_vccz .LBB1117_319
; %bb.315:
	v_or_b32_e32 v13, 0xfffffe00, v0
	s_mov_b64 s[0:1], 0
	v_mov_b32_e32 v14, 0
	s_movk_i32 s2, 0x1dff
.LBB1117_316:                           ; =>This Inner Loop Header: Depth=1
	v_add_u32_e32 v13, 0x200, v13
	v_cmp_lt_u32_e32 vcc, s2, v13
	ds_write_b32 v19, v14
	s_or_b64 s[0:1], vcc, s[0:1]
	v_add_u32_e32 v19, 0x800, v19
	s_andn2_b64 exec, exec, s[0:1]
	s_cbranch_execnz .LBB1117_316
; %bb.317:
	s_or_b64 exec, exec, s[0:1]
	v_and_b32_e32 v13, 3, v0
	s_waitcnt vmcnt(3)
	v_lshlrev_b32_e32 v14, 4, v11
	v_lshlrev_b32_e32 v13, 2, v13
	s_movk_i32 s0, 0xff0
	v_and_or_b32 v14, v14, s0, v13
	v_mov_b32_e32 v15, 1
	s_waitcnt vmcnt(0) lgkmcnt(0)
	s_barrier
	ds_add_u32 v14, v15
	v_bfe_u32 v14, v11, 8, 8
	v_lshl_or_b32 v14, v14, 4, v13
	ds_add_u32 v14, v15 offset:4096
	v_bfe_u32 v14, v11, 16, 8
	v_lshl_or_b32 v14, v14, 4, v13
	ds_add_u32 v14, v15 offset:8192
	v_lshrrev_b32_e32 v14, 24, v11
	v_alignbit_b32 v11, v12, v11, 30
	v_lshl_or_b32 v14, v14, 4, v13
	v_and_b32_e32 v11, 0x3fc, v11
	ds_add_u32 v14, v15 offset:12288
	v_lshl_or_b32 v11, v11, 2, v13
	ds_add_u32 v11, v15 offset:16384
	v_bfe_u32 v11, v12, 8, 8
	v_lshl_or_b32 v11, v11, 4, v13
	ds_add_u32 v11, v15 offset:20480
	v_bfe_u32 v11, v12, 16, 8
	v_lshl_or_b32 v11, v11, 4, v13
	ds_add_u32 v11, v15 offset:24576
	v_mov_b32_e32 v11, 2
	v_lshlrev_b32_sdwa v12, v11, v12 dst_sel:DWORD dst_unused:UNUSED_PAD src0_sel:DWORD src1_sel:BYTE_3
	v_xor_b32_e32 v12, 0x200, v12
	v_lshl_or_b32 v12, v12, 2, v13
	ds_add_u32 v12, v15 offset:28672
	v_lshlrev_b32_e32 v12, 4, v9
	v_and_or_b32 v12, v12, s0, v13
	ds_add_u32 v12, v15
	v_bfe_u32 v12, v9, 8, 8
	v_lshl_or_b32 v12, v12, 4, v13
	ds_add_u32 v12, v15 offset:4096
	v_bfe_u32 v12, v9, 16, 8
	v_lshl_or_b32 v12, v12, 4, v13
	ds_add_u32 v12, v15 offset:8192
	v_lshrrev_b32_e32 v12, 24, v9
	v_alignbit_b32 v9, v10, v9, 30
	v_lshl_or_b32 v12, v12, 4, v13
	v_and_b32_e32 v9, 0x3fc, v9
	ds_add_u32 v12, v15 offset:12288
	v_lshl_or_b32 v9, v9, 2, v13
	ds_add_u32 v9, v15 offset:16384
	v_bfe_u32 v9, v10, 8, 8
	v_lshl_or_b32 v9, v9, 4, v13
	ds_add_u32 v9, v15 offset:20480
	v_bfe_u32 v9, v10, 16, 8
	v_lshl_or_b32 v9, v9, 4, v13
	ds_add_u32 v9, v15 offset:24576
	v_lshlrev_b32_sdwa v9, v11, v10 dst_sel:DWORD dst_unused:UNUSED_PAD src0_sel:DWORD src1_sel:BYTE_3
	v_xor_b32_e32 v9, 0x200, v9
	v_lshl_or_b32 v9, v9, 2, v13
	ds_add_u32 v9, v15 offset:28672
	v_lshlrev_b32_e32 v9, 4, v7
	v_and_or_b32 v9, v9, s0, v13
	ds_add_u32 v9, v15
	v_bfe_u32 v9, v7, 8, 8
	v_lshl_or_b32 v9, v9, 4, v13
	ds_add_u32 v9, v15 offset:4096
	v_bfe_u32 v9, v7, 16, 8
	v_lshl_or_b32 v9, v9, 4, v13
	ds_add_u32 v9, v15 offset:8192
	v_lshrrev_b32_e32 v9, 24, v7
	v_alignbit_b32 v7, v8, v7, 30
	v_lshl_or_b32 v9, v9, 4, v13
	v_and_b32_e32 v7, 0x3fc, v7
	ds_add_u32 v9, v15 offset:12288
	v_lshl_or_b32 v7, v7, 2, v13
	ds_add_u32 v7, v15 offset:16384
	v_bfe_u32 v7, v8, 8, 8
	v_lshl_or_b32 v7, v7, 4, v13
	ds_add_u32 v7, v15 offset:20480
	v_bfe_u32 v7, v8, 16, 8
	v_lshl_or_b32 v7, v7, 4, v13
	ds_add_u32 v7, v15 offset:24576
	;; [unrolled: 26-line block ×5, first 2 shown]
	v_lshlrev_b32_sdwa v1, v11, v2 dst_sel:DWORD dst_unused:UNUSED_PAD src0_sel:DWORD src1_sel:BYTE_3
	v_xor_b32_e32 v1, 0x200, v1
	v_lshl_or_b32 v1, v1, 2, v13
	ds_add_u32 v1, v15 offset:28672
	s_movk_i32 s0, 0x100
	v_cmp_gt_u32_e32 vcc, s0, v0
	s_waitcnt lgkmcnt(0)
	s_barrier
	s_and_saveexec_b64 s[0:1], vcc
	s_cbranch_execz .LBB1117_319
; %bb.318:
	v_lshlrev_b32_e32 v6, 4, v0
	ds_read2_b32 v[1:2], v6 offset1:1
	ds_read2_b32 v[3:4], v6 offset0:2 offset1:3
	v_lshlrev_b32_e32 v5, 2, v0
	v_add_u32_e32 v0, 0x1000, v6
	v_add_u32_e32 v7, 0x1008, v6
	s_waitcnt lgkmcnt(1)
	v_add_u32_e32 v1, v2, v1
	s_waitcnt lgkmcnt(0)
	v_add3_u32 v1, v1, v3, v4
	global_atomic_add v5, v1, s[10:11]
	ds_read2_b32 v[0:1], v0 offset1:1
	ds_read2_b32 v[2:3], v7 offset1:1
	v_or_b32_e32 v4, 0x2000, v6
	v_or_b32_e32 v7, 0x2008, v6
	v_add_u32_e32 v8, 0x3008, v6
	s_waitcnt lgkmcnt(1)
	v_add_u32_e32 v0, v1, v0
	s_waitcnt lgkmcnt(0)
	v_add3_u32 v0, v0, v2, v3
	global_atomic_add v5, v0, s[10:11] offset:1024
	ds_read2_b32 v[0:1], v4 offset1:1
	ds_read2_b32 v[2:3], v7 offset1:1
	v_add_u32_e32 v7, 0x3000, v6
	v_mov_b32_e32 v4, s11
	s_movk_i32 s0, 0x1000
	s_waitcnt lgkmcnt(1)
	v_add_u32_e32 v0, v1, v0
	s_waitcnt lgkmcnt(0)
	v_add3_u32 v0, v0, v2, v3
	global_atomic_add v5, v0, s[10:11] offset:2048
	ds_read2_b32 v[0:1], v7 offset1:1
	ds_read2_b32 v[2:3], v8 offset1:1
	v_or_b32_e32 v7, 0x4000, v6
	v_or_b32_e32 v8, 0x4008, v6
	s_waitcnt lgkmcnt(1)
	v_add_u32_e32 v0, v1, v0
	s_waitcnt lgkmcnt(0)
	v_add3_u32 v0, v0, v2, v3
	global_atomic_add v5, v0, s[10:11] offset:3072
	ds_read2_b32 v[0:1], v7 offset1:1
	ds_read2_b32 v[2:3], v8 offset1:1
	v_add_co_u32_e32 v5, vcc, s10, v5
	v_addc_co_u32_e32 v4, vcc, 0, v4, vcc
	s_waitcnt lgkmcnt(1)
	v_add_u32_e32 v0, v1, v0
	s_waitcnt lgkmcnt(0)
	v_add3_u32 v2, v0, v2, v3
	v_add_co_u32_e32 v0, vcc, s0, v5
	v_addc_co_u32_e32 v1, vcc, 0, v4, vcc
	global_atomic_add v[0:1], v2, off
	v_add_u32_e32 v2, 0x5000, v6
	v_add_u32_e32 v4, 0x5008, v6
	ds_read2_b32 v[2:3], v2 offset1:1
	ds_read2_b32 v[4:5], v4 offset1:1
	s_waitcnt lgkmcnt(1)
	v_add_u32_e32 v2, v3, v2
	s_waitcnt lgkmcnt(0)
	v_add3_u32 v2, v2, v4, v5
	global_atomic_add v[0:1], v2, off offset:1024
	v_or_b32_e32 v2, 0x6000, v6
	v_or_b32_e32 v4, 0x6008, v6
	ds_read2_b32 v[2:3], v2 offset1:1
	ds_read2_b32 v[4:5], v4 offset1:1
	s_waitcnt lgkmcnt(1)
	v_add_u32_e32 v2, v3, v2
	s_waitcnt lgkmcnt(0)
	v_add3_u32 v2, v2, v4, v5
	global_atomic_add v[0:1], v2, off offset:2048
	v_add_u32_e32 v2, 0x7000, v6
	v_add_u32_e32 v4, 0x7008, v6
	ds_read2_b32 v[2:3], v2 offset1:1
	ds_read2_b32 v[4:5], v4 offset1:1
	s_waitcnt lgkmcnt(1)
	v_add_u32_e32 v2, v3, v2
	s_waitcnt lgkmcnt(0)
	v_add3_u32 v2, v2, v4, v5
	global_atomic_add v[0:1], v2, off offset:3072
.LBB1117_319:
	s_endpgm
	.section	.rodata,"a",@progbits
	.p2align	6, 0x0
	.amdhsa_kernel _ZN7rocprim17ROCPRIM_400000_NS6detail17trampoline_kernelINS0_14default_configENS1_35radix_sort_onesweep_config_selectorIllEEZNS1_34radix_sort_onesweep_global_offsetsIS3_Lb0EPlN6thrust23THRUST_200600_302600_NS10device_ptrIlEEjNS0_19identity_decomposerEEE10hipError_tT1_T2_PT3_SG_jT4_jjP12ihipStream_tbEUlT_E_NS1_11comp_targetILNS1_3genE2ELNS1_11target_archE906ELNS1_3gpuE6ELNS1_3repE0EEENS1_52radix_sort_onesweep_histogram_config_static_selectorELNS0_4arch9wavefront6targetE1EEEvSE_
		.amdhsa_group_segment_fixed_size 32768
		.amdhsa_private_segment_fixed_size 0
		.amdhsa_kernarg_size 40
		.amdhsa_user_sgpr_count 6
		.amdhsa_user_sgpr_private_segment_buffer 1
		.amdhsa_user_sgpr_dispatch_ptr 0
		.amdhsa_user_sgpr_queue_ptr 0
		.amdhsa_user_sgpr_kernarg_segment_ptr 1
		.amdhsa_user_sgpr_dispatch_id 0
		.amdhsa_user_sgpr_flat_scratch_init 0
		.amdhsa_user_sgpr_private_segment_size 0
		.amdhsa_uses_dynamic_stack 0
		.amdhsa_system_sgpr_private_segment_wavefront_offset 0
		.amdhsa_system_sgpr_workgroup_id_x 1
		.amdhsa_system_sgpr_workgroup_id_y 0
		.amdhsa_system_sgpr_workgroup_id_z 0
		.amdhsa_system_sgpr_workgroup_info 0
		.amdhsa_system_vgpr_workitem_id 0
		.amdhsa_next_free_vgpr 49
		.amdhsa_next_free_sgpr 98
		.amdhsa_reserve_vcc 1
		.amdhsa_reserve_flat_scratch 0
		.amdhsa_float_round_mode_32 0
		.amdhsa_float_round_mode_16_64 0
		.amdhsa_float_denorm_mode_32 3
		.amdhsa_float_denorm_mode_16_64 3
		.amdhsa_dx10_clamp 1
		.amdhsa_ieee_mode 1
		.amdhsa_fp16_overflow 0
		.amdhsa_exception_fp_ieee_invalid_op 0
		.amdhsa_exception_fp_denorm_src 0
		.amdhsa_exception_fp_ieee_div_zero 0
		.amdhsa_exception_fp_ieee_overflow 0
		.amdhsa_exception_fp_ieee_underflow 0
		.amdhsa_exception_fp_ieee_inexact 0
		.amdhsa_exception_int_div_zero 0
	.end_amdhsa_kernel
	.section	.text._ZN7rocprim17ROCPRIM_400000_NS6detail17trampoline_kernelINS0_14default_configENS1_35radix_sort_onesweep_config_selectorIllEEZNS1_34radix_sort_onesweep_global_offsetsIS3_Lb0EPlN6thrust23THRUST_200600_302600_NS10device_ptrIlEEjNS0_19identity_decomposerEEE10hipError_tT1_T2_PT3_SG_jT4_jjP12ihipStream_tbEUlT_E_NS1_11comp_targetILNS1_3genE2ELNS1_11target_archE906ELNS1_3gpuE6ELNS1_3repE0EEENS1_52radix_sort_onesweep_histogram_config_static_selectorELNS0_4arch9wavefront6targetE1EEEvSE_,"axG",@progbits,_ZN7rocprim17ROCPRIM_400000_NS6detail17trampoline_kernelINS0_14default_configENS1_35radix_sort_onesweep_config_selectorIllEEZNS1_34radix_sort_onesweep_global_offsetsIS3_Lb0EPlN6thrust23THRUST_200600_302600_NS10device_ptrIlEEjNS0_19identity_decomposerEEE10hipError_tT1_T2_PT3_SG_jT4_jjP12ihipStream_tbEUlT_E_NS1_11comp_targetILNS1_3genE2ELNS1_11target_archE906ELNS1_3gpuE6ELNS1_3repE0EEENS1_52radix_sort_onesweep_histogram_config_static_selectorELNS0_4arch9wavefront6targetE1EEEvSE_,comdat
.Lfunc_end1117:
	.size	_ZN7rocprim17ROCPRIM_400000_NS6detail17trampoline_kernelINS0_14default_configENS1_35radix_sort_onesweep_config_selectorIllEEZNS1_34radix_sort_onesweep_global_offsetsIS3_Lb0EPlN6thrust23THRUST_200600_302600_NS10device_ptrIlEEjNS0_19identity_decomposerEEE10hipError_tT1_T2_PT3_SG_jT4_jjP12ihipStream_tbEUlT_E_NS1_11comp_targetILNS1_3genE2ELNS1_11target_archE906ELNS1_3gpuE6ELNS1_3repE0EEENS1_52radix_sort_onesweep_histogram_config_static_selectorELNS0_4arch9wavefront6targetE1EEEvSE_, .Lfunc_end1117-_ZN7rocprim17ROCPRIM_400000_NS6detail17trampoline_kernelINS0_14default_configENS1_35radix_sort_onesweep_config_selectorIllEEZNS1_34radix_sort_onesweep_global_offsetsIS3_Lb0EPlN6thrust23THRUST_200600_302600_NS10device_ptrIlEEjNS0_19identity_decomposerEEE10hipError_tT1_T2_PT3_SG_jT4_jjP12ihipStream_tbEUlT_E_NS1_11comp_targetILNS1_3genE2ELNS1_11target_archE906ELNS1_3gpuE6ELNS1_3repE0EEENS1_52radix_sort_onesweep_histogram_config_static_selectorELNS0_4arch9wavefront6targetE1EEEvSE_
                                        ; -- End function
	.set _ZN7rocprim17ROCPRIM_400000_NS6detail17trampoline_kernelINS0_14default_configENS1_35radix_sort_onesweep_config_selectorIllEEZNS1_34radix_sort_onesweep_global_offsetsIS3_Lb0EPlN6thrust23THRUST_200600_302600_NS10device_ptrIlEEjNS0_19identity_decomposerEEE10hipError_tT1_T2_PT3_SG_jT4_jjP12ihipStream_tbEUlT_E_NS1_11comp_targetILNS1_3genE2ELNS1_11target_archE906ELNS1_3gpuE6ELNS1_3repE0EEENS1_52radix_sort_onesweep_histogram_config_static_selectorELNS0_4arch9wavefront6targetE1EEEvSE_.num_vgpr, 25
	.set _ZN7rocprim17ROCPRIM_400000_NS6detail17trampoline_kernelINS0_14default_configENS1_35radix_sort_onesweep_config_selectorIllEEZNS1_34radix_sort_onesweep_global_offsetsIS3_Lb0EPlN6thrust23THRUST_200600_302600_NS10device_ptrIlEEjNS0_19identity_decomposerEEE10hipError_tT1_T2_PT3_SG_jT4_jjP12ihipStream_tbEUlT_E_NS1_11comp_targetILNS1_3genE2ELNS1_11target_archE906ELNS1_3gpuE6ELNS1_3repE0EEENS1_52radix_sort_onesweep_histogram_config_static_selectorELNS0_4arch9wavefront6targetE1EEEvSE_.num_agpr, 0
	.set _ZN7rocprim17ROCPRIM_400000_NS6detail17trampoline_kernelINS0_14default_configENS1_35radix_sort_onesweep_config_selectorIllEEZNS1_34radix_sort_onesweep_global_offsetsIS3_Lb0EPlN6thrust23THRUST_200600_302600_NS10device_ptrIlEEjNS0_19identity_decomposerEEE10hipError_tT1_T2_PT3_SG_jT4_jjP12ihipStream_tbEUlT_E_NS1_11comp_targetILNS1_3genE2ELNS1_11target_archE906ELNS1_3gpuE6ELNS1_3repE0EEENS1_52radix_sort_onesweep_histogram_config_static_selectorELNS0_4arch9wavefront6targetE1EEEvSE_.numbered_sgpr, 19
	.set _ZN7rocprim17ROCPRIM_400000_NS6detail17trampoline_kernelINS0_14default_configENS1_35radix_sort_onesweep_config_selectorIllEEZNS1_34radix_sort_onesweep_global_offsetsIS3_Lb0EPlN6thrust23THRUST_200600_302600_NS10device_ptrIlEEjNS0_19identity_decomposerEEE10hipError_tT1_T2_PT3_SG_jT4_jjP12ihipStream_tbEUlT_E_NS1_11comp_targetILNS1_3genE2ELNS1_11target_archE906ELNS1_3gpuE6ELNS1_3repE0EEENS1_52radix_sort_onesweep_histogram_config_static_selectorELNS0_4arch9wavefront6targetE1EEEvSE_.num_named_barrier, 0
	.set _ZN7rocprim17ROCPRIM_400000_NS6detail17trampoline_kernelINS0_14default_configENS1_35radix_sort_onesweep_config_selectorIllEEZNS1_34radix_sort_onesweep_global_offsetsIS3_Lb0EPlN6thrust23THRUST_200600_302600_NS10device_ptrIlEEjNS0_19identity_decomposerEEE10hipError_tT1_T2_PT3_SG_jT4_jjP12ihipStream_tbEUlT_E_NS1_11comp_targetILNS1_3genE2ELNS1_11target_archE906ELNS1_3gpuE6ELNS1_3repE0EEENS1_52radix_sort_onesweep_histogram_config_static_selectorELNS0_4arch9wavefront6targetE1EEEvSE_.private_seg_size, 0
	.set _ZN7rocprim17ROCPRIM_400000_NS6detail17trampoline_kernelINS0_14default_configENS1_35radix_sort_onesweep_config_selectorIllEEZNS1_34radix_sort_onesweep_global_offsetsIS3_Lb0EPlN6thrust23THRUST_200600_302600_NS10device_ptrIlEEjNS0_19identity_decomposerEEE10hipError_tT1_T2_PT3_SG_jT4_jjP12ihipStream_tbEUlT_E_NS1_11comp_targetILNS1_3genE2ELNS1_11target_archE906ELNS1_3gpuE6ELNS1_3repE0EEENS1_52radix_sort_onesweep_histogram_config_static_selectorELNS0_4arch9wavefront6targetE1EEEvSE_.uses_vcc, 1
	.set _ZN7rocprim17ROCPRIM_400000_NS6detail17trampoline_kernelINS0_14default_configENS1_35radix_sort_onesweep_config_selectorIllEEZNS1_34radix_sort_onesweep_global_offsetsIS3_Lb0EPlN6thrust23THRUST_200600_302600_NS10device_ptrIlEEjNS0_19identity_decomposerEEE10hipError_tT1_T2_PT3_SG_jT4_jjP12ihipStream_tbEUlT_E_NS1_11comp_targetILNS1_3genE2ELNS1_11target_archE906ELNS1_3gpuE6ELNS1_3repE0EEENS1_52radix_sort_onesweep_histogram_config_static_selectorELNS0_4arch9wavefront6targetE1EEEvSE_.uses_flat_scratch, 0
	.set _ZN7rocprim17ROCPRIM_400000_NS6detail17trampoline_kernelINS0_14default_configENS1_35radix_sort_onesweep_config_selectorIllEEZNS1_34radix_sort_onesweep_global_offsetsIS3_Lb0EPlN6thrust23THRUST_200600_302600_NS10device_ptrIlEEjNS0_19identity_decomposerEEE10hipError_tT1_T2_PT3_SG_jT4_jjP12ihipStream_tbEUlT_E_NS1_11comp_targetILNS1_3genE2ELNS1_11target_archE906ELNS1_3gpuE6ELNS1_3repE0EEENS1_52radix_sort_onesweep_histogram_config_static_selectorELNS0_4arch9wavefront6targetE1EEEvSE_.has_dyn_sized_stack, 0
	.set _ZN7rocprim17ROCPRIM_400000_NS6detail17trampoline_kernelINS0_14default_configENS1_35radix_sort_onesweep_config_selectorIllEEZNS1_34radix_sort_onesweep_global_offsetsIS3_Lb0EPlN6thrust23THRUST_200600_302600_NS10device_ptrIlEEjNS0_19identity_decomposerEEE10hipError_tT1_T2_PT3_SG_jT4_jjP12ihipStream_tbEUlT_E_NS1_11comp_targetILNS1_3genE2ELNS1_11target_archE906ELNS1_3gpuE6ELNS1_3repE0EEENS1_52radix_sort_onesweep_histogram_config_static_selectorELNS0_4arch9wavefront6targetE1EEEvSE_.has_recursion, 0
	.set _ZN7rocprim17ROCPRIM_400000_NS6detail17trampoline_kernelINS0_14default_configENS1_35radix_sort_onesweep_config_selectorIllEEZNS1_34radix_sort_onesweep_global_offsetsIS3_Lb0EPlN6thrust23THRUST_200600_302600_NS10device_ptrIlEEjNS0_19identity_decomposerEEE10hipError_tT1_T2_PT3_SG_jT4_jjP12ihipStream_tbEUlT_E_NS1_11comp_targetILNS1_3genE2ELNS1_11target_archE906ELNS1_3gpuE6ELNS1_3repE0EEENS1_52radix_sort_onesweep_histogram_config_static_selectorELNS0_4arch9wavefront6targetE1EEEvSE_.has_indirect_call, 0
	.section	.AMDGPU.csdata,"",@progbits
; Kernel info:
; codeLenInByte = 11480
; TotalNumSgprs: 23
; NumVgprs: 25
; ScratchSize: 0
; MemoryBound: 0
; FloatMode: 240
; IeeeMode: 1
; LDSByteSize: 32768 bytes/workgroup (compile time only)
; SGPRBlocks: 12
; VGPRBlocks: 12
; NumSGPRsForWavesPerEU: 102
; NumVGPRsForWavesPerEU: 49
; Occupancy: 4
; WaveLimiterHint : 1
; COMPUTE_PGM_RSRC2:SCRATCH_EN: 0
; COMPUTE_PGM_RSRC2:USER_SGPR: 6
; COMPUTE_PGM_RSRC2:TRAP_HANDLER: 0
; COMPUTE_PGM_RSRC2:TGID_X_EN: 1
; COMPUTE_PGM_RSRC2:TGID_Y_EN: 0
; COMPUTE_PGM_RSRC2:TGID_Z_EN: 0
; COMPUTE_PGM_RSRC2:TIDIG_COMP_CNT: 0
	.section	.text._ZN7rocprim17ROCPRIM_400000_NS6detail17trampoline_kernelINS0_14default_configENS1_35radix_sort_onesweep_config_selectorIllEEZNS1_34radix_sort_onesweep_global_offsetsIS3_Lb0EPlN6thrust23THRUST_200600_302600_NS10device_ptrIlEEjNS0_19identity_decomposerEEE10hipError_tT1_T2_PT3_SG_jT4_jjP12ihipStream_tbEUlT_E_NS1_11comp_targetILNS1_3genE4ELNS1_11target_archE910ELNS1_3gpuE8ELNS1_3repE0EEENS1_52radix_sort_onesweep_histogram_config_static_selectorELNS0_4arch9wavefront6targetE1EEEvSE_,"axG",@progbits,_ZN7rocprim17ROCPRIM_400000_NS6detail17trampoline_kernelINS0_14default_configENS1_35radix_sort_onesweep_config_selectorIllEEZNS1_34radix_sort_onesweep_global_offsetsIS3_Lb0EPlN6thrust23THRUST_200600_302600_NS10device_ptrIlEEjNS0_19identity_decomposerEEE10hipError_tT1_T2_PT3_SG_jT4_jjP12ihipStream_tbEUlT_E_NS1_11comp_targetILNS1_3genE4ELNS1_11target_archE910ELNS1_3gpuE8ELNS1_3repE0EEENS1_52radix_sort_onesweep_histogram_config_static_selectorELNS0_4arch9wavefront6targetE1EEEvSE_,comdat
	.protected	_ZN7rocprim17ROCPRIM_400000_NS6detail17trampoline_kernelINS0_14default_configENS1_35radix_sort_onesweep_config_selectorIllEEZNS1_34radix_sort_onesweep_global_offsetsIS3_Lb0EPlN6thrust23THRUST_200600_302600_NS10device_ptrIlEEjNS0_19identity_decomposerEEE10hipError_tT1_T2_PT3_SG_jT4_jjP12ihipStream_tbEUlT_E_NS1_11comp_targetILNS1_3genE4ELNS1_11target_archE910ELNS1_3gpuE8ELNS1_3repE0EEENS1_52radix_sort_onesweep_histogram_config_static_selectorELNS0_4arch9wavefront6targetE1EEEvSE_ ; -- Begin function _ZN7rocprim17ROCPRIM_400000_NS6detail17trampoline_kernelINS0_14default_configENS1_35radix_sort_onesweep_config_selectorIllEEZNS1_34radix_sort_onesweep_global_offsetsIS3_Lb0EPlN6thrust23THRUST_200600_302600_NS10device_ptrIlEEjNS0_19identity_decomposerEEE10hipError_tT1_T2_PT3_SG_jT4_jjP12ihipStream_tbEUlT_E_NS1_11comp_targetILNS1_3genE4ELNS1_11target_archE910ELNS1_3gpuE8ELNS1_3repE0EEENS1_52radix_sort_onesweep_histogram_config_static_selectorELNS0_4arch9wavefront6targetE1EEEvSE_
	.globl	_ZN7rocprim17ROCPRIM_400000_NS6detail17trampoline_kernelINS0_14default_configENS1_35radix_sort_onesweep_config_selectorIllEEZNS1_34radix_sort_onesweep_global_offsetsIS3_Lb0EPlN6thrust23THRUST_200600_302600_NS10device_ptrIlEEjNS0_19identity_decomposerEEE10hipError_tT1_T2_PT3_SG_jT4_jjP12ihipStream_tbEUlT_E_NS1_11comp_targetILNS1_3genE4ELNS1_11target_archE910ELNS1_3gpuE8ELNS1_3repE0EEENS1_52radix_sort_onesweep_histogram_config_static_selectorELNS0_4arch9wavefront6targetE1EEEvSE_
	.p2align	8
	.type	_ZN7rocprim17ROCPRIM_400000_NS6detail17trampoline_kernelINS0_14default_configENS1_35radix_sort_onesweep_config_selectorIllEEZNS1_34radix_sort_onesweep_global_offsetsIS3_Lb0EPlN6thrust23THRUST_200600_302600_NS10device_ptrIlEEjNS0_19identity_decomposerEEE10hipError_tT1_T2_PT3_SG_jT4_jjP12ihipStream_tbEUlT_E_NS1_11comp_targetILNS1_3genE4ELNS1_11target_archE910ELNS1_3gpuE8ELNS1_3repE0EEENS1_52radix_sort_onesweep_histogram_config_static_selectorELNS0_4arch9wavefront6targetE1EEEvSE_,@function
_ZN7rocprim17ROCPRIM_400000_NS6detail17trampoline_kernelINS0_14default_configENS1_35radix_sort_onesweep_config_selectorIllEEZNS1_34radix_sort_onesweep_global_offsetsIS3_Lb0EPlN6thrust23THRUST_200600_302600_NS10device_ptrIlEEjNS0_19identity_decomposerEEE10hipError_tT1_T2_PT3_SG_jT4_jjP12ihipStream_tbEUlT_E_NS1_11comp_targetILNS1_3genE4ELNS1_11target_archE910ELNS1_3gpuE8ELNS1_3repE0EEENS1_52radix_sort_onesweep_histogram_config_static_selectorELNS0_4arch9wavefront6targetE1EEEvSE_: ; @_ZN7rocprim17ROCPRIM_400000_NS6detail17trampoline_kernelINS0_14default_configENS1_35radix_sort_onesweep_config_selectorIllEEZNS1_34radix_sort_onesweep_global_offsetsIS3_Lb0EPlN6thrust23THRUST_200600_302600_NS10device_ptrIlEEjNS0_19identity_decomposerEEE10hipError_tT1_T2_PT3_SG_jT4_jjP12ihipStream_tbEUlT_E_NS1_11comp_targetILNS1_3genE4ELNS1_11target_archE910ELNS1_3gpuE8ELNS1_3repE0EEENS1_52radix_sort_onesweep_histogram_config_static_selectorELNS0_4arch9wavefront6targetE1EEEvSE_
; %bb.0:
	.section	.rodata,"a",@progbits
	.p2align	6, 0x0
	.amdhsa_kernel _ZN7rocprim17ROCPRIM_400000_NS6detail17trampoline_kernelINS0_14default_configENS1_35radix_sort_onesweep_config_selectorIllEEZNS1_34radix_sort_onesweep_global_offsetsIS3_Lb0EPlN6thrust23THRUST_200600_302600_NS10device_ptrIlEEjNS0_19identity_decomposerEEE10hipError_tT1_T2_PT3_SG_jT4_jjP12ihipStream_tbEUlT_E_NS1_11comp_targetILNS1_3genE4ELNS1_11target_archE910ELNS1_3gpuE8ELNS1_3repE0EEENS1_52radix_sort_onesweep_histogram_config_static_selectorELNS0_4arch9wavefront6targetE1EEEvSE_
		.amdhsa_group_segment_fixed_size 0
		.amdhsa_private_segment_fixed_size 0
		.amdhsa_kernarg_size 40
		.amdhsa_user_sgpr_count 6
		.amdhsa_user_sgpr_private_segment_buffer 1
		.amdhsa_user_sgpr_dispatch_ptr 0
		.amdhsa_user_sgpr_queue_ptr 0
		.amdhsa_user_sgpr_kernarg_segment_ptr 1
		.amdhsa_user_sgpr_dispatch_id 0
		.amdhsa_user_sgpr_flat_scratch_init 0
		.amdhsa_user_sgpr_private_segment_size 0
		.amdhsa_uses_dynamic_stack 0
		.amdhsa_system_sgpr_private_segment_wavefront_offset 0
		.amdhsa_system_sgpr_workgroup_id_x 1
		.amdhsa_system_sgpr_workgroup_id_y 0
		.amdhsa_system_sgpr_workgroup_id_z 0
		.amdhsa_system_sgpr_workgroup_info 0
		.amdhsa_system_vgpr_workitem_id 0
		.amdhsa_next_free_vgpr 1
		.amdhsa_next_free_sgpr 0
		.amdhsa_reserve_vcc 0
		.amdhsa_reserve_flat_scratch 0
		.amdhsa_float_round_mode_32 0
		.amdhsa_float_round_mode_16_64 0
		.amdhsa_float_denorm_mode_32 3
		.amdhsa_float_denorm_mode_16_64 3
		.amdhsa_dx10_clamp 1
		.amdhsa_ieee_mode 1
		.amdhsa_fp16_overflow 0
		.amdhsa_exception_fp_ieee_invalid_op 0
		.amdhsa_exception_fp_denorm_src 0
		.amdhsa_exception_fp_ieee_div_zero 0
		.amdhsa_exception_fp_ieee_overflow 0
		.amdhsa_exception_fp_ieee_underflow 0
		.amdhsa_exception_fp_ieee_inexact 0
		.amdhsa_exception_int_div_zero 0
	.end_amdhsa_kernel
	.section	.text._ZN7rocprim17ROCPRIM_400000_NS6detail17trampoline_kernelINS0_14default_configENS1_35radix_sort_onesweep_config_selectorIllEEZNS1_34radix_sort_onesweep_global_offsetsIS3_Lb0EPlN6thrust23THRUST_200600_302600_NS10device_ptrIlEEjNS0_19identity_decomposerEEE10hipError_tT1_T2_PT3_SG_jT4_jjP12ihipStream_tbEUlT_E_NS1_11comp_targetILNS1_3genE4ELNS1_11target_archE910ELNS1_3gpuE8ELNS1_3repE0EEENS1_52radix_sort_onesweep_histogram_config_static_selectorELNS0_4arch9wavefront6targetE1EEEvSE_,"axG",@progbits,_ZN7rocprim17ROCPRIM_400000_NS6detail17trampoline_kernelINS0_14default_configENS1_35radix_sort_onesweep_config_selectorIllEEZNS1_34radix_sort_onesweep_global_offsetsIS3_Lb0EPlN6thrust23THRUST_200600_302600_NS10device_ptrIlEEjNS0_19identity_decomposerEEE10hipError_tT1_T2_PT3_SG_jT4_jjP12ihipStream_tbEUlT_E_NS1_11comp_targetILNS1_3genE4ELNS1_11target_archE910ELNS1_3gpuE8ELNS1_3repE0EEENS1_52radix_sort_onesweep_histogram_config_static_selectorELNS0_4arch9wavefront6targetE1EEEvSE_,comdat
.Lfunc_end1118:
	.size	_ZN7rocprim17ROCPRIM_400000_NS6detail17trampoline_kernelINS0_14default_configENS1_35radix_sort_onesweep_config_selectorIllEEZNS1_34radix_sort_onesweep_global_offsetsIS3_Lb0EPlN6thrust23THRUST_200600_302600_NS10device_ptrIlEEjNS0_19identity_decomposerEEE10hipError_tT1_T2_PT3_SG_jT4_jjP12ihipStream_tbEUlT_E_NS1_11comp_targetILNS1_3genE4ELNS1_11target_archE910ELNS1_3gpuE8ELNS1_3repE0EEENS1_52radix_sort_onesweep_histogram_config_static_selectorELNS0_4arch9wavefront6targetE1EEEvSE_, .Lfunc_end1118-_ZN7rocprim17ROCPRIM_400000_NS6detail17trampoline_kernelINS0_14default_configENS1_35radix_sort_onesweep_config_selectorIllEEZNS1_34radix_sort_onesweep_global_offsetsIS3_Lb0EPlN6thrust23THRUST_200600_302600_NS10device_ptrIlEEjNS0_19identity_decomposerEEE10hipError_tT1_T2_PT3_SG_jT4_jjP12ihipStream_tbEUlT_E_NS1_11comp_targetILNS1_3genE4ELNS1_11target_archE910ELNS1_3gpuE8ELNS1_3repE0EEENS1_52radix_sort_onesweep_histogram_config_static_selectorELNS0_4arch9wavefront6targetE1EEEvSE_
                                        ; -- End function
	.set _ZN7rocprim17ROCPRIM_400000_NS6detail17trampoline_kernelINS0_14default_configENS1_35radix_sort_onesweep_config_selectorIllEEZNS1_34radix_sort_onesweep_global_offsetsIS3_Lb0EPlN6thrust23THRUST_200600_302600_NS10device_ptrIlEEjNS0_19identity_decomposerEEE10hipError_tT1_T2_PT3_SG_jT4_jjP12ihipStream_tbEUlT_E_NS1_11comp_targetILNS1_3genE4ELNS1_11target_archE910ELNS1_3gpuE8ELNS1_3repE0EEENS1_52radix_sort_onesweep_histogram_config_static_selectorELNS0_4arch9wavefront6targetE1EEEvSE_.num_vgpr, 0
	.set _ZN7rocprim17ROCPRIM_400000_NS6detail17trampoline_kernelINS0_14default_configENS1_35radix_sort_onesweep_config_selectorIllEEZNS1_34radix_sort_onesweep_global_offsetsIS3_Lb0EPlN6thrust23THRUST_200600_302600_NS10device_ptrIlEEjNS0_19identity_decomposerEEE10hipError_tT1_T2_PT3_SG_jT4_jjP12ihipStream_tbEUlT_E_NS1_11comp_targetILNS1_3genE4ELNS1_11target_archE910ELNS1_3gpuE8ELNS1_3repE0EEENS1_52radix_sort_onesweep_histogram_config_static_selectorELNS0_4arch9wavefront6targetE1EEEvSE_.num_agpr, 0
	.set _ZN7rocprim17ROCPRIM_400000_NS6detail17trampoline_kernelINS0_14default_configENS1_35radix_sort_onesweep_config_selectorIllEEZNS1_34radix_sort_onesweep_global_offsetsIS3_Lb0EPlN6thrust23THRUST_200600_302600_NS10device_ptrIlEEjNS0_19identity_decomposerEEE10hipError_tT1_T2_PT3_SG_jT4_jjP12ihipStream_tbEUlT_E_NS1_11comp_targetILNS1_3genE4ELNS1_11target_archE910ELNS1_3gpuE8ELNS1_3repE0EEENS1_52radix_sort_onesweep_histogram_config_static_selectorELNS0_4arch9wavefront6targetE1EEEvSE_.numbered_sgpr, 0
	.set _ZN7rocprim17ROCPRIM_400000_NS6detail17trampoline_kernelINS0_14default_configENS1_35radix_sort_onesweep_config_selectorIllEEZNS1_34radix_sort_onesweep_global_offsetsIS3_Lb0EPlN6thrust23THRUST_200600_302600_NS10device_ptrIlEEjNS0_19identity_decomposerEEE10hipError_tT1_T2_PT3_SG_jT4_jjP12ihipStream_tbEUlT_E_NS1_11comp_targetILNS1_3genE4ELNS1_11target_archE910ELNS1_3gpuE8ELNS1_3repE0EEENS1_52radix_sort_onesweep_histogram_config_static_selectorELNS0_4arch9wavefront6targetE1EEEvSE_.num_named_barrier, 0
	.set _ZN7rocprim17ROCPRIM_400000_NS6detail17trampoline_kernelINS0_14default_configENS1_35radix_sort_onesweep_config_selectorIllEEZNS1_34radix_sort_onesweep_global_offsetsIS3_Lb0EPlN6thrust23THRUST_200600_302600_NS10device_ptrIlEEjNS0_19identity_decomposerEEE10hipError_tT1_T2_PT3_SG_jT4_jjP12ihipStream_tbEUlT_E_NS1_11comp_targetILNS1_3genE4ELNS1_11target_archE910ELNS1_3gpuE8ELNS1_3repE0EEENS1_52radix_sort_onesweep_histogram_config_static_selectorELNS0_4arch9wavefront6targetE1EEEvSE_.private_seg_size, 0
	.set _ZN7rocprim17ROCPRIM_400000_NS6detail17trampoline_kernelINS0_14default_configENS1_35radix_sort_onesweep_config_selectorIllEEZNS1_34radix_sort_onesweep_global_offsetsIS3_Lb0EPlN6thrust23THRUST_200600_302600_NS10device_ptrIlEEjNS0_19identity_decomposerEEE10hipError_tT1_T2_PT3_SG_jT4_jjP12ihipStream_tbEUlT_E_NS1_11comp_targetILNS1_3genE4ELNS1_11target_archE910ELNS1_3gpuE8ELNS1_3repE0EEENS1_52radix_sort_onesweep_histogram_config_static_selectorELNS0_4arch9wavefront6targetE1EEEvSE_.uses_vcc, 0
	.set _ZN7rocprim17ROCPRIM_400000_NS6detail17trampoline_kernelINS0_14default_configENS1_35radix_sort_onesweep_config_selectorIllEEZNS1_34radix_sort_onesweep_global_offsetsIS3_Lb0EPlN6thrust23THRUST_200600_302600_NS10device_ptrIlEEjNS0_19identity_decomposerEEE10hipError_tT1_T2_PT3_SG_jT4_jjP12ihipStream_tbEUlT_E_NS1_11comp_targetILNS1_3genE4ELNS1_11target_archE910ELNS1_3gpuE8ELNS1_3repE0EEENS1_52radix_sort_onesweep_histogram_config_static_selectorELNS0_4arch9wavefront6targetE1EEEvSE_.uses_flat_scratch, 0
	.set _ZN7rocprim17ROCPRIM_400000_NS6detail17trampoline_kernelINS0_14default_configENS1_35radix_sort_onesweep_config_selectorIllEEZNS1_34radix_sort_onesweep_global_offsetsIS3_Lb0EPlN6thrust23THRUST_200600_302600_NS10device_ptrIlEEjNS0_19identity_decomposerEEE10hipError_tT1_T2_PT3_SG_jT4_jjP12ihipStream_tbEUlT_E_NS1_11comp_targetILNS1_3genE4ELNS1_11target_archE910ELNS1_3gpuE8ELNS1_3repE0EEENS1_52radix_sort_onesweep_histogram_config_static_selectorELNS0_4arch9wavefront6targetE1EEEvSE_.has_dyn_sized_stack, 0
	.set _ZN7rocprim17ROCPRIM_400000_NS6detail17trampoline_kernelINS0_14default_configENS1_35radix_sort_onesweep_config_selectorIllEEZNS1_34radix_sort_onesweep_global_offsetsIS3_Lb0EPlN6thrust23THRUST_200600_302600_NS10device_ptrIlEEjNS0_19identity_decomposerEEE10hipError_tT1_T2_PT3_SG_jT4_jjP12ihipStream_tbEUlT_E_NS1_11comp_targetILNS1_3genE4ELNS1_11target_archE910ELNS1_3gpuE8ELNS1_3repE0EEENS1_52radix_sort_onesweep_histogram_config_static_selectorELNS0_4arch9wavefront6targetE1EEEvSE_.has_recursion, 0
	.set _ZN7rocprim17ROCPRIM_400000_NS6detail17trampoline_kernelINS0_14default_configENS1_35radix_sort_onesweep_config_selectorIllEEZNS1_34radix_sort_onesweep_global_offsetsIS3_Lb0EPlN6thrust23THRUST_200600_302600_NS10device_ptrIlEEjNS0_19identity_decomposerEEE10hipError_tT1_T2_PT3_SG_jT4_jjP12ihipStream_tbEUlT_E_NS1_11comp_targetILNS1_3genE4ELNS1_11target_archE910ELNS1_3gpuE8ELNS1_3repE0EEENS1_52radix_sort_onesweep_histogram_config_static_selectorELNS0_4arch9wavefront6targetE1EEEvSE_.has_indirect_call, 0
	.section	.AMDGPU.csdata,"",@progbits
; Kernel info:
; codeLenInByte = 0
; TotalNumSgprs: 4
; NumVgprs: 0
; ScratchSize: 0
; MemoryBound: 0
; FloatMode: 240
; IeeeMode: 1
; LDSByteSize: 0 bytes/workgroup (compile time only)
; SGPRBlocks: 0
; VGPRBlocks: 0
; NumSGPRsForWavesPerEU: 4
; NumVGPRsForWavesPerEU: 1
; Occupancy: 10
; WaveLimiterHint : 0
; COMPUTE_PGM_RSRC2:SCRATCH_EN: 0
; COMPUTE_PGM_RSRC2:USER_SGPR: 6
; COMPUTE_PGM_RSRC2:TRAP_HANDLER: 0
; COMPUTE_PGM_RSRC2:TGID_X_EN: 1
; COMPUTE_PGM_RSRC2:TGID_Y_EN: 0
; COMPUTE_PGM_RSRC2:TGID_Z_EN: 0
; COMPUTE_PGM_RSRC2:TIDIG_COMP_CNT: 0
	.section	.text._ZN7rocprim17ROCPRIM_400000_NS6detail17trampoline_kernelINS0_14default_configENS1_35radix_sort_onesweep_config_selectorIllEEZNS1_34radix_sort_onesweep_global_offsetsIS3_Lb0EPlN6thrust23THRUST_200600_302600_NS10device_ptrIlEEjNS0_19identity_decomposerEEE10hipError_tT1_T2_PT3_SG_jT4_jjP12ihipStream_tbEUlT_E_NS1_11comp_targetILNS1_3genE3ELNS1_11target_archE908ELNS1_3gpuE7ELNS1_3repE0EEENS1_52radix_sort_onesweep_histogram_config_static_selectorELNS0_4arch9wavefront6targetE1EEEvSE_,"axG",@progbits,_ZN7rocprim17ROCPRIM_400000_NS6detail17trampoline_kernelINS0_14default_configENS1_35radix_sort_onesweep_config_selectorIllEEZNS1_34radix_sort_onesweep_global_offsetsIS3_Lb0EPlN6thrust23THRUST_200600_302600_NS10device_ptrIlEEjNS0_19identity_decomposerEEE10hipError_tT1_T2_PT3_SG_jT4_jjP12ihipStream_tbEUlT_E_NS1_11comp_targetILNS1_3genE3ELNS1_11target_archE908ELNS1_3gpuE7ELNS1_3repE0EEENS1_52radix_sort_onesweep_histogram_config_static_selectorELNS0_4arch9wavefront6targetE1EEEvSE_,comdat
	.protected	_ZN7rocprim17ROCPRIM_400000_NS6detail17trampoline_kernelINS0_14default_configENS1_35radix_sort_onesweep_config_selectorIllEEZNS1_34radix_sort_onesweep_global_offsetsIS3_Lb0EPlN6thrust23THRUST_200600_302600_NS10device_ptrIlEEjNS0_19identity_decomposerEEE10hipError_tT1_T2_PT3_SG_jT4_jjP12ihipStream_tbEUlT_E_NS1_11comp_targetILNS1_3genE3ELNS1_11target_archE908ELNS1_3gpuE7ELNS1_3repE0EEENS1_52radix_sort_onesweep_histogram_config_static_selectorELNS0_4arch9wavefront6targetE1EEEvSE_ ; -- Begin function _ZN7rocprim17ROCPRIM_400000_NS6detail17trampoline_kernelINS0_14default_configENS1_35radix_sort_onesweep_config_selectorIllEEZNS1_34radix_sort_onesweep_global_offsetsIS3_Lb0EPlN6thrust23THRUST_200600_302600_NS10device_ptrIlEEjNS0_19identity_decomposerEEE10hipError_tT1_T2_PT3_SG_jT4_jjP12ihipStream_tbEUlT_E_NS1_11comp_targetILNS1_3genE3ELNS1_11target_archE908ELNS1_3gpuE7ELNS1_3repE0EEENS1_52radix_sort_onesweep_histogram_config_static_selectorELNS0_4arch9wavefront6targetE1EEEvSE_
	.globl	_ZN7rocprim17ROCPRIM_400000_NS6detail17trampoline_kernelINS0_14default_configENS1_35radix_sort_onesweep_config_selectorIllEEZNS1_34radix_sort_onesweep_global_offsetsIS3_Lb0EPlN6thrust23THRUST_200600_302600_NS10device_ptrIlEEjNS0_19identity_decomposerEEE10hipError_tT1_T2_PT3_SG_jT4_jjP12ihipStream_tbEUlT_E_NS1_11comp_targetILNS1_3genE3ELNS1_11target_archE908ELNS1_3gpuE7ELNS1_3repE0EEENS1_52radix_sort_onesweep_histogram_config_static_selectorELNS0_4arch9wavefront6targetE1EEEvSE_
	.p2align	8
	.type	_ZN7rocprim17ROCPRIM_400000_NS6detail17trampoline_kernelINS0_14default_configENS1_35radix_sort_onesweep_config_selectorIllEEZNS1_34radix_sort_onesweep_global_offsetsIS3_Lb0EPlN6thrust23THRUST_200600_302600_NS10device_ptrIlEEjNS0_19identity_decomposerEEE10hipError_tT1_T2_PT3_SG_jT4_jjP12ihipStream_tbEUlT_E_NS1_11comp_targetILNS1_3genE3ELNS1_11target_archE908ELNS1_3gpuE7ELNS1_3repE0EEENS1_52radix_sort_onesweep_histogram_config_static_selectorELNS0_4arch9wavefront6targetE1EEEvSE_,@function
_ZN7rocprim17ROCPRIM_400000_NS6detail17trampoline_kernelINS0_14default_configENS1_35radix_sort_onesweep_config_selectorIllEEZNS1_34radix_sort_onesweep_global_offsetsIS3_Lb0EPlN6thrust23THRUST_200600_302600_NS10device_ptrIlEEjNS0_19identity_decomposerEEE10hipError_tT1_T2_PT3_SG_jT4_jjP12ihipStream_tbEUlT_E_NS1_11comp_targetILNS1_3genE3ELNS1_11target_archE908ELNS1_3gpuE7ELNS1_3repE0EEENS1_52radix_sort_onesweep_histogram_config_static_selectorELNS0_4arch9wavefront6targetE1EEEvSE_: ; @_ZN7rocprim17ROCPRIM_400000_NS6detail17trampoline_kernelINS0_14default_configENS1_35radix_sort_onesweep_config_selectorIllEEZNS1_34radix_sort_onesweep_global_offsetsIS3_Lb0EPlN6thrust23THRUST_200600_302600_NS10device_ptrIlEEjNS0_19identity_decomposerEEE10hipError_tT1_T2_PT3_SG_jT4_jjP12ihipStream_tbEUlT_E_NS1_11comp_targetILNS1_3genE3ELNS1_11target_archE908ELNS1_3gpuE7ELNS1_3repE0EEENS1_52radix_sort_onesweep_histogram_config_static_selectorELNS0_4arch9wavefront6targetE1EEEvSE_
; %bb.0:
	.section	.rodata,"a",@progbits
	.p2align	6, 0x0
	.amdhsa_kernel _ZN7rocprim17ROCPRIM_400000_NS6detail17trampoline_kernelINS0_14default_configENS1_35radix_sort_onesweep_config_selectorIllEEZNS1_34radix_sort_onesweep_global_offsetsIS3_Lb0EPlN6thrust23THRUST_200600_302600_NS10device_ptrIlEEjNS0_19identity_decomposerEEE10hipError_tT1_T2_PT3_SG_jT4_jjP12ihipStream_tbEUlT_E_NS1_11comp_targetILNS1_3genE3ELNS1_11target_archE908ELNS1_3gpuE7ELNS1_3repE0EEENS1_52radix_sort_onesweep_histogram_config_static_selectorELNS0_4arch9wavefront6targetE1EEEvSE_
		.amdhsa_group_segment_fixed_size 0
		.amdhsa_private_segment_fixed_size 0
		.amdhsa_kernarg_size 40
		.amdhsa_user_sgpr_count 6
		.amdhsa_user_sgpr_private_segment_buffer 1
		.amdhsa_user_sgpr_dispatch_ptr 0
		.amdhsa_user_sgpr_queue_ptr 0
		.amdhsa_user_sgpr_kernarg_segment_ptr 1
		.amdhsa_user_sgpr_dispatch_id 0
		.amdhsa_user_sgpr_flat_scratch_init 0
		.amdhsa_user_sgpr_private_segment_size 0
		.amdhsa_uses_dynamic_stack 0
		.amdhsa_system_sgpr_private_segment_wavefront_offset 0
		.amdhsa_system_sgpr_workgroup_id_x 1
		.amdhsa_system_sgpr_workgroup_id_y 0
		.amdhsa_system_sgpr_workgroup_id_z 0
		.amdhsa_system_sgpr_workgroup_info 0
		.amdhsa_system_vgpr_workitem_id 0
		.amdhsa_next_free_vgpr 1
		.amdhsa_next_free_sgpr 0
		.amdhsa_reserve_vcc 0
		.amdhsa_reserve_flat_scratch 0
		.amdhsa_float_round_mode_32 0
		.amdhsa_float_round_mode_16_64 0
		.amdhsa_float_denorm_mode_32 3
		.amdhsa_float_denorm_mode_16_64 3
		.amdhsa_dx10_clamp 1
		.amdhsa_ieee_mode 1
		.amdhsa_fp16_overflow 0
		.amdhsa_exception_fp_ieee_invalid_op 0
		.amdhsa_exception_fp_denorm_src 0
		.amdhsa_exception_fp_ieee_div_zero 0
		.amdhsa_exception_fp_ieee_overflow 0
		.amdhsa_exception_fp_ieee_underflow 0
		.amdhsa_exception_fp_ieee_inexact 0
		.amdhsa_exception_int_div_zero 0
	.end_amdhsa_kernel
	.section	.text._ZN7rocprim17ROCPRIM_400000_NS6detail17trampoline_kernelINS0_14default_configENS1_35radix_sort_onesweep_config_selectorIllEEZNS1_34radix_sort_onesweep_global_offsetsIS3_Lb0EPlN6thrust23THRUST_200600_302600_NS10device_ptrIlEEjNS0_19identity_decomposerEEE10hipError_tT1_T2_PT3_SG_jT4_jjP12ihipStream_tbEUlT_E_NS1_11comp_targetILNS1_3genE3ELNS1_11target_archE908ELNS1_3gpuE7ELNS1_3repE0EEENS1_52radix_sort_onesweep_histogram_config_static_selectorELNS0_4arch9wavefront6targetE1EEEvSE_,"axG",@progbits,_ZN7rocprim17ROCPRIM_400000_NS6detail17trampoline_kernelINS0_14default_configENS1_35radix_sort_onesweep_config_selectorIllEEZNS1_34radix_sort_onesweep_global_offsetsIS3_Lb0EPlN6thrust23THRUST_200600_302600_NS10device_ptrIlEEjNS0_19identity_decomposerEEE10hipError_tT1_T2_PT3_SG_jT4_jjP12ihipStream_tbEUlT_E_NS1_11comp_targetILNS1_3genE3ELNS1_11target_archE908ELNS1_3gpuE7ELNS1_3repE0EEENS1_52radix_sort_onesweep_histogram_config_static_selectorELNS0_4arch9wavefront6targetE1EEEvSE_,comdat
.Lfunc_end1119:
	.size	_ZN7rocprim17ROCPRIM_400000_NS6detail17trampoline_kernelINS0_14default_configENS1_35radix_sort_onesweep_config_selectorIllEEZNS1_34radix_sort_onesweep_global_offsetsIS3_Lb0EPlN6thrust23THRUST_200600_302600_NS10device_ptrIlEEjNS0_19identity_decomposerEEE10hipError_tT1_T2_PT3_SG_jT4_jjP12ihipStream_tbEUlT_E_NS1_11comp_targetILNS1_3genE3ELNS1_11target_archE908ELNS1_3gpuE7ELNS1_3repE0EEENS1_52radix_sort_onesweep_histogram_config_static_selectorELNS0_4arch9wavefront6targetE1EEEvSE_, .Lfunc_end1119-_ZN7rocprim17ROCPRIM_400000_NS6detail17trampoline_kernelINS0_14default_configENS1_35radix_sort_onesweep_config_selectorIllEEZNS1_34radix_sort_onesweep_global_offsetsIS3_Lb0EPlN6thrust23THRUST_200600_302600_NS10device_ptrIlEEjNS0_19identity_decomposerEEE10hipError_tT1_T2_PT3_SG_jT4_jjP12ihipStream_tbEUlT_E_NS1_11comp_targetILNS1_3genE3ELNS1_11target_archE908ELNS1_3gpuE7ELNS1_3repE0EEENS1_52radix_sort_onesweep_histogram_config_static_selectorELNS0_4arch9wavefront6targetE1EEEvSE_
                                        ; -- End function
	.set _ZN7rocprim17ROCPRIM_400000_NS6detail17trampoline_kernelINS0_14default_configENS1_35radix_sort_onesweep_config_selectorIllEEZNS1_34radix_sort_onesweep_global_offsetsIS3_Lb0EPlN6thrust23THRUST_200600_302600_NS10device_ptrIlEEjNS0_19identity_decomposerEEE10hipError_tT1_T2_PT3_SG_jT4_jjP12ihipStream_tbEUlT_E_NS1_11comp_targetILNS1_3genE3ELNS1_11target_archE908ELNS1_3gpuE7ELNS1_3repE0EEENS1_52radix_sort_onesweep_histogram_config_static_selectorELNS0_4arch9wavefront6targetE1EEEvSE_.num_vgpr, 0
	.set _ZN7rocprim17ROCPRIM_400000_NS6detail17trampoline_kernelINS0_14default_configENS1_35radix_sort_onesweep_config_selectorIllEEZNS1_34radix_sort_onesweep_global_offsetsIS3_Lb0EPlN6thrust23THRUST_200600_302600_NS10device_ptrIlEEjNS0_19identity_decomposerEEE10hipError_tT1_T2_PT3_SG_jT4_jjP12ihipStream_tbEUlT_E_NS1_11comp_targetILNS1_3genE3ELNS1_11target_archE908ELNS1_3gpuE7ELNS1_3repE0EEENS1_52radix_sort_onesweep_histogram_config_static_selectorELNS0_4arch9wavefront6targetE1EEEvSE_.num_agpr, 0
	.set _ZN7rocprim17ROCPRIM_400000_NS6detail17trampoline_kernelINS0_14default_configENS1_35radix_sort_onesweep_config_selectorIllEEZNS1_34radix_sort_onesweep_global_offsetsIS3_Lb0EPlN6thrust23THRUST_200600_302600_NS10device_ptrIlEEjNS0_19identity_decomposerEEE10hipError_tT1_T2_PT3_SG_jT4_jjP12ihipStream_tbEUlT_E_NS1_11comp_targetILNS1_3genE3ELNS1_11target_archE908ELNS1_3gpuE7ELNS1_3repE0EEENS1_52radix_sort_onesweep_histogram_config_static_selectorELNS0_4arch9wavefront6targetE1EEEvSE_.numbered_sgpr, 0
	.set _ZN7rocprim17ROCPRIM_400000_NS6detail17trampoline_kernelINS0_14default_configENS1_35radix_sort_onesweep_config_selectorIllEEZNS1_34radix_sort_onesweep_global_offsetsIS3_Lb0EPlN6thrust23THRUST_200600_302600_NS10device_ptrIlEEjNS0_19identity_decomposerEEE10hipError_tT1_T2_PT3_SG_jT4_jjP12ihipStream_tbEUlT_E_NS1_11comp_targetILNS1_3genE3ELNS1_11target_archE908ELNS1_3gpuE7ELNS1_3repE0EEENS1_52radix_sort_onesweep_histogram_config_static_selectorELNS0_4arch9wavefront6targetE1EEEvSE_.num_named_barrier, 0
	.set _ZN7rocprim17ROCPRIM_400000_NS6detail17trampoline_kernelINS0_14default_configENS1_35radix_sort_onesweep_config_selectorIllEEZNS1_34radix_sort_onesweep_global_offsetsIS3_Lb0EPlN6thrust23THRUST_200600_302600_NS10device_ptrIlEEjNS0_19identity_decomposerEEE10hipError_tT1_T2_PT3_SG_jT4_jjP12ihipStream_tbEUlT_E_NS1_11comp_targetILNS1_3genE3ELNS1_11target_archE908ELNS1_3gpuE7ELNS1_3repE0EEENS1_52radix_sort_onesweep_histogram_config_static_selectorELNS0_4arch9wavefront6targetE1EEEvSE_.private_seg_size, 0
	.set _ZN7rocprim17ROCPRIM_400000_NS6detail17trampoline_kernelINS0_14default_configENS1_35radix_sort_onesweep_config_selectorIllEEZNS1_34radix_sort_onesweep_global_offsetsIS3_Lb0EPlN6thrust23THRUST_200600_302600_NS10device_ptrIlEEjNS0_19identity_decomposerEEE10hipError_tT1_T2_PT3_SG_jT4_jjP12ihipStream_tbEUlT_E_NS1_11comp_targetILNS1_3genE3ELNS1_11target_archE908ELNS1_3gpuE7ELNS1_3repE0EEENS1_52radix_sort_onesweep_histogram_config_static_selectorELNS0_4arch9wavefront6targetE1EEEvSE_.uses_vcc, 0
	.set _ZN7rocprim17ROCPRIM_400000_NS6detail17trampoline_kernelINS0_14default_configENS1_35radix_sort_onesweep_config_selectorIllEEZNS1_34radix_sort_onesweep_global_offsetsIS3_Lb0EPlN6thrust23THRUST_200600_302600_NS10device_ptrIlEEjNS0_19identity_decomposerEEE10hipError_tT1_T2_PT3_SG_jT4_jjP12ihipStream_tbEUlT_E_NS1_11comp_targetILNS1_3genE3ELNS1_11target_archE908ELNS1_3gpuE7ELNS1_3repE0EEENS1_52radix_sort_onesweep_histogram_config_static_selectorELNS0_4arch9wavefront6targetE1EEEvSE_.uses_flat_scratch, 0
	.set _ZN7rocprim17ROCPRIM_400000_NS6detail17trampoline_kernelINS0_14default_configENS1_35radix_sort_onesweep_config_selectorIllEEZNS1_34radix_sort_onesweep_global_offsetsIS3_Lb0EPlN6thrust23THRUST_200600_302600_NS10device_ptrIlEEjNS0_19identity_decomposerEEE10hipError_tT1_T2_PT3_SG_jT4_jjP12ihipStream_tbEUlT_E_NS1_11comp_targetILNS1_3genE3ELNS1_11target_archE908ELNS1_3gpuE7ELNS1_3repE0EEENS1_52radix_sort_onesweep_histogram_config_static_selectorELNS0_4arch9wavefront6targetE1EEEvSE_.has_dyn_sized_stack, 0
	.set _ZN7rocprim17ROCPRIM_400000_NS6detail17trampoline_kernelINS0_14default_configENS1_35radix_sort_onesweep_config_selectorIllEEZNS1_34radix_sort_onesweep_global_offsetsIS3_Lb0EPlN6thrust23THRUST_200600_302600_NS10device_ptrIlEEjNS0_19identity_decomposerEEE10hipError_tT1_T2_PT3_SG_jT4_jjP12ihipStream_tbEUlT_E_NS1_11comp_targetILNS1_3genE3ELNS1_11target_archE908ELNS1_3gpuE7ELNS1_3repE0EEENS1_52radix_sort_onesweep_histogram_config_static_selectorELNS0_4arch9wavefront6targetE1EEEvSE_.has_recursion, 0
	.set _ZN7rocprim17ROCPRIM_400000_NS6detail17trampoline_kernelINS0_14default_configENS1_35radix_sort_onesweep_config_selectorIllEEZNS1_34radix_sort_onesweep_global_offsetsIS3_Lb0EPlN6thrust23THRUST_200600_302600_NS10device_ptrIlEEjNS0_19identity_decomposerEEE10hipError_tT1_T2_PT3_SG_jT4_jjP12ihipStream_tbEUlT_E_NS1_11comp_targetILNS1_3genE3ELNS1_11target_archE908ELNS1_3gpuE7ELNS1_3repE0EEENS1_52radix_sort_onesweep_histogram_config_static_selectorELNS0_4arch9wavefront6targetE1EEEvSE_.has_indirect_call, 0
	.section	.AMDGPU.csdata,"",@progbits
; Kernel info:
; codeLenInByte = 0
; TotalNumSgprs: 4
; NumVgprs: 0
; ScratchSize: 0
; MemoryBound: 0
; FloatMode: 240
; IeeeMode: 1
; LDSByteSize: 0 bytes/workgroup (compile time only)
; SGPRBlocks: 0
; VGPRBlocks: 0
; NumSGPRsForWavesPerEU: 4
; NumVGPRsForWavesPerEU: 1
; Occupancy: 10
; WaveLimiterHint : 0
; COMPUTE_PGM_RSRC2:SCRATCH_EN: 0
; COMPUTE_PGM_RSRC2:USER_SGPR: 6
; COMPUTE_PGM_RSRC2:TRAP_HANDLER: 0
; COMPUTE_PGM_RSRC2:TGID_X_EN: 1
; COMPUTE_PGM_RSRC2:TGID_Y_EN: 0
; COMPUTE_PGM_RSRC2:TGID_Z_EN: 0
; COMPUTE_PGM_RSRC2:TIDIG_COMP_CNT: 0
	.section	.text._ZN7rocprim17ROCPRIM_400000_NS6detail17trampoline_kernelINS0_14default_configENS1_35radix_sort_onesweep_config_selectorIllEEZNS1_34radix_sort_onesweep_global_offsetsIS3_Lb0EPlN6thrust23THRUST_200600_302600_NS10device_ptrIlEEjNS0_19identity_decomposerEEE10hipError_tT1_T2_PT3_SG_jT4_jjP12ihipStream_tbEUlT_E_NS1_11comp_targetILNS1_3genE10ELNS1_11target_archE1201ELNS1_3gpuE5ELNS1_3repE0EEENS1_52radix_sort_onesweep_histogram_config_static_selectorELNS0_4arch9wavefront6targetE1EEEvSE_,"axG",@progbits,_ZN7rocprim17ROCPRIM_400000_NS6detail17trampoline_kernelINS0_14default_configENS1_35radix_sort_onesweep_config_selectorIllEEZNS1_34radix_sort_onesweep_global_offsetsIS3_Lb0EPlN6thrust23THRUST_200600_302600_NS10device_ptrIlEEjNS0_19identity_decomposerEEE10hipError_tT1_T2_PT3_SG_jT4_jjP12ihipStream_tbEUlT_E_NS1_11comp_targetILNS1_3genE10ELNS1_11target_archE1201ELNS1_3gpuE5ELNS1_3repE0EEENS1_52radix_sort_onesweep_histogram_config_static_selectorELNS0_4arch9wavefront6targetE1EEEvSE_,comdat
	.protected	_ZN7rocprim17ROCPRIM_400000_NS6detail17trampoline_kernelINS0_14default_configENS1_35radix_sort_onesweep_config_selectorIllEEZNS1_34radix_sort_onesweep_global_offsetsIS3_Lb0EPlN6thrust23THRUST_200600_302600_NS10device_ptrIlEEjNS0_19identity_decomposerEEE10hipError_tT1_T2_PT3_SG_jT4_jjP12ihipStream_tbEUlT_E_NS1_11comp_targetILNS1_3genE10ELNS1_11target_archE1201ELNS1_3gpuE5ELNS1_3repE0EEENS1_52radix_sort_onesweep_histogram_config_static_selectorELNS0_4arch9wavefront6targetE1EEEvSE_ ; -- Begin function _ZN7rocprim17ROCPRIM_400000_NS6detail17trampoline_kernelINS0_14default_configENS1_35radix_sort_onesweep_config_selectorIllEEZNS1_34radix_sort_onesweep_global_offsetsIS3_Lb0EPlN6thrust23THRUST_200600_302600_NS10device_ptrIlEEjNS0_19identity_decomposerEEE10hipError_tT1_T2_PT3_SG_jT4_jjP12ihipStream_tbEUlT_E_NS1_11comp_targetILNS1_3genE10ELNS1_11target_archE1201ELNS1_3gpuE5ELNS1_3repE0EEENS1_52radix_sort_onesweep_histogram_config_static_selectorELNS0_4arch9wavefront6targetE1EEEvSE_
	.globl	_ZN7rocprim17ROCPRIM_400000_NS6detail17trampoline_kernelINS0_14default_configENS1_35radix_sort_onesweep_config_selectorIllEEZNS1_34radix_sort_onesweep_global_offsetsIS3_Lb0EPlN6thrust23THRUST_200600_302600_NS10device_ptrIlEEjNS0_19identity_decomposerEEE10hipError_tT1_T2_PT3_SG_jT4_jjP12ihipStream_tbEUlT_E_NS1_11comp_targetILNS1_3genE10ELNS1_11target_archE1201ELNS1_3gpuE5ELNS1_3repE0EEENS1_52radix_sort_onesweep_histogram_config_static_selectorELNS0_4arch9wavefront6targetE1EEEvSE_
	.p2align	8
	.type	_ZN7rocprim17ROCPRIM_400000_NS6detail17trampoline_kernelINS0_14default_configENS1_35radix_sort_onesweep_config_selectorIllEEZNS1_34radix_sort_onesweep_global_offsetsIS3_Lb0EPlN6thrust23THRUST_200600_302600_NS10device_ptrIlEEjNS0_19identity_decomposerEEE10hipError_tT1_T2_PT3_SG_jT4_jjP12ihipStream_tbEUlT_E_NS1_11comp_targetILNS1_3genE10ELNS1_11target_archE1201ELNS1_3gpuE5ELNS1_3repE0EEENS1_52radix_sort_onesweep_histogram_config_static_selectorELNS0_4arch9wavefront6targetE1EEEvSE_,@function
_ZN7rocprim17ROCPRIM_400000_NS6detail17trampoline_kernelINS0_14default_configENS1_35radix_sort_onesweep_config_selectorIllEEZNS1_34radix_sort_onesweep_global_offsetsIS3_Lb0EPlN6thrust23THRUST_200600_302600_NS10device_ptrIlEEjNS0_19identity_decomposerEEE10hipError_tT1_T2_PT3_SG_jT4_jjP12ihipStream_tbEUlT_E_NS1_11comp_targetILNS1_3genE10ELNS1_11target_archE1201ELNS1_3gpuE5ELNS1_3repE0EEENS1_52radix_sort_onesweep_histogram_config_static_selectorELNS0_4arch9wavefront6targetE1EEEvSE_: ; @_ZN7rocprim17ROCPRIM_400000_NS6detail17trampoline_kernelINS0_14default_configENS1_35radix_sort_onesweep_config_selectorIllEEZNS1_34radix_sort_onesweep_global_offsetsIS3_Lb0EPlN6thrust23THRUST_200600_302600_NS10device_ptrIlEEjNS0_19identity_decomposerEEE10hipError_tT1_T2_PT3_SG_jT4_jjP12ihipStream_tbEUlT_E_NS1_11comp_targetILNS1_3genE10ELNS1_11target_archE1201ELNS1_3gpuE5ELNS1_3repE0EEENS1_52radix_sort_onesweep_histogram_config_static_selectorELNS0_4arch9wavefront6targetE1EEEvSE_
; %bb.0:
	.section	.rodata,"a",@progbits
	.p2align	6, 0x0
	.amdhsa_kernel _ZN7rocprim17ROCPRIM_400000_NS6detail17trampoline_kernelINS0_14default_configENS1_35radix_sort_onesweep_config_selectorIllEEZNS1_34radix_sort_onesweep_global_offsetsIS3_Lb0EPlN6thrust23THRUST_200600_302600_NS10device_ptrIlEEjNS0_19identity_decomposerEEE10hipError_tT1_T2_PT3_SG_jT4_jjP12ihipStream_tbEUlT_E_NS1_11comp_targetILNS1_3genE10ELNS1_11target_archE1201ELNS1_3gpuE5ELNS1_3repE0EEENS1_52radix_sort_onesweep_histogram_config_static_selectorELNS0_4arch9wavefront6targetE1EEEvSE_
		.amdhsa_group_segment_fixed_size 0
		.amdhsa_private_segment_fixed_size 0
		.amdhsa_kernarg_size 40
		.amdhsa_user_sgpr_count 6
		.amdhsa_user_sgpr_private_segment_buffer 1
		.amdhsa_user_sgpr_dispatch_ptr 0
		.amdhsa_user_sgpr_queue_ptr 0
		.amdhsa_user_sgpr_kernarg_segment_ptr 1
		.amdhsa_user_sgpr_dispatch_id 0
		.amdhsa_user_sgpr_flat_scratch_init 0
		.amdhsa_user_sgpr_private_segment_size 0
		.amdhsa_uses_dynamic_stack 0
		.amdhsa_system_sgpr_private_segment_wavefront_offset 0
		.amdhsa_system_sgpr_workgroup_id_x 1
		.amdhsa_system_sgpr_workgroup_id_y 0
		.amdhsa_system_sgpr_workgroup_id_z 0
		.amdhsa_system_sgpr_workgroup_info 0
		.amdhsa_system_vgpr_workitem_id 0
		.amdhsa_next_free_vgpr 1
		.amdhsa_next_free_sgpr 0
		.amdhsa_reserve_vcc 0
		.amdhsa_reserve_flat_scratch 0
		.amdhsa_float_round_mode_32 0
		.amdhsa_float_round_mode_16_64 0
		.amdhsa_float_denorm_mode_32 3
		.amdhsa_float_denorm_mode_16_64 3
		.amdhsa_dx10_clamp 1
		.amdhsa_ieee_mode 1
		.amdhsa_fp16_overflow 0
		.amdhsa_exception_fp_ieee_invalid_op 0
		.amdhsa_exception_fp_denorm_src 0
		.amdhsa_exception_fp_ieee_div_zero 0
		.amdhsa_exception_fp_ieee_overflow 0
		.amdhsa_exception_fp_ieee_underflow 0
		.amdhsa_exception_fp_ieee_inexact 0
		.amdhsa_exception_int_div_zero 0
	.end_amdhsa_kernel
	.section	.text._ZN7rocprim17ROCPRIM_400000_NS6detail17trampoline_kernelINS0_14default_configENS1_35radix_sort_onesweep_config_selectorIllEEZNS1_34radix_sort_onesweep_global_offsetsIS3_Lb0EPlN6thrust23THRUST_200600_302600_NS10device_ptrIlEEjNS0_19identity_decomposerEEE10hipError_tT1_T2_PT3_SG_jT4_jjP12ihipStream_tbEUlT_E_NS1_11comp_targetILNS1_3genE10ELNS1_11target_archE1201ELNS1_3gpuE5ELNS1_3repE0EEENS1_52radix_sort_onesweep_histogram_config_static_selectorELNS0_4arch9wavefront6targetE1EEEvSE_,"axG",@progbits,_ZN7rocprim17ROCPRIM_400000_NS6detail17trampoline_kernelINS0_14default_configENS1_35radix_sort_onesweep_config_selectorIllEEZNS1_34radix_sort_onesweep_global_offsetsIS3_Lb0EPlN6thrust23THRUST_200600_302600_NS10device_ptrIlEEjNS0_19identity_decomposerEEE10hipError_tT1_T2_PT3_SG_jT4_jjP12ihipStream_tbEUlT_E_NS1_11comp_targetILNS1_3genE10ELNS1_11target_archE1201ELNS1_3gpuE5ELNS1_3repE0EEENS1_52radix_sort_onesweep_histogram_config_static_selectorELNS0_4arch9wavefront6targetE1EEEvSE_,comdat
.Lfunc_end1120:
	.size	_ZN7rocprim17ROCPRIM_400000_NS6detail17trampoline_kernelINS0_14default_configENS1_35radix_sort_onesweep_config_selectorIllEEZNS1_34radix_sort_onesweep_global_offsetsIS3_Lb0EPlN6thrust23THRUST_200600_302600_NS10device_ptrIlEEjNS0_19identity_decomposerEEE10hipError_tT1_T2_PT3_SG_jT4_jjP12ihipStream_tbEUlT_E_NS1_11comp_targetILNS1_3genE10ELNS1_11target_archE1201ELNS1_3gpuE5ELNS1_3repE0EEENS1_52radix_sort_onesweep_histogram_config_static_selectorELNS0_4arch9wavefront6targetE1EEEvSE_, .Lfunc_end1120-_ZN7rocprim17ROCPRIM_400000_NS6detail17trampoline_kernelINS0_14default_configENS1_35radix_sort_onesweep_config_selectorIllEEZNS1_34radix_sort_onesweep_global_offsetsIS3_Lb0EPlN6thrust23THRUST_200600_302600_NS10device_ptrIlEEjNS0_19identity_decomposerEEE10hipError_tT1_T2_PT3_SG_jT4_jjP12ihipStream_tbEUlT_E_NS1_11comp_targetILNS1_3genE10ELNS1_11target_archE1201ELNS1_3gpuE5ELNS1_3repE0EEENS1_52radix_sort_onesweep_histogram_config_static_selectorELNS0_4arch9wavefront6targetE1EEEvSE_
                                        ; -- End function
	.set _ZN7rocprim17ROCPRIM_400000_NS6detail17trampoline_kernelINS0_14default_configENS1_35radix_sort_onesweep_config_selectorIllEEZNS1_34radix_sort_onesweep_global_offsetsIS3_Lb0EPlN6thrust23THRUST_200600_302600_NS10device_ptrIlEEjNS0_19identity_decomposerEEE10hipError_tT1_T2_PT3_SG_jT4_jjP12ihipStream_tbEUlT_E_NS1_11comp_targetILNS1_3genE10ELNS1_11target_archE1201ELNS1_3gpuE5ELNS1_3repE0EEENS1_52radix_sort_onesweep_histogram_config_static_selectorELNS0_4arch9wavefront6targetE1EEEvSE_.num_vgpr, 0
	.set _ZN7rocprim17ROCPRIM_400000_NS6detail17trampoline_kernelINS0_14default_configENS1_35radix_sort_onesweep_config_selectorIllEEZNS1_34radix_sort_onesweep_global_offsetsIS3_Lb0EPlN6thrust23THRUST_200600_302600_NS10device_ptrIlEEjNS0_19identity_decomposerEEE10hipError_tT1_T2_PT3_SG_jT4_jjP12ihipStream_tbEUlT_E_NS1_11comp_targetILNS1_3genE10ELNS1_11target_archE1201ELNS1_3gpuE5ELNS1_3repE0EEENS1_52radix_sort_onesweep_histogram_config_static_selectorELNS0_4arch9wavefront6targetE1EEEvSE_.num_agpr, 0
	.set _ZN7rocprim17ROCPRIM_400000_NS6detail17trampoline_kernelINS0_14default_configENS1_35radix_sort_onesweep_config_selectorIllEEZNS1_34radix_sort_onesweep_global_offsetsIS3_Lb0EPlN6thrust23THRUST_200600_302600_NS10device_ptrIlEEjNS0_19identity_decomposerEEE10hipError_tT1_T2_PT3_SG_jT4_jjP12ihipStream_tbEUlT_E_NS1_11comp_targetILNS1_3genE10ELNS1_11target_archE1201ELNS1_3gpuE5ELNS1_3repE0EEENS1_52radix_sort_onesweep_histogram_config_static_selectorELNS0_4arch9wavefront6targetE1EEEvSE_.numbered_sgpr, 0
	.set _ZN7rocprim17ROCPRIM_400000_NS6detail17trampoline_kernelINS0_14default_configENS1_35radix_sort_onesweep_config_selectorIllEEZNS1_34radix_sort_onesweep_global_offsetsIS3_Lb0EPlN6thrust23THRUST_200600_302600_NS10device_ptrIlEEjNS0_19identity_decomposerEEE10hipError_tT1_T2_PT3_SG_jT4_jjP12ihipStream_tbEUlT_E_NS1_11comp_targetILNS1_3genE10ELNS1_11target_archE1201ELNS1_3gpuE5ELNS1_3repE0EEENS1_52radix_sort_onesweep_histogram_config_static_selectorELNS0_4arch9wavefront6targetE1EEEvSE_.num_named_barrier, 0
	.set _ZN7rocprim17ROCPRIM_400000_NS6detail17trampoline_kernelINS0_14default_configENS1_35radix_sort_onesweep_config_selectorIllEEZNS1_34radix_sort_onesweep_global_offsetsIS3_Lb0EPlN6thrust23THRUST_200600_302600_NS10device_ptrIlEEjNS0_19identity_decomposerEEE10hipError_tT1_T2_PT3_SG_jT4_jjP12ihipStream_tbEUlT_E_NS1_11comp_targetILNS1_3genE10ELNS1_11target_archE1201ELNS1_3gpuE5ELNS1_3repE0EEENS1_52radix_sort_onesweep_histogram_config_static_selectorELNS0_4arch9wavefront6targetE1EEEvSE_.private_seg_size, 0
	.set _ZN7rocprim17ROCPRIM_400000_NS6detail17trampoline_kernelINS0_14default_configENS1_35radix_sort_onesweep_config_selectorIllEEZNS1_34radix_sort_onesweep_global_offsetsIS3_Lb0EPlN6thrust23THRUST_200600_302600_NS10device_ptrIlEEjNS0_19identity_decomposerEEE10hipError_tT1_T2_PT3_SG_jT4_jjP12ihipStream_tbEUlT_E_NS1_11comp_targetILNS1_3genE10ELNS1_11target_archE1201ELNS1_3gpuE5ELNS1_3repE0EEENS1_52radix_sort_onesweep_histogram_config_static_selectorELNS0_4arch9wavefront6targetE1EEEvSE_.uses_vcc, 0
	.set _ZN7rocprim17ROCPRIM_400000_NS6detail17trampoline_kernelINS0_14default_configENS1_35radix_sort_onesweep_config_selectorIllEEZNS1_34radix_sort_onesweep_global_offsetsIS3_Lb0EPlN6thrust23THRUST_200600_302600_NS10device_ptrIlEEjNS0_19identity_decomposerEEE10hipError_tT1_T2_PT3_SG_jT4_jjP12ihipStream_tbEUlT_E_NS1_11comp_targetILNS1_3genE10ELNS1_11target_archE1201ELNS1_3gpuE5ELNS1_3repE0EEENS1_52radix_sort_onesweep_histogram_config_static_selectorELNS0_4arch9wavefront6targetE1EEEvSE_.uses_flat_scratch, 0
	.set _ZN7rocprim17ROCPRIM_400000_NS6detail17trampoline_kernelINS0_14default_configENS1_35radix_sort_onesweep_config_selectorIllEEZNS1_34radix_sort_onesweep_global_offsetsIS3_Lb0EPlN6thrust23THRUST_200600_302600_NS10device_ptrIlEEjNS0_19identity_decomposerEEE10hipError_tT1_T2_PT3_SG_jT4_jjP12ihipStream_tbEUlT_E_NS1_11comp_targetILNS1_3genE10ELNS1_11target_archE1201ELNS1_3gpuE5ELNS1_3repE0EEENS1_52radix_sort_onesweep_histogram_config_static_selectorELNS0_4arch9wavefront6targetE1EEEvSE_.has_dyn_sized_stack, 0
	.set _ZN7rocprim17ROCPRIM_400000_NS6detail17trampoline_kernelINS0_14default_configENS1_35radix_sort_onesweep_config_selectorIllEEZNS1_34radix_sort_onesweep_global_offsetsIS3_Lb0EPlN6thrust23THRUST_200600_302600_NS10device_ptrIlEEjNS0_19identity_decomposerEEE10hipError_tT1_T2_PT3_SG_jT4_jjP12ihipStream_tbEUlT_E_NS1_11comp_targetILNS1_3genE10ELNS1_11target_archE1201ELNS1_3gpuE5ELNS1_3repE0EEENS1_52radix_sort_onesweep_histogram_config_static_selectorELNS0_4arch9wavefront6targetE1EEEvSE_.has_recursion, 0
	.set _ZN7rocprim17ROCPRIM_400000_NS6detail17trampoline_kernelINS0_14default_configENS1_35radix_sort_onesweep_config_selectorIllEEZNS1_34radix_sort_onesweep_global_offsetsIS3_Lb0EPlN6thrust23THRUST_200600_302600_NS10device_ptrIlEEjNS0_19identity_decomposerEEE10hipError_tT1_T2_PT3_SG_jT4_jjP12ihipStream_tbEUlT_E_NS1_11comp_targetILNS1_3genE10ELNS1_11target_archE1201ELNS1_3gpuE5ELNS1_3repE0EEENS1_52radix_sort_onesweep_histogram_config_static_selectorELNS0_4arch9wavefront6targetE1EEEvSE_.has_indirect_call, 0
	.section	.AMDGPU.csdata,"",@progbits
; Kernel info:
; codeLenInByte = 0
; TotalNumSgprs: 4
; NumVgprs: 0
; ScratchSize: 0
; MemoryBound: 0
; FloatMode: 240
; IeeeMode: 1
; LDSByteSize: 0 bytes/workgroup (compile time only)
; SGPRBlocks: 0
; VGPRBlocks: 0
; NumSGPRsForWavesPerEU: 4
; NumVGPRsForWavesPerEU: 1
; Occupancy: 10
; WaveLimiterHint : 0
; COMPUTE_PGM_RSRC2:SCRATCH_EN: 0
; COMPUTE_PGM_RSRC2:USER_SGPR: 6
; COMPUTE_PGM_RSRC2:TRAP_HANDLER: 0
; COMPUTE_PGM_RSRC2:TGID_X_EN: 1
; COMPUTE_PGM_RSRC2:TGID_Y_EN: 0
; COMPUTE_PGM_RSRC2:TGID_Z_EN: 0
; COMPUTE_PGM_RSRC2:TIDIG_COMP_CNT: 0
	.section	.text._ZN7rocprim17ROCPRIM_400000_NS6detail17trampoline_kernelINS0_14default_configENS1_35radix_sort_onesweep_config_selectorIllEEZNS1_34radix_sort_onesweep_global_offsetsIS3_Lb0EPlN6thrust23THRUST_200600_302600_NS10device_ptrIlEEjNS0_19identity_decomposerEEE10hipError_tT1_T2_PT3_SG_jT4_jjP12ihipStream_tbEUlT_E_NS1_11comp_targetILNS1_3genE9ELNS1_11target_archE1100ELNS1_3gpuE3ELNS1_3repE0EEENS1_52radix_sort_onesweep_histogram_config_static_selectorELNS0_4arch9wavefront6targetE1EEEvSE_,"axG",@progbits,_ZN7rocprim17ROCPRIM_400000_NS6detail17trampoline_kernelINS0_14default_configENS1_35radix_sort_onesweep_config_selectorIllEEZNS1_34radix_sort_onesweep_global_offsetsIS3_Lb0EPlN6thrust23THRUST_200600_302600_NS10device_ptrIlEEjNS0_19identity_decomposerEEE10hipError_tT1_T2_PT3_SG_jT4_jjP12ihipStream_tbEUlT_E_NS1_11comp_targetILNS1_3genE9ELNS1_11target_archE1100ELNS1_3gpuE3ELNS1_3repE0EEENS1_52radix_sort_onesweep_histogram_config_static_selectorELNS0_4arch9wavefront6targetE1EEEvSE_,comdat
	.protected	_ZN7rocprim17ROCPRIM_400000_NS6detail17trampoline_kernelINS0_14default_configENS1_35radix_sort_onesweep_config_selectorIllEEZNS1_34radix_sort_onesweep_global_offsetsIS3_Lb0EPlN6thrust23THRUST_200600_302600_NS10device_ptrIlEEjNS0_19identity_decomposerEEE10hipError_tT1_T2_PT3_SG_jT4_jjP12ihipStream_tbEUlT_E_NS1_11comp_targetILNS1_3genE9ELNS1_11target_archE1100ELNS1_3gpuE3ELNS1_3repE0EEENS1_52radix_sort_onesweep_histogram_config_static_selectorELNS0_4arch9wavefront6targetE1EEEvSE_ ; -- Begin function _ZN7rocprim17ROCPRIM_400000_NS6detail17trampoline_kernelINS0_14default_configENS1_35radix_sort_onesweep_config_selectorIllEEZNS1_34radix_sort_onesweep_global_offsetsIS3_Lb0EPlN6thrust23THRUST_200600_302600_NS10device_ptrIlEEjNS0_19identity_decomposerEEE10hipError_tT1_T2_PT3_SG_jT4_jjP12ihipStream_tbEUlT_E_NS1_11comp_targetILNS1_3genE9ELNS1_11target_archE1100ELNS1_3gpuE3ELNS1_3repE0EEENS1_52radix_sort_onesweep_histogram_config_static_selectorELNS0_4arch9wavefront6targetE1EEEvSE_
	.globl	_ZN7rocprim17ROCPRIM_400000_NS6detail17trampoline_kernelINS0_14default_configENS1_35radix_sort_onesweep_config_selectorIllEEZNS1_34radix_sort_onesweep_global_offsetsIS3_Lb0EPlN6thrust23THRUST_200600_302600_NS10device_ptrIlEEjNS0_19identity_decomposerEEE10hipError_tT1_T2_PT3_SG_jT4_jjP12ihipStream_tbEUlT_E_NS1_11comp_targetILNS1_3genE9ELNS1_11target_archE1100ELNS1_3gpuE3ELNS1_3repE0EEENS1_52radix_sort_onesweep_histogram_config_static_selectorELNS0_4arch9wavefront6targetE1EEEvSE_
	.p2align	8
	.type	_ZN7rocprim17ROCPRIM_400000_NS6detail17trampoline_kernelINS0_14default_configENS1_35radix_sort_onesweep_config_selectorIllEEZNS1_34radix_sort_onesweep_global_offsetsIS3_Lb0EPlN6thrust23THRUST_200600_302600_NS10device_ptrIlEEjNS0_19identity_decomposerEEE10hipError_tT1_T2_PT3_SG_jT4_jjP12ihipStream_tbEUlT_E_NS1_11comp_targetILNS1_3genE9ELNS1_11target_archE1100ELNS1_3gpuE3ELNS1_3repE0EEENS1_52radix_sort_onesweep_histogram_config_static_selectorELNS0_4arch9wavefront6targetE1EEEvSE_,@function
_ZN7rocprim17ROCPRIM_400000_NS6detail17trampoline_kernelINS0_14default_configENS1_35radix_sort_onesweep_config_selectorIllEEZNS1_34radix_sort_onesweep_global_offsetsIS3_Lb0EPlN6thrust23THRUST_200600_302600_NS10device_ptrIlEEjNS0_19identity_decomposerEEE10hipError_tT1_T2_PT3_SG_jT4_jjP12ihipStream_tbEUlT_E_NS1_11comp_targetILNS1_3genE9ELNS1_11target_archE1100ELNS1_3gpuE3ELNS1_3repE0EEENS1_52radix_sort_onesweep_histogram_config_static_selectorELNS0_4arch9wavefront6targetE1EEEvSE_: ; @_ZN7rocprim17ROCPRIM_400000_NS6detail17trampoline_kernelINS0_14default_configENS1_35radix_sort_onesweep_config_selectorIllEEZNS1_34radix_sort_onesweep_global_offsetsIS3_Lb0EPlN6thrust23THRUST_200600_302600_NS10device_ptrIlEEjNS0_19identity_decomposerEEE10hipError_tT1_T2_PT3_SG_jT4_jjP12ihipStream_tbEUlT_E_NS1_11comp_targetILNS1_3genE9ELNS1_11target_archE1100ELNS1_3gpuE3ELNS1_3repE0EEENS1_52radix_sort_onesweep_histogram_config_static_selectorELNS0_4arch9wavefront6targetE1EEEvSE_
; %bb.0:
	.section	.rodata,"a",@progbits
	.p2align	6, 0x0
	.amdhsa_kernel _ZN7rocprim17ROCPRIM_400000_NS6detail17trampoline_kernelINS0_14default_configENS1_35radix_sort_onesweep_config_selectorIllEEZNS1_34radix_sort_onesweep_global_offsetsIS3_Lb0EPlN6thrust23THRUST_200600_302600_NS10device_ptrIlEEjNS0_19identity_decomposerEEE10hipError_tT1_T2_PT3_SG_jT4_jjP12ihipStream_tbEUlT_E_NS1_11comp_targetILNS1_3genE9ELNS1_11target_archE1100ELNS1_3gpuE3ELNS1_3repE0EEENS1_52radix_sort_onesweep_histogram_config_static_selectorELNS0_4arch9wavefront6targetE1EEEvSE_
		.amdhsa_group_segment_fixed_size 0
		.amdhsa_private_segment_fixed_size 0
		.amdhsa_kernarg_size 40
		.amdhsa_user_sgpr_count 6
		.amdhsa_user_sgpr_private_segment_buffer 1
		.amdhsa_user_sgpr_dispatch_ptr 0
		.amdhsa_user_sgpr_queue_ptr 0
		.amdhsa_user_sgpr_kernarg_segment_ptr 1
		.amdhsa_user_sgpr_dispatch_id 0
		.amdhsa_user_sgpr_flat_scratch_init 0
		.amdhsa_user_sgpr_private_segment_size 0
		.amdhsa_uses_dynamic_stack 0
		.amdhsa_system_sgpr_private_segment_wavefront_offset 0
		.amdhsa_system_sgpr_workgroup_id_x 1
		.amdhsa_system_sgpr_workgroup_id_y 0
		.amdhsa_system_sgpr_workgroup_id_z 0
		.amdhsa_system_sgpr_workgroup_info 0
		.amdhsa_system_vgpr_workitem_id 0
		.amdhsa_next_free_vgpr 1
		.amdhsa_next_free_sgpr 0
		.amdhsa_reserve_vcc 0
		.amdhsa_reserve_flat_scratch 0
		.amdhsa_float_round_mode_32 0
		.amdhsa_float_round_mode_16_64 0
		.amdhsa_float_denorm_mode_32 3
		.amdhsa_float_denorm_mode_16_64 3
		.amdhsa_dx10_clamp 1
		.amdhsa_ieee_mode 1
		.amdhsa_fp16_overflow 0
		.amdhsa_exception_fp_ieee_invalid_op 0
		.amdhsa_exception_fp_denorm_src 0
		.amdhsa_exception_fp_ieee_div_zero 0
		.amdhsa_exception_fp_ieee_overflow 0
		.amdhsa_exception_fp_ieee_underflow 0
		.amdhsa_exception_fp_ieee_inexact 0
		.amdhsa_exception_int_div_zero 0
	.end_amdhsa_kernel
	.section	.text._ZN7rocprim17ROCPRIM_400000_NS6detail17trampoline_kernelINS0_14default_configENS1_35radix_sort_onesweep_config_selectorIllEEZNS1_34radix_sort_onesweep_global_offsetsIS3_Lb0EPlN6thrust23THRUST_200600_302600_NS10device_ptrIlEEjNS0_19identity_decomposerEEE10hipError_tT1_T2_PT3_SG_jT4_jjP12ihipStream_tbEUlT_E_NS1_11comp_targetILNS1_3genE9ELNS1_11target_archE1100ELNS1_3gpuE3ELNS1_3repE0EEENS1_52radix_sort_onesweep_histogram_config_static_selectorELNS0_4arch9wavefront6targetE1EEEvSE_,"axG",@progbits,_ZN7rocprim17ROCPRIM_400000_NS6detail17trampoline_kernelINS0_14default_configENS1_35radix_sort_onesweep_config_selectorIllEEZNS1_34radix_sort_onesweep_global_offsetsIS3_Lb0EPlN6thrust23THRUST_200600_302600_NS10device_ptrIlEEjNS0_19identity_decomposerEEE10hipError_tT1_T2_PT3_SG_jT4_jjP12ihipStream_tbEUlT_E_NS1_11comp_targetILNS1_3genE9ELNS1_11target_archE1100ELNS1_3gpuE3ELNS1_3repE0EEENS1_52radix_sort_onesweep_histogram_config_static_selectorELNS0_4arch9wavefront6targetE1EEEvSE_,comdat
.Lfunc_end1121:
	.size	_ZN7rocprim17ROCPRIM_400000_NS6detail17trampoline_kernelINS0_14default_configENS1_35radix_sort_onesweep_config_selectorIllEEZNS1_34radix_sort_onesweep_global_offsetsIS3_Lb0EPlN6thrust23THRUST_200600_302600_NS10device_ptrIlEEjNS0_19identity_decomposerEEE10hipError_tT1_T2_PT3_SG_jT4_jjP12ihipStream_tbEUlT_E_NS1_11comp_targetILNS1_3genE9ELNS1_11target_archE1100ELNS1_3gpuE3ELNS1_3repE0EEENS1_52radix_sort_onesweep_histogram_config_static_selectorELNS0_4arch9wavefront6targetE1EEEvSE_, .Lfunc_end1121-_ZN7rocprim17ROCPRIM_400000_NS6detail17trampoline_kernelINS0_14default_configENS1_35radix_sort_onesweep_config_selectorIllEEZNS1_34radix_sort_onesweep_global_offsetsIS3_Lb0EPlN6thrust23THRUST_200600_302600_NS10device_ptrIlEEjNS0_19identity_decomposerEEE10hipError_tT1_T2_PT3_SG_jT4_jjP12ihipStream_tbEUlT_E_NS1_11comp_targetILNS1_3genE9ELNS1_11target_archE1100ELNS1_3gpuE3ELNS1_3repE0EEENS1_52radix_sort_onesweep_histogram_config_static_selectorELNS0_4arch9wavefront6targetE1EEEvSE_
                                        ; -- End function
	.set _ZN7rocprim17ROCPRIM_400000_NS6detail17trampoline_kernelINS0_14default_configENS1_35radix_sort_onesweep_config_selectorIllEEZNS1_34radix_sort_onesweep_global_offsetsIS3_Lb0EPlN6thrust23THRUST_200600_302600_NS10device_ptrIlEEjNS0_19identity_decomposerEEE10hipError_tT1_T2_PT3_SG_jT4_jjP12ihipStream_tbEUlT_E_NS1_11comp_targetILNS1_3genE9ELNS1_11target_archE1100ELNS1_3gpuE3ELNS1_3repE0EEENS1_52radix_sort_onesweep_histogram_config_static_selectorELNS0_4arch9wavefront6targetE1EEEvSE_.num_vgpr, 0
	.set _ZN7rocprim17ROCPRIM_400000_NS6detail17trampoline_kernelINS0_14default_configENS1_35radix_sort_onesweep_config_selectorIllEEZNS1_34radix_sort_onesweep_global_offsetsIS3_Lb0EPlN6thrust23THRUST_200600_302600_NS10device_ptrIlEEjNS0_19identity_decomposerEEE10hipError_tT1_T2_PT3_SG_jT4_jjP12ihipStream_tbEUlT_E_NS1_11comp_targetILNS1_3genE9ELNS1_11target_archE1100ELNS1_3gpuE3ELNS1_3repE0EEENS1_52radix_sort_onesweep_histogram_config_static_selectorELNS0_4arch9wavefront6targetE1EEEvSE_.num_agpr, 0
	.set _ZN7rocprim17ROCPRIM_400000_NS6detail17trampoline_kernelINS0_14default_configENS1_35radix_sort_onesweep_config_selectorIllEEZNS1_34radix_sort_onesweep_global_offsetsIS3_Lb0EPlN6thrust23THRUST_200600_302600_NS10device_ptrIlEEjNS0_19identity_decomposerEEE10hipError_tT1_T2_PT3_SG_jT4_jjP12ihipStream_tbEUlT_E_NS1_11comp_targetILNS1_3genE9ELNS1_11target_archE1100ELNS1_3gpuE3ELNS1_3repE0EEENS1_52radix_sort_onesweep_histogram_config_static_selectorELNS0_4arch9wavefront6targetE1EEEvSE_.numbered_sgpr, 0
	.set _ZN7rocprim17ROCPRIM_400000_NS6detail17trampoline_kernelINS0_14default_configENS1_35radix_sort_onesweep_config_selectorIllEEZNS1_34radix_sort_onesweep_global_offsetsIS3_Lb0EPlN6thrust23THRUST_200600_302600_NS10device_ptrIlEEjNS0_19identity_decomposerEEE10hipError_tT1_T2_PT3_SG_jT4_jjP12ihipStream_tbEUlT_E_NS1_11comp_targetILNS1_3genE9ELNS1_11target_archE1100ELNS1_3gpuE3ELNS1_3repE0EEENS1_52radix_sort_onesweep_histogram_config_static_selectorELNS0_4arch9wavefront6targetE1EEEvSE_.num_named_barrier, 0
	.set _ZN7rocprim17ROCPRIM_400000_NS6detail17trampoline_kernelINS0_14default_configENS1_35radix_sort_onesweep_config_selectorIllEEZNS1_34radix_sort_onesweep_global_offsetsIS3_Lb0EPlN6thrust23THRUST_200600_302600_NS10device_ptrIlEEjNS0_19identity_decomposerEEE10hipError_tT1_T2_PT3_SG_jT4_jjP12ihipStream_tbEUlT_E_NS1_11comp_targetILNS1_3genE9ELNS1_11target_archE1100ELNS1_3gpuE3ELNS1_3repE0EEENS1_52radix_sort_onesweep_histogram_config_static_selectorELNS0_4arch9wavefront6targetE1EEEvSE_.private_seg_size, 0
	.set _ZN7rocprim17ROCPRIM_400000_NS6detail17trampoline_kernelINS0_14default_configENS1_35radix_sort_onesweep_config_selectorIllEEZNS1_34radix_sort_onesweep_global_offsetsIS3_Lb0EPlN6thrust23THRUST_200600_302600_NS10device_ptrIlEEjNS0_19identity_decomposerEEE10hipError_tT1_T2_PT3_SG_jT4_jjP12ihipStream_tbEUlT_E_NS1_11comp_targetILNS1_3genE9ELNS1_11target_archE1100ELNS1_3gpuE3ELNS1_3repE0EEENS1_52radix_sort_onesweep_histogram_config_static_selectorELNS0_4arch9wavefront6targetE1EEEvSE_.uses_vcc, 0
	.set _ZN7rocprim17ROCPRIM_400000_NS6detail17trampoline_kernelINS0_14default_configENS1_35radix_sort_onesweep_config_selectorIllEEZNS1_34radix_sort_onesweep_global_offsetsIS3_Lb0EPlN6thrust23THRUST_200600_302600_NS10device_ptrIlEEjNS0_19identity_decomposerEEE10hipError_tT1_T2_PT3_SG_jT4_jjP12ihipStream_tbEUlT_E_NS1_11comp_targetILNS1_3genE9ELNS1_11target_archE1100ELNS1_3gpuE3ELNS1_3repE0EEENS1_52radix_sort_onesweep_histogram_config_static_selectorELNS0_4arch9wavefront6targetE1EEEvSE_.uses_flat_scratch, 0
	.set _ZN7rocprim17ROCPRIM_400000_NS6detail17trampoline_kernelINS0_14default_configENS1_35radix_sort_onesweep_config_selectorIllEEZNS1_34radix_sort_onesweep_global_offsetsIS3_Lb0EPlN6thrust23THRUST_200600_302600_NS10device_ptrIlEEjNS0_19identity_decomposerEEE10hipError_tT1_T2_PT3_SG_jT4_jjP12ihipStream_tbEUlT_E_NS1_11comp_targetILNS1_3genE9ELNS1_11target_archE1100ELNS1_3gpuE3ELNS1_3repE0EEENS1_52radix_sort_onesweep_histogram_config_static_selectorELNS0_4arch9wavefront6targetE1EEEvSE_.has_dyn_sized_stack, 0
	.set _ZN7rocprim17ROCPRIM_400000_NS6detail17trampoline_kernelINS0_14default_configENS1_35radix_sort_onesweep_config_selectorIllEEZNS1_34radix_sort_onesweep_global_offsetsIS3_Lb0EPlN6thrust23THRUST_200600_302600_NS10device_ptrIlEEjNS0_19identity_decomposerEEE10hipError_tT1_T2_PT3_SG_jT4_jjP12ihipStream_tbEUlT_E_NS1_11comp_targetILNS1_3genE9ELNS1_11target_archE1100ELNS1_3gpuE3ELNS1_3repE0EEENS1_52radix_sort_onesweep_histogram_config_static_selectorELNS0_4arch9wavefront6targetE1EEEvSE_.has_recursion, 0
	.set _ZN7rocprim17ROCPRIM_400000_NS6detail17trampoline_kernelINS0_14default_configENS1_35radix_sort_onesweep_config_selectorIllEEZNS1_34radix_sort_onesweep_global_offsetsIS3_Lb0EPlN6thrust23THRUST_200600_302600_NS10device_ptrIlEEjNS0_19identity_decomposerEEE10hipError_tT1_T2_PT3_SG_jT4_jjP12ihipStream_tbEUlT_E_NS1_11comp_targetILNS1_3genE9ELNS1_11target_archE1100ELNS1_3gpuE3ELNS1_3repE0EEENS1_52radix_sort_onesweep_histogram_config_static_selectorELNS0_4arch9wavefront6targetE1EEEvSE_.has_indirect_call, 0
	.section	.AMDGPU.csdata,"",@progbits
; Kernel info:
; codeLenInByte = 0
; TotalNumSgprs: 4
; NumVgprs: 0
; ScratchSize: 0
; MemoryBound: 0
; FloatMode: 240
; IeeeMode: 1
; LDSByteSize: 0 bytes/workgroup (compile time only)
; SGPRBlocks: 0
; VGPRBlocks: 0
; NumSGPRsForWavesPerEU: 4
; NumVGPRsForWavesPerEU: 1
; Occupancy: 10
; WaveLimiterHint : 0
; COMPUTE_PGM_RSRC2:SCRATCH_EN: 0
; COMPUTE_PGM_RSRC2:USER_SGPR: 6
; COMPUTE_PGM_RSRC2:TRAP_HANDLER: 0
; COMPUTE_PGM_RSRC2:TGID_X_EN: 1
; COMPUTE_PGM_RSRC2:TGID_Y_EN: 0
; COMPUTE_PGM_RSRC2:TGID_Z_EN: 0
; COMPUTE_PGM_RSRC2:TIDIG_COMP_CNT: 0
	.section	.text._ZN7rocprim17ROCPRIM_400000_NS6detail17trampoline_kernelINS0_14default_configENS1_35radix_sort_onesweep_config_selectorIllEEZNS1_34radix_sort_onesweep_global_offsetsIS3_Lb0EPlN6thrust23THRUST_200600_302600_NS10device_ptrIlEEjNS0_19identity_decomposerEEE10hipError_tT1_T2_PT3_SG_jT4_jjP12ihipStream_tbEUlT_E_NS1_11comp_targetILNS1_3genE8ELNS1_11target_archE1030ELNS1_3gpuE2ELNS1_3repE0EEENS1_52radix_sort_onesweep_histogram_config_static_selectorELNS0_4arch9wavefront6targetE1EEEvSE_,"axG",@progbits,_ZN7rocprim17ROCPRIM_400000_NS6detail17trampoline_kernelINS0_14default_configENS1_35radix_sort_onesweep_config_selectorIllEEZNS1_34radix_sort_onesweep_global_offsetsIS3_Lb0EPlN6thrust23THRUST_200600_302600_NS10device_ptrIlEEjNS0_19identity_decomposerEEE10hipError_tT1_T2_PT3_SG_jT4_jjP12ihipStream_tbEUlT_E_NS1_11comp_targetILNS1_3genE8ELNS1_11target_archE1030ELNS1_3gpuE2ELNS1_3repE0EEENS1_52radix_sort_onesweep_histogram_config_static_selectorELNS0_4arch9wavefront6targetE1EEEvSE_,comdat
	.protected	_ZN7rocprim17ROCPRIM_400000_NS6detail17trampoline_kernelINS0_14default_configENS1_35radix_sort_onesweep_config_selectorIllEEZNS1_34radix_sort_onesweep_global_offsetsIS3_Lb0EPlN6thrust23THRUST_200600_302600_NS10device_ptrIlEEjNS0_19identity_decomposerEEE10hipError_tT1_T2_PT3_SG_jT4_jjP12ihipStream_tbEUlT_E_NS1_11comp_targetILNS1_3genE8ELNS1_11target_archE1030ELNS1_3gpuE2ELNS1_3repE0EEENS1_52radix_sort_onesweep_histogram_config_static_selectorELNS0_4arch9wavefront6targetE1EEEvSE_ ; -- Begin function _ZN7rocprim17ROCPRIM_400000_NS6detail17trampoline_kernelINS0_14default_configENS1_35radix_sort_onesweep_config_selectorIllEEZNS1_34radix_sort_onesweep_global_offsetsIS3_Lb0EPlN6thrust23THRUST_200600_302600_NS10device_ptrIlEEjNS0_19identity_decomposerEEE10hipError_tT1_T2_PT3_SG_jT4_jjP12ihipStream_tbEUlT_E_NS1_11comp_targetILNS1_3genE8ELNS1_11target_archE1030ELNS1_3gpuE2ELNS1_3repE0EEENS1_52radix_sort_onesweep_histogram_config_static_selectorELNS0_4arch9wavefront6targetE1EEEvSE_
	.globl	_ZN7rocprim17ROCPRIM_400000_NS6detail17trampoline_kernelINS0_14default_configENS1_35radix_sort_onesweep_config_selectorIllEEZNS1_34radix_sort_onesweep_global_offsetsIS3_Lb0EPlN6thrust23THRUST_200600_302600_NS10device_ptrIlEEjNS0_19identity_decomposerEEE10hipError_tT1_T2_PT3_SG_jT4_jjP12ihipStream_tbEUlT_E_NS1_11comp_targetILNS1_3genE8ELNS1_11target_archE1030ELNS1_3gpuE2ELNS1_3repE0EEENS1_52radix_sort_onesweep_histogram_config_static_selectorELNS0_4arch9wavefront6targetE1EEEvSE_
	.p2align	8
	.type	_ZN7rocprim17ROCPRIM_400000_NS6detail17trampoline_kernelINS0_14default_configENS1_35radix_sort_onesweep_config_selectorIllEEZNS1_34radix_sort_onesweep_global_offsetsIS3_Lb0EPlN6thrust23THRUST_200600_302600_NS10device_ptrIlEEjNS0_19identity_decomposerEEE10hipError_tT1_T2_PT3_SG_jT4_jjP12ihipStream_tbEUlT_E_NS1_11comp_targetILNS1_3genE8ELNS1_11target_archE1030ELNS1_3gpuE2ELNS1_3repE0EEENS1_52radix_sort_onesweep_histogram_config_static_selectorELNS0_4arch9wavefront6targetE1EEEvSE_,@function
_ZN7rocprim17ROCPRIM_400000_NS6detail17trampoline_kernelINS0_14default_configENS1_35radix_sort_onesweep_config_selectorIllEEZNS1_34radix_sort_onesweep_global_offsetsIS3_Lb0EPlN6thrust23THRUST_200600_302600_NS10device_ptrIlEEjNS0_19identity_decomposerEEE10hipError_tT1_T2_PT3_SG_jT4_jjP12ihipStream_tbEUlT_E_NS1_11comp_targetILNS1_3genE8ELNS1_11target_archE1030ELNS1_3gpuE2ELNS1_3repE0EEENS1_52radix_sort_onesweep_histogram_config_static_selectorELNS0_4arch9wavefront6targetE1EEEvSE_: ; @_ZN7rocprim17ROCPRIM_400000_NS6detail17trampoline_kernelINS0_14default_configENS1_35radix_sort_onesweep_config_selectorIllEEZNS1_34radix_sort_onesweep_global_offsetsIS3_Lb0EPlN6thrust23THRUST_200600_302600_NS10device_ptrIlEEjNS0_19identity_decomposerEEE10hipError_tT1_T2_PT3_SG_jT4_jjP12ihipStream_tbEUlT_E_NS1_11comp_targetILNS1_3genE8ELNS1_11target_archE1030ELNS1_3gpuE2ELNS1_3repE0EEENS1_52radix_sort_onesweep_histogram_config_static_selectorELNS0_4arch9wavefront6targetE1EEEvSE_
; %bb.0:
	.section	.rodata,"a",@progbits
	.p2align	6, 0x0
	.amdhsa_kernel _ZN7rocprim17ROCPRIM_400000_NS6detail17trampoline_kernelINS0_14default_configENS1_35radix_sort_onesweep_config_selectorIllEEZNS1_34radix_sort_onesweep_global_offsetsIS3_Lb0EPlN6thrust23THRUST_200600_302600_NS10device_ptrIlEEjNS0_19identity_decomposerEEE10hipError_tT1_T2_PT3_SG_jT4_jjP12ihipStream_tbEUlT_E_NS1_11comp_targetILNS1_3genE8ELNS1_11target_archE1030ELNS1_3gpuE2ELNS1_3repE0EEENS1_52radix_sort_onesweep_histogram_config_static_selectorELNS0_4arch9wavefront6targetE1EEEvSE_
		.amdhsa_group_segment_fixed_size 0
		.amdhsa_private_segment_fixed_size 0
		.amdhsa_kernarg_size 40
		.amdhsa_user_sgpr_count 6
		.amdhsa_user_sgpr_private_segment_buffer 1
		.amdhsa_user_sgpr_dispatch_ptr 0
		.amdhsa_user_sgpr_queue_ptr 0
		.amdhsa_user_sgpr_kernarg_segment_ptr 1
		.amdhsa_user_sgpr_dispatch_id 0
		.amdhsa_user_sgpr_flat_scratch_init 0
		.amdhsa_user_sgpr_private_segment_size 0
		.amdhsa_uses_dynamic_stack 0
		.amdhsa_system_sgpr_private_segment_wavefront_offset 0
		.amdhsa_system_sgpr_workgroup_id_x 1
		.amdhsa_system_sgpr_workgroup_id_y 0
		.amdhsa_system_sgpr_workgroup_id_z 0
		.amdhsa_system_sgpr_workgroup_info 0
		.amdhsa_system_vgpr_workitem_id 0
		.amdhsa_next_free_vgpr 1
		.amdhsa_next_free_sgpr 0
		.amdhsa_reserve_vcc 0
		.amdhsa_reserve_flat_scratch 0
		.amdhsa_float_round_mode_32 0
		.amdhsa_float_round_mode_16_64 0
		.amdhsa_float_denorm_mode_32 3
		.amdhsa_float_denorm_mode_16_64 3
		.amdhsa_dx10_clamp 1
		.amdhsa_ieee_mode 1
		.amdhsa_fp16_overflow 0
		.amdhsa_exception_fp_ieee_invalid_op 0
		.amdhsa_exception_fp_denorm_src 0
		.amdhsa_exception_fp_ieee_div_zero 0
		.amdhsa_exception_fp_ieee_overflow 0
		.amdhsa_exception_fp_ieee_underflow 0
		.amdhsa_exception_fp_ieee_inexact 0
		.amdhsa_exception_int_div_zero 0
	.end_amdhsa_kernel
	.section	.text._ZN7rocprim17ROCPRIM_400000_NS6detail17trampoline_kernelINS0_14default_configENS1_35radix_sort_onesweep_config_selectorIllEEZNS1_34radix_sort_onesweep_global_offsetsIS3_Lb0EPlN6thrust23THRUST_200600_302600_NS10device_ptrIlEEjNS0_19identity_decomposerEEE10hipError_tT1_T2_PT3_SG_jT4_jjP12ihipStream_tbEUlT_E_NS1_11comp_targetILNS1_3genE8ELNS1_11target_archE1030ELNS1_3gpuE2ELNS1_3repE0EEENS1_52radix_sort_onesweep_histogram_config_static_selectorELNS0_4arch9wavefront6targetE1EEEvSE_,"axG",@progbits,_ZN7rocprim17ROCPRIM_400000_NS6detail17trampoline_kernelINS0_14default_configENS1_35radix_sort_onesweep_config_selectorIllEEZNS1_34radix_sort_onesweep_global_offsetsIS3_Lb0EPlN6thrust23THRUST_200600_302600_NS10device_ptrIlEEjNS0_19identity_decomposerEEE10hipError_tT1_T2_PT3_SG_jT4_jjP12ihipStream_tbEUlT_E_NS1_11comp_targetILNS1_3genE8ELNS1_11target_archE1030ELNS1_3gpuE2ELNS1_3repE0EEENS1_52radix_sort_onesweep_histogram_config_static_selectorELNS0_4arch9wavefront6targetE1EEEvSE_,comdat
.Lfunc_end1122:
	.size	_ZN7rocprim17ROCPRIM_400000_NS6detail17trampoline_kernelINS0_14default_configENS1_35radix_sort_onesweep_config_selectorIllEEZNS1_34radix_sort_onesweep_global_offsetsIS3_Lb0EPlN6thrust23THRUST_200600_302600_NS10device_ptrIlEEjNS0_19identity_decomposerEEE10hipError_tT1_T2_PT3_SG_jT4_jjP12ihipStream_tbEUlT_E_NS1_11comp_targetILNS1_3genE8ELNS1_11target_archE1030ELNS1_3gpuE2ELNS1_3repE0EEENS1_52radix_sort_onesweep_histogram_config_static_selectorELNS0_4arch9wavefront6targetE1EEEvSE_, .Lfunc_end1122-_ZN7rocprim17ROCPRIM_400000_NS6detail17trampoline_kernelINS0_14default_configENS1_35radix_sort_onesweep_config_selectorIllEEZNS1_34radix_sort_onesweep_global_offsetsIS3_Lb0EPlN6thrust23THRUST_200600_302600_NS10device_ptrIlEEjNS0_19identity_decomposerEEE10hipError_tT1_T2_PT3_SG_jT4_jjP12ihipStream_tbEUlT_E_NS1_11comp_targetILNS1_3genE8ELNS1_11target_archE1030ELNS1_3gpuE2ELNS1_3repE0EEENS1_52radix_sort_onesweep_histogram_config_static_selectorELNS0_4arch9wavefront6targetE1EEEvSE_
                                        ; -- End function
	.set _ZN7rocprim17ROCPRIM_400000_NS6detail17trampoline_kernelINS0_14default_configENS1_35radix_sort_onesweep_config_selectorIllEEZNS1_34radix_sort_onesweep_global_offsetsIS3_Lb0EPlN6thrust23THRUST_200600_302600_NS10device_ptrIlEEjNS0_19identity_decomposerEEE10hipError_tT1_T2_PT3_SG_jT4_jjP12ihipStream_tbEUlT_E_NS1_11comp_targetILNS1_3genE8ELNS1_11target_archE1030ELNS1_3gpuE2ELNS1_3repE0EEENS1_52radix_sort_onesweep_histogram_config_static_selectorELNS0_4arch9wavefront6targetE1EEEvSE_.num_vgpr, 0
	.set _ZN7rocprim17ROCPRIM_400000_NS6detail17trampoline_kernelINS0_14default_configENS1_35radix_sort_onesweep_config_selectorIllEEZNS1_34radix_sort_onesweep_global_offsetsIS3_Lb0EPlN6thrust23THRUST_200600_302600_NS10device_ptrIlEEjNS0_19identity_decomposerEEE10hipError_tT1_T2_PT3_SG_jT4_jjP12ihipStream_tbEUlT_E_NS1_11comp_targetILNS1_3genE8ELNS1_11target_archE1030ELNS1_3gpuE2ELNS1_3repE0EEENS1_52radix_sort_onesweep_histogram_config_static_selectorELNS0_4arch9wavefront6targetE1EEEvSE_.num_agpr, 0
	.set _ZN7rocprim17ROCPRIM_400000_NS6detail17trampoline_kernelINS0_14default_configENS1_35radix_sort_onesweep_config_selectorIllEEZNS1_34radix_sort_onesweep_global_offsetsIS3_Lb0EPlN6thrust23THRUST_200600_302600_NS10device_ptrIlEEjNS0_19identity_decomposerEEE10hipError_tT1_T2_PT3_SG_jT4_jjP12ihipStream_tbEUlT_E_NS1_11comp_targetILNS1_3genE8ELNS1_11target_archE1030ELNS1_3gpuE2ELNS1_3repE0EEENS1_52radix_sort_onesweep_histogram_config_static_selectorELNS0_4arch9wavefront6targetE1EEEvSE_.numbered_sgpr, 0
	.set _ZN7rocprim17ROCPRIM_400000_NS6detail17trampoline_kernelINS0_14default_configENS1_35radix_sort_onesweep_config_selectorIllEEZNS1_34radix_sort_onesweep_global_offsetsIS3_Lb0EPlN6thrust23THRUST_200600_302600_NS10device_ptrIlEEjNS0_19identity_decomposerEEE10hipError_tT1_T2_PT3_SG_jT4_jjP12ihipStream_tbEUlT_E_NS1_11comp_targetILNS1_3genE8ELNS1_11target_archE1030ELNS1_3gpuE2ELNS1_3repE0EEENS1_52radix_sort_onesweep_histogram_config_static_selectorELNS0_4arch9wavefront6targetE1EEEvSE_.num_named_barrier, 0
	.set _ZN7rocprim17ROCPRIM_400000_NS6detail17trampoline_kernelINS0_14default_configENS1_35radix_sort_onesweep_config_selectorIllEEZNS1_34radix_sort_onesweep_global_offsetsIS3_Lb0EPlN6thrust23THRUST_200600_302600_NS10device_ptrIlEEjNS0_19identity_decomposerEEE10hipError_tT1_T2_PT3_SG_jT4_jjP12ihipStream_tbEUlT_E_NS1_11comp_targetILNS1_3genE8ELNS1_11target_archE1030ELNS1_3gpuE2ELNS1_3repE0EEENS1_52radix_sort_onesweep_histogram_config_static_selectorELNS0_4arch9wavefront6targetE1EEEvSE_.private_seg_size, 0
	.set _ZN7rocprim17ROCPRIM_400000_NS6detail17trampoline_kernelINS0_14default_configENS1_35radix_sort_onesweep_config_selectorIllEEZNS1_34radix_sort_onesweep_global_offsetsIS3_Lb0EPlN6thrust23THRUST_200600_302600_NS10device_ptrIlEEjNS0_19identity_decomposerEEE10hipError_tT1_T2_PT3_SG_jT4_jjP12ihipStream_tbEUlT_E_NS1_11comp_targetILNS1_3genE8ELNS1_11target_archE1030ELNS1_3gpuE2ELNS1_3repE0EEENS1_52radix_sort_onesweep_histogram_config_static_selectorELNS0_4arch9wavefront6targetE1EEEvSE_.uses_vcc, 0
	.set _ZN7rocprim17ROCPRIM_400000_NS6detail17trampoline_kernelINS0_14default_configENS1_35radix_sort_onesweep_config_selectorIllEEZNS1_34radix_sort_onesweep_global_offsetsIS3_Lb0EPlN6thrust23THRUST_200600_302600_NS10device_ptrIlEEjNS0_19identity_decomposerEEE10hipError_tT1_T2_PT3_SG_jT4_jjP12ihipStream_tbEUlT_E_NS1_11comp_targetILNS1_3genE8ELNS1_11target_archE1030ELNS1_3gpuE2ELNS1_3repE0EEENS1_52radix_sort_onesweep_histogram_config_static_selectorELNS0_4arch9wavefront6targetE1EEEvSE_.uses_flat_scratch, 0
	.set _ZN7rocprim17ROCPRIM_400000_NS6detail17trampoline_kernelINS0_14default_configENS1_35radix_sort_onesweep_config_selectorIllEEZNS1_34radix_sort_onesweep_global_offsetsIS3_Lb0EPlN6thrust23THRUST_200600_302600_NS10device_ptrIlEEjNS0_19identity_decomposerEEE10hipError_tT1_T2_PT3_SG_jT4_jjP12ihipStream_tbEUlT_E_NS1_11comp_targetILNS1_3genE8ELNS1_11target_archE1030ELNS1_3gpuE2ELNS1_3repE0EEENS1_52radix_sort_onesweep_histogram_config_static_selectorELNS0_4arch9wavefront6targetE1EEEvSE_.has_dyn_sized_stack, 0
	.set _ZN7rocprim17ROCPRIM_400000_NS6detail17trampoline_kernelINS0_14default_configENS1_35radix_sort_onesweep_config_selectorIllEEZNS1_34radix_sort_onesweep_global_offsetsIS3_Lb0EPlN6thrust23THRUST_200600_302600_NS10device_ptrIlEEjNS0_19identity_decomposerEEE10hipError_tT1_T2_PT3_SG_jT4_jjP12ihipStream_tbEUlT_E_NS1_11comp_targetILNS1_3genE8ELNS1_11target_archE1030ELNS1_3gpuE2ELNS1_3repE0EEENS1_52radix_sort_onesweep_histogram_config_static_selectorELNS0_4arch9wavefront6targetE1EEEvSE_.has_recursion, 0
	.set _ZN7rocprim17ROCPRIM_400000_NS6detail17trampoline_kernelINS0_14default_configENS1_35radix_sort_onesweep_config_selectorIllEEZNS1_34radix_sort_onesweep_global_offsetsIS3_Lb0EPlN6thrust23THRUST_200600_302600_NS10device_ptrIlEEjNS0_19identity_decomposerEEE10hipError_tT1_T2_PT3_SG_jT4_jjP12ihipStream_tbEUlT_E_NS1_11comp_targetILNS1_3genE8ELNS1_11target_archE1030ELNS1_3gpuE2ELNS1_3repE0EEENS1_52radix_sort_onesweep_histogram_config_static_selectorELNS0_4arch9wavefront6targetE1EEEvSE_.has_indirect_call, 0
	.section	.AMDGPU.csdata,"",@progbits
; Kernel info:
; codeLenInByte = 0
; TotalNumSgprs: 4
; NumVgprs: 0
; ScratchSize: 0
; MemoryBound: 0
; FloatMode: 240
; IeeeMode: 1
; LDSByteSize: 0 bytes/workgroup (compile time only)
; SGPRBlocks: 0
; VGPRBlocks: 0
; NumSGPRsForWavesPerEU: 4
; NumVGPRsForWavesPerEU: 1
; Occupancy: 10
; WaveLimiterHint : 0
; COMPUTE_PGM_RSRC2:SCRATCH_EN: 0
; COMPUTE_PGM_RSRC2:USER_SGPR: 6
; COMPUTE_PGM_RSRC2:TRAP_HANDLER: 0
; COMPUTE_PGM_RSRC2:TGID_X_EN: 1
; COMPUTE_PGM_RSRC2:TGID_Y_EN: 0
; COMPUTE_PGM_RSRC2:TGID_Z_EN: 0
; COMPUTE_PGM_RSRC2:TIDIG_COMP_CNT: 0
	.section	.text._ZN7rocprim17ROCPRIM_400000_NS6detail17trampoline_kernelINS0_14default_configENS1_35radix_sort_onesweep_config_selectorIllEEZNS1_34radix_sort_onesweep_global_offsetsIS3_Lb0EPlN6thrust23THRUST_200600_302600_NS10device_ptrIlEEjNS0_19identity_decomposerEEE10hipError_tT1_T2_PT3_SG_jT4_jjP12ihipStream_tbEUlT_E0_NS1_11comp_targetILNS1_3genE0ELNS1_11target_archE4294967295ELNS1_3gpuE0ELNS1_3repE0EEENS1_52radix_sort_onesweep_histogram_config_static_selectorELNS0_4arch9wavefront6targetE1EEEvSE_,"axG",@progbits,_ZN7rocprim17ROCPRIM_400000_NS6detail17trampoline_kernelINS0_14default_configENS1_35radix_sort_onesweep_config_selectorIllEEZNS1_34radix_sort_onesweep_global_offsetsIS3_Lb0EPlN6thrust23THRUST_200600_302600_NS10device_ptrIlEEjNS0_19identity_decomposerEEE10hipError_tT1_T2_PT3_SG_jT4_jjP12ihipStream_tbEUlT_E0_NS1_11comp_targetILNS1_3genE0ELNS1_11target_archE4294967295ELNS1_3gpuE0ELNS1_3repE0EEENS1_52radix_sort_onesweep_histogram_config_static_selectorELNS0_4arch9wavefront6targetE1EEEvSE_,comdat
	.protected	_ZN7rocprim17ROCPRIM_400000_NS6detail17trampoline_kernelINS0_14default_configENS1_35radix_sort_onesweep_config_selectorIllEEZNS1_34radix_sort_onesweep_global_offsetsIS3_Lb0EPlN6thrust23THRUST_200600_302600_NS10device_ptrIlEEjNS0_19identity_decomposerEEE10hipError_tT1_T2_PT3_SG_jT4_jjP12ihipStream_tbEUlT_E0_NS1_11comp_targetILNS1_3genE0ELNS1_11target_archE4294967295ELNS1_3gpuE0ELNS1_3repE0EEENS1_52radix_sort_onesweep_histogram_config_static_selectorELNS0_4arch9wavefront6targetE1EEEvSE_ ; -- Begin function _ZN7rocprim17ROCPRIM_400000_NS6detail17trampoline_kernelINS0_14default_configENS1_35radix_sort_onesweep_config_selectorIllEEZNS1_34radix_sort_onesweep_global_offsetsIS3_Lb0EPlN6thrust23THRUST_200600_302600_NS10device_ptrIlEEjNS0_19identity_decomposerEEE10hipError_tT1_T2_PT3_SG_jT4_jjP12ihipStream_tbEUlT_E0_NS1_11comp_targetILNS1_3genE0ELNS1_11target_archE4294967295ELNS1_3gpuE0ELNS1_3repE0EEENS1_52radix_sort_onesweep_histogram_config_static_selectorELNS0_4arch9wavefront6targetE1EEEvSE_
	.globl	_ZN7rocprim17ROCPRIM_400000_NS6detail17trampoline_kernelINS0_14default_configENS1_35radix_sort_onesweep_config_selectorIllEEZNS1_34radix_sort_onesweep_global_offsetsIS3_Lb0EPlN6thrust23THRUST_200600_302600_NS10device_ptrIlEEjNS0_19identity_decomposerEEE10hipError_tT1_T2_PT3_SG_jT4_jjP12ihipStream_tbEUlT_E0_NS1_11comp_targetILNS1_3genE0ELNS1_11target_archE4294967295ELNS1_3gpuE0ELNS1_3repE0EEENS1_52radix_sort_onesweep_histogram_config_static_selectorELNS0_4arch9wavefront6targetE1EEEvSE_
	.p2align	8
	.type	_ZN7rocprim17ROCPRIM_400000_NS6detail17trampoline_kernelINS0_14default_configENS1_35radix_sort_onesweep_config_selectorIllEEZNS1_34radix_sort_onesweep_global_offsetsIS3_Lb0EPlN6thrust23THRUST_200600_302600_NS10device_ptrIlEEjNS0_19identity_decomposerEEE10hipError_tT1_T2_PT3_SG_jT4_jjP12ihipStream_tbEUlT_E0_NS1_11comp_targetILNS1_3genE0ELNS1_11target_archE4294967295ELNS1_3gpuE0ELNS1_3repE0EEENS1_52radix_sort_onesweep_histogram_config_static_selectorELNS0_4arch9wavefront6targetE1EEEvSE_,@function
_ZN7rocprim17ROCPRIM_400000_NS6detail17trampoline_kernelINS0_14default_configENS1_35radix_sort_onesweep_config_selectorIllEEZNS1_34radix_sort_onesweep_global_offsetsIS3_Lb0EPlN6thrust23THRUST_200600_302600_NS10device_ptrIlEEjNS0_19identity_decomposerEEE10hipError_tT1_T2_PT3_SG_jT4_jjP12ihipStream_tbEUlT_E0_NS1_11comp_targetILNS1_3genE0ELNS1_11target_archE4294967295ELNS1_3gpuE0ELNS1_3repE0EEENS1_52radix_sort_onesweep_histogram_config_static_selectorELNS0_4arch9wavefront6targetE1EEEvSE_: ; @_ZN7rocprim17ROCPRIM_400000_NS6detail17trampoline_kernelINS0_14default_configENS1_35radix_sort_onesweep_config_selectorIllEEZNS1_34radix_sort_onesweep_global_offsetsIS3_Lb0EPlN6thrust23THRUST_200600_302600_NS10device_ptrIlEEjNS0_19identity_decomposerEEE10hipError_tT1_T2_PT3_SG_jT4_jjP12ihipStream_tbEUlT_E0_NS1_11comp_targetILNS1_3genE0ELNS1_11target_archE4294967295ELNS1_3gpuE0ELNS1_3repE0EEENS1_52radix_sort_onesweep_histogram_config_static_selectorELNS0_4arch9wavefront6targetE1EEEvSE_
; %bb.0:
	.section	.rodata,"a",@progbits
	.p2align	6, 0x0
	.amdhsa_kernel _ZN7rocprim17ROCPRIM_400000_NS6detail17trampoline_kernelINS0_14default_configENS1_35radix_sort_onesweep_config_selectorIllEEZNS1_34radix_sort_onesweep_global_offsetsIS3_Lb0EPlN6thrust23THRUST_200600_302600_NS10device_ptrIlEEjNS0_19identity_decomposerEEE10hipError_tT1_T2_PT3_SG_jT4_jjP12ihipStream_tbEUlT_E0_NS1_11comp_targetILNS1_3genE0ELNS1_11target_archE4294967295ELNS1_3gpuE0ELNS1_3repE0EEENS1_52radix_sort_onesweep_histogram_config_static_selectorELNS0_4arch9wavefront6targetE1EEEvSE_
		.amdhsa_group_segment_fixed_size 0
		.amdhsa_private_segment_fixed_size 0
		.amdhsa_kernarg_size 8
		.amdhsa_user_sgpr_count 6
		.amdhsa_user_sgpr_private_segment_buffer 1
		.amdhsa_user_sgpr_dispatch_ptr 0
		.amdhsa_user_sgpr_queue_ptr 0
		.amdhsa_user_sgpr_kernarg_segment_ptr 1
		.amdhsa_user_sgpr_dispatch_id 0
		.amdhsa_user_sgpr_flat_scratch_init 0
		.amdhsa_user_sgpr_private_segment_size 0
		.amdhsa_uses_dynamic_stack 0
		.amdhsa_system_sgpr_private_segment_wavefront_offset 0
		.amdhsa_system_sgpr_workgroup_id_x 1
		.amdhsa_system_sgpr_workgroup_id_y 0
		.amdhsa_system_sgpr_workgroup_id_z 0
		.amdhsa_system_sgpr_workgroup_info 0
		.amdhsa_system_vgpr_workitem_id 0
		.amdhsa_next_free_vgpr 1
		.amdhsa_next_free_sgpr 0
		.amdhsa_reserve_vcc 0
		.amdhsa_reserve_flat_scratch 0
		.amdhsa_float_round_mode_32 0
		.amdhsa_float_round_mode_16_64 0
		.amdhsa_float_denorm_mode_32 3
		.amdhsa_float_denorm_mode_16_64 3
		.amdhsa_dx10_clamp 1
		.amdhsa_ieee_mode 1
		.amdhsa_fp16_overflow 0
		.amdhsa_exception_fp_ieee_invalid_op 0
		.amdhsa_exception_fp_denorm_src 0
		.amdhsa_exception_fp_ieee_div_zero 0
		.amdhsa_exception_fp_ieee_overflow 0
		.amdhsa_exception_fp_ieee_underflow 0
		.amdhsa_exception_fp_ieee_inexact 0
		.amdhsa_exception_int_div_zero 0
	.end_amdhsa_kernel
	.section	.text._ZN7rocprim17ROCPRIM_400000_NS6detail17trampoline_kernelINS0_14default_configENS1_35radix_sort_onesweep_config_selectorIllEEZNS1_34radix_sort_onesweep_global_offsetsIS3_Lb0EPlN6thrust23THRUST_200600_302600_NS10device_ptrIlEEjNS0_19identity_decomposerEEE10hipError_tT1_T2_PT3_SG_jT4_jjP12ihipStream_tbEUlT_E0_NS1_11comp_targetILNS1_3genE0ELNS1_11target_archE4294967295ELNS1_3gpuE0ELNS1_3repE0EEENS1_52radix_sort_onesweep_histogram_config_static_selectorELNS0_4arch9wavefront6targetE1EEEvSE_,"axG",@progbits,_ZN7rocprim17ROCPRIM_400000_NS6detail17trampoline_kernelINS0_14default_configENS1_35radix_sort_onesweep_config_selectorIllEEZNS1_34radix_sort_onesweep_global_offsetsIS3_Lb0EPlN6thrust23THRUST_200600_302600_NS10device_ptrIlEEjNS0_19identity_decomposerEEE10hipError_tT1_T2_PT3_SG_jT4_jjP12ihipStream_tbEUlT_E0_NS1_11comp_targetILNS1_3genE0ELNS1_11target_archE4294967295ELNS1_3gpuE0ELNS1_3repE0EEENS1_52radix_sort_onesweep_histogram_config_static_selectorELNS0_4arch9wavefront6targetE1EEEvSE_,comdat
.Lfunc_end1123:
	.size	_ZN7rocprim17ROCPRIM_400000_NS6detail17trampoline_kernelINS0_14default_configENS1_35radix_sort_onesweep_config_selectorIllEEZNS1_34radix_sort_onesweep_global_offsetsIS3_Lb0EPlN6thrust23THRUST_200600_302600_NS10device_ptrIlEEjNS0_19identity_decomposerEEE10hipError_tT1_T2_PT3_SG_jT4_jjP12ihipStream_tbEUlT_E0_NS1_11comp_targetILNS1_3genE0ELNS1_11target_archE4294967295ELNS1_3gpuE0ELNS1_3repE0EEENS1_52radix_sort_onesweep_histogram_config_static_selectorELNS0_4arch9wavefront6targetE1EEEvSE_, .Lfunc_end1123-_ZN7rocprim17ROCPRIM_400000_NS6detail17trampoline_kernelINS0_14default_configENS1_35radix_sort_onesweep_config_selectorIllEEZNS1_34radix_sort_onesweep_global_offsetsIS3_Lb0EPlN6thrust23THRUST_200600_302600_NS10device_ptrIlEEjNS0_19identity_decomposerEEE10hipError_tT1_T2_PT3_SG_jT4_jjP12ihipStream_tbEUlT_E0_NS1_11comp_targetILNS1_3genE0ELNS1_11target_archE4294967295ELNS1_3gpuE0ELNS1_3repE0EEENS1_52radix_sort_onesweep_histogram_config_static_selectorELNS0_4arch9wavefront6targetE1EEEvSE_
                                        ; -- End function
	.set _ZN7rocprim17ROCPRIM_400000_NS6detail17trampoline_kernelINS0_14default_configENS1_35radix_sort_onesweep_config_selectorIllEEZNS1_34radix_sort_onesweep_global_offsetsIS3_Lb0EPlN6thrust23THRUST_200600_302600_NS10device_ptrIlEEjNS0_19identity_decomposerEEE10hipError_tT1_T2_PT3_SG_jT4_jjP12ihipStream_tbEUlT_E0_NS1_11comp_targetILNS1_3genE0ELNS1_11target_archE4294967295ELNS1_3gpuE0ELNS1_3repE0EEENS1_52radix_sort_onesweep_histogram_config_static_selectorELNS0_4arch9wavefront6targetE1EEEvSE_.num_vgpr, 0
	.set _ZN7rocprim17ROCPRIM_400000_NS6detail17trampoline_kernelINS0_14default_configENS1_35radix_sort_onesweep_config_selectorIllEEZNS1_34radix_sort_onesweep_global_offsetsIS3_Lb0EPlN6thrust23THRUST_200600_302600_NS10device_ptrIlEEjNS0_19identity_decomposerEEE10hipError_tT1_T2_PT3_SG_jT4_jjP12ihipStream_tbEUlT_E0_NS1_11comp_targetILNS1_3genE0ELNS1_11target_archE4294967295ELNS1_3gpuE0ELNS1_3repE0EEENS1_52radix_sort_onesweep_histogram_config_static_selectorELNS0_4arch9wavefront6targetE1EEEvSE_.num_agpr, 0
	.set _ZN7rocprim17ROCPRIM_400000_NS6detail17trampoline_kernelINS0_14default_configENS1_35radix_sort_onesweep_config_selectorIllEEZNS1_34radix_sort_onesweep_global_offsetsIS3_Lb0EPlN6thrust23THRUST_200600_302600_NS10device_ptrIlEEjNS0_19identity_decomposerEEE10hipError_tT1_T2_PT3_SG_jT4_jjP12ihipStream_tbEUlT_E0_NS1_11comp_targetILNS1_3genE0ELNS1_11target_archE4294967295ELNS1_3gpuE0ELNS1_3repE0EEENS1_52radix_sort_onesweep_histogram_config_static_selectorELNS0_4arch9wavefront6targetE1EEEvSE_.numbered_sgpr, 0
	.set _ZN7rocprim17ROCPRIM_400000_NS6detail17trampoline_kernelINS0_14default_configENS1_35radix_sort_onesweep_config_selectorIllEEZNS1_34radix_sort_onesweep_global_offsetsIS3_Lb0EPlN6thrust23THRUST_200600_302600_NS10device_ptrIlEEjNS0_19identity_decomposerEEE10hipError_tT1_T2_PT3_SG_jT4_jjP12ihipStream_tbEUlT_E0_NS1_11comp_targetILNS1_3genE0ELNS1_11target_archE4294967295ELNS1_3gpuE0ELNS1_3repE0EEENS1_52radix_sort_onesweep_histogram_config_static_selectorELNS0_4arch9wavefront6targetE1EEEvSE_.num_named_barrier, 0
	.set _ZN7rocprim17ROCPRIM_400000_NS6detail17trampoline_kernelINS0_14default_configENS1_35radix_sort_onesweep_config_selectorIllEEZNS1_34radix_sort_onesweep_global_offsetsIS3_Lb0EPlN6thrust23THRUST_200600_302600_NS10device_ptrIlEEjNS0_19identity_decomposerEEE10hipError_tT1_T2_PT3_SG_jT4_jjP12ihipStream_tbEUlT_E0_NS1_11comp_targetILNS1_3genE0ELNS1_11target_archE4294967295ELNS1_3gpuE0ELNS1_3repE0EEENS1_52radix_sort_onesweep_histogram_config_static_selectorELNS0_4arch9wavefront6targetE1EEEvSE_.private_seg_size, 0
	.set _ZN7rocprim17ROCPRIM_400000_NS6detail17trampoline_kernelINS0_14default_configENS1_35radix_sort_onesweep_config_selectorIllEEZNS1_34radix_sort_onesweep_global_offsetsIS3_Lb0EPlN6thrust23THRUST_200600_302600_NS10device_ptrIlEEjNS0_19identity_decomposerEEE10hipError_tT1_T2_PT3_SG_jT4_jjP12ihipStream_tbEUlT_E0_NS1_11comp_targetILNS1_3genE0ELNS1_11target_archE4294967295ELNS1_3gpuE0ELNS1_3repE0EEENS1_52radix_sort_onesweep_histogram_config_static_selectorELNS0_4arch9wavefront6targetE1EEEvSE_.uses_vcc, 0
	.set _ZN7rocprim17ROCPRIM_400000_NS6detail17trampoline_kernelINS0_14default_configENS1_35radix_sort_onesweep_config_selectorIllEEZNS1_34radix_sort_onesweep_global_offsetsIS3_Lb0EPlN6thrust23THRUST_200600_302600_NS10device_ptrIlEEjNS0_19identity_decomposerEEE10hipError_tT1_T2_PT3_SG_jT4_jjP12ihipStream_tbEUlT_E0_NS1_11comp_targetILNS1_3genE0ELNS1_11target_archE4294967295ELNS1_3gpuE0ELNS1_3repE0EEENS1_52radix_sort_onesweep_histogram_config_static_selectorELNS0_4arch9wavefront6targetE1EEEvSE_.uses_flat_scratch, 0
	.set _ZN7rocprim17ROCPRIM_400000_NS6detail17trampoline_kernelINS0_14default_configENS1_35radix_sort_onesweep_config_selectorIllEEZNS1_34radix_sort_onesweep_global_offsetsIS3_Lb0EPlN6thrust23THRUST_200600_302600_NS10device_ptrIlEEjNS0_19identity_decomposerEEE10hipError_tT1_T2_PT3_SG_jT4_jjP12ihipStream_tbEUlT_E0_NS1_11comp_targetILNS1_3genE0ELNS1_11target_archE4294967295ELNS1_3gpuE0ELNS1_3repE0EEENS1_52radix_sort_onesweep_histogram_config_static_selectorELNS0_4arch9wavefront6targetE1EEEvSE_.has_dyn_sized_stack, 0
	.set _ZN7rocprim17ROCPRIM_400000_NS6detail17trampoline_kernelINS0_14default_configENS1_35radix_sort_onesweep_config_selectorIllEEZNS1_34radix_sort_onesweep_global_offsetsIS3_Lb0EPlN6thrust23THRUST_200600_302600_NS10device_ptrIlEEjNS0_19identity_decomposerEEE10hipError_tT1_T2_PT3_SG_jT4_jjP12ihipStream_tbEUlT_E0_NS1_11comp_targetILNS1_3genE0ELNS1_11target_archE4294967295ELNS1_3gpuE0ELNS1_3repE0EEENS1_52radix_sort_onesweep_histogram_config_static_selectorELNS0_4arch9wavefront6targetE1EEEvSE_.has_recursion, 0
	.set _ZN7rocprim17ROCPRIM_400000_NS6detail17trampoline_kernelINS0_14default_configENS1_35radix_sort_onesweep_config_selectorIllEEZNS1_34radix_sort_onesweep_global_offsetsIS3_Lb0EPlN6thrust23THRUST_200600_302600_NS10device_ptrIlEEjNS0_19identity_decomposerEEE10hipError_tT1_T2_PT3_SG_jT4_jjP12ihipStream_tbEUlT_E0_NS1_11comp_targetILNS1_3genE0ELNS1_11target_archE4294967295ELNS1_3gpuE0ELNS1_3repE0EEENS1_52radix_sort_onesweep_histogram_config_static_selectorELNS0_4arch9wavefront6targetE1EEEvSE_.has_indirect_call, 0
	.section	.AMDGPU.csdata,"",@progbits
; Kernel info:
; codeLenInByte = 0
; TotalNumSgprs: 4
; NumVgprs: 0
; ScratchSize: 0
; MemoryBound: 0
; FloatMode: 240
; IeeeMode: 1
; LDSByteSize: 0 bytes/workgroup (compile time only)
; SGPRBlocks: 0
; VGPRBlocks: 0
; NumSGPRsForWavesPerEU: 4
; NumVGPRsForWavesPerEU: 1
; Occupancy: 10
; WaveLimiterHint : 0
; COMPUTE_PGM_RSRC2:SCRATCH_EN: 0
; COMPUTE_PGM_RSRC2:USER_SGPR: 6
; COMPUTE_PGM_RSRC2:TRAP_HANDLER: 0
; COMPUTE_PGM_RSRC2:TGID_X_EN: 1
; COMPUTE_PGM_RSRC2:TGID_Y_EN: 0
; COMPUTE_PGM_RSRC2:TGID_Z_EN: 0
; COMPUTE_PGM_RSRC2:TIDIG_COMP_CNT: 0
	.section	.text._ZN7rocprim17ROCPRIM_400000_NS6detail17trampoline_kernelINS0_14default_configENS1_35radix_sort_onesweep_config_selectorIllEEZNS1_34radix_sort_onesweep_global_offsetsIS3_Lb0EPlN6thrust23THRUST_200600_302600_NS10device_ptrIlEEjNS0_19identity_decomposerEEE10hipError_tT1_T2_PT3_SG_jT4_jjP12ihipStream_tbEUlT_E0_NS1_11comp_targetILNS1_3genE6ELNS1_11target_archE950ELNS1_3gpuE13ELNS1_3repE0EEENS1_52radix_sort_onesweep_histogram_config_static_selectorELNS0_4arch9wavefront6targetE1EEEvSE_,"axG",@progbits,_ZN7rocprim17ROCPRIM_400000_NS6detail17trampoline_kernelINS0_14default_configENS1_35radix_sort_onesweep_config_selectorIllEEZNS1_34radix_sort_onesweep_global_offsetsIS3_Lb0EPlN6thrust23THRUST_200600_302600_NS10device_ptrIlEEjNS0_19identity_decomposerEEE10hipError_tT1_T2_PT3_SG_jT4_jjP12ihipStream_tbEUlT_E0_NS1_11comp_targetILNS1_3genE6ELNS1_11target_archE950ELNS1_3gpuE13ELNS1_3repE0EEENS1_52radix_sort_onesweep_histogram_config_static_selectorELNS0_4arch9wavefront6targetE1EEEvSE_,comdat
	.protected	_ZN7rocprim17ROCPRIM_400000_NS6detail17trampoline_kernelINS0_14default_configENS1_35radix_sort_onesweep_config_selectorIllEEZNS1_34radix_sort_onesweep_global_offsetsIS3_Lb0EPlN6thrust23THRUST_200600_302600_NS10device_ptrIlEEjNS0_19identity_decomposerEEE10hipError_tT1_T2_PT3_SG_jT4_jjP12ihipStream_tbEUlT_E0_NS1_11comp_targetILNS1_3genE6ELNS1_11target_archE950ELNS1_3gpuE13ELNS1_3repE0EEENS1_52radix_sort_onesweep_histogram_config_static_selectorELNS0_4arch9wavefront6targetE1EEEvSE_ ; -- Begin function _ZN7rocprim17ROCPRIM_400000_NS6detail17trampoline_kernelINS0_14default_configENS1_35radix_sort_onesweep_config_selectorIllEEZNS1_34radix_sort_onesweep_global_offsetsIS3_Lb0EPlN6thrust23THRUST_200600_302600_NS10device_ptrIlEEjNS0_19identity_decomposerEEE10hipError_tT1_T2_PT3_SG_jT4_jjP12ihipStream_tbEUlT_E0_NS1_11comp_targetILNS1_3genE6ELNS1_11target_archE950ELNS1_3gpuE13ELNS1_3repE0EEENS1_52radix_sort_onesweep_histogram_config_static_selectorELNS0_4arch9wavefront6targetE1EEEvSE_
	.globl	_ZN7rocprim17ROCPRIM_400000_NS6detail17trampoline_kernelINS0_14default_configENS1_35radix_sort_onesweep_config_selectorIllEEZNS1_34radix_sort_onesweep_global_offsetsIS3_Lb0EPlN6thrust23THRUST_200600_302600_NS10device_ptrIlEEjNS0_19identity_decomposerEEE10hipError_tT1_T2_PT3_SG_jT4_jjP12ihipStream_tbEUlT_E0_NS1_11comp_targetILNS1_3genE6ELNS1_11target_archE950ELNS1_3gpuE13ELNS1_3repE0EEENS1_52radix_sort_onesweep_histogram_config_static_selectorELNS0_4arch9wavefront6targetE1EEEvSE_
	.p2align	8
	.type	_ZN7rocprim17ROCPRIM_400000_NS6detail17trampoline_kernelINS0_14default_configENS1_35radix_sort_onesweep_config_selectorIllEEZNS1_34radix_sort_onesweep_global_offsetsIS3_Lb0EPlN6thrust23THRUST_200600_302600_NS10device_ptrIlEEjNS0_19identity_decomposerEEE10hipError_tT1_T2_PT3_SG_jT4_jjP12ihipStream_tbEUlT_E0_NS1_11comp_targetILNS1_3genE6ELNS1_11target_archE950ELNS1_3gpuE13ELNS1_3repE0EEENS1_52radix_sort_onesweep_histogram_config_static_selectorELNS0_4arch9wavefront6targetE1EEEvSE_,@function
_ZN7rocprim17ROCPRIM_400000_NS6detail17trampoline_kernelINS0_14default_configENS1_35radix_sort_onesweep_config_selectorIllEEZNS1_34radix_sort_onesweep_global_offsetsIS3_Lb0EPlN6thrust23THRUST_200600_302600_NS10device_ptrIlEEjNS0_19identity_decomposerEEE10hipError_tT1_T2_PT3_SG_jT4_jjP12ihipStream_tbEUlT_E0_NS1_11comp_targetILNS1_3genE6ELNS1_11target_archE950ELNS1_3gpuE13ELNS1_3repE0EEENS1_52radix_sort_onesweep_histogram_config_static_selectorELNS0_4arch9wavefront6targetE1EEEvSE_: ; @_ZN7rocprim17ROCPRIM_400000_NS6detail17trampoline_kernelINS0_14default_configENS1_35radix_sort_onesweep_config_selectorIllEEZNS1_34radix_sort_onesweep_global_offsetsIS3_Lb0EPlN6thrust23THRUST_200600_302600_NS10device_ptrIlEEjNS0_19identity_decomposerEEE10hipError_tT1_T2_PT3_SG_jT4_jjP12ihipStream_tbEUlT_E0_NS1_11comp_targetILNS1_3genE6ELNS1_11target_archE950ELNS1_3gpuE13ELNS1_3repE0EEENS1_52radix_sort_onesweep_histogram_config_static_selectorELNS0_4arch9wavefront6targetE1EEEvSE_
; %bb.0:
	.section	.rodata,"a",@progbits
	.p2align	6, 0x0
	.amdhsa_kernel _ZN7rocprim17ROCPRIM_400000_NS6detail17trampoline_kernelINS0_14default_configENS1_35radix_sort_onesweep_config_selectorIllEEZNS1_34radix_sort_onesweep_global_offsetsIS3_Lb0EPlN6thrust23THRUST_200600_302600_NS10device_ptrIlEEjNS0_19identity_decomposerEEE10hipError_tT1_T2_PT3_SG_jT4_jjP12ihipStream_tbEUlT_E0_NS1_11comp_targetILNS1_3genE6ELNS1_11target_archE950ELNS1_3gpuE13ELNS1_3repE0EEENS1_52radix_sort_onesweep_histogram_config_static_selectorELNS0_4arch9wavefront6targetE1EEEvSE_
		.amdhsa_group_segment_fixed_size 0
		.amdhsa_private_segment_fixed_size 0
		.amdhsa_kernarg_size 8
		.amdhsa_user_sgpr_count 6
		.amdhsa_user_sgpr_private_segment_buffer 1
		.amdhsa_user_sgpr_dispatch_ptr 0
		.amdhsa_user_sgpr_queue_ptr 0
		.amdhsa_user_sgpr_kernarg_segment_ptr 1
		.amdhsa_user_sgpr_dispatch_id 0
		.amdhsa_user_sgpr_flat_scratch_init 0
		.amdhsa_user_sgpr_private_segment_size 0
		.amdhsa_uses_dynamic_stack 0
		.amdhsa_system_sgpr_private_segment_wavefront_offset 0
		.amdhsa_system_sgpr_workgroup_id_x 1
		.amdhsa_system_sgpr_workgroup_id_y 0
		.amdhsa_system_sgpr_workgroup_id_z 0
		.amdhsa_system_sgpr_workgroup_info 0
		.amdhsa_system_vgpr_workitem_id 0
		.amdhsa_next_free_vgpr 1
		.amdhsa_next_free_sgpr 0
		.amdhsa_reserve_vcc 0
		.amdhsa_reserve_flat_scratch 0
		.amdhsa_float_round_mode_32 0
		.amdhsa_float_round_mode_16_64 0
		.amdhsa_float_denorm_mode_32 3
		.amdhsa_float_denorm_mode_16_64 3
		.amdhsa_dx10_clamp 1
		.amdhsa_ieee_mode 1
		.amdhsa_fp16_overflow 0
		.amdhsa_exception_fp_ieee_invalid_op 0
		.amdhsa_exception_fp_denorm_src 0
		.amdhsa_exception_fp_ieee_div_zero 0
		.amdhsa_exception_fp_ieee_overflow 0
		.amdhsa_exception_fp_ieee_underflow 0
		.amdhsa_exception_fp_ieee_inexact 0
		.amdhsa_exception_int_div_zero 0
	.end_amdhsa_kernel
	.section	.text._ZN7rocprim17ROCPRIM_400000_NS6detail17trampoline_kernelINS0_14default_configENS1_35radix_sort_onesweep_config_selectorIllEEZNS1_34radix_sort_onesweep_global_offsetsIS3_Lb0EPlN6thrust23THRUST_200600_302600_NS10device_ptrIlEEjNS0_19identity_decomposerEEE10hipError_tT1_T2_PT3_SG_jT4_jjP12ihipStream_tbEUlT_E0_NS1_11comp_targetILNS1_3genE6ELNS1_11target_archE950ELNS1_3gpuE13ELNS1_3repE0EEENS1_52radix_sort_onesweep_histogram_config_static_selectorELNS0_4arch9wavefront6targetE1EEEvSE_,"axG",@progbits,_ZN7rocprim17ROCPRIM_400000_NS6detail17trampoline_kernelINS0_14default_configENS1_35radix_sort_onesweep_config_selectorIllEEZNS1_34radix_sort_onesweep_global_offsetsIS3_Lb0EPlN6thrust23THRUST_200600_302600_NS10device_ptrIlEEjNS0_19identity_decomposerEEE10hipError_tT1_T2_PT3_SG_jT4_jjP12ihipStream_tbEUlT_E0_NS1_11comp_targetILNS1_3genE6ELNS1_11target_archE950ELNS1_3gpuE13ELNS1_3repE0EEENS1_52radix_sort_onesweep_histogram_config_static_selectorELNS0_4arch9wavefront6targetE1EEEvSE_,comdat
.Lfunc_end1124:
	.size	_ZN7rocprim17ROCPRIM_400000_NS6detail17trampoline_kernelINS0_14default_configENS1_35radix_sort_onesweep_config_selectorIllEEZNS1_34radix_sort_onesweep_global_offsetsIS3_Lb0EPlN6thrust23THRUST_200600_302600_NS10device_ptrIlEEjNS0_19identity_decomposerEEE10hipError_tT1_T2_PT3_SG_jT4_jjP12ihipStream_tbEUlT_E0_NS1_11comp_targetILNS1_3genE6ELNS1_11target_archE950ELNS1_3gpuE13ELNS1_3repE0EEENS1_52radix_sort_onesweep_histogram_config_static_selectorELNS0_4arch9wavefront6targetE1EEEvSE_, .Lfunc_end1124-_ZN7rocprim17ROCPRIM_400000_NS6detail17trampoline_kernelINS0_14default_configENS1_35radix_sort_onesweep_config_selectorIllEEZNS1_34radix_sort_onesweep_global_offsetsIS3_Lb0EPlN6thrust23THRUST_200600_302600_NS10device_ptrIlEEjNS0_19identity_decomposerEEE10hipError_tT1_T2_PT3_SG_jT4_jjP12ihipStream_tbEUlT_E0_NS1_11comp_targetILNS1_3genE6ELNS1_11target_archE950ELNS1_3gpuE13ELNS1_3repE0EEENS1_52radix_sort_onesweep_histogram_config_static_selectorELNS0_4arch9wavefront6targetE1EEEvSE_
                                        ; -- End function
	.set _ZN7rocprim17ROCPRIM_400000_NS6detail17trampoline_kernelINS0_14default_configENS1_35radix_sort_onesweep_config_selectorIllEEZNS1_34radix_sort_onesweep_global_offsetsIS3_Lb0EPlN6thrust23THRUST_200600_302600_NS10device_ptrIlEEjNS0_19identity_decomposerEEE10hipError_tT1_T2_PT3_SG_jT4_jjP12ihipStream_tbEUlT_E0_NS1_11comp_targetILNS1_3genE6ELNS1_11target_archE950ELNS1_3gpuE13ELNS1_3repE0EEENS1_52radix_sort_onesweep_histogram_config_static_selectorELNS0_4arch9wavefront6targetE1EEEvSE_.num_vgpr, 0
	.set _ZN7rocprim17ROCPRIM_400000_NS6detail17trampoline_kernelINS0_14default_configENS1_35radix_sort_onesweep_config_selectorIllEEZNS1_34radix_sort_onesweep_global_offsetsIS3_Lb0EPlN6thrust23THRUST_200600_302600_NS10device_ptrIlEEjNS0_19identity_decomposerEEE10hipError_tT1_T2_PT3_SG_jT4_jjP12ihipStream_tbEUlT_E0_NS1_11comp_targetILNS1_3genE6ELNS1_11target_archE950ELNS1_3gpuE13ELNS1_3repE0EEENS1_52radix_sort_onesweep_histogram_config_static_selectorELNS0_4arch9wavefront6targetE1EEEvSE_.num_agpr, 0
	.set _ZN7rocprim17ROCPRIM_400000_NS6detail17trampoline_kernelINS0_14default_configENS1_35radix_sort_onesweep_config_selectorIllEEZNS1_34radix_sort_onesweep_global_offsetsIS3_Lb0EPlN6thrust23THRUST_200600_302600_NS10device_ptrIlEEjNS0_19identity_decomposerEEE10hipError_tT1_T2_PT3_SG_jT4_jjP12ihipStream_tbEUlT_E0_NS1_11comp_targetILNS1_3genE6ELNS1_11target_archE950ELNS1_3gpuE13ELNS1_3repE0EEENS1_52radix_sort_onesweep_histogram_config_static_selectorELNS0_4arch9wavefront6targetE1EEEvSE_.numbered_sgpr, 0
	.set _ZN7rocprim17ROCPRIM_400000_NS6detail17trampoline_kernelINS0_14default_configENS1_35radix_sort_onesweep_config_selectorIllEEZNS1_34radix_sort_onesweep_global_offsetsIS3_Lb0EPlN6thrust23THRUST_200600_302600_NS10device_ptrIlEEjNS0_19identity_decomposerEEE10hipError_tT1_T2_PT3_SG_jT4_jjP12ihipStream_tbEUlT_E0_NS1_11comp_targetILNS1_3genE6ELNS1_11target_archE950ELNS1_3gpuE13ELNS1_3repE0EEENS1_52radix_sort_onesweep_histogram_config_static_selectorELNS0_4arch9wavefront6targetE1EEEvSE_.num_named_barrier, 0
	.set _ZN7rocprim17ROCPRIM_400000_NS6detail17trampoline_kernelINS0_14default_configENS1_35radix_sort_onesweep_config_selectorIllEEZNS1_34radix_sort_onesweep_global_offsetsIS3_Lb0EPlN6thrust23THRUST_200600_302600_NS10device_ptrIlEEjNS0_19identity_decomposerEEE10hipError_tT1_T2_PT3_SG_jT4_jjP12ihipStream_tbEUlT_E0_NS1_11comp_targetILNS1_3genE6ELNS1_11target_archE950ELNS1_3gpuE13ELNS1_3repE0EEENS1_52radix_sort_onesweep_histogram_config_static_selectorELNS0_4arch9wavefront6targetE1EEEvSE_.private_seg_size, 0
	.set _ZN7rocprim17ROCPRIM_400000_NS6detail17trampoline_kernelINS0_14default_configENS1_35radix_sort_onesweep_config_selectorIllEEZNS1_34radix_sort_onesweep_global_offsetsIS3_Lb0EPlN6thrust23THRUST_200600_302600_NS10device_ptrIlEEjNS0_19identity_decomposerEEE10hipError_tT1_T2_PT3_SG_jT4_jjP12ihipStream_tbEUlT_E0_NS1_11comp_targetILNS1_3genE6ELNS1_11target_archE950ELNS1_3gpuE13ELNS1_3repE0EEENS1_52radix_sort_onesweep_histogram_config_static_selectorELNS0_4arch9wavefront6targetE1EEEvSE_.uses_vcc, 0
	.set _ZN7rocprim17ROCPRIM_400000_NS6detail17trampoline_kernelINS0_14default_configENS1_35radix_sort_onesweep_config_selectorIllEEZNS1_34radix_sort_onesweep_global_offsetsIS3_Lb0EPlN6thrust23THRUST_200600_302600_NS10device_ptrIlEEjNS0_19identity_decomposerEEE10hipError_tT1_T2_PT3_SG_jT4_jjP12ihipStream_tbEUlT_E0_NS1_11comp_targetILNS1_3genE6ELNS1_11target_archE950ELNS1_3gpuE13ELNS1_3repE0EEENS1_52radix_sort_onesweep_histogram_config_static_selectorELNS0_4arch9wavefront6targetE1EEEvSE_.uses_flat_scratch, 0
	.set _ZN7rocprim17ROCPRIM_400000_NS6detail17trampoline_kernelINS0_14default_configENS1_35radix_sort_onesweep_config_selectorIllEEZNS1_34radix_sort_onesweep_global_offsetsIS3_Lb0EPlN6thrust23THRUST_200600_302600_NS10device_ptrIlEEjNS0_19identity_decomposerEEE10hipError_tT1_T2_PT3_SG_jT4_jjP12ihipStream_tbEUlT_E0_NS1_11comp_targetILNS1_3genE6ELNS1_11target_archE950ELNS1_3gpuE13ELNS1_3repE0EEENS1_52radix_sort_onesweep_histogram_config_static_selectorELNS0_4arch9wavefront6targetE1EEEvSE_.has_dyn_sized_stack, 0
	.set _ZN7rocprim17ROCPRIM_400000_NS6detail17trampoline_kernelINS0_14default_configENS1_35radix_sort_onesweep_config_selectorIllEEZNS1_34radix_sort_onesweep_global_offsetsIS3_Lb0EPlN6thrust23THRUST_200600_302600_NS10device_ptrIlEEjNS0_19identity_decomposerEEE10hipError_tT1_T2_PT3_SG_jT4_jjP12ihipStream_tbEUlT_E0_NS1_11comp_targetILNS1_3genE6ELNS1_11target_archE950ELNS1_3gpuE13ELNS1_3repE0EEENS1_52radix_sort_onesweep_histogram_config_static_selectorELNS0_4arch9wavefront6targetE1EEEvSE_.has_recursion, 0
	.set _ZN7rocprim17ROCPRIM_400000_NS6detail17trampoline_kernelINS0_14default_configENS1_35radix_sort_onesweep_config_selectorIllEEZNS1_34radix_sort_onesweep_global_offsetsIS3_Lb0EPlN6thrust23THRUST_200600_302600_NS10device_ptrIlEEjNS0_19identity_decomposerEEE10hipError_tT1_T2_PT3_SG_jT4_jjP12ihipStream_tbEUlT_E0_NS1_11comp_targetILNS1_3genE6ELNS1_11target_archE950ELNS1_3gpuE13ELNS1_3repE0EEENS1_52radix_sort_onesweep_histogram_config_static_selectorELNS0_4arch9wavefront6targetE1EEEvSE_.has_indirect_call, 0
	.section	.AMDGPU.csdata,"",@progbits
; Kernel info:
; codeLenInByte = 0
; TotalNumSgprs: 4
; NumVgprs: 0
; ScratchSize: 0
; MemoryBound: 0
; FloatMode: 240
; IeeeMode: 1
; LDSByteSize: 0 bytes/workgroup (compile time only)
; SGPRBlocks: 0
; VGPRBlocks: 0
; NumSGPRsForWavesPerEU: 4
; NumVGPRsForWavesPerEU: 1
; Occupancy: 10
; WaveLimiterHint : 0
; COMPUTE_PGM_RSRC2:SCRATCH_EN: 0
; COMPUTE_PGM_RSRC2:USER_SGPR: 6
; COMPUTE_PGM_RSRC2:TRAP_HANDLER: 0
; COMPUTE_PGM_RSRC2:TGID_X_EN: 1
; COMPUTE_PGM_RSRC2:TGID_Y_EN: 0
; COMPUTE_PGM_RSRC2:TGID_Z_EN: 0
; COMPUTE_PGM_RSRC2:TIDIG_COMP_CNT: 0
	.section	.text._ZN7rocprim17ROCPRIM_400000_NS6detail17trampoline_kernelINS0_14default_configENS1_35radix_sort_onesweep_config_selectorIllEEZNS1_34radix_sort_onesweep_global_offsetsIS3_Lb0EPlN6thrust23THRUST_200600_302600_NS10device_ptrIlEEjNS0_19identity_decomposerEEE10hipError_tT1_T2_PT3_SG_jT4_jjP12ihipStream_tbEUlT_E0_NS1_11comp_targetILNS1_3genE5ELNS1_11target_archE942ELNS1_3gpuE9ELNS1_3repE0EEENS1_52radix_sort_onesweep_histogram_config_static_selectorELNS0_4arch9wavefront6targetE1EEEvSE_,"axG",@progbits,_ZN7rocprim17ROCPRIM_400000_NS6detail17trampoline_kernelINS0_14default_configENS1_35radix_sort_onesweep_config_selectorIllEEZNS1_34radix_sort_onesweep_global_offsetsIS3_Lb0EPlN6thrust23THRUST_200600_302600_NS10device_ptrIlEEjNS0_19identity_decomposerEEE10hipError_tT1_T2_PT3_SG_jT4_jjP12ihipStream_tbEUlT_E0_NS1_11comp_targetILNS1_3genE5ELNS1_11target_archE942ELNS1_3gpuE9ELNS1_3repE0EEENS1_52radix_sort_onesweep_histogram_config_static_selectorELNS0_4arch9wavefront6targetE1EEEvSE_,comdat
	.protected	_ZN7rocprim17ROCPRIM_400000_NS6detail17trampoline_kernelINS0_14default_configENS1_35radix_sort_onesweep_config_selectorIllEEZNS1_34radix_sort_onesweep_global_offsetsIS3_Lb0EPlN6thrust23THRUST_200600_302600_NS10device_ptrIlEEjNS0_19identity_decomposerEEE10hipError_tT1_T2_PT3_SG_jT4_jjP12ihipStream_tbEUlT_E0_NS1_11comp_targetILNS1_3genE5ELNS1_11target_archE942ELNS1_3gpuE9ELNS1_3repE0EEENS1_52radix_sort_onesweep_histogram_config_static_selectorELNS0_4arch9wavefront6targetE1EEEvSE_ ; -- Begin function _ZN7rocprim17ROCPRIM_400000_NS6detail17trampoline_kernelINS0_14default_configENS1_35radix_sort_onesweep_config_selectorIllEEZNS1_34radix_sort_onesweep_global_offsetsIS3_Lb0EPlN6thrust23THRUST_200600_302600_NS10device_ptrIlEEjNS0_19identity_decomposerEEE10hipError_tT1_T2_PT3_SG_jT4_jjP12ihipStream_tbEUlT_E0_NS1_11comp_targetILNS1_3genE5ELNS1_11target_archE942ELNS1_3gpuE9ELNS1_3repE0EEENS1_52radix_sort_onesweep_histogram_config_static_selectorELNS0_4arch9wavefront6targetE1EEEvSE_
	.globl	_ZN7rocprim17ROCPRIM_400000_NS6detail17trampoline_kernelINS0_14default_configENS1_35radix_sort_onesweep_config_selectorIllEEZNS1_34radix_sort_onesweep_global_offsetsIS3_Lb0EPlN6thrust23THRUST_200600_302600_NS10device_ptrIlEEjNS0_19identity_decomposerEEE10hipError_tT1_T2_PT3_SG_jT4_jjP12ihipStream_tbEUlT_E0_NS1_11comp_targetILNS1_3genE5ELNS1_11target_archE942ELNS1_3gpuE9ELNS1_3repE0EEENS1_52radix_sort_onesweep_histogram_config_static_selectorELNS0_4arch9wavefront6targetE1EEEvSE_
	.p2align	8
	.type	_ZN7rocprim17ROCPRIM_400000_NS6detail17trampoline_kernelINS0_14default_configENS1_35radix_sort_onesweep_config_selectorIllEEZNS1_34radix_sort_onesweep_global_offsetsIS3_Lb0EPlN6thrust23THRUST_200600_302600_NS10device_ptrIlEEjNS0_19identity_decomposerEEE10hipError_tT1_T2_PT3_SG_jT4_jjP12ihipStream_tbEUlT_E0_NS1_11comp_targetILNS1_3genE5ELNS1_11target_archE942ELNS1_3gpuE9ELNS1_3repE0EEENS1_52radix_sort_onesweep_histogram_config_static_selectorELNS0_4arch9wavefront6targetE1EEEvSE_,@function
_ZN7rocprim17ROCPRIM_400000_NS6detail17trampoline_kernelINS0_14default_configENS1_35radix_sort_onesweep_config_selectorIllEEZNS1_34radix_sort_onesweep_global_offsetsIS3_Lb0EPlN6thrust23THRUST_200600_302600_NS10device_ptrIlEEjNS0_19identity_decomposerEEE10hipError_tT1_T2_PT3_SG_jT4_jjP12ihipStream_tbEUlT_E0_NS1_11comp_targetILNS1_3genE5ELNS1_11target_archE942ELNS1_3gpuE9ELNS1_3repE0EEENS1_52radix_sort_onesweep_histogram_config_static_selectorELNS0_4arch9wavefront6targetE1EEEvSE_: ; @_ZN7rocprim17ROCPRIM_400000_NS6detail17trampoline_kernelINS0_14default_configENS1_35radix_sort_onesweep_config_selectorIllEEZNS1_34radix_sort_onesweep_global_offsetsIS3_Lb0EPlN6thrust23THRUST_200600_302600_NS10device_ptrIlEEjNS0_19identity_decomposerEEE10hipError_tT1_T2_PT3_SG_jT4_jjP12ihipStream_tbEUlT_E0_NS1_11comp_targetILNS1_3genE5ELNS1_11target_archE942ELNS1_3gpuE9ELNS1_3repE0EEENS1_52radix_sort_onesweep_histogram_config_static_selectorELNS0_4arch9wavefront6targetE1EEEvSE_
; %bb.0:
	.section	.rodata,"a",@progbits
	.p2align	6, 0x0
	.amdhsa_kernel _ZN7rocprim17ROCPRIM_400000_NS6detail17trampoline_kernelINS0_14default_configENS1_35radix_sort_onesweep_config_selectorIllEEZNS1_34radix_sort_onesweep_global_offsetsIS3_Lb0EPlN6thrust23THRUST_200600_302600_NS10device_ptrIlEEjNS0_19identity_decomposerEEE10hipError_tT1_T2_PT3_SG_jT4_jjP12ihipStream_tbEUlT_E0_NS1_11comp_targetILNS1_3genE5ELNS1_11target_archE942ELNS1_3gpuE9ELNS1_3repE0EEENS1_52radix_sort_onesweep_histogram_config_static_selectorELNS0_4arch9wavefront6targetE1EEEvSE_
		.amdhsa_group_segment_fixed_size 0
		.amdhsa_private_segment_fixed_size 0
		.amdhsa_kernarg_size 8
		.amdhsa_user_sgpr_count 6
		.amdhsa_user_sgpr_private_segment_buffer 1
		.amdhsa_user_sgpr_dispatch_ptr 0
		.amdhsa_user_sgpr_queue_ptr 0
		.amdhsa_user_sgpr_kernarg_segment_ptr 1
		.amdhsa_user_sgpr_dispatch_id 0
		.amdhsa_user_sgpr_flat_scratch_init 0
		.amdhsa_user_sgpr_private_segment_size 0
		.amdhsa_uses_dynamic_stack 0
		.amdhsa_system_sgpr_private_segment_wavefront_offset 0
		.amdhsa_system_sgpr_workgroup_id_x 1
		.amdhsa_system_sgpr_workgroup_id_y 0
		.amdhsa_system_sgpr_workgroup_id_z 0
		.amdhsa_system_sgpr_workgroup_info 0
		.amdhsa_system_vgpr_workitem_id 0
		.amdhsa_next_free_vgpr 1
		.amdhsa_next_free_sgpr 0
		.amdhsa_reserve_vcc 0
		.amdhsa_reserve_flat_scratch 0
		.amdhsa_float_round_mode_32 0
		.amdhsa_float_round_mode_16_64 0
		.amdhsa_float_denorm_mode_32 3
		.amdhsa_float_denorm_mode_16_64 3
		.amdhsa_dx10_clamp 1
		.amdhsa_ieee_mode 1
		.amdhsa_fp16_overflow 0
		.amdhsa_exception_fp_ieee_invalid_op 0
		.amdhsa_exception_fp_denorm_src 0
		.amdhsa_exception_fp_ieee_div_zero 0
		.amdhsa_exception_fp_ieee_overflow 0
		.amdhsa_exception_fp_ieee_underflow 0
		.amdhsa_exception_fp_ieee_inexact 0
		.amdhsa_exception_int_div_zero 0
	.end_amdhsa_kernel
	.section	.text._ZN7rocprim17ROCPRIM_400000_NS6detail17trampoline_kernelINS0_14default_configENS1_35radix_sort_onesweep_config_selectorIllEEZNS1_34radix_sort_onesweep_global_offsetsIS3_Lb0EPlN6thrust23THRUST_200600_302600_NS10device_ptrIlEEjNS0_19identity_decomposerEEE10hipError_tT1_T2_PT3_SG_jT4_jjP12ihipStream_tbEUlT_E0_NS1_11comp_targetILNS1_3genE5ELNS1_11target_archE942ELNS1_3gpuE9ELNS1_3repE0EEENS1_52radix_sort_onesweep_histogram_config_static_selectorELNS0_4arch9wavefront6targetE1EEEvSE_,"axG",@progbits,_ZN7rocprim17ROCPRIM_400000_NS6detail17trampoline_kernelINS0_14default_configENS1_35radix_sort_onesweep_config_selectorIllEEZNS1_34radix_sort_onesweep_global_offsetsIS3_Lb0EPlN6thrust23THRUST_200600_302600_NS10device_ptrIlEEjNS0_19identity_decomposerEEE10hipError_tT1_T2_PT3_SG_jT4_jjP12ihipStream_tbEUlT_E0_NS1_11comp_targetILNS1_3genE5ELNS1_11target_archE942ELNS1_3gpuE9ELNS1_3repE0EEENS1_52radix_sort_onesweep_histogram_config_static_selectorELNS0_4arch9wavefront6targetE1EEEvSE_,comdat
.Lfunc_end1125:
	.size	_ZN7rocprim17ROCPRIM_400000_NS6detail17trampoline_kernelINS0_14default_configENS1_35radix_sort_onesweep_config_selectorIllEEZNS1_34radix_sort_onesweep_global_offsetsIS3_Lb0EPlN6thrust23THRUST_200600_302600_NS10device_ptrIlEEjNS0_19identity_decomposerEEE10hipError_tT1_T2_PT3_SG_jT4_jjP12ihipStream_tbEUlT_E0_NS1_11comp_targetILNS1_3genE5ELNS1_11target_archE942ELNS1_3gpuE9ELNS1_3repE0EEENS1_52radix_sort_onesweep_histogram_config_static_selectorELNS0_4arch9wavefront6targetE1EEEvSE_, .Lfunc_end1125-_ZN7rocprim17ROCPRIM_400000_NS6detail17trampoline_kernelINS0_14default_configENS1_35radix_sort_onesweep_config_selectorIllEEZNS1_34radix_sort_onesweep_global_offsetsIS3_Lb0EPlN6thrust23THRUST_200600_302600_NS10device_ptrIlEEjNS0_19identity_decomposerEEE10hipError_tT1_T2_PT3_SG_jT4_jjP12ihipStream_tbEUlT_E0_NS1_11comp_targetILNS1_3genE5ELNS1_11target_archE942ELNS1_3gpuE9ELNS1_3repE0EEENS1_52radix_sort_onesweep_histogram_config_static_selectorELNS0_4arch9wavefront6targetE1EEEvSE_
                                        ; -- End function
	.set _ZN7rocprim17ROCPRIM_400000_NS6detail17trampoline_kernelINS0_14default_configENS1_35radix_sort_onesweep_config_selectorIllEEZNS1_34radix_sort_onesweep_global_offsetsIS3_Lb0EPlN6thrust23THRUST_200600_302600_NS10device_ptrIlEEjNS0_19identity_decomposerEEE10hipError_tT1_T2_PT3_SG_jT4_jjP12ihipStream_tbEUlT_E0_NS1_11comp_targetILNS1_3genE5ELNS1_11target_archE942ELNS1_3gpuE9ELNS1_3repE0EEENS1_52radix_sort_onesweep_histogram_config_static_selectorELNS0_4arch9wavefront6targetE1EEEvSE_.num_vgpr, 0
	.set _ZN7rocprim17ROCPRIM_400000_NS6detail17trampoline_kernelINS0_14default_configENS1_35radix_sort_onesweep_config_selectorIllEEZNS1_34radix_sort_onesweep_global_offsetsIS3_Lb0EPlN6thrust23THRUST_200600_302600_NS10device_ptrIlEEjNS0_19identity_decomposerEEE10hipError_tT1_T2_PT3_SG_jT4_jjP12ihipStream_tbEUlT_E0_NS1_11comp_targetILNS1_3genE5ELNS1_11target_archE942ELNS1_3gpuE9ELNS1_3repE0EEENS1_52radix_sort_onesweep_histogram_config_static_selectorELNS0_4arch9wavefront6targetE1EEEvSE_.num_agpr, 0
	.set _ZN7rocprim17ROCPRIM_400000_NS6detail17trampoline_kernelINS0_14default_configENS1_35radix_sort_onesweep_config_selectorIllEEZNS1_34radix_sort_onesweep_global_offsetsIS3_Lb0EPlN6thrust23THRUST_200600_302600_NS10device_ptrIlEEjNS0_19identity_decomposerEEE10hipError_tT1_T2_PT3_SG_jT4_jjP12ihipStream_tbEUlT_E0_NS1_11comp_targetILNS1_3genE5ELNS1_11target_archE942ELNS1_3gpuE9ELNS1_3repE0EEENS1_52radix_sort_onesweep_histogram_config_static_selectorELNS0_4arch9wavefront6targetE1EEEvSE_.numbered_sgpr, 0
	.set _ZN7rocprim17ROCPRIM_400000_NS6detail17trampoline_kernelINS0_14default_configENS1_35radix_sort_onesweep_config_selectorIllEEZNS1_34radix_sort_onesweep_global_offsetsIS3_Lb0EPlN6thrust23THRUST_200600_302600_NS10device_ptrIlEEjNS0_19identity_decomposerEEE10hipError_tT1_T2_PT3_SG_jT4_jjP12ihipStream_tbEUlT_E0_NS1_11comp_targetILNS1_3genE5ELNS1_11target_archE942ELNS1_3gpuE9ELNS1_3repE0EEENS1_52radix_sort_onesweep_histogram_config_static_selectorELNS0_4arch9wavefront6targetE1EEEvSE_.num_named_barrier, 0
	.set _ZN7rocprim17ROCPRIM_400000_NS6detail17trampoline_kernelINS0_14default_configENS1_35radix_sort_onesweep_config_selectorIllEEZNS1_34radix_sort_onesweep_global_offsetsIS3_Lb0EPlN6thrust23THRUST_200600_302600_NS10device_ptrIlEEjNS0_19identity_decomposerEEE10hipError_tT1_T2_PT3_SG_jT4_jjP12ihipStream_tbEUlT_E0_NS1_11comp_targetILNS1_3genE5ELNS1_11target_archE942ELNS1_3gpuE9ELNS1_3repE0EEENS1_52radix_sort_onesweep_histogram_config_static_selectorELNS0_4arch9wavefront6targetE1EEEvSE_.private_seg_size, 0
	.set _ZN7rocprim17ROCPRIM_400000_NS6detail17trampoline_kernelINS0_14default_configENS1_35radix_sort_onesweep_config_selectorIllEEZNS1_34radix_sort_onesweep_global_offsetsIS3_Lb0EPlN6thrust23THRUST_200600_302600_NS10device_ptrIlEEjNS0_19identity_decomposerEEE10hipError_tT1_T2_PT3_SG_jT4_jjP12ihipStream_tbEUlT_E0_NS1_11comp_targetILNS1_3genE5ELNS1_11target_archE942ELNS1_3gpuE9ELNS1_3repE0EEENS1_52radix_sort_onesweep_histogram_config_static_selectorELNS0_4arch9wavefront6targetE1EEEvSE_.uses_vcc, 0
	.set _ZN7rocprim17ROCPRIM_400000_NS6detail17trampoline_kernelINS0_14default_configENS1_35radix_sort_onesweep_config_selectorIllEEZNS1_34radix_sort_onesweep_global_offsetsIS3_Lb0EPlN6thrust23THRUST_200600_302600_NS10device_ptrIlEEjNS0_19identity_decomposerEEE10hipError_tT1_T2_PT3_SG_jT4_jjP12ihipStream_tbEUlT_E0_NS1_11comp_targetILNS1_3genE5ELNS1_11target_archE942ELNS1_3gpuE9ELNS1_3repE0EEENS1_52radix_sort_onesweep_histogram_config_static_selectorELNS0_4arch9wavefront6targetE1EEEvSE_.uses_flat_scratch, 0
	.set _ZN7rocprim17ROCPRIM_400000_NS6detail17trampoline_kernelINS0_14default_configENS1_35radix_sort_onesweep_config_selectorIllEEZNS1_34radix_sort_onesweep_global_offsetsIS3_Lb0EPlN6thrust23THRUST_200600_302600_NS10device_ptrIlEEjNS0_19identity_decomposerEEE10hipError_tT1_T2_PT3_SG_jT4_jjP12ihipStream_tbEUlT_E0_NS1_11comp_targetILNS1_3genE5ELNS1_11target_archE942ELNS1_3gpuE9ELNS1_3repE0EEENS1_52radix_sort_onesweep_histogram_config_static_selectorELNS0_4arch9wavefront6targetE1EEEvSE_.has_dyn_sized_stack, 0
	.set _ZN7rocprim17ROCPRIM_400000_NS6detail17trampoline_kernelINS0_14default_configENS1_35radix_sort_onesweep_config_selectorIllEEZNS1_34radix_sort_onesweep_global_offsetsIS3_Lb0EPlN6thrust23THRUST_200600_302600_NS10device_ptrIlEEjNS0_19identity_decomposerEEE10hipError_tT1_T2_PT3_SG_jT4_jjP12ihipStream_tbEUlT_E0_NS1_11comp_targetILNS1_3genE5ELNS1_11target_archE942ELNS1_3gpuE9ELNS1_3repE0EEENS1_52radix_sort_onesweep_histogram_config_static_selectorELNS0_4arch9wavefront6targetE1EEEvSE_.has_recursion, 0
	.set _ZN7rocprim17ROCPRIM_400000_NS6detail17trampoline_kernelINS0_14default_configENS1_35radix_sort_onesweep_config_selectorIllEEZNS1_34radix_sort_onesweep_global_offsetsIS3_Lb0EPlN6thrust23THRUST_200600_302600_NS10device_ptrIlEEjNS0_19identity_decomposerEEE10hipError_tT1_T2_PT3_SG_jT4_jjP12ihipStream_tbEUlT_E0_NS1_11comp_targetILNS1_3genE5ELNS1_11target_archE942ELNS1_3gpuE9ELNS1_3repE0EEENS1_52radix_sort_onesweep_histogram_config_static_selectorELNS0_4arch9wavefront6targetE1EEEvSE_.has_indirect_call, 0
	.section	.AMDGPU.csdata,"",@progbits
; Kernel info:
; codeLenInByte = 0
; TotalNumSgprs: 4
; NumVgprs: 0
; ScratchSize: 0
; MemoryBound: 0
; FloatMode: 240
; IeeeMode: 1
; LDSByteSize: 0 bytes/workgroup (compile time only)
; SGPRBlocks: 0
; VGPRBlocks: 0
; NumSGPRsForWavesPerEU: 4
; NumVGPRsForWavesPerEU: 1
; Occupancy: 10
; WaveLimiterHint : 0
; COMPUTE_PGM_RSRC2:SCRATCH_EN: 0
; COMPUTE_PGM_RSRC2:USER_SGPR: 6
; COMPUTE_PGM_RSRC2:TRAP_HANDLER: 0
; COMPUTE_PGM_RSRC2:TGID_X_EN: 1
; COMPUTE_PGM_RSRC2:TGID_Y_EN: 0
; COMPUTE_PGM_RSRC2:TGID_Z_EN: 0
; COMPUTE_PGM_RSRC2:TIDIG_COMP_CNT: 0
	.section	.text._ZN7rocprim17ROCPRIM_400000_NS6detail17trampoline_kernelINS0_14default_configENS1_35radix_sort_onesweep_config_selectorIllEEZNS1_34radix_sort_onesweep_global_offsetsIS3_Lb0EPlN6thrust23THRUST_200600_302600_NS10device_ptrIlEEjNS0_19identity_decomposerEEE10hipError_tT1_T2_PT3_SG_jT4_jjP12ihipStream_tbEUlT_E0_NS1_11comp_targetILNS1_3genE2ELNS1_11target_archE906ELNS1_3gpuE6ELNS1_3repE0EEENS1_52radix_sort_onesweep_histogram_config_static_selectorELNS0_4arch9wavefront6targetE1EEEvSE_,"axG",@progbits,_ZN7rocprim17ROCPRIM_400000_NS6detail17trampoline_kernelINS0_14default_configENS1_35radix_sort_onesweep_config_selectorIllEEZNS1_34radix_sort_onesweep_global_offsetsIS3_Lb0EPlN6thrust23THRUST_200600_302600_NS10device_ptrIlEEjNS0_19identity_decomposerEEE10hipError_tT1_T2_PT3_SG_jT4_jjP12ihipStream_tbEUlT_E0_NS1_11comp_targetILNS1_3genE2ELNS1_11target_archE906ELNS1_3gpuE6ELNS1_3repE0EEENS1_52radix_sort_onesweep_histogram_config_static_selectorELNS0_4arch9wavefront6targetE1EEEvSE_,comdat
	.protected	_ZN7rocprim17ROCPRIM_400000_NS6detail17trampoline_kernelINS0_14default_configENS1_35radix_sort_onesweep_config_selectorIllEEZNS1_34radix_sort_onesweep_global_offsetsIS3_Lb0EPlN6thrust23THRUST_200600_302600_NS10device_ptrIlEEjNS0_19identity_decomposerEEE10hipError_tT1_T2_PT3_SG_jT4_jjP12ihipStream_tbEUlT_E0_NS1_11comp_targetILNS1_3genE2ELNS1_11target_archE906ELNS1_3gpuE6ELNS1_3repE0EEENS1_52radix_sort_onesweep_histogram_config_static_selectorELNS0_4arch9wavefront6targetE1EEEvSE_ ; -- Begin function _ZN7rocprim17ROCPRIM_400000_NS6detail17trampoline_kernelINS0_14default_configENS1_35radix_sort_onesweep_config_selectorIllEEZNS1_34radix_sort_onesweep_global_offsetsIS3_Lb0EPlN6thrust23THRUST_200600_302600_NS10device_ptrIlEEjNS0_19identity_decomposerEEE10hipError_tT1_T2_PT3_SG_jT4_jjP12ihipStream_tbEUlT_E0_NS1_11comp_targetILNS1_3genE2ELNS1_11target_archE906ELNS1_3gpuE6ELNS1_3repE0EEENS1_52radix_sort_onesweep_histogram_config_static_selectorELNS0_4arch9wavefront6targetE1EEEvSE_
	.globl	_ZN7rocprim17ROCPRIM_400000_NS6detail17trampoline_kernelINS0_14default_configENS1_35radix_sort_onesweep_config_selectorIllEEZNS1_34radix_sort_onesweep_global_offsetsIS3_Lb0EPlN6thrust23THRUST_200600_302600_NS10device_ptrIlEEjNS0_19identity_decomposerEEE10hipError_tT1_T2_PT3_SG_jT4_jjP12ihipStream_tbEUlT_E0_NS1_11comp_targetILNS1_3genE2ELNS1_11target_archE906ELNS1_3gpuE6ELNS1_3repE0EEENS1_52radix_sort_onesweep_histogram_config_static_selectorELNS0_4arch9wavefront6targetE1EEEvSE_
	.p2align	8
	.type	_ZN7rocprim17ROCPRIM_400000_NS6detail17trampoline_kernelINS0_14default_configENS1_35radix_sort_onesweep_config_selectorIllEEZNS1_34radix_sort_onesweep_global_offsetsIS3_Lb0EPlN6thrust23THRUST_200600_302600_NS10device_ptrIlEEjNS0_19identity_decomposerEEE10hipError_tT1_T2_PT3_SG_jT4_jjP12ihipStream_tbEUlT_E0_NS1_11comp_targetILNS1_3genE2ELNS1_11target_archE906ELNS1_3gpuE6ELNS1_3repE0EEENS1_52radix_sort_onesweep_histogram_config_static_selectorELNS0_4arch9wavefront6targetE1EEEvSE_,@function
_ZN7rocprim17ROCPRIM_400000_NS6detail17trampoline_kernelINS0_14default_configENS1_35radix_sort_onesweep_config_selectorIllEEZNS1_34radix_sort_onesweep_global_offsetsIS3_Lb0EPlN6thrust23THRUST_200600_302600_NS10device_ptrIlEEjNS0_19identity_decomposerEEE10hipError_tT1_T2_PT3_SG_jT4_jjP12ihipStream_tbEUlT_E0_NS1_11comp_targetILNS1_3genE2ELNS1_11target_archE906ELNS1_3gpuE6ELNS1_3repE0EEENS1_52radix_sort_onesweep_histogram_config_static_selectorELNS0_4arch9wavefront6targetE1EEEvSE_: ; @_ZN7rocprim17ROCPRIM_400000_NS6detail17trampoline_kernelINS0_14default_configENS1_35radix_sort_onesweep_config_selectorIllEEZNS1_34radix_sort_onesweep_global_offsetsIS3_Lb0EPlN6thrust23THRUST_200600_302600_NS10device_ptrIlEEjNS0_19identity_decomposerEEE10hipError_tT1_T2_PT3_SG_jT4_jjP12ihipStream_tbEUlT_E0_NS1_11comp_targetILNS1_3genE2ELNS1_11target_archE906ELNS1_3gpuE6ELNS1_3repE0EEENS1_52radix_sort_onesweep_histogram_config_static_selectorELNS0_4arch9wavefront6targetE1EEEvSE_
; %bb.0:
	s_load_dwordx2 s[0:1], s[4:5], 0x0
	s_lshl_b32 s2, s6, 8
	s_mov_b32 s3, 0
	s_lshl_b64 s[2:3], s[2:3], 2
	v_lshlrev_b32_e32 v1, 2, v0
	s_waitcnt lgkmcnt(0)
	s_add_u32 s2, s0, s2
	s_movk_i32 s0, 0x100
	s_addc_u32 s3, s1, s3
	v_cmp_gt_u32_e32 vcc, s0, v0
                                        ; implicit-def: $vgpr3
	s_and_saveexec_b64 s[0:1], vcc
	s_cbranch_execz .LBB1126_2
; %bb.1:
	global_load_dword v3, v1, s[2:3]
.LBB1126_2:
	s_or_b64 exec, exec, s[0:1]
	v_mbcnt_lo_u32_b32 v2, -1, 0
	v_mbcnt_hi_u32_b32 v2, -1, v2
	v_and_b32_e32 v4, 15, v2
	s_waitcnt vmcnt(0)
	v_mov_b32_dpp v5, v3 row_shr:1 row_mask:0xf bank_mask:0xf
	v_cmp_ne_u32_e64 s[0:1], 0, v4
	v_cndmask_b32_e64 v5, 0, v5, s[0:1]
	v_add_u32_e32 v3, v5, v3
	v_cmp_lt_u32_e64 s[0:1], 1, v4
	s_nop 0
	v_mov_b32_dpp v5, v3 row_shr:2 row_mask:0xf bank_mask:0xf
	v_cndmask_b32_e64 v5, 0, v5, s[0:1]
	v_add_u32_e32 v3, v3, v5
	v_cmp_lt_u32_e64 s[0:1], 3, v4
	s_nop 0
	v_mov_b32_dpp v5, v3 row_shr:4 row_mask:0xf bank_mask:0xf
	;; [unrolled: 5-line block ×3, first 2 shown]
	v_cndmask_b32_e64 v4, 0, v5, s[0:1]
	v_add_u32_e32 v3, v3, v4
	v_bfe_i32 v5, v2, 4, 1
	v_cmp_lt_u32_e64 s[0:1], 31, v2
	v_mov_b32_dpp v4, v3 row_bcast:15 row_mask:0xf bank_mask:0xf
	v_and_b32_e32 v4, v5, v4
	v_add_u32_e32 v3, v3, v4
	v_or_b32_e32 v5, 63, v0
	s_nop 0
	v_mov_b32_dpp v4, v3 row_bcast:31 row_mask:0xf bank_mask:0xf
	v_cndmask_b32_e64 v4, 0, v4, s[0:1]
	v_add_u32_e32 v3, v3, v4
	v_lshrrev_b32_e32 v4, 6, v0
	v_cmp_eq_u32_e64 s[0:1], v0, v5
	s_and_saveexec_b64 s[4:5], s[0:1]
; %bb.3:
	v_lshlrev_b32_e32 v5, 2, v4
	ds_write_b32 v5, v3
; %bb.4:
	s_or_b64 exec, exec, s[4:5]
	v_cmp_gt_u32_e64 s[0:1], 8, v0
	s_waitcnt lgkmcnt(0)
	s_barrier
	s_and_saveexec_b64 s[4:5], s[0:1]
	s_cbranch_execz .LBB1126_6
; %bb.5:
	ds_read_b32 v5, v1
	v_and_b32_e32 v6, 7, v2
	v_cmp_ne_u32_e64 s[0:1], 0, v6
	s_waitcnt lgkmcnt(0)
	v_mov_b32_dpp v7, v5 row_shr:1 row_mask:0xf bank_mask:0xf
	v_cndmask_b32_e64 v7, 0, v7, s[0:1]
	v_add_u32_e32 v5, v7, v5
	v_cmp_lt_u32_e64 s[0:1], 1, v6
	s_nop 0
	v_mov_b32_dpp v7, v5 row_shr:2 row_mask:0xf bank_mask:0xf
	v_cndmask_b32_e64 v7, 0, v7, s[0:1]
	v_add_u32_e32 v5, v5, v7
	v_cmp_lt_u32_e64 s[0:1], 3, v6
	s_nop 0
	v_mov_b32_dpp v7, v5 row_shr:4 row_mask:0xf bank_mask:0xf
	v_cndmask_b32_e64 v6, 0, v7, s[0:1]
	v_add_u32_e32 v5, v5, v6
	ds_write_b32 v1, v5
.LBB1126_6:
	s_or_b64 exec, exec, s[4:5]
	v_cmp_lt_u32_e64 s[0:1], 63, v0
	v_mov_b32_e32 v0, 0
	s_waitcnt lgkmcnt(0)
	s_barrier
	s_and_saveexec_b64 s[4:5], s[0:1]
; %bb.7:
	v_lshl_add_u32 v0, v4, 2, -4
	ds_read_b32 v0, v0
; %bb.8:
	s_or_b64 exec, exec, s[4:5]
	v_add_u32_e32 v4, -1, v2
	v_and_b32_e32 v5, 64, v2
	v_cmp_lt_i32_e64 s[0:1], v4, v5
	v_cndmask_b32_e64 v4, v4, v2, s[0:1]
	s_waitcnt lgkmcnt(0)
	v_add_u32_e32 v3, v0, v3
	v_lshlrev_b32_e32 v4, 2, v4
	ds_bpermute_b32 v3, v4, v3
	s_and_saveexec_b64 s[0:1], vcc
	s_cbranch_execz .LBB1126_10
; %bb.9:
	v_cmp_eq_u32_e32 vcc, 0, v2
	s_waitcnt lgkmcnt(0)
	v_cndmask_b32_e32 v0, v3, v0, vcc
	global_store_dword v1, v0, s[2:3]
.LBB1126_10:
	s_endpgm
	.section	.rodata,"a",@progbits
	.p2align	6, 0x0
	.amdhsa_kernel _ZN7rocprim17ROCPRIM_400000_NS6detail17trampoline_kernelINS0_14default_configENS1_35radix_sort_onesweep_config_selectorIllEEZNS1_34radix_sort_onesweep_global_offsetsIS3_Lb0EPlN6thrust23THRUST_200600_302600_NS10device_ptrIlEEjNS0_19identity_decomposerEEE10hipError_tT1_T2_PT3_SG_jT4_jjP12ihipStream_tbEUlT_E0_NS1_11comp_targetILNS1_3genE2ELNS1_11target_archE906ELNS1_3gpuE6ELNS1_3repE0EEENS1_52radix_sort_onesweep_histogram_config_static_selectorELNS0_4arch9wavefront6targetE1EEEvSE_
		.amdhsa_group_segment_fixed_size 32
		.amdhsa_private_segment_fixed_size 0
		.amdhsa_kernarg_size 8
		.amdhsa_user_sgpr_count 6
		.amdhsa_user_sgpr_private_segment_buffer 1
		.amdhsa_user_sgpr_dispatch_ptr 0
		.amdhsa_user_sgpr_queue_ptr 0
		.amdhsa_user_sgpr_kernarg_segment_ptr 1
		.amdhsa_user_sgpr_dispatch_id 0
		.amdhsa_user_sgpr_flat_scratch_init 0
		.amdhsa_user_sgpr_private_segment_size 0
		.amdhsa_uses_dynamic_stack 0
		.amdhsa_system_sgpr_private_segment_wavefront_offset 0
		.amdhsa_system_sgpr_workgroup_id_x 1
		.amdhsa_system_sgpr_workgroup_id_y 0
		.amdhsa_system_sgpr_workgroup_id_z 0
		.amdhsa_system_sgpr_workgroup_info 0
		.amdhsa_system_vgpr_workitem_id 0
		.amdhsa_next_free_vgpr 8
		.amdhsa_next_free_sgpr 7
		.amdhsa_reserve_vcc 1
		.amdhsa_reserve_flat_scratch 0
		.amdhsa_float_round_mode_32 0
		.amdhsa_float_round_mode_16_64 0
		.amdhsa_float_denorm_mode_32 3
		.amdhsa_float_denorm_mode_16_64 3
		.amdhsa_dx10_clamp 1
		.amdhsa_ieee_mode 1
		.amdhsa_fp16_overflow 0
		.amdhsa_exception_fp_ieee_invalid_op 0
		.amdhsa_exception_fp_denorm_src 0
		.amdhsa_exception_fp_ieee_div_zero 0
		.amdhsa_exception_fp_ieee_overflow 0
		.amdhsa_exception_fp_ieee_underflow 0
		.amdhsa_exception_fp_ieee_inexact 0
		.amdhsa_exception_int_div_zero 0
	.end_amdhsa_kernel
	.section	.text._ZN7rocprim17ROCPRIM_400000_NS6detail17trampoline_kernelINS0_14default_configENS1_35radix_sort_onesweep_config_selectorIllEEZNS1_34radix_sort_onesweep_global_offsetsIS3_Lb0EPlN6thrust23THRUST_200600_302600_NS10device_ptrIlEEjNS0_19identity_decomposerEEE10hipError_tT1_T2_PT3_SG_jT4_jjP12ihipStream_tbEUlT_E0_NS1_11comp_targetILNS1_3genE2ELNS1_11target_archE906ELNS1_3gpuE6ELNS1_3repE0EEENS1_52radix_sort_onesweep_histogram_config_static_selectorELNS0_4arch9wavefront6targetE1EEEvSE_,"axG",@progbits,_ZN7rocprim17ROCPRIM_400000_NS6detail17trampoline_kernelINS0_14default_configENS1_35radix_sort_onesweep_config_selectorIllEEZNS1_34radix_sort_onesweep_global_offsetsIS3_Lb0EPlN6thrust23THRUST_200600_302600_NS10device_ptrIlEEjNS0_19identity_decomposerEEE10hipError_tT1_T2_PT3_SG_jT4_jjP12ihipStream_tbEUlT_E0_NS1_11comp_targetILNS1_3genE2ELNS1_11target_archE906ELNS1_3gpuE6ELNS1_3repE0EEENS1_52radix_sort_onesweep_histogram_config_static_selectorELNS0_4arch9wavefront6targetE1EEEvSE_,comdat
.Lfunc_end1126:
	.size	_ZN7rocprim17ROCPRIM_400000_NS6detail17trampoline_kernelINS0_14default_configENS1_35radix_sort_onesweep_config_selectorIllEEZNS1_34radix_sort_onesweep_global_offsetsIS3_Lb0EPlN6thrust23THRUST_200600_302600_NS10device_ptrIlEEjNS0_19identity_decomposerEEE10hipError_tT1_T2_PT3_SG_jT4_jjP12ihipStream_tbEUlT_E0_NS1_11comp_targetILNS1_3genE2ELNS1_11target_archE906ELNS1_3gpuE6ELNS1_3repE0EEENS1_52radix_sort_onesweep_histogram_config_static_selectorELNS0_4arch9wavefront6targetE1EEEvSE_, .Lfunc_end1126-_ZN7rocprim17ROCPRIM_400000_NS6detail17trampoline_kernelINS0_14default_configENS1_35radix_sort_onesweep_config_selectorIllEEZNS1_34radix_sort_onesweep_global_offsetsIS3_Lb0EPlN6thrust23THRUST_200600_302600_NS10device_ptrIlEEjNS0_19identity_decomposerEEE10hipError_tT1_T2_PT3_SG_jT4_jjP12ihipStream_tbEUlT_E0_NS1_11comp_targetILNS1_3genE2ELNS1_11target_archE906ELNS1_3gpuE6ELNS1_3repE0EEENS1_52radix_sort_onesweep_histogram_config_static_selectorELNS0_4arch9wavefront6targetE1EEEvSE_
                                        ; -- End function
	.set _ZN7rocprim17ROCPRIM_400000_NS6detail17trampoline_kernelINS0_14default_configENS1_35radix_sort_onesweep_config_selectorIllEEZNS1_34radix_sort_onesweep_global_offsetsIS3_Lb0EPlN6thrust23THRUST_200600_302600_NS10device_ptrIlEEjNS0_19identity_decomposerEEE10hipError_tT1_T2_PT3_SG_jT4_jjP12ihipStream_tbEUlT_E0_NS1_11comp_targetILNS1_3genE2ELNS1_11target_archE906ELNS1_3gpuE6ELNS1_3repE0EEENS1_52radix_sort_onesweep_histogram_config_static_selectorELNS0_4arch9wavefront6targetE1EEEvSE_.num_vgpr, 8
	.set _ZN7rocprim17ROCPRIM_400000_NS6detail17trampoline_kernelINS0_14default_configENS1_35radix_sort_onesweep_config_selectorIllEEZNS1_34radix_sort_onesweep_global_offsetsIS3_Lb0EPlN6thrust23THRUST_200600_302600_NS10device_ptrIlEEjNS0_19identity_decomposerEEE10hipError_tT1_T2_PT3_SG_jT4_jjP12ihipStream_tbEUlT_E0_NS1_11comp_targetILNS1_3genE2ELNS1_11target_archE906ELNS1_3gpuE6ELNS1_3repE0EEENS1_52radix_sort_onesweep_histogram_config_static_selectorELNS0_4arch9wavefront6targetE1EEEvSE_.num_agpr, 0
	.set _ZN7rocprim17ROCPRIM_400000_NS6detail17trampoline_kernelINS0_14default_configENS1_35radix_sort_onesweep_config_selectorIllEEZNS1_34radix_sort_onesweep_global_offsetsIS3_Lb0EPlN6thrust23THRUST_200600_302600_NS10device_ptrIlEEjNS0_19identity_decomposerEEE10hipError_tT1_T2_PT3_SG_jT4_jjP12ihipStream_tbEUlT_E0_NS1_11comp_targetILNS1_3genE2ELNS1_11target_archE906ELNS1_3gpuE6ELNS1_3repE0EEENS1_52radix_sort_onesweep_histogram_config_static_selectorELNS0_4arch9wavefront6targetE1EEEvSE_.numbered_sgpr, 7
	.set _ZN7rocprim17ROCPRIM_400000_NS6detail17trampoline_kernelINS0_14default_configENS1_35radix_sort_onesweep_config_selectorIllEEZNS1_34radix_sort_onesweep_global_offsetsIS3_Lb0EPlN6thrust23THRUST_200600_302600_NS10device_ptrIlEEjNS0_19identity_decomposerEEE10hipError_tT1_T2_PT3_SG_jT4_jjP12ihipStream_tbEUlT_E0_NS1_11comp_targetILNS1_3genE2ELNS1_11target_archE906ELNS1_3gpuE6ELNS1_3repE0EEENS1_52radix_sort_onesweep_histogram_config_static_selectorELNS0_4arch9wavefront6targetE1EEEvSE_.num_named_barrier, 0
	.set _ZN7rocprim17ROCPRIM_400000_NS6detail17trampoline_kernelINS0_14default_configENS1_35radix_sort_onesweep_config_selectorIllEEZNS1_34radix_sort_onesweep_global_offsetsIS3_Lb0EPlN6thrust23THRUST_200600_302600_NS10device_ptrIlEEjNS0_19identity_decomposerEEE10hipError_tT1_T2_PT3_SG_jT4_jjP12ihipStream_tbEUlT_E0_NS1_11comp_targetILNS1_3genE2ELNS1_11target_archE906ELNS1_3gpuE6ELNS1_3repE0EEENS1_52radix_sort_onesweep_histogram_config_static_selectorELNS0_4arch9wavefront6targetE1EEEvSE_.private_seg_size, 0
	.set _ZN7rocprim17ROCPRIM_400000_NS6detail17trampoline_kernelINS0_14default_configENS1_35radix_sort_onesweep_config_selectorIllEEZNS1_34radix_sort_onesweep_global_offsetsIS3_Lb0EPlN6thrust23THRUST_200600_302600_NS10device_ptrIlEEjNS0_19identity_decomposerEEE10hipError_tT1_T2_PT3_SG_jT4_jjP12ihipStream_tbEUlT_E0_NS1_11comp_targetILNS1_3genE2ELNS1_11target_archE906ELNS1_3gpuE6ELNS1_3repE0EEENS1_52radix_sort_onesweep_histogram_config_static_selectorELNS0_4arch9wavefront6targetE1EEEvSE_.uses_vcc, 1
	.set _ZN7rocprim17ROCPRIM_400000_NS6detail17trampoline_kernelINS0_14default_configENS1_35radix_sort_onesweep_config_selectorIllEEZNS1_34radix_sort_onesweep_global_offsetsIS3_Lb0EPlN6thrust23THRUST_200600_302600_NS10device_ptrIlEEjNS0_19identity_decomposerEEE10hipError_tT1_T2_PT3_SG_jT4_jjP12ihipStream_tbEUlT_E0_NS1_11comp_targetILNS1_3genE2ELNS1_11target_archE906ELNS1_3gpuE6ELNS1_3repE0EEENS1_52radix_sort_onesweep_histogram_config_static_selectorELNS0_4arch9wavefront6targetE1EEEvSE_.uses_flat_scratch, 0
	.set _ZN7rocprim17ROCPRIM_400000_NS6detail17trampoline_kernelINS0_14default_configENS1_35radix_sort_onesweep_config_selectorIllEEZNS1_34radix_sort_onesweep_global_offsetsIS3_Lb0EPlN6thrust23THRUST_200600_302600_NS10device_ptrIlEEjNS0_19identity_decomposerEEE10hipError_tT1_T2_PT3_SG_jT4_jjP12ihipStream_tbEUlT_E0_NS1_11comp_targetILNS1_3genE2ELNS1_11target_archE906ELNS1_3gpuE6ELNS1_3repE0EEENS1_52radix_sort_onesweep_histogram_config_static_selectorELNS0_4arch9wavefront6targetE1EEEvSE_.has_dyn_sized_stack, 0
	.set _ZN7rocprim17ROCPRIM_400000_NS6detail17trampoline_kernelINS0_14default_configENS1_35radix_sort_onesweep_config_selectorIllEEZNS1_34radix_sort_onesweep_global_offsetsIS3_Lb0EPlN6thrust23THRUST_200600_302600_NS10device_ptrIlEEjNS0_19identity_decomposerEEE10hipError_tT1_T2_PT3_SG_jT4_jjP12ihipStream_tbEUlT_E0_NS1_11comp_targetILNS1_3genE2ELNS1_11target_archE906ELNS1_3gpuE6ELNS1_3repE0EEENS1_52radix_sort_onesweep_histogram_config_static_selectorELNS0_4arch9wavefront6targetE1EEEvSE_.has_recursion, 0
	.set _ZN7rocprim17ROCPRIM_400000_NS6detail17trampoline_kernelINS0_14default_configENS1_35radix_sort_onesweep_config_selectorIllEEZNS1_34radix_sort_onesweep_global_offsetsIS3_Lb0EPlN6thrust23THRUST_200600_302600_NS10device_ptrIlEEjNS0_19identity_decomposerEEE10hipError_tT1_T2_PT3_SG_jT4_jjP12ihipStream_tbEUlT_E0_NS1_11comp_targetILNS1_3genE2ELNS1_11target_archE906ELNS1_3gpuE6ELNS1_3repE0EEENS1_52radix_sort_onesweep_histogram_config_static_selectorELNS0_4arch9wavefront6targetE1EEEvSE_.has_indirect_call, 0
	.section	.AMDGPU.csdata,"",@progbits
; Kernel info:
; codeLenInByte = 568
; TotalNumSgprs: 11
; NumVgprs: 8
; ScratchSize: 0
; MemoryBound: 0
; FloatMode: 240
; IeeeMode: 1
; LDSByteSize: 32 bytes/workgroup (compile time only)
; SGPRBlocks: 1
; VGPRBlocks: 1
; NumSGPRsForWavesPerEU: 11
; NumVGPRsForWavesPerEU: 8
; Occupancy: 10
; WaveLimiterHint : 0
; COMPUTE_PGM_RSRC2:SCRATCH_EN: 0
; COMPUTE_PGM_RSRC2:USER_SGPR: 6
; COMPUTE_PGM_RSRC2:TRAP_HANDLER: 0
; COMPUTE_PGM_RSRC2:TGID_X_EN: 1
; COMPUTE_PGM_RSRC2:TGID_Y_EN: 0
; COMPUTE_PGM_RSRC2:TGID_Z_EN: 0
; COMPUTE_PGM_RSRC2:TIDIG_COMP_CNT: 0
	.section	.text._ZN7rocprim17ROCPRIM_400000_NS6detail17trampoline_kernelINS0_14default_configENS1_35radix_sort_onesweep_config_selectorIllEEZNS1_34radix_sort_onesweep_global_offsetsIS3_Lb0EPlN6thrust23THRUST_200600_302600_NS10device_ptrIlEEjNS0_19identity_decomposerEEE10hipError_tT1_T2_PT3_SG_jT4_jjP12ihipStream_tbEUlT_E0_NS1_11comp_targetILNS1_3genE4ELNS1_11target_archE910ELNS1_3gpuE8ELNS1_3repE0EEENS1_52radix_sort_onesweep_histogram_config_static_selectorELNS0_4arch9wavefront6targetE1EEEvSE_,"axG",@progbits,_ZN7rocprim17ROCPRIM_400000_NS6detail17trampoline_kernelINS0_14default_configENS1_35radix_sort_onesweep_config_selectorIllEEZNS1_34radix_sort_onesweep_global_offsetsIS3_Lb0EPlN6thrust23THRUST_200600_302600_NS10device_ptrIlEEjNS0_19identity_decomposerEEE10hipError_tT1_T2_PT3_SG_jT4_jjP12ihipStream_tbEUlT_E0_NS1_11comp_targetILNS1_3genE4ELNS1_11target_archE910ELNS1_3gpuE8ELNS1_3repE0EEENS1_52radix_sort_onesweep_histogram_config_static_selectorELNS0_4arch9wavefront6targetE1EEEvSE_,comdat
	.protected	_ZN7rocprim17ROCPRIM_400000_NS6detail17trampoline_kernelINS0_14default_configENS1_35radix_sort_onesweep_config_selectorIllEEZNS1_34radix_sort_onesweep_global_offsetsIS3_Lb0EPlN6thrust23THRUST_200600_302600_NS10device_ptrIlEEjNS0_19identity_decomposerEEE10hipError_tT1_T2_PT3_SG_jT4_jjP12ihipStream_tbEUlT_E0_NS1_11comp_targetILNS1_3genE4ELNS1_11target_archE910ELNS1_3gpuE8ELNS1_3repE0EEENS1_52radix_sort_onesweep_histogram_config_static_selectorELNS0_4arch9wavefront6targetE1EEEvSE_ ; -- Begin function _ZN7rocprim17ROCPRIM_400000_NS6detail17trampoline_kernelINS0_14default_configENS1_35radix_sort_onesweep_config_selectorIllEEZNS1_34radix_sort_onesweep_global_offsetsIS3_Lb0EPlN6thrust23THRUST_200600_302600_NS10device_ptrIlEEjNS0_19identity_decomposerEEE10hipError_tT1_T2_PT3_SG_jT4_jjP12ihipStream_tbEUlT_E0_NS1_11comp_targetILNS1_3genE4ELNS1_11target_archE910ELNS1_3gpuE8ELNS1_3repE0EEENS1_52radix_sort_onesweep_histogram_config_static_selectorELNS0_4arch9wavefront6targetE1EEEvSE_
	.globl	_ZN7rocprim17ROCPRIM_400000_NS6detail17trampoline_kernelINS0_14default_configENS1_35radix_sort_onesweep_config_selectorIllEEZNS1_34radix_sort_onesweep_global_offsetsIS3_Lb0EPlN6thrust23THRUST_200600_302600_NS10device_ptrIlEEjNS0_19identity_decomposerEEE10hipError_tT1_T2_PT3_SG_jT4_jjP12ihipStream_tbEUlT_E0_NS1_11comp_targetILNS1_3genE4ELNS1_11target_archE910ELNS1_3gpuE8ELNS1_3repE0EEENS1_52radix_sort_onesweep_histogram_config_static_selectorELNS0_4arch9wavefront6targetE1EEEvSE_
	.p2align	8
	.type	_ZN7rocprim17ROCPRIM_400000_NS6detail17trampoline_kernelINS0_14default_configENS1_35radix_sort_onesweep_config_selectorIllEEZNS1_34radix_sort_onesweep_global_offsetsIS3_Lb0EPlN6thrust23THRUST_200600_302600_NS10device_ptrIlEEjNS0_19identity_decomposerEEE10hipError_tT1_T2_PT3_SG_jT4_jjP12ihipStream_tbEUlT_E0_NS1_11comp_targetILNS1_3genE4ELNS1_11target_archE910ELNS1_3gpuE8ELNS1_3repE0EEENS1_52radix_sort_onesweep_histogram_config_static_selectorELNS0_4arch9wavefront6targetE1EEEvSE_,@function
_ZN7rocprim17ROCPRIM_400000_NS6detail17trampoline_kernelINS0_14default_configENS1_35radix_sort_onesweep_config_selectorIllEEZNS1_34radix_sort_onesweep_global_offsetsIS3_Lb0EPlN6thrust23THRUST_200600_302600_NS10device_ptrIlEEjNS0_19identity_decomposerEEE10hipError_tT1_T2_PT3_SG_jT4_jjP12ihipStream_tbEUlT_E0_NS1_11comp_targetILNS1_3genE4ELNS1_11target_archE910ELNS1_3gpuE8ELNS1_3repE0EEENS1_52radix_sort_onesweep_histogram_config_static_selectorELNS0_4arch9wavefront6targetE1EEEvSE_: ; @_ZN7rocprim17ROCPRIM_400000_NS6detail17trampoline_kernelINS0_14default_configENS1_35radix_sort_onesweep_config_selectorIllEEZNS1_34radix_sort_onesweep_global_offsetsIS3_Lb0EPlN6thrust23THRUST_200600_302600_NS10device_ptrIlEEjNS0_19identity_decomposerEEE10hipError_tT1_T2_PT3_SG_jT4_jjP12ihipStream_tbEUlT_E0_NS1_11comp_targetILNS1_3genE4ELNS1_11target_archE910ELNS1_3gpuE8ELNS1_3repE0EEENS1_52radix_sort_onesweep_histogram_config_static_selectorELNS0_4arch9wavefront6targetE1EEEvSE_
; %bb.0:
	.section	.rodata,"a",@progbits
	.p2align	6, 0x0
	.amdhsa_kernel _ZN7rocprim17ROCPRIM_400000_NS6detail17trampoline_kernelINS0_14default_configENS1_35radix_sort_onesweep_config_selectorIllEEZNS1_34radix_sort_onesweep_global_offsetsIS3_Lb0EPlN6thrust23THRUST_200600_302600_NS10device_ptrIlEEjNS0_19identity_decomposerEEE10hipError_tT1_T2_PT3_SG_jT4_jjP12ihipStream_tbEUlT_E0_NS1_11comp_targetILNS1_3genE4ELNS1_11target_archE910ELNS1_3gpuE8ELNS1_3repE0EEENS1_52radix_sort_onesweep_histogram_config_static_selectorELNS0_4arch9wavefront6targetE1EEEvSE_
		.amdhsa_group_segment_fixed_size 0
		.amdhsa_private_segment_fixed_size 0
		.amdhsa_kernarg_size 8
		.amdhsa_user_sgpr_count 6
		.amdhsa_user_sgpr_private_segment_buffer 1
		.amdhsa_user_sgpr_dispatch_ptr 0
		.amdhsa_user_sgpr_queue_ptr 0
		.amdhsa_user_sgpr_kernarg_segment_ptr 1
		.amdhsa_user_sgpr_dispatch_id 0
		.amdhsa_user_sgpr_flat_scratch_init 0
		.amdhsa_user_sgpr_private_segment_size 0
		.amdhsa_uses_dynamic_stack 0
		.amdhsa_system_sgpr_private_segment_wavefront_offset 0
		.amdhsa_system_sgpr_workgroup_id_x 1
		.amdhsa_system_sgpr_workgroup_id_y 0
		.amdhsa_system_sgpr_workgroup_id_z 0
		.amdhsa_system_sgpr_workgroup_info 0
		.amdhsa_system_vgpr_workitem_id 0
		.amdhsa_next_free_vgpr 1
		.amdhsa_next_free_sgpr 0
		.amdhsa_reserve_vcc 0
		.amdhsa_reserve_flat_scratch 0
		.amdhsa_float_round_mode_32 0
		.amdhsa_float_round_mode_16_64 0
		.amdhsa_float_denorm_mode_32 3
		.amdhsa_float_denorm_mode_16_64 3
		.amdhsa_dx10_clamp 1
		.amdhsa_ieee_mode 1
		.amdhsa_fp16_overflow 0
		.amdhsa_exception_fp_ieee_invalid_op 0
		.amdhsa_exception_fp_denorm_src 0
		.amdhsa_exception_fp_ieee_div_zero 0
		.amdhsa_exception_fp_ieee_overflow 0
		.amdhsa_exception_fp_ieee_underflow 0
		.amdhsa_exception_fp_ieee_inexact 0
		.amdhsa_exception_int_div_zero 0
	.end_amdhsa_kernel
	.section	.text._ZN7rocprim17ROCPRIM_400000_NS6detail17trampoline_kernelINS0_14default_configENS1_35radix_sort_onesweep_config_selectorIllEEZNS1_34radix_sort_onesweep_global_offsetsIS3_Lb0EPlN6thrust23THRUST_200600_302600_NS10device_ptrIlEEjNS0_19identity_decomposerEEE10hipError_tT1_T2_PT3_SG_jT4_jjP12ihipStream_tbEUlT_E0_NS1_11comp_targetILNS1_3genE4ELNS1_11target_archE910ELNS1_3gpuE8ELNS1_3repE0EEENS1_52radix_sort_onesweep_histogram_config_static_selectorELNS0_4arch9wavefront6targetE1EEEvSE_,"axG",@progbits,_ZN7rocprim17ROCPRIM_400000_NS6detail17trampoline_kernelINS0_14default_configENS1_35radix_sort_onesweep_config_selectorIllEEZNS1_34radix_sort_onesweep_global_offsetsIS3_Lb0EPlN6thrust23THRUST_200600_302600_NS10device_ptrIlEEjNS0_19identity_decomposerEEE10hipError_tT1_T2_PT3_SG_jT4_jjP12ihipStream_tbEUlT_E0_NS1_11comp_targetILNS1_3genE4ELNS1_11target_archE910ELNS1_3gpuE8ELNS1_3repE0EEENS1_52radix_sort_onesweep_histogram_config_static_selectorELNS0_4arch9wavefront6targetE1EEEvSE_,comdat
.Lfunc_end1127:
	.size	_ZN7rocprim17ROCPRIM_400000_NS6detail17trampoline_kernelINS0_14default_configENS1_35radix_sort_onesweep_config_selectorIllEEZNS1_34radix_sort_onesweep_global_offsetsIS3_Lb0EPlN6thrust23THRUST_200600_302600_NS10device_ptrIlEEjNS0_19identity_decomposerEEE10hipError_tT1_T2_PT3_SG_jT4_jjP12ihipStream_tbEUlT_E0_NS1_11comp_targetILNS1_3genE4ELNS1_11target_archE910ELNS1_3gpuE8ELNS1_3repE0EEENS1_52radix_sort_onesweep_histogram_config_static_selectorELNS0_4arch9wavefront6targetE1EEEvSE_, .Lfunc_end1127-_ZN7rocprim17ROCPRIM_400000_NS6detail17trampoline_kernelINS0_14default_configENS1_35radix_sort_onesweep_config_selectorIllEEZNS1_34radix_sort_onesweep_global_offsetsIS3_Lb0EPlN6thrust23THRUST_200600_302600_NS10device_ptrIlEEjNS0_19identity_decomposerEEE10hipError_tT1_T2_PT3_SG_jT4_jjP12ihipStream_tbEUlT_E0_NS1_11comp_targetILNS1_3genE4ELNS1_11target_archE910ELNS1_3gpuE8ELNS1_3repE0EEENS1_52radix_sort_onesweep_histogram_config_static_selectorELNS0_4arch9wavefront6targetE1EEEvSE_
                                        ; -- End function
	.set _ZN7rocprim17ROCPRIM_400000_NS6detail17trampoline_kernelINS0_14default_configENS1_35radix_sort_onesweep_config_selectorIllEEZNS1_34radix_sort_onesweep_global_offsetsIS3_Lb0EPlN6thrust23THRUST_200600_302600_NS10device_ptrIlEEjNS0_19identity_decomposerEEE10hipError_tT1_T2_PT3_SG_jT4_jjP12ihipStream_tbEUlT_E0_NS1_11comp_targetILNS1_3genE4ELNS1_11target_archE910ELNS1_3gpuE8ELNS1_3repE0EEENS1_52radix_sort_onesweep_histogram_config_static_selectorELNS0_4arch9wavefront6targetE1EEEvSE_.num_vgpr, 0
	.set _ZN7rocprim17ROCPRIM_400000_NS6detail17trampoline_kernelINS0_14default_configENS1_35radix_sort_onesweep_config_selectorIllEEZNS1_34radix_sort_onesweep_global_offsetsIS3_Lb0EPlN6thrust23THRUST_200600_302600_NS10device_ptrIlEEjNS0_19identity_decomposerEEE10hipError_tT1_T2_PT3_SG_jT4_jjP12ihipStream_tbEUlT_E0_NS1_11comp_targetILNS1_3genE4ELNS1_11target_archE910ELNS1_3gpuE8ELNS1_3repE0EEENS1_52radix_sort_onesweep_histogram_config_static_selectorELNS0_4arch9wavefront6targetE1EEEvSE_.num_agpr, 0
	.set _ZN7rocprim17ROCPRIM_400000_NS6detail17trampoline_kernelINS0_14default_configENS1_35radix_sort_onesweep_config_selectorIllEEZNS1_34radix_sort_onesweep_global_offsetsIS3_Lb0EPlN6thrust23THRUST_200600_302600_NS10device_ptrIlEEjNS0_19identity_decomposerEEE10hipError_tT1_T2_PT3_SG_jT4_jjP12ihipStream_tbEUlT_E0_NS1_11comp_targetILNS1_3genE4ELNS1_11target_archE910ELNS1_3gpuE8ELNS1_3repE0EEENS1_52radix_sort_onesweep_histogram_config_static_selectorELNS0_4arch9wavefront6targetE1EEEvSE_.numbered_sgpr, 0
	.set _ZN7rocprim17ROCPRIM_400000_NS6detail17trampoline_kernelINS0_14default_configENS1_35radix_sort_onesweep_config_selectorIllEEZNS1_34radix_sort_onesweep_global_offsetsIS3_Lb0EPlN6thrust23THRUST_200600_302600_NS10device_ptrIlEEjNS0_19identity_decomposerEEE10hipError_tT1_T2_PT3_SG_jT4_jjP12ihipStream_tbEUlT_E0_NS1_11comp_targetILNS1_3genE4ELNS1_11target_archE910ELNS1_3gpuE8ELNS1_3repE0EEENS1_52radix_sort_onesweep_histogram_config_static_selectorELNS0_4arch9wavefront6targetE1EEEvSE_.num_named_barrier, 0
	.set _ZN7rocprim17ROCPRIM_400000_NS6detail17trampoline_kernelINS0_14default_configENS1_35radix_sort_onesweep_config_selectorIllEEZNS1_34radix_sort_onesweep_global_offsetsIS3_Lb0EPlN6thrust23THRUST_200600_302600_NS10device_ptrIlEEjNS0_19identity_decomposerEEE10hipError_tT1_T2_PT3_SG_jT4_jjP12ihipStream_tbEUlT_E0_NS1_11comp_targetILNS1_3genE4ELNS1_11target_archE910ELNS1_3gpuE8ELNS1_3repE0EEENS1_52radix_sort_onesweep_histogram_config_static_selectorELNS0_4arch9wavefront6targetE1EEEvSE_.private_seg_size, 0
	.set _ZN7rocprim17ROCPRIM_400000_NS6detail17trampoline_kernelINS0_14default_configENS1_35radix_sort_onesweep_config_selectorIllEEZNS1_34radix_sort_onesweep_global_offsetsIS3_Lb0EPlN6thrust23THRUST_200600_302600_NS10device_ptrIlEEjNS0_19identity_decomposerEEE10hipError_tT1_T2_PT3_SG_jT4_jjP12ihipStream_tbEUlT_E0_NS1_11comp_targetILNS1_3genE4ELNS1_11target_archE910ELNS1_3gpuE8ELNS1_3repE0EEENS1_52radix_sort_onesweep_histogram_config_static_selectorELNS0_4arch9wavefront6targetE1EEEvSE_.uses_vcc, 0
	.set _ZN7rocprim17ROCPRIM_400000_NS6detail17trampoline_kernelINS0_14default_configENS1_35radix_sort_onesweep_config_selectorIllEEZNS1_34radix_sort_onesweep_global_offsetsIS3_Lb0EPlN6thrust23THRUST_200600_302600_NS10device_ptrIlEEjNS0_19identity_decomposerEEE10hipError_tT1_T2_PT3_SG_jT4_jjP12ihipStream_tbEUlT_E0_NS1_11comp_targetILNS1_3genE4ELNS1_11target_archE910ELNS1_3gpuE8ELNS1_3repE0EEENS1_52radix_sort_onesweep_histogram_config_static_selectorELNS0_4arch9wavefront6targetE1EEEvSE_.uses_flat_scratch, 0
	.set _ZN7rocprim17ROCPRIM_400000_NS6detail17trampoline_kernelINS0_14default_configENS1_35radix_sort_onesweep_config_selectorIllEEZNS1_34radix_sort_onesweep_global_offsetsIS3_Lb0EPlN6thrust23THRUST_200600_302600_NS10device_ptrIlEEjNS0_19identity_decomposerEEE10hipError_tT1_T2_PT3_SG_jT4_jjP12ihipStream_tbEUlT_E0_NS1_11comp_targetILNS1_3genE4ELNS1_11target_archE910ELNS1_3gpuE8ELNS1_3repE0EEENS1_52radix_sort_onesweep_histogram_config_static_selectorELNS0_4arch9wavefront6targetE1EEEvSE_.has_dyn_sized_stack, 0
	.set _ZN7rocprim17ROCPRIM_400000_NS6detail17trampoline_kernelINS0_14default_configENS1_35radix_sort_onesweep_config_selectorIllEEZNS1_34radix_sort_onesweep_global_offsetsIS3_Lb0EPlN6thrust23THRUST_200600_302600_NS10device_ptrIlEEjNS0_19identity_decomposerEEE10hipError_tT1_T2_PT3_SG_jT4_jjP12ihipStream_tbEUlT_E0_NS1_11comp_targetILNS1_3genE4ELNS1_11target_archE910ELNS1_3gpuE8ELNS1_3repE0EEENS1_52radix_sort_onesweep_histogram_config_static_selectorELNS0_4arch9wavefront6targetE1EEEvSE_.has_recursion, 0
	.set _ZN7rocprim17ROCPRIM_400000_NS6detail17trampoline_kernelINS0_14default_configENS1_35radix_sort_onesweep_config_selectorIllEEZNS1_34radix_sort_onesweep_global_offsetsIS3_Lb0EPlN6thrust23THRUST_200600_302600_NS10device_ptrIlEEjNS0_19identity_decomposerEEE10hipError_tT1_T2_PT3_SG_jT4_jjP12ihipStream_tbEUlT_E0_NS1_11comp_targetILNS1_3genE4ELNS1_11target_archE910ELNS1_3gpuE8ELNS1_3repE0EEENS1_52radix_sort_onesweep_histogram_config_static_selectorELNS0_4arch9wavefront6targetE1EEEvSE_.has_indirect_call, 0
	.section	.AMDGPU.csdata,"",@progbits
; Kernel info:
; codeLenInByte = 0
; TotalNumSgprs: 4
; NumVgprs: 0
; ScratchSize: 0
; MemoryBound: 0
; FloatMode: 240
; IeeeMode: 1
; LDSByteSize: 0 bytes/workgroup (compile time only)
; SGPRBlocks: 0
; VGPRBlocks: 0
; NumSGPRsForWavesPerEU: 4
; NumVGPRsForWavesPerEU: 1
; Occupancy: 10
; WaveLimiterHint : 0
; COMPUTE_PGM_RSRC2:SCRATCH_EN: 0
; COMPUTE_PGM_RSRC2:USER_SGPR: 6
; COMPUTE_PGM_RSRC2:TRAP_HANDLER: 0
; COMPUTE_PGM_RSRC2:TGID_X_EN: 1
; COMPUTE_PGM_RSRC2:TGID_Y_EN: 0
; COMPUTE_PGM_RSRC2:TGID_Z_EN: 0
; COMPUTE_PGM_RSRC2:TIDIG_COMP_CNT: 0
	.section	.text._ZN7rocprim17ROCPRIM_400000_NS6detail17trampoline_kernelINS0_14default_configENS1_35radix_sort_onesweep_config_selectorIllEEZNS1_34radix_sort_onesweep_global_offsetsIS3_Lb0EPlN6thrust23THRUST_200600_302600_NS10device_ptrIlEEjNS0_19identity_decomposerEEE10hipError_tT1_T2_PT3_SG_jT4_jjP12ihipStream_tbEUlT_E0_NS1_11comp_targetILNS1_3genE3ELNS1_11target_archE908ELNS1_3gpuE7ELNS1_3repE0EEENS1_52radix_sort_onesweep_histogram_config_static_selectorELNS0_4arch9wavefront6targetE1EEEvSE_,"axG",@progbits,_ZN7rocprim17ROCPRIM_400000_NS6detail17trampoline_kernelINS0_14default_configENS1_35radix_sort_onesweep_config_selectorIllEEZNS1_34radix_sort_onesweep_global_offsetsIS3_Lb0EPlN6thrust23THRUST_200600_302600_NS10device_ptrIlEEjNS0_19identity_decomposerEEE10hipError_tT1_T2_PT3_SG_jT4_jjP12ihipStream_tbEUlT_E0_NS1_11comp_targetILNS1_3genE3ELNS1_11target_archE908ELNS1_3gpuE7ELNS1_3repE0EEENS1_52radix_sort_onesweep_histogram_config_static_selectorELNS0_4arch9wavefront6targetE1EEEvSE_,comdat
	.protected	_ZN7rocprim17ROCPRIM_400000_NS6detail17trampoline_kernelINS0_14default_configENS1_35radix_sort_onesweep_config_selectorIllEEZNS1_34radix_sort_onesweep_global_offsetsIS3_Lb0EPlN6thrust23THRUST_200600_302600_NS10device_ptrIlEEjNS0_19identity_decomposerEEE10hipError_tT1_T2_PT3_SG_jT4_jjP12ihipStream_tbEUlT_E0_NS1_11comp_targetILNS1_3genE3ELNS1_11target_archE908ELNS1_3gpuE7ELNS1_3repE0EEENS1_52radix_sort_onesweep_histogram_config_static_selectorELNS0_4arch9wavefront6targetE1EEEvSE_ ; -- Begin function _ZN7rocprim17ROCPRIM_400000_NS6detail17trampoline_kernelINS0_14default_configENS1_35radix_sort_onesweep_config_selectorIllEEZNS1_34radix_sort_onesweep_global_offsetsIS3_Lb0EPlN6thrust23THRUST_200600_302600_NS10device_ptrIlEEjNS0_19identity_decomposerEEE10hipError_tT1_T2_PT3_SG_jT4_jjP12ihipStream_tbEUlT_E0_NS1_11comp_targetILNS1_3genE3ELNS1_11target_archE908ELNS1_3gpuE7ELNS1_3repE0EEENS1_52radix_sort_onesweep_histogram_config_static_selectorELNS0_4arch9wavefront6targetE1EEEvSE_
	.globl	_ZN7rocprim17ROCPRIM_400000_NS6detail17trampoline_kernelINS0_14default_configENS1_35radix_sort_onesweep_config_selectorIllEEZNS1_34radix_sort_onesweep_global_offsetsIS3_Lb0EPlN6thrust23THRUST_200600_302600_NS10device_ptrIlEEjNS0_19identity_decomposerEEE10hipError_tT1_T2_PT3_SG_jT4_jjP12ihipStream_tbEUlT_E0_NS1_11comp_targetILNS1_3genE3ELNS1_11target_archE908ELNS1_3gpuE7ELNS1_3repE0EEENS1_52radix_sort_onesweep_histogram_config_static_selectorELNS0_4arch9wavefront6targetE1EEEvSE_
	.p2align	8
	.type	_ZN7rocprim17ROCPRIM_400000_NS6detail17trampoline_kernelINS0_14default_configENS1_35radix_sort_onesweep_config_selectorIllEEZNS1_34radix_sort_onesweep_global_offsetsIS3_Lb0EPlN6thrust23THRUST_200600_302600_NS10device_ptrIlEEjNS0_19identity_decomposerEEE10hipError_tT1_T2_PT3_SG_jT4_jjP12ihipStream_tbEUlT_E0_NS1_11comp_targetILNS1_3genE3ELNS1_11target_archE908ELNS1_3gpuE7ELNS1_3repE0EEENS1_52radix_sort_onesweep_histogram_config_static_selectorELNS0_4arch9wavefront6targetE1EEEvSE_,@function
_ZN7rocprim17ROCPRIM_400000_NS6detail17trampoline_kernelINS0_14default_configENS1_35radix_sort_onesweep_config_selectorIllEEZNS1_34radix_sort_onesweep_global_offsetsIS3_Lb0EPlN6thrust23THRUST_200600_302600_NS10device_ptrIlEEjNS0_19identity_decomposerEEE10hipError_tT1_T2_PT3_SG_jT4_jjP12ihipStream_tbEUlT_E0_NS1_11comp_targetILNS1_3genE3ELNS1_11target_archE908ELNS1_3gpuE7ELNS1_3repE0EEENS1_52radix_sort_onesweep_histogram_config_static_selectorELNS0_4arch9wavefront6targetE1EEEvSE_: ; @_ZN7rocprim17ROCPRIM_400000_NS6detail17trampoline_kernelINS0_14default_configENS1_35radix_sort_onesweep_config_selectorIllEEZNS1_34radix_sort_onesweep_global_offsetsIS3_Lb0EPlN6thrust23THRUST_200600_302600_NS10device_ptrIlEEjNS0_19identity_decomposerEEE10hipError_tT1_T2_PT3_SG_jT4_jjP12ihipStream_tbEUlT_E0_NS1_11comp_targetILNS1_3genE3ELNS1_11target_archE908ELNS1_3gpuE7ELNS1_3repE0EEENS1_52radix_sort_onesweep_histogram_config_static_selectorELNS0_4arch9wavefront6targetE1EEEvSE_
; %bb.0:
	.section	.rodata,"a",@progbits
	.p2align	6, 0x0
	.amdhsa_kernel _ZN7rocprim17ROCPRIM_400000_NS6detail17trampoline_kernelINS0_14default_configENS1_35radix_sort_onesweep_config_selectorIllEEZNS1_34radix_sort_onesweep_global_offsetsIS3_Lb0EPlN6thrust23THRUST_200600_302600_NS10device_ptrIlEEjNS0_19identity_decomposerEEE10hipError_tT1_T2_PT3_SG_jT4_jjP12ihipStream_tbEUlT_E0_NS1_11comp_targetILNS1_3genE3ELNS1_11target_archE908ELNS1_3gpuE7ELNS1_3repE0EEENS1_52radix_sort_onesweep_histogram_config_static_selectorELNS0_4arch9wavefront6targetE1EEEvSE_
		.amdhsa_group_segment_fixed_size 0
		.amdhsa_private_segment_fixed_size 0
		.amdhsa_kernarg_size 8
		.amdhsa_user_sgpr_count 6
		.amdhsa_user_sgpr_private_segment_buffer 1
		.amdhsa_user_sgpr_dispatch_ptr 0
		.amdhsa_user_sgpr_queue_ptr 0
		.amdhsa_user_sgpr_kernarg_segment_ptr 1
		.amdhsa_user_sgpr_dispatch_id 0
		.amdhsa_user_sgpr_flat_scratch_init 0
		.amdhsa_user_sgpr_private_segment_size 0
		.amdhsa_uses_dynamic_stack 0
		.amdhsa_system_sgpr_private_segment_wavefront_offset 0
		.amdhsa_system_sgpr_workgroup_id_x 1
		.amdhsa_system_sgpr_workgroup_id_y 0
		.amdhsa_system_sgpr_workgroup_id_z 0
		.amdhsa_system_sgpr_workgroup_info 0
		.amdhsa_system_vgpr_workitem_id 0
		.amdhsa_next_free_vgpr 1
		.amdhsa_next_free_sgpr 0
		.amdhsa_reserve_vcc 0
		.amdhsa_reserve_flat_scratch 0
		.amdhsa_float_round_mode_32 0
		.amdhsa_float_round_mode_16_64 0
		.amdhsa_float_denorm_mode_32 3
		.amdhsa_float_denorm_mode_16_64 3
		.amdhsa_dx10_clamp 1
		.amdhsa_ieee_mode 1
		.amdhsa_fp16_overflow 0
		.amdhsa_exception_fp_ieee_invalid_op 0
		.amdhsa_exception_fp_denorm_src 0
		.amdhsa_exception_fp_ieee_div_zero 0
		.amdhsa_exception_fp_ieee_overflow 0
		.amdhsa_exception_fp_ieee_underflow 0
		.amdhsa_exception_fp_ieee_inexact 0
		.amdhsa_exception_int_div_zero 0
	.end_amdhsa_kernel
	.section	.text._ZN7rocprim17ROCPRIM_400000_NS6detail17trampoline_kernelINS0_14default_configENS1_35radix_sort_onesweep_config_selectorIllEEZNS1_34radix_sort_onesweep_global_offsetsIS3_Lb0EPlN6thrust23THRUST_200600_302600_NS10device_ptrIlEEjNS0_19identity_decomposerEEE10hipError_tT1_T2_PT3_SG_jT4_jjP12ihipStream_tbEUlT_E0_NS1_11comp_targetILNS1_3genE3ELNS1_11target_archE908ELNS1_3gpuE7ELNS1_3repE0EEENS1_52radix_sort_onesweep_histogram_config_static_selectorELNS0_4arch9wavefront6targetE1EEEvSE_,"axG",@progbits,_ZN7rocprim17ROCPRIM_400000_NS6detail17trampoline_kernelINS0_14default_configENS1_35radix_sort_onesweep_config_selectorIllEEZNS1_34radix_sort_onesweep_global_offsetsIS3_Lb0EPlN6thrust23THRUST_200600_302600_NS10device_ptrIlEEjNS0_19identity_decomposerEEE10hipError_tT1_T2_PT3_SG_jT4_jjP12ihipStream_tbEUlT_E0_NS1_11comp_targetILNS1_3genE3ELNS1_11target_archE908ELNS1_3gpuE7ELNS1_3repE0EEENS1_52radix_sort_onesweep_histogram_config_static_selectorELNS0_4arch9wavefront6targetE1EEEvSE_,comdat
.Lfunc_end1128:
	.size	_ZN7rocprim17ROCPRIM_400000_NS6detail17trampoline_kernelINS0_14default_configENS1_35radix_sort_onesweep_config_selectorIllEEZNS1_34radix_sort_onesweep_global_offsetsIS3_Lb0EPlN6thrust23THRUST_200600_302600_NS10device_ptrIlEEjNS0_19identity_decomposerEEE10hipError_tT1_T2_PT3_SG_jT4_jjP12ihipStream_tbEUlT_E0_NS1_11comp_targetILNS1_3genE3ELNS1_11target_archE908ELNS1_3gpuE7ELNS1_3repE0EEENS1_52radix_sort_onesweep_histogram_config_static_selectorELNS0_4arch9wavefront6targetE1EEEvSE_, .Lfunc_end1128-_ZN7rocprim17ROCPRIM_400000_NS6detail17trampoline_kernelINS0_14default_configENS1_35radix_sort_onesweep_config_selectorIllEEZNS1_34radix_sort_onesweep_global_offsetsIS3_Lb0EPlN6thrust23THRUST_200600_302600_NS10device_ptrIlEEjNS0_19identity_decomposerEEE10hipError_tT1_T2_PT3_SG_jT4_jjP12ihipStream_tbEUlT_E0_NS1_11comp_targetILNS1_3genE3ELNS1_11target_archE908ELNS1_3gpuE7ELNS1_3repE0EEENS1_52radix_sort_onesweep_histogram_config_static_selectorELNS0_4arch9wavefront6targetE1EEEvSE_
                                        ; -- End function
	.set _ZN7rocprim17ROCPRIM_400000_NS6detail17trampoline_kernelINS0_14default_configENS1_35radix_sort_onesweep_config_selectorIllEEZNS1_34radix_sort_onesweep_global_offsetsIS3_Lb0EPlN6thrust23THRUST_200600_302600_NS10device_ptrIlEEjNS0_19identity_decomposerEEE10hipError_tT1_T2_PT3_SG_jT4_jjP12ihipStream_tbEUlT_E0_NS1_11comp_targetILNS1_3genE3ELNS1_11target_archE908ELNS1_3gpuE7ELNS1_3repE0EEENS1_52radix_sort_onesweep_histogram_config_static_selectorELNS0_4arch9wavefront6targetE1EEEvSE_.num_vgpr, 0
	.set _ZN7rocprim17ROCPRIM_400000_NS6detail17trampoline_kernelINS0_14default_configENS1_35radix_sort_onesweep_config_selectorIllEEZNS1_34radix_sort_onesweep_global_offsetsIS3_Lb0EPlN6thrust23THRUST_200600_302600_NS10device_ptrIlEEjNS0_19identity_decomposerEEE10hipError_tT1_T2_PT3_SG_jT4_jjP12ihipStream_tbEUlT_E0_NS1_11comp_targetILNS1_3genE3ELNS1_11target_archE908ELNS1_3gpuE7ELNS1_3repE0EEENS1_52radix_sort_onesweep_histogram_config_static_selectorELNS0_4arch9wavefront6targetE1EEEvSE_.num_agpr, 0
	.set _ZN7rocprim17ROCPRIM_400000_NS6detail17trampoline_kernelINS0_14default_configENS1_35radix_sort_onesweep_config_selectorIllEEZNS1_34radix_sort_onesweep_global_offsetsIS3_Lb0EPlN6thrust23THRUST_200600_302600_NS10device_ptrIlEEjNS0_19identity_decomposerEEE10hipError_tT1_T2_PT3_SG_jT4_jjP12ihipStream_tbEUlT_E0_NS1_11comp_targetILNS1_3genE3ELNS1_11target_archE908ELNS1_3gpuE7ELNS1_3repE0EEENS1_52radix_sort_onesweep_histogram_config_static_selectorELNS0_4arch9wavefront6targetE1EEEvSE_.numbered_sgpr, 0
	.set _ZN7rocprim17ROCPRIM_400000_NS6detail17trampoline_kernelINS0_14default_configENS1_35radix_sort_onesweep_config_selectorIllEEZNS1_34radix_sort_onesweep_global_offsetsIS3_Lb0EPlN6thrust23THRUST_200600_302600_NS10device_ptrIlEEjNS0_19identity_decomposerEEE10hipError_tT1_T2_PT3_SG_jT4_jjP12ihipStream_tbEUlT_E0_NS1_11comp_targetILNS1_3genE3ELNS1_11target_archE908ELNS1_3gpuE7ELNS1_3repE0EEENS1_52radix_sort_onesweep_histogram_config_static_selectorELNS0_4arch9wavefront6targetE1EEEvSE_.num_named_barrier, 0
	.set _ZN7rocprim17ROCPRIM_400000_NS6detail17trampoline_kernelINS0_14default_configENS1_35radix_sort_onesweep_config_selectorIllEEZNS1_34radix_sort_onesweep_global_offsetsIS3_Lb0EPlN6thrust23THRUST_200600_302600_NS10device_ptrIlEEjNS0_19identity_decomposerEEE10hipError_tT1_T2_PT3_SG_jT4_jjP12ihipStream_tbEUlT_E0_NS1_11comp_targetILNS1_3genE3ELNS1_11target_archE908ELNS1_3gpuE7ELNS1_3repE0EEENS1_52radix_sort_onesweep_histogram_config_static_selectorELNS0_4arch9wavefront6targetE1EEEvSE_.private_seg_size, 0
	.set _ZN7rocprim17ROCPRIM_400000_NS6detail17trampoline_kernelINS0_14default_configENS1_35radix_sort_onesweep_config_selectorIllEEZNS1_34radix_sort_onesweep_global_offsetsIS3_Lb0EPlN6thrust23THRUST_200600_302600_NS10device_ptrIlEEjNS0_19identity_decomposerEEE10hipError_tT1_T2_PT3_SG_jT4_jjP12ihipStream_tbEUlT_E0_NS1_11comp_targetILNS1_3genE3ELNS1_11target_archE908ELNS1_3gpuE7ELNS1_3repE0EEENS1_52radix_sort_onesweep_histogram_config_static_selectorELNS0_4arch9wavefront6targetE1EEEvSE_.uses_vcc, 0
	.set _ZN7rocprim17ROCPRIM_400000_NS6detail17trampoline_kernelINS0_14default_configENS1_35radix_sort_onesweep_config_selectorIllEEZNS1_34radix_sort_onesweep_global_offsetsIS3_Lb0EPlN6thrust23THRUST_200600_302600_NS10device_ptrIlEEjNS0_19identity_decomposerEEE10hipError_tT1_T2_PT3_SG_jT4_jjP12ihipStream_tbEUlT_E0_NS1_11comp_targetILNS1_3genE3ELNS1_11target_archE908ELNS1_3gpuE7ELNS1_3repE0EEENS1_52radix_sort_onesweep_histogram_config_static_selectorELNS0_4arch9wavefront6targetE1EEEvSE_.uses_flat_scratch, 0
	.set _ZN7rocprim17ROCPRIM_400000_NS6detail17trampoline_kernelINS0_14default_configENS1_35radix_sort_onesweep_config_selectorIllEEZNS1_34radix_sort_onesweep_global_offsetsIS3_Lb0EPlN6thrust23THRUST_200600_302600_NS10device_ptrIlEEjNS0_19identity_decomposerEEE10hipError_tT1_T2_PT3_SG_jT4_jjP12ihipStream_tbEUlT_E0_NS1_11comp_targetILNS1_3genE3ELNS1_11target_archE908ELNS1_3gpuE7ELNS1_3repE0EEENS1_52radix_sort_onesweep_histogram_config_static_selectorELNS0_4arch9wavefront6targetE1EEEvSE_.has_dyn_sized_stack, 0
	.set _ZN7rocprim17ROCPRIM_400000_NS6detail17trampoline_kernelINS0_14default_configENS1_35radix_sort_onesweep_config_selectorIllEEZNS1_34radix_sort_onesweep_global_offsetsIS3_Lb0EPlN6thrust23THRUST_200600_302600_NS10device_ptrIlEEjNS0_19identity_decomposerEEE10hipError_tT1_T2_PT3_SG_jT4_jjP12ihipStream_tbEUlT_E0_NS1_11comp_targetILNS1_3genE3ELNS1_11target_archE908ELNS1_3gpuE7ELNS1_3repE0EEENS1_52radix_sort_onesweep_histogram_config_static_selectorELNS0_4arch9wavefront6targetE1EEEvSE_.has_recursion, 0
	.set _ZN7rocprim17ROCPRIM_400000_NS6detail17trampoline_kernelINS0_14default_configENS1_35radix_sort_onesweep_config_selectorIllEEZNS1_34radix_sort_onesweep_global_offsetsIS3_Lb0EPlN6thrust23THRUST_200600_302600_NS10device_ptrIlEEjNS0_19identity_decomposerEEE10hipError_tT1_T2_PT3_SG_jT4_jjP12ihipStream_tbEUlT_E0_NS1_11comp_targetILNS1_3genE3ELNS1_11target_archE908ELNS1_3gpuE7ELNS1_3repE0EEENS1_52radix_sort_onesweep_histogram_config_static_selectorELNS0_4arch9wavefront6targetE1EEEvSE_.has_indirect_call, 0
	.section	.AMDGPU.csdata,"",@progbits
; Kernel info:
; codeLenInByte = 0
; TotalNumSgprs: 4
; NumVgprs: 0
; ScratchSize: 0
; MemoryBound: 0
; FloatMode: 240
; IeeeMode: 1
; LDSByteSize: 0 bytes/workgroup (compile time only)
; SGPRBlocks: 0
; VGPRBlocks: 0
; NumSGPRsForWavesPerEU: 4
; NumVGPRsForWavesPerEU: 1
; Occupancy: 10
; WaveLimiterHint : 0
; COMPUTE_PGM_RSRC2:SCRATCH_EN: 0
; COMPUTE_PGM_RSRC2:USER_SGPR: 6
; COMPUTE_PGM_RSRC2:TRAP_HANDLER: 0
; COMPUTE_PGM_RSRC2:TGID_X_EN: 1
; COMPUTE_PGM_RSRC2:TGID_Y_EN: 0
; COMPUTE_PGM_RSRC2:TGID_Z_EN: 0
; COMPUTE_PGM_RSRC2:TIDIG_COMP_CNT: 0
	.section	.text._ZN7rocprim17ROCPRIM_400000_NS6detail17trampoline_kernelINS0_14default_configENS1_35radix_sort_onesweep_config_selectorIllEEZNS1_34radix_sort_onesweep_global_offsetsIS3_Lb0EPlN6thrust23THRUST_200600_302600_NS10device_ptrIlEEjNS0_19identity_decomposerEEE10hipError_tT1_T2_PT3_SG_jT4_jjP12ihipStream_tbEUlT_E0_NS1_11comp_targetILNS1_3genE10ELNS1_11target_archE1201ELNS1_3gpuE5ELNS1_3repE0EEENS1_52radix_sort_onesweep_histogram_config_static_selectorELNS0_4arch9wavefront6targetE1EEEvSE_,"axG",@progbits,_ZN7rocprim17ROCPRIM_400000_NS6detail17trampoline_kernelINS0_14default_configENS1_35radix_sort_onesweep_config_selectorIllEEZNS1_34radix_sort_onesweep_global_offsetsIS3_Lb0EPlN6thrust23THRUST_200600_302600_NS10device_ptrIlEEjNS0_19identity_decomposerEEE10hipError_tT1_T2_PT3_SG_jT4_jjP12ihipStream_tbEUlT_E0_NS1_11comp_targetILNS1_3genE10ELNS1_11target_archE1201ELNS1_3gpuE5ELNS1_3repE0EEENS1_52radix_sort_onesweep_histogram_config_static_selectorELNS0_4arch9wavefront6targetE1EEEvSE_,comdat
	.protected	_ZN7rocprim17ROCPRIM_400000_NS6detail17trampoline_kernelINS0_14default_configENS1_35radix_sort_onesweep_config_selectorIllEEZNS1_34radix_sort_onesweep_global_offsetsIS3_Lb0EPlN6thrust23THRUST_200600_302600_NS10device_ptrIlEEjNS0_19identity_decomposerEEE10hipError_tT1_T2_PT3_SG_jT4_jjP12ihipStream_tbEUlT_E0_NS1_11comp_targetILNS1_3genE10ELNS1_11target_archE1201ELNS1_3gpuE5ELNS1_3repE0EEENS1_52radix_sort_onesweep_histogram_config_static_selectorELNS0_4arch9wavefront6targetE1EEEvSE_ ; -- Begin function _ZN7rocprim17ROCPRIM_400000_NS6detail17trampoline_kernelINS0_14default_configENS1_35radix_sort_onesweep_config_selectorIllEEZNS1_34radix_sort_onesweep_global_offsetsIS3_Lb0EPlN6thrust23THRUST_200600_302600_NS10device_ptrIlEEjNS0_19identity_decomposerEEE10hipError_tT1_T2_PT3_SG_jT4_jjP12ihipStream_tbEUlT_E0_NS1_11comp_targetILNS1_3genE10ELNS1_11target_archE1201ELNS1_3gpuE5ELNS1_3repE0EEENS1_52radix_sort_onesweep_histogram_config_static_selectorELNS0_4arch9wavefront6targetE1EEEvSE_
	.globl	_ZN7rocprim17ROCPRIM_400000_NS6detail17trampoline_kernelINS0_14default_configENS1_35radix_sort_onesweep_config_selectorIllEEZNS1_34radix_sort_onesweep_global_offsetsIS3_Lb0EPlN6thrust23THRUST_200600_302600_NS10device_ptrIlEEjNS0_19identity_decomposerEEE10hipError_tT1_T2_PT3_SG_jT4_jjP12ihipStream_tbEUlT_E0_NS1_11comp_targetILNS1_3genE10ELNS1_11target_archE1201ELNS1_3gpuE5ELNS1_3repE0EEENS1_52radix_sort_onesweep_histogram_config_static_selectorELNS0_4arch9wavefront6targetE1EEEvSE_
	.p2align	8
	.type	_ZN7rocprim17ROCPRIM_400000_NS6detail17trampoline_kernelINS0_14default_configENS1_35radix_sort_onesweep_config_selectorIllEEZNS1_34radix_sort_onesweep_global_offsetsIS3_Lb0EPlN6thrust23THRUST_200600_302600_NS10device_ptrIlEEjNS0_19identity_decomposerEEE10hipError_tT1_T2_PT3_SG_jT4_jjP12ihipStream_tbEUlT_E0_NS1_11comp_targetILNS1_3genE10ELNS1_11target_archE1201ELNS1_3gpuE5ELNS1_3repE0EEENS1_52radix_sort_onesweep_histogram_config_static_selectorELNS0_4arch9wavefront6targetE1EEEvSE_,@function
_ZN7rocprim17ROCPRIM_400000_NS6detail17trampoline_kernelINS0_14default_configENS1_35radix_sort_onesweep_config_selectorIllEEZNS1_34radix_sort_onesweep_global_offsetsIS3_Lb0EPlN6thrust23THRUST_200600_302600_NS10device_ptrIlEEjNS0_19identity_decomposerEEE10hipError_tT1_T2_PT3_SG_jT4_jjP12ihipStream_tbEUlT_E0_NS1_11comp_targetILNS1_3genE10ELNS1_11target_archE1201ELNS1_3gpuE5ELNS1_3repE0EEENS1_52radix_sort_onesweep_histogram_config_static_selectorELNS0_4arch9wavefront6targetE1EEEvSE_: ; @_ZN7rocprim17ROCPRIM_400000_NS6detail17trampoline_kernelINS0_14default_configENS1_35radix_sort_onesweep_config_selectorIllEEZNS1_34radix_sort_onesweep_global_offsetsIS3_Lb0EPlN6thrust23THRUST_200600_302600_NS10device_ptrIlEEjNS0_19identity_decomposerEEE10hipError_tT1_T2_PT3_SG_jT4_jjP12ihipStream_tbEUlT_E0_NS1_11comp_targetILNS1_3genE10ELNS1_11target_archE1201ELNS1_3gpuE5ELNS1_3repE0EEENS1_52radix_sort_onesweep_histogram_config_static_selectorELNS0_4arch9wavefront6targetE1EEEvSE_
; %bb.0:
	.section	.rodata,"a",@progbits
	.p2align	6, 0x0
	.amdhsa_kernel _ZN7rocprim17ROCPRIM_400000_NS6detail17trampoline_kernelINS0_14default_configENS1_35radix_sort_onesweep_config_selectorIllEEZNS1_34radix_sort_onesweep_global_offsetsIS3_Lb0EPlN6thrust23THRUST_200600_302600_NS10device_ptrIlEEjNS0_19identity_decomposerEEE10hipError_tT1_T2_PT3_SG_jT4_jjP12ihipStream_tbEUlT_E0_NS1_11comp_targetILNS1_3genE10ELNS1_11target_archE1201ELNS1_3gpuE5ELNS1_3repE0EEENS1_52radix_sort_onesweep_histogram_config_static_selectorELNS0_4arch9wavefront6targetE1EEEvSE_
		.amdhsa_group_segment_fixed_size 0
		.amdhsa_private_segment_fixed_size 0
		.amdhsa_kernarg_size 8
		.amdhsa_user_sgpr_count 6
		.amdhsa_user_sgpr_private_segment_buffer 1
		.amdhsa_user_sgpr_dispatch_ptr 0
		.amdhsa_user_sgpr_queue_ptr 0
		.amdhsa_user_sgpr_kernarg_segment_ptr 1
		.amdhsa_user_sgpr_dispatch_id 0
		.amdhsa_user_sgpr_flat_scratch_init 0
		.amdhsa_user_sgpr_private_segment_size 0
		.amdhsa_uses_dynamic_stack 0
		.amdhsa_system_sgpr_private_segment_wavefront_offset 0
		.amdhsa_system_sgpr_workgroup_id_x 1
		.amdhsa_system_sgpr_workgroup_id_y 0
		.amdhsa_system_sgpr_workgroup_id_z 0
		.amdhsa_system_sgpr_workgroup_info 0
		.amdhsa_system_vgpr_workitem_id 0
		.amdhsa_next_free_vgpr 1
		.amdhsa_next_free_sgpr 0
		.amdhsa_reserve_vcc 0
		.amdhsa_reserve_flat_scratch 0
		.amdhsa_float_round_mode_32 0
		.amdhsa_float_round_mode_16_64 0
		.amdhsa_float_denorm_mode_32 3
		.amdhsa_float_denorm_mode_16_64 3
		.amdhsa_dx10_clamp 1
		.amdhsa_ieee_mode 1
		.amdhsa_fp16_overflow 0
		.amdhsa_exception_fp_ieee_invalid_op 0
		.amdhsa_exception_fp_denorm_src 0
		.amdhsa_exception_fp_ieee_div_zero 0
		.amdhsa_exception_fp_ieee_overflow 0
		.amdhsa_exception_fp_ieee_underflow 0
		.amdhsa_exception_fp_ieee_inexact 0
		.amdhsa_exception_int_div_zero 0
	.end_amdhsa_kernel
	.section	.text._ZN7rocprim17ROCPRIM_400000_NS6detail17trampoline_kernelINS0_14default_configENS1_35radix_sort_onesweep_config_selectorIllEEZNS1_34radix_sort_onesweep_global_offsetsIS3_Lb0EPlN6thrust23THRUST_200600_302600_NS10device_ptrIlEEjNS0_19identity_decomposerEEE10hipError_tT1_T2_PT3_SG_jT4_jjP12ihipStream_tbEUlT_E0_NS1_11comp_targetILNS1_3genE10ELNS1_11target_archE1201ELNS1_3gpuE5ELNS1_3repE0EEENS1_52radix_sort_onesweep_histogram_config_static_selectorELNS0_4arch9wavefront6targetE1EEEvSE_,"axG",@progbits,_ZN7rocprim17ROCPRIM_400000_NS6detail17trampoline_kernelINS0_14default_configENS1_35radix_sort_onesweep_config_selectorIllEEZNS1_34radix_sort_onesweep_global_offsetsIS3_Lb0EPlN6thrust23THRUST_200600_302600_NS10device_ptrIlEEjNS0_19identity_decomposerEEE10hipError_tT1_T2_PT3_SG_jT4_jjP12ihipStream_tbEUlT_E0_NS1_11comp_targetILNS1_3genE10ELNS1_11target_archE1201ELNS1_3gpuE5ELNS1_3repE0EEENS1_52radix_sort_onesweep_histogram_config_static_selectorELNS0_4arch9wavefront6targetE1EEEvSE_,comdat
.Lfunc_end1129:
	.size	_ZN7rocprim17ROCPRIM_400000_NS6detail17trampoline_kernelINS0_14default_configENS1_35radix_sort_onesweep_config_selectorIllEEZNS1_34radix_sort_onesweep_global_offsetsIS3_Lb0EPlN6thrust23THRUST_200600_302600_NS10device_ptrIlEEjNS0_19identity_decomposerEEE10hipError_tT1_T2_PT3_SG_jT4_jjP12ihipStream_tbEUlT_E0_NS1_11comp_targetILNS1_3genE10ELNS1_11target_archE1201ELNS1_3gpuE5ELNS1_3repE0EEENS1_52radix_sort_onesweep_histogram_config_static_selectorELNS0_4arch9wavefront6targetE1EEEvSE_, .Lfunc_end1129-_ZN7rocprim17ROCPRIM_400000_NS6detail17trampoline_kernelINS0_14default_configENS1_35radix_sort_onesweep_config_selectorIllEEZNS1_34radix_sort_onesweep_global_offsetsIS3_Lb0EPlN6thrust23THRUST_200600_302600_NS10device_ptrIlEEjNS0_19identity_decomposerEEE10hipError_tT1_T2_PT3_SG_jT4_jjP12ihipStream_tbEUlT_E0_NS1_11comp_targetILNS1_3genE10ELNS1_11target_archE1201ELNS1_3gpuE5ELNS1_3repE0EEENS1_52radix_sort_onesweep_histogram_config_static_selectorELNS0_4arch9wavefront6targetE1EEEvSE_
                                        ; -- End function
	.set _ZN7rocprim17ROCPRIM_400000_NS6detail17trampoline_kernelINS0_14default_configENS1_35radix_sort_onesweep_config_selectorIllEEZNS1_34radix_sort_onesweep_global_offsetsIS3_Lb0EPlN6thrust23THRUST_200600_302600_NS10device_ptrIlEEjNS0_19identity_decomposerEEE10hipError_tT1_T2_PT3_SG_jT4_jjP12ihipStream_tbEUlT_E0_NS1_11comp_targetILNS1_3genE10ELNS1_11target_archE1201ELNS1_3gpuE5ELNS1_3repE0EEENS1_52radix_sort_onesweep_histogram_config_static_selectorELNS0_4arch9wavefront6targetE1EEEvSE_.num_vgpr, 0
	.set _ZN7rocprim17ROCPRIM_400000_NS6detail17trampoline_kernelINS0_14default_configENS1_35radix_sort_onesweep_config_selectorIllEEZNS1_34radix_sort_onesweep_global_offsetsIS3_Lb0EPlN6thrust23THRUST_200600_302600_NS10device_ptrIlEEjNS0_19identity_decomposerEEE10hipError_tT1_T2_PT3_SG_jT4_jjP12ihipStream_tbEUlT_E0_NS1_11comp_targetILNS1_3genE10ELNS1_11target_archE1201ELNS1_3gpuE5ELNS1_3repE0EEENS1_52radix_sort_onesweep_histogram_config_static_selectorELNS0_4arch9wavefront6targetE1EEEvSE_.num_agpr, 0
	.set _ZN7rocprim17ROCPRIM_400000_NS6detail17trampoline_kernelINS0_14default_configENS1_35radix_sort_onesweep_config_selectorIllEEZNS1_34radix_sort_onesweep_global_offsetsIS3_Lb0EPlN6thrust23THRUST_200600_302600_NS10device_ptrIlEEjNS0_19identity_decomposerEEE10hipError_tT1_T2_PT3_SG_jT4_jjP12ihipStream_tbEUlT_E0_NS1_11comp_targetILNS1_3genE10ELNS1_11target_archE1201ELNS1_3gpuE5ELNS1_3repE0EEENS1_52radix_sort_onesweep_histogram_config_static_selectorELNS0_4arch9wavefront6targetE1EEEvSE_.numbered_sgpr, 0
	.set _ZN7rocprim17ROCPRIM_400000_NS6detail17trampoline_kernelINS0_14default_configENS1_35radix_sort_onesweep_config_selectorIllEEZNS1_34radix_sort_onesweep_global_offsetsIS3_Lb0EPlN6thrust23THRUST_200600_302600_NS10device_ptrIlEEjNS0_19identity_decomposerEEE10hipError_tT1_T2_PT3_SG_jT4_jjP12ihipStream_tbEUlT_E0_NS1_11comp_targetILNS1_3genE10ELNS1_11target_archE1201ELNS1_3gpuE5ELNS1_3repE0EEENS1_52radix_sort_onesweep_histogram_config_static_selectorELNS0_4arch9wavefront6targetE1EEEvSE_.num_named_barrier, 0
	.set _ZN7rocprim17ROCPRIM_400000_NS6detail17trampoline_kernelINS0_14default_configENS1_35radix_sort_onesweep_config_selectorIllEEZNS1_34radix_sort_onesweep_global_offsetsIS3_Lb0EPlN6thrust23THRUST_200600_302600_NS10device_ptrIlEEjNS0_19identity_decomposerEEE10hipError_tT1_T2_PT3_SG_jT4_jjP12ihipStream_tbEUlT_E0_NS1_11comp_targetILNS1_3genE10ELNS1_11target_archE1201ELNS1_3gpuE5ELNS1_3repE0EEENS1_52radix_sort_onesweep_histogram_config_static_selectorELNS0_4arch9wavefront6targetE1EEEvSE_.private_seg_size, 0
	.set _ZN7rocprim17ROCPRIM_400000_NS6detail17trampoline_kernelINS0_14default_configENS1_35radix_sort_onesweep_config_selectorIllEEZNS1_34radix_sort_onesweep_global_offsetsIS3_Lb0EPlN6thrust23THRUST_200600_302600_NS10device_ptrIlEEjNS0_19identity_decomposerEEE10hipError_tT1_T2_PT3_SG_jT4_jjP12ihipStream_tbEUlT_E0_NS1_11comp_targetILNS1_3genE10ELNS1_11target_archE1201ELNS1_3gpuE5ELNS1_3repE0EEENS1_52radix_sort_onesweep_histogram_config_static_selectorELNS0_4arch9wavefront6targetE1EEEvSE_.uses_vcc, 0
	.set _ZN7rocprim17ROCPRIM_400000_NS6detail17trampoline_kernelINS0_14default_configENS1_35radix_sort_onesweep_config_selectorIllEEZNS1_34radix_sort_onesweep_global_offsetsIS3_Lb0EPlN6thrust23THRUST_200600_302600_NS10device_ptrIlEEjNS0_19identity_decomposerEEE10hipError_tT1_T2_PT3_SG_jT4_jjP12ihipStream_tbEUlT_E0_NS1_11comp_targetILNS1_3genE10ELNS1_11target_archE1201ELNS1_3gpuE5ELNS1_3repE0EEENS1_52radix_sort_onesweep_histogram_config_static_selectorELNS0_4arch9wavefront6targetE1EEEvSE_.uses_flat_scratch, 0
	.set _ZN7rocprim17ROCPRIM_400000_NS6detail17trampoline_kernelINS0_14default_configENS1_35radix_sort_onesweep_config_selectorIllEEZNS1_34radix_sort_onesweep_global_offsetsIS3_Lb0EPlN6thrust23THRUST_200600_302600_NS10device_ptrIlEEjNS0_19identity_decomposerEEE10hipError_tT1_T2_PT3_SG_jT4_jjP12ihipStream_tbEUlT_E0_NS1_11comp_targetILNS1_3genE10ELNS1_11target_archE1201ELNS1_3gpuE5ELNS1_3repE0EEENS1_52radix_sort_onesweep_histogram_config_static_selectorELNS0_4arch9wavefront6targetE1EEEvSE_.has_dyn_sized_stack, 0
	.set _ZN7rocprim17ROCPRIM_400000_NS6detail17trampoline_kernelINS0_14default_configENS1_35radix_sort_onesweep_config_selectorIllEEZNS1_34radix_sort_onesweep_global_offsetsIS3_Lb0EPlN6thrust23THRUST_200600_302600_NS10device_ptrIlEEjNS0_19identity_decomposerEEE10hipError_tT1_T2_PT3_SG_jT4_jjP12ihipStream_tbEUlT_E0_NS1_11comp_targetILNS1_3genE10ELNS1_11target_archE1201ELNS1_3gpuE5ELNS1_3repE0EEENS1_52radix_sort_onesweep_histogram_config_static_selectorELNS0_4arch9wavefront6targetE1EEEvSE_.has_recursion, 0
	.set _ZN7rocprim17ROCPRIM_400000_NS6detail17trampoline_kernelINS0_14default_configENS1_35radix_sort_onesweep_config_selectorIllEEZNS1_34radix_sort_onesweep_global_offsetsIS3_Lb0EPlN6thrust23THRUST_200600_302600_NS10device_ptrIlEEjNS0_19identity_decomposerEEE10hipError_tT1_T2_PT3_SG_jT4_jjP12ihipStream_tbEUlT_E0_NS1_11comp_targetILNS1_3genE10ELNS1_11target_archE1201ELNS1_3gpuE5ELNS1_3repE0EEENS1_52radix_sort_onesweep_histogram_config_static_selectorELNS0_4arch9wavefront6targetE1EEEvSE_.has_indirect_call, 0
	.section	.AMDGPU.csdata,"",@progbits
; Kernel info:
; codeLenInByte = 0
; TotalNumSgprs: 4
; NumVgprs: 0
; ScratchSize: 0
; MemoryBound: 0
; FloatMode: 240
; IeeeMode: 1
; LDSByteSize: 0 bytes/workgroup (compile time only)
; SGPRBlocks: 0
; VGPRBlocks: 0
; NumSGPRsForWavesPerEU: 4
; NumVGPRsForWavesPerEU: 1
; Occupancy: 10
; WaveLimiterHint : 0
; COMPUTE_PGM_RSRC2:SCRATCH_EN: 0
; COMPUTE_PGM_RSRC2:USER_SGPR: 6
; COMPUTE_PGM_RSRC2:TRAP_HANDLER: 0
; COMPUTE_PGM_RSRC2:TGID_X_EN: 1
; COMPUTE_PGM_RSRC2:TGID_Y_EN: 0
; COMPUTE_PGM_RSRC2:TGID_Z_EN: 0
; COMPUTE_PGM_RSRC2:TIDIG_COMP_CNT: 0
	.section	.text._ZN7rocprim17ROCPRIM_400000_NS6detail17trampoline_kernelINS0_14default_configENS1_35radix_sort_onesweep_config_selectorIllEEZNS1_34radix_sort_onesweep_global_offsetsIS3_Lb0EPlN6thrust23THRUST_200600_302600_NS10device_ptrIlEEjNS0_19identity_decomposerEEE10hipError_tT1_T2_PT3_SG_jT4_jjP12ihipStream_tbEUlT_E0_NS1_11comp_targetILNS1_3genE9ELNS1_11target_archE1100ELNS1_3gpuE3ELNS1_3repE0EEENS1_52radix_sort_onesweep_histogram_config_static_selectorELNS0_4arch9wavefront6targetE1EEEvSE_,"axG",@progbits,_ZN7rocprim17ROCPRIM_400000_NS6detail17trampoline_kernelINS0_14default_configENS1_35radix_sort_onesweep_config_selectorIllEEZNS1_34radix_sort_onesweep_global_offsetsIS3_Lb0EPlN6thrust23THRUST_200600_302600_NS10device_ptrIlEEjNS0_19identity_decomposerEEE10hipError_tT1_T2_PT3_SG_jT4_jjP12ihipStream_tbEUlT_E0_NS1_11comp_targetILNS1_3genE9ELNS1_11target_archE1100ELNS1_3gpuE3ELNS1_3repE0EEENS1_52radix_sort_onesweep_histogram_config_static_selectorELNS0_4arch9wavefront6targetE1EEEvSE_,comdat
	.protected	_ZN7rocprim17ROCPRIM_400000_NS6detail17trampoline_kernelINS0_14default_configENS1_35radix_sort_onesweep_config_selectorIllEEZNS1_34radix_sort_onesweep_global_offsetsIS3_Lb0EPlN6thrust23THRUST_200600_302600_NS10device_ptrIlEEjNS0_19identity_decomposerEEE10hipError_tT1_T2_PT3_SG_jT4_jjP12ihipStream_tbEUlT_E0_NS1_11comp_targetILNS1_3genE9ELNS1_11target_archE1100ELNS1_3gpuE3ELNS1_3repE0EEENS1_52radix_sort_onesweep_histogram_config_static_selectorELNS0_4arch9wavefront6targetE1EEEvSE_ ; -- Begin function _ZN7rocprim17ROCPRIM_400000_NS6detail17trampoline_kernelINS0_14default_configENS1_35radix_sort_onesweep_config_selectorIllEEZNS1_34radix_sort_onesweep_global_offsetsIS3_Lb0EPlN6thrust23THRUST_200600_302600_NS10device_ptrIlEEjNS0_19identity_decomposerEEE10hipError_tT1_T2_PT3_SG_jT4_jjP12ihipStream_tbEUlT_E0_NS1_11comp_targetILNS1_3genE9ELNS1_11target_archE1100ELNS1_3gpuE3ELNS1_3repE0EEENS1_52radix_sort_onesweep_histogram_config_static_selectorELNS0_4arch9wavefront6targetE1EEEvSE_
	.globl	_ZN7rocprim17ROCPRIM_400000_NS6detail17trampoline_kernelINS0_14default_configENS1_35radix_sort_onesweep_config_selectorIllEEZNS1_34radix_sort_onesweep_global_offsetsIS3_Lb0EPlN6thrust23THRUST_200600_302600_NS10device_ptrIlEEjNS0_19identity_decomposerEEE10hipError_tT1_T2_PT3_SG_jT4_jjP12ihipStream_tbEUlT_E0_NS1_11comp_targetILNS1_3genE9ELNS1_11target_archE1100ELNS1_3gpuE3ELNS1_3repE0EEENS1_52radix_sort_onesweep_histogram_config_static_selectorELNS0_4arch9wavefront6targetE1EEEvSE_
	.p2align	8
	.type	_ZN7rocprim17ROCPRIM_400000_NS6detail17trampoline_kernelINS0_14default_configENS1_35radix_sort_onesweep_config_selectorIllEEZNS1_34radix_sort_onesweep_global_offsetsIS3_Lb0EPlN6thrust23THRUST_200600_302600_NS10device_ptrIlEEjNS0_19identity_decomposerEEE10hipError_tT1_T2_PT3_SG_jT4_jjP12ihipStream_tbEUlT_E0_NS1_11comp_targetILNS1_3genE9ELNS1_11target_archE1100ELNS1_3gpuE3ELNS1_3repE0EEENS1_52radix_sort_onesweep_histogram_config_static_selectorELNS0_4arch9wavefront6targetE1EEEvSE_,@function
_ZN7rocprim17ROCPRIM_400000_NS6detail17trampoline_kernelINS0_14default_configENS1_35radix_sort_onesweep_config_selectorIllEEZNS1_34radix_sort_onesweep_global_offsetsIS3_Lb0EPlN6thrust23THRUST_200600_302600_NS10device_ptrIlEEjNS0_19identity_decomposerEEE10hipError_tT1_T2_PT3_SG_jT4_jjP12ihipStream_tbEUlT_E0_NS1_11comp_targetILNS1_3genE9ELNS1_11target_archE1100ELNS1_3gpuE3ELNS1_3repE0EEENS1_52radix_sort_onesweep_histogram_config_static_selectorELNS0_4arch9wavefront6targetE1EEEvSE_: ; @_ZN7rocprim17ROCPRIM_400000_NS6detail17trampoline_kernelINS0_14default_configENS1_35radix_sort_onesweep_config_selectorIllEEZNS1_34radix_sort_onesweep_global_offsetsIS3_Lb0EPlN6thrust23THRUST_200600_302600_NS10device_ptrIlEEjNS0_19identity_decomposerEEE10hipError_tT1_T2_PT3_SG_jT4_jjP12ihipStream_tbEUlT_E0_NS1_11comp_targetILNS1_3genE9ELNS1_11target_archE1100ELNS1_3gpuE3ELNS1_3repE0EEENS1_52radix_sort_onesweep_histogram_config_static_selectorELNS0_4arch9wavefront6targetE1EEEvSE_
; %bb.0:
	.section	.rodata,"a",@progbits
	.p2align	6, 0x0
	.amdhsa_kernel _ZN7rocprim17ROCPRIM_400000_NS6detail17trampoline_kernelINS0_14default_configENS1_35radix_sort_onesweep_config_selectorIllEEZNS1_34radix_sort_onesweep_global_offsetsIS3_Lb0EPlN6thrust23THRUST_200600_302600_NS10device_ptrIlEEjNS0_19identity_decomposerEEE10hipError_tT1_T2_PT3_SG_jT4_jjP12ihipStream_tbEUlT_E0_NS1_11comp_targetILNS1_3genE9ELNS1_11target_archE1100ELNS1_3gpuE3ELNS1_3repE0EEENS1_52radix_sort_onesweep_histogram_config_static_selectorELNS0_4arch9wavefront6targetE1EEEvSE_
		.amdhsa_group_segment_fixed_size 0
		.amdhsa_private_segment_fixed_size 0
		.amdhsa_kernarg_size 8
		.amdhsa_user_sgpr_count 6
		.amdhsa_user_sgpr_private_segment_buffer 1
		.amdhsa_user_sgpr_dispatch_ptr 0
		.amdhsa_user_sgpr_queue_ptr 0
		.amdhsa_user_sgpr_kernarg_segment_ptr 1
		.amdhsa_user_sgpr_dispatch_id 0
		.amdhsa_user_sgpr_flat_scratch_init 0
		.amdhsa_user_sgpr_private_segment_size 0
		.amdhsa_uses_dynamic_stack 0
		.amdhsa_system_sgpr_private_segment_wavefront_offset 0
		.amdhsa_system_sgpr_workgroup_id_x 1
		.amdhsa_system_sgpr_workgroup_id_y 0
		.amdhsa_system_sgpr_workgroup_id_z 0
		.amdhsa_system_sgpr_workgroup_info 0
		.amdhsa_system_vgpr_workitem_id 0
		.amdhsa_next_free_vgpr 1
		.amdhsa_next_free_sgpr 0
		.amdhsa_reserve_vcc 0
		.amdhsa_reserve_flat_scratch 0
		.amdhsa_float_round_mode_32 0
		.amdhsa_float_round_mode_16_64 0
		.amdhsa_float_denorm_mode_32 3
		.amdhsa_float_denorm_mode_16_64 3
		.amdhsa_dx10_clamp 1
		.amdhsa_ieee_mode 1
		.amdhsa_fp16_overflow 0
		.amdhsa_exception_fp_ieee_invalid_op 0
		.amdhsa_exception_fp_denorm_src 0
		.amdhsa_exception_fp_ieee_div_zero 0
		.amdhsa_exception_fp_ieee_overflow 0
		.amdhsa_exception_fp_ieee_underflow 0
		.amdhsa_exception_fp_ieee_inexact 0
		.amdhsa_exception_int_div_zero 0
	.end_amdhsa_kernel
	.section	.text._ZN7rocprim17ROCPRIM_400000_NS6detail17trampoline_kernelINS0_14default_configENS1_35radix_sort_onesweep_config_selectorIllEEZNS1_34radix_sort_onesweep_global_offsetsIS3_Lb0EPlN6thrust23THRUST_200600_302600_NS10device_ptrIlEEjNS0_19identity_decomposerEEE10hipError_tT1_T2_PT3_SG_jT4_jjP12ihipStream_tbEUlT_E0_NS1_11comp_targetILNS1_3genE9ELNS1_11target_archE1100ELNS1_3gpuE3ELNS1_3repE0EEENS1_52radix_sort_onesweep_histogram_config_static_selectorELNS0_4arch9wavefront6targetE1EEEvSE_,"axG",@progbits,_ZN7rocprim17ROCPRIM_400000_NS6detail17trampoline_kernelINS0_14default_configENS1_35radix_sort_onesweep_config_selectorIllEEZNS1_34radix_sort_onesweep_global_offsetsIS3_Lb0EPlN6thrust23THRUST_200600_302600_NS10device_ptrIlEEjNS0_19identity_decomposerEEE10hipError_tT1_T2_PT3_SG_jT4_jjP12ihipStream_tbEUlT_E0_NS1_11comp_targetILNS1_3genE9ELNS1_11target_archE1100ELNS1_3gpuE3ELNS1_3repE0EEENS1_52radix_sort_onesweep_histogram_config_static_selectorELNS0_4arch9wavefront6targetE1EEEvSE_,comdat
.Lfunc_end1130:
	.size	_ZN7rocprim17ROCPRIM_400000_NS6detail17trampoline_kernelINS0_14default_configENS1_35radix_sort_onesweep_config_selectorIllEEZNS1_34radix_sort_onesweep_global_offsetsIS3_Lb0EPlN6thrust23THRUST_200600_302600_NS10device_ptrIlEEjNS0_19identity_decomposerEEE10hipError_tT1_T2_PT3_SG_jT4_jjP12ihipStream_tbEUlT_E0_NS1_11comp_targetILNS1_3genE9ELNS1_11target_archE1100ELNS1_3gpuE3ELNS1_3repE0EEENS1_52radix_sort_onesweep_histogram_config_static_selectorELNS0_4arch9wavefront6targetE1EEEvSE_, .Lfunc_end1130-_ZN7rocprim17ROCPRIM_400000_NS6detail17trampoline_kernelINS0_14default_configENS1_35radix_sort_onesweep_config_selectorIllEEZNS1_34radix_sort_onesweep_global_offsetsIS3_Lb0EPlN6thrust23THRUST_200600_302600_NS10device_ptrIlEEjNS0_19identity_decomposerEEE10hipError_tT1_T2_PT3_SG_jT4_jjP12ihipStream_tbEUlT_E0_NS1_11comp_targetILNS1_3genE9ELNS1_11target_archE1100ELNS1_3gpuE3ELNS1_3repE0EEENS1_52radix_sort_onesweep_histogram_config_static_selectorELNS0_4arch9wavefront6targetE1EEEvSE_
                                        ; -- End function
	.set _ZN7rocprim17ROCPRIM_400000_NS6detail17trampoline_kernelINS0_14default_configENS1_35radix_sort_onesweep_config_selectorIllEEZNS1_34radix_sort_onesweep_global_offsetsIS3_Lb0EPlN6thrust23THRUST_200600_302600_NS10device_ptrIlEEjNS0_19identity_decomposerEEE10hipError_tT1_T2_PT3_SG_jT4_jjP12ihipStream_tbEUlT_E0_NS1_11comp_targetILNS1_3genE9ELNS1_11target_archE1100ELNS1_3gpuE3ELNS1_3repE0EEENS1_52radix_sort_onesweep_histogram_config_static_selectorELNS0_4arch9wavefront6targetE1EEEvSE_.num_vgpr, 0
	.set _ZN7rocprim17ROCPRIM_400000_NS6detail17trampoline_kernelINS0_14default_configENS1_35radix_sort_onesweep_config_selectorIllEEZNS1_34radix_sort_onesweep_global_offsetsIS3_Lb0EPlN6thrust23THRUST_200600_302600_NS10device_ptrIlEEjNS0_19identity_decomposerEEE10hipError_tT1_T2_PT3_SG_jT4_jjP12ihipStream_tbEUlT_E0_NS1_11comp_targetILNS1_3genE9ELNS1_11target_archE1100ELNS1_3gpuE3ELNS1_3repE0EEENS1_52radix_sort_onesweep_histogram_config_static_selectorELNS0_4arch9wavefront6targetE1EEEvSE_.num_agpr, 0
	.set _ZN7rocprim17ROCPRIM_400000_NS6detail17trampoline_kernelINS0_14default_configENS1_35radix_sort_onesweep_config_selectorIllEEZNS1_34radix_sort_onesweep_global_offsetsIS3_Lb0EPlN6thrust23THRUST_200600_302600_NS10device_ptrIlEEjNS0_19identity_decomposerEEE10hipError_tT1_T2_PT3_SG_jT4_jjP12ihipStream_tbEUlT_E0_NS1_11comp_targetILNS1_3genE9ELNS1_11target_archE1100ELNS1_3gpuE3ELNS1_3repE0EEENS1_52radix_sort_onesweep_histogram_config_static_selectorELNS0_4arch9wavefront6targetE1EEEvSE_.numbered_sgpr, 0
	.set _ZN7rocprim17ROCPRIM_400000_NS6detail17trampoline_kernelINS0_14default_configENS1_35radix_sort_onesweep_config_selectorIllEEZNS1_34radix_sort_onesweep_global_offsetsIS3_Lb0EPlN6thrust23THRUST_200600_302600_NS10device_ptrIlEEjNS0_19identity_decomposerEEE10hipError_tT1_T2_PT3_SG_jT4_jjP12ihipStream_tbEUlT_E0_NS1_11comp_targetILNS1_3genE9ELNS1_11target_archE1100ELNS1_3gpuE3ELNS1_3repE0EEENS1_52radix_sort_onesweep_histogram_config_static_selectorELNS0_4arch9wavefront6targetE1EEEvSE_.num_named_barrier, 0
	.set _ZN7rocprim17ROCPRIM_400000_NS6detail17trampoline_kernelINS0_14default_configENS1_35radix_sort_onesweep_config_selectorIllEEZNS1_34radix_sort_onesweep_global_offsetsIS3_Lb0EPlN6thrust23THRUST_200600_302600_NS10device_ptrIlEEjNS0_19identity_decomposerEEE10hipError_tT1_T2_PT3_SG_jT4_jjP12ihipStream_tbEUlT_E0_NS1_11comp_targetILNS1_3genE9ELNS1_11target_archE1100ELNS1_3gpuE3ELNS1_3repE0EEENS1_52radix_sort_onesweep_histogram_config_static_selectorELNS0_4arch9wavefront6targetE1EEEvSE_.private_seg_size, 0
	.set _ZN7rocprim17ROCPRIM_400000_NS6detail17trampoline_kernelINS0_14default_configENS1_35radix_sort_onesweep_config_selectorIllEEZNS1_34radix_sort_onesweep_global_offsetsIS3_Lb0EPlN6thrust23THRUST_200600_302600_NS10device_ptrIlEEjNS0_19identity_decomposerEEE10hipError_tT1_T2_PT3_SG_jT4_jjP12ihipStream_tbEUlT_E0_NS1_11comp_targetILNS1_3genE9ELNS1_11target_archE1100ELNS1_3gpuE3ELNS1_3repE0EEENS1_52radix_sort_onesweep_histogram_config_static_selectorELNS0_4arch9wavefront6targetE1EEEvSE_.uses_vcc, 0
	.set _ZN7rocprim17ROCPRIM_400000_NS6detail17trampoline_kernelINS0_14default_configENS1_35radix_sort_onesweep_config_selectorIllEEZNS1_34radix_sort_onesweep_global_offsetsIS3_Lb0EPlN6thrust23THRUST_200600_302600_NS10device_ptrIlEEjNS0_19identity_decomposerEEE10hipError_tT1_T2_PT3_SG_jT4_jjP12ihipStream_tbEUlT_E0_NS1_11comp_targetILNS1_3genE9ELNS1_11target_archE1100ELNS1_3gpuE3ELNS1_3repE0EEENS1_52radix_sort_onesweep_histogram_config_static_selectorELNS0_4arch9wavefront6targetE1EEEvSE_.uses_flat_scratch, 0
	.set _ZN7rocprim17ROCPRIM_400000_NS6detail17trampoline_kernelINS0_14default_configENS1_35radix_sort_onesweep_config_selectorIllEEZNS1_34radix_sort_onesweep_global_offsetsIS3_Lb0EPlN6thrust23THRUST_200600_302600_NS10device_ptrIlEEjNS0_19identity_decomposerEEE10hipError_tT1_T2_PT3_SG_jT4_jjP12ihipStream_tbEUlT_E0_NS1_11comp_targetILNS1_3genE9ELNS1_11target_archE1100ELNS1_3gpuE3ELNS1_3repE0EEENS1_52radix_sort_onesweep_histogram_config_static_selectorELNS0_4arch9wavefront6targetE1EEEvSE_.has_dyn_sized_stack, 0
	.set _ZN7rocprim17ROCPRIM_400000_NS6detail17trampoline_kernelINS0_14default_configENS1_35radix_sort_onesweep_config_selectorIllEEZNS1_34radix_sort_onesweep_global_offsetsIS3_Lb0EPlN6thrust23THRUST_200600_302600_NS10device_ptrIlEEjNS0_19identity_decomposerEEE10hipError_tT1_T2_PT3_SG_jT4_jjP12ihipStream_tbEUlT_E0_NS1_11comp_targetILNS1_3genE9ELNS1_11target_archE1100ELNS1_3gpuE3ELNS1_3repE0EEENS1_52radix_sort_onesweep_histogram_config_static_selectorELNS0_4arch9wavefront6targetE1EEEvSE_.has_recursion, 0
	.set _ZN7rocprim17ROCPRIM_400000_NS6detail17trampoline_kernelINS0_14default_configENS1_35radix_sort_onesweep_config_selectorIllEEZNS1_34radix_sort_onesweep_global_offsetsIS3_Lb0EPlN6thrust23THRUST_200600_302600_NS10device_ptrIlEEjNS0_19identity_decomposerEEE10hipError_tT1_T2_PT3_SG_jT4_jjP12ihipStream_tbEUlT_E0_NS1_11comp_targetILNS1_3genE9ELNS1_11target_archE1100ELNS1_3gpuE3ELNS1_3repE0EEENS1_52radix_sort_onesweep_histogram_config_static_selectorELNS0_4arch9wavefront6targetE1EEEvSE_.has_indirect_call, 0
	.section	.AMDGPU.csdata,"",@progbits
; Kernel info:
; codeLenInByte = 0
; TotalNumSgprs: 4
; NumVgprs: 0
; ScratchSize: 0
; MemoryBound: 0
; FloatMode: 240
; IeeeMode: 1
; LDSByteSize: 0 bytes/workgroup (compile time only)
; SGPRBlocks: 0
; VGPRBlocks: 0
; NumSGPRsForWavesPerEU: 4
; NumVGPRsForWavesPerEU: 1
; Occupancy: 10
; WaveLimiterHint : 0
; COMPUTE_PGM_RSRC2:SCRATCH_EN: 0
; COMPUTE_PGM_RSRC2:USER_SGPR: 6
; COMPUTE_PGM_RSRC2:TRAP_HANDLER: 0
; COMPUTE_PGM_RSRC2:TGID_X_EN: 1
; COMPUTE_PGM_RSRC2:TGID_Y_EN: 0
; COMPUTE_PGM_RSRC2:TGID_Z_EN: 0
; COMPUTE_PGM_RSRC2:TIDIG_COMP_CNT: 0
	.section	.text._ZN7rocprim17ROCPRIM_400000_NS6detail17trampoline_kernelINS0_14default_configENS1_35radix_sort_onesweep_config_selectorIllEEZNS1_34radix_sort_onesweep_global_offsetsIS3_Lb0EPlN6thrust23THRUST_200600_302600_NS10device_ptrIlEEjNS0_19identity_decomposerEEE10hipError_tT1_T2_PT3_SG_jT4_jjP12ihipStream_tbEUlT_E0_NS1_11comp_targetILNS1_3genE8ELNS1_11target_archE1030ELNS1_3gpuE2ELNS1_3repE0EEENS1_52radix_sort_onesweep_histogram_config_static_selectorELNS0_4arch9wavefront6targetE1EEEvSE_,"axG",@progbits,_ZN7rocprim17ROCPRIM_400000_NS6detail17trampoline_kernelINS0_14default_configENS1_35radix_sort_onesweep_config_selectorIllEEZNS1_34radix_sort_onesweep_global_offsetsIS3_Lb0EPlN6thrust23THRUST_200600_302600_NS10device_ptrIlEEjNS0_19identity_decomposerEEE10hipError_tT1_T2_PT3_SG_jT4_jjP12ihipStream_tbEUlT_E0_NS1_11comp_targetILNS1_3genE8ELNS1_11target_archE1030ELNS1_3gpuE2ELNS1_3repE0EEENS1_52radix_sort_onesweep_histogram_config_static_selectorELNS0_4arch9wavefront6targetE1EEEvSE_,comdat
	.protected	_ZN7rocprim17ROCPRIM_400000_NS6detail17trampoline_kernelINS0_14default_configENS1_35radix_sort_onesweep_config_selectorIllEEZNS1_34radix_sort_onesweep_global_offsetsIS3_Lb0EPlN6thrust23THRUST_200600_302600_NS10device_ptrIlEEjNS0_19identity_decomposerEEE10hipError_tT1_T2_PT3_SG_jT4_jjP12ihipStream_tbEUlT_E0_NS1_11comp_targetILNS1_3genE8ELNS1_11target_archE1030ELNS1_3gpuE2ELNS1_3repE0EEENS1_52radix_sort_onesweep_histogram_config_static_selectorELNS0_4arch9wavefront6targetE1EEEvSE_ ; -- Begin function _ZN7rocprim17ROCPRIM_400000_NS6detail17trampoline_kernelINS0_14default_configENS1_35radix_sort_onesweep_config_selectorIllEEZNS1_34radix_sort_onesweep_global_offsetsIS3_Lb0EPlN6thrust23THRUST_200600_302600_NS10device_ptrIlEEjNS0_19identity_decomposerEEE10hipError_tT1_T2_PT3_SG_jT4_jjP12ihipStream_tbEUlT_E0_NS1_11comp_targetILNS1_3genE8ELNS1_11target_archE1030ELNS1_3gpuE2ELNS1_3repE0EEENS1_52radix_sort_onesweep_histogram_config_static_selectorELNS0_4arch9wavefront6targetE1EEEvSE_
	.globl	_ZN7rocprim17ROCPRIM_400000_NS6detail17trampoline_kernelINS0_14default_configENS1_35radix_sort_onesweep_config_selectorIllEEZNS1_34radix_sort_onesweep_global_offsetsIS3_Lb0EPlN6thrust23THRUST_200600_302600_NS10device_ptrIlEEjNS0_19identity_decomposerEEE10hipError_tT1_T2_PT3_SG_jT4_jjP12ihipStream_tbEUlT_E0_NS1_11comp_targetILNS1_3genE8ELNS1_11target_archE1030ELNS1_3gpuE2ELNS1_3repE0EEENS1_52radix_sort_onesweep_histogram_config_static_selectorELNS0_4arch9wavefront6targetE1EEEvSE_
	.p2align	8
	.type	_ZN7rocprim17ROCPRIM_400000_NS6detail17trampoline_kernelINS0_14default_configENS1_35radix_sort_onesweep_config_selectorIllEEZNS1_34radix_sort_onesweep_global_offsetsIS3_Lb0EPlN6thrust23THRUST_200600_302600_NS10device_ptrIlEEjNS0_19identity_decomposerEEE10hipError_tT1_T2_PT3_SG_jT4_jjP12ihipStream_tbEUlT_E0_NS1_11comp_targetILNS1_3genE8ELNS1_11target_archE1030ELNS1_3gpuE2ELNS1_3repE0EEENS1_52radix_sort_onesweep_histogram_config_static_selectorELNS0_4arch9wavefront6targetE1EEEvSE_,@function
_ZN7rocprim17ROCPRIM_400000_NS6detail17trampoline_kernelINS0_14default_configENS1_35radix_sort_onesweep_config_selectorIllEEZNS1_34radix_sort_onesweep_global_offsetsIS3_Lb0EPlN6thrust23THRUST_200600_302600_NS10device_ptrIlEEjNS0_19identity_decomposerEEE10hipError_tT1_T2_PT3_SG_jT4_jjP12ihipStream_tbEUlT_E0_NS1_11comp_targetILNS1_3genE8ELNS1_11target_archE1030ELNS1_3gpuE2ELNS1_3repE0EEENS1_52radix_sort_onesweep_histogram_config_static_selectorELNS0_4arch9wavefront6targetE1EEEvSE_: ; @_ZN7rocprim17ROCPRIM_400000_NS6detail17trampoline_kernelINS0_14default_configENS1_35radix_sort_onesweep_config_selectorIllEEZNS1_34radix_sort_onesweep_global_offsetsIS3_Lb0EPlN6thrust23THRUST_200600_302600_NS10device_ptrIlEEjNS0_19identity_decomposerEEE10hipError_tT1_T2_PT3_SG_jT4_jjP12ihipStream_tbEUlT_E0_NS1_11comp_targetILNS1_3genE8ELNS1_11target_archE1030ELNS1_3gpuE2ELNS1_3repE0EEENS1_52radix_sort_onesweep_histogram_config_static_selectorELNS0_4arch9wavefront6targetE1EEEvSE_
; %bb.0:
	.section	.rodata,"a",@progbits
	.p2align	6, 0x0
	.amdhsa_kernel _ZN7rocprim17ROCPRIM_400000_NS6detail17trampoline_kernelINS0_14default_configENS1_35radix_sort_onesweep_config_selectorIllEEZNS1_34radix_sort_onesweep_global_offsetsIS3_Lb0EPlN6thrust23THRUST_200600_302600_NS10device_ptrIlEEjNS0_19identity_decomposerEEE10hipError_tT1_T2_PT3_SG_jT4_jjP12ihipStream_tbEUlT_E0_NS1_11comp_targetILNS1_3genE8ELNS1_11target_archE1030ELNS1_3gpuE2ELNS1_3repE0EEENS1_52radix_sort_onesweep_histogram_config_static_selectorELNS0_4arch9wavefront6targetE1EEEvSE_
		.amdhsa_group_segment_fixed_size 0
		.amdhsa_private_segment_fixed_size 0
		.amdhsa_kernarg_size 8
		.amdhsa_user_sgpr_count 6
		.amdhsa_user_sgpr_private_segment_buffer 1
		.amdhsa_user_sgpr_dispatch_ptr 0
		.amdhsa_user_sgpr_queue_ptr 0
		.amdhsa_user_sgpr_kernarg_segment_ptr 1
		.amdhsa_user_sgpr_dispatch_id 0
		.amdhsa_user_sgpr_flat_scratch_init 0
		.amdhsa_user_sgpr_private_segment_size 0
		.amdhsa_uses_dynamic_stack 0
		.amdhsa_system_sgpr_private_segment_wavefront_offset 0
		.amdhsa_system_sgpr_workgroup_id_x 1
		.amdhsa_system_sgpr_workgroup_id_y 0
		.amdhsa_system_sgpr_workgroup_id_z 0
		.amdhsa_system_sgpr_workgroup_info 0
		.amdhsa_system_vgpr_workitem_id 0
		.amdhsa_next_free_vgpr 1
		.amdhsa_next_free_sgpr 0
		.amdhsa_reserve_vcc 0
		.amdhsa_reserve_flat_scratch 0
		.amdhsa_float_round_mode_32 0
		.amdhsa_float_round_mode_16_64 0
		.amdhsa_float_denorm_mode_32 3
		.amdhsa_float_denorm_mode_16_64 3
		.amdhsa_dx10_clamp 1
		.amdhsa_ieee_mode 1
		.amdhsa_fp16_overflow 0
		.amdhsa_exception_fp_ieee_invalid_op 0
		.amdhsa_exception_fp_denorm_src 0
		.amdhsa_exception_fp_ieee_div_zero 0
		.amdhsa_exception_fp_ieee_overflow 0
		.amdhsa_exception_fp_ieee_underflow 0
		.amdhsa_exception_fp_ieee_inexact 0
		.amdhsa_exception_int_div_zero 0
	.end_amdhsa_kernel
	.section	.text._ZN7rocprim17ROCPRIM_400000_NS6detail17trampoline_kernelINS0_14default_configENS1_35radix_sort_onesweep_config_selectorIllEEZNS1_34radix_sort_onesweep_global_offsetsIS3_Lb0EPlN6thrust23THRUST_200600_302600_NS10device_ptrIlEEjNS0_19identity_decomposerEEE10hipError_tT1_T2_PT3_SG_jT4_jjP12ihipStream_tbEUlT_E0_NS1_11comp_targetILNS1_3genE8ELNS1_11target_archE1030ELNS1_3gpuE2ELNS1_3repE0EEENS1_52radix_sort_onesweep_histogram_config_static_selectorELNS0_4arch9wavefront6targetE1EEEvSE_,"axG",@progbits,_ZN7rocprim17ROCPRIM_400000_NS6detail17trampoline_kernelINS0_14default_configENS1_35radix_sort_onesweep_config_selectorIllEEZNS1_34radix_sort_onesweep_global_offsetsIS3_Lb0EPlN6thrust23THRUST_200600_302600_NS10device_ptrIlEEjNS0_19identity_decomposerEEE10hipError_tT1_T2_PT3_SG_jT4_jjP12ihipStream_tbEUlT_E0_NS1_11comp_targetILNS1_3genE8ELNS1_11target_archE1030ELNS1_3gpuE2ELNS1_3repE0EEENS1_52radix_sort_onesweep_histogram_config_static_selectorELNS0_4arch9wavefront6targetE1EEEvSE_,comdat
.Lfunc_end1131:
	.size	_ZN7rocprim17ROCPRIM_400000_NS6detail17trampoline_kernelINS0_14default_configENS1_35radix_sort_onesweep_config_selectorIllEEZNS1_34radix_sort_onesweep_global_offsetsIS3_Lb0EPlN6thrust23THRUST_200600_302600_NS10device_ptrIlEEjNS0_19identity_decomposerEEE10hipError_tT1_T2_PT3_SG_jT4_jjP12ihipStream_tbEUlT_E0_NS1_11comp_targetILNS1_3genE8ELNS1_11target_archE1030ELNS1_3gpuE2ELNS1_3repE0EEENS1_52radix_sort_onesweep_histogram_config_static_selectorELNS0_4arch9wavefront6targetE1EEEvSE_, .Lfunc_end1131-_ZN7rocprim17ROCPRIM_400000_NS6detail17trampoline_kernelINS0_14default_configENS1_35radix_sort_onesweep_config_selectorIllEEZNS1_34radix_sort_onesweep_global_offsetsIS3_Lb0EPlN6thrust23THRUST_200600_302600_NS10device_ptrIlEEjNS0_19identity_decomposerEEE10hipError_tT1_T2_PT3_SG_jT4_jjP12ihipStream_tbEUlT_E0_NS1_11comp_targetILNS1_3genE8ELNS1_11target_archE1030ELNS1_3gpuE2ELNS1_3repE0EEENS1_52radix_sort_onesweep_histogram_config_static_selectorELNS0_4arch9wavefront6targetE1EEEvSE_
                                        ; -- End function
	.set _ZN7rocprim17ROCPRIM_400000_NS6detail17trampoline_kernelINS0_14default_configENS1_35radix_sort_onesweep_config_selectorIllEEZNS1_34radix_sort_onesweep_global_offsetsIS3_Lb0EPlN6thrust23THRUST_200600_302600_NS10device_ptrIlEEjNS0_19identity_decomposerEEE10hipError_tT1_T2_PT3_SG_jT4_jjP12ihipStream_tbEUlT_E0_NS1_11comp_targetILNS1_3genE8ELNS1_11target_archE1030ELNS1_3gpuE2ELNS1_3repE0EEENS1_52radix_sort_onesweep_histogram_config_static_selectorELNS0_4arch9wavefront6targetE1EEEvSE_.num_vgpr, 0
	.set _ZN7rocprim17ROCPRIM_400000_NS6detail17trampoline_kernelINS0_14default_configENS1_35radix_sort_onesweep_config_selectorIllEEZNS1_34radix_sort_onesweep_global_offsetsIS3_Lb0EPlN6thrust23THRUST_200600_302600_NS10device_ptrIlEEjNS0_19identity_decomposerEEE10hipError_tT1_T2_PT3_SG_jT4_jjP12ihipStream_tbEUlT_E0_NS1_11comp_targetILNS1_3genE8ELNS1_11target_archE1030ELNS1_3gpuE2ELNS1_3repE0EEENS1_52radix_sort_onesweep_histogram_config_static_selectorELNS0_4arch9wavefront6targetE1EEEvSE_.num_agpr, 0
	.set _ZN7rocprim17ROCPRIM_400000_NS6detail17trampoline_kernelINS0_14default_configENS1_35radix_sort_onesweep_config_selectorIllEEZNS1_34radix_sort_onesweep_global_offsetsIS3_Lb0EPlN6thrust23THRUST_200600_302600_NS10device_ptrIlEEjNS0_19identity_decomposerEEE10hipError_tT1_T2_PT3_SG_jT4_jjP12ihipStream_tbEUlT_E0_NS1_11comp_targetILNS1_3genE8ELNS1_11target_archE1030ELNS1_3gpuE2ELNS1_3repE0EEENS1_52radix_sort_onesweep_histogram_config_static_selectorELNS0_4arch9wavefront6targetE1EEEvSE_.numbered_sgpr, 0
	.set _ZN7rocprim17ROCPRIM_400000_NS6detail17trampoline_kernelINS0_14default_configENS1_35radix_sort_onesweep_config_selectorIllEEZNS1_34radix_sort_onesweep_global_offsetsIS3_Lb0EPlN6thrust23THRUST_200600_302600_NS10device_ptrIlEEjNS0_19identity_decomposerEEE10hipError_tT1_T2_PT3_SG_jT4_jjP12ihipStream_tbEUlT_E0_NS1_11comp_targetILNS1_3genE8ELNS1_11target_archE1030ELNS1_3gpuE2ELNS1_3repE0EEENS1_52radix_sort_onesweep_histogram_config_static_selectorELNS0_4arch9wavefront6targetE1EEEvSE_.num_named_barrier, 0
	.set _ZN7rocprim17ROCPRIM_400000_NS6detail17trampoline_kernelINS0_14default_configENS1_35radix_sort_onesweep_config_selectorIllEEZNS1_34radix_sort_onesweep_global_offsetsIS3_Lb0EPlN6thrust23THRUST_200600_302600_NS10device_ptrIlEEjNS0_19identity_decomposerEEE10hipError_tT1_T2_PT3_SG_jT4_jjP12ihipStream_tbEUlT_E0_NS1_11comp_targetILNS1_3genE8ELNS1_11target_archE1030ELNS1_3gpuE2ELNS1_3repE0EEENS1_52radix_sort_onesweep_histogram_config_static_selectorELNS0_4arch9wavefront6targetE1EEEvSE_.private_seg_size, 0
	.set _ZN7rocprim17ROCPRIM_400000_NS6detail17trampoline_kernelINS0_14default_configENS1_35radix_sort_onesweep_config_selectorIllEEZNS1_34radix_sort_onesweep_global_offsetsIS3_Lb0EPlN6thrust23THRUST_200600_302600_NS10device_ptrIlEEjNS0_19identity_decomposerEEE10hipError_tT1_T2_PT3_SG_jT4_jjP12ihipStream_tbEUlT_E0_NS1_11comp_targetILNS1_3genE8ELNS1_11target_archE1030ELNS1_3gpuE2ELNS1_3repE0EEENS1_52radix_sort_onesweep_histogram_config_static_selectorELNS0_4arch9wavefront6targetE1EEEvSE_.uses_vcc, 0
	.set _ZN7rocprim17ROCPRIM_400000_NS6detail17trampoline_kernelINS0_14default_configENS1_35radix_sort_onesweep_config_selectorIllEEZNS1_34radix_sort_onesweep_global_offsetsIS3_Lb0EPlN6thrust23THRUST_200600_302600_NS10device_ptrIlEEjNS0_19identity_decomposerEEE10hipError_tT1_T2_PT3_SG_jT4_jjP12ihipStream_tbEUlT_E0_NS1_11comp_targetILNS1_3genE8ELNS1_11target_archE1030ELNS1_3gpuE2ELNS1_3repE0EEENS1_52radix_sort_onesweep_histogram_config_static_selectorELNS0_4arch9wavefront6targetE1EEEvSE_.uses_flat_scratch, 0
	.set _ZN7rocprim17ROCPRIM_400000_NS6detail17trampoline_kernelINS0_14default_configENS1_35radix_sort_onesweep_config_selectorIllEEZNS1_34radix_sort_onesweep_global_offsetsIS3_Lb0EPlN6thrust23THRUST_200600_302600_NS10device_ptrIlEEjNS0_19identity_decomposerEEE10hipError_tT1_T2_PT3_SG_jT4_jjP12ihipStream_tbEUlT_E0_NS1_11comp_targetILNS1_3genE8ELNS1_11target_archE1030ELNS1_3gpuE2ELNS1_3repE0EEENS1_52radix_sort_onesweep_histogram_config_static_selectorELNS0_4arch9wavefront6targetE1EEEvSE_.has_dyn_sized_stack, 0
	.set _ZN7rocprim17ROCPRIM_400000_NS6detail17trampoline_kernelINS0_14default_configENS1_35radix_sort_onesweep_config_selectorIllEEZNS1_34radix_sort_onesweep_global_offsetsIS3_Lb0EPlN6thrust23THRUST_200600_302600_NS10device_ptrIlEEjNS0_19identity_decomposerEEE10hipError_tT1_T2_PT3_SG_jT4_jjP12ihipStream_tbEUlT_E0_NS1_11comp_targetILNS1_3genE8ELNS1_11target_archE1030ELNS1_3gpuE2ELNS1_3repE0EEENS1_52radix_sort_onesweep_histogram_config_static_selectorELNS0_4arch9wavefront6targetE1EEEvSE_.has_recursion, 0
	.set _ZN7rocprim17ROCPRIM_400000_NS6detail17trampoline_kernelINS0_14default_configENS1_35radix_sort_onesweep_config_selectorIllEEZNS1_34radix_sort_onesweep_global_offsetsIS3_Lb0EPlN6thrust23THRUST_200600_302600_NS10device_ptrIlEEjNS0_19identity_decomposerEEE10hipError_tT1_T2_PT3_SG_jT4_jjP12ihipStream_tbEUlT_E0_NS1_11comp_targetILNS1_3genE8ELNS1_11target_archE1030ELNS1_3gpuE2ELNS1_3repE0EEENS1_52radix_sort_onesweep_histogram_config_static_selectorELNS0_4arch9wavefront6targetE1EEEvSE_.has_indirect_call, 0
	.section	.AMDGPU.csdata,"",@progbits
; Kernel info:
; codeLenInByte = 0
; TotalNumSgprs: 4
; NumVgprs: 0
; ScratchSize: 0
; MemoryBound: 0
; FloatMode: 240
; IeeeMode: 1
; LDSByteSize: 0 bytes/workgroup (compile time only)
; SGPRBlocks: 0
; VGPRBlocks: 0
; NumSGPRsForWavesPerEU: 4
; NumVGPRsForWavesPerEU: 1
; Occupancy: 10
; WaveLimiterHint : 0
; COMPUTE_PGM_RSRC2:SCRATCH_EN: 0
; COMPUTE_PGM_RSRC2:USER_SGPR: 6
; COMPUTE_PGM_RSRC2:TRAP_HANDLER: 0
; COMPUTE_PGM_RSRC2:TGID_X_EN: 1
; COMPUTE_PGM_RSRC2:TGID_Y_EN: 0
; COMPUTE_PGM_RSRC2:TGID_Z_EN: 0
; COMPUTE_PGM_RSRC2:TIDIG_COMP_CNT: 0
	.section	.text._ZN7rocprim17ROCPRIM_400000_NS6detail17trampoline_kernelINS0_14default_configENS1_35radix_sort_onesweep_config_selectorIllEEZZNS1_29radix_sort_onesweep_iterationIS3_Lb0EPlS7_N6thrust23THRUST_200600_302600_NS10device_ptrIlEESB_jNS0_19identity_decomposerENS1_16block_id_wrapperIjLb1EEEEE10hipError_tT1_PNSt15iterator_traitsISG_E10value_typeET2_T3_PNSH_ISM_E10value_typeET4_T5_PSR_SS_PNS1_23onesweep_lookback_stateEbbT6_jjT7_P12ihipStream_tbENKUlT_T0_SG_SL_E_clIS7_S7_SB_SB_EEDaSZ_S10_SG_SL_EUlSZ_E_NS1_11comp_targetILNS1_3genE0ELNS1_11target_archE4294967295ELNS1_3gpuE0ELNS1_3repE0EEENS1_47radix_sort_onesweep_sort_config_static_selectorELNS0_4arch9wavefront6targetE1EEEvSG_,"axG",@progbits,_ZN7rocprim17ROCPRIM_400000_NS6detail17trampoline_kernelINS0_14default_configENS1_35radix_sort_onesweep_config_selectorIllEEZZNS1_29radix_sort_onesweep_iterationIS3_Lb0EPlS7_N6thrust23THRUST_200600_302600_NS10device_ptrIlEESB_jNS0_19identity_decomposerENS1_16block_id_wrapperIjLb1EEEEE10hipError_tT1_PNSt15iterator_traitsISG_E10value_typeET2_T3_PNSH_ISM_E10value_typeET4_T5_PSR_SS_PNS1_23onesweep_lookback_stateEbbT6_jjT7_P12ihipStream_tbENKUlT_T0_SG_SL_E_clIS7_S7_SB_SB_EEDaSZ_S10_SG_SL_EUlSZ_E_NS1_11comp_targetILNS1_3genE0ELNS1_11target_archE4294967295ELNS1_3gpuE0ELNS1_3repE0EEENS1_47radix_sort_onesweep_sort_config_static_selectorELNS0_4arch9wavefront6targetE1EEEvSG_,comdat
	.protected	_ZN7rocprim17ROCPRIM_400000_NS6detail17trampoline_kernelINS0_14default_configENS1_35radix_sort_onesweep_config_selectorIllEEZZNS1_29radix_sort_onesweep_iterationIS3_Lb0EPlS7_N6thrust23THRUST_200600_302600_NS10device_ptrIlEESB_jNS0_19identity_decomposerENS1_16block_id_wrapperIjLb1EEEEE10hipError_tT1_PNSt15iterator_traitsISG_E10value_typeET2_T3_PNSH_ISM_E10value_typeET4_T5_PSR_SS_PNS1_23onesweep_lookback_stateEbbT6_jjT7_P12ihipStream_tbENKUlT_T0_SG_SL_E_clIS7_S7_SB_SB_EEDaSZ_S10_SG_SL_EUlSZ_E_NS1_11comp_targetILNS1_3genE0ELNS1_11target_archE4294967295ELNS1_3gpuE0ELNS1_3repE0EEENS1_47radix_sort_onesweep_sort_config_static_selectorELNS0_4arch9wavefront6targetE1EEEvSG_ ; -- Begin function _ZN7rocprim17ROCPRIM_400000_NS6detail17trampoline_kernelINS0_14default_configENS1_35radix_sort_onesweep_config_selectorIllEEZZNS1_29radix_sort_onesweep_iterationIS3_Lb0EPlS7_N6thrust23THRUST_200600_302600_NS10device_ptrIlEESB_jNS0_19identity_decomposerENS1_16block_id_wrapperIjLb1EEEEE10hipError_tT1_PNSt15iterator_traitsISG_E10value_typeET2_T3_PNSH_ISM_E10value_typeET4_T5_PSR_SS_PNS1_23onesweep_lookback_stateEbbT6_jjT7_P12ihipStream_tbENKUlT_T0_SG_SL_E_clIS7_S7_SB_SB_EEDaSZ_S10_SG_SL_EUlSZ_E_NS1_11comp_targetILNS1_3genE0ELNS1_11target_archE4294967295ELNS1_3gpuE0ELNS1_3repE0EEENS1_47radix_sort_onesweep_sort_config_static_selectorELNS0_4arch9wavefront6targetE1EEEvSG_
	.globl	_ZN7rocprim17ROCPRIM_400000_NS6detail17trampoline_kernelINS0_14default_configENS1_35radix_sort_onesweep_config_selectorIllEEZZNS1_29radix_sort_onesweep_iterationIS3_Lb0EPlS7_N6thrust23THRUST_200600_302600_NS10device_ptrIlEESB_jNS0_19identity_decomposerENS1_16block_id_wrapperIjLb1EEEEE10hipError_tT1_PNSt15iterator_traitsISG_E10value_typeET2_T3_PNSH_ISM_E10value_typeET4_T5_PSR_SS_PNS1_23onesweep_lookback_stateEbbT6_jjT7_P12ihipStream_tbENKUlT_T0_SG_SL_E_clIS7_S7_SB_SB_EEDaSZ_S10_SG_SL_EUlSZ_E_NS1_11comp_targetILNS1_3genE0ELNS1_11target_archE4294967295ELNS1_3gpuE0ELNS1_3repE0EEENS1_47radix_sort_onesweep_sort_config_static_selectorELNS0_4arch9wavefront6targetE1EEEvSG_
	.p2align	8
	.type	_ZN7rocprim17ROCPRIM_400000_NS6detail17trampoline_kernelINS0_14default_configENS1_35radix_sort_onesweep_config_selectorIllEEZZNS1_29radix_sort_onesweep_iterationIS3_Lb0EPlS7_N6thrust23THRUST_200600_302600_NS10device_ptrIlEESB_jNS0_19identity_decomposerENS1_16block_id_wrapperIjLb1EEEEE10hipError_tT1_PNSt15iterator_traitsISG_E10value_typeET2_T3_PNSH_ISM_E10value_typeET4_T5_PSR_SS_PNS1_23onesweep_lookback_stateEbbT6_jjT7_P12ihipStream_tbENKUlT_T0_SG_SL_E_clIS7_S7_SB_SB_EEDaSZ_S10_SG_SL_EUlSZ_E_NS1_11comp_targetILNS1_3genE0ELNS1_11target_archE4294967295ELNS1_3gpuE0ELNS1_3repE0EEENS1_47radix_sort_onesweep_sort_config_static_selectorELNS0_4arch9wavefront6targetE1EEEvSG_,@function
_ZN7rocprim17ROCPRIM_400000_NS6detail17trampoline_kernelINS0_14default_configENS1_35radix_sort_onesweep_config_selectorIllEEZZNS1_29radix_sort_onesweep_iterationIS3_Lb0EPlS7_N6thrust23THRUST_200600_302600_NS10device_ptrIlEESB_jNS0_19identity_decomposerENS1_16block_id_wrapperIjLb1EEEEE10hipError_tT1_PNSt15iterator_traitsISG_E10value_typeET2_T3_PNSH_ISM_E10value_typeET4_T5_PSR_SS_PNS1_23onesweep_lookback_stateEbbT6_jjT7_P12ihipStream_tbENKUlT_T0_SG_SL_E_clIS7_S7_SB_SB_EEDaSZ_S10_SG_SL_EUlSZ_E_NS1_11comp_targetILNS1_3genE0ELNS1_11target_archE4294967295ELNS1_3gpuE0ELNS1_3repE0EEENS1_47radix_sort_onesweep_sort_config_static_selectorELNS0_4arch9wavefront6targetE1EEEvSG_: ; @_ZN7rocprim17ROCPRIM_400000_NS6detail17trampoline_kernelINS0_14default_configENS1_35radix_sort_onesweep_config_selectorIllEEZZNS1_29radix_sort_onesweep_iterationIS3_Lb0EPlS7_N6thrust23THRUST_200600_302600_NS10device_ptrIlEESB_jNS0_19identity_decomposerENS1_16block_id_wrapperIjLb1EEEEE10hipError_tT1_PNSt15iterator_traitsISG_E10value_typeET2_T3_PNSH_ISM_E10value_typeET4_T5_PSR_SS_PNS1_23onesweep_lookback_stateEbbT6_jjT7_P12ihipStream_tbENKUlT_T0_SG_SL_E_clIS7_S7_SB_SB_EEDaSZ_S10_SG_SL_EUlSZ_E_NS1_11comp_targetILNS1_3genE0ELNS1_11target_archE4294967295ELNS1_3gpuE0ELNS1_3repE0EEENS1_47radix_sort_onesweep_sort_config_static_selectorELNS0_4arch9wavefront6targetE1EEEvSG_
; %bb.0:
	.section	.rodata,"a",@progbits
	.p2align	6, 0x0
	.amdhsa_kernel _ZN7rocprim17ROCPRIM_400000_NS6detail17trampoline_kernelINS0_14default_configENS1_35radix_sort_onesweep_config_selectorIllEEZZNS1_29radix_sort_onesweep_iterationIS3_Lb0EPlS7_N6thrust23THRUST_200600_302600_NS10device_ptrIlEESB_jNS0_19identity_decomposerENS1_16block_id_wrapperIjLb1EEEEE10hipError_tT1_PNSt15iterator_traitsISG_E10value_typeET2_T3_PNSH_ISM_E10value_typeET4_T5_PSR_SS_PNS1_23onesweep_lookback_stateEbbT6_jjT7_P12ihipStream_tbENKUlT_T0_SG_SL_E_clIS7_S7_SB_SB_EEDaSZ_S10_SG_SL_EUlSZ_E_NS1_11comp_targetILNS1_3genE0ELNS1_11target_archE4294967295ELNS1_3gpuE0ELNS1_3repE0EEENS1_47radix_sort_onesweep_sort_config_static_selectorELNS0_4arch9wavefront6targetE1EEEvSG_
		.amdhsa_group_segment_fixed_size 0
		.amdhsa_private_segment_fixed_size 0
		.amdhsa_kernarg_size 88
		.amdhsa_user_sgpr_count 6
		.amdhsa_user_sgpr_private_segment_buffer 1
		.amdhsa_user_sgpr_dispatch_ptr 0
		.amdhsa_user_sgpr_queue_ptr 0
		.amdhsa_user_sgpr_kernarg_segment_ptr 1
		.amdhsa_user_sgpr_dispatch_id 0
		.amdhsa_user_sgpr_flat_scratch_init 0
		.amdhsa_user_sgpr_private_segment_size 0
		.amdhsa_uses_dynamic_stack 0
		.amdhsa_system_sgpr_private_segment_wavefront_offset 0
		.amdhsa_system_sgpr_workgroup_id_x 1
		.amdhsa_system_sgpr_workgroup_id_y 0
		.amdhsa_system_sgpr_workgroup_id_z 0
		.amdhsa_system_sgpr_workgroup_info 0
		.amdhsa_system_vgpr_workitem_id 0
		.amdhsa_next_free_vgpr 1
		.amdhsa_next_free_sgpr 0
		.amdhsa_reserve_vcc 0
		.amdhsa_reserve_flat_scratch 0
		.amdhsa_float_round_mode_32 0
		.amdhsa_float_round_mode_16_64 0
		.amdhsa_float_denorm_mode_32 3
		.amdhsa_float_denorm_mode_16_64 3
		.amdhsa_dx10_clamp 1
		.amdhsa_ieee_mode 1
		.amdhsa_fp16_overflow 0
		.amdhsa_exception_fp_ieee_invalid_op 0
		.amdhsa_exception_fp_denorm_src 0
		.amdhsa_exception_fp_ieee_div_zero 0
		.amdhsa_exception_fp_ieee_overflow 0
		.amdhsa_exception_fp_ieee_underflow 0
		.amdhsa_exception_fp_ieee_inexact 0
		.amdhsa_exception_int_div_zero 0
	.end_amdhsa_kernel
	.section	.text._ZN7rocprim17ROCPRIM_400000_NS6detail17trampoline_kernelINS0_14default_configENS1_35radix_sort_onesweep_config_selectorIllEEZZNS1_29radix_sort_onesweep_iterationIS3_Lb0EPlS7_N6thrust23THRUST_200600_302600_NS10device_ptrIlEESB_jNS0_19identity_decomposerENS1_16block_id_wrapperIjLb1EEEEE10hipError_tT1_PNSt15iterator_traitsISG_E10value_typeET2_T3_PNSH_ISM_E10value_typeET4_T5_PSR_SS_PNS1_23onesweep_lookback_stateEbbT6_jjT7_P12ihipStream_tbENKUlT_T0_SG_SL_E_clIS7_S7_SB_SB_EEDaSZ_S10_SG_SL_EUlSZ_E_NS1_11comp_targetILNS1_3genE0ELNS1_11target_archE4294967295ELNS1_3gpuE0ELNS1_3repE0EEENS1_47radix_sort_onesweep_sort_config_static_selectorELNS0_4arch9wavefront6targetE1EEEvSG_,"axG",@progbits,_ZN7rocprim17ROCPRIM_400000_NS6detail17trampoline_kernelINS0_14default_configENS1_35radix_sort_onesweep_config_selectorIllEEZZNS1_29radix_sort_onesweep_iterationIS3_Lb0EPlS7_N6thrust23THRUST_200600_302600_NS10device_ptrIlEESB_jNS0_19identity_decomposerENS1_16block_id_wrapperIjLb1EEEEE10hipError_tT1_PNSt15iterator_traitsISG_E10value_typeET2_T3_PNSH_ISM_E10value_typeET4_T5_PSR_SS_PNS1_23onesweep_lookback_stateEbbT6_jjT7_P12ihipStream_tbENKUlT_T0_SG_SL_E_clIS7_S7_SB_SB_EEDaSZ_S10_SG_SL_EUlSZ_E_NS1_11comp_targetILNS1_3genE0ELNS1_11target_archE4294967295ELNS1_3gpuE0ELNS1_3repE0EEENS1_47radix_sort_onesweep_sort_config_static_selectorELNS0_4arch9wavefront6targetE1EEEvSG_,comdat
.Lfunc_end1132:
	.size	_ZN7rocprim17ROCPRIM_400000_NS6detail17trampoline_kernelINS0_14default_configENS1_35radix_sort_onesweep_config_selectorIllEEZZNS1_29radix_sort_onesweep_iterationIS3_Lb0EPlS7_N6thrust23THRUST_200600_302600_NS10device_ptrIlEESB_jNS0_19identity_decomposerENS1_16block_id_wrapperIjLb1EEEEE10hipError_tT1_PNSt15iterator_traitsISG_E10value_typeET2_T3_PNSH_ISM_E10value_typeET4_T5_PSR_SS_PNS1_23onesweep_lookback_stateEbbT6_jjT7_P12ihipStream_tbENKUlT_T0_SG_SL_E_clIS7_S7_SB_SB_EEDaSZ_S10_SG_SL_EUlSZ_E_NS1_11comp_targetILNS1_3genE0ELNS1_11target_archE4294967295ELNS1_3gpuE0ELNS1_3repE0EEENS1_47radix_sort_onesweep_sort_config_static_selectorELNS0_4arch9wavefront6targetE1EEEvSG_, .Lfunc_end1132-_ZN7rocprim17ROCPRIM_400000_NS6detail17trampoline_kernelINS0_14default_configENS1_35radix_sort_onesweep_config_selectorIllEEZZNS1_29radix_sort_onesweep_iterationIS3_Lb0EPlS7_N6thrust23THRUST_200600_302600_NS10device_ptrIlEESB_jNS0_19identity_decomposerENS1_16block_id_wrapperIjLb1EEEEE10hipError_tT1_PNSt15iterator_traitsISG_E10value_typeET2_T3_PNSH_ISM_E10value_typeET4_T5_PSR_SS_PNS1_23onesweep_lookback_stateEbbT6_jjT7_P12ihipStream_tbENKUlT_T0_SG_SL_E_clIS7_S7_SB_SB_EEDaSZ_S10_SG_SL_EUlSZ_E_NS1_11comp_targetILNS1_3genE0ELNS1_11target_archE4294967295ELNS1_3gpuE0ELNS1_3repE0EEENS1_47radix_sort_onesweep_sort_config_static_selectorELNS0_4arch9wavefront6targetE1EEEvSG_
                                        ; -- End function
	.set _ZN7rocprim17ROCPRIM_400000_NS6detail17trampoline_kernelINS0_14default_configENS1_35radix_sort_onesweep_config_selectorIllEEZZNS1_29radix_sort_onesweep_iterationIS3_Lb0EPlS7_N6thrust23THRUST_200600_302600_NS10device_ptrIlEESB_jNS0_19identity_decomposerENS1_16block_id_wrapperIjLb1EEEEE10hipError_tT1_PNSt15iterator_traitsISG_E10value_typeET2_T3_PNSH_ISM_E10value_typeET4_T5_PSR_SS_PNS1_23onesweep_lookback_stateEbbT6_jjT7_P12ihipStream_tbENKUlT_T0_SG_SL_E_clIS7_S7_SB_SB_EEDaSZ_S10_SG_SL_EUlSZ_E_NS1_11comp_targetILNS1_3genE0ELNS1_11target_archE4294967295ELNS1_3gpuE0ELNS1_3repE0EEENS1_47radix_sort_onesweep_sort_config_static_selectorELNS0_4arch9wavefront6targetE1EEEvSG_.num_vgpr, 0
	.set _ZN7rocprim17ROCPRIM_400000_NS6detail17trampoline_kernelINS0_14default_configENS1_35radix_sort_onesweep_config_selectorIllEEZZNS1_29radix_sort_onesweep_iterationIS3_Lb0EPlS7_N6thrust23THRUST_200600_302600_NS10device_ptrIlEESB_jNS0_19identity_decomposerENS1_16block_id_wrapperIjLb1EEEEE10hipError_tT1_PNSt15iterator_traitsISG_E10value_typeET2_T3_PNSH_ISM_E10value_typeET4_T5_PSR_SS_PNS1_23onesweep_lookback_stateEbbT6_jjT7_P12ihipStream_tbENKUlT_T0_SG_SL_E_clIS7_S7_SB_SB_EEDaSZ_S10_SG_SL_EUlSZ_E_NS1_11comp_targetILNS1_3genE0ELNS1_11target_archE4294967295ELNS1_3gpuE0ELNS1_3repE0EEENS1_47radix_sort_onesweep_sort_config_static_selectorELNS0_4arch9wavefront6targetE1EEEvSG_.num_agpr, 0
	.set _ZN7rocprim17ROCPRIM_400000_NS6detail17trampoline_kernelINS0_14default_configENS1_35radix_sort_onesweep_config_selectorIllEEZZNS1_29radix_sort_onesweep_iterationIS3_Lb0EPlS7_N6thrust23THRUST_200600_302600_NS10device_ptrIlEESB_jNS0_19identity_decomposerENS1_16block_id_wrapperIjLb1EEEEE10hipError_tT1_PNSt15iterator_traitsISG_E10value_typeET2_T3_PNSH_ISM_E10value_typeET4_T5_PSR_SS_PNS1_23onesweep_lookback_stateEbbT6_jjT7_P12ihipStream_tbENKUlT_T0_SG_SL_E_clIS7_S7_SB_SB_EEDaSZ_S10_SG_SL_EUlSZ_E_NS1_11comp_targetILNS1_3genE0ELNS1_11target_archE4294967295ELNS1_3gpuE0ELNS1_3repE0EEENS1_47radix_sort_onesweep_sort_config_static_selectorELNS0_4arch9wavefront6targetE1EEEvSG_.numbered_sgpr, 0
	.set _ZN7rocprim17ROCPRIM_400000_NS6detail17trampoline_kernelINS0_14default_configENS1_35radix_sort_onesweep_config_selectorIllEEZZNS1_29radix_sort_onesweep_iterationIS3_Lb0EPlS7_N6thrust23THRUST_200600_302600_NS10device_ptrIlEESB_jNS0_19identity_decomposerENS1_16block_id_wrapperIjLb1EEEEE10hipError_tT1_PNSt15iterator_traitsISG_E10value_typeET2_T3_PNSH_ISM_E10value_typeET4_T5_PSR_SS_PNS1_23onesweep_lookback_stateEbbT6_jjT7_P12ihipStream_tbENKUlT_T0_SG_SL_E_clIS7_S7_SB_SB_EEDaSZ_S10_SG_SL_EUlSZ_E_NS1_11comp_targetILNS1_3genE0ELNS1_11target_archE4294967295ELNS1_3gpuE0ELNS1_3repE0EEENS1_47radix_sort_onesweep_sort_config_static_selectorELNS0_4arch9wavefront6targetE1EEEvSG_.num_named_barrier, 0
	.set _ZN7rocprim17ROCPRIM_400000_NS6detail17trampoline_kernelINS0_14default_configENS1_35radix_sort_onesweep_config_selectorIllEEZZNS1_29radix_sort_onesweep_iterationIS3_Lb0EPlS7_N6thrust23THRUST_200600_302600_NS10device_ptrIlEESB_jNS0_19identity_decomposerENS1_16block_id_wrapperIjLb1EEEEE10hipError_tT1_PNSt15iterator_traitsISG_E10value_typeET2_T3_PNSH_ISM_E10value_typeET4_T5_PSR_SS_PNS1_23onesweep_lookback_stateEbbT6_jjT7_P12ihipStream_tbENKUlT_T0_SG_SL_E_clIS7_S7_SB_SB_EEDaSZ_S10_SG_SL_EUlSZ_E_NS1_11comp_targetILNS1_3genE0ELNS1_11target_archE4294967295ELNS1_3gpuE0ELNS1_3repE0EEENS1_47radix_sort_onesweep_sort_config_static_selectorELNS0_4arch9wavefront6targetE1EEEvSG_.private_seg_size, 0
	.set _ZN7rocprim17ROCPRIM_400000_NS6detail17trampoline_kernelINS0_14default_configENS1_35radix_sort_onesweep_config_selectorIllEEZZNS1_29radix_sort_onesweep_iterationIS3_Lb0EPlS7_N6thrust23THRUST_200600_302600_NS10device_ptrIlEESB_jNS0_19identity_decomposerENS1_16block_id_wrapperIjLb1EEEEE10hipError_tT1_PNSt15iterator_traitsISG_E10value_typeET2_T3_PNSH_ISM_E10value_typeET4_T5_PSR_SS_PNS1_23onesweep_lookback_stateEbbT6_jjT7_P12ihipStream_tbENKUlT_T0_SG_SL_E_clIS7_S7_SB_SB_EEDaSZ_S10_SG_SL_EUlSZ_E_NS1_11comp_targetILNS1_3genE0ELNS1_11target_archE4294967295ELNS1_3gpuE0ELNS1_3repE0EEENS1_47radix_sort_onesweep_sort_config_static_selectorELNS0_4arch9wavefront6targetE1EEEvSG_.uses_vcc, 0
	.set _ZN7rocprim17ROCPRIM_400000_NS6detail17trampoline_kernelINS0_14default_configENS1_35radix_sort_onesweep_config_selectorIllEEZZNS1_29radix_sort_onesweep_iterationIS3_Lb0EPlS7_N6thrust23THRUST_200600_302600_NS10device_ptrIlEESB_jNS0_19identity_decomposerENS1_16block_id_wrapperIjLb1EEEEE10hipError_tT1_PNSt15iterator_traitsISG_E10value_typeET2_T3_PNSH_ISM_E10value_typeET4_T5_PSR_SS_PNS1_23onesweep_lookback_stateEbbT6_jjT7_P12ihipStream_tbENKUlT_T0_SG_SL_E_clIS7_S7_SB_SB_EEDaSZ_S10_SG_SL_EUlSZ_E_NS1_11comp_targetILNS1_3genE0ELNS1_11target_archE4294967295ELNS1_3gpuE0ELNS1_3repE0EEENS1_47radix_sort_onesweep_sort_config_static_selectorELNS0_4arch9wavefront6targetE1EEEvSG_.uses_flat_scratch, 0
	.set _ZN7rocprim17ROCPRIM_400000_NS6detail17trampoline_kernelINS0_14default_configENS1_35radix_sort_onesweep_config_selectorIllEEZZNS1_29radix_sort_onesweep_iterationIS3_Lb0EPlS7_N6thrust23THRUST_200600_302600_NS10device_ptrIlEESB_jNS0_19identity_decomposerENS1_16block_id_wrapperIjLb1EEEEE10hipError_tT1_PNSt15iterator_traitsISG_E10value_typeET2_T3_PNSH_ISM_E10value_typeET4_T5_PSR_SS_PNS1_23onesweep_lookback_stateEbbT6_jjT7_P12ihipStream_tbENKUlT_T0_SG_SL_E_clIS7_S7_SB_SB_EEDaSZ_S10_SG_SL_EUlSZ_E_NS1_11comp_targetILNS1_3genE0ELNS1_11target_archE4294967295ELNS1_3gpuE0ELNS1_3repE0EEENS1_47radix_sort_onesweep_sort_config_static_selectorELNS0_4arch9wavefront6targetE1EEEvSG_.has_dyn_sized_stack, 0
	.set _ZN7rocprim17ROCPRIM_400000_NS6detail17trampoline_kernelINS0_14default_configENS1_35radix_sort_onesweep_config_selectorIllEEZZNS1_29radix_sort_onesweep_iterationIS3_Lb0EPlS7_N6thrust23THRUST_200600_302600_NS10device_ptrIlEESB_jNS0_19identity_decomposerENS1_16block_id_wrapperIjLb1EEEEE10hipError_tT1_PNSt15iterator_traitsISG_E10value_typeET2_T3_PNSH_ISM_E10value_typeET4_T5_PSR_SS_PNS1_23onesweep_lookback_stateEbbT6_jjT7_P12ihipStream_tbENKUlT_T0_SG_SL_E_clIS7_S7_SB_SB_EEDaSZ_S10_SG_SL_EUlSZ_E_NS1_11comp_targetILNS1_3genE0ELNS1_11target_archE4294967295ELNS1_3gpuE0ELNS1_3repE0EEENS1_47radix_sort_onesweep_sort_config_static_selectorELNS0_4arch9wavefront6targetE1EEEvSG_.has_recursion, 0
	.set _ZN7rocprim17ROCPRIM_400000_NS6detail17trampoline_kernelINS0_14default_configENS1_35radix_sort_onesweep_config_selectorIllEEZZNS1_29radix_sort_onesweep_iterationIS3_Lb0EPlS7_N6thrust23THRUST_200600_302600_NS10device_ptrIlEESB_jNS0_19identity_decomposerENS1_16block_id_wrapperIjLb1EEEEE10hipError_tT1_PNSt15iterator_traitsISG_E10value_typeET2_T3_PNSH_ISM_E10value_typeET4_T5_PSR_SS_PNS1_23onesweep_lookback_stateEbbT6_jjT7_P12ihipStream_tbENKUlT_T0_SG_SL_E_clIS7_S7_SB_SB_EEDaSZ_S10_SG_SL_EUlSZ_E_NS1_11comp_targetILNS1_3genE0ELNS1_11target_archE4294967295ELNS1_3gpuE0ELNS1_3repE0EEENS1_47radix_sort_onesweep_sort_config_static_selectorELNS0_4arch9wavefront6targetE1EEEvSG_.has_indirect_call, 0
	.section	.AMDGPU.csdata,"",@progbits
; Kernel info:
; codeLenInByte = 0
; TotalNumSgprs: 4
; NumVgprs: 0
; ScratchSize: 0
; MemoryBound: 0
; FloatMode: 240
; IeeeMode: 1
; LDSByteSize: 0 bytes/workgroup (compile time only)
; SGPRBlocks: 0
; VGPRBlocks: 0
; NumSGPRsForWavesPerEU: 4
; NumVGPRsForWavesPerEU: 1
; Occupancy: 10
; WaveLimiterHint : 0
; COMPUTE_PGM_RSRC2:SCRATCH_EN: 0
; COMPUTE_PGM_RSRC2:USER_SGPR: 6
; COMPUTE_PGM_RSRC2:TRAP_HANDLER: 0
; COMPUTE_PGM_RSRC2:TGID_X_EN: 1
; COMPUTE_PGM_RSRC2:TGID_Y_EN: 0
; COMPUTE_PGM_RSRC2:TGID_Z_EN: 0
; COMPUTE_PGM_RSRC2:TIDIG_COMP_CNT: 0
	.section	.text._ZN7rocprim17ROCPRIM_400000_NS6detail17trampoline_kernelINS0_14default_configENS1_35radix_sort_onesweep_config_selectorIllEEZZNS1_29radix_sort_onesweep_iterationIS3_Lb0EPlS7_N6thrust23THRUST_200600_302600_NS10device_ptrIlEESB_jNS0_19identity_decomposerENS1_16block_id_wrapperIjLb1EEEEE10hipError_tT1_PNSt15iterator_traitsISG_E10value_typeET2_T3_PNSH_ISM_E10value_typeET4_T5_PSR_SS_PNS1_23onesweep_lookback_stateEbbT6_jjT7_P12ihipStream_tbENKUlT_T0_SG_SL_E_clIS7_S7_SB_SB_EEDaSZ_S10_SG_SL_EUlSZ_E_NS1_11comp_targetILNS1_3genE6ELNS1_11target_archE950ELNS1_3gpuE13ELNS1_3repE0EEENS1_47radix_sort_onesweep_sort_config_static_selectorELNS0_4arch9wavefront6targetE1EEEvSG_,"axG",@progbits,_ZN7rocprim17ROCPRIM_400000_NS6detail17trampoline_kernelINS0_14default_configENS1_35radix_sort_onesweep_config_selectorIllEEZZNS1_29radix_sort_onesweep_iterationIS3_Lb0EPlS7_N6thrust23THRUST_200600_302600_NS10device_ptrIlEESB_jNS0_19identity_decomposerENS1_16block_id_wrapperIjLb1EEEEE10hipError_tT1_PNSt15iterator_traitsISG_E10value_typeET2_T3_PNSH_ISM_E10value_typeET4_T5_PSR_SS_PNS1_23onesweep_lookback_stateEbbT6_jjT7_P12ihipStream_tbENKUlT_T0_SG_SL_E_clIS7_S7_SB_SB_EEDaSZ_S10_SG_SL_EUlSZ_E_NS1_11comp_targetILNS1_3genE6ELNS1_11target_archE950ELNS1_3gpuE13ELNS1_3repE0EEENS1_47radix_sort_onesweep_sort_config_static_selectorELNS0_4arch9wavefront6targetE1EEEvSG_,comdat
	.protected	_ZN7rocprim17ROCPRIM_400000_NS6detail17trampoline_kernelINS0_14default_configENS1_35radix_sort_onesweep_config_selectorIllEEZZNS1_29radix_sort_onesweep_iterationIS3_Lb0EPlS7_N6thrust23THRUST_200600_302600_NS10device_ptrIlEESB_jNS0_19identity_decomposerENS1_16block_id_wrapperIjLb1EEEEE10hipError_tT1_PNSt15iterator_traitsISG_E10value_typeET2_T3_PNSH_ISM_E10value_typeET4_T5_PSR_SS_PNS1_23onesweep_lookback_stateEbbT6_jjT7_P12ihipStream_tbENKUlT_T0_SG_SL_E_clIS7_S7_SB_SB_EEDaSZ_S10_SG_SL_EUlSZ_E_NS1_11comp_targetILNS1_3genE6ELNS1_11target_archE950ELNS1_3gpuE13ELNS1_3repE0EEENS1_47radix_sort_onesweep_sort_config_static_selectorELNS0_4arch9wavefront6targetE1EEEvSG_ ; -- Begin function _ZN7rocprim17ROCPRIM_400000_NS6detail17trampoline_kernelINS0_14default_configENS1_35radix_sort_onesweep_config_selectorIllEEZZNS1_29radix_sort_onesweep_iterationIS3_Lb0EPlS7_N6thrust23THRUST_200600_302600_NS10device_ptrIlEESB_jNS0_19identity_decomposerENS1_16block_id_wrapperIjLb1EEEEE10hipError_tT1_PNSt15iterator_traitsISG_E10value_typeET2_T3_PNSH_ISM_E10value_typeET4_T5_PSR_SS_PNS1_23onesweep_lookback_stateEbbT6_jjT7_P12ihipStream_tbENKUlT_T0_SG_SL_E_clIS7_S7_SB_SB_EEDaSZ_S10_SG_SL_EUlSZ_E_NS1_11comp_targetILNS1_3genE6ELNS1_11target_archE950ELNS1_3gpuE13ELNS1_3repE0EEENS1_47radix_sort_onesweep_sort_config_static_selectorELNS0_4arch9wavefront6targetE1EEEvSG_
	.globl	_ZN7rocprim17ROCPRIM_400000_NS6detail17trampoline_kernelINS0_14default_configENS1_35radix_sort_onesweep_config_selectorIllEEZZNS1_29radix_sort_onesweep_iterationIS3_Lb0EPlS7_N6thrust23THRUST_200600_302600_NS10device_ptrIlEESB_jNS0_19identity_decomposerENS1_16block_id_wrapperIjLb1EEEEE10hipError_tT1_PNSt15iterator_traitsISG_E10value_typeET2_T3_PNSH_ISM_E10value_typeET4_T5_PSR_SS_PNS1_23onesweep_lookback_stateEbbT6_jjT7_P12ihipStream_tbENKUlT_T0_SG_SL_E_clIS7_S7_SB_SB_EEDaSZ_S10_SG_SL_EUlSZ_E_NS1_11comp_targetILNS1_3genE6ELNS1_11target_archE950ELNS1_3gpuE13ELNS1_3repE0EEENS1_47radix_sort_onesweep_sort_config_static_selectorELNS0_4arch9wavefront6targetE1EEEvSG_
	.p2align	8
	.type	_ZN7rocprim17ROCPRIM_400000_NS6detail17trampoline_kernelINS0_14default_configENS1_35radix_sort_onesweep_config_selectorIllEEZZNS1_29radix_sort_onesweep_iterationIS3_Lb0EPlS7_N6thrust23THRUST_200600_302600_NS10device_ptrIlEESB_jNS0_19identity_decomposerENS1_16block_id_wrapperIjLb1EEEEE10hipError_tT1_PNSt15iterator_traitsISG_E10value_typeET2_T3_PNSH_ISM_E10value_typeET4_T5_PSR_SS_PNS1_23onesweep_lookback_stateEbbT6_jjT7_P12ihipStream_tbENKUlT_T0_SG_SL_E_clIS7_S7_SB_SB_EEDaSZ_S10_SG_SL_EUlSZ_E_NS1_11comp_targetILNS1_3genE6ELNS1_11target_archE950ELNS1_3gpuE13ELNS1_3repE0EEENS1_47radix_sort_onesweep_sort_config_static_selectorELNS0_4arch9wavefront6targetE1EEEvSG_,@function
_ZN7rocprim17ROCPRIM_400000_NS6detail17trampoline_kernelINS0_14default_configENS1_35radix_sort_onesweep_config_selectorIllEEZZNS1_29radix_sort_onesweep_iterationIS3_Lb0EPlS7_N6thrust23THRUST_200600_302600_NS10device_ptrIlEESB_jNS0_19identity_decomposerENS1_16block_id_wrapperIjLb1EEEEE10hipError_tT1_PNSt15iterator_traitsISG_E10value_typeET2_T3_PNSH_ISM_E10value_typeET4_T5_PSR_SS_PNS1_23onesweep_lookback_stateEbbT6_jjT7_P12ihipStream_tbENKUlT_T0_SG_SL_E_clIS7_S7_SB_SB_EEDaSZ_S10_SG_SL_EUlSZ_E_NS1_11comp_targetILNS1_3genE6ELNS1_11target_archE950ELNS1_3gpuE13ELNS1_3repE0EEENS1_47radix_sort_onesweep_sort_config_static_selectorELNS0_4arch9wavefront6targetE1EEEvSG_: ; @_ZN7rocprim17ROCPRIM_400000_NS6detail17trampoline_kernelINS0_14default_configENS1_35radix_sort_onesweep_config_selectorIllEEZZNS1_29radix_sort_onesweep_iterationIS3_Lb0EPlS7_N6thrust23THRUST_200600_302600_NS10device_ptrIlEESB_jNS0_19identity_decomposerENS1_16block_id_wrapperIjLb1EEEEE10hipError_tT1_PNSt15iterator_traitsISG_E10value_typeET2_T3_PNSH_ISM_E10value_typeET4_T5_PSR_SS_PNS1_23onesweep_lookback_stateEbbT6_jjT7_P12ihipStream_tbENKUlT_T0_SG_SL_E_clIS7_S7_SB_SB_EEDaSZ_S10_SG_SL_EUlSZ_E_NS1_11comp_targetILNS1_3genE6ELNS1_11target_archE950ELNS1_3gpuE13ELNS1_3repE0EEENS1_47radix_sort_onesweep_sort_config_static_selectorELNS0_4arch9wavefront6targetE1EEEvSG_
; %bb.0:
	.section	.rodata,"a",@progbits
	.p2align	6, 0x0
	.amdhsa_kernel _ZN7rocprim17ROCPRIM_400000_NS6detail17trampoline_kernelINS0_14default_configENS1_35radix_sort_onesweep_config_selectorIllEEZZNS1_29radix_sort_onesweep_iterationIS3_Lb0EPlS7_N6thrust23THRUST_200600_302600_NS10device_ptrIlEESB_jNS0_19identity_decomposerENS1_16block_id_wrapperIjLb1EEEEE10hipError_tT1_PNSt15iterator_traitsISG_E10value_typeET2_T3_PNSH_ISM_E10value_typeET4_T5_PSR_SS_PNS1_23onesweep_lookback_stateEbbT6_jjT7_P12ihipStream_tbENKUlT_T0_SG_SL_E_clIS7_S7_SB_SB_EEDaSZ_S10_SG_SL_EUlSZ_E_NS1_11comp_targetILNS1_3genE6ELNS1_11target_archE950ELNS1_3gpuE13ELNS1_3repE0EEENS1_47radix_sort_onesweep_sort_config_static_selectorELNS0_4arch9wavefront6targetE1EEEvSG_
		.amdhsa_group_segment_fixed_size 0
		.amdhsa_private_segment_fixed_size 0
		.amdhsa_kernarg_size 88
		.amdhsa_user_sgpr_count 6
		.amdhsa_user_sgpr_private_segment_buffer 1
		.amdhsa_user_sgpr_dispatch_ptr 0
		.amdhsa_user_sgpr_queue_ptr 0
		.amdhsa_user_sgpr_kernarg_segment_ptr 1
		.amdhsa_user_sgpr_dispatch_id 0
		.amdhsa_user_sgpr_flat_scratch_init 0
		.amdhsa_user_sgpr_private_segment_size 0
		.amdhsa_uses_dynamic_stack 0
		.amdhsa_system_sgpr_private_segment_wavefront_offset 0
		.amdhsa_system_sgpr_workgroup_id_x 1
		.amdhsa_system_sgpr_workgroup_id_y 0
		.amdhsa_system_sgpr_workgroup_id_z 0
		.amdhsa_system_sgpr_workgroup_info 0
		.amdhsa_system_vgpr_workitem_id 0
		.amdhsa_next_free_vgpr 1
		.amdhsa_next_free_sgpr 0
		.amdhsa_reserve_vcc 0
		.amdhsa_reserve_flat_scratch 0
		.amdhsa_float_round_mode_32 0
		.amdhsa_float_round_mode_16_64 0
		.amdhsa_float_denorm_mode_32 3
		.amdhsa_float_denorm_mode_16_64 3
		.amdhsa_dx10_clamp 1
		.amdhsa_ieee_mode 1
		.amdhsa_fp16_overflow 0
		.amdhsa_exception_fp_ieee_invalid_op 0
		.amdhsa_exception_fp_denorm_src 0
		.amdhsa_exception_fp_ieee_div_zero 0
		.amdhsa_exception_fp_ieee_overflow 0
		.amdhsa_exception_fp_ieee_underflow 0
		.amdhsa_exception_fp_ieee_inexact 0
		.amdhsa_exception_int_div_zero 0
	.end_amdhsa_kernel
	.section	.text._ZN7rocprim17ROCPRIM_400000_NS6detail17trampoline_kernelINS0_14default_configENS1_35radix_sort_onesweep_config_selectorIllEEZZNS1_29radix_sort_onesweep_iterationIS3_Lb0EPlS7_N6thrust23THRUST_200600_302600_NS10device_ptrIlEESB_jNS0_19identity_decomposerENS1_16block_id_wrapperIjLb1EEEEE10hipError_tT1_PNSt15iterator_traitsISG_E10value_typeET2_T3_PNSH_ISM_E10value_typeET4_T5_PSR_SS_PNS1_23onesweep_lookback_stateEbbT6_jjT7_P12ihipStream_tbENKUlT_T0_SG_SL_E_clIS7_S7_SB_SB_EEDaSZ_S10_SG_SL_EUlSZ_E_NS1_11comp_targetILNS1_3genE6ELNS1_11target_archE950ELNS1_3gpuE13ELNS1_3repE0EEENS1_47radix_sort_onesweep_sort_config_static_selectorELNS0_4arch9wavefront6targetE1EEEvSG_,"axG",@progbits,_ZN7rocprim17ROCPRIM_400000_NS6detail17trampoline_kernelINS0_14default_configENS1_35radix_sort_onesweep_config_selectorIllEEZZNS1_29radix_sort_onesweep_iterationIS3_Lb0EPlS7_N6thrust23THRUST_200600_302600_NS10device_ptrIlEESB_jNS0_19identity_decomposerENS1_16block_id_wrapperIjLb1EEEEE10hipError_tT1_PNSt15iterator_traitsISG_E10value_typeET2_T3_PNSH_ISM_E10value_typeET4_T5_PSR_SS_PNS1_23onesweep_lookback_stateEbbT6_jjT7_P12ihipStream_tbENKUlT_T0_SG_SL_E_clIS7_S7_SB_SB_EEDaSZ_S10_SG_SL_EUlSZ_E_NS1_11comp_targetILNS1_3genE6ELNS1_11target_archE950ELNS1_3gpuE13ELNS1_3repE0EEENS1_47radix_sort_onesweep_sort_config_static_selectorELNS0_4arch9wavefront6targetE1EEEvSG_,comdat
.Lfunc_end1133:
	.size	_ZN7rocprim17ROCPRIM_400000_NS6detail17trampoline_kernelINS0_14default_configENS1_35radix_sort_onesweep_config_selectorIllEEZZNS1_29radix_sort_onesweep_iterationIS3_Lb0EPlS7_N6thrust23THRUST_200600_302600_NS10device_ptrIlEESB_jNS0_19identity_decomposerENS1_16block_id_wrapperIjLb1EEEEE10hipError_tT1_PNSt15iterator_traitsISG_E10value_typeET2_T3_PNSH_ISM_E10value_typeET4_T5_PSR_SS_PNS1_23onesweep_lookback_stateEbbT6_jjT7_P12ihipStream_tbENKUlT_T0_SG_SL_E_clIS7_S7_SB_SB_EEDaSZ_S10_SG_SL_EUlSZ_E_NS1_11comp_targetILNS1_3genE6ELNS1_11target_archE950ELNS1_3gpuE13ELNS1_3repE0EEENS1_47radix_sort_onesweep_sort_config_static_selectorELNS0_4arch9wavefront6targetE1EEEvSG_, .Lfunc_end1133-_ZN7rocprim17ROCPRIM_400000_NS6detail17trampoline_kernelINS0_14default_configENS1_35radix_sort_onesweep_config_selectorIllEEZZNS1_29radix_sort_onesweep_iterationIS3_Lb0EPlS7_N6thrust23THRUST_200600_302600_NS10device_ptrIlEESB_jNS0_19identity_decomposerENS1_16block_id_wrapperIjLb1EEEEE10hipError_tT1_PNSt15iterator_traitsISG_E10value_typeET2_T3_PNSH_ISM_E10value_typeET4_T5_PSR_SS_PNS1_23onesweep_lookback_stateEbbT6_jjT7_P12ihipStream_tbENKUlT_T0_SG_SL_E_clIS7_S7_SB_SB_EEDaSZ_S10_SG_SL_EUlSZ_E_NS1_11comp_targetILNS1_3genE6ELNS1_11target_archE950ELNS1_3gpuE13ELNS1_3repE0EEENS1_47radix_sort_onesweep_sort_config_static_selectorELNS0_4arch9wavefront6targetE1EEEvSG_
                                        ; -- End function
	.set _ZN7rocprim17ROCPRIM_400000_NS6detail17trampoline_kernelINS0_14default_configENS1_35radix_sort_onesweep_config_selectorIllEEZZNS1_29radix_sort_onesweep_iterationIS3_Lb0EPlS7_N6thrust23THRUST_200600_302600_NS10device_ptrIlEESB_jNS0_19identity_decomposerENS1_16block_id_wrapperIjLb1EEEEE10hipError_tT1_PNSt15iterator_traitsISG_E10value_typeET2_T3_PNSH_ISM_E10value_typeET4_T5_PSR_SS_PNS1_23onesweep_lookback_stateEbbT6_jjT7_P12ihipStream_tbENKUlT_T0_SG_SL_E_clIS7_S7_SB_SB_EEDaSZ_S10_SG_SL_EUlSZ_E_NS1_11comp_targetILNS1_3genE6ELNS1_11target_archE950ELNS1_3gpuE13ELNS1_3repE0EEENS1_47radix_sort_onesweep_sort_config_static_selectorELNS0_4arch9wavefront6targetE1EEEvSG_.num_vgpr, 0
	.set _ZN7rocprim17ROCPRIM_400000_NS6detail17trampoline_kernelINS0_14default_configENS1_35radix_sort_onesweep_config_selectorIllEEZZNS1_29radix_sort_onesweep_iterationIS3_Lb0EPlS7_N6thrust23THRUST_200600_302600_NS10device_ptrIlEESB_jNS0_19identity_decomposerENS1_16block_id_wrapperIjLb1EEEEE10hipError_tT1_PNSt15iterator_traitsISG_E10value_typeET2_T3_PNSH_ISM_E10value_typeET4_T5_PSR_SS_PNS1_23onesweep_lookback_stateEbbT6_jjT7_P12ihipStream_tbENKUlT_T0_SG_SL_E_clIS7_S7_SB_SB_EEDaSZ_S10_SG_SL_EUlSZ_E_NS1_11comp_targetILNS1_3genE6ELNS1_11target_archE950ELNS1_3gpuE13ELNS1_3repE0EEENS1_47radix_sort_onesweep_sort_config_static_selectorELNS0_4arch9wavefront6targetE1EEEvSG_.num_agpr, 0
	.set _ZN7rocprim17ROCPRIM_400000_NS6detail17trampoline_kernelINS0_14default_configENS1_35radix_sort_onesweep_config_selectorIllEEZZNS1_29radix_sort_onesweep_iterationIS3_Lb0EPlS7_N6thrust23THRUST_200600_302600_NS10device_ptrIlEESB_jNS0_19identity_decomposerENS1_16block_id_wrapperIjLb1EEEEE10hipError_tT1_PNSt15iterator_traitsISG_E10value_typeET2_T3_PNSH_ISM_E10value_typeET4_T5_PSR_SS_PNS1_23onesweep_lookback_stateEbbT6_jjT7_P12ihipStream_tbENKUlT_T0_SG_SL_E_clIS7_S7_SB_SB_EEDaSZ_S10_SG_SL_EUlSZ_E_NS1_11comp_targetILNS1_3genE6ELNS1_11target_archE950ELNS1_3gpuE13ELNS1_3repE0EEENS1_47radix_sort_onesweep_sort_config_static_selectorELNS0_4arch9wavefront6targetE1EEEvSG_.numbered_sgpr, 0
	.set _ZN7rocprim17ROCPRIM_400000_NS6detail17trampoline_kernelINS0_14default_configENS1_35radix_sort_onesweep_config_selectorIllEEZZNS1_29radix_sort_onesweep_iterationIS3_Lb0EPlS7_N6thrust23THRUST_200600_302600_NS10device_ptrIlEESB_jNS0_19identity_decomposerENS1_16block_id_wrapperIjLb1EEEEE10hipError_tT1_PNSt15iterator_traitsISG_E10value_typeET2_T3_PNSH_ISM_E10value_typeET4_T5_PSR_SS_PNS1_23onesweep_lookback_stateEbbT6_jjT7_P12ihipStream_tbENKUlT_T0_SG_SL_E_clIS7_S7_SB_SB_EEDaSZ_S10_SG_SL_EUlSZ_E_NS1_11comp_targetILNS1_3genE6ELNS1_11target_archE950ELNS1_3gpuE13ELNS1_3repE0EEENS1_47radix_sort_onesweep_sort_config_static_selectorELNS0_4arch9wavefront6targetE1EEEvSG_.num_named_barrier, 0
	.set _ZN7rocprim17ROCPRIM_400000_NS6detail17trampoline_kernelINS0_14default_configENS1_35radix_sort_onesweep_config_selectorIllEEZZNS1_29radix_sort_onesweep_iterationIS3_Lb0EPlS7_N6thrust23THRUST_200600_302600_NS10device_ptrIlEESB_jNS0_19identity_decomposerENS1_16block_id_wrapperIjLb1EEEEE10hipError_tT1_PNSt15iterator_traitsISG_E10value_typeET2_T3_PNSH_ISM_E10value_typeET4_T5_PSR_SS_PNS1_23onesweep_lookback_stateEbbT6_jjT7_P12ihipStream_tbENKUlT_T0_SG_SL_E_clIS7_S7_SB_SB_EEDaSZ_S10_SG_SL_EUlSZ_E_NS1_11comp_targetILNS1_3genE6ELNS1_11target_archE950ELNS1_3gpuE13ELNS1_3repE0EEENS1_47radix_sort_onesweep_sort_config_static_selectorELNS0_4arch9wavefront6targetE1EEEvSG_.private_seg_size, 0
	.set _ZN7rocprim17ROCPRIM_400000_NS6detail17trampoline_kernelINS0_14default_configENS1_35radix_sort_onesweep_config_selectorIllEEZZNS1_29radix_sort_onesweep_iterationIS3_Lb0EPlS7_N6thrust23THRUST_200600_302600_NS10device_ptrIlEESB_jNS0_19identity_decomposerENS1_16block_id_wrapperIjLb1EEEEE10hipError_tT1_PNSt15iterator_traitsISG_E10value_typeET2_T3_PNSH_ISM_E10value_typeET4_T5_PSR_SS_PNS1_23onesweep_lookback_stateEbbT6_jjT7_P12ihipStream_tbENKUlT_T0_SG_SL_E_clIS7_S7_SB_SB_EEDaSZ_S10_SG_SL_EUlSZ_E_NS1_11comp_targetILNS1_3genE6ELNS1_11target_archE950ELNS1_3gpuE13ELNS1_3repE0EEENS1_47radix_sort_onesweep_sort_config_static_selectorELNS0_4arch9wavefront6targetE1EEEvSG_.uses_vcc, 0
	.set _ZN7rocprim17ROCPRIM_400000_NS6detail17trampoline_kernelINS0_14default_configENS1_35radix_sort_onesweep_config_selectorIllEEZZNS1_29radix_sort_onesweep_iterationIS3_Lb0EPlS7_N6thrust23THRUST_200600_302600_NS10device_ptrIlEESB_jNS0_19identity_decomposerENS1_16block_id_wrapperIjLb1EEEEE10hipError_tT1_PNSt15iterator_traitsISG_E10value_typeET2_T3_PNSH_ISM_E10value_typeET4_T5_PSR_SS_PNS1_23onesweep_lookback_stateEbbT6_jjT7_P12ihipStream_tbENKUlT_T0_SG_SL_E_clIS7_S7_SB_SB_EEDaSZ_S10_SG_SL_EUlSZ_E_NS1_11comp_targetILNS1_3genE6ELNS1_11target_archE950ELNS1_3gpuE13ELNS1_3repE0EEENS1_47radix_sort_onesweep_sort_config_static_selectorELNS0_4arch9wavefront6targetE1EEEvSG_.uses_flat_scratch, 0
	.set _ZN7rocprim17ROCPRIM_400000_NS6detail17trampoline_kernelINS0_14default_configENS1_35radix_sort_onesweep_config_selectorIllEEZZNS1_29radix_sort_onesweep_iterationIS3_Lb0EPlS7_N6thrust23THRUST_200600_302600_NS10device_ptrIlEESB_jNS0_19identity_decomposerENS1_16block_id_wrapperIjLb1EEEEE10hipError_tT1_PNSt15iterator_traitsISG_E10value_typeET2_T3_PNSH_ISM_E10value_typeET4_T5_PSR_SS_PNS1_23onesweep_lookback_stateEbbT6_jjT7_P12ihipStream_tbENKUlT_T0_SG_SL_E_clIS7_S7_SB_SB_EEDaSZ_S10_SG_SL_EUlSZ_E_NS1_11comp_targetILNS1_3genE6ELNS1_11target_archE950ELNS1_3gpuE13ELNS1_3repE0EEENS1_47radix_sort_onesweep_sort_config_static_selectorELNS0_4arch9wavefront6targetE1EEEvSG_.has_dyn_sized_stack, 0
	.set _ZN7rocprim17ROCPRIM_400000_NS6detail17trampoline_kernelINS0_14default_configENS1_35radix_sort_onesweep_config_selectorIllEEZZNS1_29radix_sort_onesweep_iterationIS3_Lb0EPlS7_N6thrust23THRUST_200600_302600_NS10device_ptrIlEESB_jNS0_19identity_decomposerENS1_16block_id_wrapperIjLb1EEEEE10hipError_tT1_PNSt15iterator_traitsISG_E10value_typeET2_T3_PNSH_ISM_E10value_typeET4_T5_PSR_SS_PNS1_23onesweep_lookback_stateEbbT6_jjT7_P12ihipStream_tbENKUlT_T0_SG_SL_E_clIS7_S7_SB_SB_EEDaSZ_S10_SG_SL_EUlSZ_E_NS1_11comp_targetILNS1_3genE6ELNS1_11target_archE950ELNS1_3gpuE13ELNS1_3repE0EEENS1_47radix_sort_onesweep_sort_config_static_selectorELNS0_4arch9wavefront6targetE1EEEvSG_.has_recursion, 0
	.set _ZN7rocprim17ROCPRIM_400000_NS6detail17trampoline_kernelINS0_14default_configENS1_35radix_sort_onesweep_config_selectorIllEEZZNS1_29radix_sort_onesweep_iterationIS3_Lb0EPlS7_N6thrust23THRUST_200600_302600_NS10device_ptrIlEESB_jNS0_19identity_decomposerENS1_16block_id_wrapperIjLb1EEEEE10hipError_tT1_PNSt15iterator_traitsISG_E10value_typeET2_T3_PNSH_ISM_E10value_typeET4_T5_PSR_SS_PNS1_23onesweep_lookback_stateEbbT6_jjT7_P12ihipStream_tbENKUlT_T0_SG_SL_E_clIS7_S7_SB_SB_EEDaSZ_S10_SG_SL_EUlSZ_E_NS1_11comp_targetILNS1_3genE6ELNS1_11target_archE950ELNS1_3gpuE13ELNS1_3repE0EEENS1_47radix_sort_onesweep_sort_config_static_selectorELNS0_4arch9wavefront6targetE1EEEvSG_.has_indirect_call, 0
	.section	.AMDGPU.csdata,"",@progbits
; Kernel info:
; codeLenInByte = 0
; TotalNumSgprs: 4
; NumVgprs: 0
; ScratchSize: 0
; MemoryBound: 0
; FloatMode: 240
; IeeeMode: 1
; LDSByteSize: 0 bytes/workgroup (compile time only)
; SGPRBlocks: 0
; VGPRBlocks: 0
; NumSGPRsForWavesPerEU: 4
; NumVGPRsForWavesPerEU: 1
; Occupancy: 10
; WaveLimiterHint : 0
; COMPUTE_PGM_RSRC2:SCRATCH_EN: 0
; COMPUTE_PGM_RSRC2:USER_SGPR: 6
; COMPUTE_PGM_RSRC2:TRAP_HANDLER: 0
; COMPUTE_PGM_RSRC2:TGID_X_EN: 1
; COMPUTE_PGM_RSRC2:TGID_Y_EN: 0
; COMPUTE_PGM_RSRC2:TGID_Z_EN: 0
; COMPUTE_PGM_RSRC2:TIDIG_COMP_CNT: 0
	.section	.text._ZN7rocprim17ROCPRIM_400000_NS6detail17trampoline_kernelINS0_14default_configENS1_35radix_sort_onesweep_config_selectorIllEEZZNS1_29radix_sort_onesweep_iterationIS3_Lb0EPlS7_N6thrust23THRUST_200600_302600_NS10device_ptrIlEESB_jNS0_19identity_decomposerENS1_16block_id_wrapperIjLb1EEEEE10hipError_tT1_PNSt15iterator_traitsISG_E10value_typeET2_T3_PNSH_ISM_E10value_typeET4_T5_PSR_SS_PNS1_23onesweep_lookback_stateEbbT6_jjT7_P12ihipStream_tbENKUlT_T0_SG_SL_E_clIS7_S7_SB_SB_EEDaSZ_S10_SG_SL_EUlSZ_E_NS1_11comp_targetILNS1_3genE5ELNS1_11target_archE942ELNS1_3gpuE9ELNS1_3repE0EEENS1_47radix_sort_onesweep_sort_config_static_selectorELNS0_4arch9wavefront6targetE1EEEvSG_,"axG",@progbits,_ZN7rocprim17ROCPRIM_400000_NS6detail17trampoline_kernelINS0_14default_configENS1_35radix_sort_onesweep_config_selectorIllEEZZNS1_29radix_sort_onesweep_iterationIS3_Lb0EPlS7_N6thrust23THRUST_200600_302600_NS10device_ptrIlEESB_jNS0_19identity_decomposerENS1_16block_id_wrapperIjLb1EEEEE10hipError_tT1_PNSt15iterator_traitsISG_E10value_typeET2_T3_PNSH_ISM_E10value_typeET4_T5_PSR_SS_PNS1_23onesweep_lookback_stateEbbT6_jjT7_P12ihipStream_tbENKUlT_T0_SG_SL_E_clIS7_S7_SB_SB_EEDaSZ_S10_SG_SL_EUlSZ_E_NS1_11comp_targetILNS1_3genE5ELNS1_11target_archE942ELNS1_3gpuE9ELNS1_3repE0EEENS1_47radix_sort_onesweep_sort_config_static_selectorELNS0_4arch9wavefront6targetE1EEEvSG_,comdat
	.protected	_ZN7rocprim17ROCPRIM_400000_NS6detail17trampoline_kernelINS0_14default_configENS1_35radix_sort_onesweep_config_selectorIllEEZZNS1_29radix_sort_onesweep_iterationIS3_Lb0EPlS7_N6thrust23THRUST_200600_302600_NS10device_ptrIlEESB_jNS0_19identity_decomposerENS1_16block_id_wrapperIjLb1EEEEE10hipError_tT1_PNSt15iterator_traitsISG_E10value_typeET2_T3_PNSH_ISM_E10value_typeET4_T5_PSR_SS_PNS1_23onesweep_lookback_stateEbbT6_jjT7_P12ihipStream_tbENKUlT_T0_SG_SL_E_clIS7_S7_SB_SB_EEDaSZ_S10_SG_SL_EUlSZ_E_NS1_11comp_targetILNS1_3genE5ELNS1_11target_archE942ELNS1_3gpuE9ELNS1_3repE0EEENS1_47radix_sort_onesweep_sort_config_static_selectorELNS0_4arch9wavefront6targetE1EEEvSG_ ; -- Begin function _ZN7rocprim17ROCPRIM_400000_NS6detail17trampoline_kernelINS0_14default_configENS1_35radix_sort_onesweep_config_selectorIllEEZZNS1_29radix_sort_onesweep_iterationIS3_Lb0EPlS7_N6thrust23THRUST_200600_302600_NS10device_ptrIlEESB_jNS0_19identity_decomposerENS1_16block_id_wrapperIjLb1EEEEE10hipError_tT1_PNSt15iterator_traitsISG_E10value_typeET2_T3_PNSH_ISM_E10value_typeET4_T5_PSR_SS_PNS1_23onesweep_lookback_stateEbbT6_jjT7_P12ihipStream_tbENKUlT_T0_SG_SL_E_clIS7_S7_SB_SB_EEDaSZ_S10_SG_SL_EUlSZ_E_NS1_11comp_targetILNS1_3genE5ELNS1_11target_archE942ELNS1_3gpuE9ELNS1_3repE0EEENS1_47radix_sort_onesweep_sort_config_static_selectorELNS0_4arch9wavefront6targetE1EEEvSG_
	.globl	_ZN7rocprim17ROCPRIM_400000_NS6detail17trampoline_kernelINS0_14default_configENS1_35radix_sort_onesweep_config_selectorIllEEZZNS1_29radix_sort_onesweep_iterationIS3_Lb0EPlS7_N6thrust23THRUST_200600_302600_NS10device_ptrIlEESB_jNS0_19identity_decomposerENS1_16block_id_wrapperIjLb1EEEEE10hipError_tT1_PNSt15iterator_traitsISG_E10value_typeET2_T3_PNSH_ISM_E10value_typeET4_T5_PSR_SS_PNS1_23onesweep_lookback_stateEbbT6_jjT7_P12ihipStream_tbENKUlT_T0_SG_SL_E_clIS7_S7_SB_SB_EEDaSZ_S10_SG_SL_EUlSZ_E_NS1_11comp_targetILNS1_3genE5ELNS1_11target_archE942ELNS1_3gpuE9ELNS1_3repE0EEENS1_47radix_sort_onesweep_sort_config_static_selectorELNS0_4arch9wavefront6targetE1EEEvSG_
	.p2align	8
	.type	_ZN7rocprim17ROCPRIM_400000_NS6detail17trampoline_kernelINS0_14default_configENS1_35radix_sort_onesweep_config_selectorIllEEZZNS1_29radix_sort_onesweep_iterationIS3_Lb0EPlS7_N6thrust23THRUST_200600_302600_NS10device_ptrIlEESB_jNS0_19identity_decomposerENS1_16block_id_wrapperIjLb1EEEEE10hipError_tT1_PNSt15iterator_traitsISG_E10value_typeET2_T3_PNSH_ISM_E10value_typeET4_T5_PSR_SS_PNS1_23onesweep_lookback_stateEbbT6_jjT7_P12ihipStream_tbENKUlT_T0_SG_SL_E_clIS7_S7_SB_SB_EEDaSZ_S10_SG_SL_EUlSZ_E_NS1_11comp_targetILNS1_3genE5ELNS1_11target_archE942ELNS1_3gpuE9ELNS1_3repE0EEENS1_47radix_sort_onesweep_sort_config_static_selectorELNS0_4arch9wavefront6targetE1EEEvSG_,@function
_ZN7rocprim17ROCPRIM_400000_NS6detail17trampoline_kernelINS0_14default_configENS1_35radix_sort_onesweep_config_selectorIllEEZZNS1_29radix_sort_onesweep_iterationIS3_Lb0EPlS7_N6thrust23THRUST_200600_302600_NS10device_ptrIlEESB_jNS0_19identity_decomposerENS1_16block_id_wrapperIjLb1EEEEE10hipError_tT1_PNSt15iterator_traitsISG_E10value_typeET2_T3_PNSH_ISM_E10value_typeET4_T5_PSR_SS_PNS1_23onesweep_lookback_stateEbbT6_jjT7_P12ihipStream_tbENKUlT_T0_SG_SL_E_clIS7_S7_SB_SB_EEDaSZ_S10_SG_SL_EUlSZ_E_NS1_11comp_targetILNS1_3genE5ELNS1_11target_archE942ELNS1_3gpuE9ELNS1_3repE0EEENS1_47radix_sort_onesweep_sort_config_static_selectorELNS0_4arch9wavefront6targetE1EEEvSG_: ; @_ZN7rocprim17ROCPRIM_400000_NS6detail17trampoline_kernelINS0_14default_configENS1_35radix_sort_onesweep_config_selectorIllEEZZNS1_29radix_sort_onesweep_iterationIS3_Lb0EPlS7_N6thrust23THRUST_200600_302600_NS10device_ptrIlEESB_jNS0_19identity_decomposerENS1_16block_id_wrapperIjLb1EEEEE10hipError_tT1_PNSt15iterator_traitsISG_E10value_typeET2_T3_PNSH_ISM_E10value_typeET4_T5_PSR_SS_PNS1_23onesweep_lookback_stateEbbT6_jjT7_P12ihipStream_tbENKUlT_T0_SG_SL_E_clIS7_S7_SB_SB_EEDaSZ_S10_SG_SL_EUlSZ_E_NS1_11comp_targetILNS1_3genE5ELNS1_11target_archE942ELNS1_3gpuE9ELNS1_3repE0EEENS1_47radix_sort_onesweep_sort_config_static_selectorELNS0_4arch9wavefront6targetE1EEEvSG_
; %bb.0:
	.section	.rodata,"a",@progbits
	.p2align	6, 0x0
	.amdhsa_kernel _ZN7rocprim17ROCPRIM_400000_NS6detail17trampoline_kernelINS0_14default_configENS1_35radix_sort_onesweep_config_selectorIllEEZZNS1_29radix_sort_onesweep_iterationIS3_Lb0EPlS7_N6thrust23THRUST_200600_302600_NS10device_ptrIlEESB_jNS0_19identity_decomposerENS1_16block_id_wrapperIjLb1EEEEE10hipError_tT1_PNSt15iterator_traitsISG_E10value_typeET2_T3_PNSH_ISM_E10value_typeET4_T5_PSR_SS_PNS1_23onesweep_lookback_stateEbbT6_jjT7_P12ihipStream_tbENKUlT_T0_SG_SL_E_clIS7_S7_SB_SB_EEDaSZ_S10_SG_SL_EUlSZ_E_NS1_11comp_targetILNS1_3genE5ELNS1_11target_archE942ELNS1_3gpuE9ELNS1_3repE0EEENS1_47radix_sort_onesweep_sort_config_static_selectorELNS0_4arch9wavefront6targetE1EEEvSG_
		.amdhsa_group_segment_fixed_size 0
		.amdhsa_private_segment_fixed_size 0
		.amdhsa_kernarg_size 88
		.amdhsa_user_sgpr_count 6
		.amdhsa_user_sgpr_private_segment_buffer 1
		.amdhsa_user_sgpr_dispatch_ptr 0
		.amdhsa_user_sgpr_queue_ptr 0
		.amdhsa_user_sgpr_kernarg_segment_ptr 1
		.amdhsa_user_sgpr_dispatch_id 0
		.amdhsa_user_sgpr_flat_scratch_init 0
		.amdhsa_user_sgpr_private_segment_size 0
		.amdhsa_uses_dynamic_stack 0
		.amdhsa_system_sgpr_private_segment_wavefront_offset 0
		.amdhsa_system_sgpr_workgroup_id_x 1
		.amdhsa_system_sgpr_workgroup_id_y 0
		.amdhsa_system_sgpr_workgroup_id_z 0
		.amdhsa_system_sgpr_workgroup_info 0
		.amdhsa_system_vgpr_workitem_id 0
		.amdhsa_next_free_vgpr 1
		.amdhsa_next_free_sgpr 0
		.amdhsa_reserve_vcc 0
		.amdhsa_reserve_flat_scratch 0
		.amdhsa_float_round_mode_32 0
		.amdhsa_float_round_mode_16_64 0
		.amdhsa_float_denorm_mode_32 3
		.amdhsa_float_denorm_mode_16_64 3
		.amdhsa_dx10_clamp 1
		.amdhsa_ieee_mode 1
		.amdhsa_fp16_overflow 0
		.amdhsa_exception_fp_ieee_invalid_op 0
		.amdhsa_exception_fp_denorm_src 0
		.amdhsa_exception_fp_ieee_div_zero 0
		.amdhsa_exception_fp_ieee_overflow 0
		.amdhsa_exception_fp_ieee_underflow 0
		.amdhsa_exception_fp_ieee_inexact 0
		.amdhsa_exception_int_div_zero 0
	.end_amdhsa_kernel
	.section	.text._ZN7rocprim17ROCPRIM_400000_NS6detail17trampoline_kernelINS0_14default_configENS1_35radix_sort_onesweep_config_selectorIllEEZZNS1_29radix_sort_onesweep_iterationIS3_Lb0EPlS7_N6thrust23THRUST_200600_302600_NS10device_ptrIlEESB_jNS0_19identity_decomposerENS1_16block_id_wrapperIjLb1EEEEE10hipError_tT1_PNSt15iterator_traitsISG_E10value_typeET2_T3_PNSH_ISM_E10value_typeET4_T5_PSR_SS_PNS1_23onesweep_lookback_stateEbbT6_jjT7_P12ihipStream_tbENKUlT_T0_SG_SL_E_clIS7_S7_SB_SB_EEDaSZ_S10_SG_SL_EUlSZ_E_NS1_11comp_targetILNS1_3genE5ELNS1_11target_archE942ELNS1_3gpuE9ELNS1_3repE0EEENS1_47radix_sort_onesweep_sort_config_static_selectorELNS0_4arch9wavefront6targetE1EEEvSG_,"axG",@progbits,_ZN7rocprim17ROCPRIM_400000_NS6detail17trampoline_kernelINS0_14default_configENS1_35radix_sort_onesweep_config_selectorIllEEZZNS1_29radix_sort_onesweep_iterationIS3_Lb0EPlS7_N6thrust23THRUST_200600_302600_NS10device_ptrIlEESB_jNS0_19identity_decomposerENS1_16block_id_wrapperIjLb1EEEEE10hipError_tT1_PNSt15iterator_traitsISG_E10value_typeET2_T3_PNSH_ISM_E10value_typeET4_T5_PSR_SS_PNS1_23onesweep_lookback_stateEbbT6_jjT7_P12ihipStream_tbENKUlT_T0_SG_SL_E_clIS7_S7_SB_SB_EEDaSZ_S10_SG_SL_EUlSZ_E_NS1_11comp_targetILNS1_3genE5ELNS1_11target_archE942ELNS1_3gpuE9ELNS1_3repE0EEENS1_47radix_sort_onesweep_sort_config_static_selectorELNS0_4arch9wavefront6targetE1EEEvSG_,comdat
.Lfunc_end1134:
	.size	_ZN7rocprim17ROCPRIM_400000_NS6detail17trampoline_kernelINS0_14default_configENS1_35radix_sort_onesweep_config_selectorIllEEZZNS1_29radix_sort_onesweep_iterationIS3_Lb0EPlS7_N6thrust23THRUST_200600_302600_NS10device_ptrIlEESB_jNS0_19identity_decomposerENS1_16block_id_wrapperIjLb1EEEEE10hipError_tT1_PNSt15iterator_traitsISG_E10value_typeET2_T3_PNSH_ISM_E10value_typeET4_T5_PSR_SS_PNS1_23onesweep_lookback_stateEbbT6_jjT7_P12ihipStream_tbENKUlT_T0_SG_SL_E_clIS7_S7_SB_SB_EEDaSZ_S10_SG_SL_EUlSZ_E_NS1_11comp_targetILNS1_3genE5ELNS1_11target_archE942ELNS1_3gpuE9ELNS1_3repE0EEENS1_47radix_sort_onesweep_sort_config_static_selectorELNS0_4arch9wavefront6targetE1EEEvSG_, .Lfunc_end1134-_ZN7rocprim17ROCPRIM_400000_NS6detail17trampoline_kernelINS0_14default_configENS1_35radix_sort_onesweep_config_selectorIllEEZZNS1_29radix_sort_onesweep_iterationIS3_Lb0EPlS7_N6thrust23THRUST_200600_302600_NS10device_ptrIlEESB_jNS0_19identity_decomposerENS1_16block_id_wrapperIjLb1EEEEE10hipError_tT1_PNSt15iterator_traitsISG_E10value_typeET2_T3_PNSH_ISM_E10value_typeET4_T5_PSR_SS_PNS1_23onesweep_lookback_stateEbbT6_jjT7_P12ihipStream_tbENKUlT_T0_SG_SL_E_clIS7_S7_SB_SB_EEDaSZ_S10_SG_SL_EUlSZ_E_NS1_11comp_targetILNS1_3genE5ELNS1_11target_archE942ELNS1_3gpuE9ELNS1_3repE0EEENS1_47radix_sort_onesweep_sort_config_static_selectorELNS0_4arch9wavefront6targetE1EEEvSG_
                                        ; -- End function
	.set _ZN7rocprim17ROCPRIM_400000_NS6detail17trampoline_kernelINS0_14default_configENS1_35radix_sort_onesweep_config_selectorIllEEZZNS1_29radix_sort_onesweep_iterationIS3_Lb0EPlS7_N6thrust23THRUST_200600_302600_NS10device_ptrIlEESB_jNS0_19identity_decomposerENS1_16block_id_wrapperIjLb1EEEEE10hipError_tT1_PNSt15iterator_traitsISG_E10value_typeET2_T3_PNSH_ISM_E10value_typeET4_T5_PSR_SS_PNS1_23onesweep_lookback_stateEbbT6_jjT7_P12ihipStream_tbENKUlT_T0_SG_SL_E_clIS7_S7_SB_SB_EEDaSZ_S10_SG_SL_EUlSZ_E_NS1_11comp_targetILNS1_3genE5ELNS1_11target_archE942ELNS1_3gpuE9ELNS1_3repE0EEENS1_47radix_sort_onesweep_sort_config_static_selectorELNS0_4arch9wavefront6targetE1EEEvSG_.num_vgpr, 0
	.set _ZN7rocprim17ROCPRIM_400000_NS6detail17trampoline_kernelINS0_14default_configENS1_35radix_sort_onesweep_config_selectorIllEEZZNS1_29radix_sort_onesweep_iterationIS3_Lb0EPlS7_N6thrust23THRUST_200600_302600_NS10device_ptrIlEESB_jNS0_19identity_decomposerENS1_16block_id_wrapperIjLb1EEEEE10hipError_tT1_PNSt15iterator_traitsISG_E10value_typeET2_T3_PNSH_ISM_E10value_typeET4_T5_PSR_SS_PNS1_23onesweep_lookback_stateEbbT6_jjT7_P12ihipStream_tbENKUlT_T0_SG_SL_E_clIS7_S7_SB_SB_EEDaSZ_S10_SG_SL_EUlSZ_E_NS1_11comp_targetILNS1_3genE5ELNS1_11target_archE942ELNS1_3gpuE9ELNS1_3repE0EEENS1_47radix_sort_onesweep_sort_config_static_selectorELNS0_4arch9wavefront6targetE1EEEvSG_.num_agpr, 0
	.set _ZN7rocprim17ROCPRIM_400000_NS6detail17trampoline_kernelINS0_14default_configENS1_35radix_sort_onesweep_config_selectorIllEEZZNS1_29radix_sort_onesweep_iterationIS3_Lb0EPlS7_N6thrust23THRUST_200600_302600_NS10device_ptrIlEESB_jNS0_19identity_decomposerENS1_16block_id_wrapperIjLb1EEEEE10hipError_tT1_PNSt15iterator_traitsISG_E10value_typeET2_T3_PNSH_ISM_E10value_typeET4_T5_PSR_SS_PNS1_23onesweep_lookback_stateEbbT6_jjT7_P12ihipStream_tbENKUlT_T0_SG_SL_E_clIS7_S7_SB_SB_EEDaSZ_S10_SG_SL_EUlSZ_E_NS1_11comp_targetILNS1_3genE5ELNS1_11target_archE942ELNS1_3gpuE9ELNS1_3repE0EEENS1_47radix_sort_onesweep_sort_config_static_selectorELNS0_4arch9wavefront6targetE1EEEvSG_.numbered_sgpr, 0
	.set _ZN7rocprim17ROCPRIM_400000_NS6detail17trampoline_kernelINS0_14default_configENS1_35radix_sort_onesweep_config_selectorIllEEZZNS1_29radix_sort_onesweep_iterationIS3_Lb0EPlS7_N6thrust23THRUST_200600_302600_NS10device_ptrIlEESB_jNS0_19identity_decomposerENS1_16block_id_wrapperIjLb1EEEEE10hipError_tT1_PNSt15iterator_traitsISG_E10value_typeET2_T3_PNSH_ISM_E10value_typeET4_T5_PSR_SS_PNS1_23onesweep_lookback_stateEbbT6_jjT7_P12ihipStream_tbENKUlT_T0_SG_SL_E_clIS7_S7_SB_SB_EEDaSZ_S10_SG_SL_EUlSZ_E_NS1_11comp_targetILNS1_3genE5ELNS1_11target_archE942ELNS1_3gpuE9ELNS1_3repE0EEENS1_47radix_sort_onesweep_sort_config_static_selectorELNS0_4arch9wavefront6targetE1EEEvSG_.num_named_barrier, 0
	.set _ZN7rocprim17ROCPRIM_400000_NS6detail17trampoline_kernelINS0_14default_configENS1_35radix_sort_onesweep_config_selectorIllEEZZNS1_29radix_sort_onesweep_iterationIS3_Lb0EPlS7_N6thrust23THRUST_200600_302600_NS10device_ptrIlEESB_jNS0_19identity_decomposerENS1_16block_id_wrapperIjLb1EEEEE10hipError_tT1_PNSt15iterator_traitsISG_E10value_typeET2_T3_PNSH_ISM_E10value_typeET4_T5_PSR_SS_PNS1_23onesweep_lookback_stateEbbT6_jjT7_P12ihipStream_tbENKUlT_T0_SG_SL_E_clIS7_S7_SB_SB_EEDaSZ_S10_SG_SL_EUlSZ_E_NS1_11comp_targetILNS1_3genE5ELNS1_11target_archE942ELNS1_3gpuE9ELNS1_3repE0EEENS1_47radix_sort_onesweep_sort_config_static_selectorELNS0_4arch9wavefront6targetE1EEEvSG_.private_seg_size, 0
	.set _ZN7rocprim17ROCPRIM_400000_NS6detail17trampoline_kernelINS0_14default_configENS1_35radix_sort_onesweep_config_selectorIllEEZZNS1_29radix_sort_onesweep_iterationIS3_Lb0EPlS7_N6thrust23THRUST_200600_302600_NS10device_ptrIlEESB_jNS0_19identity_decomposerENS1_16block_id_wrapperIjLb1EEEEE10hipError_tT1_PNSt15iterator_traitsISG_E10value_typeET2_T3_PNSH_ISM_E10value_typeET4_T5_PSR_SS_PNS1_23onesweep_lookback_stateEbbT6_jjT7_P12ihipStream_tbENKUlT_T0_SG_SL_E_clIS7_S7_SB_SB_EEDaSZ_S10_SG_SL_EUlSZ_E_NS1_11comp_targetILNS1_3genE5ELNS1_11target_archE942ELNS1_3gpuE9ELNS1_3repE0EEENS1_47radix_sort_onesweep_sort_config_static_selectorELNS0_4arch9wavefront6targetE1EEEvSG_.uses_vcc, 0
	.set _ZN7rocprim17ROCPRIM_400000_NS6detail17trampoline_kernelINS0_14default_configENS1_35radix_sort_onesweep_config_selectorIllEEZZNS1_29radix_sort_onesweep_iterationIS3_Lb0EPlS7_N6thrust23THRUST_200600_302600_NS10device_ptrIlEESB_jNS0_19identity_decomposerENS1_16block_id_wrapperIjLb1EEEEE10hipError_tT1_PNSt15iterator_traitsISG_E10value_typeET2_T3_PNSH_ISM_E10value_typeET4_T5_PSR_SS_PNS1_23onesweep_lookback_stateEbbT6_jjT7_P12ihipStream_tbENKUlT_T0_SG_SL_E_clIS7_S7_SB_SB_EEDaSZ_S10_SG_SL_EUlSZ_E_NS1_11comp_targetILNS1_3genE5ELNS1_11target_archE942ELNS1_3gpuE9ELNS1_3repE0EEENS1_47radix_sort_onesweep_sort_config_static_selectorELNS0_4arch9wavefront6targetE1EEEvSG_.uses_flat_scratch, 0
	.set _ZN7rocprim17ROCPRIM_400000_NS6detail17trampoline_kernelINS0_14default_configENS1_35radix_sort_onesweep_config_selectorIllEEZZNS1_29radix_sort_onesweep_iterationIS3_Lb0EPlS7_N6thrust23THRUST_200600_302600_NS10device_ptrIlEESB_jNS0_19identity_decomposerENS1_16block_id_wrapperIjLb1EEEEE10hipError_tT1_PNSt15iterator_traitsISG_E10value_typeET2_T3_PNSH_ISM_E10value_typeET4_T5_PSR_SS_PNS1_23onesweep_lookback_stateEbbT6_jjT7_P12ihipStream_tbENKUlT_T0_SG_SL_E_clIS7_S7_SB_SB_EEDaSZ_S10_SG_SL_EUlSZ_E_NS1_11comp_targetILNS1_3genE5ELNS1_11target_archE942ELNS1_3gpuE9ELNS1_3repE0EEENS1_47radix_sort_onesweep_sort_config_static_selectorELNS0_4arch9wavefront6targetE1EEEvSG_.has_dyn_sized_stack, 0
	.set _ZN7rocprim17ROCPRIM_400000_NS6detail17trampoline_kernelINS0_14default_configENS1_35radix_sort_onesweep_config_selectorIllEEZZNS1_29radix_sort_onesweep_iterationIS3_Lb0EPlS7_N6thrust23THRUST_200600_302600_NS10device_ptrIlEESB_jNS0_19identity_decomposerENS1_16block_id_wrapperIjLb1EEEEE10hipError_tT1_PNSt15iterator_traitsISG_E10value_typeET2_T3_PNSH_ISM_E10value_typeET4_T5_PSR_SS_PNS1_23onesweep_lookback_stateEbbT6_jjT7_P12ihipStream_tbENKUlT_T0_SG_SL_E_clIS7_S7_SB_SB_EEDaSZ_S10_SG_SL_EUlSZ_E_NS1_11comp_targetILNS1_3genE5ELNS1_11target_archE942ELNS1_3gpuE9ELNS1_3repE0EEENS1_47radix_sort_onesweep_sort_config_static_selectorELNS0_4arch9wavefront6targetE1EEEvSG_.has_recursion, 0
	.set _ZN7rocprim17ROCPRIM_400000_NS6detail17trampoline_kernelINS0_14default_configENS1_35radix_sort_onesweep_config_selectorIllEEZZNS1_29radix_sort_onesweep_iterationIS3_Lb0EPlS7_N6thrust23THRUST_200600_302600_NS10device_ptrIlEESB_jNS0_19identity_decomposerENS1_16block_id_wrapperIjLb1EEEEE10hipError_tT1_PNSt15iterator_traitsISG_E10value_typeET2_T3_PNSH_ISM_E10value_typeET4_T5_PSR_SS_PNS1_23onesweep_lookback_stateEbbT6_jjT7_P12ihipStream_tbENKUlT_T0_SG_SL_E_clIS7_S7_SB_SB_EEDaSZ_S10_SG_SL_EUlSZ_E_NS1_11comp_targetILNS1_3genE5ELNS1_11target_archE942ELNS1_3gpuE9ELNS1_3repE0EEENS1_47radix_sort_onesweep_sort_config_static_selectorELNS0_4arch9wavefront6targetE1EEEvSG_.has_indirect_call, 0
	.section	.AMDGPU.csdata,"",@progbits
; Kernel info:
; codeLenInByte = 0
; TotalNumSgprs: 4
; NumVgprs: 0
; ScratchSize: 0
; MemoryBound: 0
; FloatMode: 240
; IeeeMode: 1
; LDSByteSize: 0 bytes/workgroup (compile time only)
; SGPRBlocks: 0
; VGPRBlocks: 0
; NumSGPRsForWavesPerEU: 4
; NumVGPRsForWavesPerEU: 1
; Occupancy: 10
; WaveLimiterHint : 0
; COMPUTE_PGM_RSRC2:SCRATCH_EN: 0
; COMPUTE_PGM_RSRC2:USER_SGPR: 6
; COMPUTE_PGM_RSRC2:TRAP_HANDLER: 0
; COMPUTE_PGM_RSRC2:TGID_X_EN: 1
; COMPUTE_PGM_RSRC2:TGID_Y_EN: 0
; COMPUTE_PGM_RSRC2:TGID_Z_EN: 0
; COMPUTE_PGM_RSRC2:TIDIG_COMP_CNT: 0
	.section	.text._ZN7rocprim17ROCPRIM_400000_NS6detail17trampoline_kernelINS0_14default_configENS1_35radix_sort_onesweep_config_selectorIllEEZZNS1_29radix_sort_onesweep_iterationIS3_Lb0EPlS7_N6thrust23THRUST_200600_302600_NS10device_ptrIlEESB_jNS0_19identity_decomposerENS1_16block_id_wrapperIjLb1EEEEE10hipError_tT1_PNSt15iterator_traitsISG_E10value_typeET2_T3_PNSH_ISM_E10value_typeET4_T5_PSR_SS_PNS1_23onesweep_lookback_stateEbbT6_jjT7_P12ihipStream_tbENKUlT_T0_SG_SL_E_clIS7_S7_SB_SB_EEDaSZ_S10_SG_SL_EUlSZ_E_NS1_11comp_targetILNS1_3genE2ELNS1_11target_archE906ELNS1_3gpuE6ELNS1_3repE0EEENS1_47radix_sort_onesweep_sort_config_static_selectorELNS0_4arch9wavefront6targetE1EEEvSG_,"axG",@progbits,_ZN7rocprim17ROCPRIM_400000_NS6detail17trampoline_kernelINS0_14default_configENS1_35radix_sort_onesweep_config_selectorIllEEZZNS1_29radix_sort_onesweep_iterationIS3_Lb0EPlS7_N6thrust23THRUST_200600_302600_NS10device_ptrIlEESB_jNS0_19identity_decomposerENS1_16block_id_wrapperIjLb1EEEEE10hipError_tT1_PNSt15iterator_traitsISG_E10value_typeET2_T3_PNSH_ISM_E10value_typeET4_T5_PSR_SS_PNS1_23onesweep_lookback_stateEbbT6_jjT7_P12ihipStream_tbENKUlT_T0_SG_SL_E_clIS7_S7_SB_SB_EEDaSZ_S10_SG_SL_EUlSZ_E_NS1_11comp_targetILNS1_3genE2ELNS1_11target_archE906ELNS1_3gpuE6ELNS1_3repE0EEENS1_47radix_sort_onesweep_sort_config_static_selectorELNS0_4arch9wavefront6targetE1EEEvSG_,comdat
	.protected	_ZN7rocprim17ROCPRIM_400000_NS6detail17trampoline_kernelINS0_14default_configENS1_35radix_sort_onesweep_config_selectorIllEEZZNS1_29radix_sort_onesweep_iterationIS3_Lb0EPlS7_N6thrust23THRUST_200600_302600_NS10device_ptrIlEESB_jNS0_19identity_decomposerENS1_16block_id_wrapperIjLb1EEEEE10hipError_tT1_PNSt15iterator_traitsISG_E10value_typeET2_T3_PNSH_ISM_E10value_typeET4_T5_PSR_SS_PNS1_23onesweep_lookback_stateEbbT6_jjT7_P12ihipStream_tbENKUlT_T0_SG_SL_E_clIS7_S7_SB_SB_EEDaSZ_S10_SG_SL_EUlSZ_E_NS1_11comp_targetILNS1_3genE2ELNS1_11target_archE906ELNS1_3gpuE6ELNS1_3repE0EEENS1_47radix_sort_onesweep_sort_config_static_selectorELNS0_4arch9wavefront6targetE1EEEvSG_ ; -- Begin function _ZN7rocprim17ROCPRIM_400000_NS6detail17trampoline_kernelINS0_14default_configENS1_35radix_sort_onesweep_config_selectorIllEEZZNS1_29radix_sort_onesweep_iterationIS3_Lb0EPlS7_N6thrust23THRUST_200600_302600_NS10device_ptrIlEESB_jNS0_19identity_decomposerENS1_16block_id_wrapperIjLb1EEEEE10hipError_tT1_PNSt15iterator_traitsISG_E10value_typeET2_T3_PNSH_ISM_E10value_typeET4_T5_PSR_SS_PNS1_23onesweep_lookback_stateEbbT6_jjT7_P12ihipStream_tbENKUlT_T0_SG_SL_E_clIS7_S7_SB_SB_EEDaSZ_S10_SG_SL_EUlSZ_E_NS1_11comp_targetILNS1_3genE2ELNS1_11target_archE906ELNS1_3gpuE6ELNS1_3repE0EEENS1_47radix_sort_onesweep_sort_config_static_selectorELNS0_4arch9wavefront6targetE1EEEvSG_
	.globl	_ZN7rocprim17ROCPRIM_400000_NS6detail17trampoline_kernelINS0_14default_configENS1_35radix_sort_onesweep_config_selectorIllEEZZNS1_29radix_sort_onesweep_iterationIS3_Lb0EPlS7_N6thrust23THRUST_200600_302600_NS10device_ptrIlEESB_jNS0_19identity_decomposerENS1_16block_id_wrapperIjLb1EEEEE10hipError_tT1_PNSt15iterator_traitsISG_E10value_typeET2_T3_PNSH_ISM_E10value_typeET4_T5_PSR_SS_PNS1_23onesweep_lookback_stateEbbT6_jjT7_P12ihipStream_tbENKUlT_T0_SG_SL_E_clIS7_S7_SB_SB_EEDaSZ_S10_SG_SL_EUlSZ_E_NS1_11comp_targetILNS1_3genE2ELNS1_11target_archE906ELNS1_3gpuE6ELNS1_3repE0EEENS1_47radix_sort_onesweep_sort_config_static_selectorELNS0_4arch9wavefront6targetE1EEEvSG_
	.p2align	8
	.type	_ZN7rocprim17ROCPRIM_400000_NS6detail17trampoline_kernelINS0_14default_configENS1_35radix_sort_onesweep_config_selectorIllEEZZNS1_29radix_sort_onesweep_iterationIS3_Lb0EPlS7_N6thrust23THRUST_200600_302600_NS10device_ptrIlEESB_jNS0_19identity_decomposerENS1_16block_id_wrapperIjLb1EEEEE10hipError_tT1_PNSt15iterator_traitsISG_E10value_typeET2_T3_PNSH_ISM_E10value_typeET4_T5_PSR_SS_PNS1_23onesweep_lookback_stateEbbT6_jjT7_P12ihipStream_tbENKUlT_T0_SG_SL_E_clIS7_S7_SB_SB_EEDaSZ_S10_SG_SL_EUlSZ_E_NS1_11comp_targetILNS1_3genE2ELNS1_11target_archE906ELNS1_3gpuE6ELNS1_3repE0EEENS1_47radix_sort_onesweep_sort_config_static_selectorELNS0_4arch9wavefront6targetE1EEEvSG_,@function
_ZN7rocprim17ROCPRIM_400000_NS6detail17trampoline_kernelINS0_14default_configENS1_35radix_sort_onesweep_config_selectorIllEEZZNS1_29radix_sort_onesweep_iterationIS3_Lb0EPlS7_N6thrust23THRUST_200600_302600_NS10device_ptrIlEESB_jNS0_19identity_decomposerENS1_16block_id_wrapperIjLb1EEEEE10hipError_tT1_PNSt15iterator_traitsISG_E10value_typeET2_T3_PNSH_ISM_E10value_typeET4_T5_PSR_SS_PNS1_23onesweep_lookback_stateEbbT6_jjT7_P12ihipStream_tbENKUlT_T0_SG_SL_E_clIS7_S7_SB_SB_EEDaSZ_S10_SG_SL_EUlSZ_E_NS1_11comp_targetILNS1_3genE2ELNS1_11target_archE906ELNS1_3gpuE6ELNS1_3repE0EEENS1_47radix_sort_onesweep_sort_config_static_selectorELNS0_4arch9wavefront6targetE1EEEvSG_: ; @_ZN7rocprim17ROCPRIM_400000_NS6detail17trampoline_kernelINS0_14default_configENS1_35radix_sort_onesweep_config_selectorIllEEZZNS1_29radix_sort_onesweep_iterationIS3_Lb0EPlS7_N6thrust23THRUST_200600_302600_NS10device_ptrIlEESB_jNS0_19identity_decomposerENS1_16block_id_wrapperIjLb1EEEEE10hipError_tT1_PNSt15iterator_traitsISG_E10value_typeET2_T3_PNSH_ISM_E10value_typeET4_T5_PSR_SS_PNS1_23onesweep_lookback_stateEbbT6_jjT7_P12ihipStream_tbENKUlT_T0_SG_SL_E_clIS7_S7_SB_SB_EEDaSZ_S10_SG_SL_EUlSZ_E_NS1_11comp_targetILNS1_3genE2ELNS1_11target_archE906ELNS1_3gpuE6ELNS1_3repE0EEENS1_47radix_sort_onesweep_sort_config_static_selectorELNS0_4arch9wavefront6targetE1EEEvSG_
; %bb.0:
	s_load_dwordx4 s[28:31], s[4:5], 0x28
	s_load_dwordx2 s[26:27], s[4:5], 0x38
	s_load_dwordx4 s[44:47], s[4:5], 0x44
	s_add_u32 s0, s0, s7
	s_addc_u32 s1, s1, 0
	v_cmp_eq_u32_e64 s[22:23], 0, v0
	s_and_saveexec_b64 s[8:9], s[22:23]
	s_cbranch_execz .LBB1135_4
; %bb.1:
	s_mov_b64 s[12:13], exec
	v_mbcnt_lo_u32_b32 v3, s12, 0
	v_mbcnt_hi_u32_b32 v3, s13, v3
	v_cmp_eq_u32_e32 vcc, 0, v3
                                        ; implicit-def: $vgpr4
	s_and_saveexec_b64 s[10:11], vcc
	s_cbranch_execz .LBB1135_3
; %bb.2:
	s_load_dwordx2 s[14:15], s[4:5], 0x50
	s_bcnt1_i32_b64 s7, s[12:13]
	v_mov_b32_e32 v4, 0
	v_mov_b32_e32 v5, s7
	s_waitcnt lgkmcnt(0)
	global_atomic_add v4, v4, v5, s[14:15] glc
.LBB1135_3:
	s_or_b64 exec, exec, s[10:11]
	s_waitcnt vmcnt(0)
	v_readfirstlane_b32 s7, v4
	v_add_u32_e32 v3, s7, v3
	v_mov_b32_e32 v4, 0
	ds_write_b32 v4, v3 offset:10272
.LBB1135_4:
	s_or_b64 exec, exec, s[8:9]
	v_mov_b32_e32 v3, 0
	s_load_dwordx8 s[36:43], s[4:5], 0x0
	s_load_dword s7, s[4:5], 0x20
	s_waitcnt lgkmcnt(0)
	s_barrier
	ds_read_b32 v3, v3 offset:10272
	s_mov_b64 s[8:9], -1
	v_mbcnt_lo_u32_b32 v21, -1, 0
	s_waitcnt lgkmcnt(0)
	s_barrier
	v_readfirstlane_b32 s33, v3
	v_cmp_le_u32_e32 vcc, s46, v3
	s_mul_i32 s34, s33, 0xc00
	s_cbranch_vccz .LBB1135_76
; %bb.5:
	s_mul_i32 s8, s46, 0xfffff400
	s_mov_b32 s35, 0
	s_add_i32 s7, s8, s7
	s_lshl_b64 s[46:47], s[34:35], 3
	v_mbcnt_hi_u32_b32 v19, -1, v21
	s_add_u32 s8, s36, s46
	v_and_b32_e32 v3, 63, v19
	s_addc_u32 s9, s37, s47
	v_and_b32_e32 v20, 0x1c0, v0
	v_lshlrev_b32_e32 v22, 3, v3
	v_mul_u32_u24_e32 v4, 6, v20
	v_mov_b32_e32 v5, s9
	v_add_co_u32_e32 v6, vcc, s8, v22
	v_addc_co_u32_e32 v5, vcc, 0, v5, vcc
	v_lshlrev_b32_e32 v23, 3, v4
	v_add_co_u32_e32 v15, vcc, v6, v23
	v_addc_co_u32_e32 v16, vcc, 0, v5, vcc
	v_or_b32_e32 v17, v3, v4
	v_mov_b32_e32 v3, -1
	v_mov_b32_e32 v5, -1
	;; [unrolled: 1-line block ×4, first 2 shown]
	v_cmp_gt_u32_e32 vcc, s7, v17
	s_and_saveexec_b64 s[8:9], vcc
	s_cbranch_execz .LBB1135_7
; %bb.6:
	global_load_dwordx2 v[5:6], v[15:16], off
	s_waitcnt vmcnt(0)
	v_xor_b32_e32 v6, 0x80000000, v6
.LBB1135_7:
	s_or_b64 exec, exec, s[8:9]
	v_or_b32_e32 v7, 64, v17
	v_cmp_gt_u32_e64 s[8:9], s7, v7
	s_and_saveexec_b64 s[10:11], s[8:9]
	s_cbranch_execz .LBB1135_9
; %bb.8:
	global_load_dwordx2 v[3:4], v[15:16], off offset:512
	s_waitcnt vmcnt(0)
	v_xor_b32_e32 v4, 0x80000000, v4
.LBB1135_9:
	s_or_b64 exec, exec, s[10:11]
	v_add_u32_e32 v11, 0x80, v17
	v_mov_b32_e32 v7, -1
	v_mov_b32_e32 v9, -1
	;; [unrolled: 1-line block ×4, first 2 shown]
	v_cmp_gt_u32_e64 s[10:11], s7, v11
	s_and_saveexec_b64 s[12:13], s[10:11]
	s_cbranch_execz .LBB1135_11
; %bb.10:
	global_load_dwordx2 v[9:10], v[15:16], off offset:1024
	s_waitcnt vmcnt(0)
	v_xor_b32_e32 v10, 0x80000000, v10
.LBB1135_11:
	s_or_b64 exec, exec, s[12:13]
	v_add_u32_e32 v11, 0xc0, v17
	v_cmp_gt_u32_e64 s[12:13], s7, v11
	s_and_saveexec_b64 s[14:15], s[12:13]
	s_cbranch_execz .LBB1135_13
; %bb.12:
	global_load_dwordx2 v[7:8], v[15:16], off offset:1536
	s_waitcnt vmcnt(0)
	v_xor_b32_e32 v8, 0x80000000, v8
.LBB1135_13:
	s_or_b64 exec, exec, s[14:15]
	v_add_u32_e32 v18, 0x100, v17
	v_mov_b32_e32 v11, -1
	v_mov_b32_e32 v13, -1
	;; [unrolled: 1-line block ×4, first 2 shown]
	v_cmp_gt_u32_e64 s[14:15], s7, v18
	s_and_saveexec_b64 s[16:17], s[14:15]
	s_cbranch_execz .LBB1135_15
; %bb.14:
	global_load_dwordx2 v[13:14], v[15:16], off offset:2048
	s_waitcnt vmcnt(0)
	v_xor_b32_e32 v14, 0x80000000, v14
.LBB1135_15:
	s_or_b64 exec, exec, s[16:17]
	v_add_u32_e32 v17, 0x140, v17
	v_cmp_gt_u32_e64 s[16:17], s7, v17
	s_and_saveexec_b64 s[18:19], s[16:17]
	s_cbranch_execz .LBB1135_17
; %bb.16:
	global_load_dwordx2 v[11:12], v[15:16], off offset:2560
	s_waitcnt vmcnt(0)
	v_xor_b32_e32 v12, 0x80000000, v12
.LBB1135_17:
	s_or_b64 exec, exec, s[18:19]
	s_load_dword s18, s[4:5], 0x64
	s_load_dword s35, s[4:5], 0x58
	s_add_u32 s19, s4, 0x58
	s_addc_u32 s20, s5, 0
	v_mov_b32_e32 v15, 0
	s_waitcnt lgkmcnt(0)
	s_lshr_b32 s21, s18, 16
	s_cmp_lt_u32 s6, s35
	s_cselect_b32 s18, 12, 18
	s_add_u32 s18, s19, s18
	s_addc_u32 s19, s20, 0
	global_load_ushort v18, v15, s[18:19]
	v_lshrrev_b64 v[16:17], s44, v[5:6]
	s_lshl_b32 s18, -1, s45
	s_not_b32 s54, s18
	v_and_b32_e32 v25, s54, v16
	v_and_b32_e32 v26, 1, v25
	v_add_co_u32_e64 v28, s[18:19], -1, v26
	v_lshlrev_b32_e32 v16, 30, v25
	v_addc_co_u32_e64 v29, s[18:19], 0, -1, s[18:19]
	v_mad_u32_u24 v17, v2, s21, v1
	v_cmp_ne_u32_e64 s[18:19], 0, v26
	v_cmp_gt_i64_e64 s[20:21], 0, v[15:16]
	v_not_b32_e32 v26, v16
	v_lshlrev_b32_e32 v16, 29, v25
	v_xor_b32_e32 v29, s19, v29
	v_xor_b32_e32 v28, s18, v28
	v_ashrrev_i32_e32 v26, 31, v26
	v_cmp_gt_i64_e64 s[18:19], 0, v[15:16]
	v_not_b32_e32 v30, v16
	v_lshlrev_b32_e32 v16, 28, v25
	v_and_b32_e32 v29, exec_hi, v29
	v_and_b32_e32 v28, exec_lo, v28
	v_xor_b32_e32 v31, s21, v26
	v_xor_b32_e32 v26, s20, v26
	v_ashrrev_i32_e32 v30, 31, v30
	v_cmp_gt_i64_e64 s[20:21], 0, v[15:16]
	v_not_b32_e32 v32, v16
	v_lshlrev_b32_e32 v16, 27, v25
	v_and_b32_e32 v29, v29, v31
	v_and_b32_e32 v26, v28, v26
	v_xor_b32_e32 v28, s19, v30
	v_xor_b32_e32 v30, s18, v30
	v_ashrrev_i32_e32 v31, 31, v32
	v_cmp_gt_i64_e64 s[18:19], 0, v[15:16]
	v_not_b32_e32 v32, v16
	v_lshlrev_b32_e32 v16, 26, v25
	v_and_b32_e32 v28, v29, v28
	v_and_b32_e32 v26, v26, v30
	;; [unrolled: 8-line block ×3, first 2 shown]
	v_xor_b32_e32 v29, s19, v31
	v_xor_b32_e32 v30, s18, v31
	v_ashrrev_i32_e32 v31, 31, v32
	v_cmp_gt_i64_e64 s[18:19], 0, v[15:16]
	v_not_b32_e32 v32, v16
	v_mul_lo_u32 v27, v25, 36
	v_lshlrev_b32_e32 v16, 24, v25
	v_and_b32_e32 v25, v28, v29
	v_and_b32_e32 v26, v26, v30
	v_xor_b32_e32 v28, s21, v31
	v_xor_b32_e32 v29, s20, v31
	v_ashrrev_i32_e32 v30, 31, v32
	v_and_b32_e32 v25, v25, v28
	v_and_b32_e32 v26, v26, v29
	v_xor_b32_e32 v28, s19, v30
	v_xor_b32_e32 v29, s18, v30
	v_cmp_gt_i64_e64 s[20:21], 0, v[15:16]
	v_not_b32_e32 v16, v16
	v_and_b32_e32 v28, v25, v28
	v_and_b32_e32 v29, v26, v29
	v_ashrrev_i32_e32 v16, 31, v16
	v_xor_b32_e32 v30, s21, v16
	v_xor_b32_e32 v16, s20, v16
	v_and_b32_e32 v16, v29, v16
	v_mul_u32_u24_e32 v24, 20, v0
	ds_write2_b32 v24, v15, v15 offset0:8 offset1:9
	ds_write2_b32 v24, v15, v15 offset0:10 offset1:11
	ds_write_b32 v24, v15 offset:48
	s_waitcnt vmcnt(0) lgkmcnt(0)
	s_barrier
	; wave barrier
	v_mad_u64_u32 v[25:26], s[18:19], v17, v18, v[0:1]
	v_and_b32_e32 v17, v28, v30
	v_cmp_ne_u64_e64 s[18:19], 0, v[16:17]
	v_lshrrev_b32_e32 v18, 6, v25
	v_mbcnt_lo_u32_b32 v25, v16, 0
	v_mbcnt_hi_u32_b32 v25, v17, v25
	v_cmp_eq_u32_e64 s[20:21], 0, v25
	v_lshl_add_u32 v29, v18, 2, v27
	s_and_b64 s[20:21], s[18:19], s[20:21]
	s_and_saveexec_b64 s[18:19], s[20:21]
; %bb.18:
	v_bcnt_u32_b32 v16, v16, 0
	v_bcnt_u32_b32 v16, v17, v16
	ds_write_b32 v29, v16 offset:32
; %bb.19:
	s_or_b64 exec, exec, s[18:19]
	v_lshrrev_b64 v[16:17], s44, v[3:4]
	v_and_b32_e32 v17, s54, v16
	v_mul_lo_u32 v16, v17, 36
	v_and_b32_e32 v27, 1, v17
	; wave barrier
	v_lshl_add_u32 v30, v18, 2, v16
	v_add_co_u32_e64 v16, s[18:19], -1, v27
	v_addc_co_u32_e64 v28, s[18:19], 0, -1, s[18:19]
	v_cmp_ne_u32_e64 s[18:19], 0, v27
	v_xor_b32_e32 v16, s18, v16
	v_xor_b32_e32 v27, s19, v28
	v_and_b32_e32 v28, exec_lo, v16
	v_lshlrev_b32_e32 v16, 30, v17
	v_cmp_gt_i64_e64 s[18:19], 0, v[15:16]
	v_not_b32_e32 v16, v16
	v_ashrrev_i32_e32 v16, 31, v16
	v_xor_b32_e32 v31, s19, v16
	v_xor_b32_e32 v16, s18, v16
	v_and_b32_e32 v28, v28, v16
	v_lshlrev_b32_e32 v16, 29, v17
	v_cmp_gt_i64_e64 s[18:19], 0, v[15:16]
	v_not_b32_e32 v16, v16
	v_and_b32_e32 v27, exec_hi, v27
	v_ashrrev_i32_e32 v16, 31, v16
	v_and_b32_e32 v27, v27, v31
	v_xor_b32_e32 v31, s19, v16
	v_xor_b32_e32 v16, s18, v16
	v_and_b32_e32 v28, v28, v16
	v_lshlrev_b32_e32 v16, 28, v17
	v_cmp_gt_i64_e64 s[18:19], 0, v[15:16]
	v_not_b32_e32 v16, v16
	v_ashrrev_i32_e32 v16, 31, v16
	v_and_b32_e32 v27, v27, v31
	v_xor_b32_e32 v31, s19, v16
	v_xor_b32_e32 v16, s18, v16
	v_and_b32_e32 v28, v28, v16
	v_lshlrev_b32_e32 v16, 27, v17
	v_cmp_gt_i64_e64 s[18:19], 0, v[15:16]
	v_not_b32_e32 v16, v16
	;; [unrolled: 8-line block ×5, first 2 shown]
	v_ashrrev_i32_e32 v15, 31, v15
	v_xor_b32_e32 v16, s19, v15
	v_xor_b32_e32 v15, s18, v15
	ds_read_b32 v26, v30 offset:32
	v_and_b32_e32 v27, v27, v31
	v_and_b32_e32 v15, v28, v15
	;; [unrolled: 1-line block ×3, first 2 shown]
	v_mbcnt_lo_u32_b32 v17, v15, 0
	v_mbcnt_hi_u32_b32 v27, v16, v17
	v_cmp_ne_u64_e64 s[18:19], 0, v[15:16]
	v_cmp_eq_u32_e64 s[20:21], 0, v27
	s_and_b64 s[20:21], s[18:19], s[20:21]
	; wave barrier
	s_and_saveexec_b64 s[18:19], s[20:21]
	s_cbranch_execz .LBB1135_21
; %bb.20:
	v_bcnt_u32_b32 v15, v15, 0
	v_bcnt_u32_b32 v15, v16, v15
	s_waitcnt lgkmcnt(0)
	v_add_u32_e32 v15, v26, v15
	ds_write_b32 v30, v15 offset:32
.LBB1135_21:
	s_or_b64 exec, exec, s[18:19]
	v_lshrrev_b64 v[15:16], s44, v[9:10]
	v_and_b32_e32 v17, s54, v15
	v_mul_lo_u32 v16, v17, 36
	v_and_b32_e32 v31, 1, v17
	v_mov_b32_e32 v15, 0
	; wave barrier
	v_lshl_add_u32 v33, v18, 2, v16
	v_add_co_u32_e64 v16, s[18:19], -1, v31
	v_addc_co_u32_e64 v32, s[18:19], 0, -1, s[18:19]
	v_cmp_ne_u32_e64 s[18:19], 0, v31
	v_xor_b32_e32 v16, s18, v16
	v_xor_b32_e32 v31, s19, v32
	v_and_b32_e32 v32, exec_lo, v16
	v_lshlrev_b32_e32 v16, 30, v17
	v_cmp_gt_i64_e64 s[18:19], 0, v[15:16]
	v_not_b32_e32 v16, v16
	v_ashrrev_i32_e32 v16, 31, v16
	v_xor_b32_e32 v34, s19, v16
	v_xor_b32_e32 v16, s18, v16
	v_and_b32_e32 v32, v32, v16
	v_lshlrev_b32_e32 v16, 29, v17
	v_cmp_gt_i64_e64 s[18:19], 0, v[15:16]
	v_not_b32_e32 v16, v16
	v_and_b32_e32 v31, exec_hi, v31
	v_ashrrev_i32_e32 v16, 31, v16
	v_and_b32_e32 v31, v31, v34
	v_xor_b32_e32 v34, s19, v16
	v_xor_b32_e32 v16, s18, v16
	v_and_b32_e32 v32, v32, v16
	v_lshlrev_b32_e32 v16, 28, v17
	v_cmp_gt_i64_e64 s[18:19], 0, v[15:16]
	v_not_b32_e32 v16, v16
	v_ashrrev_i32_e32 v16, 31, v16
	v_and_b32_e32 v31, v31, v34
	v_xor_b32_e32 v34, s19, v16
	v_xor_b32_e32 v16, s18, v16
	v_and_b32_e32 v32, v32, v16
	v_lshlrev_b32_e32 v16, 27, v17
	v_cmp_gt_i64_e64 s[18:19], 0, v[15:16]
	v_not_b32_e32 v16, v16
	;; [unrolled: 8-line block ×5, first 2 shown]
	v_ashrrev_i32_e32 v16, 31, v16
	v_xor_b32_e32 v17, s19, v16
	v_xor_b32_e32 v16, s18, v16
	ds_read_b32 v28, v33 offset:32
	v_and_b32_e32 v31, v31, v34
	v_and_b32_e32 v16, v32, v16
	;; [unrolled: 1-line block ×3, first 2 shown]
	v_mbcnt_lo_u32_b32 v31, v16, 0
	v_mbcnt_hi_u32_b32 v31, v17, v31
	v_cmp_ne_u64_e64 s[18:19], 0, v[16:17]
	v_cmp_eq_u32_e64 s[20:21], 0, v31
	s_and_b64 s[20:21], s[18:19], s[20:21]
	; wave barrier
	s_and_saveexec_b64 s[18:19], s[20:21]
	s_cbranch_execz .LBB1135_23
; %bb.22:
	v_bcnt_u32_b32 v16, v16, 0
	v_bcnt_u32_b32 v16, v17, v16
	s_waitcnt lgkmcnt(0)
	v_add_u32_e32 v16, v28, v16
	ds_write_b32 v33, v16 offset:32
.LBB1135_23:
	s_or_b64 exec, exec, s[18:19]
	v_lshrrev_b64 v[16:17], s44, v[7:8]
	v_and_b32_e32 v17, s54, v16
	v_mul_lo_u32 v16, v17, 36
	v_and_b32_e32 v34, 1, v17
	; wave barrier
	v_lshl_add_u32 v36, v18, 2, v16
	v_add_co_u32_e64 v16, s[18:19], -1, v34
	v_addc_co_u32_e64 v35, s[18:19], 0, -1, s[18:19]
	v_cmp_ne_u32_e64 s[18:19], 0, v34
	v_xor_b32_e32 v16, s18, v16
	v_xor_b32_e32 v34, s19, v35
	v_and_b32_e32 v35, exec_lo, v16
	v_lshlrev_b32_e32 v16, 30, v17
	v_cmp_gt_i64_e64 s[18:19], 0, v[15:16]
	v_not_b32_e32 v16, v16
	v_ashrrev_i32_e32 v16, 31, v16
	v_xor_b32_e32 v37, s19, v16
	v_xor_b32_e32 v16, s18, v16
	v_and_b32_e32 v35, v35, v16
	v_lshlrev_b32_e32 v16, 29, v17
	v_cmp_gt_i64_e64 s[18:19], 0, v[15:16]
	v_not_b32_e32 v16, v16
	v_and_b32_e32 v34, exec_hi, v34
	v_ashrrev_i32_e32 v16, 31, v16
	v_and_b32_e32 v34, v34, v37
	v_xor_b32_e32 v37, s19, v16
	v_xor_b32_e32 v16, s18, v16
	v_and_b32_e32 v35, v35, v16
	v_lshlrev_b32_e32 v16, 28, v17
	v_cmp_gt_i64_e64 s[18:19], 0, v[15:16]
	v_not_b32_e32 v16, v16
	v_ashrrev_i32_e32 v16, 31, v16
	v_and_b32_e32 v34, v34, v37
	v_xor_b32_e32 v37, s19, v16
	v_xor_b32_e32 v16, s18, v16
	v_and_b32_e32 v35, v35, v16
	v_lshlrev_b32_e32 v16, 27, v17
	v_cmp_gt_i64_e64 s[18:19], 0, v[15:16]
	v_not_b32_e32 v16, v16
	;; [unrolled: 8-line block ×5, first 2 shown]
	v_ashrrev_i32_e32 v15, 31, v15
	v_xor_b32_e32 v16, s19, v15
	v_xor_b32_e32 v15, s18, v15
	ds_read_b32 v32, v36 offset:32
	v_and_b32_e32 v34, v34, v37
	v_and_b32_e32 v15, v35, v15
	;; [unrolled: 1-line block ×3, first 2 shown]
	v_mbcnt_lo_u32_b32 v17, v15, 0
	v_mbcnt_hi_u32_b32 v34, v16, v17
	v_cmp_ne_u64_e64 s[18:19], 0, v[15:16]
	v_cmp_eq_u32_e64 s[20:21], 0, v34
	s_and_b64 s[20:21], s[18:19], s[20:21]
	; wave barrier
	s_and_saveexec_b64 s[18:19], s[20:21]
	s_cbranch_execz .LBB1135_25
; %bb.24:
	v_bcnt_u32_b32 v15, v15, 0
	v_bcnt_u32_b32 v15, v16, v15
	s_waitcnt lgkmcnt(0)
	v_add_u32_e32 v15, v32, v15
	ds_write_b32 v36, v15 offset:32
.LBB1135_25:
	s_or_b64 exec, exec, s[18:19]
	v_lshrrev_b64 v[15:16], s44, v[13:14]
	v_and_b32_e32 v17, s54, v15
	v_mul_lo_u32 v16, v17, 36
	v_and_b32_e32 v37, 1, v17
	v_mov_b32_e32 v15, 0
	; wave barrier
	v_lshl_add_u32 v39, v18, 2, v16
	v_add_co_u32_e64 v16, s[18:19], -1, v37
	v_addc_co_u32_e64 v38, s[18:19], 0, -1, s[18:19]
	v_cmp_ne_u32_e64 s[18:19], 0, v37
	v_xor_b32_e32 v16, s18, v16
	v_xor_b32_e32 v37, s19, v38
	v_and_b32_e32 v38, exec_lo, v16
	v_lshlrev_b32_e32 v16, 30, v17
	v_cmp_gt_i64_e64 s[18:19], 0, v[15:16]
	v_not_b32_e32 v16, v16
	v_ashrrev_i32_e32 v16, 31, v16
	v_xor_b32_e32 v40, s19, v16
	v_xor_b32_e32 v16, s18, v16
	v_and_b32_e32 v38, v38, v16
	v_lshlrev_b32_e32 v16, 29, v17
	v_cmp_gt_i64_e64 s[18:19], 0, v[15:16]
	v_not_b32_e32 v16, v16
	v_and_b32_e32 v37, exec_hi, v37
	v_ashrrev_i32_e32 v16, 31, v16
	v_and_b32_e32 v37, v37, v40
	v_xor_b32_e32 v40, s19, v16
	v_xor_b32_e32 v16, s18, v16
	v_and_b32_e32 v38, v38, v16
	v_lshlrev_b32_e32 v16, 28, v17
	v_cmp_gt_i64_e64 s[18:19], 0, v[15:16]
	v_not_b32_e32 v16, v16
	v_ashrrev_i32_e32 v16, 31, v16
	v_and_b32_e32 v37, v37, v40
	v_xor_b32_e32 v40, s19, v16
	v_xor_b32_e32 v16, s18, v16
	v_and_b32_e32 v38, v38, v16
	v_lshlrev_b32_e32 v16, 27, v17
	v_cmp_gt_i64_e64 s[18:19], 0, v[15:16]
	v_not_b32_e32 v16, v16
	;; [unrolled: 8-line block ×5, first 2 shown]
	v_ashrrev_i32_e32 v16, 31, v16
	v_xor_b32_e32 v17, s19, v16
	v_xor_b32_e32 v16, s18, v16
	ds_read_b32 v35, v39 offset:32
	v_and_b32_e32 v37, v37, v40
	v_and_b32_e32 v16, v38, v16
	;; [unrolled: 1-line block ×3, first 2 shown]
	v_mbcnt_lo_u32_b32 v37, v16, 0
	v_mbcnt_hi_u32_b32 v37, v17, v37
	v_cmp_ne_u64_e64 s[18:19], 0, v[16:17]
	v_cmp_eq_u32_e64 s[20:21], 0, v37
	s_and_b64 s[20:21], s[18:19], s[20:21]
	; wave barrier
	s_and_saveexec_b64 s[18:19], s[20:21]
	s_cbranch_execz .LBB1135_27
; %bb.26:
	v_bcnt_u32_b32 v16, v16, 0
	v_bcnt_u32_b32 v16, v17, v16
	s_waitcnt lgkmcnt(0)
	v_add_u32_e32 v16, v35, v16
	ds_write_b32 v39, v16 offset:32
.LBB1135_27:
	s_or_b64 exec, exec, s[18:19]
	v_lshrrev_b64 v[16:17], s44, v[11:12]
	v_and_b32_e32 v17, s54, v16
	v_mul_lo_u32 v16, v17, 36
	v_and_b32_e32 v40, 1, v17
	; wave barrier
	v_lshl_add_u32 v41, v18, 2, v16
	v_add_co_u32_e64 v16, s[18:19], -1, v40
	v_addc_co_u32_e64 v18, s[18:19], 0, -1, s[18:19]
	v_cmp_ne_u32_e64 s[18:19], 0, v40
	v_xor_b32_e32 v16, s18, v16
	v_and_b32_e32 v40, exec_lo, v16
	v_lshlrev_b32_e32 v16, 30, v17
	v_xor_b32_e32 v18, s19, v18
	v_cmp_gt_i64_e64 s[18:19], 0, v[15:16]
	v_not_b32_e32 v16, v16
	v_ashrrev_i32_e32 v16, 31, v16
	v_xor_b32_e32 v42, s19, v16
	v_xor_b32_e32 v16, s18, v16
	v_and_b32_e32 v40, v40, v16
	v_lshlrev_b32_e32 v16, 29, v17
	v_cmp_gt_i64_e64 s[18:19], 0, v[15:16]
	v_not_b32_e32 v16, v16
	v_and_b32_e32 v18, exec_hi, v18
	v_ashrrev_i32_e32 v16, 31, v16
	v_and_b32_e32 v18, v18, v42
	v_xor_b32_e32 v42, s19, v16
	v_xor_b32_e32 v16, s18, v16
	v_and_b32_e32 v40, v40, v16
	v_lshlrev_b32_e32 v16, 28, v17
	v_cmp_gt_i64_e64 s[18:19], 0, v[15:16]
	v_not_b32_e32 v16, v16
	v_ashrrev_i32_e32 v16, 31, v16
	v_and_b32_e32 v18, v18, v42
	v_xor_b32_e32 v42, s19, v16
	v_xor_b32_e32 v16, s18, v16
	v_and_b32_e32 v40, v40, v16
	v_lshlrev_b32_e32 v16, 27, v17
	v_cmp_gt_i64_e64 s[18:19], 0, v[15:16]
	v_not_b32_e32 v16, v16
	;; [unrolled: 8-line block ×5, first 2 shown]
	v_ashrrev_i32_e32 v15, 31, v15
	v_xor_b32_e32 v16, s19, v15
	v_xor_b32_e32 v15, s18, v15
	ds_read_b32 v38, v41 offset:32
	v_and_b32_e32 v18, v18, v42
	v_and_b32_e32 v15, v40, v15
	;; [unrolled: 1-line block ×3, first 2 shown]
	v_mbcnt_lo_u32_b32 v17, v15, 0
	v_mbcnt_hi_u32_b32 v40, v16, v17
	v_cmp_ne_u64_e64 s[18:19], 0, v[15:16]
	v_cmp_eq_u32_e64 s[20:21], 0, v40
	s_and_b64 s[20:21], s[18:19], s[20:21]
	; wave barrier
	s_and_saveexec_b64 s[18:19], s[20:21]
	s_cbranch_execz .LBB1135_29
; %bb.28:
	v_bcnt_u32_b32 v15, v15, 0
	v_bcnt_u32_b32 v15, v16, v15
	s_waitcnt lgkmcnt(0)
	v_add_u32_e32 v15, v38, v15
	ds_write_b32 v41, v15 offset:32
.LBB1135_29:
	s_or_b64 exec, exec, s[18:19]
	; wave barrier
	s_waitcnt lgkmcnt(0)
	s_barrier
	ds_read2_b32 v[17:18], v24 offset0:8 offset1:9
	ds_read2_b32 v[15:16], v24 offset0:10 offset1:11
	ds_read_b32 v42, v24 offset:48
	v_min_u32_e32 v20, 0x1c0, v20
	v_or_b32_e32 v20, 63, v20
	s_waitcnt lgkmcnt(1)
	v_add3_u32 v43, v18, v17, v15
	s_waitcnt lgkmcnt(0)
	v_add3_u32 v42, v43, v16, v42
	v_and_b32_e32 v43, 15, v19
	v_cmp_ne_u32_e64 s[18:19], 0, v43
	v_mov_b32_dpp v44, v42 row_shr:1 row_mask:0xf bank_mask:0xf
	v_cndmask_b32_e64 v44, 0, v44, s[18:19]
	v_add_u32_e32 v42, v44, v42
	v_cmp_lt_u32_e64 s[18:19], 1, v43
	s_nop 0
	v_mov_b32_dpp v44, v42 row_shr:2 row_mask:0xf bank_mask:0xf
	v_cndmask_b32_e64 v44, 0, v44, s[18:19]
	v_add_u32_e32 v42, v42, v44
	v_cmp_lt_u32_e64 s[18:19], 3, v43
	s_nop 0
	;; [unrolled: 5-line block ×3, first 2 shown]
	v_mov_b32_dpp v44, v42 row_shr:8 row_mask:0xf bank_mask:0xf
	v_cndmask_b32_e64 v43, 0, v44, s[18:19]
	v_add_u32_e32 v42, v42, v43
	v_bfe_i32 v44, v19, 4, 1
	v_cmp_lt_u32_e64 s[18:19], 31, v19
	v_mov_b32_dpp v43, v42 row_bcast:15 row_mask:0xf bank_mask:0xf
	v_and_b32_e32 v43, v44, v43
	v_add_u32_e32 v42, v42, v43
	s_nop 1
	v_mov_b32_dpp v43, v42 row_bcast:31 row_mask:0xf bank_mask:0xf
	v_cndmask_b32_e64 v43, 0, v43, s[18:19]
	v_add_u32_e32 v42, v42, v43
	v_lshrrev_b32_e32 v43, 6, v0
	v_cmp_eq_u32_e64 s[18:19], v0, v20
	s_and_saveexec_b64 s[20:21], s[18:19]
; %bb.30:
	v_lshlrev_b32_e32 v20, 2, v43
	ds_write_b32 v20, v42
; %bb.31:
	s_or_b64 exec, exec, s[20:21]
	v_cmp_gt_u32_e64 s[18:19], 8, v0
	s_waitcnt lgkmcnt(0)
	s_barrier
	s_and_saveexec_b64 s[20:21], s[18:19]
	s_cbranch_execz .LBB1135_33
; %bb.32:
	v_lshlrev_b32_e32 v20, 2, v0
	ds_read_b32 v44, v20
	v_and_b32_e32 v45, 7, v19
	v_cmp_ne_u32_e64 s[18:19], 0, v45
	s_waitcnt lgkmcnt(0)
	v_mov_b32_dpp v46, v44 row_shr:1 row_mask:0xf bank_mask:0xf
	v_cndmask_b32_e64 v46, 0, v46, s[18:19]
	v_add_u32_e32 v44, v46, v44
	v_cmp_lt_u32_e64 s[18:19], 1, v45
	s_nop 0
	v_mov_b32_dpp v46, v44 row_shr:2 row_mask:0xf bank_mask:0xf
	v_cndmask_b32_e64 v46, 0, v46, s[18:19]
	v_add_u32_e32 v44, v44, v46
	v_cmp_lt_u32_e64 s[18:19], 3, v45
	s_nop 0
	v_mov_b32_dpp v46, v44 row_shr:4 row_mask:0xf bank_mask:0xf
	v_cndmask_b32_e64 v45, 0, v46, s[18:19]
	v_add_u32_e32 v44, v44, v45
	ds_write_b32 v20, v44
.LBB1135_33:
	s_or_b64 exec, exec, s[20:21]
	v_cmp_lt_u32_e64 s[18:19], 63, v0
	v_mov_b32_e32 v20, 0
	s_waitcnt lgkmcnt(0)
	s_barrier
	s_and_saveexec_b64 s[20:21], s[18:19]
; %bb.34:
	v_lshl_add_u32 v20, v43, 2, -4
	ds_read_b32 v20, v20
; %bb.35:
	s_or_b64 exec, exec, s[20:21]
	v_subrev_co_u32_e64 v43, s[18:19], 1, v19
	v_and_b32_e32 v44, 64, v19
	v_cmp_lt_i32_e64 s[20:21], v43, v44
	v_cndmask_b32_e64 v19, v43, v19, s[20:21]
	s_waitcnt lgkmcnt(0)
	v_add_u32_e32 v42, v20, v42
	v_lshlrev_b32_e32 v19, 2, v19
	ds_bpermute_b32 v19, v19, v42
	s_movk_i32 s24, 0x100
	v_cmp_gt_u32_e64 s[20:21], s24, v0
	s_waitcnt lgkmcnt(0)
	v_cndmask_b32_e64 v19, v19, v20, s[18:19]
	v_cndmask_b32_e64 v19, v19, 0, s[22:23]
	v_add_u32_e32 v17, v19, v17
	v_add_u32_e32 v18, v17, v18
	;; [unrolled: 1-line block ×4, first 2 shown]
	ds_write2_b32 v24, v19, v17 offset0:8 offset1:9
	ds_write2_b32 v24, v18, v15 offset0:10 offset1:11
	ds_write_b32 v24, v16 offset:48
	s_waitcnt lgkmcnt(0)
	s_barrier
	ds_read_b32 v43, v29 offset:32
	ds_read_b32 v42, v30 offset:32
	;; [unrolled: 1-line block ×6, first 2 shown]
	s_movk_i32 s18, 0xff
	v_cmp_lt_u32_e64 s[18:19], s18, v0
                                        ; implicit-def: $vgpr24
                                        ; implicit-def: $vgpr29
	s_and_saveexec_b64 s[48:49], s[20:21]
	s_cbranch_execz .LBB1135_39
; %bb.36:
	v_mul_u32_u24_e32 v15, 36, v0
	ds_read_b32 v24, v15 offset:32
	v_add_u32_e32 v16, 1, v0
	v_cmp_ne_u32_e64 s[24:25], s24, v16
	v_mov_b32_e32 v15, 0xc00
	s_and_saveexec_b64 s[50:51], s[24:25]
; %bb.37:
	v_mul_u32_u24_e32 v15, 36, v16
	ds_read_b32 v15, v15 offset:32
; %bb.38:
	s_or_b64 exec, exec, s[50:51]
	s_waitcnt lgkmcnt(0)
	v_sub_u32_e32 v29, v15, v24
.LBB1135_39:
	s_or_b64 exec, exec, s[48:49]
	v_mov_b32_e32 v16, 0
	v_lshlrev_b32_e32 v30, 2, v0
	s_waitcnt lgkmcnt(0)
	s_barrier
	s_and_saveexec_b64 s[24:25], s[20:21]
	s_cbranch_execz .LBB1135_49
; %bb.40:
	v_lshl_add_u32 v15, s33, 8, v0
	v_lshlrev_b64 v[17:18], 2, v[15:16]
	v_mov_b32_e32 v44, s27
	v_add_co_u32_e64 v17, s[20:21], s26, v17
	v_addc_co_u32_e64 v18, s[20:21], v44, v18, s[20:21]
	v_or_b32_e32 v15, 2.0, v29
	s_mov_b64 s[48:49], 0
	s_brev_b32 s55, -4
	s_mov_b32 s56, s33
	v_mov_b32_e32 v45, 0
	global_store_dword v[17:18], v15, off
                                        ; implicit-def: $sgpr20_sgpr21
	s_branch .LBB1135_43
.LBB1135_41:                            ;   in Loop: Header=BB1135_43 Depth=1
	s_or_b64 exec, exec, s[52:53]
.LBB1135_42:                            ;   in Loop: Header=BB1135_43 Depth=1
	s_or_b64 exec, exec, s[50:51]
	v_and_b32_e32 v19, 0x3fffffff, v15
	v_add_u32_e32 v45, v19, v45
	v_cmp_gt_i32_e64 s[20:21], -2.0, v15
	s_and_b64 s[50:51], exec, s[20:21]
	s_or_b64 s[48:49], s[50:51], s[48:49]
	s_andn2_b64 exec, exec, s[48:49]
	s_cbranch_execz .LBB1135_48
.LBB1135_43:                            ; =>This Loop Header: Depth=1
                                        ;     Child Loop BB1135_46 Depth 2
	s_or_b64 s[20:21], s[20:21], exec
	s_cmp_eq_u32 s56, 0
	s_cbranch_scc1 .LBB1135_47
; %bb.44:                               ;   in Loop: Header=BB1135_43 Depth=1
	s_add_i32 s56, s56, -1
	v_lshl_or_b32 v15, s56, 8, v0
	v_lshlrev_b64 v[19:20], 2, v[15:16]
	v_add_co_u32_e64 v19, s[20:21], s26, v19
	v_addc_co_u32_e64 v20, s[20:21], v44, v20, s[20:21]
	global_load_dword v15, v[19:20], off glc
	s_waitcnt vmcnt(0)
	v_cmp_gt_u32_e64 s[20:21], 2.0, v15
	s_and_saveexec_b64 s[50:51], s[20:21]
	s_cbranch_execz .LBB1135_42
; %bb.45:                               ;   in Loop: Header=BB1135_43 Depth=1
	s_mov_b64 s[52:53], 0
.LBB1135_46:                            ;   Parent Loop BB1135_43 Depth=1
                                        ; =>  This Inner Loop Header: Depth=2
	global_load_dword v15, v[19:20], off glc
	s_waitcnt vmcnt(0)
	v_cmp_lt_u32_e64 s[20:21], s55, v15
	s_or_b64 s[52:53], s[20:21], s[52:53]
	s_andn2_b64 exec, exec, s[52:53]
	s_cbranch_execnz .LBB1135_46
	s_branch .LBB1135_41
.LBB1135_47:                            ;   in Loop: Header=BB1135_43 Depth=1
                                        ; implicit-def: $sgpr56
	s_and_b64 s[50:51], exec, s[20:21]
	s_or_b64 s[48:49], s[50:51], s[48:49]
	s_andn2_b64 exec, exec, s[48:49]
	s_cbranch_execnz .LBB1135_43
.LBB1135_48:
	s_or_b64 exec, exec, s[48:49]
	v_add_u32_e32 v15, v45, v29
	v_or_b32_e32 v15, 0x80000000, v15
	global_store_dword v[17:18], v15, off
	global_load_dword v15, v30, s[28:29]
	v_sub_u32_e32 v16, v45, v24
	s_waitcnt vmcnt(0)
	v_add_u32_e32 v15, v16, v15
	ds_write_b32 v30, v15
.LBB1135_49:
	s_or_b64 exec, exec, s[24:25]
	v_add_u32_e32 v17, v43, v25
	v_add3_u32 v18, v40, v41, v38
	v_add3_u32 v19, v37, v39, v35
	;; [unrolled: 1-line block ×5, first 2 shown]
	s_mov_b32 s48, 0
	s_mov_b32 s49, 0
	v_add_u32_e32 v27, v30, v30
	v_mov_b32_e32 v16, 0
	s_movk_i32 s50, 0x200
	v_mov_b32_e32 v28, v0
	s_branch .LBB1135_51
.LBB1135_50:                            ;   in Loop: Header=BB1135_51 Depth=1
	s_or_b64 exec, exec, s[24:25]
	s_addk_i32 s49, 0xfc00
	s_add_i32 s48, s48, 8
	s_cmpk_eq_i32 s49, 0xf400
	v_add_u32_e32 v28, 0x400, v28
	s_waitcnt vmcnt(0)
	s_barrier
	s_cbranch_scc1 .LBB1135_55
.LBB1135_51:                            ; =>This Inner Loop Header: Depth=1
	v_add_u32_e32 v15, s49, v17
	v_min_u32_e32 v15, 0x400, v15
	v_lshlrev_b32_e32 v15, 3, v15
	ds_write_b64 v15, v[5:6] offset:1024
	v_add_u32_e32 v15, s49, v26
	v_min_u32_e32 v15, 0x400, v15
	v_lshlrev_b32_e32 v15, 3, v15
	ds_write_b64 v15, v[3:4] offset:1024
	;; [unrolled: 4-line block ×5, first 2 shown]
	v_add_u32_e32 v15, s49, v18
	v_min_u32_e32 v15, 0x400, v15
	v_lshlrev_b32_e32 v15, 3, v15
	v_cmp_gt_u32_e64 s[20:21], s7, v28
	ds_write_b64 v15, v[11:12] offset:1024
	s_waitcnt lgkmcnt(0)
	s_barrier
	s_and_saveexec_b64 s[24:25], s[20:21]
	s_cbranch_execz .LBB1135_53
; %bb.52:                               ;   in Loop: Header=BB1135_51 Depth=1
	ds_read_b64 v[31:32], v27 offset:1024
	v_mov_b32_e32 v36, s39
	v_mov_b32_e32 v37, s48
	s_waitcnt lgkmcnt(0)
	v_lshrrev_b64 v[33:34], s44, v[31:32]
	v_xor_b32_e32 v32, 0x80000000, v32
	v_and_b32_e32 v35, s54, v33
	v_lshlrev_b32_e32 v15, 2, v35
	ds_read_b32 v15, v15
	buffer_store_dword v35, v37, s[0:3], 0 offen
	s_waitcnt lgkmcnt(0)
	v_add_u32_e32 v15, v28, v15
	v_lshlrev_b64 v[33:34], 3, v[15:16]
	v_add_co_u32_e64 v33, s[20:21], s38, v33
	v_addc_co_u32_e64 v34, s[20:21], v36, v34, s[20:21]
	global_store_dwordx2 v[33:34], v[31:32], off
.LBB1135_53:                            ;   in Loop: Header=BB1135_51 Depth=1
	s_or_b64 exec, exec, s[24:25]
	v_add_u32_e32 v15, 0x200, v28
	v_cmp_gt_u32_e64 s[20:21], s7, v15
	s_and_saveexec_b64 s[24:25], s[20:21]
	s_cbranch_execz .LBB1135_50
; %bb.54:                               ;   in Loop: Header=BB1135_51 Depth=1
	ds_read_b64 v[31:32], v27 offset:5120
	v_mov_b32_e32 v36, s39
	v_mov_b32_e32 v37, s48
	s_waitcnt lgkmcnt(0)
	v_lshrrev_b64 v[33:34], s44, v[31:32]
	v_xor_b32_e32 v32, 0x80000000, v32
	v_and_b32_e32 v35, s54, v33
	v_lshlrev_b32_e32 v15, 2, v35
	ds_read_b32 v15, v15
	buffer_store_dword v35, v37, s[0:3], 0 offen offset:4
	s_waitcnt lgkmcnt(0)
	v_add3_u32 v15, v28, v15, s50
	v_lshlrev_b64 v[33:34], 3, v[15:16]
	v_add_co_u32_e64 v33, s[20:21], s38, v33
	v_addc_co_u32_e64 v34, s[20:21], v36, v34, s[20:21]
	global_store_dwordx2 v[33:34], v[31:32], off
	s_branch .LBB1135_50
.LBB1135_55:
	s_add_u32 s20, s40, s46
	s_addc_u32 s21, s41, s47
	v_mov_b32_e32 v3, s21
	v_add_co_u32_e64 v4, s[20:21], s20, v22
	v_addc_co_u32_e64 v3, s[20:21], 0, v3, s[20:21]
	v_add_co_u32_e64 v15, s[20:21], v4, v23
	v_addc_co_u32_e64 v16, s[20:21], 0, v3, s[20:21]
                                        ; implicit-def: $vgpr3_vgpr4
	s_and_saveexec_b64 s[20:21], vcc
	s_cbranch_execz .LBB1135_61
; %bb.56:
	global_load_dwordx2 v[3:4], v[15:16], off
	s_or_b64 exec, exec, s[20:21]
                                        ; implicit-def: $vgpr5_vgpr6
	s_and_saveexec_b64 s[20:21], s[8:9]
	s_cbranch_execnz .LBB1135_62
.LBB1135_57:
	s_or_b64 exec, exec, s[20:21]
                                        ; implicit-def: $vgpr7_vgpr8
	s_and_saveexec_b64 s[8:9], s[10:11]
	s_cbranch_execz .LBB1135_63
.LBB1135_58:
	global_load_dwordx2 v[7:8], v[15:16], off offset:1024
	s_or_b64 exec, exec, s[8:9]
                                        ; implicit-def: $vgpr9_vgpr10
	s_and_saveexec_b64 s[8:9], s[12:13]
	s_cbranch_execnz .LBB1135_64
.LBB1135_59:
	s_or_b64 exec, exec, s[8:9]
                                        ; implicit-def: $vgpr11_vgpr12
	s_and_saveexec_b64 s[8:9], s[14:15]
	s_cbranch_execz .LBB1135_65
.LBB1135_60:
	global_load_dwordx2 v[11:12], v[15:16], off offset:2048
	s_or_b64 exec, exec, s[8:9]
                                        ; implicit-def: $vgpr13_vgpr14
	s_and_saveexec_b64 s[8:9], s[16:17]
	s_cbranch_execnz .LBB1135_66
	s_branch .LBB1135_67
.LBB1135_61:
	s_or_b64 exec, exec, s[20:21]
                                        ; implicit-def: $vgpr5_vgpr6
	s_and_saveexec_b64 s[20:21], s[8:9]
	s_cbranch_execz .LBB1135_57
.LBB1135_62:
	global_load_dwordx2 v[5:6], v[15:16], off offset:512
	s_or_b64 exec, exec, s[20:21]
                                        ; implicit-def: $vgpr7_vgpr8
	s_and_saveexec_b64 s[8:9], s[10:11]
	s_cbranch_execnz .LBB1135_58
.LBB1135_63:
	s_or_b64 exec, exec, s[8:9]
                                        ; implicit-def: $vgpr9_vgpr10
	s_and_saveexec_b64 s[8:9], s[12:13]
	s_cbranch_execz .LBB1135_59
.LBB1135_64:
	global_load_dwordx2 v[9:10], v[15:16], off offset:1536
	s_or_b64 exec, exec, s[8:9]
                                        ; implicit-def: $vgpr11_vgpr12
	s_and_saveexec_b64 s[8:9], s[14:15]
	s_cbranch_execnz .LBB1135_60
.LBB1135_65:
	s_or_b64 exec, exec, s[8:9]
                                        ; implicit-def: $vgpr13_vgpr14
	s_and_saveexec_b64 s[8:9], s[16:17]
	s_cbranch_execz .LBB1135_67
.LBB1135_66:
	global_load_dwordx2 v[13:14], v[15:16], off offset:2560
.LBB1135_67:
	s_or_b64 exec, exec, s[8:9]
	s_mov_b32 s10, 0
	s_mov_b32 s11, 0
	v_mov_b32_e32 v16, 0
	s_movk_i32 s12, 0x200
	v_mov_b32_e32 v22, v0
	s_branch .LBB1135_69
.LBB1135_68:                            ;   in Loop: Header=BB1135_69 Depth=1
	s_or_b64 exec, exec, s[8:9]
	s_addk_i32 s11, 0xfc00
	s_add_i32 s10, s10, 8
	s_cmpk_eq_i32 s11, 0xf400
	v_add_u32_e32 v22, 0x400, v22
	s_waitcnt vmcnt(0)
	s_barrier
	s_cbranch_scc1 .LBB1135_73
.LBB1135_69:                            ; =>This Inner Loop Header: Depth=1
	v_add_u32_e32 v15, s11, v17
	v_min_u32_e32 v15, 0x400, v15
	v_lshlrev_b32_e32 v15, 3, v15
	s_waitcnt vmcnt(0)
	ds_write_b64 v15, v[3:4] offset:1024
	v_add_u32_e32 v15, s11, v26
	v_min_u32_e32 v15, 0x400, v15
	v_lshlrev_b32_e32 v15, 3, v15
	ds_write_b64 v15, v[5:6] offset:1024
	v_add_u32_e32 v15, s11, v25
	v_min_u32_e32 v15, 0x400, v15
	v_lshlrev_b32_e32 v15, 3, v15
	;; [unrolled: 4-line block ×5, first 2 shown]
	v_cmp_gt_u32_e32 vcc, s7, v22
	ds_write_b64 v15, v[13:14] offset:1024
	s_waitcnt lgkmcnt(0)
	s_barrier
	s_and_saveexec_b64 s[8:9], vcc
	s_cbranch_execz .LBB1135_71
; %bb.70:                               ;   in Loop: Header=BB1135_69 Depth=1
	v_mov_b32_e32 v15, s10
	buffer_load_dword v15, v15, s[0:3], 0 offen
	v_mov_b32_e32 v23, s43
	s_waitcnt vmcnt(0)
	v_lshlrev_b32_e32 v15, 2, v15
	ds_read_b32 v15, v15
	ds_read_b64 v[31:32], v27 offset:1024
	s_waitcnt lgkmcnt(1)
	v_add_u32_e32 v15, v22, v15
	v_lshlrev_b64 v[33:34], 3, v[15:16]
	v_add_co_u32_e32 v33, vcc, s42, v33
	v_addc_co_u32_e32 v34, vcc, v23, v34, vcc
	s_waitcnt lgkmcnt(0)
	global_store_dwordx2 v[33:34], v[31:32], off
.LBB1135_71:                            ;   in Loop: Header=BB1135_69 Depth=1
	s_or_b64 exec, exec, s[8:9]
	v_add_u32_e32 v15, 0x200, v22
	v_cmp_gt_u32_e32 vcc, s7, v15
	s_and_saveexec_b64 s[8:9], vcc
	s_cbranch_execz .LBB1135_68
; %bb.72:                               ;   in Loop: Header=BB1135_69 Depth=1
	v_mov_b32_e32 v15, s10
	buffer_load_dword v15, v15, s[0:3], 0 offen offset:4
	v_mov_b32_e32 v23, s43
	s_waitcnt vmcnt(0)
	v_lshlrev_b32_e32 v15, 2, v15
	ds_read_b32 v15, v15
	ds_read_b64 v[31:32], v27 offset:5120
	s_waitcnt lgkmcnt(1)
	v_add3_u32 v15, v22, v15, s12
	v_lshlrev_b64 v[33:34], 3, v[15:16]
	v_add_co_u32_e32 v33, vcc, s42, v33
	v_addc_co_u32_e32 v34, vcc, v23, v34, vcc
	s_waitcnt lgkmcnt(0)
	global_store_dwordx2 v[33:34], v[31:32], off
	s_branch .LBB1135_68
.LBB1135_73:
	s_add_i32 s35, s35, -1
	s_cmp_eq_u32 s33, s35
	s_cselect_b64 s[8:9], -1, 0
	s_xor_b64 s[10:11], s[18:19], -1
	s_and_b64 s[10:11], s[10:11], s[8:9]
	s_and_saveexec_b64 s[8:9], s[10:11]
	s_cbranch_execz .LBB1135_75
; %bb.74:
	ds_read_b32 v3, v30
	s_waitcnt lgkmcnt(0)
	v_add3_u32 v3, v24, v29, v3
	global_store_dword v30, v3, s[30:31]
.LBB1135_75:
	s_or_b64 exec, exec, s[8:9]
	s_mov_b64 s[8:9], 0
.LBB1135_76:
	s_and_b64 vcc, exec, s[8:9]
	s_cbranch_vccz .LBB1135_115
; %bb.77:
	s_mov_b32 s35, 0
	s_lshl_b64 s[8:9], s[34:35], 3
	v_mbcnt_hi_u32_b32 v17, -1, v21
	s_add_u32 s7, s36, s8
	v_and_b32_e32 v3, 63, v17
	s_addc_u32 s10, s37, s9
	v_and_b32_e32 v18, 0x1c0, v0
	v_lshlrev_b32_e32 v19, 3, v3
	v_mul_u32_u24_e32 v4, 6, v18
	v_mov_b32_e32 v3, s10
	v_add_co_u32_e32 v5, vcc, s7, v19
	v_addc_co_u32_e32 v3, vcc, 0, v3, vcc
	v_lshlrev_b32_e32 v20, 3, v4
	v_add_co_u32_e32 v21, vcc, v5, v20
	v_addc_co_u32_e32 v22, vcc, 0, v3, vcc
	global_load_dwordx2 v[3:4], v[21:22], off
	s_load_dword s7, s[4:5], 0x64
	s_load_dword s16, s[4:5], 0x58
	s_add_u32 s4, s4, 0x58
	s_addc_u32 s5, s5, 0
	v_mov_b32_e32 v15, 0
	s_waitcnt lgkmcnt(0)
	s_lshr_b32 s10, s7, 16
	s_cmp_lt_u32 s6, s16
	s_cselect_b32 s6, 12, 18
	s_add_u32 s4, s4, s6
	s_addc_u32 s5, s5, 0
	global_load_ushort v23, v15, s[4:5]
	global_load_dwordx2 v[5:6], v[21:22], off offset:512
	global_load_dwordx2 v[7:8], v[21:22], off offset:1024
	;; [unrolled: 1-line block ×5, first 2 shown]
	s_lshl_b32 s4, -1, s45
	s_not_b32 s17, s4
	v_mad_u32_u24 v1, v2, s10, v1
	s_waitcnt vmcnt(6)
	v_xor_b32_e32 v4, 0x80000000, v4
	v_lshrrev_b64 v[21:22], s44, v[3:4]
	v_and_b32_e32 v24, s17, v21
	v_and_b32_e32 v21, 1, v24
	v_lshlrev_b32_e32 v16, 30, v24
	v_cmp_ne_u32_e32 vcc, 0, v21
	v_add_co_u32_e64 v21, s[6:7], -1, v21
	v_cmp_gt_i64_e64 s[4:5], 0, v[15:16]
	v_addc_co_u32_e64 v22, s[6:7], 0, -1, s[6:7]
	v_not_b32_e32 v25, v16
	v_lshlrev_b32_e32 v16, 29, v24
	v_xor_b32_e32 v22, vcc_hi, v22
	v_ashrrev_i32_e32 v25, 31, v25
	v_xor_b32_e32 v21, vcc_lo, v21
	v_cmp_gt_i64_e32 vcc, 0, v[15:16]
	v_not_b32_e32 v26, v16
	v_lshlrev_b32_e32 v16, 28, v24
	v_and_b32_e32 v22, exec_hi, v22
	v_xor_b32_e32 v27, s5, v25
	v_and_b32_e32 v21, exec_lo, v21
	v_xor_b32_e32 v25, s4, v25
	v_ashrrev_i32_e32 v26, 31, v26
	v_cmp_gt_i64_e64 s[4:5], 0, v[15:16]
	v_not_b32_e32 v28, v16
	v_lshlrev_b32_e32 v16, 27, v24
	v_and_b32_e32 v22, v22, v27
	v_and_b32_e32 v21, v21, v25
	v_xor_b32_e32 v25, vcc_hi, v26
	v_xor_b32_e32 v26, vcc_lo, v26
	v_ashrrev_i32_e32 v27, 31, v28
	v_cmp_gt_i64_e32 vcc, 0, v[15:16]
	v_not_b32_e32 v28, v16
	v_lshlrev_b32_e32 v16, 26, v24
	v_and_b32_e32 v22, v22, v25
	v_and_b32_e32 v21, v21, v26
	v_xor_b32_e32 v25, s5, v27
	v_xor_b32_e32 v26, s4, v27
	v_ashrrev_i32_e32 v27, 31, v28
	v_cmp_gt_i64_e64 s[4:5], 0, v[15:16]
	v_not_b32_e32 v28, v16
	v_lshlrev_b32_e32 v16, 25, v24
	v_and_b32_e32 v22, v22, v25
	v_and_b32_e32 v21, v21, v26
	v_xor_b32_e32 v25, vcc_hi, v27
	v_xor_b32_e32 v26, vcc_lo, v27
	v_ashrrev_i32_e32 v27, 31, v28
	v_cmp_gt_i64_e32 vcc, 0, v[15:16]
	v_not_b32_e32 v28, v16
	v_lshlrev_b32_e32 v16, 24, v24
	v_and_b32_e32 v22, v22, v25
	v_and_b32_e32 v21, v21, v26
	v_xor_b32_e32 v25, s5, v27
	v_xor_b32_e32 v26, s4, v27
	v_ashrrev_i32_e32 v27, 31, v28
	v_cmp_gt_i64_e64 s[4:5], 0, v[15:16]
	v_and_b32_e32 v22, v22, v25
	v_and_b32_e32 v21, v21, v26
	v_xor_b32_e32 v25, vcc_hi, v27
	v_xor_b32_e32 v26, vcc_lo, v27
	v_not_b32_e32 v16, v16
	v_and_b32_e32 v25, v22, v25
	v_and_b32_e32 v26, v21, v26
	v_ashrrev_i32_e32 v16, 31, v16
	s_waitcnt vmcnt(5)
	v_mad_u64_u32 v[21:22], s[6:7], v1, v23, v[0:1]
	v_xor_b32_e32 v27, s5, v16
	v_xor_b32_e32 v1, s4, v16
	v_mul_lo_u32 v16, v24, 36
	v_and_b32_e32 v1, v26, v1
	v_lshrrev_b32_e32 v32, 6, v21
	v_and_b32_e32 v2, v25, v27
	v_lshl_add_u32 v26, v32, 2, v16
	v_mbcnt_lo_u32_b32 v16, v1, 0
	v_mbcnt_hi_u32_b32 v21, v2, v16
	v_cmp_ne_u64_e32 vcc, 0, v[1:2]
	v_cmp_eq_u32_e64 s[4:5], 0, v21
	v_mul_u32_u24_e32 v25, 20, v0
	s_and_b64 s[6:7], vcc, s[4:5]
	ds_write2_b32 v25, v15, v15 offset0:8 offset1:9
	ds_write2_b32 v25, v15, v15 offset0:10 offset1:11
	ds_write_b32 v25, v15 offset:48
	s_waitcnt vmcnt(0) lgkmcnt(0)
	s_barrier
	; wave barrier
	s_and_saveexec_b64 s[4:5], s[6:7]
; %bb.78:
	v_bcnt_u32_b32 v1, v1, 0
	v_bcnt_u32_b32 v1, v2, v1
	ds_write_b32 v26, v1 offset:32
; %bb.79:
	s_or_b64 exec, exec, s[4:5]
	v_xor_b32_e32 v6, 0x80000000, v6
	v_lshrrev_b64 v[1:2], s44, v[5:6]
	v_and_b32_e32 v1, s17, v1
	v_mul_lo_u32 v2, v1, 36
	v_and_b32_e32 v16, 1, v1
	; wave barrier
	v_lshl_add_u32 v27, v32, 2, v2
	v_add_co_u32_e32 v2, vcc, -1, v16
	v_addc_co_u32_e64 v23, s[4:5], 0, -1, vcc
	v_cmp_ne_u32_e32 vcc, 0, v16
	v_xor_b32_e32 v16, vcc_hi, v23
	v_and_b32_e32 v23, exec_hi, v16
	v_lshlrev_b32_e32 v16, 30, v1
	v_xor_b32_e32 v2, vcc_lo, v2
	v_cmp_gt_i64_e32 vcc, 0, v[15:16]
	v_not_b32_e32 v16, v16
	v_ashrrev_i32_e32 v16, 31, v16
	v_and_b32_e32 v2, exec_lo, v2
	v_xor_b32_e32 v24, vcc_hi, v16
	v_xor_b32_e32 v16, vcc_lo, v16
	v_and_b32_e32 v2, v2, v16
	v_lshlrev_b32_e32 v16, 29, v1
	v_cmp_gt_i64_e32 vcc, 0, v[15:16]
	v_not_b32_e32 v16, v16
	v_ashrrev_i32_e32 v16, 31, v16
	v_and_b32_e32 v23, v23, v24
	v_xor_b32_e32 v24, vcc_hi, v16
	v_xor_b32_e32 v16, vcc_lo, v16
	v_and_b32_e32 v2, v2, v16
	v_lshlrev_b32_e32 v16, 28, v1
	v_cmp_gt_i64_e32 vcc, 0, v[15:16]
	v_not_b32_e32 v16, v16
	v_ashrrev_i32_e32 v16, 31, v16
	v_and_b32_e32 v23, v23, v24
	;; [unrolled: 8-line block ×5, first 2 shown]
	v_xor_b32_e32 v24, vcc_hi, v16
	v_xor_b32_e32 v16, vcc_lo, v16
	v_and_b32_e32 v23, v23, v24
	v_and_b32_e32 v24, v2, v16
	v_lshlrev_b32_e32 v16, 24, v1
	v_cmp_gt_i64_e32 vcc, 0, v[15:16]
	v_not_b32_e32 v1, v16
	v_ashrrev_i32_e32 v1, 31, v1
	v_xor_b32_e32 v2, vcc_hi, v1
	v_xor_b32_e32 v1, vcc_lo, v1
	ds_read_b32 v22, v27 offset:32
	v_and_b32_e32 v1, v24, v1
	v_and_b32_e32 v2, v23, v2
	v_mbcnt_lo_u32_b32 v15, v1, 0
	v_mbcnt_hi_u32_b32 v23, v2, v15
	v_cmp_ne_u64_e32 vcc, 0, v[1:2]
	v_cmp_eq_u32_e64 s[4:5], 0, v23
	s_and_b64 s[6:7], vcc, s[4:5]
	; wave barrier
	s_and_saveexec_b64 s[4:5], s[6:7]
	s_cbranch_execz .LBB1135_81
; %bb.80:
	v_bcnt_u32_b32 v1, v1, 0
	v_bcnt_u32_b32 v1, v2, v1
	s_waitcnt lgkmcnt(0)
	v_add_u32_e32 v1, v22, v1
	ds_write_b32 v27, v1 offset:32
.LBB1135_81:
	s_or_b64 exec, exec, s[4:5]
	v_xor_b32_e32 v8, 0x80000000, v8
	v_lshrrev_b64 v[1:2], s44, v[7:8]
	v_and_b32_e32 v15, s17, v1
	v_mul_lo_u32 v2, v15, 36
	v_and_b32_e32 v16, 1, v15
	v_mov_b32_e32 v1, 0
	; wave barrier
	v_lshl_add_u32 v30, v32, 2, v2
	v_add_co_u32_e32 v2, vcc, -1, v16
	v_addc_co_u32_e64 v28, s[4:5], 0, -1, vcc
	v_cmp_ne_u32_e32 vcc, 0, v16
	v_xor_b32_e32 v2, vcc_lo, v2
	v_xor_b32_e32 v16, vcc_hi, v28
	v_and_b32_e32 v28, exec_lo, v2
	v_lshlrev_b32_e32 v2, 30, v15
	v_cmp_gt_i64_e32 vcc, 0, v[1:2]
	v_not_b32_e32 v2, v2
	v_ashrrev_i32_e32 v2, 31, v2
	v_xor_b32_e32 v29, vcc_hi, v2
	v_xor_b32_e32 v2, vcc_lo, v2
	v_and_b32_e32 v28, v28, v2
	v_lshlrev_b32_e32 v2, 29, v15
	v_cmp_gt_i64_e32 vcc, 0, v[1:2]
	v_not_b32_e32 v2, v2
	v_and_b32_e32 v16, exec_hi, v16
	v_ashrrev_i32_e32 v2, 31, v2
	v_and_b32_e32 v16, v16, v29
	v_xor_b32_e32 v29, vcc_hi, v2
	v_xor_b32_e32 v2, vcc_lo, v2
	v_and_b32_e32 v28, v28, v2
	v_lshlrev_b32_e32 v2, 28, v15
	v_cmp_gt_i64_e32 vcc, 0, v[1:2]
	v_not_b32_e32 v2, v2
	v_ashrrev_i32_e32 v2, 31, v2
	v_and_b32_e32 v16, v16, v29
	v_xor_b32_e32 v29, vcc_hi, v2
	v_xor_b32_e32 v2, vcc_lo, v2
	v_and_b32_e32 v28, v28, v2
	v_lshlrev_b32_e32 v2, 27, v15
	v_cmp_gt_i64_e32 vcc, 0, v[1:2]
	v_not_b32_e32 v2, v2
	;; [unrolled: 8-line block ×5, first 2 shown]
	v_ashrrev_i32_e32 v2, 31, v2
	v_and_b32_e32 v16, v16, v29
	v_xor_b32_e32 v15, vcc_hi, v2
	v_xor_b32_e32 v2, vcc_lo, v2
	ds_read_b32 v24, v30 offset:32
	v_and_b32_e32 v16, v16, v15
	v_and_b32_e32 v15, v28, v2
	v_mbcnt_lo_u32_b32 v2, v15, 0
	v_mbcnt_hi_u32_b32 v28, v16, v2
	v_cmp_ne_u64_e32 vcc, 0, v[15:16]
	v_cmp_eq_u32_e64 s[4:5], 0, v28
	s_and_b64 s[6:7], vcc, s[4:5]
	; wave barrier
	s_and_saveexec_b64 s[4:5], s[6:7]
	s_cbranch_execz .LBB1135_83
; %bb.82:
	v_bcnt_u32_b32 v2, v15, 0
	v_bcnt_u32_b32 v2, v16, v2
	s_waitcnt lgkmcnt(0)
	v_add_u32_e32 v2, v24, v2
	ds_write_b32 v30, v2 offset:32
.LBB1135_83:
	s_or_b64 exec, exec, s[4:5]
	v_xor_b32_e32 v10, 0x80000000, v10
	v_lshrrev_b64 v[15:16], s44, v[9:10]
	v_and_b32_e32 v15, s17, v15
	v_mul_lo_u32 v2, v15, 36
	v_and_b32_e32 v16, 1, v15
	; wave barrier
	v_lshl_add_u32 v34, v32, 2, v2
	v_add_co_u32_e32 v2, vcc, -1, v16
	v_addc_co_u32_e64 v31, s[4:5], 0, -1, vcc
	v_cmp_ne_u32_e32 vcc, 0, v16
	v_xor_b32_e32 v2, vcc_lo, v2
	v_xor_b32_e32 v16, vcc_hi, v31
	v_and_b32_e32 v31, exec_lo, v2
	v_lshlrev_b32_e32 v2, 30, v15
	v_cmp_gt_i64_e32 vcc, 0, v[1:2]
	v_not_b32_e32 v2, v2
	v_ashrrev_i32_e32 v2, 31, v2
	v_xor_b32_e32 v33, vcc_hi, v2
	v_xor_b32_e32 v2, vcc_lo, v2
	v_and_b32_e32 v31, v31, v2
	v_lshlrev_b32_e32 v2, 29, v15
	v_cmp_gt_i64_e32 vcc, 0, v[1:2]
	v_not_b32_e32 v2, v2
	v_and_b32_e32 v16, exec_hi, v16
	v_ashrrev_i32_e32 v2, 31, v2
	v_and_b32_e32 v16, v16, v33
	v_xor_b32_e32 v33, vcc_hi, v2
	v_xor_b32_e32 v2, vcc_lo, v2
	v_and_b32_e32 v31, v31, v2
	v_lshlrev_b32_e32 v2, 28, v15
	v_cmp_gt_i64_e32 vcc, 0, v[1:2]
	v_not_b32_e32 v2, v2
	v_ashrrev_i32_e32 v2, 31, v2
	v_and_b32_e32 v16, v16, v33
	v_xor_b32_e32 v33, vcc_hi, v2
	v_xor_b32_e32 v2, vcc_lo, v2
	v_and_b32_e32 v31, v31, v2
	v_lshlrev_b32_e32 v2, 27, v15
	v_cmp_gt_i64_e32 vcc, 0, v[1:2]
	v_not_b32_e32 v2, v2
	;; [unrolled: 8-line block ×5, first 2 shown]
	v_ashrrev_i32_e32 v1, 31, v1
	v_xor_b32_e32 v2, vcc_hi, v1
	v_xor_b32_e32 v1, vcc_lo, v1
	ds_read_b32 v29, v34 offset:32
	v_and_b32_e32 v16, v16, v33
	v_and_b32_e32 v1, v31, v1
	;; [unrolled: 1-line block ×3, first 2 shown]
	v_mbcnt_lo_u32_b32 v15, v1, 0
	v_mbcnt_hi_u32_b32 v31, v2, v15
	v_cmp_ne_u64_e32 vcc, 0, v[1:2]
	v_cmp_eq_u32_e64 s[4:5], 0, v31
	s_and_b64 s[6:7], vcc, s[4:5]
	; wave barrier
	s_and_saveexec_b64 s[4:5], s[6:7]
	s_cbranch_execz .LBB1135_85
; %bb.84:
	v_bcnt_u32_b32 v1, v1, 0
	v_bcnt_u32_b32 v1, v2, v1
	s_waitcnt lgkmcnt(0)
	v_add_u32_e32 v1, v29, v1
	ds_write_b32 v34, v1 offset:32
.LBB1135_85:
	s_or_b64 exec, exec, s[4:5]
	v_xor_b32_e32 v12, 0x80000000, v12
	v_lshrrev_b64 v[1:2], s44, v[11:12]
	v_and_b32_e32 v15, s17, v1
	v_mul_lo_u32 v2, v15, 36
	v_and_b32_e32 v16, 1, v15
	v_mov_b32_e32 v1, 0
	; wave barrier
	v_lshl_add_u32 v37, v32, 2, v2
	v_add_co_u32_e32 v2, vcc, -1, v16
	v_addc_co_u32_e64 v35, s[4:5], 0, -1, vcc
	v_cmp_ne_u32_e32 vcc, 0, v16
	v_xor_b32_e32 v2, vcc_lo, v2
	v_xor_b32_e32 v16, vcc_hi, v35
	v_and_b32_e32 v35, exec_lo, v2
	v_lshlrev_b32_e32 v2, 30, v15
	v_cmp_gt_i64_e32 vcc, 0, v[1:2]
	v_not_b32_e32 v2, v2
	v_ashrrev_i32_e32 v2, 31, v2
	v_xor_b32_e32 v36, vcc_hi, v2
	v_xor_b32_e32 v2, vcc_lo, v2
	v_and_b32_e32 v35, v35, v2
	v_lshlrev_b32_e32 v2, 29, v15
	v_cmp_gt_i64_e32 vcc, 0, v[1:2]
	v_not_b32_e32 v2, v2
	v_and_b32_e32 v16, exec_hi, v16
	v_ashrrev_i32_e32 v2, 31, v2
	v_and_b32_e32 v16, v16, v36
	v_xor_b32_e32 v36, vcc_hi, v2
	v_xor_b32_e32 v2, vcc_lo, v2
	v_and_b32_e32 v35, v35, v2
	v_lshlrev_b32_e32 v2, 28, v15
	v_cmp_gt_i64_e32 vcc, 0, v[1:2]
	v_not_b32_e32 v2, v2
	v_ashrrev_i32_e32 v2, 31, v2
	v_and_b32_e32 v16, v16, v36
	v_xor_b32_e32 v36, vcc_hi, v2
	v_xor_b32_e32 v2, vcc_lo, v2
	v_and_b32_e32 v35, v35, v2
	v_lshlrev_b32_e32 v2, 27, v15
	v_cmp_gt_i64_e32 vcc, 0, v[1:2]
	v_not_b32_e32 v2, v2
	v_ashrrev_i32_e32 v2, 31, v2
	v_and_b32_e32 v16, v16, v36
	v_xor_b32_e32 v36, vcc_hi, v2
	v_xor_b32_e32 v2, vcc_lo, v2
	v_and_b32_e32 v35, v35, v2
	v_lshlrev_b32_e32 v2, 26, v15
	v_cmp_gt_i64_e32 vcc, 0, v[1:2]
	v_not_b32_e32 v2, v2
	v_ashrrev_i32_e32 v2, 31, v2
	v_and_b32_e32 v16, v16, v36
	v_xor_b32_e32 v36, vcc_hi, v2
	v_xor_b32_e32 v2, vcc_lo, v2
	v_and_b32_e32 v35, v35, v2
	v_lshlrev_b32_e32 v2, 25, v15
	v_cmp_gt_i64_e32 vcc, 0, v[1:2]
	v_not_b32_e32 v2, v2
	v_ashrrev_i32_e32 v2, 31, v2
	v_and_b32_e32 v16, v16, v36
	v_xor_b32_e32 v36, vcc_hi, v2
	v_xor_b32_e32 v2, vcc_lo, v2
	v_and_b32_e32 v35, v35, v2
	v_lshlrev_b32_e32 v2, 24, v15
	v_cmp_gt_i64_e32 vcc, 0, v[1:2]
	v_not_b32_e32 v2, v2
	v_ashrrev_i32_e32 v2, 31, v2
	v_and_b32_e32 v16, v16, v36
	v_xor_b32_e32 v15, vcc_hi, v2
	v_xor_b32_e32 v2, vcc_lo, v2
	ds_read_b32 v33, v37 offset:32
	v_and_b32_e32 v16, v16, v15
	v_and_b32_e32 v15, v35, v2
	v_mbcnt_lo_u32_b32 v2, v15, 0
	v_mbcnt_hi_u32_b32 v35, v16, v2
	v_cmp_ne_u64_e32 vcc, 0, v[15:16]
	v_cmp_eq_u32_e64 s[4:5], 0, v35
	s_and_b64 s[6:7], vcc, s[4:5]
	; wave barrier
	s_and_saveexec_b64 s[4:5], s[6:7]
	s_cbranch_execz .LBB1135_87
; %bb.86:
	v_bcnt_u32_b32 v2, v15, 0
	v_bcnt_u32_b32 v2, v16, v2
	s_waitcnt lgkmcnt(0)
	v_add_u32_e32 v2, v33, v2
	ds_write_b32 v37, v2 offset:32
.LBB1135_87:
	s_or_b64 exec, exec, s[4:5]
	v_xor_b32_e32 v14, 0x80000000, v14
	v_lshrrev_b64 v[15:16], s44, v[13:14]
	v_and_b32_e32 v15, s17, v15
	v_mul_lo_u32 v2, v15, 36
	v_and_b32_e32 v16, 1, v15
	; wave barrier
	v_lshl_add_u32 v39, v32, 2, v2
	v_add_co_u32_e32 v2, vcc, -1, v16
	v_addc_co_u32_e64 v32, s[4:5], 0, -1, vcc
	v_cmp_ne_u32_e32 vcc, 0, v16
	v_xor_b32_e32 v2, vcc_lo, v2
	v_xor_b32_e32 v16, vcc_hi, v32
	v_and_b32_e32 v32, exec_lo, v2
	v_lshlrev_b32_e32 v2, 30, v15
	v_cmp_gt_i64_e32 vcc, 0, v[1:2]
	v_not_b32_e32 v2, v2
	v_ashrrev_i32_e32 v2, 31, v2
	v_xor_b32_e32 v38, vcc_hi, v2
	v_xor_b32_e32 v2, vcc_lo, v2
	v_and_b32_e32 v32, v32, v2
	v_lshlrev_b32_e32 v2, 29, v15
	v_cmp_gt_i64_e32 vcc, 0, v[1:2]
	v_not_b32_e32 v2, v2
	v_and_b32_e32 v16, exec_hi, v16
	v_ashrrev_i32_e32 v2, 31, v2
	v_and_b32_e32 v16, v16, v38
	v_xor_b32_e32 v38, vcc_hi, v2
	v_xor_b32_e32 v2, vcc_lo, v2
	v_and_b32_e32 v32, v32, v2
	v_lshlrev_b32_e32 v2, 28, v15
	v_cmp_gt_i64_e32 vcc, 0, v[1:2]
	v_not_b32_e32 v2, v2
	v_ashrrev_i32_e32 v2, 31, v2
	v_and_b32_e32 v16, v16, v38
	v_xor_b32_e32 v38, vcc_hi, v2
	v_xor_b32_e32 v2, vcc_lo, v2
	v_and_b32_e32 v32, v32, v2
	v_lshlrev_b32_e32 v2, 27, v15
	v_cmp_gt_i64_e32 vcc, 0, v[1:2]
	v_not_b32_e32 v2, v2
	v_ashrrev_i32_e32 v2, 31, v2
	v_and_b32_e32 v16, v16, v38
	v_xor_b32_e32 v38, vcc_hi, v2
	v_xor_b32_e32 v2, vcc_lo, v2
	v_and_b32_e32 v32, v32, v2
	v_lshlrev_b32_e32 v2, 26, v15
	v_cmp_gt_i64_e32 vcc, 0, v[1:2]
	v_not_b32_e32 v2, v2
	v_ashrrev_i32_e32 v2, 31, v2
	v_and_b32_e32 v16, v16, v38
	v_xor_b32_e32 v38, vcc_hi, v2
	v_xor_b32_e32 v2, vcc_lo, v2
	v_and_b32_e32 v32, v32, v2
	v_lshlrev_b32_e32 v2, 25, v15
	v_cmp_gt_i64_e32 vcc, 0, v[1:2]
	v_not_b32_e32 v2, v2
	v_ashrrev_i32_e32 v2, 31, v2
	v_and_b32_e32 v16, v16, v38
	v_xor_b32_e32 v38, vcc_hi, v2
	v_xor_b32_e32 v2, vcc_lo, v2
	v_and_b32_e32 v32, v32, v2
	v_lshlrev_b32_e32 v2, 24, v15
	v_cmp_gt_i64_e32 vcc, 0, v[1:2]
	v_not_b32_e32 v1, v2
	v_ashrrev_i32_e32 v1, 31, v1
	v_xor_b32_e32 v2, vcc_hi, v1
	v_xor_b32_e32 v1, vcc_lo, v1
	ds_read_b32 v36, v39 offset:32
	v_and_b32_e32 v16, v16, v38
	v_and_b32_e32 v1, v32, v1
	;; [unrolled: 1-line block ×3, first 2 shown]
	v_mbcnt_lo_u32_b32 v15, v1, 0
	v_mbcnt_hi_u32_b32 v38, v2, v15
	v_cmp_ne_u64_e32 vcc, 0, v[1:2]
	v_cmp_eq_u32_e64 s[4:5], 0, v38
	s_and_b64 s[6:7], vcc, s[4:5]
	; wave barrier
	s_and_saveexec_b64 s[4:5], s[6:7]
	s_cbranch_execz .LBB1135_89
; %bb.88:
	v_bcnt_u32_b32 v1, v1, 0
	v_bcnt_u32_b32 v1, v2, v1
	s_waitcnt lgkmcnt(0)
	v_add_u32_e32 v1, v36, v1
	ds_write_b32 v39, v1 offset:32
.LBB1135_89:
	s_or_b64 exec, exec, s[4:5]
	; wave barrier
	s_waitcnt lgkmcnt(0)
	s_barrier
	ds_read2_b32 v[15:16], v25 offset0:8 offset1:9
	ds_read2_b32 v[1:2], v25 offset0:10 offset1:11
	ds_read_b32 v32, v25 offset:48
	v_min_u32_e32 v18, 0x1c0, v18
	v_or_b32_e32 v18, 63, v18
	s_waitcnt lgkmcnt(1)
	v_add3_u32 v40, v16, v15, v1
	s_waitcnt lgkmcnt(0)
	v_add3_u32 v32, v40, v2, v32
	v_and_b32_e32 v40, 15, v17
	v_cmp_ne_u32_e32 vcc, 0, v40
	v_mov_b32_dpp v41, v32 row_shr:1 row_mask:0xf bank_mask:0xf
	v_cndmask_b32_e32 v41, 0, v41, vcc
	v_add_u32_e32 v32, v41, v32
	v_cmp_lt_u32_e32 vcc, 1, v40
	s_nop 0
	v_mov_b32_dpp v41, v32 row_shr:2 row_mask:0xf bank_mask:0xf
	v_cndmask_b32_e32 v41, 0, v41, vcc
	v_add_u32_e32 v32, v32, v41
	v_cmp_lt_u32_e32 vcc, 3, v40
	s_nop 0
	;; [unrolled: 5-line block ×3, first 2 shown]
	v_mov_b32_dpp v41, v32 row_shr:8 row_mask:0xf bank_mask:0xf
	v_cndmask_b32_e32 v40, 0, v41, vcc
	v_add_u32_e32 v32, v32, v40
	v_bfe_i32 v41, v17, 4, 1
	v_cmp_lt_u32_e32 vcc, 31, v17
	v_mov_b32_dpp v40, v32 row_bcast:15 row_mask:0xf bank_mask:0xf
	v_and_b32_e32 v40, v41, v40
	v_add_u32_e32 v32, v32, v40
	v_lshrrev_b32_e32 v41, 6, v0
	s_nop 0
	v_mov_b32_dpp v40, v32 row_bcast:31 row_mask:0xf bank_mask:0xf
	v_cndmask_b32_e32 v40, 0, v40, vcc
	v_add_u32_e32 v40, v32, v40
	v_cmp_eq_u32_e32 vcc, v0, v18
	s_and_saveexec_b64 s[4:5], vcc
; %bb.90:
	v_lshlrev_b32_e32 v18, 2, v41
	ds_write_b32 v18, v40
; %bb.91:
	s_or_b64 exec, exec, s[4:5]
	v_cmp_gt_u32_e32 vcc, 8, v0
	v_lshlrev_b32_e32 v32, 2, v0
	s_waitcnt lgkmcnt(0)
	s_barrier
	s_and_saveexec_b64 s[4:5], vcc
	s_cbranch_execz .LBB1135_93
; %bb.92:
	ds_read_b32 v18, v32
	v_and_b32_e32 v42, 7, v17
	v_cmp_ne_u32_e32 vcc, 0, v42
	s_waitcnt lgkmcnt(0)
	v_mov_b32_dpp v43, v18 row_shr:1 row_mask:0xf bank_mask:0xf
	v_cndmask_b32_e32 v43, 0, v43, vcc
	v_add_u32_e32 v18, v43, v18
	v_cmp_lt_u32_e32 vcc, 1, v42
	s_nop 0
	v_mov_b32_dpp v43, v18 row_shr:2 row_mask:0xf bank_mask:0xf
	v_cndmask_b32_e32 v43, 0, v43, vcc
	v_add_u32_e32 v18, v18, v43
	v_cmp_lt_u32_e32 vcc, 3, v42
	s_nop 0
	v_mov_b32_dpp v43, v18 row_shr:4 row_mask:0xf bank_mask:0xf
	v_cndmask_b32_e32 v42, 0, v43, vcc
	v_add_u32_e32 v18, v18, v42
	ds_write_b32 v32, v18
.LBB1135_93:
	s_or_b64 exec, exec, s[4:5]
	v_cmp_lt_u32_e32 vcc, 63, v0
	v_mov_b32_e32 v18, 0
	s_waitcnt lgkmcnt(0)
	s_barrier
	s_and_saveexec_b64 s[4:5], vcc
; %bb.94:
	v_lshl_add_u32 v18, v41, 2, -4
	ds_read_b32 v18, v18
; %bb.95:
	s_or_b64 exec, exec, s[4:5]
	v_subrev_co_u32_e32 v41, vcc, 1, v17
	v_and_b32_e32 v42, 64, v17
	v_cmp_lt_i32_e64 s[4:5], v41, v42
	v_cndmask_b32_e64 v17, v41, v17, s[4:5]
	s_waitcnt lgkmcnt(0)
	v_add_u32_e32 v40, v18, v40
	v_lshlrev_b32_e32 v17, 2, v17
	ds_bpermute_b32 v17, v17, v40
	s_movk_i32 s4, 0xff
	s_movk_i32 s6, 0x100
	s_waitcnt lgkmcnt(0)
	v_cndmask_b32_e32 v17, v17, v18, vcc
	v_cndmask_b32_e64 v17, v17, 0, s[22:23]
	v_add_u32_e32 v15, v17, v15
	v_add_u32_e32 v16, v15, v16
	;; [unrolled: 1-line block ×4, first 2 shown]
	ds_write2_b32 v25, v17, v15 offset0:8 offset1:9
	ds_write2_b32 v25, v16, v1 offset0:10 offset1:11
	ds_write_b32 v25, v2 offset:48
	s_waitcnt lgkmcnt(0)
	s_barrier
	ds_read_b32 v40, v26 offset:32
	ds_read_b32 v27, v27 offset:32
	;; [unrolled: 1-line block ×6, first 2 shown]
	v_cmp_lt_u32_e32 vcc, s4, v0
	v_cmp_gt_u32_e64 s[4:5], s6, v0
                                        ; implicit-def: $vgpr25
                                        ; implicit-def: $vgpr26
	s_and_saveexec_b64 s[10:11], s[4:5]
	s_cbranch_execz .LBB1135_99
; %bb.96:
	v_mul_u32_u24_e32 v1, 36, v0
	ds_read_b32 v25, v1 offset:32
	v_add_u32_e32 v2, 1, v0
	v_cmp_ne_u32_e64 s[6:7], s6, v2
	v_mov_b32_e32 v1, 0xc00
	s_and_saveexec_b64 s[12:13], s[6:7]
; %bb.97:
	v_mul_u32_u24_e32 v1, 36, v2
	ds_read_b32 v1, v1 offset:32
; %bb.98:
	s_or_b64 exec, exec, s[12:13]
	s_waitcnt lgkmcnt(0)
	v_sub_u32_e32 v26, v1, v25
.LBB1135_99:
	s_or_b64 exec, exec, s[10:11]
	v_mov_b32_e32 v2, 0
	s_waitcnt lgkmcnt(0)
	s_barrier
	s_and_saveexec_b64 s[6:7], s[4:5]
	s_cbranch_execz .LBB1135_109
; %bb.100:
	v_lshl_add_u32 v1, s33, 8, v0
	v_lshlrev_b64 v[15:16], 2, v[1:2]
	v_mov_b32_e32 v41, s27
	v_add_co_u32_e64 v15, s[4:5], s26, v15
	v_addc_co_u32_e64 v16, s[4:5], v41, v16, s[4:5]
	v_or_b32_e32 v1, 2.0, v26
	s_mov_b64 s[10:11], 0
	s_brev_b32 s18, -4
	s_mov_b32 s19, s33
	v_mov_b32_e32 v42, 0
	global_store_dword v[15:16], v1, off
                                        ; implicit-def: $sgpr4_sgpr5
	s_branch .LBB1135_103
.LBB1135_101:                           ;   in Loop: Header=BB1135_103 Depth=1
	s_or_b64 exec, exec, s[14:15]
.LBB1135_102:                           ;   in Loop: Header=BB1135_103 Depth=1
	s_or_b64 exec, exec, s[12:13]
	v_and_b32_e32 v17, 0x3fffffff, v1
	v_add_u32_e32 v42, v17, v42
	v_cmp_gt_i32_e64 s[4:5], -2.0, v1
	s_and_b64 s[12:13], exec, s[4:5]
	s_or_b64 s[10:11], s[12:13], s[10:11]
	s_andn2_b64 exec, exec, s[10:11]
	s_cbranch_execz .LBB1135_108
.LBB1135_103:                           ; =>This Loop Header: Depth=1
                                        ;     Child Loop BB1135_106 Depth 2
	s_or_b64 s[4:5], s[4:5], exec
	s_cmp_eq_u32 s19, 0
	s_cbranch_scc1 .LBB1135_107
; %bb.104:                              ;   in Loop: Header=BB1135_103 Depth=1
	s_add_i32 s19, s19, -1
	v_lshl_or_b32 v1, s19, 8, v0
	v_lshlrev_b64 v[17:18], 2, v[1:2]
	v_add_co_u32_e64 v17, s[4:5], s26, v17
	v_addc_co_u32_e64 v18, s[4:5], v41, v18, s[4:5]
	global_load_dword v1, v[17:18], off glc
	s_waitcnt vmcnt(0)
	v_cmp_gt_u32_e64 s[4:5], 2.0, v1
	s_and_saveexec_b64 s[12:13], s[4:5]
	s_cbranch_execz .LBB1135_102
; %bb.105:                              ;   in Loop: Header=BB1135_103 Depth=1
	s_mov_b64 s[14:15], 0
.LBB1135_106:                           ;   Parent Loop BB1135_103 Depth=1
                                        ; =>  This Inner Loop Header: Depth=2
	global_load_dword v1, v[17:18], off glc
	s_waitcnt vmcnt(0)
	v_cmp_lt_u32_e64 s[4:5], s18, v1
	s_or_b64 s[14:15], s[4:5], s[14:15]
	s_andn2_b64 exec, exec, s[14:15]
	s_cbranch_execnz .LBB1135_106
	s_branch .LBB1135_101
.LBB1135_107:                           ;   in Loop: Header=BB1135_103 Depth=1
                                        ; implicit-def: $sgpr19
	s_and_b64 s[12:13], exec, s[4:5]
	s_or_b64 s[10:11], s[12:13], s[10:11]
	s_andn2_b64 exec, exec, s[10:11]
	s_cbranch_execnz .LBB1135_103
.LBB1135_108:
	s_or_b64 exec, exec, s[10:11]
	v_add_u32_e32 v1, v42, v26
	v_or_b32_e32 v1, 0x80000000, v1
	global_store_dword v[15:16], v1, off
	global_load_dword v1, v32, s[28:29]
	v_sub_u32_e32 v2, v42, v25
	s_waitcnt vmcnt(0)
	v_add_u32_e32 v1, v2, v1
	ds_write_b32 v32, v1
.LBB1135_109:
	s_or_b64 exec, exec, s[6:7]
	v_add_u32_e32 v15, v40, v21
	v_add3_u32 v16, v38, v39, v36
	v_add3_u32 v17, v35, v37, v33
	;; [unrolled: 1-line block ×5, first 2 shown]
	s_mov_b32 s6, 0
	s_mov_b32 s7, 0
	v_add_u32_e32 v23, v32, v32
	v_mov_b32_e32 v2, 0
	v_mov_b32_e32 v24, s39
	s_movk_i32 s10, 0x200
	v_mov_b32_e32 v27, v0
.LBB1135_110:                           ; =>This Inner Loop Header: Depth=1
	v_add_u32_e32 v1, s7, v15
	v_add_u32_e32 v28, s7, v22
	v_add_u32_e32 v29, s7, v21
	v_add_u32_e32 v30, s7, v18
	v_add_u32_e32 v31, s7, v17
	v_add_u32_e32 v33, s7, v16
	v_min_u32_e32 v1, 0x400, v1
	v_min_u32_e32 v28, 0x400, v28
	;; [unrolled: 1-line block ×6, first 2 shown]
	v_lshlrev_b32_e32 v1, 3, v1
	v_lshlrev_b32_e32 v28, 3, v28
	;; [unrolled: 1-line block ×6, first 2 shown]
	ds_write_b64 v1, v[3:4] offset:1024
	ds_write_b64 v28, v[5:6] offset:1024
	;; [unrolled: 1-line block ×6, first 2 shown]
	s_waitcnt lgkmcnt(0)
	s_barrier
	ds_read2st64_b64 v[28:31], v23 offset0:2 offset1:10
	v_mov_b32_e32 v36, s6
	s_addk_i32 s7, 0xfc00
	s_add_i32 s6, s6, 8
	s_cmpk_lg_i32 s7, 0xf400
	s_waitcnt lgkmcnt(0)
	v_lshrrev_b64 v[33:34], s44, v[28:29]
	v_lshrrev_b64 v[34:35], s44, v[30:31]
	v_and_b32_e32 v1, s17, v33
	v_and_b32_e32 v33, s17, v34
	v_lshlrev_b32_e32 v34, 2, v1
	buffer_store_dword v1, v36, s[0:3], 0 offen
	buffer_store_dword v33, v36, s[0:3], 0 offen offset:4
	v_lshlrev_b32_e32 v1, 2, v33
	ds_read_b32 v33, v34
	ds_read_b32 v35, v1
	v_xor_b32_e32 v29, 0x80000000, v29
	v_xor_b32_e32 v31, 0x80000000, v31
	s_waitcnt lgkmcnt(1)
	v_add_u32_e32 v1, v27, v33
	v_lshlrev_b64 v[33:34], 3, v[1:2]
	s_waitcnt lgkmcnt(0)
	v_add3_u32 v1, v27, v35, s10
	v_lshlrev_b64 v[35:36], 3, v[1:2]
	v_add_co_u32_e64 v33, s[4:5], s38, v33
	v_addc_co_u32_e64 v34, s[4:5], v24, v34, s[4:5]
	global_store_dwordx2 v[33:34], v[28:29], off
	v_add_co_u32_e64 v28, s[4:5], s38, v35
	v_add_u32_e32 v27, 0x400, v27
	v_addc_co_u32_e64 v29, s[4:5], v24, v36, s[4:5]
	global_store_dwordx2 v[28:29], v[30:31], off
	s_waitcnt vmcnt(0)
	s_barrier
	s_cbranch_scc1 .LBB1135_110
; %bb.111:
	s_add_u32 s4, s40, s8
	s_addc_u32 s5, s41, s9
	v_mov_b32_e32 v1, s5
	v_add_co_u32_e64 v2, s[4:5], s4, v19
	v_addc_co_u32_e64 v1, s[4:5], 0, v1, s[4:5]
	v_add_co_u32_e64 v13, s[4:5], v2, v20
	v_addc_co_u32_e64 v14, s[4:5], 0, v1, s[4:5]
	global_load_dwordx2 v[1:2], v[13:14], off
	global_load_dwordx2 v[3:4], v[13:14], off offset:512
	global_load_dwordx2 v[5:6], v[13:14], off offset:1024
	;; [unrolled: 1-line block ×5, first 2 shown]
	v_mov_b32_e32 v14, 0
	s_mov_b32 s6, 0
	s_mov_b32 s7, 0
	v_mov_b32_e32 v19, s43
	s_movk_i32 s8, 0x200
.LBB1135_112:                           ; =>This Inner Loop Header: Depth=1
	v_add_u32_e32 v13, s7, v15
	v_add_u32_e32 v20, s7, v22
	;; [unrolled: 1-line block ×6, first 2 shown]
	v_min_u32_e32 v13, 0x400, v13
	v_min_u32_e32 v20, 0x400, v20
	v_mov_b32_e32 v30, s6
	v_min_u32_e32 v24, 0x400, v24
	v_min_u32_e32 v27, 0x400, v27
	;; [unrolled: 1-line block ×4, first 2 shown]
	v_lshlrev_b32_e32 v13, 3, v13
	v_lshlrev_b32_e32 v20, 3, v20
	;; [unrolled: 1-line block ×6, first 2 shown]
	s_waitcnt vmcnt(5)
	ds_write_b64 v13, v[1:2] offset:1024
	s_waitcnt vmcnt(4)
	ds_write_b64 v20, v[3:4] offset:1024
	;; [unrolled: 2-line block ×6, first 2 shown]
	s_waitcnt lgkmcnt(0)
	s_barrier
	buffer_load_dword v13, v30, s[0:3], 0 offen
	buffer_load_dword v20, v30, s[0:3], 0 offen offset:4
	ds_read2st64_b64 v[27:30], v23 offset0:2 offset1:10
	s_addk_i32 s7, 0xfc00
	s_add_i32 s6, s6, 8
	s_cmpk_lg_i32 s7, 0xf400
	s_waitcnt vmcnt(1)
	v_lshlrev_b32_e32 v13, 2, v13
	s_waitcnt vmcnt(0)
	v_lshlrev_b32_e32 v20, 2, v20
	ds_read_b32 v13, v13
	ds_read_b32 v20, v20
	s_waitcnt lgkmcnt(1)
	v_add_u32_e32 v13, v0, v13
	v_lshlrev_b64 v[33:34], 3, v[13:14]
	s_waitcnt lgkmcnt(0)
	v_add3_u32 v13, v0, v20, s8
	v_lshlrev_b64 v[35:36], 3, v[13:14]
	v_add_co_u32_e64 v33, s[4:5], s42, v33
	v_addc_co_u32_e64 v34, s[4:5], v19, v34, s[4:5]
	global_store_dwordx2 v[33:34], v[27:28], off
	v_add_co_u32_e64 v27, s[4:5], s42, v35
	v_add_u32_e32 v0, 0x400, v0
	v_addc_co_u32_e64 v28, s[4:5], v19, v36, s[4:5]
	global_store_dwordx2 v[27:28], v[29:30], off
	s_waitcnt vmcnt(0)
	s_barrier
	s_cbranch_scc1 .LBB1135_112
; %bb.113:
	s_add_i32 s16, s16, -1
	s_cmp_eq_u32 s33, s16
	s_cselect_b64 s[4:5], -1, 0
	s_xor_b64 s[6:7], vcc, -1
	s_and_b64 s[4:5], s[6:7], s[4:5]
	s_and_saveexec_b64 s[6:7], s[4:5]
	s_cbranch_execz .LBB1135_115
; %bb.114:
	ds_read_b32 v0, v32
	s_waitcnt lgkmcnt(0)
	v_add3_u32 v0, v25, v26, v0
	global_store_dword v32, v0, s[30:31]
.LBB1135_115:
	s_endpgm
	.section	.rodata,"a",@progbits
	.p2align	6, 0x0
	.amdhsa_kernel _ZN7rocprim17ROCPRIM_400000_NS6detail17trampoline_kernelINS0_14default_configENS1_35radix_sort_onesweep_config_selectorIllEEZZNS1_29radix_sort_onesweep_iterationIS3_Lb0EPlS7_N6thrust23THRUST_200600_302600_NS10device_ptrIlEESB_jNS0_19identity_decomposerENS1_16block_id_wrapperIjLb1EEEEE10hipError_tT1_PNSt15iterator_traitsISG_E10value_typeET2_T3_PNSH_ISM_E10value_typeET4_T5_PSR_SS_PNS1_23onesweep_lookback_stateEbbT6_jjT7_P12ihipStream_tbENKUlT_T0_SG_SL_E_clIS7_S7_SB_SB_EEDaSZ_S10_SG_SL_EUlSZ_E_NS1_11comp_targetILNS1_3genE2ELNS1_11target_archE906ELNS1_3gpuE6ELNS1_3repE0EEENS1_47radix_sort_onesweep_sort_config_static_selectorELNS0_4arch9wavefront6targetE1EEEvSG_
		.amdhsa_group_segment_fixed_size 10280
		.amdhsa_private_segment_fixed_size 32
		.amdhsa_kernarg_size 344
		.amdhsa_user_sgpr_count 6
		.amdhsa_user_sgpr_private_segment_buffer 1
		.amdhsa_user_sgpr_dispatch_ptr 0
		.amdhsa_user_sgpr_queue_ptr 0
		.amdhsa_user_sgpr_kernarg_segment_ptr 1
		.amdhsa_user_sgpr_dispatch_id 0
		.amdhsa_user_sgpr_flat_scratch_init 0
		.amdhsa_user_sgpr_private_segment_size 0
		.amdhsa_uses_dynamic_stack 0
		.amdhsa_system_sgpr_private_segment_wavefront_offset 1
		.amdhsa_system_sgpr_workgroup_id_x 1
		.amdhsa_system_sgpr_workgroup_id_y 0
		.amdhsa_system_sgpr_workgroup_id_z 0
		.amdhsa_system_sgpr_workgroup_info 0
		.amdhsa_system_vgpr_workitem_id 2
		.amdhsa_next_free_vgpr 47
		.amdhsa_next_free_sgpr 57
		.amdhsa_reserve_vcc 1
		.amdhsa_reserve_flat_scratch 0
		.amdhsa_float_round_mode_32 0
		.amdhsa_float_round_mode_16_64 0
		.amdhsa_float_denorm_mode_32 3
		.amdhsa_float_denorm_mode_16_64 3
		.amdhsa_dx10_clamp 1
		.amdhsa_ieee_mode 1
		.amdhsa_fp16_overflow 0
		.amdhsa_exception_fp_ieee_invalid_op 0
		.amdhsa_exception_fp_denorm_src 0
		.amdhsa_exception_fp_ieee_div_zero 0
		.amdhsa_exception_fp_ieee_overflow 0
		.amdhsa_exception_fp_ieee_underflow 0
		.amdhsa_exception_fp_ieee_inexact 0
		.amdhsa_exception_int_div_zero 0
	.end_amdhsa_kernel
	.section	.text._ZN7rocprim17ROCPRIM_400000_NS6detail17trampoline_kernelINS0_14default_configENS1_35radix_sort_onesweep_config_selectorIllEEZZNS1_29radix_sort_onesweep_iterationIS3_Lb0EPlS7_N6thrust23THRUST_200600_302600_NS10device_ptrIlEESB_jNS0_19identity_decomposerENS1_16block_id_wrapperIjLb1EEEEE10hipError_tT1_PNSt15iterator_traitsISG_E10value_typeET2_T3_PNSH_ISM_E10value_typeET4_T5_PSR_SS_PNS1_23onesweep_lookback_stateEbbT6_jjT7_P12ihipStream_tbENKUlT_T0_SG_SL_E_clIS7_S7_SB_SB_EEDaSZ_S10_SG_SL_EUlSZ_E_NS1_11comp_targetILNS1_3genE2ELNS1_11target_archE906ELNS1_3gpuE6ELNS1_3repE0EEENS1_47radix_sort_onesweep_sort_config_static_selectorELNS0_4arch9wavefront6targetE1EEEvSG_,"axG",@progbits,_ZN7rocprim17ROCPRIM_400000_NS6detail17trampoline_kernelINS0_14default_configENS1_35radix_sort_onesweep_config_selectorIllEEZZNS1_29radix_sort_onesweep_iterationIS3_Lb0EPlS7_N6thrust23THRUST_200600_302600_NS10device_ptrIlEESB_jNS0_19identity_decomposerENS1_16block_id_wrapperIjLb1EEEEE10hipError_tT1_PNSt15iterator_traitsISG_E10value_typeET2_T3_PNSH_ISM_E10value_typeET4_T5_PSR_SS_PNS1_23onesweep_lookback_stateEbbT6_jjT7_P12ihipStream_tbENKUlT_T0_SG_SL_E_clIS7_S7_SB_SB_EEDaSZ_S10_SG_SL_EUlSZ_E_NS1_11comp_targetILNS1_3genE2ELNS1_11target_archE906ELNS1_3gpuE6ELNS1_3repE0EEENS1_47radix_sort_onesweep_sort_config_static_selectorELNS0_4arch9wavefront6targetE1EEEvSG_,comdat
.Lfunc_end1135:
	.size	_ZN7rocprim17ROCPRIM_400000_NS6detail17trampoline_kernelINS0_14default_configENS1_35radix_sort_onesweep_config_selectorIllEEZZNS1_29radix_sort_onesweep_iterationIS3_Lb0EPlS7_N6thrust23THRUST_200600_302600_NS10device_ptrIlEESB_jNS0_19identity_decomposerENS1_16block_id_wrapperIjLb1EEEEE10hipError_tT1_PNSt15iterator_traitsISG_E10value_typeET2_T3_PNSH_ISM_E10value_typeET4_T5_PSR_SS_PNS1_23onesweep_lookback_stateEbbT6_jjT7_P12ihipStream_tbENKUlT_T0_SG_SL_E_clIS7_S7_SB_SB_EEDaSZ_S10_SG_SL_EUlSZ_E_NS1_11comp_targetILNS1_3genE2ELNS1_11target_archE906ELNS1_3gpuE6ELNS1_3repE0EEENS1_47radix_sort_onesweep_sort_config_static_selectorELNS0_4arch9wavefront6targetE1EEEvSG_, .Lfunc_end1135-_ZN7rocprim17ROCPRIM_400000_NS6detail17trampoline_kernelINS0_14default_configENS1_35radix_sort_onesweep_config_selectorIllEEZZNS1_29radix_sort_onesweep_iterationIS3_Lb0EPlS7_N6thrust23THRUST_200600_302600_NS10device_ptrIlEESB_jNS0_19identity_decomposerENS1_16block_id_wrapperIjLb1EEEEE10hipError_tT1_PNSt15iterator_traitsISG_E10value_typeET2_T3_PNSH_ISM_E10value_typeET4_T5_PSR_SS_PNS1_23onesweep_lookback_stateEbbT6_jjT7_P12ihipStream_tbENKUlT_T0_SG_SL_E_clIS7_S7_SB_SB_EEDaSZ_S10_SG_SL_EUlSZ_E_NS1_11comp_targetILNS1_3genE2ELNS1_11target_archE906ELNS1_3gpuE6ELNS1_3repE0EEENS1_47radix_sort_onesweep_sort_config_static_selectorELNS0_4arch9wavefront6targetE1EEEvSG_
                                        ; -- End function
	.set _ZN7rocprim17ROCPRIM_400000_NS6detail17trampoline_kernelINS0_14default_configENS1_35radix_sort_onesweep_config_selectorIllEEZZNS1_29radix_sort_onesweep_iterationIS3_Lb0EPlS7_N6thrust23THRUST_200600_302600_NS10device_ptrIlEESB_jNS0_19identity_decomposerENS1_16block_id_wrapperIjLb1EEEEE10hipError_tT1_PNSt15iterator_traitsISG_E10value_typeET2_T3_PNSH_ISM_E10value_typeET4_T5_PSR_SS_PNS1_23onesweep_lookback_stateEbbT6_jjT7_P12ihipStream_tbENKUlT_T0_SG_SL_E_clIS7_S7_SB_SB_EEDaSZ_S10_SG_SL_EUlSZ_E_NS1_11comp_targetILNS1_3genE2ELNS1_11target_archE906ELNS1_3gpuE6ELNS1_3repE0EEENS1_47radix_sort_onesweep_sort_config_static_selectorELNS0_4arch9wavefront6targetE1EEEvSG_.num_vgpr, 47
	.set _ZN7rocprim17ROCPRIM_400000_NS6detail17trampoline_kernelINS0_14default_configENS1_35radix_sort_onesweep_config_selectorIllEEZZNS1_29radix_sort_onesweep_iterationIS3_Lb0EPlS7_N6thrust23THRUST_200600_302600_NS10device_ptrIlEESB_jNS0_19identity_decomposerENS1_16block_id_wrapperIjLb1EEEEE10hipError_tT1_PNSt15iterator_traitsISG_E10value_typeET2_T3_PNSH_ISM_E10value_typeET4_T5_PSR_SS_PNS1_23onesweep_lookback_stateEbbT6_jjT7_P12ihipStream_tbENKUlT_T0_SG_SL_E_clIS7_S7_SB_SB_EEDaSZ_S10_SG_SL_EUlSZ_E_NS1_11comp_targetILNS1_3genE2ELNS1_11target_archE906ELNS1_3gpuE6ELNS1_3repE0EEENS1_47radix_sort_onesweep_sort_config_static_selectorELNS0_4arch9wavefront6targetE1EEEvSG_.num_agpr, 0
	.set _ZN7rocprim17ROCPRIM_400000_NS6detail17trampoline_kernelINS0_14default_configENS1_35radix_sort_onesweep_config_selectorIllEEZZNS1_29radix_sort_onesweep_iterationIS3_Lb0EPlS7_N6thrust23THRUST_200600_302600_NS10device_ptrIlEESB_jNS0_19identity_decomposerENS1_16block_id_wrapperIjLb1EEEEE10hipError_tT1_PNSt15iterator_traitsISG_E10value_typeET2_T3_PNSH_ISM_E10value_typeET4_T5_PSR_SS_PNS1_23onesweep_lookback_stateEbbT6_jjT7_P12ihipStream_tbENKUlT_T0_SG_SL_E_clIS7_S7_SB_SB_EEDaSZ_S10_SG_SL_EUlSZ_E_NS1_11comp_targetILNS1_3genE2ELNS1_11target_archE906ELNS1_3gpuE6ELNS1_3repE0EEENS1_47radix_sort_onesweep_sort_config_static_selectorELNS0_4arch9wavefront6targetE1EEEvSG_.numbered_sgpr, 57
	.set _ZN7rocprim17ROCPRIM_400000_NS6detail17trampoline_kernelINS0_14default_configENS1_35radix_sort_onesweep_config_selectorIllEEZZNS1_29radix_sort_onesweep_iterationIS3_Lb0EPlS7_N6thrust23THRUST_200600_302600_NS10device_ptrIlEESB_jNS0_19identity_decomposerENS1_16block_id_wrapperIjLb1EEEEE10hipError_tT1_PNSt15iterator_traitsISG_E10value_typeET2_T3_PNSH_ISM_E10value_typeET4_T5_PSR_SS_PNS1_23onesweep_lookback_stateEbbT6_jjT7_P12ihipStream_tbENKUlT_T0_SG_SL_E_clIS7_S7_SB_SB_EEDaSZ_S10_SG_SL_EUlSZ_E_NS1_11comp_targetILNS1_3genE2ELNS1_11target_archE906ELNS1_3gpuE6ELNS1_3repE0EEENS1_47radix_sort_onesweep_sort_config_static_selectorELNS0_4arch9wavefront6targetE1EEEvSG_.num_named_barrier, 0
	.set _ZN7rocprim17ROCPRIM_400000_NS6detail17trampoline_kernelINS0_14default_configENS1_35radix_sort_onesweep_config_selectorIllEEZZNS1_29radix_sort_onesweep_iterationIS3_Lb0EPlS7_N6thrust23THRUST_200600_302600_NS10device_ptrIlEESB_jNS0_19identity_decomposerENS1_16block_id_wrapperIjLb1EEEEE10hipError_tT1_PNSt15iterator_traitsISG_E10value_typeET2_T3_PNSH_ISM_E10value_typeET4_T5_PSR_SS_PNS1_23onesweep_lookback_stateEbbT6_jjT7_P12ihipStream_tbENKUlT_T0_SG_SL_E_clIS7_S7_SB_SB_EEDaSZ_S10_SG_SL_EUlSZ_E_NS1_11comp_targetILNS1_3genE2ELNS1_11target_archE906ELNS1_3gpuE6ELNS1_3repE0EEENS1_47radix_sort_onesweep_sort_config_static_selectorELNS0_4arch9wavefront6targetE1EEEvSG_.private_seg_size, 32
	.set _ZN7rocprim17ROCPRIM_400000_NS6detail17trampoline_kernelINS0_14default_configENS1_35radix_sort_onesweep_config_selectorIllEEZZNS1_29radix_sort_onesweep_iterationIS3_Lb0EPlS7_N6thrust23THRUST_200600_302600_NS10device_ptrIlEESB_jNS0_19identity_decomposerENS1_16block_id_wrapperIjLb1EEEEE10hipError_tT1_PNSt15iterator_traitsISG_E10value_typeET2_T3_PNSH_ISM_E10value_typeET4_T5_PSR_SS_PNS1_23onesweep_lookback_stateEbbT6_jjT7_P12ihipStream_tbENKUlT_T0_SG_SL_E_clIS7_S7_SB_SB_EEDaSZ_S10_SG_SL_EUlSZ_E_NS1_11comp_targetILNS1_3genE2ELNS1_11target_archE906ELNS1_3gpuE6ELNS1_3repE0EEENS1_47radix_sort_onesweep_sort_config_static_selectorELNS0_4arch9wavefront6targetE1EEEvSG_.uses_vcc, 1
	.set _ZN7rocprim17ROCPRIM_400000_NS6detail17trampoline_kernelINS0_14default_configENS1_35radix_sort_onesweep_config_selectorIllEEZZNS1_29radix_sort_onesweep_iterationIS3_Lb0EPlS7_N6thrust23THRUST_200600_302600_NS10device_ptrIlEESB_jNS0_19identity_decomposerENS1_16block_id_wrapperIjLb1EEEEE10hipError_tT1_PNSt15iterator_traitsISG_E10value_typeET2_T3_PNSH_ISM_E10value_typeET4_T5_PSR_SS_PNS1_23onesweep_lookback_stateEbbT6_jjT7_P12ihipStream_tbENKUlT_T0_SG_SL_E_clIS7_S7_SB_SB_EEDaSZ_S10_SG_SL_EUlSZ_E_NS1_11comp_targetILNS1_3genE2ELNS1_11target_archE906ELNS1_3gpuE6ELNS1_3repE0EEENS1_47radix_sort_onesweep_sort_config_static_selectorELNS0_4arch9wavefront6targetE1EEEvSG_.uses_flat_scratch, 0
	.set _ZN7rocprim17ROCPRIM_400000_NS6detail17trampoline_kernelINS0_14default_configENS1_35radix_sort_onesweep_config_selectorIllEEZZNS1_29radix_sort_onesweep_iterationIS3_Lb0EPlS7_N6thrust23THRUST_200600_302600_NS10device_ptrIlEESB_jNS0_19identity_decomposerENS1_16block_id_wrapperIjLb1EEEEE10hipError_tT1_PNSt15iterator_traitsISG_E10value_typeET2_T3_PNSH_ISM_E10value_typeET4_T5_PSR_SS_PNS1_23onesweep_lookback_stateEbbT6_jjT7_P12ihipStream_tbENKUlT_T0_SG_SL_E_clIS7_S7_SB_SB_EEDaSZ_S10_SG_SL_EUlSZ_E_NS1_11comp_targetILNS1_3genE2ELNS1_11target_archE906ELNS1_3gpuE6ELNS1_3repE0EEENS1_47radix_sort_onesweep_sort_config_static_selectorELNS0_4arch9wavefront6targetE1EEEvSG_.has_dyn_sized_stack, 0
	.set _ZN7rocprim17ROCPRIM_400000_NS6detail17trampoline_kernelINS0_14default_configENS1_35radix_sort_onesweep_config_selectorIllEEZZNS1_29radix_sort_onesweep_iterationIS3_Lb0EPlS7_N6thrust23THRUST_200600_302600_NS10device_ptrIlEESB_jNS0_19identity_decomposerENS1_16block_id_wrapperIjLb1EEEEE10hipError_tT1_PNSt15iterator_traitsISG_E10value_typeET2_T3_PNSH_ISM_E10value_typeET4_T5_PSR_SS_PNS1_23onesweep_lookback_stateEbbT6_jjT7_P12ihipStream_tbENKUlT_T0_SG_SL_E_clIS7_S7_SB_SB_EEDaSZ_S10_SG_SL_EUlSZ_E_NS1_11comp_targetILNS1_3genE2ELNS1_11target_archE906ELNS1_3gpuE6ELNS1_3repE0EEENS1_47radix_sort_onesweep_sort_config_static_selectorELNS0_4arch9wavefront6targetE1EEEvSG_.has_recursion, 0
	.set _ZN7rocprim17ROCPRIM_400000_NS6detail17trampoline_kernelINS0_14default_configENS1_35radix_sort_onesweep_config_selectorIllEEZZNS1_29radix_sort_onesweep_iterationIS3_Lb0EPlS7_N6thrust23THRUST_200600_302600_NS10device_ptrIlEESB_jNS0_19identity_decomposerENS1_16block_id_wrapperIjLb1EEEEE10hipError_tT1_PNSt15iterator_traitsISG_E10value_typeET2_T3_PNSH_ISM_E10value_typeET4_T5_PSR_SS_PNS1_23onesweep_lookback_stateEbbT6_jjT7_P12ihipStream_tbENKUlT_T0_SG_SL_E_clIS7_S7_SB_SB_EEDaSZ_S10_SG_SL_EUlSZ_E_NS1_11comp_targetILNS1_3genE2ELNS1_11target_archE906ELNS1_3gpuE6ELNS1_3repE0EEENS1_47radix_sort_onesweep_sort_config_static_selectorELNS0_4arch9wavefront6targetE1EEEvSG_.has_indirect_call, 0
	.section	.AMDGPU.csdata,"",@progbits
; Kernel info:
; codeLenInByte = 9964
; TotalNumSgprs: 61
; NumVgprs: 47
; ScratchSize: 32
; MemoryBound: 1
; FloatMode: 240
; IeeeMode: 1
; LDSByteSize: 10280 bytes/workgroup (compile time only)
; SGPRBlocks: 7
; VGPRBlocks: 11
; NumSGPRsForWavesPerEU: 61
; NumVGPRsForWavesPerEU: 47
; Occupancy: 5
; WaveLimiterHint : 1
; COMPUTE_PGM_RSRC2:SCRATCH_EN: 1
; COMPUTE_PGM_RSRC2:USER_SGPR: 6
; COMPUTE_PGM_RSRC2:TRAP_HANDLER: 0
; COMPUTE_PGM_RSRC2:TGID_X_EN: 1
; COMPUTE_PGM_RSRC2:TGID_Y_EN: 0
; COMPUTE_PGM_RSRC2:TGID_Z_EN: 0
; COMPUTE_PGM_RSRC2:TIDIG_COMP_CNT: 2
	.section	.text._ZN7rocprim17ROCPRIM_400000_NS6detail17trampoline_kernelINS0_14default_configENS1_35radix_sort_onesweep_config_selectorIllEEZZNS1_29radix_sort_onesweep_iterationIS3_Lb0EPlS7_N6thrust23THRUST_200600_302600_NS10device_ptrIlEESB_jNS0_19identity_decomposerENS1_16block_id_wrapperIjLb1EEEEE10hipError_tT1_PNSt15iterator_traitsISG_E10value_typeET2_T3_PNSH_ISM_E10value_typeET4_T5_PSR_SS_PNS1_23onesweep_lookback_stateEbbT6_jjT7_P12ihipStream_tbENKUlT_T0_SG_SL_E_clIS7_S7_SB_SB_EEDaSZ_S10_SG_SL_EUlSZ_E_NS1_11comp_targetILNS1_3genE4ELNS1_11target_archE910ELNS1_3gpuE8ELNS1_3repE0EEENS1_47radix_sort_onesweep_sort_config_static_selectorELNS0_4arch9wavefront6targetE1EEEvSG_,"axG",@progbits,_ZN7rocprim17ROCPRIM_400000_NS6detail17trampoline_kernelINS0_14default_configENS1_35radix_sort_onesweep_config_selectorIllEEZZNS1_29radix_sort_onesweep_iterationIS3_Lb0EPlS7_N6thrust23THRUST_200600_302600_NS10device_ptrIlEESB_jNS0_19identity_decomposerENS1_16block_id_wrapperIjLb1EEEEE10hipError_tT1_PNSt15iterator_traitsISG_E10value_typeET2_T3_PNSH_ISM_E10value_typeET4_T5_PSR_SS_PNS1_23onesweep_lookback_stateEbbT6_jjT7_P12ihipStream_tbENKUlT_T0_SG_SL_E_clIS7_S7_SB_SB_EEDaSZ_S10_SG_SL_EUlSZ_E_NS1_11comp_targetILNS1_3genE4ELNS1_11target_archE910ELNS1_3gpuE8ELNS1_3repE0EEENS1_47radix_sort_onesweep_sort_config_static_selectorELNS0_4arch9wavefront6targetE1EEEvSG_,comdat
	.protected	_ZN7rocprim17ROCPRIM_400000_NS6detail17trampoline_kernelINS0_14default_configENS1_35radix_sort_onesweep_config_selectorIllEEZZNS1_29radix_sort_onesweep_iterationIS3_Lb0EPlS7_N6thrust23THRUST_200600_302600_NS10device_ptrIlEESB_jNS0_19identity_decomposerENS1_16block_id_wrapperIjLb1EEEEE10hipError_tT1_PNSt15iterator_traitsISG_E10value_typeET2_T3_PNSH_ISM_E10value_typeET4_T5_PSR_SS_PNS1_23onesweep_lookback_stateEbbT6_jjT7_P12ihipStream_tbENKUlT_T0_SG_SL_E_clIS7_S7_SB_SB_EEDaSZ_S10_SG_SL_EUlSZ_E_NS1_11comp_targetILNS1_3genE4ELNS1_11target_archE910ELNS1_3gpuE8ELNS1_3repE0EEENS1_47radix_sort_onesweep_sort_config_static_selectorELNS0_4arch9wavefront6targetE1EEEvSG_ ; -- Begin function _ZN7rocprim17ROCPRIM_400000_NS6detail17trampoline_kernelINS0_14default_configENS1_35radix_sort_onesweep_config_selectorIllEEZZNS1_29radix_sort_onesweep_iterationIS3_Lb0EPlS7_N6thrust23THRUST_200600_302600_NS10device_ptrIlEESB_jNS0_19identity_decomposerENS1_16block_id_wrapperIjLb1EEEEE10hipError_tT1_PNSt15iterator_traitsISG_E10value_typeET2_T3_PNSH_ISM_E10value_typeET4_T5_PSR_SS_PNS1_23onesweep_lookback_stateEbbT6_jjT7_P12ihipStream_tbENKUlT_T0_SG_SL_E_clIS7_S7_SB_SB_EEDaSZ_S10_SG_SL_EUlSZ_E_NS1_11comp_targetILNS1_3genE4ELNS1_11target_archE910ELNS1_3gpuE8ELNS1_3repE0EEENS1_47radix_sort_onesweep_sort_config_static_selectorELNS0_4arch9wavefront6targetE1EEEvSG_
	.globl	_ZN7rocprim17ROCPRIM_400000_NS6detail17trampoline_kernelINS0_14default_configENS1_35radix_sort_onesweep_config_selectorIllEEZZNS1_29radix_sort_onesweep_iterationIS3_Lb0EPlS7_N6thrust23THRUST_200600_302600_NS10device_ptrIlEESB_jNS0_19identity_decomposerENS1_16block_id_wrapperIjLb1EEEEE10hipError_tT1_PNSt15iterator_traitsISG_E10value_typeET2_T3_PNSH_ISM_E10value_typeET4_T5_PSR_SS_PNS1_23onesweep_lookback_stateEbbT6_jjT7_P12ihipStream_tbENKUlT_T0_SG_SL_E_clIS7_S7_SB_SB_EEDaSZ_S10_SG_SL_EUlSZ_E_NS1_11comp_targetILNS1_3genE4ELNS1_11target_archE910ELNS1_3gpuE8ELNS1_3repE0EEENS1_47radix_sort_onesweep_sort_config_static_selectorELNS0_4arch9wavefront6targetE1EEEvSG_
	.p2align	8
	.type	_ZN7rocprim17ROCPRIM_400000_NS6detail17trampoline_kernelINS0_14default_configENS1_35radix_sort_onesweep_config_selectorIllEEZZNS1_29radix_sort_onesweep_iterationIS3_Lb0EPlS7_N6thrust23THRUST_200600_302600_NS10device_ptrIlEESB_jNS0_19identity_decomposerENS1_16block_id_wrapperIjLb1EEEEE10hipError_tT1_PNSt15iterator_traitsISG_E10value_typeET2_T3_PNSH_ISM_E10value_typeET4_T5_PSR_SS_PNS1_23onesweep_lookback_stateEbbT6_jjT7_P12ihipStream_tbENKUlT_T0_SG_SL_E_clIS7_S7_SB_SB_EEDaSZ_S10_SG_SL_EUlSZ_E_NS1_11comp_targetILNS1_3genE4ELNS1_11target_archE910ELNS1_3gpuE8ELNS1_3repE0EEENS1_47radix_sort_onesweep_sort_config_static_selectorELNS0_4arch9wavefront6targetE1EEEvSG_,@function
_ZN7rocprim17ROCPRIM_400000_NS6detail17trampoline_kernelINS0_14default_configENS1_35radix_sort_onesweep_config_selectorIllEEZZNS1_29radix_sort_onesweep_iterationIS3_Lb0EPlS7_N6thrust23THRUST_200600_302600_NS10device_ptrIlEESB_jNS0_19identity_decomposerENS1_16block_id_wrapperIjLb1EEEEE10hipError_tT1_PNSt15iterator_traitsISG_E10value_typeET2_T3_PNSH_ISM_E10value_typeET4_T5_PSR_SS_PNS1_23onesweep_lookback_stateEbbT6_jjT7_P12ihipStream_tbENKUlT_T0_SG_SL_E_clIS7_S7_SB_SB_EEDaSZ_S10_SG_SL_EUlSZ_E_NS1_11comp_targetILNS1_3genE4ELNS1_11target_archE910ELNS1_3gpuE8ELNS1_3repE0EEENS1_47radix_sort_onesweep_sort_config_static_selectorELNS0_4arch9wavefront6targetE1EEEvSG_: ; @_ZN7rocprim17ROCPRIM_400000_NS6detail17trampoline_kernelINS0_14default_configENS1_35radix_sort_onesweep_config_selectorIllEEZZNS1_29radix_sort_onesweep_iterationIS3_Lb0EPlS7_N6thrust23THRUST_200600_302600_NS10device_ptrIlEESB_jNS0_19identity_decomposerENS1_16block_id_wrapperIjLb1EEEEE10hipError_tT1_PNSt15iterator_traitsISG_E10value_typeET2_T3_PNSH_ISM_E10value_typeET4_T5_PSR_SS_PNS1_23onesweep_lookback_stateEbbT6_jjT7_P12ihipStream_tbENKUlT_T0_SG_SL_E_clIS7_S7_SB_SB_EEDaSZ_S10_SG_SL_EUlSZ_E_NS1_11comp_targetILNS1_3genE4ELNS1_11target_archE910ELNS1_3gpuE8ELNS1_3repE0EEENS1_47radix_sort_onesweep_sort_config_static_selectorELNS0_4arch9wavefront6targetE1EEEvSG_
; %bb.0:
	.section	.rodata,"a",@progbits
	.p2align	6, 0x0
	.amdhsa_kernel _ZN7rocprim17ROCPRIM_400000_NS6detail17trampoline_kernelINS0_14default_configENS1_35radix_sort_onesweep_config_selectorIllEEZZNS1_29radix_sort_onesweep_iterationIS3_Lb0EPlS7_N6thrust23THRUST_200600_302600_NS10device_ptrIlEESB_jNS0_19identity_decomposerENS1_16block_id_wrapperIjLb1EEEEE10hipError_tT1_PNSt15iterator_traitsISG_E10value_typeET2_T3_PNSH_ISM_E10value_typeET4_T5_PSR_SS_PNS1_23onesweep_lookback_stateEbbT6_jjT7_P12ihipStream_tbENKUlT_T0_SG_SL_E_clIS7_S7_SB_SB_EEDaSZ_S10_SG_SL_EUlSZ_E_NS1_11comp_targetILNS1_3genE4ELNS1_11target_archE910ELNS1_3gpuE8ELNS1_3repE0EEENS1_47radix_sort_onesweep_sort_config_static_selectorELNS0_4arch9wavefront6targetE1EEEvSG_
		.amdhsa_group_segment_fixed_size 0
		.amdhsa_private_segment_fixed_size 0
		.amdhsa_kernarg_size 88
		.amdhsa_user_sgpr_count 6
		.amdhsa_user_sgpr_private_segment_buffer 1
		.amdhsa_user_sgpr_dispatch_ptr 0
		.amdhsa_user_sgpr_queue_ptr 0
		.amdhsa_user_sgpr_kernarg_segment_ptr 1
		.amdhsa_user_sgpr_dispatch_id 0
		.amdhsa_user_sgpr_flat_scratch_init 0
		.amdhsa_user_sgpr_private_segment_size 0
		.amdhsa_uses_dynamic_stack 0
		.amdhsa_system_sgpr_private_segment_wavefront_offset 0
		.amdhsa_system_sgpr_workgroup_id_x 1
		.amdhsa_system_sgpr_workgroup_id_y 0
		.amdhsa_system_sgpr_workgroup_id_z 0
		.amdhsa_system_sgpr_workgroup_info 0
		.amdhsa_system_vgpr_workitem_id 0
		.amdhsa_next_free_vgpr 1
		.amdhsa_next_free_sgpr 0
		.amdhsa_reserve_vcc 0
		.amdhsa_reserve_flat_scratch 0
		.amdhsa_float_round_mode_32 0
		.amdhsa_float_round_mode_16_64 0
		.amdhsa_float_denorm_mode_32 3
		.amdhsa_float_denorm_mode_16_64 3
		.amdhsa_dx10_clamp 1
		.amdhsa_ieee_mode 1
		.amdhsa_fp16_overflow 0
		.amdhsa_exception_fp_ieee_invalid_op 0
		.amdhsa_exception_fp_denorm_src 0
		.amdhsa_exception_fp_ieee_div_zero 0
		.amdhsa_exception_fp_ieee_overflow 0
		.amdhsa_exception_fp_ieee_underflow 0
		.amdhsa_exception_fp_ieee_inexact 0
		.amdhsa_exception_int_div_zero 0
	.end_amdhsa_kernel
	.section	.text._ZN7rocprim17ROCPRIM_400000_NS6detail17trampoline_kernelINS0_14default_configENS1_35radix_sort_onesweep_config_selectorIllEEZZNS1_29radix_sort_onesweep_iterationIS3_Lb0EPlS7_N6thrust23THRUST_200600_302600_NS10device_ptrIlEESB_jNS0_19identity_decomposerENS1_16block_id_wrapperIjLb1EEEEE10hipError_tT1_PNSt15iterator_traitsISG_E10value_typeET2_T3_PNSH_ISM_E10value_typeET4_T5_PSR_SS_PNS1_23onesweep_lookback_stateEbbT6_jjT7_P12ihipStream_tbENKUlT_T0_SG_SL_E_clIS7_S7_SB_SB_EEDaSZ_S10_SG_SL_EUlSZ_E_NS1_11comp_targetILNS1_3genE4ELNS1_11target_archE910ELNS1_3gpuE8ELNS1_3repE0EEENS1_47radix_sort_onesweep_sort_config_static_selectorELNS0_4arch9wavefront6targetE1EEEvSG_,"axG",@progbits,_ZN7rocprim17ROCPRIM_400000_NS6detail17trampoline_kernelINS0_14default_configENS1_35radix_sort_onesweep_config_selectorIllEEZZNS1_29radix_sort_onesweep_iterationIS3_Lb0EPlS7_N6thrust23THRUST_200600_302600_NS10device_ptrIlEESB_jNS0_19identity_decomposerENS1_16block_id_wrapperIjLb1EEEEE10hipError_tT1_PNSt15iterator_traitsISG_E10value_typeET2_T3_PNSH_ISM_E10value_typeET4_T5_PSR_SS_PNS1_23onesweep_lookback_stateEbbT6_jjT7_P12ihipStream_tbENKUlT_T0_SG_SL_E_clIS7_S7_SB_SB_EEDaSZ_S10_SG_SL_EUlSZ_E_NS1_11comp_targetILNS1_3genE4ELNS1_11target_archE910ELNS1_3gpuE8ELNS1_3repE0EEENS1_47radix_sort_onesweep_sort_config_static_selectorELNS0_4arch9wavefront6targetE1EEEvSG_,comdat
.Lfunc_end1136:
	.size	_ZN7rocprim17ROCPRIM_400000_NS6detail17trampoline_kernelINS0_14default_configENS1_35radix_sort_onesweep_config_selectorIllEEZZNS1_29radix_sort_onesweep_iterationIS3_Lb0EPlS7_N6thrust23THRUST_200600_302600_NS10device_ptrIlEESB_jNS0_19identity_decomposerENS1_16block_id_wrapperIjLb1EEEEE10hipError_tT1_PNSt15iterator_traitsISG_E10value_typeET2_T3_PNSH_ISM_E10value_typeET4_T5_PSR_SS_PNS1_23onesweep_lookback_stateEbbT6_jjT7_P12ihipStream_tbENKUlT_T0_SG_SL_E_clIS7_S7_SB_SB_EEDaSZ_S10_SG_SL_EUlSZ_E_NS1_11comp_targetILNS1_3genE4ELNS1_11target_archE910ELNS1_3gpuE8ELNS1_3repE0EEENS1_47radix_sort_onesweep_sort_config_static_selectorELNS0_4arch9wavefront6targetE1EEEvSG_, .Lfunc_end1136-_ZN7rocprim17ROCPRIM_400000_NS6detail17trampoline_kernelINS0_14default_configENS1_35radix_sort_onesweep_config_selectorIllEEZZNS1_29radix_sort_onesweep_iterationIS3_Lb0EPlS7_N6thrust23THRUST_200600_302600_NS10device_ptrIlEESB_jNS0_19identity_decomposerENS1_16block_id_wrapperIjLb1EEEEE10hipError_tT1_PNSt15iterator_traitsISG_E10value_typeET2_T3_PNSH_ISM_E10value_typeET4_T5_PSR_SS_PNS1_23onesweep_lookback_stateEbbT6_jjT7_P12ihipStream_tbENKUlT_T0_SG_SL_E_clIS7_S7_SB_SB_EEDaSZ_S10_SG_SL_EUlSZ_E_NS1_11comp_targetILNS1_3genE4ELNS1_11target_archE910ELNS1_3gpuE8ELNS1_3repE0EEENS1_47radix_sort_onesweep_sort_config_static_selectorELNS0_4arch9wavefront6targetE1EEEvSG_
                                        ; -- End function
	.set _ZN7rocprim17ROCPRIM_400000_NS6detail17trampoline_kernelINS0_14default_configENS1_35radix_sort_onesweep_config_selectorIllEEZZNS1_29radix_sort_onesweep_iterationIS3_Lb0EPlS7_N6thrust23THRUST_200600_302600_NS10device_ptrIlEESB_jNS0_19identity_decomposerENS1_16block_id_wrapperIjLb1EEEEE10hipError_tT1_PNSt15iterator_traitsISG_E10value_typeET2_T3_PNSH_ISM_E10value_typeET4_T5_PSR_SS_PNS1_23onesweep_lookback_stateEbbT6_jjT7_P12ihipStream_tbENKUlT_T0_SG_SL_E_clIS7_S7_SB_SB_EEDaSZ_S10_SG_SL_EUlSZ_E_NS1_11comp_targetILNS1_3genE4ELNS1_11target_archE910ELNS1_3gpuE8ELNS1_3repE0EEENS1_47radix_sort_onesweep_sort_config_static_selectorELNS0_4arch9wavefront6targetE1EEEvSG_.num_vgpr, 0
	.set _ZN7rocprim17ROCPRIM_400000_NS6detail17trampoline_kernelINS0_14default_configENS1_35radix_sort_onesweep_config_selectorIllEEZZNS1_29radix_sort_onesweep_iterationIS3_Lb0EPlS7_N6thrust23THRUST_200600_302600_NS10device_ptrIlEESB_jNS0_19identity_decomposerENS1_16block_id_wrapperIjLb1EEEEE10hipError_tT1_PNSt15iterator_traitsISG_E10value_typeET2_T3_PNSH_ISM_E10value_typeET4_T5_PSR_SS_PNS1_23onesweep_lookback_stateEbbT6_jjT7_P12ihipStream_tbENKUlT_T0_SG_SL_E_clIS7_S7_SB_SB_EEDaSZ_S10_SG_SL_EUlSZ_E_NS1_11comp_targetILNS1_3genE4ELNS1_11target_archE910ELNS1_3gpuE8ELNS1_3repE0EEENS1_47radix_sort_onesweep_sort_config_static_selectorELNS0_4arch9wavefront6targetE1EEEvSG_.num_agpr, 0
	.set _ZN7rocprim17ROCPRIM_400000_NS6detail17trampoline_kernelINS0_14default_configENS1_35radix_sort_onesweep_config_selectorIllEEZZNS1_29radix_sort_onesweep_iterationIS3_Lb0EPlS7_N6thrust23THRUST_200600_302600_NS10device_ptrIlEESB_jNS0_19identity_decomposerENS1_16block_id_wrapperIjLb1EEEEE10hipError_tT1_PNSt15iterator_traitsISG_E10value_typeET2_T3_PNSH_ISM_E10value_typeET4_T5_PSR_SS_PNS1_23onesweep_lookback_stateEbbT6_jjT7_P12ihipStream_tbENKUlT_T0_SG_SL_E_clIS7_S7_SB_SB_EEDaSZ_S10_SG_SL_EUlSZ_E_NS1_11comp_targetILNS1_3genE4ELNS1_11target_archE910ELNS1_3gpuE8ELNS1_3repE0EEENS1_47radix_sort_onesweep_sort_config_static_selectorELNS0_4arch9wavefront6targetE1EEEvSG_.numbered_sgpr, 0
	.set _ZN7rocprim17ROCPRIM_400000_NS6detail17trampoline_kernelINS0_14default_configENS1_35radix_sort_onesweep_config_selectorIllEEZZNS1_29radix_sort_onesweep_iterationIS3_Lb0EPlS7_N6thrust23THRUST_200600_302600_NS10device_ptrIlEESB_jNS0_19identity_decomposerENS1_16block_id_wrapperIjLb1EEEEE10hipError_tT1_PNSt15iterator_traitsISG_E10value_typeET2_T3_PNSH_ISM_E10value_typeET4_T5_PSR_SS_PNS1_23onesweep_lookback_stateEbbT6_jjT7_P12ihipStream_tbENKUlT_T0_SG_SL_E_clIS7_S7_SB_SB_EEDaSZ_S10_SG_SL_EUlSZ_E_NS1_11comp_targetILNS1_3genE4ELNS1_11target_archE910ELNS1_3gpuE8ELNS1_3repE0EEENS1_47radix_sort_onesweep_sort_config_static_selectorELNS0_4arch9wavefront6targetE1EEEvSG_.num_named_barrier, 0
	.set _ZN7rocprim17ROCPRIM_400000_NS6detail17trampoline_kernelINS0_14default_configENS1_35radix_sort_onesweep_config_selectorIllEEZZNS1_29radix_sort_onesweep_iterationIS3_Lb0EPlS7_N6thrust23THRUST_200600_302600_NS10device_ptrIlEESB_jNS0_19identity_decomposerENS1_16block_id_wrapperIjLb1EEEEE10hipError_tT1_PNSt15iterator_traitsISG_E10value_typeET2_T3_PNSH_ISM_E10value_typeET4_T5_PSR_SS_PNS1_23onesweep_lookback_stateEbbT6_jjT7_P12ihipStream_tbENKUlT_T0_SG_SL_E_clIS7_S7_SB_SB_EEDaSZ_S10_SG_SL_EUlSZ_E_NS1_11comp_targetILNS1_3genE4ELNS1_11target_archE910ELNS1_3gpuE8ELNS1_3repE0EEENS1_47radix_sort_onesweep_sort_config_static_selectorELNS0_4arch9wavefront6targetE1EEEvSG_.private_seg_size, 0
	.set _ZN7rocprim17ROCPRIM_400000_NS6detail17trampoline_kernelINS0_14default_configENS1_35radix_sort_onesweep_config_selectorIllEEZZNS1_29radix_sort_onesweep_iterationIS3_Lb0EPlS7_N6thrust23THRUST_200600_302600_NS10device_ptrIlEESB_jNS0_19identity_decomposerENS1_16block_id_wrapperIjLb1EEEEE10hipError_tT1_PNSt15iterator_traitsISG_E10value_typeET2_T3_PNSH_ISM_E10value_typeET4_T5_PSR_SS_PNS1_23onesweep_lookback_stateEbbT6_jjT7_P12ihipStream_tbENKUlT_T0_SG_SL_E_clIS7_S7_SB_SB_EEDaSZ_S10_SG_SL_EUlSZ_E_NS1_11comp_targetILNS1_3genE4ELNS1_11target_archE910ELNS1_3gpuE8ELNS1_3repE0EEENS1_47radix_sort_onesweep_sort_config_static_selectorELNS0_4arch9wavefront6targetE1EEEvSG_.uses_vcc, 0
	.set _ZN7rocprim17ROCPRIM_400000_NS6detail17trampoline_kernelINS0_14default_configENS1_35radix_sort_onesweep_config_selectorIllEEZZNS1_29radix_sort_onesweep_iterationIS3_Lb0EPlS7_N6thrust23THRUST_200600_302600_NS10device_ptrIlEESB_jNS0_19identity_decomposerENS1_16block_id_wrapperIjLb1EEEEE10hipError_tT1_PNSt15iterator_traitsISG_E10value_typeET2_T3_PNSH_ISM_E10value_typeET4_T5_PSR_SS_PNS1_23onesweep_lookback_stateEbbT6_jjT7_P12ihipStream_tbENKUlT_T0_SG_SL_E_clIS7_S7_SB_SB_EEDaSZ_S10_SG_SL_EUlSZ_E_NS1_11comp_targetILNS1_3genE4ELNS1_11target_archE910ELNS1_3gpuE8ELNS1_3repE0EEENS1_47radix_sort_onesweep_sort_config_static_selectorELNS0_4arch9wavefront6targetE1EEEvSG_.uses_flat_scratch, 0
	.set _ZN7rocprim17ROCPRIM_400000_NS6detail17trampoline_kernelINS0_14default_configENS1_35radix_sort_onesweep_config_selectorIllEEZZNS1_29radix_sort_onesweep_iterationIS3_Lb0EPlS7_N6thrust23THRUST_200600_302600_NS10device_ptrIlEESB_jNS0_19identity_decomposerENS1_16block_id_wrapperIjLb1EEEEE10hipError_tT1_PNSt15iterator_traitsISG_E10value_typeET2_T3_PNSH_ISM_E10value_typeET4_T5_PSR_SS_PNS1_23onesweep_lookback_stateEbbT6_jjT7_P12ihipStream_tbENKUlT_T0_SG_SL_E_clIS7_S7_SB_SB_EEDaSZ_S10_SG_SL_EUlSZ_E_NS1_11comp_targetILNS1_3genE4ELNS1_11target_archE910ELNS1_3gpuE8ELNS1_3repE0EEENS1_47radix_sort_onesweep_sort_config_static_selectorELNS0_4arch9wavefront6targetE1EEEvSG_.has_dyn_sized_stack, 0
	.set _ZN7rocprim17ROCPRIM_400000_NS6detail17trampoline_kernelINS0_14default_configENS1_35radix_sort_onesweep_config_selectorIllEEZZNS1_29radix_sort_onesweep_iterationIS3_Lb0EPlS7_N6thrust23THRUST_200600_302600_NS10device_ptrIlEESB_jNS0_19identity_decomposerENS1_16block_id_wrapperIjLb1EEEEE10hipError_tT1_PNSt15iterator_traitsISG_E10value_typeET2_T3_PNSH_ISM_E10value_typeET4_T5_PSR_SS_PNS1_23onesweep_lookback_stateEbbT6_jjT7_P12ihipStream_tbENKUlT_T0_SG_SL_E_clIS7_S7_SB_SB_EEDaSZ_S10_SG_SL_EUlSZ_E_NS1_11comp_targetILNS1_3genE4ELNS1_11target_archE910ELNS1_3gpuE8ELNS1_3repE0EEENS1_47radix_sort_onesweep_sort_config_static_selectorELNS0_4arch9wavefront6targetE1EEEvSG_.has_recursion, 0
	.set _ZN7rocprim17ROCPRIM_400000_NS6detail17trampoline_kernelINS0_14default_configENS1_35radix_sort_onesweep_config_selectorIllEEZZNS1_29radix_sort_onesweep_iterationIS3_Lb0EPlS7_N6thrust23THRUST_200600_302600_NS10device_ptrIlEESB_jNS0_19identity_decomposerENS1_16block_id_wrapperIjLb1EEEEE10hipError_tT1_PNSt15iterator_traitsISG_E10value_typeET2_T3_PNSH_ISM_E10value_typeET4_T5_PSR_SS_PNS1_23onesweep_lookback_stateEbbT6_jjT7_P12ihipStream_tbENKUlT_T0_SG_SL_E_clIS7_S7_SB_SB_EEDaSZ_S10_SG_SL_EUlSZ_E_NS1_11comp_targetILNS1_3genE4ELNS1_11target_archE910ELNS1_3gpuE8ELNS1_3repE0EEENS1_47radix_sort_onesweep_sort_config_static_selectorELNS0_4arch9wavefront6targetE1EEEvSG_.has_indirect_call, 0
	.section	.AMDGPU.csdata,"",@progbits
; Kernel info:
; codeLenInByte = 0
; TotalNumSgprs: 4
; NumVgprs: 0
; ScratchSize: 0
; MemoryBound: 0
; FloatMode: 240
; IeeeMode: 1
; LDSByteSize: 0 bytes/workgroup (compile time only)
; SGPRBlocks: 0
; VGPRBlocks: 0
; NumSGPRsForWavesPerEU: 4
; NumVGPRsForWavesPerEU: 1
; Occupancy: 10
; WaveLimiterHint : 0
; COMPUTE_PGM_RSRC2:SCRATCH_EN: 0
; COMPUTE_PGM_RSRC2:USER_SGPR: 6
; COMPUTE_PGM_RSRC2:TRAP_HANDLER: 0
; COMPUTE_PGM_RSRC2:TGID_X_EN: 1
; COMPUTE_PGM_RSRC2:TGID_Y_EN: 0
; COMPUTE_PGM_RSRC2:TGID_Z_EN: 0
; COMPUTE_PGM_RSRC2:TIDIG_COMP_CNT: 0
	.section	.text._ZN7rocprim17ROCPRIM_400000_NS6detail17trampoline_kernelINS0_14default_configENS1_35radix_sort_onesweep_config_selectorIllEEZZNS1_29radix_sort_onesweep_iterationIS3_Lb0EPlS7_N6thrust23THRUST_200600_302600_NS10device_ptrIlEESB_jNS0_19identity_decomposerENS1_16block_id_wrapperIjLb1EEEEE10hipError_tT1_PNSt15iterator_traitsISG_E10value_typeET2_T3_PNSH_ISM_E10value_typeET4_T5_PSR_SS_PNS1_23onesweep_lookback_stateEbbT6_jjT7_P12ihipStream_tbENKUlT_T0_SG_SL_E_clIS7_S7_SB_SB_EEDaSZ_S10_SG_SL_EUlSZ_E_NS1_11comp_targetILNS1_3genE3ELNS1_11target_archE908ELNS1_3gpuE7ELNS1_3repE0EEENS1_47radix_sort_onesweep_sort_config_static_selectorELNS0_4arch9wavefront6targetE1EEEvSG_,"axG",@progbits,_ZN7rocprim17ROCPRIM_400000_NS6detail17trampoline_kernelINS0_14default_configENS1_35radix_sort_onesweep_config_selectorIllEEZZNS1_29radix_sort_onesweep_iterationIS3_Lb0EPlS7_N6thrust23THRUST_200600_302600_NS10device_ptrIlEESB_jNS0_19identity_decomposerENS1_16block_id_wrapperIjLb1EEEEE10hipError_tT1_PNSt15iterator_traitsISG_E10value_typeET2_T3_PNSH_ISM_E10value_typeET4_T5_PSR_SS_PNS1_23onesweep_lookback_stateEbbT6_jjT7_P12ihipStream_tbENKUlT_T0_SG_SL_E_clIS7_S7_SB_SB_EEDaSZ_S10_SG_SL_EUlSZ_E_NS1_11comp_targetILNS1_3genE3ELNS1_11target_archE908ELNS1_3gpuE7ELNS1_3repE0EEENS1_47radix_sort_onesweep_sort_config_static_selectorELNS0_4arch9wavefront6targetE1EEEvSG_,comdat
	.protected	_ZN7rocprim17ROCPRIM_400000_NS6detail17trampoline_kernelINS0_14default_configENS1_35radix_sort_onesweep_config_selectorIllEEZZNS1_29radix_sort_onesweep_iterationIS3_Lb0EPlS7_N6thrust23THRUST_200600_302600_NS10device_ptrIlEESB_jNS0_19identity_decomposerENS1_16block_id_wrapperIjLb1EEEEE10hipError_tT1_PNSt15iterator_traitsISG_E10value_typeET2_T3_PNSH_ISM_E10value_typeET4_T5_PSR_SS_PNS1_23onesweep_lookback_stateEbbT6_jjT7_P12ihipStream_tbENKUlT_T0_SG_SL_E_clIS7_S7_SB_SB_EEDaSZ_S10_SG_SL_EUlSZ_E_NS1_11comp_targetILNS1_3genE3ELNS1_11target_archE908ELNS1_3gpuE7ELNS1_3repE0EEENS1_47radix_sort_onesweep_sort_config_static_selectorELNS0_4arch9wavefront6targetE1EEEvSG_ ; -- Begin function _ZN7rocprim17ROCPRIM_400000_NS6detail17trampoline_kernelINS0_14default_configENS1_35radix_sort_onesweep_config_selectorIllEEZZNS1_29radix_sort_onesweep_iterationIS3_Lb0EPlS7_N6thrust23THRUST_200600_302600_NS10device_ptrIlEESB_jNS0_19identity_decomposerENS1_16block_id_wrapperIjLb1EEEEE10hipError_tT1_PNSt15iterator_traitsISG_E10value_typeET2_T3_PNSH_ISM_E10value_typeET4_T5_PSR_SS_PNS1_23onesweep_lookback_stateEbbT6_jjT7_P12ihipStream_tbENKUlT_T0_SG_SL_E_clIS7_S7_SB_SB_EEDaSZ_S10_SG_SL_EUlSZ_E_NS1_11comp_targetILNS1_3genE3ELNS1_11target_archE908ELNS1_3gpuE7ELNS1_3repE0EEENS1_47radix_sort_onesweep_sort_config_static_selectorELNS0_4arch9wavefront6targetE1EEEvSG_
	.globl	_ZN7rocprim17ROCPRIM_400000_NS6detail17trampoline_kernelINS0_14default_configENS1_35radix_sort_onesweep_config_selectorIllEEZZNS1_29radix_sort_onesweep_iterationIS3_Lb0EPlS7_N6thrust23THRUST_200600_302600_NS10device_ptrIlEESB_jNS0_19identity_decomposerENS1_16block_id_wrapperIjLb1EEEEE10hipError_tT1_PNSt15iterator_traitsISG_E10value_typeET2_T3_PNSH_ISM_E10value_typeET4_T5_PSR_SS_PNS1_23onesweep_lookback_stateEbbT6_jjT7_P12ihipStream_tbENKUlT_T0_SG_SL_E_clIS7_S7_SB_SB_EEDaSZ_S10_SG_SL_EUlSZ_E_NS1_11comp_targetILNS1_3genE3ELNS1_11target_archE908ELNS1_3gpuE7ELNS1_3repE0EEENS1_47radix_sort_onesweep_sort_config_static_selectorELNS0_4arch9wavefront6targetE1EEEvSG_
	.p2align	8
	.type	_ZN7rocprim17ROCPRIM_400000_NS6detail17trampoline_kernelINS0_14default_configENS1_35radix_sort_onesweep_config_selectorIllEEZZNS1_29radix_sort_onesweep_iterationIS3_Lb0EPlS7_N6thrust23THRUST_200600_302600_NS10device_ptrIlEESB_jNS0_19identity_decomposerENS1_16block_id_wrapperIjLb1EEEEE10hipError_tT1_PNSt15iterator_traitsISG_E10value_typeET2_T3_PNSH_ISM_E10value_typeET4_T5_PSR_SS_PNS1_23onesweep_lookback_stateEbbT6_jjT7_P12ihipStream_tbENKUlT_T0_SG_SL_E_clIS7_S7_SB_SB_EEDaSZ_S10_SG_SL_EUlSZ_E_NS1_11comp_targetILNS1_3genE3ELNS1_11target_archE908ELNS1_3gpuE7ELNS1_3repE0EEENS1_47radix_sort_onesweep_sort_config_static_selectorELNS0_4arch9wavefront6targetE1EEEvSG_,@function
_ZN7rocprim17ROCPRIM_400000_NS6detail17trampoline_kernelINS0_14default_configENS1_35radix_sort_onesweep_config_selectorIllEEZZNS1_29radix_sort_onesweep_iterationIS3_Lb0EPlS7_N6thrust23THRUST_200600_302600_NS10device_ptrIlEESB_jNS0_19identity_decomposerENS1_16block_id_wrapperIjLb1EEEEE10hipError_tT1_PNSt15iterator_traitsISG_E10value_typeET2_T3_PNSH_ISM_E10value_typeET4_T5_PSR_SS_PNS1_23onesweep_lookback_stateEbbT6_jjT7_P12ihipStream_tbENKUlT_T0_SG_SL_E_clIS7_S7_SB_SB_EEDaSZ_S10_SG_SL_EUlSZ_E_NS1_11comp_targetILNS1_3genE3ELNS1_11target_archE908ELNS1_3gpuE7ELNS1_3repE0EEENS1_47radix_sort_onesweep_sort_config_static_selectorELNS0_4arch9wavefront6targetE1EEEvSG_: ; @_ZN7rocprim17ROCPRIM_400000_NS6detail17trampoline_kernelINS0_14default_configENS1_35radix_sort_onesweep_config_selectorIllEEZZNS1_29radix_sort_onesweep_iterationIS3_Lb0EPlS7_N6thrust23THRUST_200600_302600_NS10device_ptrIlEESB_jNS0_19identity_decomposerENS1_16block_id_wrapperIjLb1EEEEE10hipError_tT1_PNSt15iterator_traitsISG_E10value_typeET2_T3_PNSH_ISM_E10value_typeET4_T5_PSR_SS_PNS1_23onesweep_lookback_stateEbbT6_jjT7_P12ihipStream_tbENKUlT_T0_SG_SL_E_clIS7_S7_SB_SB_EEDaSZ_S10_SG_SL_EUlSZ_E_NS1_11comp_targetILNS1_3genE3ELNS1_11target_archE908ELNS1_3gpuE7ELNS1_3repE0EEENS1_47radix_sort_onesweep_sort_config_static_selectorELNS0_4arch9wavefront6targetE1EEEvSG_
; %bb.0:
	.section	.rodata,"a",@progbits
	.p2align	6, 0x0
	.amdhsa_kernel _ZN7rocprim17ROCPRIM_400000_NS6detail17trampoline_kernelINS0_14default_configENS1_35radix_sort_onesweep_config_selectorIllEEZZNS1_29radix_sort_onesweep_iterationIS3_Lb0EPlS7_N6thrust23THRUST_200600_302600_NS10device_ptrIlEESB_jNS0_19identity_decomposerENS1_16block_id_wrapperIjLb1EEEEE10hipError_tT1_PNSt15iterator_traitsISG_E10value_typeET2_T3_PNSH_ISM_E10value_typeET4_T5_PSR_SS_PNS1_23onesweep_lookback_stateEbbT6_jjT7_P12ihipStream_tbENKUlT_T0_SG_SL_E_clIS7_S7_SB_SB_EEDaSZ_S10_SG_SL_EUlSZ_E_NS1_11comp_targetILNS1_3genE3ELNS1_11target_archE908ELNS1_3gpuE7ELNS1_3repE0EEENS1_47radix_sort_onesweep_sort_config_static_selectorELNS0_4arch9wavefront6targetE1EEEvSG_
		.amdhsa_group_segment_fixed_size 0
		.amdhsa_private_segment_fixed_size 0
		.amdhsa_kernarg_size 88
		.amdhsa_user_sgpr_count 6
		.amdhsa_user_sgpr_private_segment_buffer 1
		.amdhsa_user_sgpr_dispatch_ptr 0
		.amdhsa_user_sgpr_queue_ptr 0
		.amdhsa_user_sgpr_kernarg_segment_ptr 1
		.amdhsa_user_sgpr_dispatch_id 0
		.amdhsa_user_sgpr_flat_scratch_init 0
		.amdhsa_user_sgpr_private_segment_size 0
		.amdhsa_uses_dynamic_stack 0
		.amdhsa_system_sgpr_private_segment_wavefront_offset 0
		.amdhsa_system_sgpr_workgroup_id_x 1
		.amdhsa_system_sgpr_workgroup_id_y 0
		.amdhsa_system_sgpr_workgroup_id_z 0
		.amdhsa_system_sgpr_workgroup_info 0
		.amdhsa_system_vgpr_workitem_id 0
		.amdhsa_next_free_vgpr 1
		.amdhsa_next_free_sgpr 0
		.amdhsa_reserve_vcc 0
		.amdhsa_reserve_flat_scratch 0
		.amdhsa_float_round_mode_32 0
		.amdhsa_float_round_mode_16_64 0
		.amdhsa_float_denorm_mode_32 3
		.amdhsa_float_denorm_mode_16_64 3
		.amdhsa_dx10_clamp 1
		.amdhsa_ieee_mode 1
		.amdhsa_fp16_overflow 0
		.amdhsa_exception_fp_ieee_invalid_op 0
		.amdhsa_exception_fp_denorm_src 0
		.amdhsa_exception_fp_ieee_div_zero 0
		.amdhsa_exception_fp_ieee_overflow 0
		.amdhsa_exception_fp_ieee_underflow 0
		.amdhsa_exception_fp_ieee_inexact 0
		.amdhsa_exception_int_div_zero 0
	.end_amdhsa_kernel
	.section	.text._ZN7rocprim17ROCPRIM_400000_NS6detail17trampoline_kernelINS0_14default_configENS1_35radix_sort_onesweep_config_selectorIllEEZZNS1_29radix_sort_onesweep_iterationIS3_Lb0EPlS7_N6thrust23THRUST_200600_302600_NS10device_ptrIlEESB_jNS0_19identity_decomposerENS1_16block_id_wrapperIjLb1EEEEE10hipError_tT1_PNSt15iterator_traitsISG_E10value_typeET2_T3_PNSH_ISM_E10value_typeET4_T5_PSR_SS_PNS1_23onesweep_lookback_stateEbbT6_jjT7_P12ihipStream_tbENKUlT_T0_SG_SL_E_clIS7_S7_SB_SB_EEDaSZ_S10_SG_SL_EUlSZ_E_NS1_11comp_targetILNS1_3genE3ELNS1_11target_archE908ELNS1_3gpuE7ELNS1_3repE0EEENS1_47radix_sort_onesweep_sort_config_static_selectorELNS0_4arch9wavefront6targetE1EEEvSG_,"axG",@progbits,_ZN7rocprim17ROCPRIM_400000_NS6detail17trampoline_kernelINS0_14default_configENS1_35radix_sort_onesweep_config_selectorIllEEZZNS1_29radix_sort_onesweep_iterationIS3_Lb0EPlS7_N6thrust23THRUST_200600_302600_NS10device_ptrIlEESB_jNS0_19identity_decomposerENS1_16block_id_wrapperIjLb1EEEEE10hipError_tT1_PNSt15iterator_traitsISG_E10value_typeET2_T3_PNSH_ISM_E10value_typeET4_T5_PSR_SS_PNS1_23onesweep_lookback_stateEbbT6_jjT7_P12ihipStream_tbENKUlT_T0_SG_SL_E_clIS7_S7_SB_SB_EEDaSZ_S10_SG_SL_EUlSZ_E_NS1_11comp_targetILNS1_3genE3ELNS1_11target_archE908ELNS1_3gpuE7ELNS1_3repE0EEENS1_47radix_sort_onesweep_sort_config_static_selectorELNS0_4arch9wavefront6targetE1EEEvSG_,comdat
.Lfunc_end1137:
	.size	_ZN7rocprim17ROCPRIM_400000_NS6detail17trampoline_kernelINS0_14default_configENS1_35radix_sort_onesweep_config_selectorIllEEZZNS1_29radix_sort_onesweep_iterationIS3_Lb0EPlS7_N6thrust23THRUST_200600_302600_NS10device_ptrIlEESB_jNS0_19identity_decomposerENS1_16block_id_wrapperIjLb1EEEEE10hipError_tT1_PNSt15iterator_traitsISG_E10value_typeET2_T3_PNSH_ISM_E10value_typeET4_T5_PSR_SS_PNS1_23onesweep_lookback_stateEbbT6_jjT7_P12ihipStream_tbENKUlT_T0_SG_SL_E_clIS7_S7_SB_SB_EEDaSZ_S10_SG_SL_EUlSZ_E_NS1_11comp_targetILNS1_3genE3ELNS1_11target_archE908ELNS1_3gpuE7ELNS1_3repE0EEENS1_47radix_sort_onesweep_sort_config_static_selectorELNS0_4arch9wavefront6targetE1EEEvSG_, .Lfunc_end1137-_ZN7rocprim17ROCPRIM_400000_NS6detail17trampoline_kernelINS0_14default_configENS1_35radix_sort_onesweep_config_selectorIllEEZZNS1_29radix_sort_onesweep_iterationIS3_Lb0EPlS7_N6thrust23THRUST_200600_302600_NS10device_ptrIlEESB_jNS0_19identity_decomposerENS1_16block_id_wrapperIjLb1EEEEE10hipError_tT1_PNSt15iterator_traitsISG_E10value_typeET2_T3_PNSH_ISM_E10value_typeET4_T5_PSR_SS_PNS1_23onesweep_lookback_stateEbbT6_jjT7_P12ihipStream_tbENKUlT_T0_SG_SL_E_clIS7_S7_SB_SB_EEDaSZ_S10_SG_SL_EUlSZ_E_NS1_11comp_targetILNS1_3genE3ELNS1_11target_archE908ELNS1_3gpuE7ELNS1_3repE0EEENS1_47radix_sort_onesweep_sort_config_static_selectorELNS0_4arch9wavefront6targetE1EEEvSG_
                                        ; -- End function
	.set _ZN7rocprim17ROCPRIM_400000_NS6detail17trampoline_kernelINS0_14default_configENS1_35radix_sort_onesweep_config_selectorIllEEZZNS1_29radix_sort_onesweep_iterationIS3_Lb0EPlS7_N6thrust23THRUST_200600_302600_NS10device_ptrIlEESB_jNS0_19identity_decomposerENS1_16block_id_wrapperIjLb1EEEEE10hipError_tT1_PNSt15iterator_traitsISG_E10value_typeET2_T3_PNSH_ISM_E10value_typeET4_T5_PSR_SS_PNS1_23onesweep_lookback_stateEbbT6_jjT7_P12ihipStream_tbENKUlT_T0_SG_SL_E_clIS7_S7_SB_SB_EEDaSZ_S10_SG_SL_EUlSZ_E_NS1_11comp_targetILNS1_3genE3ELNS1_11target_archE908ELNS1_3gpuE7ELNS1_3repE0EEENS1_47radix_sort_onesweep_sort_config_static_selectorELNS0_4arch9wavefront6targetE1EEEvSG_.num_vgpr, 0
	.set _ZN7rocprim17ROCPRIM_400000_NS6detail17trampoline_kernelINS0_14default_configENS1_35radix_sort_onesweep_config_selectorIllEEZZNS1_29radix_sort_onesweep_iterationIS3_Lb0EPlS7_N6thrust23THRUST_200600_302600_NS10device_ptrIlEESB_jNS0_19identity_decomposerENS1_16block_id_wrapperIjLb1EEEEE10hipError_tT1_PNSt15iterator_traitsISG_E10value_typeET2_T3_PNSH_ISM_E10value_typeET4_T5_PSR_SS_PNS1_23onesweep_lookback_stateEbbT6_jjT7_P12ihipStream_tbENKUlT_T0_SG_SL_E_clIS7_S7_SB_SB_EEDaSZ_S10_SG_SL_EUlSZ_E_NS1_11comp_targetILNS1_3genE3ELNS1_11target_archE908ELNS1_3gpuE7ELNS1_3repE0EEENS1_47radix_sort_onesweep_sort_config_static_selectorELNS0_4arch9wavefront6targetE1EEEvSG_.num_agpr, 0
	.set _ZN7rocprim17ROCPRIM_400000_NS6detail17trampoline_kernelINS0_14default_configENS1_35radix_sort_onesweep_config_selectorIllEEZZNS1_29radix_sort_onesweep_iterationIS3_Lb0EPlS7_N6thrust23THRUST_200600_302600_NS10device_ptrIlEESB_jNS0_19identity_decomposerENS1_16block_id_wrapperIjLb1EEEEE10hipError_tT1_PNSt15iterator_traitsISG_E10value_typeET2_T3_PNSH_ISM_E10value_typeET4_T5_PSR_SS_PNS1_23onesweep_lookback_stateEbbT6_jjT7_P12ihipStream_tbENKUlT_T0_SG_SL_E_clIS7_S7_SB_SB_EEDaSZ_S10_SG_SL_EUlSZ_E_NS1_11comp_targetILNS1_3genE3ELNS1_11target_archE908ELNS1_3gpuE7ELNS1_3repE0EEENS1_47radix_sort_onesweep_sort_config_static_selectorELNS0_4arch9wavefront6targetE1EEEvSG_.numbered_sgpr, 0
	.set _ZN7rocprim17ROCPRIM_400000_NS6detail17trampoline_kernelINS0_14default_configENS1_35radix_sort_onesweep_config_selectorIllEEZZNS1_29radix_sort_onesweep_iterationIS3_Lb0EPlS7_N6thrust23THRUST_200600_302600_NS10device_ptrIlEESB_jNS0_19identity_decomposerENS1_16block_id_wrapperIjLb1EEEEE10hipError_tT1_PNSt15iterator_traitsISG_E10value_typeET2_T3_PNSH_ISM_E10value_typeET4_T5_PSR_SS_PNS1_23onesweep_lookback_stateEbbT6_jjT7_P12ihipStream_tbENKUlT_T0_SG_SL_E_clIS7_S7_SB_SB_EEDaSZ_S10_SG_SL_EUlSZ_E_NS1_11comp_targetILNS1_3genE3ELNS1_11target_archE908ELNS1_3gpuE7ELNS1_3repE0EEENS1_47radix_sort_onesweep_sort_config_static_selectorELNS0_4arch9wavefront6targetE1EEEvSG_.num_named_barrier, 0
	.set _ZN7rocprim17ROCPRIM_400000_NS6detail17trampoline_kernelINS0_14default_configENS1_35radix_sort_onesweep_config_selectorIllEEZZNS1_29radix_sort_onesweep_iterationIS3_Lb0EPlS7_N6thrust23THRUST_200600_302600_NS10device_ptrIlEESB_jNS0_19identity_decomposerENS1_16block_id_wrapperIjLb1EEEEE10hipError_tT1_PNSt15iterator_traitsISG_E10value_typeET2_T3_PNSH_ISM_E10value_typeET4_T5_PSR_SS_PNS1_23onesweep_lookback_stateEbbT6_jjT7_P12ihipStream_tbENKUlT_T0_SG_SL_E_clIS7_S7_SB_SB_EEDaSZ_S10_SG_SL_EUlSZ_E_NS1_11comp_targetILNS1_3genE3ELNS1_11target_archE908ELNS1_3gpuE7ELNS1_3repE0EEENS1_47radix_sort_onesweep_sort_config_static_selectorELNS0_4arch9wavefront6targetE1EEEvSG_.private_seg_size, 0
	.set _ZN7rocprim17ROCPRIM_400000_NS6detail17trampoline_kernelINS0_14default_configENS1_35radix_sort_onesweep_config_selectorIllEEZZNS1_29radix_sort_onesweep_iterationIS3_Lb0EPlS7_N6thrust23THRUST_200600_302600_NS10device_ptrIlEESB_jNS0_19identity_decomposerENS1_16block_id_wrapperIjLb1EEEEE10hipError_tT1_PNSt15iterator_traitsISG_E10value_typeET2_T3_PNSH_ISM_E10value_typeET4_T5_PSR_SS_PNS1_23onesweep_lookback_stateEbbT6_jjT7_P12ihipStream_tbENKUlT_T0_SG_SL_E_clIS7_S7_SB_SB_EEDaSZ_S10_SG_SL_EUlSZ_E_NS1_11comp_targetILNS1_3genE3ELNS1_11target_archE908ELNS1_3gpuE7ELNS1_3repE0EEENS1_47radix_sort_onesweep_sort_config_static_selectorELNS0_4arch9wavefront6targetE1EEEvSG_.uses_vcc, 0
	.set _ZN7rocprim17ROCPRIM_400000_NS6detail17trampoline_kernelINS0_14default_configENS1_35radix_sort_onesweep_config_selectorIllEEZZNS1_29radix_sort_onesweep_iterationIS3_Lb0EPlS7_N6thrust23THRUST_200600_302600_NS10device_ptrIlEESB_jNS0_19identity_decomposerENS1_16block_id_wrapperIjLb1EEEEE10hipError_tT1_PNSt15iterator_traitsISG_E10value_typeET2_T3_PNSH_ISM_E10value_typeET4_T5_PSR_SS_PNS1_23onesweep_lookback_stateEbbT6_jjT7_P12ihipStream_tbENKUlT_T0_SG_SL_E_clIS7_S7_SB_SB_EEDaSZ_S10_SG_SL_EUlSZ_E_NS1_11comp_targetILNS1_3genE3ELNS1_11target_archE908ELNS1_3gpuE7ELNS1_3repE0EEENS1_47radix_sort_onesweep_sort_config_static_selectorELNS0_4arch9wavefront6targetE1EEEvSG_.uses_flat_scratch, 0
	.set _ZN7rocprim17ROCPRIM_400000_NS6detail17trampoline_kernelINS0_14default_configENS1_35radix_sort_onesweep_config_selectorIllEEZZNS1_29radix_sort_onesweep_iterationIS3_Lb0EPlS7_N6thrust23THRUST_200600_302600_NS10device_ptrIlEESB_jNS0_19identity_decomposerENS1_16block_id_wrapperIjLb1EEEEE10hipError_tT1_PNSt15iterator_traitsISG_E10value_typeET2_T3_PNSH_ISM_E10value_typeET4_T5_PSR_SS_PNS1_23onesweep_lookback_stateEbbT6_jjT7_P12ihipStream_tbENKUlT_T0_SG_SL_E_clIS7_S7_SB_SB_EEDaSZ_S10_SG_SL_EUlSZ_E_NS1_11comp_targetILNS1_3genE3ELNS1_11target_archE908ELNS1_3gpuE7ELNS1_3repE0EEENS1_47radix_sort_onesweep_sort_config_static_selectorELNS0_4arch9wavefront6targetE1EEEvSG_.has_dyn_sized_stack, 0
	.set _ZN7rocprim17ROCPRIM_400000_NS6detail17trampoline_kernelINS0_14default_configENS1_35radix_sort_onesweep_config_selectorIllEEZZNS1_29radix_sort_onesweep_iterationIS3_Lb0EPlS7_N6thrust23THRUST_200600_302600_NS10device_ptrIlEESB_jNS0_19identity_decomposerENS1_16block_id_wrapperIjLb1EEEEE10hipError_tT1_PNSt15iterator_traitsISG_E10value_typeET2_T3_PNSH_ISM_E10value_typeET4_T5_PSR_SS_PNS1_23onesweep_lookback_stateEbbT6_jjT7_P12ihipStream_tbENKUlT_T0_SG_SL_E_clIS7_S7_SB_SB_EEDaSZ_S10_SG_SL_EUlSZ_E_NS1_11comp_targetILNS1_3genE3ELNS1_11target_archE908ELNS1_3gpuE7ELNS1_3repE0EEENS1_47radix_sort_onesweep_sort_config_static_selectorELNS0_4arch9wavefront6targetE1EEEvSG_.has_recursion, 0
	.set _ZN7rocprim17ROCPRIM_400000_NS6detail17trampoline_kernelINS0_14default_configENS1_35radix_sort_onesweep_config_selectorIllEEZZNS1_29radix_sort_onesweep_iterationIS3_Lb0EPlS7_N6thrust23THRUST_200600_302600_NS10device_ptrIlEESB_jNS0_19identity_decomposerENS1_16block_id_wrapperIjLb1EEEEE10hipError_tT1_PNSt15iterator_traitsISG_E10value_typeET2_T3_PNSH_ISM_E10value_typeET4_T5_PSR_SS_PNS1_23onesweep_lookback_stateEbbT6_jjT7_P12ihipStream_tbENKUlT_T0_SG_SL_E_clIS7_S7_SB_SB_EEDaSZ_S10_SG_SL_EUlSZ_E_NS1_11comp_targetILNS1_3genE3ELNS1_11target_archE908ELNS1_3gpuE7ELNS1_3repE0EEENS1_47radix_sort_onesweep_sort_config_static_selectorELNS0_4arch9wavefront6targetE1EEEvSG_.has_indirect_call, 0
	.section	.AMDGPU.csdata,"",@progbits
; Kernel info:
; codeLenInByte = 0
; TotalNumSgprs: 4
; NumVgprs: 0
; ScratchSize: 0
; MemoryBound: 0
; FloatMode: 240
; IeeeMode: 1
; LDSByteSize: 0 bytes/workgroup (compile time only)
; SGPRBlocks: 0
; VGPRBlocks: 0
; NumSGPRsForWavesPerEU: 4
; NumVGPRsForWavesPerEU: 1
; Occupancy: 10
; WaveLimiterHint : 0
; COMPUTE_PGM_RSRC2:SCRATCH_EN: 0
; COMPUTE_PGM_RSRC2:USER_SGPR: 6
; COMPUTE_PGM_RSRC2:TRAP_HANDLER: 0
; COMPUTE_PGM_RSRC2:TGID_X_EN: 1
; COMPUTE_PGM_RSRC2:TGID_Y_EN: 0
; COMPUTE_PGM_RSRC2:TGID_Z_EN: 0
; COMPUTE_PGM_RSRC2:TIDIG_COMP_CNT: 0
	.section	.text._ZN7rocprim17ROCPRIM_400000_NS6detail17trampoline_kernelINS0_14default_configENS1_35radix_sort_onesweep_config_selectorIllEEZZNS1_29radix_sort_onesweep_iterationIS3_Lb0EPlS7_N6thrust23THRUST_200600_302600_NS10device_ptrIlEESB_jNS0_19identity_decomposerENS1_16block_id_wrapperIjLb1EEEEE10hipError_tT1_PNSt15iterator_traitsISG_E10value_typeET2_T3_PNSH_ISM_E10value_typeET4_T5_PSR_SS_PNS1_23onesweep_lookback_stateEbbT6_jjT7_P12ihipStream_tbENKUlT_T0_SG_SL_E_clIS7_S7_SB_SB_EEDaSZ_S10_SG_SL_EUlSZ_E_NS1_11comp_targetILNS1_3genE10ELNS1_11target_archE1201ELNS1_3gpuE5ELNS1_3repE0EEENS1_47radix_sort_onesweep_sort_config_static_selectorELNS0_4arch9wavefront6targetE1EEEvSG_,"axG",@progbits,_ZN7rocprim17ROCPRIM_400000_NS6detail17trampoline_kernelINS0_14default_configENS1_35radix_sort_onesweep_config_selectorIllEEZZNS1_29radix_sort_onesweep_iterationIS3_Lb0EPlS7_N6thrust23THRUST_200600_302600_NS10device_ptrIlEESB_jNS0_19identity_decomposerENS1_16block_id_wrapperIjLb1EEEEE10hipError_tT1_PNSt15iterator_traitsISG_E10value_typeET2_T3_PNSH_ISM_E10value_typeET4_T5_PSR_SS_PNS1_23onesweep_lookback_stateEbbT6_jjT7_P12ihipStream_tbENKUlT_T0_SG_SL_E_clIS7_S7_SB_SB_EEDaSZ_S10_SG_SL_EUlSZ_E_NS1_11comp_targetILNS1_3genE10ELNS1_11target_archE1201ELNS1_3gpuE5ELNS1_3repE0EEENS1_47radix_sort_onesweep_sort_config_static_selectorELNS0_4arch9wavefront6targetE1EEEvSG_,comdat
	.protected	_ZN7rocprim17ROCPRIM_400000_NS6detail17trampoline_kernelINS0_14default_configENS1_35radix_sort_onesweep_config_selectorIllEEZZNS1_29radix_sort_onesweep_iterationIS3_Lb0EPlS7_N6thrust23THRUST_200600_302600_NS10device_ptrIlEESB_jNS0_19identity_decomposerENS1_16block_id_wrapperIjLb1EEEEE10hipError_tT1_PNSt15iterator_traitsISG_E10value_typeET2_T3_PNSH_ISM_E10value_typeET4_T5_PSR_SS_PNS1_23onesweep_lookback_stateEbbT6_jjT7_P12ihipStream_tbENKUlT_T0_SG_SL_E_clIS7_S7_SB_SB_EEDaSZ_S10_SG_SL_EUlSZ_E_NS1_11comp_targetILNS1_3genE10ELNS1_11target_archE1201ELNS1_3gpuE5ELNS1_3repE0EEENS1_47radix_sort_onesweep_sort_config_static_selectorELNS0_4arch9wavefront6targetE1EEEvSG_ ; -- Begin function _ZN7rocprim17ROCPRIM_400000_NS6detail17trampoline_kernelINS0_14default_configENS1_35radix_sort_onesweep_config_selectorIllEEZZNS1_29radix_sort_onesweep_iterationIS3_Lb0EPlS7_N6thrust23THRUST_200600_302600_NS10device_ptrIlEESB_jNS0_19identity_decomposerENS1_16block_id_wrapperIjLb1EEEEE10hipError_tT1_PNSt15iterator_traitsISG_E10value_typeET2_T3_PNSH_ISM_E10value_typeET4_T5_PSR_SS_PNS1_23onesweep_lookback_stateEbbT6_jjT7_P12ihipStream_tbENKUlT_T0_SG_SL_E_clIS7_S7_SB_SB_EEDaSZ_S10_SG_SL_EUlSZ_E_NS1_11comp_targetILNS1_3genE10ELNS1_11target_archE1201ELNS1_3gpuE5ELNS1_3repE0EEENS1_47radix_sort_onesweep_sort_config_static_selectorELNS0_4arch9wavefront6targetE1EEEvSG_
	.globl	_ZN7rocprim17ROCPRIM_400000_NS6detail17trampoline_kernelINS0_14default_configENS1_35radix_sort_onesweep_config_selectorIllEEZZNS1_29radix_sort_onesweep_iterationIS3_Lb0EPlS7_N6thrust23THRUST_200600_302600_NS10device_ptrIlEESB_jNS0_19identity_decomposerENS1_16block_id_wrapperIjLb1EEEEE10hipError_tT1_PNSt15iterator_traitsISG_E10value_typeET2_T3_PNSH_ISM_E10value_typeET4_T5_PSR_SS_PNS1_23onesweep_lookback_stateEbbT6_jjT7_P12ihipStream_tbENKUlT_T0_SG_SL_E_clIS7_S7_SB_SB_EEDaSZ_S10_SG_SL_EUlSZ_E_NS1_11comp_targetILNS1_3genE10ELNS1_11target_archE1201ELNS1_3gpuE5ELNS1_3repE0EEENS1_47radix_sort_onesweep_sort_config_static_selectorELNS0_4arch9wavefront6targetE1EEEvSG_
	.p2align	8
	.type	_ZN7rocprim17ROCPRIM_400000_NS6detail17trampoline_kernelINS0_14default_configENS1_35radix_sort_onesweep_config_selectorIllEEZZNS1_29radix_sort_onesweep_iterationIS3_Lb0EPlS7_N6thrust23THRUST_200600_302600_NS10device_ptrIlEESB_jNS0_19identity_decomposerENS1_16block_id_wrapperIjLb1EEEEE10hipError_tT1_PNSt15iterator_traitsISG_E10value_typeET2_T3_PNSH_ISM_E10value_typeET4_T5_PSR_SS_PNS1_23onesweep_lookback_stateEbbT6_jjT7_P12ihipStream_tbENKUlT_T0_SG_SL_E_clIS7_S7_SB_SB_EEDaSZ_S10_SG_SL_EUlSZ_E_NS1_11comp_targetILNS1_3genE10ELNS1_11target_archE1201ELNS1_3gpuE5ELNS1_3repE0EEENS1_47radix_sort_onesweep_sort_config_static_selectorELNS0_4arch9wavefront6targetE1EEEvSG_,@function
_ZN7rocprim17ROCPRIM_400000_NS6detail17trampoline_kernelINS0_14default_configENS1_35radix_sort_onesweep_config_selectorIllEEZZNS1_29radix_sort_onesweep_iterationIS3_Lb0EPlS7_N6thrust23THRUST_200600_302600_NS10device_ptrIlEESB_jNS0_19identity_decomposerENS1_16block_id_wrapperIjLb1EEEEE10hipError_tT1_PNSt15iterator_traitsISG_E10value_typeET2_T3_PNSH_ISM_E10value_typeET4_T5_PSR_SS_PNS1_23onesweep_lookback_stateEbbT6_jjT7_P12ihipStream_tbENKUlT_T0_SG_SL_E_clIS7_S7_SB_SB_EEDaSZ_S10_SG_SL_EUlSZ_E_NS1_11comp_targetILNS1_3genE10ELNS1_11target_archE1201ELNS1_3gpuE5ELNS1_3repE0EEENS1_47radix_sort_onesweep_sort_config_static_selectorELNS0_4arch9wavefront6targetE1EEEvSG_: ; @_ZN7rocprim17ROCPRIM_400000_NS6detail17trampoline_kernelINS0_14default_configENS1_35radix_sort_onesweep_config_selectorIllEEZZNS1_29radix_sort_onesweep_iterationIS3_Lb0EPlS7_N6thrust23THRUST_200600_302600_NS10device_ptrIlEESB_jNS0_19identity_decomposerENS1_16block_id_wrapperIjLb1EEEEE10hipError_tT1_PNSt15iterator_traitsISG_E10value_typeET2_T3_PNSH_ISM_E10value_typeET4_T5_PSR_SS_PNS1_23onesweep_lookback_stateEbbT6_jjT7_P12ihipStream_tbENKUlT_T0_SG_SL_E_clIS7_S7_SB_SB_EEDaSZ_S10_SG_SL_EUlSZ_E_NS1_11comp_targetILNS1_3genE10ELNS1_11target_archE1201ELNS1_3gpuE5ELNS1_3repE0EEENS1_47radix_sort_onesweep_sort_config_static_selectorELNS0_4arch9wavefront6targetE1EEEvSG_
; %bb.0:
	.section	.rodata,"a",@progbits
	.p2align	6, 0x0
	.amdhsa_kernel _ZN7rocprim17ROCPRIM_400000_NS6detail17trampoline_kernelINS0_14default_configENS1_35radix_sort_onesweep_config_selectorIllEEZZNS1_29radix_sort_onesweep_iterationIS3_Lb0EPlS7_N6thrust23THRUST_200600_302600_NS10device_ptrIlEESB_jNS0_19identity_decomposerENS1_16block_id_wrapperIjLb1EEEEE10hipError_tT1_PNSt15iterator_traitsISG_E10value_typeET2_T3_PNSH_ISM_E10value_typeET4_T5_PSR_SS_PNS1_23onesweep_lookback_stateEbbT6_jjT7_P12ihipStream_tbENKUlT_T0_SG_SL_E_clIS7_S7_SB_SB_EEDaSZ_S10_SG_SL_EUlSZ_E_NS1_11comp_targetILNS1_3genE10ELNS1_11target_archE1201ELNS1_3gpuE5ELNS1_3repE0EEENS1_47radix_sort_onesweep_sort_config_static_selectorELNS0_4arch9wavefront6targetE1EEEvSG_
		.amdhsa_group_segment_fixed_size 0
		.amdhsa_private_segment_fixed_size 0
		.amdhsa_kernarg_size 88
		.amdhsa_user_sgpr_count 6
		.amdhsa_user_sgpr_private_segment_buffer 1
		.amdhsa_user_sgpr_dispatch_ptr 0
		.amdhsa_user_sgpr_queue_ptr 0
		.amdhsa_user_sgpr_kernarg_segment_ptr 1
		.amdhsa_user_sgpr_dispatch_id 0
		.amdhsa_user_sgpr_flat_scratch_init 0
		.amdhsa_user_sgpr_private_segment_size 0
		.amdhsa_uses_dynamic_stack 0
		.amdhsa_system_sgpr_private_segment_wavefront_offset 0
		.amdhsa_system_sgpr_workgroup_id_x 1
		.amdhsa_system_sgpr_workgroup_id_y 0
		.amdhsa_system_sgpr_workgroup_id_z 0
		.amdhsa_system_sgpr_workgroup_info 0
		.amdhsa_system_vgpr_workitem_id 0
		.amdhsa_next_free_vgpr 1
		.amdhsa_next_free_sgpr 0
		.amdhsa_reserve_vcc 0
		.amdhsa_reserve_flat_scratch 0
		.amdhsa_float_round_mode_32 0
		.amdhsa_float_round_mode_16_64 0
		.amdhsa_float_denorm_mode_32 3
		.amdhsa_float_denorm_mode_16_64 3
		.amdhsa_dx10_clamp 1
		.amdhsa_ieee_mode 1
		.amdhsa_fp16_overflow 0
		.amdhsa_exception_fp_ieee_invalid_op 0
		.amdhsa_exception_fp_denorm_src 0
		.amdhsa_exception_fp_ieee_div_zero 0
		.amdhsa_exception_fp_ieee_overflow 0
		.amdhsa_exception_fp_ieee_underflow 0
		.amdhsa_exception_fp_ieee_inexact 0
		.amdhsa_exception_int_div_zero 0
	.end_amdhsa_kernel
	.section	.text._ZN7rocprim17ROCPRIM_400000_NS6detail17trampoline_kernelINS0_14default_configENS1_35radix_sort_onesweep_config_selectorIllEEZZNS1_29radix_sort_onesweep_iterationIS3_Lb0EPlS7_N6thrust23THRUST_200600_302600_NS10device_ptrIlEESB_jNS0_19identity_decomposerENS1_16block_id_wrapperIjLb1EEEEE10hipError_tT1_PNSt15iterator_traitsISG_E10value_typeET2_T3_PNSH_ISM_E10value_typeET4_T5_PSR_SS_PNS1_23onesweep_lookback_stateEbbT6_jjT7_P12ihipStream_tbENKUlT_T0_SG_SL_E_clIS7_S7_SB_SB_EEDaSZ_S10_SG_SL_EUlSZ_E_NS1_11comp_targetILNS1_3genE10ELNS1_11target_archE1201ELNS1_3gpuE5ELNS1_3repE0EEENS1_47radix_sort_onesweep_sort_config_static_selectorELNS0_4arch9wavefront6targetE1EEEvSG_,"axG",@progbits,_ZN7rocprim17ROCPRIM_400000_NS6detail17trampoline_kernelINS0_14default_configENS1_35radix_sort_onesweep_config_selectorIllEEZZNS1_29radix_sort_onesweep_iterationIS3_Lb0EPlS7_N6thrust23THRUST_200600_302600_NS10device_ptrIlEESB_jNS0_19identity_decomposerENS1_16block_id_wrapperIjLb1EEEEE10hipError_tT1_PNSt15iterator_traitsISG_E10value_typeET2_T3_PNSH_ISM_E10value_typeET4_T5_PSR_SS_PNS1_23onesweep_lookback_stateEbbT6_jjT7_P12ihipStream_tbENKUlT_T0_SG_SL_E_clIS7_S7_SB_SB_EEDaSZ_S10_SG_SL_EUlSZ_E_NS1_11comp_targetILNS1_3genE10ELNS1_11target_archE1201ELNS1_3gpuE5ELNS1_3repE0EEENS1_47radix_sort_onesweep_sort_config_static_selectorELNS0_4arch9wavefront6targetE1EEEvSG_,comdat
.Lfunc_end1138:
	.size	_ZN7rocprim17ROCPRIM_400000_NS6detail17trampoline_kernelINS0_14default_configENS1_35radix_sort_onesweep_config_selectorIllEEZZNS1_29radix_sort_onesweep_iterationIS3_Lb0EPlS7_N6thrust23THRUST_200600_302600_NS10device_ptrIlEESB_jNS0_19identity_decomposerENS1_16block_id_wrapperIjLb1EEEEE10hipError_tT1_PNSt15iterator_traitsISG_E10value_typeET2_T3_PNSH_ISM_E10value_typeET4_T5_PSR_SS_PNS1_23onesweep_lookback_stateEbbT6_jjT7_P12ihipStream_tbENKUlT_T0_SG_SL_E_clIS7_S7_SB_SB_EEDaSZ_S10_SG_SL_EUlSZ_E_NS1_11comp_targetILNS1_3genE10ELNS1_11target_archE1201ELNS1_3gpuE5ELNS1_3repE0EEENS1_47radix_sort_onesweep_sort_config_static_selectorELNS0_4arch9wavefront6targetE1EEEvSG_, .Lfunc_end1138-_ZN7rocprim17ROCPRIM_400000_NS6detail17trampoline_kernelINS0_14default_configENS1_35radix_sort_onesweep_config_selectorIllEEZZNS1_29radix_sort_onesweep_iterationIS3_Lb0EPlS7_N6thrust23THRUST_200600_302600_NS10device_ptrIlEESB_jNS0_19identity_decomposerENS1_16block_id_wrapperIjLb1EEEEE10hipError_tT1_PNSt15iterator_traitsISG_E10value_typeET2_T3_PNSH_ISM_E10value_typeET4_T5_PSR_SS_PNS1_23onesweep_lookback_stateEbbT6_jjT7_P12ihipStream_tbENKUlT_T0_SG_SL_E_clIS7_S7_SB_SB_EEDaSZ_S10_SG_SL_EUlSZ_E_NS1_11comp_targetILNS1_3genE10ELNS1_11target_archE1201ELNS1_3gpuE5ELNS1_3repE0EEENS1_47radix_sort_onesweep_sort_config_static_selectorELNS0_4arch9wavefront6targetE1EEEvSG_
                                        ; -- End function
	.set _ZN7rocprim17ROCPRIM_400000_NS6detail17trampoline_kernelINS0_14default_configENS1_35radix_sort_onesweep_config_selectorIllEEZZNS1_29radix_sort_onesweep_iterationIS3_Lb0EPlS7_N6thrust23THRUST_200600_302600_NS10device_ptrIlEESB_jNS0_19identity_decomposerENS1_16block_id_wrapperIjLb1EEEEE10hipError_tT1_PNSt15iterator_traitsISG_E10value_typeET2_T3_PNSH_ISM_E10value_typeET4_T5_PSR_SS_PNS1_23onesweep_lookback_stateEbbT6_jjT7_P12ihipStream_tbENKUlT_T0_SG_SL_E_clIS7_S7_SB_SB_EEDaSZ_S10_SG_SL_EUlSZ_E_NS1_11comp_targetILNS1_3genE10ELNS1_11target_archE1201ELNS1_3gpuE5ELNS1_3repE0EEENS1_47radix_sort_onesweep_sort_config_static_selectorELNS0_4arch9wavefront6targetE1EEEvSG_.num_vgpr, 0
	.set _ZN7rocprim17ROCPRIM_400000_NS6detail17trampoline_kernelINS0_14default_configENS1_35radix_sort_onesweep_config_selectorIllEEZZNS1_29radix_sort_onesweep_iterationIS3_Lb0EPlS7_N6thrust23THRUST_200600_302600_NS10device_ptrIlEESB_jNS0_19identity_decomposerENS1_16block_id_wrapperIjLb1EEEEE10hipError_tT1_PNSt15iterator_traitsISG_E10value_typeET2_T3_PNSH_ISM_E10value_typeET4_T5_PSR_SS_PNS1_23onesweep_lookback_stateEbbT6_jjT7_P12ihipStream_tbENKUlT_T0_SG_SL_E_clIS7_S7_SB_SB_EEDaSZ_S10_SG_SL_EUlSZ_E_NS1_11comp_targetILNS1_3genE10ELNS1_11target_archE1201ELNS1_3gpuE5ELNS1_3repE0EEENS1_47radix_sort_onesweep_sort_config_static_selectorELNS0_4arch9wavefront6targetE1EEEvSG_.num_agpr, 0
	.set _ZN7rocprim17ROCPRIM_400000_NS6detail17trampoline_kernelINS0_14default_configENS1_35radix_sort_onesweep_config_selectorIllEEZZNS1_29radix_sort_onesweep_iterationIS3_Lb0EPlS7_N6thrust23THRUST_200600_302600_NS10device_ptrIlEESB_jNS0_19identity_decomposerENS1_16block_id_wrapperIjLb1EEEEE10hipError_tT1_PNSt15iterator_traitsISG_E10value_typeET2_T3_PNSH_ISM_E10value_typeET4_T5_PSR_SS_PNS1_23onesweep_lookback_stateEbbT6_jjT7_P12ihipStream_tbENKUlT_T0_SG_SL_E_clIS7_S7_SB_SB_EEDaSZ_S10_SG_SL_EUlSZ_E_NS1_11comp_targetILNS1_3genE10ELNS1_11target_archE1201ELNS1_3gpuE5ELNS1_3repE0EEENS1_47radix_sort_onesweep_sort_config_static_selectorELNS0_4arch9wavefront6targetE1EEEvSG_.numbered_sgpr, 0
	.set _ZN7rocprim17ROCPRIM_400000_NS6detail17trampoline_kernelINS0_14default_configENS1_35radix_sort_onesweep_config_selectorIllEEZZNS1_29radix_sort_onesweep_iterationIS3_Lb0EPlS7_N6thrust23THRUST_200600_302600_NS10device_ptrIlEESB_jNS0_19identity_decomposerENS1_16block_id_wrapperIjLb1EEEEE10hipError_tT1_PNSt15iterator_traitsISG_E10value_typeET2_T3_PNSH_ISM_E10value_typeET4_T5_PSR_SS_PNS1_23onesweep_lookback_stateEbbT6_jjT7_P12ihipStream_tbENKUlT_T0_SG_SL_E_clIS7_S7_SB_SB_EEDaSZ_S10_SG_SL_EUlSZ_E_NS1_11comp_targetILNS1_3genE10ELNS1_11target_archE1201ELNS1_3gpuE5ELNS1_3repE0EEENS1_47radix_sort_onesweep_sort_config_static_selectorELNS0_4arch9wavefront6targetE1EEEvSG_.num_named_barrier, 0
	.set _ZN7rocprim17ROCPRIM_400000_NS6detail17trampoline_kernelINS0_14default_configENS1_35radix_sort_onesweep_config_selectorIllEEZZNS1_29radix_sort_onesweep_iterationIS3_Lb0EPlS7_N6thrust23THRUST_200600_302600_NS10device_ptrIlEESB_jNS0_19identity_decomposerENS1_16block_id_wrapperIjLb1EEEEE10hipError_tT1_PNSt15iterator_traitsISG_E10value_typeET2_T3_PNSH_ISM_E10value_typeET4_T5_PSR_SS_PNS1_23onesweep_lookback_stateEbbT6_jjT7_P12ihipStream_tbENKUlT_T0_SG_SL_E_clIS7_S7_SB_SB_EEDaSZ_S10_SG_SL_EUlSZ_E_NS1_11comp_targetILNS1_3genE10ELNS1_11target_archE1201ELNS1_3gpuE5ELNS1_3repE0EEENS1_47radix_sort_onesweep_sort_config_static_selectorELNS0_4arch9wavefront6targetE1EEEvSG_.private_seg_size, 0
	.set _ZN7rocprim17ROCPRIM_400000_NS6detail17trampoline_kernelINS0_14default_configENS1_35radix_sort_onesweep_config_selectorIllEEZZNS1_29radix_sort_onesweep_iterationIS3_Lb0EPlS7_N6thrust23THRUST_200600_302600_NS10device_ptrIlEESB_jNS0_19identity_decomposerENS1_16block_id_wrapperIjLb1EEEEE10hipError_tT1_PNSt15iterator_traitsISG_E10value_typeET2_T3_PNSH_ISM_E10value_typeET4_T5_PSR_SS_PNS1_23onesweep_lookback_stateEbbT6_jjT7_P12ihipStream_tbENKUlT_T0_SG_SL_E_clIS7_S7_SB_SB_EEDaSZ_S10_SG_SL_EUlSZ_E_NS1_11comp_targetILNS1_3genE10ELNS1_11target_archE1201ELNS1_3gpuE5ELNS1_3repE0EEENS1_47radix_sort_onesweep_sort_config_static_selectorELNS0_4arch9wavefront6targetE1EEEvSG_.uses_vcc, 0
	.set _ZN7rocprim17ROCPRIM_400000_NS6detail17trampoline_kernelINS0_14default_configENS1_35radix_sort_onesweep_config_selectorIllEEZZNS1_29radix_sort_onesweep_iterationIS3_Lb0EPlS7_N6thrust23THRUST_200600_302600_NS10device_ptrIlEESB_jNS0_19identity_decomposerENS1_16block_id_wrapperIjLb1EEEEE10hipError_tT1_PNSt15iterator_traitsISG_E10value_typeET2_T3_PNSH_ISM_E10value_typeET4_T5_PSR_SS_PNS1_23onesweep_lookback_stateEbbT6_jjT7_P12ihipStream_tbENKUlT_T0_SG_SL_E_clIS7_S7_SB_SB_EEDaSZ_S10_SG_SL_EUlSZ_E_NS1_11comp_targetILNS1_3genE10ELNS1_11target_archE1201ELNS1_3gpuE5ELNS1_3repE0EEENS1_47radix_sort_onesweep_sort_config_static_selectorELNS0_4arch9wavefront6targetE1EEEvSG_.uses_flat_scratch, 0
	.set _ZN7rocprim17ROCPRIM_400000_NS6detail17trampoline_kernelINS0_14default_configENS1_35radix_sort_onesweep_config_selectorIllEEZZNS1_29radix_sort_onesweep_iterationIS3_Lb0EPlS7_N6thrust23THRUST_200600_302600_NS10device_ptrIlEESB_jNS0_19identity_decomposerENS1_16block_id_wrapperIjLb1EEEEE10hipError_tT1_PNSt15iterator_traitsISG_E10value_typeET2_T3_PNSH_ISM_E10value_typeET4_T5_PSR_SS_PNS1_23onesweep_lookback_stateEbbT6_jjT7_P12ihipStream_tbENKUlT_T0_SG_SL_E_clIS7_S7_SB_SB_EEDaSZ_S10_SG_SL_EUlSZ_E_NS1_11comp_targetILNS1_3genE10ELNS1_11target_archE1201ELNS1_3gpuE5ELNS1_3repE0EEENS1_47radix_sort_onesweep_sort_config_static_selectorELNS0_4arch9wavefront6targetE1EEEvSG_.has_dyn_sized_stack, 0
	.set _ZN7rocprim17ROCPRIM_400000_NS6detail17trampoline_kernelINS0_14default_configENS1_35radix_sort_onesweep_config_selectorIllEEZZNS1_29radix_sort_onesweep_iterationIS3_Lb0EPlS7_N6thrust23THRUST_200600_302600_NS10device_ptrIlEESB_jNS0_19identity_decomposerENS1_16block_id_wrapperIjLb1EEEEE10hipError_tT1_PNSt15iterator_traitsISG_E10value_typeET2_T3_PNSH_ISM_E10value_typeET4_T5_PSR_SS_PNS1_23onesweep_lookback_stateEbbT6_jjT7_P12ihipStream_tbENKUlT_T0_SG_SL_E_clIS7_S7_SB_SB_EEDaSZ_S10_SG_SL_EUlSZ_E_NS1_11comp_targetILNS1_3genE10ELNS1_11target_archE1201ELNS1_3gpuE5ELNS1_3repE0EEENS1_47radix_sort_onesweep_sort_config_static_selectorELNS0_4arch9wavefront6targetE1EEEvSG_.has_recursion, 0
	.set _ZN7rocprim17ROCPRIM_400000_NS6detail17trampoline_kernelINS0_14default_configENS1_35radix_sort_onesweep_config_selectorIllEEZZNS1_29radix_sort_onesweep_iterationIS3_Lb0EPlS7_N6thrust23THRUST_200600_302600_NS10device_ptrIlEESB_jNS0_19identity_decomposerENS1_16block_id_wrapperIjLb1EEEEE10hipError_tT1_PNSt15iterator_traitsISG_E10value_typeET2_T3_PNSH_ISM_E10value_typeET4_T5_PSR_SS_PNS1_23onesweep_lookback_stateEbbT6_jjT7_P12ihipStream_tbENKUlT_T0_SG_SL_E_clIS7_S7_SB_SB_EEDaSZ_S10_SG_SL_EUlSZ_E_NS1_11comp_targetILNS1_3genE10ELNS1_11target_archE1201ELNS1_3gpuE5ELNS1_3repE0EEENS1_47radix_sort_onesweep_sort_config_static_selectorELNS0_4arch9wavefront6targetE1EEEvSG_.has_indirect_call, 0
	.section	.AMDGPU.csdata,"",@progbits
; Kernel info:
; codeLenInByte = 0
; TotalNumSgprs: 4
; NumVgprs: 0
; ScratchSize: 0
; MemoryBound: 0
; FloatMode: 240
; IeeeMode: 1
; LDSByteSize: 0 bytes/workgroup (compile time only)
; SGPRBlocks: 0
; VGPRBlocks: 0
; NumSGPRsForWavesPerEU: 4
; NumVGPRsForWavesPerEU: 1
; Occupancy: 10
; WaveLimiterHint : 0
; COMPUTE_PGM_RSRC2:SCRATCH_EN: 0
; COMPUTE_PGM_RSRC2:USER_SGPR: 6
; COMPUTE_PGM_RSRC2:TRAP_HANDLER: 0
; COMPUTE_PGM_RSRC2:TGID_X_EN: 1
; COMPUTE_PGM_RSRC2:TGID_Y_EN: 0
; COMPUTE_PGM_RSRC2:TGID_Z_EN: 0
; COMPUTE_PGM_RSRC2:TIDIG_COMP_CNT: 0
	.section	.text._ZN7rocprim17ROCPRIM_400000_NS6detail17trampoline_kernelINS0_14default_configENS1_35radix_sort_onesweep_config_selectorIllEEZZNS1_29radix_sort_onesweep_iterationIS3_Lb0EPlS7_N6thrust23THRUST_200600_302600_NS10device_ptrIlEESB_jNS0_19identity_decomposerENS1_16block_id_wrapperIjLb1EEEEE10hipError_tT1_PNSt15iterator_traitsISG_E10value_typeET2_T3_PNSH_ISM_E10value_typeET4_T5_PSR_SS_PNS1_23onesweep_lookback_stateEbbT6_jjT7_P12ihipStream_tbENKUlT_T0_SG_SL_E_clIS7_S7_SB_SB_EEDaSZ_S10_SG_SL_EUlSZ_E_NS1_11comp_targetILNS1_3genE9ELNS1_11target_archE1100ELNS1_3gpuE3ELNS1_3repE0EEENS1_47radix_sort_onesweep_sort_config_static_selectorELNS0_4arch9wavefront6targetE1EEEvSG_,"axG",@progbits,_ZN7rocprim17ROCPRIM_400000_NS6detail17trampoline_kernelINS0_14default_configENS1_35radix_sort_onesweep_config_selectorIllEEZZNS1_29radix_sort_onesweep_iterationIS3_Lb0EPlS7_N6thrust23THRUST_200600_302600_NS10device_ptrIlEESB_jNS0_19identity_decomposerENS1_16block_id_wrapperIjLb1EEEEE10hipError_tT1_PNSt15iterator_traitsISG_E10value_typeET2_T3_PNSH_ISM_E10value_typeET4_T5_PSR_SS_PNS1_23onesweep_lookback_stateEbbT6_jjT7_P12ihipStream_tbENKUlT_T0_SG_SL_E_clIS7_S7_SB_SB_EEDaSZ_S10_SG_SL_EUlSZ_E_NS1_11comp_targetILNS1_3genE9ELNS1_11target_archE1100ELNS1_3gpuE3ELNS1_3repE0EEENS1_47radix_sort_onesweep_sort_config_static_selectorELNS0_4arch9wavefront6targetE1EEEvSG_,comdat
	.protected	_ZN7rocprim17ROCPRIM_400000_NS6detail17trampoline_kernelINS0_14default_configENS1_35radix_sort_onesweep_config_selectorIllEEZZNS1_29radix_sort_onesweep_iterationIS3_Lb0EPlS7_N6thrust23THRUST_200600_302600_NS10device_ptrIlEESB_jNS0_19identity_decomposerENS1_16block_id_wrapperIjLb1EEEEE10hipError_tT1_PNSt15iterator_traitsISG_E10value_typeET2_T3_PNSH_ISM_E10value_typeET4_T5_PSR_SS_PNS1_23onesweep_lookback_stateEbbT6_jjT7_P12ihipStream_tbENKUlT_T0_SG_SL_E_clIS7_S7_SB_SB_EEDaSZ_S10_SG_SL_EUlSZ_E_NS1_11comp_targetILNS1_3genE9ELNS1_11target_archE1100ELNS1_3gpuE3ELNS1_3repE0EEENS1_47radix_sort_onesweep_sort_config_static_selectorELNS0_4arch9wavefront6targetE1EEEvSG_ ; -- Begin function _ZN7rocprim17ROCPRIM_400000_NS6detail17trampoline_kernelINS0_14default_configENS1_35radix_sort_onesweep_config_selectorIllEEZZNS1_29radix_sort_onesweep_iterationIS3_Lb0EPlS7_N6thrust23THRUST_200600_302600_NS10device_ptrIlEESB_jNS0_19identity_decomposerENS1_16block_id_wrapperIjLb1EEEEE10hipError_tT1_PNSt15iterator_traitsISG_E10value_typeET2_T3_PNSH_ISM_E10value_typeET4_T5_PSR_SS_PNS1_23onesweep_lookback_stateEbbT6_jjT7_P12ihipStream_tbENKUlT_T0_SG_SL_E_clIS7_S7_SB_SB_EEDaSZ_S10_SG_SL_EUlSZ_E_NS1_11comp_targetILNS1_3genE9ELNS1_11target_archE1100ELNS1_3gpuE3ELNS1_3repE0EEENS1_47radix_sort_onesweep_sort_config_static_selectorELNS0_4arch9wavefront6targetE1EEEvSG_
	.globl	_ZN7rocprim17ROCPRIM_400000_NS6detail17trampoline_kernelINS0_14default_configENS1_35radix_sort_onesweep_config_selectorIllEEZZNS1_29radix_sort_onesweep_iterationIS3_Lb0EPlS7_N6thrust23THRUST_200600_302600_NS10device_ptrIlEESB_jNS0_19identity_decomposerENS1_16block_id_wrapperIjLb1EEEEE10hipError_tT1_PNSt15iterator_traitsISG_E10value_typeET2_T3_PNSH_ISM_E10value_typeET4_T5_PSR_SS_PNS1_23onesweep_lookback_stateEbbT6_jjT7_P12ihipStream_tbENKUlT_T0_SG_SL_E_clIS7_S7_SB_SB_EEDaSZ_S10_SG_SL_EUlSZ_E_NS1_11comp_targetILNS1_3genE9ELNS1_11target_archE1100ELNS1_3gpuE3ELNS1_3repE0EEENS1_47radix_sort_onesweep_sort_config_static_selectorELNS0_4arch9wavefront6targetE1EEEvSG_
	.p2align	8
	.type	_ZN7rocprim17ROCPRIM_400000_NS6detail17trampoline_kernelINS0_14default_configENS1_35radix_sort_onesweep_config_selectorIllEEZZNS1_29radix_sort_onesweep_iterationIS3_Lb0EPlS7_N6thrust23THRUST_200600_302600_NS10device_ptrIlEESB_jNS0_19identity_decomposerENS1_16block_id_wrapperIjLb1EEEEE10hipError_tT1_PNSt15iterator_traitsISG_E10value_typeET2_T3_PNSH_ISM_E10value_typeET4_T5_PSR_SS_PNS1_23onesweep_lookback_stateEbbT6_jjT7_P12ihipStream_tbENKUlT_T0_SG_SL_E_clIS7_S7_SB_SB_EEDaSZ_S10_SG_SL_EUlSZ_E_NS1_11comp_targetILNS1_3genE9ELNS1_11target_archE1100ELNS1_3gpuE3ELNS1_3repE0EEENS1_47radix_sort_onesweep_sort_config_static_selectorELNS0_4arch9wavefront6targetE1EEEvSG_,@function
_ZN7rocprim17ROCPRIM_400000_NS6detail17trampoline_kernelINS0_14default_configENS1_35radix_sort_onesweep_config_selectorIllEEZZNS1_29radix_sort_onesweep_iterationIS3_Lb0EPlS7_N6thrust23THRUST_200600_302600_NS10device_ptrIlEESB_jNS0_19identity_decomposerENS1_16block_id_wrapperIjLb1EEEEE10hipError_tT1_PNSt15iterator_traitsISG_E10value_typeET2_T3_PNSH_ISM_E10value_typeET4_T5_PSR_SS_PNS1_23onesweep_lookback_stateEbbT6_jjT7_P12ihipStream_tbENKUlT_T0_SG_SL_E_clIS7_S7_SB_SB_EEDaSZ_S10_SG_SL_EUlSZ_E_NS1_11comp_targetILNS1_3genE9ELNS1_11target_archE1100ELNS1_3gpuE3ELNS1_3repE0EEENS1_47radix_sort_onesweep_sort_config_static_selectorELNS0_4arch9wavefront6targetE1EEEvSG_: ; @_ZN7rocprim17ROCPRIM_400000_NS6detail17trampoline_kernelINS0_14default_configENS1_35radix_sort_onesweep_config_selectorIllEEZZNS1_29radix_sort_onesweep_iterationIS3_Lb0EPlS7_N6thrust23THRUST_200600_302600_NS10device_ptrIlEESB_jNS0_19identity_decomposerENS1_16block_id_wrapperIjLb1EEEEE10hipError_tT1_PNSt15iterator_traitsISG_E10value_typeET2_T3_PNSH_ISM_E10value_typeET4_T5_PSR_SS_PNS1_23onesweep_lookback_stateEbbT6_jjT7_P12ihipStream_tbENKUlT_T0_SG_SL_E_clIS7_S7_SB_SB_EEDaSZ_S10_SG_SL_EUlSZ_E_NS1_11comp_targetILNS1_3genE9ELNS1_11target_archE1100ELNS1_3gpuE3ELNS1_3repE0EEENS1_47radix_sort_onesweep_sort_config_static_selectorELNS0_4arch9wavefront6targetE1EEEvSG_
; %bb.0:
	.section	.rodata,"a",@progbits
	.p2align	6, 0x0
	.amdhsa_kernel _ZN7rocprim17ROCPRIM_400000_NS6detail17trampoline_kernelINS0_14default_configENS1_35radix_sort_onesweep_config_selectorIllEEZZNS1_29radix_sort_onesweep_iterationIS3_Lb0EPlS7_N6thrust23THRUST_200600_302600_NS10device_ptrIlEESB_jNS0_19identity_decomposerENS1_16block_id_wrapperIjLb1EEEEE10hipError_tT1_PNSt15iterator_traitsISG_E10value_typeET2_T3_PNSH_ISM_E10value_typeET4_T5_PSR_SS_PNS1_23onesweep_lookback_stateEbbT6_jjT7_P12ihipStream_tbENKUlT_T0_SG_SL_E_clIS7_S7_SB_SB_EEDaSZ_S10_SG_SL_EUlSZ_E_NS1_11comp_targetILNS1_3genE9ELNS1_11target_archE1100ELNS1_3gpuE3ELNS1_3repE0EEENS1_47radix_sort_onesweep_sort_config_static_selectorELNS0_4arch9wavefront6targetE1EEEvSG_
		.amdhsa_group_segment_fixed_size 0
		.amdhsa_private_segment_fixed_size 0
		.amdhsa_kernarg_size 88
		.amdhsa_user_sgpr_count 6
		.amdhsa_user_sgpr_private_segment_buffer 1
		.amdhsa_user_sgpr_dispatch_ptr 0
		.amdhsa_user_sgpr_queue_ptr 0
		.amdhsa_user_sgpr_kernarg_segment_ptr 1
		.amdhsa_user_sgpr_dispatch_id 0
		.amdhsa_user_sgpr_flat_scratch_init 0
		.amdhsa_user_sgpr_private_segment_size 0
		.amdhsa_uses_dynamic_stack 0
		.amdhsa_system_sgpr_private_segment_wavefront_offset 0
		.amdhsa_system_sgpr_workgroup_id_x 1
		.amdhsa_system_sgpr_workgroup_id_y 0
		.amdhsa_system_sgpr_workgroup_id_z 0
		.amdhsa_system_sgpr_workgroup_info 0
		.amdhsa_system_vgpr_workitem_id 0
		.amdhsa_next_free_vgpr 1
		.amdhsa_next_free_sgpr 0
		.amdhsa_reserve_vcc 0
		.amdhsa_reserve_flat_scratch 0
		.amdhsa_float_round_mode_32 0
		.amdhsa_float_round_mode_16_64 0
		.amdhsa_float_denorm_mode_32 3
		.amdhsa_float_denorm_mode_16_64 3
		.amdhsa_dx10_clamp 1
		.amdhsa_ieee_mode 1
		.amdhsa_fp16_overflow 0
		.amdhsa_exception_fp_ieee_invalid_op 0
		.amdhsa_exception_fp_denorm_src 0
		.amdhsa_exception_fp_ieee_div_zero 0
		.amdhsa_exception_fp_ieee_overflow 0
		.amdhsa_exception_fp_ieee_underflow 0
		.amdhsa_exception_fp_ieee_inexact 0
		.amdhsa_exception_int_div_zero 0
	.end_amdhsa_kernel
	.section	.text._ZN7rocprim17ROCPRIM_400000_NS6detail17trampoline_kernelINS0_14default_configENS1_35radix_sort_onesweep_config_selectorIllEEZZNS1_29radix_sort_onesweep_iterationIS3_Lb0EPlS7_N6thrust23THRUST_200600_302600_NS10device_ptrIlEESB_jNS0_19identity_decomposerENS1_16block_id_wrapperIjLb1EEEEE10hipError_tT1_PNSt15iterator_traitsISG_E10value_typeET2_T3_PNSH_ISM_E10value_typeET4_T5_PSR_SS_PNS1_23onesweep_lookback_stateEbbT6_jjT7_P12ihipStream_tbENKUlT_T0_SG_SL_E_clIS7_S7_SB_SB_EEDaSZ_S10_SG_SL_EUlSZ_E_NS1_11comp_targetILNS1_3genE9ELNS1_11target_archE1100ELNS1_3gpuE3ELNS1_3repE0EEENS1_47radix_sort_onesweep_sort_config_static_selectorELNS0_4arch9wavefront6targetE1EEEvSG_,"axG",@progbits,_ZN7rocprim17ROCPRIM_400000_NS6detail17trampoline_kernelINS0_14default_configENS1_35radix_sort_onesweep_config_selectorIllEEZZNS1_29radix_sort_onesweep_iterationIS3_Lb0EPlS7_N6thrust23THRUST_200600_302600_NS10device_ptrIlEESB_jNS0_19identity_decomposerENS1_16block_id_wrapperIjLb1EEEEE10hipError_tT1_PNSt15iterator_traitsISG_E10value_typeET2_T3_PNSH_ISM_E10value_typeET4_T5_PSR_SS_PNS1_23onesweep_lookback_stateEbbT6_jjT7_P12ihipStream_tbENKUlT_T0_SG_SL_E_clIS7_S7_SB_SB_EEDaSZ_S10_SG_SL_EUlSZ_E_NS1_11comp_targetILNS1_3genE9ELNS1_11target_archE1100ELNS1_3gpuE3ELNS1_3repE0EEENS1_47radix_sort_onesweep_sort_config_static_selectorELNS0_4arch9wavefront6targetE1EEEvSG_,comdat
.Lfunc_end1139:
	.size	_ZN7rocprim17ROCPRIM_400000_NS6detail17trampoline_kernelINS0_14default_configENS1_35radix_sort_onesweep_config_selectorIllEEZZNS1_29radix_sort_onesweep_iterationIS3_Lb0EPlS7_N6thrust23THRUST_200600_302600_NS10device_ptrIlEESB_jNS0_19identity_decomposerENS1_16block_id_wrapperIjLb1EEEEE10hipError_tT1_PNSt15iterator_traitsISG_E10value_typeET2_T3_PNSH_ISM_E10value_typeET4_T5_PSR_SS_PNS1_23onesweep_lookback_stateEbbT6_jjT7_P12ihipStream_tbENKUlT_T0_SG_SL_E_clIS7_S7_SB_SB_EEDaSZ_S10_SG_SL_EUlSZ_E_NS1_11comp_targetILNS1_3genE9ELNS1_11target_archE1100ELNS1_3gpuE3ELNS1_3repE0EEENS1_47radix_sort_onesweep_sort_config_static_selectorELNS0_4arch9wavefront6targetE1EEEvSG_, .Lfunc_end1139-_ZN7rocprim17ROCPRIM_400000_NS6detail17trampoline_kernelINS0_14default_configENS1_35radix_sort_onesweep_config_selectorIllEEZZNS1_29radix_sort_onesweep_iterationIS3_Lb0EPlS7_N6thrust23THRUST_200600_302600_NS10device_ptrIlEESB_jNS0_19identity_decomposerENS1_16block_id_wrapperIjLb1EEEEE10hipError_tT1_PNSt15iterator_traitsISG_E10value_typeET2_T3_PNSH_ISM_E10value_typeET4_T5_PSR_SS_PNS1_23onesweep_lookback_stateEbbT6_jjT7_P12ihipStream_tbENKUlT_T0_SG_SL_E_clIS7_S7_SB_SB_EEDaSZ_S10_SG_SL_EUlSZ_E_NS1_11comp_targetILNS1_3genE9ELNS1_11target_archE1100ELNS1_3gpuE3ELNS1_3repE0EEENS1_47radix_sort_onesweep_sort_config_static_selectorELNS0_4arch9wavefront6targetE1EEEvSG_
                                        ; -- End function
	.set _ZN7rocprim17ROCPRIM_400000_NS6detail17trampoline_kernelINS0_14default_configENS1_35radix_sort_onesweep_config_selectorIllEEZZNS1_29radix_sort_onesweep_iterationIS3_Lb0EPlS7_N6thrust23THRUST_200600_302600_NS10device_ptrIlEESB_jNS0_19identity_decomposerENS1_16block_id_wrapperIjLb1EEEEE10hipError_tT1_PNSt15iterator_traitsISG_E10value_typeET2_T3_PNSH_ISM_E10value_typeET4_T5_PSR_SS_PNS1_23onesweep_lookback_stateEbbT6_jjT7_P12ihipStream_tbENKUlT_T0_SG_SL_E_clIS7_S7_SB_SB_EEDaSZ_S10_SG_SL_EUlSZ_E_NS1_11comp_targetILNS1_3genE9ELNS1_11target_archE1100ELNS1_3gpuE3ELNS1_3repE0EEENS1_47radix_sort_onesweep_sort_config_static_selectorELNS0_4arch9wavefront6targetE1EEEvSG_.num_vgpr, 0
	.set _ZN7rocprim17ROCPRIM_400000_NS6detail17trampoline_kernelINS0_14default_configENS1_35radix_sort_onesweep_config_selectorIllEEZZNS1_29radix_sort_onesweep_iterationIS3_Lb0EPlS7_N6thrust23THRUST_200600_302600_NS10device_ptrIlEESB_jNS0_19identity_decomposerENS1_16block_id_wrapperIjLb1EEEEE10hipError_tT1_PNSt15iterator_traitsISG_E10value_typeET2_T3_PNSH_ISM_E10value_typeET4_T5_PSR_SS_PNS1_23onesweep_lookback_stateEbbT6_jjT7_P12ihipStream_tbENKUlT_T0_SG_SL_E_clIS7_S7_SB_SB_EEDaSZ_S10_SG_SL_EUlSZ_E_NS1_11comp_targetILNS1_3genE9ELNS1_11target_archE1100ELNS1_3gpuE3ELNS1_3repE0EEENS1_47radix_sort_onesweep_sort_config_static_selectorELNS0_4arch9wavefront6targetE1EEEvSG_.num_agpr, 0
	.set _ZN7rocprim17ROCPRIM_400000_NS6detail17trampoline_kernelINS0_14default_configENS1_35radix_sort_onesweep_config_selectorIllEEZZNS1_29radix_sort_onesweep_iterationIS3_Lb0EPlS7_N6thrust23THRUST_200600_302600_NS10device_ptrIlEESB_jNS0_19identity_decomposerENS1_16block_id_wrapperIjLb1EEEEE10hipError_tT1_PNSt15iterator_traitsISG_E10value_typeET2_T3_PNSH_ISM_E10value_typeET4_T5_PSR_SS_PNS1_23onesweep_lookback_stateEbbT6_jjT7_P12ihipStream_tbENKUlT_T0_SG_SL_E_clIS7_S7_SB_SB_EEDaSZ_S10_SG_SL_EUlSZ_E_NS1_11comp_targetILNS1_3genE9ELNS1_11target_archE1100ELNS1_3gpuE3ELNS1_3repE0EEENS1_47radix_sort_onesweep_sort_config_static_selectorELNS0_4arch9wavefront6targetE1EEEvSG_.numbered_sgpr, 0
	.set _ZN7rocprim17ROCPRIM_400000_NS6detail17trampoline_kernelINS0_14default_configENS1_35radix_sort_onesweep_config_selectorIllEEZZNS1_29radix_sort_onesweep_iterationIS3_Lb0EPlS7_N6thrust23THRUST_200600_302600_NS10device_ptrIlEESB_jNS0_19identity_decomposerENS1_16block_id_wrapperIjLb1EEEEE10hipError_tT1_PNSt15iterator_traitsISG_E10value_typeET2_T3_PNSH_ISM_E10value_typeET4_T5_PSR_SS_PNS1_23onesweep_lookback_stateEbbT6_jjT7_P12ihipStream_tbENKUlT_T0_SG_SL_E_clIS7_S7_SB_SB_EEDaSZ_S10_SG_SL_EUlSZ_E_NS1_11comp_targetILNS1_3genE9ELNS1_11target_archE1100ELNS1_3gpuE3ELNS1_3repE0EEENS1_47radix_sort_onesweep_sort_config_static_selectorELNS0_4arch9wavefront6targetE1EEEvSG_.num_named_barrier, 0
	.set _ZN7rocprim17ROCPRIM_400000_NS6detail17trampoline_kernelINS0_14default_configENS1_35radix_sort_onesweep_config_selectorIllEEZZNS1_29radix_sort_onesweep_iterationIS3_Lb0EPlS7_N6thrust23THRUST_200600_302600_NS10device_ptrIlEESB_jNS0_19identity_decomposerENS1_16block_id_wrapperIjLb1EEEEE10hipError_tT1_PNSt15iterator_traitsISG_E10value_typeET2_T3_PNSH_ISM_E10value_typeET4_T5_PSR_SS_PNS1_23onesweep_lookback_stateEbbT6_jjT7_P12ihipStream_tbENKUlT_T0_SG_SL_E_clIS7_S7_SB_SB_EEDaSZ_S10_SG_SL_EUlSZ_E_NS1_11comp_targetILNS1_3genE9ELNS1_11target_archE1100ELNS1_3gpuE3ELNS1_3repE0EEENS1_47radix_sort_onesweep_sort_config_static_selectorELNS0_4arch9wavefront6targetE1EEEvSG_.private_seg_size, 0
	.set _ZN7rocprim17ROCPRIM_400000_NS6detail17trampoline_kernelINS0_14default_configENS1_35radix_sort_onesweep_config_selectorIllEEZZNS1_29radix_sort_onesweep_iterationIS3_Lb0EPlS7_N6thrust23THRUST_200600_302600_NS10device_ptrIlEESB_jNS0_19identity_decomposerENS1_16block_id_wrapperIjLb1EEEEE10hipError_tT1_PNSt15iterator_traitsISG_E10value_typeET2_T3_PNSH_ISM_E10value_typeET4_T5_PSR_SS_PNS1_23onesweep_lookback_stateEbbT6_jjT7_P12ihipStream_tbENKUlT_T0_SG_SL_E_clIS7_S7_SB_SB_EEDaSZ_S10_SG_SL_EUlSZ_E_NS1_11comp_targetILNS1_3genE9ELNS1_11target_archE1100ELNS1_3gpuE3ELNS1_3repE0EEENS1_47radix_sort_onesweep_sort_config_static_selectorELNS0_4arch9wavefront6targetE1EEEvSG_.uses_vcc, 0
	.set _ZN7rocprim17ROCPRIM_400000_NS6detail17trampoline_kernelINS0_14default_configENS1_35radix_sort_onesweep_config_selectorIllEEZZNS1_29radix_sort_onesweep_iterationIS3_Lb0EPlS7_N6thrust23THRUST_200600_302600_NS10device_ptrIlEESB_jNS0_19identity_decomposerENS1_16block_id_wrapperIjLb1EEEEE10hipError_tT1_PNSt15iterator_traitsISG_E10value_typeET2_T3_PNSH_ISM_E10value_typeET4_T5_PSR_SS_PNS1_23onesweep_lookback_stateEbbT6_jjT7_P12ihipStream_tbENKUlT_T0_SG_SL_E_clIS7_S7_SB_SB_EEDaSZ_S10_SG_SL_EUlSZ_E_NS1_11comp_targetILNS1_3genE9ELNS1_11target_archE1100ELNS1_3gpuE3ELNS1_3repE0EEENS1_47radix_sort_onesweep_sort_config_static_selectorELNS0_4arch9wavefront6targetE1EEEvSG_.uses_flat_scratch, 0
	.set _ZN7rocprim17ROCPRIM_400000_NS6detail17trampoline_kernelINS0_14default_configENS1_35radix_sort_onesweep_config_selectorIllEEZZNS1_29radix_sort_onesweep_iterationIS3_Lb0EPlS7_N6thrust23THRUST_200600_302600_NS10device_ptrIlEESB_jNS0_19identity_decomposerENS1_16block_id_wrapperIjLb1EEEEE10hipError_tT1_PNSt15iterator_traitsISG_E10value_typeET2_T3_PNSH_ISM_E10value_typeET4_T5_PSR_SS_PNS1_23onesweep_lookback_stateEbbT6_jjT7_P12ihipStream_tbENKUlT_T0_SG_SL_E_clIS7_S7_SB_SB_EEDaSZ_S10_SG_SL_EUlSZ_E_NS1_11comp_targetILNS1_3genE9ELNS1_11target_archE1100ELNS1_3gpuE3ELNS1_3repE0EEENS1_47radix_sort_onesweep_sort_config_static_selectorELNS0_4arch9wavefront6targetE1EEEvSG_.has_dyn_sized_stack, 0
	.set _ZN7rocprim17ROCPRIM_400000_NS6detail17trampoline_kernelINS0_14default_configENS1_35radix_sort_onesweep_config_selectorIllEEZZNS1_29radix_sort_onesweep_iterationIS3_Lb0EPlS7_N6thrust23THRUST_200600_302600_NS10device_ptrIlEESB_jNS0_19identity_decomposerENS1_16block_id_wrapperIjLb1EEEEE10hipError_tT1_PNSt15iterator_traitsISG_E10value_typeET2_T3_PNSH_ISM_E10value_typeET4_T5_PSR_SS_PNS1_23onesweep_lookback_stateEbbT6_jjT7_P12ihipStream_tbENKUlT_T0_SG_SL_E_clIS7_S7_SB_SB_EEDaSZ_S10_SG_SL_EUlSZ_E_NS1_11comp_targetILNS1_3genE9ELNS1_11target_archE1100ELNS1_3gpuE3ELNS1_3repE0EEENS1_47radix_sort_onesweep_sort_config_static_selectorELNS0_4arch9wavefront6targetE1EEEvSG_.has_recursion, 0
	.set _ZN7rocprim17ROCPRIM_400000_NS6detail17trampoline_kernelINS0_14default_configENS1_35radix_sort_onesweep_config_selectorIllEEZZNS1_29radix_sort_onesweep_iterationIS3_Lb0EPlS7_N6thrust23THRUST_200600_302600_NS10device_ptrIlEESB_jNS0_19identity_decomposerENS1_16block_id_wrapperIjLb1EEEEE10hipError_tT1_PNSt15iterator_traitsISG_E10value_typeET2_T3_PNSH_ISM_E10value_typeET4_T5_PSR_SS_PNS1_23onesweep_lookback_stateEbbT6_jjT7_P12ihipStream_tbENKUlT_T0_SG_SL_E_clIS7_S7_SB_SB_EEDaSZ_S10_SG_SL_EUlSZ_E_NS1_11comp_targetILNS1_3genE9ELNS1_11target_archE1100ELNS1_3gpuE3ELNS1_3repE0EEENS1_47radix_sort_onesweep_sort_config_static_selectorELNS0_4arch9wavefront6targetE1EEEvSG_.has_indirect_call, 0
	.section	.AMDGPU.csdata,"",@progbits
; Kernel info:
; codeLenInByte = 0
; TotalNumSgprs: 4
; NumVgprs: 0
; ScratchSize: 0
; MemoryBound: 0
; FloatMode: 240
; IeeeMode: 1
; LDSByteSize: 0 bytes/workgroup (compile time only)
; SGPRBlocks: 0
; VGPRBlocks: 0
; NumSGPRsForWavesPerEU: 4
; NumVGPRsForWavesPerEU: 1
; Occupancy: 10
; WaveLimiterHint : 0
; COMPUTE_PGM_RSRC2:SCRATCH_EN: 0
; COMPUTE_PGM_RSRC2:USER_SGPR: 6
; COMPUTE_PGM_RSRC2:TRAP_HANDLER: 0
; COMPUTE_PGM_RSRC2:TGID_X_EN: 1
; COMPUTE_PGM_RSRC2:TGID_Y_EN: 0
; COMPUTE_PGM_RSRC2:TGID_Z_EN: 0
; COMPUTE_PGM_RSRC2:TIDIG_COMP_CNT: 0
	.section	.text._ZN7rocprim17ROCPRIM_400000_NS6detail17trampoline_kernelINS0_14default_configENS1_35radix_sort_onesweep_config_selectorIllEEZZNS1_29radix_sort_onesweep_iterationIS3_Lb0EPlS7_N6thrust23THRUST_200600_302600_NS10device_ptrIlEESB_jNS0_19identity_decomposerENS1_16block_id_wrapperIjLb1EEEEE10hipError_tT1_PNSt15iterator_traitsISG_E10value_typeET2_T3_PNSH_ISM_E10value_typeET4_T5_PSR_SS_PNS1_23onesweep_lookback_stateEbbT6_jjT7_P12ihipStream_tbENKUlT_T0_SG_SL_E_clIS7_S7_SB_SB_EEDaSZ_S10_SG_SL_EUlSZ_E_NS1_11comp_targetILNS1_3genE8ELNS1_11target_archE1030ELNS1_3gpuE2ELNS1_3repE0EEENS1_47radix_sort_onesweep_sort_config_static_selectorELNS0_4arch9wavefront6targetE1EEEvSG_,"axG",@progbits,_ZN7rocprim17ROCPRIM_400000_NS6detail17trampoline_kernelINS0_14default_configENS1_35radix_sort_onesweep_config_selectorIllEEZZNS1_29radix_sort_onesweep_iterationIS3_Lb0EPlS7_N6thrust23THRUST_200600_302600_NS10device_ptrIlEESB_jNS0_19identity_decomposerENS1_16block_id_wrapperIjLb1EEEEE10hipError_tT1_PNSt15iterator_traitsISG_E10value_typeET2_T3_PNSH_ISM_E10value_typeET4_T5_PSR_SS_PNS1_23onesweep_lookback_stateEbbT6_jjT7_P12ihipStream_tbENKUlT_T0_SG_SL_E_clIS7_S7_SB_SB_EEDaSZ_S10_SG_SL_EUlSZ_E_NS1_11comp_targetILNS1_3genE8ELNS1_11target_archE1030ELNS1_3gpuE2ELNS1_3repE0EEENS1_47radix_sort_onesweep_sort_config_static_selectorELNS0_4arch9wavefront6targetE1EEEvSG_,comdat
	.protected	_ZN7rocprim17ROCPRIM_400000_NS6detail17trampoline_kernelINS0_14default_configENS1_35radix_sort_onesweep_config_selectorIllEEZZNS1_29radix_sort_onesweep_iterationIS3_Lb0EPlS7_N6thrust23THRUST_200600_302600_NS10device_ptrIlEESB_jNS0_19identity_decomposerENS1_16block_id_wrapperIjLb1EEEEE10hipError_tT1_PNSt15iterator_traitsISG_E10value_typeET2_T3_PNSH_ISM_E10value_typeET4_T5_PSR_SS_PNS1_23onesweep_lookback_stateEbbT6_jjT7_P12ihipStream_tbENKUlT_T0_SG_SL_E_clIS7_S7_SB_SB_EEDaSZ_S10_SG_SL_EUlSZ_E_NS1_11comp_targetILNS1_3genE8ELNS1_11target_archE1030ELNS1_3gpuE2ELNS1_3repE0EEENS1_47radix_sort_onesweep_sort_config_static_selectorELNS0_4arch9wavefront6targetE1EEEvSG_ ; -- Begin function _ZN7rocprim17ROCPRIM_400000_NS6detail17trampoline_kernelINS0_14default_configENS1_35radix_sort_onesweep_config_selectorIllEEZZNS1_29radix_sort_onesweep_iterationIS3_Lb0EPlS7_N6thrust23THRUST_200600_302600_NS10device_ptrIlEESB_jNS0_19identity_decomposerENS1_16block_id_wrapperIjLb1EEEEE10hipError_tT1_PNSt15iterator_traitsISG_E10value_typeET2_T3_PNSH_ISM_E10value_typeET4_T5_PSR_SS_PNS1_23onesweep_lookback_stateEbbT6_jjT7_P12ihipStream_tbENKUlT_T0_SG_SL_E_clIS7_S7_SB_SB_EEDaSZ_S10_SG_SL_EUlSZ_E_NS1_11comp_targetILNS1_3genE8ELNS1_11target_archE1030ELNS1_3gpuE2ELNS1_3repE0EEENS1_47radix_sort_onesweep_sort_config_static_selectorELNS0_4arch9wavefront6targetE1EEEvSG_
	.globl	_ZN7rocprim17ROCPRIM_400000_NS6detail17trampoline_kernelINS0_14default_configENS1_35radix_sort_onesweep_config_selectorIllEEZZNS1_29radix_sort_onesweep_iterationIS3_Lb0EPlS7_N6thrust23THRUST_200600_302600_NS10device_ptrIlEESB_jNS0_19identity_decomposerENS1_16block_id_wrapperIjLb1EEEEE10hipError_tT1_PNSt15iterator_traitsISG_E10value_typeET2_T3_PNSH_ISM_E10value_typeET4_T5_PSR_SS_PNS1_23onesweep_lookback_stateEbbT6_jjT7_P12ihipStream_tbENKUlT_T0_SG_SL_E_clIS7_S7_SB_SB_EEDaSZ_S10_SG_SL_EUlSZ_E_NS1_11comp_targetILNS1_3genE8ELNS1_11target_archE1030ELNS1_3gpuE2ELNS1_3repE0EEENS1_47radix_sort_onesweep_sort_config_static_selectorELNS0_4arch9wavefront6targetE1EEEvSG_
	.p2align	8
	.type	_ZN7rocprim17ROCPRIM_400000_NS6detail17trampoline_kernelINS0_14default_configENS1_35radix_sort_onesweep_config_selectorIllEEZZNS1_29radix_sort_onesweep_iterationIS3_Lb0EPlS7_N6thrust23THRUST_200600_302600_NS10device_ptrIlEESB_jNS0_19identity_decomposerENS1_16block_id_wrapperIjLb1EEEEE10hipError_tT1_PNSt15iterator_traitsISG_E10value_typeET2_T3_PNSH_ISM_E10value_typeET4_T5_PSR_SS_PNS1_23onesweep_lookback_stateEbbT6_jjT7_P12ihipStream_tbENKUlT_T0_SG_SL_E_clIS7_S7_SB_SB_EEDaSZ_S10_SG_SL_EUlSZ_E_NS1_11comp_targetILNS1_3genE8ELNS1_11target_archE1030ELNS1_3gpuE2ELNS1_3repE0EEENS1_47radix_sort_onesweep_sort_config_static_selectorELNS0_4arch9wavefront6targetE1EEEvSG_,@function
_ZN7rocprim17ROCPRIM_400000_NS6detail17trampoline_kernelINS0_14default_configENS1_35radix_sort_onesweep_config_selectorIllEEZZNS1_29radix_sort_onesweep_iterationIS3_Lb0EPlS7_N6thrust23THRUST_200600_302600_NS10device_ptrIlEESB_jNS0_19identity_decomposerENS1_16block_id_wrapperIjLb1EEEEE10hipError_tT1_PNSt15iterator_traitsISG_E10value_typeET2_T3_PNSH_ISM_E10value_typeET4_T5_PSR_SS_PNS1_23onesweep_lookback_stateEbbT6_jjT7_P12ihipStream_tbENKUlT_T0_SG_SL_E_clIS7_S7_SB_SB_EEDaSZ_S10_SG_SL_EUlSZ_E_NS1_11comp_targetILNS1_3genE8ELNS1_11target_archE1030ELNS1_3gpuE2ELNS1_3repE0EEENS1_47radix_sort_onesweep_sort_config_static_selectorELNS0_4arch9wavefront6targetE1EEEvSG_: ; @_ZN7rocprim17ROCPRIM_400000_NS6detail17trampoline_kernelINS0_14default_configENS1_35radix_sort_onesweep_config_selectorIllEEZZNS1_29radix_sort_onesweep_iterationIS3_Lb0EPlS7_N6thrust23THRUST_200600_302600_NS10device_ptrIlEESB_jNS0_19identity_decomposerENS1_16block_id_wrapperIjLb1EEEEE10hipError_tT1_PNSt15iterator_traitsISG_E10value_typeET2_T3_PNSH_ISM_E10value_typeET4_T5_PSR_SS_PNS1_23onesweep_lookback_stateEbbT6_jjT7_P12ihipStream_tbENKUlT_T0_SG_SL_E_clIS7_S7_SB_SB_EEDaSZ_S10_SG_SL_EUlSZ_E_NS1_11comp_targetILNS1_3genE8ELNS1_11target_archE1030ELNS1_3gpuE2ELNS1_3repE0EEENS1_47radix_sort_onesweep_sort_config_static_selectorELNS0_4arch9wavefront6targetE1EEEvSG_
; %bb.0:
	.section	.rodata,"a",@progbits
	.p2align	6, 0x0
	.amdhsa_kernel _ZN7rocprim17ROCPRIM_400000_NS6detail17trampoline_kernelINS0_14default_configENS1_35radix_sort_onesweep_config_selectorIllEEZZNS1_29radix_sort_onesweep_iterationIS3_Lb0EPlS7_N6thrust23THRUST_200600_302600_NS10device_ptrIlEESB_jNS0_19identity_decomposerENS1_16block_id_wrapperIjLb1EEEEE10hipError_tT1_PNSt15iterator_traitsISG_E10value_typeET2_T3_PNSH_ISM_E10value_typeET4_T5_PSR_SS_PNS1_23onesweep_lookback_stateEbbT6_jjT7_P12ihipStream_tbENKUlT_T0_SG_SL_E_clIS7_S7_SB_SB_EEDaSZ_S10_SG_SL_EUlSZ_E_NS1_11comp_targetILNS1_3genE8ELNS1_11target_archE1030ELNS1_3gpuE2ELNS1_3repE0EEENS1_47radix_sort_onesweep_sort_config_static_selectorELNS0_4arch9wavefront6targetE1EEEvSG_
		.amdhsa_group_segment_fixed_size 0
		.amdhsa_private_segment_fixed_size 0
		.amdhsa_kernarg_size 88
		.amdhsa_user_sgpr_count 6
		.amdhsa_user_sgpr_private_segment_buffer 1
		.amdhsa_user_sgpr_dispatch_ptr 0
		.amdhsa_user_sgpr_queue_ptr 0
		.amdhsa_user_sgpr_kernarg_segment_ptr 1
		.amdhsa_user_sgpr_dispatch_id 0
		.amdhsa_user_sgpr_flat_scratch_init 0
		.amdhsa_user_sgpr_private_segment_size 0
		.amdhsa_uses_dynamic_stack 0
		.amdhsa_system_sgpr_private_segment_wavefront_offset 0
		.amdhsa_system_sgpr_workgroup_id_x 1
		.amdhsa_system_sgpr_workgroup_id_y 0
		.amdhsa_system_sgpr_workgroup_id_z 0
		.amdhsa_system_sgpr_workgroup_info 0
		.amdhsa_system_vgpr_workitem_id 0
		.amdhsa_next_free_vgpr 1
		.amdhsa_next_free_sgpr 0
		.amdhsa_reserve_vcc 0
		.amdhsa_reserve_flat_scratch 0
		.amdhsa_float_round_mode_32 0
		.amdhsa_float_round_mode_16_64 0
		.amdhsa_float_denorm_mode_32 3
		.amdhsa_float_denorm_mode_16_64 3
		.amdhsa_dx10_clamp 1
		.amdhsa_ieee_mode 1
		.amdhsa_fp16_overflow 0
		.amdhsa_exception_fp_ieee_invalid_op 0
		.amdhsa_exception_fp_denorm_src 0
		.amdhsa_exception_fp_ieee_div_zero 0
		.amdhsa_exception_fp_ieee_overflow 0
		.amdhsa_exception_fp_ieee_underflow 0
		.amdhsa_exception_fp_ieee_inexact 0
		.amdhsa_exception_int_div_zero 0
	.end_amdhsa_kernel
	.section	.text._ZN7rocprim17ROCPRIM_400000_NS6detail17trampoline_kernelINS0_14default_configENS1_35radix_sort_onesweep_config_selectorIllEEZZNS1_29radix_sort_onesweep_iterationIS3_Lb0EPlS7_N6thrust23THRUST_200600_302600_NS10device_ptrIlEESB_jNS0_19identity_decomposerENS1_16block_id_wrapperIjLb1EEEEE10hipError_tT1_PNSt15iterator_traitsISG_E10value_typeET2_T3_PNSH_ISM_E10value_typeET4_T5_PSR_SS_PNS1_23onesweep_lookback_stateEbbT6_jjT7_P12ihipStream_tbENKUlT_T0_SG_SL_E_clIS7_S7_SB_SB_EEDaSZ_S10_SG_SL_EUlSZ_E_NS1_11comp_targetILNS1_3genE8ELNS1_11target_archE1030ELNS1_3gpuE2ELNS1_3repE0EEENS1_47radix_sort_onesweep_sort_config_static_selectorELNS0_4arch9wavefront6targetE1EEEvSG_,"axG",@progbits,_ZN7rocprim17ROCPRIM_400000_NS6detail17trampoline_kernelINS0_14default_configENS1_35radix_sort_onesweep_config_selectorIllEEZZNS1_29radix_sort_onesweep_iterationIS3_Lb0EPlS7_N6thrust23THRUST_200600_302600_NS10device_ptrIlEESB_jNS0_19identity_decomposerENS1_16block_id_wrapperIjLb1EEEEE10hipError_tT1_PNSt15iterator_traitsISG_E10value_typeET2_T3_PNSH_ISM_E10value_typeET4_T5_PSR_SS_PNS1_23onesweep_lookback_stateEbbT6_jjT7_P12ihipStream_tbENKUlT_T0_SG_SL_E_clIS7_S7_SB_SB_EEDaSZ_S10_SG_SL_EUlSZ_E_NS1_11comp_targetILNS1_3genE8ELNS1_11target_archE1030ELNS1_3gpuE2ELNS1_3repE0EEENS1_47radix_sort_onesweep_sort_config_static_selectorELNS0_4arch9wavefront6targetE1EEEvSG_,comdat
.Lfunc_end1140:
	.size	_ZN7rocprim17ROCPRIM_400000_NS6detail17trampoline_kernelINS0_14default_configENS1_35radix_sort_onesweep_config_selectorIllEEZZNS1_29radix_sort_onesweep_iterationIS3_Lb0EPlS7_N6thrust23THRUST_200600_302600_NS10device_ptrIlEESB_jNS0_19identity_decomposerENS1_16block_id_wrapperIjLb1EEEEE10hipError_tT1_PNSt15iterator_traitsISG_E10value_typeET2_T3_PNSH_ISM_E10value_typeET4_T5_PSR_SS_PNS1_23onesweep_lookback_stateEbbT6_jjT7_P12ihipStream_tbENKUlT_T0_SG_SL_E_clIS7_S7_SB_SB_EEDaSZ_S10_SG_SL_EUlSZ_E_NS1_11comp_targetILNS1_3genE8ELNS1_11target_archE1030ELNS1_3gpuE2ELNS1_3repE0EEENS1_47radix_sort_onesweep_sort_config_static_selectorELNS0_4arch9wavefront6targetE1EEEvSG_, .Lfunc_end1140-_ZN7rocprim17ROCPRIM_400000_NS6detail17trampoline_kernelINS0_14default_configENS1_35radix_sort_onesweep_config_selectorIllEEZZNS1_29radix_sort_onesweep_iterationIS3_Lb0EPlS7_N6thrust23THRUST_200600_302600_NS10device_ptrIlEESB_jNS0_19identity_decomposerENS1_16block_id_wrapperIjLb1EEEEE10hipError_tT1_PNSt15iterator_traitsISG_E10value_typeET2_T3_PNSH_ISM_E10value_typeET4_T5_PSR_SS_PNS1_23onesweep_lookback_stateEbbT6_jjT7_P12ihipStream_tbENKUlT_T0_SG_SL_E_clIS7_S7_SB_SB_EEDaSZ_S10_SG_SL_EUlSZ_E_NS1_11comp_targetILNS1_3genE8ELNS1_11target_archE1030ELNS1_3gpuE2ELNS1_3repE0EEENS1_47radix_sort_onesweep_sort_config_static_selectorELNS0_4arch9wavefront6targetE1EEEvSG_
                                        ; -- End function
	.set _ZN7rocprim17ROCPRIM_400000_NS6detail17trampoline_kernelINS0_14default_configENS1_35radix_sort_onesweep_config_selectorIllEEZZNS1_29radix_sort_onesweep_iterationIS3_Lb0EPlS7_N6thrust23THRUST_200600_302600_NS10device_ptrIlEESB_jNS0_19identity_decomposerENS1_16block_id_wrapperIjLb1EEEEE10hipError_tT1_PNSt15iterator_traitsISG_E10value_typeET2_T3_PNSH_ISM_E10value_typeET4_T5_PSR_SS_PNS1_23onesweep_lookback_stateEbbT6_jjT7_P12ihipStream_tbENKUlT_T0_SG_SL_E_clIS7_S7_SB_SB_EEDaSZ_S10_SG_SL_EUlSZ_E_NS1_11comp_targetILNS1_3genE8ELNS1_11target_archE1030ELNS1_3gpuE2ELNS1_3repE0EEENS1_47radix_sort_onesweep_sort_config_static_selectorELNS0_4arch9wavefront6targetE1EEEvSG_.num_vgpr, 0
	.set _ZN7rocprim17ROCPRIM_400000_NS6detail17trampoline_kernelINS0_14default_configENS1_35radix_sort_onesweep_config_selectorIllEEZZNS1_29radix_sort_onesweep_iterationIS3_Lb0EPlS7_N6thrust23THRUST_200600_302600_NS10device_ptrIlEESB_jNS0_19identity_decomposerENS1_16block_id_wrapperIjLb1EEEEE10hipError_tT1_PNSt15iterator_traitsISG_E10value_typeET2_T3_PNSH_ISM_E10value_typeET4_T5_PSR_SS_PNS1_23onesweep_lookback_stateEbbT6_jjT7_P12ihipStream_tbENKUlT_T0_SG_SL_E_clIS7_S7_SB_SB_EEDaSZ_S10_SG_SL_EUlSZ_E_NS1_11comp_targetILNS1_3genE8ELNS1_11target_archE1030ELNS1_3gpuE2ELNS1_3repE0EEENS1_47radix_sort_onesweep_sort_config_static_selectorELNS0_4arch9wavefront6targetE1EEEvSG_.num_agpr, 0
	.set _ZN7rocprim17ROCPRIM_400000_NS6detail17trampoline_kernelINS0_14default_configENS1_35radix_sort_onesweep_config_selectorIllEEZZNS1_29radix_sort_onesweep_iterationIS3_Lb0EPlS7_N6thrust23THRUST_200600_302600_NS10device_ptrIlEESB_jNS0_19identity_decomposerENS1_16block_id_wrapperIjLb1EEEEE10hipError_tT1_PNSt15iterator_traitsISG_E10value_typeET2_T3_PNSH_ISM_E10value_typeET4_T5_PSR_SS_PNS1_23onesweep_lookback_stateEbbT6_jjT7_P12ihipStream_tbENKUlT_T0_SG_SL_E_clIS7_S7_SB_SB_EEDaSZ_S10_SG_SL_EUlSZ_E_NS1_11comp_targetILNS1_3genE8ELNS1_11target_archE1030ELNS1_3gpuE2ELNS1_3repE0EEENS1_47radix_sort_onesweep_sort_config_static_selectorELNS0_4arch9wavefront6targetE1EEEvSG_.numbered_sgpr, 0
	.set _ZN7rocprim17ROCPRIM_400000_NS6detail17trampoline_kernelINS0_14default_configENS1_35radix_sort_onesweep_config_selectorIllEEZZNS1_29radix_sort_onesweep_iterationIS3_Lb0EPlS7_N6thrust23THRUST_200600_302600_NS10device_ptrIlEESB_jNS0_19identity_decomposerENS1_16block_id_wrapperIjLb1EEEEE10hipError_tT1_PNSt15iterator_traitsISG_E10value_typeET2_T3_PNSH_ISM_E10value_typeET4_T5_PSR_SS_PNS1_23onesweep_lookback_stateEbbT6_jjT7_P12ihipStream_tbENKUlT_T0_SG_SL_E_clIS7_S7_SB_SB_EEDaSZ_S10_SG_SL_EUlSZ_E_NS1_11comp_targetILNS1_3genE8ELNS1_11target_archE1030ELNS1_3gpuE2ELNS1_3repE0EEENS1_47radix_sort_onesweep_sort_config_static_selectorELNS0_4arch9wavefront6targetE1EEEvSG_.num_named_barrier, 0
	.set _ZN7rocprim17ROCPRIM_400000_NS6detail17trampoline_kernelINS0_14default_configENS1_35radix_sort_onesweep_config_selectorIllEEZZNS1_29radix_sort_onesweep_iterationIS3_Lb0EPlS7_N6thrust23THRUST_200600_302600_NS10device_ptrIlEESB_jNS0_19identity_decomposerENS1_16block_id_wrapperIjLb1EEEEE10hipError_tT1_PNSt15iterator_traitsISG_E10value_typeET2_T3_PNSH_ISM_E10value_typeET4_T5_PSR_SS_PNS1_23onesweep_lookback_stateEbbT6_jjT7_P12ihipStream_tbENKUlT_T0_SG_SL_E_clIS7_S7_SB_SB_EEDaSZ_S10_SG_SL_EUlSZ_E_NS1_11comp_targetILNS1_3genE8ELNS1_11target_archE1030ELNS1_3gpuE2ELNS1_3repE0EEENS1_47radix_sort_onesweep_sort_config_static_selectorELNS0_4arch9wavefront6targetE1EEEvSG_.private_seg_size, 0
	.set _ZN7rocprim17ROCPRIM_400000_NS6detail17trampoline_kernelINS0_14default_configENS1_35radix_sort_onesweep_config_selectorIllEEZZNS1_29radix_sort_onesweep_iterationIS3_Lb0EPlS7_N6thrust23THRUST_200600_302600_NS10device_ptrIlEESB_jNS0_19identity_decomposerENS1_16block_id_wrapperIjLb1EEEEE10hipError_tT1_PNSt15iterator_traitsISG_E10value_typeET2_T3_PNSH_ISM_E10value_typeET4_T5_PSR_SS_PNS1_23onesweep_lookback_stateEbbT6_jjT7_P12ihipStream_tbENKUlT_T0_SG_SL_E_clIS7_S7_SB_SB_EEDaSZ_S10_SG_SL_EUlSZ_E_NS1_11comp_targetILNS1_3genE8ELNS1_11target_archE1030ELNS1_3gpuE2ELNS1_3repE0EEENS1_47radix_sort_onesweep_sort_config_static_selectorELNS0_4arch9wavefront6targetE1EEEvSG_.uses_vcc, 0
	.set _ZN7rocprim17ROCPRIM_400000_NS6detail17trampoline_kernelINS0_14default_configENS1_35radix_sort_onesweep_config_selectorIllEEZZNS1_29radix_sort_onesweep_iterationIS3_Lb0EPlS7_N6thrust23THRUST_200600_302600_NS10device_ptrIlEESB_jNS0_19identity_decomposerENS1_16block_id_wrapperIjLb1EEEEE10hipError_tT1_PNSt15iterator_traitsISG_E10value_typeET2_T3_PNSH_ISM_E10value_typeET4_T5_PSR_SS_PNS1_23onesweep_lookback_stateEbbT6_jjT7_P12ihipStream_tbENKUlT_T0_SG_SL_E_clIS7_S7_SB_SB_EEDaSZ_S10_SG_SL_EUlSZ_E_NS1_11comp_targetILNS1_3genE8ELNS1_11target_archE1030ELNS1_3gpuE2ELNS1_3repE0EEENS1_47radix_sort_onesweep_sort_config_static_selectorELNS0_4arch9wavefront6targetE1EEEvSG_.uses_flat_scratch, 0
	.set _ZN7rocprim17ROCPRIM_400000_NS6detail17trampoline_kernelINS0_14default_configENS1_35radix_sort_onesweep_config_selectorIllEEZZNS1_29radix_sort_onesweep_iterationIS3_Lb0EPlS7_N6thrust23THRUST_200600_302600_NS10device_ptrIlEESB_jNS0_19identity_decomposerENS1_16block_id_wrapperIjLb1EEEEE10hipError_tT1_PNSt15iterator_traitsISG_E10value_typeET2_T3_PNSH_ISM_E10value_typeET4_T5_PSR_SS_PNS1_23onesweep_lookback_stateEbbT6_jjT7_P12ihipStream_tbENKUlT_T0_SG_SL_E_clIS7_S7_SB_SB_EEDaSZ_S10_SG_SL_EUlSZ_E_NS1_11comp_targetILNS1_3genE8ELNS1_11target_archE1030ELNS1_3gpuE2ELNS1_3repE0EEENS1_47radix_sort_onesweep_sort_config_static_selectorELNS0_4arch9wavefront6targetE1EEEvSG_.has_dyn_sized_stack, 0
	.set _ZN7rocprim17ROCPRIM_400000_NS6detail17trampoline_kernelINS0_14default_configENS1_35radix_sort_onesweep_config_selectorIllEEZZNS1_29radix_sort_onesweep_iterationIS3_Lb0EPlS7_N6thrust23THRUST_200600_302600_NS10device_ptrIlEESB_jNS0_19identity_decomposerENS1_16block_id_wrapperIjLb1EEEEE10hipError_tT1_PNSt15iterator_traitsISG_E10value_typeET2_T3_PNSH_ISM_E10value_typeET4_T5_PSR_SS_PNS1_23onesweep_lookback_stateEbbT6_jjT7_P12ihipStream_tbENKUlT_T0_SG_SL_E_clIS7_S7_SB_SB_EEDaSZ_S10_SG_SL_EUlSZ_E_NS1_11comp_targetILNS1_3genE8ELNS1_11target_archE1030ELNS1_3gpuE2ELNS1_3repE0EEENS1_47radix_sort_onesweep_sort_config_static_selectorELNS0_4arch9wavefront6targetE1EEEvSG_.has_recursion, 0
	.set _ZN7rocprim17ROCPRIM_400000_NS6detail17trampoline_kernelINS0_14default_configENS1_35radix_sort_onesweep_config_selectorIllEEZZNS1_29radix_sort_onesweep_iterationIS3_Lb0EPlS7_N6thrust23THRUST_200600_302600_NS10device_ptrIlEESB_jNS0_19identity_decomposerENS1_16block_id_wrapperIjLb1EEEEE10hipError_tT1_PNSt15iterator_traitsISG_E10value_typeET2_T3_PNSH_ISM_E10value_typeET4_T5_PSR_SS_PNS1_23onesweep_lookback_stateEbbT6_jjT7_P12ihipStream_tbENKUlT_T0_SG_SL_E_clIS7_S7_SB_SB_EEDaSZ_S10_SG_SL_EUlSZ_E_NS1_11comp_targetILNS1_3genE8ELNS1_11target_archE1030ELNS1_3gpuE2ELNS1_3repE0EEENS1_47radix_sort_onesweep_sort_config_static_selectorELNS0_4arch9wavefront6targetE1EEEvSG_.has_indirect_call, 0
	.section	.AMDGPU.csdata,"",@progbits
; Kernel info:
; codeLenInByte = 0
; TotalNumSgprs: 4
; NumVgprs: 0
; ScratchSize: 0
; MemoryBound: 0
; FloatMode: 240
; IeeeMode: 1
; LDSByteSize: 0 bytes/workgroup (compile time only)
; SGPRBlocks: 0
; VGPRBlocks: 0
; NumSGPRsForWavesPerEU: 4
; NumVGPRsForWavesPerEU: 1
; Occupancy: 10
; WaveLimiterHint : 0
; COMPUTE_PGM_RSRC2:SCRATCH_EN: 0
; COMPUTE_PGM_RSRC2:USER_SGPR: 6
; COMPUTE_PGM_RSRC2:TRAP_HANDLER: 0
; COMPUTE_PGM_RSRC2:TGID_X_EN: 1
; COMPUTE_PGM_RSRC2:TGID_Y_EN: 0
; COMPUTE_PGM_RSRC2:TGID_Z_EN: 0
; COMPUTE_PGM_RSRC2:TIDIG_COMP_CNT: 0
	.section	.text._ZN7rocprim17ROCPRIM_400000_NS6detail17trampoline_kernelINS0_14default_configENS1_35radix_sort_onesweep_config_selectorIllEEZZNS1_29radix_sort_onesweep_iterationIS3_Lb0EPlS7_N6thrust23THRUST_200600_302600_NS10device_ptrIlEESB_jNS0_19identity_decomposerENS1_16block_id_wrapperIjLb1EEEEE10hipError_tT1_PNSt15iterator_traitsISG_E10value_typeET2_T3_PNSH_ISM_E10value_typeET4_T5_PSR_SS_PNS1_23onesweep_lookback_stateEbbT6_jjT7_P12ihipStream_tbENKUlT_T0_SG_SL_E_clIS7_S7_SB_S7_EEDaSZ_S10_SG_SL_EUlSZ_E_NS1_11comp_targetILNS1_3genE0ELNS1_11target_archE4294967295ELNS1_3gpuE0ELNS1_3repE0EEENS1_47radix_sort_onesweep_sort_config_static_selectorELNS0_4arch9wavefront6targetE1EEEvSG_,"axG",@progbits,_ZN7rocprim17ROCPRIM_400000_NS6detail17trampoline_kernelINS0_14default_configENS1_35radix_sort_onesweep_config_selectorIllEEZZNS1_29radix_sort_onesweep_iterationIS3_Lb0EPlS7_N6thrust23THRUST_200600_302600_NS10device_ptrIlEESB_jNS0_19identity_decomposerENS1_16block_id_wrapperIjLb1EEEEE10hipError_tT1_PNSt15iterator_traitsISG_E10value_typeET2_T3_PNSH_ISM_E10value_typeET4_T5_PSR_SS_PNS1_23onesweep_lookback_stateEbbT6_jjT7_P12ihipStream_tbENKUlT_T0_SG_SL_E_clIS7_S7_SB_S7_EEDaSZ_S10_SG_SL_EUlSZ_E_NS1_11comp_targetILNS1_3genE0ELNS1_11target_archE4294967295ELNS1_3gpuE0ELNS1_3repE0EEENS1_47radix_sort_onesweep_sort_config_static_selectorELNS0_4arch9wavefront6targetE1EEEvSG_,comdat
	.protected	_ZN7rocprim17ROCPRIM_400000_NS6detail17trampoline_kernelINS0_14default_configENS1_35radix_sort_onesweep_config_selectorIllEEZZNS1_29radix_sort_onesweep_iterationIS3_Lb0EPlS7_N6thrust23THRUST_200600_302600_NS10device_ptrIlEESB_jNS0_19identity_decomposerENS1_16block_id_wrapperIjLb1EEEEE10hipError_tT1_PNSt15iterator_traitsISG_E10value_typeET2_T3_PNSH_ISM_E10value_typeET4_T5_PSR_SS_PNS1_23onesweep_lookback_stateEbbT6_jjT7_P12ihipStream_tbENKUlT_T0_SG_SL_E_clIS7_S7_SB_S7_EEDaSZ_S10_SG_SL_EUlSZ_E_NS1_11comp_targetILNS1_3genE0ELNS1_11target_archE4294967295ELNS1_3gpuE0ELNS1_3repE0EEENS1_47radix_sort_onesweep_sort_config_static_selectorELNS0_4arch9wavefront6targetE1EEEvSG_ ; -- Begin function _ZN7rocprim17ROCPRIM_400000_NS6detail17trampoline_kernelINS0_14default_configENS1_35radix_sort_onesweep_config_selectorIllEEZZNS1_29radix_sort_onesweep_iterationIS3_Lb0EPlS7_N6thrust23THRUST_200600_302600_NS10device_ptrIlEESB_jNS0_19identity_decomposerENS1_16block_id_wrapperIjLb1EEEEE10hipError_tT1_PNSt15iterator_traitsISG_E10value_typeET2_T3_PNSH_ISM_E10value_typeET4_T5_PSR_SS_PNS1_23onesweep_lookback_stateEbbT6_jjT7_P12ihipStream_tbENKUlT_T0_SG_SL_E_clIS7_S7_SB_S7_EEDaSZ_S10_SG_SL_EUlSZ_E_NS1_11comp_targetILNS1_3genE0ELNS1_11target_archE4294967295ELNS1_3gpuE0ELNS1_3repE0EEENS1_47radix_sort_onesweep_sort_config_static_selectorELNS0_4arch9wavefront6targetE1EEEvSG_
	.globl	_ZN7rocprim17ROCPRIM_400000_NS6detail17trampoline_kernelINS0_14default_configENS1_35radix_sort_onesweep_config_selectorIllEEZZNS1_29radix_sort_onesweep_iterationIS3_Lb0EPlS7_N6thrust23THRUST_200600_302600_NS10device_ptrIlEESB_jNS0_19identity_decomposerENS1_16block_id_wrapperIjLb1EEEEE10hipError_tT1_PNSt15iterator_traitsISG_E10value_typeET2_T3_PNSH_ISM_E10value_typeET4_T5_PSR_SS_PNS1_23onesweep_lookback_stateEbbT6_jjT7_P12ihipStream_tbENKUlT_T0_SG_SL_E_clIS7_S7_SB_S7_EEDaSZ_S10_SG_SL_EUlSZ_E_NS1_11comp_targetILNS1_3genE0ELNS1_11target_archE4294967295ELNS1_3gpuE0ELNS1_3repE0EEENS1_47radix_sort_onesweep_sort_config_static_selectorELNS0_4arch9wavefront6targetE1EEEvSG_
	.p2align	8
	.type	_ZN7rocprim17ROCPRIM_400000_NS6detail17trampoline_kernelINS0_14default_configENS1_35radix_sort_onesweep_config_selectorIllEEZZNS1_29radix_sort_onesweep_iterationIS3_Lb0EPlS7_N6thrust23THRUST_200600_302600_NS10device_ptrIlEESB_jNS0_19identity_decomposerENS1_16block_id_wrapperIjLb1EEEEE10hipError_tT1_PNSt15iterator_traitsISG_E10value_typeET2_T3_PNSH_ISM_E10value_typeET4_T5_PSR_SS_PNS1_23onesweep_lookback_stateEbbT6_jjT7_P12ihipStream_tbENKUlT_T0_SG_SL_E_clIS7_S7_SB_S7_EEDaSZ_S10_SG_SL_EUlSZ_E_NS1_11comp_targetILNS1_3genE0ELNS1_11target_archE4294967295ELNS1_3gpuE0ELNS1_3repE0EEENS1_47radix_sort_onesweep_sort_config_static_selectorELNS0_4arch9wavefront6targetE1EEEvSG_,@function
_ZN7rocprim17ROCPRIM_400000_NS6detail17trampoline_kernelINS0_14default_configENS1_35radix_sort_onesweep_config_selectorIllEEZZNS1_29radix_sort_onesweep_iterationIS3_Lb0EPlS7_N6thrust23THRUST_200600_302600_NS10device_ptrIlEESB_jNS0_19identity_decomposerENS1_16block_id_wrapperIjLb1EEEEE10hipError_tT1_PNSt15iterator_traitsISG_E10value_typeET2_T3_PNSH_ISM_E10value_typeET4_T5_PSR_SS_PNS1_23onesweep_lookback_stateEbbT6_jjT7_P12ihipStream_tbENKUlT_T0_SG_SL_E_clIS7_S7_SB_S7_EEDaSZ_S10_SG_SL_EUlSZ_E_NS1_11comp_targetILNS1_3genE0ELNS1_11target_archE4294967295ELNS1_3gpuE0ELNS1_3repE0EEENS1_47radix_sort_onesweep_sort_config_static_selectorELNS0_4arch9wavefront6targetE1EEEvSG_: ; @_ZN7rocprim17ROCPRIM_400000_NS6detail17trampoline_kernelINS0_14default_configENS1_35radix_sort_onesweep_config_selectorIllEEZZNS1_29radix_sort_onesweep_iterationIS3_Lb0EPlS7_N6thrust23THRUST_200600_302600_NS10device_ptrIlEESB_jNS0_19identity_decomposerENS1_16block_id_wrapperIjLb1EEEEE10hipError_tT1_PNSt15iterator_traitsISG_E10value_typeET2_T3_PNSH_ISM_E10value_typeET4_T5_PSR_SS_PNS1_23onesweep_lookback_stateEbbT6_jjT7_P12ihipStream_tbENKUlT_T0_SG_SL_E_clIS7_S7_SB_S7_EEDaSZ_S10_SG_SL_EUlSZ_E_NS1_11comp_targetILNS1_3genE0ELNS1_11target_archE4294967295ELNS1_3gpuE0ELNS1_3repE0EEENS1_47radix_sort_onesweep_sort_config_static_selectorELNS0_4arch9wavefront6targetE1EEEvSG_
; %bb.0:
	.section	.rodata,"a",@progbits
	.p2align	6, 0x0
	.amdhsa_kernel _ZN7rocprim17ROCPRIM_400000_NS6detail17trampoline_kernelINS0_14default_configENS1_35radix_sort_onesweep_config_selectorIllEEZZNS1_29radix_sort_onesweep_iterationIS3_Lb0EPlS7_N6thrust23THRUST_200600_302600_NS10device_ptrIlEESB_jNS0_19identity_decomposerENS1_16block_id_wrapperIjLb1EEEEE10hipError_tT1_PNSt15iterator_traitsISG_E10value_typeET2_T3_PNSH_ISM_E10value_typeET4_T5_PSR_SS_PNS1_23onesweep_lookback_stateEbbT6_jjT7_P12ihipStream_tbENKUlT_T0_SG_SL_E_clIS7_S7_SB_S7_EEDaSZ_S10_SG_SL_EUlSZ_E_NS1_11comp_targetILNS1_3genE0ELNS1_11target_archE4294967295ELNS1_3gpuE0ELNS1_3repE0EEENS1_47radix_sort_onesweep_sort_config_static_selectorELNS0_4arch9wavefront6targetE1EEEvSG_
		.amdhsa_group_segment_fixed_size 0
		.amdhsa_private_segment_fixed_size 0
		.amdhsa_kernarg_size 88
		.amdhsa_user_sgpr_count 6
		.amdhsa_user_sgpr_private_segment_buffer 1
		.amdhsa_user_sgpr_dispatch_ptr 0
		.amdhsa_user_sgpr_queue_ptr 0
		.amdhsa_user_sgpr_kernarg_segment_ptr 1
		.amdhsa_user_sgpr_dispatch_id 0
		.amdhsa_user_sgpr_flat_scratch_init 0
		.amdhsa_user_sgpr_private_segment_size 0
		.amdhsa_uses_dynamic_stack 0
		.amdhsa_system_sgpr_private_segment_wavefront_offset 0
		.amdhsa_system_sgpr_workgroup_id_x 1
		.amdhsa_system_sgpr_workgroup_id_y 0
		.amdhsa_system_sgpr_workgroup_id_z 0
		.amdhsa_system_sgpr_workgroup_info 0
		.amdhsa_system_vgpr_workitem_id 0
		.amdhsa_next_free_vgpr 1
		.amdhsa_next_free_sgpr 0
		.amdhsa_reserve_vcc 0
		.amdhsa_reserve_flat_scratch 0
		.amdhsa_float_round_mode_32 0
		.amdhsa_float_round_mode_16_64 0
		.amdhsa_float_denorm_mode_32 3
		.amdhsa_float_denorm_mode_16_64 3
		.amdhsa_dx10_clamp 1
		.amdhsa_ieee_mode 1
		.amdhsa_fp16_overflow 0
		.amdhsa_exception_fp_ieee_invalid_op 0
		.amdhsa_exception_fp_denorm_src 0
		.amdhsa_exception_fp_ieee_div_zero 0
		.amdhsa_exception_fp_ieee_overflow 0
		.amdhsa_exception_fp_ieee_underflow 0
		.amdhsa_exception_fp_ieee_inexact 0
		.amdhsa_exception_int_div_zero 0
	.end_amdhsa_kernel
	.section	.text._ZN7rocprim17ROCPRIM_400000_NS6detail17trampoline_kernelINS0_14default_configENS1_35radix_sort_onesweep_config_selectorIllEEZZNS1_29radix_sort_onesweep_iterationIS3_Lb0EPlS7_N6thrust23THRUST_200600_302600_NS10device_ptrIlEESB_jNS0_19identity_decomposerENS1_16block_id_wrapperIjLb1EEEEE10hipError_tT1_PNSt15iterator_traitsISG_E10value_typeET2_T3_PNSH_ISM_E10value_typeET4_T5_PSR_SS_PNS1_23onesweep_lookback_stateEbbT6_jjT7_P12ihipStream_tbENKUlT_T0_SG_SL_E_clIS7_S7_SB_S7_EEDaSZ_S10_SG_SL_EUlSZ_E_NS1_11comp_targetILNS1_3genE0ELNS1_11target_archE4294967295ELNS1_3gpuE0ELNS1_3repE0EEENS1_47radix_sort_onesweep_sort_config_static_selectorELNS0_4arch9wavefront6targetE1EEEvSG_,"axG",@progbits,_ZN7rocprim17ROCPRIM_400000_NS6detail17trampoline_kernelINS0_14default_configENS1_35radix_sort_onesweep_config_selectorIllEEZZNS1_29radix_sort_onesweep_iterationIS3_Lb0EPlS7_N6thrust23THRUST_200600_302600_NS10device_ptrIlEESB_jNS0_19identity_decomposerENS1_16block_id_wrapperIjLb1EEEEE10hipError_tT1_PNSt15iterator_traitsISG_E10value_typeET2_T3_PNSH_ISM_E10value_typeET4_T5_PSR_SS_PNS1_23onesweep_lookback_stateEbbT6_jjT7_P12ihipStream_tbENKUlT_T0_SG_SL_E_clIS7_S7_SB_S7_EEDaSZ_S10_SG_SL_EUlSZ_E_NS1_11comp_targetILNS1_3genE0ELNS1_11target_archE4294967295ELNS1_3gpuE0ELNS1_3repE0EEENS1_47radix_sort_onesweep_sort_config_static_selectorELNS0_4arch9wavefront6targetE1EEEvSG_,comdat
.Lfunc_end1141:
	.size	_ZN7rocprim17ROCPRIM_400000_NS6detail17trampoline_kernelINS0_14default_configENS1_35radix_sort_onesweep_config_selectorIllEEZZNS1_29radix_sort_onesweep_iterationIS3_Lb0EPlS7_N6thrust23THRUST_200600_302600_NS10device_ptrIlEESB_jNS0_19identity_decomposerENS1_16block_id_wrapperIjLb1EEEEE10hipError_tT1_PNSt15iterator_traitsISG_E10value_typeET2_T3_PNSH_ISM_E10value_typeET4_T5_PSR_SS_PNS1_23onesweep_lookback_stateEbbT6_jjT7_P12ihipStream_tbENKUlT_T0_SG_SL_E_clIS7_S7_SB_S7_EEDaSZ_S10_SG_SL_EUlSZ_E_NS1_11comp_targetILNS1_3genE0ELNS1_11target_archE4294967295ELNS1_3gpuE0ELNS1_3repE0EEENS1_47radix_sort_onesweep_sort_config_static_selectorELNS0_4arch9wavefront6targetE1EEEvSG_, .Lfunc_end1141-_ZN7rocprim17ROCPRIM_400000_NS6detail17trampoline_kernelINS0_14default_configENS1_35radix_sort_onesweep_config_selectorIllEEZZNS1_29radix_sort_onesweep_iterationIS3_Lb0EPlS7_N6thrust23THRUST_200600_302600_NS10device_ptrIlEESB_jNS0_19identity_decomposerENS1_16block_id_wrapperIjLb1EEEEE10hipError_tT1_PNSt15iterator_traitsISG_E10value_typeET2_T3_PNSH_ISM_E10value_typeET4_T5_PSR_SS_PNS1_23onesweep_lookback_stateEbbT6_jjT7_P12ihipStream_tbENKUlT_T0_SG_SL_E_clIS7_S7_SB_S7_EEDaSZ_S10_SG_SL_EUlSZ_E_NS1_11comp_targetILNS1_3genE0ELNS1_11target_archE4294967295ELNS1_3gpuE0ELNS1_3repE0EEENS1_47radix_sort_onesweep_sort_config_static_selectorELNS0_4arch9wavefront6targetE1EEEvSG_
                                        ; -- End function
	.set _ZN7rocprim17ROCPRIM_400000_NS6detail17trampoline_kernelINS0_14default_configENS1_35radix_sort_onesweep_config_selectorIllEEZZNS1_29radix_sort_onesweep_iterationIS3_Lb0EPlS7_N6thrust23THRUST_200600_302600_NS10device_ptrIlEESB_jNS0_19identity_decomposerENS1_16block_id_wrapperIjLb1EEEEE10hipError_tT1_PNSt15iterator_traitsISG_E10value_typeET2_T3_PNSH_ISM_E10value_typeET4_T5_PSR_SS_PNS1_23onesweep_lookback_stateEbbT6_jjT7_P12ihipStream_tbENKUlT_T0_SG_SL_E_clIS7_S7_SB_S7_EEDaSZ_S10_SG_SL_EUlSZ_E_NS1_11comp_targetILNS1_3genE0ELNS1_11target_archE4294967295ELNS1_3gpuE0ELNS1_3repE0EEENS1_47radix_sort_onesweep_sort_config_static_selectorELNS0_4arch9wavefront6targetE1EEEvSG_.num_vgpr, 0
	.set _ZN7rocprim17ROCPRIM_400000_NS6detail17trampoline_kernelINS0_14default_configENS1_35radix_sort_onesweep_config_selectorIllEEZZNS1_29radix_sort_onesweep_iterationIS3_Lb0EPlS7_N6thrust23THRUST_200600_302600_NS10device_ptrIlEESB_jNS0_19identity_decomposerENS1_16block_id_wrapperIjLb1EEEEE10hipError_tT1_PNSt15iterator_traitsISG_E10value_typeET2_T3_PNSH_ISM_E10value_typeET4_T5_PSR_SS_PNS1_23onesweep_lookback_stateEbbT6_jjT7_P12ihipStream_tbENKUlT_T0_SG_SL_E_clIS7_S7_SB_S7_EEDaSZ_S10_SG_SL_EUlSZ_E_NS1_11comp_targetILNS1_3genE0ELNS1_11target_archE4294967295ELNS1_3gpuE0ELNS1_3repE0EEENS1_47radix_sort_onesweep_sort_config_static_selectorELNS0_4arch9wavefront6targetE1EEEvSG_.num_agpr, 0
	.set _ZN7rocprim17ROCPRIM_400000_NS6detail17trampoline_kernelINS0_14default_configENS1_35radix_sort_onesweep_config_selectorIllEEZZNS1_29radix_sort_onesweep_iterationIS3_Lb0EPlS7_N6thrust23THRUST_200600_302600_NS10device_ptrIlEESB_jNS0_19identity_decomposerENS1_16block_id_wrapperIjLb1EEEEE10hipError_tT1_PNSt15iterator_traitsISG_E10value_typeET2_T3_PNSH_ISM_E10value_typeET4_T5_PSR_SS_PNS1_23onesweep_lookback_stateEbbT6_jjT7_P12ihipStream_tbENKUlT_T0_SG_SL_E_clIS7_S7_SB_S7_EEDaSZ_S10_SG_SL_EUlSZ_E_NS1_11comp_targetILNS1_3genE0ELNS1_11target_archE4294967295ELNS1_3gpuE0ELNS1_3repE0EEENS1_47radix_sort_onesweep_sort_config_static_selectorELNS0_4arch9wavefront6targetE1EEEvSG_.numbered_sgpr, 0
	.set _ZN7rocprim17ROCPRIM_400000_NS6detail17trampoline_kernelINS0_14default_configENS1_35radix_sort_onesweep_config_selectorIllEEZZNS1_29radix_sort_onesweep_iterationIS3_Lb0EPlS7_N6thrust23THRUST_200600_302600_NS10device_ptrIlEESB_jNS0_19identity_decomposerENS1_16block_id_wrapperIjLb1EEEEE10hipError_tT1_PNSt15iterator_traitsISG_E10value_typeET2_T3_PNSH_ISM_E10value_typeET4_T5_PSR_SS_PNS1_23onesweep_lookback_stateEbbT6_jjT7_P12ihipStream_tbENKUlT_T0_SG_SL_E_clIS7_S7_SB_S7_EEDaSZ_S10_SG_SL_EUlSZ_E_NS1_11comp_targetILNS1_3genE0ELNS1_11target_archE4294967295ELNS1_3gpuE0ELNS1_3repE0EEENS1_47radix_sort_onesweep_sort_config_static_selectorELNS0_4arch9wavefront6targetE1EEEvSG_.num_named_barrier, 0
	.set _ZN7rocprim17ROCPRIM_400000_NS6detail17trampoline_kernelINS0_14default_configENS1_35radix_sort_onesweep_config_selectorIllEEZZNS1_29radix_sort_onesweep_iterationIS3_Lb0EPlS7_N6thrust23THRUST_200600_302600_NS10device_ptrIlEESB_jNS0_19identity_decomposerENS1_16block_id_wrapperIjLb1EEEEE10hipError_tT1_PNSt15iterator_traitsISG_E10value_typeET2_T3_PNSH_ISM_E10value_typeET4_T5_PSR_SS_PNS1_23onesweep_lookback_stateEbbT6_jjT7_P12ihipStream_tbENKUlT_T0_SG_SL_E_clIS7_S7_SB_S7_EEDaSZ_S10_SG_SL_EUlSZ_E_NS1_11comp_targetILNS1_3genE0ELNS1_11target_archE4294967295ELNS1_3gpuE0ELNS1_3repE0EEENS1_47radix_sort_onesweep_sort_config_static_selectorELNS0_4arch9wavefront6targetE1EEEvSG_.private_seg_size, 0
	.set _ZN7rocprim17ROCPRIM_400000_NS6detail17trampoline_kernelINS0_14default_configENS1_35radix_sort_onesweep_config_selectorIllEEZZNS1_29radix_sort_onesweep_iterationIS3_Lb0EPlS7_N6thrust23THRUST_200600_302600_NS10device_ptrIlEESB_jNS0_19identity_decomposerENS1_16block_id_wrapperIjLb1EEEEE10hipError_tT1_PNSt15iterator_traitsISG_E10value_typeET2_T3_PNSH_ISM_E10value_typeET4_T5_PSR_SS_PNS1_23onesweep_lookback_stateEbbT6_jjT7_P12ihipStream_tbENKUlT_T0_SG_SL_E_clIS7_S7_SB_S7_EEDaSZ_S10_SG_SL_EUlSZ_E_NS1_11comp_targetILNS1_3genE0ELNS1_11target_archE4294967295ELNS1_3gpuE0ELNS1_3repE0EEENS1_47radix_sort_onesweep_sort_config_static_selectorELNS0_4arch9wavefront6targetE1EEEvSG_.uses_vcc, 0
	.set _ZN7rocprim17ROCPRIM_400000_NS6detail17trampoline_kernelINS0_14default_configENS1_35radix_sort_onesweep_config_selectorIllEEZZNS1_29radix_sort_onesweep_iterationIS3_Lb0EPlS7_N6thrust23THRUST_200600_302600_NS10device_ptrIlEESB_jNS0_19identity_decomposerENS1_16block_id_wrapperIjLb1EEEEE10hipError_tT1_PNSt15iterator_traitsISG_E10value_typeET2_T3_PNSH_ISM_E10value_typeET4_T5_PSR_SS_PNS1_23onesweep_lookback_stateEbbT6_jjT7_P12ihipStream_tbENKUlT_T0_SG_SL_E_clIS7_S7_SB_S7_EEDaSZ_S10_SG_SL_EUlSZ_E_NS1_11comp_targetILNS1_3genE0ELNS1_11target_archE4294967295ELNS1_3gpuE0ELNS1_3repE0EEENS1_47radix_sort_onesweep_sort_config_static_selectorELNS0_4arch9wavefront6targetE1EEEvSG_.uses_flat_scratch, 0
	.set _ZN7rocprim17ROCPRIM_400000_NS6detail17trampoline_kernelINS0_14default_configENS1_35radix_sort_onesweep_config_selectorIllEEZZNS1_29radix_sort_onesweep_iterationIS3_Lb0EPlS7_N6thrust23THRUST_200600_302600_NS10device_ptrIlEESB_jNS0_19identity_decomposerENS1_16block_id_wrapperIjLb1EEEEE10hipError_tT1_PNSt15iterator_traitsISG_E10value_typeET2_T3_PNSH_ISM_E10value_typeET4_T5_PSR_SS_PNS1_23onesweep_lookback_stateEbbT6_jjT7_P12ihipStream_tbENKUlT_T0_SG_SL_E_clIS7_S7_SB_S7_EEDaSZ_S10_SG_SL_EUlSZ_E_NS1_11comp_targetILNS1_3genE0ELNS1_11target_archE4294967295ELNS1_3gpuE0ELNS1_3repE0EEENS1_47radix_sort_onesweep_sort_config_static_selectorELNS0_4arch9wavefront6targetE1EEEvSG_.has_dyn_sized_stack, 0
	.set _ZN7rocprim17ROCPRIM_400000_NS6detail17trampoline_kernelINS0_14default_configENS1_35radix_sort_onesweep_config_selectorIllEEZZNS1_29radix_sort_onesweep_iterationIS3_Lb0EPlS7_N6thrust23THRUST_200600_302600_NS10device_ptrIlEESB_jNS0_19identity_decomposerENS1_16block_id_wrapperIjLb1EEEEE10hipError_tT1_PNSt15iterator_traitsISG_E10value_typeET2_T3_PNSH_ISM_E10value_typeET4_T5_PSR_SS_PNS1_23onesweep_lookback_stateEbbT6_jjT7_P12ihipStream_tbENKUlT_T0_SG_SL_E_clIS7_S7_SB_S7_EEDaSZ_S10_SG_SL_EUlSZ_E_NS1_11comp_targetILNS1_3genE0ELNS1_11target_archE4294967295ELNS1_3gpuE0ELNS1_3repE0EEENS1_47radix_sort_onesweep_sort_config_static_selectorELNS0_4arch9wavefront6targetE1EEEvSG_.has_recursion, 0
	.set _ZN7rocprim17ROCPRIM_400000_NS6detail17trampoline_kernelINS0_14default_configENS1_35radix_sort_onesweep_config_selectorIllEEZZNS1_29radix_sort_onesweep_iterationIS3_Lb0EPlS7_N6thrust23THRUST_200600_302600_NS10device_ptrIlEESB_jNS0_19identity_decomposerENS1_16block_id_wrapperIjLb1EEEEE10hipError_tT1_PNSt15iterator_traitsISG_E10value_typeET2_T3_PNSH_ISM_E10value_typeET4_T5_PSR_SS_PNS1_23onesweep_lookback_stateEbbT6_jjT7_P12ihipStream_tbENKUlT_T0_SG_SL_E_clIS7_S7_SB_S7_EEDaSZ_S10_SG_SL_EUlSZ_E_NS1_11comp_targetILNS1_3genE0ELNS1_11target_archE4294967295ELNS1_3gpuE0ELNS1_3repE0EEENS1_47radix_sort_onesweep_sort_config_static_selectorELNS0_4arch9wavefront6targetE1EEEvSG_.has_indirect_call, 0
	.section	.AMDGPU.csdata,"",@progbits
; Kernel info:
; codeLenInByte = 0
; TotalNumSgprs: 4
; NumVgprs: 0
; ScratchSize: 0
; MemoryBound: 0
; FloatMode: 240
; IeeeMode: 1
; LDSByteSize: 0 bytes/workgroup (compile time only)
; SGPRBlocks: 0
; VGPRBlocks: 0
; NumSGPRsForWavesPerEU: 4
; NumVGPRsForWavesPerEU: 1
; Occupancy: 10
; WaveLimiterHint : 0
; COMPUTE_PGM_RSRC2:SCRATCH_EN: 0
; COMPUTE_PGM_RSRC2:USER_SGPR: 6
; COMPUTE_PGM_RSRC2:TRAP_HANDLER: 0
; COMPUTE_PGM_RSRC2:TGID_X_EN: 1
; COMPUTE_PGM_RSRC2:TGID_Y_EN: 0
; COMPUTE_PGM_RSRC2:TGID_Z_EN: 0
; COMPUTE_PGM_RSRC2:TIDIG_COMP_CNT: 0
	.section	.text._ZN7rocprim17ROCPRIM_400000_NS6detail17trampoline_kernelINS0_14default_configENS1_35radix_sort_onesweep_config_selectorIllEEZZNS1_29radix_sort_onesweep_iterationIS3_Lb0EPlS7_N6thrust23THRUST_200600_302600_NS10device_ptrIlEESB_jNS0_19identity_decomposerENS1_16block_id_wrapperIjLb1EEEEE10hipError_tT1_PNSt15iterator_traitsISG_E10value_typeET2_T3_PNSH_ISM_E10value_typeET4_T5_PSR_SS_PNS1_23onesweep_lookback_stateEbbT6_jjT7_P12ihipStream_tbENKUlT_T0_SG_SL_E_clIS7_S7_SB_S7_EEDaSZ_S10_SG_SL_EUlSZ_E_NS1_11comp_targetILNS1_3genE6ELNS1_11target_archE950ELNS1_3gpuE13ELNS1_3repE0EEENS1_47radix_sort_onesweep_sort_config_static_selectorELNS0_4arch9wavefront6targetE1EEEvSG_,"axG",@progbits,_ZN7rocprim17ROCPRIM_400000_NS6detail17trampoline_kernelINS0_14default_configENS1_35radix_sort_onesweep_config_selectorIllEEZZNS1_29radix_sort_onesweep_iterationIS3_Lb0EPlS7_N6thrust23THRUST_200600_302600_NS10device_ptrIlEESB_jNS0_19identity_decomposerENS1_16block_id_wrapperIjLb1EEEEE10hipError_tT1_PNSt15iterator_traitsISG_E10value_typeET2_T3_PNSH_ISM_E10value_typeET4_T5_PSR_SS_PNS1_23onesweep_lookback_stateEbbT6_jjT7_P12ihipStream_tbENKUlT_T0_SG_SL_E_clIS7_S7_SB_S7_EEDaSZ_S10_SG_SL_EUlSZ_E_NS1_11comp_targetILNS1_3genE6ELNS1_11target_archE950ELNS1_3gpuE13ELNS1_3repE0EEENS1_47radix_sort_onesweep_sort_config_static_selectorELNS0_4arch9wavefront6targetE1EEEvSG_,comdat
	.protected	_ZN7rocprim17ROCPRIM_400000_NS6detail17trampoline_kernelINS0_14default_configENS1_35radix_sort_onesweep_config_selectorIllEEZZNS1_29radix_sort_onesweep_iterationIS3_Lb0EPlS7_N6thrust23THRUST_200600_302600_NS10device_ptrIlEESB_jNS0_19identity_decomposerENS1_16block_id_wrapperIjLb1EEEEE10hipError_tT1_PNSt15iterator_traitsISG_E10value_typeET2_T3_PNSH_ISM_E10value_typeET4_T5_PSR_SS_PNS1_23onesweep_lookback_stateEbbT6_jjT7_P12ihipStream_tbENKUlT_T0_SG_SL_E_clIS7_S7_SB_S7_EEDaSZ_S10_SG_SL_EUlSZ_E_NS1_11comp_targetILNS1_3genE6ELNS1_11target_archE950ELNS1_3gpuE13ELNS1_3repE0EEENS1_47radix_sort_onesweep_sort_config_static_selectorELNS0_4arch9wavefront6targetE1EEEvSG_ ; -- Begin function _ZN7rocprim17ROCPRIM_400000_NS6detail17trampoline_kernelINS0_14default_configENS1_35radix_sort_onesweep_config_selectorIllEEZZNS1_29radix_sort_onesweep_iterationIS3_Lb0EPlS7_N6thrust23THRUST_200600_302600_NS10device_ptrIlEESB_jNS0_19identity_decomposerENS1_16block_id_wrapperIjLb1EEEEE10hipError_tT1_PNSt15iterator_traitsISG_E10value_typeET2_T3_PNSH_ISM_E10value_typeET4_T5_PSR_SS_PNS1_23onesweep_lookback_stateEbbT6_jjT7_P12ihipStream_tbENKUlT_T0_SG_SL_E_clIS7_S7_SB_S7_EEDaSZ_S10_SG_SL_EUlSZ_E_NS1_11comp_targetILNS1_3genE6ELNS1_11target_archE950ELNS1_3gpuE13ELNS1_3repE0EEENS1_47radix_sort_onesweep_sort_config_static_selectorELNS0_4arch9wavefront6targetE1EEEvSG_
	.globl	_ZN7rocprim17ROCPRIM_400000_NS6detail17trampoline_kernelINS0_14default_configENS1_35radix_sort_onesweep_config_selectorIllEEZZNS1_29radix_sort_onesweep_iterationIS3_Lb0EPlS7_N6thrust23THRUST_200600_302600_NS10device_ptrIlEESB_jNS0_19identity_decomposerENS1_16block_id_wrapperIjLb1EEEEE10hipError_tT1_PNSt15iterator_traitsISG_E10value_typeET2_T3_PNSH_ISM_E10value_typeET4_T5_PSR_SS_PNS1_23onesweep_lookback_stateEbbT6_jjT7_P12ihipStream_tbENKUlT_T0_SG_SL_E_clIS7_S7_SB_S7_EEDaSZ_S10_SG_SL_EUlSZ_E_NS1_11comp_targetILNS1_3genE6ELNS1_11target_archE950ELNS1_3gpuE13ELNS1_3repE0EEENS1_47radix_sort_onesweep_sort_config_static_selectorELNS0_4arch9wavefront6targetE1EEEvSG_
	.p2align	8
	.type	_ZN7rocprim17ROCPRIM_400000_NS6detail17trampoline_kernelINS0_14default_configENS1_35radix_sort_onesweep_config_selectorIllEEZZNS1_29radix_sort_onesweep_iterationIS3_Lb0EPlS7_N6thrust23THRUST_200600_302600_NS10device_ptrIlEESB_jNS0_19identity_decomposerENS1_16block_id_wrapperIjLb1EEEEE10hipError_tT1_PNSt15iterator_traitsISG_E10value_typeET2_T3_PNSH_ISM_E10value_typeET4_T5_PSR_SS_PNS1_23onesweep_lookback_stateEbbT6_jjT7_P12ihipStream_tbENKUlT_T0_SG_SL_E_clIS7_S7_SB_S7_EEDaSZ_S10_SG_SL_EUlSZ_E_NS1_11comp_targetILNS1_3genE6ELNS1_11target_archE950ELNS1_3gpuE13ELNS1_3repE0EEENS1_47radix_sort_onesweep_sort_config_static_selectorELNS0_4arch9wavefront6targetE1EEEvSG_,@function
_ZN7rocprim17ROCPRIM_400000_NS6detail17trampoline_kernelINS0_14default_configENS1_35radix_sort_onesweep_config_selectorIllEEZZNS1_29radix_sort_onesweep_iterationIS3_Lb0EPlS7_N6thrust23THRUST_200600_302600_NS10device_ptrIlEESB_jNS0_19identity_decomposerENS1_16block_id_wrapperIjLb1EEEEE10hipError_tT1_PNSt15iterator_traitsISG_E10value_typeET2_T3_PNSH_ISM_E10value_typeET4_T5_PSR_SS_PNS1_23onesweep_lookback_stateEbbT6_jjT7_P12ihipStream_tbENKUlT_T0_SG_SL_E_clIS7_S7_SB_S7_EEDaSZ_S10_SG_SL_EUlSZ_E_NS1_11comp_targetILNS1_3genE6ELNS1_11target_archE950ELNS1_3gpuE13ELNS1_3repE0EEENS1_47radix_sort_onesweep_sort_config_static_selectorELNS0_4arch9wavefront6targetE1EEEvSG_: ; @_ZN7rocprim17ROCPRIM_400000_NS6detail17trampoline_kernelINS0_14default_configENS1_35radix_sort_onesweep_config_selectorIllEEZZNS1_29radix_sort_onesweep_iterationIS3_Lb0EPlS7_N6thrust23THRUST_200600_302600_NS10device_ptrIlEESB_jNS0_19identity_decomposerENS1_16block_id_wrapperIjLb1EEEEE10hipError_tT1_PNSt15iterator_traitsISG_E10value_typeET2_T3_PNSH_ISM_E10value_typeET4_T5_PSR_SS_PNS1_23onesweep_lookback_stateEbbT6_jjT7_P12ihipStream_tbENKUlT_T0_SG_SL_E_clIS7_S7_SB_S7_EEDaSZ_S10_SG_SL_EUlSZ_E_NS1_11comp_targetILNS1_3genE6ELNS1_11target_archE950ELNS1_3gpuE13ELNS1_3repE0EEENS1_47radix_sort_onesweep_sort_config_static_selectorELNS0_4arch9wavefront6targetE1EEEvSG_
; %bb.0:
	.section	.rodata,"a",@progbits
	.p2align	6, 0x0
	.amdhsa_kernel _ZN7rocprim17ROCPRIM_400000_NS6detail17trampoline_kernelINS0_14default_configENS1_35radix_sort_onesweep_config_selectorIllEEZZNS1_29radix_sort_onesweep_iterationIS3_Lb0EPlS7_N6thrust23THRUST_200600_302600_NS10device_ptrIlEESB_jNS0_19identity_decomposerENS1_16block_id_wrapperIjLb1EEEEE10hipError_tT1_PNSt15iterator_traitsISG_E10value_typeET2_T3_PNSH_ISM_E10value_typeET4_T5_PSR_SS_PNS1_23onesweep_lookback_stateEbbT6_jjT7_P12ihipStream_tbENKUlT_T0_SG_SL_E_clIS7_S7_SB_S7_EEDaSZ_S10_SG_SL_EUlSZ_E_NS1_11comp_targetILNS1_3genE6ELNS1_11target_archE950ELNS1_3gpuE13ELNS1_3repE0EEENS1_47radix_sort_onesweep_sort_config_static_selectorELNS0_4arch9wavefront6targetE1EEEvSG_
		.amdhsa_group_segment_fixed_size 0
		.amdhsa_private_segment_fixed_size 0
		.amdhsa_kernarg_size 88
		.amdhsa_user_sgpr_count 6
		.amdhsa_user_sgpr_private_segment_buffer 1
		.amdhsa_user_sgpr_dispatch_ptr 0
		.amdhsa_user_sgpr_queue_ptr 0
		.amdhsa_user_sgpr_kernarg_segment_ptr 1
		.amdhsa_user_sgpr_dispatch_id 0
		.amdhsa_user_sgpr_flat_scratch_init 0
		.amdhsa_user_sgpr_private_segment_size 0
		.amdhsa_uses_dynamic_stack 0
		.amdhsa_system_sgpr_private_segment_wavefront_offset 0
		.amdhsa_system_sgpr_workgroup_id_x 1
		.amdhsa_system_sgpr_workgroup_id_y 0
		.amdhsa_system_sgpr_workgroup_id_z 0
		.amdhsa_system_sgpr_workgroup_info 0
		.amdhsa_system_vgpr_workitem_id 0
		.amdhsa_next_free_vgpr 1
		.amdhsa_next_free_sgpr 0
		.amdhsa_reserve_vcc 0
		.amdhsa_reserve_flat_scratch 0
		.amdhsa_float_round_mode_32 0
		.amdhsa_float_round_mode_16_64 0
		.amdhsa_float_denorm_mode_32 3
		.amdhsa_float_denorm_mode_16_64 3
		.amdhsa_dx10_clamp 1
		.amdhsa_ieee_mode 1
		.amdhsa_fp16_overflow 0
		.amdhsa_exception_fp_ieee_invalid_op 0
		.amdhsa_exception_fp_denorm_src 0
		.amdhsa_exception_fp_ieee_div_zero 0
		.amdhsa_exception_fp_ieee_overflow 0
		.amdhsa_exception_fp_ieee_underflow 0
		.amdhsa_exception_fp_ieee_inexact 0
		.amdhsa_exception_int_div_zero 0
	.end_amdhsa_kernel
	.section	.text._ZN7rocprim17ROCPRIM_400000_NS6detail17trampoline_kernelINS0_14default_configENS1_35radix_sort_onesweep_config_selectorIllEEZZNS1_29radix_sort_onesweep_iterationIS3_Lb0EPlS7_N6thrust23THRUST_200600_302600_NS10device_ptrIlEESB_jNS0_19identity_decomposerENS1_16block_id_wrapperIjLb1EEEEE10hipError_tT1_PNSt15iterator_traitsISG_E10value_typeET2_T3_PNSH_ISM_E10value_typeET4_T5_PSR_SS_PNS1_23onesweep_lookback_stateEbbT6_jjT7_P12ihipStream_tbENKUlT_T0_SG_SL_E_clIS7_S7_SB_S7_EEDaSZ_S10_SG_SL_EUlSZ_E_NS1_11comp_targetILNS1_3genE6ELNS1_11target_archE950ELNS1_3gpuE13ELNS1_3repE0EEENS1_47radix_sort_onesweep_sort_config_static_selectorELNS0_4arch9wavefront6targetE1EEEvSG_,"axG",@progbits,_ZN7rocprim17ROCPRIM_400000_NS6detail17trampoline_kernelINS0_14default_configENS1_35radix_sort_onesweep_config_selectorIllEEZZNS1_29radix_sort_onesweep_iterationIS3_Lb0EPlS7_N6thrust23THRUST_200600_302600_NS10device_ptrIlEESB_jNS0_19identity_decomposerENS1_16block_id_wrapperIjLb1EEEEE10hipError_tT1_PNSt15iterator_traitsISG_E10value_typeET2_T3_PNSH_ISM_E10value_typeET4_T5_PSR_SS_PNS1_23onesweep_lookback_stateEbbT6_jjT7_P12ihipStream_tbENKUlT_T0_SG_SL_E_clIS7_S7_SB_S7_EEDaSZ_S10_SG_SL_EUlSZ_E_NS1_11comp_targetILNS1_3genE6ELNS1_11target_archE950ELNS1_3gpuE13ELNS1_3repE0EEENS1_47radix_sort_onesweep_sort_config_static_selectorELNS0_4arch9wavefront6targetE1EEEvSG_,comdat
.Lfunc_end1142:
	.size	_ZN7rocprim17ROCPRIM_400000_NS6detail17trampoline_kernelINS0_14default_configENS1_35radix_sort_onesweep_config_selectorIllEEZZNS1_29radix_sort_onesweep_iterationIS3_Lb0EPlS7_N6thrust23THRUST_200600_302600_NS10device_ptrIlEESB_jNS0_19identity_decomposerENS1_16block_id_wrapperIjLb1EEEEE10hipError_tT1_PNSt15iterator_traitsISG_E10value_typeET2_T3_PNSH_ISM_E10value_typeET4_T5_PSR_SS_PNS1_23onesweep_lookback_stateEbbT6_jjT7_P12ihipStream_tbENKUlT_T0_SG_SL_E_clIS7_S7_SB_S7_EEDaSZ_S10_SG_SL_EUlSZ_E_NS1_11comp_targetILNS1_3genE6ELNS1_11target_archE950ELNS1_3gpuE13ELNS1_3repE0EEENS1_47radix_sort_onesweep_sort_config_static_selectorELNS0_4arch9wavefront6targetE1EEEvSG_, .Lfunc_end1142-_ZN7rocprim17ROCPRIM_400000_NS6detail17trampoline_kernelINS0_14default_configENS1_35radix_sort_onesweep_config_selectorIllEEZZNS1_29radix_sort_onesweep_iterationIS3_Lb0EPlS7_N6thrust23THRUST_200600_302600_NS10device_ptrIlEESB_jNS0_19identity_decomposerENS1_16block_id_wrapperIjLb1EEEEE10hipError_tT1_PNSt15iterator_traitsISG_E10value_typeET2_T3_PNSH_ISM_E10value_typeET4_T5_PSR_SS_PNS1_23onesweep_lookback_stateEbbT6_jjT7_P12ihipStream_tbENKUlT_T0_SG_SL_E_clIS7_S7_SB_S7_EEDaSZ_S10_SG_SL_EUlSZ_E_NS1_11comp_targetILNS1_3genE6ELNS1_11target_archE950ELNS1_3gpuE13ELNS1_3repE0EEENS1_47radix_sort_onesweep_sort_config_static_selectorELNS0_4arch9wavefront6targetE1EEEvSG_
                                        ; -- End function
	.set _ZN7rocprim17ROCPRIM_400000_NS6detail17trampoline_kernelINS0_14default_configENS1_35radix_sort_onesweep_config_selectorIllEEZZNS1_29radix_sort_onesweep_iterationIS3_Lb0EPlS7_N6thrust23THRUST_200600_302600_NS10device_ptrIlEESB_jNS0_19identity_decomposerENS1_16block_id_wrapperIjLb1EEEEE10hipError_tT1_PNSt15iterator_traitsISG_E10value_typeET2_T3_PNSH_ISM_E10value_typeET4_T5_PSR_SS_PNS1_23onesweep_lookback_stateEbbT6_jjT7_P12ihipStream_tbENKUlT_T0_SG_SL_E_clIS7_S7_SB_S7_EEDaSZ_S10_SG_SL_EUlSZ_E_NS1_11comp_targetILNS1_3genE6ELNS1_11target_archE950ELNS1_3gpuE13ELNS1_3repE0EEENS1_47radix_sort_onesweep_sort_config_static_selectorELNS0_4arch9wavefront6targetE1EEEvSG_.num_vgpr, 0
	.set _ZN7rocprim17ROCPRIM_400000_NS6detail17trampoline_kernelINS0_14default_configENS1_35radix_sort_onesweep_config_selectorIllEEZZNS1_29radix_sort_onesweep_iterationIS3_Lb0EPlS7_N6thrust23THRUST_200600_302600_NS10device_ptrIlEESB_jNS0_19identity_decomposerENS1_16block_id_wrapperIjLb1EEEEE10hipError_tT1_PNSt15iterator_traitsISG_E10value_typeET2_T3_PNSH_ISM_E10value_typeET4_T5_PSR_SS_PNS1_23onesweep_lookback_stateEbbT6_jjT7_P12ihipStream_tbENKUlT_T0_SG_SL_E_clIS7_S7_SB_S7_EEDaSZ_S10_SG_SL_EUlSZ_E_NS1_11comp_targetILNS1_3genE6ELNS1_11target_archE950ELNS1_3gpuE13ELNS1_3repE0EEENS1_47radix_sort_onesweep_sort_config_static_selectorELNS0_4arch9wavefront6targetE1EEEvSG_.num_agpr, 0
	.set _ZN7rocprim17ROCPRIM_400000_NS6detail17trampoline_kernelINS0_14default_configENS1_35radix_sort_onesweep_config_selectorIllEEZZNS1_29radix_sort_onesweep_iterationIS3_Lb0EPlS7_N6thrust23THRUST_200600_302600_NS10device_ptrIlEESB_jNS0_19identity_decomposerENS1_16block_id_wrapperIjLb1EEEEE10hipError_tT1_PNSt15iterator_traitsISG_E10value_typeET2_T3_PNSH_ISM_E10value_typeET4_T5_PSR_SS_PNS1_23onesweep_lookback_stateEbbT6_jjT7_P12ihipStream_tbENKUlT_T0_SG_SL_E_clIS7_S7_SB_S7_EEDaSZ_S10_SG_SL_EUlSZ_E_NS1_11comp_targetILNS1_3genE6ELNS1_11target_archE950ELNS1_3gpuE13ELNS1_3repE0EEENS1_47radix_sort_onesweep_sort_config_static_selectorELNS0_4arch9wavefront6targetE1EEEvSG_.numbered_sgpr, 0
	.set _ZN7rocprim17ROCPRIM_400000_NS6detail17trampoline_kernelINS0_14default_configENS1_35radix_sort_onesweep_config_selectorIllEEZZNS1_29radix_sort_onesweep_iterationIS3_Lb0EPlS7_N6thrust23THRUST_200600_302600_NS10device_ptrIlEESB_jNS0_19identity_decomposerENS1_16block_id_wrapperIjLb1EEEEE10hipError_tT1_PNSt15iterator_traitsISG_E10value_typeET2_T3_PNSH_ISM_E10value_typeET4_T5_PSR_SS_PNS1_23onesweep_lookback_stateEbbT6_jjT7_P12ihipStream_tbENKUlT_T0_SG_SL_E_clIS7_S7_SB_S7_EEDaSZ_S10_SG_SL_EUlSZ_E_NS1_11comp_targetILNS1_3genE6ELNS1_11target_archE950ELNS1_3gpuE13ELNS1_3repE0EEENS1_47radix_sort_onesweep_sort_config_static_selectorELNS0_4arch9wavefront6targetE1EEEvSG_.num_named_barrier, 0
	.set _ZN7rocprim17ROCPRIM_400000_NS6detail17trampoline_kernelINS0_14default_configENS1_35radix_sort_onesweep_config_selectorIllEEZZNS1_29radix_sort_onesweep_iterationIS3_Lb0EPlS7_N6thrust23THRUST_200600_302600_NS10device_ptrIlEESB_jNS0_19identity_decomposerENS1_16block_id_wrapperIjLb1EEEEE10hipError_tT1_PNSt15iterator_traitsISG_E10value_typeET2_T3_PNSH_ISM_E10value_typeET4_T5_PSR_SS_PNS1_23onesweep_lookback_stateEbbT6_jjT7_P12ihipStream_tbENKUlT_T0_SG_SL_E_clIS7_S7_SB_S7_EEDaSZ_S10_SG_SL_EUlSZ_E_NS1_11comp_targetILNS1_3genE6ELNS1_11target_archE950ELNS1_3gpuE13ELNS1_3repE0EEENS1_47radix_sort_onesweep_sort_config_static_selectorELNS0_4arch9wavefront6targetE1EEEvSG_.private_seg_size, 0
	.set _ZN7rocprim17ROCPRIM_400000_NS6detail17trampoline_kernelINS0_14default_configENS1_35radix_sort_onesweep_config_selectorIllEEZZNS1_29radix_sort_onesweep_iterationIS3_Lb0EPlS7_N6thrust23THRUST_200600_302600_NS10device_ptrIlEESB_jNS0_19identity_decomposerENS1_16block_id_wrapperIjLb1EEEEE10hipError_tT1_PNSt15iterator_traitsISG_E10value_typeET2_T3_PNSH_ISM_E10value_typeET4_T5_PSR_SS_PNS1_23onesweep_lookback_stateEbbT6_jjT7_P12ihipStream_tbENKUlT_T0_SG_SL_E_clIS7_S7_SB_S7_EEDaSZ_S10_SG_SL_EUlSZ_E_NS1_11comp_targetILNS1_3genE6ELNS1_11target_archE950ELNS1_3gpuE13ELNS1_3repE0EEENS1_47radix_sort_onesweep_sort_config_static_selectorELNS0_4arch9wavefront6targetE1EEEvSG_.uses_vcc, 0
	.set _ZN7rocprim17ROCPRIM_400000_NS6detail17trampoline_kernelINS0_14default_configENS1_35radix_sort_onesweep_config_selectorIllEEZZNS1_29radix_sort_onesweep_iterationIS3_Lb0EPlS7_N6thrust23THRUST_200600_302600_NS10device_ptrIlEESB_jNS0_19identity_decomposerENS1_16block_id_wrapperIjLb1EEEEE10hipError_tT1_PNSt15iterator_traitsISG_E10value_typeET2_T3_PNSH_ISM_E10value_typeET4_T5_PSR_SS_PNS1_23onesweep_lookback_stateEbbT6_jjT7_P12ihipStream_tbENKUlT_T0_SG_SL_E_clIS7_S7_SB_S7_EEDaSZ_S10_SG_SL_EUlSZ_E_NS1_11comp_targetILNS1_3genE6ELNS1_11target_archE950ELNS1_3gpuE13ELNS1_3repE0EEENS1_47radix_sort_onesweep_sort_config_static_selectorELNS0_4arch9wavefront6targetE1EEEvSG_.uses_flat_scratch, 0
	.set _ZN7rocprim17ROCPRIM_400000_NS6detail17trampoline_kernelINS0_14default_configENS1_35radix_sort_onesweep_config_selectorIllEEZZNS1_29radix_sort_onesweep_iterationIS3_Lb0EPlS7_N6thrust23THRUST_200600_302600_NS10device_ptrIlEESB_jNS0_19identity_decomposerENS1_16block_id_wrapperIjLb1EEEEE10hipError_tT1_PNSt15iterator_traitsISG_E10value_typeET2_T3_PNSH_ISM_E10value_typeET4_T5_PSR_SS_PNS1_23onesweep_lookback_stateEbbT6_jjT7_P12ihipStream_tbENKUlT_T0_SG_SL_E_clIS7_S7_SB_S7_EEDaSZ_S10_SG_SL_EUlSZ_E_NS1_11comp_targetILNS1_3genE6ELNS1_11target_archE950ELNS1_3gpuE13ELNS1_3repE0EEENS1_47radix_sort_onesweep_sort_config_static_selectorELNS0_4arch9wavefront6targetE1EEEvSG_.has_dyn_sized_stack, 0
	.set _ZN7rocprim17ROCPRIM_400000_NS6detail17trampoline_kernelINS0_14default_configENS1_35radix_sort_onesweep_config_selectorIllEEZZNS1_29radix_sort_onesweep_iterationIS3_Lb0EPlS7_N6thrust23THRUST_200600_302600_NS10device_ptrIlEESB_jNS0_19identity_decomposerENS1_16block_id_wrapperIjLb1EEEEE10hipError_tT1_PNSt15iterator_traitsISG_E10value_typeET2_T3_PNSH_ISM_E10value_typeET4_T5_PSR_SS_PNS1_23onesweep_lookback_stateEbbT6_jjT7_P12ihipStream_tbENKUlT_T0_SG_SL_E_clIS7_S7_SB_S7_EEDaSZ_S10_SG_SL_EUlSZ_E_NS1_11comp_targetILNS1_3genE6ELNS1_11target_archE950ELNS1_3gpuE13ELNS1_3repE0EEENS1_47radix_sort_onesweep_sort_config_static_selectorELNS0_4arch9wavefront6targetE1EEEvSG_.has_recursion, 0
	.set _ZN7rocprim17ROCPRIM_400000_NS6detail17trampoline_kernelINS0_14default_configENS1_35radix_sort_onesweep_config_selectorIllEEZZNS1_29radix_sort_onesweep_iterationIS3_Lb0EPlS7_N6thrust23THRUST_200600_302600_NS10device_ptrIlEESB_jNS0_19identity_decomposerENS1_16block_id_wrapperIjLb1EEEEE10hipError_tT1_PNSt15iterator_traitsISG_E10value_typeET2_T3_PNSH_ISM_E10value_typeET4_T5_PSR_SS_PNS1_23onesweep_lookback_stateEbbT6_jjT7_P12ihipStream_tbENKUlT_T0_SG_SL_E_clIS7_S7_SB_S7_EEDaSZ_S10_SG_SL_EUlSZ_E_NS1_11comp_targetILNS1_3genE6ELNS1_11target_archE950ELNS1_3gpuE13ELNS1_3repE0EEENS1_47radix_sort_onesweep_sort_config_static_selectorELNS0_4arch9wavefront6targetE1EEEvSG_.has_indirect_call, 0
	.section	.AMDGPU.csdata,"",@progbits
; Kernel info:
; codeLenInByte = 0
; TotalNumSgprs: 4
; NumVgprs: 0
; ScratchSize: 0
; MemoryBound: 0
; FloatMode: 240
; IeeeMode: 1
; LDSByteSize: 0 bytes/workgroup (compile time only)
; SGPRBlocks: 0
; VGPRBlocks: 0
; NumSGPRsForWavesPerEU: 4
; NumVGPRsForWavesPerEU: 1
; Occupancy: 10
; WaveLimiterHint : 0
; COMPUTE_PGM_RSRC2:SCRATCH_EN: 0
; COMPUTE_PGM_RSRC2:USER_SGPR: 6
; COMPUTE_PGM_RSRC2:TRAP_HANDLER: 0
; COMPUTE_PGM_RSRC2:TGID_X_EN: 1
; COMPUTE_PGM_RSRC2:TGID_Y_EN: 0
; COMPUTE_PGM_RSRC2:TGID_Z_EN: 0
; COMPUTE_PGM_RSRC2:TIDIG_COMP_CNT: 0
	.section	.text._ZN7rocprim17ROCPRIM_400000_NS6detail17trampoline_kernelINS0_14default_configENS1_35radix_sort_onesweep_config_selectorIllEEZZNS1_29radix_sort_onesweep_iterationIS3_Lb0EPlS7_N6thrust23THRUST_200600_302600_NS10device_ptrIlEESB_jNS0_19identity_decomposerENS1_16block_id_wrapperIjLb1EEEEE10hipError_tT1_PNSt15iterator_traitsISG_E10value_typeET2_T3_PNSH_ISM_E10value_typeET4_T5_PSR_SS_PNS1_23onesweep_lookback_stateEbbT6_jjT7_P12ihipStream_tbENKUlT_T0_SG_SL_E_clIS7_S7_SB_S7_EEDaSZ_S10_SG_SL_EUlSZ_E_NS1_11comp_targetILNS1_3genE5ELNS1_11target_archE942ELNS1_3gpuE9ELNS1_3repE0EEENS1_47radix_sort_onesweep_sort_config_static_selectorELNS0_4arch9wavefront6targetE1EEEvSG_,"axG",@progbits,_ZN7rocprim17ROCPRIM_400000_NS6detail17trampoline_kernelINS0_14default_configENS1_35radix_sort_onesweep_config_selectorIllEEZZNS1_29radix_sort_onesweep_iterationIS3_Lb0EPlS7_N6thrust23THRUST_200600_302600_NS10device_ptrIlEESB_jNS0_19identity_decomposerENS1_16block_id_wrapperIjLb1EEEEE10hipError_tT1_PNSt15iterator_traitsISG_E10value_typeET2_T3_PNSH_ISM_E10value_typeET4_T5_PSR_SS_PNS1_23onesweep_lookback_stateEbbT6_jjT7_P12ihipStream_tbENKUlT_T0_SG_SL_E_clIS7_S7_SB_S7_EEDaSZ_S10_SG_SL_EUlSZ_E_NS1_11comp_targetILNS1_3genE5ELNS1_11target_archE942ELNS1_3gpuE9ELNS1_3repE0EEENS1_47radix_sort_onesweep_sort_config_static_selectorELNS0_4arch9wavefront6targetE1EEEvSG_,comdat
	.protected	_ZN7rocprim17ROCPRIM_400000_NS6detail17trampoline_kernelINS0_14default_configENS1_35radix_sort_onesweep_config_selectorIllEEZZNS1_29radix_sort_onesweep_iterationIS3_Lb0EPlS7_N6thrust23THRUST_200600_302600_NS10device_ptrIlEESB_jNS0_19identity_decomposerENS1_16block_id_wrapperIjLb1EEEEE10hipError_tT1_PNSt15iterator_traitsISG_E10value_typeET2_T3_PNSH_ISM_E10value_typeET4_T5_PSR_SS_PNS1_23onesweep_lookback_stateEbbT6_jjT7_P12ihipStream_tbENKUlT_T0_SG_SL_E_clIS7_S7_SB_S7_EEDaSZ_S10_SG_SL_EUlSZ_E_NS1_11comp_targetILNS1_3genE5ELNS1_11target_archE942ELNS1_3gpuE9ELNS1_3repE0EEENS1_47radix_sort_onesweep_sort_config_static_selectorELNS0_4arch9wavefront6targetE1EEEvSG_ ; -- Begin function _ZN7rocprim17ROCPRIM_400000_NS6detail17trampoline_kernelINS0_14default_configENS1_35radix_sort_onesweep_config_selectorIllEEZZNS1_29radix_sort_onesweep_iterationIS3_Lb0EPlS7_N6thrust23THRUST_200600_302600_NS10device_ptrIlEESB_jNS0_19identity_decomposerENS1_16block_id_wrapperIjLb1EEEEE10hipError_tT1_PNSt15iterator_traitsISG_E10value_typeET2_T3_PNSH_ISM_E10value_typeET4_T5_PSR_SS_PNS1_23onesweep_lookback_stateEbbT6_jjT7_P12ihipStream_tbENKUlT_T0_SG_SL_E_clIS7_S7_SB_S7_EEDaSZ_S10_SG_SL_EUlSZ_E_NS1_11comp_targetILNS1_3genE5ELNS1_11target_archE942ELNS1_3gpuE9ELNS1_3repE0EEENS1_47radix_sort_onesweep_sort_config_static_selectorELNS0_4arch9wavefront6targetE1EEEvSG_
	.globl	_ZN7rocprim17ROCPRIM_400000_NS6detail17trampoline_kernelINS0_14default_configENS1_35radix_sort_onesweep_config_selectorIllEEZZNS1_29radix_sort_onesweep_iterationIS3_Lb0EPlS7_N6thrust23THRUST_200600_302600_NS10device_ptrIlEESB_jNS0_19identity_decomposerENS1_16block_id_wrapperIjLb1EEEEE10hipError_tT1_PNSt15iterator_traitsISG_E10value_typeET2_T3_PNSH_ISM_E10value_typeET4_T5_PSR_SS_PNS1_23onesweep_lookback_stateEbbT6_jjT7_P12ihipStream_tbENKUlT_T0_SG_SL_E_clIS7_S7_SB_S7_EEDaSZ_S10_SG_SL_EUlSZ_E_NS1_11comp_targetILNS1_3genE5ELNS1_11target_archE942ELNS1_3gpuE9ELNS1_3repE0EEENS1_47radix_sort_onesweep_sort_config_static_selectorELNS0_4arch9wavefront6targetE1EEEvSG_
	.p2align	8
	.type	_ZN7rocprim17ROCPRIM_400000_NS6detail17trampoline_kernelINS0_14default_configENS1_35radix_sort_onesweep_config_selectorIllEEZZNS1_29radix_sort_onesweep_iterationIS3_Lb0EPlS7_N6thrust23THRUST_200600_302600_NS10device_ptrIlEESB_jNS0_19identity_decomposerENS1_16block_id_wrapperIjLb1EEEEE10hipError_tT1_PNSt15iterator_traitsISG_E10value_typeET2_T3_PNSH_ISM_E10value_typeET4_T5_PSR_SS_PNS1_23onesweep_lookback_stateEbbT6_jjT7_P12ihipStream_tbENKUlT_T0_SG_SL_E_clIS7_S7_SB_S7_EEDaSZ_S10_SG_SL_EUlSZ_E_NS1_11comp_targetILNS1_3genE5ELNS1_11target_archE942ELNS1_3gpuE9ELNS1_3repE0EEENS1_47radix_sort_onesweep_sort_config_static_selectorELNS0_4arch9wavefront6targetE1EEEvSG_,@function
_ZN7rocprim17ROCPRIM_400000_NS6detail17trampoline_kernelINS0_14default_configENS1_35radix_sort_onesweep_config_selectorIllEEZZNS1_29radix_sort_onesweep_iterationIS3_Lb0EPlS7_N6thrust23THRUST_200600_302600_NS10device_ptrIlEESB_jNS0_19identity_decomposerENS1_16block_id_wrapperIjLb1EEEEE10hipError_tT1_PNSt15iterator_traitsISG_E10value_typeET2_T3_PNSH_ISM_E10value_typeET4_T5_PSR_SS_PNS1_23onesweep_lookback_stateEbbT6_jjT7_P12ihipStream_tbENKUlT_T0_SG_SL_E_clIS7_S7_SB_S7_EEDaSZ_S10_SG_SL_EUlSZ_E_NS1_11comp_targetILNS1_3genE5ELNS1_11target_archE942ELNS1_3gpuE9ELNS1_3repE0EEENS1_47radix_sort_onesweep_sort_config_static_selectorELNS0_4arch9wavefront6targetE1EEEvSG_: ; @_ZN7rocprim17ROCPRIM_400000_NS6detail17trampoline_kernelINS0_14default_configENS1_35radix_sort_onesweep_config_selectorIllEEZZNS1_29radix_sort_onesweep_iterationIS3_Lb0EPlS7_N6thrust23THRUST_200600_302600_NS10device_ptrIlEESB_jNS0_19identity_decomposerENS1_16block_id_wrapperIjLb1EEEEE10hipError_tT1_PNSt15iterator_traitsISG_E10value_typeET2_T3_PNSH_ISM_E10value_typeET4_T5_PSR_SS_PNS1_23onesweep_lookback_stateEbbT6_jjT7_P12ihipStream_tbENKUlT_T0_SG_SL_E_clIS7_S7_SB_S7_EEDaSZ_S10_SG_SL_EUlSZ_E_NS1_11comp_targetILNS1_3genE5ELNS1_11target_archE942ELNS1_3gpuE9ELNS1_3repE0EEENS1_47radix_sort_onesweep_sort_config_static_selectorELNS0_4arch9wavefront6targetE1EEEvSG_
; %bb.0:
	.section	.rodata,"a",@progbits
	.p2align	6, 0x0
	.amdhsa_kernel _ZN7rocprim17ROCPRIM_400000_NS6detail17trampoline_kernelINS0_14default_configENS1_35radix_sort_onesweep_config_selectorIllEEZZNS1_29radix_sort_onesweep_iterationIS3_Lb0EPlS7_N6thrust23THRUST_200600_302600_NS10device_ptrIlEESB_jNS0_19identity_decomposerENS1_16block_id_wrapperIjLb1EEEEE10hipError_tT1_PNSt15iterator_traitsISG_E10value_typeET2_T3_PNSH_ISM_E10value_typeET4_T5_PSR_SS_PNS1_23onesweep_lookback_stateEbbT6_jjT7_P12ihipStream_tbENKUlT_T0_SG_SL_E_clIS7_S7_SB_S7_EEDaSZ_S10_SG_SL_EUlSZ_E_NS1_11comp_targetILNS1_3genE5ELNS1_11target_archE942ELNS1_3gpuE9ELNS1_3repE0EEENS1_47radix_sort_onesweep_sort_config_static_selectorELNS0_4arch9wavefront6targetE1EEEvSG_
		.amdhsa_group_segment_fixed_size 0
		.amdhsa_private_segment_fixed_size 0
		.amdhsa_kernarg_size 88
		.amdhsa_user_sgpr_count 6
		.amdhsa_user_sgpr_private_segment_buffer 1
		.amdhsa_user_sgpr_dispatch_ptr 0
		.amdhsa_user_sgpr_queue_ptr 0
		.amdhsa_user_sgpr_kernarg_segment_ptr 1
		.amdhsa_user_sgpr_dispatch_id 0
		.amdhsa_user_sgpr_flat_scratch_init 0
		.amdhsa_user_sgpr_private_segment_size 0
		.amdhsa_uses_dynamic_stack 0
		.amdhsa_system_sgpr_private_segment_wavefront_offset 0
		.amdhsa_system_sgpr_workgroup_id_x 1
		.amdhsa_system_sgpr_workgroup_id_y 0
		.amdhsa_system_sgpr_workgroup_id_z 0
		.amdhsa_system_sgpr_workgroup_info 0
		.amdhsa_system_vgpr_workitem_id 0
		.amdhsa_next_free_vgpr 1
		.amdhsa_next_free_sgpr 0
		.amdhsa_reserve_vcc 0
		.amdhsa_reserve_flat_scratch 0
		.amdhsa_float_round_mode_32 0
		.amdhsa_float_round_mode_16_64 0
		.amdhsa_float_denorm_mode_32 3
		.amdhsa_float_denorm_mode_16_64 3
		.amdhsa_dx10_clamp 1
		.amdhsa_ieee_mode 1
		.amdhsa_fp16_overflow 0
		.amdhsa_exception_fp_ieee_invalid_op 0
		.amdhsa_exception_fp_denorm_src 0
		.amdhsa_exception_fp_ieee_div_zero 0
		.amdhsa_exception_fp_ieee_overflow 0
		.amdhsa_exception_fp_ieee_underflow 0
		.amdhsa_exception_fp_ieee_inexact 0
		.amdhsa_exception_int_div_zero 0
	.end_amdhsa_kernel
	.section	.text._ZN7rocprim17ROCPRIM_400000_NS6detail17trampoline_kernelINS0_14default_configENS1_35radix_sort_onesweep_config_selectorIllEEZZNS1_29radix_sort_onesweep_iterationIS3_Lb0EPlS7_N6thrust23THRUST_200600_302600_NS10device_ptrIlEESB_jNS0_19identity_decomposerENS1_16block_id_wrapperIjLb1EEEEE10hipError_tT1_PNSt15iterator_traitsISG_E10value_typeET2_T3_PNSH_ISM_E10value_typeET4_T5_PSR_SS_PNS1_23onesweep_lookback_stateEbbT6_jjT7_P12ihipStream_tbENKUlT_T0_SG_SL_E_clIS7_S7_SB_S7_EEDaSZ_S10_SG_SL_EUlSZ_E_NS1_11comp_targetILNS1_3genE5ELNS1_11target_archE942ELNS1_3gpuE9ELNS1_3repE0EEENS1_47radix_sort_onesweep_sort_config_static_selectorELNS0_4arch9wavefront6targetE1EEEvSG_,"axG",@progbits,_ZN7rocprim17ROCPRIM_400000_NS6detail17trampoline_kernelINS0_14default_configENS1_35radix_sort_onesweep_config_selectorIllEEZZNS1_29radix_sort_onesweep_iterationIS3_Lb0EPlS7_N6thrust23THRUST_200600_302600_NS10device_ptrIlEESB_jNS0_19identity_decomposerENS1_16block_id_wrapperIjLb1EEEEE10hipError_tT1_PNSt15iterator_traitsISG_E10value_typeET2_T3_PNSH_ISM_E10value_typeET4_T5_PSR_SS_PNS1_23onesweep_lookback_stateEbbT6_jjT7_P12ihipStream_tbENKUlT_T0_SG_SL_E_clIS7_S7_SB_S7_EEDaSZ_S10_SG_SL_EUlSZ_E_NS1_11comp_targetILNS1_3genE5ELNS1_11target_archE942ELNS1_3gpuE9ELNS1_3repE0EEENS1_47radix_sort_onesweep_sort_config_static_selectorELNS0_4arch9wavefront6targetE1EEEvSG_,comdat
.Lfunc_end1143:
	.size	_ZN7rocprim17ROCPRIM_400000_NS6detail17trampoline_kernelINS0_14default_configENS1_35radix_sort_onesweep_config_selectorIllEEZZNS1_29radix_sort_onesweep_iterationIS3_Lb0EPlS7_N6thrust23THRUST_200600_302600_NS10device_ptrIlEESB_jNS0_19identity_decomposerENS1_16block_id_wrapperIjLb1EEEEE10hipError_tT1_PNSt15iterator_traitsISG_E10value_typeET2_T3_PNSH_ISM_E10value_typeET4_T5_PSR_SS_PNS1_23onesweep_lookback_stateEbbT6_jjT7_P12ihipStream_tbENKUlT_T0_SG_SL_E_clIS7_S7_SB_S7_EEDaSZ_S10_SG_SL_EUlSZ_E_NS1_11comp_targetILNS1_3genE5ELNS1_11target_archE942ELNS1_3gpuE9ELNS1_3repE0EEENS1_47radix_sort_onesweep_sort_config_static_selectorELNS0_4arch9wavefront6targetE1EEEvSG_, .Lfunc_end1143-_ZN7rocprim17ROCPRIM_400000_NS6detail17trampoline_kernelINS0_14default_configENS1_35radix_sort_onesweep_config_selectorIllEEZZNS1_29radix_sort_onesweep_iterationIS3_Lb0EPlS7_N6thrust23THRUST_200600_302600_NS10device_ptrIlEESB_jNS0_19identity_decomposerENS1_16block_id_wrapperIjLb1EEEEE10hipError_tT1_PNSt15iterator_traitsISG_E10value_typeET2_T3_PNSH_ISM_E10value_typeET4_T5_PSR_SS_PNS1_23onesweep_lookback_stateEbbT6_jjT7_P12ihipStream_tbENKUlT_T0_SG_SL_E_clIS7_S7_SB_S7_EEDaSZ_S10_SG_SL_EUlSZ_E_NS1_11comp_targetILNS1_3genE5ELNS1_11target_archE942ELNS1_3gpuE9ELNS1_3repE0EEENS1_47radix_sort_onesweep_sort_config_static_selectorELNS0_4arch9wavefront6targetE1EEEvSG_
                                        ; -- End function
	.set _ZN7rocprim17ROCPRIM_400000_NS6detail17trampoline_kernelINS0_14default_configENS1_35radix_sort_onesweep_config_selectorIllEEZZNS1_29radix_sort_onesweep_iterationIS3_Lb0EPlS7_N6thrust23THRUST_200600_302600_NS10device_ptrIlEESB_jNS0_19identity_decomposerENS1_16block_id_wrapperIjLb1EEEEE10hipError_tT1_PNSt15iterator_traitsISG_E10value_typeET2_T3_PNSH_ISM_E10value_typeET4_T5_PSR_SS_PNS1_23onesweep_lookback_stateEbbT6_jjT7_P12ihipStream_tbENKUlT_T0_SG_SL_E_clIS7_S7_SB_S7_EEDaSZ_S10_SG_SL_EUlSZ_E_NS1_11comp_targetILNS1_3genE5ELNS1_11target_archE942ELNS1_3gpuE9ELNS1_3repE0EEENS1_47radix_sort_onesweep_sort_config_static_selectorELNS0_4arch9wavefront6targetE1EEEvSG_.num_vgpr, 0
	.set _ZN7rocprim17ROCPRIM_400000_NS6detail17trampoline_kernelINS0_14default_configENS1_35radix_sort_onesweep_config_selectorIllEEZZNS1_29radix_sort_onesweep_iterationIS3_Lb0EPlS7_N6thrust23THRUST_200600_302600_NS10device_ptrIlEESB_jNS0_19identity_decomposerENS1_16block_id_wrapperIjLb1EEEEE10hipError_tT1_PNSt15iterator_traitsISG_E10value_typeET2_T3_PNSH_ISM_E10value_typeET4_T5_PSR_SS_PNS1_23onesweep_lookback_stateEbbT6_jjT7_P12ihipStream_tbENKUlT_T0_SG_SL_E_clIS7_S7_SB_S7_EEDaSZ_S10_SG_SL_EUlSZ_E_NS1_11comp_targetILNS1_3genE5ELNS1_11target_archE942ELNS1_3gpuE9ELNS1_3repE0EEENS1_47radix_sort_onesweep_sort_config_static_selectorELNS0_4arch9wavefront6targetE1EEEvSG_.num_agpr, 0
	.set _ZN7rocprim17ROCPRIM_400000_NS6detail17trampoline_kernelINS0_14default_configENS1_35radix_sort_onesweep_config_selectorIllEEZZNS1_29radix_sort_onesweep_iterationIS3_Lb0EPlS7_N6thrust23THRUST_200600_302600_NS10device_ptrIlEESB_jNS0_19identity_decomposerENS1_16block_id_wrapperIjLb1EEEEE10hipError_tT1_PNSt15iterator_traitsISG_E10value_typeET2_T3_PNSH_ISM_E10value_typeET4_T5_PSR_SS_PNS1_23onesweep_lookback_stateEbbT6_jjT7_P12ihipStream_tbENKUlT_T0_SG_SL_E_clIS7_S7_SB_S7_EEDaSZ_S10_SG_SL_EUlSZ_E_NS1_11comp_targetILNS1_3genE5ELNS1_11target_archE942ELNS1_3gpuE9ELNS1_3repE0EEENS1_47radix_sort_onesweep_sort_config_static_selectorELNS0_4arch9wavefront6targetE1EEEvSG_.numbered_sgpr, 0
	.set _ZN7rocprim17ROCPRIM_400000_NS6detail17trampoline_kernelINS0_14default_configENS1_35radix_sort_onesweep_config_selectorIllEEZZNS1_29radix_sort_onesweep_iterationIS3_Lb0EPlS7_N6thrust23THRUST_200600_302600_NS10device_ptrIlEESB_jNS0_19identity_decomposerENS1_16block_id_wrapperIjLb1EEEEE10hipError_tT1_PNSt15iterator_traitsISG_E10value_typeET2_T3_PNSH_ISM_E10value_typeET4_T5_PSR_SS_PNS1_23onesweep_lookback_stateEbbT6_jjT7_P12ihipStream_tbENKUlT_T0_SG_SL_E_clIS7_S7_SB_S7_EEDaSZ_S10_SG_SL_EUlSZ_E_NS1_11comp_targetILNS1_3genE5ELNS1_11target_archE942ELNS1_3gpuE9ELNS1_3repE0EEENS1_47radix_sort_onesweep_sort_config_static_selectorELNS0_4arch9wavefront6targetE1EEEvSG_.num_named_barrier, 0
	.set _ZN7rocprim17ROCPRIM_400000_NS6detail17trampoline_kernelINS0_14default_configENS1_35radix_sort_onesweep_config_selectorIllEEZZNS1_29radix_sort_onesweep_iterationIS3_Lb0EPlS7_N6thrust23THRUST_200600_302600_NS10device_ptrIlEESB_jNS0_19identity_decomposerENS1_16block_id_wrapperIjLb1EEEEE10hipError_tT1_PNSt15iterator_traitsISG_E10value_typeET2_T3_PNSH_ISM_E10value_typeET4_T5_PSR_SS_PNS1_23onesweep_lookback_stateEbbT6_jjT7_P12ihipStream_tbENKUlT_T0_SG_SL_E_clIS7_S7_SB_S7_EEDaSZ_S10_SG_SL_EUlSZ_E_NS1_11comp_targetILNS1_3genE5ELNS1_11target_archE942ELNS1_3gpuE9ELNS1_3repE0EEENS1_47radix_sort_onesweep_sort_config_static_selectorELNS0_4arch9wavefront6targetE1EEEvSG_.private_seg_size, 0
	.set _ZN7rocprim17ROCPRIM_400000_NS6detail17trampoline_kernelINS0_14default_configENS1_35radix_sort_onesweep_config_selectorIllEEZZNS1_29radix_sort_onesweep_iterationIS3_Lb0EPlS7_N6thrust23THRUST_200600_302600_NS10device_ptrIlEESB_jNS0_19identity_decomposerENS1_16block_id_wrapperIjLb1EEEEE10hipError_tT1_PNSt15iterator_traitsISG_E10value_typeET2_T3_PNSH_ISM_E10value_typeET4_T5_PSR_SS_PNS1_23onesweep_lookback_stateEbbT6_jjT7_P12ihipStream_tbENKUlT_T0_SG_SL_E_clIS7_S7_SB_S7_EEDaSZ_S10_SG_SL_EUlSZ_E_NS1_11comp_targetILNS1_3genE5ELNS1_11target_archE942ELNS1_3gpuE9ELNS1_3repE0EEENS1_47radix_sort_onesweep_sort_config_static_selectorELNS0_4arch9wavefront6targetE1EEEvSG_.uses_vcc, 0
	.set _ZN7rocprim17ROCPRIM_400000_NS6detail17trampoline_kernelINS0_14default_configENS1_35radix_sort_onesweep_config_selectorIllEEZZNS1_29radix_sort_onesweep_iterationIS3_Lb0EPlS7_N6thrust23THRUST_200600_302600_NS10device_ptrIlEESB_jNS0_19identity_decomposerENS1_16block_id_wrapperIjLb1EEEEE10hipError_tT1_PNSt15iterator_traitsISG_E10value_typeET2_T3_PNSH_ISM_E10value_typeET4_T5_PSR_SS_PNS1_23onesweep_lookback_stateEbbT6_jjT7_P12ihipStream_tbENKUlT_T0_SG_SL_E_clIS7_S7_SB_S7_EEDaSZ_S10_SG_SL_EUlSZ_E_NS1_11comp_targetILNS1_3genE5ELNS1_11target_archE942ELNS1_3gpuE9ELNS1_3repE0EEENS1_47radix_sort_onesweep_sort_config_static_selectorELNS0_4arch9wavefront6targetE1EEEvSG_.uses_flat_scratch, 0
	.set _ZN7rocprim17ROCPRIM_400000_NS6detail17trampoline_kernelINS0_14default_configENS1_35radix_sort_onesweep_config_selectorIllEEZZNS1_29radix_sort_onesweep_iterationIS3_Lb0EPlS7_N6thrust23THRUST_200600_302600_NS10device_ptrIlEESB_jNS0_19identity_decomposerENS1_16block_id_wrapperIjLb1EEEEE10hipError_tT1_PNSt15iterator_traitsISG_E10value_typeET2_T3_PNSH_ISM_E10value_typeET4_T5_PSR_SS_PNS1_23onesweep_lookback_stateEbbT6_jjT7_P12ihipStream_tbENKUlT_T0_SG_SL_E_clIS7_S7_SB_S7_EEDaSZ_S10_SG_SL_EUlSZ_E_NS1_11comp_targetILNS1_3genE5ELNS1_11target_archE942ELNS1_3gpuE9ELNS1_3repE0EEENS1_47radix_sort_onesweep_sort_config_static_selectorELNS0_4arch9wavefront6targetE1EEEvSG_.has_dyn_sized_stack, 0
	.set _ZN7rocprim17ROCPRIM_400000_NS6detail17trampoline_kernelINS0_14default_configENS1_35radix_sort_onesweep_config_selectorIllEEZZNS1_29radix_sort_onesweep_iterationIS3_Lb0EPlS7_N6thrust23THRUST_200600_302600_NS10device_ptrIlEESB_jNS0_19identity_decomposerENS1_16block_id_wrapperIjLb1EEEEE10hipError_tT1_PNSt15iterator_traitsISG_E10value_typeET2_T3_PNSH_ISM_E10value_typeET4_T5_PSR_SS_PNS1_23onesweep_lookback_stateEbbT6_jjT7_P12ihipStream_tbENKUlT_T0_SG_SL_E_clIS7_S7_SB_S7_EEDaSZ_S10_SG_SL_EUlSZ_E_NS1_11comp_targetILNS1_3genE5ELNS1_11target_archE942ELNS1_3gpuE9ELNS1_3repE0EEENS1_47radix_sort_onesweep_sort_config_static_selectorELNS0_4arch9wavefront6targetE1EEEvSG_.has_recursion, 0
	.set _ZN7rocprim17ROCPRIM_400000_NS6detail17trampoline_kernelINS0_14default_configENS1_35radix_sort_onesweep_config_selectorIllEEZZNS1_29radix_sort_onesweep_iterationIS3_Lb0EPlS7_N6thrust23THRUST_200600_302600_NS10device_ptrIlEESB_jNS0_19identity_decomposerENS1_16block_id_wrapperIjLb1EEEEE10hipError_tT1_PNSt15iterator_traitsISG_E10value_typeET2_T3_PNSH_ISM_E10value_typeET4_T5_PSR_SS_PNS1_23onesweep_lookback_stateEbbT6_jjT7_P12ihipStream_tbENKUlT_T0_SG_SL_E_clIS7_S7_SB_S7_EEDaSZ_S10_SG_SL_EUlSZ_E_NS1_11comp_targetILNS1_3genE5ELNS1_11target_archE942ELNS1_3gpuE9ELNS1_3repE0EEENS1_47radix_sort_onesweep_sort_config_static_selectorELNS0_4arch9wavefront6targetE1EEEvSG_.has_indirect_call, 0
	.section	.AMDGPU.csdata,"",@progbits
; Kernel info:
; codeLenInByte = 0
; TotalNumSgprs: 4
; NumVgprs: 0
; ScratchSize: 0
; MemoryBound: 0
; FloatMode: 240
; IeeeMode: 1
; LDSByteSize: 0 bytes/workgroup (compile time only)
; SGPRBlocks: 0
; VGPRBlocks: 0
; NumSGPRsForWavesPerEU: 4
; NumVGPRsForWavesPerEU: 1
; Occupancy: 10
; WaveLimiterHint : 0
; COMPUTE_PGM_RSRC2:SCRATCH_EN: 0
; COMPUTE_PGM_RSRC2:USER_SGPR: 6
; COMPUTE_PGM_RSRC2:TRAP_HANDLER: 0
; COMPUTE_PGM_RSRC2:TGID_X_EN: 1
; COMPUTE_PGM_RSRC2:TGID_Y_EN: 0
; COMPUTE_PGM_RSRC2:TGID_Z_EN: 0
; COMPUTE_PGM_RSRC2:TIDIG_COMP_CNT: 0
	.section	.text._ZN7rocprim17ROCPRIM_400000_NS6detail17trampoline_kernelINS0_14default_configENS1_35radix_sort_onesweep_config_selectorIllEEZZNS1_29radix_sort_onesweep_iterationIS3_Lb0EPlS7_N6thrust23THRUST_200600_302600_NS10device_ptrIlEESB_jNS0_19identity_decomposerENS1_16block_id_wrapperIjLb1EEEEE10hipError_tT1_PNSt15iterator_traitsISG_E10value_typeET2_T3_PNSH_ISM_E10value_typeET4_T5_PSR_SS_PNS1_23onesweep_lookback_stateEbbT6_jjT7_P12ihipStream_tbENKUlT_T0_SG_SL_E_clIS7_S7_SB_S7_EEDaSZ_S10_SG_SL_EUlSZ_E_NS1_11comp_targetILNS1_3genE2ELNS1_11target_archE906ELNS1_3gpuE6ELNS1_3repE0EEENS1_47radix_sort_onesweep_sort_config_static_selectorELNS0_4arch9wavefront6targetE1EEEvSG_,"axG",@progbits,_ZN7rocprim17ROCPRIM_400000_NS6detail17trampoline_kernelINS0_14default_configENS1_35radix_sort_onesweep_config_selectorIllEEZZNS1_29radix_sort_onesweep_iterationIS3_Lb0EPlS7_N6thrust23THRUST_200600_302600_NS10device_ptrIlEESB_jNS0_19identity_decomposerENS1_16block_id_wrapperIjLb1EEEEE10hipError_tT1_PNSt15iterator_traitsISG_E10value_typeET2_T3_PNSH_ISM_E10value_typeET4_T5_PSR_SS_PNS1_23onesweep_lookback_stateEbbT6_jjT7_P12ihipStream_tbENKUlT_T0_SG_SL_E_clIS7_S7_SB_S7_EEDaSZ_S10_SG_SL_EUlSZ_E_NS1_11comp_targetILNS1_3genE2ELNS1_11target_archE906ELNS1_3gpuE6ELNS1_3repE0EEENS1_47radix_sort_onesweep_sort_config_static_selectorELNS0_4arch9wavefront6targetE1EEEvSG_,comdat
	.protected	_ZN7rocprim17ROCPRIM_400000_NS6detail17trampoline_kernelINS0_14default_configENS1_35radix_sort_onesweep_config_selectorIllEEZZNS1_29radix_sort_onesweep_iterationIS3_Lb0EPlS7_N6thrust23THRUST_200600_302600_NS10device_ptrIlEESB_jNS0_19identity_decomposerENS1_16block_id_wrapperIjLb1EEEEE10hipError_tT1_PNSt15iterator_traitsISG_E10value_typeET2_T3_PNSH_ISM_E10value_typeET4_T5_PSR_SS_PNS1_23onesweep_lookback_stateEbbT6_jjT7_P12ihipStream_tbENKUlT_T0_SG_SL_E_clIS7_S7_SB_S7_EEDaSZ_S10_SG_SL_EUlSZ_E_NS1_11comp_targetILNS1_3genE2ELNS1_11target_archE906ELNS1_3gpuE6ELNS1_3repE0EEENS1_47radix_sort_onesweep_sort_config_static_selectorELNS0_4arch9wavefront6targetE1EEEvSG_ ; -- Begin function _ZN7rocprim17ROCPRIM_400000_NS6detail17trampoline_kernelINS0_14default_configENS1_35radix_sort_onesweep_config_selectorIllEEZZNS1_29radix_sort_onesweep_iterationIS3_Lb0EPlS7_N6thrust23THRUST_200600_302600_NS10device_ptrIlEESB_jNS0_19identity_decomposerENS1_16block_id_wrapperIjLb1EEEEE10hipError_tT1_PNSt15iterator_traitsISG_E10value_typeET2_T3_PNSH_ISM_E10value_typeET4_T5_PSR_SS_PNS1_23onesweep_lookback_stateEbbT6_jjT7_P12ihipStream_tbENKUlT_T0_SG_SL_E_clIS7_S7_SB_S7_EEDaSZ_S10_SG_SL_EUlSZ_E_NS1_11comp_targetILNS1_3genE2ELNS1_11target_archE906ELNS1_3gpuE6ELNS1_3repE0EEENS1_47radix_sort_onesweep_sort_config_static_selectorELNS0_4arch9wavefront6targetE1EEEvSG_
	.globl	_ZN7rocprim17ROCPRIM_400000_NS6detail17trampoline_kernelINS0_14default_configENS1_35radix_sort_onesweep_config_selectorIllEEZZNS1_29radix_sort_onesweep_iterationIS3_Lb0EPlS7_N6thrust23THRUST_200600_302600_NS10device_ptrIlEESB_jNS0_19identity_decomposerENS1_16block_id_wrapperIjLb1EEEEE10hipError_tT1_PNSt15iterator_traitsISG_E10value_typeET2_T3_PNSH_ISM_E10value_typeET4_T5_PSR_SS_PNS1_23onesweep_lookback_stateEbbT6_jjT7_P12ihipStream_tbENKUlT_T0_SG_SL_E_clIS7_S7_SB_S7_EEDaSZ_S10_SG_SL_EUlSZ_E_NS1_11comp_targetILNS1_3genE2ELNS1_11target_archE906ELNS1_3gpuE6ELNS1_3repE0EEENS1_47radix_sort_onesweep_sort_config_static_selectorELNS0_4arch9wavefront6targetE1EEEvSG_
	.p2align	8
	.type	_ZN7rocprim17ROCPRIM_400000_NS6detail17trampoline_kernelINS0_14default_configENS1_35radix_sort_onesweep_config_selectorIllEEZZNS1_29radix_sort_onesweep_iterationIS3_Lb0EPlS7_N6thrust23THRUST_200600_302600_NS10device_ptrIlEESB_jNS0_19identity_decomposerENS1_16block_id_wrapperIjLb1EEEEE10hipError_tT1_PNSt15iterator_traitsISG_E10value_typeET2_T3_PNSH_ISM_E10value_typeET4_T5_PSR_SS_PNS1_23onesweep_lookback_stateEbbT6_jjT7_P12ihipStream_tbENKUlT_T0_SG_SL_E_clIS7_S7_SB_S7_EEDaSZ_S10_SG_SL_EUlSZ_E_NS1_11comp_targetILNS1_3genE2ELNS1_11target_archE906ELNS1_3gpuE6ELNS1_3repE0EEENS1_47radix_sort_onesweep_sort_config_static_selectorELNS0_4arch9wavefront6targetE1EEEvSG_,@function
_ZN7rocprim17ROCPRIM_400000_NS6detail17trampoline_kernelINS0_14default_configENS1_35radix_sort_onesweep_config_selectorIllEEZZNS1_29radix_sort_onesweep_iterationIS3_Lb0EPlS7_N6thrust23THRUST_200600_302600_NS10device_ptrIlEESB_jNS0_19identity_decomposerENS1_16block_id_wrapperIjLb1EEEEE10hipError_tT1_PNSt15iterator_traitsISG_E10value_typeET2_T3_PNSH_ISM_E10value_typeET4_T5_PSR_SS_PNS1_23onesweep_lookback_stateEbbT6_jjT7_P12ihipStream_tbENKUlT_T0_SG_SL_E_clIS7_S7_SB_S7_EEDaSZ_S10_SG_SL_EUlSZ_E_NS1_11comp_targetILNS1_3genE2ELNS1_11target_archE906ELNS1_3gpuE6ELNS1_3repE0EEENS1_47radix_sort_onesweep_sort_config_static_selectorELNS0_4arch9wavefront6targetE1EEEvSG_: ; @_ZN7rocprim17ROCPRIM_400000_NS6detail17trampoline_kernelINS0_14default_configENS1_35radix_sort_onesweep_config_selectorIllEEZZNS1_29radix_sort_onesweep_iterationIS3_Lb0EPlS7_N6thrust23THRUST_200600_302600_NS10device_ptrIlEESB_jNS0_19identity_decomposerENS1_16block_id_wrapperIjLb1EEEEE10hipError_tT1_PNSt15iterator_traitsISG_E10value_typeET2_T3_PNSH_ISM_E10value_typeET4_T5_PSR_SS_PNS1_23onesweep_lookback_stateEbbT6_jjT7_P12ihipStream_tbENKUlT_T0_SG_SL_E_clIS7_S7_SB_S7_EEDaSZ_S10_SG_SL_EUlSZ_E_NS1_11comp_targetILNS1_3genE2ELNS1_11target_archE906ELNS1_3gpuE6ELNS1_3repE0EEENS1_47radix_sort_onesweep_sort_config_static_selectorELNS0_4arch9wavefront6targetE1EEEvSG_
; %bb.0:
	s_load_dwordx4 s[28:31], s[4:5], 0x28
	s_load_dwordx2 s[26:27], s[4:5], 0x38
	s_load_dwordx4 s[44:47], s[4:5], 0x44
	s_add_u32 s0, s0, s7
	s_addc_u32 s1, s1, 0
	v_cmp_eq_u32_e64 s[22:23], 0, v0
	s_and_saveexec_b64 s[8:9], s[22:23]
	s_cbranch_execz .LBB1144_4
; %bb.1:
	s_mov_b64 s[12:13], exec
	v_mbcnt_lo_u32_b32 v3, s12, 0
	v_mbcnt_hi_u32_b32 v3, s13, v3
	v_cmp_eq_u32_e32 vcc, 0, v3
                                        ; implicit-def: $vgpr4
	s_and_saveexec_b64 s[10:11], vcc
	s_cbranch_execz .LBB1144_3
; %bb.2:
	s_load_dwordx2 s[14:15], s[4:5], 0x50
	s_bcnt1_i32_b64 s7, s[12:13]
	v_mov_b32_e32 v4, 0
	v_mov_b32_e32 v5, s7
	s_waitcnt lgkmcnt(0)
	global_atomic_add v4, v4, v5, s[14:15] glc
.LBB1144_3:
	s_or_b64 exec, exec, s[10:11]
	s_waitcnt vmcnt(0)
	v_readfirstlane_b32 s7, v4
	v_add_u32_e32 v3, s7, v3
	v_mov_b32_e32 v4, 0
	ds_write_b32 v4, v3 offset:10272
.LBB1144_4:
	s_or_b64 exec, exec, s[8:9]
	v_mov_b32_e32 v3, 0
	s_load_dwordx8 s[36:43], s[4:5], 0x0
	s_load_dword s7, s[4:5], 0x20
	s_waitcnt lgkmcnt(0)
	s_barrier
	ds_read_b32 v3, v3 offset:10272
	s_mov_b64 s[8:9], -1
	v_mbcnt_lo_u32_b32 v21, -1, 0
	s_waitcnt lgkmcnt(0)
	s_barrier
	v_readfirstlane_b32 s33, v3
	v_cmp_le_u32_e32 vcc, s46, v3
	s_mul_i32 s34, s33, 0xc00
	s_cbranch_vccz .LBB1144_76
; %bb.5:
	s_mul_i32 s8, s46, 0xfffff400
	s_mov_b32 s35, 0
	s_add_i32 s7, s8, s7
	s_lshl_b64 s[46:47], s[34:35], 3
	v_mbcnt_hi_u32_b32 v19, -1, v21
	s_add_u32 s8, s36, s46
	v_and_b32_e32 v3, 63, v19
	s_addc_u32 s9, s37, s47
	v_and_b32_e32 v20, 0x1c0, v0
	v_lshlrev_b32_e32 v22, 3, v3
	v_mul_u32_u24_e32 v4, 6, v20
	v_mov_b32_e32 v5, s9
	v_add_co_u32_e32 v6, vcc, s8, v22
	v_addc_co_u32_e32 v5, vcc, 0, v5, vcc
	v_lshlrev_b32_e32 v23, 3, v4
	v_add_co_u32_e32 v15, vcc, v6, v23
	v_addc_co_u32_e32 v16, vcc, 0, v5, vcc
	v_or_b32_e32 v17, v3, v4
	v_mov_b32_e32 v3, -1
	v_mov_b32_e32 v5, -1
	;; [unrolled: 1-line block ×4, first 2 shown]
	v_cmp_gt_u32_e32 vcc, s7, v17
	s_and_saveexec_b64 s[8:9], vcc
	s_cbranch_execz .LBB1144_7
; %bb.6:
	global_load_dwordx2 v[5:6], v[15:16], off
	s_waitcnt vmcnt(0)
	v_xor_b32_e32 v6, 0x80000000, v6
.LBB1144_7:
	s_or_b64 exec, exec, s[8:9]
	v_or_b32_e32 v7, 64, v17
	v_cmp_gt_u32_e64 s[8:9], s7, v7
	s_and_saveexec_b64 s[10:11], s[8:9]
	s_cbranch_execz .LBB1144_9
; %bb.8:
	global_load_dwordx2 v[3:4], v[15:16], off offset:512
	s_waitcnt vmcnt(0)
	v_xor_b32_e32 v4, 0x80000000, v4
.LBB1144_9:
	s_or_b64 exec, exec, s[10:11]
	v_add_u32_e32 v11, 0x80, v17
	v_mov_b32_e32 v7, -1
	v_mov_b32_e32 v9, -1
	;; [unrolled: 1-line block ×4, first 2 shown]
	v_cmp_gt_u32_e64 s[10:11], s7, v11
	s_and_saveexec_b64 s[12:13], s[10:11]
	s_cbranch_execz .LBB1144_11
; %bb.10:
	global_load_dwordx2 v[9:10], v[15:16], off offset:1024
	s_waitcnt vmcnt(0)
	v_xor_b32_e32 v10, 0x80000000, v10
.LBB1144_11:
	s_or_b64 exec, exec, s[12:13]
	v_add_u32_e32 v11, 0xc0, v17
	v_cmp_gt_u32_e64 s[12:13], s7, v11
	s_and_saveexec_b64 s[14:15], s[12:13]
	s_cbranch_execz .LBB1144_13
; %bb.12:
	global_load_dwordx2 v[7:8], v[15:16], off offset:1536
	s_waitcnt vmcnt(0)
	v_xor_b32_e32 v8, 0x80000000, v8
.LBB1144_13:
	s_or_b64 exec, exec, s[14:15]
	v_add_u32_e32 v18, 0x100, v17
	v_mov_b32_e32 v11, -1
	v_mov_b32_e32 v13, -1
	;; [unrolled: 1-line block ×4, first 2 shown]
	v_cmp_gt_u32_e64 s[14:15], s7, v18
	s_and_saveexec_b64 s[16:17], s[14:15]
	s_cbranch_execz .LBB1144_15
; %bb.14:
	global_load_dwordx2 v[13:14], v[15:16], off offset:2048
	s_waitcnt vmcnt(0)
	v_xor_b32_e32 v14, 0x80000000, v14
.LBB1144_15:
	s_or_b64 exec, exec, s[16:17]
	v_add_u32_e32 v17, 0x140, v17
	v_cmp_gt_u32_e64 s[16:17], s7, v17
	s_and_saveexec_b64 s[18:19], s[16:17]
	s_cbranch_execz .LBB1144_17
; %bb.16:
	global_load_dwordx2 v[11:12], v[15:16], off offset:2560
	s_waitcnt vmcnt(0)
	v_xor_b32_e32 v12, 0x80000000, v12
.LBB1144_17:
	s_or_b64 exec, exec, s[18:19]
	s_load_dword s18, s[4:5], 0x64
	s_load_dword s35, s[4:5], 0x58
	s_add_u32 s19, s4, 0x58
	s_addc_u32 s20, s5, 0
	v_mov_b32_e32 v15, 0
	s_waitcnt lgkmcnt(0)
	s_lshr_b32 s21, s18, 16
	s_cmp_lt_u32 s6, s35
	s_cselect_b32 s18, 12, 18
	s_add_u32 s18, s19, s18
	s_addc_u32 s19, s20, 0
	global_load_ushort v18, v15, s[18:19]
	v_lshrrev_b64 v[16:17], s44, v[5:6]
	s_lshl_b32 s18, -1, s45
	s_not_b32 s54, s18
	v_and_b32_e32 v25, s54, v16
	v_and_b32_e32 v26, 1, v25
	v_add_co_u32_e64 v28, s[18:19], -1, v26
	v_lshlrev_b32_e32 v16, 30, v25
	v_addc_co_u32_e64 v29, s[18:19], 0, -1, s[18:19]
	v_mad_u32_u24 v17, v2, s21, v1
	v_cmp_ne_u32_e64 s[18:19], 0, v26
	v_cmp_gt_i64_e64 s[20:21], 0, v[15:16]
	v_not_b32_e32 v26, v16
	v_lshlrev_b32_e32 v16, 29, v25
	v_xor_b32_e32 v29, s19, v29
	v_xor_b32_e32 v28, s18, v28
	v_ashrrev_i32_e32 v26, 31, v26
	v_cmp_gt_i64_e64 s[18:19], 0, v[15:16]
	v_not_b32_e32 v30, v16
	v_lshlrev_b32_e32 v16, 28, v25
	v_and_b32_e32 v29, exec_hi, v29
	v_and_b32_e32 v28, exec_lo, v28
	v_xor_b32_e32 v31, s21, v26
	v_xor_b32_e32 v26, s20, v26
	v_ashrrev_i32_e32 v30, 31, v30
	v_cmp_gt_i64_e64 s[20:21], 0, v[15:16]
	v_not_b32_e32 v32, v16
	v_lshlrev_b32_e32 v16, 27, v25
	v_and_b32_e32 v29, v29, v31
	v_and_b32_e32 v26, v28, v26
	v_xor_b32_e32 v28, s19, v30
	v_xor_b32_e32 v30, s18, v30
	v_ashrrev_i32_e32 v31, 31, v32
	v_cmp_gt_i64_e64 s[18:19], 0, v[15:16]
	v_not_b32_e32 v32, v16
	v_lshlrev_b32_e32 v16, 26, v25
	v_and_b32_e32 v28, v29, v28
	v_and_b32_e32 v26, v26, v30
	;; [unrolled: 8-line block ×3, first 2 shown]
	v_xor_b32_e32 v29, s19, v31
	v_xor_b32_e32 v30, s18, v31
	v_ashrrev_i32_e32 v31, 31, v32
	v_cmp_gt_i64_e64 s[18:19], 0, v[15:16]
	v_not_b32_e32 v32, v16
	v_mul_lo_u32 v27, v25, 36
	v_lshlrev_b32_e32 v16, 24, v25
	v_and_b32_e32 v25, v28, v29
	v_and_b32_e32 v26, v26, v30
	v_xor_b32_e32 v28, s21, v31
	v_xor_b32_e32 v29, s20, v31
	v_ashrrev_i32_e32 v30, 31, v32
	v_and_b32_e32 v25, v25, v28
	v_and_b32_e32 v26, v26, v29
	v_xor_b32_e32 v28, s19, v30
	v_xor_b32_e32 v29, s18, v30
	v_cmp_gt_i64_e64 s[20:21], 0, v[15:16]
	v_not_b32_e32 v16, v16
	v_and_b32_e32 v28, v25, v28
	v_and_b32_e32 v29, v26, v29
	v_ashrrev_i32_e32 v16, 31, v16
	v_xor_b32_e32 v30, s21, v16
	v_xor_b32_e32 v16, s20, v16
	v_and_b32_e32 v16, v29, v16
	v_mul_u32_u24_e32 v24, 20, v0
	ds_write2_b32 v24, v15, v15 offset0:8 offset1:9
	ds_write2_b32 v24, v15, v15 offset0:10 offset1:11
	ds_write_b32 v24, v15 offset:48
	s_waitcnt vmcnt(0) lgkmcnt(0)
	s_barrier
	; wave barrier
	v_mad_u64_u32 v[25:26], s[18:19], v17, v18, v[0:1]
	v_and_b32_e32 v17, v28, v30
	v_cmp_ne_u64_e64 s[18:19], 0, v[16:17]
	v_lshrrev_b32_e32 v18, 6, v25
	v_mbcnt_lo_u32_b32 v25, v16, 0
	v_mbcnt_hi_u32_b32 v25, v17, v25
	v_cmp_eq_u32_e64 s[20:21], 0, v25
	v_lshl_add_u32 v29, v18, 2, v27
	s_and_b64 s[20:21], s[18:19], s[20:21]
	s_and_saveexec_b64 s[18:19], s[20:21]
; %bb.18:
	v_bcnt_u32_b32 v16, v16, 0
	v_bcnt_u32_b32 v16, v17, v16
	ds_write_b32 v29, v16 offset:32
; %bb.19:
	s_or_b64 exec, exec, s[18:19]
	v_lshrrev_b64 v[16:17], s44, v[3:4]
	v_and_b32_e32 v17, s54, v16
	v_mul_lo_u32 v16, v17, 36
	v_and_b32_e32 v27, 1, v17
	; wave barrier
	v_lshl_add_u32 v30, v18, 2, v16
	v_add_co_u32_e64 v16, s[18:19], -1, v27
	v_addc_co_u32_e64 v28, s[18:19], 0, -1, s[18:19]
	v_cmp_ne_u32_e64 s[18:19], 0, v27
	v_xor_b32_e32 v16, s18, v16
	v_xor_b32_e32 v27, s19, v28
	v_and_b32_e32 v28, exec_lo, v16
	v_lshlrev_b32_e32 v16, 30, v17
	v_cmp_gt_i64_e64 s[18:19], 0, v[15:16]
	v_not_b32_e32 v16, v16
	v_ashrrev_i32_e32 v16, 31, v16
	v_xor_b32_e32 v31, s19, v16
	v_xor_b32_e32 v16, s18, v16
	v_and_b32_e32 v28, v28, v16
	v_lshlrev_b32_e32 v16, 29, v17
	v_cmp_gt_i64_e64 s[18:19], 0, v[15:16]
	v_not_b32_e32 v16, v16
	v_and_b32_e32 v27, exec_hi, v27
	v_ashrrev_i32_e32 v16, 31, v16
	v_and_b32_e32 v27, v27, v31
	v_xor_b32_e32 v31, s19, v16
	v_xor_b32_e32 v16, s18, v16
	v_and_b32_e32 v28, v28, v16
	v_lshlrev_b32_e32 v16, 28, v17
	v_cmp_gt_i64_e64 s[18:19], 0, v[15:16]
	v_not_b32_e32 v16, v16
	v_ashrrev_i32_e32 v16, 31, v16
	v_and_b32_e32 v27, v27, v31
	v_xor_b32_e32 v31, s19, v16
	v_xor_b32_e32 v16, s18, v16
	v_and_b32_e32 v28, v28, v16
	v_lshlrev_b32_e32 v16, 27, v17
	v_cmp_gt_i64_e64 s[18:19], 0, v[15:16]
	v_not_b32_e32 v16, v16
	;; [unrolled: 8-line block ×5, first 2 shown]
	v_ashrrev_i32_e32 v15, 31, v15
	v_xor_b32_e32 v16, s19, v15
	v_xor_b32_e32 v15, s18, v15
	ds_read_b32 v26, v30 offset:32
	v_and_b32_e32 v27, v27, v31
	v_and_b32_e32 v15, v28, v15
	;; [unrolled: 1-line block ×3, first 2 shown]
	v_mbcnt_lo_u32_b32 v17, v15, 0
	v_mbcnt_hi_u32_b32 v27, v16, v17
	v_cmp_ne_u64_e64 s[18:19], 0, v[15:16]
	v_cmp_eq_u32_e64 s[20:21], 0, v27
	s_and_b64 s[20:21], s[18:19], s[20:21]
	; wave barrier
	s_and_saveexec_b64 s[18:19], s[20:21]
	s_cbranch_execz .LBB1144_21
; %bb.20:
	v_bcnt_u32_b32 v15, v15, 0
	v_bcnt_u32_b32 v15, v16, v15
	s_waitcnt lgkmcnt(0)
	v_add_u32_e32 v15, v26, v15
	ds_write_b32 v30, v15 offset:32
.LBB1144_21:
	s_or_b64 exec, exec, s[18:19]
	v_lshrrev_b64 v[15:16], s44, v[9:10]
	v_and_b32_e32 v17, s54, v15
	v_mul_lo_u32 v16, v17, 36
	v_and_b32_e32 v31, 1, v17
	v_mov_b32_e32 v15, 0
	; wave barrier
	v_lshl_add_u32 v33, v18, 2, v16
	v_add_co_u32_e64 v16, s[18:19], -1, v31
	v_addc_co_u32_e64 v32, s[18:19], 0, -1, s[18:19]
	v_cmp_ne_u32_e64 s[18:19], 0, v31
	v_xor_b32_e32 v16, s18, v16
	v_xor_b32_e32 v31, s19, v32
	v_and_b32_e32 v32, exec_lo, v16
	v_lshlrev_b32_e32 v16, 30, v17
	v_cmp_gt_i64_e64 s[18:19], 0, v[15:16]
	v_not_b32_e32 v16, v16
	v_ashrrev_i32_e32 v16, 31, v16
	v_xor_b32_e32 v34, s19, v16
	v_xor_b32_e32 v16, s18, v16
	v_and_b32_e32 v32, v32, v16
	v_lshlrev_b32_e32 v16, 29, v17
	v_cmp_gt_i64_e64 s[18:19], 0, v[15:16]
	v_not_b32_e32 v16, v16
	v_and_b32_e32 v31, exec_hi, v31
	v_ashrrev_i32_e32 v16, 31, v16
	v_and_b32_e32 v31, v31, v34
	v_xor_b32_e32 v34, s19, v16
	v_xor_b32_e32 v16, s18, v16
	v_and_b32_e32 v32, v32, v16
	v_lshlrev_b32_e32 v16, 28, v17
	v_cmp_gt_i64_e64 s[18:19], 0, v[15:16]
	v_not_b32_e32 v16, v16
	v_ashrrev_i32_e32 v16, 31, v16
	v_and_b32_e32 v31, v31, v34
	v_xor_b32_e32 v34, s19, v16
	v_xor_b32_e32 v16, s18, v16
	v_and_b32_e32 v32, v32, v16
	v_lshlrev_b32_e32 v16, 27, v17
	v_cmp_gt_i64_e64 s[18:19], 0, v[15:16]
	v_not_b32_e32 v16, v16
	;; [unrolled: 8-line block ×5, first 2 shown]
	v_ashrrev_i32_e32 v16, 31, v16
	v_xor_b32_e32 v17, s19, v16
	v_xor_b32_e32 v16, s18, v16
	ds_read_b32 v28, v33 offset:32
	v_and_b32_e32 v31, v31, v34
	v_and_b32_e32 v16, v32, v16
	;; [unrolled: 1-line block ×3, first 2 shown]
	v_mbcnt_lo_u32_b32 v31, v16, 0
	v_mbcnt_hi_u32_b32 v31, v17, v31
	v_cmp_ne_u64_e64 s[18:19], 0, v[16:17]
	v_cmp_eq_u32_e64 s[20:21], 0, v31
	s_and_b64 s[20:21], s[18:19], s[20:21]
	; wave barrier
	s_and_saveexec_b64 s[18:19], s[20:21]
	s_cbranch_execz .LBB1144_23
; %bb.22:
	v_bcnt_u32_b32 v16, v16, 0
	v_bcnt_u32_b32 v16, v17, v16
	s_waitcnt lgkmcnt(0)
	v_add_u32_e32 v16, v28, v16
	ds_write_b32 v33, v16 offset:32
.LBB1144_23:
	s_or_b64 exec, exec, s[18:19]
	v_lshrrev_b64 v[16:17], s44, v[7:8]
	v_and_b32_e32 v17, s54, v16
	v_mul_lo_u32 v16, v17, 36
	v_and_b32_e32 v34, 1, v17
	; wave barrier
	v_lshl_add_u32 v36, v18, 2, v16
	v_add_co_u32_e64 v16, s[18:19], -1, v34
	v_addc_co_u32_e64 v35, s[18:19], 0, -1, s[18:19]
	v_cmp_ne_u32_e64 s[18:19], 0, v34
	v_xor_b32_e32 v16, s18, v16
	v_xor_b32_e32 v34, s19, v35
	v_and_b32_e32 v35, exec_lo, v16
	v_lshlrev_b32_e32 v16, 30, v17
	v_cmp_gt_i64_e64 s[18:19], 0, v[15:16]
	v_not_b32_e32 v16, v16
	v_ashrrev_i32_e32 v16, 31, v16
	v_xor_b32_e32 v37, s19, v16
	v_xor_b32_e32 v16, s18, v16
	v_and_b32_e32 v35, v35, v16
	v_lshlrev_b32_e32 v16, 29, v17
	v_cmp_gt_i64_e64 s[18:19], 0, v[15:16]
	v_not_b32_e32 v16, v16
	v_and_b32_e32 v34, exec_hi, v34
	v_ashrrev_i32_e32 v16, 31, v16
	v_and_b32_e32 v34, v34, v37
	v_xor_b32_e32 v37, s19, v16
	v_xor_b32_e32 v16, s18, v16
	v_and_b32_e32 v35, v35, v16
	v_lshlrev_b32_e32 v16, 28, v17
	v_cmp_gt_i64_e64 s[18:19], 0, v[15:16]
	v_not_b32_e32 v16, v16
	v_ashrrev_i32_e32 v16, 31, v16
	v_and_b32_e32 v34, v34, v37
	v_xor_b32_e32 v37, s19, v16
	v_xor_b32_e32 v16, s18, v16
	v_and_b32_e32 v35, v35, v16
	v_lshlrev_b32_e32 v16, 27, v17
	v_cmp_gt_i64_e64 s[18:19], 0, v[15:16]
	v_not_b32_e32 v16, v16
	;; [unrolled: 8-line block ×5, first 2 shown]
	v_ashrrev_i32_e32 v15, 31, v15
	v_xor_b32_e32 v16, s19, v15
	v_xor_b32_e32 v15, s18, v15
	ds_read_b32 v32, v36 offset:32
	v_and_b32_e32 v34, v34, v37
	v_and_b32_e32 v15, v35, v15
	;; [unrolled: 1-line block ×3, first 2 shown]
	v_mbcnt_lo_u32_b32 v17, v15, 0
	v_mbcnt_hi_u32_b32 v34, v16, v17
	v_cmp_ne_u64_e64 s[18:19], 0, v[15:16]
	v_cmp_eq_u32_e64 s[20:21], 0, v34
	s_and_b64 s[20:21], s[18:19], s[20:21]
	; wave barrier
	s_and_saveexec_b64 s[18:19], s[20:21]
	s_cbranch_execz .LBB1144_25
; %bb.24:
	v_bcnt_u32_b32 v15, v15, 0
	v_bcnt_u32_b32 v15, v16, v15
	s_waitcnt lgkmcnt(0)
	v_add_u32_e32 v15, v32, v15
	ds_write_b32 v36, v15 offset:32
.LBB1144_25:
	s_or_b64 exec, exec, s[18:19]
	v_lshrrev_b64 v[15:16], s44, v[13:14]
	v_and_b32_e32 v17, s54, v15
	v_mul_lo_u32 v16, v17, 36
	v_and_b32_e32 v37, 1, v17
	v_mov_b32_e32 v15, 0
	; wave barrier
	v_lshl_add_u32 v39, v18, 2, v16
	v_add_co_u32_e64 v16, s[18:19], -1, v37
	v_addc_co_u32_e64 v38, s[18:19], 0, -1, s[18:19]
	v_cmp_ne_u32_e64 s[18:19], 0, v37
	v_xor_b32_e32 v16, s18, v16
	v_xor_b32_e32 v37, s19, v38
	v_and_b32_e32 v38, exec_lo, v16
	v_lshlrev_b32_e32 v16, 30, v17
	v_cmp_gt_i64_e64 s[18:19], 0, v[15:16]
	v_not_b32_e32 v16, v16
	v_ashrrev_i32_e32 v16, 31, v16
	v_xor_b32_e32 v40, s19, v16
	v_xor_b32_e32 v16, s18, v16
	v_and_b32_e32 v38, v38, v16
	v_lshlrev_b32_e32 v16, 29, v17
	v_cmp_gt_i64_e64 s[18:19], 0, v[15:16]
	v_not_b32_e32 v16, v16
	v_and_b32_e32 v37, exec_hi, v37
	v_ashrrev_i32_e32 v16, 31, v16
	v_and_b32_e32 v37, v37, v40
	v_xor_b32_e32 v40, s19, v16
	v_xor_b32_e32 v16, s18, v16
	v_and_b32_e32 v38, v38, v16
	v_lshlrev_b32_e32 v16, 28, v17
	v_cmp_gt_i64_e64 s[18:19], 0, v[15:16]
	v_not_b32_e32 v16, v16
	v_ashrrev_i32_e32 v16, 31, v16
	v_and_b32_e32 v37, v37, v40
	v_xor_b32_e32 v40, s19, v16
	v_xor_b32_e32 v16, s18, v16
	v_and_b32_e32 v38, v38, v16
	v_lshlrev_b32_e32 v16, 27, v17
	v_cmp_gt_i64_e64 s[18:19], 0, v[15:16]
	v_not_b32_e32 v16, v16
	v_ashrrev_i32_e32 v16, 31, v16
	v_and_b32_e32 v37, v37, v40
	v_xor_b32_e32 v40, s19, v16
	v_xor_b32_e32 v16, s18, v16
	v_and_b32_e32 v38, v38, v16
	v_lshlrev_b32_e32 v16, 26, v17
	v_cmp_gt_i64_e64 s[18:19], 0, v[15:16]
	v_not_b32_e32 v16, v16
	v_ashrrev_i32_e32 v16, 31, v16
	v_and_b32_e32 v37, v37, v40
	v_xor_b32_e32 v40, s19, v16
	v_xor_b32_e32 v16, s18, v16
	v_and_b32_e32 v38, v38, v16
	v_lshlrev_b32_e32 v16, 25, v17
	v_cmp_gt_i64_e64 s[18:19], 0, v[15:16]
	v_not_b32_e32 v16, v16
	v_ashrrev_i32_e32 v16, 31, v16
	v_and_b32_e32 v37, v37, v40
	v_xor_b32_e32 v40, s19, v16
	v_xor_b32_e32 v16, s18, v16
	v_and_b32_e32 v38, v38, v16
	v_lshlrev_b32_e32 v16, 24, v17
	v_cmp_gt_i64_e64 s[18:19], 0, v[15:16]
	v_not_b32_e32 v16, v16
	v_ashrrev_i32_e32 v16, 31, v16
	v_xor_b32_e32 v17, s19, v16
	v_xor_b32_e32 v16, s18, v16
	ds_read_b32 v35, v39 offset:32
	v_and_b32_e32 v37, v37, v40
	v_and_b32_e32 v16, v38, v16
	;; [unrolled: 1-line block ×3, first 2 shown]
	v_mbcnt_lo_u32_b32 v37, v16, 0
	v_mbcnt_hi_u32_b32 v37, v17, v37
	v_cmp_ne_u64_e64 s[18:19], 0, v[16:17]
	v_cmp_eq_u32_e64 s[20:21], 0, v37
	s_and_b64 s[20:21], s[18:19], s[20:21]
	; wave barrier
	s_and_saveexec_b64 s[18:19], s[20:21]
	s_cbranch_execz .LBB1144_27
; %bb.26:
	v_bcnt_u32_b32 v16, v16, 0
	v_bcnt_u32_b32 v16, v17, v16
	s_waitcnt lgkmcnt(0)
	v_add_u32_e32 v16, v35, v16
	ds_write_b32 v39, v16 offset:32
.LBB1144_27:
	s_or_b64 exec, exec, s[18:19]
	v_lshrrev_b64 v[16:17], s44, v[11:12]
	v_and_b32_e32 v17, s54, v16
	v_mul_lo_u32 v16, v17, 36
	v_and_b32_e32 v40, 1, v17
	; wave barrier
	v_lshl_add_u32 v41, v18, 2, v16
	v_add_co_u32_e64 v16, s[18:19], -1, v40
	v_addc_co_u32_e64 v18, s[18:19], 0, -1, s[18:19]
	v_cmp_ne_u32_e64 s[18:19], 0, v40
	v_xor_b32_e32 v16, s18, v16
	v_and_b32_e32 v40, exec_lo, v16
	v_lshlrev_b32_e32 v16, 30, v17
	v_xor_b32_e32 v18, s19, v18
	v_cmp_gt_i64_e64 s[18:19], 0, v[15:16]
	v_not_b32_e32 v16, v16
	v_ashrrev_i32_e32 v16, 31, v16
	v_xor_b32_e32 v42, s19, v16
	v_xor_b32_e32 v16, s18, v16
	v_and_b32_e32 v40, v40, v16
	v_lshlrev_b32_e32 v16, 29, v17
	v_cmp_gt_i64_e64 s[18:19], 0, v[15:16]
	v_not_b32_e32 v16, v16
	v_and_b32_e32 v18, exec_hi, v18
	v_ashrrev_i32_e32 v16, 31, v16
	v_and_b32_e32 v18, v18, v42
	v_xor_b32_e32 v42, s19, v16
	v_xor_b32_e32 v16, s18, v16
	v_and_b32_e32 v40, v40, v16
	v_lshlrev_b32_e32 v16, 28, v17
	v_cmp_gt_i64_e64 s[18:19], 0, v[15:16]
	v_not_b32_e32 v16, v16
	v_ashrrev_i32_e32 v16, 31, v16
	v_and_b32_e32 v18, v18, v42
	v_xor_b32_e32 v42, s19, v16
	v_xor_b32_e32 v16, s18, v16
	v_and_b32_e32 v40, v40, v16
	v_lshlrev_b32_e32 v16, 27, v17
	v_cmp_gt_i64_e64 s[18:19], 0, v[15:16]
	v_not_b32_e32 v16, v16
	;; [unrolled: 8-line block ×5, first 2 shown]
	v_ashrrev_i32_e32 v15, 31, v15
	v_xor_b32_e32 v16, s19, v15
	v_xor_b32_e32 v15, s18, v15
	ds_read_b32 v38, v41 offset:32
	v_and_b32_e32 v18, v18, v42
	v_and_b32_e32 v15, v40, v15
	;; [unrolled: 1-line block ×3, first 2 shown]
	v_mbcnt_lo_u32_b32 v17, v15, 0
	v_mbcnt_hi_u32_b32 v40, v16, v17
	v_cmp_ne_u64_e64 s[18:19], 0, v[15:16]
	v_cmp_eq_u32_e64 s[20:21], 0, v40
	s_and_b64 s[20:21], s[18:19], s[20:21]
	; wave barrier
	s_and_saveexec_b64 s[18:19], s[20:21]
	s_cbranch_execz .LBB1144_29
; %bb.28:
	v_bcnt_u32_b32 v15, v15, 0
	v_bcnt_u32_b32 v15, v16, v15
	s_waitcnt lgkmcnt(0)
	v_add_u32_e32 v15, v38, v15
	ds_write_b32 v41, v15 offset:32
.LBB1144_29:
	s_or_b64 exec, exec, s[18:19]
	; wave barrier
	s_waitcnt lgkmcnt(0)
	s_barrier
	ds_read2_b32 v[17:18], v24 offset0:8 offset1:9
	ds_read2_b32 v[15:16], v24 offset0:10 offset1:11
	ds_read_b32 v42, v24 offset:48
	v_min_u32_e32 v20, 0x1c0, v20
	v_or_b32_e32 v20, 63, v20
	s_waitcnt lgkmcnt(1)
	v_add3_u32 v43, v18, v17, v15
	s_waitcnt lgkmcnt(0)
	v_add3_u32 v42, v43, v16, v42
	v_and_b32_e32 v43, 15, v19
	v_cmp_ne_u32_e64 s[18:19], 0, v43
	v_mov_b32_dpp v44, v42 row_shr:1 row_mask:0xf bank_mask:0xf
	v_cndmask_b32_e64 v44, 0, v44, s[18:19]
	v_add_u32_e32 v42, v44, v42
	v_cmp_lt_u32_e64 s[18:19], 1, v43
	s_nop 0
	v_mov_b32_dpp v44, v42 row_shr:2 row_mask:0xf bank_mask:0xf
	v_cndmask_b32_e64 v44, 0, v44, s[18:19]
	v_add_u32_e32 v42, v42, v44
	v_cmp_lt_u32_e64 s[18:19], 3, v43
	s_nop 0
	;; [unrolled: 5-line block ×3, first 2 shown]
	v_mov_b32_dpp v44, v42 row_shr:8 row_mask:0xf bank_mask:0xf
	v_cndmask_b32_e64 v43, 0, v44, s[18:19]
	v_add_u32_e32 v42, v42, v43
	v_bfe_i32 v44, v19, 4, 1
	v_cmp_lt_u32_e64 s[18:19], 31, v19
	v_mov_b32_dpp v43, v42 row_bcast:15 row_mask:0xf bank_mask:0xf
	v_and_b32_e32 v43, v44, v43
	v_add_u32_e32 v42, v42, v43
	s_nop 1
	v_mov_b32_dpp v43, v42 row_bcast:31 row_mask:0xf bank_mask:0xf
	v_cndmask_b32_e64 v43, 0, v43, s[18:19]
	v_add_u32_e32 v42, v42, v43
	v_lshrrev_b32_e32 v43, 6, v0
	v_cmp_eq_u32_e64 s[18:19], v0, v20
	s_and_saveexec_b64 s[20:21], s[18:19]
; %bb.30:
	v_lshlrev_b32_e32 v20, 2, v43
	ds_write_b32 v20, v42
; %bb.31:
	s_or_b64 exec, exec, s[20:21]
	v_cmp_gt_u32_e64 s[18:19], 8, v0
	s_waitcnt lgkmcnt(0)
	s_barrier
	s_and_saveexec_b64 s[20:21], s[18:19]
	s_cbranch_execz .LBB1144_33
; %bb.32:
	v_lshlrev_b32_e32 v20, 2, v0
	ds_read_b32 v44, v20
	v_and_b32_e32 v45, 7, v19
	v_cmp_ne_u32_e64 s[18:19], 0, v45
	s_waitcnt lgkmcnt(0)
	v_mov_b32_dpp v46, v44 row_shr:1 row_mask:0xf bank_mask:0xf
	v_cndmask_b32_e64 v46, 0, v46, s[18:19]
	v_add_u32_e32 v44, v46, v44
	v_cmp_lt_u32_e64 s[18:19], 1, v45
	s_nop 0
	v_mov_b32_dpp v46, v44 row_shr:2 row_mask:0xf bank_mask:0xf
	v_cndmask_b32_e64 v46, 0, v46, s[18:19]
	v_add_u32_e32 v44, v44, v46
	v_cmp_lt_u32_e64 s[18:19], 3, v45
	s_nop 0
	v_mov_b32_dpp v46, v44 row_shr:4 row_mask:0xf bank_mask:0xf
	v_cndmask_b32_e64 v45, 0, v46, s[18:19]
	v_add_u32_e32 v44, v44, v45
	ds_write_b32 v20, v44
.LBB1144_33:
	s_or_b64 exec, exec, s[20:21]
	v_cmp_lt_u32_e64 s[18:19], 63, v0
	v_mov_b32_e32 v20, 0
	s_waitcnt lgkmcnt(0)
	s_barrier
	s_and_saveexec_b64 s[20:21], s[18:19]
; %bb.34:
	v_lshl_add_u32 v20, v43, 2, -4
	ds_read_b32 v20, v20
; %bb.35:
	s_or_b64 exec, exec, s[20:21]
	v_subrev_co_u32_e64 v43, s[18:19], 1, v19
	v_and_b32_e32 v44, 64, v19
	v_cmp_lt_i32_e64 s[20:21], v43, v44
	v_cndmask_b32_e64 v19, v43, v19, s[20:21]
	s_waitcnt lgkmcnt(0)
	v_add_u32_e32 v42, v20, v42
	v_lshlrev_b32_e32 v19, 2, v19
	ds_bpermute_b32 v19, v19, v42
	s_movk_i32 s24, 0x100
	v_cmp_gt_u32_e64 s[20:21], s24, v0
	s_waitcnt lgkmcnt(0)
	v_cndmask_b32_e64 v19, v19, v20, s[18:19]
	v_cndmask_b32_e64 v19, v19, 0, s[22:23]
	v_add_u32_e32 v17, v19, v17
	v_add_u32_e32 v18, v17, v18
	v_add_u32_e32 v15, v18, v15
	v_add_u32_e32 v16, v15, v16
	ds_write2_b32 v24, v19, v17 offset0:8 offset1:9
	ds_write2_b32 v24, v18, v15 offset0:10 offset1:11
	ds_write_b32 v24, v16 offset:48
	s_waitcnt lgkmcnt(0)
	s_barrier
	ds_read_b32 v43, v29 offset:32
	ds_read_b32 v42, v30 offset:32
	;; [unrolled: 1-line block ×6, first 2 shown]
	s_movk_i32 s18, 0xff
	v_cmp_lt_u32_e64 s[18:19], s18, v0
                                        ; implicit-def: $vgpr24
                                        ; implicit-def: $vgpr29
	s_and_saveexec_b64 s[48:49], s[20:21]
	s_cbranch_execz .LBB1144_39
; %bb.36:
	v_mul_u32_u24_e32 v15, 36, v0
	ds_read_b32 v24, v15 offset:32
	v_add_u32_e32 v16, 1, v0
	v_cmp_ne_u32_e64 s[24:25], s24, v16
	v_mov_b32_e32 v15, 0xc00
	s_and_saveexec_b64 s[50:51], s[24:25]
; %bb.37:
	v_mul_u32_u24_e32 v15, 36, v16
	ds_read_b32 v15, v15 offset:32
; %bb.38:
	s_or_b64 exec, exec, s[50:51]
	s_waitcnt lgkmcnt(0)
	v_sub_u32_e32 v29, v15, v24
.LBB1144_39:
	s_or_b64 exec, exec, s[48:49]
	v_mov_b32_e32 v16, 0
	v_lshlrev_b32_e32 v30, 2, v0
	s_waitcnt lgkmcnt(0)
	s_barrier
	s_and_saveexec_b64 s[24:25], s[20:21]
	s_cbranch_execz .LBB1144_49
; %bb.40:
	v_lshl_add_u32 v15, s33, 8, v0
	v_lshlrev_b64 v[17:18], 2, v[15:16]
	v_mov_b32_e32 v44, s27
	v_add_co_u32_e64 v17, s[20:21], s26, v17
	v_addc_co_u32_e64 v18, s[20:21], v44, v18, s[20:21]
	v_or_b32_e32 v15, 2.0, v29
	s_mov_b64 s[48:49], 0
	s_brev_b32 s55, -4
	s_mov_b32 s56, s33
	v_mov_b32_e32 v45, 0
	global_store_dword v[17:18], v15, off
                                        ; implicit-def: $sgpr20_sgpr21
	s_branch .LBB1144_43
.LBB1144_41:                            ;   in Loop: Header=BB1144_43 Depth=1
	s_or_b64 exec, exec, s[52:53]
.LBB1144_42:                            ;   in Loop: Header=BB1144_43 Depth=1
	s_or_b64 exec, exec, s[50:51]
	v_and_b32_e32 v19, 0x3fffffff, v15
	v_add_u32_e32 v45, v19, v45
	v_cmp_gt_i32_e64 s[20:21], -2.0, v15
	s_and_b64 s[50:51], exec, s[20:21]
	s_or_b64 s[48:49], s[50:51], s[48:49]
	s_andn2_b64 exec, exec, s[48:49]
	s_cbranch_execz .LBB1144_48
.LBB1144_43:                            ; =>This Loop Header: Depth=1
                                        ;     Child Loop BB1144_46 Depth 2
	s_or_b64 s[20:21], s[20:21], exec
	s_cmp_eq_u32 s56, 0
	s_cbranch_scc1 .LBB1144_47
; %bb.44:                               ;   in Loop: Header=BB1144_43 Depth=1
	s_add_i32 s56, s56, -1
	v_lshl_or_b32 v15, s56, 8, v0
	v_lshlrev_b64 v[19:20], 2, v[15:16]
	v_add_co_u32_e64 v19, s[20:21], s26, v19
	v_addc_co_u32_e64 v20, s[20:21], v44, v20, s[20:21]
	global_load_dword v15, v[19:20], off glc
	s_waitcnt vmcnt(0)
	v_cmp_gt_u32_e64 s[20:21], 2.0, v15
	s_and_saveexec_b64 s[50:51], s[20:21]
	s_cbranch_execz .LBB1144_42
; %bb.45:                               ;   in Loop: Header=BB1144_43 Depth=1
	s_mov_b64 s[52:53], 0
.LBB1144_46:                            ;   Parent Loop BB1144_43 Depth=1
                                        ; =>  This Inner Loop Header: Depth=2
	global_load_dword v15, v[19:20], off glc
	s_waitcnt vmcnt(0)
	v_cmp_lt_u32_e64 s[20:21], s55, v15
	s_or_b64 s[52:53], s[20:21], s[52:53]
	s_andn2_b64 exec, exec, s[52:53]
	s_cbranch_execnz .LBB1144_46
	s_branch .LBB1144_41
.LBB1144_47:                            ;   in Loop: Header=BB1144_43 Depth=1
                                        ; implicit-def: $sgpr56
	s_and_b64 s[50:51], exec, s[20:21]
	s_or_b64 s[48:49], s[50:51], s[48:49]
	s_andn2_b64 exec, exec, s[48:49]
	s_cbranch_execnz .LBB1144_43
.LBB1144_48:
	s_or_b64 exec, exec, s[48:49]
	v_add_u32_e32 v15, v45, v29
	v_or_b32_e32 v15, 0x80000000, v15
	global_store_dword v[17:18], v15, off
	global_load_dword v15, v30, s[28:29]
	v_sub_u32_e32 v16, v45, v24
	s_waitcnt vmcnt(0)
	v_add_u32_e32 v15, v16, v15
	ds_write_b32 v30, v15
.LBB1144_49:
	s_or_b64 exec, exec, s[24:25]
	v_add_u32_e32 v17, v43, v25
	v_add3_u32 v18, v40, v41, v38
	v_add3_u32 v19, v37, v39, v35
	;; [unrolled: 1-line block ×5, first 2 shown]
	s_mov_b32 s48, 0
	s_mov_b32 s49, 0
	v_add_u32_e32 v27, v30, v30
	v_mov_b32_e32 v16, 0
	s_movk_i32 s50, 0x200
	v_mov_b32_e32 v28, v0
	s_branch .LBB1144_51
.LBB1144_50:                            ;   in Loop: Header=BB1144_51 Depth=1
	s_or_b64 exec, exec, s[24:25]
	s_addk_i32 s49, 0xfc00
	s_add_i32 s48, s48, 8
	s_cmpk_eq_i32 s49, 0xf400
	v_add_u32_e32 v28, 0x400, v28
	s_waitcnt vmcnt(0)
	s_barrier
	s_cbranch_scc1 .LBB1144_55
.LBB1144_51:                            ; =>This Inner Loop Header: Depth=1
	v_add_u32_e32 v15, s49, v17
	v_min_u32_e32 v15, 0x400, v15
	v_lshlrev_b32_e32 v15, 3, v15
	ds_write_b64 v15, v[5:6] offset:1024
	v_add_u32_e32 v15, s49, v26
	v_min_u32_e32 v15, 0x400, v15
	v_lshlrev_b32_e32 v15, 3, v15
	ds_write_b64 v15, v[3:4] offset:1024
	v_add_u32_e32 v15, s49, v25
	v_min_u32_e32 v15, 0x400, v15
	v_lshlrev_b32_e32 v15, 3, v15
	ds_write_b64 v15, v[9:10] offset:1024
	v_add_u32_e32 v15, s49, v20
	v_min_u32_e32 v15, 0x400, v15
	v_lshlrev_b32_e32 v15, 3, v15
	ds_write_b64 v15, v[7:8] offset:1024
	v_add_u32_e32 v15, s49, v19
	v_min_u32_e32 v15, 0x400, v15
	v_lshlrev_b32_e32 v15, 3, v15
	ds_write_b64 v15, v[13:14] offset:1024
	v_add_u32_e32 v15, s49, v18
	v_min_u32_e32 v15, 0x400, v15
	v_lshlrev_b32_e32 v15, 3, v15
	v_cmp_gt_u32_e64 s[20:21], s7, v28
	ds_write_b64 v15, v[11:12] offset:1024
	s_waitcnt lgkmcnt(0)
	s_barrier
	s_and_saveexec_b64 s[24:25], s[20:21]
	s_cbranch_execz .LBB1144_53
; %bb.52:                               ;   in Loop: Header=BB1144_51 Depth=1
	ds_read_b64 v[31:32], v27 offset:1024
	v_mov_b32_e32 v36, s39
	v_mov_b32_e32 v37, s48
	s_waitcnt lgkmcnt(0)
	v_lshrrev_b64 v[33:34], s44, v[31:32]
	v_xor_b32_e32 v32, 0x80000000, v32
	v_and_b32_e32 v35, s54, v33
	v_lshlrev_b32_e32 v15, 2, v35
	ds_read_b32 v15, v15
	buffer_store_dword v35, v37, s[0:3], 0 offen
	s_waitcnt lgkmcnt(0)
	v_add_u32_e32 v15, v28, v15
	v_lshlrev_b64 v[33:34], 3, v[15:16]
	v_add_co_u32_e64 v33, s[20:21], s38, v33
	v_addc_co_u32_e64 v34, s[20:21], v36, v34, s[20:21]
	global_store_dwordx2 v[33:34], v[31:32], off
.LBB1144_53:                            ;   in Loop: Header=BB1144_51 Depth=1
	s_or_b64 exec, exec, s[24:25]
	v_add_u32_e32 v15, 0x200, v28
	v_cmp_gt_u32_e64 s[20:21], s7, v15
	s_and_saveexec_b64 s[24:25], s[20:21]
	s_cbranch_execz .LBB1144_50
; %bb.54:                               ;   in Loop: Header=BB1144_51 Depth=1
	ds_read_b64 v[31:32], v27 offset:5120
	v_mov_b32_e32 v36, s39
	v_mov_b32_e32 v37, s48
	s_waitcnt lgkmcnt(0)
	v_lshrrev_b64 v[33:34], s44, v[31:32]
	v_xor_b32_e32 v32, 0x80000000, v32
	v_and_b32_e32 v35, s54, v33
	v_lshlrev_b32_e32 v15, 2, v35
	ds_read_b32 v15, v15
	buffer_store_dword v35, v37, s[0:3], 0 offen offset:4
	s_waitcnt lgkmcnt(0)
	v_add3_u32 v15, v28, v15, s50
	v_lshlrev_b64 v[33:34], 3, v[15:16]
	v_add_co_u32_e64 v33, s[20:21], s38, v33
	v_addc_co_u32_e64 v34, s[20:21], v36, v34, s[20:21]
	global_store_dwordx2 v[33:34], v[31:32], off
	s_branch .LBB1144_50
.LBB1144_55:
	s_add_u32 s20, s40, s46
	s_addc_u32 s21, s41, s47
	v_mov_b32_e32 v3, s21
	v_add_co_u32_e64 v4, s[20:21], s20, v22
	v_addc_co_u32_e64 v3, s[20:21], 0, v3, s[20:21]
	v_add_co_u32_e64 v15, s[20:21], v4, v23
	v_addc_co_u32_e64 v16, s[20:21], 0, v3, s[20:21]
                                        ; implicit-def: $vgpr3_vgpr4
	s_and_saveexec_b64 s[20:21], vcc
	s_cbranch_execz .LBB1144_61
; %bb.56:
	global_load_dwordx2 v[3:4], v[15:16], off
	s_or_b64 exec, exec, s[20:21]
                                        ; implicit-def: $vgpr5_vgpr6
	s_and_saveexec_b64 s[20:21], s[8:9]
	s_cbranch_execnz .LBB1144_62
.LBB1144_57:
	s_or_b64 exec, exec, s[20:21]
                                        ; implicit-def: $vgpr7_vgpr8
	s_and_saveexec_b64 s[8:9], s[10:11]
	s_cbranch_execz .LBB1144_63
.LBB1144_58:
	global_load_dwordx2 v[7:8], v[15:16], off offset:1024
	s_or_b64 exec, exec, s[8:9]
                                        ; implicit-def: $vgpr9_vgpr10
	s_and_saveexec_b64 s[8:9], s[12:13]
	s_cbranch_execnz .LBB1144_64
.LBB1144_59:
	s_or_b64 exec, exec, s[8:9]
                                        ; implicit-def: $vgpr11_vgpr12
	s_and_saveexec_b64 s[8:9], s[14:15]
	s_cbranch_execz .LBB1144_65
.LBB1144_60:
	global_load_dwordx2 v[11:12], v[15:16], off offset:2048
	s_or_b64 exec, exec, s[8:9]
                                        ; implicit-def: $vgpr13_vgpr14
	s_and_saveexec_b64 s[8:9], s[16:17]
	s_cbranch_execnz .LBB1144_66
	s_branch .LBB1144_67
.LBB1144_61:
	s_or_b64 exec, exec, s[20:21]
                                        ; implicit-def: $vgpr5_vgpr6
	s_and_saveexec_b64 s[20:21], s[8:9]
	s_cbranch_execz .LBB1144_57
.LBB1144_62:
	global_load_dwordx2 v[5:6], v[15:16], off offset:512
	s_or_b64 exec, exec, s[20:21]
                                        ; implicit-def: $vgpr7_vgpr8
	s_and_saveexec_b64 s[8:9], s[10:11]
	s_cbranch_execnz .LBB1144_58
.LBB1144_63:
	s_or_b64 exec, exec, s[8:9]
                                        ; implicit-def: $vgpr9_vgpr10
	s_and_saveexec_b64 s[8:9], s[12:13]
	s_cbranch_execz .LBB1144_59
.LBB1144_64:
	global_load_dwordx2 v[9:10], v[15:16], off offset:1536
	s_or_b64 exec, exec, s[8:9]
                                        ; implicit-def: $vgpr11_vgpr12
	s_and_saveexec_b64 s[8:9], s[14:15]
	s_cbranch_execnz .LBB1144_60
.LBB1144_65:
	s_or_b64 exec, exec, s[8:9]
                                        ; implicit-def: $vgpr13_vgpr14
	s_and_saveexec_b64 s[8:9], s[16:17]
	s_cbranch_execz .LBB1144_67
.LBB1144_66:
	global_load_dwordx2 v[13:14], v[15:16], off offset:2560
.LBB1144_67:
	s_or_b64 exec, exec, s[8:9]
	s_mov_b32 s10, 0
	s_mov_b32 s11, 0
	v_mov_b32_e32 v16, 0
	s_movk_i32 s12, 0x200
	v_mov_b32_e32 v22, v0
	s_branch .LBB1144_69
.LBB1144_68:                            ;   in Loop: Header=BB1144_69 Depth=1
	s_or_b64 exec, exec, s[8:9]
	s_addk_i32 s11, 0xfc00
	s_add_i32 s10, s10, 8
	s_cmpk_eq_i32 s11, 0xf400
	v_add_u32_e32 v22, 0x400, v22
	s_waitcnt vmcnt(0)
	s_barrier
	s_cbranch_scc1 .LBB1144_73
.LBB1144_69:                            ; =>This Inner Loop Header: Depth=1
	v_add_u32_e32 v15, s11, v17
	v_min_u32_e32 v15, 0x400, v15
	v_lshlrev_b32_e32 v15, 3, v15
	s_waitcnt vmcnt(0)
	ds_write_b64 v15, v[3:4] offset:1024
	v_add_u32_e32 v15, s11, v26
	v_min_u32_e32 v15, 0x400, v15
	v_lshlrev_b32_e32 v15, 3, v15
	ds_write_b64 v15, v[5:6] offset:1024
	v_add_u32_e32 v15, s11, v25
	v_min_u32_e32 v15, 0x400, v15
	v_lshlrev_b32_e32 v15, 3, v15
	;; [unrolled: 4-line block ×5, first 2 shown]
	v_cmp_gt_u32_e32 vcc, s7, v22
	ds_write_b64 v15, v[13:14] offset:1024
	s_waitcnt lgkmcnt(0)
	s_barrier
	s_and_saveexec_b64 s[8:9], vcc
	s_cbranch_execz .LBB1144_71
; %bb.70:                               ;   in Loop: Header=BB1144_69 Depth=1
	v_mov_b32_e32 v15, s10
	buffer_load_dword v15, v15, s[0:3], 0 offen
	v_mov_b32_e32 v23, s43
	s_waitcnt vmcnt(0)
	v_lshlrev_b32_e32 v15, 2, v15
	ds_read_b32 v15, v15
	ds_read_b64 v[31:32], v27 offset:1024
	s_waitcnt lgkmcnt(1)
	v_add_u32_e32 v15, v22, v15
	v_lshlrev_b64 v[33:34], 3, v[15:16]
	v_add_co_u32_e32 v33, vcc, s42, v33
	v_addc_co_u32_e32 v34, vcc, v23, v34, vcc
	s_waitcnt lgkmcnt(0)
	global_store_dwordx2 v[33:34], v[31:32], off
.LBB1144_71:                            ;   in Loop: Header=BB1144_69 Depth=1
	s_or_b64 exec, exec, s[8:9]
	v_add_u32_e32 v15, 0x200, v22
	v_cmp_gt_u32_e32 vcc, s7, v15
	s_and_saveexec_b64 s[8:9], vcc
	s_cbranch_execz .LBB1144_68
; %bb.72:                               ;   in Loop: Header=BB1144_69 Depth=1
	v_mov_b32_e32 v15, s10
	buffer_load_dword v15, v15, s[0:3], 0 offen offset:4
	v_mov_b32_e32 v23, s43
	s_waitcnt vmcnt(0)
	v_lshlrev_b32_e32 v15, 2, v15
	ds_read_b32 v15, v15
	ds_read_b64 v[31:32], v27 offset:5120
	s_waitcnt lgkmcnt(1)
	v_add3_u32 v15, v22, v15, s12
	v_lshlrev_b64 v[33:34], 3, v[15:16]
	v_add_co_u32_e32 v33, vcc, s42, v33
	v_addc_co_u32_e32 v34, vcc, v23, v34, vcc
	s_waitcnt lgkmcnt(0)
	global_store_dwordx2 v[33:34], v[31:32], off
	s_branch .LBB1144_68
.LBB1144_73:
	s_add_i32 s35, s35, -1
	s_cmp_eq_u32 s33, s35
	s_cselect_b64 s[8:9], -1, 0
	s_xor_b64 s[10:11], s[18:19], -1
	s_and_b64 s[10:11], s[10:11], s[8:9]
	s_and_saveexec_b64 s[8:9], s[10:11]
	s_cbranch_execz .LBB1144_75
; %bb.74:
	ds_read_b32 v3, v30
	s_waitcnt lgkmcnt(0)
	v_add3_u32 v3, v24, v29, v3
	global_store_dword v30, v3, s[30:31]
.LBB1144_75:
	s_or_b64 exec, exec, s[8:9]
	s_mov_b64 s[8:9], 0
.LBB1144_76:
	s_and_b64 vcc, exec, s[8:9]
	s_cbranch_vccz .LBB1144_115
; %bb.77:
	s_mov_b32 s35, 0
	s_lshl_b64 s[8:9], s[34:35], 3
	v_mbcnt_hi_u32_b32 v17, -1, v21
	s_add_u32 s7, s36, s8
	v_and_b32_e32 v3, 63, v17
	s_addc_u32 s10, s37, s9
	v_and_b32_e32 v18, 0x1c0, v0
	v_lshlrev_b32_e32 v19, 3, v3
	v_mul_u32_u24_e32 v4, 6, v18
	v_mov_b32_e32 v3, s10
	v_add_co_u32_e32 v5, vcc, s7, v19
	v_addc_co_u32_e32 v3, vcc, 0, v3, vcc
	v_lshlrev_b32_e32 v20, 3, v4
	v_add_co_u32_e32 v21, vcc, v5, v20
	v_addc_co_u32_e32 v22, vcc, 0, v3, vcc
	global_load_dwordx2 v[3:4], v[21:22], off
	s_load_dword s7, s[4:5], 0x64
	s_load_dword s16, s[4:5], 0x58
	s_add_u32 s4, s4, 0x58
	s_addc_u32 s5, s5, 0
	v_mov_b32_e32 v15, 0
	s_waitcnt lgkmcnt(0)
	s_lshr_b32 s10, s7, 16
	s_cmp_lt_u32 s6, s16
	s_cselect_b32 s6, 12, 18
	s_add_u32 s4, s4, s6
	s_addc_u32 s5, s5, 0
	global_load_ushort v23, v15, s[4:5]
	global_load_dwordx2 v[5:6], v[21:22], off offset:512
	global_load_dwordx2 v[7:8], v[21:22], off offset:1024
	;; [unrolled: 1-line block ×5, first 2 shown]
	s_lshl_b32 s4, -1, s45
	s_not_b32 s17, s4
	v_mad_u32_u24 v1, v2, s10, v1
	s_waitcnt vmcnt(6)
	v_xor_b32_e32 v4, 0x80000000, v4
	v_lshrrev_b64 v[21:22], s44, v[3:4]
	v_and_b32_e32 v24, s17, v21
	v_and_b32_e32 v21, 1, v24
	v_lshlrev_b32_e32 v16, 30, v24
	v_cmp_ne_u32_e32 vcc, 0, v21
	v_add_co_u32_e64 v21, s[6:7], -1, v21
	v_cmp_gt_i64_e64 s[4:5], 0, v[15:16]
	v_addc_co_u32_e64 v22, s[6:7], 0, -1, s[6:7]
	v_not_b32_e32 v25, v16
	v_lshlrev_b32_e32 v16, 29, v24
	v_xor_b32_e32 v22, vcc_hi, v22
	v_ashrrev_i32_e32 v25, 31, v25
	v_xor_b32_e32 v21, vcc_lo, v21
	v_cmp_gt_i64_e32 vcc, 0, v[15:16]
	v_not_b32_e32 v26, v16
	v_lshlrev_b32_e32 v16, 28, v24
	v_and_b32_e32 v22, exec_hi, v22
	v_xor_b32_e32 v27, s5, v25
	v_and_b32_e32 v21, exec_lo, v21
	v_xor_b32_e32 v25, s4, v25
	v_ashrrev_i32_e32 v26, 31, v26
	v_cmp_gt_i64_e64 s[4:5], 0, v[15:16]
	v_not_b32_e32 v28, v16
	v_lshlrev_b32_e32 v16, 27, v24
	v_and_b32_e32 v22, v22, v27
	v_and_b32_e32 v21, v21, v25
	v_xor_b32_e32 v25, vcc_hi, v26
	v_xor_b32_e32 v26, vcc_lo, v26
	v_ashrrev_i32_e32 v27, 31, v28
	v_cmp_gt_i64_e32 vcc, 0, v[15:16]
	v_not_b32_e32 v28, v16
	v_lshlrev_b32_e32 v16, 26, v24
	v_and_b32_e32 v22, v22, v25
	v_and_b32_e32 v21, v21, v26
	v_xor_b32_e32 v25, s5, v27
	v_xor_b32_e32 v26, s4, v27
	v_ashrrev_i32_e32 v27, 31, v28
	v_cmp_gt_i64_e64 s[4:5], 0, v[15:16]
	v_not_b32_e32 v28, v16
	v_lshlrev_b32_e32 v16, 25, v24
	v_and_b32_e32 v22, v22, v25
	v_and_b32_e32 v21, v21, v26
	v_xor_b32_e32 v25, vcc_hi, v27
	v_xor_b32_e32 v26, vcc_lo, v27
	v_ashrrev_i32_e32 v27, 31, v28
	v_cmp_gt_i64_e32 vcc, 0, v[15:16]
	v_not_b32_e32 v28, v16
	v_lshlrev_b32_e32 v16, 24, v24
	v_and_b32_e32 v22, v22, v25
	v_and_b32_e32 v21, v21, v26
	v_xor_b32_e32 v25, s5, v27
	v_xor_b32_e32 v26, s4, v27
	v_ashrrev_i32_e32 v27, 31, v28
	v_cmp_gt_i64_e64 s[4:5], 0, v[15:16]
	v_and_b32_e32 v22, v22, v25
	v_and_b32_e32 v21, v21, v26
	v_xor_b32_e32 v25, vcc_hi, v27
	v_xor_b32_e32 v26, vcc_lo, v27
	v_not_b32_e32 v16, v16
	v_and_b32_e32 v25, v22, v25
	v_and_b32_e32 v26, v21, v26
	v_ashrrev_i32_e32 v16, 31, v16
	s_waitcnt vmcnt(5)
	v_mad_u64_u32 v[21:22], s[6:7], v1, v23, v[0:1]
	v_xor_b32_e32 v27, s5, v16
	v_xor_b32_e32 v1, s4, v16
	v_mul_lo_u32 v16, v24, 36
	v_and_b32_e32 v1, v26, v1
	v_lshrrev_b32_e32 v32, 6, v21
	v_and_b32_e32 v2, v25, v27
	v_lshl_add_u32 v26, v32, 2, v16
	v_mbcnt_lo_u32_b32 v16, v1, 0
	v_mbcnt_hi_u32_b32 v21, v2, v16
	v_cmp_ne_u64_e32 vcc, 0, v[1:2]
	v_cmp_eq_u32_e64 s[4:5], 0, v21
	v_mul_u32_u24_e32 v25, 20, v0
	s_and_b64 s[6:7], vcc, s[4:5]
	ds_write2_b32 v25, v15, v15 offset0:8 offset1:9
	ds_write2_b32 v25, v15, v15 offset0:10 offset1:11
	ds_write_b32 v25, v15 offset:48
	s_waitcnt vmcnt(0) lgkmcnt(0)
	s_barrier
	; wave barrier
	s_and_saveexec_b64 s[4:5], s[6:7]
; %bb.78:
	v_bcnt_u32_b32 v1, v1, 0
	v_bcnt_u32_b32 v1, v2, v1
	ds_write_b32 v26, v1 offset:32
; %bb.79:
	s_or_b64 exec, exec, s[4:5]
	v_xor_b32_e32 v6, 0x80000000, v6
	v_lshrrev_b64 v[1:2], s44, v[5:6]
	v_and_b32_e32 v1, s17, v1
	v_mul_lo_u32 v2, v1, 36
	v_and_b32_e32 v16, 1, v1
	; wave barrier
	v_lshl_add_u32 v27, v32, 2, v2
	v_add_co_u32_e32 v2, vcc, -1, v16
	v_addc_co_u32_e64 v23, s[4:5], 0, -1, vcc
	v_cmp_ne_u32_e32 vcc, 0, v16
	v_xor_b32_e32 v16, vcc_hi, v23
	v_and_b32_e32 v23, exec_hi, v16
	v_lshlrev_b32_e32 v16, 30, v1
	v_xor_b32_e32 v2, vcc_lo, v2
	v_cmp_gt_i64_e32 vcc, 0, v[15:16]
	v_not_b32_e32 v16, v16
	v_ashrrev_i32_e32 v16, 31, v16
	v_and_b32_e32 v2, exec_lo, v2
	v_xor_b32_e32 v24, vcc_hi, v16
	v_xor_b32_e32 v16, vcc_lo, v16
	v_and_b32_e32 v2, v2, v16
	v_lshlrev_b32_e32 v16, 29, v1
	v_cmp_gt_i64_e32 vcc, 0, v[15:16]
	v_not_b32_e32 v16, v16
	v_ashrrev_i32_e32 v16, 31, v16
	v_and_b32_e32 v23, v23, v24
	v_xor_b32_e32 v24, vcc_hi, v16
	v_xor_b32_e32 v16, vcc_lo, v16
	v_and_b32_e32 v2, v2, v16
	v_lshlrev_b32_e32 v16, 28, v1
	v_cmp_gt_i64_e32 vcc, 0, v[15:16]
	v_not_b32_e32 v16, v16
	v_ashrrev_i32_e32 v16, 31, v16
	v_and_b32_e32 v23, v23, v24
	;; [unrolled: 8-line block ×5, first 2 shown]
	v_xor_b32_e32 v24, vcc_hi, v16
	v_xor_b32_e32 v16, vcc_lo, v16
	v_and_b32_e32 v23, v23, v24
	v_and_b32_e32 v24, v2, v16
	v_lshlrev_b32_e32 v16, 24, v1
	v_cmp_gt_i64_e32 vcc, 0, v[15:16]
	v_not_b32_e32 v1, v16
	v_ashrrev_i32_e32 v1, 31, v1
	v_xor_b32_e32 v2, vcc_hi, v1
	v_xor_b32_e32 v1, vcc_lo, v1
	ds_read_b32 v22, v27 offset:32
	v_and_b32_e32 v1, v24, v1
	v_and_b32_e32 v2, v23, v2
	v_mbcnt_lo_u32_b32 v15, v1, 0
	v_mbcnt_hi_u32_b32 v23, v2, v15
	v_cmp_ne_u64_e32 vcc, 0, v[1:2]
	v_cmp_eq_u32_e64 s[4:5], 0, v23
	s_and_b64 s[6:7], vcc, s[4:5]
	; wave barrier
	s_and_saveexec_b64 s[4:5], s[6:7]
	s_cbranch_execz .LBB1144_81
; %bb.80:
	v_bcnt_u32_b32 v1, v1, 0
	v_bcnt_u32_b32 v1, v2, v1
	s_waitcnt lgkmcnt(0)
	v_add_u32_e32 v1, v22, v1
	ds_write_b32 v27, v1 offset:32
.LBB1144_81:
	s_or_b64 exec, exec, s[4:5]
	v_xor_b32_e32 v8, 0x80000000, v8
	v_lshrrev_b64 v[1:2], s44, v[7:8]
	v_and_b32_e32 v15, s17, v1
	v_mul_lo_u32 v2, v15, 36
	v_and_b32_e32 v16, 1, v15
	v_mov_b32_e32 v1, 0
	; wave barrier
	v_lshl_add_u32 v30, v32, 2, v2
	v_add_co_u32_e32 v2, vcc, -1, v16
	v_addc_co_u32_e64 v28, s[4:5], 0, -1, vcc
	v_cmp_ne_u32_e32 vcc, 0, v16
	v_xor_b32_e32 v2, vcc_lo, v2
	v_xor_b32_e32 v16, vcc_hi, v28
	v_and_b32_e32 v28, exec_lo, v2
	v_lshlrev_b32_e32 v2, 30, v15
	v_cmp_gt_i64_e32 vcc, 0, v[1:2]
	v_not_b32_e32 v2, v2
	v_ashrrev_i32_e32 v2, 31, v2
	v_xor_b32_e32 v29, vcc_hi, v2
	v_xor_b32_e32 v2, vcc_lo, v2
	v_and_b32_e32 v28, v28, v2
	v_lshlrev_b32_e32 v2, 29, v15
	v_cmp_gt_i64_e32 vcc, 0, v[1:2]
	v_not_b32_e32 v2, v2
	v_and_b32_e32 v16, exec_hi, v16
	v_ashrrev_i32_e32 v2, 31, v2
	v_and_b32_e32 v16, v16, v29
	v_xor_b32_e32 v29, vcc_hi, v2
	v_xor_b32_e32 v2, vcc_lo, v2
	v_and_b32_e32 v28, v28, v2
	v_lshlrev_b32_e32 v2, 28, v15
	v_cmp_gt_i64_e32 vcc, 0, v[1:2]
	v_not_b32_e32 v2, v2
	v_ashrrev_i32_e32 v2, 31, v2
	v_and_b32_e32 v16, v16, v29
	v_xor_b32_e32 v29, vcc_hi, v2
	v_xor_b32_e32 v2, vcc_lo, v2
	v_and_b32_e32 v28, v28, v2
	v_lshlrev_b32_e32 v2, 27, v15
	v_cmp_gt_i64_e32 vcc, 0, v[1:2]
	v_not_b32_e32 v2, v2
	;; [unrolled: 8-line block ×5, first 2 shown]
	v_ashrrev_i32_e32 v2, 31, v2
	v_and_b32_e32 v16, v16, v29
	v_xor_b32_e32 v15, vcc_hi, v2
	v_xor_b32_e32 v2, vcc_lo, v2
	ds_read_b32 v24, v30 offset:32
	v_and_b32_e32 v16, v16, v15
	v_and_b32_e32 v15, v28, v2
	v_mbcnt_lo_u32_b32 v2, v15, 0
	v_mbcnt_hi_u32_b32 v28, v16, v2
	v_cmp_ne_u64_e32 vcc, 0, v[15:16]
	v_cmp_eq_u32_e64 s[4:5], 0, v28
	s_and_b64 s[6:7], vcc, s[4:5]
	; wave barrier
	s_and_saveexec_b64 s[4:5], s[6:7]
	s_cbranch_execz .LBB1144_83
; %bb.82:
	v_bcnt_u32_b32 v2, v15, 0
	v_bcnt_u32_b32 v2, v16, v2
	s_waitcnt lgkmcnt(0)
	v_add_u32_e32 v2, v24, v2
	ds_write_b32 v30, v2 offset:32
.LBB1144_83:
	s_or_b64 exec, exec, s[4:5]
	v_xor_b32_e32 v10, 0x80000000, v10
	v_lshrrev_b64 v[15:16], s44, v[9:10]
	v_and_b32_e32 v15, s17, v15
	v_mul_lo_u32 v2, v15, 36
	v_and_b32_e32 v16, 1, v15
	; wave barrier
	v_lshl_add_u32 v34, v32, 2, v2
	v_add_co_u32_e32 v2, vcc, -1, v16
	v_addc_co_u32_e64 v31, s[4:5], 0, -1, vcc
	v_cmp_ne_u32_e32 vcc, 0, v16
	v_xor_b32_e32 v2, vcc_lo, v2
	v_xor_b32_e32 v16, vcc_hi, v31
	v_and_b32_e32 v31, exec_lo, v2
	v_lshlrev_b32_e32 v2, 30, v15
	v_cmp_gt_i64_e32 vcc, 0, v[1:2]
	v_not_b32_e32 v2, v2
	v_ashrrev_i32_e32 v2, 31, v2
	v_xor_b32_e32 v33, vcc_hi, v2
	v_xor_b32_e32 v2, vcc_lo, v2
	v_and_b32_e32 v31, v31, v2
	v_lshlrev_b32_e32 v2, 29, v15
	v_cmp_gt_i64_e32 vcc, 0, v[1:2]
	v_not_b32_e32 v2, v2
	v_and_b32_e32 v16, exec_hi, v16
	v_ashrrev_i32_e32 v2, 31, v2
	v_and_b32_e32 v16, v16, v33
	v_xor_b32_e32 v33, vcc_hi, v2
	v_xor_b32_e32 v2, vcc_lo, v2
	v_and_b32_e32 v31, v31, v2
	v_lshlrev_b32_e32 v2, 28, v15
	v_cmp_gt_i64_e32 vcc, 0, v[1:2]
	v_not_b32_e32 v2, v2
	v_ashrrev_i32_e32 v2, 31, v2
	v_and_b32_e32 v16, v16, v33
	v_xor_b32_e32 v33, vcc_hi, v2
	v_xor_b32_e32 v2, vcc_lo, v2
	v_and_b32_e32 v31, v31, v2
	v_lshlrev_b32_e32 v2, 27, v15
	v_cmp_gt_i64_e32 vcc, 0, v[1:2]
	v_not_b32_e32 v2, v2
	;; [unrolled: 8-line block ×5, first 2 shown]
	v_ashrrev_i32_e32 v1, 31, v1
	v_xor_b32_e32 v2, vcc_hi, v1
	v_xor_b32_e32 v1, vcc_lo, v1
	ds_read_b32 v29, v34 offset:32
	v_and_b32_e32 v16, v16, v33
	v_and_b32_e32 v1, v31, v1
	;; [unrolled: 1-line block ×3, first 2 shown]
	v_mbcnt_lo_u32_b32 v15, v1, 0
	v_mbcnt_hi_u32_b32 v31, v2, v15
	v_cmp_ne_u64_e32 vcc, 0, v[1:2]
	v_cmp_eq_u32_e64 s[4:5], 0, v31
	s_and_b64 s[6:7], vcc, s[4:5]
	; wave barrier
	s_and_saveexec_b64 s[4:5], s[6:7]
	s_cbranch_execz .LBB1144_85
; %bb.84:
	v_bcnt_u32_b32 v1, v1, 0
	v_bcnt_u32_b32 v1, v2, v1
	s_waitcnt lgkmcnt(0)
	v_add_u32_e32 v1, v29, v1
	ds_write_b32 v34, v1 offset:32
.LBB1144_85:
	s_or_b64 exec, exec, s[4:5]
	v_xor_b32_e32 v12, 0x80000000, v12
	v_lshrrev_b64 v[1:2], s44, v[11:12]
	v_and_b32_e32 v15, s17, v1
	v_mul_lo_u32 v2, v15, 36
	v_and_b32_e32 v16, 1, v15
	v_mov_b32_e32 v1, 0
	; wave barrier
	v_lshl_add_u32 v37, v32, 2, v2
	v_add_co_u32_e32 v2, vcc, -1, v16
	v_addc_co_u32_e64 v35, s[4:5], 0, -1, vcc
	v_cmp_ne_u32_e32 vcc, 0, v16
	v_xor_b32_e32 v2, vcc_lo, v2
	v_xor_b32_e32 v16, vcc_hi, v35
	v_and_b32_e32 v35, exec_lo, v2
	v_lshlrev_b32_e32 v2, 30, v15
	v_cmp_gt_i64_e32 vcc, 0, v[1:2]
	v_not_b32_e32 v2, v2
	v_ashrrev_i32_e32 v2, 31, v2
	v_xor_b32_e32 v36, vcc_hi, v2
	v_xor_b32_e32 v2, vcc_lo, v2
	v_and_b32_e32 v35, v35, v2
	v_lshlrev_b32_e32 v2, 29, v15
	v_cmp_gt_i64_e32 vcc, 0, v[1:2]
	v_not_b32_e32 v2, v2
	v_and_b32_e32 v16, exec_hi, v16
	v_ashrrev_i32_e32 v2, 31, v2
	v_and_b32_e32 v16, v16, v36
	v_xor_b32_e32 v36, vcc_hi, v2
	v_xor_b32_e32 v2, vcc_lo, v2
	v_and_b32_e32 v35, v35, v2
	v_lshlrev_b32_e32 v2, 28, v15
	v_cmp_gt_i64_e32 vcc, 0, v[1:2]
	v_not_b32_e32 v2, v2
	v_ashrrev_i32_e32 v2, 31, v2
	v_and_b32_e32 v16, v16, v36
	v_xor_b32_e32 v36, vcc_hi, v2
	v_xor_b32_e32 v2, vcc_lo, v2
	v_and_b32_e32 v35, v35, v2
	v_lshlrev_b32_e32 v2, 27, v15
	v_cmp_gt_i64_e32 vcc, 0, v[1:2]
	v_not_b32_e32 v2, v2
	;; [unrolled: 8-line block ×5, first 2 shown]
	v_ashrrev_i32_e32 v2, 31, v2
	v_and_b32_e32 v16, v16, v36
	v_xor_b32_e32 v15, vcc_hi, v2
	v_xor_b32_e32 v2, vcc_lo, v2
	ds_read_b32 v33, v37 offset:32
	v_and_b32_e32 v16, v16, v15
	v_and_b32_e32 v15, v35, v2
	v_mbcnt_lo_u32_b32 v2, v15, 0
	v_mbcnt_hi_u32_b32 v35, v16, v2
	v_cmp_ne_u64_e32 vcc, 0, v[15:16]
	v_cmp_eq_u32_e64 s[4:5], 0, v35
	s_and_b64 s[6:7], vcc, s[4:5]
	; wave barrier
	s_and_saveexec_b64 s[4:5], s[6:7]
	s_cbranch_execz .LBB1144_87
; %bb.86:
	v_bcnt_u32_b32 v2, v15, 0
	v_bcnt_u32_b32 v2, v16, v2
	s_waitcnt lgkmcnt(0)
	v_add_u32_e32 v2, v33, v2
	ds_write_b32 v37, v2 offset:32
.LBB1144_87:
	s_or_b64 exec, exec, s[4:5]
	v_xor_b32_e32 v14, 0x80000000, v14
	v_lshrrev_b64 v[15:16], s44, v[13:14]
	v_and_b32_e32 v15, s17, v15
	v_mul_lo_u32 v2, v15, 36
	v_and_b32_e32 v16, 1, v15
	; wave barrier
	v_lshl_add_u32 v39, v32, 2, v2
	v_add_co_u32_e32 v2, vcc, -1, v16
	v_addc_co_u32_e64 v32, s[4:5], 0, -1, vcc
	v_cmp_ne_u32_e32 vcc, 0, v16
	v_xor_b32_e32 v2, vcc_lo, v2
	v_xor_b32_e32 v16, vcc_hi, v32
	v_and_b32_e32 v32, exec_lo, v2
	v_lshlrev_b32_e32 v2, 30, v15
	v_cmp_gt_i64_e32 vcc, 0, v[1:2]
	v_not_b32_e32 v2, v2
	v_ashrrev_i32_e32 v2, 31, v2
	v_xor_b32_e32 v38, vcc_hi, v2
	v_xor_b32_e32 v2, vcc_lo, v2
	v_and_b32_e32 v32, v32, v2
	v_lshlrev_b32_e32 v2, 29, v15
	v_cmp_gt_i64_e32 vcc, 0, v[1:2]
	v_not_b32_e32 v2, v2
	v_and_b32_e32 v16, exec_hi, v16
	v_ashrrev_i32_e32 v2, 31, v2
	v_and_b32_e32 v16, v16, v38
	v_xor_b32_e32 v38, vcc_hi, v2
	v_xor_b32_e32 v2, vcc_lo, v2
	v_and_b32_e32 v32, v32, v2
	v_lshlrev_b32_e32 v2, 28, v15
	v_cmp_gt_i64_e32 vcc, 0, v[1:2]
	v_not_b32_e32 v2, v2
	v_ashrrev_i32_e32 v2, 31, v2
	v_and_b32_e32 v16, v16, v38
	v_xor_b32_e32 v38, vcc_hi, v2
	v_xor_b32_e32 v2, vcc_lo, v2
	v_and_b32_e32 v32, v32, v2
	v_lshlrev_b32_e32 v2, 27, v15
	v_cmp_gt_i64_e32 vcc, 0, v[1:2]
	v_not_b32_e32 v2, v2
	;; [unrolled: 8-line block ×5, first 2 shown]
	v_ashrrev_i32_e32 v1, 31, v1
	v_xor_b32_e32 v2, vcc_hi, v1
	v_xor_b32_e32 v1, vcc_lo, v1
	ds_read_b32 v36, v39 offset:32
	v_and_b32_e32 v16, v16, v38
	v_and_b32_e32 v1, v32, v1
	;; [unrolled: 1-line block ×3, first 2 shown]
	v_mbcnt_lo_u32_b32 v15, v1, 0
	v_mbcnt_hi_u32_b32 v38, v2, v15
	v_cmp_ne_u64_e32 vcc, 0, v[1:2]
	v_cmp_eq_u32_e64 s[4:5], 0, v38
	s_and_b64 s[6:7], vcc, s[4:5]
	; wave barrier
	s_and_saveexec_b64 s[4:5], s[6:7]
	s_cbranch_execz .LBB1144_89
; %bb.88:
	v_bcnt_u32_b32 v1, v1, 0
	v_bcnt_u32_b32 v1, v2, v1
	s_waitcnt lgkmcnt(0)
	v_add_u32_e32 v1, v36, v1
	ds_write_b32 v39, v1 offset:32
.LBB1144_89:
	s_or_b64 exec, exec, s[4:5]
	; wave barrier
	s_waitcnt lgkmcnt(0)
	s_barrier
	ds_read2_b32 v[15:16], v25 offset0:8 offset1:9
	ds_read2_b32 v[1:2], v25 offset0:10 offset1:11
	ds_read_b32 v32, v25 offset:48
	v_min_u32_e32 v18, 0x1c0, v18
	v_or_b32_e32 v18, 63, v18
	s_waitcnt lgkmcnt(1)
	v_add3_u32 v40, v16, v15, v1
	s_waitcnt lgkmcnt(0)
	v_add3_u32 v32, v40, v2, v32
	v_and_b32_e32 v40, 15, v17
	v_cmp_ne_u32_e32 vcc, 0, v40
	v_mov_b32_dpp v41, v32 row_shr:1 row_mask:0xf bank_mask:0xf
	v_cndmask_b32_e32 v41, 0, v41, vcc
	v_add_u32_e32 v32, v41, v32
	v_cmp_lt_u32_e32 vcc, 1, v40
	s_nop 0
	v_mov_b32_dpp v41, v32 row_shr:2 row_mask:0xf bank_mask:0xf
	v_cndmask_b32_e32 v41, 0, v41, vcc
	v_add_u32_e32 v32, v32, v41
	v_cmp_lt_u32_e32 vcc, 3, v40
	s_nop 0
	;; [unrolled: 5-line block ×3, first 2 shown]
	v_mov_b32_dpp v41, v32 row_shr:8 row_mask:0xf bank_mask:0xf
	v_cndmask_b32_e32 v40, 0, v41, vcc
	v_add_u32_e32 v32, v32, v40
	v_bfe_i32 v41, v17, 4, 1
	v_cmp_lt_u32_e32 vcc, 31, v17
	v_mov_b32_dpp v40, v32 row_bcast:15 row_mask:0xf bank_mask:0xf
	v_and_b32_e32 v40, v41, v40
	v_add_u32_e32 v32, v32, v40
	v_lshrrev_b32_e32 v41, 6, v0
	s_nop 0
	v_mov_b32_dpp v40, v32 row_bcast:31 row_mask:0xf bank_mask:0xf
	v_cndmask_b32_e32 v40, 0, v40, vcc
	v_add_u32_e32 v40, v32, v40
	v_cmp_eq_u32_e32 vcc, v0, v18
	s_and_saveexec_b64 s[4:5], vcc
; %bb.90:
	v_lshlrev_b32_e32 v18, 2, v41
	ds_write_b32 v18, v40
; %bb.91:
	s_or_b64 exec, exec, s[4:5]
	v_cmp_gt_u32_e32 vcc, 8, v0
	v_lshlrev_b32_e32 v32, 2, v0
	s_waitcnt lgkmcnt(0)
	s_barrier
	s_and_saveexec_b64 s[4:5], vcc
	s_cbranch_execz .LBB1144_93
; %bb.92:
	ds_read_b32 v18, v32
	v_and_b32_e32 v42, 7, v17
	v_cmp_ne_u32_e32 vcc, 0, v42
	s_waitcnt lgkmcnt(0)
	v_mov_b32_dpp v43, v18 row_shr:1 row_mask:0xf bank_mask:0xf
	v_cndmask_b32_e32 v43, 0, v43, vcc
	v_add_u32_e32 v18, v43, v18
	v_cmp_lt_u32_e32 vcc, 1, v42
	s_nop 0
	v_mov_b32_dpp v43, v18 row_shr:2 row_mask:0xf bank_mask:0xf
	v_cndmask_b32_e32 v43, 0, v43, vcc
	v_add_u32_e32 v18, v18, v43
	v_cmp_lt_u32_e32 vcc, 3, v42
	s_nop 0
	v_mov_b32_dpp v43, v18 row_shr:4 row_mask:0xf bank_mask:0xf
	v_cndmask_b32_e32 v42, 0, v43, vcc
	v_add_u32_e32 v18, v18, v42
	ds_write_b32 v32, v18
.LBB1144_93:
	s_or_b64 exec, exec, s[4:5]
	v_cmp_lt_u32_e32 vcc, 63, v0
	v_mov_b32_e32 v18, 0
	s_waitcnt lgkmcnt(0)
	s_barrier
	s_and_saveexec_b64 s[4:5], vcc
; %bb.94:
	v_lshl_add_u32 v18, v41, 2, -4
	ds_read_b32 v18, v18
; %bb.95:
	s_or_b64 exec, exec, s[4:5]
	v_subrev_co_u32_e32 v41, vcc, 1, v17
	v_and_b32_e32 v42, 64, v17
	v_cmp_lt_i32_e64 s[4:5], v41, v42
	v_cndmask_b32_e64 v17, v41, v17, s[4:5]
	s_waitcnt lgkmcnt(0)
	v_add_u32_e32 v40, v18, v40
	v_lshlrev_b32_e32 v17, 2, v17
	ds_bpermute_b32 v17, v17, v40
	s_movk_i32 s4, 0xff
	s_movk_i32 s6, 0x100
	s_waitcnt lgkmcnt(0)
	v_cndmask_b32_e32 v17, v17, v18, vcc
	v_cndmask_b32_e64 v17, v17, 0, s[22:23]
	v_add_u32_e32 v15, v17, v15
	v_add_u32_e32 v16, v15, v16
	;; [unrolled: 1-line block ×4, first 2 shown]
	ds_write2_b32 v25, v17, v15 offset0:8 offset1:9
	ds_write2_b32 v25, v16, v1 offset0:10 offset1:11
	ds_write_b32 v25, v2 offset:48
	s_waitcnt lgkmcnt(0)
	s_barrier
	ds_read_b32 v40, v26 offset:32
	ds_read_b32 v27, v27 offset:32
	;; [unrolled: 1-line block ×6, first 2 shown]
	v_cmp_lt_u32_e32 vcc, s4, v0
	v_cmp_gt_u32_e64 s[4:5], s6, v0
                                        ; implicit-def: $vgpr25
                                        ; implicit-def: $vgpr26
	s_and_saveexec_b64 s[10:11], s[4:5]
	s_cbranch_execz .LBB1144_99
; %bb.96:
	v_mul_u32_u24_e32 v1, 36, v0
	ds_read_b32 v25, v1 offset:32
	v_add_u32_e32 v2, 1, v0
	v_cmp_ne_u32_e64 s[6:7], s6, v2
	v_mov_b32_e32 v1, 0xc00
	s_and_saveexec_b64 s[12:13], s[6:7]
; %bb.97:
	v_mul_u32_u24_e32 v1, 36, v2
	ds_read_b32 v1, v1 offset:32
; %bb.98:
	s_or_b64 exec, exec, s[12:13]
	s_waitcnt lgkmcnt(0)
	v_sub_u32_e32 v26, v1, v25
.LBB1144_99:
	s_or_b64 exec, exec, s[10:11]
	v_mov_b32_e32 v2, 0
	s_waitcnt lgkmcnt(0)
	s_barrier
	s_and_saveexec_b64 s[6:7], s[4:5]
	s_cbranch_execz .LBB1144_109
; %bb.100:
	v_lshl_add_u32 v1, s33, 8, v0
	v_lshlrev_b64 v[15:16], 2, v[1:2]
	v_mov_b32_e32 v41, s27
	v_add_co_u32_e64 v15, s[4:5], s26, v15
	v_addc_co_u32_e64 v16, s[4:5], v41, v16, s[4:5]
	v_or_b32_e32 v1, 2.0, v26
	s_mov_b64 s[10:11], 0
	s_brev_b32 s18, -4
	s_mov_b32 s19, s33
	v_mov_b32_e32 v42, 0
	global_store_dword v[15:16], v1, off
                                        ; implicit-def: $sgpr4_sgpr5
	s_branch .LBB1144_103
.LBB1144_101:                           ;   in Loop: Header=BB1144_103 Depth=1
	s_or_b64 exec, exec, s[14:15]
.LBB1144_102:                           ;   in Loop: Header=BB1144_103 Depth=1
	s_or_b64 exec, exec, s[12:13]
	v_and_b32_e32 v17, 0x3fffffff, v1
	v_add_u32_e32 v42, v17, v42
	v_cmp_gt_i32_e64 s[4:5], -2.0, v1
	s_and_b64 s[12:13], exec, s[4:5]
	s_or_b64 s[10:11], s[12:13], s[10:11]
	s_andn2_b64 exec, exec, s[10:11]
	s_cbranch_execz .LBB1144_108
.LBB1144_103:                           ; =>This Loop Header: Depth=1
                                        ;     Child Loop BB1144_106 Depth 2
	s_or_b64 s[4:5], s[4:5], exec
	s_cmp_eq_u32 s19, 0
	s_cbranch_scc1 .LBB1144_107
; %bb.104:                              ;   in Loop: Header=BB1144_103 Depth=1
	s_add_i32 s19, s19, -1
	v_lshl_or_b32 v1, s19, 8, v0
	v_lshlrev_b64 v[17:18], 2, v[1:2]
	v_add_co_u32_e64 v17, s[4:5], s26, v17
	v_addc_co_u32_e64 v18, s[4:5], v41, v18, s[4:5]
	global_load_dword v1, v[17:18], off glc
	s_waitcnt vmcnt(0)
	v_cmp_gt_u32_e64 s[4:5], 2.0, v1
	s_and_saveexec_b64 s[12:13], s[4:5]
	s_cbranch_execz .LBB1144_102
; %bb.105:                              ;   in Loop: Header=BB1144_103 Depth=1
	s_mov_b64 s[14:15], 0
.LBB1144_106:                           ;   Parent Loop BB1144_103 Depth=1
                                        ; =>  This Inner Loop Header: Depth=2
	global_load_dword v1, v[17:18], off glc
	s_waitcnt vmcnt(0)
	v_cmp_lt_u32_e64 s[4:5], s18, v1
	s_or_b64 s[14:15], s[4:5], s[14:15]
	s_andn2_b64 exec, exec, s[14:15]
	s_cbranch_execnz .LBB1144_106
	s_branch .LBB1144_101
.LBB1144_107:                           ;   in Loop: Header=BB1144_103 Depth=1
                                        ; implicit-def: $sgpr19
	s_and_b64 s[12:13], exec, s[4:5]
	s_or_b64 s[10:11], s[12:13], s[10:11]
	s_andn2_b64 exec, exec, s[10:11]
	s_cbranch_execnz .LBB1144_103
.LBB1144_108:
	s_or_b64 exec, exec, s[10:11]
	v_add_u32_e32 v1, v42, v26
	v_or_b32_e32 v1, 0x80000000, v1
	global_store_dword v[15:16], v1, off
	global_load_dword v1, v32, s[28:29]
	v_sub_u32_e32 v2, v42, v25
	s_waitcnt vmcnt(0)
	v_add_u32_e32 v1, v2, v1
	ds_write_b32 v32, v1
.LBB1144_109:
	s_or_b64 exec, exec, s[6:7]
	v_add_u32_e32 v15, v40, v21
	v_add3_u32 v16, v38, v39, v36
	v_add3_u32 v17, v35, v37, v33
	;; [unrolled: 1-line block ×5, first 2 shown]
	s_mov_b32 s6, 0
	s_mov_b32 s7, 0
	v_add_u32_e32 v23, v32, v32
	v_mov_b32_e32 v2, 0
	v_mov_b32_e32 v24, s39
	s_movk_i32 s10, 0x200
	v_mov_b32_e32 v27, v0
.LBB1144_110:                           ; =>This Inner Loop Header: Depth=1
	v_add_u32_e32 v1, s7, v15
	v_add_u32_e32 v28, s7, v22
	;; [unrolled: 1-line block ×6, first 2 shown]
	v_min_u32_e32 v1, 0x400, v1
	v_min_u32_e32 v28, 0x400, v28
	;; [unrolled: 1-line block ×6, first 2 shown]
	v_lshlrev_b32_e32 v1, 3, v1
	v_lshlrev_b32_e32 v28, 3, v28
	;; [unrolled: 1-line block ×6, first 2 shown]
	ds_write_b64 v1, v[3:4] offset:1024
	ds_write_b64 v28, v[5:6] offset:1024
	;; [unrolled: 1-line block ×6, first 2 shown]
	s_waitcnt lgkmcnt(0)
	s_barrier
	ds_read2st64_b64 v[28:31], v23 offset0:2 offset1:10
	v_mov_b32_e32 v36, s6
	s_addk_i32 s7, 0xfc00
	s_add_i32 s6, s6, 8
	s_cmpk_lg_i32 s7, 0xf400
	s_waitcnt lgkmcnt(0)
	v_lshrrev_b64 v[33:34], s44, v[28:29]
	v_lshrrev_b64 v[34:35], s44, v[30:31]
	v_and_b32_e32 v1, s17, v33
	v_and_b32_e32 v33, s17, v34
	v_lshlrev_b32_e32 v34, 2, v1
	buffer_store_dword v1, v36, s[0:3], 0 offen
	buffer_store_dword v33, v36, s[0:3], 0 offen offset:4
	v_lshlrev_b32_e32 v1, 2, v33
	ds_read_b32 v33, v34
	ds_read_b32 v35, v1
	v_xor_b32_e32 v29, 0x80000000, v29
	v_xor_b32_e32 v31, 0x80000000, v31
	s_waitcnt lgkmcnt(1)
	v_add_u32_e32 v1, v27, v33
	v_lshlrev_b64 v[33:34], 3, v[1:2]
	s_waitcnt lgkmcnt(0)
	v_add3_u32 v1, v27, v35, s10
	v_lshlrev_b64 v[35:36], 3, v[1:2]
	v_add_co_u32_e64 v33, s[4:5], s38, v33
	v_addc_co_u32_e64 v34, s[4:5], v24, v34, s[4:5]
	global_store_dwordx2 v[33:34], v[28:29], off
	v_add_co_u32_e64 v28, s[4:5], s38, v35
	v_add_u32_e32 v27, 0x400, v27
	v_addc_co_u32_e64 v29, s[4:5], v24, v36, s[4:5]
	global_store_dwordx2 v[28:29], v[30:31], off
	s_waitcnt vmcnt(0)
	s_barrier
	s_cbranch_scc1 .LBB1144_110
; %bb.111:
	s_add_u32 s4, s40, s8
	s_addc_u32 s5, s41, s9
	v_mov_b32_e32 v1, s5
	v_add_co_u32_e64 v2, s[4:5], s4, v19
	v_addc_co_u32_e64 v1, s[4:5], 0, v1, s[4:5]
	v_add_co_u32_e64 v13, s[4:5], v2, v20
	v_addc_co_u32_e64 v14, s[4:5], 0, v1, s[4:5]
	global_load_dwordx2 v[1:2], v[13:14], off
	global_load_dwordx2 v[3:4], v[13:14], off offset:512
	global_load_dwordx2 v[5:6], v[13:14], off offset:1024
	;; [unrolled: 1-line block ×5, first 2 shown]
	v_mov_b32_e32 v14, 0
	s_mov_b32 s6, 0
	s_mov_b32 s7, 0
	v_mov_b32_e32 v19, s43
	s_movk_i32 s8, 0x200
.LBB1144_112:                           ; =>This Inner Loop Header: Depth=1
	v_add_u32_e32 v13, s7, v15
	v_add_u32_e32 v20, s7, v22
	;; [unrolled: 1-line block ×6, first 2 shown]
	v_min_u32_e32 v13, 0x400, v13
	v_min_u32_e32 v20, 0x400, v20
	v_mov_b32_e32 v30, s6
	v_min_u32_e32 v24, 0x400, v24
	v_min_u32_e32 v27, 0x400, v27
	;; [unrolled: 1-line block ×4, first 2 shown]
	v_lshlrev_b32_e32 v13, 3, v13
	v_lshlrev_b32_e32 v20, 3, v20
	;; [unrolled: 1-line block ×6, first 2 shown]
	s_waitcnt vmcnt(5)
	ds_write_b64 v13, v[1:2] offset:1024
	s_waitcnt vmcnt(4)
	ds_write_b64 v20, v[3:4] offset:1024
	;; [unrolled: 2-line block ×6, first 2 shown]
	s_waitcnt lgkmcnt(0)
	s_barrier
	buffer_load_dword v13, v30, s[0:3], 0 offen
	buffer_load_dword v20, v30, s[0:3], 0 offen offset:4
	ds_read2st64_b64 v[27:30], v23 offset0:2 offset1:10
	s_addk_i32 s7, 0xfc00
	s_add_i32 s6, s6, 8
	s_cmpk_lg_i32 s7, 0xf400
	s_waitcnt vmcnt(1)
	v_lshlrev_b32_e32 v13, 2, v13
	s_waitcnt vmcnt(0)
	v_lshlrev_b32_e32 v20, 2, v20
	ds_read_b32 v13, v13
	ds_read_b32 v20, v20
	s_waitcnt lgkmcnt(1)
	v_add_u32_e32 v13, v0, v13
	v_lshlrev_b64 v[33:34], 3, v[13:14]
	s_waitcnt lgkmcnt(0)
	v_add3_u32 v13, v0, v20, s8
	v_lshlrev_b64 v[35:36], 3, v[13:14]
	v_add_co_u32_e64 v33, s[4:5], s42, v33
	v_addc_co_u32_e64 v34, s[4:5], v19, v34, s[4:5]
	global_store_dwordx2 v[33:34], v[27:28], off
	v_add_co_u32_e64 v27, s[4:5], s42, v35
	v_add_u32_e32 v0, 0x400, v0
	v_addc_co_u32_e64 v28, s[4:5], v19, v36, s[4:5]
	global_store_dwordx2 v[27:28], v[29:30], off
	s_waitcnt vmcnt(0)
	s_barrier
	s_cbranch_scc1 .LBB1144_112
; %bb.113:
	s_add_i32 s16, s16, -1
	s_cmp_eq_u32 s33, s16
	s_cselect_b64 s[4:5], -1, 0
	s_xor_b64 s[6:7], vcc, -1
	s_and_b64 s[4:5], s[6:7], s[4:5]
	s_and_saveexec_b64 s[6:7], s[4:5]
	s_cbranch_execz .LBB1144_115
; %bb.114:
	ds_read_b32 v0, v32
	s_waitcnt lgkmcnt(0)
	v_add3_u32 v0, v25, v26, v0
	global_store_dword v32, v0, s[30:31]
.LBB1144_115:
	s_endpgm
	.section	.rodata,"a",@progbits
	.p2align	6, 0x0
	.amdhsa_kernel _ZN7rocprim17ROCPRIM_400000_NS6detail17trampoline_kernelINS0_14default_configENS1_35radix_sort_onesweep_config_selectorIllEEZZNS1_29radix_sort_onesweep_iterationIS3_Lb0EPlS7_N6thrust23THRUST_200600_302600_NS10device_ptrIlEESB_jNS0_19identity_decomposerENS1_16block_id_wrapperIjLb1EEEEE10hipError_tT1_PNSt15iterator_traitsISG_E10value_typeET2_T3_PNSH_ISM_E10value_typeET4_T5_PSR_SS_PNS1_23onesweep_lookback_stateEbbT6_jjT7_P12ihipStream_tbENKUlT_T0_SG_SL_E_clIS7_S7_SB_S7_EEDaSZ_S10_SG_SL_EUlSZ_E_NS1_11comp_targetILNS1_3genE2ELNS1_11target_archE906ELNS1_3gpuE6ELNS1_3repE0EEENS1_47radix_sort_onesweep_sort_config_static_selectorELNS0_4arch9wavefront6targetE1EEEvSG_
		.amdhsa_group_segment_fixed_size 10280
		.amdhsa_private_segment_fixed_size 32
		.amdhsa_kernarg_size 344
		.amdhsa_user_sgpr_count 6
		.amdhsa_user_sgpr_private_segment_buffer 1
		.amdhsa_user_sgpr_dispatch_ptr 0
		.amdhsa_user_sgpr_queue_ptr 0
		.amdhsa_user_sgpr_kernarg_segment_ptr 1
		.amdhsa_user_sgpr_dispatch_id 0
		.amdhsa_user_sgpr_flat_scratch_init 0
		.amdhsa_user_sgpr_private_segment_size 0
		.amdhsa_uses_dynamic_stack 0
		.amdhsa_system_sgpr_private_segment_wavefront_offset 1
		.amdhsa_system_sgpr_workgroup_id_x 1
		.amdhsa_system_sgpr_workgroup_id_y 0
		.amdhsa_system_sgpr_workgroup_id_z 0
		.amdhsa_system_sgpr_workgroup_info 0
		.amdhsa_system_vgpr_workitem_id 2
		.amdhsa_next_free_vgpr 47
		.amdhsa_next_free_sgpr 57
		.amdhsa_reserve_vcc 1
		.amdhsa_reserve_flat_scratch 0
		.amdhsa_float_round_mode_32 0
		.amdhsa_float_round_mode_16_64 0
		.amdhsa_float_denorm_mode_32 3
		.amdhsa_float_denorm_mode_16_64 3
		.amdhsa_dx10_clamp 1
		.amdhsa_ieee_mode 1
		.amdhsa_fp16_overflow 0
		.amdhsa_exception_fp_ieee_invalid_op 0
		.amdhsa_exception_fp_denorm_src 0
		.amdhsa_exception_fp_ieee_div_zero 0
		.amdhsa_exception_fp_ieee_overflow 0
		.amdhsa_exception_fp_ieee_underflow 0
		.amdhsa_exception_fp_ieee_inexact 0
		.amdhsa_exception_int_div_zero 0
	.end_amdhsa_kernel
	.section	.text._ZN7rocprim17ROCPRIM_400000_NS6detail17trampoline_kernelINS0_14default_configENS1_35radix_sort_onesweep_config_selectorIllEEZZNS1_29radix_sort_onesweep_iterationIS3_Lb0EPlS7_N6thrust23THRUST_200600_302600_NS10device_ptrIlEESB_jNS0_19identity_decomposerENS1_16block_id_wrapperIjLb1EEEEE10hipError_tT1_PNSt15iterator_traitsISG_E10value_typeET2_T3_PNSH_ISM_E10value_typeET4_T5_PSR_SS_PNS1_23onesweep_lookback_stateEbbT6_jjT7_P12ihipStream_tbENKUlT_T0_SG_SL_E_clIS7_S7_SB_S7_EEDaSZ_S10_SG_SL_EUlSZ_E_NS1_11comp_targetILNS1_3genE2ELNS1_11target_archE906ELNS1_3gpuE6ELNS1_3repE0EEENS1_47radix_sort_onesweep_sort_config_static_selectorELNS0_4arch9wavefront6targetE1EEEvSG_,"axG",@progbits,_ZN7rocprim17ROCPRIM_400000_NS6detail17trampoline_kernelINS0_14default_configENS1_35radix_sort_onesweep_config_selectorIllEEZZNS1_29radix_sort_onesweep_iterationIS3_Lb0EPlS7_N6thrust23THRUST_200600_302600_NS10device_ptrIlEESB_jNS0_19identity_decomposerENS1_16block_id_wrapperIjLb1EEEEE10hipError_tT1_PNSt15iterator_traitsISG_E10value_typeET2_T3_PNSH_ISM_E10value_typeET4_T5_PSR_SS_PNS1_23onesweep_lookback_stateEbbT6_jjT7_P12ihipStream_tbENKUlT_T0_SG_SL_E_clIS7_S7_SB_S7_EEDaSZ_S10_SG_SL_EUlSZ_E_NS1_11comp_targetILNS1_3genE2ELNS1_11target_archE906ELNS1_3gpuE6ELNS1_3repE0EEENS1_47radix_sort_onesweep_sort_config_static_selectorELNS0_4arch9wavefront6targetE1EEEvSG_,comdat
.Lfunc_end1144:
	.size	_ZN7rocprim17ROCPRIM_400000_NS6detail17trampoline_kernelINS0_14default_configENS1_35radix_sort_onesweep_config_selectorIllEEZZNS1_29radix_sort_onesweep_iterationIS3_Lb0EPlS7_N6thrust23THRUST_200600_302600_NS10device_ptrIlEESB_jNS0_19identity_decomposerENS1_16block_id_wrapperIjLb1EEEEE10hipError_tT1_PNSt15iterator_traitsISG_E10value_typeET2_T3_PNSH_ISM_E10value_typeET4_T5_PSR_SS_PNS1_23onesweep_lookback_stateEbbT6_jjT7_P12ihipStream_tbENKUlT_T0_SG_SL_E_clIS7_S7_SB_S7_EEDaSZ_S10_SG_SL_EUlSZ_E_NS1_11comp_targetILNS1_3genE2ELNS1_11target_archE906ELNS1_3gpuE6ELNS1_3repE0EEENS1_47radix_sort_onesweep_sort_config_static_selectorELNS0_4arch9wavefront6targetE1EEEvSG_, .Lfunc_end1144-_ZN7rocprim17ROCPRIM_400000_NS6detail17trampoline_kernelINS0_14default_configENS1_35radix_sort_onesweep_config_selectorIllEEZZNS1_29radix_sort_onesweep_iterationIS3_Lb0EPlS7_N6thrust23THRUST_200600_302600_NS10device_ptrIlEESB_jNS0_19identity_decomposerENS1_16block_id_wrapperIjLb1EEEEE10hipError_tT1_PNSt15iterator_traitsISG_E10value_typeET2_T3_PNSH_ISM_E10value_typeET4_T5_PSR_SS_PNS1_23onesweep_lookback_stateEbbT6_jjT7_P12ihipStream_tbENKUlT_T0_SG_SL_E_clIS7_S7_SB_S7_EEDaSZ_S10_SG_SL_EUlSZ_E_NS1_11comp_targetILNS1_3genE2ELNS1_11target_archE906ELNS1_3gpuE6ELNS1_3repE0EEENS1_47radix_sort_onesweep_sort_config_static_selectorELNS0_4arch9wavefront6targetE1EEEvSG_
                                        ; -- End function
	.set _ZN7rocprim17ROCPRIM_400000_NS6detail17trampoline_kernelINS0_14default_configENS1_35radix_sort_onesweep_config_selectorIllEEZZNS1_29radix_sort_onesweep_iterationIS3_Lb0EPlS7_N6thrust23THRUST_200600_302600_NS10device_ptrIlEESB_jNS0_19identity_decomposerENS1_16block_id_wrapperIjLb1EEEEE10hipError_tT1_PNSt15iterator_traitsISG_E10value_typeET2_T3_PNSH_ISM_E10value_typeET4_T5_PSR_SS_PNS1_23onesweep_lookback_stateEbbT6_jjT7_P12ihipStream_tbENKUlT_T0_SG_SL_E_clIS7_S7_SB_S7_EEDaSZ_S10_SG_SL_EUlSZ_E_NS1_11comp_targetILNS1_3genE2ELNS1_11target_archE906ELNS1_3gpuE6ELNS1_3repE0EEENS1_47radix_sort_onesweep_sort_config_static_selectorELNS0_4arch9wavefront6targetE1EEEvSG_.num_vgpr, 47
	.set _ZN7rocprim17ROCPRIM_400000_NS6detail17trampoline_kernelINS0_14default_configENS1_35radix_sort_onesweep_config_selectorIllEEZZNS1_29radix_sort_onesweep_iterationIS3_Lb0EPlS7_N6thrust23THRUST_200600_302600_NS10device_ptrIlEESB_jNS0_19identity_decomposerENS1_16block_id_wrapperIjLb1EEEEE10hipError_tT1_PNSt15iterator_traitsISG_E10value_typeET2_T3_PNSH_ISM_E10value_typeET4_T5_PSR_SS_PNS1_23onesweep_lookback_stateEbbT6_jjT7_P12ihipStream_tbENKUlT_T0_SG_SL_E_clIS7_S7_SB_S7_EEDaSZ_S10_SG_SL_EUlSZ_E_NS1_11comp_targetILNS1_3genE2ELNS1_11target_archE906ELNS1_3gpuE6ELNS1_3repE0EEENS1_47radix_sort_onesweep_sort_config_static_selectorELNS0_4arch9wavefront6targetE1EEEvSG_.num_agpr, 0
	.set _ZN7rocprim17ROCPRIM_400000_NS6detail17trampoline_kernelINS0_14default_configENS1_35radix_sort_onesweep_config_selectorIllEEZZNS1_29radix_sort_onesweep_iterationIS3_Lb0EPlS7_N6thrust23THRUST_200600_302600_NS10device_ptrIlEESB_jNS0_19identity_decomposerENS1_16block_id_wrapperIjLb1EEEEE10hipError_tT1_PNSt15iterator_traitsISG_E10value_typeET2_T3_PNSH_ISM_E10value_typeET4_T5_PSR_SS_PNS1_23onesweep_lookback_stateEbbT6_jjT7_P12ihipStream_tbENKUlT_T0_SG_SL_E_clIS7_S7_SB_S7_EEDaSZ_S10_SG_SL_EUlSZ_E_NS1_11comp_targetILNS1_3genE2ELNS1_11target_archE906ELNS1_3gpuE6ELNS1_3repE0EEENS1_47radix_sort_onesweep_sort_config_static_selectorELNS0_4arch9wavefront6targetE1EEEvSG_.numbered_sgpr, 57
	.set _ZN7rocprim17ROCPRIM_400000_NS6detail17trampoline_kernelINS0_14default_configENS1_35radix_sort_onesweep_config_selectorIllEEZZNS1_29radix_sort_onesweep_iterationIS3_Lb0EPlS7_N6thrust23THRUST_200600_302600_NS10device_ptrIlEESB_jNS0_19identity_decomposerENS1_16block_id_wrapperIjLb1EEEEE10hipError_tT1_PNSt15iterator_traitsISG_E10value_typeET2_T3_PNSH_ISM_E10value_typeET4_T5_PSR_SS_PNS1_23onesweep_lookback_stateEbbT6_jjT7_P12ihipStream_tbENKUlT_T0_SG_SL_E_clIS7_S7_SB_S7_EEDaSZ_S10_SG_SL_EUlSZ_E_NS1_11comp_targetILNS1_3genE2ELNS1_11target_archE906ELNS1_3gpuE6ELNS1_3repE0EEENS1_47radix_sort_onesweep_sort_config_static_selectorELNS0_4arch9wavefront6targetE1EEEvSG_.num_named_barrier, 0
	.set _ZN7rocprim17ROCPRIM_400000_NS6detail17trampoline_kernelINS0_14default_configENS1_35radix_sort_onesweep_config_selectorIllEEZZNS1_29radix_sort_onesweep_iterationIS3_Lb0EPlS7_N6thrust23THRUST_200600_302600_NS10device_ptrIlEESB_jNS0_19identity_decomposerENS1_16block_id_wrapperIjLb1EEEEE10hipError_tT1_PNSt15iterator_traitsISG_E10value_typeET2_T3_PNSH_ISM_E10value_typeET4_T5_PSR_SS_PNS1_23onesweep_lookback_stateEbbT6_jjT7_P12ihipStream_tbENKUlT_T0_SG_SL_E_clIS7_S7_SB_S7_EEDaSZ_S10_SG_SL_EUlSZ_E_NS1_11comp_targetILNS1_3genE2ELNS1_11target_archE906ELNS1_3gpuE6ELNS1_3repE0EEENS1_47radix_sort_onesweep_sort_config_static_selectorELNS0_4arch9wavefront6targetE1EEEvSG_.private_seg_size, 32
	.set _ZN7rocprim17ROCPRIM_400000_NS6detail17trampoline_kernelINS0_14default_configENS1_35radix_sort_onesweep_config_selectorIllEEZZNS1_29radix_sort_onesweep_iterationIS3_Lb0EPlS7_N6thrust23THRUST_200600_302600_NS10device_ptrIlEESB_jNS0_19identity_decomposerENS1_16block_id_wrapperIjLb1EEEEE10hipError_tT1_PNSt15iterator_traitsISG_E10value_typeET2_T3_PNSH_ISM_E10value_typeET4_T5_PSR_SS_PNS1_23onesweep_lookback_stateEbbT6_jjT7_P12ihipStream_tbENKUlT_T0_SG_SL_E_clIS7_S7_SB_S7_EEDaSZ_S10_SG_SL_EUlSZ_E_NS1_11comp_targetILNS1_3genE2ELNS1_11target_archE906ELNS1_3gpuE6ELNS1_3repE0EEENS1_47radix_sort_onesweep_sort_config_static_selectorELNS0_4arch9wavefront6targetE1EEEvSG_.uses_vcc, 1
	.set _ZN7rocprim17ROCPRIM_400000_NS6detail17trampoline_kernelINS0_14default_configENS1_35radix_sort_onesweep_config_selectorIllEEZZNS1_29radix_sort_onesweep_iterationIS3_Lb0EPlS7_N6thrust23THRUST_200600_302600_NS10device_ptrIlEESB_jNS0_19identity_decomposerENS1_16block_id_wrapperIjLb1EEEEE10hipError_tT1_PNSt15iterator_traitsISG_E10value_typeET2_T3_PNSH_ISM_E10value_typeET4_T5_PSR_SS_PNS1_23onesweep_lookback_stateEbbT6_jjT7_P12ihipStream_tbENKUlT_T0_SG_SL_E_clIS7_S7_SB_S7_EEDaSZ_S10_SG_SL_EUlSZ_E_NS1_11comp_targetILNS1_3genE2ELNS1_11target_archE906ELNS1_3gpuE6ELNS1_3repE0EEENS1_47radix_sort_onesweep_sort_config_static_selectorELNS0_4arch9wavefront6targetE1EEEvSG_.uses_flat_scratch, 0
	.set _ZN7rocprim17ROCPRIM_400000_NS6detail17trampoline_kernelINS0_14default_configENS1_35radix_sort_onesweep_config_selectorIllEEZZNS1_29radix_sort_onesweep_iterationIS3_Lb0EPlS7_N6thrust23THRUST_200600_302600_NS10device_ptrIlEESB_jNS0_19identity_decomposerENS1_16block_id_wrapperIjLb1EEEEE10hipError_tT1_PNSt15iterator_traitsISG_E10value_typeET2_T3_PNSH_ISM_E10value_typeET4_T5_PSR_SS_PNS1_23onesweep_lookback_stateEbbT6_jjT7_P12ihipStream_tbENKUlT_T0_SG_SL_E_clIS7_S7_SB_S7_EEDaSZ_S10_SG_SL_EUlSZ_E_NS1_11comp_targetILNS1_3genE2ELNS1_11target_archE906ELNS1_3gpuE6ELNS1_3repE0EEENS1_47radix_sort_onesweep_sort_config_static_selectorELNS0_4arch9wavefront6targetE1EEEvSG_.has_dyn_sized_stack, 0
	.set _ZN7rocprim17ROCPRIM_400000_NS6detail17trampoline_kernelINS0_14default_configENS1_35radix_sort_onesweep_config_selectorIllEEZZNS1_29radix_sort_onesweep_iterationIS3_Lb0EPlS7_N6thrust23THRUST_200600_302600_NS10device_ptrIlEESB_jNS0_19identity_decomposerENS1_16block_id_wrapperIjLb1EEEEE10hipError_tT1_PNSt15iterator_traitsISG_E10value_typeET2_T3_PNSH_ISM_E10value_typeET4_T5_PSR_SS_PNS1_23onesweep_lookback_stateEbbT6_jjT7_P12ihipStream_tbENKUlT_T0_SG_SL_E_clIS7_S7_SB_S7_EEDaSZ_S10_SG_SL_EUlSZ_E_NS1_11comp_targetILNS1_3genE2ELNS1_11target_archE906ELNS1_3gpuE6ELNS1_3repE0EEENS1_47radix_sort_onesweep_sort_config_static_selectorELNS0_4arch9wavefront6targetE1EEEvSG_.has_recursion, 0
	.set _ZN7rocprim17ROCPRIM_400000_NS6detail17trampoline_kernelINS0_14default_configENS1_35radix_sort_onesweep_config_selectorIllEEZZNS1_29radix_sort_onesweep_iterationIS3_Lb0EPlS7_N6thrust23THRUST_200600_302600_NS10device_ptrIlEESB_jNS0_19identity_decomposerENS1_16block_id_wrapperIjLb1EEEEE10hipError_tT1_PNSt15iterator_traitsISG_E10value_typeET2_T3_PNSH_ISM_E10value_typeET4_T5_PSR_SS_PNS1_23onesweep_lookback_stateEbbT6_jjT7_P12ihipStream_tbENKUlT_T0_SG_SL_E_clIS7_S7_SB_S7_EEDaSZ_S10_SG_SL_EUlSZ_E_NS1_11comp_targetILNS1_3genE2ELNS1_11target_archE906ELNS1_3gpuE6ELNS1_3repE0EEENS1_47radix_sort_onesweep_sort_config_static_selectorELNS0_4arch9wavefront6targetE1EEEvSG_.has_indirect_call, 0
	.section	.AMDGPU.csdata,"",@progbits
; Kernel info:
; codeLenInByte = 9964
; TotalNumSgprs: 61
; NumVgprs: 47
; ScratchSize: 32
; MemoryBound: 1
; FloatMode: 240
; IeeeMode: 1
; LDSByteSize: 10280 bytes/workgroup (compile time only)
; SGPRBlocks: 7
; VGPRBlocks: 11
; NumSGPRsForWavesPerEU: 61
; NumVGPRsForWavesPerEU: 47
; Occupancy: 5
; WaveLimiterHint : 1
; COMPUTE_PGM_RSRC2:SCRATCH_EN: 1
; COMPUTE_PGM_RSRC2:USER_SGPR: 6
; COMPUTE_PGM_RSRC2:TRAP_HANDLER: 0
; COMPUTE_PGM_RSRC2:TGID_X_EN: 1
; COMPUTE_PGM_RSRC2:TGID_Y_EN: 0
; COMPUTE_PGM_RSRC2:TGID_Z_EN: 0
; COMPUTE_PGM_RSRC2:TIDIG_COMP_CNT: 2
	.section	.text._ZN7rocprim17ROCPRIM_400000_NS6detail17trampoline_kernelINS0_14default_configENS1_35radix_sort_onesweep_config_selectorIllEEZZNS1_29radix_sort_onesweep_iterationIS3_Lb0EPlS7_N6thrust23THRUST_200600_302600_NS10device_ptrIlEESB_jNS0_19identity_decomposerENS1_16block_id_wrapperIjLb1EEEEE10hipError_tT1_PNSt15iterator_traitsISG_E10value_typeET2_T3_PNSH_ISM_E10value_typeET4_T5_PSR_SS_PNS1_23onesweep_lookback_stateEbbT6_jjT7_P12ihipStream_tbENKUlT_T0_SG_SL_E_clIS7_S7_SB_S7_EEDaSZ_S10_SG_SL_EUlSZ_E_NS1_11comp_targetILNS1_3genE4ELNS1_11target_archE910ELNS1_3gpuE8ELNS1_3repE0EEENS1_47radix_sort_onesweep_sort_config_static_selectorELNS0_4arch9wavefront6targetE1EEEvSG_,"axG",@progbits,_ZN7rocprim17ROCPRIM_400000_NS6detail17trampoline_kernelINS0_14default_configENS1_35radix_sort_onesweep_config_selectorIllEEZZNS1_29radix_sort_onesweep_iterationIS3_Lb0EPlS7_N6thrust23THRUST_200600_302600_NS10device_ptrIlEESB_jNS0_19identity_decomposerENS1_16block_id_wrapperIjLb1EEEEE10hipError_tT1_PNSt15iterator_traitsISG_E10value_typeET2_T3_PNSH_ISM_E10value_typeET4_T5_PSR_SS_PNS1_23onesweep_lookback_stateEbbT6_jjT7_P12ihipStream_tbENKUlT_T0_SG_SL_E_clIS7_S7_SB_S7_EEDaSZ_S10_SG_SL_EUlSZ_E_NS1_11comp_targetILNS1_3genE4ELNS1_11target_archE910ELNS1_3gpuE8ELNS1_3repE0EEENS1_47radix_sort_onesweep_sort_config_static_selectorELNS0_4arch9wavefront6targetE1EEEvSG_,comdat
	.protected	_ZN7rocprim17ROCPRIM_400000_NS6detail17trampoline_kernelINS0_14default_configENS1_35radix_sort_onesweep_config_selectorIllEEZZNS1_29radix_sort_onesweep_iterationIS3_Lb0EPlS7_N6thrust23THRUST_200600_302600_NS10device_ptrIlEESB_jNS0_19identity_decomposerENS1_16block_id_wrapperIjLb1EEEEE10hipError_tT1_PNSt15iterator_traitsISG_E10value_typeET2_T3_PNSH_ISM_E10value_typeET4_T5_PSR_SS_PNS1_23onesweep_lookback_stateEbbT6_jjT7_P12ihipStream_tbENKUlT_T0_SG_SL_E_clIS7_S7_SB_S7_EEDaSZ_S10_SG_SL_EUlSZ_E_NS1_11comp_targetILNS1_3genE4ELNS1_11target_archE910ELNS1_3gpuE8ELNS1_3repE0EEENS1_47radix_sort_onesweep_sort_config_static_selectorELNS0_4arch9wavefront6targetE1EEEvSG_ ; -- Begin function _ZN7rocprim17ROCPRIM_400000_NS6detail17trampoline_kernelINS0_14default_configENS1_35radix_sort_onesweep_config_selectorIllEEZZNS1_29radix_sort_onesweep_iterationIS3_Lb0EPlS7_N6thrust23THRUST_200600_302600_NS10device_ptrIlEESB_jNS0_19identity_decomposerENS1_16block_id_wrapperIjLb1EEEEE10hipError_tT1_PNSt15iterator_traitsISG_E10value_typeET2_T3_PNSH_ISM_E10value_typeET4_T5_PSR_SS_PNS1_23onesweep_lookback_stateEbbT6_jjT7_P12ihipStream_tbENKUlT_T0_SG_SL_E_clIS7_S7_SB_S7_EEDaSZ_S10_SG_SL_EUlSZ_E_NS1_11comp_targetILNS1_3genE4ELNS1_11target_archE910ELNS1_3gpuE8ELNS1_3repE0EEENS1_47radix_sort_onesweep_sort_config_static_selectorELNS0_4arch9wavefront6targetE1EEEvSG_
	.globl	_ZN7rocprim17ROCPRIM_400000_NS6detail17trampoline_kernelINS0_14default_configENS1_35radix_sort_onesweep_config_selectorIllEEZZNS1_29radix_sort_onesweep_iterationIS3_Lb0EPlS7_N6thrust23THRUST_200600_302600_NS10device_ptrIlEESB_jNS0_19identity_decomposerENS1_16block_id_wrapperIjLb1EEEEE10hipError_tT1_PNSt15iterator_traitsISG_E10value_typeET2_T3_PNSH_ISM_E10value_typeET4_T5_PSR_SS_PNS1_23onesweep_lookback_stateEbbT6_jjT7_P12ihipStream_tbENKUlT_T0_SG_SL_E_clIS7_S7_SB_S7_EEDaSZ_S10_SG_SL_EUlSZ_E_NS1_11comp_targetILNS1_3genE4ELNS1_11target_archE910ELNS1_3gpuE8ELNS1_3repE0EEENS1_47radix_sort_onesweep_sort_config_static_selectorELNS0_4arch9wavefront6targetE1EEEvSG_
	.p2align	8
	.type	_ZN7rocprim17ROCPRIM_400000_NS6detail17trampoline_kernelINS0_14default_configENS1_35radix_sort_onesweep_config_selectorIllEEZZNS1_29radix_sort_onesweep_iterationIS3_Lb0EPlS7_N6thrust23THRUST_200600_302600_NS10device_ptrIlEESB_jNS0_19identity_decomposerENS1_16block_id_wrapperIjLb1EEEEE10hipError_tT1_PNSt15iterator_traitsISG_E10value_typeET2_T3_PNSH_ISM_E10value_typeET4_T5_PSR_SS_PNS1_23onesweep_lookback_stateEbbT6_jjT7_P12ihipStream_tbENKUlT_T0_SG_SL_E_clIS7_S7_SB_S7_EEDaSZ_S10_SG_SL_EUlSZ_E_NS1_11comp_targetILNS1_3genE4ELNS1_11target_archE910ELNS1_3gpuE8ELNS1_3repE0EEENS1_47radix_sort_onesweep_sort_config_static_selectorELNS0_4arch9wavefront6targetE1EEEvSG_,@function
_ZN7rocprim17ROCPRIM_400000_NS6detail17trampoline_kernelINS0_14default_configENS1_35radix_sort_onesweep_config_selectorIllEEZZNS1_29radix_sort_onesweep_iterationIS3_Lb0EPlS7_N6thrust23THRUST_200600_302600_NS10device_ptrIlEESB_jNS0_19identity_decomposerENS1_16block_id_wrapperIjLb1EEEEE10hipError_tT1_PNSt15iterator_traitsISG_E10value_typeET2_T3_PNSH_ISM_E10value_typeET4_T5_PSR_SS_PNS1_23onesweep_lookback_stateEbbT6_jjT7_P12ihipStream_tbENKUlT_T0_SG_SL_E_clIS7_S7_SB_S7_EEDaSZ_S10_SG_SL_EUlSZ_E_NS1_11comp_targetILNS1_3genE4ELNS1_11target_archE910ELNS1_3gpuE8ELNS1_3repE0EEENS1_47radix_sort_onesweep_sort_config_static_selectorELNS0_4arch9wavefront6targetE1EEEvSG_: ; @_ZN7rocprim17ROCPRIM_400000_NS6detail17trampoline_kernelINS0_14default_configENS1_35radix_sort_onesweep_config_selectorIllEEZZNS1_29radix_sort_onesweep_iterationIS3_Lb0EPlS7_N6thrust23THRUST_200600_302600_NS10device_ptrIlEESB_jNS0_19identity_decomposerENS1_16block_id_wrapperIjLb1EEEEE10hipError_tT1_PNSt15iterator_traitsISG_E10value_typeET2_T3_PNSH_ISM_E10value_typeET4_T5_PSR_SS_PNS1_23onesweep_lookback_stateEbbT6_jjT7_P12ihipStream_tbENKUlT_T0_SG_SL_E_clIS7_S7_SB_S7_EEDaSZ_S10_SG_SL_EUlSZ_E_NS1_11comp_targetILNS1_3genE4ELNS1_11target_archE910ELNS1_3gpuE8ELNS1_3repE0EEENS1_47radix_sort_onesweep_sort_config_static_selectorELNS0_4arch9wavefront6targetE1EEEvSG_
; %bb.0:
	.section	.rodata,"a",@progbits
	.p2align	6, 0x0
	.amdhsa_kernel _ZN7rocprim17ROCPRIM_400000_NS6detail17trampoline_kernelINS0_14default_configENS1_35radix_sort_onesweep_config_selectorIllEEZZNS1_29radix_sort_onesweep_iterationIS3_Lb0EPlS7_N6thrust23THRUST_200600_302600_NS10device_ptrIlEESB_jNS0_19identity_decomposerENS1_16block_id_wrapperIjLb1EEEEE10hipError_tT1_PNSt15iterator_traitsISG_E10value_typeET2_T3_PNSH_ISM_E10value_typeET4_T5_PSR_SS_PNS1_23onesweep_lookback_stateEbbT6_jjT7_P12ihipStream_tbENKUlT_T0_SG_SL_E_clIS7_S7_SB_S7_EEDaSZ_S10_SG_SL_EUlSZ_E_NS1_11comp_targetILNS1_3genE4ELNS1_11target_archE910ELNS1_3gpuE8ELNS1_3repE0EEENS1_47radix_sort_onesweep_sort_config_static_selectorELNS0_4arch9wavefront6targetE1EEEvSG_
		.amdhsa_group_segment_fixed_size 0
		.amdhsa_private_segment_fixed_size 0
		.amdhsa_kernarg_size 88
		.amdhsa_user_sgpr_count 6
		.amdhsa_user_sgpr_private_segment_buffer 1
		.amdhsa_user_sgpr_dispatch_ptr 0
		.amdhsa_user_sgpr_queue_ptr 0
		.amdhsa_user_sgpr_kernarg_segment_ptr 1
		.amdhsa_user_sgpr_dispatch_id 0
		.amdhsa_user_sgpr_flat_scratch_init 0
		.amdhsa_user_sgpr_private_segment_size 0
		.amdhsa_uses_dynamic_stack 0
		.amdhsa_system_sgpr_private_segment_wavefront_offset 0
		.amdhsa_system_sgpr_workgroup_id_x 1
		.amdhsa_system_sgpr_workgroup_id_y 0
		.amdhsa_system_sgpr_workgroup_id_z 0
		.amdhsa_system_sgpr_workgroup_info 0
		.amdhsa_system_vgpr_workitem_id 0
		.amdhsa_next_free_vgpr 1
		.amdhsa_next_free_sgpr 0
		.amdhsa_reserve_vcc 0
		.amdhsa_reserve_flat_scratch 0
		.amdhsa_float_round_mode_32 0
		.amdhsa_float_round_mode_16_64 0
		.amdhsa_float_denorm_mode_32 3
		.amdhsa_float_denorm_mode_16_64 3
		.amdhsa_dx10_clamp 1
		.amdhsa_ieee_mode 1
		.amdhsa_fp16_overflow 0
		.amdhsa_exception_fp_ieee_invalid_op 0
		.amdhsa_exception_fp_denorm_src 0
		.amdhsa_exception_fp_ieee_div_zero 0
		.amdhsa_exception_fp_ieee_overflow 0
		.amdhsa_exception_fp_ieee_underflow 0
		.amdhsa_exception_fp_ieee_inexact 0
		.amdhsa_exception_int_div_zero 0
	.end_amdhsa_kernel
	.section	.text._ZN7rocprim17ROCPRIM_400000_NS6detail17trampoline_kernelINS0_14default_configENS1_35radix_sort_onesweep_config_selectorIllEEZZNS1_29radix_sort_onesweep_iterationIS3_Lb0EPlS7_N6thrust23THRUST_200600_302600_NS10device_ptrIlEESB_jNS0_19identity_decomposerENS1_16block_id_wrapperIjLb1EEEEE10hipError_tT1_PNSt15iterator_traitsISG_E10value_typeET2_T3_PNSH_ISM_E10value_typeET4_T5_PSR_SS_PNS1_23onesweep_lookback_stateEbbT6_jjT7_P12ihipStream_tbENKUlT_T0_SG_SL_E_clIS7_S7_SB_S7_EEDaSZ_S10_SG_SL_EUlSZ_E_NS1_11comp_targetILNS1_3genE4ELNS1_11target_archE910ELNS1_3gpuE8ELNS1_3repE0EEENS1_47radix_sort_onesweep_sort_config_static_selectorELNS0_4arch9wavefront6targetE1EEEvSG_,"axG",@progbits,_ZN7rocprim17ROCPRIM_400000_NS6detail17trampoline_kernelINS0_14default_configENS1_35radix_sort_onesweep_config_selectorIllEEZZNS1_29radix_sort_onesweep_iterationIS3_Lb0EPlS7_N6thrust23THRUST_200600_302600_NS10device_ptrIlEESB_jNS0_19identity_decomposerENS1_16block_id_wrapperIjLb1EEEEE10hipError_tT1_PNSt15iterator_traitsISG_E10value_typeET2_T3_PNSH_ISM_E10value_typeET4_T5_PSR_SS_PNS1_23onesweep_lookback_stateEbbT6_jjT7_P12ihipStream_tbENKUlT_T0_SG_SL_E_clIS7_S7_SB_S7_EEDaSZ_S10_SG_SL_EUlSZ_E_NS1_11comp_targetILNS1_3genE4ELNS1_11target_archE910ELNS1_3gpuE8ELNS1_3repE0EEENS1_47radix_sort_onesweep_sort_config_static_selectorELNS0_4arch9wavefront6targetE1EEEvSG_,comdat
.Lfunc_end1145:
	.size	_ZN7rocprim17ROCPRIM_400000_NS6detail17trampoline_kernelINS0_14default_configENS1_35radix_sort_onesweep_config_selectorIllEEZZNS1_29radix_sort_onesweep_iterationIS3_Lb0EPlS7_N6thrust23THRUST_200600_302600_NS10device_ptrIlEESB_jNS0_19identity_decomposerENS1_16block_id_wrapperIjLb1EEEEE10hipError_tT1_PNSt15iterator_traitsISG_E10value_typeET2_T3_PNSH_ISM_E10value_typeET4_T5_PSR_SS_PNS1_23onesweep_lookback_stateEbbT6_jjT7_P12ihipStream_tbENKUlT_T0_SG_SL_E_clIS7_S7_SB_S7_EEDaSZ_S10_SG_SL_EUlSZ_E_NS1_11comp_targetILNS1_3genE4ELNS1_11target_archE910ELNS1_3gpuE8ELNS1_3repE0EEENS1_47radix_sort_onesweep_sort_config_static_selectorELNS0_4arch9wavefront6targetE1EEEvSG_, .Lfunc_end1145-_ZN7rocprim17ROCPRIM_400000_NS6detail17trampoline_kernelINS0_14default_configENS1_35radix_sort_onesweep_config_selectorIllEEZZNS1_29radix_sort_onesweep_iterationIS3_Lb0EPlS7_N6thrust23THRUST_200600_302600_NS10device_ptrIlEESB_jNS0_19identity_decomposerENS1_16block_id_wrapperIjLb1EEEEE10hipError_tT1_PNSt15iterator_traitsISG_E10value_typeET2_T3_PNSH_ISM_E10value_typeET4_T5_PSR_SS_PNS1_23onesweep_lookback_stateEbbT6_jjT7_P12ihipStream_tbENKUlT_T0_SG_SL_E_clIS7_S7_SB_S7_EEDaSZ_S10_SG_SL_EUlSZ_E_NS1_11comp_targetILNS1_3genE4ELNS1_11target_archE910ELNS1_3gpuE8ELNS1_3repE0EEENS1_47radix_sort_onesweep_sort_config_static_selectorELNS0_4arch9wavefront6targetE1EEEvSG_
                                        ; -- End function
	.set _ZN7rocprim17ROCPRIM_400000_NS6detail17trampoline_kernelINS0_14default_configENS1_35radix_sort_onesweep_config_selectorIllEEZZNS1_29radix_sort_onesweep_iterationIS3_Lb0EPlS7_N6thrust23THRUST_200600_302600_NS10device_ptrIlEESB_jNS0_19identity_decomposerENS1_16block_id_wrapperIjLb1EEEEE10hipError_tT1_PNSt15iterator_traitsISG_E10value_typeET2_T3_PNSH_ISM_E10value_typeET4_T5_PSR_SS_PNS1_23onesweep_lookback_stateEbbT6_jjT7_P12ihipStream_tbENKUlT_T0_SG_SL_E_clIS7_S7_SB_S7_EEDaSZ_S10_SG_SL_EUlSZ_E_NS1_11comp_targetILNS1_3genE4ELNS1_11target_archE910ELNS1_3gpuE8ELNS1_3repE0EEENS1_47radix_sort_onesweep_sort_config_static_selectorELNS0_4arch9wavefront6targetE1EEEvSG_.num_vgpr, 0
	.set _ZN7rocprim17ROCPRIM_400000_NS6detail17trampoline_kernelINS0_14default_configENS1_35radix_sort_onesweep_config_selectorIllEEZZNS1_29radix_sort_onesweep_iterationIS3_Lb0EPlS7_N6thrust23THRUST_200600_302600_NS10device_ptrIlEESB_jNS0_19identity_decomposerENS1_16block_id_wrapperIjLb1EEEEE10hipError_tT1_PNSt15iterator_traitsISG_E10value_typeET2_T3_PNSH_ISM_E10value_typeET4_T5_PSR_SS_PNS1_23onesweep_lookback_stateEbbT6_jjT7_P12ihipStream_tbENKUlT_T0_SG_SL_E_clIS7_S7_SB_S7_EEDaSZ_S10_SG_SL_EUlSZ_E_NS1_11comp_targetILNS1_3genE4ELNS1_11target_archE910ELNS1_3gpuE8ELNS1_3repE0EEENS1_47radix_sort_onesweep_sort_config_static_selectorELNS0_4arch9wavefront6targetE1EEEvSG_.num_agpr, 0
	.set _ZN7rocprim17ROCPRIM_400000_NS6detail17trampoline_kernelINS0_14default_configENS1_35radix_sort_onesweep_config_selectorIllEEZZNS1_29radix_sort_onesweep_iterationIS3_Lb0EPlS7_N6thrust23THRUST_200600_302600_NS10device_ptrIlEESB_jNS0_19identity_decomposerENS1_16block_id_wrapperIjLb1EEEEE10hipError_tT1_PNSt15iterator_traitsISG_E10value_typeET2_T3_PNSH_ISM_E10value_typeET4_T5_PSR_SS_PNS1_23onesweep_lookback_stateEbbT6_jjT7_P12ihipStream_tbENKUlT_T0_SG_SL_E_clIS7_S7_SB_S7_EEDaSZ_S10_SG_SL_EUlSZ_E_NS1_11comp_targetILNS1_3genE4ELNS1_11target_archE910ELNS1_3gpuE8ELNS1_3repE0EEENS1_47radix_sort_onesweep_sort_config_static_selectorELNS0_4arch9wavefront6targetE1EEEvSG_.numbered_sgpr, 0
	.set _ZN7rocprim17ROCPRIM_400000_NS6detail17trampoline_kernelINS0_14default_configENS1_35radix_sort_onesweep_config_selectorIllEEZZNS1_29radix_sort_onesweep_iterationIS3_Lb0EPlS7_N6thrust23THRUST_200600_302600_NS10device_ptrIlEESB_jNS0_19identity_decomposerENS1_16block_id_wrapperIjLb1EEEEE10hipError_tT1_PNSt15iterator_traitsISG_E10value_typeET2_T3_PNSH_ISM_E10value_typeET4_T5_PSR_SS_PNS1_23onesweep_lookback_stateEbbT6_jjT7_P12ihipStream_tbENKUlT_T0_SG_SL_E_clIS7_S7_SB_S7_EEDaSZ_S10_SG_SL_EUlSZ_E_NS1_11comp_targetILNS1_3genE4ELNS1_11target_archE910ELNS1_3gpuE8ELNS1_3repE0EEENS1_47radix_sort_onesweep_sort_config_static_selectorELNS0_4arch9wavefront6targetE1EEEvSG_.num_named_barrier, 0
	.set _ZN7rocprim17ROCPRIM_400000_NS6detail17trampoline_kernelINS0_14default_configENS1_35radix_sort_onesweep_config_selectorIllEEZZNS1_29radix_sort_onesweep_iterationIS3_Lb0EPlS7_N6thrust23THRUST_200600_302600_NS10device_ptrIlEESB_jNS0_19identity_decomposerENS1_16block_id_wrapperIjLb1EEEEE10hipError_tT1_PNSt15iterator_traitsISG_E10value_typeET2_T3_PNSH_ISM_E10value_typeET4_T5_PSR_SS_PNS1_23onesweep_lookback_stateEbbT6_jjT7_P12ihipStream_tbENKUlT_T0_SG_SL_E_clIS7_S7_SB_S7_EEDaSZ_S10_SG_SL_EUlSZ_E_NS1_11comp_targetILNS1_3genE4ELNS1_11target_archE910ELNS1_3gpuE8ELNS1_3repE0EEENS1_47radix_sort_onesweep_sort_config_static_selectorELNS0_4arch9wavefront6targetE1EEEvSG_.private_seg_size, 0
	.set _ZN7rocprim17ROCPRIM_400000_NS6detail17trampoline_kernelINS0_14default_configENS1_35radix_sort_onesweep_config_selectorIllEEZZNS1_29radix_sort_onesweep_iterationIS3_Lb0EPlS7_N6thrust23THRUST_200600_302600_NS10device_ptrIlEESB_jNS0_19identity_decomposerENS1_16block_id_wrapperIjLb1EEEEE10hipError_tT1_PNSt15iterator_traitsISG_E10value_typeET2_T3_PNSH_ISM_E10value_typeET4_T5_PSR_SS_PNS1_23onesweep_lookback_stateEbbT6_jjT7_P12ihipStream_tbENKUlT_T0_SG_SL_E_clIS7_S7_SB_S7_EEDaSZ_S10_SG_SL_EUlSZ_E_NS1_11comp_targetILNS1_3genE4ELNS1_11target_archE910ELNS1_3gpuE8ELNS1_3repE0EEENS1_47radix_sort_onesweep_sort_config_static_selectorELNS0_4arch9wavefront6targetE1EEEvSG_.uses_vcc, 0
	.set _ZN7rocprim17ROCPRIM_400000_NS6detail17trampoline_kernelINS0_14default_configENS1_35radix_sort_onesweep_config_selectorIllEEZZNS1_29radix_sort_onesweep_iterationIS3_Lb0EPlS7_N6thrust23THRUST_200600_302600_NS10device_ptrIlEESB_jNS0_19identity_decomposerENS1_16block_id_wrapperIjLb1EEEEE10hipError_tT1_PNSt15iterator_traitsISG_E10value_typeET2_T3_PNSH_ISM_E10value_typeET4_T5_PSR_SS_PNS1_23onesweep_lookback_stateEbbT6_jjT7_P12ihipStream_tbENKUlT_T0_SG_SL_E_clIS7_S7_SB_S7_EEDaSZ_S10_SG_SL_EUlSZ_E_NS1_11comp_targetILNS1_3genE4ELNS1_11target_archE910ELNS1_3gpuE8ELNS1_3repE0EEENS1_47radix_sort_onesweep_sort_config_static_selectorELNS0_4arch9wavefront6targetE1EEEvSG_.uses_flat_scratch, 0
	.set _ZN7rocprim17ROCPRIM_400000_NS6detail17trampoline_kernelINS0_14default_configENS1_35radix_sort_onesweep_config_selectorIllEEZZNS1_29radix_sort_onesweep_iterationIS3_Lb0EPlS7_N6thrust23THRUST_200600_302600_NS10device_ptrIlEESB_jNS0_19identity_decomposerENS1_16block_id_wrapperIjLb1EEEEE10hipError_tT1_PNSt15iterator_traitsISG_E10value_typeET2_T3_PNSH_ISM_E10value_typeET4_T5_PSR_SS_PNS1_23onesweep_lookback_stateEbbT6_jjT7_P12ihipStream_tbENKUlT_T0_SG_SL_E_clIS7_S7_SB_S7_EEDaSZ_S10_SG_SL_EUlSZ_E_NS1_11comp_targetILNS1_3genE4ELNS1_11target_archE910ELNS1_3gpuE8ELNS1_3repE0EEENS1_47radix_sort_onesweep_sort_config_static_selectorELNS0_4arch9wavefront6targetE1EEEvSG_.has_dyn_sized_stack, 0
	.set _ZN7rocprim17ROCPRIM_400000_NS6detail17trampoline_kernelINS0_14default_configENS1_35radix_sort_onesweep_config_selectorIllEEZZNS1_29radix_sort_onesweep_iterationIS3_Lb0EPlS7_N6thrust23THRUST_200600_302600_NS10device_ptrIlEESB_jNS0_19identity_decomposerENS1_16block_id_wrapperIjLb1EEEEE10hipError_tT1_PNSt15iterator_traitsISG_E10value_typeET2_T3_PNSH_ISM_E10value_typeET4_T5_PSR_SS_PNS1_23onesweep_lookback_stateEbbT6_jjT7_P12ihipStream_tbENKUlT_T0_SG_SL_E_clIS7_S7_SB_S7_EEDaSZ_S10_SG_SL_EUlSZ_E_NS1_11comp_targetILNS1_3genE4ELNS1_11target_archE910ELNS1_3gpuE8ELNS1_3repE0EEENS1_47radix_sort_onesweep_sort_config_static_selectorELNS0_4arch9wavefront6targetE1EEEvSG_.has_recursion, 0
	.set _ZN7rocprim17ROCPRIM_400000_NS6detail17trampoline_kernelINS0_14default_configENS1_35radix_sort_onesweep_config_selectorIllEEZZNS1_29radix_sort_onesweep_iterationIS3_Lb0EPlS7_N6thrust23THRUST_200600_302600_NS10device_ptrIlEESB_jNS0_19identity_decomposerENS1_16block_id_wrapperIjLb1EEEEE10hipError_tT1_PNSt15iterator_traitsISG_E10value_typeET2_T3_PNSH_ISM_E10value_typeET4_T5_PSR_SS_PNS1_23onesweep_lookback_stateEbbT6_jjT7_P12ihipStream_tbENKUlT_T0_SG_SL_E_clIS7_S7_SB_S7_EEDaSZ_S10_SG_SL_EUlSZ_E_NS1_11comp_targetILNS1_3genE4ELNS1_11target_archE910ELNS1_3gpuE8ELNS1_3repE0EEENS1_47radix_sort_onesweep_sort_config_static_selectorELNS0_4arch9wavefront6targetE1EEEvSG_.has_indirect_call, 0
	.section	.AMDGPU.csdata,"",@progbits
; Kernel info:
; codeLenInByte = 0
; TotalNumSgprs: 4
; NumVgprs: 0
; ScratchSize: 0
; MemoryBound: 0
; FloatMode: 240
; IeeeMode: 1
; LDSByteSize: 0 bytes/workgroup (compile time only)
; SGPRBlocks: 0
; VGPRBlocks: 0
; NumSGPRsForWavesPerEU: 4
; NumVGPRsForWavesPerEU: 1
; Occupancy: 10
; WaveLimiterHint : 0
; COMPUTE_PGM_RSRC2:SCRATCH_EN: 0
; COMPUTE_PGM_RSRC2:USER_SGPR: 6
; COMPUTE_PGM_RSRC2:TRAP_HANDLER: 0
; COMPUTE_PGM_RSRC2:TGID_X_EN: 1
; COMPUTE_PGM_RSRC2:TGID_Y_EN: 0
; COMPUTE_PGM_RSRC2:TGID_Z_EN: 0
; COMPUTE_PGM_RSRC2:TIDIG_COMP_CNT: 0
	.section	.text._ZN7rocprim17ROCPRIM_400000_NS6detail17trampoline_kernelINS0_14default_configENS1_35radix_sort_onesweep_config_selectorIllEEZZNS1_29radix_sort_onesweep_iterationIS3_Lb0EPlS7_N6thrust23THRUST_200600_302600_NS10device_ptrIlEESB_jNS0_19identity_decomposerENS1_16block_id_wrapperIjLb1EEEEE10hipError_tT1_PNSt15iterator_traitsISG_E10value_typeET2_T3_PNSH_ISM_E10value_typeET4_T5_PSR_SS_PNS1_23onesweep_lookback_stateEbbT6_jjT7_P12ihipStream_tbENKUlT_T0_SG_SL_E_clIS7_S7_SB_S7_EEDaSZ_S10_SG_SL_EUlSZ_E_NS1_11comp_targetILNS1_3genE3ELNS1_11target_archE908ELNS1_3gpuE7ELNS1_3repE0EEENS1_47radix_sort_onesweep_sort_config_static_selectorELNS0_4arch9wavefront6targetE1EEEvSG_,"axG",@progbits,_ZN7rocprim17ROCPRIM_400000_NS6detail17trampoline_kernelINS0_14default_configENS1_35radix_sort_onesweep_config_selectorIllEEZZNS1_29radix_sort_onesweep_iterationIS3_Lb0EPlS7_N6thrust23THRUST_200600_302600_NS10device_ptrIlEESB_jNS0_19identity_decomposerENS1_16block_id_wrapperIjLb1EEEEE10hipError_tT1_PNSt15iterator_traitsISG_E10value_typeET2_T3_PNSH_ISM_E10value_typeET4_T5_PSR_SS_PNS1_23onesweep_lookback_stateEbbT6_jjT7_P12ihipStream_tbENKUlT_T0_SG_SL_E_clIS7_S7_SB_S7_EEDaSZ_S10_SG_SL_EUlSZ_E_NS1_11comp_targetILNS1_3genE3ELNS1_11target_archE908ELNS1_3gpuE7ELNS1_3repE0EEENS1_47radix_sort_onesweep_sort_config_static_selectorELNS0_4arch9wavefront6targetE1EEEvSG_,comdat
	.protected	_ZN7rocprim17ROCPRIM_400000_NS6detail17trampoline_kernelINS0_14default_configENS1_35radix_sort_onesweep_config_selectorIllEEZZNS1_29radix_sort_onesweep_iterationIS3_Lb0EPlS7_N6thrust23THRUST_200600_302600_NS10device_ptrIlEESB_jNS0_19identity_decomposerENS1_16block_id_wrapperIjLb1EEEEE10hipError_tT1_PNSt15iterator_traitsISG_E10value_typeET2_T3_PNSH_ISM_E10value_typeET4_T5_PSR_SS_PNS1_23onesweep_lookback_stateEbbT6_jjT7_P12ihipStream_tbENKUlT_T0_SG_SL_E_clIS7_S7_SB_S7_EEDaSZ_S10_SG_SL_EUlSZ_E_NS1_11comp_targetILNS1_3genE3ELNS1_11target_archE908ELNS1_3gpuE7ELNS1_3repE0EEENS1_47radix_sort_onesweep_sort_config_static_selectorELNS0_4arch9wavefront6targetE1EEEvSG_ ; -- Begin function _ZN7rocprim17ROCPRIM_400000_NS6detail17trampoline_kernelINS0_14default_configENS1_35radix_sort_onesweep_config_selectorIllEEZZNS1_29radix_sort_onesweep_iterationIS3_Lb0EPlS7_N6thrust23THRUST_200600_302600_NS10device_ptrIlEESB_jNS0_19identity_decomposerENS1_16block_id_wrapperIjLb1EEEEE10hipError_tT1_PNSt15iterator_traitsISG_E10value_typeET2_T3_PNSH_ISM_E10value_typeET4_T5_PSR_SS_PNS1_23onesweep_lookback_stateEbbT6_jjT7_P12ihipStream_tbENKUlT_T0_SG_SL_E_clIS7_S7_SB_S7_EEDaSZ_S10_SG_SL_EUlSZ_E_NS1_11comp_targetILNS1_3genE3ELNS1_11target_archE908ELNS1_3gpuE7ELNS1_3repE0EEENS1_47radix_sort_onesweep_sort_config_static_selectorELNS0_4arch9wavefront6targetE1EEEvSG_
	.globl	_ZN7rocprim17ROCPRIM_400000_NS6detail17trampoline_kernelINS0_14default_configENS1_35radix_sort_onesweep_config_selectorIllEEZZNS1_29radix_sort_onesweep_iterationIS3_Lb0EPlS7_N6thrust23THRUST_200600_302600_NS10device_ptrIlEESB_jNS0_19identity_decomposerENS1_16block_id_wrapperIjLb1EEEEE10hipError_tT1_PNSt15iterator_traitsISG_E10value_typeET2_T3_PNSH_ISM_E10value_typeET4_T5_PSR_SS_PNS1_23onesweep_lookback_stateEbbT6_jjT7_P12ihipStream_tbENKUlT_T0_SG_SL_E_clIS7_S7_SB_S7_EEDaSZ_S10_SG_SL_EUlSZ_E_NS1_11comp_targetILNS1_3genE3ELNS1_11target_archE908ELNS1_3gpuE7ELNS1_3repE0EEENS1_47radix_sort_onesweep_sort_config_static_selectorELNS0_4arch9wavefront6targetE1EEEvSG_
	.p2align	8
	.type	_ZN7rocprim17ROCPRIM_400000_NS6detail17trampoline_kernelINS0_14default_configENS1_35radix_sort_onesweep_config_selectorIllEEZZNS1_29radix_sort_onesweep_iterationIS3_Lb0EPlS7_N6thrust23THRUST_200600_302600_NS10device_ptrIlEESB_jNS0_19identity_decomposerENS1_16block_id_wrapperIjLb1EEEEE10hipError_tT1_PNSt15iterator_traitsISG_E10value_typeET2_T3_PNSH_ISM_E10value_typeET4_T5_PSR_SS_PNS1_23onesweep_lookback_stateEbbT6_jjT7_P12ihipStream_tbENKUlT_T0_SG_SL_E_clIS7_S7_SB_S7_EEDaSZ_S10_SG_SL_EUlSZ_E_NS1_11comp_targetILNS1_3genE3ELNS1_11target_archE908ELNS1_3gpuE7ELNS1_3repE0EEENS1_47radix_sort_onesweep_sort_config_static_selectorELNS0_4arch9wavefront6targetE1EEEvSG_,@function
_ZN7rocprim17ROCPRIM_400000_NS6detail17trampoline_kernelINS0_14default_configENS1_35radix_sort_onesweep_config_selectorIllEEZZNS1_29radix_sort_onesweep_iterationIS3_Lb0EPlS7_N6thrust23THRUST_200600_302600_NS10device_ptrIlEESB_jNS0_19identity_decomposerENS1_16block_id_wrapperIjLb1EEEEE10hipError_tT1_PNSt15iterator_traitsISG_E10value_typeET2_T3_PNSH_ISM_E10value_typeET4_T5_PSR_SS_PNS1_23onesweep_lookback_stateEbbT6_jjT7_P12ihipStream_tbENKUlT_T0_SG_SL_E_clIS7_S7_SB_S7_EEDaSZ_S10_SG_SL_EUlSZ_E_NS1_11comp_targetILNS1_3genE3ELNS1_11target_archE908ELNS1_3gpuE7ELNS1_3repE0EEENS1_47radix_sort_onesweep_sort_config_static_selectorELNS0_4arch9wavefront6targetE1EEEvSG_: ; @_ZN7rocprim17ROCPRIM_400000_NS6detail17trampoline_kernelINS0_14default_configENS1_35radix_sort_onesweep_config_selectorIllEEZZNS1_29radix_sort_onesweep_iterationIS3_Lb0EPlS7_N6thrust23THRUST_200600_302600_NS10device_ptrIlEESB_jNS0_19identity_decomposerENS1_16block_id_wrapperIjLb1EEEEE10hipError_tT1_PNSt15iterator_traitsISG_E10value_typeET2_T3_PNSH_ISM_E10value_typeET4_T5_PSR_SS_PNS1_23onesweep_lookback_stateEbbT6_jjT7_P12ihipStream_tbENKUlT_T0_SG_SL_E_clIS7_S7_SB_S7_EEDaSZ_S10_SG_SL_EUlSZ_E_NS1_11comp_targetILNS1_3genE3ELNS1_11target_archE908ELNS1_3gpuE7ELNS1_3repE0EEENS1_47radix_sort_onesweep_sort_config_static_selectorELNS0_4arch9wavefront6targetE1EEEvSG_
; %bb.0:
	.section	.rodata,"a",@progbits
	.p2align	6, 0x0
	.amdhsa_kernel _ZN7rocprim17ROCPRIM_400000_NS6detail17trampoline_kernelINS0_14default_configENS1_35radix_sort_onesweep_config_selectorIllEEZZNS1_29radix_sort_onesweep_iterationIS3_Lb0EPlS7_N6thrust23THRUST_200600_302600_NS10device_ptrIlEESB_jNS0_19identity_decomposerENS1_16block_id_wrapperIjLb1EEEEE10hipError_tT1_PNSt15iterator_traitsISG_E10value_typeET2_T3_PNSH_ISM_E10value_typeET4_T5_PSR_SS_PNS1_23onesweep_lookback_stateEbbT6_jjT7_P12ihipStream_tbENKUlT_T0_SG_SL_E_clIS7_S7_SB_S7_EEDaSZ_S10_SG_SL_EUlSZ_E_NS1_11comp_targetILNS1_3genE3ELNS1_11target_archE908ELNS1_3gpuE7ELNS1_3repE0EEENS1_47radix_sort_onesweep_sort_config_static_selectorELNS0_4arch9wavefront6targetE1EEEvSG_
		.amdhsa_group_segment_fixed_size 0
		.amdhsa_private_segment_fixed_size 0
		.amdhsa_kernarg_size 88
		.amdhsa_user_sgpr_count 6
		.amdhsa_user_sgpr_private_segment_buffer 1
		.amdhsa_user_sgpr_dispatch_ptr 0
		.amdhsa_user_sgpr_queue_ptr 0
		.amdhsa_user_sgpr_kernarg_segment_ptr 1
		.amdhsa_user_sgpr_dispatch_id 0
		.amdhsa_user_sgpr_flat_scratch_init 0
		.amdhsa_user_sgpr_private_segment_size 0
		.amdhsa_uses_dynamic_stack 0
		.amdhsa_system_sgpr_private_segment_wavefront_offset 0
		.amdhsa_system_sgpr_workgroup_id_x 1
		.amdhsa_system_sgpr_workgroup_id_y 0
		.amdhsa_system_sgpr_workgroup_id_z 0
		.amdhsa_system_sgpr_workgroup_info 0
		.amdhsa_system_vgpr_workitem_id 0
		.amdhsa_next_free_vgpr 1
		.amdhsa_next_free_sgpr 0
		.amdhsa_reserve_vcc 0
		.amdhsa_reserve_flat_scratch 0
		.amdhsa_float_round_mode_32 0
		.amdhsa_float_round_mode_16_64 0
		.amdhsa_float_denorm_mode_32 3
		.amdhsa_float_denorm_mode_16_64 3
		.amdhsa_dx10_clamp 1
		.amdhsa_ieee_mode 1
		.amdhsa_fp16_overflow 0
		.amdhsa_exception_fp_ieee_invalid_op 0
		.amdhsa_exception_fp_denorm_src 0
		.amdhsa_exception_fp_ieee_div_zero 0
		.amdhsa_exception_fp_ieee_overflow 0
		.amdhsa_exception_fp_ieee_underflow 0
		.amdhsa_exception_fp_ieee_inexact 0
		.amdhsa_exception_int_div_zero 0
	.end_amdhsa_kernel
	.section	.text._ZN7rocprim17ROCPRIM_400000_NS6detail17trampoline_kernelINS0_14default_configENS1_35radix_sort_onesweep_config_selectorIllEEZZNS1_29radix_sort_onesweep_iterationIS3_Lb0EPlS7_N6thrust23THRUST_200600_302600_NS10device_ptrIlEESB_jNS0_19identity_decomposerENS1_16block_id_wrapperIjLb1EEEEE10hipError_tT1_PNSt15iterator_traitsISG_E10value_typeET2_T3_PNSH_ISM_E10value_typeET4_T5_PSR_SS_PNS1_23onesweep_lookback_stateEbbT6_jjT7_P12ihipStream_tbENKUlT_T0_SG_SL_E_clIS7_S7_SB_S7_EEDaSZ_S10_SG_SL_EUlSZ_E_NS1_11comp_targetILNS1_3genE3ELNS1_11target_archE908ELNS1_3gpuE7ELNS1_3repE0EEENS1_47radix_sort_onesweep_sort_config_static_selectorELNS0_4arch9wavefront6targetE1EEEvSG_,"axG",@progbits,_ZN7rocprim17ROCPRIM_400000_NS6detail17trampoline_kernelINS0_14default_configENS1_35radix_sort_onesweep_config_selectorIllEEZZNS1_29radix_sort_onesweep_iterationIS3_Lb0EPlS7_N6thrust23THRUST_200600_302600_NS10device_ptrIlEESB_jNS0_19identity_decomposerENS1_16block_id_wrapperIjLb1EEEEE10hipError_tT1_PNSt15iterator_traitsISG_E10value_typeET2_T3_PNSH_ISM_E10value_typeET4_T5_PSR_SS_PNS1_23onesweep_lookback_stateEbbT6_jjT7_P12ihipStream_tbENKUlT_T0_SG_SL_E_clIS7_S7_SB_S7_EEDaSZ_S10_SG_SL_EUlSZ_E_NS1_11comp_targetILNS1_3genE3ELNS1_11target_archE908ELNS1_3gpuE7ELNS1_3repE0EEENS1_47radix_sort_onesweep_sort_config_static_selectorELNS0_4arch9wavefront6targetE1EEEvSG_,comdat
.Lfunc_end1146:
	.size	_ZN7rocprim17ROCPRIM_400000_NS6detail17trampoline_kernelINS0_14default_configENS1_35radix_sort_onesweep_config_selectorIllEEZZNS1_29radix_sort_onesweep_iterationIS3_Lb0EPlS7_N6thrust23THRUST_200600_302600_NS10device_ptrIlEESB_jNS0_19identity_decomposerENS1_16block_id_wrapperIjLb1EEEEE10hipError_tT1_PNSt15iterator_traitsISG_E10value_typeET2_T3_PNSH_ISM_E10value_typeET4_T5_PSR_SS_PNS1_23onesweep_lookback_stateEbbT6_jjT7_P12ihipStream_tbENKUlT_T0_SG_SL_E_clIS7_S7_SB_S7_EEDaSZ_S10_SG_SL_EUlSZ_E_NS1_11comp_targetILNS1_3genE3ELNS1_11target_archE908ELNS1_3gpuE7ELNS1_3repE0EEENS1_47radix_sort_onesweep_sort_config_static_selectorELNS0_4arch9wavefront6targetE1EEEvSG_, .Lfunc_end1146-_ZN7rocprim17ROCPRIM_400000_NS6detail17trampoline_kernelINS0_14default_configENS1_35radix_sort_onesweep_config_selectorIllEEZZNS1_29radix_sort_onesweep_iterationIS3_Lb0EPlS7_N6thrust23THRUST_200600_302600_NS10device_ptrIlEESB_jNS0_19identity_decomposerENS1_16block_id_wrapperIjLb1EEEEE10hipError_tT1_PNSt15iterator_traitsISG_E10value_typeET2_T3_PNSH_ISM_E10value_typeET4_T5_PSR_SS_PNS1_23onesweep_lookback_stateEbbT6_jjT7_P12ihipStream_tbENKUlT_T0_SG_SL_E_clIS7_S7_SB_S7_EEDaSZ_S10_SG_SL_EUlSZ_E_NS1_11comp_targetILNS1_3genE3ELNS1_11target_archE908ELNS1_3gpuE7ELNS1_3repE0EEENS1_47radix_sort_onesweep_sort_config_static_selectorELNS0_4arch9wavefront6targetE1EEEvSG_
                                        ; -- End function
	.set _ZN7rocprim17ROCPRIM_400000_NS6detail17trampoline_kernelINS0_14default_configENS1_35radix_sort_onesweep_config_selectorIllEEZZNS1_29radix_sort_onesweep_iterationIS3_Lb0EPlS7_N6thrust23THRUST_200600_302600_NS10device_ptrIlEESB_jNS0_19identity_decomposerENS1_16block_id_wrapperIjLb1EEEEE10hipError_tT1_PNSt15iterator_traitsISG_E10value_typeET2_T3_PNSH_ISM_E10value_typeET4_T5_PSR_SS_PNS1_23onesweep_lookback_stateEbbT6_jjT7_P12ihipStream_tbENKUlT_T0_SG_SL_E_clIS7_S7_SB_S7_EEDaSZ_S10_SG_SL_EUlSZ_E_NS1_11comp_targetILNS1_3genE3ELNS1_11target_archE908ELNS1_3gpuE7ELNS1_3repE0EEENS1_47radix_sort_onesweep_sort_config_static_selectorELNS0_4arch9wavefront6targetE1EEEvSG_.num_vgpr, 0
	.set _ZN7rocprim17ROCPRIM_400000_NS6detail17trampoline_kernelINS0_14default_configENS1_35radix_sort_onesweep_config_selectorIllEEZZNS1_29radix_sort_onesweep_iterationIS3_Lb0EPlS7_N6thrust23THRUST_200600_302600_NS10device_ptrIlEESB_jNS0_19identity_decomposerENS1_16block_id_wrapperIjLb1EEEEE10hipError_tT1_PNSt15iterator_traitsISG_E10value_typeET2_T3_PNSH_ISM_E10value_typeET4_T5_PSR_SS_PNS1_23onesweep_lookback_stateEbbT6_jjT7_P12ihipStream_tbENKUlT_T0_SG_SL_E_clIS7_S7_SB_S7_EEDaSZ_S10_SG_SL_EUlSZ_E_NS1_11comp_targetILNS1_3genE3ELNS1_11target_archE908ELNS1_3gpuE7ELNS1_3repE0EEENS1_47radix_sort_onesweep_sort_config_static_selectorELNS0_4arch9wavefront6targetE1EEEvSG_.num_agpr, 0
	.set _ZN7rocprim17ROCPRIM_400000_NS6detail17trampoline_kernelINS0_14default_configENS1_35radix_sort_onesweep_config_selectorIllEEZZNS1_29radix_sort_onesweep_iterationIS3_Lb0EPlS7_N6thrust23THRUST_200600_302600_NS10device_ptrIlEESB_jNS0_19identity_decomposerENS1_16block_id_wrapperIjLb1EEEEE10hipError_tT1_PNSt15iterator_traitsISG_E10value_typeET2_T3_PNSH_ISM_E10value_typeET4_T5_PSR_SS_PNS1_23onesweep_lookback_stateEbbT6_jjT7_P12ihipStream_tbENKUlT_T0_SG_SL_E_clIS7_S7_SB_S7_EEDaSZ_S10_SG_SL_EUlSZ_E_NS1_11comp_targetILNS1_3genE3ELNS1_11target_archE908ELNS1_3gpuE7ELNS1_3repE0EEENS1_47radix_sort_onesweep_sort_config_static_selectorELNS0_4arch9wavefront6targetE1EEEvSG_.numbered_sgpr, 0
	.set _ZN7rocprim17ROCPRIM_400000_NS6detail17trampoline_kernelINS0_14default_configENS1_35radix_sort_onesweep_config_selectorIllEEZZNS1_29radix_sort_onesweep_iterationIS3_Lb0EPlS7_N6thrust23THRUST_200600_302600_NS10device_ptrIlEESB_jNS0_19identity_decomposerENS1_16block_id_wrapperIjLb1EEEEE10hipError_tT1_PNSt15iterator_traitsISG_E10value_typeET2_T3_PNSH_ISM_E10value_typeET4_T5_PSR_SS_PNS1_23onesweep_lookback_stateEbbT6_jjT7_P12ihipStream_tbENKUlT_T0_SG_SL_E_clIS7_S7_SB_S7_EEDaSZ_S10_SG_SL_EUlSZ_E_NS1_11comp_targetILNS1_3genE3ELNS1_11target_archE908ELNS1_3gpuE7ELNS1_3repE0EEENS1_47radix_sort_onesweep_sort_config_static_selectorELNS0_4arch9wavefront6targetE1EEEvSG_.num_named_barrier, 0
	.set _ZN7rocprim17ROCPRIM_400000_NS6detail17trampoline_kernelINS0_14default_configENS1_35radix_sort_onesweep_config_selectorIllEEZZNS1_29radix_sort_onesweep_iterationIS3_Lb0EPlS7_N6thrust23THRUST_200600_302600_NS10device_ptrIlEESB_jNS0_19identity_decomposerENS1_16block_id_wrapperIjLb1EEEEE10hipError_tT1_PNSt15iterator_traitsISG_E10value_typeET2_T3_PNSH_ISM_E10value_typeET4_T5_PSR_SS_PNS1_23onesweep_lookback_stateEbbT6_jjT7_P12ihipStream_tbENKUlT_T0_SG_SL_E_clIS7_S7_SB_S7_EEDaSZ_S10_SG_SL_EUlSZ_E_NS1_11comp_targetILNS1_3genE3ELNS1_11target_archE908ELNS1_3gpuE7ELNS1_3repE0EEENS1_47radix_sort_onesweep_sort_config_static_selectorELNS0_4arch9wavefront6targetE1EEEvSG_.private_seg_size, 0
	.set _ZN7rocprim17ROCPRIM_400000_NS6detail17trampoline_kernelINS0_14default_configENS1_35radix_sort_onesweep_config_selectorIllEEZZNS1_29radix_sort_onesweep_iterationIS3_Lb0EPlS7_N6thrust23THRUST_200600_302600_NS10device_ptrIlEESB_jNS0_19identity_decomposerENS1_16block_id_wrapperIjLb1EEEEE10hipError_tT1_PNSt15iterator_traitsISG_E10value_typeET2_T3_PNSH_ISM_E10value_typeET4_T5_PSR_SS_PNS1_23onesweep_lookback_stateEbbT6_jjT7_P12ihipStream_tbENKUlT_T0_SG_SL_E_clIS7_S7_SB_S7_EEDaSZ_S10_SG_SL_EUlSZ_E_NS1_11comp_targetILNS1_3genE3ELNS1_11target_archE908ELNS1_3gpuE7ELNS1_3repE0EEENS1_47radix_sort_onesweep_sort_config_static_selectorELNS0_4arch9wavefront6targetE1EEEvSG_.uses_vcc, 0
	.set _ZN7rocprim17ROCPRIM_400000_NS6detail17trampoline_kernelINS0_14default_configENS1_35radix_sort_onesweep_config_selectorIllEEZZNS1_29radix_sort_onesweep_iterationIS3_Lb0EPlS7_N6thrust23THRUST_200600_302600_NS10device_ptrIlEESB_jNS0_19identity_decomposerENS1_16block_id_wrapperIjLb1EEEEE10hipError_tT1_PNSt15iterator_traitsISG_E10value_typeET2_T3_PNSH_ISM_E10value_typeET4_T5_PSR_SS_PNS1_23onesweep_lookback_stateEbbT6_jjT7_P12ihipStream_tbENKUlT_T0_SG_SL_E_clIS7_S7_SB_S7_EEDaSZ_S10_SG_SL_EUlSZ_E_NS1_11comp_targetILNS1_3genE3ELNS1_11target_archE908ELNS1_3gpuE7ELNS1_3repE0EEENS1_47radix_sort_onesweep_sort_config_static_selectorELNS0_4arch9wavefront6targetE1EEEvSG_.uses_flat_scratch, 0
	.set _ZN7rocprim17ROCPRIM_400000_NS6detail17trampoline_kernelINS0_14default_configENS1_35radix_sort_onesweep_config_selectorIllEEZZNS1_29radix_sort_onesweep_iterationIS3_Lb0EPlS7_N6thrust23THRUST_200600_302600_NS10device_ptrIlEESB_jNS0_19identity_decomposerENS1_16block_id_wrapperIjLb1EEEEE10hipError_tT1_PNSt15iterator_traitsISG_E10value_typeET2_T3_PNSH_ISM_E10value_typeET4_T5_PSR_SS_PNS1_23onesweep_lookback_stateEbbT6_jjT7_P12ihipStream_tbENKUlT_T0_SG_SL_E_clIS7_S7_SB_S7_EEDaSZ_S10_SG_SL_EUlSZ_E_NS1_11comp_targetILNS1_3genE3ELNS1_11target_archE908ELNS1_3gpuE7ELNS1_3repE0EEENS1_47radix_sort_onesweep_sort_config_static_selectorELNS0_4arch9wavefront6targetE1EEEvSG_.has_dyn_sized_stack, 0
	.set _ZN7rocprim17ROCPRIM_400000_NS6detail17trampoline_kernelINS0_14default_configENS1_35radix_sort_onesweep_config_selectorIllEEZZNS1_29radix_sort_onesweep_iterationIS3_Lb0EPlS7_N6thrust23THRUST_200600_302600_NS10device_ptrIlEESB_jNS0_19identity_decomposerENS1_16block_id_wrapperIjLb1EEEEE10hipError_tT1_PNSt15iterator_traitsISG_E10value_typeET2_T3_PNSH_ISM_E10value_typeET4_T5_PSR_SS_PNS1_23onesweep_lookback_stateEbbT6_jjT7_P12ihipStream_tbENKUlT_T0_SG_SL_E_clIS7_S7_SB_S7_EEDaSZ_S10_SG_SL_EUlSZ_E_NS1_11comp_targetILNS1_3genE3ELNS1_11target_archE908ELNS1_3gpuE7ELNS1_3repE0EEENS1_47radix_sort_onesweep_sort_config_static_selectorELNS0_4arch9wavefront6targetE1EEEvSG_.has_recursion, 0
	.set _ZN7rocprim17ROCPRIM_400000_NS6detail17trampoline_kernelINS0_14default_configENS1_35radix_sort_onesweep_config_selectorIllEEZZNS1_29radix_sort_onesweep_iterationIS3_Lb0EPlS7_N6thrust23THRUST_200600_302600_NS10device_ptrIlEESB_jNS0_19identity_decomposerENS1_16block_id_wrapperIjLb1EEEEE10hipError_tT1_PNSt15iterator_traitsISG_E10value_typeET2_T3_PNSH_ISM_E10value_typeET4_T5_PSR_SS_PNS1_23onesweep_lookback_stateEbbT6_jjT7_P12ihipStream_tbENKUlT_T0_SG_SL_E_clIS7_S7_SB_S7_EEDaSZ_S10_SG_SL_EUlSZ_E_NS1_11comp_targetILNS1_3genE3ELNS1_11target_archE908ELNS1_3gpuE7ELNS1_3repE0EEENS1_47radix_sort_onesweep_sort_config_static_selectorELNS0_4arch9wavefront6targetE1EEEvSG_.has_indirect_call, 0
	.section	.AMDGPU.csdata,"",@progbits
; Kernel info:
; codeLenInByte = 0
; TotalNumSgprs: 4
; NumVgprs: 0
; ScratchSize: 0
; MemoryBound: 0
; FloatMode: 240
; IeeeMode: 1
; LDSByteSize: 0 bytes/workgroup (compile time only)
; SGPRBlocks: 0
; VGPRBlocks: 0
; NumSGPRsForWavesPerEU: 4
; NumVGPRsForWavesPerEU: 1
; Occupancy: 10
; WaveLimiterHint : 0
; COMPUTE_PGM_RSRC2:SCRATCH_EN: 0
; COMPUTE_PGM_RSRC2:USER_SGPR: 6
; COMPUTE_PGM_RSRC2:TRAP_HANDLER: 0
; COMPUTE_PGM_RSRC2:TGID_X_EN: 1
; COMPUTE_PGM_RSRC2:TGID_Y_EN: 0
; COMPUTE_PGM_RSRC2:TGID_Z_EN: 0
; COMPUTE_PGM_RSRC2:TIDIG_COMP_CNT: 0
	.section	.text._ZN7rocprim17ROCPRIM_400000_NS6detail17trampoline_kernelINS0_14default_configENS1_35radix_sort_onesweep_config_selectorIllEEZZNS1_29radix_sort_onesweep_iterationIS3_Lb0EPlS7_N6thrust23THRUST_200600_302600_NS10device_ptrIlEESB_jNS0_19identity_decomposerENS1_16block_id_wrapperIjLb1EEEEE10hipError_tT1_PNSt15iterator_traitsISG_E10value_typeET2_T3_PNSH_ISM_E10value_typeET4_T5_PSR_SS_PNS1_23onesweep_lookback_stateEbbT6_jjT7_P12ihipStream_tbENKUlT_T0_SG_SL_E_clIS7_S7_SB_S7_EEDaSZ_S10_SG_SL_EUlSZ_E_NS1_11comp_targetILNS1_3genE10ELNS1_11target_archE1201ELNS1_3gpuE5ELNS1_3repE0EEENS1_47radix_sort_onesweep_sort_config_static_selectorELNS0_4arch9wavefront6targetE1EEEvSG_,"axG",@progbits,_ZN7rocprim17ROCPRIM_400000_NS6detail17trampoline_kernelINS0_14default_configENS1_35radix_sort_onesweep_config_selectorIllEEZZNS1_29radix_sort_onesweep_iterationIS3_Lb0EPlS7_N6thrust23THRUST_200600_302600_NS10device_ptrIlEESB_jNS0_19identity_decomposerENS1_16block_id_wrapperIjLb1EEEEE10hipError_tT1_PNSt15iterator_traitsISG_E10value_typeET2_T3_PNSH_ISM_E10value_typeET4_T5_PSR_SS_PNS1_23onesweep_lookback_stateEbbT6_jjT7_P12ihipStream_tbENKUlT_T0_SG_SL_E_clIS7_S7_SB_S7_EEDaSZ_S10_SG_SL_EUlSZ_E_NS1_11comp_targetILNS1_3genE10ELNS1_11target_archE1201ELNS1_3gpuE5ELNS1_3repE0EEENS1_47radix_sort_onesweep_sort_config_static_selectorELNS0_4arch9wavefront6targetE1EEEvSG_,comdat
	.protected	_ZN7rocprim17ROCPRIM_400000_NS6detail17trampoline_kernelINS0_14default_configENS1_35radix_sort_onesweep_config_selectorIllEEZZNS1_29radix_sort_onesweep_iterationIS3_Lb0EPlS7_N6thrust23THRUST_200600_302600_NS10device_ptrIlEESB_jNS0_19identity_decomposerENS1_16block_id_wrapperIjLb1EEEEE10hipError_tT1_PNSt15iterator_traitsISG_E10value_typeET2_T3_PNSH_ISM_E10value_typeET4_T5_PSR_SS_PNS1_23onesweep_lookback_stateEbbT6_jjT7_P12ihipStream_tbENKUlT_T0_SG_SL_E_clIS7_S7_SB_S7_EEDaSZ_S10_SG_SL_EUlSZ_E_NS1_11comp_targetILNS1_3genE10ELNS1_11target_archE1201ELNS1_3gpuE5ELNS1_3repE0EEENS1_47radix_sort_onesweep_sort_config_static_selectorELNS0_4arch9wavefront6targetE1EEEvSG_ ; -- Begin function _ZN7rocprim17ROCPRIM_400000_NS6detail17trampoline_kernelINS0_14default_configENS1_35radix_sort_onesweep_config_selectorIllEEZZNS1_29radix_sort_onesweep_iterationIS3_Lb0EPlS7_N6thrust23THRUST_200600_302600_NS10device_ptrIlEESB_jNS0_19identity_decomposerENS1_16block_id_wrapperIjLb1EEEEE10hipError_tT1_PNSt15iterator_traitsISG_E10value_typeET2_T3_PNSH_ISM_E10value_typeET4_T5_PSR_SS_PNS1_23onesweep_lookback_stateEbbT6_jjT7_P12ihipStream_tbENKUlT_T0_SG_SL_E_clIS7_S7_SB_S7_EEDaSZ_S10_SG_SL_EUlSZ_E_NS1_11comp_targetILNS1_3genE10ELNS1_11target_archE1201ELNS1_3gpuE5ELNS1_3repE0EEENS1_47radix_sort_onesweep_sort_config_static_selectorELNS0_4arch9wavefront6targetE1EEEvSG_
	.globl	_ZN7rocprim17ROCPRIM_400000_NS6detail17trampoline_kernelINS0_14default_configENS1_35radix_sort_onesweep_config_selectorIllEEZZNS1_29radix_sort_onesweep_iterationIS3_Lb0EPlS7_N6thrust23THRUST_200600_302600_NS10device_ptrIlEESB_jNS0_19identity_decomposerENS1_16block_id_wrapperIjLb1EEEEE10hipError_tT1_PNSt15iterator_traitsISG_E10value_typeET2_T3_PNSH_ISM_E10value_typeET4_T5_PSR_SS_PNS1_23onesweep_lookback_stateEbbT6_jjT7_P12ihipStream_tbENKUlT_T0_SG_SL_E_clIS7_S7_SB_S7_EEDaSZ_S10_SG_SL_EUlSZ_E_NS1_11comp_targetILNS1_3genE10ELNS1_11target_archE1201ELNS1_3gpuE5ELNS1_3repE0EEENS1_47radix_sort_onesweep_sort_config_static_selectorELNS0_4arch9wavefront6targetE1EEEvSG_
	.p2align	8
	.type	_ZN7rocprim17ROCPRIM_400000_NS6detail17trampoline_kernelINS0_14default_configENS1_35radix_sort_onesweep_config_selectorIllEEZZNS1_29radix_sort_onesweep_iterationIS3_Lb0EPlS7_N6thrust23THRUST_200600_302600_NS10device_ptrIlEESB_jNS0_19identity_decomposerENS1_16block_id_wrapperIjLb1EEEEE10hipError_tT1_PNSt15iterator_traitsISG_E10value_typeET2_T3_PNSH_ISM_E10value_typeET4_T5_PSR_SS_PNS1_23onesweep_lookback_stateEbbT6_jjT7_P12ihipStream_tbENKUlT_T0_SG_SL_E_clIS7_S7_SB_S7_EEDaSZ_S10_SG_SL_EUlSZ_E_NS1_11comp_targetILNS1_3genE10ELNS1_11target_archE1201ELNS1_3gpuE5ELNS1_3repE0EEENS1_47radix_sort_onesweep_sort_config_static_selectorELNS0_4arch9wavefront6targetE1EEEvSG_,@function
_ZN7rocprim17ROCPRIM_400000_NS6detail17trampoline_kernelINS0_14default_configENS1_35radix_sort_onesweep_config_selectorIllEEZZNS1_29radix_sort_onesweep_iterationIS3_Lb0EPlS7_N6thrust23THRUST_200600_302600_NS10device_ptrIlEESB_jNS0_19identity_decomposerENS1_16block_id_wrapperIjLb1EEEEE10hipError_tT1_PNSt15iterator_traitsISG_E10value_typeET2_T3_PNSH_ISM_E10value_typeET4_T5_PSR_SS_PNS1_23onesweep_lookback_stateEbbT6_jjT7_P12ihipStream_tbENKUlT_T0_SG_SL_E_clIS7_S7_SB_S7_EEDaSZ_S10_SG_SL_EUlSZ_E_NS1_11comp_targetILNS1_3genE10ELNS1_11target_archE1201ELNS1_3gpuE5ELNS1_3repE0EEENS1_47radix_sort_onesweep_sort_config_static_selectorELNS0_4arch9wavefront6targetE1EEEvSG_: ; @_ZN7rocprim17ROCPRIM_400000_NS6detail17trampoline_kernelINS0_14default_configENS1_35radix_sort_onesweep_config_selectorIllEEZZNS1_29radix_sort_onesweep_iterationIS3_Lb0EPlS7_N6thrust23THRUST_200600_302600_NS10device_ptrIlEESB_jNS0_19identity_decomposerENS1_16block_id_wrapperIjLb1EEEEE10hipError_tT1_PNSt15iterator_traitsISG_E10value_typeET2_T3_PNSH_ISM_E10value_typeET4_T5_PSR_SS_PNS1_23onesweep_lookback_stateEbbT6_jjT7_P12ihipStream_tbENKUlT_T0_SG_SL_E_clIS7_S7_SB_S7_EEDaSZ_S10_SG_SL_EUlSZ_E_NS1_11comp_targetILNS1_3genE10ELNS1_11target_archE1201ELNS1_3gpuE5ELNS1_3repE0EEENS1_47radix_sort_onesweep_sort_config_static_selectorELNS0_4arch9wavefront6targetE1EEEvSG_
; %bb.0:
	.section	.rodata,"a",@progbits
	.p2align	6, 0x0
	.amdhsa_kernel _ZN7rocprim17ROCPRIM_400000_NS6detail17trampoline_kernelINS0_14default_configENS1_35radix_sort_onesweep_config_selectorIllEEZZNS1_29radix_sort_onesweep_iterationIS3_Lb0EPlS7_N6thrust23THRUST_200600_302600_NS10device_ptrIlEESB_jNS0_19identity_decomposerENS1_16block_id_wrapperIjLb1EEEEE10hipError_tT1_PNSt15iterator_traitsISG_E10value_typeET2_T3_PNSH_ISM_E10value_typeET4_T5_PSR_SS_PNS1_23onesweep_lookback_stateEbbT6_jjT7_P12ihipStream_tbENKUlT_T0_SG_SL_E_clIS7_S7_SB_S7_EEDaSZ_S10_SG_SL_EUlSZ_E_NS1_11comp_targetILNS1_3genE10ELNS1_11target_archE1201ELNS1_3gpuE5ELNS1_3repE0EEENS1_47radix_sort_onesweep_sort_config_static_selectorELNS0_4arch9wavefront6targetE1EEEvSG_
		.amdhsa_group_segment_fixed_size 0
		.amdhsa_private_segment_fixed_size 0
		.amdhsa_kernarg_size 88
		.amdhsa_user_sgpr_count 6
		.amdhsa_user_sgpr_private_segment_buffer 1
		.amdhsa_user_sgpr_dispatch_ptr 0
		.amdhsa_user_sgpr_queue_ptr 0
		.amdhsa_user_sgpr_kernarg_segment_ptr 1
		.amdhsa_user_sgpr_dispatch_id 0
		.amdhsa_user_sgpr_flat_scratch_init 0
		.amdhsa_user_sgpr_private_segment_size 0
		.amdhsa_uses_dynamic_stack 0
		.amdhsa_system_sgpr_private_segment_wavefront_offset 0
		.amdhsa_system_sgpr_workgroup_id_x 1
		.amdhsa_system_sgpr_workgroup_id_y 0
		.amdhsa_system_sgpr_workgroup_id_z 0
		.amdhsa_system_sgpr_workgroup_info 0
		.amdhsa_system_vgpr_workitem_id 0
		.amdhsa_next_free_vgpr 1
		.amdhsa_next_free_sgpr 0
		.amdhsa_reserve_vcc 0
		.amdhsa_reserve_flat_scratch 0
		.amdhsa_float_round_mode_32 0
		.amdhsa_float_round_mode_16_64 0
		.amdhsa_float_denorm_mode_32 3
		.amdhsa_float_denorm_mode_16_64 3
		.amdhsa_dx10_clamp 1
		.amdhsa_ieee_mode 1
		.amdhsa_fp16_overflow 0
		.amdhsa_exception_fp_ieee_invalid_op 0
		.amdhsa_exception_fp_denorm_src 0
		.amdhsa_exception_fp_ieee_div_zero 0
		.amdhsa_exception_fp_ieee_overflow 0
		.amdhsa_exception_fp_ieee_underflow 0
		.amdhsa_exception_fp_ieee_inexact 0
		.amdhsa_exception_int_div_zero 0
	.end_amdhsa_kernel
	.section	.text._ZN7rocprim17ROCPRIM_400000_NS6detail17trampoline_kernelINS0_14default_configENS1_35radix_sort_onesweep_config_selectorIllEEZZNS1_29radix_sort_onesweep_iterationIS3_Lb0EPlS7_N6thrust23THRUST_200600_302600_NS10device_ptrIlEESB_jNS0_19identity_decomposerENS1_16block_id_wrapperIjLb1EEEEE10hipError_tT1_PNSt15iterator_traitsISG_E10value_typeET2_T3_PNSH_ISM_E10value_typeET4_T5_PSR_SS_PNS1_23onesweep_lookback_stateEbbT6_jjT7_P12ihipStream_tbENKUlT_T0_SG_SL_E_clIS7_S7_SB_S7_EEDaSZ_S10_SG_SL_EUlSZ_E_NS1_11comp_targetILNS1_3genE10ELNS1_11target_archE1201ELNS1_3gpuE5ELNS1_3repE0EEENS1_47radix_sort_onesweep_sort_config_static_selectorELNS0_4arch9wavefront6targetE1EEEvSG_,"axG",@progbits,_ZN7rocprim17ROCPRIM_400000_NS6detail17trampoline_kernelINS0_14default_configENS1_35radix_sort_onesweep_config_selectorIllEEZZNS1_29radix_sort_onesweep_iterationIS3_Lb0EPlS7_N6thrust23THRUST_200600_302600_NS10device_ptrIlEESB_jNS0_19identity_decomposerENS1_16block_id_wrapperIjLb1EEEEE10hipError_tT1_PNSt15iterator_traitsISG_E10value_typeET2_T3_PNSH_ISM_E10value_typeET4_T5_PSR_SS_PNS1_23onesweep_lookback_stateEbbT6_jjT7_P12ihipStream_tbENKUlT_T0_SG_SL_E_clIS7_S7_SB_S7_EEDaSZ_S10_SG_SL_EUlSZ_E_NS1_11comp_targetILNS1_3genE10ELNS1_11target_archE1201ELNS1_3gpuE5ELNS1_3repE0EEENS1_47radix_sort_onesweep_sort_config_static_selectorELNS0_4arch9wavefront6targetE1EEEvSG_,comdat
.Lfunc_end1147:
	.size	_ZN7rocprim17ROCPRIM_400000_NS6detail17trampoline_kernelINS0_14default_configENS1_35radix_sort_onesweep_config_selectorIllEEZZNS1_29radix_sort_onesweep_iterationIS3_Lb0EPlS7_N6thrust23THRUST_200600_302600_NS10device_ptrIlEESB_jNS0_19identity_decomposerENS1_16block_id_wrapperIjLb1EEEEE10hipError_tT1_PNSt15iterator_traitsISG_E10value_typeET2_T3_PNSH_ISM_E10value_typeET4_T5_PSR_SS_PNS1_23onesweep_lookback_stateEbbT6_jjT7_P12ihipStream_tbENKUlT_T0_SG_SL_E_clIS7_S7_SB_S7_EEDaSZ_S10_SG_SL_EUlSZ_E_NS1_11comp_targetILNS1_3genE10ELNS1_11target_archE1201ELNS1_3gpuE5ELNS1_3repE0EEENS1_47radix_sort_onesweep_sort_config_static_selectorELNS0_4arch9wavefront6targetE1EEEvSG_, .Lfunc_end1147-_ZN7rocprim17ROCPRIM_400000_NS6detail17trampoline_kernelINS0_14default_configENS1_35radix_sort_onesweep_config_selectorIllEEZZNS1_29radix_sort_onesweep_iterationIS3_Lb0EPlS7_N6thrust23THRUST_200600_302600_NS10device_ptrIlEESB_jNS0_19identity_decomposerENS1_16block_id_wrapperIjLb1EEEEE10hipError_tT1_PNSt15iterator_traitsISG_E10value_typeET2_T3_PNSH_ISM_E10value_typeET4_T5_PSR_SS_PNS1_23onesweep_lookback_stateEbbT6_jjT7_P12ihipStream_tbENKUlT_T0_SG_SL_E_clIS7_S7_SB_S7_EEDaSZ_S10_SG_SL_EUlSZ_E_NS1_11comp_targetILNS1_3genE10ELNS1_11target_archE1201ELNS1_3gpuE5ELNS1_3repE0EEENS1_47radix_sort_onesweep_sort_config_static_selectorELNS0_4arch9wavefront6targetE1EEEvSG_
                                        ; -- End function
	.set _ZN7rocprim17ROCPRIM_400000_NS6detail17trampoline_kernelINS0_14default_configENS1_35radix_sort_onesweep_config_selectorIllEEZZNS1_29radix_sort_onesweep_iterationIS3_Lb0EPlS7_N6thrust23THRUST_200600_302600_NS10device_ptrIlEESB_jNS0_19identity_decomposerENS1_16block_id_wrapperIjLb1EEEEE10hipError_tT1_PNSt15iterator_traitsISG_E10value_typeET2_T3_PNSH_ISM_E10value_typeET4_T5_PSR_SS_PNS1_23onesweep_lookback_stateEbbT6_jjT7_P12ihipStream_tbENKUlT_T0_SG_SL_E_clIS7_S7_SB_S7_EEDaSZ_S10_SG_SL_EUlSZ_E_NS1_11comp_targetILNS1_3genE10ELNS1_11target_archE1201ELNS1_3gpuE5ELNS1_3repE0EEENS1_47radix_sort_onesweep_sort_config_static_selectorELNS0_4arch9wavefront6targetE1EEEvSG_.num_vgpr, 0
	.set _ZN7rocprim17ROCPRIM_400000_NS6detail17trampoline_kernelINS0_14default_configENS1_35radix_sort_onesweep_config_selectorIllEEZZNS1_29radix_sort_onesweep_iterationIS3_Lb0EPlS7_N6thrust23THRUST_200600_302600_NS10device_ptrIlEESB_jNS0_19identity_decomposerENS1_16block_id_wrapperIjLb1EEEEE10hipError_tT1_PNSt15iterator_traitsISG_E10value_typeET2_T3_PNSH_ISM_E10value_typeET4_T5_PSR_SS_PNS1_23onesweep_lookback_stateEbbT6_jjT7_P12ihipStream_tbENKUlT_T0_SG_SL_E_clIS7_S7_SB_S7_EEDaSZ_S10_SG_SL_EUlSZ_E_NS1_11comp_targetILNS1_3genE10ELNS1_11target_archE1201ELNS1_3gpuE5ELNS1_3repE0EEENS1_47radix_sort_onesweep_sort_config_static_selectorELNS0_4arch9wavefront6targetE1EEEvSG_.num_agpr, 0
	.set _ZN7rocprim17ROCPRIM_400000_NS6detail17trampoline_kernelINS0_14default_configENS1_35radix_sort_onesweep_config_selectorIllEEZZNS1_29radix_sort_onesweep_iterationIS3_Lb0EPlS7_N6thrust23THRUST_200600_302600_NS10device_ptrIlEESB_jNS0_19identity_decomposerENS1_16block_id_wrapperIjLb1EEEEE10hipError_tT1_PNSt15iterator_traitsISG_E10value_typeET2_T3_PNSH_ISM_E10value_typeET4_T5_PSR_SS_PNS1_23onesweep_lookback_stateEbbT6_jjT7_P12ihipStream_tbENKUlT_T0_SG_SL_E_clIS7_S7_SB_S7_EEDaSZ_S10_SG_SL_EUlSZ_E_NS1_11comp_targetILNS1_3genE10ELNS1_11target_archE1201ELNS1_3gpuE5ELNS1_3repE0EEENS1_47radix_sort_onesweep_sort_config_static_selectorELNS0_4arch9wavefront6targetE1EEEvSG_.numbered_sgpr, 0
	.set _ZN7rocprim17ROCPRIM_400000_NS6detail17trampoline_kernelINS0_14default_configENS1_35radix_sort_onesweep_config_selectorIllEEZZNS1_29radix_sort_onesweep_iterationIS3_Lb0EPlS7_N6thrust23THRUST_200600_302600_NS10device_ptrIlEESB_jNS0_19identity_decomposerENS1_16block_id_wrapperIjLb1EEEEE10hipError_tT1_PNSt15iterator_traitsISG_E10value_typeET2_T3_PNSH_ISM_E10value_typeET4_T5_PSR_SS_PNS1_23onesweep_lookback_stateEbbT6_jjT7_P12ihipStream_tbENKUlT_T0_SG_SL_E_clIS7_S7_SB_S7_EEDaSZ_S10_SG_SL_EUlSZ_E_NS1_11comp_targetILNS1_3genE10ELNS1_11target_archE1201ELNS1_3gpuE5ELNS1_3repE0EEENS1_47radix_sort_onesweep_sort_config_static_selectorELNS0_4arch9wavefront6targetE1EEEvSG_.num_named_barrier, 0
	.set _ZN7rocprim17ROCPRIM_400000_NS6detail17trampoline_kernelINS0_14default_configENS1_35radix_sort_onesweep_config_selectorIllEEZZNS1_29radix_sort_onesweep_iterationIS3_Lb0EPlS7_N6thrust23THRUST_200600_302600_NS10device_ptrIlEESB_jNS0_19identity_decomposerENS1_16block_id_wrapperIjLb1EEEEE10hipError_tT1_PNSt15iterator_traitsISG_E10value_typeET2_T3_PNSH_ISM_E10value_typeET4_T5_PSR_SS_PNS1_23onesweep_lookback_stateEbbT6_jjT7_P12ihipStream_tbENKUlT_T0_SG_SL_E_clIS7_S7_SB_S7_EEDaSZ_S10_SG_SL_EUlSZ_E_NS1_11comp_targetILNS1_3genE10ELNS1_11target_archE1201ELNS1_3gpuE5ELNS1_3repE0EEENS1_47radix_sort_onesweep_sort_config_static_selectorELNS0_4arch9wavefront6targetE1EEEvSG_.private_seg_size, 0
	.set _ZN7rocprim17ROCPRIM_400000_NS6detail17trampoline_kernelINS0_14default_configENS1_35radix_sort_onesweep_config_selectorIllEEZZNS1_29radix_sort_onesweep_iterationIS3_Lb0EPlS7_N6thrust23THRUST_200600_302600_NS10device_ptrIlEESB_jNS0_19identity_decomposerENS1_16block_id_wrapperIjLb1EEEEE10hipError_tT1_PNSt15iterator_traitsISG_E10value_typeET2_T3_PNSH_ISM_E10value_typeET4_T5_PSR_SS_PNS1_23onesweep_lookback_stateEbbT6_jjT7_P12ihipStream_tbENKUlT_T0_SG_SL_E_clIS7_S7_SB_S7_EEDaSZ_S10_SG_SL_EUlSZ_E_NS1_11comp_targetILNS1_3genE10ELNS1_11target_archE1201ELNS1_3gpuE5ELNS1_3repE0EEENS1_47radix_sort_onesweep_sort_config_static_selectorELNS0_4arch9wavefront6targetE1EEEvSG_.uses_vcc, 0
	.set _ZN7rocprim17ROCPRIM_400000_NS6detail17trampoline_kernelINS0_14default_configENS1_35radix_sort_onesweep_config_selectorIllEEZZNS1_29radix_sort_onesweep_iterationIS3_Lb0EPlS7_N6thrust23THRUST_200600_302600_NS10device_ptrIlEESB_jNS0_19identity_decomposerENS1_16block_id_wrapperIjLb1EEEEE10hipError_tT1_PNSt15iterator_traitsISG_E10value_typeET2_T3_PNSH_ISM_E10value_typeET4_T5_PSR_SS_PNS1_23onesweep_lookback_stateEbbT6_jjT7_P12ihipStream_tbENKUlT_T0_SG_SL_E_clIS7_S7_SB_S7_EEDaSZ_S10_SG_SL_EUlSZ_E_NS1_11comp_targetILNS1_3genE10ELNS1_11target_archE1201ELNS1_3gpuE5ELNS1_3repE0EEENS1_47radix_sort_onesweep_sort_config_static_selectorELNS0_4arch9wavefront6targetE1EEEvSG_.uses_flat_scratch, 0
	.set _ZN7rocprim17ROCPRIM_400000_NS6detail17trampoline_kernelINS0_14default_configENS1_35radix_sort_onesweep_config_selectorIllEEZZNS1_29radix_sort_onesweep_iterationIS3_Lb0EPlS7_N6thrust23THRUST_200600_302600_NS10device_ptrIlEESB_jNS0_19identity_decomposerENS1_16block_id_wrapperIjLb1EEEEE10hipError_tT1_PNSt15iterator_traitsISG_E10value_typeET2_T3_PNSH_ISM_E10value_typeET4_T5_PSR_SS_PNS1_23onesweep_lookback_stateEbbT6_jjT7_P12ihipStream_tbENKUlT_T0_SG_SL_E_clIS7_S7_SB_S7_EEDaSZ_S10_SG_SL_EUlSZ_E_NS1_11comp_targetILNS1_3genE10ELNS1_11target_archE1201ELNS1_3gpuE5ELNS1_3repE0EEENS1_47radix_sort_onesweep_sort_config_static_selectorELNS0_4arch9wavefront6targetE1EEEvSG_.has_dyn_sized_stack, 0
	.set _ZN7rocprim17ROCPRIM_400000_NS6detail17trampoline_kernelINS0_14default_configENS1_35radix_sort_onesweep_config_selectorIllEEZZNS1_29radix_sort_onesweep_iterationIS3_Lb0EPlS7_N6thrust23THRUST_200600_302600_NS10device_ptrIlEESB_jNS0_19identity_decomposerENS1_16block_id_wrapperIjLb1EEEEE10hipError_tT1_PNSt15iterator_traitsISG_E10value_typeET2_T3_PNSH_ISM_E10value_typeET4_T5_PSR_SS_PNS1_23onesweep_lookback_stateEbbT6_jjT7_P12ihipStream_tbENKUlT_T0_SG_SL_E_clIS7_S7_SB_S7_EEDaSZ_S10_SG_SL_EUlSZ_E_NS1_11comp_targetILNS1_3genE10ELNS1_11target_archE1201ELNS1_3gpuE5ELNS1_3repE0EEENS1_47radix_sort_onesweep_sort_config_static_selectorELNS0_4arch9wavefront6targetE1EEEvSG_.has_recursion, 0
	.set _ZN7rocprim17ROCPRIM_400000_NS6detail17trampoline_kernelINS0_14default_configENS1_35radix_sort_onesweep_config_selectorIllEEZZNS1_29radix_sort_onesweep_iterationIS3_Lb0EPlS7_N6thrust23THRUST_200600_302600_NS10device_ptrIlEESB_jNS0_19identity_decomposerENS1_16block_id_wrapperIjLb1EEEEE10hipError_tT1_PNSt15iterator_traitsISG_E10value_typeET2_T3_PNSH_ISM_E10value_typeET4_T5_PSR_SS_PNS1_23onesweep_lookback_stateEbbT6_jjT7_P12ihipStream_tbENKUlT_T0_SG_SL_E_clIS7_S7_SB_S7_EEDaSZ_S10_SG_SL_EUlSZ_E_NS1_11comp_targetILNS1_3genE10ELNS1_11target_archE1201ELNS1_3gpuE5ELNS1_3repE0EEENS1_47radix_sort_onesweep_sort_config_static_selectorELNS0_4arch9wavefront6targetE1EEEvSG_.has_indirect_call, 0
	.section	.AMDGPU.csdata,"",@progbits
; Kernel info:
; codeLenInByte = 0
; TotalNumSgprs: 4
; NumVgprs: 0
; ScratchSize: 0
; MemoryBound: 0
; FloatMode: 240
; IeeeMode: 1
; LDSByteSize: 0 bytes/workgroup (compile time only)
; SGPRBlocks: 0
; VGPRBlocks: 0
; NumSGPRsForWavesPerEU: 4
; NumVGPRsForWavesPerEU: 1
; Occupancy: 10
; WaveLimiterHint : 0
; COMPUTE_PGM_RSRC2:SCRATCH_EN: 0
; COMPUTE_PGM_RSRC2:USER_SGPR: 6
; COMPUTE_PGM_RSRC2:TRAP_HANDLER: 0
; COMPUTE_PGM_RSRC2:TGID_X_EN: 1
; COMPUTE_PGM_RSRC2:TGID_Y_EN: 0
; COMPUTE_PGM_RSRC2:TGID_Z_EN: 0
; COMPUTE_PGM_RSRC2:TIDIG_COMP_CNT: 0
	.section	.text._ZN7rocprim17ROCPRIM_400000_NS6detail17trampoline_kernelINS0_14default_configENS1_35radix_sort_onesweep_config_selectorIllEEZZNS1_29radix_sort_onesweep_iterationIS3_Lb0EPlS7_N6thrust23THRUST_200600_302600_NS10device_ptrIlEESB_jNS0_19identity_decomposerENS1_16block_id_wrapperIjLb1EEEEE10hipError_tT1_PNSt15iterator_traitsISG_E10value_typeET2_T3_PNSH_ISM_E10value_typeET4_T5_PSR_SS_PNS1_23onesweep_lookback_stateEbbT6_jjT7_P12ihipStream_tbENKUlT_T0_SG_SL_E_clIS7_S7_SB_S7_EEDaSZ_S10_SG_SL_EUlSZ_E_NS1_11comp_targetILNS1_3genE9ELNS1_11target_archE1100ELNS1_3gpuE3ELNS1_3repE0EEENS1_47radix_sort_onesweep_sort_config_static_selectorELNS0_4arch9wavefront6targetE1EEEvSG_,"axG",@progbits,_ZN7rocprim17ROCPRIM_400000_NS6detail17trampoline_kernelINS0_14default_configENS1_35radix_sort_onesweep_config_selectorIllEEZZNS1_29radix_sort_onesweep_iterationIS3_Lb0EPlS7_N6thrust23THRUST_200600_302600_NS10device_ptrIlEESB_jNS0_19identity_decomposerENS1_16block_id_wrapperIjLb1EEEEE10hipError_tT1_PNSt15iterator_traitsISG_E10value_typeET2_T3_PNSH_ISM_E10value_typeET4_T5_PSR_SS_PNS1_23onesweep_lookback_stateEbbT6_jjT7_P12ihipStream_tbENKUlT_T0_SG_SL_E_clIS7_S7_SB_S7_EEDaSZ_S10_SG_SL_EUlSZ_E_NS1_11comp_targetILNS1_3genE9ELNS1_11target_archE1100ELNS1_3gpuE3ELNS1_3repE0EEENS1_47radix_sort_onesweep_sort_config_static_selectorELNS0_4arch9wavefront6targetE1EEEvSG_,comdat
	.protected	_ZN7rocprim17ROCPRIM_400000_NS6detail17trampoline_kernelINS0_14default_configENS1_35radix_sort_onesweep_config_selectorIllEEZZNS1_29radix_sort_onesweep_iterationIS3_Lb0EPlS7_N6thrust23THRUST_200600_302600_NS10device_ptrIlEESB_jNS0_19identity_decomposerENS1_16block_id_wrapperIjLb1EEEEE10hipError_tT1_PNSt15iterator_traitsISG_E10value_typeET2_T3_PNSH_ISM_E10value_typeET4_T5_PSR_SS_PNS1_23onesweep_lookback_stateEbbT6_jjT7_P12ihipStream_tbENKUlT_T0_SG_SL_E_clIS7_S7_SB_S7_EEDaSZ_S10_SG_SL_EUlSZ_E_NS1_11comp_targetILNS1_3genE9ELNS1_11target_archE1100ELNS1_3gpuE3ELNS1_3repE0EEENS1_47radix_sort_onesweep_sort_config_static_selectorELNS0_4arch9wavefront6targetE1EEEvSG_ ; -- Begin function _ZN7rocprim17ROCPRIM_400000_NS6detail17trampoline_kernelINS0_14default_configENS1_35radix_sort_onesweep_config_selectorIllEEZZNS1_29radix_sort_onesweep_iterationIS3_Lb0EPlS7_N6thrust23THRUST_200600_302600_NS10device_ptrIlEESB_jNS0_19identity_decomposerENS1_16block_id_wrapperIjLb1EEEEE10hipError_tT1_PNSt15iterator_traitsISG_E10value_typeET2_T3_PNSH_ISM_E10value_typeET4_T5_PSR_SS_PNS1_23onesweep_lookback_stateEbbT6_jjT7_P12ihipStream_tbENKUlT_T0_SG_SL_E_clIS7_S7_SB_S7_EEDaSZ_S10_SG_SL_EUlSZ_E_NS1_11comp_targetILNS1_3genE9ELNS1_11target_archE1100ELNS1_3gpuE3ELNS1_3repE0EEENS1_47radix_sort_onesweep_sort_config_static_selectorELNS0_4arch9wavefront6targetE1EEEvSG_
	.globl	_ZN7rocprim17ROCPRIM_400000_NS6detail17trampoline_kernelINS0_14default_configENS1_35radix_sort_onesweep_config_selectorIllEEZZNS1_29radix_sort_onesweep_iterationIS3_Lb0EPlS7_N6thrust23THRUST_200600_302600_NS10device_ptrIlEESB_jNS0_19identity_decomposerENS1_16block_id_wrapperIjLb1EEEEE10hipError_tT1_PNSt15iterator_traitsISG_E10value_typeET2_T3_PNSH_ISM_E10value_typeET4_T5_PSR_SS_PNS1_23onesweep_lookback_stateEbbT6_jjT7_P12ihipStream_tbENKUlT_T0_SG_SL_E_clIS7_S7_SB_S7_EEDaSZ_S10_SG_SL_EUlSZ_E_NS1_11comp_targetILNS1_3genE9ELNS1_11target_archE1100ELNS1_3gpuE3ELNS1_3repE0EEENS1_47radix_sort_onesweep_sort_config_static_selectorELNS0_4arch9wavefront6targetE1EEEvSG_
	.p2align	8
	.type	_ZN7rocprim17ROCPRIM_400000_NS6detail17trampoline_kernelINS0_14default_configENS1_35radix_sort_onesweep_config_selectorIllEEZZNS1_29radix_sort_onesweep_iterationIS3_Lb0EPlS7_N6thrust23THRUST_200600_302600_NS10device_ptrIlEESB_jNS0_19identity_decomposerENS1_16block_id_wrapperIjLb1EEEEE10hipError_tT1_PNSt15iterator_traitsISG_E10value_typeET2_T3_PNSH_ISM_E10value_typeET4_T5_PSR_SS_PNS1_23onesweep_lookback_stateEbbT6_jjT7_P12ihipStream_tbENKUlT_T0_SG_SL_E_clIS7_S7_SB_S7_EEDaSZ_S10_SG_SL_EUlSZ_E_NS1_11comp_targetILNS1_3genE9ELNS1_11target_archE1100ELNS1_3gpuE3ELNS1_3repE0EEENS1_47radix_sort_onesweep_sort_config_static_selectorELNS0_4arch9wavefront6targetE1EEEvSG_,@function
_ZN7rocprim17ROCPRIM_400000_NS6detail17trampoline_kernelINS0_14default_configENS1_35radix_sort_onesweep_config_selectorIllEEZZNS1_29radix_sort_onesweep_iterationIS3_Lb0EPlS7_N6thrust23THRUST_200600_302600_NS10device_ptrIlEESB_jNS0_19identity_decomposerENS1_16block_id_wrapperIjLb1EEEEE10hipError_tT1_PNSt15iterator_traitsISG_E10value_typeET2_T3_PNSH_ISM_E10value_typeET4_T5_PSR_SS_PNS1_23onesweep_lookback_stateEbbT6_jjT7_P12ihipStream_tbENKUlT_T0_SG_SL_E_clIS7_S7_SB_S7_EEDaSZ_S10_SG_SL_EUlSZ_E_NS1_11comp_targetILNS1_3genE9ELNS1_11target_archE1100ELNS1_3gpuE3ELNS1_3repE0EEENS1_47radix_sort_onesweep_sort_config_static_selectorELNS0_4arch9wavefront6targetE1EEEvSG_: ; @_ZN7rocprim17ROCPRIM_400000_NS6detail17trampoline_kernelINS0_14default_configENS1_35radix_sort_onesweep_config_selectorIllEEZZNS1_29radix_sort_onesweep_iterationIS3_Lb0EPlS7_N6thrust23THRUST_200600_302600_NS10device_ptrIlEESB_jNS0_19identity_decomposerENS1_16block_id_wrapperIjLb1EEEEE10hipError_tT1_PNSt15iterator_traitsISG_E10value_typeET2_T3_PNSH_ISM_E10value_typeET4_T5_PSR_SS_PNS1_23onesweep_lookback_stateEbbT6_jjT7_P12ihipStream_tbENKUlT_T0_SG_SL_E_clIS7_S7_SB_S7_EEDaSZ_S10_SG_SL_EUlSZ_E_NS1_11comp_targetILNS1_3genE9ELNS1_11target_archE1100ELNS1_3gpuE3ELNS1_3repE0EEENS1_47radix_sort_onesweep_sort_config_static_selectorELNS0_4arch9wavefront6targetE1EEEvSG_
; %bb.0:
	.section	.rodata,"a",@progbits
	.p2align	6, 0x0
	.amdhsa_kernel _ZN7rocprim17ROCPRIM_400000_NS6detail17trampoline_kernelINS0_14default_configENS1_35radix_sort_onesweep_config_selectorIllEEZZNS1_29radix_sort_onesweep_iterationIS3_Lb0EPlS7_N6thrust23THRUST_200600_302600_NS10device_ptrIlEESB_jNS0_19identity_decomposerENS1_16block_id_wrapperIjLb1EEEEE10hipError_tT1_PNSt15iterator_traitsISG_E10value_typeET2_T3_PNSH_ISM_E10value_typeET4_T5_PSR_SS_PNS1_23onesweep_lookback_stateEbbT6_jjT7_P12ihipStream_tbENKUlT_T0_SG_SL_E_clIS7_S7_SB_S7_EEDaSZ_S10_SG_SL_EUlSZ_E_NS1_11comp_targetILNS1_3genE9ELNS1_11target_archE1100ELNS1_3gpuE3ELNS1_3repE0EEENS1_47radix_sort_onesweep_sort_config_static_selectorELNS0_4arch9wavefront6targetE1EEEvSG_
		.amdhsa_group_segment_fixed_size 0
		.amdhsa_private_segment_fixed_size 0
		.amdhsa_kernarg_size 88
		.amdhsa_user_sgpr_count 6
		.amdhsa_user_sgpr_private_segment_buffer 1
		.amdhsa_user_sgpr_dispatch_ptr 0
		.amdhsa_user_sgpr_queue_ptr 0
		.amdhsa_user_sgpr_kernarg_segment_ptr 1
		.amdhsa_user_sgpr_dispatch_id 0
		.amdhsa_user_sgpr_flat_scratch_init 0
		.amdhsa_user_sgpr_private_segment_size 0
		.amdhsa_uses_dynamic_stack 0
		.amdhsa_system_sgpr_private_segment_wavefront_offset 0
		.amdhsa_system_sgpr_workgroup_id_x 1
		.amdhsa_system_sgpr_workgroup_id_y 0
		.amdhsa_system_sgpr_workgroup_id_z 0
		.amdhsa_system_sgpr_workgroup_info 0
		.amdhsa_system_vgpr_workitem_id 0
		.amdhsa_next_free_vgpr 1
		.amdhsa_next_free_sgpr 0
		.amdhsa_reserve_vcc 0
		.amdhsa_reserve_flat_scratch 0
		.amdhsa_float_round_mode_32 0
		.amdhsa_float_round_mode_16_64 0
		.amdhsa_float_denorm_mode_32 3
		.amdhsa_float_denorm_mode_16_64 3
		.amdhsa_dx10_clamp 1
		.amdhsa_ieee_mode 1
		.amdhsa_fp16_overflow 0
		.amdhsa_exception_fp_ieee_invalid_op 0
		.amdhsa_exception_fp_denorm_src 0
		.amdhsa_exception_fp_ieee_div_zero 0
		.amdhsa_exception_fp_ieee_overflow 0
		.amdhsa_exception_fp_ieee_underflow 0
		.amdhsa_exception_fp_ieee_inexact 0
		.amdhsa_exception_int_div_zero 0
	.end_amdhsa_kernel
	.section	.text._ZN7rocprim17ROCPRIM_400000_NS6detail17trampoline_kernelINS0_14default_configENS1_35radix_sort_onesweep_config_selectorIllEEZZNS1_29radix_sort_onesweep_iterationIS3_Lb0EPlS7_N6thrust23THRUST_200600_302600_NS10device_ptrIlEESB_jNS0_19identity_decomposerENS1_16block_id_wrapperIjLb1EEEEE10hipError_tT1_PNSt15iterator_traitsISG_E10value_typeET2_T3_PNSH_ISM_E10value_typeET4_T5_PSR_SS_PNS1_23onesweep_lookback_stateEbbT6_jjT7_P12ihipStream_tbENKUlT_T0_SG_SL_E_clIS7_S7_SB_S7_EEDaSZ_S10_SG_SL_EUlSZ_E_NS1_11comp_targetILNS1_3genE9ELNS1_11target_archE1100ELNS1_3gpuE3ELNS1_3repE0EEENS1_47radix_sort_onesweep_sort_config_static_selectorELNS0_4arch9wavefront6targetE1EEEvSG_,"axG",@progbits,_ZN7rocprim17ROCPRIM_400000_NS6detail17trampoline_kernelINS0_14default_configENS1_35radix_sort_onesweep_config_selectorIllEEZZNS1_29radix_sort_onesweep_iterationIS3_Lb0EPlS7_N6thrust23THRUST_200600_302600_NS10device_ptrIlEESB_jNS0_19identity_decomposerENS1_16block_id_wrapperIjLb1EEEEE10hipError_tT1_PNSt15iterator_traitsISG_E10value_typeET2_T3_PNSH_ISM_E10value_typeET4_T5_PSR_SS_PNS1_23onesweep_lookback_stateEbbT6_jjT7_P12ihipStream_tbENKUlT_T0_SG_SL_E_clIS7_S7_SB_S7_EEDaSZ_S10_SG_SL_EUlSZ_E_NS1_11comp_targetILNS1_3genE9ELNS1_11target_archE1100ELNS1_3gpuE3ELNS1_3repE0EEENS1_47radix_sort_onesweep_sort_config_static_selectorELNS0_4arch9wavefront6targetE1EEEvSG_,comdat
.Lfunc_end1148:
	.size	_ZN7rocprim17ROCPRIM_400000_NS6detail17trampoline_kernelINS0_14default_configENS1_35radix_sort_onesweep_config_selectorIllEEZZNS1_29radix_sort_onesweep_iterationIS3_Lb0EPlS7_N6thrust23THRUST_200600_302600_NS10device_ptrIlEESB_jNS0_19identity_decomposerENS1_16block_id_wrapperIjLb1EEEEE10hipError_tT1_PNSt15iterator_traitsISG_E10value_typeET2_T3_PNSH_ISM_E10value_typeET4_T5_PSR_SS_PNS1_23onesweep_lookback_stateEbbT6_jjT7_P12ihipStream_tbENKUlT_T0_SG_SL_E_clIS7_S7_SB_S7_EEDaSZ_S10_SG_SL_EUlSZ_E_NS1_11comp_targetILNS1_3genE9ELNS1_11target_archE1100ELNS1_3gpuE3ELNS1_3repE0EEENS1_47radix_sort_onesweep_sort_config_static_selectorELNS0_4arch9wavefront6targetE1EEEvSG_, .Lfunc_end1148-_ZN7rocprim17ROCPRIM_400000_NS6detail17trampoline_kernelINS0_14default_configENS1_35radix_sort_onesweep_config_selectorIllEEZZNS1_29radix_sort_onesweep_iterationIS3_Lb0EPlS7_N6thrust23THRUST_200600_302600_NS10device_ptrIlEESB_jNS0_19identity_decomposerENS1_16block_id_wrapperIjLb1EEEEE10hipError_tT1_PNSt15iterator_traitsISG_E10value_typeET2_T3_PNSH_ISM_E10value_typeET4_T5_PSR_SS_PNS1_23onesweep_lookback_stateEbbT6_jjT7_P12ihipStream_tbENKUlT_T0_SG_SL_E_clIS7_S7_SB_S7_EEDaSZ_S10_SG_SL_EUlSZ_E_NS1_11comp_targetILNS1_3genE9ELNS1_11target_archE1100ELNS1_3gpuE3ELNS1_3repE0EEENS1_47radix_sort_onesweep_sort_config_static_selectorELNS0_4arch9wavefront6targetE1EEEvSG_
                                        ; -- End function
	.set _ZN7rocprim17ROCPRIM_400000_NS6detail17trampoline_kernelINS0_14default_configENS1_35radix_sort_onesweep_config_selectorIllEEZZNS1_29radix_sort_onesweep_iterationIS3_Lb0EPlS7_N6thrust23THRUST_200600_302600_NS10device_ptrIlEESB_jNS0_19identity_decomposerENS1_16block_id_wrapperIjLb1EEEEE10hipError_tT1_PNSt15iterator_traitsISG_E10value_typeET2_T3_PNSH_ISM_E10value_typeET4_T5_PSR_SS_PNS1_23onesweep_lookback_stateEbbT6_jjT7_P12ihipStream_tbENKUlT_T0_SG_SL_E_clIS7_S7_SB_S7_EEDaSZ_S10_SG_SL_EUlSZ_E_NS1_11comp_targetILNS1_3genE9ELNS1_11target_archE1100ELNS1_3gpuE3ELNS1_3repE0EEENS1_47radix_sort_onesweep_sort_config_static_selectorELNS0_4arch9wavefront6targetE1EEEvSG_.num_vgpr, 0
	.set _ZN7rocprim17ROCPRIM_400000_NS6detail17trampoline_kernelINS0_14default_configENS1_35radix_sort_onesweep_config_selectorIllEEZZNS1_29radix_sort_onesweep_iterationIS3_Lb0EPlS7_N6thrust23THRUST_200600_302600_NS10device_ptrIlEESB_jNS0_19identity_decomposerENS1_16block_id_wrapperIjLb1EEEEE10hipError_tT1_PNSt15iterator_traitsISG_E10value_typeET2_T3_PNSH_ISM_E10value_typeET4_T5_PSR_SS_PNS1_23onesweep_lookback_stateEbbT6_jjT7_P12ihipStream_tbENKUlT_T0_SG_SL_E_clIS7_S7_SB_S7_EEDaSZ_S10_SG_SL_EUlSZ_E_NS1_11comp_targetILNS1_3genE9ELNS1_11target_archE1100ELNS1_3gpuE3ELNS1_3repE0EEENS1_47radix_sort_onesweep_sort_config_static_selectorELNS0_4arch9wavefront6targetE1EEEvSG_.num_agpr, 0
	.set _ZN7rocprim17ROCPRIM_400000_NS6detail17trampoline_kernelINS0_14default_configENS1_35radix_sort_onesweep_config_selectorIllEEZZNS1_29radix_sort_onesweep_iterationIS3_Lb0EPlS7_N6thrust23THRUST_200600_302600_NS10device_ptrIlEESB_jNS0_19identity_decomposerENS1_16block_id_wrapperIjLb1EEEEE10hipError_tT1_PNSt15iterator_traitsISG_E10value_typeET2_T3_PNSH_ISM_E10value_typeET4_T5_PSR_SS_PNS1_23onesweep_lookback_stateEbbT6_jjT7_P12ihipStream_tbENKUlT_T0_SG_SL_E_clIS7_S7_SB_S7_EEDaSZ_S10_SG_SL_EUlSZ_E_NS1_11comp_targetILNS1_3genE9ELNS1_11target_archE1100ELNS1_3gpuE3ELNS1_3repE0EEENS1_47radix_sort_onesweep_sort_config_static_selectorELNS0_4arch9wavefront6targetE1EEEvSG_.numbered_sgpr, 0
	.set _ZN7rocprim17ROCPRIM_400000_NS6detail17trampoline_kernelINS0_14default_configENS1_35radix_sort_onesweep_config_selectorIllEEZZNS1_29radix_sort_onesweep_iterationIS3_Lb0EPlS7_N6thrust23THRUST_200600_302600_NS10device_ptrIlEESB_jNS0_19identity_decomposerENS1_16block_id_wrapperIjLb1EEEEE10hipError_tT1_PNSt15iterator_traitsISG_E10value_typeET2_T3_PNSH_ISM_E10value_typeET4_T5_PSR_SS_PNS1_23onesweep_lookback_stateEbbT6_jjT7_P12ihipStream_tbENKUlT_T0_SG_SL_E_clIS7_S7_SB_S7_EEDaSZ_S10_SG_SL_EUlSZ_E_NS1_11comp_targetILNS1_3genE9ELNS1_11target_archE1100ELNS1_3gpuE3ELNS1_3repE0EEENS1_47radix_sort_onesweep_sort_config_static_selectorELNS0_4arch9wavefront6targetE1EEEvSG_.num_named_barrier, 0
	.set _ZN7rocprim17ROCPRIM_400000_NS6detail17trampoline_kernelINS0_14default_configENS1_35radix_sort_onesweep_config_selectorIllEEZZNS1_29radix_sort_onesweep_iterationIS3_Lb0EPlS7_N6thrust23THRUST_200600_302600_NS10device_ptrIlEESB_jNS0_19identity_decomposerENS1_16block_id_wrapperIjLb1EEEEE10hipError_tT1_PNSt15iterator_traitsISG_E10value_typeET2_T3_PNSH_ISM_E10value_typeET4_T5_PSR_SS_PNS1_23onesweep_lookback_stateEbbT6_jjT7_P12ihipStream_tbENKUlT_T0_SG_SL_E_clIS7_S7_SB_S7_EEDaSZ_S10_SG_SL_EUlSZ_E_NS1_11comp_targetILNS1_3genE9ELNS1_11target_archE1100ELNS1_3gpuE3ELNS1_3repE0EEENS1_47radix_sort_onesweep_sort_config_static_selectorELNS0_4arch9wavefront6targetE1EEEvSG_.private_seg_size, 0
	.set _ZN7rocprim17ROCPRIM_400000_NS6detail17trampoline_kernelINS0_14default_configENS1_35radix_sort_onesweep_config_selectorIllEEZZNS1_29radix_sort_onesweep_iterationIS3_Lb0EPlS7_N6thrust23THRUST_200600_302600_NS10device_ptrIlEESB_jNS0_19identity_decomposerENS1_16block_id_wrapperIjLb1EEEEE10hipError_tT1_PNSt15iterator_traitsISG_E10value_typeET2_T3_PNSH_ISM_E10value_typeET4_T5_PSR_SS_PNS1_23onesweep_lookback_stateEbbT6_jjT7_P12ihipStream_tbENKUlT_T0_SG_SL_E_clIS7_S7_SB_S7_EEDaSZ_S10_SG_SL_EUlSZ_E_NS1_11comp_targetILNS1_3genE9ELNS1_11target_archE1100ELNS1_3gpuE3ELNS1_3repE0EEENS1_47radix_sort_onesweep_sort_config_static_selectorELNS0_4arch9wavefront6targetE1EEEvSG_.uses_vcc, 0
	.set _ZN7rocprim17ROCPRIM_400000_NS6detail17trampoline_kernelINS0_14default_configENS1_35radix_sort_onesweep_config_selectorIllEEZZNS1_29radix_sort_onesweep_iterationIS3_Lb0EPlS7_N6thrust23THRUST_200600_302600_NS10device_ptrIlEESB_jNS0_19identity_decomposerENS1_16block_id_wrapperIjLb1EEEEE10hipError_tT1_PNSt15iterator_traitsISG_E10value_typeET2_T3_PNSH_ISM_E10value_typeET4_T5_PSR_SS_PNS1_23onesweep_lookback_stateEbbT6_jjT7_P12ihipStream_tbENKUlT_T0_SG_SL_E_clIS7_S7_SB_S7_EEDaSZ_S10_SG_SL_EUlSZ_E_NS1_11comp_targetILNS1_3genE9ELNS1_11target_archE1100ELNS1_3gpuE3ELNS1_3repE0EEENS1_47radix_sort_onesweep_sort_config_static_selectorELNS0_4arch9wavefront6targetE1EEEvSG_.uses_flat_scratch, 0
	.set _ZN7rocprim17ROCPRIM_400000_NS6detail17trampoline_kernelINS0_14default_configENS1_35radix_sort_onesweep_config_selectorIllEEZZNS1_29radix_sort_onesweep_iterationIS3_Lb0EPlS7_N6thrust23THRUST_200600_302600_NS10device_ptrIlEESB_jNS0_19identity_decomposerENS1_16block_id_wrapperIjLb1EEEEE10hipError_tT1_PNSt15iterator_traitsISG_E10value_typeET2_T3_PNSH_ISM_E10value_typeET4_T5_PSR_SS_PNS1_23onesweep_lookback_stateEbbT6_jjT7_P12ihipStream_tbENKUlT_T0_SG_SL_E_clIS7_S7_SB_S7_EEDaSZ_S10_SG_SL_EUlSZ_E_NS1_11comp_targetILNS1_3genE9ELNS1_11target_archE1100ELNS1_3gpuE3ELNS1_3repE0EEENS1_47radix_sort_onesweep_sort_config_static_selectorELNS0_4arch9wavefront6targetE1EEEvSG_.has_dyn_sized_stack, 0
	.set _ZN7rocprim17ROCPRIM_400000_NS6detail17trampoline_kernelINS0_14default_configENS1_35radix_sort_onesweep_config_selectorIllEEZZNS1_29radix_sort_onesweep_iterationIS3_Lb0EPlS7_N6thrust23THRUST_200600_302600_NS10device_ptrIlEESB_jNS0_19identity_decomposerENS1_16block_id_wrapperIjLb1EEEEE10hipError_tT1_PNSt15iterator_traitsISG_E10value_typeET2_T3_PNSH_ISM_E10value_typeET4_T5_PSR_SS_PNS1_23onesweep_lookback_stateEbbT6_jjT7_P12ihipStream_tbENKUlT_T0_SG_SL_E_clIS7_S7_SB_S7_EEDaSZ_S10_SG_SL_EUlSZ_E_NS1_11comp_targetILNS1_3genE9ELNS1_11target_archE1100ELNS1_3gpuE3ELNS1_3repE0EEENS1_47radix_sort_onesweep_sort_config_static_selectorELNS0_4arch9wavefront6targetE1EEEvSG_.has_recursion, 0
	.set _ZN7rocprim17ROCPRIM_400000_NS6detail17trampoline_kernelINS0_14default_configENS1_35radix_sort_onesweep_config_selectorIllEEZZNS1_29radix_sort_onesweep_iterationIS3_Lb0EPlS7_N6thrust23THRUST_200600_302600_NS10device_ptrIlEESB_jNS0_19identity_decomposerENS1_16block_id_wrapperIjLb1EEEEE10hipError_tT1_PNSt15iterator_traitsISG_E10value_typeET2_T3_PNSH_ISM_E10value_typeET4_T5_PSR_SS_PNS1_23onesweep_lookback_stateEbbT6_jjT7_P12ihipStream_tbENKUlT_T0_SG_SL_E_clIS7_S7_SB_S7_EEDaSZ_S10_SG_SL_EUlSZ_E_NS1_11comp_targetILNS1_3genE9ELNS1_11target_archE1100ELNS1_3gpuE3ELNS1_3repE0EEENS1_47radix_sort_onesweep_sort_config_static_selectorELNS0_4arch9wavefront6targetE1EEEvSG_.has_indirect_call, 0
	.section	.AMDGPU.csdata,"",@progbits
; Kernel info:
; codeLenInByte = 0
; TotalNumSgprs: 4
; NumVgprs: 0
; ScratchSize: 0
; MemoryBound: 0
; FloatMode: 240
; IeeeMode: 1
; LDSByteSize: 0 bytes/workgroup (compile time only)
; SGPRBlocks: 0
; VGPRBlocks: 0
; NumSGPRsForWavesPerEU: 4
; NumVGPRsForWavesPerEU: 1
; Occupancy: 10
; WaveLimiterHint : 0
; COMPUTE_PGM_RSRC2:SCRATCH_EN: 0
; COMPUTE_PGM_RSRC2:USER_SGPR: 6
; COMPUTE_PGM_RSRC2:TRAP_HANDLER: 0
; COMPUTE_PGM_RSRC2:TGID_X_EN: 1
; COMPUTE_PGM_RSRC2:TGID_Y_EN: 0
; COMPUTE_PGM_RSRC2:TGID_Z_EN: 0
; COMPUTE_PGM_RSRC2:TIDIG_COMP_CNT: 0
	.section	.text._ZN7rocprim17ROCPRIM_400000_NS6detail17trampoline_kernelINS0_14default_configENS1_35radix_sort_onesweep_config_selectorIllEEZZNS1_29radix_sort_onesweep_iterationIS3_Lb0EPlS7_N6thrust23THRUST_200600_302600_NS10device_ptrIlEESB_jNS0_19identity_decomposerENS1_16block_id_wrapperIjLb1EEEEE10hipError_tT1_PNSt15iterator_traitsISG_E10value_typeET2_T3_PNSH_ISM_E10value_typeET4_T5_PSR_SS_PNS1_23onesweep_lookback_stateEbbT6_jjT7_P12ihipStream_tbENKUlT_T0_SG_SL_E_clIS7_S7_SB_S7_EEDaSZ_S10_SG_SL_EUlSZ_E_NS1_11comp_targetILNS1_3genE8ELNS1_11target_archE1030ELNS1_3gpuE2ELNS1_3repE0EEENS1_47radix_sort_onesweep_sort_config_static_selectorELNS0_4arch9wavefront6targetE1EEEvSG_,"axG",@progbits,_ZN7rocprim17ROCPRIM_400000_NS6detail17trampoline_kernelINS0_14default_configENS1_35radix_sort_onesweep_config_selectorIllEEZZNS1_29radix_sort_onesweep_iterationIS3_Lb0EPlS7_N6thrust23THRUST_200600_302600_NS10device_ptrIlEESB_jNS0_19identity_decomposerENS1_16block_id_wrapperIjLb1EEEEE10hipError_tT1_PNSt15iterator_traitsISG_E10value_typeET2_T3_PNSH_ISM_E10value_typeET4_T5_PSR_SS_PNS1_23onesweep_lookback_stateEbbT6_jjT7_P12ihipStream_tbENKUlT_T0_SG_SL_E_clIS7_S7_SB_S7_EEDaSZ_S10_SG_SL_EUlSZ_E_NS1_11comp_targetILNS1_3genE8ELNS1_11target_archE1030ELNS1_3gpuE2ELNS1_3repE0EEENS1_47radix_sort_onesweep_sort_config_static_selectorELNS0_4arch9wavefront6targetE1EEEvSG_,comdat
	.protected	_ZN7rocprim17ROCPRIM_400000_NS6detail17trampoline_kernelINS0_14default_configENS1_35radix_sort_onesweep_config_selectorIllEEZZNS1_29radix_sort_onesweep_iterationIS3_Lb0EPlS7_N6thrust23THRUST_200600_302600_NS10device_ptrIlEESB_jNS0_19identity_decomposerENS1_16block_id_wrapperIjLb1EEEEE10hipError_tT1_PNSt15iterator_traitsISG_E10value_typeET2_T3_PNSH_ISM_E10value_typeET4_T5_PSR_SS_PNS1_23onesweep_lookback_stateEbbT6_jjT7_P12ihipStream_tbENKUlT_T0_SG_SL_E_clIS7_S7_SB_S7_EEDaSZ_S10_SG_SL_EUlSZ_E_NS1_11comp_targetILNS1_3genE8ELNS1_11target_archE1030ELNS1_3gpuE2ELNS1_3repE0EEENS1_47radix_sort_onesweep_sort_config_static_selectorELNS0_4arch9wavefront6targetE1EEEvSG_ ; -- Begin function _ZN7rocprim17ROCPRIM_400000_NS6detail17trampoline_kernelINS0_14default_configENS1_35radix_sort_onesweep_config_selectorIllEEZZNS1_29radix_sort_onesweep_iterationIS3_Lb0EPlS7_N6thrust23THRUST_200600_302600_NS10device_ptrIlEESB_jNS0_19identity_decomposerENS1_16block_id_wrapperIjLb1EEEEE10hipError_tT1_PNSt15iterator_traitsISG_E10value_typeET2_T3_PNSH_ISM_E10value_typeET4_T5_PSR_SS_PNS1_23onesweep_lookback_stateEbbT6_jjT7_P12ihipStream_tbENKUlT_T0_SG_SL_E_clIS7_S7_SB_S7_EEDaSZ_S10_SG_SL_EUlSZ_E_NS1_11comp_targetILNS1_3genE8ELNS1_11target_archE1030ELNS1_3gpuE2ELNS1_3repE0EEENS1_47radix_sort_onesweep_sort_config_static_selectorELNS0_4arch9wavefront6targetE1EEEvSG_
	.globl	_ZN7rocprim17ROCPRIM_400000_NS6detail17trampoline_kernelINS0_14default_configENS1_35radix_sort_onesweep_config_selectorIllEEZZNS1_29radix_sort_onesweep_iterationIS3_Lb0EPlS7_N6thrust23THRUST_200600_302600_NS10device_ptrIlEESB_jNS0_19identity_decomposerENS1_16block_id_wrapperIjLb1EEEEE10hipError_tT1_PNSt15iterator_traitsISG_E10value_typeET2_T3_PNSH_ISM_E10value_typeET4_T5_PSR_SS_PNS1_23onesweep_lookback_stateEbbT6_jjT7_P12ihipStream_tbENKUlT_T0_SG_SL_E_clIS7_S7_SB_S7_EEDaSZ_S10_SG_SL_EUlSZ_E_NS1_11comp_targetILNS1_3genE8ELNS1_11target_archE1030ELNS1_3gpuE2ELNS1_3repE0EEENS1_47radix_sort_onesweep_sort_config_static_selectorELNS0_4arch9wavefront6targetE1EEEvSG_
	.p2align	8
	.type	_ZN7rocprim17ROCPRIM_400000_NS6detail17trampoline_kernelINS0_14default_configENS1_35radix_sort_onesweep_config_selectorIllEEZZNS1_29radix_sort_onesweep_iterationIS3_Lb0EPlS7_N6thrust23THRUST_200600_302600_NS10device_ptrIlEESB_jNS0_19identity_decomposerENS1_16block_id_wrapperIjLb1EEEEE10hipError_tT1_PNSt15iterator_traitsISG_E10value_typeET2_T3_PNSH_ISM_E10value_typeET4_T5_PSR_SS_PNS1_23onesweep_lookback_stateEbbT6_jjT7_P12ihipStream_tbENKUlT_T0_SG_SL_E_clIS7_S7_SB_S7_EEDaSZ_S10_SG_SL_EUlSZ_E_NS1_11comp_targetILNS1_3genE8ELNS1_11target_archE1030ELNS1_3gpuE2ELNS1_3repE0EEENS1_47radix_sort_onesweep_sort_config_static_selectorELNS0_4arch9wavefront6targetE1EEEvSG_,@function
_ZN7rocprim17ROCPRIM_400000_NS6detail17trampoline_kernelINS0_14default_configENS1_35radix_sort_onesweep_config_selectorIllEEZZNS1_29radix_sort_onesweep_iterationIS3_Lb0EPlS7_N6thrust23THRUST_200600_302600_NS10device_ptrIlEESB_jNS0_19identity_decomposerENS1_16block_id_wrapperIjLb1EEEEE10hipError_tT1_PNSt15iterator_traitsISG_E10value_typeET2_T3_PNSH_ISM_E10value_typeET4_T5_PSR_SS_PNS1_23onesweep_lookback_stateEbbT6_jjT7_P12ihipStream_tbENKUlT_T0_SG_SL_E_clIS7_S7_SB_S7_EEDaSZ_S10_SG_SL_EUlSZ_E_NS1_11comp_targetILNS1_3genE8ELNS1_11target_archE1030ELNS1_3gpuE2ELNS1_3repE0EEENS1_47radix_sort_onesweep_sort_config_static_selectorELNS0_4arch9wavefront6targetE1EEEvSG_: ; @_ZN7rocprim17ROCPRIM_400000_NS6detail17trampoline_kernelINS0_14default_configENS1_35radix_sort_onesweep_config_selectorIllEEZZNS1_29radix_sort_onesweep_iterationIS3_Lb0EPlS7_N6thrust23THRUST_200600_302600_NS10device_ptrIlEESB_jNS0_19identity_decomposerENS1_16block_id_wrapperIjLb1EEEEE10hipError_tT1_PNSt15iterator_traitsISG_E10value_typeET2_T3_PNSH_ISM_E10value_typeET4_T5_PSR_SS_PNS1_23onesweep_lookback_stateEbbT6_jjT7_P12ihipStream_tbENKUlT_T0_SG_SL_E_clIS7_S7_SB_S7_EEDaSZ_S10_SG_SL_EUlSZ_E_NS1_11comp_targetILNS1_3genE8ELNS1_11target_archE1030ELNS1_3gpuE2ELNS1_3repE0EEENS1_47radix_sort_onesweep_sort_config_static_selectorELNS0_4arch9wavefront6targetE1EEEvSG_
; %bb.0:
	.section	.rodata,"a",@progbits
	.p2align	6, 0x0
	.amdhsa_kernel _ZN7rocprim17ROCPRIM_400000_NS6detail17trampoline_kernelINS0_14default_configENS1_35radix_sort_onesweep_config_selectorIllEEZZNS1_29radix_sort_onesweep_iterationIS3_Lb0EPlS7_N6thrust23THRUST_200600_302600_NS10device_ptrIlEESB_jNS0_19identity_decomposerENS1_16block_id_wrapperIjLb1EEEEE10hipError_tT1_PNSt15iterator_traitsISG_E10value_typeET2_T3_PNSH_ISM_E10value_typeET4_T5_PSR_SS_PNS1_23onesweep_lookback_stateEbbT6_jjT7_P12ihipStream_tbENKUlT_T0_SG_SL_E_clIS7_S7_SB_S7_EEDaSZ_S10_SG_SL_EUlSZ_E_NS1_11comp_targetILNS1_3genE8ELNS1_11target_archE1030ELNS1_3gpuE2ELNS1_3repE0EEENS1_47radix_sort_onesweep_sort_config_static_selectorELNS0_4arch9wavefront6targetE1EEEvSG_
		.amdhsa_group_segment_fixed_size 0
		.amdhsa_private_segment_fixed_size 0
		.amdhsa_kernarg_size 88
		.amdhsa_user_sgpr_count 6
		.amdhsa_user_sgpr_private_segment_buffer 1
		.amdhsa_user_sgpr_dispatch_ptr 0
		.amdhsa_user_sgpr_queue_ptr 0
		.amdhsa_user_sgpr_kernarg_segment_ptr 1
		.amdhsa_user_sgpr_dispatch_id 0
		.amdhsa_user_sgpr_flat_scratch_init 0
		.amdhsa_user_sgpr_private_segment_size 0
		.amdhsa_uses_dynamic_stack 0
		.amdhsa_system_sgpr_private_segment_wavefront_offset 0
		.amdhsa_system_sgpr_workgroup_id_x 1
		.amdhsa_system_sgpr_workgroup_id_y 0
		.amdhsa_system_sgpr_workgroup_id_z 0
		.amdhsa_system_sgpr_workgroup_info 0
		.amdhsa_system_vgpr_workitem_id 0
		.amdhsa_next_free_vgpr 1
		.amdhsa_next_free_sgpr 0
		.amdhsa_reserve_vcc 0
		.amdhsa_reserve_flat_scratch 0
		.amdhsa_float_round_mode_32 0
		.amdhsa_float_round_mode_16_64 0
		.amdhsa_float_denorm_mode_32 3
		.amdhsa_float_denorm_mode_16_64 3
		.amdhsa_dx10_clamp 1
		.amdhsa_ieee_mode 1
		.amdhsa_fp16_overflow 0
		.amdhsa_exception_fp_ieee_invalid_op 0
		.amdhsa_exception_fp_denorm_src 0
		.amdhsa_exception_fp_ieee_div_zero 0
		.amdhsa_exception_fp_ieee_overflow 0
		.amdhsa_exception_fp_ieee_underflow 0
		.amdhsa_exception_fp_ieee_inexact 0
		.amdhsa_exception_int_div_zero 0
	.end_amdhsa_kernel
	.section	.text._ZN7rocprim17ROCPRIM_400000_NS6detail17trampoline_kernelINS0_14default_configENS1_35radix_sort_onesweep_config_selectorIllEEZZNS1_29radix_sort_onesweep_iterationIS3_Lb0EPlS7_N6thrust23THRUST_200600_302600_NS10device_ptrIlEESB_jNS0_19identity_decomposerENS1_16block_id_wrapperIjLb1EEEEE10hipError_tT1_PNSt15iterator_traitsISG_E10value_typeET2_T3_PNSH_ISM_E10value_typeET4_T5_PSR_SS_PNS1_23onesweep_lookback_stateEbbT6_jjT7_P12ihipStream_tbENKUlT_T0_SG_SL_E_clIS7_S7_SB_S7_EEDaSZ_S10_SG_SL_EUlSZ_E_NS1_11comp_targetILNS1_3genE8ELNS1_11target_archE1030ELNS1_3gpuE2ELNS1_3repE0EEENS1_47radix_sort_onesweep_sort_config_static_selectorELNS0_4arch9wavefront6targetE1EEEvSG_,"axG",@progbits,_ZN7rocprim17ROCPRIM_400000_NS6detail17trampoline_kernelINS0_14default_configENS1_35radix_sort_onesweep_config_selectorIllEEZZNS1_29radix_sort_onesweep_iterationIS3_Lb0EPlS7_N6thrust23THRUST_200600_302600_NS10device_ptrIlEESB_jNS0_19identity_decomposerENS1_16block_id_wrapperIjLb1EEEEE10hipError_tT1_PNSt15iterator_traitsISG_E10value_typeET2_T3_PNSH_ISM_E10value_typeET4_T5_PSR_SS_PNS1_23onesweep_lookback_stateEbbT6_jjT7_P12ihipStream_tbENKUlT_T0_SG_SL_E_clIS7_S7_SB_S7_EEDaSZ_S10_SG_SL_EUlSZ_E_NS1_11comp_targetILNS1_3genE8ELNS1_11target_archE1030ELNS1_3gpuE2ELNS1_3repE0EEENS1_47radix_sort_onesweep_sort_config_static_selectorELNS0_4arch9wavefront6targetE1EEEvSG_,comdat
.Lfunc_end1149:
	.size	_ZN7rocprim17ROCPRIM_400000_NS6detail17trampoline_kernelINS0_14default_configENS1_35radix_sort_onesweep_config_selectorIllEEZZNS1_29radix_sort_onesweep_iterationIS3_Lb0EPlS7_N6thrust23THRUST_200600_302600_NS10device_ptrIlEESB_jNS0_19identity_decomposerENS1_16block_id_wrapperIjLb1EEEEE10hipError_tT1_PNSt15iterator_traitsISG_E10value_typeET2_T3_PNSH_ISM_E10value_typeET4_T5_PSR_SS_PNS1_23onesweep_lookback_stateEbbT6_jjT7_P12ihipStream_tbENKUlT_T0_SG_SL_E_clIS7_S7_SB_S7_EEDaSZ_S10_SG_SL_EUlSZ_E_NS1_11comp_targetILNS1_3genE8ELNS1_11target_archE1030ELNS1_3gpuE2ELNS1_3repE0EEENS1_47radix_sort_onesweep_sort_config_static_selectorELNS0_4arch9wavefront6targetE1EEEvSG_, .Lfunc_end1149-_ZN7rocprim17ROCPRIM_400000_NS6detail17trampoline_kernelINS0_14default_configENS1_35radix_sort_onesweep_config_selectorIllEEZZNS1_29radix_sort_onesweep_iterationIS3_Lb0EPlS7_N6thrust23THRUST_200600_302600_NS10device_ptrIlEESB_jNS0_19identity_decomposerENS1_16block_id_wrapperIjLb1EEEEE10hipError_tT1_PNSt15iterator_traitsISG_E10value_typeET2_T3_PNSH_ISM_E10value_typeET4_T5_PSR_SS_PNS1_23onesweep_lookback_stateEbbT6_jjT7_P12ihipStream_tbENKUlT_T0_SG_SL_E_clIS7_S7_SB_S7_EEDaSZ_S10_SG_SL_EUlSZ_E_NS1_11comp_targetILNS1_3genE8ELNS1_11target_archE1030ELNS1_3gpuE2ELNS1_3repE0EEENS1_47radix_sort_onesweep_sort_config_static_selectorELNS0_4arch9wavefront6targetE1EEEvSG_
                                        ; -- End function
	.set _ZN7rocprim17ROCPRIM_400000_NS6detail17trampoline_kernelINS0_14default_configENS1_35radix_sort_onesweep_config_selectorIllEEZZNS1_29radix_sort_onesweep_iterationIS3_Lb0EPlS7_N6thrust23THRUST_200600_302600_NS10device_ptrIlEESB_jNS0_19identity_decomposerENS1_16block_id_wrapperIjLb1EEEEE10hipError_tT1_PNSt15iterator_traitsISG_E10value_typeET2_T3_PNSH_ISM_E10value_typeET4_T5_PSR_SS_PNS1_23onesweep_lookback_stateEbbT6_jjT7_P12ihipStream_tbENKUlT_T0_SG_SL_E_clIS7_S7_SB_S7_EEDaSZ_S10_SG_SL_EUlSZ_E_NS1_11comp_targetILNS1_3genE8ELNS1_11target_archE1030ELNS1_3gpuE2ELNS1_3repE0EEENS1_47radix_sort_onesweep_sort_config_static_selectorELNS0_4arch9wavefront6targetE1EEEvSG_.num_vgpr, 0
	.set _ZN7rocprim17ROCPRIM_400000_NS6detail17trampoline_kernelINS0_14default_configENS1_35radix_sort_onesweep_config_selectorIllEEZZNS1_29radix_sort_onesweep_iterationIS3_Lb0EPlS7_N6thrust23THRUST_200600_302600_NS10device_ptrIlEESB_jNS0_19identity_decomposerENS1_16block_id_wrapperIjLb1EEEEE10hipError_tT1_PNSt15iterator_traitsISG_E10value_typeET2_T3_PNSH_ISM_E10value_typeET4_T5_PSR_SS_PNS1_23onesweep_lookback_stateEbbT6_jjT7_P12ihipStream_tbENKUlT_T0_SG_SL_E_clIS7_S7_SB_S7_EEDaSZ_S10_SG_SL_EUlSZ_E_NS1_11comp_targetILNS1_3genE8ELNS1_11target_archE1030ELNS1_3gpuE2ELNS1_3repE0EEENS1_47radix_sort_onesweep_sort_config_static_selectorELNS0_4arch9wavefront6targetE1EEEvSG_.num_agpr, 0
	.set _ZN7rocprim17ROCPRIM_400000_NS6detail17trampoline_kernelINS0_14default_configENS1_35radix_sort_onesweep_config_selectorIllEEZZNS1_29radix_sort_onesweep_iterationIS3_Lb0EPlS7_N6thrust23THRUST_200600_302600_NS10device_ptrIlEESB_jNS0_19identity_decomposerENS1_16block_id_wrapperIjLb1EEEEE10hipError_tT1_PNSt15iterator_traitsISG_E10value_typeET2_T3_PNSH_ISM_E10value_typeET4_T5_PSR_SS_PNS1_23onesweep_lookback_stateEbbT6_jjT7_P12ihipStream_tbENKUlT_T0_SG_SL_E_clIS7_S7_SB_S7_EEDaSZ_S10_SG_SL_EUlSZ_E_NS1_11comp_targetILNS1_3genE8ELNS1_11target_archE1030ELNS1_3gpuE2ELNS1_3repE0EEENS1_47radix_sort_onesweep_sort_config_static_selectorELNS0_4arch9wavefront6targetE1EEEvSG_.numbered_sgpr, 0
	.set _ZN7rocprim17ROCPRIM_400000_NS6detail17trampoline_kernelINS0_14default_configENS1_35radix_sort_onesweep_config_selectorIllEEZZNS1_29radix_sort_onesweep_iterationIS3_Lb0EPlS7_N6thrust23THRUST_200600_302600_NS10device_ptrIlEESB_jNS0_19identity_decomposerENS1_16block_id_wrapperIjLb1EEEEE10hipError_tT1_PNSt15iterator_traitsISG_E10value_typeET2_T3_PNSH_ISM_E10value_typeET4_T5_PSR_SS_PNS1_23onesweep_lookback_stateEbbT6_jjT7_P12ihipStream_tbENKUlT_T0_SG_SL_E_clIS7_S7_SB_S7_EEDaSZ_S10_SG_SL_EUlSZ_E_NS1_11comp_targetILNS1_3genE8ELNS1_11target_archE1030ELNS1_3gpuE2ELNS1_3repE0EEENS1_47radix_sort_onesweep_sort_config_static_selectorELNS0_4arch9wavefront6targetE1EEEvSG_.num_named_barrier, 0
	.set _ZN7rocprim17ROCPRIM_400000_NS6detail17trampoline_kernelINS0_14default_configENS1_35radix_sort_onesweep_config_selectorIllEEZZNS1_29radix_sort_onesweep_iterationIS3_Lb0EPlS7_N6thrust23THRUST_200600_302600_NS10device_ptrIlEESB_jNS0_19identity_decomposerENS1_16block_id_wrapperIjLb1EEEEE10hipError_tT1_PNSt15iterator_traitsISG_E10value_typeET2_T3_PNSH_ISM_E10value_typeET4_T5_PSR_SS_PNS1_23onesweep_lookback_stateEbbT6_jjT7_P12ihipStream_tbENKUlT_T0_SG_SL_E_clIS7_S7_SB_S7_EEDaSZ_S10_SG_SL_EUlSZ_E_NS1_11comp_targetILNS1_3genE8ELNS1_11target_archE1030ELNS1_3gpuE2ELNS1_3repE0EEENS1_47radix_sort_onesweep_sort_config_static_selectorELNS0_4arch9wavefront6targetE1EEEvSG_.private_seg_size, 0
	.set _ZN7rocprim17ROCPRIM_400000_NS6detail17trampoline_kernelINS0_14default_configENS1_35radix_sort_onesweep_config_selectorIllEEZZNS1_29radix_sort_onesweep_iterationIS3_Lb0EPlS7_N6thrust23THRUST_200600_302600_NS10device_ptrIlEESB_jNS0_19identity_decomposerENS1_16block_id_wrapperIjLb1EEEEE10hipError_tT1_PNSt15iterator_traitsISG_E10value_typeET2_T3_PNSH_ISM_E10value_typeET4_T5_PSR_SS_PNS1_23onesweep_lookback_stateEbbT6_jjT7_P12ihipStream_tbENKUlT_T0_SG_SL_E_clIS7_S7_SB_S7_EEDaSZ_S10_SG_SL_EUlSZ_E_NS1_11comp_targetILNS1_3genE8ELNS1_11target_archE1030ELNS1_3gpuE2ELNS1_3repE0EEENS1_47radix_sort_onesweep_sort_config_static_selectorELNS0_4arch9wavefront6targetE1EEEvSG_.uses_vcc, 0
	.set _ZN7rocprim17ROCPRIM_400000_NS6detail17trampoline_kernelINS0_14default_configENS1_35radix_sort_onesweep_config_selectorIllEEZZNS1_29radix_sort_onesweep_iterationIS3_Lb0EPlS7_N6thrust23THRUST_200600_302600_NS10device_ptrIlEESB_jNS0_19identity_decomposerENS1_16block_id_wrapperIjLb1EEEEE10hipError_tT1_PNSt15iterator_traitsISG_E10value_typeET2_T3_PNSH_ISM_E10value_typeET4_T5_PSR_SS_PNS1_23onesweep_lookback_stateEbbT6_jjT7_P12ihipStream_tbENKUlT_T0_SG_SL_E_clIS7_S7_SB_S7_EEDaSZ_S10_SG_SL_EUlSZ_E_NS1_11comp_targetILNS1_3genE8ELNS1_11target_archE1030ELNS1_3gpuE2ELNS1_3repE0EEENS1_47radix_sort_onesweep_sort_config_static_selectorELNS0_4arch9wavefront6targetE1EEEvSG_.uses_flat_scratch, 0
	.set _ZN7rocprim17ROCPRIM_400000_NS6detail17trampoline_kernelINS0_14default_configENS1_35radix_sort_onesweep_config_selectorIllEEZZNS1_29radix_sort_onesweep_iterationIS3_Lb0EPlS7_N6thrust23THRUST_200600_302600_NS10device_ptrIlEESB_jNS0_19identity_decomposerENS1_16block_id_wrapperIjLb1EEEEE10hipError_tT1_PNSt15iterator_traitsISG_E10value_typeET2_T3_PNSH_ISM_E10value_typeET4_T5_PSR_SS_PNS1_23onesweep_lookback_stateEbbT6_jjT7_P12ihipStream_tbENKUlT_T0_SG_SL_E_clIS7_S7_SB_S7_EEDaSZ_S10_SG_SL_EUlSZ_E_NS1_11comp_targetILNS1_3genE8ELNS1_11target_archE1030ELNS1_3gpuE2ELNS1_3repE0EEENS1_47radix_sort_onesweep_sort_config_static_selectorELNS0_4arch9wavefront6targetE1EEEvSG_.has_dyn_sized_stack, 0
	.set _ZN7rocprim17ROCPRIM_400000_NS6detail17trampoline_kernelINS0_14default_configENS1_35radix_sort_onesweep_config_selectorIllEEZZNS1_29radix_sort_onesweep_iterationIS3_Lb0EPlS7_N6thrust23THRUST_200600_302600_NS10device_ptrIlEESB_jNS0_19identity_decomposerENS1_16block_id_wrapperIjLb1EEEEE10hipError_tT1_PNSt15iterator_traitsISG_E10value_typeET2_T3_PNSH_ISM_E10value_typeET4_T5_PSR_SS_PNS1_23onesweep_lookback_stateEbbT6_jjT7_P12ihipStream_tbENKUlT_T0_SG_SL_E_clIS7_S7_SB_S7_EEDaSZ_S10_SG_SL_EUlSZ_E_NS1_11comp_targetILNS1_3genE8ELNS1_11target_archE1030ELNS1_3gpuE2ELNS1_3repE0EEENS1_47radix_sort_onesweep_sort_config_static_selectorELNS0_4arch9wavefront6targetE1EEEvSG_.has_recursion, 0
	.set _ZN7rocprim17ROCPRIM_400000_NS6detail17trampoline_kernelINS0_14default_configENS1_35radix_sort_onesweep_config_selectorIllEEZZNS1_29radix_sort_onesweep_iterationIS3_Lb0EPlS7_N6thrust23THRUST_200600_302600_NS10device_ptrIlEESB_jNS0_19identity_decomposerENS1_16block_id_wrapperIjLb1EEEEE10hipError_tT1_PNSt15iterator_traitsISG_E10value_typeET2_T3_PNSH_ISM_E10value_typeET4_T5_PSR_SS_PNS1_23onesweep_lookback_stateEbbT6_jjT7_P12ihipStream_tbENKUlT_T0_SG_SL_E_clIS7_S7_SB_S7_EEDaSZ_S10_SG_SL_EUlSZ_E_NS1_11comp_targetILNS1_3genE8ELNS1_11target_archE1030ELNS1_3gpuE2ELNS1_3repE0EEENS1_47radix_sort_onesweep_sort_config_static_selectorELNS0_4arch9wavefront6targetE1EEEvSG_.has_indirect_call, 0
	.section	.AMDGPU.csdata,"",@progbits
; Kernel info:
; codeLenInByte = 0
; TotalNumSgprs: 4
; NumVgprs: 0
; ScratchSize: 0
; MemoryBound: 0
; FloatMode: 240
; IeeeMode: 1
; LDSByteSize: 0 bytes/workgroup (compile time only)
; SGPRBlocks: 0
; VGPRBlocks: 0
; NumSGPRsForWavesPerEU: 4
; NumVGPRsForWavesPerEU: 1
; Occupancy: 10
; WaveLimiterHint : 0
; COMPUTE_PGM_RSRC2:SCRATCH_EN: 0
; COMPUTE_PGM_RSRC2:USER_SGPR: 6
; COMPUTE_PGM_RSRC2:TRAP_HANDLER: 0
; COMPUTE_PGM_RSRC2:TGID_X_EN: 1
; COMPUTE_PGM_RSRC2:TGID_Y_EN: 0
; COMPUTE_PGM_RSRC2:TGID_Z_EN: 0
; COMPUTE_PGM_RSRC2:TIDIG_COMP_CNT: 0
	.section	.text._ZN7rocprim17ROCPRIM_400000_NS6detail17trampoline_kernelINS0_14default_configENS1_35radix_sort_onesweep_config_selectorIllEEZZNS1_29radix_sort_onesweep_iterationIS3_Lb0EPlS7_N6thrust23THRUST_200600_302600_NS10device_ptrIlEESB_jNS0_19identity_decomposerENS1_16block_id_wrapperIjLb1EEEEE10hipError_tT1_PNSt15iterator_traitsISG_E10value_typeET2_T3_PNSH_ISM_E10value_typeET4_T5_PSR_SS_PNS1_23onesweep_lookback_stateEbbT6_jjT7_P12ihipStream_tbENKUlT_T0_SG_SL_E_clIS7_S7_S7_SB_EEDaSZ_S10_SG_SL_EUlSZ_E_NS1_11comp_targetILNS1_3genE0ELNS1_11target_archE4294967295ELNS1_3gpuE0ELNS1_3repE0EEENS1_47radix_sort_onesweep_sort_config_static_selectorELNS0_4arch9wavefront6targetE1EEEvSG_,"axG",@progbits,_ZN7rocprim17ROCPRIM_400000_NS6detail17trampoline_kernelINS0_14default_configENS1_35radix_sort_onesweep_config_selectorIllEEZZNS1_29radix_sort_onesweep_iterationIS3_Lb0EPlS7_N6thrust23THRUST_200600_302600_NS10device_ptrIlEESB_jNS0_19identity_decomposerENS1_16block_id_wrapperIjLb1EEEEE10hipError_tT1_PNSt15iterator_traitsISG_E10value_typeET2_T3_PNSH_ISM_E10value_typeET4_T5_PSR_SS_PNS1_23onesweep_lookback_stateEbbT6_jjT7_P12ihipStream_tbENKUlT_T0_SG_SL_E_clIS7_S7_S7_SB_EEDaSZ_S10_SG_SL_EUlSZ_E_NS1_11comp_targetILNS1_3genE0ELNS1_11target_archE4294967295ELNS1_3gpuE0ELNS1_3repE0EEENS1_47radix_sort_onesweep_sort_config_static_selectorELNS0_4arch9wavefront6targetE1EEEvSG_,comdat
	.protected	_ZN7rocprim17ROCPRIM_400000_NS6detail17trampoline_kernelINS0_14default_configENS1_35radix_sort_onesweep_config_selectorIllEEZZNS1_29radix_sort_onesweep_iterationIS3_Lb0EPlS7_N6thrust23THRUST_200600_302600_NS10device_ptrIlEESB_jNS0_19identity_decomposerENS1_16block_id_wrapperIjLb1EEEEE10hipError_tT1_PNSt15iterator_traitsISG_E10value_typeET2_T3_PNSH_ISM_E10value_typeET4_T5_PSR_SS_PNS1_23onesweep_lookback_stateEbbT6_jjT7_P12ihipStream_tbENKUlT_T0_SG_SL_E_clIS7_S7_S7_SB_EEDaSZ_S10_SG_SL_EUlSZ_E_NS1_11comp_targetILNS1_3genE0ELNS1_11target_archE4294967295ELNS1_3gpuE0ELNS1_3repE0EEENS1_47radix_sort_onesweep_sort_config_static_selectorELNS0_4arch9wavefront6targetE1EEEvSG_ ; -- Begin function _ZN7rocprim17ROCPRIM_400000_NS6detail17trampoline_kernelINS0_14default_configENS1_35radix_sort_onesweep_config_selectorIllEEZZNS1_29radix_sort_onesweep_iterationIS3_Lb0EPlS7_N6thrust23THRUST_200600_302600_NS10device_ptrIlEESB_jNS0_19identity_decomposerENS1_16block_id_wrapperIjLb1EEEEE10hipError_tT1_PNSt15iterator_traitsISG_E10value_typeET2_T3_PNSH_ISM_E10value_typeET4_T5_PSR_SS_PNS1_23onesweep_lookback_stateEbbT6_jjT7_P12ihipStream_tbENKUlT_T0_SG_SL_E_clIS7_S7_S7_SB_EEDaSZ_S10_SG_SL_EUlSZ_E_NS1_11comp_targetILNS1_3genE0ELNS1_11target_archE4294967295ELNS1_3gpuE0ELNS1_3repE0EEENS1_47radix_sort_onesweep_sort_config_static_selectorELNS0_4arch9wavefront6targetE1EEEvSG_
	.globl	_ZN7rocprim17ROCPRIM_400000_NS6detail17trampoline_kernelINS0_14default_configENS1_35radix_sort_onesweep_config_selectorIllEEZZNS1_29radix_sort_onesweep_iterationIS3_Lb0EPlS7_N6thrust23THRUST_200600_302600_NS10device_ptrIlEESB_jNS0_19identity_decomposerENS1_16block_id_wrapperIjLb1EEEEE10hipError_tT1_PNSt15iterator_traitsISG_E10value_typeET2_T3_PNSH_ISM_E10value_typeET4_T5_PSR_SS_PNS1_23onesweep_lookback_stateEbbT6_jjT7_P12ihipStream_tbENKUlT_T0_SG_SL_E_clIS7_S7_S7_SB_EEDaSZ_S10_SG_SL_EUlSZ_E_NS1_11comp_targetILNS1_3genE0ELNS1_11target_archE4294967295ELNS1_3gpuE0ELNS1_3repE0EEENS1_47radix_sort_onesweep_sort_config_static_selectorELNS0_4arch9wavefront6targetE1EEEvSG_
	.p2align	8
	.type	_ZN7rocprim17ROCPRIM_400000_NS6detail17trampoline_kernelINS0_14default_configENS1_35radix_sort_onesweep_config_selectorIllEEZZNS1_29radix_sort_onesweep_iterationIS3_Lb0EPlS7_N6thrust23THRUST_200600_302600_NS10device_ptrIlEESB_jNS0_19identity_decomposerENS1_16block_id_wrapperIjLb1EEEEE10hipError_tT1_PNSt15iterator_traitsISG_E10value_typeET2_T3_PNSH_ISM_E10value_typeET4_T5_PSR_SS_PNS1_23onesweep_lookback_stateEbbT6_jjT7_P12ihipStream_tbENKUlT_T0_SG_SL_E_clIS7_S7_S7_SB_EEDaSZ_S10_SG_SL_EUlSZ_E_NS1_11comp_targetILNS1_3genE0ELNS1_11target_archE4294967295ELNS1_3gpuE0ELNS1_3repE0EEENS1_47radix_sort_onesweep_sort_config_static_selectorELNS0_4arch9wavefront6targetE1EEEvSG_,@function
_ZN7rocprim17ROCPRIM_400000_NS6detail17trampoline_kernelINS0_14default_configENS1_35radix_sort_onesweep_config_selectorIllEEZZNS1_29radix_sort_onesweep_iterationIS3_Lb0EPlS7_N6thrust23THRUST_200600_302600_NS10device_ptrIlEESB_jNS0_19identity_decomposerENS1_16block_id_wrapperIjLb1EEEEE10hipError_tT1_PNSt15iterator_traitsISG_E10value_typeET2_T3_PNSH_ISM_E10value_typeET4_T5_PSR_SS_PNS1_23onesweep_lookback_stateEbbT6_jjT7_P12ihipStream_tbENKUlT_T0_SG_SL_E_clIS7_S7_S7_SB_EEDaSZ_S10_SG_SL_EUlSZ_E_NS1_11comp_targetILNS1_3genE0ELNS1_11target_archE4294967295ELNS1_3gpuE0ELNS1_3repE0EEENS1_47radix_sort_onesweep_sort_config_static_selectorELNS0_4arch9wavefront6targetE1EEEvSG_: ; @_ZN7rocprim17ROCPRIM_400000_NS6detail17trampoline_kernelINS0_14default_configENS1_35radix_sort_onesweep_config_selectorIllEEZZNS1_29radix_sort_onesweep_iterationIS3_Lb0EPlS7_N6thrust23THRUST_200600_302600_NS10device_ptrIlEESB_jNS0_19identity_decomposerENS1_16block_id_wrapperIjLb1EEEEE10hipError_tT1_PNSt15iterator_traitsISG_E10value_typeET2_T3_PNSH_ISM_E10value_typeET4_T5_PSR_SS_PNS1_23onesweep_lookback_stateEbbT6_jjT7_P12ihipStream_tbENKUlT_T0_SG_SL_E_clIS7_S7_S7_SB_EEDaSZ_S10_SG_SL_EUlSZ_E_NS1_11comp_targetILNS1_3genE0ELNS1_11target_archE4294967295ELNS1_3gpuE0ELNS1_3repE0EEENS1_47radix_sort_onesweep_sort_config_static_selectorELNS0_4arch9wavefront6targetE1EEEvSG_
; %bb.0:
	.section	.rodata,"a",@progbits
	.p2align	6, 0x0
	.amdhsa_kernel _ZN7rocprim17ROCPRIM_400000_NS6detail17trampoline_kernelINS0_14default_configENS1_35radix_sort_onesweep_config_selectorIllEEZZNS1_29radix_sort_onesweep_iterationIS3_Lb0EPlS7_N6thrust23THRUST_200600_302600_NS10device_ptrIlEESB_jNS0_19identity_decomposerENS1_16block_id_wrapperIjLb1EEEEE10hipError_tT1_PNSt15iterator_traitsISG_E10value_typeET2_T3_PNSH_ISM_E10value_typeET4_T5_PSR_SS_PNS1_23onesweep_lookback_stateEbbT6_jjT7_P12ihipStream_tbENKUlT_T0_SG_SL_E_clIS7_S7_S7_SB_EEDaSZ_S10_SG_SL_EUlSZ_E_NS1_11comp_targetILNS1_3genE0ELNS1_11target_archE4294967295ELNS1_3gpuE0ELNS1_3repE0EEENS1_47radix_sort_onesweep_sort_config_static_selectorELNS0_4arch9wavefront6targetE1EEEvSG_
		.amdhsa_group_segment_fixed_size 0
		.amdhsa_private_segment_fixed_size 0
		.amdhsa_kernarg_size 88
		.amdhsa_user_sgpr_count 6
		.amdhsa_user_sgpr_private_segment_buffer 1
		.amdhsa_user_sgpr_dispatch_ptr 0
		.amdhsa_user_sgpr_queue_ptr 0
		.amdhsa_user_sgpr_kernarg_segment_ptr 1
		.amdhsa_user_sgpr_dispatch_id 0
		.amdhsa_user_sgpr_flat_scratch_init 0
		.amdhsa_user_sgpr_private_segment_size 0
		.amdhsa_uses_dynamic_stack 0
		.amdhsa_system_sgpr_private_segment_wavefront_offset 0
		.amdhsa_system_sgpr_workgroup_id_x 1
		.amdhsa_system_sgpr_workgroup_id_y 0
		.amdhsa_system_sgpr_workgroup_id_z 0
		.amdhsa_system_sgpr_workgroup_info 0
		.amdhsa_system_vgpr_workitem_id 0
		.amdhsa_next_free_vgpr 1
		.amdhsa_next_free_sgpr 0
		.amdhsa_reserve_vcc 0
		.amdhsa_reserve_flat_scratch 0
		.amdhsa_float_round_mode_32 0
		.amdhsa_float_round_mode_16_64 0
		.amdhsa_float_denorm_mode_32 3
		.amdhsa_float_denorm_mode_16_64 3
		.amdhsa_dx10_clamp 1
		.amdhsa_ieee_mode 1
		.amdhsa_fp16_overflow 0
		.amdhsa_exception_fp_ieee_invalid_op 0
		.amdhsa_exception_fp_denorm_src 0
		.amdhsa_exception_fp_ieee_div_zero 0
		.amdhsa_exception_fp_ieee_overflow 0
		.amdhsa_exception_fp_ieee_underflow 0
		.amdhsa_exception_fp_ieee_inexact 0
		.amdhsa_exception_int_div_zero 0
	.end_amdhsa_kernel
	.section	.text._ZN7rocprim17ROCPRIM_400000_NS6detail17trampoline_kernelINS0_14default_configENS1_35radix_sort_onesweep_config_selectorIllEEZZNS1_29radix_sort_onesweep_iterationIS3_Lb0EPlS7_N6thrust23THRUST_200600_302600_NS10device_ptrIlEESB_jNS0_19identity_decomposerENS1_16block_id_wrapperIjLb1EEEEE10hipError_tT1_PNSt15iterator_traitsISG_E10value_typeET2_T3_PNSH_ISM_E10value_typeET4_T5_PSR_SS_PNS1_23onesweep_lookback_stateEbbT6_jjT7_P12ihipStream_tbENKUlT_T0_SG_SL_E_clIS7_S7_S7_SB_EEDaSZ_S10_SG_SL_EUlSZ_E_NS1_11comp_targetILNS1_3genE0ELNS1_11target_archE4294967295ELNS1_3gpuE0ELNS1_3repE0EEENS1_47radix_sort_onesweep_sort_config_static_selectorELNS0_4arch9wavefront6targetE1EEEvSG_,"axG",@progbits,_ZN7rocprim17ROCPRIM_400000_NS6detail17trampoline_kernelINS0_14default_configENS1_35radix_sort_onesweep_config_selectorIllEEZZNS1_29radix_sort_onesweep_iterationIS3_Lb0EPlS7_N6thrust23THRUST_200600_302600_NS10device_ptrIlEESB_jNS0_19identity_decomposerENS1_16block_id_wrapperIjLb1EEEEE10hipError_tT1_PNSt15iterator_traitsISG_E10value_typeET2_T3_PNSH_ISM_E10value_typeET4_T5_PSR_SS_PNS1_23onesweep_lookback_stateEbbT6_jjT7_P12ihipStream_tbENKUlT_T0_SG_SL_E_clIS7_S7_S7_SB_EEDaSZ_S10_SG_SL_EUlSZ_E_NS1_11comp_targetILNS1_3genE0ELNS1_11target_archE4294967295ELNS1_3gpuE0ELNS1_3repE0EEENS1_47radix_sort_onesweep_sort_config_static_selectorELNS0_4arch9wavefront6targetE1EEEvSG_,comdat
.Lfunc_end1150:
	.size	_ZN7rocprim17ROCPRIM_400000_NS6detail17trampoline_kernelINS0_14default_configENS1_35radix_sort_onesweep_config_selectorIllEEZZNS1_29radix_sort_onesweep_iterationIS3_Lb0EPlS7_N6thrust23THRUST_200600_302600_NS10device_ptrIlEESB_jNS0_19identity_decomposerENS1_16block_id_wrapperIjLb1EEEEE10hipError_tT1_PNSt15iterator_traitsISG_E10value_typeET2_T3_PNSH_ISM_E10value_typeET4_T5_PSR_SS_PNS1_23onesweep_lookback_stateEbbT6_jjT7_P12ihipStream_tbENKUlT_T0_SG_SL_E_clIS7_S7_S7_SB_EEDaSZ_S10_SG_SL_EUlSZ_E_NS1_11comp_targetILNS1_3genE0ELNS1_11target_archE4294967295ELNS1_3gpuE0ELNS1_3repE0EEENS1_47radix_sort_onesweep_sort_config_static_selectorELNS0_4arch9wavefront6targetE1EEEvSG_, .Lfunc_end1150-_ZN7rocprim17ROCPRIM_400000_NS6detail17trampoline_kernelINS0_14default_configENS1_35radix_sort_onesweep_config_selectorIllEEZZNS1_29radix_sort_onesweep_iterationIS3_Lb0EPlS7_N6thrust23THRUST_200600_302600_NS10device_ptrIlEESB_jNS0_19identity_decomposerENS1_16block_id_wrapperIjLb1EEEEE10hipError_tT1_PNSt15iterator_traitsISG_E10value_typeET2_T3_PNSH_ISM_E10value_typeET4_T5_PSR_SS_PNS1_23onesweep_lookback_stateEbbT6_jjT7_P12ihipStream_tbENKUlT_T0_SG_SL_E_clIS7_S7_S7_SB_EEDaSZ_S10_SG_SL_EUlSZ_E_NS1_11comp_targetILNS1_3genE0ELNS1_11target_archE4294967295ELNS1_3gpuE0ELNS1_3repE0EEENS1_47radix_sort_onesweep_sort_config_static_selectorELNS0_4arch9wavefront6targetE1EEEvSG_
                                        ; -- End function
	.set _ZN7rocprim17ROCPRIM_400000_NS6detail17trampoline_kernelINS0_14default_configENS1_35radix_sort_onesweep_config_selectorIllEEZZNS1_29radix_sort_onesweep_iterationIS3_Lb0EPlS7_N6thrust23THRUST_200600_302600_NS10device_ptrIlEESB_jNS0_19identity_decomposerENS1_16block_id_wrapperIjLb1EEEEE10hipError_tT1_PNSt15iterator_traitsISG_E10value_typeET2_T3_PNSH_ISM_E10value_typeET4_T5_PSR_SS_PNS1_23onesweep_lookback_stateEbbT6_jjT7_P12ihipStream_tbENKUlT_T0_SG_SL_E_clIS7_S7_S7_SB_EEDaSZ_S10_SG_SL_EUlSZ_E_NS1_11comp_targetILNS1_3genE0ELNS1_11target_archE4294967295ELNS1_3gpuE0ELNS1_3repE0EEENS1_47radix_sort_onesweep_sort_config_static_selectorELNS0_4arch9wavefront6targetE1EEEvSG_.num_vgpr, 0
	.set _ZN7rocprim17ROCPRIM_400000_NS6detail17trampoline_kernelINS0_14default_configENS1_35radix_sort_onesweep_config_selectorIllEEZZNS1_29radix_sort_onesweep_iterationIS3_Lb0EPlS7_N6thrust23THRUST_200600_302600_NS10device_ptrIlEESB_jNS0_19identity_decomposerENS1_16block_id_wrapperIjLb1EEEEE10hipError_tT1_PNSt15iterator_traitsISG_E10value_typeET2_T3_PNSH_ISM_E10value_typeET4_T5_PSR_SS_PNS1_23onesweep_lookback_stateEbbT6_jjT7_P12ihipStream_tbENKUlT_T0_SG_SL_E_clIS7_S7_S7_SB_EEDaSZ_S10_SG_SL_EUlSZ_E_NS1_11comp_targetILNS1_3genE0ELNS1_11target_archE4294967295ELNS1_3gpuE0ELNS1_3repE0EEENS1_47radix_sort_onesweep_sort_config_static_selectorELNS0_4arch9wavefront6targetE1EEEvSG_.num_agpr, 0
	.set _ZN7rocprim17ROCPRIM_400000_NS6detail17trampoline_kernelINS0_14default_configENS1_35radix_sort_onesweep_config_selectorIllEEZZNS1_29radix_sort_onesweep_iterationIS3_Lb0EPlS7_N6thrust23THRUST_200600_302600_NS10device_ptrIlEESB_jNS0_19identity_decomposerENS1_16block_id_wrapperIjLb1EEEEE10hipError_tT1_PNSt15iterator_traitsISG_E10value_typeET2_T3_PNSH_ISM_E10value_typeET4_T5_PSR_SS_PNS1_23onesweep_lookback_stateEbbT6_jjT7_P12ihipStream_tbENKUlT_T0_SG_SL_E_clIS7_S7_S7_SB_EEDaSZ_S10_SG_SL_EUlSZ_E_NS1_11comp_targetILNS1_3genE0ELNS1_11target_archE4294967295ELNS1_3gpuE0ELNS1_3repE0EEENS1_47radix_sort_onesweep_sort_config_static_selectorELNS0_4arch9wavefront6targetE1EEEvSG_.numbered_sgpr, 0
	.set _ZN7rocprim17ROCPRIM_400000_NS6detail17trampoline_kernelINS0_14default_configENS1_35radix_sort_onesweep_config_selectorIllEEZZNS1_29radix_sort_onesweep_iterationIS3_Lb0EPlS7_N6thrust23THRUST_200600_302600_NS10device_ptrIlEESB_jNS0_19identity_decomposerENS1_16block_id_wrapperIjLb1EEEEE10hipError_tT1_PNSt15iterator_traitsISG_E10value_typeET2_T3_PNSH_ISM_E10value_typeET4_T5_PSR_SS_PNS1_23onesweep_lookback_stateEbbT6_jjT7_P12ihipStream_tbENKUlT_T0_SG_SL_E_clIS7_S7_S7_SB_EEDaSZ_S10_SG_SL_EUlSZ_E_NS1_11comp_targetILNS1_3genE0ELNS1_11target_archE4294967295ELNS1_3gpuE0ELNS1_3repE0EEENS1_47radix_sort_onesweep_sort_config_static_selectorELNS0_4arch9wavefront6targetE1EEEvSG_.num_named_barrier, 0
	.set _ZN7rocprim17ROCPRIM_400000_NS6detail17trampoline_kernelINS0_14default_configENS1_35radix_sort_onesweep_config_selectorIllEEZZNS1_29radix_sort_onesweep_iterationIS3_Lb0EPlS7_N6thrust23THRUST_200600_302600_NS10device_ptrIlEESB_jNS0_19identity_decomposerENS1_16block_id_wrapperIjLb1EEEEE10hipError_tT1_PNSt15iterator_traitsISG_E10value_typeET2_T3_PNSH_ISM_E10value_typeET4_T5_PSR_SS_PNS1_23onesweep_lookback_stateEbbT6_jjT7_P12ihipStream_tbENKUlT_T0_SG_SL_E_clIS7_S7_S7_SB_EEDaSZ_S10_SG_SL_EUlSZ_E_NS1_11comp_targetILNS1_3genE0ELNS1_11target_archE4294967295ELNS1_3gpuE0ELNS1_3repE0EEENS1_47radix_sort_onesweep_sort_config_static_selectorELNS0_4arch9wavefront6targetE1EEEvSG_.private_seg_size, 0
	.set _ZN7rocprim17ROCPRIM_400000_NS6detail17trampoline_kernelINS0_14default_configENS1_35radix_sort_onesweep_config_selectorIllEEZZNS1_29radix_sort_onesweep_iterationIS3_Lb0EPlS7_N6thrust23THRUST_200600_302600_NS10device_ptrIlEESB_jNS0_19identity_decomposerENS1_16block_id_wrapperIjLb1EEEEE10hipError_tT1_PNSt15iterator_traitsISG_E10value_typeET2_T3_PNSH_ISM_E10value_typeET4_T5_PSR_SS_PNS1_23onesweep_lookback_stateEbbT6_jjT7_P12ihipStream_tbENKUlT_T0_SG_SL_E_clIS7_S7_S7_SB_EEDaSZ_S10_SG_SL_EUlSZ_E_NS1_11comp_targetILNS1_3genE0ELNS1_11target_archE4294967295ELNS1_3gpuE0ELNS1_3repE0EEENS1_47radix_sort_onesweep_sort_config_static_selectorELNS0_4arch9wavefront6targetE1EEEvSG_.uses_vcc, 0
	.set _ZN7rocprim17ROCPRIM_400000_NS6detail17trampoline_kernelINS0_14default_configENS1_35radix_sort_onesweep_config_selectorIllEEZZNS1_29radix_sort_onesweep_iterationIS3_Lb0EPlS7_N6thrust23THRUST_200600_302600_NS10device_ptrIlEESB_jNS0_19identity_decomposerENS1_16block_id_wrapperIjLb1EEEEE10hipError_tT1_PNSt15iterator_traitsISG_E10value_typeET2_T3_PNSH_ISM_E10value_typeET4_T5_PSR_SS_PNS1_23onesweep_lookback_stateEbbT6_jjT7_P12ihipStream_tbENKUlT_T0_SG_SL_E_clIS7_S7_S7_SB_EEDaSZ_S10_SG_SL_EUlSZ_E_NS1_11comp_targetILNS1_3genE0ELNS1_11target_archE4294967295ELNS1_3gpuE0ELNS1_3repE0EEENS1_47radix_sort_onesweep_sort_config_static_selectorELNS0_4arch9wavefront6targetE1EEEvSG_.uses_flat_scratch, 0
	.set _ZN7rocprim17ROCPRIM_400000_NS6detail17trampoline_kernelINS0_14default_configENS1_35radix_sort_onesweep_config_selectorIllEEZZNS1_29radix_sort_onesweep_iterationIS3_Lb0EPlS7_N6thrust23THRUST_200600_302600_NS10device_ptrIlEESB_jNS0_19identity_decomposerENS1_16block_id_wrapperIjLb1EEEEE10hipError_tT1_PNSt15iterator_traitsISG_E10value_typeET2_T3_PNSH_ISM_E10value_typeET4_T5_PSR_SS_PNS1_23onesweep_lookback_stateEbbT6_jjT7_P12ihipStream_tbENKUlT_T0_SG_SL_E_clIS7_S7_S7_SB_EEDaSZ_S10_SG_SL_EUlSZ_E_NS1_11comp_targetILNS1_3genE0ELNS1_11target_archE4294967295ELNS1_3gpuE0ELNS1_3repE0EEENS1_47radix_sort_onesweep_sort_config_static_selectorELNS0_4arch9wavefront6targetE1EEEvSG_.has_dyn_sized_stack, 0
	.set _ZN7rocprim17ROCPRIM_400000_NS6detail17trampoline_kernelINS0_14default_configENS1_35radix_sort_onesweep_config_selectorIllEEZZNS1_29radix_sort_onesweep_iterationIS3_Lb0EPlS7_N6thrust23THRUST_200600_302600_NS10device_ptrIlEESB_jNS0_19identity_decomposerENS1_16block_id_wrapperIjLb1EEEEE10hipError_tT1_PNSt15iterator_traitsISG_E10value_typeET2_T3_PNSH_ISM_E10value_typeET4_T5_PSR_SS_PNS1_23onesweep_lookback_stateEbbT6_jjT7_P12ihipStream_tbENKUlT_T0_SG_SL_E_clIS7_S7_S7_SB_EEDaSZ_S10_SG_SL_EUlSZ_E_NS1_11comp_targetILNS1_3genE0ELNS1_11target_archE4294967295ELNS1_3gpuE0ELNS1_3repE0EEENS1_47radix_sort_onesweep_sort_config_static_selectorELNS0_4arch9wavefront6targetE1EEEvSG_.has_recursion, 0
	.set _ZN7rocprim17ROCPRIM_400000_NS6detail17trampoline_kernelINS0_14default_configENS1_35radix_sort_onesweep_config_selectorIllEEZZNS1_29radix_sort_onesweep_iterationIS3_Lb0EPlS7_N6thrust23THRUST_200600_302600_NS10device_ptrIlEESB_jNS0_19identity_decomposerENS1_16block_id_wrapperIjLb1EEEEE10hipError_tT1_PNSt15iterator_traitsISG_E10value_typeET2_T3_PNSH_ISM_E10value_typeET4_T5_PSR_SS_PNS1_23onesweep_lookback_stateEbbT6_jjT7_P12ihipStream_tbENKUlT_T0_SG_SL_E_clIS7_S7_S7_SB_EEDaSZ_S10_SG_SL_EUlSZ_E_NS1_11comp_targetILNS1_3genE0ELNS1_11target_archE4294967295ELNS1_3gpuE0ELNS1_3repE0EEENS1_47radix_sort_onesweep_sort_config_static_selectorELNS0_4arch9wavefront6targetE1EEEvSG_.has_indirect_call, 0
	.section	.AMDGPU.csdata,"",@progbits
; Kernel info:
; codeLenInByte = 0
; TotalNumSgprs: 4
; NumVgprs: 0
; ScratchSize: 0
; MemoryBound: 0
; FloatMode: 240
; IeeeMode: 1
; LDSByteSize: 0 bytes/workgroup (compile time only)
; SGPRBlocks: 0
; VGPRBlocks: 0
; NumSGPRsForWavesPerEU: 4
; NumVGPRsForWavesPerEU: 1
; Occupancy: 10
; WaveLimiterHint : 0
; COMPUTE_PGM_RSRC2:SCRATCH_EN: 0
; COMPUTE_PGM_RSRC2:USER_SGPR: 6
; COMPUTE_PGM_RSRC2:TRAP_HANDLER: 0
; COMPUTE_PGM_RSRC2:TGID_X_EN: 1
; COMPUTE_PGM_RSRC2:TGID_Y_EN: 0
; COMPUTE_PGM_RSRC2:TGID_Z_EN: 0
; COMPUTE_PGM_RSRC2:TIDIG_COMP_CNT: 0
	.section	.text._ZN7rocprim17ROCPRIM_400000_NS6detail17trampoline_kernelINS0_14default_configENS1_35radix_sort_onesweep_config_selectorIllEEZZNS1_29radix_sort_onesweep_iterationIS3_Lb0EPlS7_N6thrust23THRUST_200600_302600_NS10device_ptrIlEESB_jNS0_19identity_decomposerENS1_16block_id_wrapperIjLb1EEEEE10hipError_tT1_PNSt15iterator_traitsISG_E10value_typeET2_T3_PNSH_ISM_E10value_typeET4_T5_PSR_SS_PNS1_23onesweep_lookback_stateEbbT6_jjT7_P12ihipStream_tbENKUlT_T0_SG_SL_E_clIS7_S7_S7_SB_EEDaSZ_S10_SG_SL_EUlSZ_E_NS1_11comp_targetILNS1_3genE6ELNS1_11target_archE950ELNS1_3gpuE13ELNS1_3repE0EEENS1_47radix_sort_onesweep_sort_config_static_selectorELNS0_4arch9wavefront6targetE1EEEvSG_,"axG",@progbits,_ZN7rocprim17ROCPRIM_400000_NS6detail17trampoline_kernelINS0_14default_configENS1_35radix_sort_onesweep_config_selectorIllEEZZNS1_29radix_sort_onesweep_iterationIS3_Lb0EPlS7_N6thrust23THRUST_200600_302600_NS10device_ptrIlEESB_jNS0_19identity_decomposerENS1_16block_id_wrapperIjLb1EEEEE10hipError_tT1_PNSt15iterator_traitsISG_E10value_typeET2_T3_PNSH_ISM_E10value_typeET4_T5_PSR_SS_PNS1_23onesweep_lookback_stateEbbT6_jjT7_P12ihipStream_tbENKUlT_T0_SG_SL_E_clIS7_S7_S7_SB_EEDaSZ_S10_SG_SL_EUlSZ_E_NS1_11comp_targetILNS1_3genE6ELNS1_11target_archE950ELNS1_3gpuE13ELNS1_3repE0EEENS1_47radix_sort_onesweep_sort_config_static_selectorELNS0_4arch9wavefront6targetE1EEEvSG_,comdat
	.protected	_ZN7rocprim17ROCPRIM_400000_NS6detail17trampoline_kernelINS0_14default_configENS1_35radix_sort_onesweep_config_selectorIllEEZZNS1_29radix_sort_onesweep_iterationIS3_Lb0EPlS7_N6thrust23THRUST_200600_302600_NS10device_ptrIlEESB_jNS0_19identity_decomposerENS1_16block_id_wrapperIjLb1EEEEE10hipError_tT1_PNSt15iterator_traitsISG_E10value_typeET2_T3_PNSH_ISM_E10value_typeET4_T5_PSR_SS_PNS1_23onesweep_lookback_stateEbbT6_jjT7_P12ihipStream_tbENKUlT_T0_SG_SL_E_clIS7_S7_S7_SB_EEDaSZ_S10_SG_SL_EUlSZ_E_NS1_11comp_targetILNS1_3genE6ELNS1_11target_archE950ELNS1_3gpuE13ELNS1_3repE0EEENS1_47radix_sort_onesweep_sort_config_static_selectorELNS0_4arch9wavefront6targetE1EEEvSG_ ; -- Begin function _ZN7rocprim17ROCPRIM_400000_NS6detail17trampoline_kernelINS0_14default_configENS1_35radix_sort_onesweep_config_selectorIllEEZZNS1_29radix_sort_onesweep_iterationIS3_Lb0EPlS7_N6thrust23THRUST_200600_302600_NS10device_ptrIlEESB_jNS0_19identity_decomposerENS1_16block_id_wrapperIjLb1EEEEE10hipError_tT1_PNSt15iterator_traitsISG_E10value_typeET2_T3_PNSH_ISM_E10value_typeET4_T5_PSR_SS_PNS1_23onesweep_lookback_stateEbbT6_jjT7_P12ihipStream_tbENKUlT_T0_SG_SL_E_clIS7_S7_S7_SB_EEDaSZ_S10_SG_SL_EUlSZ_E_NS1_11comp_targetILNS1_3genE6ELNS1_11target_archE950ELNS1_3gpuE13ELNS1_3repE0EEENS1_47radix_sort_onesweep_sort_config_static_selectorELNS0_4arch9wavefront6targetE1EEEvSG_
	.globl	_ZN7rocprim17ROCPRIM_400000_NS6detail17trampoline_kernelINS0_14default_configENS1_35radix_sort_onesweep_config_selectorIllEEZZNS1_29radix_sort_onesweep_iterationIS3_Lb0EPlS7_N6thrust23THRUST_200600_302600_NS10device_ptrIlEESB_jNS0_19identity_decomposerENS1_16block_id_wrapperIjLb1EEEEE10hipError_tT1_PNSt15iterator_traitsISG_E10value_typeET2_T3_PNSH_ISM_E10value_typeET4_T5_PSR_SS_PNS1_23onesweep_lookback_stateEbbT6_jjT7_P12ihipStream_tbENKUlT_T0_SG_SL_E_clIS7_S7_S7_SB_EEDaSZ_S10_SG_SL_EUlSZ_E_NS1_11comp_targetILNS1_3genE6ELNS1_11target_archE950ELNS1_3gpuE13ELNS1_3repE0EEENS1_47radix_sort_onesweep_sort_config_static_selectorELNS0_4arch9wavefront6targetE1EEEvSG_
	.p2align	8
	.type	_ZN7rocprim17ROCPRIM_400000_NS6detail17trampoline_kernelINS0_14default_configENS1_35radix_sort_onesweep_config_selectorIllEEZZNS1_29radix_sort_onesweep_iterationIS3_Lb0EPlS7_N6thrust23THRUST_200600_302600_NS10device_ptrIlEESB_jNS0_19identity_decomposerENS1_16block_id_wrapperIjLb1EEEEE10hipError_tT1_PNSt15iterator_traitsISG_E10value_typeET2_T3_PNSH_ISM_E10value_typeET4_T5_PSR_SS_PNS1_23onesweep_lookback_stateEbbT6_jjT7_P12ihipStream_tbENKUlT_T0_SG_SL_E_clIS7_S7_S7_SB_EEDaSZ_S10_SG_SL_EUlSZ_E_NS1_11comp_targetILNS1_3genE6ELNS1_11target_archE950ELNS1_3gpuE13ELNS1_3repE0EEENS1_47radix_sort_onesweep_sort_config_static_selectorELNS0_4arch9wavefront6targetE1EEEvSG_,@function
_ZN7rocprim17ROCPRIM_400000_NS6detail17trampoline_kernelINS0_14default_configENS1_35radix_sort_onesweep_config_selectorIllEEZZNS1_29radix_sort_onesweep_iterationIS3_Lb0EPlS7_N6thrust23THRUST_200600_302600_NS10device_ptrIlEESB_jNS0_19identity_decomposerENS1_16block_id_wrapperIjLb1EEEEE10hipError_tT1_PNSt15iterator_traitsISG_E10value_typeET2_T3_PNSH_ISM_E10value_typeET4_T5_PSR_SS_PNS1_23onesweep_lookback_stateEbbT6_jjT7_P12ihipStream_tbENKUlT_T0_SG_SL_E_clIS7_S7_S7_SB_EEDaSZ_S10_SG_SL_EUlSZ_E_NS1_11comp_targetILNS1_3genE6ELNS1_11target_archE950ELNS1_3gpuE13ELNS1_3repE0EEENS1_47radix_sort_onesweep_sort_config_static_selectorELNS0_4arch9wavefront6targetE1EEEvSG_: ; @_ZN7rocprim17ROCPRIM_400000_NS6detail17trampoline_kernelINS0_14default_configENS1_35radix_sort_onesweep_config_selectorIllEEZZNS1_29radix_sort_onesweep_iterationIS3_Lb0EPlS7_N6thrust23THRUST_200600_302600_NS10device_ptrIlEESB_jNS0_19identity_decomposerENS1_16block_id_wrapperIjLb1EEEEE10hipError_tT1_PNSt15iterator_traitsISG_E10value_typeET2_T3_PNSH_ISM_E10value_typeET4_T5_PSR_SS_PNS1_23onesweep_lookback_stateEbbT6_jjT7_P12ihipStream_tbENKUlT_T0_SG_SL_E_clIS7_S7_S7_SB_EEDaSZ_S10_SG_SL_EUlSZ_E_NS1_11comp_targetILNS1_3genE6ELNS1_11target_archE950ELNS1_3gpuE13ELNS1_3repE0EEENS1_47radix_sort_onesweep_sort_config_static_selectorELNS0_4arch9wavefront6targetE1EEEvSG_
; %bb.0:
	.section	.rodata,"a",@progbits
	.p2align	6, 0x0
	.amdhsa_kernel _ZN7rocprim17ROCPRIM_400000_NS6detail17trampoline_kernelINS0_14default_configENS1_35radix_sort_onesweep_config_selectorIllEEZZNS1_29radix_sort_onesweep_iterationIS3_Lb0EPlS7_N6thrust23THRUST_200600_302600_NS10device_ptrIlEESB_jNS0_19identity_decomposerENS1_16block_id_wrapperIjLb1EEEEE10hipError_tT1_PNSt15iterator_traitsISG_E10value_typeET2_T3_PNSH_ISM_E10value_typeET4_T5_PSR_SS_PNS1_23onesweep_lookback_stateEbbT6_jjT7_P12ihipStream_tbENKUlT_T0_SG_SL_E_clIS7_S7_S7_SB_EEDaSZ_S10_SG_SL_EUlSZ_E_NS1_11comp_targetILNS1_3genE6ELNS1_11target_archE950ELNS1_3gpuE13ELNS1_3repE0EEENS1_47radix_sort_onesweep_sort_config_static_selectorELNS0_4arch9wavefront6targetE1EEEvSG_
		.amdhsa_group_segment_fixed_size 0
		.amdhsa_private_segment_fixed_size 0
		.amdhsa_kernarg_size 88
		.amdhsa_user_sgpr_count 6
		.amdhsa_user_sgpr_private_segment_buffer 1
		.amdhsa_user_sgpr_dispatch_ptr 0
		.amdhsa_user_sgpr_queue_ptr 0
		.amdhsa_user_sgpr_kernarg_segment_ptr 1
		.amdhsa_user_sgpr_dispatch_id 0
		.amdhsa_user_sgpr_flat_scratch_init 0
		.amdhsa_user_sgpr_private_segment_size 0
		.amdhsa_uses_dynamic_stack 0
		.amdhsa_system_sgpr_private_segment_wavefront_offset 0
		.amdhsa_system_sgpr_workgroup_id_x 1
		.amdhsa_system_sgpr_workgroup_id_y 0
		.amdhsa_system_sgpr_workgroup_id_z 0
		.amdhsa_system_sgpr_workgroup_info 0
		.amdhsa_system_vgpr_workitem_id 0
		.amdhsa_next_free_vgpr 1
		.amdhsa_next_free_sgpr 0
		.amdhsa_reserve_vcc 0
		.amdhsa_reserve_flat_scratch 0
		.amdhsa_float_round_mode_32 0
		.amdhsa_float_round_mode_16_64 0
		.amdhsa_float_denorm_mode_32 3
		.amdhsa_float_denorm_mode_16_64 3
		.amdhsa_dx10_clamp 1
		.amdhsa_ieee_mode 1
		.amdhsa_fp16_overflow 0
		.amdhsa_exception_fp_ieee_invalid_op 0
		.amdhsa_exception_fp_denorm_src 0
		.amdhsa_exception_fp_ieee_div_zero 0
		.amdhsa_exception_fp_ieee_overflow 0
		.amdhsa_exception_fp_ieee_underflow 0
		.amdhsa_exception_fp_ieee_inexact 0
		.amdhsa_exception_int_div_zero 0
	.end_amdhsa_kernel
	.section	.text._ZN7rocprim17ROCPRIM_400000_NS6detail17trampoline_kernelINS0_14default_configENS1_35radix_sort_onesweep_config_selectorIllEEZZNS1_29radix_sort_onesweep_iterationIS3_Lb0EPlS7_N6thrust23THRUST_200600_302600_NS10device_ptrIlEESB_jNS0_19identity_decomposerENS1_16block_id_wrapperIjLb1EEEEE10hipError_tT1_PNSt15iterator_traitsISG_E10value_typeET2_T3_PNSH_ISM_E10value_typeET4_T5_PSR_SS_PNS1_23onesweep_lookback_stateEbbT6_jjT7_P12ihipStream_tbENKUlT_T0_SG_SL_E_clIS7_S7_S7_SB_EEDaSZ_S10_SG_SL_EUlSZ_E_NS1_11comp_targetILNS1_3genE6ELNS1_11target_archE950ELNS1_3gpuE13ELNS1_3repE0EEENS1_47radix_sort_onesweep_sort_config_static_selectorELNS0_4arch9wavefront6targetE1EEEvSG_,"axG",@progbits,_ZN7rocprim17ROCPRIM_400000_NS6detail17trampoline_kernelINS0_14default_configENS1_35radix_sort_onesweep_config_selectorIllEEZZNS1_29radix_sort_onesweep_iterationIS3_Lb0EPlS7_N6thrust23THRUST_200600_302600_NS10device_ptrIlEESB_jNS0_19identity_decomposerENS1_16block_id_wrapperIjLb1EEEEE10hipError_tT1_PNSt15iterator_traitsISG_E10value_typeET2_T3_PNSH_ISM_E10value_typeET4_T5_PSR_SS_PNS1_23onesweep_lookback_stateEbbT6_jjT7_P12ihipStream_tbENKUlT_T0_SG_SL_E_clIS7_S7_S7_SB_EEDaSZ_S10_SG_SL_EUlSZ_E_NS1_11comp_targetILNS1_3genE6ELNS1_11target_archE950ELNS1_3gpuE13ELNS1_3repE0EEENS1_47radix_sort_onesweep_sort_config_static_selectorELNS0_4arch9wavefront6targetE1EEEvSG_,comdat
.Lfunc_end1151:
	.size	_ZN7rocprim17ROCPRIM_400000_NS6detail17trampoline_kernelINS0_14default_configENS1_35radix_sort_onesweep_config_selectorIllEEZZNS1_29radix_sort_onesweep_iterationIS3_Lb0EPlS7_N6thrust23THRUST_200600_302600_NS10device_ptrIlEESB_jNS0_19identity_decomposerENS1_16block_id_wrapperIjLb1EEEEE10hipError_tT1_PNSt15iterator_traitsISG_E10value_typeET2_T3_PNSH_ISM_E10value_typeET4_T5_PSR_SS_PNS1_23onesweep_lookback_stateEbbT6_jjT7_P12ihipStream_tbENKUlT_T0_SG_SL_E_clIS7_S7_S7_SB_EEDaSZ_S10_SG_SL_EUlSZ_E_NS1_11comp_targetILNS1_3genE6ELNS1_11target_archE950ELNS1_3gpuE13ELNS1_3repE0EEENS1_47radix_sort_onesweep_sort_config_static_selectorELNS0_4arch9wavefront6targetE1EEEvSG_, .Lfunc_end1151-_ZN7rocprim17ROCPRIM_400000_NS6detail17trampoline_kernelINS0_14default_configENS1_35radix_sort_onesweep_config_selectorIllEEZZNS1_29radix_sort_onesweep_iterationIS3_Lb0EPlS7_N6thrust23THRUST_200600_302600_NS10device_ptrIlEESB_jNS0_19identity_decomposerENS1_16block_id_wrapperIjLb1EEEEE10hipError_tT1_PNSt15iterator_traitsISG_E10value_typeET2_T3_PNSH_ISM_E10value_typeET4_T5_PSR_SS_PNS1_23onesweep_lookback_stateEbbT6_jjT7_P12ihipStream_tbENKUlT_T0_SG_SL_E_clIS7_S7_S7_SB_EEDaSZ_S10_SG_SL_EUlSZ_E_NS1_11comp_targetILNS1_3genE6ELNS1_11target_archE950ELNS1_3gpuE13ELNS1_3repE0EEENS1_47radix_sort_onesweep_sort_config_static_selectorELNS0_4arch9wavefront6targetE1EEEvSG_
                                        ; -- End function
	.set _ZN7rocprim17ROCPRIM_400000_NS6detail17trampoline_kernelINS0_14default_configENS1_35radix_sort_onesweep_config_selectorIllEEZZNS1_29radix_sort_onesweep_iterationIS3_Lb0EPlS7_N6thrust23THRUST_200600_302600_NS10device_ptrIlEESB_jNS0_19identity_decomposerENS1_16block_id_wrapperIjLb1EEEEE10hipError_tT1_PNSt15iterator_traitsISG_E10value_typeET2_T3_PNSH_ISM_E10value_typeET4_T5_PSR_SS_PNS1_23onesweep_lookback_stateEbbT6_jjT7_P12ihipStream_tbENKUlT_T0_SG_SL_E_clIS7_S7_S7_SB_EEDaSZ_S10_SG_SL_EUlSZ_E_NS1_11comp_targetILNS1_3genE6ELNS1_11target_archE950ELNS1_3gpuE13ELNS1_3repE0EEENS1_47radix_sort_onesweep_sort_config_static_selectorELNS0_4arch9wavefront6targetE1EEEvSG_.num_vgpr, 0
	.set _ZN7rocprim17ROCPRIM_400000_NS6detail17trampoline_kernelINS0_14default_configENS1_35radix_sort_onesweep_config_selectorIllEEZZNS1_29radix_sort_onesweep_iterationIS3_Lb0EPlS7_N6thrust23THRUST_200600_302600_NS10device_ptrIlEESB_jNS0_19identity_decomposerENS1_16block_id_wrapperIjLb1EEEEE10hipError_tT1_PNSt15iterator_traitsISG_E10value_typeET2_T3_PNSH_ISM_E10value_typeET4_T5_PSR_SS_PNS1_23onesweep_lookback_stateEbbT6_jjT7_P12ihipStream_tbENKUlT_T0_SG_SL_E_clIS7_S7_S7_SB_EEDaSZ_S10_SG_SL_EUlSZ_E_NS1_11comp_targetILNS1_3genE6ELNS1_11target_archE950ELNS1_3gpuE13ELNS1_3repE0EEENS1_47radix_sort_onesweep_sort_config_static_selectorELNS0_4arch9wavefront6targetE1EEEvSG_.num_agpr, 0
	.set _ZN7rocprim17ROCPRIM_400000_NS6detail17trampoline_kernelINS0_14default_configENS1_35radix_sort_onesweep_config_selectorIllEEZZNS1_29radix_sort_onesweep_iterationIS3_Lb0EPlS7_N6thrust23THRUST_200600_302600_NS10device_ptrIlEESB_jNS0_19identity_decomposerENS1_16block_id_wrapperIjLb1EEEEE10hipError_tT1_PNSt15iterator_traitsISG_E10value_typeET2_T3_PNSH_ISM_E10value_typeET4_T5_PSR_SS_PNS1_23onesweep_lookback_stateEbbT6_jjT7_P12ihipStream_tbENKUlT_T0_SG_SL_E_clIS7_S7_S7_SB_EEDaSZ_S10_SG_SL_EUlSZ_E_NS1_11comp_targetILNS1_3genE6ELNS1_11target_archE950ELNS1_3gpuE13ELNS1_3repE0EEENS1_47radix_sort_onesweep_sort_config_static_selectorELNS0_4arch9wavefront6targetE1EEEvSG_.numbered_sgpr, 0
	.set _ZN7rocprim17ROCPRIM_400000_NS6detail17trampoline_kernelINS0_14default_configENS1_35radix_sort_onesweep_config_selectorIllEEZZNS1_29radix_sort_onesweep_iterationIS3_Lb0EPlS7_N6thrust23THRUST_200600_302600_NS10device_ptrIlEESB_jNS0_19identity_decomposerENS1_16block_id_wrapperIjLb1EEEEE10hipError_tT1_PNSt15iterator_traitsISG_E10value_typeET2_T3_PNSH_ISM_E10value_typeET4_T5_PSR_SS_PNS1_23onesweep_lookback_stateEbbT6_jjT7_P12ihipStream_tbENKUlT_T0_SG_SL_E_clIS7_S7_S7_SB_EEDaSZ_S10_SG_SL_EUlSZ_E_NS1_11comp_targetILNS1_3genE6ELNS1_11target_archE950ELNS1_3gpuE13ELNS1_3repE0EEENS1_47radix_sort_onesweep_sort_config_static_selectorELNS0_4arch9wavefront6targetE1EEEvSG_.num_named_barrier, 0
	.set _ZN7rocprim17ROCPRIM_400000_NS6detail17trampoline_kernelINS0_14default_configENS1_35radix_sort_onesweep_config_selectorIllEEZZNS1_29radix_sort_onesweep_iterationIS3_Lb0EPlS7_N6thrust23THRUST_200600_302600_NS10device_ptrIlEESB_jNS0_19identity_decomposerENS1_16block_id_wrapperIjLb1EEEEE10hipError_tT1_PNSt15iterator_traitsISG_E10value_typeET2_T3_PNSH_ISM_E10value_typeET4_T5_PSR_SS_PNS1_23onesweep_lookback_stateEbbT6_jjT7_P12ihipStream_tbENKUlT_T0_SG_SL_E_clIS7_S7_S7_SB_EEDaSZ_S10_SG_SL_EUlSZ_E_NS1_11comp_targetILNS1_3genE6ELNS1_11target_archE950ELNS1_3gpuE13ELNS1_3repE0EEENS1_47radix_sort_onesweep_sort_config_static_selectorELNS0_4arch9wavefront6targetE1EEEvSG_.private_seg_size, 0
	.set _ZN7rocprim17ROCPRIM_400000_NS6detail17trampoline_kernelINS0_14default_configENS1_35radix_sort_onesweep_config_selectorIllEEZZNS1_29radix_sort_onesweep_iterationIS3_Lb0EPlS7_N6thrust23THRUST_200600_302600_NS10device_ptrIlEESB_jNS0_19identity_decomposerENS1_16block_id_wrapperIjLb1EEEEE10hipError_tT1_PNSt15iterator_traitsISG_E10value_typeET2_T3_PNSH_ISM_E10value_typeET4_T5_PSR_SS_PNS1_23onesweep_lookback_stateEbbT6_jjT7_P12ihipStream_tbENKUlT_T0_SG_SL_E_clIS7_S7_S7_SB_EEDaSZ_S10_SG_SL_EUlSZ_E_NS1_11comp_targetILNS1_3genE6ELNS1_11target_archE950ELNS1_3gpuE13ELNS1_3repE0EEENS1_47radix_sort_onesweep_sort_config_static_selectorELNS0_4arch9wavefront6targetE1EEEvSG_.uses_vcc, 0
	.set _ZN7rocprim17ROCPRIM_400000_NS6detail17trampoline_kernelINS0_14default_configENS1_35radix_sort_onesweep_config_selectorIllEEZZNS1_29radix_sort_onesweep_iterationIS3_Lb0EPlS7_N6thrust23THRUST_200600_302600_NS10device_ptrIlEESB_jNS0_19identity_decomposerENS1_16block_id_wrapperIjLb1EEEEE10hipError_tT1_PNSt15iterator_traitsISG_E10value_typeET2_T3_PNSH_ISM_E10value_typeET4_T5_PSR_SS_PNS1_23onesweep_lookback_stateEbbT6_jjT7_P12ihipStream_tbENKUlT_T0_SG_SL_E_clIS7_S7_S7_SB_EEDaSZ_S10_SG_SL_EUlSZ_E_NS1_11comp_targetILNS1_3genE6ELNS1_11target_archE950ELNS1_3gpuE13ELNS1_3repE0EEENS1_47radix_sort_onesweep_sort_config_static_selectorELNS0_4arch9wavefront6targetE1EEEvSG_.uses_flat_scratch, 0
	.set _ZN7rocprim17ROCPRIM_400000_NS6detail17trampoline_kernelINS0_14default_configENS1_35radix_sort_onesweep_config_selectorIllEEZZNS1_29radix_sort_onesweep_iterationIS3_Lb0EPlS7_N6thrust23THRUST_200600_302600_NS10device_ptrIlEESB_jNS0_19identity_decomposerENS1_16block_id_wrapperIjLb1EEEEE10hipError_tT1_PNSt15iterator_traitsISG_E10value_typeET2_T3_PNSH_ISM_E10value_typeET4_T5_PSR_SS_PNS1_23onesweep_lookback_stateEbbT6_jjT7_P12ihipStream_tbENKUlT_T0_SG_SL_E_clIS7_S7_S7_SB_EEDaSZ_S10_SG_SL_EUlSZ_E_NS1_11comp_targetILNS1_3genE6ELNS1_11target_archE950ELNS1_3gpuE13ELNS1_3repE0EEENS1_47radix_sort_onesweep_sort_config_static_selectorELNS0_4arch9wavefront6targetE1EEEvSG_.has_dyn_sized_stack, 0
	.set _ZN7rocprim17ROCPRIM_400000_NS6detail17trampoline_kernelINS0_14default_configENS1_35radix_sort_onesweep_config_selectorIllEEZZNS1_29radix_sort_onesweep_iterationIS3_Lb0EPlS7_N6thrust23THRUST_200600_302600_NS10device_ptrIlEESB_jNS0_19identity_decomposerENS1_16block_id_wrapperIjLb1EEEEE10hipError_tT1_PNSt15iterator_traitsISG_E10value_typeET2_T3_PNSH_ISM_E10value_typeET4_T5_PSR_SS_PNS1_23onesweep_lookback_stateEbbT6_jjT7_P12ihipStream_tbENKUlT_T0_SG_SL_E_clIS7_S7_S7_SB_EEDaSZ_S10_SG_SL_EUlSZ_E_NS1_11comp_targetILNS1_3genE6ELNS1_11target_archE950ELNS1_3gpuE13ELNS1_3repE0EEENS1_47radix_sort_onesweep_sort_config_static_selectorELNS0_4arch9wavefront6targetE1EEEvSG_.has_recursion, 0
	.set _ZN7rocprim17ROCPRIM_400000_NS6detail17trampoline_kernelINS0_14default_configENS1_35radix_sort_onesweep_config_selectorIllEEZZNS1_29radix_sort_onesweep_iterationIS3_Lb0EPlS7_N6thrust23THRUST_200600_302600_NS10device_ptrIlEESB_jNS0_19identity_decomposerENS1_16block_id_wrapperIjLb1EEEEE10hipError_tT1_PNSt15iterator_traitsISG_E10value_typeET2_T3_PNSH_ISM_E10value_typeET4_T5_PSR_SS_PNS1_23onesweep_lookback_stateEbbT6_jjT7_P12ihipStream_tbENKUlT_T0_SG_SL_E_clIS7_S7_S7_SB_EEDaSZ_S10_SG_SL_EUlSZ_E_NS1_11comp_targetILNS1_3genE6ELNS1_11target_archE950ELNS1_3gpuE13ELNS1_3repE0EEENS1_47radix_sort_onesweep_sort_config_static_selectorELNS0_4arch9wavefront6targetE1EEEvSG_.has_indirect_call, 0
	.section	.AMDGPU.csdata,"",@progbits
; Kernel info:
; codeLenInByte = 0
; TotalNumSgprs: 4
; NumVgprs: 0
; ScratchSize: 0
; MemoryBound: 0
; FloatMode: 240
; IeeeMode: 1
; LDSByteSize: 0 bytes/workgroup (compile time only)
; SGPRBlocks: 0
; VGPRBlocks: 0
; NumSGPRsForWavesPerEU: 4
; NumVGPRsForWavesPerEU: 1
; Occupancy: 10
; WaveLimiterHint : 0
; COMPUTE_PGM_RSRC2:SCRATCH_EN: 0
; COMPUTE_PGM_RSRC2:USER_SGPR: 6
; COMPUTE_PGM_RSRC2:TRAP_HANDLER: 0
; COMPUTE_PGM_RSRC2:TGID_X_EN: 1
; COMPUTE_PGM_RSRC2:TGID_Y_EN: 0
; COMPUTE_PGM_RSRC2:TGID_Z_EN: 0
; COMPUTE_PGM_RSRC2:TIDIG_COMP_CNT: 0
	.section	.text._ZN7rocprim17ROCPRIM_400000_NS6detail17trampoline_kernelINS0_14default_configENS1_35radix_sort_onesweep_config_selectorIllEEZZNS1_29radix_sort_onesweep_iterationIS3_Lb0EPlS7_N6thrust23THRUST_200600_302600_NS10device_ptrIlEESB_jNS0_19identity_decomposerENS1_16block_id_wrapperIjLb1EEEEE10hipError_tT1_PNSt15iterator_traitsISG_E10value_typeET2_T3_PNSH_ISM_E10value_typeET4_T5_PSR_SS_PNS1_23onesweep_lookback_stateEbbT6_jjT7_P12ihipStream_tbENKUlT_T0_SG_SL_E_clIS7_S7_S7_SB_EEDaSZ_S10_SG_SL_EUlSZ_E_NS1_11comp_targetILNS1_3genE5ELNS1_11target_archE942ELNS1_3gpuE9ELNS1_3repE0EEENS1_47radix_sort_onesweep_sort_config_static_selectorELNS0_4arch9wavefront6targetE1EEEvSG_,"axG",@progbits,_ZN7rocprim17ROCPRIM_400000_NS6detail17trampoline_kernelINS0_14default_configENS1_35radix_sort_onesweep_config_selectorIllEEZZNS1_29radix_sort_onesweep_iterationIS3_Lb0EPlS7_N6thrust23THRUST_200600_302600_NS10device_ptrIlEESB_jNS0_19identity_decomposerENS1_16block_id_wrapperIjLb1EEEEE10hipError_tT1_PNSt15iterator_traitsISG_E10value_typeET2_T3_PNSH_ISM_E10value_typeET4_T5_PSR_SS_PNS1_23onesweep_lookback_stateEbbT6_jjT7_P12ihipStream_tbENKUlT_T0_SG_SL_E_clIS7_S7_S7_SB_EEDaSZ_S10_SG_SL_EUlSZ_E_NS1_11comp_targetILNS1_3genE5ELNS1_11target_archE942ELNS1_3gpuE9ELNS1_3repE0EEENS1_47radix_sort_onesweep_sort_config_static_selectorELNS0_4arch9wavefront6targetE1EEEvSG_,comdat
	.protected	_ZN7rocprim17ROCPRIM_400000_NS6detail17trampoline_kernelINS0_14default_configENS1_35radix_sort_onesweep_config_selectorIllEEZZNS1_29radix_sort_onesweep_iterationIS3_Lb0EPlS7_N6thrust23THRUST_200600_302600_NS10device_ptrIlEESB_jNS0_19identity_decomposerENS1_16block_id_wrapperIjLb1EEEEE10hipError_tT1_PNSt15iterator_traitsISG_E10value_typeET2_T3_PNSH_ISM_E10value_typeET4_T5_PSR_SS_PNS1_23onesweep_lookback_stateEbbT6_jjT7_P12ihipStream_tbENKUlT_T0_SG_SL_E_clIS7_S7_S7_SB_EEDaSZ_S10_SG_SL_EUlSZ_E_NS1_11comp_targetILNS1_3genE5ELNS1_11target_archE942ELNS1_3gpuE9ELNS1_3repE0EEENS1_47radix_sort_onesweep_sort_config_static_selectorELNS0_4arch9wavefront6targetE1EEEvSG_ ; -- Begin function _ZN7rocprim17ROCPRIM_400000_NS6detail17trampoline_kernelINS0_14default_configENS1_35radix_sort_onesweep_config_selectorIllEEZZNS1_29radix_sort_onesweep_iterationIS3_Lb0EPlS7_N6thrust23THRUST_200600_302600_NS10device_ptrIlEESB_jNS0_19identity_decomposerENS1_16block_id_wrapperIjLb1EEEEE10hipError_tT1_PNSt15iterator_traitsISG_E10value_typeET2_T3_PNSH_ISM_E10value_typeET4_T5_PSR_SS_PNS1_23onesweep_lookback_stateEbbT6_jjT7_P12ihipStream_tbENKUlT_T0_SG_SL_E_clIS7_S7_S7_SB_EEDaSZ_S10_SG_SL_EUlSZ_E_NS1_11comp_targetILNS1_3genE5ELNS1_11target_archE942ELNS1_3gpuE9ELNS1_3repE0EEENS1_47radix_sort_onesweep_sort_config_static_selectorELNS0_4arch9wavefront6targetE1EEEvSG_
	.globl	_ZN7rocprim17ROCPRIM_400000_NS6detail17trampoline_kernelINS0_14default_configENS1_35radix_sort_onesweep_config_selectorIllEEZZNS1_29radix_sort_onesweep_iterationIS3_Lb0EPlS7_N6thrust23THRUST_200600_302600_NS10device_ptrIlEESB_jNS0_19identity_decomposerENS1_16block_id_wrapperIjLb1EEEEE10hipError_tT1_PNSt15iterator_traitsISG_E10value_typeET2_T3_PNSH_ISM_E10value_typeET4_T5_PSR_SS_PNS1_23onesweep_lookback_stateEbbT6_jjT7_P12ihipStream_tbENKUlT_T0_SG_SL_E_clIS7_S7_S7_SB_EEDaSZ_S10_SG_SL_EUlSZ_E_NS1_11comp_targetILNS1_3genE5ELNS1_11target_archE942ELNS1_3gpuE9ELNS1_3repE0EEENS1_47radix_sort_onesweep_sort_config_static_selectorELNS0_4arch9wavefront6targetE1EEEvSG_
	.p2align	8
	.type	_ZN7rocprim17ROCPRIM_400000_NS6detail17trampoline_kernelINS0_14default_configENS1_35radix_sort_onesweep_config_selectorIllEEZZNS1_29radix_sort_onesweep_iterationIS3_Lb0EPlS7_N6thrust23THRUST_200600_302600_NS10device_ptrIlEESB_jNS0_19identity_decomposerENS1_16block_id_wrapperIjLb1EEEEE10hipError_tT1_PNSt15iterator_traitsISG_E10value_typeET2_T3_PNSH_ISM_E10value_typeET4_T5_PSR_SS_PNS1_23onesweep_lookback_stateEbbT6_jjT7_P12ihipStream_tbENKUlT_T0_SG_SL_E_clIS7_S7_S7_SB_EEDaSZ_S10_SG_SL_EUlSZ_E_NS1_11comp_targetILNS1_3genE5ELNS1_11target_archE942ELNS1_3gpuE9ELNS1_3repE0EEENS1_47radix_sort_onesweep_sort_config_static_selectorELNS0_4arch9wavefront6targetE1EEEvSG_,@function
_ZN7rocprim17ROCPRIM_400000_NS6detail17trampoline_kernelINS0_14default_configENS1_35radix_sort_onesweep_config_selectorIllEEZZNS1_29radix_sort_onesweep_iterationIS3_Lb0EPlS7_N6thrust23THRUST_200600_302600_NS10device_ptrIlEESB_jNS0_19identity_decomposerENS1_16block_id_wrapperIjLb1EEEEE10hipError_tT1_PNSt15iterator_traitsISG_E10value_typeET2_T3_PNSH_ISM_E10value_typeET4_T5_PSR_SS_PNS1_23onesweep_lookback_stateEbbT6_jjT7_P12ihipStream_tbENKUlT_T0_SG_SL_E_clIS7_S7_S7_SB_EEDaSZ_S10_SG_SL_EUlSZ_E_NS1_11comp_targetILNS1_3genE5ELNS1_11target_archE942ELNS1_3gpuE9ELNS1_3repE0EEENS1_47radix_sort_onesweep_sort_config_static_selectorELNS0_4arch9wavefront6targetE1EEEvSG_: ; @_ZN7rocprim17ROCPRIM_400000_NS6detail17trampoline_kernelINS0_14default_configENS1_35radix_sort_onesweep_config_selectorIllEEZZNS1_29radix_sort_onesweep_iterationIS3_Lb0EPlS7_N6thrust23THRUST_200600_302600_NS10device_ptrIlEESB_jNS0_19identity_decomposerENS1_16block_id_wrapperIjLb1EEEEE10hipError_tT1_PNSt15iterator_traitsISG_E10value_typeET2_T3_PNSH_ISM_E10value_typeET4_T5_PSR_SS_PNS1_23onesweep_lookback_stateEbbT6_jjT7_P12ihipStream_tbENKUlT_T0_SG_SL_E_clIS7_S7_S7_SB_EEDaSZ_S10_SG_SL_EUlSZ_E_NS1_11comp_targetILNS1_3genE5ELNS1_11target_archE942ELNS1_3gpuE9ELNS1_3repE0EEENS1_47radix_sort_onesweep_sort_config_static_selectorELNS0_4arch9wavefront6targetE1EEEvSG_
; %bb.0:
	.section	.rodata,"a",@progbits
	.p2align	6, 0x0
	.amdhsa_kernel _ZN7rocprim17ROCPRIM_400000_NS6detail17trampoline_kernelINS0_14default_configENS1_35radix_sort_onesweep_config_selectorIllEEZZNS1_29radix_sort_onesweep_iterationIS3_Lb0EPlS7_N6thrust23THRUST_200600_302600_NS10device_ptrIlEESB_jNS0_19identity_decomposerENS1_16block_id_wrapperIjLb1EEEEE10hipError_tT1_PNSt15iterator_traitsISG_E10value_typeET2_T3_PNSH_ISM_E10value_typeET4_T5_PSR_SS_PNS1_23onesweep_lookback_stateEbbT6_jjT7_P12ihipStream_tbENKUlT_T0_SG_SL_E_clIS7_S7_S7_SB_EEDaSZ_S10_SG_SL_EUlSZ_E_NS1_11comp_targetILNS1_3genE5ELNS1_11target_archE942ELNS1_3gpuE9ELNS1_3repE0EEENS1_47radix_sort_onesweep_sort_config_static_selectorELNS0_4arch9wavefront6targetE1EEEvSG_
		.amdhsa_group_segment_fixed_size 0
		.amdhsa_private_segment_fixed_size 0
		.amdhsa_kernarg_size 88
		.amdhsa_user_sgpr_count 6
		.amdhsa_user_sgpr_private_segment_buffer 1
		.amdhsa_user_sgpr_dispatch_ptr 0
		.amdhsa_user_sgpr_queue_ptr 0
		.amdhsa_user_sgpr_kernarg_segment_ptr 1
		.amdhsa_user_sgpr_dispatch_id 0
		.amdhsa_user_sgpr_flat_scratch_init 0
		.amdhsa_user_sgpr_private_segment_size 0
		.amdhsa_uses_dynamic_stack 0
		.amdhsa_system_sgpr_private_segment_wavefront_offset 0
		.amdhsa_system_sgpr_workgroup_id_x 1
		.amdhsa_system_sgpr_workgroup_id_y 0
		.amdhsa_system_sgpr_workgroup_id_z 0
		.amdhsa_system_sgpr_workgroup_info 0
		.amdhsa_system_vgpr_workitem_id 0
		.amdhsa_next_free_vgpr 1
		.amdhsa_next_free_sgpr 0
		.amdhsa_reserve_vcc 0
		.amdhsa_reserve_flat_scratch 0
		.amdhsa_float_round_mode_32 0
		.amdhsa_float_round_mode_16_64 0
		.amdhsa_float_denorm_mode_32 3
		.amdhsa_float_denorm_mode_16_64 3
		.amdhsa_dx10_clamp 1
		.amdhsa_ieee_mode 1
		.amdhsa_fp16_overflow 0
		.amdhsa_exception_fp_ieee_invalid_op 0
		.amdhsa_exception_fp_denorm_src 0
		.amdhsa_exception_fp_ieee_div_zero 0
		.amdhsa_exception_fp_ieee_overflow 0
		.amdhsa_exception_fp_ieee_underflow 0
		.amdhsa_exception_fp_ieee_inexact 0
		.amdhsa_exception_int_div_zero 0
	.end_amdhsa_kernel
	.section	.text._ZN7rocprim17ROCPRIM_400000_NS6detail17trampoline_kernelINS0_14default_configENS1_35radix_sort_onesweep_config_selectorIllEEZZNS1_29radix_sort_onesweep_iterationIS3_Lb0EPlS7_N6thrust23THRUST_200600_302600_NS10device_ptrIlEESB_jNS0_19identity_decomposerENS1_16block_id_wrapperIjLb1EEEEE10hipError_tT1_PNSt15iterator_traitsISG_E10value_typeET2_T3_PNSH_ISM_E10value_typeET4_T5_PSR_SS_PNS1_23onesweep_lookback_stateEbbT6_jjT7_P12ihipStream_tbENKUlT_T0_SG_SL_E_clIS7_S7_S7_SB_EEDaSZ_S10_SG_SL_EUlSZ_E_NS1_11comp_targetILNS1_3genE5ELNS1_11target_archE942ELNS1_3gpuE9ELNS1_3repE0EEENS1_47radix_sort_onesweep_sort_config_static_selectorELNS0_4arch9wavefront6targetE1EEEvSG_,"axG",@progbits,_ZN7rocprim17ROCPRIM_400000_NS6detail17trampoline_kernelINS0_14default_configENS1_35radix_sort_onesweep_config_selectorIllEEZZNS1_29radix_sort_onesweep_iterationIS3_Lb0EPlS7_N6thrust23THRUST_200600_302600_NS10device_ptrIlEESB_jNS0_19identity_decomposerENS1_16block_id_wrapperIjLb1EEEEE10hipError_tT1_PNSt15iterator_traitsISG_E10value_typeET2_T3_PNSH_ISM_E10value_typeET4_T5_PSR_SS_PNS1_23onesweep_lookback_stateEbbT6_jjT7_P12ihipStream_tbENKUlT_T0_SG_SL_E_clIS7_S7_S7_SB_EEDaSZ_S10_SG_SL_EUlSZ_E_NS1_11comp_targetILNS1_3genE5ELNS1_11target_archE942ELNS1_3gpuE9ELNS1_3repE0EEENS1_47radix_sort_onesweep_sort_config_static_selectorELNS0_4arch9wavefront6targetE1EEEvSG_,comdat
.Lfunc_end1152:
	.size	_ZN7rocprim17ROCPRIM_400000_NS6detail17trampoline_kernelINS0_14default_configENS1_35radix_sort_onesweep_config_selectorIllEEZZNS1_29radix_sort_onesweep_iterationIS3_Lb0EPlS7_N6thrust23THRUST_200600_302600_NS10device_ptrIlEESB_jNS0_19identity_decomposerENS1_16block_id_wrapperIjLb1EEEEE10hipError_tT1_PNSt15iterator_traitsISG_E10value_typeET2_T3_PNSH_ISM_E10value_typeET4_T5_PSR_SS_PNS1_23onesweep_lookback_stateEbbT6_jjT7_P12ihipStream_tbENKUlT_T0_SG_SL_E_clIS7_S7_S7_SB_EEDaSZ_S10_SG_SL_EUlSZ_E_NS1_11comp_targetILNS1_3genE5ELNS1_11target_archE942ELNS1_3gpuE9ELNS1_3repE0EEENS1_47radix_sort_onesweep_sort_config_static_selectorELNS0_4arch9wavefront6targetE1EEEvSG_, .Lfunc_end1152-_ZN7rocprim17ROCPRIM_400000_NS6detail17trampoline_kernelINS0_14default_configENS1_35radix_sort_onesweep_config_selectorIllEEZZNS1_29radix_sort_onesweep_iterationIS3_Lb0EPlS7_N6thrust23THRUST_200600_302600_NS10device_ptrIlEESB_jNS0_19identity_decomposerENS1_16block_id_wrapperIjLb1EEEEE10hipError_tT1_PNSt15iterator_traitsISG_E10value_typeET2_T3_PNSH_ISM_E10value_typeET4_T5_PSR_SS_PNS1_23onesweep_lookback_stateEbbT6_jjT7_P12ihipStream_tbENKUlT_T0_SG_SL_E_clIS7_S7_S7_SB_EEDaSZ_S10_SG_SL_EUlSZ_E_NS1_11comp_targetILNS1_3genE5ELNS1_11target_archE942ELNS1_3gpuE9ELNS1_3repE0EEENS1_47radix_sort_onesweep_sort_config_static_selectorELNS0_4arch9wavefront6targetE1EEEvSG_
                                        ; -- End function
	.set _ZN7rocprim17ROCPRIM_400000_NS6detail17trampoline_kernelINS0_14default_configENS1_35radix_sort_onesweep_config_selectorIllEEZZNS1_29radix_sort_onesweep_iterationIS3_Lb0EPlS7_N6thrust23THRUST_200600_302600_NS10device_ptrIlEESB_jNS0_19identity_decomposerENS1_16block_id_wrapperIjLb1EEEEE10hipError_tT1_PNSt15iterator_traitsISG_E10value_typeET2_T3_PNSH_ISM_E10value_typeET4_T5_PSR_SS_PNS1_23onesweep_lookback_stateEbbT6_jjT7_P12ihipStream_tbENKUlT_T0_SG_SL_E_clIS7_S7_S7_SB_EEDaSZ_S10_SG_SL_EUlSZ_E_NS1_11comp_targetILNS1_3genE5ELNS1_11target_archE942ELNS1_3gpuE9ELNS1_3repE0EEENS1_47radix_sort_onesweep_sort_config_static_selectorELNS0_4arch9wavefront6targetE1EEEvSG_.num_vgpr, 0
	.set _ZN7rocprim17ROCPRIM_400000_NS6detail17trampoline_kernelINS0_14default_configENS1_35radix_sort_onesweep_config_selectorIllEEZZNS1_29radix_sort_onesweep_iterationIS3_Lb0EPlS7_N6thrust23THRUST_200600_302600_NS10device_ptrIlEESB_jNS0_19identity_decomposerENS1_16block_id_wrapperIjLb1EEEEE10hipError_tT1_PNSt15iterator_traitsISG_E10value_typeET2_T3_PNSH_ISM_E10value_typeET4_T5_PSR_SS_PNS1_23onesweep_lookback_stateEbbT6_jjT7_P12ihipStream_tbENKUlT_T0_SG_SL_E_clIS7_S7_S7_SB_EEDaSZ_S10_SG_SL_EUlSZ_E_NS1_11comp_targetILNS1_3genE5ELNS1_11target_archE942ELNS1_3gpuE9ELNS1_3repE0EEENS1_47radix_sort_onesweep_sort_config_static_selectorELNS0_4arch9wavefront6targetE1EEEvSG_.num_agpr, 0
	.set _ZN7rocprim17ROCPRIM_400000_NS6detail17trampoline_kernelINS0_14default_configENS1_35radix_sort_onesweep_config_selectorIllEEZZNS1_29radix_sort_onesweep_iterationIS3_Lb0EPlS7_N6thrust23THRUST_200600_302600_NS10device_ptrIlEESB_jNS0_19identity_decomposerENS1_16block_id_wrapperIjLb1EEEEE10hipError_tT1_PNSt15iterator_traitsISG_E10value_typeET2_T3_PNSH_ISM_E10value_typeET4_T5_PSR_SS_PNS1_23onesweep_lookback_stateEbbT6_jjT7_P12ihipStream_tbENKUlT_T0_SG_SL_E_clIS7_S7_S7_SB_EEDaSZ_S10_SG_SL_EUlSZ_E_NS1_11comp_targetILNS1_3genE5ELNS1_11target_archE942ELNS1_3gpuE9ELNS1_3repE0EEENS1_47radix_sort_onesweep_sort_config_static_selectorELNS0_4arch9wavefront6targetE1EEEvSG_.numbered_sgpr, 0
	.set _ZN7rocprim17ROCPRIM_400000_NS6detail17trampoline_kernelINS0_14default_configENS1_35radix_sort_onesweep_config_selectorIllEEZZNS1_29radix_sort_onesweep_iterationIS3_Lb0EPlS7_N6thrust23THRUST_200600_302600_NS10device_ptrIlEESB_jNS0_19identity_decomposerENS1_16block_id_wrapperIjLb1EEEEE10hipError_tT1_PNSt15iterator_traitsISG_E10value_typeET2_T3_PNSH_ISM_E10value_typeET4_T5_PSR_SS_PNS1_23onesweep_lookback_stateEbbT6_jjT7_P12ihipStream_tbENKUlT_T0_SG_SL_E_clIS7_S7_S7_SB_EEDaSZ_S10_SG_SL_EUlSZ_E_NS1_11comp_targetILNS1_3genE5ELNS1_11target_archE942ELNS1_3gpuE9ELNS1_3repE0EEENS1_47radix_sort_onesweep_sort_config_static_selectorELNS0_4arch9wavefront6targetE1EEEvSG_.num_named_barrier, 0
	.set _ZN7rocprim17ROCPRIM_400000_NS6detail17trampoline_kernelINS0_14default_configENS1_35radix_sort_onesweep_config_selectorIllEEZZNS1_29radix_sort_onesweep_iterationIS3_Lb0EPlS7_N6thrust23THRUST_200600_302600_NS10device_ptrIlEESB_jNS0_19identity_decomposerENS1_16block_id_wrapperIjLb1EEEEE10hipError_tT1_PNSt15iterator_traitsISG_E10value_typeET2_T3_PNSH_ISM_E10value_typeET4_T5_PSR_SS_PNS1_23onesweep_lookback_stateEbbT6_jjT7_P12ihipStream_tbENKUlT_T0_SG_SL_E_clIS7_S7_S7_SB_EEDaSZ_S10_SG_SL_EUlSZ_E_NS1_11comp_targetILNS1_3genE5ELNS1_11target_archE942ELNS1_3gpuE9ELNS1_3repE0EEENS1_47radix_sort_onesweep_sort_config_static_selectorELNS0_4arch9wavefront6targetE1EEEvSG_.private_seg_size, 0
	.set _ZN7rocprim17ROCPRIM_400000_NS6detail17trampoline_kernelINS0_14default_configENS1_35radix_sort_onesweep_config_selectorIllEEZZNS1_29radix_sort_onesweep_iterationIS3_Lb0EPlS7_N6thrust23THRUST_200600_302600_NS10device_ptrIlEESB_jNS0_19identity_decomposerENS1_16block_id_wrapperIjLb1EEEEE10hipError_tT1_PNSt15iterator_traitsISG_E10value_typeET2_T3_PNSH_ISM_E10value_typeET4_T5_PSR_SS_PNS1_23onesweep_lookback_stateEbbT6_jjT7_P12ihipStream_tbENKUlT_T0_SG_SL_E_clIS7_S7_S7_SB_EEDaSZ_S10_SG_SL_EUlSZ_E_NS1_11comp_targetILNS1_3genE5ELNS1_11target_archE942ELNS1_3gpuE9ELNS1_3repE0EEENS1_47radix_sort_onesweep_sort_config_static_selectorELNS0_4arch9wavefront6targetE1EEEvSG_.uses_vcc, 0
	.set _ZN7rocprim17ROCPRIM_400000_NS6detail17trampoline_kernelINS0_14default_configENS1_35radix_sort_onesweep_config_selectorIllEEZZNS1_29radix_sort_onesweep_iterationIS3_Lb0EPlS7_N6thrust23THRUST_200600_302600_NS10device_ptrIlEESB_jNS0_19identity_decomposerENS1_16block_id_wrapperIjLb1EEEEE10hipError_tT1_PNSt15iterator_traitsISG_E10value_typeET2_T3_PNSH_ISM_E10value_typeET4_T5_PSR_SS_PNS1_23onesweep_lookback_stateEbbT6_jjT7_P12ihipStream_tbENKUlT_T0_SG_SL_E_clIS7_S7_S7_SB_EEDaSZ_S10_SG_SL_EUlSZ_E_NS1_11comp_targetILNS1_3genE5ELNS1_11target_archE942ELNS1_3gpuE9ELNS1_3repE0EEENS1_47radix_sort_onesweep_sort_config_static_selectorELNS0_4arch9wavefront6targetE1EEEvSG_.uses_flat_scratch, 0
	.set _ZN7rocprim17ROCPRIM_400000_NS6detail17trampoline_kernelINS0_14default_configENS1_35radix_sort_onesweep_config_selectorIllEEZZNS1_29radix_sort_onesweep_iterationIS3_Lb0EPlS7_N6thrust23THRUST_200600_302600_NS10device_ptrIlEESB_jNS0_19identity_decomposerENS1_16block_id_wrapperIjLb1EEEEE10hipError_tT1_PNSt15iterator_traitsISG_E10value_typeET2_T3_PNSH_ISM_E10value_typeET4_T5_PSR_SS_PNS1_23onesweep_lookback_stateEbbT6_jjT7_P12ihipStream_tbENKUlT_T0_SG_SL_E_clIS7_S7_S7_SB_EEDaSZ_S10_SG_SL_EUlSZ_E_NS1_11comp_targetILNS1_3genE5ELNS1_11target_archE942ELNS1_3gpuE9ELNS1_3repE0EEENS1_47radix_sort_onesweep_sort_config_static_selectorELNS0_4arch9wavefront6targetE1EEEvSG_.has_dyn_sized_stack, 0
	.set _ZN7rocprim17ROCPRIM_400000_NS6detail17trampoline_kernelINS0_14default_configENS1_35radix_sort_onesweep_config_selectorIllEEZZNS1_29radix_sort_onesweep_iterationIS3_Lb0EPlS7_N6thrust23THRUST_200600_302600_NS10device_ptrIlEESB_jNS0_19identity_decomposerENS1_16block_id_wrapperIjLb1EEEEE10hipError_tT1_PNSt15iterator_traitsISG_E10value_typeET2_T3_PNSH_ISM_E10value_typeET4_T5_PSR_SS_PNS1_23onesweep_lookback_stateEbbT6_jjT7_P12ihipStream_tbENKUlT_T0_SG_SL_E_clIS7_S7_S7_SB_EEDaSZ_S10_SG_SL_EUlSZ_E_NS1_11comp_targetILNS1_3genE5ELNS1_11target_archE942ELNS1_3gpuE9ELNS1_3repE0EEENS1_47radix_sort_onesweep_sort_config_static_selectorELNS0_4arch9wavefront6targetE1EEEvSG_.has_recursion, 0
	.set _ZN7rocprim17ROCPRIM_400000_NS6detail17trampoline_kernelINS0_14default_configENS1_35radix_sort_onesweep_config_selectorIllEEZZNS1_29radix_sort_onesweep_iterationIS3_Lb0EPlS7_N6thrust23THRUST_200600_302600_NS10device_ptrIlEESB_jNS0_19identity_decomposerENS1_16block_id_wrapperIjLb1EEEEE10hipError_tT1_PNSt15iterator_traitsISG_E10value_typeET2_T3_PNSH_ISM_E10value_typeET4_T5_PSR_SS_PNS1_23onesweep_lookback_stateEbbT6_jjT7_P12ihipStream_tbENKUlT_T0_SG_SL_E_clIS7_S7_S7_SB_EEDaSZ_S10_SG_SL_EUlSZ_E_NS1_11comp_targetILNS1_3genE5ELNS1_11target_archE942ELNS1_3gpuE9ELNS1_3repE0EEENS1_47radix_sort_onesweep_sort_config_static_selectorELNS0_4arch9wavefront6targetE1EEEvSG_.has_indirect_call, 0
	.section	.AMDGPU.csdata,"",@progbits
; Kernel info:
; codeLenInByte = 0
; TotalNumSgprs: 4
; NumVgprs: 0
; ScratchSize: 0
; MemoryBound: 0
; FloatMode: 240
; IeeeMode: 1
; LDSByteSize: 0 bytes/workgroup (compile time only)
; SGPRBlocks: 0
; VGPRBlocks: 0
; NumSGPRsForWavesPerEU: 4
; NumVGPRsForWavesPerEU: 1
; Occupancy: 10
; WaveLimiterHint : 0
; COMPUTE_PGM_RSRC2:SCRATCH_EN: 0
; COMPUTE_PGM_RSRC2:USER_SGPR: 6
; COMPUTE_PGM_RSRC2:TRAP_HANDLER: 0
; COMPUTE_PGM_RSRC2:TGID_X_EN: 1
; COMPUTE_PGM_RSRC2:TGID_Y_EN: 0
; COMPUTE_PGM_RSRC2:TGID_Z_EN: 0
; COMPUTE_PGM_RSRC2:TIDIG_COMP_CNT: 0
	.section	.text._ZN7rocprim17ROCPRIM_400000_NS6detail17trampoline_kernelINS0_14default_configENS1_35radix_sort_onesweep_config_selectorIllEEZZNS1_29radix_sort_onesweep_iterationIS3_Lb0EPlS7_N6thrust23THRUST_200600_302600_NS10device_ptrIlEESB_jNS0_19identity_decomposerENS1_16block_id_wrapperIjLb1EEEEE10hipError_tT1_PNSt15iterator_traitsISG_E10value_typeET2_T3_PNSH_ISM_E10value_typeET4_T5_PSR_SS_PNS1_23onesweep_lookback_stateEbbT6_jjT7_P12ihipStream_tbENKUlT_T0_SG_SL_E_clIS7_S7_S7_SB_EEDaSZ_S10_SG_SL_EUlSZ_E_NS1_11comp_targetILNS1_3genE2ELNS1_11target_archE906ELNS1_3gpuE6ELNS1_3repE0EEENS1_47radix_sort_onesweep_sort_config_static_selectorELNS0_4arch9wavefront6targetE1EEEvSG_,"axG",@progbits,_ZN7rocprim17ROCPRIM_400000_NS6detail17trampoline_kernelINS0_14default_configENS1_35radix_sort_onesweep_config_selectorIllEEZZNS1_29radix_sort_onesweep_iterationIS3_Lb0EPlS7_N6thrust23THRUST_200600_302600_NS10device_ptrIlEESB_jNS0_19identity_decomposerENS1_16block_id_wrapperIjLb1EEEEE10hipError_tT1_PNSt15iterator_traitsISG_E10value_typeET2_T3_PNSH_ISM_E10value_typeET4_T5_PSR_SS_PNS1_23onesweep_lookback_stateEbbT6_jjT7_P12ihipStream_tbENKUlT_T0_SG_SL_E_clIS7_S7_S7_SB_EEDaSZ_S10_SG_SL_EUlSZ_E_NS1_11comp_targetILNS1_3genE2ELNS1_11target_archE906ELNS1_3gpuE6ELNS1_3repE0EEENS1_47radix_sort_onesweep_sort_config_static_selectorELNS0_4arch9wavefront6targetE1EEEvSG_,comdat
	.protected	_ZN7rocprim17ROCPRIM_400000_NS6detail17trampoline_kernelINS0_14default_configENS1_35radix_sort_onesweep_config_selectorIllEEZZNS1_29radix_sort_onesweep_iterationIS3_Lb0EPlS7_N6thrust23THRUST_200600_302600_NS10device_ptrIlEESB_jNS0_19identity_decomposerENS1_16block_id_wrapperIjLb1EEEEE10hipError_tT1_PNSt15iterator_traitsISG_E10value_typeET2_T3_PNSH_ISM_E10value_typeET4_T5_PSR_SS_PNS1_23onesweep_lookback_stateEbbT6_jjT7_P12ihipStream_tbENKUlT_T0_SG_SL_E_clIS7_S7_S7_SB_EEDaSZ_S10_SG_SL_EUlSZ_E_NS1_11comp_targetILNS1_3genE2ELNS1_11target_archE906ELNS1_3gpuE6ELNS1_3repE0EEENS1_47radix_sort_onesweep_sort_config_static_selectorELNS0_4arch9wavefront6targetE1EEEvSG_ ; -- Begin function _ZN7rocprim17ROCPRIM_400000_NS6detail17trampoline_kernelINS0_14default_configENS1_35radix_sort_onesweep_config_selectorIllEEZZNS1_29radix_sort_onesweep_iterationIS3_Lb0EPlS7_N6thrust23THRUST_200600_302600_NS10device_ptrIlEESB_jNS0_19identity_decomposerENS1_16block_id_wrapperIjLb1EEEEE10hipError_tT1_PNSt15iterator_traitsISG_E10value_typeET2_T3_PNSH_ISM_E10value_typeET4_T5_PSR_SS_PNS1_23onesweep_lookback_stateEbbT6_jjT7_P12ihipStream_tbENKUlT_T0_SG_SL_E_clIS7_S7_S7_SB_EEDaSZ_S10_SG_SL_EUlSZ_E_NS1_11comp_targetILNS1_3genE2ELNS1_11target_archE906ELNS1_3gpuE6ELNS1_3repE0EEENS1_47radix_sort_onesweep_sort_config_static_selectorELNS0_4arch9wavefront6targetE1EEEvSG_
	.globl	_ZN7rocprim17ROCPRIM_400000_NS6detail17trampoline_kernelINS0_14default_configENS1_35radix_sort_onesweep_config_selectorIllEEZZNS1_29radix_sort_onesweep_iterationIS3_Lb0EPlS7_N6thrust23THRUST_200600_302600_NS10device_ptrIlEESB_jNS0_19identity_decomposerENS1_16block_id_wrapperIjLb1EEEEE10hipError_tT1_PNSt15iterator_traitsISG_E10value_typeET2_T3_PNSH_ISM_E10value_typeET4_T5_PSR_SS_PNS1_23onesweep_lookback_stateEbbT6_jjT7_P12ihipStream_tbENKUlT_T0_SG_SL_E_clIS7_S7_S7_SB_EEDaSZ_S10_SG_SL_EUlSZ_E_NS1_11comp_targetILNS1_3genE2ELNS1_11target_archE906ELNS1_3gpuE6ELNS1_3repE0EEENS1_47radix_sort_onesweep_sort_config_static_selectorELNS0_4arch9wavefront6targetE1EEEvSG_
	.p2align	8
	.type	_ZN7rocprim17ROCPRIM_400000_NS6detail17trampoline_kernelINS0_14default_configENS1_35radix_sort_onesweep_config_selectorIllEEZZNS1_29radix_sort_onesweep_iterationIS3_Lb0EPlS7_N6thrust23THRUST_200600_302600_NS10device_ptrIlEESB_jNS0_19identity_decomposerENS1_16block_id_wrapperIjLb1EEEEE10hipError_tT1_PNSt15iterator_traitsISG_E10value_typeET2_T3_PNSH_ISM_E10value_typeET4_T5_PSR_SS_PNS1_23onesweep_lookback_stateEbbT6_jjT7_P12ihipStream_tbENKUlT_T0_SG_SL_E_clIS7_S7_S7_SB_EEDaSZ_S10_SG_SL_EUlSZ_E_NS1_11comp_targetILNS1_3genE2ELNS1_11target_archE906ELNS1_3gpuE6ELNS1_3repE0EEENS1_47radix_sort_onesweep_sort_config_static_selectorELNS0_4arch9wavefront6targetE1EEEvSG_,@function
_ZN7rocprim17ROCPRIM_400000_NS6detail17trampoline_kernelINS0_14default_configENS1_35radix_sort_onesweep_config_selectorIllEEZZNS1_29radix_sort_onesweep_iterationIS3_Lb0EPlS7_N6thrust23THRUST_200600_302600_NS10device_ptrIlEESB_jNS0_19identity_decomposerENS1_16block_id_wrapperIjLb1EEEEE10hipError_tT1_PNSt15iterator_traitsISG_E10value_typeET2_T3_PNSH_ISM_E10value_typeET4_T5_PSR_SS_PNS1_23onesweep_lookback_stateEbbT6_jjT7_P12ihipStream_tbENKUlT_T0_SG_SL_E_clIS7_S7_S7_SB_EEDaSZ_S10_SG_SL_EUlSZ_E_NS1_11comp_targetILNS1_3genE2ELNS1_11target_archE906ELNS1_3gpuE6ELNS1_3repE0EEENS1_47radix_sort_onesweep_sort_config_static_selectorELNS0_4arch9wavefront6targetE1EEEvSG_: ; @_ZN7rocprim17ROCPRIM_400000_NS6detail17trampoline_kernelINS0_14default_configENS1_35radix_sort_onesweep_config_selectorIllEEZZNS1_29radix_sort_onesweep_iterationIS3_Lb0EPlS7_N6thrust23THRUST_200600_302600_NS10device_ptrIlEESB_jNS0_19identity_decomposerENS1_16block_id_wrapperIjLb1EEEEE10hipError_tT1_PNSt15iterator_traitsISG_E10value_typeET2_T3_PNSH_ISM_E10value_typeET4_T5_PSR_SS_PNS1_23onesweep_lookback_stateEbbT6_jjT7_P12ihipStream_tbENKUlT_T0_SG_SL_E_clIS7_S7_S7_SB_EEDaSZ_S10_SG_SL_EUlSZ_E_NS1_11comp_targetILNS1_3genE2ELNS1_11target_archE906ELNS1_3gpuE6ELNS1_3repE0EEENS1_47radix_sort_onesweep_sort_config_static_selectorELNS0_4arch9wavefront6targetE1EEEvSG_
; %bb.0:
	s_load_dwordx4 s[28:31], s[4:5], 0x28
	s_load_dwordx2 s[26:27], s[4:5], 0x38
	s_load_dwordx4 s[44:47], s[4:5], 0x44
	s_add_u32 s0, s0, s7
	s_addc_u32 s1, s1, 0
	v_cmp_eq_u32_e64 s[22:23], 0, v0
	s_and_saveexec_b64 s[8:9], s[22:23]
	s_cbranch_execz .LBB1153_4
; %bb.1:
	s_mov_b64 s[12:13], exec
	v_mbcnt_lo_u32_b32 v3, s12, 0
	v_mbcnt_hi_u32_b32 v3, s13, v3
	v_cmp_eq_u32_e32 vcc, 0, v3
                                        ; implicit-def: $vgpr4
	s_and_saveexec_b64 s[10:11], vcc
	s_cbranch_execz .LBB1153_3
; %bb.2:
	s_load_dwordx2 s[14:15], s[4:5], 0x50
	s_bcnt1_i32_b64 s7, s[12:13]
	v_mov_b32_e32 v4, 0
	v_mov_b32_e32 v5, s7
	s_waitcnt lgkmcnt(0)
	global_atomic_add v4, v4, v5, s[14:15] glc
.LBB1153_3:
	s_or_b64 exec, exec, s[10:11]
	s_waitcnt vmcnt(0)
	v_readfirstlane_b32 s7, v4
	v_add_u32_e32 v3, s7, v3
	v_mov_b32_e32 v4, 0
	ds_write_b32 v4, v3 offset:10272
.LBB1153_4:
	s_or_b64 exec, exec, s[8:9]
	v_mov_b32_e32 v3, 0
	s_load_dwordx8 s[36:43], s[4:5], 0x0
	s_load_dword s7, s[4:5], 0x20
	s_waitcnt lgkmcnt(0)
	s_barrier
	ds_read_b32 v3, v3 offset:10272
	s_mov_b64 s[8:9], -1
	v_mbcnt_lo_u32_b32 v21, -1, 0
	s_waitcnt lgkmcnt(0)
	s_barrier
	v_readfirstlane_b32 s33, v3
	v_cmp_le_u32_e32 vcc, s46, v3
	s_mul_i32 s34, s33, 0xc00
	s_cbranch_vccz .LBB1153_76
; %bb.5:
	s_mul_i32 s8, s46, 0xfffff400
	s_mov_b32 s35, 0
	s_add_i32 s7, s8, s7
	s_lshl_b64 s[46:47], s[34:35], 3
	v_mbcnt_hi_u32_b32 v19, -1, v21
	s_add_u32 s8, s36, s46
	v_and_b32_e32 v3, 63, v19
	s_addc_u32 s9, s37, s47
	v_and_b32_e32 v20, 0x1c0, v0
	v_lshlrev_b32_e32 v22, 3, v3
	v_mul_u32_u24_e32 v4, 6, v20
	v_mov_b32_e32 v5, s9
	v_add_co_u32_e32 v6, vcc, s8, v22
	v_addc_co_u32_e32 v5, vcc, 0, v5, vcc
	v_lshlrev_b32_e32 v23, 3, v4
	v_add_co_u32_e32 v15, vcc, v6, v23
	v_addc_co_u32_e32 v16, vcc, 0, v5, vcc
	v_or_b32_e32 v17, v3, v4
	v_mov_b32_e32 v3, -1
	v_mov_b32_e32 v5, -1
	;; [unrolled: 1-line block ×4, first 2 shown]
	v_cmp_gt_u32_e32 vcc, s7, v17
	s_and_saveexec_b64 s[8:9], vcc
	s_cbranch_execz .LBB1153_7
; %bb.6:
	global_load_dwordx2 v[5:6], v[15:16], off
	s_waitcnt vmcnt(0)
	v_xor_b32_e32 v6, 0x80000000, v6
.LBB1153_7:
	s_or_b64 exec, exec, s[8:9]
	v_or_b32_e32 v7, 64, v17
	v_cmp_gt_u32_e64 s[8:9], s7, v7
	s_and_saveexec_b64 s[10:11], s[8:9]
	s_cbranch_execz .LBB1153_9
; %bb.8:
	global_load_dwordx2 v[3:4], v[15:16], off offset:512
	s_waitcnt vmcnt(0)
	v_xor_b32_e32 v4, 0x80000000, v4
.LBB1153_9:
	s_or_b64 exec, exec, s[10:11]
	v_add_u32_e32 v11, 0x80, v17
	v_mov_b32_e32 v7, -1
	v_mov_b32_e32 v9, -1
	;; [unrolled: 1-line block ×4, first 2 shown]
	v_cmp_gt_u32_e64 s[10:11], s7, v11
	s_and_saveexec_b64 s[12:13], s[10:11]
	s_cbranch_execz .LBB1153_11
; %bb.10:
	global_load_dwordx2 v[9:10], v[15:16], off offset:1024
	s_waitcnt vmcnt(0)
	v_xor_b32_e32 v10, 0x80000000, v10
.LBB1153_11:
	s_or_b64 exec, exec, s[12:13]
	v_add_u32_e32 v11, 0xc0, v17
	v_cmp_gt_u32_e64 s[12:13], s7, v11
	s_and_saveexec_b64 s[14:15], s[12:13]
	s_cbranch_execz .LBB1153_13
; %bb.12:
	global_load_dwordx2 v[7:8], v[15:16], off offset:1536
	s_waitcnt vmcnt(0)
	v_xor_b32_e32 v8, 0x80000000, v8
.LBB1153_13:
	s_or_b64 exec, exec, s[14:15]
	v_add_u32_e32 v18, 0x100, v17
	v_mov_b32_e32 v11, -1
	v_mov_b32_e32 v13, -1
	;; [unrolled: 1-line block ×4, first 2 shown]
	v_cmp_gt_u32_e64 s[14:15], s7, v18
	s_and_saveexec_b64 s[16:17], s[14:15]
	s_cbranch_execz .LBB1153_15
; %bb.14:
	global_load_dwordx2 v[13:14], v[15:16], off offset:2048
	s_waitcnt vmcnt(0)
	v_xor_b32_e32 v14, 0x80000000, v14
.LBB1153_15:
	s_or_b64 exec, exec, s[16:17]
	v_add_u32_e32 v17, 0x140, v17
	v_cmp_gt_u32_e64 s[16:17], s7, v17
	s_and_saveexec_b64 s[18:19], s[16:17]
	s_cbranch_execz .LBB1153_17
; %bb.16:
	global_load_dwordx2 v[11:12], v[15:16], off offset:2560
	s_waitcnt vmcnt(0)
	v_xor_b32_e32 v12, 0x80000000, v12
.LBB1153_17:
	s_or_b64 exec, exec, s[18:19]
	s_load_dword s18, s[4:5], 0x64
	s_load_dword s35, s[4:5], 0x58
	s_add_u32 s19, s4, 0x58
	s_addc_u32 s20, s5, 0
	v_mov_b32_e32 v15, 0
	s_waitcnt lgkmcnt(0)
	s_lshr_b32 s21, s18, 16
	s_cmp_lt_u32 s6, s35
	s_cselect_b32 s18, 12, 18
	s_add_u32 s18, s19, s18
	s_addc_u32 s19, s20, 0
	global_load_ushort v18, v15, s[18:19]
	v_lshrrev_b64 v[16:17], s44, v[5:6]
	s_lshl_b32 s18, -1, s45
	s_not_b32 s54, s18
	v_and_b32_e32 v25, s54, v16
	v_and_b32_e32 v26, 1, v25
	v_add_co_u32_e64 v28, s[18:19], -1, v26
	v_lshlrev_b32_e32 v16, 30, v25
	v_addc_co_u32_e64 v29, s[18:19], 0, -1, s[18:19]
	v_mad_u32_u24 v17, v2, s21, v1
	v_cmp_ne_u32_e64 s[18:19], 0, v26
	v_cmp_gt_i64_e64 s[20:21], 0, v[15:16]
	v_not_b32_e32 v26, v16
	v_lshlrev_b32_e32 v16, 29, v25
	v_xor_b32_e32 v29, s19, v29
	v_xor_b32_e32 v28, s18, v28
	v_ashrrev_i32_e32 v26, 31, v26
	v_cmp_gt_i64_e64 s[18:19], 0, v[15:16]
	v_not_b32_e32 v30, v16
	v_lshlrev_b32_e32 v16, 28, v25
	v_and_b32_e32 v29, exec_hi, v29
	v_and_b32_e32 v28, exec_lo, v28
	v_xor_b32_e32 v31, s21, v26
	v_xor_b32_e32 v26, s20, v26
	v_ashrrev_i32_e32 v30, 31, v30
	v_cmp_gt_i64_e64 s[20:21], 0, v[15:16]
	v_not_b32_e32 v32, v16
	v_lshlrev_b32_e32 v16, 27, v25
	v_and_b32_e32 v29, v29, v31
	v_and_b32_e32 v26, v28, v26
	v_xor_b32_e32 v28, s19, v30
	v_xor_b32_e32 v30, s18, v30
	v_ashrrev_i32_e32 v31, 31, v32
	v_cmp_gt_i64_e64 s[18:19], 0, v[15:16]
	v_not_b32_e32 v32, v16
	v_lshlrev_b32_e32 v16, 26, v25
	v_and_b32_e32 v28, v29, v28
	v_and_b32_e32 v26, v26, v30
	;; [unrolled: 8-line block ×3, first 2 shown]
	v_xor_b32_e32 v29, s19, v31
	v_xor_b32_e32 v30, s18, v31
	v_ashrrev_i32_e32 v31, 31, v32
	v_cmp_gt_i64_e64 s[18:19], 0, v[15:16]
	v_not_b32_e32 v32, v16
	v_mul_lo_u32 v27, v25, 36
	v_lshlrev_b32_e32 v16, 24, v25
	v_and_b32_e32 v25, v28, v29
	v_and_b32_e32 v26, v26, v30
	v_xor_b32_e32 v28, s21, v31
	v_xor_b32_e32 v29, s20, v31
	v_ashrrev_i32_e32 v30, 31, v32
	v_and_b32_e32 v25, v25, v28
	v_and_b32_e32 v26, v26, v29
	v_xor_b32_e32 v28, s19, v30
	v_xor_b32_e32 v29, s18, v30
	v_cmp_gt_i64_e64 s[20:21], 0, v[15:16]
	v_not_b32_e32 v16, v16
	v_and_b32_e32 v28, v25, v28
	v_and_b32_e32 v29, v26, v29
	v_ashrrev_i32_e32 v16, 31, v16
	v_xor_b32_e32 v30, s21, v16
	v_xor_b32_e32 v16, s20, v16
	v_and_b32_e32 v16, v29, v16
	v_mul_u32_u24_e32 v24, 20, v0
	ds_write2_b32 v24, v15, v15 offset0:8 offset1:9
	ds_write2_b32 v24, v15, v15 offset0:10 offset1:11
	ds_write_b32 v24, v15 offset:48
	s_waitcnt vmcnt(0) lgkmcnt(0)
	s_barrier
	; wave barrier
	v_mad_u64_u32 v[25:26], s[18:19], v17, v18, v[0:1]
	v_and_b32_e32 v17, v28, v30
	v_cmp_ne_u64_e64 s[18:19], 0, v[16:17]
	v_lshrrev_b32_e32 v18, 6, v25
	v_mbcnt_lo_u32_b32 v25, v16, 0
	v_mbcnt_hi_u32_b32 v25, v17, v25
	v_cmp_eq_u32_e64 s[20:21], 0, v25
	v_lshl_add_u32 v29, v18, 2, v27
	s_and_b64 s[20:21], s[18:19], s[20:21]
	s_and_saveexec_b64 s[18:19], s[20:21]
; %bb.18:
	v_bcnt_u32_b32 v16, v16, 0
	v_bcnt_u32_b32 v16, v17, v16
	ds_write_b32 v29, v16 offset:32
; %bb.19:
	s_or_b64 exec, exec, s[18:19]
	v_lshrrev_b64 v[16:17], s44, v[3:4]
	v_and_b32_e32 v17, s54, v16
	v_mul_lo_u32 v16, v17, 36
	v_and_b32_e32 v27, 1, v17
	; wave barrier
	v_lshl_add_u32 v30, v18, 2, v16
	v_add_co_u32_e64 v16, s[18:19], -1, v27
	v_addc_co_u32_e64 v28, s[18:19], 0, -1, s[18:19]
	v_cmp_ne_u32_e64 s[18:19], 0, v27
	v_xor_b32_e32 v16, s18, v16
	v_xor_b32_e32 v27, s19, v28
	v_and_b32_e32 v28, exec_lo, v16
	v_lshlrev_b32_e32 v16, 30, v17
	v_cmp_gt_i64_e64 s[18:19], 0, v[15:16]
	v_not_b32_e32 v16, v16
	v_ashrrev_i32_e32 v16, 31, v16
	v_xor_b32_e32 v31, s19, v16
	v_xor_b32_e32 v16, s18, v16
	v_and_b32_e32 v28, v28, v16
	v_lshlrev_b32_e32 v16, 29, v17
	v_cmp_gt_i64_e64 s[18:19], 0, v[15:16]
	v_not_b32_e32 v16, v16
	v_and_b32_e32 v27, exec_hi, v27
	v_ashrrev_i32_e32 v16, 31, v16
	v_and_b32_e32 v27, v27, v31
	v_xor_b32_e32 v31, s19, v16
	v_xor_b32_e32 v16, s18, v16
	v_and_b32_e32 v28, v28, v16
	v_lshlrev_b32_e32 v16, 28, v17
	v_cmp_gt_i64_e64 s[18:19], 0, v[15:16]
	v_not_b32_e32 v16, v16
	v_ashrrev_i32_e32 v16, 31, v16
	v_and_b32_e32 v27, v27, v31
	v_xor_b32_e32 v31, s19, v16
	v_xor_b32_e32 v16, s18, v16
	v_and_b32_e32 v28, v28, v16
	v_lshlrev_b32_e32 v16, 27, v17
	v_cmp_gt_i64_e64 s[18:19], 0, v[15:16]
	v_not_b32_e32 v16, v16
	;; [unrolled: 8-line block ×5, first 2 shown]
	v_ashrrev_i32_e32 v15, 31, v15
	v_xor_b32_e32 v16, s19, v15
	v_xor_b32_e32 v15, s18, v15
	ds_read_b32 v26, v30 offset:32
	v_and_b32_e32 v27, v27, v31
	v_and_b32_e32 v15, v28, v15
	;; [unrolled: 1-line block ×3, first 2 shown]
	v_mbcnt_lo_u32_b32 v17, v15, 0
	v_mbcnt_hi_u32_b32 v27, v16, v17
	v_cmp_ne_u64_e64 s[18:19], 0, v[15:16]
	v_cmp_eq_u32_e64 s[20:21], 0, v27
	s_and_b64 s[20:21], s[18:19], s[20:21]
	; wave barrier
	s_and_saveexec_b64 s[18:19], s[20:21]
	s_cbranch_execz .LBB1153_21
; %bb.20:
	v_bcnt_u32_b32 v15, v15, 0
	v_bcnt_u32_b32 v15, v16, v15
	s_waitcnt lgkmcnt(0)
	v_add_u32_e32 v15, v26, v15
	ds_write_b32 v30, v15 offset:32
.LBB1153_21:
	s_or_b64 exec, exec, s[18:19]
	v_lshrrev_b64 v[15:16], s44, v[9:10]
	v_and_b32_e32 v17, s54, v15
	v_mul_lo_u32 v16, v17, 36
	v_and_b32_e32 v31, 1, v17
	v_mov_b32_e32 v15, 0
	; wave barrier
	v_lshl_add_u32 v33, v18, 2, v16
	v_add_co_u32_e64 v16, s[18:19], -1, v31
	v_addc_co_u32_e64 v32, s[18:19], 0, -1, s[18:19]
	v_cmp_ne_u32_e64 s[18:19], 0, v31
	v_xor_b32_e32 v16, s18, v16
	v_xor_b32_e32 v31, s19, v32
	v_and_b32_e32 v32, exec_lo, v16
	v_lshlrev_b32_e32 v16, 30, v17
	v_cmp_gt_i64_e64 s[18:19], 0, v[15:16]
	v_not_b32_e32 v16, v16
	v_ashrrev_i32_e32 v16, 31, v16
	v_xor_b32_e32 v34, s19, v16
	v_xor_b32_e32 v16, s18, v16
	v_and_b32_e32 v32, v32, v16
	v_lshlrev_b32_e32 v16, 29, v17
	v_cmp_gt_i64_e64 s[18:19], 0, v[15:16]
	v_not_b32_e32 v16, v16
	v_and_b32_e32 v31, exec_hi, v31
	v_ashrrev_i32_e32 v16, 31, v16
	v_and_b32_e32 v31, v31, v34
	v_xor_b32_e32 v34, s19, v16
	v_xor_b32_e32 v16, s18, v16
	v_and_b32_e32 v32, v32, v16
	v_lshlrev_b32_e32 v16, 28, v17
	v_cmp_gt_i64_e64 s[18:19], 0, v[15:16]
	v_not_b32_e32 v16, v16
	v_ashrrev_i32_e32 v16, 31, v16
	v_and_b32_e32 v31, v31, v34
	v_xor_b32_e32 v34, s19, v16
	v_xor_b32_e32 v16, s18, v16
	v_and_b32_e32 v32, v32, v16
	v_lshlrev_b32_e32 v16, 27, v17
	v_cmp_gt_i64_e64 s[18:19], 0, v[15:16]
	v_not_b32_e32 v16, v16
	;; [unrolled: 8-line block ×5, first 2 shown]
	v_ashrrev_i32_e32 v16, 31, v16
	v_xor_b32_e32 v17, s19, v16
	v_xor_b32_e32 v16, s18, v16
	ds_read_b32 v28, v33 offset:32
	v_and_b32_e32 v31, v31, v34
	v_and_b32_e32 v16, v32, v16
	v_and_b32_e32 v17, v31, v17
	v_mbcnt_lo_u32_b32 v31, v16, 0
	v_mbcnt_hi_u32_b32 v31, v17, v31
	v_cmp_ne_u64_e64 s[18:19], 0, v[16:17]
	v_cmp_eq_u32_e64 s[20:21], 0, v31
	s_and_b64 s[20:21], s[18:19], s[20:21]
	; wave barrier
	s_and_saveexec_b64 s[18:19], s[20:21]
	s_cbranch_execz .LBB1153_23
; %bb.22:
	v_bcnt_u32_b32 v16, v16, 0
	v_bcnt_u32_b32 v16, v17, v16
	s_waitcnt lgkmcnt(0)
	v_add_u32_e32 v16, v28, v16
	ds_write_b32 v33, v16 offset:32
.LBB1153_23:
	s_or_b64 exec, exec, s[18:19]
	v_lshrrev_b64 v[16:17], s44, v[7:8]
	v_and_b32_e32 v17, s54, v16
	v_mul_lo_u32 v16, v17, 36
	v_and_b32_e32 v34, 1, v17
	; wave barrier
	v_lshl_add_u32 v36, v18, 2, v16
	v_add_co_u32_e64 v16, s[18:19], -1, v34
	v_addc_co_u32_e64 v35, s[18:19], 0, -1, s[18:19]
	v_cmp_ne_u32_e64 s[18:19], 0, v34
	v_xor_b32_e32 v16, s18, v16
	v_xor_b32_e32 v34, s19, v35
	v_and_b32_e32 v35, exec_lo, v16
	v_lshlrev_b32_e32 v16, 30, v17
	v_cmp_gt_i64_e64 s[18:19], 0, v[15:16]
	v_not_b32_e32 v16, v16
	v_ashrrev_i32_e32 v16, 31, v16
	v_xor_b32_e32 v37, s19, v16
	v_xor_b32_e32 v16, s18, v16
	v_and_b32_e32 v35, v35, v16
	v_lshlrev_b32_e32 v16, 29, v17
	v_cmp_gt_i64_e64 s[18:19], 0, v[15:16]
	v_not_b32_e32 v16, v16
	v_and_b32_e32 v34, exec_hi, v34
	v_ashrrev_i32_e32 v16, 31, v16
	v_and_b32_e32 v34, v34, v37
	v_xor_b32_e32 v37, s19, v16
	v_xor_b32_e32 v16, s18, v16
	v_and_b32_e32 v35, v35, v16
	v_lshlrev_b32_e32 v16, 28, v17
	v_cmp_gt_i64_e64 s[18:19], 0, v[15:16]
	v_not_b32_e32 v16, v16
	v_ashrrev_i32_e32 v16, 31, v16
	v_and_b32_e32 v34, v34, v37
	v_xor_b32_e32 v37, s19, v16
	v_xor_b32_e32 v16, s18, v16
	v_and_b32_e32 v35, v35, v16
	v_lshlrev_b32_e32 v16, 27, v17
	v_cmp_gt_i64_e64 s[18:19], 0, v[15:16]
	v_not_b32_e32 v16, v16
	;; [unrolled: 8-line block ×5, first 2 shown]
	v_ashrrev_i32_e32 v15, 31, v15
	v_xor_b32_e32 v16, s19, v15
	v_xor_b32_e32 v15, s18, v15
	ds_read_b32 v32, v36 offset:32
	v_and_b32_e32 v34, v34, v37
	v_and_b32_e32 v15, v35, v15
	;; [unrolled: 1-line block ×3, first 2 shown]
	v_mbcnt_lo_u32_b32 v17, v15, 0
	v_mbcnt_hi_u32_b32 v34, v16, v17
	v_cmp_ne_u64_e64 s[18:19], 0, v[15:16]
	v_cmp_eq_u32_e64 s[20:21], 0, v34
	s_and_b64 s[20:21], s[18:19], s[20:21]
	; wave barrier
	s_and_saveexec_b64 s[18:19], s[20:21]
	s_cbranch_execz .LBB1153_25
; %bb.24:
	v_bcnt_u32_b32 v15, v15, 0
	v_bcnt_u32_b32 v15, v16, v15
	s_waitcnt lgkmcnt(0)
	v_add_u32_e32 v15, v32, v15
	ds_write_b32 v36, v15 offset:32
.LBB1153_25:
	s_or_b64 exec, exec, s[18:19]
	v_lshrrev_b64 v[15:16], s44, v[13:14]
	v_and_b32_e32 v17, s54, v15
	v_mul_lo_u32 v16, v17, 36
	v_and_b32_e32 v37, 1, v17
	v_mov_b32_e32 v15, 0
	; wave barrier
	v_lshl_add_u32 v39, v18, 2, v16
	v_add_co_u32_e64 v16, s[18:19], -1, v37
	v_addc_co_u32_e64 v38, s[18:19], 0, -1, s[18:19]
	v_cmp_ne_u32_e64 s[18:19], 0, v37
	v_xor_b32_e32 v16, s18, v16
	v_xor_b32_e32 v37, s19, v38
	v_and_b32_e32 v38, exec_lo, v16
	v_lshlrev_b32_e32 v16, 30, v17
	v_cmp_gt_i64_e64 s[18:19], 0, v[15:16]
	v_not_b32_e32 v16, v16
	v_ashrrev_i32_e32 v16, 31, v16
	v_xor_b32_e32 v40, s19, v16
	v_xor_b32_e32 v16, s18, v16
	v_and_b32_e32 v38, v38, v16
	v_lshlrev_b32_e32 v16, 29, v17
	v_cmp_gt_i64_e64 s[18:19], 0, v[15:16]
	v_not_b32_e32 v16, v16
	v_and_b32_e32 v37, exec_hi, v37
	v_ashrrev_i32_e32 v16, 31, v16
	v_and_b32_e32 v37, v37, v40
	v_xor_b32_e32 v40, s19, v16
	v_xor_b32_e32 v16, s18, v16
	v_and_b32_e32 v38, v38, v16
	v_lshlrev_b32_e32 v16, 28, v17
	v_cmp_gt_i64_e64 s[18:19], 0, v[15:16]
	v_not_b32_e32 v16, v16
	v_ashrrev_i32_e32 v16, 31, v16
	v_and_b32_e32 v37, v37, v40
	v_xor_b32_e32 v40, s19, v16
	v_xor_b32_e32 v16, s18, v16
	v_and_b32_e32 v38, v38, v16
	v_lshlrev_b32_e32 v16, 27, v17
	v_cmp_gt_i64_e64 s[18:19], 0, v[15:16]
	v_not_b32_e32 v16, v16
	;; [unrolled: 8-line block ×5, first 2 shown]
	v_ashrrev_i32_e32 v16, 31, v16
	v_xor_b32_e32 v17, s19, v16
	v_xor_b32_e32 v16, s18, v16
	ds_read_b32 v35, v39 offset:32
	v_and_b32_e32 v37, v37, v40
	v_and_b32_e32 v16, v38, v16
	;; [unrolled: 1-line block ×3, first 2 shown]
	v_mbcnt_lo_u32_b32 v37, v16, 0
	v_mbcnt_hi_u32_b32 v37, v17, v37
	v_cmp_ne_u64_e64 s[18:19], 0, v[16:17]
	v_cmp_eq_u32_e64 s[20:21], 0, v37
	s_and_b64 s[20:21], s[18:19], s[20:21]
	; wave barrier
	s_and_saveexec_b64 s[18:19], s[20:21]
	s_cbranch_execz .LBB1153_27
; %bb.26:
	v_bcnt_u32_b32 v16, v16, 0
	v_bcnt_u32_b32 v16, v17, v16
	s_waitcnt lgkmcnt(0)
	v_add_u32_e32 v16, v35, v16
	ds_write_b32 v39, v16 offset:32
.LBB1153_27:
	s_or_b64 exec, exec, s[18:19]
	v_lshrrev_b64 v[16:17], s44, v[11:12]
	v_and_b32_e32 v17, s54, v16
	v_mul_lo_u32 v16, v17, 36
	v_and_b32_e32 v40, 1, v17
	; wave barrier
	v_lshl_add_u32 v41, v18, 2, v16
	v_add_co_u32_e64 v16, s[18:19], -1, v40
	v_addc_co_u32_e64 v18, s[18:19], 0, -1, s[18:19]
	v_cmp_ne_u32_e64 s[18:19], 0, v40
	v_xor_b32_e32 v16, s18, v16
	v_and_b32_e32 v40, exec_lo, v16
	v_lshlrev_b32_e32 v16, 30, v17
	v_xor_b32_e32 v18, s19, v18
	v_cmp_gt_i64_e64 s[18:19], 0, v[15:16]
	v_not_b32_e32 v16, v16
	v_ashrrev_i32_e32 v16, 31, v16
	v_xor_b32_e32 v42, s19, v16
	v_xor_b32_e32 v16, s18, v16
	v_and_b32_e32 v40, v40, v16
	v_lshlrev_b32_e32 v16, 29, v17
	v_cmp_gt_i64_e64 s[18:19], 0, v[15:16]
	v_not_b32_e32 v16, v16
	v_and_b32_e32 v18, exec_hi, v18
	v_ashrrev_i32_e32 v16, 31, v16
	v_and_b32_e32 v18, v18, v42
	v_xor_b32_e32 v42, s19, v16
	v_xor_b32_e32 v16, s18, v16
	v_and_b32_e32 v40, v40, v16
	v_lshlrev_b32_e32 v16, 28, v17
	v_cmp_gt_i64_e64 s[18:19], 0, v[15:16]
	v_not_b32_e32 v16, v16
	v_ashrrev_i32_e32 v16, 31, v16
	v_and_b32_e32 v18, v18, v42
	v_xor_b32_e32 v42, s19, v16
	v_xor_b32_e32 v16, s18, v16
	v_and_b32_e32 v40, v40, v16
	v_lshlrev_b32_e32 v16, 27, v17
	v_cmp_gt_i64_e64 s[18:19], 0, v[15:16]
	v_not_b32_e32 v16, v16
	;; [unrolled: 8-line block ×5, first 2 shown]
	v_ashrrev_i32_e32 v15, 31, v15
	v_xor_b32_e32 v16, s19, v15
	v_xor_b32_e32 v15, s18, v15
	ds_read_b32 v38, v41 offset:32
	v_and_b32_e32 v18, v18, v42
	v_and_b32_e32 v15, v40, v15
	;; [unrolled: 1-line block ×3, first 2 shown]
	v_mbcnt_lo_u32_b32 v17, v15, 0
	v_mbcnt_hi_u32_b32 v40, v16, v17
	v_cmp_ne_u64_e64 s[18:19], 0, v[15:16]
	v_cmp_eq_u32_e64 s[20:21], 0, v40
	s_and_b64 s[20:21], s[18:19], s[20:21]
	; wave barrier
	s_and_saveexec_b64 s[18:19], s[20:21]
	s_cbranch_execz .LBB1153_29
; %bb.28:
	v_bcnt_u32_b32 v15, v15, 0
	v_bcnt_u32_b32 v15, v16, v15
	s_waitcnt lgkmcnt(0)
	v_add_u32_e32 v15, v38, v15
	ds_write_b32 v41, v15 offset:32
.LBB1153_29:
	s_or_b64 exec, exec, s[18:19]
	; wave barrier
	s_waitcnt lgkmcnt(0)
	s_barrier
	ds_read2_b32 v[17:18], v24 offset0:8 offset1:9
	ds_read2_b32 v[15:16], v24 offset0:10 offset1:11
	ds_read_b32 v42, v24 offset:48
	v_min_u32_e32 v20, 0x1c0, v20
	v_or_b32_e32 v20, 63, v20
	s_waitcnt lgkmcnt(1)
	v_add3_u32 v43, v18, v17, v15
	s_waitcnt lgkmcnt(0)
	v_add3_u32 v42, v43, v16, v42
	v_and_b32_e32 v43, 15, v19
	v_cmp_ne_u32_e64 s[18:19], 0, v43
	v_mov_b32_dpp v44, v42 row_shr:1 row_mask:0xf bank_mask:0xf
	v_cndmask_b32_e64 v44, 0, v44, s[18:19]
	v_add_u32_e32 v42, v44, v42
	v_cmp_lt_u32_e64 s[18:19], 1, v43
	s_nop 0
	v_mov_b32_dpp v44, v42 row_shr:2 row_mask:0xf bank_mask:0xf
	v_cndmask_b32_e64 v44, 0, v44, s[18:19]
	v_add_u32_e32 v42, v42, v44
	v_cmp_lt_u32_e64 s[18:19], 3, v43
	s_nop 0
	;; [unrolled: 5-line block ×3, first 2 shown]
	v_mov_b32_dpp v44, v42 row_shr:8 row_mask:0xf bank_mask:0xf
	v_cndmask_b32_e64 v43, 0, v44, s[18:19]
	v_add_u32_e32 v42, v42, v43
	v_bfe_i32 v44, v19, 4, 1
	v_cmp_lt_u32_e64 s[18:19], 31, v19
	v_mov_b32_dpp v43, v42 row_bcast:15 row_mask:0xf bank_mask:0xf
	v_and_b32_e32 v43, v44, v43
	v_add_u32_e32 v42, v42, v43
	s_nop 1
	v_mov_b32_dpp v43, v42 row_bcast:31 row_mask:0xf bank_mask:0xf
	v_cndmask_b32_e64 v43, 0, v43, s[18:19]
	v_add_u32_e32 v42, v42, v43
	v_lshrrev_b32_e32 v43, 6, v0
	v_cmp_eq_u32_e64 s[18:19], v0, v20
	s_and_saveexec_b64 s[20:21], s[18:19]
; %bb.30:
	v_lshlrev_b32_e32 v20, 2, v43
	ds_write_b32 v20, v42
; %bb.31:
	s_or_b64 exec, exec, s[20:21]
	v_cmp_gt_u32_e64 s[18:19], 8, v0
	s_waitcnt lgkmcnt(0)
	s_barrier
	s_and_saveexec_b64 s[20:21], s[18:19]
	s_cbranch_execz .LBB1153_33
; %bb.32:
	v_lshlrev_b32_e32 v20, 2, v0
	ds_read_b32 v44, v20
	v_and_b32_e32 v45, 7, v19
	v_cmp_ne_u32_e64 s[18:19], 0, v45
	s_waitcnt lgkmcnt(0)
	v_mov_b32_dpp v46, v44 row_shr:1 row_mask:0xf bank_mask:0xf
	v_cndmask_b32_e64 v46, 0, v46, s[18:19]
	v_add_u32_e32 v44, v46, v44
	v_cmp_lt_u32_e64 s[18:19], 1, v45
	s_nop 0
	v_mov_b32_dpp v46, v44 row_shr:2 row_mask:0xf bank_mask:0xf
	v_cndmask_b32_e64 v46, 0, v46, s[18:19]
	v_add_u32_e32 v44, v44, v46
	v_cmp_lt_u32_e64 s[18:19], 3, v45
	s_nop 0
	v_mov_b32_dpp v46, v44 row_shr:4 row_mask:0xf bank_mask:0xf
	v_cndmask_b32_e64 v45, 0, v46, s[18:19]
	v_add_u32_e32 v44, v44, v45
	ds_write_b32 v20, v44
.LBB1153_33:
	s_or_b64 exec, exec, s[20:21]
	v_cmp_lt_u32_e64 s[18:19], 63, v0
	v_mov_b32_e32 v20, 0
	s_waitcnt lgkmcnt(0)
	s_barrier
	s_and_saveexec_b64 s[20:21], s[18:19]
; %bb.34:
	v_lshl_add_u32 v20, v43, 2, -4
	ds_read_b32 v20, v20
; %bb.35:
	s_or_b64 exec, exec, s[20:21]
	v_subrev_co_u32_e64 v43, s[18:19], 1, v19
	v_and_b32_e32 v44, 64, v19
	v_cmp_lt_i32_e64 s[20:21], v43, v44
	v_cndmask_b32_e64 v19, v43, v19, s[20:21]
	s_waitcnt lgkmcnt(0)
	v_add_u32_e32 v42, v20, v42
	v_lshlrev_b32_e32 v19, 2, v19
	ds_bpermute_b32 v19, v19, v42
	s_movk_i32 s24, 0x100
	v_cmp_gt_u32_e64 s[20:21], s24, v0
	s_waitcnt lgkmcnt(0)
	v_cndmask_b32_e64 v19, v19, v20, s[18:19]
	v_cndmask_b32_e64 v19, v19, 0, s[22:23]
	v_add_u32_e32 v17, v19, v17
	v_add_u32_e32 v18, v17, v18
	v_add_u32_e32 v15, v18, v15
	v_add_u32_e32 v16, v15, v16
	ds_write2_b32 v24, v19, v17 offset0:8 offset1:9
	ds_write2_b32 v24, v18, v15 offset0:10 offset1:11
	ds_write_b32 v24, v16 offset:48
	s_waitcnt lgkmcnt(0)
	s_barrier
	ds_read_b32 v43, v29 offset:32
	ds_read_b32 v42, v30 offset:32
	;; [unrolled: 1-line block ×6, first 2 shown]
	s_movk_i32 s18, 0xff
	v_cmp_lt_u32_e64 s[18:19], s18, v0
                                        ; implicit-def: $vgpr24
                                        ; implicit-def: $vgpr29
	s_and_saveexec_b64 s[48:49], s[20:21]
	s_cbranch_execz .LBB1153_39
; %bb.36:
	v_mul_u32_u24_e32 v15, 36, v0
	ds_read_b32 v24, v15 offset:32
	v_add_u32_e32 v16, 1, v0
	v_cmp_ne_u32_e64 s[24:25], s24, v16
	v_mov_b32_e32 v15, 0xc00
	s_and_saveexec_b64 s[50:51], s[24:25]
; %bb.37:
	v_mul_u32_u24_e32 v15, 36, v16
	ds_read_b32 v15, v15 offset:32
; %bb.38:
	s_or_b64 exec, exec, s[50:51]
	s_waitcnt lgkmcnt(0)
	v_sub_u32_e32 v29, v15, v24
.LBB1153_39:
	s_or_b64 exec, exec, s[48:49]
	v_mov_b32_e32 v16, 0
	v_lshlrev_b32_e32 v30, 2, v0
	s_waitcnt lgkmcnt(0)
	s_barrier
	s_and_saveexec_b64 s[24:25], s[20:21]
	s_cbranch_execz .LBB1153_49
; %bb.40:
	v_lshl_add_u32 v15, s33, 8, v0
	v_lshlrev_b64 v[17:18], 2, v[15:16]
	v_mov_b32_e32 v44, s27
	v_add_co_u32_e64 v17, s[20:21], s26, v17
	v_addc_co_u32_e64 v18, s[20:21], v44, v18, s[20:21]
	v_or_b32_e32 v15, 2.0, v29
	s_mov_b64 s[48:49], 0
	s_brev_b32 s55, -4
	s_mov_b32 s56, s33
	v_mov_b32_e32 v45, 0
	global_store_dword v[17:18], v15, off
                                        ; implicit-def: $sgpr20_sgpr21
	s_branch .LBB1153_43
.LBB1153_41:                            ;   in Loop: Header=BB1153_43 Depth=1
	s_or_b64 exec, exec, s[52:53]
.LBB1153_42:                            ;   in Loop: Header=BB1153_43 Depth=1
	s_or_b64 exec, exec, s[50:51]
	v_and_b32_e32 v19, 0x3fffffff, v15
	v_add_u32_e32 v45, v19, v45
	v_cmp_gt_i32_e64 s[20:21], -2.0, v15
	s_and_b64 s[50:51], exec, s[20:21]
	s_or_b64 s[48:49], s[50:51], s[48:49]
	s_andn2_b64 exec, exec, s[48:49]
	s_cbranch_execz .LBB1153_48
.LBB1153_43:                            ; =>This Loop Header: Depth=1
                                        ;     Child Loop BB1153_46 Depth 2
	s_or_b64 s[20:21], s[20:21], exec
	s_cmp_eq_u32 s56, 0
	s_cbranch_scc1 .LBB1153_47
; %bb.44:                               ;   in Loop: Header=BB1153_43 Depth=1
	s_add_i32 s56, s56, -1
	v_lshl_or_b32 v15, s56, 8, v0
	v_lshlrev_b64 v[19:20], 2, v[15:16]
	v_add_co_u32_e64 v19, s[20:21], s26, v19
	v_addc_co_u32_e64 v20, s[20:21], v44, v20, s[20:21]
	global_load_dword v15, v[19:20], off glc
	s_waitcnt vmcnt(0)
	v_cmp_gt_u32_e64 s[20:21], 2.0, v15
	s_and_saveexec_b64 s[50:51], s[20:21]
	s_cbranch_execz .LBB1153_42
; %bb.45:                               ;   in Loop: Header=BB1153_43 Depth=1
	s_mov_b64 s[52:53], 0
.LBB1153_46:                            ;   Parent Loop BB1153_43 Depth=1
                                        ; =>  This Inner Loop Header: Depth=2
	global_load_dword v15, v[19:20], off glc
	s_waitcnt vmcnt(0)
	v_cmp_lt_u32_e64 s[20:21], s55, v15
	s_or_b64 s[52:53], s[20:21], s[52:53]
	s_andn2_b64 exec, exec, s[52:53]
	s_cbranch_execnz .LBB1153_46
	s_branch .LBB1153_41
.LBB1153_47:                            ;   in Loop: Header=BB1153_43 Depth=1
                                        ; implicit-def: $sgpr56
	s_and_b64 s[50:51], exec, s[20:21]
	s_or_b64 s[48:49], s[50:51], s[48:49]
	s_andn2_b64 exec, exec, s[48:49]
	s_cbranch_execnz .LBB1153_43
.LBB1153_48:
	s_or_b64 exec, exec, s[48:49]
	v_add_u32_e32 v15, v45, v29
	v_or_b32_e32 v15, 0x80000000, v15
	global_store_dword v[17:18], v15, off
	global_load_dword v15, v30, s[28:29]
	v_sub_u32_e32 v16, v45, v24
	s_waitcnt vmcnt(0)
	v_add_u32_e32 v15, v16, v15
	ds_write_b32 v30, v15
.LBB1153_49:
	s_or_b64 exec, exec, s[24:25]
	v_add_u32_e32 v17, v43, v25
	v_add3_u32 v18, v40, v41, v38
	v_add3_u32 v19, v37, v39, v35
	;; [unrolled: 1-line block ×5, first 2 shown]
	s_mov_b32 s48, 0
	s_mov_b32 s49, 0
	v_add_u32_e32 v27, v30, v30
	v_mov_b32_e32 v16, 0
	s_movk_i32 s50, 0x200
	v_mov_b32_e32 v28, v0
	s_branch .LBB1153_51
.LBB1153_50:                            ;   in Loop: Header=BB1153_51 Depth=1
	s_or_b64 exec, exec, s[24:25]
	s_addk_i32 s49, 0xfc00
	s_add_i32 s48, s48, 8
	s_cmpk_eq_i32 s49, 0xf400
	v_add_u32_e32 v28, 0x400, v28
	s_waitcnt vmcnt(0)
	s_barrier
	s_cbranch_scc1 .LBB1153_55
.LBB1153_51:                            ; =>This Inner Loop Header: Depth=1
	v_add_u32_e32 v15, s49, v17
	v_min_u32_e32 v15, 0x400, v15
	v_lshlrev_b32_e32 v15, 3, v15
	ds_write_b64 v15, v[5:6] offset:1024
	v_add_u32_e32 v15, s49, v26
	v_min_u32_e32 v15, 0x400, v15
	v_lshlrev_b32_e32 v15, 3, v15
	ds_write_b64 v15, v[3:4] offset:1024
	;; [unrolled: 4-line block ×5, first 2 shown]
	v_add_u32_e32 v15, s49, v18
	v_min_u32_e32 v15, 0x400, v15
	v_lshlrev_b32_e32 v15, 3, v15
	v_cmp_gt_u32_e64 s[20:21], s7, v28
	ds_write_b64 v15, v[11:12] offset:1024
	s_waitcnt lgkmcnt(0)
	s_barrier
	s_and_saveexec_b64 s[24:25], s[20:21]
	s_cbranch_execz .LBB1153_53
; %bb.52:                               ;   in Loop: Header=BB1153_51 Depth=1
	ds_read_b64 v[31:32], v27 offset:1024
	v_mov_b32_e32 v36, s39
	v_mov_b32_e32 v37, s48
	s_waitcnt lgkmcnt(0)
	v_lshrrev_b64 v[33:34], s44, v[31:32]
	v_xor_b32_e32 v32, 0x80000000, v32
	v_and_b32_e32 v35, s54, v33
	v_lshlrev_b32_e32 v15, 2, v35
	ds_read_b32 v15, v15
	buffer_store_dword v35, v37, s[0:3], 0 offen
	s_waitcnt lgkmcnt(0)
	v_add_u32_e32 v15, v28, v15
	v_lshlrev_b64 v[33:34], 3, v[15:16]
	v_add_co_u32_e64 v33, s[20:21], s38, v33
	v_addc_co_u32_e64 v34, s[20:21], v36, v34, s[20:21]
	global_store_dwordx2 v[33:34], v[31:32], off
.LBB1153_53:                            ;   in Loop: Header=BB1153_51 Depth=1
	s_or_b64 exec, exec, s[24:25]
	v_add_u32_e32 v15, 0x200, v28
	v_cmp_gt_u32_e64 s[20:21], s7, v15
	s_and_saveexec_b64 s[24:25], s[20:21]
	s_cbranch_execz .LBB1153_50
; %bb.54:                               ;   in Loop: Header=BB1153_51 Depth=1
	ds_read_b64 v[31:32], v27 offset:5120
	v_mov_b32_e32 v36, s39
	v_mov_b32_e32 v37, s48
	s_waitcnt lgkmcnt(0)
	v_lshrrev_b64 v[33:34], s44, v[31:32]
	v_xor_b32_e32 v32, 0x80000000, v32
	v_and_b32_e32 v35, s54, v33
	v_lshlrev_b32_e32 v15, 2, v35
	ds_read_b32 v15, v15
	buffer_store_dword v35, v37, s[0:3], 0 offen offset:4
	s_waitcnt lgkmcnt(0)
	v_add3_u32 v15, v28, v15, s50
	v_lshlrev_b64 v[33:34], 3, v[15:16]
	v_add_co_u32_e64 v33, s[20:21], s38, v33
	v_addc_co_u32_e64 v34, s[20:21], v36, v34, s[20:21]
	global_store_dwordx2 v[33:34], v[31:32], off
	s_branch .LBB1153_50
.LBB1153_55:
	s_add_u32 s20, s40, s46
	s_addc_u32 s21, s41, s47
	v_mov_b32_e32 v3, s21
	v_add_co_u32_e64 v4, s[20:21], s20, v22
	v_addc_co_u32_e64 v3, s[20:21], 0, v3, s[20:21]
	v_add_co_u32_e64 v15, s[20:21], v4, v23
	v_addc_co_u32_e64 v16, s[20:21], 0, v3, s[20:21]
                                        ; implicit-def: $vgpr3_vgpr4
	s_and_saveexec_b64 s[20:21], vcc
	s_cbranch_execz .LBB1153_61
; %bb.56:
	global_load_dwordx2 v[3:4], v[15:16], off
	s_or_b64 exec, exec, s[20:21]
                                        ; implicit-def: $vgpr5_vgpr6
	s_and_saveexec_b64 s[20:21], s[8:9]
	s_cbranch_execnz .LBB1153_62
.LBB1153_57:
	s_or_b64 exec, exec, s[20:21]
                                        ; implicit-def: $vgpr7_vgpr8
	s_and_saveexec_b64 s[8:9], s[10:11]
	s_cbranch_execz .LBB1153_63
.LBB1153_58:
	global_load_dwordx2 v[7:8], v[15:16], off offset:1024
	s_or_b64 exec, exec, s[8:9]
                                        ; implicit-def: $vgpr9_vgpr10
	s_and_saveexec_b64 s[8:9], s[12:13]
	s_cbranch_execnz .LBB1153_64
.LBB1153_59:
	s_or_b64 exec, exec, s[8:9]
                                        ; implicit-def: $vgpr11_vgpr12
	s_and_saveexec_b64 s[8:9], s[14:15]
	s_cbranch_execz .LBB1153_65
.LBB1153_60:
	global_load_dwordx2 v[11:12], v[15:16], off offset:2048
	s_or_b64 exec, exec, s[8:9]
                                        ; implicit-def: $vgpr13_vgpr14
	s_and_saveexec_b64 s[8:9], s[16:17]
	s_cbranch_execnz .LBB1153_66
	s_branch .LBB1153_67
.LBB1153_61:
	s_or_b64 exec, exec, s[20:21]
                                        ; implicit-def: $vgpr5_vgpr6
	s_and_saveexec_b64 s[20:21], s[8:9]
	s_cbranch_execz .LBB1153_57
.LBB1153_62:
	global_load_dwordx2 v[5:6], v[15:16], off offset:512
	s_or_b64 exec, exec, s[20:21]
                                        ; implicit-def: $vgpr7_vgpr8
	s_and_saveexec_b64 s[8:9], s[10:11]
	s_cbranch_execnz .LBB1153_58
.LBB1153_63:
	s_or_b64 exec, exec, s[8:9]
                                        ; implicit-def: $vgpr9_vgpr10
	s_and_saveexec_b64 s[8:9], s[12:13]
	s_cbranch_execz .LBB1153_59
.LBB1153_64:
	global_load_dwordx2 v[9:10], v[15:16], off offset:1536
	s_or_b64 exec, exec, s[8:9]
                                        ; implicit-def: $vgpr11_vgpr12
	s_and_saveexec_b64 s[8:9], s[14:15]
	s_cbranch_execnz .LBB1153_60
.LBB1153_65:
	s_or_b64 exec, exec, s[8:9]
                                        ; implicit-def: $vgpr13_vgpr14
	s_and_saveexec_b64 s[8:9], s[16:17]
	s_cbranch_execz .LBB1153_67
.LBB1153_66:
	global_load_dwordx2 v[13:14], v[15:16], off offset:2560
.LBB1153_67:
	s_or_b64 exec, exec, s[8:9]
	s_mov_b32 s10, 0
	s_mov_b32 s11, 0
	v_mov_b32_e32 v16, 0
	s_movk_i32 s12, 0x200
	v_mov_b32_e32 v22, v0
	s_branch .LBB1153_69
.LBB1153_68:                            ;   in Loop: Header=BB1153_69 Depth=1
	s_or_b64 exec, exec, s[8:9]
	s_addk_i32 s11, 0xfc00
	s_add_i32 s10, s10, 8
	s_cmpk_eq_i32 s11, 0xf400
	v_add_u32_e32 v22, 0x400, v22
	s_waitcnt vmcnt(0)
	s_barrier
	s_cbranch_scc1 .LBB1153_73
.LBB1153_69:                            ; =>This Inner Loop Header: Depth=1
	v_add_u32_e32 v15, s11, v17
	v_min_u32_e32 v15, 0x400, v15
	v_lshlrev_b32_e32 v15, 3, v15
	s_waitcnt vmcnt(0)
	ds_write_b64 v15, v[3:4] offset:1024
	v_add_u32_e32 v15, s11, v26
	v_min_u32_e32 v15, 0x400, v15
	v_lshlrev_b32_e32 v15, 3, v15
	ds_write_b64 v15, v[5:6] offset:1024
	v_add_u32_e32 v15, s11, v25
	v_min_u32_e32 v15, 0x400, v15
	v_lshlrev_b32_e32 v15, 3, v15
	;; [unrolled: 4-line block ×5, first 2 shown]
	v_cmp_gt_u32_e32 vcc, s7, v22
	ds_write_b64 v15, v[13:14] offset:1024
	s_waitcnt lgkmcnt(0)
	s_barrier
	s_and_saveexec_b64 s[8:9], vcc
	s_cbranch_execz .LBB1153_71
; %bb.70:                               ;   in Loop: Header=BB1153_69 Depth=1
	v_mov_b32_e32 v15, s10
	buffer_load_dword v15, v15, s[0:3], 0 offen
	v_mov_b32_e32 v23, s43
	s_waitcnt vmcnt(0)
	v_lshlrev_b32_e32 v15, 2, v15
	ds_read_b32 v15, v15
	ds_read_b64 v[31:32], v27 offset:1024
	s_waitcnt lgkmcnt(1)
	v_add_u32_e32 v15, v22, v15
	v_lshlrev_b64 v[33:34], 3, v[15:16]
	v_add_co_u32_e32 v33, vcc, s42, v33
	v_addc_co_u32_e32 v34, vcc, v23, v34, vcc
	s_waitcnt lgkmcnt(0)
	global_store_dwordx2 v[33:34], v[31:32], off
.LBB1153_71:                            ;   in Loop: Header=BB1153_69 Depth=1
	s_or_b64 exec, exec, s[8:9]
	v_add_u32_e32 v15, 0x200, v22
	v_cmp_gt_u32_e32 vcc, s7, v15
	s_and_saveexec_b64 s[8:9], vcc
	s_cbranch_execz .LBB1153_68
; %bb.72:                               ;   in Loop: Header=BB1153_69 Depth=1
	v_mov_b32_e32 v15, s10
	buffer_load_dword v15, v15, s[0:3], 0 offen offset:4
	v_mov_b32_e32 v23, s43
	s_waitcnt vmcnt(0)
	v_lshlrev_b32_e32 v15, 2, v15
	ds_read_b32 v15, v15
	ds_read_b64 v[31:32], v27 offset:5120
	s_waitcnt lgkmcnt(1)
	v_add3_u32 v15, v22, v15, s12
	v_lshlrev_b64 v[33:34], 3, v[15:16]
	v_add_co_u32_e32 v33, vcc, s42, v33
	v_addc_co_u32_e32 v34, vcc, v23, v34, vcc
	s_waitcnt lgkmcnt(0)
	global_store_dwordx2 v[33:34], v[31:32], off
	s_branch .LBB1153_68
.LBB1153_73:
	s_add_i32 s35, s35, -1
	s_cmp_eq_u32 s33, s35
	s_cselect_b64 s[8:9], -1, 0
	s_xor_b64 s[10:11], s[18:19], -1
	s_and_b64 s[10:11], s[10:11], s[8:9]
	s_and_saveexec_b64 s[8:9], s[10:11]
	s_cbranch_execz .LBB1153_75
; %bb.74:
	ds_read_b32 v3, v30
	s_waitcnt lgkmcnt(0)
	v_add3_u32 v3, v24, v29, v3
	global_store_dword v30, v3, s[30:31]
.LBB1153_75:
	s_or_b64 exec, exec, s[8:9]
	s_mov_b64 s[8:9], 0
.LBB1153_76:
	s_and_b64 vcc, exec, s[8:9]
	s_cbranch_vccz .LBB1153_115
; %bb.77:
	s_mov_b32 s35, 0
	s_lshl_b64 s[8:9], s[34:35], 3
	v_mbcnt_hi_u32_b32 v17, -1, v21
	s_add_u32 s7, s36, s8
	v_and_b32_e32 v3, 63, v17
	s_addc_u32 s10, s37, s9
	v_and_b32_e32 v18, 0x1c0, v0
	v_lshlrev_b32_e32 v19, 3, v3
	v_mul_u32_u24_e32 v4, 6, v18
	v_mov_b32_e32 v3, s10
	v_add_co_u32_e32 v5, vcc, s7, v19
	v_addc_co_u32_e32 v3, vcc, 0, v3, vcc
	v_lshlrev_b32_e32 v20, 3, v4
	v_add_co_u32_e32 v21, vcc, v5, v20
	v_addc_co_u32_e32 v22, vcc, 0, v3, vcc
	global_load_dwordx2 v[3:4], v[21:22], off
	s_load_dword s7, s[4:5], 0x64
	s_load_dword s16, s[4:5], 0x58
	s_add_u32 s4, s4, 0x58
	s_addc_u32 s5, s5, 0
	v_mov_b32_e32 v15, 0
	s_waitcnt lgkmcnt(0)
	s_lshr_b32 s10, s7, 16
	s_cmp_lt_u32 s6, s16
	s_cselect_b32 s6, 12, 18
	s_add_u32 s4, s4, s6
	s_addc_u32 s5, s5, 0
	global_load_ushort v23, v15, s[4:5]
	global_load_dwordx2 v[5:6], v[21:22], off offset:512
	global_load_dwordx2 v[7:8], v[21:22], off offset:1024
	;; [unrolled: 1-line block ×5, first 2 shown]
	s_lshl_b32 s4, -1, s45
	s_not_b32 s17, s4
	v_mad_u32_u24 v1, v2, s10, v1
	s_waitcnt vmcnt(6)
	v_xor_b32_e32 v4, 0x80000000, v4
	v_lshrrev_b64 v[21:22], s44, v[3:4]
	v_and_b32_e32 v24, s17, v21
	v_and_b32_e32 v21, 1, v24
	v_lshlrev_b32_e32 v16, 30, v24
	v_cmp_ne_u32_e32 vcc, 0, v21
	v_add_co_u32_e64 v21, s[6:7], -1, v21
	v_cmp_gt_i64_e64 s[4:5], 0, v[15:16]
	v_addc_co_u32_e64 v22, s[6:7], 0, -1, s[6:7]
	v_not_b32_e32 v25, v16
	v_lshlrev_b32_e32 v16, 29, v24
	v_xor_b32_e32 v22, vcc_hi, v22
	v_ashrrev_i32_e32 v25, 31, v25
	v_xor_b32_e32 v21, vcc_lo, v21
	v_cmp_gt_i64_e32 vcc, 0, v[15:16]
	v_not_b32_e32 v26, v16
	v_lshlrev_b32_e32 v16, 28, v24
	v_and_b32_e32 v22, exec_hi, v22
	v_xor_b32_e32 v27, s5, v25
	v_and_b32_e32 v21, exec_lo, v21
	v_xor_b32_e32 v25, s4, v25
	v_ashrrev_i32_e32 v26, 31, v26
	v_cmp_gt_i64_e64 s[4:5], 0, v[15:16]
	v_not_b32_e32 v28, v16
	v_lshlrev_b32_e32 v16, 27, v24
	v_and_b32_e32 v22, v22, v27
	v_and_b32_e32 v21, v21, v25
	v_xor_b32_e32 v25, vcc_hi, v26
	v_xor_b32_e32 v26, vcc_lo, v26
	v_ashrrev_i32_e32 v27, 31, v28
	v_cmp_gt_i64_e32 vcc, 0, v[15:16]
	v_not_b32_e32 v28, v16
	v_lshlrev_b32_e32 v16, 26, v24
	v_and_b32_e32 v22, v22, v25
	v_and_b32_e32 v21, v21, v26
	v_xor_b32_e32 v25, s5, v27
	v_xor_b32_e32 v26, s4, v27
	v_ashrrev_i32_e32 v27, 31, v28
	v_cmp_gt_i64_e64 s[4:5], 0, v[15:16]
	v_not_b32_e32 v28, v16
	v_lshlrev_b32_e32 v16, 25, v24
	v_and_b32_e32 v22, v22, v25
	v_and_b32_e32 v21, v21, v26
	v_xor_b32_e32 v25, vcc_hi, v27
	v_xor_b32_e32 v26, vcc_lo, v27
	v_ashrrev_i32_e32 v27, 31, v28
	v_cmp_gt_i64_e32 vcc, 0, v[15:16]
	v_not_b32_e32 v28, v16
	v_lshlrev_b32_e32 v16, 24, v24
	v_and_b32_e32 v22, v22, v25
	v_and_b32_e32 v21, v21, v26
	v_xor_b32_e32 v25, s5, v27
	v_xor_b32_e32 v26, s4, v27
	v_ashrrev_i32_e32 v27, 31, v28
	v_cmp_gt_i64_e64 s[4:5], 0, v[15:16]
	v_and_b32_e32 v22, v22, v25
	v_and_b32_e32 v21, v21, v26
	v_xor_b32_e32 v25, vcc_hi, v27
	v_xor_b32_e32 v26, vcc_lo, v27
	v_not_b32_e32 v16, v16
	v_and_b32_e32 v25, v22, v25
	v_and_b32_e32 v26, v21, v26
	v_ashrrev_i32_e32 v16, 31, v16
	s_waitcnt vmcnt(5)
	v_mad_u64_u32 v[21:22], s[6:7], v1, v23, v[0:1]
	v_xor_b32_e32 v27, s5, v16
	v_xor_b32_e32 v1, s4, v16
	v_mul_lo_u32 v16, v24, 36
	v_and_b32_e32 v1, v26, v1
	v_lshrrev_b32_e32 v32, 6, v21
	v_and_b32_e32 v2, v25, v27
	v_lshl_add_u32 v26, v32, 2, v16
	v_mbcnt_lo_u32_b32 v16, v1, 0
	v_mbcnt_hi_u32_b32 v21, v2, v16
	v_cmp_ne_u64_e32 vcc, 0, v[1:2]
	v_cmp_eq_u32_e64 s[4:5], 0, v21
	v_mul_u32_u24_e32 v25, 20, v0
	s_and_b64 s[6:7], vcc, s[4:5]
	ds_write2_b32 v25, v15, v15 offset0:8 offset1:9
	ds_write2_b32 v25, v15, v15 offset0:10 offset1:11
	ds_write_b32 v25, v15 offset:48
	s_waitcnt vmcnt(0) lgkmcnt(0)
	s_barrier
	; wave barrier
	s_and_saveexec_b64 s[4:5], s[6:7]
; %bb.78:
	v_bcnt_u32_b32 v1, v1, 0
	v_bcnt_u32_b32 v1, v2, v1
	ds_write_b32 v26, v1 offset:32
; %bb.79:
	s_or_b64 exec, exec, s[4:5]
	v_xor_b32_e32 v6, 0x80000000, v6
	v_lshrrev_b64 v[1:2], s44, v[5:6]
	v_and_b32_e32 v1, s17, v1
	v_mul_lo_u32 v2, v1, 36
	v_and_b32_e32 v16, 1, v1
	; wave barrier
	v_lshl_add_u32 v27, v32, 2, v2
	v_add_co_u32_e32 v2, vcc, -1, v16
	v_addc_co_u32_e64 v23, s[4:5], 0, -1, vcc
	v_cmp_ne_u32_e32 vcc, 0, v16
	v_xor_b32_e32 v16, vcc_hi, v23
	v_and_b32_e32 v23, exec_hi, v16
	v_lshlrev_b32_e32 v16, 30, v1
	v_xor_b32_e32 v2, vcc_lo, v2
	v_cmp_gt_i64_e32 vcc, 0, v[15:16]
	v_not_b32_e32 v16, v16
	v_ashrrev_i32_e32 v16, 31, v16
	v_and_b32_e32 v2, exec_lo, v2
	v_xor_b32_e32 v24, vcc_hi, v16
	v_xor_b32_e32 v16, vcc_lo, v16
	v_and_b32_e32 v2, v2, v16
	v_lshlrev_b32_e32 v16, 29, v1
	v_cmp_gt_i64_e32 vcc, 0, v[15:16]
	v_not_b32_e32 v16, v16
	v_ashrrev_i32_e32 v16, 31, v16
	v_and_b32_e32 v23, v23, v24
	v_xor_b32_e32 v24, vcc_hi, v16
	v_xor_b32_e32 v16, vcc_lo, v16
	v_and_b32_e32 v2, v2, v16
	v_lshlrev_b32_e32 v16, 28, v1
	v_cmp_gt_i64_e32 vcc, 0, v[15:16]
	v_not_b32_e32 v16, v16
	v_ashrrev_i32_e32 v16, 31, v16
	v_and_b32_e32 v23, v23, v24
	;; [unrolled: 8-line block ×5, first 2 shown]
	v_xor_b32_e32 v24, vcc_hi, v16
	v_xor_b32_e32 v16, vcc_lo, v16
	v_and_b32_e32 v23, v23, v24
	v_and_b32_e32 v24, v2, v16
	v_lshlrev_b32_e32 v16, 24, v1
	v_cmp_gt_i64_e32 vcc, 0, v[15:16]
	v_not_b32_e32 v1, v16
	v_ashrrev_i32_e32 v1, 31, v1
	v_xor_b32_e32 v2, vcc_hi, v1
	v_xor_b32_e32 v1, vcc_lo, v1
	ds_read_b32 v22, v27 offset:32
	v_and_b32_e32 v1, v24, v1
	v_and_b32_e32 v2, v23, v2
	v_mbcnt_lo_u32_b32 v15, v1, 0
	v_mbcnt_hi_u32_b32 v23, v2, v15
	v_cmp_ne_u64_e32 vcc, 0, v[1:2]
	v_cmp_eq_u32_e64 s[4:5], 0, v23
	s_and_b64 s[6:7], vcc, s[4:5]
	; wave barrier
	s_and_saveexec_b64 s[4:5], s[6:7]
	s_cbranch_execz .LBB1153_81
; %bb.80:
	v_bcnt_u32_b32 v1, v1, 0
	v_bcnt_u32_b32 v1, v2, v1
	s_waitcnt lgkmcnt(0)
	v_add_u32_e32 v1, v22, v1
	ds_write_b32 v27, v1 offset:32
.LBB1153_81:
	s_or_b64 exec, exec, s[4:5]
	v_xor_b32_e32 v8, 0x80000000, v8
	v_lshrrev_b64 v[1:2], s44, v[7:8]
	v_and_b32_e32 v15, s17, v1
	v_mul_lo_u32 v2, v15, 36
	v_and_b32_e32 v16, 1, v15
	v_mov_b32_e32 v1, 0
	; wave barrier
	v_lshl_add_u32 v30, v32, 2, v2
	v_add_co_u32_e32 v2, vcc, -1, v16
	v_addc_co_u32_e64 v28, s[4:5], 0, -1, vcc
	v_cmp_ne_u32_e32 vcc, 0, v16
	v_xor_b32_e32 v2, vcc_lo, v2
	v_xor_b32_e32 v16, vcc_hi, v28
	v_and_b32_e32 v28, exec_lo, v2
	v_lshlrev_b32_e32 v2, 30, v15
	v_cmp_gt_i64_e32 vcc, 0, v[1:2]
	v_not_b32_e32 v2, v2
	v_ashrrev_i32_e32 v2, 31, v2
	v_xor_b32_e32 v29, vcc_hi, v2
	v_xor_b32_e32 v2, vcc_lo, v2
	v_and_b32_e32 v28, v28, v2
	v_lshlrev_b32_e32 v2, 29, v15
	v_cmp_gt_i64_e32 vcc, 0, v[1:2]
	v_not_b32_e32 v2, v2
	v_and_b32_e32 v16, exec_hi, v16
	v_ashrrev_i32_e32 v2, 31, v2
	v_and_b32_e32 v16, v16, v29
	v_xor_b32_e32 v29, vcc_hi, v2
	v_xor_b32_e32 v2, vcc_lo, v2
	v_and_b32_e32 v28, v28, v2
	v_lshlrev_b32_e32 v2, 28, v15
	v_cmp_gt_i64_e32 vcc, 0, v[1:2]
	v_not_b32_e32 v2, v2
	v_ashrrev_i32_e32 v2, 31, v2
	v_and_b32_e32 v16, v16, v29
	v_xor_b32_e32 v29, vcc_hi, v2
	v_xor_b32_e32 v2, vcc_lo, v2
	v_and_b32_e32 v28, v28, v2
	v_lshlrev_b32_e32 v2, 27, v15
	v_cmp_gt_i64_e32 vcc, 0, v[1:2]
	v_not_b32_e32 v2, v2
	;; [unrolled: 8-line block ×5, first 2 shown]
	v_ashrrev_i32_e32 v2, 31, v2
	v_and_b32_e32 v16, v16, v29
	v_xor_b32_e32 v15, vcc_hi, v2
	v_xor_b32_e32 v2, vcc_lo, v2
	ds_read_b32 v24, v30 offset:32
	v_and_b32_e32 v16, v16, v15
	v_and_b32_e32 v15, v28, v2
	v_mbcnt_lo_u32_b32 v2, v15, 0
	v_mbcnt_hi_u32_b32 v28, v16, v2
	v_cmp_ne_u64_e32 vcc, 0, v[15:16]
	v_cmp_eq_u32_e64 s[4:5], 0, v28
	s_and_b64 s[6:7], vcc, s[4:5]
	; wave barrier
	s_and_saveexec_b64 s[4:5], s[6:7]
	s_cbranch_execz .LBB1153_83
; %bb.82:
	v_bcnt_u32_b32 v2, v15, 0
	v_bcnt_u32_b32 v2, v16, v2
	s_waitcnt lgkmcnt(0)
	v_add_u32_e32 v2, v24, v2
	ds_write_b32 v30, v2 offset:32
.LBB1153_83:
	s_or_b64 exec, exec, s[4:5]
	v_xor_b32_e32 v10, 0x80000000, v10
	v_lshrrev_b64 v[15:16], s44, v[9:10]
	v_and_b32_e32 v15, s17, v15
	v_mul_lo_u32 v2, v15, 36
	v_and_b32_e32 v16, 1, v15
	; wave barrier
	v_lshl_add_u32 v34, v32, 2, v2
	v_add_co_u32_e32 v2, vcc, -1, v16
	v_addc_co_u32_e64 v31, s[4:5], 0, -1, vcc
	v_cmp_ne_u32_e32 vcc, 0, v16
	v_xor_b32_e32 v2, vcc_lo, v2
	v_xor_b32_e32 v16, vcc_hi, v31
	v_and_b32_e32 v31, exec_lo, v2
	v_lshlrev_b32_e32 v2, 30, v15
	v_cmp_gt_i64_e32 vcc, 0, v[1:2]
	v_not_b32_e32 v2, v2
	v_ashrrev_i32_e32 v2, 31, v2
	v_xor_b32_e32 v33, vcc_hi, v2
	v_xor_b32_e32 v2, vcc_lo, v2
	v_and_b32_e32 v31, v31, v2
	v_lshlrev_b32_e32 v2, 29, v15
	v_cmp_gt_i64_e32 vcc, 0, v[1:2]
	v_not_b32_e32 v2, v2
	v_and_b32_e32 v16, exec_hi, v16
	v_ashrrev_i32_e32 v2, 31, v2
	v_and_b32_e32 v16, v16, v33
	v_xor_b32_e32 v33, vcc_hi, v2
	v_xor_b32_e32 v2, vcc_lo, v2
	v_and_b32_e32 v31, v31, v2
	v_lshlrev_b32_e32 v2, 28, v15
	v_cmp_gt_i64_e32 vcc, 0, v[1:2]
	v_not_b32_e32 v2, v2
	v_ashrrev_i32_e32 v2, 31, v2
	v_and_b32_e32 v16, v16, v33
	v_xor_b32_e32 v33, vcc_hi, v2
	v_xor_b32_e32 v2, vcc_lo, v2
	v_and_b32_e32 v31, v31, v2
	v_lshlrev_b32_e32 v2, 27, v15
	v_cmp_gt_i64_e32 vcc, 0, v[1:2]
	v_not_b32_e32 v2, v2
	;; [unrolled: 8-line block ×5, first 2 shown]
	v_ashrrev_i32_e32 v1, 31, v1
	v_xor_b32_e32 v2, vcc_hi, v1
	v_xor_b32_e32 v1, vcc_lo, v1
	ds_read_b32 v29, v34 offset:32
	v_and_b32_e32 v16, v16, v33
	v_and_b32_e32 v1, v31, v1
	;; [unrolled: 1-line block ×3, first 2 shown]
	v_mbcnt_lo_u32_b32 v15, v1, 0
	v_mbcnt_hi_u32_b32 v31, v2, v15
	v_cmp_ne_u64_e32 vcc, 0, v[1:2]
	v_cmp_eq_u32_e64 s[4:5], 0, v31
	s_and_b64 s[6:7], vcc, s[4:5]
	; wave barrier
	s_and_saveexec_b64 s[4:5], s[6:7]
	s_cbranch_execz .LBB1153_85
; %bb.84:
	v_bcnt_u32_b32 v1, v1, 0
	v_bcnt_u32_b32 v1, v2, v1
	s_waitcnt lgkmcnt(0)
	v_add_u32_e32 v1, v29, v1
	ds_write_b32 v34, v1 offset:32
.LBB1153_85:
	s_or_b64 exec, exec, s[4:5]
	v_xor_b32_e32 v12, 0x80000000, v12
	v_lshrrev_b64 v[1:2], s44, v[11:12]
	v_and_b32_e32 v15, s17, v1
	v_mul_lo_u32 v2, v15, 36
	v_and_b32_e32 v16, 1, v15
	v_mov_b32_e32 v1, 0
	; wave barrier
	v_lshl_add_u32 v37, v32, 2, v2
	v_add_co_u32_e32 v2, vcc, -1, v16
	v_addc_co_u32_e64 v35, s[4:5], 0, -1, vcc
	v_cmp_ne_u32_e32 vcc, 0, v16
	v_xor_b32_e32 v2, vcc_lo, v2
	v_xor_b32_e32 v16, vcc_hi, v35
	v_and_b32_e32 v35, exec_lo, v2
	v_lshlrev_b32_e32 v2, 30, v15
	v_cmp_gt_i64_e32 vcc, 0, v[1:2]
	v_not_b32_e32 v2, v2
	v_ashrrev_i32_e32 v2, 31, v2
	v_xor_b32_e32 v36, vcc_hi, v2
	v_xor_b32_e32 v2, vcc_lo, v2
	v_and_b32_e32 v35, v35, v2
	v_lshlrev_b32_e32 v2, 29, v15
	v_cmp_gt_i64_e32 vcc, 0, v[1:2]
	v_not_b32_e32 v2, v2
	v_and_b32_e32 v16, exec_hi, v16
	v_ashrrev_i32_e32 v2, 31, v2
	v_and_b32_e32 v16, v16, v36
	v_xor_b32_e32 v36, vcc_hi, v2
	v_xor_b32_e32 v2, vcc_lo, v2
	v_and_b32_e32 v35, v35, v2
	v_lshlrev_b32_e32 v2, 28, v15
	v_cmp_gt_i64_e32 vcc, 0, v[1:2]
	v_not_b32_e32 v2, v2
	v_ashrrev_i32_e32 v2, 31, v2
	v_and_b32_e32 v16, v16, v36
	v_xor_b32_e32 v36, vcc_hi, v2
	v_xor_b32_e32 v2, vcc_lo, v2
	v_and_b32_e32 v35, v35, v2
	v_lshlrev_b32_e32 v2, 27, v15
	v_cmp_gt_i64_e32 vcc, 0, v[1:2]
	v_not_b32_e32 v2, v2
	;; [unrolled: 8-line block ×5, first 2 shown]
	v_ashrrev_i32_e32 v2, 31, v2
	v_and_b32_e32 v16, v16, v36
	v_xor_b32_e32 v15, vcc_hi, v2
	v_xor_b32_e32 v2, vcc_lo, v2
	ds_read_b32 v33, v37 offset:32
	v_and_b32_e32 v16, v16, v15
	v_and_b32_e32 v15, v35, v2
	v_mbcnt_lo_u32_b32 v2, v15, 0
	v_mbcnt_hi_u32_b32 v35, v16, v2
	v_cmp_ne_u64_e32 vcc, 0, v[15:16]
	v_cmp_eq_u32_e64 s[4:5], 0, v35
	s_and_b64 s[6:7], vcc, s[4:5]
	; wave barrier
	s_and_saveexec_b64 s[4:5], s[6:7]
	s_cbranch_execz .LBB1153_87
; %bb.86:
	v_bcnt_u32_b32 v2, v15, 0
	v_bcnt_u32_b32 v2, v16, v2
	s_waitcnt lgkmcnt(0)
	v_add_u32_e32 v2, v33, v2
	ds_write_b32 v37, v2 offset:32
.LBB1153_87:
	s_or_b64 exec, exec, s[4:5]
	v_xor_b32_e32 v14, 0x80000000, v14
	v_lshrrev_b64 v[15:16], s44, v[13:14]
	v_and_b32_e32 v15, s17, v15
	v_mul_lo_u32 v2, v15, 36
	v_and_b32_e32 v16, 1, v15
	; wave barrier
	v_lshl_add_u32 v39, v32, 2, v2
	v_add_co_u32_e32 v2, vcc, -1, v16
	v_addc_co_u32_e64 v32, s[4:5], 0, -1, vcc
	v_cmp_ne_u32_e32 vcc, 0, v16
	v_xor_b32_e32 v2, vcc_lo, v2
	v_xor_b32_e32 v16, vcc_hi, v32
	v_and_b32_e32 v32, exec_lo, v2
	v_lshlrev_b32_e32 v2, 30, v15
	v_cmp_gt_i64_e32 vcc, 0, v[1:2]
	v_not_b32_e32 v2, v2
	v_ashrrev_i32_e32 v2, 31, v2
	v_xor_b32_e32 v38, vcc_hi, v2
	v_xor_b32_e32 v2, vcc_lo, v2
	v_and_b32_e32 v32, v32, v2
	v_lshlrev_b32_e32 v2, 29, v15
	v_cmp_gt_i64_e32 vcc, 0, v[1:2]
	v_not_b32_e32 v2, v2
	v_and_b32_e32 v16, exec_hi, v16
	v_ashrrev_i32_e32 v2, 31, v2
	v_and_b32_e32 v16, v16, v38
	v_xor_b32_e32 v38, vcc_hi, v2
	v_xor_b32_e32 v2, vcc_lo, v2
	v_and_b32_e32 v32, v32, v2
	v_lshlrev_b32_e32 v2, 28, v15
	v_cmp_gt_i64_e32 vcc, 0, v[1:2]
	v_not_b32_e32 v2, v2
	v_ashrrev_i32_e32 v2, 31, v2
	v_and_b32_e32 v16, v16, v38
	v_xor_b32_e32 v38, vcc_hi, v2
	v_xor_b32_e32 v2, vcc_lo, v2
	v_and_b32_e32 v32, v32, v2
	v_lshlrev_b32_e32 v2, 27, v15
	v_cmp_gt_i64_e32 vcc, 0, v[1:2]
	v_not_b32_e32 v2, v2
	;; [unrolled: 8-line block ×5, first 2 shown]
	v_ashrrev_i32_e32 v1, 31, v1
	v_xor_b32_e32 v2, vcc_hi, v1
	v_xor_b32_e32 v1, vcc_lo, v1
	ds_read_b32 v36, v39 offset:32
	v_and_b32_e32 v16, v16, v38
	v_and_b32_e32 v1, v32, v1
	;; [unrolled: 1-line block ×3, first 2 shown]
	v_mbcnt_lo_u32_b32 v15, v1, 0
	v_mbcnt_hi_u32_b32 v38, v2, v15
	v_cmp_ne_u64_e32 vcc, 0, v[1:2]
	v_cmp_eq_u32_e64 s[4:5], 0, v38
	s_and_b64 s[6:7], vcc, s[4:5]
	; wave barrier
	s_and_saveexec_b64 s[4:5], s[6:7]
	s_cbranch_execz .LBB1153_89
; %bb.88:
	v_bcnt_u32_b32 v1, v1, 0
	v_bcnt_u32_b32 v1, v2, v1
	s_waitcnt lgkmcnt(0)
	v_add_u32_e32 v1, v36, v1
	ds_write_b32 v39, v1 offset:32
.LBB1153_89:
	s_or_b64 exec, exec, s[4:5]
	; wave barrier
	s_waitcnt lgkmcnt(0)
	s_barrier
	ds_read2_b32 v[15:16], v25 offset0:8 offset1:9
	ds_read2_b32 v[1:2], v25 offset0:10 offset1:11
	ds_read_b32 v32, v25 offset:48
	v_min_u32_e32 v18, 0x1c0, v18
	v_or_b32_e32 v18, 63, v18
	s_waitcnt lgkmcnt(1)
	v_add3_u32 v40, v16, v15, v1
	s_waitcnt lgkmcnt(0)
	v_add3_u32 v32, v40, v2, v32
	v_and_b32_e32 v40, 15, v17
	v_cmp_ne_u32_e32 vcc, 0, v40
	v_mov_b32_dpp v41, v32 row_shr:1 row_mask:0xf bank_mask:0xf
	v_cndmask_b32_e32 v41, 0, v41, vcc
	v_add_u32_e32 v32, v41, v32
	v_cmp_lt_u32_e32 vcc, 1, v40
	s_nop 0
	v_mov_b32_dpp v41, v32 row_shr:2 row_mask:0xf bank_mask:0xf
	v_cndmask_b32_e32 v41, 0, v41, vcc
	v_add_u32_e32 v32, v32, v41
	v_cmp_lt_u32_e32 vcc, 3, v40
	s_nop 0
	v_mov_b32_dpp v41, v32 row_shr:4 row_mask:0xf bank_mask:0xf
	v_cndmask_b32_e32 v41, 0, v41, vcc
	v_add_u32_e32 v32, v32, v41
	v_cmp_lt_u32_e32 vcc, 7, v40
	s_nop 0
	v_mov_b32_dpp v41, v32 row_shr:8 row_mask:0xf bank_mask:0xf
	v_cndmask_b32_e32 v40, 0, v41, vcc
	v_add_u32_e32 v32, v32, v40
	v_bfe_i32 v41, v17, 4, 1
	v_cmp_lt_u32_e32 vcc, 31, v17
	v_mov_b32_dpp v40, v32 row_bcast:15 row_mask:0xf bank_mask:0xf
	v_and_b32_e32 v40, v41, v40
	v_add_u32_e32 v32, v32, v40
	v_lshrrev_b32_e32 v41, 6, v0
	s_nop 0
	v_mov_b32_dpp v40, v32 row_bcast:31 row_mask:0xf bank_mask:0xf
	v_cndmask_b32_e32 v40, 0, v40, vcc
	v_add_u32_e32 v40, v32, v40
	v_cmp_eq_u32_e32 vcc, v0, v18
	s_and_saveexec_b64 s[4:5], vcc
; %bb.90:
	v_lshlrev_b32_e32 v18, 2, v41
	ds_write_b32 v18, v40
; %bb.91:
	s_or_b64 exec, exec, s[4:5]
	v_cmp_gt_u32_e32 vcc, 8, v0
	v_lshlrev_b32_e32 v32, 2, v0
	s_waitcnt lgkmcnt(0)
	s_barrier
	s_and_saveexec_b64 s[4:5], vcc
	s_cbranch_execz .LBB1153_93
; %bb.92:
	ds_read_b32 v18, v32
	v_and_b32_e32 v42, 7, v17
	v_cmp_ne_u32_e32 vcc, 0, v42
	s_waitcnt lgkmcnt(0)
	v_mov_b32_dpp v43, v18 row_shr:1 row_mask:0xf bank_mask:0xf
	v_cndmask_b32_e32 v43, 0, v43, vcc
	v_add_u32_e32 v18, v43, v18
	v_cmp_lt_u32_e32 vcc, 1, v42
	s_nop 0
	v_mov_b32_dpp v43, v18 row_shr:2 row_mask:0xf bank_mask:0xf
	v_cndmask_b32_e32 v43, 0, v43, vcc
	v_add_u32_e32 v18, v18, v43
	v_cmp_lt_u32_e32 vcc, 3, v42
	s_nop 0
	v_mov_b32_dpp v43, v18 row_shr:4 row_mask:0xf bank_mask:0xf
	v_cndmask_b32_e32 v42, 0, v43, vcc
	v_add_u32_e32 v18, v18, v42
	ds_write_b32 v32, v18
.LBB1153_93:
	s_or_b64 exec, exec, s[4:5]
	v_cmp_lt_u32_e32 vcc, 63, v0
	v_mov_b32_e32 v18, 0
	s_waitcnt lgkmcnt(0)
	s_barrier
	s_and_saveexec_b64 s[4:5], vcc
; %bb.94:
	v_lshl_add_u32 v18, v41, 2, -4
	ds_read_b32 v18, v18
; %bb.95:
	s_or_b64 exec, exec, s[4:5]
	v_subrev_co_u32_e32 v41, vcc, 1, v17
	v_and_b32_e32 v42, 64, v17
	v_cmp_lt_i32_e64 s[4:5], v41, v42
	v_cndmask_b32_e64 v17, v41, v17, s[4:5]
	s_waitcnt lgkmcnt(0)
	v_add_u32_e32 v40, v18, v40
	v_lshlrev_b32_e32 v17, 2, v17
	ds_bpermute_b32 v17, v17, v40
	s_movk_i32 s4, 0xff
	s_movk_i32 s6, 0x100
	s_waitcnt lgkmcnt(0)
	v_cndmask_b32_e32 v17, v17, v18, vcc
	v_cndmask_b32_e64 v17, v17, 0, s[22:23]
	v_add_u32_e32 v15, v17, v15
	v_add_u32_e32 v16, v15, v16
	;; [unrolled: 1-line block ×4, first 2 shown]
	ds_write2_b32 v25, v17, v15 offset0:8 offset1:9
	ds_write2_b32 v25, v16, v1 offset0:10 offset1:11
	ds_write_b32 v25, v2 offset:48
	s_waitcnt lgkmcnt(0)
	s_barrier
	ds_read_b32 v40, v26 offset:32
	ds_read_b32 v27, v27 offset:32
	;; [unrolled: 1-line block ×6, first 2 shown]
	v_cmp_lt_u32_e32 vcc, s4, v0
	v_cmp_gt_u32_e64 s[4:5], s6, v0
                                        ; implicit-def: $vgpr25
                                        ; implicit-def: $vgpr26
	s_and_saveexec_b64 s[10:11], s[4:5]
	s_cbranch_execz .LBB1153_99
; %bb.96:
	v_mul_u32_u24_e32 v1, 36, v0
	ds_read_b32 v25, v1 offset:32
	v_add_u32_e32 v2, 1, v0
	v_cmp_ne_u32_e64 s[6:7], s6, v2
	v_mov_b32_e32 v1, 0xc00
	s_and_saveexec_b64 s[12:13], s[6:7]
; %bb.97:
	v_mul_u32_u24_e32 v1, 36, v2
	ds_read_b32 v1, v1 offset:32
; %bb.98:
	s_or_b64 exec, exec, s[12:13]
	s_waitcnt lgkmcnt(0)
	v_sub_u32_e32 v26, v1, v25
.LBB1153_99:
	s_or_b64 exec, exec, s[10:11]
	v_mov_b32_e32 v2, 0
	s_waitcnt lgkmcnt(0)
	s_barrier
	s_and_saveexec_b64 s[6:7], s[4:5]
	s_cbranch_execz .LBB1153_109
; %bb.100:
	v_lshl_add_u32 v1, s33, 8, v0
	v_lshlrev_b64 v[15:16], 2, v[1:2]
	v_mov_b32_e32 v41, s27
	v_add_co_u32_e64 v15, s[4:5], s26, v15
	v_addc_co_u32_e64 v16, s[4:5], v41, v16, s[4:5]
	v_or_b32_e32 v1, 2.0, v26
	s_mov_b64 s[10:11], 0
	s_brev_b32 s18, -4
	s_mov_b32 s19, s33
	v_mov_b32_e32 v42, 0
	global_store_dword v[15:16], v1, off
                                        ; implicit-def: $sgpr4_sgpr5
	s_branch .LBB1153_103
.LBB1153_101:                           ;   in Loop: Header=BB1153_103 Depth=1
	s_or_b64 exec, exec, s[14:15]
.LBB1153_102:                           ;   in Loop: Header=BB1153_103 Depth=1
	s_or_b64 exec, exec, s[12:13]
	v_and_b32_e32 v17, 0x3fffffff, v1
	v_add_u32_e32 v42, v17, v42
	v_cmp_gt_i32_e64 s[4:5], -2.0, v1
	s_and_b64 s[12:13], exec, s[4:5]
	s_or_b64 s[10:11], s[12:13], s[10:11]
	s_andn2_b64 exec, exec, s[10:11]
	s_cbranch_execz .LBB1153_108
.LBB1153_103:                           ; =>This Loop Header: Depth=1
                                        ;     Child Loop BB1153_106 Depth 2
	s_or_b64 s[4:5], s[4:5], exec
	s_cmp_eq_u32 s19, 0
	s_cbranch_scc1 .LBB1153_107
; %bb.104:                              ;   in Loop: Header=BB1153_103 Depth=1
	s_add_i32 s19, s19, -1
	v_lshl_or_b32 v1, s19, 8, v0
	v_lshlrev_b64 v[17:18], 2, v[1:2]
	v_add_co_u32_e64 v17, s[4:5], s26, v17
	v_addc_co_u32_e64 v18, s[4:5], v41, v18, s[4:5]
	global_load_dword v1, v[17:18], off glc
	s_waitcnt vmcnt(0)
	v_cmp_gt_u32_e64 s[4:5], 2.0, v1
	s_and_saveexec_b64 s[12:13], s[4:5]
	s_cbranch_execz .LBB1153_102
; %bb.105:                              ;   in Loop: Header=BB1153_103 Depth=1
	s_mov_b64 s[14:15], 0
.LBB1153_106:                           ;   Parent Loop BB1153_103 Depth=1
                                        ; =>  This Inner Loop Header: Depth=2
	global_load_dword v1, v[17:18], off glc
	s_waitcnt vmcnt(0)
	v_cmp_lt_u32_e64 s[4:5], s18, v1
	s_or_b64 s[14:15], s[4:5], s[14:15]
	s_andn2_b64 exec, exec, s[14:15]
	s_cbranch_execnz .LBB1153_106
	s_branch .LBB1153_101
.LBB1153_107:                           ;   in Loop: Header=BB1153_103 Depth=1
                                        ; implicit-def: $sgpr19
	s_and_b64 s[12:13], exec, s[4:5]
	s_or_b64 s[10:11], s[12:13], s[10:11]
	s_andn2_b64 exec, exec, s[10:11]
	s_cbranch_execnz .LBB1153_103
.LBB1153_108:
	s_or_b64 exec, exec, s[10:11]
	v_add_u32_e32 v1, v42, v26
	v_or_b32_e32 v1, 0x80000000, v1
	global_store_dword v[15:16], v1, off
	global_load_dword v1, v32, s[28:29]
	v_sub_u32_e32 v2, v42, v25
	s_waitcnt vmcnt(0)
	v_add_u32_e32 v1, v2, v1
	ds_write_b32 v32, v1
.LBB1153_109:
	s_or_b64 exec, exec, s[6:7]
	v_add_u32_e32 v15, v40, v21
	v_add3_u32 v16, v38, v39, v36
	v_add3_u32 v17, v35, v37, v33
	v_add3_u32 v18, v31, v34, v29
	v_add3_u32 v21, v28, v30, v24
	v_add3_u32 v22, v23, v27, v22
	s_mov_b32 s6, 0
	s_mov_b32 s7, 0
	v_add_u32_e32 v23, v32, v32
	v_mov_b32_e32 v2, 0
	v_mov_b32_e32 v24, s39
	s_movk_i32 s10, 0x200
	v_mov_b32_e32 v27, v0
.LBB1153_110:                           ; =>This Inner Loop Header: Depth=1
	v_add_u32_e32 v1, s7, v15
	v_add_u32_e32 v28, s7, v22
	;; [unrolled: 1-line block ×6, first 2 shown]
	v_min_u32_e32 v1, 0x400, v1
	v_min_u32_e32 v28, 0x400, v28
	;; [unrolled: 1-line block ×6, first 2 shown]
	v_lshlrev_b32_e32 v1, 3, v1
	v_lshlrev_b32_e32 v28, 3, v28
	;; [unrolled: 1-line block ×6, first 2 shown]
	ds_write_b64 v1, v[3:4] offset:1024
	ds_write_b64 v28, v[5:6] offset:1024
	;; [unrolled: 1-line block ×6, first 2 shown]
	s_waitcnt lgkmcnt(0)
	s_barrier
	ds_read2st64_b64 v[28:31], v23 offset0:2 offset1:10
	v_mov_b32_e32 v36, s6
	s_addk_i32 s7, 0xfc00
	s_add_i32 s6, s6, 8
	s_cmpk_lg_i32 s7, 0xf400
	s_waitcnt lgkmcnt(0)
	v_lshrrev_b64 v[33:34], s44, v[28:29]
	v_lshrrev_b64 v[34:35], s44, v[30:31]
	v_and_b32_e32 v1, s17, v33
	v_and_b32_e32 v33, s17, v34
	v_lshlrev_b32_e32 v34, 2, v1
	buffer_store_dword v1, v36, s[0:3], 0 offen
	buffer_store_dword v33, v36, s[0:3], 0 offen offset:4
	v_lshlrev_b32_e32 v1, 2, v33
	ds_read_b32 v33, v34
	ds_read_b32 v35, v1
	v_xor_b32_e32 v29, 0x80000000, v29
	v_xor_b32_e32 v31, 0x80000000, v31
	s_waitcnt lgkmcnt(1)
	v_add_u32_e32 v1, v27, v33
	v_lshlrev_b64 v[33:34], 3, v[1:2]
	s_waitcnt lgkmcnt(0)
	v_add3_u32 v1, v27, v35, s10
	v_lshlrev_b64 v[35:36], 3, v[1:2]
	v_add_co_u32_e64 v33, s[4:5], s38, v33
	v_addc_co_u32_e64 v34, s[4:5], v24, v34, s[4:5]
	global_store_dwordx2 v[33:34], v[28:29], off
	v_add_co_u32_e64 v28, s[4:5], s38, v35
	v_add_u32_e32 v27, 0x400, v27
	v_addc_co_u32_e64 v29, s[4:5], v24, v36, s[4:5]
	global_store_dwordx2 v[28:29], v[30:31], off
	s_waitcnt vmcnt(0)
	s_barrier
	s_cbranch_scc1 .LBB1153_110
; %bb.111:
	s_add_u32 s4, s40, s8
	s_addc_u32 s5, s41, s9
	v_mov_b32_e32 v1, s5
	v_add_co_u32_e64 v2, s[4:5], s4, v19
	v_addc_co_u32_e64 v1, s[4:5], 0, v1, s[4:5]
	v_add_co_u32_e64 v13, s[4:5], v2, v20
	v_addc_co_u32_e64 v14, s[4:5], 0, v1, s[4:5]
	global_load_dwordx2 v[1:2], v[13:14], off
	global_load_dwordx2 v[3:4], v[13:14], off offset:512
	global_load_dwordx2 v[5:6], v[13:14], off offset:1024
	;; [unrolled: 1-line block ×5, first 2 shown]
	v_mov_b32_e32 v14, 0
	s_mov_b32 s6, 0
	s_mov_b32 s7, 0
	v_mov_b32_e32 v19, s43
	s_movk_i32 s8, 0x200
.LBB1153_112:                           ; =>This Inner Loop Header: Depth=1
	v_add_u32_e32 v13, s7, v15
	v_add_u32_e32 v20, s7, v22
	;; [unrolled: 1-line block ×6, first 2 shown]
	v_min_u32_e32 v13, 0x400, v13
	v_min_u32_e32 v20, 0x400, v20
	v_mov_b32_e32 v30, s6
	v_min_u32_e32 v24, 0x400, v24
	v_min_u32_e32 v27, 0x400, v27
	;; [unrolled: 1-line block ×4, first 2 shown]
	v_lshlrev_b32_e32 v13, 3, v13
	v_lshlrev_b32_e32 v20, 3, v20
	;; [unrolled: 1-line block ×6, first 2 shown]
	s_waitcnt vmcnt(5)
	ds_write_b64 v13, v[1:2] offset:1024
	s_waitcnt vmcnt(4)
	ds_write_b64 v20, v[3:4] offset:1024
	;; [unrolled: 2-line block ×6, first 2 shown]
	s_waitcnt lgkmcnt(0)
	s_barrier
	buffer_load_dword v13, v30, s[0:3], 0 offen
	buffer_load_dword v20, v30, s[0:3], 0 offen offset:4
	ds_read2st64_b64 v[27:30], v23 offset0:2 offset1:10
	s_addk_i32 s7, 0xfc00
	s_add_i32 s6, s6, 8
	s_cmpk_lg_i32 s7, 0xf400
	s_waitcnt vmcnt(1)
	v_lshlrev_b32_e32 v13, 2, v13
	s_waitcnt vmcnt(0)
	v_lshlrev_b32_e32 v20, 2, v20
	ds_read_b32 v13, v13
	ds_read_b32 v20, v20
	s_waitcnt lgkmcnt(1)
	v_add_u32_e32 v13, v0, v13
	v_lshlrev_b64 v[33:34], 3, v[13:14]
	s_waitcnt lgkmcnt(0)
	v_add3_u32 v13, v0, v20, s8
	v_lshlrev_b64 v[35:36], 3, v[13:14]
	v_add_co_u32_e64 v33, s[4:5], s42, v33
	v_addc_co_u32_e64 v34, s[4:5], v19, v34, s[4:5]
	global_store_dwordx2 v[33:34], v[27:28], off
	v_add_co_u32_e64 v27, s[4:5], s42, v35
	v_add_u32_e32 v0, 0x400, v0
	v_addc_co_u32_e64 v28, s[4:5], v19, v36, s[4:5]
	global_store_dwordx2 v[27:28], v[29:30], off
	s_waitcnt vmcnt(0)
	s_barrier
	s_cbranch_scc1 .LBB1153_112
; %bb.113:
	s_add_i32 s16, s16, -1
	s_cmp_eq_u32 s33, s16
	s_cselect_b64 s[4:5], -1, 0
	s_xor_b64 s[6:7], vcc, -1
	s_and_b64 s[4:5], s[6:7], s[4:5]
	s_and_saveexec_b64 s[6:7], s[4:5]
	s_cbranch_execz .LBB1153_115
; %bb.114:
	ds_read_b32 v0, v32
	s_waitcnt lgkmcnt(0)
	v_add3_u32 v0, v25, v26, v0
	global_store_dword v32, v0, s[30:31]
.LBB1153_115:
	s_endpgm
	.section	.rodata,"a",@progbits
	.p2align	6, 0x0
	.amdhsa_kernel _ZN7rocprim17ROCPRIM_400000_NS6detail17trampoline_kernelINS0_14default_configENS1_35radix_sort_onesweep_config_selectorIllEEZZNS1_29radix_sort_onesweep_iterationIS3_Lb0EPlS7_N6thrust23THRUST_200600_302600_NS10device_ptrIlEESB_jNS0_19identity_decomposerENS1_16block_id_wrapperIjLb1EEEEE10hipError_tT1_PNSt15iterator_traitsISG_E10value_typeET2_T3_PNSH_ISM_E10value_typeET4_T5_PSR_SS_PNS1_23onesweep_lookback_stateEbbT6_jjT7_P12ihipStream_tbENKUlT_T0_SG_SL_E_clIS7_S7_S7_SB_EEDaSZ_S10_SG_SL_EUlSZ_E_NS1_11comp_targetILNS1_3genE2ELNS1_11target_archE906ELNS1_3gpuE6ELNS1_3repE0EEENS1_47radix_sort_onesweep_sort_config_static_selectorELNS0_4arch9wavefront6targetE1EEEvSG_
		.amdhsa_group_segment_fixed_size 10280
		.amdhsa_private_segment_fixed_size 32
		.amdhsa_kernarg_size 344
		.amdhsa_user_sgpr_count 6
		.amdhsa_user_sgpr_private_segment_buffer 1
		.amdhsa_user_sgpr_dispatch_ptr 0
		.amdhsa_user_sgpr_queue_ptr 0
		.amdhsa_user_sgpr_kernarg_segment_ptr 1
		.amdhsa_user_sgpr_dispatch_id 0
		.amdhsa_user_sgpr_flat_scratch_init 0
		.amdhsa_user_sgpr_private_segment_size 0
		.amdhsa_uses_dynamic_stack 0
		.amdhsa_system_sgpr_private_segment_wavefront_offset 1
		.amdhsa_system_sgpr_workgroup_id_x 1
		.amdhsa_system_sgpr_workgroup_id_y 0
		.amdhsa_system_sgpr_workgroup_id_z 0
		.amdhsa_system_sgpr_workgroup_info 0
		.amdhsa_system_vgpr_workitem_id 2
		.amdhsa_next_free_vgpr 47
		.amdhsa_next_free_sgpr 57
		.amdhsa_reserve_vcc 1
		.amdhsa_reserve_flat_scratch 0
		.amdhsa_float_round_mode_32 0
		.amdhsa_float_round_mode_16_64 0
		.amdhsa_float_denorm_mode_32 3
		.amdhsa_float_denorm_mode_16_64 3
		.amdhsa_dx10_clamp 1
		.amdhsa_ieee_mode 1
		.amdhsa_fp16_overflow 0
		.amdhsa_exception_fp_ieee_invalid_op 0
		.amdhsa_exception_fp_denorm_src 0
		.amdhsa_exception_fp_ieee_div_zero 0
		.amdhsa_exception_fp_ieee_overflow 0
		.amdhsa_exception_fp_ieee_underflow 0
		.amdhsa_exception_fp_ieee_inexact 0
		.amdhsa_exception_int_div_zero 0
	.end_amdhsa_kernel
	.section	.text._ZN7rocprim17ROCPRIM_400000_NS6detail17trampoline_kernelINS0_14default_configENS1_35radix_sort_onesweep_config_selectorIllEEZZNS1_29radix_sort_onesweep_iterationIS3_Lb0EPlS7_N6thrust23THRUST_200600_302600_NS10device_ptrIlEESB_jNS0_19identity_decomposerENS1_16block_id_wrapperIjLb1EEEEE10hipError_tT1_PNSt15iterator_traitsISG_E10value_typeET2_T3_PNSH_ISM_E10value_typeET4_T5_PSR_SS_PNS1_23onesweep_lookback_stateEbbT6_jjT7_P12ihipStream_tbENKUlT_T0_SG_SL_E_clIS7_S7_S7_SB_EEDaSZ_S10_SG_SL_EUlSZ_E_NS1_11comp_targetILNS1_3genE2ELNS1_11target_archE906ELNS1_3gpuE6ELNS1_3repE0EEENS1_47radix_sort_onesweep_sort_config_static_selectorELNS0_4arch9wavefront6targetE1EEEvSG_,"axG",@progbits,_ZN7rocprim17ROCPRIM_400000_NS6detail17trampoline_kernelINS0_14default_configENS1_35radix_sort_onesweep_config_selectorIllEEZZNS1_29radix_sort_onesweep_iterationIS3_Lb0EPlS7_N6thrust23THRUST_200600_302600_NS10device_ptrIlEESB_jNS0_19identity_decomposerENS1_16block_id_wrapperIjLb1EEEEE10hipError_tT1_PNSt15iterator_traitsISG_E10value_typeET2_T3_PNSH_ISM_E10value_typeET4_T5_PSR_SS_PNS1_23onesweep_lookback_stateEbbT6_jjT7_P12ihipStream_tbENKUlT_T0_SG_SL_E_clIS7_S7_S7_SB_EEDaSZ_S10_SG_SL_EUlSZ_E_NS1_11comp_targetILNS1_3genE2ELNS1_11target_archE906ELNS1_3gpuE6ELNS1_3repE0EEENS1_47radix_sort_onesweep_sort_config_static_selectorELNS0_4arch9wavefront6targetE1EEEvSG_,comdat
.Lfunc_end1153:
	.size	_ZN7rocprim17ROCPRIM_400000_NS6detail17trampoline_kernelINS0_14default_configENS1_35radix_sort_onesweep_config_selectorIllEEZZNS1_29radix_sort_onesweep_iterationIS3_Lb0EPlS7_N6thrust23THRUST_200600_302600_NS10device_ptrIlEESB_jNS0_19identity_decomposerENS1_16block_id_wrapperIjLb1EEEEE10hipError_tT1_PNSt15iterator_traitsISG_E10value_typeET2_T3_PNSH_ISM_E10value_typeET4_T5_PSR_SS_PNS1_23onesweep_lookback_stateEbbT6_jjT7_P12ihipStream_tbENKUlT_T0_SG_SL_E_clIS7_S7_S7_SB_EEDaSZ_S10_SG_SL_EUlSZ_E_NS1_11comp_targetILNS1_3genE2ELNS1_11target_archE906ELNS1_3gpuE6ELNS1_3repE0EEENS1_47radix_sort_onesweep_sort_config_static_selectorELNS0_4arch9wavefront6targetE1EEEvSG_, .Lfunc_end1153-_ZN7rocprim17ROCPRIM_400000_NS6detail17trampoline_kernelINS0_14default_configENS1_35radix_sort_onesweep_config_selectorIllEEZZNS1_29radix_sort_onesweep_iterationIS3_Lb0EPlS7_N6thrust23THRUST_200600_302600_NS10device_ptrIlEESB_jNS0_19identity_decomposerENS1_16block_id_wrapperIjLb1EEEEE10hipError_tT1_PNSt15iterator_traitsISG_E10value_typeET2_T3_PNSH_ISM_E10value_typeET4_T5_PSR_SS_PNS1_23onesweep_lookback_stateEbbT6_jjT7_P12ihipStream_tbENKUlT_T0_SG_SL_E_clIS7_S7_S7_SB_EEDaSZ_S10_SG_SL_EUlSZ_E_NS1_11comp_targetILNS1_3genE2ELNS1_11target_archE906ELNS1_3gpuE6ELNS1_3repE0EEENS1_47radix_sort_onesweep_sort_config_static_selectorELNS0_4arch9wavefront6targetE1EEEvSG_
                                        ; -- End function
	.set _ZN7rocprim17ROCPRIM_400000_NS6detail17trampoline_kernelINS0_14default_configENS1_35radix_sort_onesweep_config_selectorIllEEZZNS1_29radix_sort_onesweep_iterationIS3_Lb0EPlS7_N6thrust23THRUST_200600_302600_NS10device_ptrIlEESB_jNS0_19identity_decomposerENS1_16block_id_wrapperIjLb1EEEEE10hipError_tT1_PNSt15iterator_traitsISG_E10value_typeET2_T3_PNSH_ISM_E10value_typeET4_T5_PSR_SS_PNS1_23onesweep_lookback_stateEbbT6_jjT7_P12ihipStream_tbENKUlT_T0_SG_SL_E_clIS7_S7_S7_SB_EEDaSZ_S10_SG_SL_EUlSZ_E_NS1_11comp_targetILNS1_3genE2ELNS1_11target_archE906ELNS1_3gpuE6ELNS1_3repE0EEENS1_47radix_sort_onesweep_sort_config_static_selectorELNS0_4arch9wavefront6targetE1EEEvSG_.num_vgpr, 47
	.set _ZN7rocprim17ROCPRIM_400000_NS6detail17trampoline_kernelINS0_14default_configENS1_35radix_sort_onesweep_config_selectorIllEEZZNS1_29radix_sort_onesweep_iterationIS3_Lb0EPlS7_N6thrust23THRUST_200600_302600_NS10device_ptrIlEESB_jNS0_19identity_decomposerENS1_16block_id_wrapperIjLb1EEEEE10hipError_tT1_PNSt15iterator_traitsISG_E10value_typeET2_T3_PNSH_ISM_E10value_typeET4_T5_PSR_SS_PNS1_23onesweep_lookback_stateEbbT6_jjT7_P12ihipStream_tbENKUlT_T0_SG_SL_E_clIS7_S7_S7_SB_EEDaSZ_S10_SG_SL_EUlSZ_E_NS1_11comp_targetILNS1_3genE2ELNS1_11target_archE906ELNS1_3gpuE6ELNS1_3repE0EEENS1_47radix_sort_onesweep_sort_config_static_selectorELNS0_4arch9wavefront6targetE1EEEvSG_.num_agpr, 0
	.set _ZN7rocprim17ROCPRIM_400000_NS6detail17trampoline_kernelINS0_14default_configENS1_35radix_sort_onesweep_config_selectorIllEEZZNS1_29radix_sort_onesweep_iterationIS3_Lb0EPlS7_N6thrust23THRUST_200600_302600_NS10device_ptrIlEESB_jNS0_19identity_decomposerENS1_16block_id_wrapperIjLb1EEEEE10hipError_tT1_PNSt15iterator_traitsISG_E10value_typeET2_T3_PNSH_ISM_E10value_typeET4_T5_PSR_SS_PNS1_23onesweep_lookback_stateEbbT6_jjT7_P12ihipStream_tbENKUlT_T0_SG_SL_E_clIS7_S7_S7_SB_EEDaSZ_S10_SG_SL_EUlSZ_E_NS1_11comp_targetILNS1_3genE2ELNS1_11target_archE906ELNS1_3gpuE6ELNS1_3repE0EEENS1_47radix_sort_onesweep_sort_config_static_selectorELNS0_4arch9wavefront6targetE1EEEvSG_.numbered_sgpr, 57
	.set _ZN7rocprim17ROCPRIM_400000_NS6detail17trampoline_kernelINS0_14default_configENS1_35radix_sort_onesweep_config_selectorIllEEZZNS1_29radix_sort_onesweep_iterationIS3_Lb0EPlS7_N6thrust23THRUST_200600_302600_NS10device_ptrIlEESB_jNS0_19identity_decomposerENS1_16block_id_wrapperIjLb1EEEEE10hipError_tT1_PNSt15iterator_traitsISG_E10value_typeET2_T3_PNSH_ISM_E10value_typeET4_T5_PSR_SS_PNS1_23onesweep_lookback_stateEbbT6_jjT7_P12ihipStream_tbENKUlT_T0_SG_SL_E_clIS7_S7_S7_SB_EEDaSZ_S10_SG_SL_EUlSZ_E_NS1_11comp_targetILNS1_3genE2ELNS1_11target_archE906ELNS1_3gpuE6ELNS1_3repE0EEENS1_47radix_sort_onesweep_sort_config_static_selectorELNS0_4arch9wavefront6targetE1EEEvSG_.num_named_barrier, 0
	.set _ZN7rocprim17ROCPRIM_400000_NS6detail17trampoline_kernelINS0_14default_configENS1_35radix_sort_onesweep_config_selectorIllEEZZNS1_29radix_sort_onesweep_iterationIS3_Lb0EPlS7_N6thrust23THRUST_200600_302600_NS10device_ptrIlEESB_jNS0_19identity_decomposerENS1_16block_id_wrapperIjLb1EEEEE10hipError_tT1_PNSt15iterator_traitsISG_E10value_typeET2_T3_PNSH_ISM_E10value_typeET4_T5_PSR_SS_PNS1_23onesweep_lookback_stateEbbT6_jjT7_P12ihipStream_tbENKUlT_T0_SG_SL_E_clIS7_S7_S7_SB_EEDaSZ_S10_SG_SL_EUlSZ_E_NS1_11comp_targetILNS1_3genE2ELNS1_11target_archE906ELNS1_3gpuE6ELNS1_3repE0EEENS1_47radix_sort_onesweep_sort_config_static_selectorELNS0_4arch9wavefront6targetE1EEEvSG_.private_seg_size, 32
	.set _ZN7rocprim17ROCPRIM_400000_NS6detail17trampoline_kernelINS0_14default_configENS1_35radix_sort_onesweep_config_selectorIllEEZZNS1_29radix_sort_onesweep_iterationIS3_Lb0EPlS7_N6thrust23THRUST_200600_302600_NS10device_ptrIlEESB_jNS0_19identity_decomposerENS1_16block_id_wrapperIjLb1EEEEE10hipError_tT1_PNSt15iterator_traitsISG_E10value_typeET2_T3_PNSH_ISM_E10value_typeET4_T5_PSR_SS_PNS1_23onesweep_lookback_stateEbbT6_jjT7_P12ihipStream_tbENKUlT_T0_SG_SL_E_clIS7_S7_S7_SB_EEDaSZ_S10_SG_SL_EUlSZ_E_NS1_11comp_targetILNS1_3genE2ELNS1_11target_archE906ELNS1_3gpuE6ELNS1_3repE0EEENS1_47radix_sort_onesweep_sort_config_static_selectorELNS0_4arch9wavefront6targetE1EEEvSG_.uses_vcc, 1
	.set _ZN7rocprim17ROCPRIM_400000_NS6detail17trampoline_kernelINS0_14default_configENS1_35radix_sort_onesweep_config_selectorIllEEZZNS1_29radix_sort_onesweep_iterationIS3_Lb0EPlS7_N6thrust23THRUST_200600_302600_NS10device_ptrIlEESB_jNS0_19identity_decomposerENS1_16block_id_wrapperIjLb1EEEEE10hipError_tT1_PNSt15iterator_traitsISG_E10value_typeET2_T3_PNSH_ISM_E10value_typeET4_T5_PSR_SS_PNS1_23onesweep_lookback_stateEbbT6_jjT7_P12ihipStream_tbENKUlT_T0_SG_SL_E_clIS7_S7_S7_SB_EEDaSZ_S10_SG_SL_EUlSZ_E_NS1_11comp_targetILNS1_3genE2ELNS1_11target_archE906ELNS1_3gpuE6ELNS1_3repE0EEENS1_47radix_sort_onesweep_sort_config_static_selectorELNS0_4arch9wavefront6targetE1EEEvSG_.uses_flat_scratch, 0
	.set _ZN7rocprim17ROCPRIM_400000_NS6detail17trampoline_kernelINS0_14default_configENS1_35radix_sort_onesweep_config_selectorIllEEZZNS1_29radix_sort_onesweep_iterationIS3_Lb0EPlS7_N6thrust23THRUST_200600_302600_NS10device_ptrIlEESB_jNS0_19identity_decomposerENS1_16block_id_wrapperIjLb1EEEEE10hipError_tT1_PNSt15iterator_traitsISG_E10value_typeET2_T3_PNSH_ISM_E10value_typeET4_T5_PSR_SS_PNS1_23onesweep_lookback_stateEbbT6_jjT7_P12ihipStream_tbENKUlT_T0_SG_SL_E_clIS7_S7_S7_SB_EEDaSZ_S10_SG_SL_EUlSZ_E_NS1_11comp_targetILNS1_3genE2ELNS1_11target_archE906ELNS1_3gpuE6ELNS1_3repE0EEENS1_47radix_sort_onesweep_sort_config_static_selectorELNS0_4arch9wavefront6targetE1EEEvSG_.has_dyn_sized_stack, 0
	.set _ZN7rocprim17ROCPRIM_400000_NS6detail17trampoline_kernelINS0_14default_configENS1_35radix_sort_onesweep_config_selectorIllEEZZNS1_29radix_sort_onesweep_iterationIS3_Lb0EPlS7_N6thrust23THRUST_200600_302600_NS10device_ptrIlEESB_jNS0_19identity_decomposerENS1_16block_id_wrapperIjLb1EEEEE10hipError_tT1_PNSt15iterator_traitsISG_E10value_typeET2_T3_PNSH_ISM_E10value_typeET4_T5_PSR_SS_PNS1_23onesweep_lookback_stateEbbT6_jjT7_P12ihipStream_tbENKUlT_T0_SG_SL_E_clIS7_S7_S7_SB_EEDaSZ_S10_SG_SL_EUlSZ_E_NS1_11comp_targetILNS1_3genE2ELNS1_11target_archE906ELNS1_3gpuE6ELNS1_3repE0EEENS1_47radix_sort_onesweep_sort_config_static_selectorELNS0_4arch9wavefront6targetE1EEEvSG_.has_recursion, 0
	.set _ZN7rocprim17ROCPRIM_400000_NS6detail17trampoline_kernelINS0_14default_configENS1_35radix_sort_onesweep_config_selectorIllEEZZNS1_29radix_sort_onesweep_iterationIS3_Lb0EPlS7_N6thrust23THRUST_200600_302600_NS10device_ptrIlEESB_jNS0_19identity_decomposerENS1_16block_id_wrapperIjLb1EEEEE10hipError_tT1_PNSt15iterator_traitsISG_E10value_typeET2_T3_PNSH_ISM_E10value_typeET4_T5_PSR_SS_PNS1_23onesweep_lookback_stateEbbT6_jjT7_P12ihipStream_tbENKUlT_T0_SG_SL_E_clIS7_S7_S7_SB_EEDaSZ_S10_SG_SL_EUlSZ_E_NS1_11comp_targetILNS1_3genE2ELNS1_11target_archE906ELNS1_3gpuE6ELNS1_3repE0EEENS1_47radix_sort_onesweep_sort_config_static_selectorELNS0_4arch9wavefront6targetE1EEEvSG_.has_indirect_call, 0
	.section	.AMDGPU.csdata,"",@progbits
; Kernel info:
; codeLenInByte = 9964
; TotalNumSgprs: 61
; NumVgprs: 47
; ScratchSize: 32
; MemoryBound: 1
; FloatMode: 240
; IeeeMode: 1
; LDSByteSize: 10280 bytes/workgroup (compile time only)
; SGPRBlocks: 7
; VGPRBlocks: 11
; NumSGPRsForWavesPerEU: 61
; NumVGPRsForWavesPerEU: 47
; Occupancy: 5
; WaveLimiterHint : 1
; COMPUTE_PGM_RSRC2:SCRATCH_EN: 1
; COMPUTE_PGM_RSRC2:USER_SGPR: 6
; COMPUTE_PGM_RSRC2:TRAP_HANDLER: 0
; COMPUTE_PGM_RSRC2:TGID_X_EN: 1
; COMPUTE_PGM_RSRC2:TGID_Y_EN: 0
; COMPUTE_PGM_RSRC2:TGID_Z_EN: 0
; COMPUTE_PGM_RSRC2:TIDIG_COMP_CNT: 2
	.section	.text._ZN7rocprim17ROCPRIM_400000_NS6detail17trampoline_kernelINS0_14default_configENS1_35radix_sort_onesweep_config_selectorIllEEZZNS1_29radix_sort_onesweep_iterationIS3_Lb0EPlS7_N6thrust23THRUST_200600_302600_NS10device_ptrIlEESB_jNS0_19identity_decomposerENS1_16block_id_wrapperIjLb1EEEEE10hipError_tT1_PNSt15iterator_traitsISG_E10value_typeET2_T3_PNSH_ISM_E10value_typeET4_T5_PSR_SS_PNS1_23onesweep_lookback_stateEbbT6_jjT7_P12ihipStream_tbENKUlT_T0_SG_SL_E_clIS7_S7_S7_SB_EEDaSZ_S10_SG_SL_EUlSZ_E_NS1_11comp_targetILNS1_3genE4ELNS1_11target_archE910ELNS1_3gpuE8ELNS1_3repE0EEENS1_47radix_sort_onesweep_sort_config_static_selectorELNS0_4arch9wavefront6targetE1EEEvSG_,"axG",@progbits,_ZN7rocprim17ROCPRIM_400000_NS6detail17trampoline_kernelINS0_14default_configENS1_35radix_sort_onesweep_config_selectorIllEEZZNS1_29radix_sort_onesweep_iterationIS3_Lb0EPlS7_N6thrust23THRUST_200600_302600_NS10device_ptrIlEESB_jNS0_19identity_decomposerENS1_16block_id_wrapperIjLb1EEEEE10hipError_tT1_PNSt15iterator_traitsISG_E10value_typeET2_T3_PNSH_ISM_E10value_typeET4_T5_PSR_SS_PNS1_23onesweep_lookback_stateEbbT6_jjT7_P12ihipStream_tbENKUlT_T0_SG_SL_E_clIS7_S7_S7_SB_EEDaSZ_S10_SG_SL_EUlSZ_E_NS1_11comp_targetILNS1_3genE4ELNS1_11target_archE910ELNS1_3gpuE8ELNS1_3repE0EEENS1_47radix_sort_onesweep_sort_config_static_selectorELNS0_4arch9wavefront6targetE1EEEvSG_,comdat
	.protected	_ZN7rocprim17ROCPRIM_400000_NS6detail17trampoline_kernelINS0_14default_configENS1_35radix_sort_onesweep_config_selectorIllEEZZNS1_29radix_sort_onesweep_iterationIS3_Lb0EPlS7_N6thrust23THRUST_200600_302600_NS10device_ptrIlEESB_jNS0_19identity_decomposerENS1_16block_id_wrapperIjLb1EEEEE10hipError_tT1_PNSt15iterator_traitsISG_E10value_typeET2_T3_PNSH_ISM_E10value_typeET4_T5_PSR_SS_PNS1_23onesweep_lookback_stateEbbT6_jjT7_P12ihipStream_tbENKUlT_T0_SG_SL_E_clIS7_S7_S7_SB_EEDaSZ_S10_SG_SL_EUlSZ_E_NS1_11comp_targetILNS1_3genE4ELNS1_11target_archE910ELNS1_3gpuE8ELNS1_3repE0EEENS1_47radix_sort_onesweep_sort_config_static_selectorELNS0_4arch9wavefront6targetE1EEEvSG_ ; -- Begin function _ZN7rocprim17ROCPRIM_400000_NS6detail17trampoline_kernelINS0_14default_configENS1_35radix_sort_onesweep_config_selectorIllEEZZNS1_29radix_sort_onesweep_iterationIS3_Lb0EPlS7_N6thrust23THRUST_200600_302600_NS10device_ptrIlEESB_jNS0_19identity_decomposerENS1_16block_id_wrapperIjLb1EEEEE10hipError_tT1_PNSt15iterator_traitsISG_E10value_typeET2_T3_PNSH_ISM_E10value_typeET4_T5_PSR_SS_PNS1_23onesweep_lookback_stateEbbT6_jjT7_P12ihipStream_tbENKUlT_T0_SG_SL_E_clIS7_S7_S7_SB_EEDaSZ_S10_SG_SL_EUlSZ_E_NS1_11comp_targetILNS1_3genE4ELNS1_11target_archE910ELNS1_3gpuE8ELNS1_3repE0EEENS1_47radix_sort_onesweep_sort_config_static_selectorELNS0_4arch9wavefront6targetE1EEEvSG_
	.globl	_ZN7rocprim17ROCPRIM_400000_NS6detail17trampoline_kernelINS0_14default_configENS1_35radix_sort_onesweep_config_selectorIllEEZZNS1_29radix_sort_onesweep_iterationIS3_Lb0EPlS7_N6thrust23THRUST_200600_302600_NS10device_ptrIlEESB_jNS0_19identity_decomposerENS1_16block_id_wrapperIjLb1EEEEE10hipError_tT1_PNSt15iterator_traitsISG_E10value_typeET2_T3_PNSH_ISM_E10value_typeET4_T5_PSR_SS_PNS1_23onesweep_lookback_stateEbbT6_jjT7_P12ihipStream_tbENKUlT_T0_SG_SL_E_clIS7_S7_S7_SB_EEDaSZ_S10_SG_SL_EUlSZ_E_NS1_11comp_targetILNS1_3genE4ELNS1_11target_archE910ELNS1_3gpuE8ELNS1_3repE0EEENS1_47radix_sort_onesweep_sort_config_static_selectorELNS0_4arch9wavefront6targetE1EEEvSG_
	.p2align	8
	.type	_ZN7rocprim17ROCPRIM_400000_NS6detail17trampoline_kernelINS0_14default_configENS1_35radix_sort_onesweep_config_selectorIllEEZZNS1_29radix_sort_onesweep_iterationIS3_Lb0EPlS7_N6thrust23THRUST_200600_302600_NS10device_ptrIlEESB_jNS0_19identity_decomposerENS1_16block_id_wrapperIjLb1EEEEE10hipError_tT1_PNSt15iterator_traitsISG_E10value_typeET2_T3_PNSH_ISM_E10value_typeET4_T5_PSR_SS_PNS1_23onesweep_lookback_stateEbbT6_jjT7_P12ihipStream_tbENKUlT_T0_SG_SL_E_clIS7_S7_S7_SB_EEDaSZ_S10_SG_SL_EUlSZ_E_NS1_11comp_targetILNS1_3genE4ELNS1_11target_archE910ELNS1_3gpuE8ELNS1_3repE0EEENS1_47radix_sort_onesweep_sort_config_static_selectorELNS0_4arch9wavefront6targetE1EEEvSG_,@function
_ZN7rocprim17ROCPRIM_400000_NS6detail17trampoline_kernelINS0_14default_configENS1_35radix_sort_onesweep_config_selectorIllEEZZNS1_29radix_sort_onesweep_iterationIS3_Lb0EPlS7_N6thrust23THRUST_200600_302600_NS10device_ptrIlEESB_jNS0_19identity_decomposerENS1_16block_id_wrapperIjLb1EEEEE10hipError_tT1_PNSt15iterator_traitsISG_E10value_typeET2_T3_PNSH_ISM_E10value_typeET4_T5_PSR_SS_PNS1_23onesweep_lookback_stateEbbT6_jjT7_P12ihipStream_tbENKUlT_T0_SG_SL_E_clIS7_S7_S7_SB_EEDaSZ_S10_SG_SL_EUlSZ_E_NS1_11comp_targetILNS1_3genE4ELNS1_11target_archE910ELNS1_3gpuE8ELNS1_3repE0EEENS1_47radix_sort_onesweep_sort_config_static_selectorELNS0_4arch9wavefront6targetE1EEEvSG_: ; @_ZN7rocprim17ROCPRIM_400000_NS6detail17trampoline_kernelINS0_14default_configENS1_35radix_sort_onesweep_config_selectorIllEEZZNS1_29radix_sort_onesweep_iterationIS3_Lb0EPlS7_N6thrust23THRUST_200600_302600_NS10device_ptrIlEESB_jNS0_19identity_decomposerENS1_16block_id_wrapperIjLb1EEEEE10hipError_tT1_PNSt15iterator_traitsISG_E10value_typeET2_T3_PNSH_ISM_E10value_typeET4_T5_PSR_SS_PNS1_23onesweep_lookback_stateEbbT6_jjT7_P12ihipStream_tbENKUlT_T0_SG_SL_E_clIS7_S7_S7_SB_EEDaSZ_S10_SG_SL_EUlSZ_E_NS1_11comp_targetILNS1_3genE4ELNS1_11target_archE910ELNS1_3gpuE8ELNS1_3repE0EEENS1_47radix_sort_onesweep_sort_config_static_selectorELNS0_4arch9wavefront6targetE1EEEvSG_
; %bb.0:
	.section	.rodata,"a",@progbits
	.p2align	6, 0x0
	.amdhsa_kernel _ZN7rocprim17ROCPRIM_400000_NS6detail17trampoline_kernelINS0_14default_configENS1_35radix_sort_onesweep_config_selectorIllEEZZNS1_29radix_sort_onesweep_iterationIS3_Lb0EPlS7_N6thrust23THRUST_200600_302600_NS10device_ptrIlEESB_jNS0_19identity_decomposerENS1_16block_id_wrapperIjLb1EEEEE10hipError_tT1_PNSt15iterator_traitsISG_E10value_typeET2_T3_PNSH_ISM_E10value_typeET4_T5_PSR_SS_PNS1_23onesweep_lookback_stateEbbT6_jjT7_P12ihipStream_tbENKUlT_T0_SG_SL_E_clIS7_S7_S7_SB_EEDaSZ_S10_SG_SL_EUlSZ_E_NS1_11comp_targetILNS1_3genE4ELNS1_11target_archE910ELNS1_3gpuE8ELNS1_3repE0EEENS1_47radix_sort_onesweep_sort_config_static_selectorELNS0_4arch9wavefront6targetE1EEEvSG_
		.amdhsa_group_segment_fixed_size 0
		.amdhsa_private_segment_fixed_size 0
		.amdhsa_kernarg_size 88
		.amdhsa_user_sgpr_count 6
		.amdhsa_user_sgpr_private_segment_buffer 1
		.amdhsa_user_sgpr_dispatch_ptr 0
		.amdhsa_user_sgpr_queue_ptr 0
		.amdhsa_user_sgpr_kernarg_segment_ptr 1
		.amdhsa_user_sgpr_dispatch_id 0
		.amdhsa_user_sgpr_flat_scratch_init 0
		.amdhsa_user_sgpr_private_segment_size 0
		.amdhsa_uses_dynamic_stack 0
		.amdhsa_system_sgpr_private_segment_wavefront_offset 0
		.amdhsa_system_sgpr_workgroup_id_x 1
		.amdhsa_system_sgpr_workgroup_id_y 0
		.amdhsa_system_sgpr_workgroup_id_z 0
		.amdhsa_system_sgpr_workgroup_info 0
		.amdhsa_system_vgpr_workitem_id 0
		.amdhsa_next_free_vgpr 1
		.amdhsa_next_free_sgpr 0
		.amdhsa_reserve_vcc 0
		.amdhsa_reserve_flat_scratch 0
		.amdhsa_float_round_mode_32 0
		.amdhsa_float_round_mode_16_64 0
		.amdhsa_float_denorm_mode_32 3
		.amdhsa_float_denorm_mode_16_64 3
		.amdhsa_dx10_clamp 1
		.amdhsa_ieee_mode 1
		.amdhsa_fp16_overflow 0
		.amdhsa_exception_fp_ieee_invalid_op 0
		.amdhsa_exception_fp_denorm_src 0
		.amdhsa_exception_fp_ieee_div_zero 0
		.amdhsa_exception_fp_ieee_overflow 0
		.amdhsa_exception_fp_ieee_underflow 0
		.amdhsa_exception_fp_ieee_inexact 0
		.amdhsa_exception_int_div_zero 0
	.end_amdhsa_kernel
	.section	.text._ZN7rocprim17ROCPRIM_400000_NS6detail17trampoline_kernelINS0_14default_configENS1_35radix_sort_onesweep_config_selectorIllEEZZNS1_29radix_sort_onesweep_iterationIS3_Lb0EPlS7_N6thrust23THRUST_200600_302600_NS10device_ptrIlEESB_jNS0_19identity_decomposerENS1_16block_id_wrapperIjLb1EEEEE10hipError_tT1_PNSt15iterator_traitsISG_E10value_typeET2_T3_PNSH_ISM_E10value_typeET4_T5_PSR_SS_PNS1_23onesweep_lookback_stateEbbT6_jjT7_P12ihipStream_tbENKUlT_T0_SG_SL_E_clIS7_S7_S7_SB_EEDaSZ_S10_SG_SL_EUlSZ_E_NS1_11comp_targetILNS1_3genE4ELNS1_11target_archE910ELNS1_3gpuE8ELNS1_3repE0EEENS1_47radix_sort_onesweep_sort_config_static_selectorELNS0_4arch9wavefront6targetE1EEEvSG_,"axG",@progbits,_ZN7rocprim17ROCPRIM_400000_NS6detail17trampoline_kernelINS0_14default_configENS1_35radix_sort_onesweep_config_selectorIllEEZZNS1_29radix_sort_onesweep_iterationIS3_Lb0EPlS7_N6thrust23THRUST_200600_302600_NS10device_ptrIlEESB_jNS0_19identity_decomposerENS1_16block_id_wrapperIjLb1EEEEE10hipError_tT1_PNSt15iterator_traitsISG_E10value_typeET2_T3_PNSH_ISM_E10value_typeET4_T5_PSR_SS_PNS1_23onesweep_lookback_stateEbbT6_jjT7_P12ihipStream_tbENKUlT_T0_SG_SL_E_clIS7_S7_S7_SB_EEDaSZ_S10_SG_SL_EUlSZ_E_NS1_11comp_targetILNS1_3genE4ELNS1_11target_archE910ELNS1_3gpuE8ELNS1_3repE0EEENS1_47radix_sort_onesweep_sort_config_static_selectorELNS0_4arch9wavefront6targetE1EEEvSG_,comdat
.Lfunc_end1154:
	.size	_ZN7rocprim17ROCPRIM_400000_NS6detail17trampoline_kernelINS0_14default_configENS1_35radix_sort_onesweep_config_selectorIllEEZZNS1_29radix_sort_onesweep_iterationIS3_Lb0EPlS7_N6thrust23THRUST_200600_302600_NS10device_ptrIlEESB_jNS0_19identity_decomposerENS1_16block_id_wrapperIjLb1EEEEE10hipError_tT1_PNSt15iterator_traitsISG_E10value_typeET2_T3_PNSH_ISM_E10value_typeET4_T5_PSR_SS_PNS1_23onesweep_lookback_stateEbbT6_jjT7_P12ihipStream_tbENKUlT_T0_SG_SL_E_clIS7_S7_S7_SB_EEDaSZ_S10_SG_SL_EUlSZ_E_NS1_11comp_targetILNS1_3genE4ELNS1_11target_archE910ELNS1_3gpuE8ELNS1_3repE0EEENS1_47radix_sort_onesweep_sort_config_static_selectorELNS0_4arch9wavefront6targetE1EEEvSG_, .Lfunc_end1154-_ZN7rocprim17ROCPRIM_400000_NS6detail17trampoline_kernelINS0_14default_configENS1_35radix_sort_onesweep_config_selectorIllEEZZNS1_29radix_sort_onesweep_iterationIS3_Lb0EPlS7_N6thrust23THRUST_200600_302600_NS10device_ptrIlEESB_jNS0_19identity_decomposerENS1_16block_id_wrapperIjLb1EEEEE10hipError_tT1_PNSt15iterator_traitsISG_E10value_typeET2_T3_PNSH_ISM_E10value_typeET4_T5_PSR_SS_PNS1_23onesweep_lookback_stateEbbT6_jjT7_P12ihipStream_tbENKUlT_T0_SG_SL_E_clIS7_S7_S7_SB_EEDaSZ_S10_SG_SL_EUlSZ_E_NS1_11comp_targetILNS1_3genE4ELNS1_11target_archE910ELNS1_3gpuE8ELNS1_3repE0EEENS1_47radix_sort_onesweep_sort_config_static_selectorELNS0_4arch9wavefront6targetE1EEEvSG_
                                        ; -- End function
	.set _ZN7rocprim17ROCPRIM_400000_NS6detail17trampoline_kernelINS0_14default_configENS1_35radix_sort_onesweep_config_selectorIllEEZZNS1_29radix_sort_onesweep_iterationIS3_Lb0EPlS7_N6thrust23THRUST_200600_302600_NS10device_ptrIlEESB_jNS0_19identity_decomposerENS1_16block_id_wrapperIjLb1EEEEE10hipError_tT1_PNSt15iterator_traitsISG_E10value_typeET2_T3_PNSH_ISM_E10value_typeET4_T5_PSR_SS_PNS1_23onesweep_lookback_stateEbbT6_jjT7_P12ihipStream_tbENKUlT_T0_SG_SL_E_clIS7_S7_S7_SB_EEDaSZ_S10_SG_SL_EUlSZ_E_NS1_11comp_targetILNS1_3genE4ELNS1_11target_archE910ELNS1_3gpuE8ELNS1_3repE0EEENS1_47radix_sort_onesweep_sort_config_static_selectorELNS0_4arch9wavefront6targetE1EEEvSG_.num_vgpr, 0
	.set _ZN7rocprim17ROCPRIM_400000_NS6detail17trampoline_kernelINS0_14default_configENS1_35radix_sort_onesweep_config_selectorIllEEZZNS1_29radix_sort_onesweep_iterationIS3_Lb0EPlS7_N6thrust23THRUST_200600_302600_NS10device_ptrIlEESB_jNS0_19identity_decomposerENS1_16block_id_wrapperIjLb1EEEEE10hipError_tT1_PNSt15iterator_traitsISG_E10value_typeET2_T3_PNSH_ISM_E10value_typeET4_T5_PSR_SS_PNS1_23onesweep_lookback_stateEbbT6_jjT7_P12ihipStream_tbENKUlT_T0_SG_SL_E_clIS7_S7_S7_SB_EEDaSZ_S10_SG_SL_EUlSZ_E_NS1_11comp_targetILNS1_3genE4ELNS1_11target_archE910ELNS1_3gpuE8ELNS1_3repE0EEENS1_47radix_sort_onesweep_sort_config_static_selectorELNS0_4arch9wavefront6targetE1EEEvSG_.num_agpr, 0
	.set _ZN7rocprim17ROCPRIM_400000_NS6detail17trampoline_kernelINS0_14default_configENS1_35radix_sort_onesweep_config_selectorIllEEZZNS1_29radix_sort_onesweep_iterationIS3_Lb0EPlS7_N6thrust23THRUST_200600_302600_NS10device_ptrIlEESB_jNS0_19identity_decomposerENS1_16block_id_wrapperIjLb1EEEEE10hipError_tT1_PNSt15iterator_traitsISG_E10value_typeET2_T3_PNSH_ISM_E10value_typeET4_T5_PSR_SS_PNS1_23onesweep_lookback_stateEbbT6_jjT7_P12ihipStream_tbENKUlT_T0_SG_SL_E_clIS7_S7_S7_SB_EEDaSZ_S10_SG_SL_EUlSZ_E_NS1_11comp_targetILNS1_3genE4ELNS1_11target_archE910ELNS1_3gpuE8ELNS1_3repE0EEENS1_47radix_sort_onesweep_sort_config_static_selectorELNS0_4arch9wavefront6targetE1EEEvSG_.numbered_sgpr, 0
	.set _ZN7rocprim17ROCPRIM_400000_NS6detail17trampoline_kernelINS0_14default_configENS1_35radix_sort_onesweep_config_selectorIllEEZZNS1_29radix_sort_onesweep_iterationIS3_Lb0EPlS7_N6thrust23THRUST_200600_302600_NS10device_ptrIlEESB_jNS0_19identity_decomposerENS1_16block_id_wrapperIjLb1EEEEE10hipError_tT1_PNSt15iterator_traitsISG_E10value_typeET2_T3_PNSH_ISM_E10value_typeET4_T5_PSR_SS_PNS1_23onesweep_lookback_stateEbbT6_jjT7_P12ihipStream_tbENKUlT_T0_SG_SL_E_clIS7_S7_S7_SB_EEDaSZ_S10_SG_SL_EUlSZ_E_NS1_11comp_targetILNS1_3genE4ELNS1_11target_archE910ELNS1_3gpuE8ELNS1_3repE0EEENS1_47radix_sort_onesweep_sort_config_static_selectorELNS0_4arch9wavefront6targetE1EEEvSG_.num_named_barrier, 0
	.set _ZN7rocprim17ROCPRIM_400000_NS6detail17trampoline_kernelINS0_14default_configENS1_35radix_sort_onesweep_config_selectorIllEEZZNS1_29radix_sort_onesweep_iterationIS3_Lb0EPlS7_N6thrust23THRUST_200600_302600_NS10device_ptrIlEESB_jNS0_19identity_decomposerENS1_16block_id_wrapperIjLb1EEEEE10hipError_tT1_PNSt15iterator_traitsISG_E10value_typeET2_T3_PNSH_ISM_E10value_typeET4_T5_PSR_SS_PNS1_23onesweep_lookback_stateEbbT6_jjT7_P12ihipStream_tbENKUlT_T0_SG_SL_E_clIS7_S7_S7_SB_EEDaSZ_S10_SG_SL_EUlSZ_E_NS1_11comp_targetILNS1_3genE4ELNS1_11target_archE910ELNS1_3gpuE8ELNS1_3repE0EEENS1_47radix_sort_onesweep_sort_config_static_selectorELNS0_4arch9wavefront6targetE1EEEvSG_.private_seg_size, 0
	.set _ZN7rocprim17ROCPRIM_400000_NS6detail17trampoline_kernelINS0_14default_configENS1_35radix_sort_onesweep_config_selectorIllEEZZNS1_29radix_sort_onesweep_iterationIS3_Lb0EPlS7_N6thrust23THRUST_200600_302600_NS10device_ptrIlEESB_jNS0_19identity_decomposerENS1_16block_id_wrapperIjLb1EEEEE10hipError_tT1_PNSt15iterator_traitsISG_E10value_typeET2_T3_PNSH_ISM_E10value_typeET4_T5_PSR_SS_PNS1_23onesweep_lookback_stateEbbT6_jjT7_P12ihipStream_tbENKUlT_T0_SG_SL_E_clIS7_S7_S7_SB_EEDaSZ_S10_SG_SL_EUlSZ_E_NS1_11comp_targetILNS1_3genE4ELNS1_11target_archE910ELNS1_3gpuE8ELNS1_3repE0EEENS1_47radix_sort_onesweep_sort_config_static_selectorELNS0_4arch9wavefront6targetE1EEEvSG_.uses_vcc, 0
	.set _ZN7rocprim17ROCPRIM_400000_NS6detail17trampoline_kernelINS0_14default_configENS1_35radix_sort_onesweep_config_selectorIllEEZZNS1_29radix_sort_onesweep_iterationIS3_Lb0EPlS7_N6thrust23THRUST_200600_302600_NS10device_ptrIlEESB_jNS0_19identity_decomposerENS1_16block_id_wrapperIjLb1EEEEE10hipError_tT1_PNSt15iterator_traitsISG_E10value_typeET2_T3_PNSH_ISM_E10value_typeET4_T5_PSR_SS_PNS1_23onesweep_lookback_stateEbbT6_jjT7_P12ihipStream_tbENKUlT_T0_SG_SL_E_clIS7_S7_S7_SB_EEDaSZ_S10_SG_SL_EUlSZ_E_NS1_11comp_targetILNS1_3genE4ELNS1_11target_archE910ELNS1_3gpuE8ELNS1_3repE0EEENS1_47radix_sort_onesweep_sort_config_static_selectorELNS0_4arch9wavefront6targetE1EEEvSG_.uses_flat_scratch, 0
	.set _ZN7rocprim17ROCPRIM_400000_NS6detail17trampoline_kernelINS0_14default_configENS1_35radix_sort_onesweep_config_selectorIllEEZZNS1_29radix_sort_onesweep_iterationIS3_Lb0EPlS7_N6thrust23THRUST_200600_302600_NS10device_ptrIlEESB_jNS0_19identity_decomposerENS1_16block_id_wrapperIjLb1EEEEE10hipError_tT1_PNSt15iterator_traitsISG_E10value_typeET2_T3_PNSH_ISM_E10value_typeET4_T5_PSR_SS_PNS1_23onesweep_lookback_stateEbbT6_jjT7_P12ihipStream_tbENKUlT_T0_SG_SL_E_clIS7_S7_S7_SB_EEDaSZ_S10_SG_SL_EUlSZ_E_NS1_11comp_targetILNS1_3genE4ELNS1_11target_archE910ELNS1_3gpuE8ELNS1_3repE0EEENS1_47radix_sort_onesweep_sort_config_static_selectorELNS0_4arch9wavefront6targetE1EEEvSG_.has_dyn_sized_stack, 0
	.set _ZN7rocprim17ROCPRIM_400000_NS6detail17trampoline_kernelINS0_14default_configENS1_35radix_sort_onesweep_config_selectorIllEEZZNS1_29radix_sort_onesweep_iterationIS3_Lb0EPlS7_N6thrust23THRUST_200600_302600_NS10device_ptrIlEESB_jNS0_19identity_decomposerENS1_16block_id_wrapperIjLb1EEEEE10hipError_tT1_PNSt15iterator_traitsISG_E10value_typeET2_T3_PNSH_ISM_E10value_typeET4_T5_PSR_SS_PNS1_23onesweep_lookback_stateEbbT6_jjT7_P12ihipStream_tbENKUlT_T0_SG_SL_E_clIS7_S7_S7_SB_EEDaSZ_S10_SG_SL_EUlSZ_E_NS1_11comp_targetILNS1_3genE4ELNS1_11target_archE910ELNS1_3gpuE8ELNS1_3repE0EEENS1_47radix_sort_onesweep_sort_config_static_selectorELNS0_4arch9wavefront6targetE1EEEvSG_.has_recursion, 0
	.set _ZN7rocprim17ROCPRIM_400000_NS6detail17trampoline_kernelINS0_14default_configENS1_35radix_sort_onesweep_config_selectorIllEEZZNS1_29radix_sort_onesweep_iterationIS3_Lb0EPlS7_N6thrust23THRUST_200600_302600_NS10device_ptrIlEESB_jNS0_19identity_decomposerENS1_16block_id_wrapperIjLb1EEEEE10hipError_tT1_PNSt15iterator_traitsISG_E10value_typeET2_T3_PNSH_ISM_E10value_typeET4_T5_PSR_SS_PNS1_23onesweep_lookback_stateEbbT6_jjT7_P12ihipStream_tbENKUlT_T0_SG_SL_E_clIS7_S7_S7_SB_EEDaSZ_S10_SG_SL_EUlSZ_E_NS1_11comp_targetILNS1_3genE4ELNS1_11target_archE910ELNS1_3gpuE8ELNS1_3repE0EEENS1_47radix_sort_onesweep_sort_config_static_selectorELNS0_4arch9wavefront6targetE1EEEvSG_.has_indirect_call, 0
	.section	.AMDGPU.csdata,"",@progbits
; Kernel info:
; codeLenInByte = 0
; TotalNumSgprs: 4
; NumVgprs: 0
; ScratchSize: 0
; MemoryBound: 0
; FloatMode: 240
; IeeeMode: 1
; LDSByteSize: 0 bytes/workgroup (compile time only)
; SGPRBlocks: 0
; VGPRBlocks: 0
; NumSGPRsForWavesPerEU: 4
; NumVGPRsForWavesPerEU: 1
; Occupancy: 10
; WaveLimiterHint : 0
; COMPUTE_PGM_RSRC2:SCRATCH_EN: 0
; COMPUTE_PGM_RSRC2:USER_SGPR: 6
; COMPUTE_PGM_RSRC2:TRAP_HANDLER: 0
; COMPUTE_PGM_RSRC2:TGID_X_EN: 1
; COMPUTE_PGM_RSRC2:TGID_Y_EN: 0
; COMPUTE_PGM_RSRC2:TGID_Z_EN: 0
; COMPUTE_PGM_RSRC2:TIDIG_COMP_CNT: 0
	.section	.text._ZN7rocprim17ROCPRIM_400000_NS6detail17trampoline_kernelINS0_14default_configENS1_35radix_sort_onesweep_config_selectorIllEEZZNS1_29radix_sort_onesweep_iterationIS3_Lb0EPlS7_N6thrust23THRUST_200600_302600_NS10device_ptrIlEESB_jNS0_19identity_decomposerENS1_16block_id_wrapperIjLb1EEEEE10hipError_tT1_PNSt15iterator_traitsISG_E10value_typeET2_T3_PNSH_ISM_E10value_typeET4_T5_PSR_SS_PNS1_23onesweep_lookback_stateEbbT6_jjT7_P12ihipStream_tbENKUlT_T0_SG_SL_E_clIS7_S7_S7_SB_EEDaSZ_S10_SG_SL_EUlSZ_E_NS1_11comp_targetILNS1_3genE3ELNS1_11target_archE908ELNS1_3gpuE7ELNS1_3repE0EEENS1_47radix_sort_onesweep_sort_config_static_selectorELNS0_4arch9wavefront6targetE1EEEvSG_,"axG",@progbits,_ZN7rocprim17ROCPRIM_400000_NS6detail17trampoline_kernelINS0_14default_configENS1_35radix_sort_onesweep_config_selectorIllEEZZNS1_29radix_sort_onesweep_iterationIS3_Lb0EPlS7_N6thrust23THRUST_200600_302600_NS10device_ptrIlEESB_jNS0_19identity_decomposerENS1_16block_id_wrapperIjLb1EEEEE10hipError_tT1_PNSt15iterator_traitsISG_E10value_typeET2_T3_PNSH_ISM_E10value_typeET4_T5_PSR_SS_PNS1_23onesweep_lookback_stateEbbT6_jjT7_P12ihipStream_tbENKUlT_T0_SG_SL_E_clIS7_S7_S7_SB_EEDaSZ_S10_SG_SL_EUlSZ_E_NS1_11comp_targetILNS1_3genE3ELNS1_11target_archE908ELNS1_3gpuE7ELNS1_3repE0EEENS1_47radix_sort_onesweep_sort_config_static_selectorELNS0_4arch9wavefront6targetE1EEEvSG_,comdat
	.protected	_ZN7rocprim17ROCPRIM_400000_NS6detail17trampoline_kernelINS0_14default_configENS1_35radix_sort_onesweep_config_selectorIllEEZZNS1_29radix_sort_onesweep_iterationIS3_Lb0EPlS7_N6thrust23THRUST_200600_302600_NS10device_ptrIlEESB_jNS0_19identity_decomposerENS1_16block_id_wrapperIjLb1EEEEE10hipError_tT1_PNSt15iterator_traitsISG_E10value_typeET2_T3_PNSH_ISM_E10value_typeET4_T5_PSR_SS_PNS1_23onesweep_lookback_stateEbbT6_jjT7_P12ihipStream_tbENKUlT_T0_SG_SL_E_clIS7_S7_S7_SB_EEDaSZ_S10_SG_SL_EUlSZ_E_NS1_11comp_targetILNS1_3genE3ELNS1_11target_archE908ELNS1_3gpuE7ELNS1_3repE0EEENS1_47radix_sort_onesweep_sort_config_static_selectorELNS0_4arch9wavefront6targetE1EEEvSG_ ; -- Begin function _ZN7rocprim17ROCPRIM_400000_NS6detail17trampoline_kernelINS0_14default_configENS1_35radix_sort_onesweep_config_selectorIllEEZZNS1_29radix_sort_onesweep_iterationIS3_Lb0EPlS7_N6thrust23THRUST_200600_302600_NS10device_ptrIlEESB_jNS0_19identity_decomposerENS1_16block_id_wrapperIjLb1EEEEE10hipError_tT1_PNSt15iterator_traitsISG_E10value_typeET2_T3_PNSH_ISM_E10value_typeET4_T5_PSR_SS_PNS1_23onesweep_lookback_stateEbbT6_jjT7_P12ihipStream_tbENKUlT_T0_SG_SL_E_clIS7_S7_S7_SB_EEDaSZ_S10_SG_SL_EUlSZ_E_NS1_11comp_targetILNS1_3genE3ELNS1_11target_archE908ELNS1_3gpuE7ELNS1_3repE0EEENS1_47radix_sort_onesweep_sort_config_static_selectorELNS0_4arch9wavefront6targetE1EEEvSG_
	.globl	_ZN7rocprim17ROCPRIM_400000_NS6detail17trampoline_kernelINS0_14default_configENS1_35radix_sort_onesweep_config_selectorIllEEZZNS1_29radix_sort_onesweep_iterationIS3_Lb0EPlS7_N6thrust23THRUST_200600_302600_NS10device_ptrIlEESB_jNS0_19identity_decomposerENS1_16block_id_wrapperIjLb1EEEEE10hipError_tT1_PNSt15iterator_traitsISG_E10value_typeET2_T3_PNSH_ISM_E10value_typeET4_T5_PSR_SS_PNS1_23onesweep_lookback_stateEbbT6_jjT7_P12ihipStream_tbENKUlT_T0_SG_SL_E_clIS7_S7_S7_SB_EEDaSZ_S10_SG_SL_EUlSZ_E_NS1_11comp_targetILNS1_3genE3ELNS1_11target_archE908ELNS1_3gpuE7ELNS1_3repE0EEENS1_47radix_sort_onesweep_sort_config_static_selectorELNS0_4arch9wavefront6targetE1EEEvSG_
	.p2align	8
	.type	_ZN7rocprim17ROCPRIM_400000_NS6detail17trampoline_kernelINS0_14default_configENS1_35radix_sort_onesweep_config_selectorIllEEZZNS1_29radix_sort_onesweep_iterationIS3_Lb0EPlS7_N6thrust23THRUST_200600_302600_NS10device_ptrIlEESB_jNS0_19identity_decomposerENS1_16block_id_wrapperIjLb1EEEEE10hipError_tT1_PNSt15iterator_traitsISG_E10value_typeET2_T3_PNSH_ISM_E10value_typeET4_T5_PSR_SS_PNS1_23onesweep_lookback_stateEbbT6_jjT7_P12ihipStream_tbENKUlT_T0_SG_SL_E_clIS7_S7_S7_SB_EEDaSZ_S10_SG_SL_EUlSZ_E_NS1_11comp_targetILNS1_3genE3ELNS1_11target_archE908ELNS1_3gpuE7ELNS1_3repE0EEENS1_47radix_sort_onesweep_sort_config_static_selectorELNS0_4arch9wavefront6targetE1EEEvSG_,@function
_ZN7rocprim17ROCPRIM_400000_NS6detail17trampoline_kernelINS0_14default_configENS1_35radix_sort_onesweep_config_selectorIllEEZZNS1_29radix_sort_onesweep_iterationIS3_Lb0EPlS7_N6thrust23THRUST_200600_302600_NS10device_ptrIlEESB_jNS0_19identity_decomposerENS1_16block_id_wrapperIjLb1EEEEE10hipError_tT1_PNSt15iterator_traitsISG_E10value_typeET2_T3_PNSH_ISM_E10value_typeET4_T5_PSR_SS_PNS1_23onesweep_lookback_stateEbbT6_jjT7_P12ihipStream_tbENKUlT_T0_SG_SL_E_clIS7_S7_S7_SB_EEDaSZ_S10_SG_SL_EUlSZ_E_NS1_11comp_targetILNS1_3genE3ELNS1_11target_archE908ELNS1_3gpuE7ELNS1_3repE0EEENS1_47radix_sort_onesweep_sort_config_static_selectorELNS0_4arch9wavefront6targetE1EEEvSG_: ; @_ZN7rocprim17ROCPRIM_400000_NS6detail17trampoline_kernelINS0_14default_configENS1_35radix_sort_onesweep_config_selectorIllEEZZNS1_29radix_sort_onesweep_iterationIS3_Lb0EPlS7_N6thrust23THRUST_200600_302600_NS10device_ptrIlEESB_jNS0_19identity_decomposerENS1_16block_id_wrapperIjLb1EEEEE10hipError_tT1_PNSt15iterator_traitsISG_E10value_typeET2_T3_PNSH_ISM_E10value_typeET4_T5_PSR_SS_PNS1_23onesweep_lookback_stateEbbT6_jjT7_P12ihipStream_tbENKUlT_T0_SG_SL_E_clIS7_S7_S7_SB_EEDaSZ_S10_SG_SL_EUlSZ_E_NS1_11comp_targetILNS1_3genE3ELNS1_11target_archE908ELNS1_3gpuE7ELNS1_3repE0EEENS1_47radix_sort_onesweep_sort_config_static_selectorELNS0_4arch9wavefront6targetE1EEEvSG_
; %bb.0:
	.section	.rodata,"a",@progbits
	.p2align	6, 0x0
	.amdhsa_kernel _ZN7rocprim17ROCPRIM_400000_NS6detail17trampoline_kernelINS0_14default_configENS1_35radix_sort_onesweep_config_selectorIllEEZZNS1_29radix_sort_onesweep_iterationIS3_Lb0EPlS7_N6thrust23THRUST_200600_302600_NS10device_ptrIlEESB_jNS0_19identity_decomposerENS1_16block_id_wrapperIjLb1EEEEE10hipError_tT1_PNSt15iterator_traitsISG_E10value_typeET2_T3_PNSH_ISM_E10value_typeET4_T5_PSR_SS_PNS1_23onesweep_lookback_stateEbbT6_jjT7_P12ihipStream_tbENKUlT_T0_SG_SL_E_clIS7_S7_S7_SB_EEDaSZ_S10_SG_SL_EUlSZ_E_NS1_11comp_targetILNS1_3genE3ELNS1_11target_archE908ELNS1_3gpuE7ELNS1_3repE0EEENS1_47radix_sort_onesweep_sort_config_static_selectorELNS0_4arch9wavefront6targetE1EEEvSG_
		.amdhsa_group_segment_fixed_size 0
		.amdhsa_private_segment_fixed_size 0
		.amdhsa_kernarg_size 88
		.amdhsa_user_sgpr_count 6
		.amdhsa_user_sgpr_private_segment_buffer 1
		.amdhsa_user_sgpr_dispatch_ptr 0
		.amdhsa_user_sgpr_queue_ptr 0
		.amdhsa_user_sgpr_kernarg_segment_ptr 1
		.amdhsa_user_sgpr_dispatch_id 0
		.amdhsa_user_sgpr_flat_scratch_init 0
		.amdhsa_user_sgpr_private_segment_size 0
		.amdhsa_uses_dynamic_stack 0
		.amdhsa_system_sgpr_private_segment_wavefront_offset 0
		.amdhsa_system_sgpr_workgroup_id_x 1
		.amdhsa_system_sgpr_workgroup_id_y 0
		.amdhsa_system_sgpr_workgroup_id_z 0
		.amdhsa_system_sgpr_workgroup_info 0
		.amdhsa_system_vgpr_workitem_id 0
		.amdhsa_next_free_vgpr 1
		.amdhsa_next_free_sgpr 0
		.amdhsa_reserve_vcc 0
		.amdhsa_reserve_flat_scratch 0
		.amdhsa_float_round_mode_32 0
		.amdhsa_float_round_mode_16_64 0
		.amdhsa_float_denorm_mode_32 3
		.amdhsa_float_denorm_mode_16_64 3
		.amdhsa_dx10_clamp 1
		.amdhsa_ieee_mode 1
		.amdhsa_fp16_overflow 0
		.amdhsa_exception_fp_ieee_invalid_op 0
		.amdhsa_exception_fp_denorm_src 0
		.amdhsa_exception_fp_ieee_div_zero 0
		.amdhsa_exception_fp_ieee_overflow 0
		.amdhsa_exception_fp_ieee_underflow 0
		.amdhsa_exception_fp_ieee_inexact 0
		.amdhsa_exception_int_div_zero 0
	.end_amdhsa_kernel
	.section	.text._ZN7rocprim17ROCPRIM_400000_NS6detail17trampoline_kernelINS0_14default_configENS1_35radix_sort_onesweep_config_selectorIllEEZZNS1_29radix_sort_onesweep_iterationIS3_Lb0EPlS7_N6thrust23THRUST_200600_302600_NS10device_ptrIlEESB_jNS0_19identity_decomposerENS1_16block_id_wrapperIjLb1EEEEE10hipError_tT1_PNSt15iterator_traitsISG_E10value_typeET2_T3_PNSH_ISM_E10value_typeET4_T5_PSR_SS_PNS1_23onesweep_lookback_stateEbbT6_jjT7_P12ihipStream_tbENKUlT_T0_SG_SL_E_clIS7_S7_S7_SB_EEDaSZ_S10_SG_SL_EUlSZ_E_NS1_11comp_targetILNS1_3genE3ELNS1_11target_archE908ELNS1_3gpuE7ELNS1_3repE0EEENS1_47radix_sort_onesweep_sort_config_static_selectorELNS0_4arch9wavefront6targetE1EEEvSG_,"axG",@progbits,_ZN7rocprim17ROCPRIM_400000_NS6detail17trampoline_kernelINS0_14default_configENS1_35radix_sort_onesweep_config_selectorIllEEZZNS1_29radix_sort_onesweep_iterationIS3_Lb0EPlS7_N6thrust23THRUST_200600_302600_NS10device_ptrIlEESB_jNS0_19identity_decomposerENS1_16block_id_wrapperIjLb1EEEEE10hipError_tT1_PNSt15iterator_traitsISG_E10value_typeET2_T3_PNSH_ISM_E10value_typeET4_T5_PSR_SS_PNS1_23onesweep_lookback_stateEbbT6_jjT7_P12ihipStream_tbENKUlT_T0_SG_SL_E_clIS7_S7_S7_SB_EEDaSZ_S10_SG_SL_EUlSZ_E_NS1_11comp_targetILNS1_3genE3ELNS1_11target_archE908ELNS1_3gpuE7ELNS1_3repE0EEENS1_47radix_sort_onesweep_sort_config_static_selectorELNS0_4arch9wavefront6targetE1EEEvSG_,comdat
.Lfunc_end1155:
	.size	_ZN7rocprim17ROCPRIM_400000_NS6detail17trampoline_kernelINS0_14default_configENS1_35radix_sort_onesweep_config_selectorIllEEZZNS1_29radix_sort_onesweep_iterationIS3_Lb0EPlS7_N6thrust23THRUST_200600_302600_NS10device_ptrIlEESB_jNS0_19identity_decomposerENS1_16block_id_wrapperIjLb1EEEEE10hipError_tT1_PNSt15iterator_traitsISG_E10value_typeET2_T3_PNSH_ISM_E10value_typeET4_T5_PSR_SS_PNS1_23onesweep_lookback_stateEbbT6_jjT7_P12ihipStream_tbENKUlT_T0_SG_SL_E_clIS7_S7_S7_SB_EEDaSZ_S10_SG_SL_EUlSZ_E_NS1_11comp_targetILNS1_3genE3ELNS1_11target_archE908ELNS1_3gpuE7ELNS1_3repE0EEENS1_47radix_sort_onesweep_sort_config_static_selectorELNS0_4arch9wavefront6targetE1EEEvSG_, .Lfunc_end1155-_ZN7rocprim17ROCPRIM_400000_NS6detail17trampoline_kernelINS0_14default_configENS1_35radix_sort_onesweep_config_selectorIllEEZZNS1_29radix_sort_onesweep_iterationIS3_Lb0EPlS7_N6thrust23THRUST_200600_302600_NS10device_ptrIlEESB_jNS0_19identity_decomposerENS1_16block_id_wrapperIjLb1EEEEE10hipError_tT1_PNSt15iterator_traitsISG_E10value_typeET2_T3_PNSH_ISM_E10value_typeET4_T5_PSR_SS_PNS1_23onesweep_lookback_stateEbbT6_jjT7_P12ihipStream_tbENKUlT_T0_SG_SL_E_clIS7_S7_S7_SB_EEDaSZ_S10_SG_SL_EUlSZ_E_NS1_11comp_targetILNS1_3genE3ELNS1_11target_archE908ELNS1_3gpuE7ELNS1_3repE0EEENS1_47radix_sort_onesweep_sort_config_static_selectorELNS0_4arch9wavefront6targetE1EEEvSG_
                                        ; -- End function
	.set _ZN7rocprim17ROCPRIM_400000_NS6detail17trampoline_kernelINS0_14default_configENS1_35radix_sort_onesweep_config_selectorIllEEZZNS1_29radix_sort_onesweep_iterationIS3_Lb0EPlS7_N6thrust23THRUST_200600_302600_NS10device_ptrIlEESB_jNS0_19identity_decomposerENS1_16block_id_wrapperIjLb1EEEEE10hipError_tT1_PNSt15iterator_traitsISG_E10value_typeET2_T3_PNSH_ISM_E10value_typeET4_T5_PSR_SS_PNS1_23onesweep_lookback_stateEbbT6_jjT7_P12ihipStream_tbENKUlT_T0_SG_SL_E_clIS7_S7_S7_SB_EEDaSZ_S10_SG_SL_EUlSZ_E_NS1_11comp_targetILNS1_3genE3ELNS1_11target_archE908ELNS1_3gpuE7ELNS1_3repE0EEENS1_47radix_sort_onesweep_sort_config_static_selectorELNS0_4arch9wavefront6targetE1EEEvSG_.num_vgpr, 0
	.set _ZN7rocprim17ROCPRIM_400000_NS6detail17trampoline_kernelINS0_14default_configENS1_35radix_sort_onesweep_config_selectorIllEEZZNS1_29radix_sort_onesweep_iterationIS3_Lb0EPlS7_N6thrust23THRUST_200600_302600_NS10device_ptrIlEESB_jNS0_19identity_decomposerENS1_16block_id_wrapperIjLb1EEEEE10hipError_tT1_PNSt15iterator_traitsISG_E10value_typeET2_T3_PNSH_ISM_E10value_typeET4_T5_PSR_SS_PNS1_23onesweep_lookback_stateEbbT6_jjT7_P12ihipStream_tbENKUlT_T0_SG_SL_E_clIS7_S7_S7_SB_EEDaSZ_S10_SG_SL_EUlSZ_E_NS1_11comp_targetILNS1_3genE3ELNS1_11target_archE908ELNS1_3gpuE7ELNS1_3repE0EEENS1_47radix_sort_onesweep_sort_config_static_selectorELNS0_4arch9wavefront6targetE1EEEvSG_.num_agpr, 0
	.set _ZN7rocprim17ROCPRIM_400000_NS6detail17trampoline_kernelINS0_14default_configENS1_35radix_sort_onesweep_config_selectorIllEEZZNS1_29radix_sort_onesweep_iterationIS3_Lb0EPlS7_N6thrust23THRUST_200600_302600_NS10device_ptrIlEESB_jNS0_19identity_decomposerENS1_16block_id_wrapperIjLb1EEEEE10hipError_tT1_PNSt15iterator_traitsISG_E10value_typeET2_T3_PNSH_ISM_E10value_typeET4_T5_PSR_SS_PNS1_23onesweep_lookback_stateEbbT6_jjT7_P12ihipStream_tbENKUlT_T0_SG_SL_E_clIS7_S7_S7_SB_EEDaSZ_S10_SG_SL_EUlSZ_E_NS1_11comp_targetILNS1_3genE3ELNS1_11target_archE908ELNS1_3gpuE7ELNS1_3repE0EEENS1_47radix_sort_onesweep_sort_config_static_selectorELNS0_4arch9wavefront6targetE1EEEvSG_.numbered_sgpr, 0
	.set _ZN7rocprim17ROCPRIM_400000_NS6detail17trampoline_kernelINS0_14default_configENS1_35radix_sort_onesweep_config_selectorIllEEZZNS1_29radix_sort_onesweep_iterationIS3_Lb0EPlS7_N6thrust23THRUST_200600_302600_NS10device_ptrIlEESB_jNS0_19identity_decomposerENS1_16block_id_wrapperIjLb1EEEEE10hipError_tT1_PNSt15iterator_traitsISG_E10value_typeET2_T3_PNSH_ISM_E10value_typeET4_T5_PSR_SS_PNS1_23onesweep_lookback_stateEbbT6_jjT7_P12ihipStream_tbENKUlT_T0_SG_SL_E_clIS7_S7_S7_SB_EEDaSZ_S10_SG_SL_EUlSZ_E_NS1_11comp_targetILNS1_3genE3ELNS1_11target_archE908ELNS1_3gpuE7ELNS1_3repE0EEENS1_47radix_sort_onesweep_sort_config_static_selectorELNS0_4arch9wavefront6targetE1EEEvSG_.num_named_barrier, 0
	.set _ZN7rocprim17ROCPRIM_400000_NS6detail17trampoline_kernelINS0_14default_configENS1_35radix_sort_onesweep_config_selectorIllEEZZNS1_29radix_sort_onesweep_iterationIS3_Lb0EPlS7_N6thrust23THRUST_200600_302600_NS10device_ptrIlEESB_jNS0_19identity_decomposerENS1_16block_id_wrapperIjLb1EEEEE10hipError_tT1_PNSt15iterator_traitsISG_E10value_typeET2_T3_PNSH_ISM_E10value_typeET4_T5_PSR_SS_PNS1_23onesweep_lookback_stateEbbT6_jjT7_P12ihipStream_tbENKUlT_T0_SG_SL_E_clIS7_S7_S7_SB_EEDaSZ_S10_SG_SL_EUlSZ_E_NS1_11comp_targetILNS1_3genE3ELNS1_11target_archE908ELNS1_3gpuE7ELNS1_3repE0EEENS1_47radix_sort_onesweep_sort_config_static_selectorELNS0_4arch9wavefront6targetE1EEEvSG_.private_seg_size, 0
	.set _ZN7rocprim17ROCPRIM_400000_NS6detail17trampoline_kernelINS0_14default_configENS1_35radix_sort_onesweep_config_selectorIllEEZZNS1_29radix_sort_onesweep_iterationIS3_Lb0EPlS7_N6thrust23THRUST_200600_302600_NS10device_ptrIlEESB_jNS0_19identity_decomposerENS1_16block_id_wrapperIjLb1EEEEE10hipError_tT1_PNSt15iterator_traitsISG_E10value_typeET2_T3_PNSH_ISM_E10value_typeET4_T5_PSR_SS_PNS1_23onesweep_lookback_stateEbbT6_jjT7_P12ihipStream_tbENKUlT_T0_SG_SL_E_clIS7_S7_S7_SB_EEDaSZ_S10_SG_SL_EUlSZ_E_NS1_11comp_targetILNS1_3genE3ELNS1_11target_archE908ELNS1_3gpuE7ELNS1_3repE0EEENS1_47radix_sort_onesweep_sort_config_static_selectorELNS0_4arch9wavefront6targetE1EEEvSG_.uses_vcc, 0
	.set _ZN7rocprim17ROCPRIM_400000_NS6detail17trampoline_kernelINS0_14default_configENS1_35radix_sort_onesweep_config_selectorIllEEZZNS1_29radix_sort_onesweep_iterationIS3_Lb0EPlS7_N6thrust23THRUST_200600_302600_NS10device_ptrIlEESB_jNS0_19identity_decomposerENS1_16block_id_wrapperIjLb1EEEEE10hipError_tT1_PNSt15iterator_traitsISG_E10value_typeET2_T3_PNSH_ISM_E10value_typeET4_T5_PSR_SS_PNS1_23onesweep_lookback_stateEbbT6_jjT7_P12ihipStream_tbENKUlT_T0_SG_SL_E_clIS7_S7_S7_SB_EEDaSZ_S10_SG_SL_EUlSZ_E_NS1_11comp_targetILNS1_3genE3ELNS1_11target_archE908ELNS1_3gpuE7ELNS1_3repE0EEENS1_47radix_sort_onesweep_sort_config_static_selectorELNS0_4arch9wavefront6targetE1EEEvSG_.uses_flat_scratch, 0
	.set _ZN7rocprim17ROCPRIM_400000_NS6detail17trampoline_kernelINS0_14default_configENS1_35radix_sort_onesweep_config_selectorIllEEZZNS1_29radix_sort_onesweep_iterationIS3_Lb0EPlS7_N6thrust23THRUST_200600_302600_NS10device_ptrIlEESB_jNS0_19identity_decomposerENS1_16block_id_wrapperIjLb1EEEEE10hipError_tT1_PNSt15iterator_traitsISG_E10value_typeET2_T3_PNSH_ISM_E10value_typeET4_T5_PSR_SS_PNS1_23onesweep_lookback_stateEbbT6_jjT7_P12ihipStream_tbENKUlT_T0_SG_SL_E_clIS7_S7_S7_SB_EEDaSZ_S10_SG_SL_EUlSZ_E_NS1_11comp_targetILNS1_3genE3ELNS1_11target_archE908ELNS1_3gpuE7ELNS1_3repE0EEENS1_47radix_sort_onesweep_sort_config_static_selectorELNS0_4arch9wavefront6targetE1EEEvSG_.has_dyn_sized_stack, 0
	.set _ZN7rocprim17ROCPRIM_400000_NS6detail17trampoline_kernelINS0_14default_configENS1_35radix_sort_onesweep_config_selectorIllEEZZNS1_29radix_sort_onesweep_iterationIS3_Lb0EPlS7_N6thrust23THRUST_200600_302600_NS10device_ptrIlEESB_jNS0_19identity_decomposerENS1_16block_id_wrapperIjLb1EEEEE10hipError_tT1_PNSt15iterator_traitsISG_E10value_typeET2_T3_PNSH_ISM_E10value_typeET4_T5_PSR_SS_PNS1_23onesweep_lookback_stateEbbT6_jjT7_P12ihipStream_tbENKUlT_T0_SG_SL_E_clIS7_S7_S7_SB_EEDaSZ_S10_SG_SL_EUlSZ_E_NS1_11comp_targetILNS1_3genE3ELNS1_11target_archE908ELNS1_3gpuE7ELNS1_3repE0EEENS1_47radix_sort_onesweep_sort_config_static_selectorELNS0_4arch9wavefront6targetE1EEEvSG_.has_recursion, 0
	.set _ZN7rocprim17ROCPRIM_400000_NS6detail17trampoline_kernelINS0_14default_configENS1_35radix_sort_onesweep_config_selectorIllEEZZNS1_29radix_sort_onesweep_iterationIS3_Lb0EPlS7_N6thrust23THRUST_200600_302600_NS10device_ptrIlEESB_jNS0_19identity_decomposerENS1_16block_id_wrapperIjLb1EEEEE10hipError_tT1_PNSt15iterator_traitsISG_E10value_typeET2_T3_PNSH_ISM_E10value_typeET4_T5_PSR_SS_PNS1_23onesweep_lookback_stateEbbT6_jjT7_P12ihipStream_tbENKUlT_T0_SG_SL_E_clIS7_S7_S7_SB_EEDaSZ_S10_SG_SL_EUlSZ_E_NS1_11comp_targetILNS1_3genE3ELNS1_11target_archE908ELNS1_3gpuE7ELNS1_3repE0EEENS1_47radix_sort_onesweep_sort_config_static_selectorELNS0_4arch9wavefront6targetE1EEEvSG_.has_indirect_call, 0
	.section	.AMDGPU.csdata,"",@progbits
; Kernel info:
; codeLenInByte = 0
; TotalNumSgprs: 4
; NumVgprs: 0
; ScratchSize: 0
; MemoryBound: 0
; FloatMode: 240
; IeeeMode: 1
; LDSByteSize: 0 bytes/workgroup (compile time only)
; SGPRBlocks: 0
; VGPRBlocks: 0
; NumSGPRsForWavesPerEU: 4
; NumVGPRsForWavesPerEU: 1
; Occupancy: 10
; WaveLimiterHint : 0
; COMPUTE_PGM_RSRC2:SCRATCH_EN: 0
; COMPUTE_PGM_RSRC2:USER_SGPR: 6
; COMPUTE_PGM_RSRC2:TRAP_HANDLER: 0
; COMPUTE_PGM_RSRC2:TGID_X_EN: 1
; COMPUTE_PGM_RSRC2:TGID_Y_EN: 0
; COMPUTE_PGM_RSRC2:TGID_Z_EN: 0
; COMPUTE_PGM_RSRC2:TIDIG_COMP_CNT: 0
	.section	.text._ZN7rocprim17ROCPRIM_400000_NS6detail17trampoline_kernelINS0_14default_configENS1_35radix_sort_onesweep_config_selectorIllEEZZNS1_29radix_sort_onesweep_iterationIS3_Lb0EPlS7_N6thrust23THRUST_200600_302600_NS10device_ptrIlEESB_jNS0_19identity_decomposerENS1_16block_id_wrapperIjLb1EEEEE10hipError_tT1_PNSt15iterator_traitsISG_E10value_typeET2_T3_PNSH_ISM_E10value_typeET4_T5_PSR_SS_PNS1_23onesweep_lookback_stateEbbT6_jjT7_P12ihipStream_tbENKUlT_T0_SG_SL_E_clIS7_S7_S7_SB_EEDaSZ_S10_SG_SL_EUlSZ_E_NS1_11comp_targetILNS1_3genE10ELNS1_11target_archE1201ELNS1_3gpuE5ELNS1_3repE0EEENS1_47radix_sort_onesweep_sort_config_static_selectorELNS0_4arch9wavefront6targetE1EEEvSG_,"axG",@progbits,_ZN7rocprim17ROCPRIM_400000_NS6detail17trampoline_kernelINS0_14default_configENS1_35radix_sort_onesweep_config_selectorIllEEZZNS1_29radix_sort_onesweep_iterationIS3_Lb0EPlS7_N6thrust23THRUST_200600_302600_NS10device_ptrIlEESB_jNS0_19identity_decomposerENS1_16block_id_wrapperIjLb1EEEEE10hipError_tT1_PNSt15iterator_traitsISG_E10value_typeET2_T3_PNSH_ISM_E10value_typeET4_T5_PSR_SS_PNS1_23onesweep_lookback_stateEbbT6_jjT7_P12ihipStream_tbENKUlT_T0_SG_SL_E_clIS7_S7_S7_SB_EEDaSZ_S10_SG_SL_EUlSZ_E_NS1_11comp_targetILNS1_3genE10ELNS1_11target_archE1201ELNS1_3gpuE5ELNS1_3repE0EEENS1_47radix_sort_onesweep_sort_config_static_selectorELNS0_4arch9wavefront6targetE1EEEvSG_,comdat
	.protected	_ZN7rocprim17ROCPRIM_400000_NS6detail17trampoline_kernelINS0_14default_configENS1_35radix_sort_onesweep_config_selectorIllEEZZNS1_29radix_sort_onesweep_iterationIS3_Lb0EPlS7_N6thrust23THRUST_200600_302600_NS10device_ptrIlEESB_jNS0_19identity_decomposerENS1_16block_id_wrapperIjLb1EEEEE10hipError_tT1_PNSt15iterator_traitsISG_E10value_typeET2_T3_PNSH_ISM_E10value_typeET4_T5_PSR_SS_PNS1_23onesweep_lookback_stateEbbT6_jjT7_P12ihipStream_tbENKUlT_T0_SG_SL_E_clIS7_S7_S7_SB_EEDaSZ_S10_SG_SL_EUlSZ_E_NS1_11comp_targetILNS1_3genE10ELNS1_11target_archE1201ELNS1_3gpuE5ELNS1_3repE0EEENS1_47radix_sort_onesweep_sort_config_static_selectorELNS0_4arch9wavefront6targetE1EEEvSG_ ; -- Begin function _ZN7rocprim17ROCPRIM_400000_NS6detail17trampoline_kernelINS0_14default_configENS1_35radix_sort_onesweep_config_selectorIllEEZZNS1_29radix_sort_onesweep_iterationIS3_Lb0EPlS7_N6thrust23THRUST_200600_302600_NS10device_ptrIlEESB_jNS0_19identity_decomposerENS1_16block_id_wrapperIjLb1EEEEE10hipError_tT1_PNSt15iterator_traitsISG_E10value_typeET2_T3_PNSH_ISM_E10value_typeET4_T5_PSR_SS_PNS1_23onesweep_lookback_stateEbbT6_jjT7_P12ihipStream_tbENKUlT_T0_SG_SL_E_clIS7_S7_S7_SB_EEDaSZ_S10_SG_SL_EUlSZ_E_NS1_11comp_targetILNS1_3genE10ELNS1_11target_archE1201ELNS1_3gpuE5ELNS1_3repE0EEENS1_47radix_sort_onesweep_sort_config_static_selectorELNS0_4arch9wavefront6targetE1EEEvSG_
	.globl	_ZN7rocprim17ROCPRIM_400000_NS6detail17trampoline_kernelINS0_14default_configENS1_35radix_sort_onesweep_config_selectorIllEEZZNS1_29radix_sort_onesweep_iterationIS3_Lb0EPlS7_N6thrust23THRUST_200600_302600_NS10device_ptrIlEESB_jNS0_19identity_decomposerENS1_16block_id_wrapperIjLb1EEEEE10hipError_tT1_PNSt15iterator_traitsISG_E10value_typeET2_T3_PNSH_ISM_E10value_typeET4_T5_PSR_SS_PNS1_23onesweep_lookback_stateEbbT6_jjT7_P12ihipStream_tbENKUlT_T0_SG_SL_E_clIS7_S7_S7_SB_EEDaSZ_S10_SG_SL_EUlSZ_E_NS1_11comp_targetILNS1_3genE10ELNS1_11target_archE1201ELNS1_3gpuE5ELNS1_3repE0EEENS1_47radix_sort_onesweep_sort_config_static_selectorELNS0_4arch9wavefront6targetE1EEEvSG_
	.p2align	8
	.type	_ZN7rocprim17ROCPRIM_400000_NS6detail17trampoline_kernelINS0_14default_configENS1_35radix_sort_onesweep_config_selectorIllEEZZNS1_29radix_sort_onesweep_iterationIS3_Lb0EPlS7_N6thrust23THRUST_200600_302600_NS10device_ptrIlEESB_jNS0_19identity_decomposerENS1_16block_id_wrapperIjLb1EEEEE10hipError_tT1_PNSt15iterator_traitsISG_E10value_typeET2_T3_PNSH_ISM_E10value_typeET4_T5_PSR_SS_PNS1_23onesweep_lookback_stateEbbT6_jjT7_P12ihipStream_tbENKUlT_T0_SG_SL_E_clIS7_S7_S7_SB_EEDaSZ_S10_SG_SL_EUlSZ_E_NS1_11comp_targetILNS1_3genE10ELNS1_11target_archE1201ELNS1_3gpuE5ELNS1_3repE0EEENS1_47radix_sort_onesweep_sort_config_static_selectorELNS0_4arch9wavefront6targetE1EEEvSG_,@function
_ZN7rocprim17ROCPRIM_400000_NS6detail17trampoline_kernelINS0_14default_configENS1_35radix_sort_onesweep_config_selectorIllEEZZNS1_29radix_sort_onesweep_iterationIS3_Lb0EPlS7_N6thrust23THRUST_200600_302600_NS10device_ptrIlEESB_jNS0_19identity_decomposerENS1_16block_id_wrapperIjLb1EEEEE10hipError_tT1_PNSt15iterator_traitsISG_E10value_typeET2_T3_PNSH_ISM_E10value_typeET4_T5_PSR_SS_PNS1_23onesweep_lookback_stateEbbT6_jjT7_P12ihipStream_tbENKUlT_T0_SG_SL_E_clIS7_S7_S7_SB_EEDaSZ_S10_SG_SL_EUlSZ_E_NS1_11comp_targetILNS1_3genE10ELNS1_11target_archE1201ELNS1_3gpuE5ELNS1_3repE0EEENS1_47radix_sort_onesweep_sort_config_static_selectorELNS0_4arch9wavefront6targetE1EEEvSG_: ; @_ZN7rocprim17ROCPRIM_400000_NS6detail17trampoline_kernelINS0_14default_configENS1_35radix_sort_onesweep_config_selectorIllEEZZNS1_29radix_sort_onesweep_iterationIS3_Lb0EPlS7_N6thrust23THRUST_200600_302600_NS10device_ptrIlEESB_jNS0_19identity_decomposerENS1_16block_id_wrapperIjLb1EEEEE10hipError_tT1_PNSt15iterator_traitsISG_E10value_typeET2_T3_PNSH_ISM_E10value_typeET4_T5_PSR_SS_PNS1_23onesweep_lookback_stateEbbT6_jjT7_P12ihipStream_tbENKUlT_T0_SG_SL_E_clIS7_S7_S7_SB_EEDaSZ_S10_SG_SL_EUlSZ_E_NS1_11comp_targetILNS1_3genE10ELNS1_11target_archE1201ELNS1_3gpuE5ELNS1_3repE0EEENS1_47radix_sort_onesweep_sort_config_static_selectorELNS0_4arch9wavefront6targetE1EEEvSG_
; %bb.0:
	.section	.rodata,"a",@progbits
	.p2align	6, 0x0
	.amdhsa_kernel _ZN7rocprim17ROCPRIM_400000_NS6detail17trampoline_kernelINS0_14default_configENS1_35radix_sort_onesweep_config_selectorIllEEZZNS1_29radix_sort_onesweep_iterationIS3_Lb0EPlS7_N6thrust23THRUST_200600_302600_NS10device_ptrIlEESB_jNS0_19identity_decomposerENS1_16block_id_wrapperIjLb1EEEEE10hipError_tT1_PNSt15iterator_traitsISG_E10value_typeET2_T3_PNSH_ISM_E10value_typeET4_T5_PSR_SS_PNS1_23onesweep_lookback_stateEbbT6_jjT7_P12ihipStream_tbENKUlT_T0_SG_SL_E_clIS7_S7_S7_SB_EEDaSZ_S10_SG_SL_EUlSZ_E_NS1_11comp_targetILNS1_3genE10ELNS1_11target_archE1201ELNS1_3gpuE5ELNS1_3repE0EEENS1_47radix_sort_onesweep_sort_config_static_selectorELNS0_4arch9wavefront6targetE1EEEvSG_
		.amdhsa_group_segment_fixed_size 0
		.amdhsa_private_segment_fixed_size 0
		.amdhsa_kernarg_size 88
		.amdhsa_user_sgpr_count 6
		.amdhsa_user_sgpr_private_segment_buffer 1
		.amdhsa_user_sgpr_dispatch_ptr 0
		.amdhsa_user_sgpr_queue_ptr 0
		.amdhsa_user_sgpr_kernarg_segment_ptr 1
		.amdhsa_user_sgpr_dispatch_id 0
		.amdhsa_user_sgpr_flat_scratch_init 0
		.amdhsa_user_sgpr_private_segment_size 0
		.amdhsa_uses_dynamic_stack 0
		.amdhsa_system_sgpr_private_segment_wavefront_offset 0
		.amdhsa_system_sgpr_workgroup_id_x 1
		.amdhsa_system_sgpr_workgroup_id_y 0
		.amdhsa_system_sgpr_workgroup_id_z 0
		.amdhsa_system_sgpr_workgroup_info 0
		.amdhsa_system_vgpr_workitem_id 0
		.amdhsa_next_free_vgpr 1
		.amdhsa_next_free_sgpr 0
		.amdhsa_reserve_vcc 0
		.amdhsa_reserve_flat_scratch 0
		.amdhsa_float_round_mode_32 0
		.amdhsa_float_round_mode_16_64 0
		.amdhsa_float_denorm_mode_32 3
		.amdhsa_float_denorm_mode_16_64 3
		.amdhsa_dx10_clamp 1
		.amdhsa_ieee_mode 1
		.amdhsa_fp16_overflow 0
		.amdhsa_exception_fp_ieee_invalid_op 0
		.amdhsa_exception_fp_denorm_src 0
		.amdhsa_exception_fp_ieee_div_zero 0
		.amdhsa_exception_fp_ieee_overflow 0
		.amdhsa_exception_fp_ieee_underflow 0
		.amdhsa_exception_fp_ieee_inexact 0
		.amdhsa_exception_int_div_zero 0
	.end_amdhsa_kernel
	.section	.text._ZN7rocprim17ROCPRIM_400000_NS6detail17trampoline_kernelINS0_14default_configENS1_35radix_sort_onesweep_config_selectorIllEEZZNS1_29radix_sort_onesweep_iterationIS3_Lb0EPlS7_N6thrust23THRUST_200600_302600_NS10device_ptrIlEESB_jNS0_19identity_decomposerENS1_16block_id_wrapperIjLb1EEEEE10hipError_tT1_PNSt15iterator_traitsISG_E10value_typeET2_T3_PNSH_ISM_E10value_typeET4_T5_PSR_SS_PNS1_23onesweep_lookback_stateEbbT6_jjT7_P12ihipStream_tbENKUlT_T0_SG_SL_E_clIS7_S7_S7_SB_EEDaSZ_S10_SG_SL_EUlSZ_E_NS1_11comp_targetILNS1_3genE10ELNS1_11target_archE1201ELNS1_3gpuE5ELNS1_3repE0EEENS1_47radix_sort_onesweep_sort_config_static_selectorELNS0_4arch9wavefront6targetE1EEEvSG_,"axG",@progbits,_ZN7rocprim17ROCPRIM_400000_NS6detail17trampoline_kernelINS0_14default_configENS1_35radix_sort_onesweep_config_selectorIllEEZZNS1_29radix_sort_onesweep_iterationIS3_Lb0EPlS7_N6thrust23THRUST_200600_302600_NS10device_ptrIlEESB_jNS0_19identity_decomposerENS1_16block_id_wrapperIjLb1EEEEE10hipError_tT1_PNSt15iterator_traitsISG_E10value_typeET2_T3_PNSH_ISM_E10value_typeET4_T5_PSR_SS_PNS1_23onesweep_lookback_stateEbbT6_jjT7_P12ihipStream_tbENKUlT_T0_SG_SL_E_clIS7_S7_S7_SB_EEDaSZ_S10_SG_SL_EUlSZ_E_NS1_11comp_targetILNS1_3genE10ELNS1_11target_archE1201ELNS1_3gpuE5ELNS1_3repE0EEENS1_47radix_sort_onesweep_sort_config_static_selectorELNS0_4arch9wavefront6targetE1EEEvSG_,comdat
.Lfunc_end1156:
	.size	_ZN7rocprim17ROCPRIM_400000_NS6detail17trampoline_kernelINS0_14default_configENS1_35radix_sort_onesweep_config_selectorIllEEZZNS1_29radix_sort_onesweep_iterationIS3_Lb0EPlS7_N6thrust23THRUST_200600_302600_NS10device_ptrIlEESB_jNS0_19identity_decomposerENS1_16block_id_wrapperIjLb1EEEEE10hipError_tT1_PNSt15iterator_traitsISG_E10value_typeET2_T3_PNSH_ISM_E10value_typeET4_T5_PSR_SS_PNS1_23onesweep_lookback_stateEbbT6_jjT7_P12ihipStream_tbENKUlT_T0_SG_SL_E_clIS7_S7_S7_SB_EEDaSZ_S10_SG_SL_EUlSZ_E_NS1_11comp_targetILNS1_3genE10ELNS1_11target_archE1201ELNS1_3gpuE5ELNS1_3repE0EEENS1_47radix_sort_onesweep_sort_config_static_selectorELNS0_4arch9wavefront6targetE1EEEvSG_, .Lfunc_end1156-_ZN7rocprim17ROCPRIM_400000_NS6detail17trampoline_kernelINS0_14default_configENS1_35radix_sort_onesweep_config_selectorIllEEZZNS1_29radix_sort_onesweep_iterationIS3_Lb0EPlS7_N6thrust23THRUST_200600_302600_NS10device_ptrIlEESB_jNS0_19identity_decomposerENS1_16block_id_wrapperIjLb1EEEEE10hipError_tT1_PNSt15iterator_traitsISG_E10value_typeET2_T3_PNSH_ISM_E10value_typeET4_T5_PSR_SS_PNS1_23onesweep_lookback_stateEbbT6_jjT7_P12ihipStream_tbENKUlT_T0_SG_SL_E_clIS7_S7_S7_SB_EEDaSZ_S10_SG_SL_EUlSZ_E_NS1_11comp_targetILNS1_3genE10ELNS1_11target_archE1201ELNS1_3gpuE5ELNS1_3repE0EEENS1_47radix_sort_onesweep_sort_config_static_selectorELNS0_4arch9wavefront6targetE1EEEvSG_
                                        ; -- End function
	.set _ZN7rocprim17ROCPRIM_400000_NS6detail17trampoline_kernelINS0_14default_configENS1_35radix_sort_onesweep_config_selectorIllEEZZNS1_29radix_sort_onesweep_iterationIS3_Lb0EPlS7_N6thrust23THRUST_200600_302600_NS10device_ptrIlEESB_jNS0_19identity_decomposerENS1_16block_id_wrapperIjLb1EEEEE10hipError_tT1_PNSt15iterator_traitsISG_E10value_typeET2_T3_PNSH_ISM_E10value_typeET4_T5_PSR_SS_PNS1_23onesweep_lookback_stateEbbT6_jjT7_P12ihipStream_tbENKUlT_T0_SG_SL_E_clIS7_S7_S7_SB_EEDaSZ_S10_SG_SL_EUlSZ_E_NS1_11comp_targetILNS1_3genE10ELNS1_11target_archE1201ELNS1_3gpuE5ELNS1_3repE0EEENS1_47radix_sort_onesweep_sort_config_static_selectorELNS0_4arch9wavefront6targetE1EEEvSG_.num_vgpr, 0
	.set _ZN7rocprim17ROCPRIM_400000_NS6detail17trampoline_kernelINS0_14default_configENS1_35radix_sort_onesweep_config_selectorIllEEZZNS1_29radix_sort_onesweep_iterationIS3_Lb0EPlS7_N6thrust23THRUST_200600_302600_NS10device_ptrIlEESB_jNS0_19identity_decomposerENS1_16block_id_wrapperIjLb1EEEEE10hipError_tT1_PNSt15iterator_traitsISG_E10value_typeET2_T3_PNSH_ISM_E10value_typeET4_T5_PSR_SS_PNS1_23onesweep_lookback_stateEbbT6_jjT7_P12ihipStream_tbENKUlT_T0_SG_SL_E_clIS7_S7_S7_SB_EEDaSZ_S10_SG_SL_EUlSZ_E_NS1_11comp_targetILNS1_3genE10ELNS1_11target_archE1201ELNS1_3gpuE5ELNS1_3repE0EEENS1_47radix_sort_onesweep_sort_config_static_selectorELNS0_4arch9wavefront6targetE1EEEvSG_.num_agpr, 0
	.set _ZN7rocprim17ROCPRIM_400000_NS6detail17trampoline_kernelINS0_14default_configENS1_35radix_sort_onesweep_config_selectorIllEEZZNS1_29radix_sort_onesweep_iterationIS3_Lb0EPlS7_N6thrust23THRUST_200600_302600_NS10device_ptrIlEESB_jNS0_19identity_decomposerENS1_16block_id_wrapperIjLb1EEEEE10hipError_tT1_PNSt15iterator_traitsISG_E10value_typeET2_T3_PNSH_ISM_E10value_typeET4_T5_PSR_SS_PNS1_23onesweep_lookback_stateEbbT6_jjT7_P12ihipStream_tbENKUlT_T0_SG_SL_E_clIS7_S7_S7_SB_EEDaSZ_S10_SG_SL_EUlSZ_E_NS1_11comp_targetILNS1_3genE10ELNS1_11target_archE1201ELNS1_3gpuE5ELNS1_3repE0EEENS1_47radix_sort_onesweep_sort_config_static_selectorELNS0_4arch9wavefront6targetE1EEEvSG_.numbered_sgpr, 0
	.set _ZN7rocprim17ROCPRIM_400000_NS6detail17trampoline_kernelINS0_14default_configENS1_35radix_sort_onesweep_config_selectorIllEEZZNS1_29radix_sort_onesweep_iterationIS3_Lb0EPlS7_N6thrust23THRUST_200600_302600_NS10device_ptrIlEESB_jNS0_19identity_decomposerENS1_16block_id_wrapperIjLb1EEEEE10hipError_tT1_PNSt15iterator_traitsISG_E10value_typeET2_T3_PNSH_ISM_E10value_typeET4_T5_PSR_SS_PNS1_23onesweep_lookback_stateEbbT6_jjT7_P12ihipStream_tbENKUlT_T0_SG_SL_E_clIS7_S7_S7_SB_EEDaSZ_S10_SG_SL_EUlSZ_E_NS1_11comp_targetILNS1_3genE10ELNS1_11target_archE1201ELNS1_3gpuE5ELNS1_3repE0EEENS1_47radix_sort_onesweep_sort_config_static_selectorELNS0_4arch9wavefront6targetE1EEEvSG_.num_named_barrier, 0
	.set _ZN7rocprim17ROCPRIM_400000_NS6detail17trampoline_kernelINS0_14default_configENS1_35radix_sort_onesweep_config_selectorIllEEZZNS1_29radix_sort_onesweep_iterationIS3_Lb0EPlS7_N6thrust23THRUST_200600_302600_NS10device_ptrIlEESB_jNS0_19identity_decomposerENS1_16block_id_wrapperIjLb1EEEEE10hipError_tT1_PNSt15iterator_traitsISG_E10value_typeET2_T3_PNSH_ISM_E10value_typeET4_T5_PSR_SS_PNS1_23onesweep_lookback_stateEbbT6_jjT7_P12ihipStream_tbENKUlT_T0_SG_SL_E_clIS7_S7_S7_SB_EEDaSZ_S10_SG_SL_EUlSZ_E_NS1_11comp_targetILNS1_3genE10ELNS1_11target_archE1201ELNS1_3gpuE5ELNS1_3repE0EEENS1_47radix_sort_onesweep_sort_config_static_selectorELNS0_4arch9wavefront6targetE1EEEvSG_.private_seg_size, 0
	.set _ZN7rocprim17ROCPRIM_400000_NS6detail17trampoline_kernelINS0_14default_configENS1_35radix_sort_onesweep_config_selectorIllEEZZNS1_29radix_sort_onesweep_iterationIS3_Lb0EPlS7_N6thrust23THRUST_200600_302600_NS10device_ptrIlEESB_jNS0_19identity_decomposerENS1_16block_id_wrapperIjLb1EEEEE10hipError_tT1_PNSt15iterator_traitsISG_E10value_typeET2_T3_PNSH_ISM_E10value_typeET4_T5_PSR_SS_PNS1_23onesweep_lookback_stateEbbT6_jjT7_P12ihipStream_tbENKUlT_T0_SG_SL_E_clIS7_S7_S7_SB_EEDaSZ_S10_SG_SL_EUlSZ_E_NS1_11comp_targetILNS1_3genE10ELNS1_11target_archE1201ELNS1_3gpuE5ELNS1_3repE0EEENS1_47radix_sort_onesweep_sort_config_static_selectorELNS0_4arch9wavefront6targetE1EEEvSG_.uses_vcc, 0
	.set _ZN7rocprim17ROCPRIM_400000_NS6detail17trampoline_kernelINS0_14default_configENS1_35radix_sort_onesweep_config_selectorIllEEZZNS1_29radix_sort_onesweep_iterationIS3_Lb0EPlS7_N6thrust23THRUST_200600_302600_NS10device_ptrIlEESB_jNS0_19identity_decomposerENS1_16block_id_wrapperIjLb1EEEEE10hipError_tT1_PNSt15iterator_traitsISG_E10value_typeET2_T3_PNSH_ISM_E10value_typeET4_T5_PSR_SS_PNS1_23onesweep_lookback_stateEbbT6_jjT7_P12ihipStream_tbENKUlT_T0_SG_SL_E_clIS7_S7_S7_SB_EEDaSZ_S10_SG_SL_EUlSZ_E_NS1_11comp_targetILNS1_3genE10ELNS1_11target_archE1201ELNS1_3gpuE5ELNS1_3repE0EEENS1_47radix_sort_onesweep_sort_config_static_selectorELNS0_4arch9wavefront6targetE1EEEvSG_.uses_flat_scratch, 0
	.set _ZN7rocprim17ROCPRIM_400000_NS6detail17trampoline_kernelINS0_14default_configENS1_35radix_sort_onesweep_config_selectorIllEEZZNS1_29radix_sort_onesweep_iterationIS3_Lb0EPlS7_N6thrust23THRUST_200600_302600_NS10device_ptrIlEESB_jNS0_19identity_decomposerENS1_16block_id_wrapperIjLb1EEEEE10hipError_tT1_PNSt15iterator_traitsISG_E10value_typeET2_T3_PNSH_ISM_E10value_typeET4_T5_PSR_SS_PNS1_23onesweep_lookback_stateEbbT6_jjT7_P12ihipStream_tbENKUlT_T0_SG_SL_E_clIS7_S7_S7_SB_EEDaSZ_S10_SG_SL_EUlSZ_E_NS1_11comp_targetILNS1_3genE10ELNS1_11target_archE1201ELNS1_3gpuE5ELNS1_3repE0EEENS1_47radix_sort_onesweep_sort_config_static_selectorELNS0_4arch9wavefront6targetE1EEEvSG_.has_dyn_sized_stack, 0
	.set _ZN7rocprim17ROCPRIM_400000_NS6detail17trampoline_kernelINS0_14default_configENS1_35radix_sort_onesweep_config_selectorIllEEZZNS1_29radix_sort_onesweep_iterationIS3_Lb0EPlS7_N6thrust23THRUST_200600_302600_NS10device_ptrIlEESB_jNS0_19identity_decomposerENS1_16block_id_wrapperIjLb1EEEEE10hipError_tT1_PNSt15iterator_traitsISG_E10value_typeET2_T3_PNSH_ISM_E10value_typeET4_T5_PSR_SS_PNS1_23onesweep_lookback_stateEbbT6_jjT7_P12ihipStream_tbENKUlT_T0_SG_SL_E_clIS7_S7_S7_SB_EEDaSZ_S10_SG_SL_EUlSZ_E_NS1_11comp_targetILNS1_3genE10ELNS1_11target_archE1201ELNS1_3gpuE5ELNS1_3repE0EEENS1_47radix_sort_onesweep_sort_config_static_selectorELNS0_4arch9wavefront6targetE1EEEvSG_.has_recursion, 0
	.set _ZN7rocprim17ROCPRIM_400000_NS6detail17trampoline_kernelINS0_14default_configENS1_35radix_sort_onesweep_config_selectorIllEEZZNS1_29radix_sort_onesweep_iterationIS3_Lb0EPlS7_N6thrust23THRUST_200600_302600_NS10device_ptrIlEESB_jNS0_19identity_decomposerENS1_16block_id_wrapperIjLb1EEEEE10hipError_tT1_PNSt15iterator_traitsISG_E10value_typeET2_T3_PNSH_ISM_E10value_typeET4_T5_PSR_SS_PNS1_23onesweep_lookback_stateEbbT6_jjT7_P12ihipStream_tbENKUlT_T0_SG_SL_E_clIS7_S7_S7_SB_EEDaSZ_S10_SG_SL_EUlSZ_E_NS1_11comp_targetILNS1_3genE10ELNS1_11target_archE1201ELNS1_3gpuE5ELNS1_3repE0EEENS1_47radix_sort_onesweep_sort_config_static_selectorELNS0_4arch9wavefront6targetE1EEEvSG_.has_indirect_call, 0
	.section	.AMDGPU.csdata,"",@progbits
; Kernel info:
; codeLenInByte = 0
; TotalNumSgprs: 4
; NumVgprs: 0
; ScratchSize: 0
; MemoryBound: 0
; FloatMode: 240
; IeeeMode: 1
; LDSByteSize: 0 bytes/workgroup (compile time only)
; SGPRBlocks: 0
; VGPRBlocks: 0
; NumSGPRsForWavesPerEU: 4
; NumVGPRsForWavesPerEU: 1
; Occupancy: 10
; WaveLimiterHint : 0
; COMPUTE_PGM_RSRC2:SCRATCH_EN: 0
; COMPUTE_PGM_RSRC2:USER_SGPR: 6
; COMPUTE_PGM_RSRC2:TRAP_HANDLER: 0
; COMPUTE_PGM_RSRC2:TGID_X_EN: 1
; COMPUTE_PGM_RSRC2:TGID_Y_EN: 0
; COMPUTE_PGM_RSRC2:TGID_Z_EN: 0
; COMPUTE_PGM_RSRC2:TIDIG_COMP_CNT: 0
	.section	.text._ZN7rocprim17ROCPRIM_400000_NS6detail17trampoline_kernelINS0_14default_configENS1_35radix_sort_onesweep_config_selectorIllEEZZNS1_29radix_sort_onesweep_iterationIS3_Lb0EPlS7_N6thrust23THRUST_200600_302600_NS10device_ptrIlEESB_jNS0_19identity_decomposerENS1_16block_id_wrapperIjLb1EEEEE10hipError_tT1_PNSt15iterator_traitsISG_E10value_typeET2_T3_PNSH_ISM_E10value_typeET4_T5_PSR_SS_PNS1_23onesweep_lookback_stateEbbT6_jjT7_P12ihipStream_tbENKUlT_T0_SG_SL_E_clIS7_S7_S7_SB_EEDaSZ_S10_SG_SL_EUlSZ_E_NS1_11comp_targetILNS1_3genE9ELNS1_11target_archE1100ELNS1_3gpuE3ELNS1_3repE0EEENS1_47radix_sort_onesweep_sort_config_static_selectorELNS0_4arch9wavefront6targetE1EEEvSG_,"axG",@progbits,_ZN7rocprim17ROCPRIM_400000_NS6detail17trampoline_kernelINS0_14default_configENS1_35radix_sort_onesweep_config_selectorIllEEZZNS1_29radix_sort_onesweep_iterationIS3_Lb0EPlS7_N6thrust23THRUST_200600_302600_NS10device_ptrIlEESB_jNS0_19identity_decomposerENS1_16block_id_wrapperIjLb1EEEEE10hipError_tT1_PNSt15iterator_traitsISG_E10value_typeET2_T3_PNSH_ISM_E10value_typeET4_T5_PSR_SS_PNS1_23onesweep_lookback_stateEbbT6_jjT7_P12ihipStream_tbENKUlT_T0_SG_SL_E_clIS7_S7_S7_SB_EEDaSZ_S10_SG_SL_EUlSZ_E_NS1_11comp_targetILNS1_3genE9ELNS1_11target_archE1100ELNS1_3gpuE3ELNS1_3repE0EEENS1_47radix_sort_onesweep_sort_config_static_selectorELNS0_4arch9wavefront6targetE1EEEvSG_,comdat
	.protected	_ZN7rocprim17ROCPRIM_400000_NS6detail17trampoline_kernelINS0_14default_configENS1_35radix_sort_onesweep_config_selectorIllEEZZNS1_29radix_sort_onesweep_iterationIS3_Lb0EPlS7_N6thrust23THRUST_200600_302600_NS10device_ptrIlEESB_jNS0_19identity_decomposerENS1_16block_id_wrapperIjLb1EEEEE10hipError_tT1_PNSt15iterator_traitsISG_E10value_typeET2_T3_PNSH_ISM_E10value_typeET4_T5_PSR_SS_PNS1_23onesweep_lookback_stateEbbT6_jjT7_P12ihipStream_tbENKUlT_T0_SG_SL_E_clIS7_S7_S7_SB_EEDaSZ_S10_SG_SL_EUlSZ_E_NS1_11comp_targetILNS1_3genE9ELNS1_11target_archE1100ELNS1_3gpuE3ELNS1_3repE0EEENS1_47radix_sort_onesweep_sort_config_static_selectorELNS0_4arch9wavefront6targetE1EEEvSG_ ; -- Begin function _ZN7rocprim17ROCPRIM_400000_NS6detail17trampoline_kernelINS0_14default_configENS1_35radix_sort_onesweep_config_selectorIllEEZZNS1_29radix_sort_onesweep_iterationIS3_Lb0EPlS7_N6thrust23THRUST_200600_302600_NS10device_ptrIlEESB_jNS0_19identity_decomposerENS1_16block_id_wrapperIjLb1EEEEE10hipError_tT1_PNSt15iterator_traitsISG_E10value_typeET2_T3_PNSH_ISM_E10value_typeET4_T5_PSR_SS_PNS1_23onesweep_lookback_stateEbbT6_jjT7_P12ihipStream_tbENKUlT_T0_SG_SL_E_clIS7_S7_S7_SB_EEDaSZ_S10_SG_SL_EUlSZ_E_NS1_11comp_targetILNS1_3genE9ELNS1_11target_archE1100ELNS1_3gpuE3ELNS1_3repE0EEENS1_47radix_sort_onesweep_sort_config_static_selectorELNS0_4arch9wavefront6targetE1EEEvSG_
	.globl	_ZN7rocprim17ROCPRIM_400000_NS6detail17trampoline_kernelINS0_14default_configENS1_35radix_sort_onesweep_config_selectorIllEEZZNS1_29radix_sort_onesweep_iterationIS3_Lb0EPlS7_N6thrust23THRUST_200600_302600_NS10device_ptrIlEESB_jNS0_19identity_decomposerENS1_16block_id_wrapperIjLb1EEEEE10hipError_tT1_PNSt15iterator_traitsISG_E10value_typeET2_T3_PNSH_ISM_E10value_typeET4_T5_PSR_SS_PNS1_23onesweep_lookback_stateEbbT6_jjT7_P12ihipStream_tbENKUlT_T0_SG_SL_E_clIS7_S7_S7_SB_EEDaSZ_S10_SG_SL_EUlSZ_E_NS1_11comp_targetILNS1_3genE9ELNS1_11target_archE1100ELNS1_3gpuE3ELNS1_3repE0EEENS1_47radix_sort_onesweep_sort_config_static_selectorELNS0_4arch9wavefront6targetE1EEEvSG_
	.p2align	8
	.type	_ZN7rocprim17ROCPRIM_400000_NS6detail17trampoline_kernelINS0_14default_configENS1_35radix_sort_onesweep_config_selectorIllEEZZNS1_29radix_sort_onesweep_iterationIS3_Lb0EPlS7_N6thrust23THRUST_200600_302600_NS10device_ptrIlEESB_jNS0_19identity_decomposerENS1_16block_id_wrapperIjLb1EEEEE10hipError_tT1_PNSt15iterator_traitsISG_E10value_typeET2_T3_PNSH_ISM_E10value_typeET4_T5_PSR_SS_PNS1_23onesweep_lookback_stateEbbT6_jjT7_P12ihipStream_tbENKUlT_T0_SG_SL_E_clIS7_S7_S7_SB_EEDaSZ_S10_SG_SL_EUlSZ_E_NS1_11comp_targetILNS1_3genE9ELNS1_11target_archE1100ELNS1_3gpuE3ELNS1_3repE0EEENS1_47radix_sort_onesweep_sort_config_static_selectorELNS0_4arch9wavefront6targetE1EEEvSG_,@function
_ZN7rocprim17ROCPRIM_400000_NS6detail17trampoline_kernelINS0_14default_configENS1_35radix_sort_onesweep_config_selectorIllEEZZNS1_29radix_sort_onesweep_iterationIS3_Lb0EPlS7_N6thrust23THRUST_200600_302600_NS10device_ptrIlEESB_jNS0_19identity_decomposerENS1_16block_id_wrapperIjLb1EEEEE10hipError_tT1_PNSt15iterator_traitsISG_E10value_typeET2_T3_PNSH_ISM_E10value_typeET4_T5_PSR_SS_PNS1_23onesweep_lookback_stateEbbT6_jjT7_P12ihipStream_tbENKUlT_T0_SG_SL_E_clIS7_S7_S7_SB_EEDaSZ_S10_SG_SL_EUlSZ_E_NS1_11comp_targetILNS1_3genE9ELNS1_11target_archE1100ELNS1_3gpuE3ELNS1_3repE0EEENS1_47radix_sort_onesweep_sort_config_static_selectorELNS0_4arch9wavefront6targetE1EEEvSG_: ; @_ZN7rocprim17ROCPRIM_400000_NS6detail17trampoline_kernelINS0_14default_configENS1_35radix_sort_onesweep_config_selectorIllEEZZNS1_29radix_sort_onesweep_iterationIS3_Lb0EPlS7_N6thrust23THRUST_200600_302600_NS10device_ptrIlEESB_jNS0_19identity_decomposerENS1_16block_id_wrapperIjLb1EEEEE10hipError_tT1_PNSt15iterator_traitsISG_E10value_typeET2_T3_PNSH_ISM_E10value_typeET4_T5_PSR_SS_PNS1_23onesweep_lookback_stateEbbT6_jjT7_P12ihipStream_tbENKUlT_T0_SG_SL_E_clIS7_S7_S7_SB_EEDaSZ_S10_SG_SL_EUlSZ_E_NS1_11comp_targetILNS1_3genE9ELNS1_11target_archE1100ELNS1_3gpuE3ELNS1_3repE0EEENS1_47radix_sort_onesweep_sort_config_static_selectorELNS0_4arch9wavefront6targetE1EEEvSG_
; %bb.0:
	.section	.rodata,"a",@progbits
	.p2align	6, 0x0
	.amdhsa_kernel _ZN7rocprim17ROCPRIM_400000_NS6detail17trampoline_kernelINS0_14default_configENS1_35radix_sort_onesweep_config_selectorIllEEZZNS1_29radix_sort_onesweep_iterationIS3_Lb0EPlS7_N6thrust23THRUST_200600_302600_NS10device_ptrIlEESB_jNS0_19identity_decomposerENS1_16block_id_wrapperIjLb1EEEEE10hipError_tT1_PNSt15iterator_traitsISG_E10value_typeET2_T3_PNSH_ISM_E10value_typeET4_T5_PSR_SS_PNS1_23onesweep_lookback_stateEbbT6_jjT7_P12ihipStream_tbENKUlT_T0_SG_SL_E_clIS7_S7_S7_SB_EEDaSZ_S10_SG_SL_EUlSZ_E_NS1_11comp_targetILNS1_3genE9ELNS1_11target_archE1100ELNS1_3gpuE3ELNS1_3repE0EEENS1_47radix_sort_onesweep_sort_config_static_selectorELNS0_4arch9wavefront6targetE1EEEvSG_
		.amdhsa_group_segment_fixed_size 0
		.amdhsa_private_segment_fixed_size 0
		.amdhsa_kernarg_size 88
		.amdhsa_user_sgpr_count 6
		.amdhsa_user_sgpr_private_segment_buffer 1
		.amdhsa_user_sgpr_dispatch_ptr 0
		.amdhsa_user_sgpr_queue_ptr 0
		.amdhsa_user_sgpr_kernarg_segment_ptr 1
		.amdhsa_user_sgpr_dispatch_id 0
		.amdhsa_user_sgpr_flat_scratch_init 0
		.amdhsa_user_sgpr_private_segment_size 0
		.amdhsa_uses_dynamic_stack 0
		.amdhsa_system_sgpr_private_segment_wavefront_offset 0
		.amdhsa_system_sgpr_workgroup_id_x 1
		.amdhsa_system_sgpr_workgroup_id_y 0
		.amdhsa_system_sgpr_workgroup_id_z 0
		.amdhsa_system_sgpr_workgroup_info 0
		.amdhsa_system_vgpr_workitem_id 0
		.amdhsa_next_free_vgpr 1
		.amdhsa_next_free_sgpr 0
		.amdhsa_reserve_vcc 0
		.amdhsa_reserve_flat_scratch 0
		.amdhsa_float_round_mode_32 0
		.amdhsa_float_round_mode_16_64 0
		.amdhsa_float_denorm_mode_32 3
		.amdhsa_float_denorm_mode_16_64 3
		.amdhsa_dx10_clamp 1
		.amdhsa_ieee_mode 1
		.amdhsa_fp16_overflow 0
		.amdhsa_exception_fp_ieee_invalid_op 0
		.amdhsa_exception_fp_denorm_src 0
		.amdhsa_exception_fp_ieee_div_zero 0
		.amdhsa_exception_fp_ieee_overflow 0
		.amdhsa_exception_fp_ieee_underflow 0
		.amdhsa_exception_fp_ieee_inexact 0
		.amdhsa_exception_int_div_zero 0
	.end_amdhsa_kernel
	.section	.text._ZN7rocprim17ROCPRIM_400000_NS6detail17trampoline_kernelINS0_14default_configENS1_35radix_sort_onesweep_config_selectorIllEEZZNS1_29radix_sort_onesweep_iterationIS3_Lb0EPlS7_N6thrust23THRUST_200600_302600_NS10device_ptrIlEESB_jNS0_19identity_decomposerENS1_16block_id_wrapperIjLb1EEEEE10hipError_tT1_PNSt15iterator_traitsISG_E10value_typeET2_T3_PNSH_ISM_E10value_typeET4_T5_PSR_SS_PNS1_23onesweep_lookback_stateEbbT6_jjT7_P12ihipStream_tbENKUlT_T0_SG_SL_E_clIS7_S7_S7_SB_EEDaSZ_S10_SG_SL_EUlSZ_E_NS1_11comp_targetILNS1_3genE9ELNS1_11target_archE1100ELNS1_3gpuE3ELNS1_3repE0EEENS1_47radix_sort_onesweep_sort_config_static_selectorELNS0_4arch9wavefront6targetE1EEEvSG_,"axG",@progbits,_ZN7rocprim17ROCPRIM_400000_NS6detail17trampoline_kernelINS0_14default_configENS1_35radix_sort_onesweep_config_selectorIllEEZZNS1_29radix_sort_onesweep_iterationIS3_Lb0EPlS7_N6thrust23THRUST_200600_302600_NS10device_ptrIlEESB_jNS0_19identity_decomposerENS1_16block_id_wrapperIjLb1EEEEE10hipError_tT1_PNSt15iterator_traitsISG_E10value_typeET2_T3_PNSH_ISM_E10value_typeET4_T5_PSR_SS_PNS1_23onesweep_lookback_stateEbbT6_jjT7_P12ihipStream_tbENKUlT_T0_SG_SL_E_clIS7_S7_S7_SB_EEDaSZ_S10_SG_SL_EUlSZ_E_NS1_11comp_targetILNS1_3genE9ELNS1_11target_archE1100ELNS1_3gpuE3ELNS1_3repE0EEENS1_47radix_sort_onesweep_sort_config_static_selectorELNS0_4arch9wavefront6targetE1EEEvSG_,comdat
.Lfunc_end1157:
	.size	_ZN7rocprim17ROCPRIM_400000_NS6detail17trampoline_kernelINS0_14default_configENS1_35radix_sort_onesweep_config_selectorIllEEZZNS1_29radix_sort_onesweep_iterationIS3_Lb0EPlS7_N6thrust23THRUST_200600_302600_NS10device_ptrIlEESB_jNS0_19identity_decomposerENS1_16block_id_wrapperIjLb1EEEEE10hipError_tT1_PNSt15iterator_traitsISG_E10value_typeET2_T3_PNSH_ISM_E10value_typeET4_T5_PSR_SS_PNS1_23onesweep_lookback_stateEbbT6_jjT7_P12ihipStream_tbENKUlT_T0_SG_SL_E_clIS7_S7_S7_SB_EEDaSZ_S10_SG_SL_EUlSZ_E_NS1_11comp_targetILNS1_3genE9ELNS1_11target_archE1100ELNS1_3gpuE3ELNS1_3repE0EEENS1_47radix_sort_onesweep_sort_config_static_selectorELNS0_4arch9wavefront6targetE1EEEvSG_, .Lfunc_end1157-_ZN7rocprim17ROCPRIM_400000_NS6detail17trampoline_kernelINS0_14default_configENS1_35radix_sort_onesweep_config_selectorIllEEZZNS1_29radix_sort_onesweep_iterationIS3_Lb0EPlS7_N6thrust23THRUST_200600_302600_NS10device_ptrIlEESB_jNS0_19identity_decomposerENS1_16block_id_wrapperIjLb1EEEEE10hipError_tT1_PNSt15iterator_traitsISG_E10value_typeET2_T3_PNSH_ISM_E10value_typeET4_T5_PSR_SS_PNS1_23onesweep_lookback_stateEbbT6_jjT7_P12ihipStream_tbENKUlT_T0_SG_SL_E_clIS7_S7_S7_SB_EEDaSZ_S10_SG_SL_EUlSZ_E_NS1_11comp_targetILNS1_3genE9ELNS1_11target_archE1100ELNS1_3gpuE3ELNS1_3repE0EEENS1_47radix_sort_onesweep_sort_config_static_selectorELNS0_4arch9wavefront6targetE1EEEvSG_
                                        ; -- End function
	.set _ZN7rocprim17ROCPRIM_400000_NS6detail17trampoline_kernelINS0_14default_configENS1_35radix_sort_onesweep_config_selectorIllEEZZNS1_29radix_sort_onesweep_iterationIS3_Lb0EPlS7_N6thrust23THRUST_200600_302600_NS10device_ptrIlEESB_jNS0_19identity_decomposerENS1_16block_id_wrapperIjLb1EEEEE10hipError_tT1_PNSt15iterator_traitsISG_E10value_typeET2_T3_PNSH_ISM_E10value_typeET4_T5_PSR_SS_PNS1_23onesweep_lookback_stateEbbT6_jjT7_P12ihipStream_tbENKUlT_T0_SG_SL_E_clIS7_S7_S7_SB_EEDaSZ_S10_SG_SL_EUlSZ_E_NS1_11comp_targetILNS1_3genE9ELNS1_11target_archE1100ELNS1_3gpuE3ELNS1_3repE0EEENS1_47radix_sort_onesweep_sort_config_static_selectorELNS0_4arch9wavefront6targetE1EEEvSG_.num_vgpr, 0
	.set _ZN7rocprim17ROCPRIM_400000_NS6detail17trampoline_kernelINS0_14default_configENS1_35radix_sort_onesweep_config_selectorIllEEZZNS1_29radix_sort_onesweep_iterationIS3_Lb0EPlS7_N6thrust23THRUST_200600_302600_NS10device_ptrIlEESB_jNS0_19identity_decomposerENS1_16block_id_wrapperIjLb1EEEEE10hipError_tT1_PNSt15iterator_traitsISG_E10value_typeET2_T3_PNSH_ISM_E10value_typeET4_T5_PSR_SS_PNS1_23onesweep_lookback_stateEbbT6_jjT7_P12ihipStream_tbENKUlT_T0_SG_SL_E_clIS7_S7_S7_SB_EEDaSZ_S10_SG_SL_EUlSZ_E_NS1_11comp_targetILNS1_3genE9ELNS1_11target_archE1100ELNS1_3gpuE3ELNS1_3repE0EEENS1_47radix_sort_onesweep_sort_config_static_selectorELNS0_4arch9wavefront6targetE1EEEvSG_.num_agpr, 0
	.set _ZN7rocprim17ROCPRIM_400000_NS6detail17trampoline_kernelINS0_14default_configENS1_35radix_sort_onesweep_config_selectorIllEEZZNS1_29radix_sort_onesweep_iterationIS3_Lb0EPlS7_N6thrust23THRUST_200600_302600_NS10device_ptrIlEESB_jNS0_19identity_decomposerENS1_16block_id_wrapperIjLb1EEEEE10hipError_tT1_PNSt15iterator_traitsISG_E10value_typeET2_T3_PNSH_ISM_E10value_typeET4_T5_PSR_SS_PNS1_23onesweep_lookback_stateEbbT6_jjT7_P12ihipStream_tbENKUlT_T0_SG_SL_E_clIS7_S7_S7_SB_EEDaSZ_S10_SG_SL_EUlSZ_E_NS1_11comp_targetILNS1_3genE9ELNS1_11target_archE1100ELNS1_3gpuE3ELNS1_3repE0EEENS1_47radix_sort_onesweep_sort_config_static_selectorELNS0_4arch9wavefront6targetE1EEEvSG_.numbered_sgpr, 0
	.set _ZN7rocprim17ROCPRIM_400000_NS6detail17trampoline_kernelINS0_14default_configENS1_35radix_sort_onesweep_config_selectorIllEEZZNS1_29radix_sort_onesweep_iterationIS3_Lb0EPlS7_N6thrust23THRUST_200600_302600_NS10device_ptrIlEESB_jNS0_19identity_decomposerENS1_16block_id_wrapperIjLb1EEEEE10hipError_tT1_PNSt15iterator_traitsISG_E10value_typeET2_T3_PNSH_ISM_E10value_typeET4_T5_PSR_SS_PNS1_23onesweep_lookback_stateEbbT6_jjT7_P12ihipStream_tbENKUlT_T0_SG_SL_E_clIS7_S7_S7_SB_EEDaSZ_S10_SG_SL_EUlSZ_E_NS1_11comp_targetILNS1_3genE9ELNS1_11target_archE1100ELNS1_3gpuE3ELNS1_3repE0EEENS1_47radix_sort_onesweep_sort_config_static_selectorELNS0_4arch9wavefront6targetE1EEEvSG_.num_named_barrier, 0
	.set _ZN7rocprim17ROCPRIM_400000_NS6detail17trampoline_kernelINS0_14default_configENS1_35radix_sort_onesweep_config_selectorIllEEZZNS1_29radix_sort_onesweep_iterationIS3_Lb0EPlS7_N6thrust23THRUST_200600_302600_NS10device_ptrIlEESB_jNS0_19identity_decomposerENS1_16block_id_wrapperIjLb1EEEEE10hipError_tT1_PNSt15iterator_traitsISG_E10value_typeET2_T3_PNSH_ISM_E10value_typeET4_T5_PSR_SS_PNS1_23onesweep_lookback_stateEbbT6_jjT7_P12ihipStream_tbENKUlT_T0_SG_SL_E_clIS7_S7_S7_SB_EEDaSZ_S10_SG_SL_EUlSZ_E_NS1_11comp_targetILNS1_3genE9ELNS1_11target_archE1100ELNS1_3gpuE3ELNS1_3repE0EEENS1_47radix_sort_onesweep_sort_config_static_selectorELNS0_4arch9wavefront6targetE1EEEvSG_.private_seg_size, 0
	.set _ZN7rocprim17ROCPRIM_400000_NS6detail17trampoline_kernelINS0_14default_configENS1_35radix_sort_onesweep_config_selectorIllEEZZNS1_29radix_sort_onesweep_iterationIS3_Lb0EPlS7_N6thrust23THRUST_200600_302600_NS10device_ptrIlEESB_jNS0_19identity_decomposerENS1_16block_id_wrapperIjLb1EEEEE10hipError_tT1_PNSt15iterator_traitsISG_E10value_typeET2_T3_PNSH_ISM_E10value_typeET4_T5_PSR_SS_PNS1_23onesweep_lookback_stateEbbT6_jjT7_P12ihipStream_tbENKUlT_T0_SG_SL_E_clIS7_S7_S7_SB_EEDaSZ_S10_SG_SL_EUlSZ_E_NS1_11comp_targetILNS1_3genE9ELNS1_11target_archE1100ELNS1_3gpuE3ELNS1_3repE0EEENS1_47radix_sort_onesweep_sort_config_static_selectorELNS0_4arch9wavefront6targetE1EEEvSG_.uses_vcc, 0
	.set _ZN7rocprim17ROCPRIM_400000_NS6detail17trampoline_kernelINS0_14default_configENS1_35radix_sort_onesweep_config_selectorIllEEZZNS1_29radix_sort_onesweep_iterationIS3_Lb0EPlS7_N6thrust23THRUST_200600_302600_NS10device_ptrIlEESB_jNS0_19identity_decomposerENS1_16block_id_wrapperIjLb1EEEEE10hipError_tT1_PNSt15iterator_traitsISG_E10value_typeET2_T3_PNSH_ISM_E10value_typeET4_T5_PSR_SS_PNS1_23onesweep_lookback_stateEbbT6_jjT7_P12ihipStream_tbENKUlT_T0_SG_SL_E_clIS7_S7_S7_SB_EEDaSZ_S10_SG_SL_EUlSZ_E_NS1_11comp_targetILNS1_3genE9ELNS1_11target_archE1100ELNS1_3gpuE3ELNS1_3repE0EEENS1_47radix_sort_onesweep_sort_config_static_selectorELNS0_4arch9wavefront6targetE1EEEvSG_.uses_flat_scratch, 0
	.set _ZN7rocprim17ROCPRIM_400000_NS6detail17trampoline_kernelINS0_14default_configENS1_35radix_sort_onesweep_config_selectorIllEEZZNS1_29radix_sort_onesweep_iterationIS3_Lb0EPlS7_N6thrust23THRUST_200600_302600_NS10device_ptrIlEESB_jNS0_19identity_decomposerENS1_16block_id_wrapperIjLb1EEEEE10hipError_tT1_PNSt15iterator_traitsISG_E10value_typeET2_T3_PNSH_ISM_E10value_typeET4_T5_PSR_SS_PNS1_23onesweep_lookback_stateEbbT6_jjT7_P12ihipStream_tbENKUlT_T0_SG_SL_E_clIS7_S7_S7_SB_EEDaSZ_S10_SG_SL_EUlSZ_E_NS1_11comp_targetILNS1_3genE9ELNS1_11target_archE1100ELNS1_3gpuE3ELNS1_3repE0EEENS1_47radix_sort_onesweep_sort_config_static_selectorELNS0_4arch9wavefront6targetE1EEEvSG_.has_dyn_sized_stack, 0
	.set _ZN7rocprim17ROCPRIM_400000_NS6detail17trampoline_kernelINS0_14default_configENS1_35radix_sort_onesweep_config_selectorIllEEZZNS1_29radix_sort_onesweep_iterationIS3_Lb0EPlS7_N6thrust23THRUST_200600_302600_NS10device_ptrIlEESB_jNS0_19identity_decomposerENS1_16block_id_wrapperIjLb1EEEEE10hipError_tT1_PNSt15iterator_traitsISG_E10value_typeET2_T3_PNSH_ISM_E10value_typeET4_T5_PSR_SS_PNS1_23onesweep_lookback_stateEbbT6_jjT7_P12ihipStream_tbENKUlT_T0_SG_SL_E_clIS7_S7_S7_SB_EEDaSZ_S10_SG_SL_EUlSZ_E_NS1_11comp_targetILNS1_3genE9ELNS1_11target_archE1100ELNS1_3gpuE3ELNS1_3repE0EEENS1_47radix_sort_onesweep_sort_config_static_selectorELNS0_4arch9wavefront6targetE1EEEvSG_.has_recursion, 0
	.set _ZN7rocprim17ROCPRIM_400000_NS6detail17trampoline_kernelINS0_14default_configENS1_35radix_sort_onesweep_config_selectorIllEEZZNS1_29radix_sort_onesweep_iterationIS3_Lb0EPlS7_N6thrust23THRUST_200600_302600_NS10device_ptrIlEESB_jNS0_19identity_decomposerENS1_16block_id_wrapperIjLb1EEEEE10hipError_tT1_PNSt15iterator_traitsISG_E10value_typeET2_T3_PNSH_ISM_E10value_typeET4_T5_PSR_SS_PNS1_23onesweep_lookback_stateEbbT6_jjT7_P12ihipStream_tbENKUlT_T0_SG_SL_E_clIS7_S7_S7_SB_EEDaSZ_S10_SG_SL_EUlSZ_E_NS1_11comp_targetILNS1_3genE9ELNS1_11target_archE1100ELNS1_3gpuE3ELNS1_3repE0EEENS1_47radix_sort_onesweep_sort_config_static_selectorELNS0_4arch9wavefront6targetE1EEEvSG_.has_indirect_call, 0
	.section	.AMDGPU.csdata,"",@progbits
; Kernel info:
; codeLenInByte = 0
; TotalNumSgprs: 4
; NumVgprs: 0
; ScratchSize: 0
; MemoryBound: 0
; FloatMode: 240
; IeeeMode: 1
; LDSByteSize: 0 bytes/workgroup (compile time only)
; SGPRBlocks: 0
; VGPRBlocks: 0
; NumSGPRsForWavesPerEU: 4
; NumVGPRsForWavesPerEU: 1
; Occupancy: 10
; WaveLimiterHint : 0
; COMPUTE_PGM_RSRC2:SCRATCH_EN: 0
; COMPUTE_PGM_RSRC2:USER_SGPR: 6
; COMPUTE_PGM_RSRC2:TRAP_HANDLER: 0
; COMPUTE_PGM_RSRC2:TGID_X_EN: 1
; COMPUTE_PGM_RSRC2:TGID_Y_EN: 0
; COMPUTE_PGM_RSRC2:TGID_Z_EN: 0
; COMPUTE_PGM_RSRC2:TIDIG_COMP_CNT: 0
	.section	.text._ZN7rocprim17ROCPRIM_400000_NS6detail17trampoline_kernelINS0_14default_configENS1_35radix_sort_onesweep_config_selectorIllEEZZNS1_29radix_sort_onesweep_iterationIS3_Lb0EPlS7_N6thrust23THRUST_200600_302600_NS10device_ptrIlEESB_jNS0_19identity_decomposerENS1_16block_id_wrapperIjLb1EEEEE10hipError_tT1_PNSt15iterator_traitsISG_E10value_typeET2_T3_PNSH_ISM_E10value_typeET4_T5_PSR_SS_PNS1_23onesweep_lookback_stateEbbT6_jjT7_P12ihipStream_tbENKUlT_T0_SG_SL_E_clIS7_S7_S7_SB_EEDaSZ_S10_SG_SL_EUlSZ_E_NS1_11comp_targetILNS1_3genE8ELNS1_11target_archE1030ELNS1_3gpuE2ELNS1_3repE0EEENS1_47radix_sort_onesweep_sort_config_static_selectorELNS0_4arch9wavefront6targetE1EEEvSG_,"axG",@progbits,_ZN7rocprim17ROCPRIM_400000_NS6detail17trampoline_kernelINS0_14default_configENS1_35radix_sort_onesweep_config_selectorIllEEZZNS1_29radix_sort_onesweep_iterationIS3_Lb0EPlS7_N6thrust23THRUST_200600_302600_NS10device_ptrIlEESB_jNS0_19identity_decomposerENS1_16block_id_wrapperIjLb1EEEEE10hipError_tT1_PNSt15iterator_traitsISG_E10value_typeET2_T3_PNSH_ISM_E10value_typeET4_T5_PSR_SS_PNS1_23onesweep_lookback_stateEbbT6_jjT7_P12ihipStream_tbENKUlT_T0_SG_SL_E_clIS7_S7_S7_SB_EEDaSZ_S10_SG_SL_EUlSZ_E_NS1_11comp_targetILNS1_3genE8ELNS1_11target_archE1030ELNS1_3gpuE2ELNS1_3repE0EEENS1_47radix_sort_onesweep_sort_config_static_selectorELNS0_4arch9wavefront6targetE1EEEvSG_,comdat
	.protected	_ZN7rocprim17ROCPRIM_400000_NS6detail17trampoline_kernelINS0_14default_configENS1_35radix_sort_onesweep_config_selectorIllEEZZNS1_29radix_sort_onesweep_iterationIS3_Lb0EPlS7_N6thrust23THRUST_200600_302600_NS10device_ptrIlEESB_jNS0_19identity_decomposerENS1_16block_id_wrapperIjLb1EEEEE10hipError_tT1_PNSt15iterator_traitsISG_E10value_typeET2_T3_PNSH_ISM_E10value_typeET4_T5_PSR_SS_PNS1_23onesweep_lookback_stateEbbT6_jjT7_P12ihipStream_tbENKUlT_T0_SG_SL_E_clIS7_S7_S7_SB_EEDaSZ_S10_SG_SL_EUlSZ_E_NS1_11comp_targetILNS1_3genE8ELNS1_11target_archE1030ELNS1_3gpuE2ELNS1_3repE0EEENS1_47radix_sort_onesweep_sort_config_static_selectorELNS0_4arch9wavefront6targetE1EEEvSG_ ; -- Begin function _ZN7rocprim17ROCPRIM_400000_NS6detail17trampoline_kernelINS0_14default_configENS1_35radix_sort_onesweep_config_selectorIllEEZZNS1_29radix_sort_onesweep_iterationIS3_Lb0EPlS7_N6thrust23THRUST_200600_302600_NS10device_ptrIlEESB_jNS0_19identity_decomposerENS1_16block_id_wrapperIjLb1EEEEE10hipError_tT1_PNSt15iterator_traitsISG_E10value_typeET2_T3_PNSH_ISM_E10value_typeET4_T5_PSR_SS_PNS1_23onesweep_lookback_stateEbbT6_jjT7_P12ihipStream_tbENKUlT_T0_SG_SL_E_clIS7_S7_S7_SB_EEDaSZ_S10_SG_SL_EUlSZ_E_NS1_11comp_targetILNS1_3genE8ELNS1_11target_archE1030ELNS1_3gpuE2ELNS1_3repE0EEENS1_47radix_sort_onesweep_sort_config_static_selectorELNS0_4arch9wavefront6targetE1EEEvSG_
	.globl	_ZN7rocprim17ROCPRIM_400000_NS6detail17trampoline_kernelINS0_14default_configENS1_35radix_sort_onesweep_config_selectorIllEEZZNS1_29radix_sort_onesweep_iterationIS3_Lb0EPlS7_N6thrust23THRUST_200600_302600_NS10device_ptrIlEESB_jNS0_19identity_decomposerENS1_16block_id_wrapperIjLb1EEEEE10hipError_tT1_PNSt15iterator_traitsISG_E10value_typeET2_T3_PNSH_ISM_E10value_typeET4_T5_PSR_SS_PNS1_23onesweep_lookback_stateEbbT6_jjT7_P12ihipStream_tbENKUlT_T0_SG_SL_E_clIS7_S7_S7_SB_EEDaSZ_S10_SG_SL_EUlSZ_E_NS1_11comp_targetILNS1_3genE8ELNS1_11target_archE1030ELNS1_3gpuE2ELNS1_3repE0EEENS1_47radix_sort_onesweep_sort_config_static_selectorELNS0_4arch9wavefront6targetE1EEEvSG_
	.p2align	8
	.type	_ZN7rocprim17ROCPRIM_400000_NS6detail17trampoline_kernelINS0_14default_configENS1_35radix_sort_onesweep_config_selectorIllEEZZNS1_29radix_sort_onesweep_iterationIS3_Lb0EPlS7_N6thrust23THRUST_200600_302600_NS10device_ptrIlEESB_jNS0_19identity_decomposerENS1_16block_id_wrapperIjLb1EEEEE10hipError_tT1_PNSt15iterator_traitsISG_E10value_typeET2_T3_PNSH_ISM_E10value_typeET4_T5_PSR_SS_PNS1_23onesweep_lookback_stateEbbT6_jjT7_P12ihipStream_tbENKUlT_T0_SG_SL_E_clIS7_S7_S7_SB_EEDaSZ_S10_SG_SL_EUlSZ_E_NS1_11comp_targetILNS1_3genE8ELNS1_11target_archE1030ELNS1_3gpuE2ELNS1_3repE0EEENS1_47radix_sort_onesweep_sort_config_static_selectorELNS0_4arch9wavefront6targetE1EEEvSG_,@function
_ZN7rocprim17ROCPRIM_400000_NS6detail17trampoline_kernelINS0_14default_configENS1_35radix_sort_onesweep_config_selectorIllEEZZNS1_29radix_sort_onesweep_iterationIS3_Lb0EPlS7_N6thrust23THRUST_200600_302600_NS10device_ptrIlEESB_jNS0_19identity_decomposerENS1_16block_id_wrapperIjLb1EEEEE10hipError_tT1_PNSt15iterator_traitsISG_E10value_typeET2_T3_PNSH_ISM_E10value_typeET4_T5_PSR_SS_PNS1_23onesweep_lookback_stateEbbT6_jjT7_P12ihipStream_tbENKUlT_T0_SG_SL_E_clIS7_S7_S7_SB_EEDaSZ_S10_SG_SL_EUlSZ_E_NS1_11comp_targetILNS1_3genE8ELNS1_11target_archE1030ELNS1_3gpuE2ELNS1_3repE0EEENS1_47radix_sort_onesweep_sort_config_static_selectorELNS0_4arch9wavefront6targetE1EEEvSG_: ; @_ZN7rocprim17ROCPRIM_400000_NS6detail17trampoline_kernelINS0_14default_configENS1_35radix_sort_onesweep_config_selectorIllEEZZNS1_29radix_sort_onesweep_iterationIS3_Lb0EPlS7_N6thrust23THRUST_200600_302600_NS10device_ptrIlEESB_jNS0_19identity_decomposerENS1_16block_id_wrapperIjLb1EEEEE10hipError_tT1_PNSt15iterator_traitsISG_E10value_typeET2_T3_PNSH_ISM_E10value_typeET4_T5_PSR_SS_PNS1_23onesweep_lookback_stateEbbT6_jjT7_P12ihipStream_tbENKUlT_T0_SG_SL_E_clIS7_S7_S7_SB_EEDaSZ_S10_SG_SL_EUlSZ_E_NS1_11comp_targetILNS1_3genE8ELNS1_11target_archE1030ELNS1_3gpuE2ELNS1_3repE0EEENS1_47radix_sort_onesweep_sort_config_static_selectorELNS0_4arch9wavefront6targetE1EEEvSG_
; %bb.0:
	.section	.rodata,"a",@progbits
	.p2align	6, 0x0
	.amdhsa_kernel _ZN7rocprim17ROCPRIM_400000_NS6detail17trampoline_kernelINS0_14default_configENS1_35radix_sort_onesweep_config_selectorIllEEZZNS1_29radix_sort_onesweep_iterationIS3_Lb0EPlS7_N6thrust23THRUST_200600_302600_NS10device_ptrIlEESB_jNS0_19identity_decomposerENS1_16block_id_wrapperIjLb1EEEEE10hipError_tT1_PNSt15iterator_traitsISG_E10value_typeET2_T3_PNSH_ISM_E10value_typeET4_T5_PSR_SS_PNS1_23onesweep_lookback_stateEbbT6_jjT7_P12ihipStream_tbENKUlT_T0_SG_SL_E_clIS7_S7_S7_SB_EEDaSZ_S10_SG_SL_EUlSZ_E_NS1_11comp_targetILNS1_3genE8ELNS1_11target_archE1030ELNS1_3gpuE2ELNS1_3repE0EEENS1_47radix_sort_onesweep_sort_config_static_selectorELNS0_4arch9wavefront6targetE1EEEvSG_
		.amdhsa_group_segment_fixed_size 0
		.amdhsa_private_segment_fixed_size 0
		.amdhsa_kernarg_size 88
		.amdhsa_user_sgpr_count 6
		.amdhsa_user_sgpr_private_segment_buffer 1
		.amdhsa_user_sgpr_dispatch_ptr 0
		.amdhsa_user_sgpr_queue_ptr 0
		.amdhsa_user_sgpr_kernarg_segment_ptr 1
		.amdhsa_user_sgpr_dispatch_id 0
		.amdhsa_user_sgpr_flat_scratch_init 0
		.amdhsa_user_sgpr_private_segment_size 0
		.amdhsa_uses_dynamic_stack 0
		.amdhsa_system_sgpr_private_segment_wavefront_offset 0
		.amdhsa_system_sgpr_workgroup_id_x 1
		.amdhsa_system_sgpr_workgroup_id_y 0
		.amdhsa_system_sgpr_workgroup_id_z 0
		.amdhsa_system_sgpr_workgroup_info 0
		.amdhsa_system_vgpr_workitem_id 0
		.amdhsa_next_free_vgpr 1
		.amdhsa_next_free_sgpr 0
		.amdhsa_reserve_vcc 0
		.amdhsa_reserve_flat_scratch 0
		.amdhsa_float_round_mode_32 0
		.amdhsa_float_round_mode_16_64 0
		.amdhsa_float_denorm_mode_32 3
		.amdhsa_float_denorm_mode_16_64 3
		.amdhsa_dx10_clamp 1
		.amdhsa_ieee_mode 1
		.amdhsa_fp16_overflow 0
		.amdhsa_exception_fp_ieee_invalid_op 0
		.amdhsa_exception_fp_denorm_src 0
		.amdhsa_exception_fp_ieee_div_zero 0
		.amdhsa_exception_fp_ieee_overflow 0
		.amdhsa_exception_fp_ieee_underflow 0
		.amdhsa_exception_fp_ieee_inexact 0
		.amdhsa_exception_int_div_zero 0
	.end_amdhsa_kernel
	.section	.text._ZN7rocprim17ROCPRIM_400000_NS6detail17trampoline_kernelINS0_14default_configENS1_35radix_sort_onesweep_config_selectorIllEEZZNS1_29radix_sort_onesweep_iterationIS3_Lb0EPlS7_N6thrust23THRUST_200600_302600_NS10device_ptrIlEESB_jNS0_19identity_decomposerENS1_16block_id_wrapperIjLb1EEEEE10hipError_tT1_PNSt15iterator_traitsISG_E10value_typeET2_T3_PNSH_ISM_E10value_typeET4_T5_PSR_SS_PNS1_23onesweep_lookback_stateEbbT6_jjT7_P12ihipStream_tbENKUlT_T0_SG_SL_E_clIS7_S7_S7_SB_EEDaSZ_S10_SG_SL_EUlSZ_E_NS1_11comp_targetILNS1_3genE8ELNS1_11target_archE1030ELNS1_3gpuE2ELNS1_3repE0EEENS1_47radix_sort_onesweep_sort_config_static_selectorELNS0_4arch9wavefront6targetE1EEEvSG_,"axG",@progbits,_ZN7rocprim17ROCPRIM_400000_NS6detail17trampoline_kernelINS0_14default_configENS1_35radix_sort_onesweep_config_selectorIllEEZZNS1_29radix_sort_onesweep_iterationIS3_Lb0EPlS7_N6thrust23THRUST_200600_302600_NS10device_ptrIlEESB_jNS0_19identity_decomposerENS1_16block_id_wrapperIjLb1EEEEE10hipError_tT1_PNSt15iterator_traitsISG_E10value_typeET2_T3_PNSH_ISM_E10value_typeET4_T5_PSR_SS_PNS1_23onesweep_lookback_stateEbbT6_jjT7_P12ihipStream_tbENKUlT_T0_SG_SL_E_clIS7_S7_S7_SB_EEDaSZ_S10_SG_SL_EUlSZ_E_NS1_11comp_targetILNS1_3genE8ELNS1_11target_archE1030ELNS1_3gpuE2ELNS1_3repE0EEENS1_47radix_sort_onesweep_sort_config_static_selectorELNS0_4arch9wavefront6targetE1EEEvSG_,comdat
.Lfunc_end1158:
	.size	_ZN7rocprim17ROCPRIM_400000_NS6detail17trampoline_kernelINS0_14default_configENS1_35radix_sort_onesweep_config_selectorIllEEZZNS1_29radix_sort_onesweep_iterationIS3_Lb0EPlS7_N6thrust23THRUST_200600_302600_NS10device_ptrIlEESB_jNS0_19identity_decomposerENS1_16block_id_wrapperIjLb1EEEEE10hipError_tT1_PNSt15iterator_traitsISG_E10value_typeET2_T3_PNSH_ISM_E10value_typeET4_T5_PSR_SS_PNS1_23onesweep_lookback_stateEbbT6_jjT7_P12ihipStream_tbENKUlT_T0_SG_SL_E_clIS7_S7_S7_SB_EEDaSZ_S10_SG_SL_EUlSZ_E_NS1_11comp_targetILNS1_3genE8ELNS1_11target_archE1030ELNS1_3gpuE2ELNS1_3repE0EEENS1_47radix_sort_onesweep_sort_config_static_selectorELNS0_4arch9wavefront6targetE1EEEvSG_, .Lfunc_end1158-_ZN7rocprim17ROCPRIM_400000_NS6detail17trampoline_kernelINS0_14default_configENS1_35radix_sort_onesweep_config_selectorIllEEZZNS1_29radix_sort_onesweep_iterationIS3_Lb0EPlS7_N6thrust23THRUST_200600_302600_NS10device_ptrIlEESB_jNS0_19identity_decomposerENS1_16block_id_wrapperIjLb1EEEEE10hipError_tT1_PNSt15iterator_traitsISG_E10value_typeET2_T3_PNSH_ISM_E10value_typeET4_T5_PSR_SS_PNS1_23onesweep_lookback_stateEbbT6_jjT7_P12ihipStream_tbENKUlT_T0_SG_SL_E_clIS7_S7_S7_SB_EEDaSZ_S10_SG_SL_EUlSZ_E_NS1_11comp_targetILNS1_3genE8ELNS1_11target_archE1030ELNS1_3gpuE2ELNS1_3repE0EEENS1_47radix_sort_onesweep_sort_config_static_selectorELNS0_4arch9wavefront6targetE1EEEvSG_
                                        ; -- End function
	.set _ZN7rocprim17ROCPRIM_400000_NS6detail17trampoline_kernelINS0_14default_configENS1_35radix_sort_onesweep_config_selectorIllEEZZNS1_29radix_sort_onesweep_iterationIS3_Lb0EPlS7_N6thrust23THRUST_200600_302600_NS10device_ptrIlEESB_jNS0_19identity_decomposerENS1_16block_id_wrapperIjLb1EEEEE10hipError_tT1_PNSt15iterator_traitsISG_E10value_typeET2_T3_PNSH_ISM_E10value_typeET4_T5_PSR_SS_PNS1_23onesweep_lookback_stateEbbT6_jjT7_P12ihipStream_tbENKUlT_T0_SG_SL_E_clIS7_S7_S7_SB_EEDaSZ_S10_SG_SL_EUlSZ_E_NS1_11comp_targetILNS1_3genE8ELNS1_11target_archE1030ELNS1_3gpuE2ELNS1_3repE0EEENS1_47radix_sort_onesweep_sort_config_static_selectorELNS0_4arch9wavefront6targetE1EEEvSG_.num_vgpr, 0
	.set _ZN7rocprim17ROCPRIM_400000_NS6detail17trampoline_kernelINS0_14default_configENS1_35radix_sort_onesweep_config_selectorIllEEZZNS1_29radix_sort_onesweep_iterationIS3_Lb0EPlS7_N6thrust23THRUST_200600_302600_NS10device_ptrIlEESB_jNS0_19identity_decomposerENS1_16block_id_wrapperIjLb1EEEEE10hipError_tT1_PNSt15iterator_traitsISG_E10value_typeET2_T3_PNSH_ISM_E10value_typeET4_T5_PSR_SS_PNS1_23onesweep_lookback_stateEbbT6_jjT7_P12ihipStream_tbENKUlT_T0_SG_SL_E_clIS7_S7_S7_SB_EEDaSZ_S10_SG_SL_EUlSZ_E_NS1_11comp_targetILNS1_3genE8ELNS1_11target_archE1030ELNS1_3gpuE2ELNS1_3repE0EEENS1_47radix_sort_onesweep_sort_config_static_selectorELNS0_4arch9wavefront6targetE1EEEvSG_.num_agpr, 0
	.set _ZN7rocprim17ROCPRIM_400000_NS6detail17trampoline_kernelINS0_14default_configENS1_35radix_sort_onesweep_config_selectorIllEEZZNS1_29radix_sort_onesweep_iterationIS3_Lb0EPlS7_N6thrust23THRUST_200600_302600_NS10device_ptrIlEESB_jNS0_19identity_decomposerENS1_16block_id_wrapperIjLb1EEEEE10hipError_tT1_PNSt15iterator_traitsISG_E10value_typeET2_T3_PNSH_ISM_E10value_typeET4_T5_PSR_SS_PNS1_23onesweep_lookback_stateEbbT6_jjT7_P12ihipStream_tbENKUlT_T0_SG_SL_E_clIS7_S7_S7_SB_EEDaSZ_S10_SG_SL_EUlSZ_E_NS1_11comp_targetILNS1_3genE8ELNS1_11target_archE1030ELNS1_3gpuE2ELNS1_3repE0EEENS1_47radix_sort_onesweep_sort_config_static_selectorELNS0_4arch9wavefront6targetE1EEEvSG_.numbered_sgpr, 0
	.set _ZN7rocprim17ROCPRIM_400000_NS6detail17trampoline_kernelINS0_14default_configENS1_35radix_sort_onesweep_config_selectorIllEEZZNS1_29radix_sort_onesweep_iterationIS3_Lb0EPlS7_N6thrust23THRUST_200600_302600_NS10device_ptrIlEESB_jNS0_19identity_decomposerENS1_16block_id_wrapperIjLb1EEEEE10hipError_tT1_PNSt15iterator_traitsISG_E10value_typeET2_T3_PNSH_ISM_E10value_typeET4_T5_PSR_SS_PNS1_23onesweep_lookback_stateEbbT6_jjT7_P12ihipStream_tbENKUlT_T0_SG_SL_E_clIS7_S7_S7_SB_EEDaSZ_S10_SG_SL_EUlSZ_E_NS1_11comp_targetILNS1_3genE8ELNS1_11target_archE1030ELNS1_3gpuE2ELNS1_3repE0EEENS1_47radix_sort_onesweep_sort_config_static_selectorELNS0_4arch9wavefront6targetE1EEEvSG_.num_named_barrier, 0
	.set _ZN7rocprim17ROCPRIM_400000_NS6detail17trampoline_kernelINS0_14default_configENS1_35radix_sort_onesweep_config_selectorIllEEZZNS1_29radix_sort_onesweep_iterationIS3_Lb0EPlS7_N6thrust23THRUST_200600_302600_NS10device_ptrIlEESB_jNS0_19identity_decomposerENS1_16block_id_wrapperIjLb1EEEEE10hipError_tT1_PNSt15iterator_traitsISG_E10value_typeET2_T3_PNSH_ISM_E10value_typeET4_T5_PSR_SS_PNS1_23onesweep_lookback_stateEbbT6_jjT7_P12ihipStream_tbENKUlT_T0_SG_SL_E_clIS7_S7_S7_SB_EEDaSZ_S10_SG_SL_EUlSZ_E_NS1_11comp_targetILNS1_3genE8ELNS1_11target_archE1030ELNS1_3gpuE2ELNS1_3repE0EEENS1_47radix_sort_onesweep_sort_config_static_selectorELNS0_4arch9wavefront6targetE1EEEvSG_.private_seg_size, 0
	.set _ZN7rocprim17ROCPRIM_400000_NS6detail17trampoline_kernelINS0_14default_configENS1_35radix_sort_onesweep_config_selectorIllEEZZNS1_29radix_sort_onesweep_iterationIS3_Lb0EPlS7_N6thrust23THRUST_200600_302600_NS10device_ptrIlEESB_jNS0_19identity_decomposerENS1_16block_id_wrapperIjLb1EEEEE10hipError_tT1_PNSt15iterator_traitsISG_E10value_typeET2_T3_PNSH_ISM_E10value_typeET4_T5_PSR_SS_PNS1_23onesweep_lookback_stateEbbT6_jjT7_P12ihipStream_tbENKUlT_T0_SG_SL_E_clIS7_S7_S7_SB_EEDaSZ_S10_SG_SL_EUlSZ_E_NS1_11comp_targetILNS1_3genE8ELNS1_11target_archE1030ELNS1_3gpuE2ELNS1_3repE0EEENS1_47radix_sort_onesweep_sort_config_static_selectorELNS0_4arch9wavefront6targetE1EEEvSG_.uses_vcc, 0
	.set _ZN7rocprim17ROCPRIM_400000_NS6detail17trampoline_kernelINS0_14default_configENS1_35radix_sort_onesweep_config_selectorIllEEZZNS1_29radix_sort_onesweep_iterationIS3_Lb0EPlS7_N6thrust23THRUST_200600_302600_NS10device_ptrIlEESB_jNS0_19identity_decomposerENS1_16block_id_wrapperIjLb1EEEEE10hipError_tT1_PNSt15iterator_traitsISG_E10value_typeET2_T3_PNSH_ISM_E10value_typeET4_T5_PSR_SS_PNS1_23onesweep_lookback_stateEbbT6_jjT7_P12ihipStream_tbENKUlT_T0_SG_SL_E_clIS7_S7_S7_SB_EEDaSZ_S10_SG_SL_EUlSZ_E_NS1_11comp_targetILNS1_3genE8ELNS1_11target_archE1030ELNS1_3gpuE2ELNS1_3repE0EEENS1_47radix_sort_onesweep_sort_config_static_selectorELNS0_4arch9wavefront6targetE1EEEvSG_.uses_flat_scratch, 0
	.set _ZN7rocprim17ROCPRIM_400000_NS6detail17trampoline_kernelINS0_14default_configENS1_35radix_sort_onesweep_config_selectorIllEEZZNS1_29radix_sort_onesweep_iterationIS3_Lb0EPlS7_N6thrust23THRUST_200600_302600_NS10device_ptrIlEESB_jNS0_19identity_decomposerENS1_16block_id_wrapperIjLb1EEEEE10hipError_tT1_PNSt15iterator_traitsISG_E10value_typeET2_T3_PNSH_ISM_E10value_typeET4_T5_PSR_SS_PNS1_23onesweep_lookback_stateEbbT6_jjT7_P12ihipStream_tbENKUlT_T0_SG_SL_E_clIS7_S7_S7_SB_EEDaSZ_S10_SG_SL_EUlSZ_E_NS1_11comp_targetILNS1_3genE8ELNS1_11target_archE1030ELNS1_3gpuE2ELNS1_3repE0EEENS1_47radix_sort_onesweep_sort_config_static_selectorELNS0_4arch9wavefront6targetE1EEEvSG_.has_dyn_sized_stack, 0
	.set _ZN7rocprim17ROCPRIM_400000_NS6detail17trampoline_kernelINS0_14default_configENS1_35radix_sort_onesweep_config_selectorIllEEZZNS1_29radix_sort_onesweep_iterationIS3_Lb0EPlS7_N6thrust23THRUST_200600_302600_NS10device_ptrIlEESB_jNS0_19identity_decomposerENS1_16block_id_wrapperIjLb1EEEEE10hipError_tT1_PNSt15iterator_traitsISG_E10value_typeET2_T3_PNSH_ISM_E10value_typeET4_T5_PSR_SS_PNS1_23onesweep_lookback_stateEbbT6_jjT7_P12ihipStream_tbENKUlT_T0_SG_SL_E_clIS7_S7_S7_SB_EEDaSZ_S10_SG_SL_EUlSZ_E_NS1_11comp_targetILNS1_3genE8ELNS1_11target_archE1030ELNS1_3gpuE2ELNS1_3repE0EEENS1_47radix_sort_onesweep_sort_config_static_selectorELNS0_4arch9wavefront6targetE1EEEvSG_.has_recursion, 0
	.set _ZN7rocprim17ROCPRIM_400000_NS6detail17trampoline_kernelINS0_14default_configENS1_35radix_sort_onesweep_config_selectorIllEEZZNS1_29radix_sort_onesweep_iterationIS3_Lb0EPlS7_N6thrust23THRUST_200600_302600_NS10device_ptrIlEESB_jNS0_19identity_decomposerENS1_16block_id_wrapperIjLb1EEEEE10hipError_tT1_PNSt15iterator_traitsISG_E10value_typeET2_T3_PNSH_ISM_E10value_typeET4_T5_PSR_SS_PNS1_23onesweep_lookback_stateEbbT6_jjT7_P12ihipStream_tbENKUlT_T0_SG_SL_E_clIS7_S7_S7_SB_EEDaSZ_S10_SG_SL_EUlSZ_E_NS1_11comp_targetILNS1_3genE8ELNS1_11target_archE1030ELNS1_3gpuE2ELNS1_3repE0EEENS1_47radix_sort_onesweep_sort_config_static_selectorELNS0_4arch9wavefront6targetE1EEEvSG_.has_indirect_call, 0
	.section	.AMDGPU.csdata,"",@progbits
; Kernel info:
; codeLenInByte = 0
; TotalNumSgprs: 4
; NumVgprs: 0
; ScratchSize: 0
; MemoryBound: 0
; FloatMode: 240
; IeeeMode: 1
; LDSByteSize: 0 bytes/workgroup (compile time only)
; SGPRBlocks: 0
; VGPRBlocks: 0
; NumSGPRsForWavesPerEU: 4
; NumVGPRsForWavesPerEU: 1
; Occupancy: 10
; WaveLimiterHint : 0
; COMPUTE_PGM_RSRC2:SCRATCH_EN: 0
; COMPUTE_PGM_RSRC2:USER_SGPR: 6
; COMPUTE_PGM_RSRC2:TRAP_HANDLER: 0
; COMPUTE_PGM_RSRC2:TGID_X_EN: 1
; COMPUTE_PGM_RSRC2:TGID_Y_EN: 0
; COMPUTE_PGM_RSRC2:TGID_Z_EN: 0
; COMPUTE_PGM_RSRC2:TIDIG_COMP_CNT: 0
	.section	.text._ZN7rocprim17ROCPRIM_400000_NS6detail17trampoline_kernelINS0_14default_configENS1_35radix_sort_onesweep_config_selectorIllEEZZNS1_29radix_sort_onesweep_iterationIS3_Lb0EPlS7_N6thrust23THRUST_200600_302600_NS10device_ptrIlEESB_jNS0_19identity_decomposerENS1_16block_id_wrapperIjLb0EEEEE10hipError_tT1_PNSt15iterator_traitsISG_E10value_typeET2_T3_PNSH_ISM_E10value_typeET4_T5_PSR_SS_PNS1_23onesweep_lookback_stateEbbT6_jjT7_P12ihipStream_tbENKUlT_T0_SG_SL_E_clIS7_S7_SB_SB_EEDaSZ_S10_SG_SL_EUlSZ_E_NS1_11comp_targetILNS1_3genE0ELNS1_11target_archE4294967295ELNS1_3gpuE0ELNS1_3repE0EEENS1_47radix_sort_onesweep_sort_config_static_selectorELNS0_4arch9wavefront6targetE1EEEvSG_,"axG",@progbits,_ZN7rocprim17ROCPRIM_400000_NS6detail17trampoline_kernelINS0_14default_configENS1_35radix_sort_onesweep_config_selectorIllEEZZNS1_29radix_sort_onesweep_iterationIS3_Lb0EPlS7_N6thrust23THRUST_200600_302600_NS10device_ptrIlEESB_jNS0_19identity_decomposerENS1_16block_id_wrapperIjLb0EEEEE10hipError_tT1_PNSt15iterator_traitsISG_E10value_typeET2_T3_PNSH_ISM_E10value_typeET4_T5_PSR_SS_PNS1_23onesweep_lookback_stateEbbT6_jjT7_P12ihipStream_tbENKUlT_T0_SG_SL_E_clIS7_S7_SB_SB_EEDaSZ_S10_SG_SL_EUlSZ_E_NS1_11comp_targetILNS1_3genE0ELNS1_11target_archE4294967295ELNS1_3gpuE0ELNS1_3repE0EEENS1_47radix_sort_onesweep_sort_config_static_selectorELNS0_4arch9wavefront6targetE1EEEvSG_,comdat
	.protected	_ZN7rocprim17ROCPRIM_400000_NS6detail17trampoline_kernelINS0_14default_configENS1_35radix_sort_onesweep_config_selectorIllEEZZNS1_29radix_sort_onesweep_iterationIS3_Lb0EPlS7_N6thrust23THRUST_200600_302600_NS10device_ptrIlEESB_jNS0_19identity_decomposerENS1_16block_id_wrapperIjLb0EEEEE10hipError_tT1_PNSt15iterator_traitsISG_E10value_typeET2_T3_PNSH_ISM_E10value_typeET4_T5_PSR_SS_PNS1_23onesweep_lookback_stateEbbT6_jjT7_P12ihipStream_tbENKUlT_T0_SG_SL_E_clIS7_S7_SB_SB_EEDaSZ_S10_SG_SL_EUlSZ_E_NS1_11comp_targetILNS1_3genE0ELNS1_11target_archE4294967295ELNS1_3gpuE0ELNS1_3repE0EEENS1_47radix_sort_onesweep_sort_config_static_selectorELNS0_4arch9wavefront6targetE1EEEvSG_ ; -- Begin function _ZN7rocprim17ROCPRIM_400000_NS6detail17trampoline_kernelINS0_14default_configENS1_35radix_sort_onesweep_config_selectorIllEEZZNS1_29radix_sort_onesweep_iterationIS3_Lb0EPlS7_N6thrust23THRUST_200600_302600_NS10device_ptrIlEESB_jNS0_19identity_decomposerENS1_16block_id_wrapperIjLb0EEEEE10hipError_tT1_PNSt15iterator_traitsISG_E10value_typeET2_T3_PNSH_ISM_E10value_typeET4_T5_PSR_SS_PNS1_23onesweep_lookback_stateEbbT6_jjT7_P12ihipStream_tbENKUlT_T0_SG_SL_E_clIS7_S7_SB_SB_EEDaSZ_S10_SG_SL_EUlSZ_E_NS1_11comp_targetILNS1_3genE0ELNS1_11target_archE4294967295ELNS1_3gpuE0ELNS1_3repE0EEENS1_47radix_sort_onesweep_sort_config_static_selectorELNS0_4arch9wavefront6targetE1EEEvSG_
	.globl	_ZN7rocprim17ROCPRIM_400000_NS6detail17trampoline_kernelINS0_14default_configENS1_35radix_sort_onesweep_config_selectorIllEEZZNS1_29radix_sort_onesweep_iterationIS3_Lb0EPlS7_N6thrust23THRUST_200600_302600_NS10device_ptrIlEESB_jNS0_19identity_decomposerENS1_16block_id_wrapperIjLb0EEEEE10hipError_tT1_PNSt15iterator_traitsISG_E10value_typeET2_T3_PNSH_ISM_E10value_typeET4_T5_PSR_SS_PNS1_23onesweep_lookback_stateEbbT6_jjT7_P12ihipStream_tbENKUlT_T0_SG_SL_E_clIS7_S7_SB_SB_EEDaSZ_S10_SG_SL_EUlSZ_E_NS1_11comp_targetILNS1_3genE0ELNS1_11target_archE4294967295ELNS1_3gpuE0ELNS1_3repE0EEENS1_47radix_sort_onesweep_sort_config_static_selectorELNS0_4arch9wavefront6targetE1EEEvSG_
	.p2align	8
	.type	_ZN7rocprim17ROCPRIM_400000_NS6detail17trampoline_kernelINS0_14default_configENS1_35radix_sort_onesweep_config_selectorIllEEZZNS1_29radix_sort_onesweep_iterationIS3_Lb0EPlS7_N6thrust23THRUST_200600_302600_NS10device_ptrIlEESB_jNS0_19identity_decomposerENS1_16block_id_wrapperIjLb0EEEEE10hipError_tT1_PNSt15iterator_traitsISG_E10value_typeET2_T3_PNSH_ISM_E10value_typeET4_T5_PSR_SS_PNS1_23onesweep_lookback_stateEbbT6_jjT7_P12ihipStream_tbENKUlT_T0_SG_SL_E_clIS7_S7_SB_SB_EEDaSZ_S10_SG_SL_EUlSZ_E_NS1_11comp_targetILNS1_3genE0ELNS1_11target_archE4294967295ELNS1_3gpuE0ELNS1_3repE0EEENS1_47radix_sort_onesweep_sort_config_static_selectorELNS0_4arch9wavefront6targetE1EEEvSG_,@function
_ZN7rocprim17ROCPRIM_400000_NS6detail17trampoline_kernelINS0_14default_configENS1_35radix_sort_onesweep_config_selectorIllEEZZNS1_29radix_sort_onesweep_iterationIS3_Lb0EPlS7_N6thrust23THRUST_200600_302600_NS10device_ptrIlEESB_jNS0_19identity_decomposerENS1_16block_id_wrapperIjLb0EEEEE10hipError_tT1_PNSt15iterator_traitsISG_E10value_typeET2_T3_PNSH_ISM_E10value_typeET4_T5_PSR_SS_PNS1_23onesweep_lookback_stateEbbT6_jjT7_P12ihipStream_tbENKUlT_T0_SG_SL_E_clIS7_S7_SB_SB_EEDaSZ_S10_SG_SL_EUlSZ_E_NS1_11comp_targetILNS1_3genE0ELNS1_11target_archE4294967295ELNS1_3gpuE0ELNS1_3repE0EEENS1_47radix_sort_onesweep_sort_config_static_selectorELNS0_4arch9wavefront6targetE1EEEvSG_: ; @_ZN7rocprim17ROCPRIM_400000_NS6detail17trampoline_kernelINS0_14default_configENS1_35radix_sort_onesweep_config_selectorIllEEZZNS1_29radix_sort_onesweep_iterationIS3_Lb0EPlS7_N6thrust23THRUST_200600_302600_NS10device_ptrIlEESB_jNS0_19identity_decomposerENS1_16block_id_wrapperIjLb0EEEEE10hipError_tT1_PNSt15iterator_traitsISG_E10value_typeET2_T3_PNSH_ISM_E10value_typeET4_T5_PSR_SS_PNS1_23onesweep_lookback_stateEbbT6_jjT7_P12ihipStream_tbENKUlT_T0_SG_SL_E_clIS7_S7_SB_SB_EEDaSZ_S10_SG_SL_EUlSZ_E_NS1_11comp_targetILNS1_3genE0ELNS1_11target_archE4294967295ELNS1_3gpuE0ELNS1_3repE0EEENS1_47radix_sort_onesweep_sort_config_static_selectorELNS0_4arch9wavefront6targetE1EEEvSG_
; %bb.0:
	.section	.rodata,"a",@progbits
	.p2align	6, 0x0
	.amdhsa_kernel _ZN7rocprim17ROCPRIM_400000_NS6detail17trampoline_kernelINS0_14default_configENS1_35radix_sort_onesweep_config_selectorIllEEZZNS1_29radix_sort_onesweep_iterationIS3_Lb0EPlS7_N6thrust23THRUST_200600_302600_NS10device_ptrIlEESB_jNS0_19identity_decomposerENS1_16block_id_wrapperIjLb0EEEEE10hipError_tT1_PNSt15iterator_traitsISG_E10value_typeET2_T3_PNSH_ISM_E10value_typeET4_T5_PSR_SS_PNS1_23onesweep_lookback_stateEbbT6_jjT7_P12ihipStream_tbENKUlT_T0_SG_SL_E_clIS7_S7_SB_SB_EEDaSZ_S10_SG_SL_EUlSZ_E_NS1_11comp_targetILNS1_3genE0ELNS1_11target_archE4294967295ELNS1_3gpuE0ELNS1_3repE0EEENS1_47radix_sort_onesweep_sort_config_static_selectorELNS0_4arch9wavefront6targetE1EEEvSG_
		.amdhsa_group_segment_fixed_size 0
		.amdhsa_private_segment_fixed_size 0
		.amdhsa_kernarg_size 88
		.amdhsa_user_sgpr_count 6
		.amdhsa_user_sgpr_private_segment_buffer 1
		.amdhsa_user_sgpr_dispatch_ptr 0
		.amdhsa_user_sgpr_queue_ptr 0
		.amdhsa_user_sgpr_kernarg_segment_ptr 1
		.amdhsa_user_sgpr_dispatch_id 0
		.amdhsa_user_sgpr_flat_scratch_init 0
		.amdhsa_user_sgpr_private_segment_size 0
		.amdhsa_uses_dynamic_stack 0
		.amdhsa_system_sgpr_private_segment_wavefront_offset 0
		.amdhsa_system_sgpr_workgroup_id_x 1
		.amdhsa_system_sgpr_workgroup_id_y 0
		.amdhsa_system_sgpr_workgroup_id_z 0
		.amdhsa_system_sgpr_workgroup_info 0
		.amdhsa_system_vgpr_workitem_id 0
		.amdhsa_next_free_vgpr 1
		.amdhsa_next_free_sgpr 0
		.amdhsa_reserve_vcc 0
		.amdhsa_reserve_flat_scratch 0
		.amdhsa_float_round_mode_32 0
		.amdhsa_float_round_mode_16_64 0
		.amdhsa_float_denorm_mode_32 3
		.amdhsa_float_denorm_mode_16_64 3
		.amdhsa_dx10_clamp 1
		.amdhsa_ieee_mode 1
		.amdhsa_fp16_overflow 0
		.amdhsa_exception_fp_ieee_invalid_op 0
		.amdhsa_exception_fp_denorm_src 0
		.amdhsa_exception_fp_ieee_div_zero 0
		.amdhsa_exception_fp_ieee_overflow 0
		.amdhsa_exception_fp_ieee_underflow 0
		.amdhsa_exception_fp_ieee_inexact 0
		.amdhsa_exception_int_div_zero 0
	.end_amdhsa_kernel
	.section	.text._ZN7rocprim17ROCPRIM_400000_NS6detail17trampoline_kernelINS0_14default_configENS1_35radix_sort_onesweep_config_selectorIllEEZZNS1_29radix_sort_onesweep_iterationIS3_Lb0EPlS7_N6thrust23THRUST_200600_302600_NS10device_ptrIlEESB_jNS0_19identity_decomposerENS1_16block_id_wrapperIjLb0EEEEE10hipError_tT1_PNSt15iterator_traitsISG_E10value_typeET2_T3_PNSH_ISM_E10value_typeET4_T5_PSR_SS_PNS1_23onesweep_lookback_stateEbbT6_jjT7_P12ihipStream_tbENKUlT_T0_SG_SL_E_clIS7_S7_SB_SB_EEDaSZ_S10_SG_SL_EUlSZ_E_NS1_11comp_targetILNS1_3genE0ELNS1_11target_archE4294967295ELNS1_3gpuE0ELNS1_3repE0EEENS1_47radix_sort_onesweep_sort_config_static_selectorELNS0_4arch9wavefront6targetE1EEEvSG_,"axG",@progbits,_ZN7rocprim17ROCPRIM_400000_NS6detail17trampoline_kernelINS0_14default_configENS1_35radix_sort_onesweep_config_selectorIllEEZZNS1_29radix_sort_onesweep_iterationIS3_Lb0EPlS7_N6thrust23THRUST_200600_302600_NS10device_ptrIlEESB_jNS0_19identity_decomposerENS1_16block_id_wrapperIjLb0EEEEE10hipError_tT1_PNSt15iterator_traitsISG_E10value_typeET2_T3_PNSH_ISM_E10value_typeET4_T5_PSR_SS_PNS1_23onesweep_lookback_stateEbbT6_jjT7_P12ihipStream_tbENKUlT_T0_SG_SL_E_clIS7_S7_SB_SB_EEDaSZ_S10_SG_SL_EUlSZ_E_NS1_11comp_targetILNS1_3genE0ELNS1_11target_archE4294967295ELNS1_3gpuE0ELNS1_3repE0EEENS1_47radix_sort_onesweep_sort_config_static_selectorELNS0_4arch9wavefront6targetE1EEEvSG_,comdat
.Lfunc_end1159:
	.size	_ZN7rocprim17ROCPRIM_400000_NS6detail17trampoline_kernelINS0_14default_configENS1_35radix_sort_onesweep_config_selectorIllEEZZNS1_29radix_sort_onesweep_iterationIS3_Lb0EPlS7_N6thrust23THRUST_200600_302600_NS10device_ptrIlEESB_jNS0_19identity_decomposerENS1_16block_id_wrapperIjLb0EEEEE10hipError_tT1_PNSt15iterator_traitsISG_E10value_typeET2_T3_PNSH_ISM_E10value_typeET4_T5_PSR_SS_PNS1_23onesweep_lookback_stateEbbT6_jjT7_P12ihipStream_tbENKUlT_T0_SG_SL_E_clIS7_S7_SB_SB_EEDaSZ_S10_SG_SL_EUlSZ_E_NS1_11comp_targetILNS1_3genE0ELNS1_11target_archE4294967295ELNS1_3gpuE0ELNS1_3repE0EEENS1_47radix_sort_onesweep_sort_config_static_selectorELNS0_4arch9wavefront6targetE1EEEvSG_, .Lfunc_end1159-_ZN7rocprim17ROCPRIM_400000_NS6detail17trampoline_kernelINS0_14default_configENS1_35radix_sort_onesweep_config_selectorIllEEZZNS1_29radix_sort_onesweep_iterationIS3_Lb0EPlS7_N6thrust23THRUST_200600_302600_NS10device_ptrIlEESB_jNS0_19identity_decomposerENS1_16block_id_wrapperIjLb0EEEEE10hipError_tT1_PNSt15iterator_traitsISG_E10value_typeET2_T3_PNSH_ISM_E10value_typeET4_T5_PSR_SS_PNS1_23onesweep_lookback_stateEbbT6_jjT7_P12ihipStream_tbENKUlT_T0_SG_SL_E_clIS7_S7_SB_SB_EEDaSZ_S10_SG_SL_EUlSZ_E_NS1_11comp_targetILNS1_3genE0ELNS1_11target_archE4294967295ELNS1_3gpuE0ELNS1_3repE0EEENS1_47radix_sort_onesweep_sort_config_static_selectorELNS0_4arch9wavefront6targetE1EEEvSG_
                                        ; -- End function
	.set _ZN7rocprim17ROCPRIM_400000_NS6detail17trampoline_kernelINS0_14default_configENS1_35radix_sort_onesweep_config_selectorIllEEZZNS1_29radix_sort_onesweep_iterationIS3_Lb0EPlS7_N6thrust23THRUST_200600_302600_NS10device_ptrIlEESB_jNS0_19identity_decomposerENS1_16block_id_wrapperIjLb0EEEEE10hipError_tT1_PNSt15iterator_traitsISG_E10value_typeET2_T3_PNSH_ISM_E10value_typeET4_T5_PSR_SS_PNS1_23onesweep_lookback_stateEbbT6_jjT7_P12ihipStream_tbENKUlT_T0_SG_SL_E_clIS7_S7_SB_SB_EEDaSZ_S10_SG_SL_EUlSZ_E_NS1_11comp_targetILNS1_3genE0ELNS1_11target_archE4294967295ELNS1_3gpuE0ELNS1_3repE0EEENS1_47radix_sort_onesweep_sort_config_static_selectorELNS0_4arch9wavefront6targetE1EEEvSG_.num_vgpr, 0
	.set _ZN7rocprim17ROCPRIM_400000_NS6detail17trampoline_kernelINS0_14default_configENS1_35radix_sort_onesweep_config_selectorIllEEZZNS1_29radix_sort_onesweep_iterationIS3_Lb0EPlS7_N6thrust23THRUST_200600_302600_NS10device_ptrIlEESB_jNS0_19identity_decomposerENS1_16block_id_wrapperIjLb0EEEEE10hipError_tT1_PNSt15iterator_traitsISG_E10value_typeET2_T3_PNSH_ISM_E10value_typeET4_T5_PSR_SS_PNS1_23onesweep_lookback_stateEbbT6_jjT7_P12ihipStream_tbENKUlT_T0_SG_SL_E_clIS7_S7_SB_SB_EEDaSZ_S10_SG_SL_EUlSZ_E_NS1_11comp_targetILNS1_3genE0ELNS1_11target_archE4294967295ELNS1_3gpuE0ELNS1_3repE0EEENS1_47radix_sort_onesweep_sort_config_static_selectorELNS0_4arch9wavefront6targetE1EEEvSG_.num_agpr, 0
	.set _ZN7rocprim17ROCPRIM_400000_NS6detail17trampoline_kernelINS0_14default_configENS1_35radix_sort_onesweep_config_selectorIllEEZZNS1_29radix_sort_onesweep_iterationIS3_Lb0EPlS7_N6thrust23THRUST_200600_302600_NS10device_ptrIlEESB_jNS0_19identity_decomposerENS1_16block_id_wrapperIjLb0EEEEE10hipError_tT1_PNSt15iterator_traitsISG_E10value_typeET2_T3_PNSH_ISM_E10value_typeET4_T5_PSR_SS_PNS1_23onesweep_lookback_stateEbbT6_jjT7_P12ihipStream_tbENKUlT_T0_SG_SL_E_clIS7_S7_SB_SB_EEDaSZ_S10_SG_SL_EUlSZ_E_NS1_11comp_targetILNS1_3genE0ELNS1_11target_archE4294967295ELNS1_3gpuE0ELNS1_3repE0EEENS1_47radix_sort_onesweep_sort_config_static_selectorELNS0_4arch9wavefront6targetE1EEEvSG_.numbered_sgpr, 0
	.set _ZN7rocprim17ROCPRIM_400000_NS6detail17trampoline_kernelINS0_14default_configENS1_35radix_sort_onesweep_config_selectorIllEEZZNS1_29radix_sort_onesweep_iterationIS3_Lb0EPlS7_N6thrust23THRUST_200600_302600_NS10device_ptrIlEESB_jNS0_19identity_decomposerENS1_16block_id_wrapperIjLb0EEEEE10hipError_tT1_PNSt15iterator_traitsISG_E10value_typeET2_T3_PNSH_ISM_E10value_typeET4_T5_PSR_SS_PNS1_23onesweep_lookback_stateEbbT6_jjT7_P12ihipStream_tbENKUlT_T0_SG_SL_E_clIS7_S7_SB_SB_EEDaSZ_S10_SG_SL_EUlSZ_E_NS1_11comp_targetILNS1_3genE0ELNS1_11target_archE4294967295ELNS1_3gpuE0ELNS1_3repE0EEENS1_47radix_sort_onesweep_sort_config_static_selectorELNS0_4arch9wavefront6targetE1EEEvSG_.num_named_barrier, 0
	.set _ZN7rocprim17ROCPRIM_400000_NS6detail17trampoline_kernelINS0_14default_configENS1_35radix_sort_onesweep_config_selectorIllEEZZNS1_29radix_sort_onesweep_iterationIS3_Lb0EPlS7_N6thrust23THRUST_200600_302600_NS10device_ptrIlEESB_jNS0_19identity_decomposerENS1_16block_id_wrapperIjLb0EEEEE10hipError_tT1_PNSt15iterator_traitsISG_E10value_typeET2_T3_PNSH_ISM_E10value_typeET4_T5_PSR_SS_PNS1_23onesweep_lookback_stateEbbT6_jjT7_P12ihipStream_tbENKUlT_T0_SG_SL_E_clIS7_S7_SB_SB_EEDaSZ_S10_SG_SL_EUlSZ_E_NS1_11comp_targetILNS1_3genE0ELNS1_11target_archE4294967295ELNS1_3gpuE0ELNS1_3repE0EEENS1_47radix_sort_onesweep_sort_config_static_selectorELNS0_4arch9wavefront6targetE1EEEvSG_.private_seg_size, 0
	.set _ZN7rocprim17ROCPRIM_400000_NS6detail17trampoline_kernelINS0_14default_configENS1_35radix_sort_onesweep_config_selectorIllEEZZNS1_29radix_sort_onesweep_iterationIS3_Lb0EPlS7_N6thrust23THRUST_200600_302600_NS10device_ptrIlEESB_jNS0_19identity_decomposerENS1_16block_id_wrapperIjLb0EEEEE10hipError_tT1_PNSt15iterator_traitsISG_E10value_typeET2_T3_PNSH_ISM_E10value_typeET4_T5_PSR_SS_PNS1_23onesweep_lookback_stateEbbT6_jjT7_P12ihipStream_tbENKUlT_T0_SG_SL_E_clIS7_S7_SB_SB_EEDaSZ_S10_SG_SL_EUlSZ_E_NS1_11comp_targetILNS1_3genE0ELNS1_11target_archE4294967295ELNS1_3gpuE0ELNS1_3repE0EEENS1_47radix_sort_onesweep_sort_config_static_selectorELNS0_4arch9wavefront6targetE1EEEvSG_.uses_vcc, 0
	.set _ZN7rocprim17ROCPRIM_400000_NS6detail17trampoline_kernelINS0_14default_configENS1_35radix_sort_onesweep_config_selectorIllEEZZNS1_29radix_sort_onesweep_iterationIS3_Lb0EPlS7_N6thrust23THRUST_200600_302600_NS10device_ptrIlEESB_jNS0_19identity_decomposerENS1_16block_id_wrapperIjLb0EEEEE10hipError_tT1_PNSt15iterator_traitsISG_E10value_typeET2_T3_PNSH_ISM_E10value_typeET4_T5_PSR_SS_PNS1_23onesweep_lookback_stateEbbT6_jjT7_P12ihipStream_tbENKUlT_T0_SG_SL_E_clIS7_S7_SB_SB_EEDaSZ_S10_SG_SL_EUlSZ_E_NS1_11comp_targetILNS1_3genE0ELNS1_11target_archE4294967295ELNS1_3gpuE0ELNS1_3repE0EEENS1_47radix_sort_onesweep_sort_config_static_selectorELNS0_4arch9wavefront6targetE1EEEvSG_.uses_flat_scratch, 0
	.set _ZN7rocprim17ROCPRIM_400000_NS6detail17trampoline_kernelINS0_14default_configENS1_35radix_sort_onesweep_config_selectorIllEEZZNS1_29radix_sort_onesweep_iterationIS3_Lb0EPlS7_N6thrust23THRUST_200600_302600_NS10device_ptrIlEESB_jNS0_19identity_decomposerENS1_16block_id_wrapperIjLb0EEEEE10hipError_tT1_PNSt15iterator_traitsISG_E10value_typeET2_T3_PNSH_ISM_E10value_typeET4_T5_PSR_SS_PNS1_23onesweep_lookback_stateEbbT6_jjT7_P12ihipStream_tbENKUlT_T0_SG_SL_E_clIS7_S7_SB_SB_EEDaSZ_S10_SG_SL_EUlSZ_E_NS1_11comp_targetILNS1_3genE0ELNS1_11target_archE4294967295ELNS1_3gpuE0ELNS1_3repE0EEENS1_47radix_sort_onesweep_sort_config_static_selectorELNS0_4arch9wavefront6targetE1EEEvSG_.has_dyn_sized_stack, 0
	.set _ZN7rocprim17ROCPRIM_400000_NS6detail17trampoline_kernelINS0_14default_configENS1_35radix_sort_onesweep_config_selectorIllEEZZNS1_29radix_sort_onesweep_iterationIS3_Lb0EPlS7_N6thrust23THRUST_200600_302600_NS10device_ptrIlEESB_jNS0_19identity_decomposerENS1_16block_id_wrapperIjLb0EEEEE10hipError_tT1_PNSt15iterator_traitsISG_E10value_typeET2_T3_PNSH_ISM_E10value_typeET4_T5_PSR_SS_PNS1_23onesweep_lookback_stateEbbT6_jjT7_P12ihipStream_tbENKUlT_T0_SG_SL_E_clIS7_S7_SB_SB_EEDaSZ_S10_SG_SL_EUlSZ_E_NS1_11comp_targetILNS1_3genE0ELNS1_11target_archE4294967295ELNS1_3gpuE0ELNS1_3repE0EEENS1_47radix_sort_onesweep_sort_config_static_selectorELNS0_4arch9wavefront6targetE1EEEvSG_.has_recursion, 0
	.set _ZN7rocprim17ROCPRIM_400000_NS6detail17trampoline_kernelINS0_14default_configENS1_35radix_sort_onesweep_config_selectorIllEEZZNS1_29radix_sort_onesweep_iterationIS3_Lb0EPlS7_N6thrust23THRUST_200600_302600_NS10device_ptrIlEESB_jNS0_19identity_decomposerENS1_16block_id_wrapperIjLb0EEEEE10hipError_tT1_PNSt15iterator_traitsISG_E10value_typeET2_T3_PNSH_ISM_E10value_typeET4_T5_PSR_SS_PNS1_23onesweep_lookback_stateEbbT6_jjT7_P12ihipStream_tbENKUlT_T0_SG_SL_E_clIS7_S7_SB_SB_EEDaSZ_S10_SG_SL_EUlSZ_E_NS1_11comp_targetILNS1_3genE0ELNS1_11target_archE4294967295ELNS1_3gpuE0ELNS1_3repE0EEENS1_47radix_sort_onesweep_sort_config_static_selectorELNS0_4arch9wavefront6targetE1EEEvSG_.has_indirect_call, 0
	.section	.AMDGPU.csdata,"",@progbits
; Kernel info:
; codeLenInByte = 0
; TotalNumSgprs: 4
; NumVgprs: 0
; ScratchSize: 0
; MemoryBound: 0
; FloatMode: 240
; IeeeMode: 1
; LDSByteSize: 0 bytes/workgroup (compile time only)
; SGPRBlocks: 0
; VGPRBlocks: 0
; NumSGPRsForWavesPerEU: 4
; NumVGPRsForWavesPerEU: 1
; Occupancy: 10
; WaveLimiterHint : 0
; COMPUTE_PGM_RSRC2:SCRATCH_EN: 0
; COMPUTE_PGM_RSRC2:USER_SGPR: 6
; COMPUTE_PGM_RSRC2:TRAP_HANDLER: 0
; COMPUTE_PGM_RSRC2:TGID_X_EN: 1
; COMPUTE_PGM_RSRC2:TGID_Y_EN: 0
; COMPUTE_PGM_RSRC2:TGID_Z_EN: 0
; COMPUTE_PGM_RSRC2:TIDIG_COMP_CNT: 0
	.section	.text._ZN7rocprim17ROCPRIM_400000_NS6detail17trampoline_kernelINS0_14default_configENS1_35radix_sort_onesweep_config_selectorIllEEZZNS1_29radix_sort_onesweep_iterationIS3_Lb0EPlS7_N6thrust23THRUST_200600_302600_NS10device_ptrIlEESB_jNS0_19identity_decomposerENS1_16block_id_wrapperIjLb0EEEEE10hipError_tT1_PNSt15iterator_traitsISG_E10value_typeET2_T3_PNSH_ISM_E10value_typeET4_T5_PSR_SS_PNS1_23onesweep_lookback_stateEbbT6_jjT7_P12ihipStream_tbENKUlT_T0_SG_SL_E_clIS7_S7_SB_SB_EEDaSZ_S10_SG_SL_EUlSZ_E_NS1_11comp_targetILNS1_3genE6ELNS1_11target_archE950ELNS1_3gpuE13ELNS1_3repE0EEENS1_47radix_sort_onesweep_sort_config_static_selectorELNS0_4arch9wavefront6targetE1EEEvSG_,"axG",@progbits,_ZN7rocprim17ROCPRIM_400000_NS6detail17trampoline_kernelINS0_14default_configENS1_35radix_sort_onesweep_config_selectorIllEEZZNS1_29radix_sort_onesweep_iterationIS3_Lb0EPlS7_N6thrust23THRUST_200600_302600_NS10device_ptrIlEESB_jNS0_19identity_decomposerENS1_16block_id_wrapperIjLb0EEEEE10hipError_tT1_PNSt15iterator_traitsISG_E10value_typeET2_T3_PNSH_ISM_E10value_typeET4_T5_PSR_SS_PNS1_23onesweep_lookback_stateEbbT6_jjT7_P12ihipStream_tbENKUlT_T0_SG_SL_E_clIS7_S7_SB_SB_EEDaSZ_S10_SG_SL_EUlSZ_E_NS1_11comp_targetILNS1_3genE6ELNS1_11target_archE950ELNS1_3gpuE13ELNS1_3repE0EEENS1_47radix_sort_onesweep_sort_config_static_selectorELNS0_4arch9wavefront6targetE1EEEvSG_,comdat
	.protected	_ZN7rocprim17ROCPRIM_400000_NS6detail17trampoline_kernelINS0_14default_configENS1_35radix_sort_onesweep_config_selectorIllEEZZNS1_29radix_sort_onesweep_iterationIS3_Lb0EPlS7_N6thrust23THRUST_200600_302600_NS10device_ptrIlEESB_jNS0_19identity_decomposerENS1_16block_id_wrapperIjLb0EEEEE10hipError_tT1_PNSt15iterator_traitsISG_E10value_typeET2_T3_PNSH_ISM_E10value_typeET4_T5_PSR_SS_PNS1_23onesweep_lookback_stateEbbT6_jjT7_P12ihipStream_tbENKUlT_T0_SG_SL_E_clIS7_S7_SB_SB_EEDaSZ_S10_SG_SL_EUlSZ_E_NS1_11comp_targetILNS1_3genE6ELNS1_11target_archE950ELNS1_3gpuE13ELNS1_3repE0EEENS1_47radix_sort_onesweep_sort_config_static_selectorELNS0_4arch9wavefront6targetE1EEEvSG_ ; -- Begin function _ZN7rocprim17ROCPRIM_400000_NS6detail17trampoline_kernelINS0_14default_configENS1_35radix_sort_onesweep_config_selectorIllEEZZNS1_29radix_sort_onesweep_iterationIS3_Lb0EPlS7_N6thrust23THRUST_200600_302600_NS10device_ptrIlEESB_jNS0_19identity_decomposerENS1_16block_id_wrapperIjLb0EEEEE10hipError_tT1_PNSt15iterator_traitsISG_E10value_typeET2_T3_PNSH_ISM_E10value_typeET4_T5_PSR_SS_PNS1_23onesweep_lookback_stateEbbT6_jjT7_P12ihipStream_tbENKUlT_T0_SG_SL_E_clIS7_S7_SB_SB_EEDaSZ_S10_SG_SL_EUlSZ_E_NS1_11comp_targetILNS1_3genE6ELNS1_11target_archE950ELNS1_3gpuE13ELNS1_3repE0EEENS1_47radix_sort_onesweep_sort_config_static_selectorELNS0_4arch9wavefront6targetE1EEEvSG_
	.globl	_ZN7rocprim17ROCPRIM_400000_NS6detail17trampoline_kernelINS0_14default_configENS1_35radix_sort_onesweep_config_selectorIllEEZZNS1_29radix_sort_onesweep_iterationIS3_Lb0EPlS7_N6thrust23THRUST_200600_302600_NS10device_ptrIlEESB_jNS0_19identity_decomposerENS1_16block_id_wrapperIjLb0EEEEE10hipError_tT1_PNSt15iterator_traitsISG_E10value_typeET2_T3_PNSH_ISM_E10value_typeET4_T5_PSR_SS_PNS1_23onesweep_lookback_stateEbbT6_jjT7_P12ihipStream_tbENKUlT_T0_SG_SL_E_clIS7_S7_SB_SB_EEDaSZ_S10_SG_SL_EUlSZ_E_NS1_11comp_targetILNS1_3genE6ELNS1_11target_archE950ELNS1_3gpuE13ELNS1_3repE0EEENS1_47radix_sort_onesweep_sort_config_static_selectorELNS0_4arch9wavefront6targetE1EEEvSG_
	.p2align	8
	.type	_ZN7rocprim17ROCPRIM_400000_NS6detail17trampoline_kernelINS0_14default_configENS1_35radix_sort_onesweep_config_selectorIllEEZZNS1_29radix_sort_onesweep_iterationIS3_Lb0EPlS7_N6thrust23THRUST_200600_302600_NS10device_ptrIlEESB_jNS0_19identity_decomposerENS1_16block_id_wrapperIjLb0EEEEE10hipError_tT1_PNSt15iterator_traitsISG_E10value_typeET2_T3_PNSH_ISM_E10value_typeET4_T5_PSR_SS_PNS1_23onesweep_lookback_stateEbbT6_jjT7_P12ihipStream_tbENKUlT_T0_SG_SL_E_clIS7_S7_SB_SB_EEDaSZ_S10_SG_SL_EUlSZ_E_NS1_11comp_targetILNS1_3genE6ELNS1_11target_archE950ELNS1_3gpuE13ELNS1_3repE0EEENS1_47radix_sort_onesweep_sort_config_static_selectorELNS0_4arch9wavefront6targetE1EEEvSG_,@function
_ZN7rocprim17ROCPRIM_400000_NS6detail17trampoline_kernelINS0_14default_configENS1_35radix_sort_onesweep_config_selectorIllEEZZNS1_29radix_sort_onesweep_iterationIS3_Lb0EPlS7_N6thrust23THRUST_200600_302600_NS10device_ptrIlEESB_jNS0_19identity_decomposerENS1_16block_id_wrapperIjLb0EEEEE10hipError_tT1_PNSt15iterator_traitsISG_E10value_typeET2_T3_PNSH_ISM_E10value_typeET4_T5_PSR_SS_PNS1_23onesweep_lookback_stateEbbT6_jjT7_P12ihipStream_tbENKUlT_T0_SG_SL_E_clIS7_S7_SB_SB_EEDaSZ_S10_SG_SL_EUlSZ_E_NS1_11comp_targetILNS1_3genE6ELNS1_11target_archE950ELNS1_3gpuE13ELNS1_3repE0EEENS1_47radix_sort_onesweep_sort_config_static_selectorELNS0_4arch9wavefront6targetE1EEEvSG_: ; @_ZN7rocprim17ROCPRIM_400000_NS6detail17trampoline_kernelINS0_14default_configENS1_35radix_sort_onesweep_config_selectorIllEEZZNS1_29radix_sort_onesweep_iterationIS3_Lb0EPlS7_N6thrust23THRUST_200600_302600_NS10device_ptrIlEESB_jNS0_19identity_decomposerENS1_16block_id_wrapperIjLb0EEEEE10hipError_tT1_PNSt15iterator_traitsISG_E10value_typeET2_T3_PNSH_ISM_E10value_typeET4_T5_PSR_SS_PNS1_23onesweep_lookback_stateEbbT6_jjT7_P12ihipStream_tbENKUlT_T0_SG_SL_E_clIS7_S7_SB_SB_EEDaSZ_S10_SG_SL_EUlSZ_E_NS1_11comp_targetILNS1_3genE6ELNS1_11target_archE950ELNS1_3gpuE13ELNS1_3repE0EEENS1_47radix_sort_onesweep_sort_config_static_selectorELNS0_4arch9wavefront6targetE1EEEvSG_
; %bb.0:
	.section	.rodata,"a",@progbits
	.p2align	6, 0x0
	.amdhsa_kernel _ZN7rocprim17ROCPRIM_400000_NS6detail17trampoline_kernelINS0_14default_configENS1_35radix_sort_onesweep_config_selectorIllEEZZNS1_29radix_sort_onesweep_iterationIS3_Lb0EPlS7_N6thrust23THRUST_200600_302600_NS10device_ptrIlEESB_jNS0_19identity_decomposerENS1_16block_id_wrapperIjLb0EEEEE10hipError_tT1_PNSt15iterator_traitsISG_E10value_typeET2_T3_PNSH_ISM_E10value_typeET4_T5_PSR_SS_PNS1_23onesweep_lookback_stateEbbT6_jjT7_P12ihipStream_tbENKUlT_T0_SG_SL_E_clIS7_S7_SB_SB_EEDaSZ_S10_SG_SL_EUlSZ_E_NS1_11comp_targetILNS1_3genE6ELNS1_11target_archE950ELNS1_3gpuE13ELNS1_3repE0EEENS1_47radix_sort_onesweep_sort_config_static_selectorELNS0_4arch9wavefront6targetE1EEEvSG_
		.amdhsa_group_segment_fixed_size 0
		.amdhsa_private_segment_fixed_size 0
		.amdhsa_kernarg_size 88
		.amdhsa_user_sgpr_count 6
		.amdhsa_user_sgpr_private_segment_buffer 1
		.amdhsa_user_sgpr_dispatch_ptr 0
		.amdhsa_user_sgpr_queue_ptr 0
		.amdhsa_user_sgpr_kernarg_segment_ptr 1
		.amdhsa_user_sgpr_dispatch_id 0
		.amdhsa_user_sgpr_flat_scratch_init 0
		.amdhsa_user_sgpr_private_segment_size 0
		.amdhsa_uses_dynamic_stack 0
		.amdhsa_system_sgpr_private_segment_wavefront_offset 0
		.amdhsa_system_sgpr_workgroup_id_x 1
		.amdhsa_system_sgpr_workgroup_id_y 0
		.amdhsa_system_sgpr_workgroup_id_z 0
		.amdhsa_system_sgpr_workgroup_info 0
		.amdhsa_system_vgpr_workitem_id 0
		.amdhsa_next_free_vgpr 1
		.amdhsa_next_free_sgpr 0
		.amdhsa_reserve_vcc 0
		.amdhsa_reserve_flat_scratch 0
		.amdhsa_float_round_mode_32 0
		.amdhsa_float_round_mode_16_64 0
		.amdhsa_float_denorm_mode_32 3
		.amdhsa_float_denorm_mode_16_64 3
		.amdhsa_dx10_clamp 1
		.amdhsa_ieee_mode 1
		.amdhsa_fp16_overflow 0
		.amdhsa_exception_fp_ieee_invalid_op 0
		.amdhsa_exception_fp_denorm_src 0
		.amdhsa_exception_fp_ieee_div_zero 0
		.amdhsa_exception_fp_ieee_overflow 0
		.amdhsa_exception_fp_ieee_underflow 0
		.amdhsa_exception_fp_ieee_inexact 0
		.amdhsa_exception_int_div_zero 0
	.end_amdhsa_kernel
	.section	.text._ZN7rocprim17ROCPRIM_400000_NS6detail17trampoline_kernelINS0_14default_configENS1_35radix_sort_onesweep_config_selectorIllEEZZNS1_29radix_sort_onesweep_iterationIS3_Lb0EPlS7_N6thrust23THRUST_200600_302600_NS10device_ptrIlEESB_jNS0_19identity_decomposerENS1_16block_id_wrapperIjLb0EEEEE10hipError_tT1_PNSt15iterator_traitsISG_E10value_typeET2_T3_PNSH_ISM_E10value_typeET4_T5_PSR_SS_PNS1_23onesweep_lookback_stateEbbT6_jjT7_P12ihipStream_tbENKUlT_T0_SG_SL_E_clIS7_S7_SB_SB_EEDaSZ_S10_SG_SL_EUlSZ_E_NS1_11comp_targetILNS1_3genE6ELNS1_11target_archE950ELNS1_3gpuE13ELNS1_3repE0EEENS1_47radix_sort_onesweep_sort_config_static_selectorELNS0_4arch9wavefront6targetE1EEEvSG_,"axG",@progbits,_ZN7rocprim17ROCPRIM_400000_NS6detail17trampoline_kernelINS0_14default_configENS1_35radix_sort_onesweep_config_selectorIllEEZZNS1_29radix_sort_onesweep_iterationIS3_Lb0EPlS7_N6thrust23THRUST_200600_302600_NS10device_ptrIlEESB_jNS0_19identity_decomposerENS1_16block_id_wrapperIjLb0EEEEE10hipError_tT1_PNSt15iterator_traitsISG_E10value_typeET2_T3_PNSH_ISM_E10value_typeET4_T5_PSR_SS_PNS1_23onesweep_lookback_stateEbbT6_jjT7_P12ihipStream_tbENKUlT_T0_SG_SL_E_clIS7_S7_SB_SB_EEDaSZ_S10_SG_SL_EUlSZ_E_NS1_11comp_targetILNS1_3genE6ELNS1_11target_archE950ELNS1_3gpuE13ELNS1_3repE0EEENS1_47radix_sort_onesweep_sort_config_static_selectorELNS0_4arch9wavefront6targetE1EEEvSG_,comdat
.Lfunc_end1160:
	.size	_ZN7rocprim17ROCPRIM_400000_NS6detail17trampoline_kernelINS0_14default_configENS1_35radix_sort_onesweep_config_selectorIllEEZZNS1_29radix_sort_onesweep_iterationIS3_Lb0EPlS7_N6thrust23THRUST_200600_302600_NS10device_ptrIlEESB_jNS0_19identity_decomposerENS1_16block_id_wrapperIjLb0EEEEE10hipError_tT1_PNSt15iterator_traitsISG_E10value_typeET2_T3_PNSH_ISM_E10value_typeET4_T5_PSR_SS_PNS1_23onesweep_lookback_stateEbbT6_jjT7_P12ihipStream_tbENKUlT_T0_SG_SL_E_clIS7_S7_SB_SB_EEDaSZ_S10_SG_SL_EUlSZ_E_NS1_11comp_targetILNS1_3genE6ELNS1_11target_archE950ELNS1_3gpuE13ELNS1_3repE0EEENS1_47radix_sort_onesweep_sort_config_static_selectorELNS0_4arch9wavefront6targetE1EEEvSG_, .Lfunc_end1160-_ZN7rocprim17ROCPRIM_400000_NS6detail17trampoline_kernelINS0_14default_configENS1_35radix_sort_onesweep_config_selectorIllEEZZNS1_29radix_sort_onesweep_iterationIS3_Lb0EPlS7_N6thrust23THRUST_200600_302600_NS10device_ptrIlEESB_jNS0_19identity_decomposerENS1_16block_id_wrapperIjLb0EEEEE10hipError_tT1_PNSt15iterator_traitsISG_E10value_typeET2_T3_PNSH_ISM_E10value_typeET4_T5_PSR_SS_PNS1_23onesweep_lookback_stateEbbT6_jjT7_P12ihipStream_tbENKUlT_T0_SG_SL_E_clIS7_S7_SB_SB_EEDaSZ_S10_SG_SL_EUlSZ_E_NS1_11comp_targetILNS1_3genE6ELNS1_11target_archE950ELNS1_3gpuE13ELNS1_3repE0EEENS1_47radix_sort_onesweep_sort_config_static_selectorELNS0_4arch9wavefront6targetE1EEEvSG_
                                        ; -- End function
	.set _ZN7rocprim17ROCPRIM_400000_NS6detail17trampoline_kernelINS0_14default_configENS1_35radix_sort_onesweep_config_selectorIllEEZZNS1_29radix_sort_onesweep_iterationIS3_Lb0EPlS7_N6thrust23THRUST_200600_302600_NS10device_ptrIlEESB_jNS0_19identity_decomposerENS1_16block_id_wrapperIjLb0EEEEE10hipError_tT1_PNSt15iterator_traitsISG_E10value_typeET2_T3_PNSH_ISM_E10value_typeET4_T5_PSR_SS_PNS1_23onesweep_lookback_stateEbbT6_jjT7_P12ihipStream_tbENKUlT_T0_SG_SL_E_clIS7_S7_SB_SB_EEDaSZ_S10_SG_SL_EUlSZ_E_NS1_11comp_targetILNS1_3genE6ELNS1_11target_archE950ELNS1_3gpuE13ELNS1_3repE0EEENS1_47radix_sort_onesweep_sort_config_static_selectorELNS0_4arch9wavefront6targetE1EEEvSG_.num_vgpr, 0
	.set _ZN7rocprim17ROCPRIM_400000_NS6detail17trampoline_kernelINS0_14default_configENS1_35radix_sort_onesweep_config_selectorIllEEZZNS1_29radix_sort_onesweep_iterationIS3_Lb0EPlS7_N6thrust23THRUST_200600_302600_NS10device_ptrIlEESB_jNS0_19identity_decomposerENS1_16block_id_wrapperIjLb0EEEEE10hipError_tT1_PNSt15iterator_traitsISG_E10value_typeET2_T3_PNSH_ISM_E10value_typeET4_T5_PSR_SS_PNS1_23onesweep_lookback_stateEbbT6_jjT7_P12ihipStream_tbENKUlT_T0_SG_SL_E_clIS7_S7_SB_SB_EEDaSZ_S10_SG_SL_EUlSZ_E_NS1_11comp_targetILNS1_3genE6ELNS1_11target_archE950ELNS1_3gpuE13ELNS1_3repE0EEENS1_47radix_sort_onesweep_sort_config_static_selectorELNS0_4arch9wavefront6targetE1EEEvSG_.num_agpr, 0
	.set _ZN7rocprim17ROCPRIM_400000_NS6detail17trampoline_kernelINS0_14default_configENS1_35radix_sort_onesweep_config_selectorIllEEZZNS1_29radix_sort_onesweep_iterationIS3_Lb0EPlS7_N6thrust23THRUST_200600_302600_NS10device_ptrIlEESB_jNS0_19identity_decomposerENS1_16block_id_wrapperIjLb0EEEEE10hipError_tT1_PNSt15iterator_traitsISG_E10value_typeET2_T3_PNSH_ISM_E10value_typeET4_T5_PSR_SS_PNS1_23onesweep_lookback_stateEbbT6_jjT7_P12ihipStream_tbENKUlT_T0_SG_SL_E_clIS7_S7_SB_SB_EEDaSZ_S10_SG_SL_EUlSZ_E_NS1_11comp_targetILNS1_3genE6ELNS1_11target_archE950ELNS1_3gpuE13ELNS1_3repE0EEENS1_47radix_sort_onesweep_sort_config_static_selectorELNS0_4arch9wavefront6targetE1EEEvSG_.numbered_sgpr, 0
	.set _ZN7rocprim17ROCPRIM_400000_NS6detail17trampoline_kernelINS0_14default_configENS1_35radix_sort_onesweep_config_selectorIllEEZZNS1_29radix_sort_onesweep_iterationIS3_Lb0EPlS7_N6thrust23THRUST_200600_302600_NS10device_ptrIlEESB_jNS0_19identity_decomposerENS1_16block_id_wrapperIjLb0EEEEE10hipError_tT1_PNSt15iterator_traitsISG_E10value_typeET2_T3_PNSH_ISM_E10value_typeET4_T5_PSR_SS_PNS1_23onesweep_lookback_stateEbbT6_jjT7_P12ihipStream_tbENKUlT_T0_SG_SL_E_clIS7_S7_SB_SB_EEDaSZ_S10_SG_SL_EUlSZ_E_NS1_11comp_targetILNS1_3genE6ELNS1_11target_archE950ELNS1_3gpuE13ELNS1_3repE0EEENS1_47radix_sort_onesweep_sort_config_static_selectorELNS0_4arch9wavefront6targetE1EEEvSG_.num_named_barrier, 0
	.set _ZN7rocprim17ROCPRIM_400000_NS6detail17trampoline_kernelINS0_14default_configENS1_35radix_sort_onesweep_config_selectorIllEEZZNS1_29radix_sort_onesweep_iterationIS3_Lb0EPlS7_N6thrust23THRUST_200600_302600_NS10device_ptrIlEESB_jNS0_19identity_decomposerENS1_16block_id_wrapperIjLb0EEEEE10hipError_tT1_PNSt15iterator_traitsISG_E10value_typeET2_T3_PNSH_ISM_E10value_typeET4_T5_PSR_SS_PNS1_23onesweep_lookback_stateEbbT6_jjT7_P12ihipStream_tbENKUlT_T0_SG_SL_E_clIS7_S7_SB_SB_EEDaSZ_S10_SG_SL_EUlSZ_E_NS1_11comp_targetILNS1_3genE6ELNS1_11target_archE950ELNS1_3gpuE13ELNS1_3repE0EEENS1_47radix_sort_onesweep_sort_config_static_selectorELNS0_4arch9wavefront6targetE1EEEvSG_.private_seg_size, 0
	.set _ZN7rocprim17ROCPRIM_400000_NS6detail17trampoline_kernelINS0_14default_configENS1_35radix_sort_onesweep_config_selectorIllEEZZNS1_29radix_sort_onesweep_iterationIS3_Lb0EPlS7_N6thrust23THRUST_200600_302600_NS10device_ptrIlEESB_jNS0_19identity_decomposerENS1_16block_id_wrapperIjLb0EEEEE10hipError_tT1_PNSt15iterator_traitsISG_E10value_typeET2_T3_PNSH_ISM_E10value_typeET4_T5_PSR_SS_PNS1_23onesweep_lookback_stateEbbT6_jjT7_P12ihipStream_tbENKUlT_T0_SG_SL_E_clIS7_S7_SB_SB_EEDaSZ_S10_SG_SL_EUlSZ_E_NS1_11comp_targetILNS1_3genE6ELNS1_11target_archE950ELNS1_3gpuE13ELNS1_3repE0EEENS1_47radix_sort_onesweep_sort_config_static_selectorELNS0_4arch9wavefront6targetE1EEEvSG_.uses_vcc, 0
	.set _ZN7rocprim17ROCPRIM_400000_NS6detail17trampoline_kernelINS0_14default_configENS1_35radix_sort_onesweep_config_selectorIllEEZZNS1_29radix_sort_onesweep_iterationIS3_Lb0EPlS7_N6thrust23THRUST_200600_302600_NS10device_ptrIlEESB_jNS0_19identity_decomposerENS1_16block_id_wrapperIjLb0EEEEE10hipError_tT1_PNSt15iterator_traitsISG_E10value_typeET2_T3_PNSH_ISM_E10value_typeET4_T5_PSR_SS_PNS1_23onesweep_lookback_stateEbbT6_jjT7_P12ihipStream_tbENKUlT_T0_SG_SL_E_clIS7_S7_SB_SB_EEDaSZ_S10_SG_SL_EUlSZ_E_NS1_11comp_targetILNS1_3genE6ELNS1_11target_archE950ELNS1_3gpuE13ELNS1_3repE0EEENS1_47radix_sort_onesweep_sort_config_static_selectorELNS0_4arch9wavefront6targetE1EEEvSG_.uses_flat_scratch, 0
	.set _ZN7rocprim17ROCPRIM_400000_NS6detail17trampoline_kernelINS0_14default_configENS1_35radix_sort_onesweep_config_selectorIllEEZZNS1_29radix_sort_onesweep_iterationIS3_Lb0EPlS7_N6thrust23THRUST_200600_302600_NS10device_ptrIlEESB_jNS0_19identity_decomposerENS1_16block_id_wrapperIjLb0EEEEE10hipError_tT1_PNSt15iterator_traitsISG_E10value_typeET2_T3_PNSH_ISM_E10value_typeET4_T5_PSR_SS_PNS1_23onesweep_lookback_stateEbbT6_jjT7_P12ihipStream_tbENKUlT_T0_SG_SL_E_clIS7_S7_SB_SB_EEDaSZ_S10_SG_SL_EUlSZ_E_NS1_11comp_targetILNS1_3genE6ELNS1_11target_archE950ELNS1_3gpuE13ELNS1_3repE0EEENS1_47radix_sort_onesweep_sort_config_static_selectorELNS0_4arch9wavefront6targetE1EEEvSG_.has_dyn_sized_stack, 0
	.set _ZN7rocprim17ROCPRIM_400000_NS6detail17trampoline_kernelINS0_14default_configENS1_35radix_sort_onesweep_config_selectorIllEEZZNS1_29radix_sort_onesweep_iterationIS3_Lb0EPlS7_N6thrust23THRUST_200600_302600_NS10device_ptrIlEESB_jNS0_19identity_decomposerENS1_16block_id_wrapperIjLb0EEEEE10hipError_tT1_PNSt15iterator_traitsISG_E10value_typeET2_T3_PNSH_ISM_E10value_typeET4_T5_PSR_SS_PNS1_23onesweep_lookback_stateEbbT6_jjT7_P12ihipStream_tbENKUlT_T0_SG_SL_E_clIS7_S7_SB_SB_EEDaSZ_S10_SG_SL_EUlSZ_E_NS1_11comp_targetILNS1_3genE6ELNS1_11target_archE950ELNS1_3gpuE13ELNS1_3repE0EEENS1_47radix_sort_onesweep_sort_config_static_selectorELNS0_4arch9wavefront6targetE1EEEvSG_.has_recursion, 0
	.set _ZN7rocprim17ROCPRIM_400000_NS6detail17trampoline_kernelINS0_14default_configENS1_35radix_sort_onesweep_config_selectorIllEEZZNS1_29radix_sort_onesweep_iterationIS3_Lb0EPlS7_N6thrust23THRUST_200600_302600_NS10device_ptrIlEESB_jNS0_19identity_decomposerENS1_16block_id_wrapperIjLb0EEEEE10hipError_tT1_PNSt15iterator_traitsISG_E10value_typeET2_T3_PNSH_ISM_E10value_typeET4_T5_PSR_SS_PNS1_23onesweep_lookback_stateEbbT6_jjT7_P12ihipStream_tbENKUlT_T0_SG_SL_E_clIS7_S7_SB_SB_EEDaSZ_S10_SG_SL_EUlSZ_E_NS1_11comp_targetILNS1_3genE6ELNS1_11target_archE950ELNS1_3gpuE13ELNS1_3repE0EEENS1_47radix_sort_onesweep_sort_config_static_selectorELNS0_4arch9wavefront6targetE1EEEvSG_.has_indirect_call, 0
	.section	.AMDGPU.csdata,"",@progbits
; Kernel info:
; codeLenInByte = 0
; TotalNumSgprs: 4
; NumVgprs: 0
; ScratchSize: 0
; MemoryBound: 0
; FloatMode: 240
; IeeeMode: 1
; LDSByteSize: 0 bytes/workgroup (compile time only)
; SGPRBlocks: 0
; VGPRBlocks: 0
; NumSGPRsForWavesPerEU: 4
; NumVGPRsForWavesPerEU: 1
; Occupancy: 10
; WaveLimiterHint : 0
; COMPUTE_PGM_RSRC2:SCRATCH_EN: 0
; COMPUTE_PGM_RSRC2:USER_SGPR: 6
; COMPUTE_PGM_RSRC2:TRAP_HANDLER: 0
; COMPUTE_PGM_RSRC2:TGID_X_EN: 1
; COMPUTE_PGM_RSRC2:TGID_Y_EN: 0
; COMPUTE_PGM_RSRC2:TGID_Z_EN: 0
; COMPUTE_PGM_RSRC2:TIDIG_COMP_CNT: 0
	.section	.text._ZN7rocprim17ROCPRIM_400000_NS6detail17trampoline_kernelINS0_14default_configENS1_35radix_sort_onesweep_config_selectorIllEEZZNS1_29radix_sort_onesweep_iterationIS3_Lb0EPlS7_N6thrust23THRUST_200600_302600_NS10device_ptrIlEESB_jNS0_19identity_decomposerENS1_16block_id_wrapperIjLb0EEEEE10hipError_tT1_PNSt15iterator_traitsISG_E10value_typeET2_T3_PNSH_ISM_E10value_typeET4_T5_PSR_SS_PNS1_23onesweep_lookback_stateEbbT6_jjT7_P12ihipStream_tbENKUlT_T0_SG_SL_E_clIS7_S7_SB_SB_EEDaSZ_S10_SG_SL_EUlSZ_E_NS1_11comp_targetILNS1_3genE5ELNS1_11target_archE942ELNS1_3gpuE9ELNS1_3repE0EEENS1_47radix_sort_onesweep_sort_config_static_selectorELNS0_4arch9wavefront6targetE1EEEvSG_,"axG",@progbits,_ZN7rocprim17ROCPRIM_400000_NS6detail17trampoline_kernelINS0_14default_configENS1_35radix_sort_onesweep_config_selectorIllEEZZNS1_29radix_sort_onesweep_iterationIS3_Lb0EPlS7_N6thrust23THRUST_200600_302600_NS10device_ptrIlEESB_jNS0_19identity_decomposerENS1_16block_id_wrapperIjLb0EEEEE10hipError_tT1_PNSt15iterator_traitsISG_E10value_typeET2_T3_PNSH_ISM_E10value_typeET4_T5_PSR_SS_PNS1_23onesweep_lookback_stateEbbT6_jjT7_P12ihipStream_tbENKUlT_T0_SG_SL_E_clIS7_S7_SB_SB_EEDaSZ_S10_SG_SL_EUlSZ_E_NS1_11comp_targetILNS1_3genE5ELNS1_11target_archE942ELNS1_3gpuE9ELNS1_3repE0EEENS1_47radix_sort_onesweep_sort_config_static_selectorELNS0_4arch9wavefront6targetE1EEEvSG_,comdat
	.protected	_ZN7rocprim17ROCPRIM_400000_NS6detail17trampoline_kernelINS0_14default_configENS1_35radix_sort_onesweep_config_selectorIllEEZZNS1_29radix_sort_onesweep_iterationIS3_Lb0EPlS7_N6thrust23THRUST_200600_302600_NS10device_ptrIlEESB_jNS0_19identity_decomposerENS1_16block_id_wrapperIjLb0EEEEE10hipError_tT1_PNSt15iterator_traitsISG_E10value_typeET2_T3_PNSH_ISM_E10value_typeET4_T5_PSR_SS_PNS1_23onesweep_lookback_stateEbbT6_jjT7_P12ihipStream_tbENKUlT_T0_SG_SL_E_clIS7_S7_SB_SB_EEDaSZ_S10_SG_SL_EUlSZ_E_NS1_11comp_targetILNS1_3genE5ELNS1_11target_archE942ELNS1_3gpuE9ELNS1_3repE0EEENS1_47radix_sort_onesweep_sort_config_static_selectorELNS0_4arch9wavefront6targetE1EEEvSG_ ; -- Begin function _ZN7rocprim17ROCPRIM_400000_NS6detail17trampoline_kernelINS0_14default_configENS1_35radix_sort_onesweep_config_selectorIllEEZZNS1_29radix_sort_onesweep_iterationIS3_Lb0EPlS7_N6thrust23THRUST_200600_302600_NS10device_ptrIlEESB_jNS0_19identity_decomposerENS1_16block_id_wrapperIjLb0EEEEE10hipError_tT1_PNSt15iterator_traitsISG_E10value_typeET2_T3_PNSH_ISM_E10value_typeET4_T5_PSR_SS_PNS1_23onesweep_lookback_stateEbbT6_jjT7_P12ihipStream_tbENKUlT_T0_SG_SL_E_clIS7_S7_SB_SB_EEDaSZ_S10_SG_SL_EUlSZ_E_NS1_11comp_targetILNS1_3genE5ELNS1_11target_archE942ELNS1_3gpuE9ELNS1_3repE0EEENS1_47radix_sort_onesweep_sort_config_static_selectorELNS0_4arch9wavefront6targetE1EEEvSG_
	.globl	_ZN7rocprim17ROCPRIM_400000_NS6detail17trampoline_kernelINS0_14default_configENS1_35radix_sort_onesweep_config_selectorIllEEZZNS1_29radix_sort_onesweep_iterationIS3_Lb0EPlS7_N6thrust23THRUST_200600_302600_NS10device_ptrIlEESB_jNS0_19identity_decomposerENS1_16block_id_wrapperIjLb0EEEEE10hipError_tT1_PNSt15iterator_traitsISG_E10value_typeET2_T3_PNSH_ISM_E10value_typeET4_T5_PSR_SS_PNS1_23onesweep_lookback_stateEbbT6_jjT7_P12ihipStream_tbENKUlT_T0_SG_SL_E_clIS7_S7_SB_SB_EEDaSZ_S10_SG_SL_EUlSZ_E_NS1_11comp_targetILNS1_3genE5ELNS1_11target_archE942ELNS1_3gpuE9ELNS1_3repE0EEENS1_47radix_sort_onesweep_sort_config_static_selectorELNS0_4arch9wavefront6targetE1EEEvSG_
	.p2align	8
	.type	_ZN7rocprim17ROCPRIM_400000_NS6detail17trampoline_kernelINS0_14default_configENS1_35radix_sort_onesweep_config_selectorIllEEZZNS1_29radix_sort_onesweep_iterationIS3_Lb0EPlS7_N6thrust23THRUST_200600_302600_NS10device_ptrIlEESB_jNS0_19identity_decomposerENS1_16block_id_wrapperIjLb0EEEEE10hipError_tT1_PNSt15iterator_traitsISG_E10value_typeET2_T3_PNSH_ISM_E10value_typeET4_T5_PSR_SS_PNS1_23onesweep_lookback_stateEbbT6_jjT7_P12ihipStream_tbENKUlT_T0_SG_SL_E_clIS7_S7_SB_SB_EEDaSZ_S10_SG_SL_EUlSZ_E_NS1_11comp_targetILNS1_3genE5ELNS1_11target_archE942ELNS1_3gpuE9ELNS1_3repE0EEENS1_47radix_sort_onesweep_sort_config_static_selectorELNS0_4arch9wavefront6targetE1EEEvSG_,@function
_ZN7rocprim17ROCPRIM_400000_NS6detail17trampoline_kernelINS0_14default_configENS1_35radix_sort_onesweep_config_selectorIllEEZZNS1_29radix_sort_onesweep_iterationIS3_Lb0EPlS7_N6thrust23THRUST_200600_302600_NS10device_ptrIlEESB_jNS0_19identity_decomposerENS1_16block_id_wrapperIjLb0EEEEE10hipError_tT1_PNSt15iterator_traitsISG_E10value_typeET2_T3_PNSH_ISM_E10value_typeET4_T5_PSR_SS_PNS1_23onesweep_lookback_stateEbbT6_jjT7_P12ihipStream_tbENKUlT_T0_SG_SL_E_clIS7_S7_SB_SB_EEDaSZ_S10_SG_SL_EUlSZ_E_NS1_11comp_targetILNS1_3genE5ELNS1_11target_archE942ELNS1_3gpuE9ELNS1_3repE0EEENS1_47radix_sort_onesweep_sort_config_static_selectorELNS0_4arch9wavefront6targetE1EEEvSG_: ; @_ZN7rocprim17ROCPRIM_400000_NS6detail17trampoline_kernelINS0_14default_configENS1_35radix_sort_onesweep_config_selectorIllEEZZNS1_29radix_sort_onesweep_iterationIS3_Lb0EPlS7_N6thrust23THRUST_200600_302600_NS10device_ptrIlEESB_jNS0_19identity_decomposerENS1_16block_id_wrapperIjLb0EEEEE10hipError_tT1_PNSt15iterator_traitsISG_E10value_typeET2_T3_PNSH_ISM_E10value_typeET4_T5_PSR_SS_PNS1_23onesweep_lookback_stateEbbT6_jjT7_P12ihipStream_tbENKUlT_T0_SG_SL_E_clIS7_S7_SB_SB_EEDaSZ_S10_SG_SL_EUlSZ_E_NS1_11comp_targetILNS1_3genE5ELNS1_11target_archE942ELNS1_3gpuE9ELNS1_3repE0EEENS1_47radix_sort_onesweep_sort_config_static_selectorELNS0_4arch9wavefront6targetE1EEEvSG_
; %bb.0:
	.section	.rodata,"a",@progbits
	.p2align	6, 0x0
	.amdhsa_kernel _ZN7rocprim17ROCPRIM_400000_NS6detail17trampoline_kernelINS0_14default_configENS1_35radix_sort_onesweep_config_selectorIllEEZZNS1_29radix_sort_onesweep_iterationIS3_Lb0EPlS7_N6thrust23THRUST_200600_302600_NS10device_ptrIlEESB_jNS0_19identity_decomposerENS1_16block_id_wrapperIjLb0EEEEE10hipError_tT1_PNSt15iterator_traitsISG_E10value_typeET2_T3_PNSH_ISM_E10value_typeET4_T5_PSR_SS_PNS1_23onesweep_lookback_stateEbbT6_jjT7_P12ihipStream_tbENKUlT_T0_SG_SL_E_clIS7_S7_SB_SB_EEDaSZ_S10_SG_SL_EUlSZ_E_NS1_11comp_targetILNS1_3genE5ELNS1_11target_archE942ELNS1_3gpuE9ELNS1_3repE0EEENS1_47radix_sort_onesweep_sort_config_static_selectorELNS0_4arch9wavefront6targetE1EEEvSG_
		.amdhsa_group_segment_fixed_size 0
		.amdhsa_private_segment_fixed_size 0
		.amdhsa_kernarg_size 88
		.amdhsa_user_sgpr_count 6
		.amdhsa_user_sgpr_private_segment_buffer 1
		.amdhsa_user_sgpr_dispatch_ptr 0
		.amdhsa_user_sgpr_queue_ptr 0
		.amdhsa_user_sgpr_kernarg_segment_ptr 1
		.amdhsa_user_sgpr_dispatch_id 0
		.amdhsa_user_sgpr_flat_scratch_init 0
		.amdhsa_user_sgpr_private_segment_size 0
		.amdhsa_uses_dynamic_stack 0
		.amdhsa_system_sgpr_private_segment_wavefront_offset 0
		.amdhsa_system_sgpr_workgroup_id_x 1
		.amdhsa_system_sgpr_workgroup_id_y 0
		.amdhsa_system_sgpr_workgroup_id_z 0
		.amdhsa_system_sgpr_workgroup_info 0
		.amdhsa_system_vgpr_workitem_id 0
		.amdhsa_next_free_vgpr 1
		.amdhsa_next_free_sgpr 0
		.amdhsa_reserve_vcc 0
		.amdhsa_reserve_flat_scratch 0
		.amdhsa_float_round_mode_32 0
		.amdhsa_float_round_mode_16_64 0
		.amdhsa_float_denorm_mode_32 3
		.amdhsa_float_denorm_mode_16_64 3
		.amdhsa_dx10_clamp 1
		.amdhsa_ieee_mode 1
		.amdhsa_fp16_overflow 0
		.amdhsa_exception_fp_ieee_invalid_op 0
		.amdhsa_exception_fp_denorm_src 0
		.amdhsa_exception_fp_ieee_div_zero 0
		.amdhsa_exception_fp_ieee_overflow 0
		.amdhsa_exception_fp_ieee_underflow 0
		.amdhsa_exception_fp_ieee_inexact 0
		.amdhsa_exception_int_div_zero 0
	.end_amdhsa_kernel
	.section	.text._ZN7rocprim17ROCPRIM_400000_NS6detail17trampoline_kernelINS0_14default_configENS1_35radix_sort_onesweep_config_selectorIllEEZZNS1_29radix_sort_onesweep_iterationIS3_Lb0EPlS7_N6thrust23THRUST_200600_302600_NS10device_ptrIlEESB_jNS0_19identity_decomposerENS1_16block_id_wrapperIjLb0EEEEE10hipError_tT1_PNSt15iterator_traitsISG_E10value_typeET2_T3_PNSH_ISM_E10value_typeET4_T5_PSR_SS_PNS1_23onesweep_lookback_stateEbbT6_jjT7_P12ihipStream_tbENKUlT_T0_SG_SL_E_clIS7_S7_SB_SB_EEDaSZ_S10_SG_SL_EUlSZ_E_NS1_11comp_targetILNS1_3genE5ELNS1_11target_archE942ELNS1_3gpuE9ELNS1_3repE0EEENS1_47radix_sort_onesweep_sort_config_static_selectorELNS0_4arch9wavefront6targetE1EEEvSG_,"axG",@progbits,_ZN7rocprim17ROCPRIM_400000_NS6detail17trampoline_kernelINS0_14default_configENS1_35radix_sort_onesweep_config_selectorIllEEZZNS1_29radix_sort_onesweep_iterationIS3_Lb0EPlS7_N6thrust23THRUST_200600_302600_NS10device_ptrIlEESB_jNS0_19identity_decomposerENS1_16block_id_wrapperIjLb0EEEEE10hipError_tT1_PNSt15iterator_traitsISG_E10value_typeET2_T3_PNSH_ISM_E10value_typeET4_T5_PSR_SS_PNS1_23onesweep_lookback_stateEbbT6_jjT7_P12ihipStream_tbENKUlT_T0_SG_SL_E_clIS7_S7_SB_SB_EEDaSZ_S10_SG_SL_EUlSZ_E_NS1_11comp_targetILNS1_3genE5ELNS1_11target_archE942ELNS1_3gpuE9ELNS1_3repE0EEENS1_47radix_sort_onesweep_sort_config_static_selectorELNS0_4arch9wavefront6targetE1EEEvSG_,comdat
.Lfunc_end1161:
	.size	_ZN7rocprim17ROCPRIM_400000_NS6detail17trampoline_kernelINS0_14default_configENS1_35radix_sort_onesweep_config_selectorIllEEZZNS1_29radix_sort_onesweep_iterationIS3_Lb0EPlS7_N6thrust23THRUST_200600_302600_NS10device_ptrIlEESB_jNS0_19identity_decomposerENS1_16block_id_wrapperIjLb0EEEEE10hipError_tT1_PNSt15iterator_traitsISG_E10value_typeET2_T3_PNSH_ISM_E10value_typeET4_T5_PSR_SS_PNS1_23onesweep_lookback_stateEbbT6_jjT7_P12ihipStream_tbENKUlT_T0_SG_SL_E_clIS7_S7_SB_SB_EEDaSZ_S10_SG_SL_EUlSZ_E_NS1_11comp_targetILNS1_3genE5ELNS1_11target_archE942ELNS1_3gpuE9ELNS1_3repE0EEENS1_47radix_sort_onesweep_sort_config_static_selectorELNS0_4arch9wavefront6targetE1EEEvSG_, .Lfunc_end1161-_ZN7rocprim17ROCPRIM_400000_NS6detail17trampoline_kernelINS0_14default_configENS1_35radix_sort_onesweep_config_selectorIllEEZZNS1_29radix_sort_onesweep_iterationIS3_Lb0EPlS7_N6thrust23THRUST_200600_302600_NS10device_ptrIlEESB_jNS0_19identity_decomposerENS1_16block_id_wrapperIjLb0EEEEE10hipError_tT1_PNSt15iterator_traitsISG_E10value_typeET2_T3_PNSH_ISM_E10value_typeET4_T5_PSR_SS_PNS1_23onesweep_lookback_stateEbbT6_jjT7_P12ihipStream_tbENKUlT_T0_SG_SL_E_clIS7_S7_SB_SB_EEDaSZ_S10_SG_SL_EUlSZ_E_NS1_11comp_targetILNS1_3genE5ELNS1_11target_archE942ELNS1_3gpuE9ELNS1_3repE0EEENS1_47radix_sort_onesweep_sort_config_static_selectorELNS0_4arch9wavefront6targetE1EEEvSG_
                                        ; -- End function
	.set _ZN7rocprim17ROCPRIM_400000_NS6detail17trampoline_kernelINS0_14default_configENS1_35radix_sort_onesweep_config_selectorIllEEZZNS1_29radix_sort_onesweep_iterationIS3_Lb0EPlS7_N6thrust23THRUST_200600_302600_NS10device_ptrIlEESB_jNS0_19identity_decomposerENS1_16block_id_wrapperIjLb0EEEEE10hipError_tT1_PNSt15iterator_traitsISG_E10value_typeET2_T3_PNSH_ISM_E10value_typeET4_T5_PSR_SS_PNS1_23onesweep_lookback_stateEbbT6_jjT7_P12ihipStream_tbENKUlT_T0_SG_SL_E_clIS7_S7_SB_SB_EEDaSZ_S10_SG_SL_EUlSZ_E_NS1_11comp_targetILNS1_3genE5ELNS1_11target_archE942ELNS1_3gpuE9ELNS1_3repE0EEENS1_47radix_sort_onesweep_sort_config_static_selectorELNS0_4arch9wavefront6targetE1EEEvSG_.num_vgpr, 0
	.set _ZN7rocprim17ROCPRIM_400000_NS6detail17trampoline_kernelINS0_14default_configENS1_35radix_sort_onesweep_config_selectorIllEEZZNS1_29radix_sort_onesweep_iterationIS3_Lb0EPlS7_N6thrust23THRUST_200600_302600_NS10device_ptrIlEESB_jNS0_19identity_decomposerENS1_16block_id_wrapperIjLb0EEEEE10hipError_tT1_PNSt15iterator_traitsISG_E10value_typeET2_T3_PNSH_ISM_E10value_typeET4_T5_PSR_SS_PNS1_23onesweep_lookback_stateEbbT6_jjT7_P12ihipStream_tbENKUlT_T0_SG_SL_E_clIS7_S7_SB_SB_EEDaSZ_S10_SG_SL_EUlSZ_E_NS1_11comp_targetILNS1_3genE5ELNS1_11target_archE942ELNS1_3gpuE9ELNS1_3repE0EEENS1_47radix_sort_onesweep_sort_config_static_selectorELNS0_4arch9wavefront6targetE1EEEvSG_.num_agpr, 0
	.set _ZN7rocprim17ROCPRIM_400000_NS6detail17trampoline_kernelINS0_14default_configENS1_35radix_sort_onesweep_config_selectorIllEEZZNS1_29radix_sort_onesweep_iterationIS3_Lb0EPlS7_N6thrust23THRUST_200600_302600_NS10device_ptrIlEESB_jNS0_19identity_decomposerENS1_16block_id_wrapperIjLb0EEEEE10hipError_tT1_PNSt15iterator_traitsISG_E10value_typeET2_T3_PNSH_ISM_E10value_typeET4_T5_PSR_SS_PNS1_23onesweep_lookback_stateEbbT6_jjT7_P12ihipStream_tbENKUlT_T0_SG_SL_E_clIS7_S7_SB_SB_EEDaSZ_S10_SG_SL_EUlSZ_E_NS1_11comp_targetILNS1_3genE5ELNS1_11target_archE942ELNS1_3gpuE9ELNS1_3repE0EEENS1_47radix_sort_onesweep_sort_config_static_selectorELNS0_4arch9wavefront6targetE1EEEvSG_.numbered_sgpr, 0
	.set _ZN7rocprim17ROCPRIM_400000_NS6detail17trampoline_kernelINS0_14default_configENS1_35radix_sort_onesweep_config_selectorIllEEZZNS1_29radix_sort_onesweep_iterationIS3_Lb0EPlS7_N6thrust23THRUST_200600_302600_NS10device_ptrIlEESB_jNS0_19identity_decomposerENS1_16block_id_wrapperIjLb0EEEEE10hipError_tT1_PNSt15iterator_traitsISG_E10value_typeET2_T3_PNSH_ISM_E10value_typeET4_T5_PSR_SS_PNS1_23onesweep_lookback_stateEbbT6_jjT7_P12ihipStream_tbENKUlT_T0_SG_SL_E_clIS7_S7_SB_SB_EEDaSZ_S10_SG_SL_EUlSZ_E_NS1_11comp_targetILNS1_3genE5ELNS1_11target_archE942ELNS1_3gpuE9ELNS1_3repE0EEENS1_47radix_sort_onesweep_sort_config_static_selectorELNS0_4arch9wavefront6targetE1EEEvSG_.num_named_barrier, 0
	.set _ZN7rocprim17ROCPRIM_400000_NS6detail17trampoline_kernelINS0_14default_configENS1_35radix_sort_onesweep_config_selectorIllEEZZNS1_29radix_sort_onesweep_iterationIS3_Lb0EPlS7_N6thrust23THRUST_200600_302600_NS10device_ptrIlEESB_jNS0_19identity_decomposerENS1_16block_id_wrapperIjLb0EEEEE10hipError_tT1_PNSt15iterator_traitsISG_E10value_typeET2_T3_PNSH_ISM_E10value_typeET4_T5_PSR_SS_PNS1_23onesweep_lookback_stateEbbT6_jjT7_P12ihipStream_tbENKUlT_T0_SG_SL_E_clIS7_S7_SB_SB_EEDaSZ_S10_SG_SL_EUlSZ_E_NS1_11comp_targetILNS1_3genE5ELNS1_11target_archE942ELNS1_3gpuE9ELNS1_3repE0EEENS1_47radix_sort_onesweep_sort_config_static_selectorELNS0_4arch9wavefront6targetE1EEEvSG_.private_seg_size, 0
	.set _ZN7rocprim17ROCPRIM_400000_NS6detail17trampoline_kernelINS0_14default_configENS1_35radix_sort_onesweep_config_selectorIllEEZZNS1_29radix_sort_onesweep_iterationIS3_Lb0EPlS7_N6thrust23THRUST_200600_302600_NS10device_ptrIlEESB_jNS0_19identity_decomposerENS1_16block_id_wrapperIjLb0EEEEE10hipError_tT1_PNSt15iterator_traitsISG_E10value_typeET2_T3_PNSH_ISM_E10value_typeET4_T5_PSR_SS_PNS1_23onesweep_lookback_stateEbbT6_jjT7_P12ihipStream_tbENKUlT_T0_SG_SL_E_clIS7_S7_SB_SB_EEDaSZ_S10_SG_SL_EUlSZ_E_NS1_11comp_targetILNS1_3genE5ELNS1_11target_archE942ELNS1_3gpuE9ELNS1_3repE0EEENS1_47radix_sort_onesweep_sort_config_static_selectorELNS0_4arch9wavefront6targetE1EEEvSG_.uses_vcc, 0
	.set _ZN7rocprim17ROCPRIM_400000_NS6detail17trampoline_kernelINS0_14default_configENS1_35radix_sort_onesweep_config_selectorIllEEZZNS1_29radix_sort_onesweep_iterationIS3_Lb0EPlS7_N6thrust23THRUST_200600_302600_NS10device_ptrIlEESB_jNS0_19identity_decomposerENS1_16block_id_wrapperIjLb0EEEEE10hipError_tT1_PNSt15iterator_traitsISG_E10value_typeET2_T3_PNSH_ISM_E10value_typeET4_T5_PSR_SS_PNS1_23onesweep_lookback_stateEbbT6_jjT7_P12ihipStream_tbENKUlT_T0_SG_SL_E_clIS7_S7_SB_SB_EEDaSZ_S10_SG_SL_EUlSZ_E_NS1_11comp_targetILNS1_3genE5ELNS1_11target_archE942ELNS1_3gpuE9ELNS1_3repE0EEENS1_47radix_sort_onesweep_sort_config_static_selectorELNS0_4arch9wavefront6targetE1EEEvSG_.uses_flat_scratch, 0
	.set _ZN7rocprim17ROCPRIM_400000_NS6detail17trampoline_kernelINS0_14default_configENS1_35radix_sort_onesweep_config_selectorIllEEZZNS1_29radix_sort_onesweep_iterationIS3_Lb0EPlS7_N6thrust23THRUST_200600_302600_NS10device_ptrIlEESB_jNS0_19identity_decomposerENS1_16block_id_wrapperIjLb0EEEEE10hipError_tT1_PNSt15iterator_traitsISG_E10value_typeET2_T3_PNSH_ISM_E10value_typeET4_T5_PSR_SS_PNS1_23onesweep_lookback_stateEbbT6_jjT7_P12ihipStream_tbENKUlT_T0_SG_SL_E_clIS7_S7_SB_SB_EEDaSZ_S10_SG_SL_EUlSZ_E_NS1_11comp_targetILNS1_3genE5ELNS1_11target_archE942ELNS1_3gpuE9ELNS1_3repE0EEENS1_47radix_sort_onesweep_sort_config_static_selectorELNS0_4arch9wavefront6targetE1EEEvSG_.has_dyn_sized_stack, 0
	.set _ZN7rocprim17ROCPRIM_400000_NS6detail17trampoline_kernelINS0_14default_configENS1_35radix_sort_onesweep_config_selectorIllEEZZNS1_29radix_sort_onesweep_iterationIS3_Lb0EPlS7_N6thrust23THRUST_200600_302600_NS10device_ptrIlEESB_jNS0_19identity_decomposerENS1_16block_id_wrapperIjLb0EEEEE10hipError_tT1_PNSt15iterator_traitsISG_E10value_typeET2_T3_PNSH_ISM_E10value_typeET4_T5_PSR_SS_PNS1_23onesweep_lookback_stateEbbT6_jjT7_P12ihipStream_tbENKUlT_T0_SG_SL_E_clIS7_S7_SB_SB_EEDaSZ_S10_SG_SL_EUlSZ_E_NS1_11comp_targetILNS1_3genE5ELNS1_11target_archE942ELNS1_3gpuE9ELNS1_3repE0EEENS1_47radix_sort_onesweep_sort_config_static_selectorELNS0_4arch9wavefront6targetE1EEEvSG_.has_recursion, 0
	.set _ZN7rocprim17ROCPRIM_400000_NS6detail17trampoline_kernelINS0_14default_configENS1_35radix_sort_onesweep_config_selectorIllEEZZNS1_29radix_sort_onesweep_iterationIS3_Lb0EPlS7_N6thrust23THRUST_200600_302600_NS10device_ptrIlEESB_jNS0_19identity_decomposerENS1_16block_id_wrapperIjLb0EEEEE10hipError_tT1_PNSt15iterator_traitsISG_E10value_typeET2_T3_PNSH_ISM_E10value_typeET4_T5_PSR_SS_PNS1_23onesweep_lookback_stateEbbT6_jjT7_P12ihipStream_tbENKUlT_T0_SG_SL_E_clIS7_S7_SB_SB_EEDaSZ_S10_SG_SL_EUlSZ_E_NS1_11comp_targetILNS1_3genE5ELNS1_11target_archE942ELNS1_3gpuE9ELNS1_3repE0EEENS1_47radix_sort_onesweep_sort_config_static_selectorELNS0_4arch9wavefront6targetE1EEEvSG_.has_indirect_call, 0
	.section	.AMDGPU.csdata,"",@progbits
; Kernel info:
; codeLenInByte = 0
; TotalNumSgprs: 4
; NumVgprs: 0
; ScratchSize: 0
; MemoryBound: 0
; FloatMode: 240
; IeeeMode: 1
; LDSByteSize: 0 bytes/workgroup (compile time only)
; SGPRBlocks: 0
; VGPRBlocks: 0
; NumSGPRsForWavesPerEU: 4
; NumVGPRsForWavesPerEU: 1
; Occupancy: 10
; WaveLimiterHint : 0
; COMPUTE_PGM_RSRC2:SCRATCH_EN: 0
; COMPUTE_PGM_RSRC2:USER_SGPR: 6
; COMPUTE_PGM_RSRC2:TRAP_HANDLER: 0
; COMPUTE_PGM_RSRC2:TGID_X_EN: 1
; COMPUTE_PGM_RSRC2:TGID_Y_EN: 0
; COMPUTE_PGM_RSRC2:TGID_Z_EN: 0
; COMPUTE_PGM_RSRC2:TIDIG_COMP_CNT: 0
	.section	.text._ZN7rocprim17ROCPRIM_400000_NS6detail17trampoline_kernelINS0_14default_configENS1_35radix_sort_onesweep_config_selectorIllEEZZNS1_29radix_sort_onesweep_iterationIS3_Lb0EPlS7_N6thrust23THRUST_200600_302600_NS10device_ptrIlEESB_jNS0_19identity_decomposerENS1_16block_id_wrapperIjLb0EEEEE10hipError_tT1_PNSt15iterator_traitsISG_E10value_typeET2_T3_PNSH_ISM_E10value_typeET4_T5_PSR_SS_PNS1_23onesweep_lookback_stateEbbT6_jjT7_P12ihipStream_tbENKUlT_T0_SG_SL_E_clIS7_S7_SB_SB_EEDaSZ_S10_SG_SL_EUlSZ_E_NS1_11comp_targetILNS1_3genE2ELNS1_11target_archE906ELNS1_3gpuE6ELNS1_3repE0EEENS1_47radix_sort_onesweep_sort_config_static_selectorELNS0_4arch9wavefront6targetE1EEEvSG_,"axG",@progbits,_ZN7rocprim17ROCPRIM_400000_NS6detail17trampoline_kernelINS0_14default_configENS1_35radix_sort_onesweep_config_selectorIllEEZZNS1_29radix_sort_onesweep_iterationIS3_Lb0EPlS7_N6thrust23THRUST_200600_302600_NS10device_ptrIlEESB_jNS0_19identity_decomposerENS1_16block_id_wrapperIjLb0EEEEE10hipError_tT1_PNSt15iterator_traitsISG_E10value_typeET2_T3_PNSH_ISM_E10value_typeET4_T5_PSR_SS_PNS1_23onesweep_lookback_stateEbbT6_jjT7_P12ihipStream_tbENKUlT_T0_SG_SL_E_clIS7_S7_SB_SB_EEDaSZ_S10_SG_SL_EUlSZ_E_NS1_11comp_targetILNS1_3genE2ELNS1_11target_archE906ELNS1_3gpuE6ELNS1_3repE0EEENS1_47radix_sort_onesweep_sort_config_static_selectorELNS0_4arch9wavefront6targetE1EEEvSG_,comdat
	.protected	_ZN7rocprim17ROCPRIM_400000_NS6detail17trampoline_kernelINS0_14default_configENS1_35radix_sort_onesweep_config_selectorIllEEZZNS1_29radix_sort_onesweep_iterationIS3_Lb0EPlS7_N6thrust23THRUST_200600_302600_NS10device_ptrIlEESB_jNS0_19identity_decomposerENS1_16block_id_wrapperIjLb0EEEEE10hipError_tT1_PNSt15iterator_traitsISG_E10value_typeET2_T3_PNSH_ISM_E10value_typeET4_T5_PSR_SS_PNS1_23onesweep_lookback_stateEbbT6_jjT7_P12ihipStream_tbENKUlT_T0_SG_SL_E_clIS7_S7_SB_SB_EEDaSZ_S10_SG_SL_EUlSZ_E_NS1_11comp_targetILNS1_3genE2ELNS1_11target_archE906ELNS1_3gpuE6ELNS1_3repE0EEENS1_47radix_sort_onesweep_sort_config_static_selectorELNS0_4arch9wavefront6targetE1EEEvSG_ ; -- Begin function _ZN7rocprim17ROCPRIM_400000_NS6detail17trampoline_kernelINS0_14default_configENS1_35radix_sort_onesweep_config_selectorIllEEZZNS1_29radix_sort_onesweep_iterationIS3_Lb0EPlS7_N6thrust23THRUST_200600_302600_NS10device_ptrIlEESB_jNS0_19identity_decomposerENS1_16block_id_wrapperIjLb0EEEEE10hipError_tT1_PNSt15iterator_traitsISG_E10value_typeET2_T3_PNSH_ISM_E10value_typeET4_T5_PSR_SS_PNS1_23onesweep_lookback_stateEbbT6_jjT7_P12ihipStream_tbENKUlT_T0_SG_SL_E_clIS7_S7_SB_SB_EEDaSZ_S10_SG_SL_EUlSZ_E_NS1_11comp_targetILNS1_3genE2ELNS1_11target_archE906ELNS1_3gpuE6ELNS1_3repE0EEENS1_47radix_sort_onesweep_sort_config_static_selectorELNS0_4arch9wavefront6targetE1EEEvSG_
	.globl	_ZN7rocprim17ROCPRIM_400000_NS6detail17trampoline_kernelINS0_14default_configENS1_35radix_sort_onesweep_config_selectorIllEEZZNS1_29radix_sort_onesweep_iterationIS3_Lb0EPlS7_N6thrust23THRUST_200600_302600_NS10device_ptrIlEESB_jNS0_19identity_decomposerENS1_16block_id_wrapperIjLb0EEEEE10hipError_tT1_PNSt15iterator_traitsISG_E10value_typeET2_T3_PNSH_ISM_E10value_typeET4_T5_PSR_SS_PNS1_23onesweep_lookback_stateEbbT6_jjT7_P12ihipStream_tbENKUlT_T0_SG_SL_E_clIS7_S7_SB_SB_EEDaSZ_S10_SG_SL_EUlSZ_E_NS1_11comp_targetILNS1_3genE2ELNS1_11target_archE906ELNS1_3gpuE6ELNS1_3repE0EEENS1_47radix_sort_onesweep_sort_config_static_selectorELNS0_4arch9wavefront6targetE1EEEvSG_
	.p2align	8
	.type	_ZN7rocprim17ROCPRIM_400000_NS6detail17trampoline_kernelINS0_14default_configENS1_35radix_sort_onesweep_config_selectorIllEEZZNS1_29radix_sort_onesweep_iterationIS3_Lb0EPlS7_N6thrust23THRUST_200600_302600_NS10device_ptrIlEESB_jNS0_19identity_decomposerENS1_16block_id_wrapperIjLb0EEEEE10hipError_tT1_PNSt15iterator_traitsISG_E10value_typeET2_T3_PNSH_ISM_E10value_typeET4_T5_PSR_SS_PNS1_23onesweep_lookback_stateEbbT6_jjT7_P12ihipStream_tbENKUlT_T0_SG_SL_E_clIS7_S7_SB_SB_EEDaSZ_S10_SG_SL_EUlSZ_E_NS1_11comp_targetILNS1_3genE2ELNS1_11target_archE906ELNS1_3gpuE6ELNS1_3repE0EEENS1_47radix_sort_onesweep_sort_config_static_selectorELNS0_4arch9wavefront6targetE1EEEvSG_,@function
_ZN7rocprim17ROCPRIM_400000_NS6detail17trampoline_kernelINS0_14default_configENS1_35radix_sort_onesweep_config_selectorIllEEZZNS1_29radix_sort_onesweep_iterationIS3_Lb0EPlS7_N6thrust23THRUST_200600_302600_NS10device_ptrIlEESB_jNS0_19identity_decomposerENS1_16block_id_wrapperIjLb0EEEEE10hipError_tT1_PNSt15iterator_traitsISG_E10value_typeET2_T3_PNSH_ISM_E10value_typeET4_T5_PSR_SS_PNS1_23onesweep_lookback_stateEbbT6_jjT7_P12ihipStream_tbENKUlT_T0_SG_SL_E_clIS7_S7_SB_SB_EEDaSZ_S10_SG_SL_EUlSZ_E_NS1_11comp_targetILNS1_3genE2ELNS1_11target_archE906ELNS1_3gpuE6ELNS1_3repE0EEENS1_47radix_sort_onesweep_sort_config_static_selectorELNS0_4arch9wavefront6targetE1EEEvSG_: ; @_ZN7rocprim17ROCPRIM_400000_NS6detail17trampoline_kernelINS0_14default_configENS1_35radix_sort_onesweep_config_selectorIllEEZZNS1_29radix_sort_onesweep_iterationIS3_Lb0EPlS7_N6thrust23THRUST_200600_302600_NS10device_ptrIlEESB_jNS0_19identity_decomposerENS1_16block_id_wrapperIjLb0EEEEE10hipError_tT1_PNSt15iterator_traitsISG_E10value_typeET2_T3_PNSH_ISM_E10value_typeET4_T5_PSR_SS_PNS1_23onesweep_lookback_stateEbbT6_jjT7_P12ihipStream_tbENKUlT_T0_SG_SL_E_clIS7_S7_SB_SB_EEDaSZ_S10_SG_SL_EUlSZ_E_NS1_11comp_targetILNS1_3genE2ELNS1_11target_archE906ELNS1_3gpuE6ELNS1_3repE0EEENS1_47radix_sort_onesweep_sort_config_static_selectorELNS0_4arch9wavefront6targetE1EEEvSG_
; %bb.0:
	s_add_u32 s0, s0, s7
	s_load_dwordx4 s[40:43], s[4:5], 0x44
	s_load_dwordx8 s[24:31], s[4:5], 0x0
	s_load_dwordx4 s[36:39], s[4:5], 0x28
	s_load_dwordx2 s[34:35], s[4:5], 0x38
	s_addc_u32 s1, s1, 0
	s_mov_b64 s[8:9], -1
	s_waitcnt lgkmcnt(0)
	s_cmp_ge_u32 s6, s42
	s_mul_i32 s44, s6, 0xc00
	v_mbcnt_lo_u32_b32 v21, -1, 0
	s_cbranch_scc0 .LBB1162_72
; %bb.1:
	s_load_dword s7, s[4:5], 0x20
	s_mul_i32 s8, s42, 0xfffff400
	s_mov_b32 s45, 0
	v_mbcnt_hi_u32_b32 v19, -1, v21
	s_lshl_b64 s[42:43], s[44:45], 3
	s_waitcnt lgkmcnt(0)
	s_add_i32 s7, s7, s8
	s_add_u32 s8, s24, s42
	v_and_b32_e32 v3, 63, v19
	s_addc_u32 s9, s25, s43
	v_and_b32_e32 v20, 0x1c0, v0
	v_lshlrev_b32_e32 v22, 3, v3
	v_mul_u32_u24_e32 v4, 6, v20
	v_mov_b32_e32 v5, s9
	v_add_co_u32_e32 v6, vcc, s8, v22
	v_addc_co_u32_e32 v5, vcc, 0, v5, vcc
	v_lshlrev_b32_e32 v23, 3, v4
	v_add_co_u32_e32 v15, vcc, v6, v23
	v_addc_co_u32_e32 v16, vcc, 0, v5, vcc
	v_or_b32_e32 v17, v3, v4
	v_mov_b32_e32 v3, -1
	v_mov_b32_e32 v5, -1
	;; [unrolled: 1-line block ×4, first 2 shown]
	v_cmp_gt_u32_e32 vcc, s7, v17
	s_and_saveexec_b64 s[8:9], vcc
	s_cbranch_execz .LBB1162_3
; %bb.2:
	global_load_dwordx2 v[5:6], v[15:16], off
	s_waitcnt vmcnt(0)
	v_xor_b32_e32 v6, 0x80000000, v6
.LBB1162_3:
	s_or_b64 exec, exec, s[8:9]
	v_or_b32_e32 v7, 64, v17
	v_cmp_gt_u32_e64 s[20:21], s7, v7
	s_and_saveexec_b64 s[8:9], s[20:21]
	s_cbranch_execz .LBB1162_5
; %bb.4:
	global_load_dwordx2 v[3:4], v[15:16], off offset:512
	s_waitcnt vmcnt(0)
	v_xor_b32_e32 v4, 0x80000000, v4
.LBB1162_5:
	s_or_b64 exec, exec, s[8:9]
	v_add_u32_e32 v11, 0x80, v17
	v_mov_b32_e32 v7, -1
	v_mov_b32_e32 v9, -1
	;; [unrolled: 1-line block ×4, first 2 shown]
	v_cmp_gt_u32_e64 s[8:9], s7, v11
	s_and_saveexec_b64 s[10:11], s[8:9]
	s_cbranch_execz .LBB1162_7
; %bb.6:
	global_load_dwordx2 v[9:10], v[15:16], off offset:1024
	s_waitcnt vmcnt(0)
	v_xor_b32_e32 v10, 0x80000000, v10
.LBB1162_7:
	s_or_b64 exec, exec, s[10:11]
	v_add_u32_e32 v11, 0xc0, v17
	v_cmp_gt_u32_e64 s[10:11], s7, v11
	s_and_saveexec_b64 s[12:13], s[10:11]
	s_cbranch_execz .LBB1162_9
; %bb.8:
	global_load_dwordx2 v[7:8], v[15:16], off offset:1536
	s_waitcnt vmcnt(0)
	v_xor_b32_e32 v8, 0x80000000, v8
.LBB1162_9:
	s_or_b64 exec, exec, s[12:13]
	v_add_u32_e32 v18, 0x100, v17
	v_mov_b32_e32 v11, -1
	v_mov_b32_e32 v13, -1
	;; [unrolled: 1-line block ×4, first 2 shown]
	v_cmp_gt_u32_e64 s[12:13], s7, v18
	s_and_saveexec_b64 s[14:15], s[12:13]
	s_cbranch_execz .LBB1162_11
; %bb.10:
	global_load_dwordx2 v[13:14], v[15:16], off offset:2048
	s_waitcnt vmcnt(0)
	v_xor_b32_e32 v14, 0x80000000, v14
.LBB1162_11:
	s_or_b64 exec, exec, s[14:15]
	v_add_u32_e32 v17, 0x140, v17
	v_cmp_gt_u32_e64 s[14:15], s7, v17
	s_and_saveexec_b64 s[16:17], s[14:15]
	s_cbranch_execz .LBB1162_13
; %bb.12:
	global_load_dwordx2 v[11:12], v[15:16], off offset:2560
	s_waitcnt vmcnt(0)
	v_xor_b32_e32 v12, 0x80000000, v12
.LBB1162_13:
	s_or_b64 exec, exec, s[16:17]
	s_load_dword s16, s[4:5], 0x64
	s_load_dword s33, s[4:5], 0x58
	s_add_u32 s17, s4, 0x58
	s_addc_u32 s18, s5, 0
	v_mov_b32_e32 v15, 0
	s_waitcnt lgkmcnt(0)
	s_lshr_b32 s19, s16, 16
	s_cmp_lt_u32 s6, s33
	s_cselect_b32 s16, 12, 18
	s_add_u32 s16, s17, s16
	s_addc_u32 s17, s18, 0
	global_load_ushort v18, v15, s[16:17]
	v_lshrrev_b64 v[16:17], s40, v[5:6]
	s_lshl_b32 s16, -1, s41
	s_not_b32 s45, s16
	v_and_b32_e32 v25, s45, v16
	v_and_b32_e32 v26, 1, v25
	v_add_co_u32_e64 v28, s[16:17], -1, v26
	v_lshlrev_b32_e32 v16, 30, v25
	v_addc_co_u32_e64 v29, s[16:17], 0, -1, s[16:17]
	v_mad_u32_u24 v17, v2, s19, v1
	v_cmp_ne_u32_e64 s[16:17], 0, v26
	v_cmp_gt_i64_e64 s[18:19], 0, v[15:16]
	v_not_b32_e32 v26, v16
	v_lshlrev_b32_e32 v16, 29, v25
	v_xor_b32_e32 v29, s17, v29
	v_xor_b32_e32 v28, s16, v28
	v_ashrrev_i32_e32 v26, 31, v26
	v_cmp_gt_i64_e64 s[16:17], 0, v[15:16]
	v_not_b32_e32 v30, v16
	v_lshlrev_b32_e32 v16, 28, v25
	v_and_b32_e32 v29, exec_hi, v29
	v_and_b32_e32 v28, exec_lo, v28
	v_xor_b32_e32 v31, s19, v26
	v_xor_b32_e32 v26, s18, v26
	v_ashrrev_i32_e32 v30, 31, v30
	v_cmp_gt_i64_e64 s[18:19], 0, v[15:16]
	v_not_b32_e32 v32, v16
	v_lshlrev_b32_e32 v16, 27, v25
	v_and_b32_e32 v29, v29, v31
	v_and_b32_e32 v26, v28, v26
	v_xor_b32_e32 v28, s17, v30
	v_xor_b32_e32 v30, s16, v30
	v_ashrrev_i32_e32 v31, 31, v32
	v_cmp_gt_i64_e64 s[16:17], 0, v[15:16]
	v_not_b32_e32 v32, v16
	v_lshlrev_b32_e32 v16, 26, v25
	v_and_b32_e32 v28, v29, v28
	v_and_b32_e32 v26, v26, v30
	;; [unrolled: 8-line block ×3, first 2 shown]
	v_xor_b32_e32 v29, s17, v31
	v_xor_b32_e32 v30, s16, v31
	v_ashrrev_i32_e32 v31, 31, v32
	v_cmp_gt_i64_e64 s[16:17], 0, v[15:16]
	v_not_b32_e32 v32, v16
	v_mul_lo_u32 v27, v25, 36
	v_lshlrev_b32_e32 v16, 24, v25
	v_and_b32_e32 v25, v28, v29
	v_and_b32_e32 v26, v26, v30
	v_xor_b32_e32 v28, s19, v31
	v_xor_b32_e32 v29, s18, v31
	v_ashrrev_i32_e32 v30, 31, v32
	v_and_b32_e32 v25, v25, v28
	v_and_b32_e32 v26, v26, v29
	v_xor_b32_e32 v28, s17, v30
	v_xor_b32_e32 v29, s16, v30
	v_cmp_gt_i64_e64 s[18:19], 0, v[15:16]
	v_not_b32_e32 v16, v16
	v_and_b32_e32 v28, v25, v28
	v_and_b32_e32 v29, v26, v29
	v_ashrrev_i32_e32 v16, 31, v16
	v_xor_b32_e32 v30, s19, v16
	v_xor_b32_e32 v16, s18, v16
	v_and_b32_e32 v16, v29, v16
	v_mul_u32_u24_e32 v24, 20, v0
	ds_write2_b32 v24, v15, v15 offset0:8 offset1:9
	ds_write2_b32 v24, v15, v15 offset0:10 offset1:11
	ds_write_b32 v24, v15 offset:48
	s_waitcnt vmcnt(0) lgkmcnt(0)
	s_barrier
	; wave barrier
	v_mad_u64_u32 v[25:26], s[16:17], v17, v18, v[0:1]
	v_and_b32_e32 v17, v28, v30
	v_cmp_ne_u64_e64 s[16:17], 0, v[16:17]
	v_lshrrev_b32_e32 v18, 6, v25
	v_mbcnt_lo_u32_b32 v25, v16, 0
	v_mbcnt_hi_u32_b32 v25, v17, v25
	v_cmp_eq_u32_e64 s[18:19], 0, v25
	v_lshl_add_u32 v29, v18, 2, v27
	s_and_b64 s[18:19], s[16:17], s[18:19]
	s_and_saveexec_b64 s[16:17], s[18:19]
; %bb.14:
	v_bcnt_u32_b32 v16, v16, 0
	v_bcnt_u32_b32 v16, v17, v16
	ds_write_b32 v29, v16 offset:32
; %bb.15:
	s_or_b64 exec, exec, s[16:17]
	v_lshrrev_b64 v[16:17], s40, v[3:4]
	v_and_b32_e32 v17, s45, v16
	v_mul_lo_u32 v16, v17, 36
	v_and_b32_e32 v27, 1, v17
	; wave barrier
	v_lshl_add_u32 v30, v18, 2, v16
	v_add_co_u32_e64 v16, s[16:17], -1, v27
	v_addc_co_u32_e64 v28, s[16:17], 0, -1, s[16:17]
	v_cmp_ne_u32_e64 s[16:17], 0, v27
	v_xor_b32_e32 v16, s16, v16
	v_xor_b32_e32 v27, s17, v28
	v_and_b32_e32 v28, exec_lo, v16
	v_lshlrev_b32_e32 v16, 30, v17
	v_cmp_gt_i64_e64 s[16:17], 0, v[15:16]
	v_not_b32_e32 v16, v16
	v_ashrrev_i32_e32 v16, 31, v16
	v_xor_b32_e32 v31, s17, v16
	v_xor_b32_e32 v16, s16, v16
	v_and_b32_e32 v28, v28, v16
	v_lshlrev_b32_e32 v16, 29, v17
	v_cmp_gt_i64_e64 s[16:17], 0, v[15:16]
	v_not_b32_e32 v16, v16
	v_and_b32_e32 v27, exec_hi, v27
	v_ashrrev_i32_e32 v16, 31, v16
	v_and_b32_e32 v27, v27, v31
	v_xor_b32_e32 v31, s17, v16
	v_xor_b32_e32 v16, s16, v16
	v_and_b32_e32 v28, v28, v16
	v_lshlrev_b32_e32 v16, 28, v17
	v_cmp_gt_i64_e64 s[16:17], 0, v[15:16]
	v_not_b32_e32 v16, v16
	v_ashrrev_i32_e32 v16, 31, v16
	v_and_b32_e32 v27, v27, v31
	v_xor_b32_e32 v31, s17, v16
	v_xor_b32_e32 v16, s16, v16
	v_and_b32_e32 v28, v28, v16
	v_lshlrev_b32_e32 v16, 27, v17
	v_cmp_gt_i64_e64 s[16:17], 0, v[15:16]
	v_not_b32_e32 v16, v16
	;; [unrolled: 8-line block ×5, first 2 shown]
	v_ashrrev_i32_e32 v15, 31, v15
	v_xor_b32_e32 v16, s17, v15
	v_xor_b32_e32 v15, s16, v15
	ds_read_b32 v26, v30 offset:32
	v_and_b32_e32 v27, v27, v31
	v_and_b32_e32 v15, v28, v15
	;; [unrolled: 1-line block ×3, first 2 shown]
	v_mbcnt_lo_u32_b32 v17, v15, 0
	v_mbcnt_hi_u32_b32 v27, v16, v17
	v_cmp_ne_u64_e64 s[16:17], 0, v[15:16]
	v_cmp_eq_u32_e64 s[18:19], 0, v27
	s_and_b64 s[18:19], s[16:17], s[18:19]
	; wave barrier
	s_and_saveexec_b64 s[16:17], s[18:19]
	s_cbranch_execz .LBB1162_17
; %bb.16:
	v_bcnt_u32_b32 v15, v15, 0
	v_bcnt_u32_b32 v15, v16, v15
	s_waitcnt lgkmcnt(0)
	v_add_u32_e32 v15, v26, v15
	ds_write_b32 v30, v15 offset:32
.LBB1162_17:
	s_or_b64 exec, exec, s[16:17]
	v_lshrrev_b64 v[15:16], s40, v[9:10]
	v_and_b32_e32 v17, s45, v15
	v_mul_lo_u32 v16, v17, 36
	v_and_b32_e32 v31, 1, v17
	v_mov_b32_e32 v15, 0
	; wave barrier
	v_lshl_add_u32 v33, v18, 2, v16
	v_add_co_u32_e64 v16, s[16:17], -1, v31
	v_addc_co_u32_e64 v32, s[16:17], 0, -1, s[16:17]
	v_cmp_ne_u32_e64 s[16:17], 0, v31
	v_xor_b32_e32 v16, s16, v16
	v_xor_b32_e32 v31, s17, v32
	v_and_b32_e32 v32, exec_lo, v16
	v_lshlrev_b32_e32 v16, 30, v17
	v_cmp_gt_i64_e64 s[16:17], 0, v[15:16]
	v_not_b32_e32 v16, v16
	v_ashrrev_i32_e32 v16, 31, v16
	v_xor_b32_e32 v34, s17, v16
	v_xor_b32_e32 v16, s16, v16
	v_and_b32_e32 v32, v32, v16
	v_lshlrev_b32_e32 v16, 29, v17
	v_cmp_gt_i64_e64 s[16:17], 0, v[15:16]
	v_not_b32_e32 v16, v16
	v_and_b32_e32 v31, exec_hi, v31
	v_ashrrev_i32_e32 v16, 31, v16
	v_and_b32_e32 v31, v31, v34
	v_xor_b32_e32 v34, s17, v16
	v_xor_b32_e32 v16, s16, v16
	v_and_b32_e32 v32, v32, v16
	v_lshlrev_b32_e32 v16, 28, v17
	v_cmp_gt_i64_e64 s[16:17], 0, v[15:16]
	v_not_b32_e32 v16, v16
	v_ashrrev_i32_e32 v16, 31, v16
	v_and_b32_e32 v31, v31, v34
	v_xor_b32_e32 v34, s17, v16
	v_xor_b32_e32 v16, s16, v16
	v_and_b32_e32 v32, v32, v16
	v_lshlrev_b32_e32 v16, 27, v17
	v_cmp_gt_i64_e64 s[16:17], 0, v[15:16]
	v_not_b32_e32 v16, v16
	;; [unrolled: 8-line block ×5, first 2 shown]
	v_ashrrev_i32_e32 v16, 31, v16
	v_xor_b32_e32 v17, s17, v16
	v_xor_b32_e32 v16, s16, v16
	ds_read_b32 v28, v33 offset:32
	v_and_b32_e32 v31, v31, v34
	v_and_b32_e32 v16, v32, v16
	v_and_b32_e32 v17, v31, v17
	v_mbcnt_lo_u32_b32 v31, v16, 0
	v_mbcnt_hi_u32_b32 v31, v17, v31
	v_cmp_ne_u64_e64 s[16:17], 0, v[16:17]
	v_cmp_eq_u32_e64 s[18:19], 0, v31
	s_and_b64 s[18:19], s[16:17], s[18:19]
	; wave barrier
	s_and_saveexec_b64 s[16:17], s[18:19]
	s_cbranch_execz .LBB1162_19
; %bb.18:
	v_bcnt_u32_b32 v16, v16, 0
	v_bcnt_u32_b32 v16, v17, v16
	s_waitcnt lgkmcnt(0)
	v_add_u32_e32 v16, v28, v16
	ds_write_b32 v33, v16 offset:32
.LBB1162_19:
	s_or_b64 exec, exec, s[16:17]
	v_lshrrev_b64 v[16:17], s40, v[7:8]
	v_and_b32_e32 v17, s45, v16
	v_mul_lo_u32 v16, v17, 36
	v_and_b32_e32 v34, 1, v17
	; wave barrier
	v_lshl_add_u32 v36, v18, 2, v16
	v_add_co_u32_e64 v16, s[16:17], -1, v34
	v_addc_co_u32_e64 v35, s[16:17], 0, -1, s[16:17]
	v_cmp_ne_u32_e64 s[16:17], 0, v34
	v_xor_b32_e32 v16, s16, v16
	v_xor_b32_e32 v34, s17, v35
	v_and_b32_e32 v35, exec_lo, v16
	v_lshlrev_b32_e32 v16, 30, v17
	v_cmp_gt_i64_e64 s[16:17], 0, v[15:16]
	v_not_b32_e32 v16, v16
	v_ashrrev_i32_e32 v16, 31, v16
	v_xor_b32_e32 v37, s17, v16
	v_xor_b32_e32 v16, s16, v16
	v_and_b32_e32 v35, v35, v16
	v_lshlrev_b32_e32 v16, 29, v17
	v_cmp_gt_i64_e64 s[16:17], 0, v[15:16]
	v_not_b32_e32 v16, v16
	v_and_b32_e32 v34, exec_hi, v34
	v_ashrrev_i32_e32 v16, 31, v16
	v_and_b32_e32 v34, v34, v37
	v_xor_b32_e32 v37, s17, v16
	v_xor_b32_e32 v16, s16, v16
	v_and_b32_e32 v35, v35, v16
	v_lshlrev_b32_e32 v16, 28, v17
	v_cmp_gt_i64_e64 s[16:17], 0, v[15:16]
	v_not_b32_e32 v16, v16
	v_ashrrev_i32_e32 v16, 31, v16
	v_and_b32_e32 v34, v34, v37
	v_xor_b32_e32 v37, s17, v16
	v_xor_b32_e32 v16, s16, v16
	v_and_b32_e32 v35, v35, v16
	v_lshlrev_b32_e32 v16, 27, v17
	v_cmp_gt_i64_e64 s[16:17], 0, v[15:16]
	v_not_b32_e32 v16, v16
	;; [unrolled: 8-line block ×5, first 2 shown]
	v_ashrrev_i32_e32 v15, 31, v15
	v_xor_b32_e32 v16, s17, v15
	v_xor_b32_e32 v15, s16, v15
	ds_read_b32 v32, v36 offset:32
	v_and_b32_e32 v34, v34, v37
	v_and_b32_e32 v15, v35, v15
	;; [unrolled: 1-line block ×3, first 2 shown]
	v_mbcnt_lo_u32_b32 v17, v15, 0
	v_mbcnt_hi_u32_b32 v34, v16, v17
	v_cmp_ne_u64_e64 s[16:17], 0, v[15:16]
	v_cmp_eq_u32_e64 s[18:19], 0, v34
	s_and_b64 s[18:19], s[16:17], s[18:19]
	; wave barrier
	s_and_saveexec_b64 s[16:17], s[18:19]
	s_cbranch_execz .LBB1162_21
; %bb.20:
	v_bcnt_u32_b32 v15, v15, 0
	v_bcnt_u32_b32 v15, v16, v15
	s_waitcnt lgkmcnt(0)
	v_add_u32_e32 v15, v32, v15
	ds_write_b32 v36, v15 offset:32
.LBB1162_21:
	s_or_b64 exec, exec, s[16:17]
	v_lshrrev_b64 v[15:16], s40, v[13:14]
	v_and_b32_e32 v17, s45, v15
	v_mul_lo_u32 v16, v17, 36
	v_and_b32_e32 v37, 1, v17
	v_mov_b32_e32 v15, 0
	; wave barrier
	v_lshl_add_u32 v39, v18, 2, v16
	v_add_co_u32_e64 v16, s[16:17], -1, v37
	v_addc_co_u32_e64 v38, s[16:17], 0, -1, s[16:17]
	v_cmp_ne_u32_e64 s[16:17], 0, v37
	v_xor_b32_e32 v16, s16, v16
	v_xor_b32_e32 v37, s17, v38
	v_and_b32_e32 v38, exec_lo, v16
	v_lshlrev_b32_e32 v16, 30, v17
	v_cmp_gt_i64_e64 s[16:17], 0, v[15:16]
	v_not_b32_e32 v16, v16
	v_ashrrev_i32_e32 v16, 31, v16
	v_xor_b32_e32 v40, s17, v16
	v_xor_b32_e32 v16, s16, v16
	v_and_b32_e32 v38, v38, v16
	v_lshlrev_b32_e32 v16, 29, v17
	v_cmp_gt_i64_e64 s[16:17], 0, v[15:16]
	v_not_b32_e32 v16, v16
	v_and_b32_e32 v37, exec_hi, v37
	v_ashrrev_i32_e32 v16, 31, v16
	v_and_b32_e32 v37, v37, v40
	v_xor_b32_e32 v40, s17, v16
	v_xor_b32_e32 v16, s16, v16
	v_and_b32_e32 v38, v38, v16
	v_lshlrev_b32_e32 v16, 28, v17
	v_cmp_gt_i64_e64 s[16:17], 0, v[15:16]
	v_not_b32_e32 v16, v16
	v_ashrrev_i32_e32 v16, 31, v16
	v_and_b32_e32 v37, v37, v40
	v_xor_b32_e32 v40, s17, v16
	v_xor_b32_e32 v16, s16, v16
	v_and_b32_e32 v38, v38, v16
	v_lshlrev_b32_e32 v16, 27, v17
	v_cmp_gt_i64_e64 s[16:17], 0, v[15:16]
	v_not_b32_e32 v16, v16
	;; [unrolled: 8-line block ×5, first 2 shown]
	v_ashrrev_i32_e32 v16, 31, v16
	v_xor_b32_e32 v17, s17, v16
	v_xor_b32_e32 v16, s16, v16
	ds_read_b32 v35, v39 offset:32
	v_and_b32_e32 v37, v37, v40
	v_and_b32_e32 v16, v38, v16
	;; [unrolled: 1-line block ×3, first 2 shown]
	v_mbcnt_lo_u32_b32 v37, v16, 0
	v_mbcnt_hi_u32_b32 v37, v17, v37
	v_cmp_ne_u64_e64 s[16:17], 0, v[16:17]
	v_cmp_eq_u32_e64 s[18:19], 0, v37
	s_and_b64 s[18:19], s[16:17], s[18:19]
	; wave barrier
	s_and_saveexec_b64 s[16:17], s[18:19]
	s_cbranch_execz .LBB1162_23
; %bb.22:
	v_bcnt_u32_b32 v16, v16, 0
	v_bcnt_u32_b32 v16, v17, v16
	s_waitcnt lgkmcnt(0)
	v_add_u32_e32 v16, v35, v16
	ds_write_b32 v39, v16 offset:32
.LBB1162_23:
	s_or_b64 exec, exec, s[16:17]
	v_lshrrev_b64 v[16:17], s40, v[11:12]
	v_and_b32_e32 v17, s45, v16
	v_mul_lo_u32 v16, v17, 36
	v_and_b32_e32 v40, 1, v17
	; wave barrier
	v_lshl_add_u32 v41, v18, 2, v16
	v_add_co_u32_e64 v16, s[16:17], -1, v40
	v_addc_co_u32_e64 v18, s[16:17], 0, -1, s[16:17]
	v_cmp_ne_u32_e64 s[16:17], 0, v40
	v_xor_b32_e32 v16, s16, v16
	v_and_b32_e32 v40, exec_lo, v16
	v_lshlrev_b32_e32 v16, 30, v17
	v_xor_b32_e32 v18, s17, v18
	v_cmp_gt_i64_e64 s[16:17], 0, v[15:16]
	v_not_b32_e32 v16, v16
	v_ashrrev_i32_e32 v16, 31, v16
	v_xor_b32_e32 v42, s17, v16
	v_xor_b32_e32 v16, s16, v16
	v_and_b32_e32 v40, v40, v16
	v_lshlrev_b32_e32 v16, 29, v17
	v_cmp_gt_i64_e64 s[16:17], 0, v[15:16]
	v_not_b32_e32 v16, v16
	v_and_b32_e32 v18, exec_hi, v18
	v_ashrrev_i32_e32 v16, 31, v16
	v_and_b32_e32 v18, v18, v42
	v_xor_b32_e32 v42, s17, v16
	v_xor_b32_e32 v16, s16, v16
	v_and_b32_e32 v40, v40, v16
	v_lshlrev_b32_e32 v16, 28, v17
	v_cmp_gt_i64_e64 s[16:17], 0, v[15:16]
	v_not_b32_e32 v16, v16
	v_ashrrev_i32_e32 v16, 31, v16
	v_and_b32_e32 v18, v18, v42
	v_xor_b32_e32 v42, s17, v16
	v_xor_b32_e32 v16, s16, v16
	v_and_b32_e32 v40, v40, v16
	v_lshlrev_b32_e32 v16, 27, v17
	v_cmp_gt_i64_e64 s[16:17], 0, v[15:16]
	v_not_b32_e32 v16, v16
	;; [unrolled: 8-line block ×5, first 2 shown]
	v_ashrrev_i32_e32 v15, 31, v15
	v_xor_b32_e32 v16, s17, v15
	v_xor_b32_e32 v15, s16, v15
	ds_read_b32 v38, v41 offset:32
	v_and_b32_e32 v18, v18, v42
	v_and_b32_e32 v15, v40, v15
	;; [unrolled: 1-line block ×3, first 2 shown]
	v_mbcnt_lo_u32_b32 v17, v15, 0
	v_mbcnt_hi_u32_b32 v40, v16, v17
	v_cmp_ne_u64_e64 s[16:17], 0, v[15:16]
	v_cmp_eq_u32_e64 s[18:19], 0, v40
	s_and_b64 s[18:19], s[16:17], s[18:19]
	; wave barrier
	s_and_saveexec_b64 s[16:17], s[18:19]
	s_cbranch_execz .LBB1162_25
; %bb.24:
	v_bcnt_u32_b32 v15, v15, 0
	v_bcnt_u32_b32 v15, v16, v15
	s_waitcnt lgkmcnt(0)
	v_add_u32_e32 v15, v38, v15
	ds_write_b32 v41, v15 offset:32
.LBB1162_25:
	s_or_b64 exec, exec, s[16:17]
	; wave barrier
	s_waitcnt lgkmcnt(0)
	s_barrier
	ds_read2_b32 v[17:18], v24 offset0:8 offset1:9
	ds_read2_b32 v[15:16], v24 offset0:10 offset1:11
	ds_read_b32 v42, v24 offset:48
	v_min_u32_e32 v20, 0x1c0, v20
	v_or_b32_e32 v20, 63, v20
	s_waitcnt lgkmcnt(1)
	v_add3_u32 v43, v18, v17, v15
	s_waitcnt lgkmcnt(0)
	v_add3_u32 v42, v43, v16, v42
	v_and_b32_e32 v43, 15, v19
	v_cmp_ne_u32_e64 s[16:17], 0, v43
	v_mov_b32_dpp v44, v42 row_shr:1 row_mask:0xf bank_mask:0xf
	v_cndmask_b32_e64 v44, 0, v44, s[16:17]
	v_add_u32_e32 v42, v44, v42
	v_cmp_lt_u32_e64 s[16:17], 1, v43
	s_nop 0
	v_mov_b32_dpp v44, v42 row_shr:2 row_mask:0xf bank_mask:0xf
	v_cndmask_b32_e64 v44, 0, v44, s[16:17]
	v_add_u32_e32 v42, v42, v44
	v_cmp_lt_u32_e64 s[16:17], 3, v43
	s_nop 0
	;; [unrolled: 5-line block ×3, first 2 shown]
	v_mov_b32_dpp v44, v42 row_shr:8 row_mask:0xf bank_mask:0xf
	v_cndmask_b32_e64 v43, 0, v44, s[16:17]
	v_add_u32_e32 v42, v42, v43
	v_bfe_i32 v44, v19, 4, 1
	v_cmp_lt_u32_e64 s[16:17], 31, v19
	v_mov_b32_dpp v43, v42 row_bcast:15 row_mask:0xf bank_mask:0xf
	v_and_b32_e32 v43, v44, v43
	v_add_u32_e32 v42, v42, v43
	s_nop 1
	v_mov_b32_dpp v43, v42 row_bcast:31 row_mask:0xf bank_mask:0xf
	v_cndmask_b32_e64 v43, 0, v43, s[16:17]
	v_add_u32_e32 v42, v42, v43
	v_lshrrev_b32_e32 v43, 6, v0
	v_cmp_eq_u32_e64 s[16:17], v0, v20
	s_and_saveexec_b64 s[18:19], s[16:17]
; %bb.26:
	v_lshlrev_b32_e32 v20, 2, v43
	ds_write_b32 v20, v42
; %bb.27:
	s_or_b64 exec, exec, s[18:19]
	v_cmp_gt_u32_e64 s[16:17], 8, v0
	s_waitcnt lgkmcnt(0)
	s_barrier
	s_and_saveexec_b64 s[18:19], s[16:17]
	s_cbranch_execz .LBB1162_29
; %bb.28:
	v_lshlrev_b32_e32 v20, 2, v0
	ds_read_b32 v44, v20
	v_and_b32_e32 v45, 7, v19
	v_cmp_ne_u32_e64 s[16:17], 0, v45
	s_waitcnt lgkmcnt(0)
	v_mov_b32_dpp v46, v44 row_shr:1 row_mask:0xf bank_mask:0xf
	v_cndmask_b32_e64 v46, 0, v46, s[16:17]
	v_add_u32_e32 v44, v46, v44
	v_cmp_lt_u32_e64 s[16:17], 1, v45
	s_nop 0
	v_mov_b32_dpp v46, v44 row_shr:2 row_mask:0xf bank_mask:0xf
	v_cndmask_b32_e64 v46, 0, v46, s[16:17]
	v_add_u32_e32 v44, v44, v46
	v_cmp_lt_u32_e64 s[16:17], 3, v45
	s_nop 0
	v_mov_b32_dpp v46, v44 row_shr:4 row_mask:0xf bank_mask:0xf
	v_cndmask_b32_e64 v45, 0, v46, s[16:17]
	v_add_u32_e32 v44, v44, v45
	ds_write_b32 v20, v44
.LBB1162_29:
	s_or_b64 exec, exec, s[18:19]
	v_cmp_lt_u32_e64 s[16:17], 63, v0
	v_mov_b32_e32 v20, 0
	s_waitcnt lgkmcnt(0)
	s_barrier
	s_and_saveexec_b64 s[18:19], s[16:17]
; %bb.30:
	v_lshl_add_u32 v20, v43, 2, -4
	ds_read_b32 v20, v20
; %bb.31:
	s_or_b64 exec, exec, s[18:19]
	v_subrev_co_u32_e64 v43, s[16:17], 1, v19
	v_and_b32_e32 v44, 64, v19
	v_cmp_lt_i32_e64 s[18:19], v43, v44
	v_cndmask_b32_e64 v19, v43, v19, s[18:19]
	s_waitcnt lgkmcnt(0)
	v_add_u32_e32 v42, v20, v42
	v_lshlrev_b32_e32 v19, 2, v19
	ds_bpermute_b32 v19, v19, v42
	s_movk_i32 s22, 0x100
	v_cmp_gt_u32_e64 s[18:19], s22, v0
	s_waitcnt lgkmcnt(0)
	v_cndmask_b32_e64 v19, v19, v20, s[16:17]
	v_cmp_ne_u32_e64 s[16:17], 0, v0
	v_cndmask_b32_e64 v19, 0, v19, s[16:17]
	v_add_u32_e32 v17, v19, v17
	v_add_u32_e32 v18, v17, v18
	;; [unrolled: 1-line block ×4, first 2 shown]
	ds_write2_b32 v24, v19, v17 offset0:8 offset1:9
	ds_write2_b32 v24, v18, v15 offset0:10 offset1:11
	ds_write_b32 v24, v16 offset:48
	s_waitcnt lgkmcnt(0)
	s_barrier
	ds_read_b32 v43, v29 offset:32
	ds_read_b32 v42, v30 offset:32
	;; [unrolled: 1-line block ×6, first 2 shown]
	s_movk_i32 s16, 0xff
	v_cmp_lt_u32_e64 s[16:17], s16, v0
                                        ; implicit-def: $vgpr24
                                        ; implicit-def: $vgpr29
	s_and_saveexec_b64 s[46:47], s[18:19]
	s_cbranch_execz .LBB1162_35
; %bb.32:
	v_mul_u32_u24_e32 v15, 36, v0
	ds_read_b32 v24, v15 offset:32
	v_add_u32_e32 v16, 1, v0
	v_cmp_ne_u32_e64 s[22:23], s22, v16
	v_mov_b32_e32 v15, 0xc00
	s_and_saveexec_b64 s[48:49], s[22:23]
; %bb.33:
	v_mul_u32_u24_e32 v15, 36, v16
	ds_read_b32 v15, v15 offset:32
; %bb.34:
	s_or_b64 exec, exec, s[48:49]
	s_waitcnt lgkmcnt(0)
	v_sub_u32_e32 v29, v15, v24
.LBB1162_35:
	s_or_b64 exec, exec, s[46:47]
	v_mov_b32_e32 v16, 0
	v_lshlrev_b32_e32 v30, 2, v0
	s_waitcnt lgkmcnt(0)
	s_barrier
	s_and_saveexec_b64 s[22:23], s[18:19]
	s_cbranch_execz .LBB1162_45
; %bb.36:
	v_lshl_add_u32 v15, s6, 8, v0
	v_lshlrev_b64 v[17:18], 2, v[15:16]
	v_mov_b32_e32 v44, s35
	v_add_co_u32_e64 v17, s[18:19], s34, v17
	v_addc_co_u32_e64 v18, s[18:19], v44, v18, s[18:19]
	v_or_b32_e32 v15, 2.0, v29
	s_mov_b64 s[46:47], 0
	s_brev_b32 s52, -4
	s_mov_b32 s53, s6
	v_mov_b32_e32 v45, 0
	global_store_dword v[17:18], v15, off
                                        ; implicit-def: $sgpr18_sgpr19
	s_branch .LBB1162_39
.LBB1162_37:                            ;   in Loop: Header=BB1162_39 Depth=1
	s_or_b64 exec, exec, s[50:51]
.LBB1162_38:                            ;   in Loop: Header=BB1162_39 Depth=1
	s_or_b64 exec, exec, s[48:49]
	v_and_b32_e32 v19, 0x3fffffff, v15
	v_add_u32_e32 v45, v19, v45
	v_cmp_gt_i32_e64 s[18:19], -2.0, v15
	s_and_b64 s[48:49], exec, s[18:19]
	s_or_b64 s[46:47], s[48:49], s[46:47]
	s_andn2_b64 exec, exec, s[46:47]
	s_cbranch_execz .LBB1162_44
.LBB1162_39:                            ; =>This Loop Header: Depth=1
                                        ;     Child Loop BB1162_42 Depth 2
	s_or_b64 s[18:19], s[18:19], exec
	s_cmp_eq_u32 s53, 0
	s_cbranch_scc1 .LBB1162_43
; %bb.40:                               ;   in Loop: Header=BB1162_39 Depth=1
	s_add_i32 s53, s53, -1
	v_lshl_or_b32 v15, s53, 8, v0
	v_lshlrev_b64 v[19:20], 2, v[15:16]
	v_add_co_u32_e64 v19, s[18:19], s34, v19
	v_addc_co_u32_e64 v20, s[18:19], v44, v20, s[18:19]
	global_load_dword v15, v[19:20], off glc
	s_waitcnt vmcnt(0)
	v_cmp_gt_u32_e64 s[18:19], 2.0, v15
	s_and_saveexec_b64 s[48:49], s[18:19]
	s_cbranch_execz .LBB1162_38
; %bb.41:                               ;   in Loop: Header=BB1162_39 Depth=1
	s_mov_b64 s[50:51], 0
.LBB1162_42:                            ;   Parent Loop BB1162_39 Depth=1
                                        ; =>  This Inner Loop Header: Depth=2
	global_load_dword v15, v[19:20], off glc
	s_waitcnt vmcnt(0)
	v_cmp_lt_u32_e64 s[18:19], s52, v15
	s_or_b64 s[50:51], s[18:19], s[50:51]
	s_andn2_b64 exec, exec, s[50:51]
	s_cbranch_execnz .LBB1162_42
	s_branch .LBB1162_37
.LBB1162_43:                            ;   in Loop: Header=BB1162_39 Depth=1
                                        ; implicit-def: $sgpr53
	s_and_b64 s[48:49], exec, s[18:19]
	s_or_b64 s[46:47], s[48:49], s[46:47]
	s_andn2_b64 exec, exec, s[46:47]
	s_cbranch_execnz .LBB1162_39
.LBB1162_44:
	s_or_b64 exec, exec, s[46:47]
	v_add_u32_e32 v15, v45, v29
	v_or_b32_e32 v15, 0x80000000, v15
	global_store_dword v[17:18], v15, off
	global_load_dword v15, v30, s[36:37]
	v_sub_u32_e32 v16, v45, v24
	s_waitcnt vmcnt(0)
	v_add_u32_e32 v15, v16, v15
	ds_write_b32 v30, v15
.LBB1162_45:
	s_or_b64 exec, exec, s[22:23]
	v_add_u32_e32 v17, v43, v25
	v_add3_u32 v18, v40, v41, v38
	v_add3_u32 v19, v37, v39, v35
	;; [unrolled: 1-line block ×5, first 2 shown]
	s_mov_b32 s46, 0
	s_mov_b32 s47, 0
	v_add_u32_e32 v27, v30, v30
	v_mov_b32_e32 v16, 0
	s_movk_i32 s48, 0x200
	v_mov_b32_e32 v28, v0
	s_branch .LBB1162_47
.LBB1162_46:                            ;   in Loop: Header=BB1162_47 Depth=1
	s_or_b64 exec, exec, s[22:23]
	s_addk_i32 s47, 0xfc00
	s_add_i32 s46, s46, 8
	s_cmpk_eq_i32 s47, 0xf400
	v_add_u32_e32 v28, 0x400, v28
	s_waitcnt vmcnt(0)
	s_barrier
	s_cbranch_scc1 .LBB1162_51
.LBB1162_47:                            ; =>This Inner Loop Header: Depth=1
	v_add_u32_e32 v15, s47, v17
	v_min_u32_e32 v15, 0x400, v15
	v_lshlrev_b32_e32 v15, 3, v15
	ds_write_b64 v15, v[5:6] offset:1024
	v_add_u32_e32 v15, s47, v26
	v_min_u32_e32 v15, 0x400, v15
	v_lshlrev_b32_e32 v15, 3, v15
	ds_write_b64 v15, v[3:4] offset:1024
	;; [unrolled: 4-line block ×5, first 2 shown]
	v_add_u32_e32 v15, s47, v18
	v_min_u32_e32 v15, 0x400, v15
	v_lshlrev_b32_e32 v15, 3, v15
	v_cmp_gt_u32_e64 s[18:19], s7, v28
	ds_write_b64 v15, v[11:12] offset:1024
	s_waitcnt lgkmcnt(0)
	s_barrier
	s_and_saveexec_b64 s[22:23], s[18:19]
	s_cbranch_execz .LBB1162_49
; %bb.48:                               ;   in Loop: Header=BB1162_47 Depth=1
	ds_read_b64 v[31:32], v27 offset:1024
	v_mov_b32_e32 v36, s27
	v_mov_b32_e32 v37, s46
	s_waitcnt lgkmcnt(0)
	v_lshrrev_b64 v[33:34], s40, v[31:32]
	v_xor_b32_e32 v32, 0x80000000, v32
	v_and_b32_e32 v35, s45, v33
	v_lshlrev_b32_e32 v15, 2, v35
	ds_read_b32 v15, v15
	buffer_store_dword v35, v37, s[0:3], 0 offen
	s_waitcnt lgkmcnt(0)
	v_add_u32_e32 v15, v28, v15
	v_lshlrev_b64 v[33:34], 3, v[15:16]
	v_add_co_u32_e64 v33, s[18:19], s26, v33
	v_addc_co_u32_e64 v34, s[18:19], v36, v34, s[18:19]
	global_store_dwordx2 v[33:34], v[31:32], off
.LBB1162_49:                            ;   in Loop: Header=BB1162_47 Depth=1
	s_or_b64 exec, exec, s[22:23]
	v_add_u32_e32 v15, 0x200, v28
	v_cmp_gt_u32_e64 s[18:19], s7, v15
	s_and_saveexec_b64 s[22:23], s[18:19]
	s_cbranch_execz .LBB1162_46
; %bb.50:                               ;   in Loop: Header=BB1162_47 Depth=1
	ds_read_b64 v[31:32], v27 offset:5120
	v_mov_b32_e32 v36, s27
	v_mov_b32_e32 v37, s46
	s_waitcnt lgkmcnt(0)
	v_lshrrev_b64 v[33:34], s40, v[31:32]
	v_xor_b32_e32 v32, 0x80000000, v32
	v_and_b32_e32 v35, s45, v33
	v_lshlrev_b32_e32 v15, 2, v35
	ds_read_b32 v15, v15
	buffer_store_dword v35, v37, s[0:3], 0 offen offset:4
	s_waitcnt lgkmcnt(0)
	v_add3_u32 v15, v28, v15, s48
	v_lshlrev_b64 v[33:34], 3, v[15:16]
	v_add_co_u32_e64 v33, s[18:19], s26, v33
	v_addc_co_u32_e64 v34, s[18:19], v36, v34, s[18:19]
	global_store_dwordx2 v[33:34], v[31:32], off
	s_branch .LBB1162_46
.LBB1162_51:
	s_add_u32 s18, s28, s42
	s_addc_u32 s19, s29, s43
	v_mov_b32_e32 v3, s19
	v_add_co_u32_e64 v4, s[18:19], s18, v22
	v_addc_co_u32_e64 v3, s[18:19], 0, v3, s[18:19]
	v_add_co_u32_e64 v15, s[18:19], v4, v23
	v_addc_co_u32_e64 v16, s[18:19], 0, v3, s[18:19]
                                        ; implicit-def: $vgpr3_vgpr4
	s_and_saveexec_b64 s[18:19], vcc
	s_cbranch_execz .LBB1162_57
; %bb.52:
	global_load_dwordx2 v[3:4], v[15:16], off
	s_or_b64 exec, exec, s[18:19]
                                        ; implicit-def: $vgpr5_vgpr6
	s_and_saveexec_b64 s[18:19], s[20:21]
	s_cbranch_execnz .LBB1162_58
.LBB1162_53:
	s_or_b64 exec, exec, s[18:19]
                                        ; implicit-def: $vgpr7_vgpr8
	s_and_saveexec_b64 s[18:19], s[8:9]
	s_cbranch_execz .LBB1162_59
.LBB1162_54:
	global_load_dwordx2 v[7:8], v[15:16], off offset:1024
	s_or_b64 exec, exec, s[18:19]
                                        ; implicit-def: $vgpr9_vgpr10
	s_and_saveexec_b64 s[8:9], s[10:11]
	s_cbranch_execnz .LBB1162_60
.LBB1162_55:
	s_or_b64 exec, exec, s[8:9]
                                        ; implicit-def: $vgpr11_vgpr12
	s_and_saveexec_b64 s[8:9], s[12:13]
	s_cbranch_execz .LBB1162_61
.LBB1162_56:
	global_load_dwordx2 v[11:12], v[15:16], off offset:2048
	s_or_b64 exec, exec, s[8:9]
                                        ; implicit-def: $vgpr13_vgpr14
	s_and_saveexec_b64 s[8:9], s[14:15]
	s_cbranch_execnz .LBB1162_62
	s_branch .LBB1162_63
.LBB1162_57:
	s_or_b64 exec, exec, s[18:19]
                                        ; implicit-def: $vgpr5_vgpr6
	s_and_saveexec_b64 s[18:19], s[20:21]
	s_cbranch_execz .LBB1162_53
.LBB1162_58:
	global_load_dwordx2 v[5:6], v[15:16], off offset:512
	s_or_b64 exec, exec, s[18:19]
                                        ; implicit-def: $vgpr7_vgpr8
	s_and_saveexec_b64 s[18:19], s[8:9]
	s_cbranch_execnz .LBB1162_54
.LBB1162_59:
	s_or_b64 exec, exec, s[18:19]
                                        ; implicit-def: $vgpr9_vgpr10
	s_and_saveexec_b64 s[8:9], s[10:11]
	s_cbranch_execz .LBB1162_55
.LBB1162_60:
	global_load_dwordx2 v[9:10], v[15:16], off offset:1536
	s_or_b64 exec, exec, s[8:9]
                                        ; implicit-def: $vgpr11_vgpr12
	s_and_saveexec_b64 s[8:9], s[12:13]
	s_cbranch_execnz .LBB1162_56
.LBB1162_61:
	s_or_b64 exec, exec, s[8:9]
                                        ; implicit-def: $vgpr13_vgpr14
	s_and_saveexec_b64 s[8:9], s[14:15]
	s_cbranch_execz .LBB1162_63
.LBB1162_62:
	global_load_dwordx2 v[13:14], v[15:16], off offset:2560
.LBB1162_63:
	s_or_b64 exec, exec, s[8:9]
	s_mov_b32 s10, 0
	s_mov_b32 s11, 0
	v_mov_b32_e32 v16, 0
	s_movk_i32 s12, 0x200
	v_mov_b32_e32 v22, v0
	s_branch .LBB1162_65
.LBB1162_64:                            ;   in Loop: Header=BB1162_65 Depth=1
	s_or_b64 exec, exec, s[8:9]
	s_addk_i32 s11, 0xfc00
	s_add_i32 s10, s10, 8
	s_cmpk_eq_i32 s11, 0xf400
	v_add_u32_e32 v22, 0x400, v22
	s_waitcnt vmcnt(0)
	s_barrier
	s_cbranch_scc1 .LBB1162_69
.LBB1162_65:                            ; =>This Inner Loop Header: Depth=1
	v_add_u32_e32 v15, s11, v17
	v_min_u32_e32 v15, 0x400, v15
	v_lshlrev_b32_e32 v15, 3, v15
	s_waitcnt vmcnt(0)
	ds_write_b64 v15, v[3:4] offset:1024
	v_add_u32_e32 v15, s11, v26
	v_min_u32_e32 v15, 0x400, v15
	v_lshlrev_b32_e32 v15, 3, v15
	ds_write_b64 v15, v[5:6] offset:1024
	v_add_u32_e32 v15, s11, v25
	v_min_u32_e32 v15, 0x400, v15
	v_lshlrev_b32_e32 v15, 3, v15
	;; [unrolled: 4-line block ×5, first 2 shown]
	v_cmp_gt_u32_e32 vcc, s7, v22
	ds_write_b64 v15, v[13:14] offset:1024
	s_waitcnt lgkmcnt(0)
	s_barrier
	s_and_saveexec_b64 s[8:9], vcc
	s_cbranch_execz .LBB1162_67
; %bb.66:                               ;   in Loop: Header=BB1162_65 Depth=1
	v_mov_b32_e32 v15, s10
	buffer_load_dword v15, v15, s[0:3], 0 offen
	v_mov_b32_e32 v23, s31
	s_waitcnt vmcnt(0)
	v_lshlrev_b32_e32 v15, 2, v15
	ds_read_b32 v15, v15
	ds_read_b64 v[31:32], v27 offset:1024
	s_waitcnt lgkmcnt(1)
	v_add_u32_e32 v15, v22, v15
	v_lshlrev_b64 v[33:34], 3, v[15:16]
	v_add_co_u32_e32 v33, vcc, s30, v33
	v_addc_co_u32_e32 v34, vcc, v23, v34, vcc
	s_waitcnt lgkmcnt(0)
	global_store_dwordx2 v[33:34], v[31:32], off
.LBB1162_67:                            ;   in Loop: Header=BB1162_65 Depth=1
	s_or_b64 exec, exec, s[8:9]
	v_add_u32_e32 v15, 0x200, v22
	v_cmp_gt_u32_e32 vcc, s7, v15
	s_and_saveexec_b64 s[8:9], vcc
	s_cbranch_execz .LBB1162_64
; %bb.68:                               ;   in Loop: Header=BB1162_65 Depth=1
	v_mov_b32_e32 v15, s10
	buffer_load_dword v15, v15, s[0:3], 0 offen offset:4
	v_mov_b32_e32 v23, s31
	s_waitcnt vmcnt(0)
	v_lshlrev_b32_e32 v15, 2, v15
	ds_read_b32 v15, v15
	ds_read_b64 v[31:32], v27 offset:5120
	s_waitcnt lgkmcnt(1)
	v_add3_u32 v15, v22, v15, s12
	v_lshlrev_b64 v[33:34], 3, v[15:16]
	v_add_co_u32_e32 v33, vcc, s30, v33
	v_addc_co_u32_e32 v34, vcc, v23, v34, vcc
	s_waitcnt lgkmcnt(0)
	global_store_dwordx2 v[33:34], v[31:32], off
	s_branch .LBB1162_64
.LBB1162_69:
	s_add_i32 s33, s33, -1
	s_cmp_eq_u32 s6, s33
	s_cselect_b64 s[8:9], -1, 0
	s_xor_b64 s[10:11], s[16:17], -1
	s_and_b64 s[10:11], s[10:11], s[8:9]
	s_and_saveexec_b64 s[8:9], s[10:11]
	s_cbranch_execz .LBB1162_71
; %bb.70:
	ds_read_b32 v3, v30
	s_waitcnt lgkmcnt(0)
	v_add3_u32 v3, v24, v29, v3
	global_store_dword v30, v3, s[38:39]
.LBB1162_71:
	s_or_b64 exec, exec, s[8:9]
	s_mov_b64 s[8:9], 0
.LBB1162_72:
	s_and_b64 vcc, exec, s[8:9]
	s_cbranch_vccz .LBB1162_111
; %bb.73:
	s_mov_b32 s45, 0
	s_lshl_b64 s[10:11], s[44:45], 3
	v_mbcnt_hi_u32_b32 v17, -1, v21
	s_add_u32 s7, s24, s10
	v_and_b32_e32 v3, 63, v17
	s_addc_u32 s8, s25, s11
	v_and_b32_e32 v18, 0x1c0, v0
	v_lshlrev_b32_e32 v19, 3, v3
	v_mul_u32_u24_e32 v4, 6, v18
	v_mov_b32_e32 v3, s8
	v_add_co_u32_e32 v5, vcc, s7, v19
	v_addc_co_u32_e32 v3, vcc, 0, v3, vcc
	v_lshlrev_b32_e32 v20, 3, v4
	v_add_co_u32_e32 v21, vcc, v5, v20
	v_addc_co_u32_e32 v22, vcc, 0, v3, vcc
	global_load_dwordx2 v[3:4], v[21:22], off
	s_load_dword s8, s[4:5], 0x64
	s_load_dword s7, s[4:5], 0x58
	s_add_u32 s4, s4, 0x58
	s_addc_u32 s5, s5, 0
	v_mov_b32_e32 v15, 0
	s_waitcnt lgkmcnt(0)
	s_lshr_b32 s12, s8, 16
	s_cmp_lt_u32 s6, s7
	s_cselect_b32 s8, 12, 18
	s_add_u32 s4, s4, s8
	s_addc_u32 s5, s5, 0
	global_load_ushort v23, v15, s[4:5]
	global_load_dwordx2 v[5:6], v[21:22], off offset:512
	global_load_dwordx2 v[7:8], v[21:22], off offset:1024
	;; [unrolled: 1-line block ×5, first 2 shown]
	s_lshl_b32 s4, -1, s41
	s_not_b32 s18, s4
	v_mad_u32_u24 v1, v2, s12, v1
	s_waitcnt vmcnt(6)
	v_xor_b32_e32 v4, 0x80000000, v4
	v_lshrrev_b64 v[21:22], s40, v[3:4]
	v_and_b32_e32 v24, s18, v21
	v_and_b32_e32 v21, 1, v24
	v_lshlrev_b32_e32 v16, 30, v24
	v_cmp_ne_u32_e32 vcc, 0, v21
	v_add_co_u32_e64 v21, s[8:9], -1, v21
	v_cmp_gt_i64_e64 s[4:5], 0, v[15:16]
	v_addc_co_u32_e64 v22, s[8:9], 0, -1, s[8:9]
	v_not_b32_e32 v25, v16
	v_lshlrev_b32_e32 v16, 29, v24
	v_xor_b32_e32 v22, vcc_hi, v22
	v_ashrrev_i32_e32 v25, 31, v25
	v_xor_b32_e32 v21, vcc_lo, v21
	v_cmp_gt_i64_e32 vcc, 0, v[15:16]
	v_not_b32_e32 v26, v16
	v_lshlrev_b32_e32 v16, 28, v24
	v_and_b32_e32 v22, exec_hi, v22
	v_xor_b32_e32 v27, s5, v25
	v_and_b32_e32 v21, exec_lo, v21
	v_xor_b32_e32 v25, s4, v25
	v_ashrrev_i32_e32 v26, 31, v26
	v_cmp_gt_i64_e64 s[4:5], 0, v[15:16]
	v_not_b32_e32 v28, v16
	v_lshlrev_b32_e32 v16, 27, v24
	v_and_b32_e32 v22, v22, v27
	v_and_b32_e32 v21, v21, v25
	v_xor_b32_e32 v25, vcc_hi, v26
	v_xor_b32_e32 v26, vcc_lo, v26
	v_ashrrev_i32_e32 v27, 31, v28
	v_cmp_gt_i64_e32 vcc, 0, v[15:16]
	v_not_b32_e32 v28, v16
	v_lshlrev_b32_e32 v16, 26, v24
	v_and_b32_e32 v22, v22, v25
	v_and_b32_e32 v21, v21, v26
	v_xor_b32_e32 v25, s5, v27
	v_xor_b32_e32 v26, s4, v27
	v_ashrrev_i32_e32 v27, 31, v28
	v_cmp_gt_i64_e64 s[4:5], 0, v[15:16]
	v_not_b32_e32 v28, v16
	v_lshlrev_b32_e32 v16, 25, v24
	v_and_b32_e32 v22, v22, v25
	v_and_b32_e32 v21, v21, v26
	v_xor_b32_e32 v25, vcc_hi, v27
	v_xor_b32_e32 v26, vcc_lo, v27
	v_ashrrev_i32_e32 v27, 31, v28
	v_cmp_gt_i64_e32 vcc, 0, v[15:16]
	v_not_b32_e32 v28, v16
	v_lshlrev_b32_e32 v16, 24, v24
	v_and_b32_e32 v22, v22, v25
	v_and_b32_e32 v21, v21, v26
	v_xor_b32_e32 v25, s5, v27
	v_xor_b32_e32 v26, s4, v27
	v_ashrrev_i32_e32 v27, 31, v28
	v_cmp_gt_i64_e64 s[4:5], 0, v[15:16]
	v_and_b32_e32 v22, v22, v25
	v_and_b32_e32 v21, v21, v26
	v_xor_b32_e32 v25, vcc_hi, v27
	v_xor_b32_e32 v26, vcc_lo, v27
	v_not_b32_e32 v16, v16
	v_and_b32_e32 v25, v22, v25
	v_and_b32_e32 v26, v21, v26
	v_ashrrev_i32_e32 v16, 31, v16
	s_waitcnt vmcnt(5)
	v_mad_u64_u32 v[21:22], s[8:9], v1, v23, v[0:1]
	v_xor_b32_e32 v27, s5, v16
	v_xor_b32_e32 v1, s4, v16
	v_mul_lo_u32 v16, v24, 36
	v_and_b32_e32 v1, v26, v1
	v_lshrrev_b32_e32 v32, 6, v21
	v_and_b32_e32 v2, v25, v27
	v_lshl_add_u32 v26, v32, 2, v16
	v_mbcnt_lo_u32_b32 v16, v1, 0
	v_mbcnt_hi_u32_b32 v21, v2, v16
	v_cmp_ne_u64_e32 vcc, 0, v[1:2]
	v_cmp_eq_u32_e64 s[4:5], 0, v21
	v_mul_u32_u24_e32 v25, 20, v0
	s_and_b64 s[8:9], vcc, s[4:5]
	ds_write2_b32 v25, v15, v15 offset0:8 offset1:9
	ds_write2_b32 v25, v15, v15 offset0:10 offset1:11
	ds_write_b32 v25, v15 offset:48
	s_waitcnt vmcnt(0) lgkmcnt(0)
	s_barrier
	; wave barrier
	s_and_saveexec_b64 s[4:5], s[8:9]
; %bb.74:
	v_bcnt_u32_b32 v1, v1, 0
	v_bcnt_u32_b32 v1, v2, v1
	ds_write_b32 v26, v1 offset:32
; %bb.75:
	s_or_b64 exec, exec, s[4:5]
	v_xor_b32_e32 v6, 0x80000000, v6
	v_lshrrev_b64 v[1:2], s40, v[5:6]
	v_and_b32_e32 v1, s18, v1
	v_mul_lo_u32 v2, v1, 36
	v_and_b32_e32 v16, 1, v1
	; wave barrier
	v_lshl_add_u32 v27, v32, 2, v2
	v_add_co_u32_e32 v2, vcc, -1, v16
	v_addc_co_u32_e64 v23, s[4:5], 0, -1, vcc
	v_cmp_ne_u32_e32 vcc, 0, v16
	v_xor_b32_e32 v16, vcc_hi, v23
	v_and_b32_e32 v23, exec_hi, v16
	v_lshlrev_b32_e32 v16, 30, v1
	v_xor_b32_e32 v2, vcc_lo, v2
	v_cmp_gt_i64_e32 vcc, 0, v[15:16]
	v_not_b32_e32 v16, v16
	v_ashrrev_i32_e32 v16, 31, v16
	v_and_b32_e32 v2, exec_lo, v2
	v_xor_b32_e32 v24, vcc_hi, v16
	v_xor_b32_e32 v16, vcc_lo, v16
	v_and_b32_e32 v2, v2, v16
	v_lshlrev_b32_e32 v16, 29, v1
	v_cmp_gt_i64_e32 vcc, 0, v[15:16]
	v_not_b32_e32 v16, v16
	v_ashrrev_i32_e32 v16, 31, v16
	v_and_b32_e32 v23, v23, v24
	v_xor_b32_e32 v24, vcc_hi, v16
	v_xor_b32_e32 v16, vcc_lo, v16
	v_and_b32_e32 v2, v2, v16
	v_lshlrev_b32_e32 v16, 28, v1
	v_cmp_gt_i64_e32 vcc, 0, v[15:16]
	v_not_b32_e32 v16, v16
	v_ashrrev_i32_e32 v16, 31, v16
	v_and_b32_e32 v23, v23, v24
	;; [unrolled: 8-line block ×5, first 2 shown]
	v_xor_b32_e32 v24, vcc_hi, v16
	v_xor_b32_e32 v16, vcc_lo, v16
	v_and_b32_e32 v23, v23, v24
	v_and_b32_e32 v24, v2, v16
	v_lshlrev_b32_e32 v16, 24, v1
	v_cmp_gt_i64_e32 vcc, 0, v[15:16]
	v_not_b32_e32 v1, v16
	v_ashrrev_i32_e32 v1, 31, v1
	v_xor_b32_e32 v2, vcc_hi, v1
	v_xor_b32_e32 v1, vcc_lo, v1
	ds_read_b32 v22, v27 offset:32
	v_and_b32_e32 v1, v24, v1
	v_and_b32_e32 v2, v23, v2
	v_mbcnt_lo_u32_b32 v15, v1, 0
	v_mbcnt_hi_u32_b32 v23, v2, v15
	v_cmp_ne_u64_e32 vcc, 0, v[1:2]
	v_cmp_eq_u32_e64 s[4:5], 0, v23
	s_and_b64 s[8:9], vcc, s[4:5]
	; wave barrier
	s_and_saveexec_b64 s[4:5], s[8:9]
	s_cbranch_execz .LBB1162_77
; %bb.76:
	v_bcnt_u32_b32 v1, v1, 0
	v_bcnt_u32_b32 v1, v2, v1
	s_waitcnt lgkmcnt(0)
	v_add_u32_e32 v1, v22, v1
	ds_write_b32 v27, v1 offset:32
.LBB1162_77:
	s_or_b64 exec, exec, s[4:5]
	v_xor_b32_e32 v8, 0x80000000, v8
	v_lshrrev_b64 v[1:2], s40, v[7:8]
	v_and_b32_e32 v15, s18, v1
	v_mul_lo_u32 v2, v15, 36
	v_and_b32_e32 v16, 1, v15
	v_mov_b32_e32 v1, 0
	; wave barrier
	v_lshl_add_u32 v30, v32, 2, v2
	v_add_co_u32_e32 v2, vcc, -1, v16
	v_addc_co_u32_e64 v28, s[4:5], 0, -1, vcc
	v_cmp_ne_u32_e32 vcc, 0, v16
	v_xor_b32_e32 v2, vcc_lo, v2
	v_xor_b32_e32 v16, vcc_hi, v28
	v_and_b32_e32 v28, exec_lo, v2
	v_lshlrev_b32_e32 v2, 30, v15
	v_cmp_gt_i64_e32 vcc, 0, v[1:2]
	v_not_b32_e32 v2, v2
	v_ashrrev_i32_e32 v2, 31, v2
	v_xor_b32_e32 v29, vcc_hi, v2
	v_xor_b32_e32 v2, vcc_lo, v2
	v_and_b32_e32 v28, v28, v2
	v_lshlrev_b32_e32 v2, 29, v15
	v_cmp_gt_i64_e32 vcc, 0, v[1:2]
	v_not_b32_e32 v2, v2
	v_and_b32_e32 v16, exec_hi, v16
	v_ashrrev_i32_e32 v2, 31, v2
	v_and_b32_e32 v16, v16, v29
	v_xor_b32_e32 v29, vcc_hi, v2
	v_xor_b32_e32 v2, vcc_lo, v2
	v_and_b32_e32 v28, v28, v2
	v_lshlrev_b32_e32 v2, 28, v15
	v_cmp_gt_i64_e32 vcc, 0, v[1:2]
	v_not_b32_e32 v2, v2
	v_ashrrev_i32_e32 v2, 31, v2
	v_and_b32_e32 v16, v16, v29
	v_xor_b32_e32 v29, vcc_hi, v2
	v_xor_b32_e32 v2, vcc_lo, v2
	v_and_b32_e32 v28, v28, v2
	v_lshlrev_b32_e32 v2, 27, v15
	v_cmp_gt_i64_e32 vcc, 0, v[1:2]
	v_not_b32_e32 v2, v2
	;; [unrolled: 8-line block ×5, first 2 shown]
	v_ashrrev_i32_e32 v2, 31, v2
	v_and_b32_e32 v16, v16, v29
	v_xor_b32_e32 v15, vcc_hi, v2
	v_xor_b32_e32 v2, vcc_lo, v2
	ds_read_b32 v24, v30 offset:32
	v_and_b32_e32 v16, v16, v15
	v_and_b32_e32 v15, v28, v2
	v_mbcnt_lo_u32_b32 v2, v15, 0
	v_mbcnt_hi_u32_b32 v28, v16, v2
	v_cmp_ne_u64_e32 vcc, 0, v[15:16]
	v_cmp_eq_u32_e64 s[4:5], 0, v28
	s_and_b64 s[8:9], vcc, s[4:5]
	; wave barrier
	s_and_saveexec_b64 s[4:5], s[8:9]
	s_cbranch_execz .LBB1162_79
; %bb.78:
	v_bcnt_u32_b32 v2, v15, 0
	v_bcnt_u32_b32 v2, v16, v2
	s_waitcnt lgkmcnt(0)
	v_add_u32_e32 v2, v24, v2
	ds_write_b32 v30, v2 offset:32
.LBB1162_79:
	s_or_b64 exec, exec, s[4:5]
	v_xor_b32_e32 v10, 0x80000000, v10
	v_lshrrev_b64 v[15:16], s40, v[9:10]
	v_and_b32_e32 v15, s18, v15
	v_mul_lo_u32 v2, v15, 36
	v_and_b32_e32 v16, 1, v15
	; wave barrier
	v_lshl_add_u32 v34, v32, 2, v2
	v_add_co_u32_e32 v2, vcc, -1, v16
	v_addc_co_u32_e64 v31, s[4:5], 0, -1, vcc
	v_cmp_ne_u32_e32 vcc, 0, v16
	v_xor_b32_e32 v2, vcc_lo, v2
	v_xor_b32_e32 v16, vcc_hi, v31
	v_and_b32_e32 v31, exec_lo, v2
	v_lshlrev_b32_e32 v2, 30, v15
	v_cmp_gt_i64_e32 vcc, 0, v[1:2]
	v_not_b32_e32 v2, v2
	v_ashrrev_i32_e32 v2, 31, v2
	v_xor_b32_e32 v33, vcc_hi, v2
	v_xor_b32_e32 v2, vcc_lo, v2
	v_and_b32_e32 v31, v31, v2
	v_lshlrev_b32_e32 v2, 29, v15
	v_cmp_gt_i64_e32 vcc, 0, v[1:2]
	v_not_b32_e32 v2, v2
	v_and_b32_e32 v16, exec_hi, v16
	v_ashrrev_i32_e32 v2, 31, v2
	v_and_b32_e32 v16, v16, v33
	v_xor_b32_e32 v33, vcc_hi, v2
	v_xor_b32_e32 v2, vcc_lo, v2
	v_and_b32_e32 v31, v31, v2
	v_lshlrev_b32_e32 v2, 28, v15
	v_cmp_gt_i64_e32 vcc, 0, v[1:2]
	v_not_b32_e32 v2, v2
	v_ashrrev_i32_e32 v2, 31, v2
	v_and_b32_e32 v16, v16, v33
	v_xor_b32_e32 v33, vcc_hi, v2
	v_xor_b32_e32 v2, vcc_lo, v2
	v_and_b32_e32 v31, v31, v2
	v_lshlrev_b32_e32 v2, 27, v15
	v_cmp_gt_i64_e32 vcc, 0, v[1:2]
	v_not_b32_e32 v2, v2
	;; [unrolled: 8-line block ×5, first 2 shown]
	v_ashrrev_i32_e32 v1, 31, v1
	v_xor_b32_e32 v2, vcc_hi, v1
	v_xor_b32_e32 v1, vcc_lo, v1
	ds_read_b32 v29, v34 offset:32
	v_and_b32_e32 v16, v16, v33
	v_and_b32_e32 v1, v31, v1
	;; [unrolled: 1-line block ×3, first 2 shown]
	v_mbcnt_lo_u32_b32 v15, v1, 0
	v_mbcnt_hi_u32_b32 v31, v2, v15
	v_cmp_ne_u64_e32 vcc, 0, v[1:2]
	v_cmp_eq_u32_e64 s[4:5], 0, v31
	s_and_b64 s[8:9], vcc, s[4:5]
	; wave barrier
	s_and_saveexec_b64 s[4:5], s[8:9]
	s_cbranch_execz .LBB1162_81
; %bb.80:
	v_bcnt_u32_b32 v1, v1, 0
	v_bcnt_u32_b32 v1, v2, v1
	s_waitcnt lgkmcnt(0)
	v_add_u32_e32 v1, v29, v1
	ds_write_b32 v34, v1 offset:32
.LBB1162_81:
	s_or_b64 exec, exec, s[4:5]
	v_xor_b32_e32 v12, 0x80000000, v12
	v_lshrrev_b64 v[1:2], s40, v[11:12]
	v_and_b32_e32 v15, s18, v1
	v_mul_lo_u32 v2, v15, 36
	v_and_b32_e32 v16, 1, v15
	v_mov_b32_e32 v1, 0
	; wave barrier
	v_lshl_add_u32 v37, v32, 2, v2
	v_add_co_u32_e32 v2, vcc, -1, v16
	v_addc_co_u32_e64 v35, s[4:5], 0, -1, vcc
	v_cmp_ne_u32_e32 vcc, 0, v16
	v_xor_b32_e32 v2, vcc_lo, v2
	v_xor_b32_e32 v16, vcc_hi, v35
	v_and_b32_e32 v35, exec_lo, v2
	v_lshlrev_b32_e32 v2, 30, v15
	v_cmp_gt_i64_e32 vcc, 0, v[1:2]
	v_not_b32_e32 v2, v2
	v_ashrrev_i32_e32 v2, 31, v2
	v_xor_b32_e32 v36, vcc_hi, v2
	v_xor_b32_e32 v2, vcc_lo, v2
	v_and_b32_e32 v35, v35, v2
	v_lshlrev_b32_e32 v2, 29, v15
	v_cmp_gt_i64_e32 vcc, 0, v[1:2]
	v_not_b32_e32 v2, v2
	v_and_b32_e32 v16, exec_hi, v16
	v_ashrrev_i32_e32 v2, 31, v2
	v_and_b32_e32 v16, v16, v36
	v_xor_b32_e32 v36, vcc_hi, v2
	v_xor_b32_e32 v2, vcc_lo, v2
	v_and_b32_e32 v35, v35, v2
	v_lshlrev_b32_e32 v2, 28, v15
	v_cmp_gt_i64_e32 vcc, 0, v[1:2]
	v_not_b32_e32 v2, v2
	v_ashrrev_i32_e32 v2, 31, v2
	v_and_b32_e32 v16, v16, v36
	v_xor_b32_e32 v36, vcc_hi, v2
	v_xor_b32_e32 v2, vcc_lo, v2
	v_and_b32_e32 v35, v35, v2
	v_lshlrev_b32_e32 v2, 27, v15
	v_cmp_gt_i64_e32 vcc, 0, v[1:2]
	v_not_b32_e32 v2, v2
	v_ashrrev_i32_e32 v2, 31, v2
	v_and_b32_e32 v16, v16, v36
	v_xor_b32_e32 v36, vcc_hi, v2
	v_xor_b32_e32 v2, vcc_lo, v2
	v_and_b32_e32 v35, v35, v2
	v_lshlrev_b32_e32 v2, 26, v15
	v_cmp_gt_i64_e32 vcc, 0, v[1:2]
	v_not_b32_e32 v2, v2
	v_ashrrev_i32_e32 v2, 31, v2
	v_and_b32_e32 v16, v16, v36
	v_xor_b32_e32 v36, vcc_hi, v2
	v_xor_b32_e32 v2, vcc_lo, v2
	v_and_b32_e32 v35, v35, v2
	v_lshlrev_b32_e32 v2, 25, v15
	v_cmp_gt_i64_e32 vcc, 0, v[1:2]
	v_not_b32_e32 v2, v2
	v_ashrrev_i32_e32 v2, 31, v2
	v_and_b32_e32 v16, v16, v36
	v_xor_b32_e32 v36, vcc_hi, v2
	v_xor_b32_e32 v2, vcc_lo, v2
	v_and_b32_e32 v35, v35, v2
	v_lshlrev_b32_e32 v2, 24, v15
	v_cmp_gt_i64_e32 vcc, 0, v[1:2]
	v_not_b32_e32 v2, v2
	v_ashrrev_i32_e32 v2, 31, v2
	v_and_b32_e32 v16, v16, v36
	v_xor_b32_e32 v15, vcc_hi, v2
	v_xor_b32_e32 v2, vcc_lo, v2
	ds_read_b32 v33, v37 offset:32
	v_and_b32_e32 v16, v16, v15
	v_and_b32_e32 v15, v35, v2
	v_mbcnt_lo_u32_b32 v2, v15, 0
	v_mbcnt_hi_u32_b32 v35, v16, v2
	v_cmp_ne_u64_e32 vcc, 0, v[15:16]
	v_cmp_eq_u32_e64 s[4:5], 0, v35
	s_and_b64 s[8:9], vcc, s[4:5]
	; wave barrier
	s_and_saveexec_b64 s[4:5], s[8:9]
	s_cbranch_execz .LBB1162_83
; %bb.82:
	v_bcnt_u32_b32 v2, v15, 0
	v_bcnt_u32_b32 v2, v16, v2
	s_waitcnt lgkmcnt(0)
	v_add_u32_e32 v2, v33, v2
	ds_write_b32 v37, v2 offset:32
.LBB1162_83:
	s_or_b64 exec, exec, s[4:5]
	v_xor_b32_e32 v14, 0x80000000, v14
	v_lshrrev_b64 v[15:16], s40, v[13:14]
	v_and_b32_e32 v15, s18, v15
	v_mul_lo_u32 v2, v15, 36
	v_and_b32_e32 v16, 1, v15
	; wave barrier
	v_lshl_add_u32 v39, v32, 2, v2
	v_add_co_u32_e32 v2, vcc, -1, v16
	v_addc_co_u32_e64 v32, s[4:5], 0, -1, vcc
	v_cmp_ne_u32_e32 vcc, 0, v16
	v_xor_b32_e32 v2, vcc_lo, v2
	v_xor_b32_e32 v16, vcc_hi, v32
	v_and_b32_e32 v32, exec_lo, v2
	v_lshlrev_b32_e32 v2, 30, v15
	v_cmp_gt_i64_e32 vcc, 0, v[1:2]
	v_not_b32_e32 v2, v2
	v_ashrrev_i32_e32 v2, 31, v2
	v_xor_b32_e32 v38, vcc_hi, v2
	v_xor_b32_e32 v2, vcc_lo, v2
	v_and_b32_e32 v32, v32, v2
	v_lshlrev_b32_e32 v2, 29, v15
	v_cmp_gt_i64_e32 vcc, 0, v[1:2]
	v_not_b32_e32 v2, v2
	v_and_b32_e32 v16, exec_hi, v16
	v_ashrrev_i32_e32 v2, 31, v2
	v_and_b32_e32 v16, v16, v38
	v_xor_b32_e32 v38, vcc_hi, v2
	v_xor_b32_e32 v2, vcc_lo, v2
	v_and_b32_e32 v32, v32, v2
	v_lshlrev_b32_e32 v2, 28, v15
	v_cmp_gt_i64_e32 vcc, 0, v[1:2]
	v_not_b32_e32 v2, v2
	v_ashrrev_i32_e32 v2, 31, v2
	v_and_b32_e32 v16, v16, v38
	v_xor_b32_e32 v38, vcc_hi, v2
	v_xor_b32_e32 v2, vcc_lo, v2
	v_and_b32_e32 v32, v32, v2
	v_lshlrev_b32_e32 v2, 27, v15
	v_cmp_gt_i64_e32 vcc, 0, v[1:2]
	v_not_b32_e32 v2, v2
	;; [unrolled: 8-line block ×5, first 2 shown]
	v_ashrrev_i32_e32 v1, 31, v1
	v_xor_b32_e32 v2, vcc_hi, v1
	v_xor_b32_e32 v1, vcc_lo, v1
	ds_read_b32 v36, v39 offset:32
	v_and_b32_e32 v16, v16, v38
	v_and_b32_e32 v1, v32, v1
	;; [unrolled: 1-line block ×3, first 2 shown]
	v_mbcnt_lo_u32_b32 v15, v1, 0
	v_mbcnt_hi_u32_b32 v38, v2, v15
	v_cmp_ne_u64_e32 vcc, 0, v[1:2]
	v_cmp_eq_u32_e64 s[4:5], 0, v38
	s_and_b64 s[8:9], vcc, s[4:5]
	; wave barrier
	s_and_saveexec_b64 s[4:5], s[8:9]
	s_cbranch_execz .LBB1162_85
; %bb.84:
	v_bcnt_u32_b32 v1, v1, 0
	v_bcnt_u32_b32 v1, v2, v1
	s_waitcnt lgkmcnt(0)
	v_add_u32_e32 v1, v36, v1
	ds_write_b32 v39, v1 offset:32
.LBB1162_85:
	s_or_b64 exec, exec, s[4:5]
	; wave barrier
	s_waitcnt lgkmcnt(0)
	s_barrier
	ds_read2_b32 v[15:16], v25 offset0:8 offset1:9
	ds_read2_b32 v[1:2], v25 offset0:10 offset1:11
	ds_read_b32 v32, v25 offset:48
	v_min_u32_e32 v18, 0x1c0, v18
	v_or_b32_e32 v18, 63, v18
	s_waitcnt lgkmcnt(1)
	v_add3_u32 v40, v16, v15, v1
	s_waitcnt lgkmcnt(0)
	v_add3_u32 v32, v40, v2, v32
	v_and_b32_e32 v40, 15, v17
	v_cmp_ne_u32_e32 vcc, 0, v40
	v_mov_b32_dpp v41, v32 row_shr:1 row_mask:0xf bank_mask:0xf
	v_cndmask_b32_e32 v41, 0, v41, vcc
	v_add_u32_e32 v32, v41, v32
	v_cmp_lt_u32_e32 vcc, 1, v40
	s_nop 0
	v_mov_b32_dpp v41, v32 row_shr:2 row_mask:0xf bank_mask:0xf
	v_cndmask_b32_e32 v41, 0, v41, vcc
	v_add_u32_e32 v32, v32, v41
	v_cmp_lt_u32_e32 vcc, 3, v40
	s_nop 0
	;; [unrolled: 5-line block ×3, first 2 shown]
	v_mov_b32_dpp v41, v32 row_shr:8 row_mask:0xf bank_mask:0xf
	v_cndmask_b32_e32 v40, 0, v41, vcc
	v_add_u32_e32 v32, v32, v40
	v_bfe_i32 v41, v17, 4, 1
	v_cmp_lt_u32_e32 vcc, 31, v17
	v_mov_b32_dpp v40, v32 row_bcast:15 row_mask:0xf bank_mask:0xf
	v_and_b32_e32 v40, v41, v40
	v_add_u32_e32 v32, v32, v40
	v_lshrrev_b32_e32 v41, 6, v0
	s_nop 0
	v_mov_b32_dpp v40, v32 row_bcast:31 row_mask:0xf bank_mask:0xf
	v_cndmask_b32_e32 v40, 0, v40, vcc
	v_add_u32_e32 v40, v32, v40
	v_cmp_eq_u32_e32 vcc, v0, v18
	s_and_saveexec_b64 s[4:5], vcc
; %bb.86:
	v_lshlrev_b32_e32 v18, 2, v41
	ds_write_b32 v18, v40
; %bb.87:
	s_or_b64 exec, exec, s[4:5]
	v_cmp_gt_u32_e32 vcc, 8, v0
	v_lshlrev_b32_e32 v32, 2, v0
	s_waitcnt lgkmcnt(0)
	s_barrier
	s_and_saveexec_b64 s[4:5], vcc
	s_cbranch_execz .LBB1162_89
; %bb.88:
	ds_read_b32 v18, v32
	v_and_b32_e32 v42, 7, v17
	v_cmp_ne_u32_e32 vcc, 0, v42
	s_waitcnt lgkmcnt(0)
	v_mov_b32_dpp v43, v18 row_shr:1 row_mask:0xf bank_mask:0xf
	v_cndmask_b32_e32 v43, 0, v43, vcc
	v_add_u32_e32 v18, v43, v18
	v_cmp_lt_u32_e32 vcc, 1, v42
	s_nop 0
	v_mov_b32_dpp v43, v18 row_shr:2 row_mask:0xf bank_mask:0xf
	v_cndmask_b32_e32 v43, 0, v43, vcc
	v_add_u32_e32 v18, v18, v43
	v_cmp_lt_u32_e32 vcc, 3, v42
	s_nop 0
	v_mov_b32_dpp v43, v18 row_shr:4 row_mask:0xf bank_mask:0xf
	v_cndmask_b32_e32 v42, 0, v43, vcc
	v_add_u32_e32 v18, v18, v42
	ds_write_b32 v32, v18
.LBB1162_89:
	s_or_b64 exec, exec, s[4:5]
	v_cmp_lt_u32_e32 vcc, 63, v0
	v_mov_b32_e32 v18, 0
	s_waitcnt lgkmcnt(0)
	s_barrier
	s_and_saveexec_b64 s[4:5], vcc
; %bb.90:
	v_lshl_add_u32 v18, v41, 2, -4
	ds_read_b32 v18, v18
; %bb.91:
	s_or_b64 exec, exec, s[4:5]
	v_subrev_co_u32_e32 v41, vcc, 1, v17
	v_and_b32_e32 v42, 64, v17
	v_cmp_lt_i32_e64 s[4:5], v41, v42
	v_cndmask_b32_e64 v17, v41, v17, s[4:5]
	s_waitcnt lgkmcnt(0)
	v_add_u32_e32 v40, v18, v40
	v_lshlrev_b32_e32 v17, 2, v17
	ds_bpermute_b32 v17, v17, v40
	s_movk_i32 s4, 0xff
	s_movk_i32 s8, 0x100
	s_waitcnt lgkmcnt(0)
	v_cndmask_b32_e32 v17, v17, v18, vcc
	v_cmp_ne_u32_e32 vcc, 0, v0
	v_cndmask_b32_e32 v17, 0, v17, vcc
	v_add_u32_e32 v15, v17, v15
	v_add_u32_e32 v16, v15, v16
	;; [unrolled: 1-line block ×4, first 2 shown]
	ds_write2_b32 v25, v17, v15 offset0:8 offset1:9
	ds_write2_b32 v25, v16, v1 offset0:10 offset1:11
	ds_write_b32 v25, v2 offset:48
	s_waitcnt lgkmcnt(0)
	s_barrier
	ds_read_b32 v40, v26 offset:32
	ds_read_b32 v27, v27 offset:32
	;; [unrolled: 1-line block ×6, first 2 shown]
	v_cmp_lt_u32_e32 vcc, s4, v0
	v_cmp_gt_u32_e64 s[4:5], s8, v0
                                        ; implicit-def: $vgpr25
                                        ; implicit-def: $vgpr26
	s_and_saveexec_b64 s[12:13], s[4:5]
	s_cbranch_execz .LBB1162_95
; %bb.92:
	v_mul_u32_u24_e32 v1, 36, v0
	ds_read_b32 v25, v1 offset:32
	v_add_u32_e32 v2, 1, v0
	v_cmp_ne_u32_e64 s[8:9], s8, v2
	v_mov_b32_e32 v1, 0xc00
	s_and_saveexec_b64 s[14:15], s[8:9]
; %bb.93:
	v_mul_u32_u24_e32 v1, 36, v2
	ds_read_b32 v1, v1 offset:32
; %bb.94:
	s_or_b64 exec, exec, s[14:15]
	s_waitcnt lgkmcnt(0)
	v_sub_u32_e32 v26, v1, v25
.LBB1162_95:
	s_or_b64 exec, exec, s[12:13]
	v_mov_b32_e32 v2, 0
	s_waitcnt lgkmcnt(0)
	s_barrier
	s_and_saveexec_b64 s[8:9], s[4:5]
	s_cbranch_execz .LBB1162_105
; %bb.96:
	v_lshl_add_u32 v1, s6, 8, v0
	v_lshlrev_b64 v[15:16], 2, v[1:2]
	v_mov_b32_e32 v41, s35
	v_add_co_u32_e64 v15, s[4:5], s34, v15
	v_addc_co_u32_e64 v16, s[4:5], v41, v16, s[4:5]
	v_or_b32_e32 v1, 2.0, v26
	s_mov_b64 s[12:13], 0
	s_brev_b32 s19, -4
	s_mov_b32 s20, s6
	v_mov_b32_e32 v42, 0
	global_store_dword v[15:16], v1, off
                                        ; implicit-def: $sgpr4_sgpr5
	s_branch .LBB1162_99
.LBB1162_97:                            ;   in Loop: Header=BB1162_99 Depth=1
	s_or_b64 exec, exec, s[16:17]
.LBB1162_98:                            ;   in Loop: Header=BB1162_99 Depth=1
	s_or_b64 exec, exec, s[14:15]
	v_and_b32_e32 v17, 0x3fffffff, v1
	v_add_u32_e32 v42, v17, v42
	v_cmp_gt_i32_e64 s[4:5], -2.0, v1
	s_and_b64 s[14:15], exec, s[4:5]
	s_or_b64 s[12:13], s[14:15], s[12:13]
	s_andn2_b64 exec, exec, s[12:13]
	s_cbranch_execz .LBB1162_104
.LBB1162_99:                            ; =>This Loop Header: Depth=1
                                        ;     Child Loop BB1162_102 Depth 2
	s_or_b64 s[4:5], s[4:5], exec
	s_cmp_eq_u32 s20, 0
	s_cbranch_scc1 .LBB1162_103
; %bb.100:                              ;   in Loop: Header=BB1162_99 Depth=1
	s_add_i32 s20, s20, -1
	v_lshl_or_b32 v1, s20, 8, v0
	v_lshlrev_b64 v[17:18], 2, v[1:2]
	v_add_co_u32_e64 v17, s[4:5], s34, v17
	v_addc_co_u32_e64 v18, s[4:5], v41, v18, s[4:5]
	global_load_dword v1, v[17:18], off glc
	s_waitcnt vmcnt(0)
	v_cmp_gt_u32_e64 s[4:5], 2.0, v1
	s_and_saveexec_b64 s[14:15], s[4:5]
	s_cbranch_execz .LBB1162_98
; %bb.101:                              ;   in Loop: Header=BB1162_99 Depth=1
	s_mov_b64 s[16:17], 0
.LBB1162_102:                           ;   Parent Loop BB1162_99 Depth=1
                                        ; =>  This Inner Loop Header: Depth=2
	global_load_dword v1, v[17:18], off glc
	s_waitcnt vmcnt(0)
	v_cmp_lt_u32_e64 s[4:5], s19, v1
	s_or_b64 s[16:17], s[4:5], s[16:17]
	s_andn2_b64 exec, exec, s[16:17]
	s_cbranch_execnz .LBB1162_102
	s_branch .LBB1162_97
.LBB1162_103:                           ;   in Loop: Header=BB1162_99 Depth=1
                                        ; implicit-def: $sgpr20
	s_and_b64 s[14:15], exec, s[4:5]
	s_or_b64 s[12:13], s[14:15], s[12:13]
	s_andn2_b64 exec, exec, s[12:13]
	s_cbranch_execnz .LBB1162_99
.LBB1162_104:
	s_or_b64 exec, exec, s[12:13]
	v_add_u32_e32 v1, v42, v26
	v_or_b32_e32 v1, 0x80000000, v1
	global_store_dword v[15:16], v1, off
	global_load_dword v1, v32, s[36:37]
	v_sub_u32_e32 v2, v42, v25
	s_waitcnt vmcnt(0)
	v_add_u32_e32 v1, v2, v1
	ds_write_b32 v32, v1
.LBB1162_105:
	s_or_b64 exec, exec, s[8:9]
	v_add_u32_e32 v15, v40, v21
	v_add3_u32 v16, v38, v39, v36
	v_add3_u32 v17, v35, v37, v33
	;; [unrolled: 1-line block ×5, first 2 shown]
	s_mov_b32 s8, 0
	s_mov_b32 s9, 0
	v_add_u32_e32 v23, v32, v32
	v_mov_b32_e32 v2, 0
	v_mov_b32_e32 v24, s27
	s_movk_i32 s12, 0x200
	v_mov_b32_e32 v27, v0
.LBB1162_106:                           ; =>This Inner Loop Header: Depth=1
	v_add_u32_e32 v1, s9, v15
	v_add_u32_e32 v28, s9, v22
	;; [unrolled: 1-line block ×6, first 2 shown]
	v_min_u32_e32 v1, 0x400, v1
	v_min_u32_e32 v28, 0x400, v28
	;; [unrolled: 1-line block ×6, first 2 shown]
	v_lshlrev_b32_e32 v1, 3, v1
	v_lshlrev_b32_e32 v28, 3, v28
	;; [unrolled: 1-line block ×6, first 2 shown]
	ds_write_b64 v1, v[3:4] offset:1024
	ds_write_b64 v28, v[5:6] offset:1024
	;; [unrolled: 1-line block ×6, first 2 shown]
	s_waitcnt lgkmcnt(0)
	s_barrier
	ds_read2st64_b64 v[28:31], v23 offset0:2 offset1:10
	v_mov_b32_e32 v36, s8
	s_addk_i32 s9, 0xfc00
	s_add_i32 s8, s8, 8
	s_cmpk_lg_i32 s9, 0xf400
	s_waitcnt lgkmcnt(0)
	v_lshrrev_b64 v[33:34], s40, v[28:29]
	v_lshrrev_b64 v[34:35], s40, v[30:31]
	v_and_b32_e32 v1, s18, v33
	v_and_b32_e32 v33, s18, v34
	v_lshlrev_b32_e32 v34, 2, v1
	buffer_store_dword v1, v36, s[0:3], 0 offen
	buffer_store_dword v33, v36, s[0:3], 0 offen offset:4
	v_lshlrev_b32_e32 v1, 2, v33
	ds_read_b32 v33, v34
	ds_read_b32 v35, v1
	v_xor_b32_e32 v29, 0x80000000, v29
	v_xor_b32_e32 v31, 0x80000000, v31
	s_waitcnt lgkmcnt(1)
	v_add_u32_e32 v1, v27, v33
	v_lshlrev_b64 v[33:34], 3, v[1:2]
	s_waitcnt lgkmcnt(0)
	v_add3_u32 v1, v27, v35, s12
	v_lshlrev_b64 v[35:36], 3, v[1:2]
	v_add_co_u32_e64 v33, s[4:5], s26, v33
	v_addc_co_u32_e64 v34, s[4:5], v24, v34, s[4:5]
	global_store_dwordx2 v[33:34], v[28:29], off
	v_add_co_u32_e64 v28, s[4:5], s26, v35
	v_add_u32_e32 v27, 0x400, v27
	v_addc_co_u32_e64 v29, s[4:5], v24, v36, s[4:5]
	global_store_dwordx2 v[28:29], v[30:31], off
	s_waitcnt vmcnt(0)
	s_barrier
	s_cbranch_scc1 .LBB1162_106
; %bb.107:
	s_add_u32 s4, s28, s10
	s_addc_u32 s5, s29, s11
	v_mov_b32_e32 v1, s5
	v_add_co_u32_e64 v2, s[4:5], s4, v19
	v_addc_co_u32_e64 v1, s[4:5], 0, v1, s[4:5]
	v_add_co_u32_e64 v13, s[4:5], v2, v20
	v_addc_co_u32_e64 v14, s[4:5], 0, v1, s[4:5]
	global_load_dwordx2 v[1:2], v[13:14], off
	global_load_dwordx2 v[3:4], v[13:14], off offset:512
	global_load_dwordx2 v[5:6], v[13:14], off offset:1024
	;; [unrolled: 1-line block ×5, first 2 shown]
	v_mov_b32_e32 v14, 0
	s_mov_b32 s8, 0
	s_mov_b32 s9, 0
	v_mov_b32_e32 v19, s31
	s_movk_i32 s10, 0x200
.LBB1162_108:                           ; =>This Inner Loop Header: Depth=1
	v_add_u32_e32 v13, s9, v15
	v_add_u32_e32 v20, s9, v22
	;; [unrolled: 1-line block ×6, first 2 shown]
	v_min_u32_e32 v13, 0x400, v13
	v_min_u32_e32 v20, 0x400, v20
	v_mov_b32_e32 v30, s8
	v_min_u32_e32 v24, 0x400, v24
	v_min_u32_e32 v27, 0x400, v27
	;; [unrolled: 1-line block ×4, first 2 shown]
	v_lshlrev_b32_e32 v13, 3, v13
	v_lshlrev_b32_e32 v20, 3, v20
	;; [unrolled: 1-line block ×6, first 2 shown]
	s_waitcnt vmcnt(5)
	ds_write_b64 v13, v[1:2] offset:1024
	s_waitcnt vmcnt(4)
	ds_write_b64 v20, v[3:4] offset:1024
	;; [unrolled: 2-line block ×6, first 2 shown]
	s_waitcnt lgkmcnt(0)
	s_barrier
	buffer_load_dword v13, v30, s[0:3], 0 offen
	buffer_load_dword v20, v30, s[0:3], 0 offen offset:4
	ds_read2st64_b64 v[27:30], v23 offset0:2 offset1:10
	s_addk_i32 s9, 0xfc00
	s_add_i32 s8, s8, 8
	s_cmpk_lg_i32 s9, 0xf400
	s_waitcnt vmcnt(1)
	v_lshlrev_b32_e32 v13, 2, v13
	s_waitcnt vmcnt(0)
	v_lshlrev_b32_e32 v20, 2, v20
	ds_read_b32 v13, v13
	ds_read_b32 v20, v20
	s_waitcnt lgkmcnt(1)
	v_add_u32_e32 v13, v0, v13
	v_lshlrev_b64 v[33:34], 3, v[13:14]
	s_waitcnt lgkmcnt(0)
	v_add3_u32 v13, v0, v20, s10
	v_lshlrev_b64 v[35:36], 3, v[13:14]
	v_add_co_u32_e64 v33, s[4:5], s30, v33
	v_addc_co_u32_e64 v34, s[4:5], v19, v34, s[4:5]
	global_store_dwordx2 v[33:34], v[27:28], off
	v_add_co_u32_e64 v27, s[4:5], s30, v35
	v_add_u32_e32 v0, 0x400, v0
	v_addc_co_u32_e64 v28, s[4:5], v19, v36, s[4:5]
	global_store_dwordx2 v[27:28], v[29:30], off
	s_waitcnt vmcnt(0)
	s_barrier
	s_cbranch_scc1 .LBB1162_108
; %bb.109:
	s_add_i32 s7, s7, -1
	s_cmp_eq_u32 s6, s7
	s_cselect_b64 s[4:5], -1, 0
	s_xor_b64 s[6:7], vcc, -1
	s_and_b64 s[4:5], s[6:7], s[4:5]
	s_and_saveexec_b64 s[6:7], s[4:5]
	s_cbranch_execz .LBB1162_111
; %bb.110:
	ds_read_b32 v0, v32
	s_waitcnt lgkmcnt(0)
	v_add3_u32 v0, v25, v26, v0
	global_store_dword v32, v0, s[38:39]
.LBB1162_111:
	s_endpgm
	.section	.rodata,"a",@progbits
	.p2align	6, 0x0
	.amdhsa_kernel _ZN7rocprim17ROCPRIM_400000_NS6detail17trampoline_kernelINS0_14default_configENS1_35radix_sort_onesweep_config_selectorIllEEZZNS1_29radix_sort_onesweep_iterationIS3_Lb0EPlS7_N6thrust23THRUST_200600_302600_NS10device_ptrIlEESB_jNS0_19identity_decomposerENS1_16block_id_wrapperIjLb0EEEEE10hipError_tT1_PNSt15iterator_traitsISG_E10value_typeET2_T3_PNSH_ISM_E10value_typeET4_T5_PSR_SS_PNS1_23onesweep_lookback_stateEbbT6_jjT7_P12ihipStream_tbENKUlT_T0_SG_SL_E_clIS7_S7_SB_SB_EEDaSZ_S10_SG_SL_EUlSZ_E_NS1_11comp_targetILNS1_3genE2ELNS1_11target_archE906ELNS1_3gpuE6ELNS1_3repE0EEENS1_47radix_sort_onesweep_sort_config_static_selectorELNS0_4arch9wavefront6targetE1EEEvSG_
		.amdhsa_group_segment_fixed_size 10280
		.amdhsa_private_segment_fixed_size 32
		.amdhsa_kernarg_size 344
		.amdhsa_user_sgpr_count 6
		.amdhsa_user_sgpr_private_segment_buffer 1
		.amdhsa_user_sgpr_dispatch_ptr 0
		.amdhsa_user_sgpr_queue_ptr 0
		.amdhsa_user_sgpr_kernarg_segment_ptr 1
		.amdhsa_user_sgpr_dispatch_id 0
		.amdhsa_user_sgpr_flat_scratch_init 0
		.amdhsa_user_sgpr_private_segment_size 0
		.amdhsa_uses_dynamic_stack 0
		.amdhsa_system_sgpr_private_segment_wavefront_offset 1
		.amdhsa_system_sgpr_workgroup_id_x 1
		.amdhsa_system_sgpr_workgroup_id_y 0
		.amdhsa_system_sgpr_workgroup_id_z 0
		.amdhsa_system_sgpr_workgroup_info 0
		.amdhsa_system_vgpr_workitem_id 2
		.amdhsa_next_free_vgpr 47
		.amdhsa_next_free_sgpr 54
		.amdhsa_reserve_vcc 1
		.amdhsa_reserve_flat_scratch 0
		.amdhsa_float_round_mode_32 0
		.amdhsa_float_round_mode_16_64 0
		.amdhsa_float_denorm_mode_32 3
		.amdhsa_float_denorm_mode_16_64 3
		.amdhsa_dx10_clamp 1
		.amdhsa_ieee_mode 1
		.amdhsa_fp16_overflow 0
		.amdhsa_exception_fp_ieee_invalid_op 0
		.amdhsa_exception_fp_denorm_src 0
		.amdhsa_exception_fp_ieee_div_zero 0
		.amdhsa_exception_fp_ieee_overflow 0
		.amdhsa_exception_fp_ieee_underflow 0
		.amdhsa_exception_fp_ieee_inexact 0
		.amdhsa_exception_int_div_zero 0
	.end_amdhsa_kernel
	.section	.text._ZN7rocprim17ROCPRIM_400000_NS6detail17trampoline_kernelINS0_14default_configENS1_35radix_sort_onesweep_config_selectorIllEEZZNS1_29radix_sort_onesweep_iterationIS3_Lb0EPlS7_N6thrust23THRUST_200600_302600_NS10device_ptrIlEESB_jNS0_19identity_decomposerENS1_16block_id_wrapperIjLb0EEEEE10hipError_tT1_PNSt15iterator_traitsISG_E10value_typeET2_T3_PNSH_ISM_E10value_typeET4_T5_PSR_SS_PNS1_23onesweep_lookback_stateEbbT6_jjT7_P12ihipStream_tbENKUlT_T0_SG_SL_E_clIS7_S7_SB_SB_EEDaSZ_S10_SG_SL_EUlSZ_E_NS1_11comp_targetILNS1_3genE2ELNS1_11target_archE906ELNS1_3gpuE6ELNS1_3repE0EEENS1_47radix_sort_onesweep_sort_config_static_selectorELNS0_4arch9wavefront6targetE1EEEvSG_,"axG",@progbits,_ZN7rocprim17ROCPRIM_400000_NS6detail17trampoline_kernelINS0_14default_configENS1_35radix_sort_onesweep_config_selectorIllEEZZNS1_29radix_sort_onesweep_iterationIS3_Lb0EPlS7_N6thrust23THRUST_200600_302600_NS10device_ptrIlEESB_jNS0_19identity_decomposerENS1_16block_id_wrapperIjLb0EEEEE10hipError_tT1_PNSt15iterator_traitsISG_E10value_typeET2_T3_PNSH_ISM_E10value_typeET4_T5_PSR_SS_PNS1_23onesweep_lookback_stateEbbT6_jjT7_P12ihipStream_tbENKUlT_T0_SG_SL_E_clIS7_S7_SB_SB_EEDaSZ_S10_SG_SL_EUlSZ_E_NS1_11comp_targetILNS1_3genE2ELNS1_11target_archE906ELNS1_3gpuE6ELNS1_3repE0EEENS1_47radix_sort_onesweep_sort_config_static_selectorELNS0_4arch9wavefront6targetE1EEEvSG_,comdat
.Lfunc_end1162:
	.size	_ZN7rocprim17ROCPRIM_400000_NS6detail17trampoline_kernelINS0_14default_configENS1_35radix_sort_onesweep_config_selectorIllEEZZNS1_29radix_sort_onesweep_iterationIS3_Lb0EPlS7_N6thrust23THRUST_200600_302600_NS10device_ptrIlEESB_jNS0_19identity_decomposerENS1_16block_id_wrapperIjLb0EEEEE10hipError_tT1_PNSt15iterator_traitsISG_E10value_typeET2_T3_PNSH_ISM_E10value_typeET4_T5_PSR_SS_PNS1_23onesweep_lookback_stateEbbT6_jjT7_P12ihipStream_tbENKUlT_T0_SG_SL_E_clIS7_S7_SB_SB_EEDaSZ_S10_SG_SL_EUlSZ_E_NS1_11comp_targetILNS1_3genE2ELNS1_11target_archE906ELNS1_3gpuE6ELNS1_3repE0EEENS1_47radix_sort_onesweep_sort_config_static_selectorELNS0_4arch9wavefront6targetE1EEEvSG_, .Lfunc_end1162-_ZN7rocprim17ROCPRIM_400000_NS6detail17trampoline_kernelINS0_14default_configENS1_35radix_sort_onesweep_config_selectorIllEEZZNS1_29radix_sort_onesweep_iterationIS3_Lb0EPlS7_N6thrust23THRUST_200600_302600_NS10device_ptrIlEESB_jNS0_19identity_decomposerENS1_16block_id_wrapperIjLb0EEEEE10hipError_tT1_PNSt15iterator_traitsISG_E10value_typeET2_T3_PNSH_ISM_E10value_typeET4_T5_PSR_SS_PNS1_23onesweep_lookback_stateEbbT6_jjT7_P12ihipStream_tbENKUlT_T0_SG_SL_E_clIS7_S7_SB_SB_EEDaSZ_S10_SG_SL_EUlSZ_E_NS1_11comp_targetILNS1_3genE2ELNS1_11target_archE906ELNS1_3gpuE6ELNS1_3repE0EEENS1_47radix_sort_onesweep_sort_config_static_selectorELNS0_4arch9wavefront6targetE1EEEvSG_
                                        ; -- End function
	.set _ZN7rocprim17ROCPRIM_400000_NS6detail17trampoline_kernelINS0_14default_configENS1_35radix_sort_onesweep_config_selectorIllEEZZNS1_29radix_sort_onesweep_iterationIS3_Lb0EPlS7_N6thrust23THRUST_200600_302600_NS10device_ptrIlEESB_jNS0_19identity_decomposerENS1_16block_id_wrapperIjLb0EEEEE10hipError_tT1_PNSt15iterator_traitsISG_E10value_typeET2_T3_PNSH_ISM_E10value_typeET4_T5_PSR_SS_PNS1_23onesweep_lookback_stateEbbT6_jjT7_P12ihipStream_tbENKUlT_T0_SG_SL_E_clIS7_S7_SB_SB_EEDaSZ_S10_SG_SL_EUlSZ_E_NS1_11comp_targetILNS1_3genE2ELNS1_11target_archE906ELNS1_3gpuE6ELNS1_3repE0EEENS1_47radix_sort_onesweep_sort_config_static_selectorELNS0_4arch9wavefront6targetE1EEEvSG_.num_vgpr, 47
	.set _ZN7rocprim17ROCPRIM_400000_NS6detail17trampoline_kernelINS0_14default_configENS1_35radix_sort_onesweep_config_selectorIllEEZZNS1_29radix_sort_onesweep_iterationIS3_Lb0EPlS7_N6thrust23THRUST_200600_302600_NS10device_ptrIlEESB_jNS0_19identity_decomposerENS1_16block_id_wrapperIjLb0EEEEE10hipError_tT1_PNSt15iterator_traitsISG_E10value_typeET2_T3_PNSH_ISM_E10value_typeET4_T5_PSR_SS_PNS1_23onesweep_lookback_stateEbbT6_jjT7_P12ihipStream_tbENKUlT_T0_SG_SL_E_clIS7_S7_SB_SB_EEDaSZ_S10_SG_SL_EUlSZ_E_NS1_11comp_targetILNS1_3genE2ELNS1_11target_archE906ELNS1_3gpuE6ELNS1_3repE0EEENS1_47radix_sort_onesweep_sort_config_static_selectorELNS0_4arch9wavefront6targetE1EEEvSG_.num_agpr, 0
	.set _ZN7rocprim17ROCPRIM_400000_NS6detail17trampoline_kernelINS0_14default_configENS1_35radix_sort_onesweep_config_selectorIllEEZZNS1_29radix_sort_onesweep_iterationIS3_Lb0EPlS7_N6thrust23THRUST_200600_302600_NS10device_ptrIlEESB_jNS0_19identity_decomposerENS1_16block_id_wrapperIjLb0EEEEE10hipError_tT1_PNSt15iterator_traitsISG_E10value_typeET2_T3_PNSH_ISM_E10value_typeET4_T5_PSR_SS_PNS1_23onesweep_lookback_stateEbbT6_jjT7_P12ihipStream_tbENKUlT_T0_SG_SL_E_clIS7_S7_SB_SB_EEDaSZ_S10_SG_SL_EUlSZ_E_NS1_11comp_targetILNS1_3genE2ELNS1_11target_archE906ELNS1_3gpuE6ELNS1_3repE0EEENS1_47radix_sort_onesweep_sort_config_static_selectorELNS0_4arch9wavefront6targetE1EEEvSG_.numbered_sgpr, 54
	.set _ZN7rocprim17ROCPRIM_400000_NS6detail17trampoline_kernelINS0_14default_configENS1_35radix_sort_onesweep_config_selectorIllEEZZNS1_29radix_sort_onesweep_iterationIS3_Lb0EPlS7_N6thrust23THRUST_200600_302600_NS10device_ptrIlEESB_jNS0_19identity_decomposerENS1_16block_id_wrapperIjLb0EEEEE10hipError_tT1_PNSt15iterator_traitsISG_E10value_typeET2_T3_PNSH_ISM_E10value_typeET4_T5_PSR_SS_PNS1_23onesweep_lookback_stateEbbT6_jjT7_P12ihipStream_tbENKUlT_T0_SG_SL_E_clIS7_S7_SB_SB_EEDaSZ_S10_SG_SL_EUlSZ_E_NS1_11comp_targetILNS1_3genE2ELNS1_11target_archE906ELNS1_3gpuE6ELNS1_3repE0EEENS1_47radix_sort_onesweep_sort_config_static_selectorELNS0_4arch9wavefront6targetE1EEEvSG_.num_named_barrier, 0
	.set _ZN7rocprim17ROCPRIM_400000_NS6detail17trampoline_kernelINS0_14default_configENS1_35radix_sort_onesweep_config_selectorIllEEZZNS1_29radix_sort_onesweep_iterationIS3_Lb0EPlS7_N6thrust23THRUST_200600_302600_NS10device_ptrIlEESB_jNS0_19identity_decomposerENS1_16block_id_wrapperIjLb0EEEEE10hipError_tT1_PNSt15iterator_traitsISG_E10value_typeET2_T3_PNSH_ISM_E10value_typeET4_T5_PSR_SS_PNS1_23onesweep_lookback_stateEbbT6_jjT7_P12ihipStream_tbENKUlT_T0_SG_SL_E_clIS7_S7_SB_SB_EEDaSZ_S10_SG_SL_EUlSZ_E_NS1_11comp_targetILNS1_3genE2ELNS1_11target_archE906ELNS1_3gpuE6ELNS1_3repE0EEENS1_47radix_sort_onesweep_sort_config_static_selectorELNS0_4arch9wavefront6targetE1EEEvSG_.private_seg_size, 32
	.set _ZN7rocprim17ROCPRIM_400000_NS6detail17trampoline_kernelINS0_14default_configENS1_35radix_sort_onesweep_config_selectorIllEEZZNS1_29radix_sort_onesweep_iterationIS3_Lb0EPlS7_N6thrust23THRUST_200600_302600_NS10device_ptrIlEESB_jNS0_19identity_decomposerENS1_16block_id_wrapperIjLb0EEEEE10hipError_tT1_PNSt15iterator_traitsISG_E10value_typeET2_T3_PNSH_ISM_E10value_typeET4_T5_PSR_SS_PNS1_23onesweep_lookback_stateEbbT6_jjT7_P12ihipStream_tbENKUlT_T0_SG_SL_E_clIS7_S7_SB_SB_EEDaSZ_S10_SG_SL_EUlSZ_E_NS1_11comp_targetILNS1_3genE2ELNS1_11target_archE906ELNS1_3gpuE6ELNS1_3repE0EEENS1_47radix_sort_onesweep_sort_config_static_selectorELNS0_4arch9wavefront6targetE1EEEvSG_.uses_vcc, 1
	.set _ZN7rocprim17ROCPRIM_400000_NS6detail17trampoline_kernelINS0_14default_configENS1_35radix_sort_onesweep_config_selectorIllEEZZNS1_29radix_sort_onesweep_iterationIS3_Lb0EPlS7_N6thrust23THRUST_200600_302600_NS10device_ptrIlEESB_jNS0_19identity_decomposerENS1_16block_id_wrapperIjLb0EEEEE10hipError_tT1_PNSt15iterator_traitsISG_E10value_typeET2_T3_PNSH_ISM_E10value_typeET4_T5_PSR_SS_PNS1_23onesweep_lookback_stateEbbT6_jjT7_P12ihipStream_tbENKUlT_T0_SG_SL_E_clIS7_S7_SB_SB_EEDaSZ_S10_SG_SL_EUlSZ_E_NS1_11comp_targetILNS1_3genE2ELNS1_11target_archE906ELNS1_3gpuE6ELNS1_3repE0EEENS1_47radix_sort_onesweep_sort_config_static_selectorELNS0_4arch9wavefront6targetE1EEEvSG_.uses_flat_scratch, 0
	.set _ZN7rocprim17ROCPRIM_400000_NS6detail17trampoline_kernelINS0_14default_configENS1_35radix_sort_onesweep_config_selectorIllEEZZNS1_29radix_sort_onesweep_iterationIS3_Lb0EPlS7_N6thrust23THRUST_200600_302600_NS10device_ptrIlEESB_jNS0_19identity_decomposerENS1_16block_id_wrapperIjLb0EEEEE10hipError_tT1_PNSt15iterator_traitsISG_E10value_typeET2_T3_PNSH_ISM_E10value_typeET4_T5_PSR_SS_PNS1_23onesweep_lookback_stateEbbT6_jjT7_P12ihipStream_tbENKUlT_T0_SG_SL_E_clIS7_S7_SB_SB_EEDaSZ_S10_SG_SL_EUlSZ_E_NS1_11comp_targetILNS1_3genE2ELNS1_11target_archE906ELNS1_3gpuE6ELNS1_3repE0EEENS1_47radix_sort_onesweep_sort_config_static_selectorELNS0_4arch9wavefront6targetE1EEEvSG_.has_dyn_sized_stack, 0
	.set _ZN7rocprim17ROCPRIM_400000_NS6detail17trampoline_kernelINS0_14default_configENS1_35radix_sort_onesweep_config_selectorIllEEZZNS1_29radix_sort_onesweep_iterationIS3_Lb0EPlS7_N6thrust23THRUST_200600_302600_NS10device_ptrIlEESB_jNS0_19identity_decomposerENS1_16block_id_wrapperIjLb0EEEEE10hipError_tT1_PNSt15iterator_traitsISG_E10value_typeET2_T3_PNSH_ISM_E10value_typeET4_T5_PSR_SS_PNS1_23onesweep_lookback_stateEbbT6_jjT7_P12ihipStream_tbENKUlT_T0_SG_SL_E_clIS7_S7_SB_SB_EEDaSZ_S10_SG_SL_EUlSZ_E_NS1_11comp_targetILNS1_3genE2ELNS1_11target_archE906ELNS1_3gpuE6ELNS1_3repE0EEENS1_47radix_sort_onesweep_sort_config_static_selectorELNS0_4arch9wavefront6targetE1EEEvSG_.has_recursion, 0
	.set _ZN7rocprim17ROCPRIM_400000_NS6detail17trampoline_kernelINS0_14default_configENS1_35radix_sort_onesweep_config_selectorIllEEZZNS1_29radix_sort_onesweep_iterationIS3_Lb0EPlS7_N6thrust23THRUST_200600_302600_NS10device_ptrIlEESB_jNS0_19identity_decomposerENS1_16block_id_wrapperIjLb0EEEEE10hipError_tT1_PNSt15iterator_traitsISG_E10value_typeET2_T3_PNSH_ISM_E10value_typeET4_T5_PSR_SS_PNS1_23onesweep_lookback_stateEbbT6_jjT7_P12ihipStream_tbENKUlT_T0_SG_SL_E_clIS7_S7_SB_SB_EEDaSZ_S10_SG_SL_EUlSZ_E_NS1_11comp_targetILNS1_3genE2ELNS1_11target_archE906ELNS1_3gpuE6ELNS1_3repE0EEENS1_47radix_sort_onesweep_sort_config_static_selectorELNS0_4arch9wavefront6targetE1EEEvSG_.has_indirect_call, 0
	.section	.AMDGPU.csdata,"",@progbits
; Kernel info:
; codeLenInByte = 9836
; TotalNumSgprs: 58
; NumVgprs: 47
; ScratchSize: 32
; MemoryBound: 1
; FloatMode: 240
; IeeeMode: 1
; LDSByteSize: 10280 bytes/workgroup (compile time only)
; SGPRBlocks: 7
; VGPRBlocks: 11
; NumSGPRsForWavesPerEU: 58
; NumVGPRsForWavesPerEU: 47
; Occupancy: 5
; WaveLimiterHint : 1
; COMPUTE_PGM_RSRC2:SCRATCH_EN: 1
; COMPUTE_PGM_RSRC2:USER_SGPR: 6
; COMPUTE_PGM_RSRC2:TRAP_HANDLER: 0
; COMPUTE_PGM_RSRC2:TGID_X_EN: 1
; COMPUTE_PGM_RSRC2:TGID_Y_EN: 0
; COMPUTE_PGM_RSRC2:TGID_Z_EN: 0
; COMPUTE_PGM_RSRC2:TIDIG_COMP_CNT: 2
	.section	.text._ZN7rocprim17ROCPRIM_400000_NS6detail17trampoline_kernelINS0_14default_configENS1_35radix_sort_onesweep_config_selectorIllEEZZNS1_29radix_sort_onesweep_iterationIS3_Lb0EPlS7_N6thrust23THRUST_200600_302600_NS10device_ptrIlEESB_jNS0_19identity_decomposerENS1_16block_id_wrapperIjLb0EEEEE10hipError_tT1_PNSt15iterator_traitsISG_E10value_typeET2_T3_PNSH_ISM_E10value_typeET4_T5_PSR_SS_PNS1_23onesweep_lookback_stateEbbT6_jjT7_P12ihipStream_tbENKUlT_T0_SG_SL_E_clIS7_S7_SB_SB_EEDaSZ_S10_SG_SL_EUlSZ_E_NS1_11comp_targetILNS1_3genE4ELNS1_11target_archE910ELNS1_3gpuE8ELNS1_3repE0EEENS1_47radix_sort_onesweep_sort_config_static_selectorELNS0_4arch9wavefront6targetE1EEEvSG_,"axG",@progbits,_ZN7rocprim17ROCPRIM_400000_NS6detail17trampoline_kernelINS0_14default_configENS1_35radix_sort_onesweep_config_selectorIllEEZZNS1_29radix_sort_onesweep_iterationIS3_Lb0EPlS7_N6thrust23THRUST_200600_302600_NS10device_ptrIlEESB_jNS0_19identity_decomposerENS1_16block_id_wrapperIjLb0EEEEE10hipError_tT1_PNSt15iterator_traitsISG_E10value_typeET2_T3_PNSH_ISM_E10value_typeET4_T5_PSR_SS_PNS1_23onesweep_lookback_stateEbbT6_jjT7_P12ihipStream_tbENKUlT_T0_SG_SL_E_clIS7_S7_SB_SB_EEDaSZ_S10_SG_SL_EUlSZ_E_NS1_11comp_targetILNS1_3genE4ELNS1_11target_archE910ELNS1_3gpuE8ELNS1_3repE0EEENS1_47radix_sort_onesweep_sort_config_static_selectorELNS0_4arch9wavefront6targetE1EEEvSG_,comdat
	.protected	_ZN7rocprim17ROCPRIM_400000_NS6detail17trampoline_kernelINS0_14default_configENS1_35radix_sort_onesweep_config_selectorIllEEZZNS1_29radix_sort_onesweep_iterationIS3_Lb0EPlS7_N6thrust23THRUST_200600_302600_NS10device_ptrIlEESB_jNS0_19identity_decomposerENS1_16block_id_wrapperIjLb0EEEEE10hipError_tT1_PNSt15iterator_traitsISG_E10value_typeET2_T3_PNSH_ISM_E10value_typeET4_T5_PSR_SS_PNS1_23onesweep_lookback_stateEbbT6_jjT7_P12ihipStream_tbENKUlT_T0_SG_SL_E_clIS7_S7_SB_SB_EEDaSZ_S10_SG_SL_EUlSZ_E_NS1_11comp_targetILNS1_3genE4ELNS1_11target_archE910ELNS1_3gpuE8ELNS1_3repE0EEENS1_47radix_sort_onesweep_sort_config_static_selectorELNS0_4arch9wavefront6targetE1EEEvSG_ ; -- Begin function _ZN7rocprim17ROCPRIM_400000_NS6detail17trampoline_kernelINS0_14default_configENS1_35radix_sort_onesweep_config_selectorIllEEZZNS1_29radix_sort_onesweep_iterationIS3_Lb0EPlS7_N6thrust23THRUST_200600_302600_NS10device_ptrIlEESB_jNS0_19identity_decomposerENS1_16block_id_wrapperIjLb0EEEEE10hipError_tT1_PNSt15iterator_traitsISG_E10value_typeET2_T3_PNSH_ISM_E10value_typeET4_T5_PSR_SS_PNS1_23onesweep_lookback_stateEbbT6_jjT7_P12ihipStream_tbENKUlT_T0_SG_SL_E_clIS7_S7_SB_SB_EEDaSZ_S10_SG_SL_EUlSZ_E_NS1_11comp_targetILNS1_3genE4ELNS1_11target_archE910ELNS1_3gpuE8ELNS1_3repE0EEENS1_47radix_sort_onesweep_sort_config_static_selectorELNS0_4arch9wavefront6targetE1EEEvSG_
	.globl	_ZN7rocprim17ROCPRIM_400000_NS6detail17trampoline_kernelINS0_14default_configENS1_35radix_sort_onesweep_config_selectorIllEEZZNS1_29radix_sort_onesweep_iterationIS3_Lb0EPlS7_N6thrust23THRUST_200600_302600_NS10device_ptrIlEESB_jNS0_19identity_decomposerENS1_16block_id_wrapperIjLb0EEEEE10hipError_tT1_PNSt15iterator_traitsISG_E10value_typeET2_T3_PNSH_ISM_E10value_typeET4_T5_PSR_SS_PNS1_23onesweep_lookback_stateEbbT6_jjT7_P12ihipStream_tbENKUlT_T0_SG_SL_E_clIS7_S7_SB_SB_EEDaSZ_S10_SG_SL_EUlSZ_E_NS1_11comp_targetILNS1_3genE4ELNS1_11target_archE910ELNS1_3gpuE8ELNS1_3repE0EEENS1_47radix_sort_onesweep_sort_config_static_selectorELNS0_4arch9wavefront6targetE1EEEvSG_
	.p2align	8
	.type	_ZN7rocprim17ROCPRIM_400000_NS6detail17trampoline_kernelINS0_14default_configENS1_35radix_sort_onesweep_config_selectorIllEEZZNS1_29radix_sort_onesweep_iterationIS3_Lb0EPlS7_N6thrust23THRUST_200600_302600_NS10device_ptrIlEESB_jNS0_19identity_decomposerENS1_16block_id_wrapperIjLb0EEEEE10hipError_tT1_PNSt15iterator_traitsISG_E10value_typeET2_T3_PNSH_ISM_E10value_typeET4_T5_PSR_SS_PNS1_23onesweep_lookback_stateEbbT6_jjT7_P12ihipStream_tbENKUlT_T0_SG_SL_E_clIS7_S7_SB_SB_EEDaSZ_S10_SG_SL_EUlSZ_E_NS1_11comp_targetILNS1_3genE4ELNS1_11target_archE910ELNS1_3gpuE8ELNS1_3repE0EEENS1_47radix_sort_onesweep_sort_config_static_selectorELNS0_4arch9wavefront6targetE1EEEvSG_,@function
_ZN7rocprim17ROCPRIM_400000_NS6detail17trampoline_kernelINS0_14default_configENS1_35radix_sort_onesweep_config_selectorIllEEZZNS1_29radix_sort_onesweep_iterationIS3_Lb0EPlS7_N6thrust23THRUST_200600_302600_NS10device_ptrIlEESB_jNS0_19identity_decomposerENS1_16block_id_wrapperIjLb0EEEEE10hipError_tT1_PNSt15iterator_traitsISG_E10value_typeET2_T3_PNSH_ISM_E10value_typeET4_T5_PSR_SS_PNS1_23onesweep_lookback_stateEbbT6_jjT7_P12ihipStream_tbENKUlT_T0_SG_SL_E_clIS7_S7_SB_SB_EEDaSZ_S10_SG_SL_EUlSZ_E_NS1_11comp_targetILNS1_3genE4ELNS1_11target_archE910ELNS1_3gpuE8ELNS1_3repE0EEENS1_47radix_sort_onesweep_sort_config_static_selectorELNS0_4arch9wavefront6targetE1EEEvSG_: ; @_ZN7rocprim17ROCPRIM_400000_NS6detail17trampoline_kernelINS0_14default_configENS1_35radix_sort_onesweep_config_selectorIllEEZZNS1_29radix_sort_onesweep_iterationIS3_Lb0EPlS7_N6thrust23THRUST_200600_302600_NS10device_ptrIlEESB_jNS0_19identity_decomposerENS1_16block_id_wrapperIjLb0EEEEE10hipError_tT1_PNSt15iterator_traitsISG_E10value_typeET2_T3_PNSH_ISM_E10value_typeET4_T5_PSR_SS_PNS1_23onesweep_lookback_stateEbbT6_jjT7_P12ihipStream_tbENKUlT_T0_SG_SL_E_clIS7_S7_SB_SB_EEDaSZ_S10_SG_SL_EUlSZ_E_NS1_11comp_targetILNS1_3genE4ELNS1_11target_archE910ELNS1_3gpuE8ELNS1_3repE0EEENS1_47radix_sort_onesweep_sort_config_static_selectorELNS0_4arch9wavefront6targetE1EEEvSG_
; %bb.0:
	.section	.rodata,"a",@progbits
	.p2align	6, 0x0
	.amdhsa_kernel _ZN7rocprim17ROCPRIM_400000_NS6detail17trampoline_kernelINS0_14default_configENS1_35radix_sort_onesweep_config_selectorIllEEZZNS1_29radix_sort_onesweep_iterationIS3_Lb0EPlS7_N6thrust23THRUST_200600_302600_NS10device_ptrIlEESB_jNS0_19identity_decomposerENS1_16block_id_wrapperIjLb0EEEEE10hipError_tT1_PNSt15iterator_traitsISG_E10value_typeET2_T3_PNSH_ISM_E10value_typeET4_T5_PSR_SS_PNS1_23onesweep_lookback_stateEbbT6_jjT7_P12ihipStream_tbENKUlT_T0_SG_SL_E_clIS7_S7_SB_SB_EEDaSZ_S10_SG_SL_EUlSZ_E_NS1_11comp_targetILNS1_3genE4ELNS1_11target_archE910ELNS1_3gpuE8ELNS1_3repE0EEENS1_47radix_sort_onesweep_sort_config_static_selectorELNS0_4arch9wavefront6targetE1EEEvSG_
		.amdhsa_group_segment_fixed_size 0
		.amdhsa_private_segment_fixed_size 0
		.amdhsa_kernarg_size 88
		.amdhsa_user_sgpr_count 6
		.amdhsa_user_sgpr_private_segment_buffer 1
		.amdhsa_user_sgpr_dispatch_ptr 0
		.amdhsa_user_sgpr_queue_ptr 0
		.amdhsa_user_sgpr_kernarg_segment_ptr 1
		.amdhsa_user_sgpr_dispatch_id 0
		.amdhsa_user_sgpr_flat_scratch_init 0
		.amdhsa_user_sgpr_private_segment_size 0
		.amdhsa_uses_dynamic_stack 0
		.amdhsa_system_sgpr_private_segment_wavefront_offset 0
		.amdhsa_system_sgpr_workgroup_id_x 1
		.amdhsa_system_sgpr_workgroup_id_y 0
		.amdhsa_system_sgpr_workgroup_id_z 0
		.amdhsa_system_sgpr_workgroup_info 0
		.amdhsa_system_vgpr_workitem_id 0
		.amdhsa_next_free_vgpr 1
		.amdhsa_next_free_sgpr 0
		.amdhsa_reserve_vcc 0
		.amdhsa_reserve_flat_scratch 0
		.amdhsa_float_round_mode_32 0
		.amdhsa_float_round_mode_16_64 0
		.amdhsa_float_denorm_mode_32 3
		.amdhsa_float_denorm_mode_16_64 3
		.amdhsa_dx10_clamp 1
		.amdhsa_ieee_mode 1
		.amdhsa_fp16_overflow 0
		.amdhsa_exception_fp_ieee_invalid_op 0
		.amdhsa_exception_fp_denorm_src 0
		.amdhsa_exception_fp_ieee_div_zero 0
		.amdhsa_exception_fp_ieee_overflow 0
		.amdhsa_exception_fp_ieee_underflow 0
		.amdhsa_exception_fp_ieee_inexact 0
		.amdhsa_exception_int_div_zero 0
	.end_amdhsa_kernel
	.section	.text._ZN7rocprim17ROCPRIM_400000_NS6detail17trampoline_kernelINS0_14default_configENS1_35radix_sort_onesweep_config_selectorIllEEZZNS1_29radix_sort_onesweep_iterationIS3_Lb0EPlS7_N6thrust23THRUST_200600_302600_NS10device_ptrIlEESB_jNS0_19identity_decomposerENS1_16block_id_wrapperIjLb0EEEEE10hipError_tT1_PNSt15iterator_traitsISG_E10value_typeET2_T3_PNSH_ISM_E10value_typeET4_T5_PSR_SS_PNS1_23onesweep_lookback_stateEbbT6_jjT7_P12ihipStream_tbENKUlT_T0_SG_SL_E_clIS7_S7_SB_SB_EEDaSZ_S10_SG_SL_EUlSZ_E_NS1_11comp_targetILNS1_3genE4ELNS1_11target_archE910ELNS1_3gpuE8ELNS1_3repE0EEENS1_47radix_sort_onesweep_sort_config_static_selectorELNS0_4arch9wavefront6targetE1EEEvSG_,"axG",@progbits,_ZN7rocprim17ROCPRIM_400000_NS6detail17trampoline_kernelINS0_14default_configENS1_35radix_sort_onesweep_config_selectorIllEEZZNS1_29radix_sort_onesweep_iterationIS3_Lb0EPlS7_N6thrust23THRUST_200600_302600_NS10device_ptrIlEESB_jNS0_19identity_decomposerENS1_16block_id_wrapperIjLb0EEEEE10hipError_tT1_PNSt15iterator_traitsISG_E10value_typeET2_T3_PNSH_ISM_E10value_typeET4_T5_PSR_SS_PNS1_23onesweep_lookback_stateEbbT6_jjT7_P12ihipStream_tbENKUlT_T0_SG_SL_E_clIS7_S7_SB_SB_EEDaSZ_S10_SG_SL_EUlSZ_E_NS1_11comp_targetILNS1_3genE4ELNS1_11target_archE910ELNS1_3gpuE8ELNS1_3repE0EEENS1_47radix_sort_onesweep_sort_config_static_selectorELNS0_4arch9wavefront6targetE1EEEvSG_,comdat
.Lfunc_end1163:
	.size	_ZN7rocprim17ROCPRIM_400000_NS6detail17trampoline_kernelINS0_14default_configENS1_35radix_sort_onesweep_config_selectorIllEEZZNS1_29radix_sort_onesweep_iterationIS3_Lb0EPlS7_N6thrust23THRUST_200600_302600_NS10device_ptrIlEESB_jNS0_19identity_decomposerENS1_16block_id_wrapperIjLb0EEEEE10hipError_tT1_PNSt15iterator_traitsISG_E10value_typeET2_T3_PNSH_ISM_E10value_typeET4_T5_PSR_SS_PNS1_23onesweep_lookback_stateEbbT6_jjT7_P12ihipStream_tbENKUlT_T0_SG_SL_E_clIS7_S7_SB_SB_EEDaSZ_S10_SG_SL_EUlSZ_E_NS1_11comp_targetILNS1_3genE4ELNS1_11target_archE910ELNS1_3gpuE8ELNS1_3repE0EEENS1_47radix_sort_onesweep_sort_config_static_selectorELNS0_4arch9wavefront6targetE1EEEvSG_, .Lfunc_end1163-_ZN7rocprim17ROCPRIM_400000_NS6detail17trampoline_kernelINS0_14default_configENS1_35radix_sort_onesweep_config_selectorIllEEZZNS1_29radix_sort_onesweep_iterationIS3_Lb0EPlS7_N6thrust23THRUST_200600_302600_NS10device_ptrIlEESB_jNS0_19identity_decomposerENS1_16block_id_wrapperIjLb0EEEEE10hipError_tT1_PNSt15iterator_traitsISG_E10value_typeET2_T3_PNSH_ISM_E10value_typeET4_T5_PSR_SS_PNS1_23onesweep_lookback_stateEbbT6_jjT7_P12ihipStream_tbENKUlT_T0_SG_SL_E_clIS7_S7_SB_SB_EEDaSZ_S10_SG_SL_EUlSZ_E_NS1_11comp_targetILNS1_3genE4ELNS1_11target_archE910ELNS1_3gpuE8ELNS1_3repE0EEENS1_47radix_sort_onesweep_sort_config_static_selectorELNS0_4arch9wavefront6targetE1EEEvSG_
                                        ; -- End function
	.set _ZN7rocprim17ROCPRIM_400000_NS6detail17trampoline_kernelINS0_14default_configENS1_35radix_sort_onesweep_config_selectorIllEEZZNS1_29radix_sort_onesweep_iterationIS3_Lb0EPlS7_N6thrust23THRUST_200600_302600_NS10device_ptrIlEESB_jNS0_19identity_decomposerENS1_16block_id_wrapperIjLb0EEEEE10hipError_tT1_PNSt15iterator_traitsISG_E10value_typeET2_T3_PNSH_ISM_E10value_typeET4_T5_PSR_SS_PNS1_23onesweep_lookback_stateEbbT6_jjT7_P12ihipStream_tbENKUlT_T0_SG_SL_E_clIS7_S7_SB_SB_EEDaSZ_S10_SG_SL_EUlSZ_E_NS1_11comp_targetILNS1_3genE4ELNS1_11target_archE910ELNS1_3gpuE8ELNS1_3repE0EEENS1_47radix_sort_onesweep_sort_config_static_selectorELNS0_4arch9wavefront6targetE1EEEvSG_.num_vgpr, 0
	.set _ZN7rocprim17ROCPRIM_400000_NS6detail17trampoline_kernelINS0_14default_configENS1_35radix_sort_onesweep_config_selectorIllEEZZNS1_29radix_sort_onesweep_iterationIS3_Lb0EPlS7_N6thrust23THRUST_200600_302600_NS10device_ptrIlEESB_jNS0_19identity_decomposerENS1_16block_id_wrapperIjLb0EEEEE10hipError_tT1_PNSt15iterator_traitsISG_E10value_typeET2_T3_PNSH_ISM_E10value_typeET4_T5_PSR_SS_PNS1_23onesweep_lookback_stateEbbT6_jjT7_P12ihipStream_tbENKUlT_T0_SG_SL_E_clIS7_S7_SB_SB_EEDaSZ_S10_SG_SL_EUlSZ_E_NS1_11comp_targetILNS1_3genE4ELNS1_11target_archE910ELNS1_3gpuE8ELNS1_3repE0EEENS1_47radix_sort_onesweep_sort_config_static_selectorELNS0_4arch9wavefront6targetE1EEEvSG_.num_agpr, 0
	.set _ZN7rocprim17ROCPRIM_400000_NS6detail17trampoline_kernelINS0_14default_configENS1_35radix_sort_onesweep_config_selectorIllEEZZNS1_29radix_sort_onesweep_iterationIS3_Lb0EPlS7_N6thrust23THRUST_200600_302600_NS10device_ptrIlEESB_jNS0_19identity_decomposerENS1_16block_id_wrapperIjLb0EEEEE10hipError_tT1_PNSt15iterator_traitsISG_E10value_typeET2_T3_PNSH_ISM_E10value_typeET4_T5_PSR_SS_PNS1_23onesweep_lookback_stateEbbT6_jjT7_P12ihipStream_tbENKUlT_T0_SG_SL_E_clIS7_S7_SB_SB_EEDaSZ_S10_SG_SL_EUlSZ_E_NS1_11comp_targetILNS1_3genE4ELNS1_11target_archE910ELNS1_3gpuE8ELNS1_3repE0EEENS1_47radix_sort_onesweep_sort_config_static_selectorELNS0_4arch9wavefront6targetE1EEEvSG_.numbered_sgpr, 0
	.set _ZN7rocprim17ROCPRIM_400000_NS6detail17trampoline_kernelINS0_14default_configENS1_35radix_sort_onesweep_config_selectorIllEEZZNS1_29radix_sort_onesweep_iterationIS3_Lb0EPlS7_N6thrust23THRUST_200600_302600_NS10device_ptrIlEESB_jNS0_19identity_decomposerENS1_16block_id_wrapperIjLb0EEEEE10hipError_tT1_PNSt15iterator_traitsISG_E10value_typeET2_T3_PNSH_ISM_E10value_typeET4_T5_PSR_SS_PNS1_23onesweep_lookback_stateEbbT6_jjT7_P12ihipStream_tbENKUlT_T0_SG_SL_E_clIS7_S7_SB_SB_EEDaSZ_S10_SG_SL_EUlSZ_E_NS1_11comp_targetILNS1_3genE4ELNS1_11target_archE910ELNS1_3gpuE8ELNS1_3repE0EEENS1_47radix_sort_onesweep_sort_config_static_selectorELNS0_4arch9wavefront6targetE1EEEvSG_.num_named_barrier, 0
	.set _ZN7rocprim17ROCPRIM_400000_NS6detail17trampoline_kernelINS0_14default_configENS1_35radix_sort_onesweep_config_selectorIllEEZZNS1_29radix_sort_onesweep_iterationIS3_Lb0EPlS7_N6thrust23THRUST_200600_302600_NS10device_ptrIlEESB_jNS0_19identity_decomposerENS1_16block_id_wrapperIjLb0EEEEE10hipError_tT1_PNSt15iterator_traitsISG_E10value_typeET2_T3_PNSH_ISM_E10value_typeET4_T5_PSR_SS_PNS1_23onesweep_lookback_stateEbbT6_jjT7_P12ihipStream_tbENKUlT_T0_SG_SL_E_clIS7_S7_SB_SB_EEDaSZ_S10_SG_SL_EUlSZ_E_NS1_11comp_targetILNS1_3genE4ELNS1_11target_archE910ELNS1_3gpuE8ELNS1_3repE0EEENS1_47radix_sort_onesweep_sort_config_static_selectorELNS0_4arch9wavefront6targetE1EEEvSG_.private_seg_size, 0
	.set _ZN7rocprim17ROCPRIM_400000_NS6detail17trampoline_kernelINS0_14default_configENS1_35radix_sort_onesweep_config_selectorIllEEZZNS1_29radix_sort_onesweep_iterationIS3_Lb0EPlS7_N6thrust23THRUST_200600_302600_NS10device_ptrIlEESB_jNS0_19identity_decomposerENS1_16block_id_wrapperIjLb0EEEEE10hipError_tT1_PNSt15iterator_traitsISG_E10value_typeET2_T3_PNSH_ISM_E10value_typeET4_T5_PSR_SS_PNS1_23onesweep_lookback_stateEbbT6_jjT7_P12ihipStream_tbENKUlT_T0_SG_SL_E_clIS7_S7_SB_SB_EEDaSZ_S10_SG_SL_EUlSZ_E_NS1_11comp_targetILNS1_3genE4ELNS1_11target_archE910ELNS1_3gpuE8ELNS1_3repE0EEENS1_47radix_sort_onesweep_sort_config_static_selectorELNS0_4arch9wavefront6targetE1EEEvSG_.uses_vcc, 0
	.set _ZN7rocprim17ROCPRIM_400000_NS6detail17trampoline_kernelINS0_14default_configENS1_35radix_sort_onesweep_config_selectorIllEEZZNS1_29radix_sort_onesweep_iterationIS3_Lb0EPlS7_N6thrust23THRUST_200600_302600_NS10device_ptrIlEESB_jNS0_19identity_decomposerENS1_16block_id_wrapperIjLb0EEEEE10hipError_tT1_PNSt15iterator_traitsISG_E10value_typeET2_T3_PNSH_ISM_E10value_typeET4_T5_PSR_SS_PNS1_23onesweep_lookback_stateEbbT6_jjT7_P12ihipStream_tbENKUlT_T0_SG_SL_E_clIS7_S7_SB_SB_EEDaSZ_S10_SG_SL_EUlSZ_E_NS1_11comp_targetILNS1_3genE4ELNS1_11target_archE910ELNS1_3gpuE8ELNS1_3repE0EEENS1_47radix_sort_onesweep_sort_config_static_selectorELNS0_4arch9wavefront6targetE1EEEvSG_.uses_flat_scratch, 0
	.set _ZN7rocprim17ROCPRIM_400000_NS6detail17trampoline_kernelINS0_14default_configENS1_35radix_sort_onesweep_config_selectorIllEEZZNS1_29radix_sort_onesweep_iterationIS3_Lb0EPlS7_N6thrust23THRUST_200600_302600_NS10device_ptrIlEESB_jNS0_19identity_decomposerENS1_16block_id_wrapperIjLb0EEEEE10hipError_tT1_PNSt15iterator_traitsISG_E10value_typeET2_T3_PNSH_ISM_E10value_typeET4_T5_PSR_SS_PNS1_23onesweep_lookback_stateEbbT6_jjT7_P12ihipStream_tbENKUlT_T0_SG_SL_E_clIS7_S7_SB_SB_EEDaSZ_S10_SG_SL_EUlSZ_E_NS1_11comp_targetILNS1_3genE4ELNS1_11target_archE910ELNS1_3gpuE8ELNS1_3repE0EEENS1_47radix_sort_onesweep_sort_config_static_selectorELNS0_4arch9wavefront6targetE1EEEvSG_.has_dyn_sized_stack, 0
	.set _ZN7rocprim17ROCPRIM_400000_NS6detail17trampoline_kernelINS0_14default_configENS1_35radix_sort_onesweep_config_selectorIllEEZZNS1_29radix_sort_onesweep_iterationIS3_Lb0EPlS7_N6thrust23THRUST_200600_302600_NS10device_ptrIlEESB_jNS0_19identity_decomposerENS1_16block_id_wrapperIjLb0EEEEE10hipError_tT1_PNSt15iterator_traitsISG_E10value_typeET2_T3_PNSH_ISM_E10value_typeET4_T5_PSR_SS_PNS1_23onesweep_lookback_stateEbbT6_jjT7_P12ihipStream_tbENKUlT_T0_SG_SL_E_clIS7_S7_SB_SB_EEDaSZ_S10_SG_SL_EUlSZ_E_NS1_11comp_targetILNS1_3genE4ELNS1_11target_archE910ELNS1_3gpuE8ELNS1_3repE0EEENS1_47radix_sort_onesweep_sort_config_static_selectorELNS0_4arch9wavefront6targetE1EEEvSG_.has_recursion, 0
	.set _ZN7rocprim17ROCPRIM_400000_NS6detail17trampoline_kernelINS0_14default_configENS1_35radix_sort_onesweep_config_selectorIllEEZZNS1_29radix_sort_onesweep_iterationIS3_Lb0EPlS7_N6thrust23THRUST_200600_302600_NS10device_ptrIlEESB_jNS0_19identity_decomposerENS1_16block_id_wrapperIjLb0EEEEE10hipError_tT1_PNSt15iterator_traitsISG_E10value_typeET2_T3_PNSH_ISM_E10value_typeET4_T5_PSR_SS_PNS1_23onesweep_lookback_stateEbbT6_jjT7_P12ihipStream_tbENKUlT_T0_SG_SL_E_clIS7_S7_SB_SB_EEDaSZ_S10_SG_SL_EUlSZ_E_NS1_11comp_targetILNS1_3genE4ELNS1_11target_archE910ELNS1_3gpuE8ELNS1_3repE0EEENS1_47radix_sort_onesweep_sort_config_static_selectorELNS0_4arch9wavefront6targetE1EEEvSG_.has_indirect_call, 0
	.section	.AMDGPU.csdata,"",@progbits
; Kernel info:
; codeLenInByte = 0
; TotalNumSgprs: 4
; NumVgprs: 0
; ScratchSize: 0
; MemoryBound: 0
; FloatMode: 240
; IeeeMode: 1
; LDSByteSize: 0 bytes/workgroup (compile time only)
; SGPRBlocks: 0
; VGPRBlocks: 0
; NumSGPRsForWavesPerEU: 4
; NumVGPRsForWavesPerEU: 1
; Occupancy: 10
; WaveLimiterHint : 0
; COMPUTE_PGM_RSRC2:SCRATCH_EN: 0
; COMPUTE_PGM_RSRC2:USER_SGPR: 6
; COMPUTE_PGM_RSRC2:TRAP_HANDLER: 0
; COMPUTE_PGM_RSRC2:TGID_X_EN: 1
; COMPUTE_PGM_RSRC2:TGID_Y_EN: 0
; COMPUTE_PGM_RSRC2:TGID_Z_EN: 0
; COMPUTE_PGM_RSRC2:TIDIG_COMP_CNT: 0
	.section	.text._ZN7rocprim17ROCPRIM_400000_NS6detail17trampoline_kernelINS0_14default_configENS1_35radix_sort_onesweep_config_selectorIllEEZZNS1_29radix_sort_onesweep_iterationIS3_Lb0EPlS7_N6thrust23THRUST_200600_302600_NS10device_ptrIlEESB_jNS0_19identity_decomposerENS1_16block_id_wrapperIjLb0EEEEE10hipError_tT1_PNSt15iterator_traitsISG_E10value_typeET2_T3_PNSH_ISM_E10value_typeET4_T5_PSR_SS_PNS1_23onesweep_lookback_stateEbbT6_jjT7_P12ihipStream_tbENKUlT_T0_SG_SL_E_clIS7_S7_SB_SB_EEDaSZ_S10_SG_SL_EUlSZ_E_NS1_11comp_targetILNS1_3genE3ELNS1_11target_archE908ELNS1_3gpuE7ELNS1_3repE0EEENS1_47radix_sort_onesweep_sort_config_static_selectorELNS0_4arch9wavefront6targetE1EEEvSG_,"axG",@progbits,_ZN7rocprim17ROCPRIM_400000_NS6detail17trampoline_kernelINS0_14default_configENS1_35radix_sort_onesweep_config_selectorIllEEZZNS1_29radix_sort_onesweep_iterationIS3_Lb0EPlS7_N6thrust23THRUST_200600_302600_NS10device_ptrIlEESB_jNS0_19identity_decomposerENS1_16block_id_wrapperIjLb0EEEEE10hipError_tT1_PNSt15iterator_traitsISG_E10value_typeET2_T3_PNSH_ISM_E10value_typeET4_T5_PSR_SS_PNS1_23onesweep_lookback_stateEbbT6_jjT7_P12ihipStream_tbENKUlT_T0_SG_SL_E_clIS7_S7_SB_SB_EEDaSZ_S10_SG_SL_EUlSZ_E_NS1_11comp_targetILNS1_3genE3ELNS1_11target_archE908ELNS1_3gpuE7ELNS1_3repE0EEENS1_47radix_sort_onesweep_sort_config_static_selectorELNS0_4arch9wavefront6targetE1EEEvSG_,comdat
	.protected	_ZN7rocprim17ROCPRIM_400000_NS6detail17trampoline_kernelINS0_14default_configENS1_35radix_sort_onesweep_config_selectorIllEEZZNS1_29radix_sort_onesweep_iterationIS3_Lb0EPlS7_N6thrust23THRUST_200600_302600_NS10device_ptrIlEESB_jNS0_19identity_decomposerENS1_16block_id_wrapperIjLb0EEEEE10hipError_tT1_PNSt15iterator_traitsISG_E10value_typeET2_T3_PNSH_ISM_E10value_typeET4_T5_PSR_SS_PNS1_23onesweep_lookback_stateEbbT6_jjT7_P12ihipStream_tbENKUlT_T0_SG_SL_E_clIS7_S7_SB_SB_EEDaSZ_S10_SG_SL_EUlSZ_E_NS1_11comp_targetILNS1_3genE3ELNS1_11target_archE908ELNS1_3gpuE7ELNS1_3repE0EEENS1_47radix_sort_onesweep_sort_config_static_selectorELNS0_4arch9wavefront6targetE1EEEvSG_ ; -- Begin function _ZN7rocprim17ROCPRIM_400000_NS6detail17trampoline_kernelINS0_14default_configENS1_35radix_sort_onesweep_config_selectorIllEEZZNS1_29radix_sort_onesweep_iterationIS3_Lb0EPlS7_N6thrust23THRUST_200600_302600_NS10device_ptrIlEESB_jNS0_19identity_decomposerENS1_16block_id_wrapperIjLb0EEEEE10hipError_tT1_PNSt15iterator_traitsISG_E10value_typeET2_T3_PNSH_ISM_E10value_typeET4_T5_PSR_SS_PNS1_23onesweep_lookback_stateEbbT6_jjT7_P12ihipStream_tbENKUlT_T0_SG_SL_E_clIS7_S7_SB_SB_EEDaSZ_S10_SG_SL_EUlSZ_E_NS1_11comp_targetILNS1_3genE3ELNS1_11target_archE908ELNS1_3gpuE7ELNS1_3repE0EEENS1_47radix_sort_onesweep_sort_config_static_selectorELNS0_4arch9wavefront6targetE1EEEvSG_
	.globl	_ZN7rocprim17ROCPRIM_400000_NS6detail17trampoline_kernelINS0_14default_configENS1_35radix_sort_onesweep_config_selectorIllEEZZNS1_29radix_sort_onesweep_iterationIS3_Lb0EPlS7_N6thrust23THRUST_200600_302600_NS10device_ptrIlEESB_jNS0_19identity_decomposerENS1_16block_id_wrapperIjLb0EEEEE10hipError_tT1_PNSt15iterator_traitsISG_E10value_typeET2_T3_PNSH_ISM_E10value_typeET4_T5_PSR_SS_PNS1_23onesweep_lookback_stateEbbT6_jjT7_P12ihipStream_tbENKUlT_T0_SG_SL_E_clIS7_S7_SB_SB_EEDaSZ_S10_SG_SL_EUlSZ_E_NS1_11comp_targetILNS1_3genE3ELNS1_11target_archE908ELNS1_3gpuE7ELNS1_3repE0EEENS1_47radix_sort_onesweep_sort_config_static_selectorELNS0_4arch9wavefront6targetE1EEEvSG_
	.p2align	8
	.type	_ZN7rocprim17ROCPRIM_400000_NS6detail17trampoline_kernelINS0_14default_configENS1_35radix_sort_onesweep_config_selectorIllEEZZNS1_29radix_sort_onesweep_iterationIS3_Lb0EPlS7_N6thrust23THRUST_200600_302600_NS10device_ptrIlEESB_jNS0_19identity_decomposerENS1_16block_id_wrapperIjLb0EEEEE10hipError_tT1_PNSt15iterator_traitsISG_E10value_typeET2_T3_PNSH_ISM_E10value_typeET4_T5_PSR_SS_PNS1_23onesweep_lookback_stateEbbT6_jjT7_P12ihipStream_tbENKUlT_T0_SG_SL_E_clIS7_S7_SB_SB_EEDaSZ_S10_SG_SL_EUlSZ_E_NS1_11comp_targetILNS1_3genE3ELNS1_11target_archE908ELNS1_3gpuE7ELNS1_3repE0EEENS1_47radix_sort_onesweep_sort_config_static_selectorELNS0_4arch9wavefront6targetE1EEEvSG_,@function
_ZN7rocprim17ROCPRIM_400000_NS6detail17trampoline_kernelINS0_14default_configENS1_35radix_sort_onesweep_config_selectorIllEEZZNS1_29radix_sort_onesweep_iterationIS3_Lb0EPlS7_N6thrust23THRUST_200600_302600_NS10device_ptrIlEESB_jNS0_19identity_decomposerENS1_16block_id_wrapperIjLb0EEEEE10hipError_tT1_PNSt15iterator_traitsISG_E10value_typeET2_T3_PNSH_ISM_E10value_typeET4_T5_PSR_SS_PNS1_23onesweep_lookback_stateEbbT6_jjT7_P12ihipStream_tbENKUlT_T0_SG_SL_E_clIS7_S7_SB_SB_EEDaSZ_S10_SG_SL_EUlSZ_E_NS1_11comp_targetILNS1_3genE3ELNS1_11target_archE908ELNS1_3gpuE7ELNS1_3repE0EEENS1_47radix_sort_onesweep_sort_config_static_selectorELNS0_4arch9wavefront6targetE1EEEvSG_: ; @_ZN7rocprim17ROCPRIM_400000_NS6detail17trampoline_kernelINS0_14default_configENS1_35radix_sort_onesweep_config_selectorIllEEZZNS1_29radix_sort_onesweep_iterationIS3_Lb0EPlS7_N6thrust23THRUST_200600_302600_NS10device_ptrIlEESB_jNS0_19identity_decomposerENS1_16block_id_wrapperIjLb0EEEEE10hipError_tT1_PNSt15iterator_traitsISG_E10value_typeET2_T3_PNSH_ISM_E10value_typeET4_T5_PSR_SS_PNS1_23onesweep_lookback_stateEbbT6_jjT7_P12ihipStream_tbENKUlT_T0_SG_SL_E_clIS7_S7_SB_SB_EEDaSZ_S10_SG_SL_EUlSZ_E_NS1_11comp_targetILNS1_3genE3ELNS1_11target_archE908ELNS1_3gpuE7ELNS1_3repE0EEENS1_47radix_sort_onesweep_sort_config_static_selectorELNS0_4arch9wavefront6targetE1EEEvSG_
; %bb.0:
	.section	.rodata,"a",@progbits
	.p2align	6, 0x0
	.amdhsa_kernel _ZN7rocprim17ROCPRIM_400000_NS6detail17trampoline_kernelINS0_14default_configENS1_35radix_sort_onesweep_config_selectorIllEEZZNS1_29radix_sort_onesweep_iterationIS3_Lb0EPlS7_N6thrust23THRUST_200600_302600_NS10device_ptrIlEESB_jNS0_19identity_decomposerENS1_16block_id_wrapperIjLb0EEEEE10hipError_tT1_PNSt15iterator_traitsISG_E10value_typeET2_T3_PNSH_ISM_E10value_typeET4_T5_PSR_SS_PNS1_23onesweep_lookback_stateEbbT6_jjT7_P12ihipStream_tbENKUlT_T0_SG_SL_E_clIS7_S7_SB_SB_EEDaSZ_S10_SG_SL_EUlSZ_E_NS1_11comp_targetILNS1_3genE3ELNS1_11target_archE908ELNS1_3gpuE7ELNS1_3repE0EEENS1_47radix_sort_onesweep_sort_config_static_selectorELNS0_4arch9wavefront6targetE1EEEvSG_
		.amdhsa_group_segment_fixed_size 0
		.amdhsa_private_segment_fixed_size 0
		.amdhsa_kernarg_size 88
		.amdhsa_user_sgpr_count 6
		.amdhsa_user_sgpr_private_segment_buffer 1
		.amdhsa_user_sgpr_dispatch_ptr 0
		.amdhsa_user_sgpr_queue_ptr 0
		.amdhsa_user_sgpr_kernarg_segment_ptr 1
		.amdhsa_user_sgpr_dispatch_id 0
		.amdhsa_user_sgpr_flat_scratch_init 0
		.amdhsa_user_sgpr_private_segment_size 0
		.amdhsa_uses_dynamic_stack 0
		.amdhsa_system_sgpr_private_segment_wavefront_offset 0
		.amdhsa_system_sgpr_workgroup_id_x 1
		.amdhsa_system_sgpr_workgroup_id_y 0
		.amdhsa_system_sgpr_workgroup_id_z 0
		.amdhsa_system_sgpr_workgroup_info 0
		.amdhsa_system_vgpr_workitem_id 0
		.amdhsa_next_free_vgpr 1
		.amdhsa_next_free_sgpr 0
		.amdhsa_reserve_vcc 0
		.amdhsa_reserve_flat_scratch 0
		.amdhsa_float_round_mode_32 0
		.amdhsa_float_round_mode_16_64 0
		.amdhsa_float_denorm_mode_32 3
		.amdhsa_float_denorm_mode_16_64 3
		.amdhsa_dx10_clamp 1
		.amdhsa_ieee_mode 1
		.amdhsa_fp16_overflow 0
		.amdhsa_exception_fp_ieee_invalid_op 0
		.amdhsa_exception_fp_denorm_src 0
		.amdhsa_exception_fp_ieee_div_zero 0
		.amdhsa_exception_fp_ieee_overflow 0
		.amdhsa_exception_fp_ieee_underflow 0
		.amdhsa_exception_fp_ieee_inexact 0
		.amdhsa_exception_int_div_zero 0
	.end_amdhsa_kernel
	.section	.text._ZN7rocprim17ROCPRIM_400000_NS6detail17trampoline_kernelINS0_14default_configENS1_35radix_sort_onesweep_config_selectorIllEEZZNS1_29radix_sort_onesweep_iterationIS3_Lb0EPlS7_N6thrust23THRUST_200600_302600_NS10device_ptrIlEESB_jNS0_19identity_decomposerENS1_16block_id_wrapperIjLb0EEEEE10hipError_tT1_PNSt15iterator_traitsISG_E10value_typeET2_T3_PNSH_ISM_E10value_typeET4_T5_PSR_SS_PNS1_23onesweep_lookback_stateEbbT6_jjT7_P12ihipStream_tbENKUlT_T0_SG_SL_E_clIS7_S7_SB_SB_EEDaSZ_S10_SG_SL_EUlSZ_E_NS1_11comp_targetILNS1_3genE3ELNS1_11target_archE908ELNS1_3gpuE7ELNS1_3repE0EEENS1_47radix_sort_onesweep_sort_config_static_selectorELNS0_4arch9wavefront6targetE1EEEvSG_,"axG",@progbits,_ZN7rocprim17ROCPRIM_400000_NS6detail17trampoline_kernelINS0_14default_configENS1_35radix_sort_onesweep_config_selectorIllEEZZNS1_29radix_sort_onesweep_iterationIS3_Lb0EPlS7_N6thrust23THRUST_200600_302600_NS10device_ptrIlEESB_jNS0_19identity_decomposerENS1_16block_id_wrapperIjLb0EEEEE10hipError_tT1_PNSt15iterator_traitsISG_E10value_typeET2_T3_PNSH_ISM_E10value_typeET4_T5_PSR_SS_PNS1_23onesweep_lookback_stateEbbT6_jjT7_P12ihipStream_tbENKUlT_T0_SG_SL_E_clIS7_S7_SB_SB_EEDaSZ_S10_SG_SL_EUlSZ_E_NS1_11comp_targetILNS1_3genE3ELNS1_11target_archE908ELNS1_3gpuE7ELNS1_3repE0EEENS1_47radix_sort_onesweep_sort_config_static_selectorELNS0_4arch9wavefront6targetE1EEEvSG_,comdat
.Lfunc_end1164:
	.size	_ZN7rocprim17ROCPRIM_400000_NS6detail17trampoline_kernelINS0_14default_configENS1_35radix_sort_onesweep_config_selectorIllEEZZNS1_29radix_sort_onesweep_iterationIS3_Lb0EPlS7_N6thrust23THRUST_200600_302600_NS10device_ptrIlEESB_jNS0_19identity_decomposerENS1_16block_id_wrapperIjLb0EEEEE10hipError_tT1_PNSt15iterator_traitsISG_E10value_typeET2_T3_PNSH_ISM_E10value_typeET4_T5_PSR_SS_PNS1_23onesweep_lookback_stateEbbT6_jjT7_P12ihipStream_tbENKUlT_T0_SG_SL_E_clIS7_S7_SB_SB_EEDaSZ_S10_SG_SL_EUlSZ_E_NS1_11comp_targetILNS1_3genE3ELNS1_11target_archE908ELNS1_3gpuE7ELNS1_3repE0EEENS1_47radix_sort_onesweep_sort_config_static_selectorELNS0_4arch9wavefront6targetE1EEEvSG_, .Lfunc_end1164-_ZN7rocprim17ROCPRIM_400000_NS6detail17trampoline_kernelINS0_14default_configENS1_35radix_sort_onesweep_config_selectorIllEEZZNS1_29radix_sort_onesweep_iterationIS3_Lb0EPlS7_N6thrust23THRUST_200600_302600_NS10device_ptrIlEESB_jNS0_19identity_decomposerENS1_16block_id_wrapperIjLb0EEEEE10hipError_tT1_PNSt15iterator_traitsISG_E10value_typeET2_T3_PNSH_ISM_E10value_typeET4_T5_PSR_SS_PNS1_23onesweep_lookback_stateEbbT6_jjT7_P12ihipStream_tbENKUlT_T0_SG_SL_E_clIS7_S7_SB_SB_EEDaSZ_S10_SG_SL_EUlSZ_E_NS1_11comp_targetILNS1_3genE3ELNS1_11target_archE908ELNS1_3gpuE7ELNS1_3repE0EEENS1_47radix_sort_onesweep_sort_config_static_selectorELNS0_4arch9wavefront6targetE1EEEvSG_
                                        ; -- End function
	.set _ZN7rocprim17ROCPRIM_400000_NS6detail17trampoline_kernelINS0_14default_configENS1_35radix_sort_onesweep_config_selectorIllEEZZNS1_29radix_sort_onesweep_iterationIS3_Lb0EPlS7_N6thrust23THRUST_200600_302600_NS10device_ptrIlEESB_jNS0_19identity_decomposerENS1_16block_id_wrapperIjLb0EEEEE10hipError_tT1_PNSt15iterator_traitsISG_E10value_typeET2_T3_PNSH_ISM_E10value_typeET4_T5_PSR_SS_PNS1_23onesweep_lookback_stateEbbT6_jjT7_P12ihipStream_tbENKUlT_T0_SG_SL_E_clIS7_S7_SB_SB_EEDaSZ_S10_SG_SL_EUlSZ_E_NS1_11comp_targetILNS1_3genE3ELNS1_11target_archE908ELNS1_3gpuE7ELNS1_3repE0EEENS1_47radix_sort_onesweep_sort_config_static_selectorELNS0_4arch9wavefront6targetE1EEEvSG_.num_vgpr, 0
	.set _ZN7rocprim17ROCPRIM_400000_NS6detail17trampoline_kernelINS0_14default_configENS1_35radix_sort_onesweep_config_selectorIllEEZZNS1_29radix_sort_onesweep_iterationIS3_Lb0EPlS7_N6thrust23THRUST_200600_302600_NS10device_ptrIlEESB_jNS0_19identity_decomposerENS1_16block_id_wrapperIjLb0EEEEE10hipError_tT1_PNSt15iterator_traitsISG_E10value_typeET2_T3_PNSH_ISM_E10value_typeET4_T5_PSR_SS_PNS1_23onesweep_lookback_stateEbbT6_jjT7_P12ihipStream_tbENKUlT_T0_SG_SL_E_clIS7_S7_SB_SB_EEDaSZ_S10_SG_SL_EUlSZ_E_NS1_11comp_targetILNS1_3genE3ELNS1_11target_archE908ELNS1_3gpuE7ELNS1_3repE0EEENS1_47radix_sort_onesweep_sort_config_static_selectorELNS0_4arch9wavefront6targetE1EEEvSG_.num_agpr, 0
	.set _ZN7rocprim17ROCPRIM_400000_NS6detail17trampoline_kernelINS0_14default_configENS1_35radix_sort_onesweep_config_selectorIllEEZZNS1_29radix_sort_onesweep_iterationIS3_Lb0EPlS7_N6thrust23THRUST_200600_302600_NS10device_ptrIlEESB_jNS0_19identity_decomposerENS1_16block_id_wrapperIjLb0EEEEE10hipError_tT1_PNSt15iterator_traitsISG_E10value_typeET2_T3_PNSH_ISM_E10value_typeET4_T5_PSR_SS_PNS1_23onesweep_lookback_stateEbbT6_jjT7_P12ihipStream_tbENKUlT_T0_SG_SL_E_clIS7_S7_SB_SB_EEDaSZ_S10_SG_SL_EUlSZ_E_NS1_11comp_targetILNS1_3genE3ELNS1_11target_archE908ELNS1_3gpuE7ELNS1_3repE0EEENS1_47radix_sort_onesweep_sort_config_static_selectorELNS0_4arch9wavefront6targetE1EEEvSG_.numbered_sgpr, 0
	.set _ZN7rocprim17ROCPRIM_400000_NS6detail17trampoline_kernelINS0_14default_configENS1_35radix_sort_onesweep_config_selectorIllEEZZNS1_29radix_sort_onesweep_iterationIS3_Lb0EPlS7_N6thrust23THRUST_200600_302600_NS10device_ptrIlEESB_jNS0_19identity_decomposerENS1_16block_id_wrapperIjLb0EEEEE10hipError_tT1_PNSt15iterator_traitsISG_E10value_typeET2_T3_PNSH_ISM_E10value_typeET4_T5_PSR_SS_PNS1_23onesweep_lookback_stateEbbT6_jjT7_P12ihipStream_tbENKUlT_T0_SG_SL_E_clIS7_S7_SB_SB_EEDaSZ_S10_SG_SL_EUlSZ_E_NS1_11comp_targetILNS1_3genE3ELNS1_11target_archE908ELNS1_3gpuE7ELNS1_3repE0EEENS1_47radix_sort_onesweep_sort_config_static_selectorELNS0_4arch9wavefront6targetE1EEEvSG_.num_named_barrier, 0
	.set _ZN7rocprim17ROCPRIM_400000_NS6detail17trampoline_kernelINS0_14default_configENS1_35radix_sort_onesweep_config_selectorIllEEZZNS1_29radix_sort_onesweep_iterationIS3_Lb0EPlS7_N6thrust23THRUST_200600_302600_NS10device_ptrIlEESB_jNS0_19identity_decomposerENS1_16block_id_wrapperIjLb0EEEEE10hipError_tT1_PNSt15iterator_traitsISG_E10value_typeET2_T3_PNSH_ISM_E10value_typeET4_T5_PSR_SS_PNS1_23onesweep_lookback_stateEbbT6_jjT7_P12ihipStream_tbENKUlT_T0_SG_SL_E_clIS7_S7_SB_SB_EEDaSZ_S10_SG_SL_EUlSZ_E_NS1_11comp_targetILNS1_3genE3ELNS1_11target_archE908ELNS1_3gpuE7ELNS1_3repE0EEENS1_47radix_sort_onesweep_sort_config_static_selectorELNS0_4arch9wavefront6targetE1EEEvSG_.private_seg_size, 0
	.set _ZN7rocprim17ROCPRIM_400000_NS6detail17trampoline_kernelINS0_14default_configENS1_35radix_sort_onesweep_config_selectorIllEEZZNS1_29radix_sort_onesweep_iterationIS3_Lb0EPlS7_N6thrust23THRUST_200600_302600_NS10device_ptrIlEESB_jNS0_19identity_decomposerENS1_16block_id_wrapperIjLb0EEEEE10hipError_tT1_PNSt15iterator_traitsISG_E10value_typeET2_T3_PNSH_ISM_E10value_typeET4_T5_PSR_SS_PNS1_23onesweep_lookback_stateEbbT6_jjT7_P12ihipStream_tbENKUlT_T0_SG_SL_E_clIS7_S7_SB_SB_EEDaSZ_S10_SG_SL_EUlSZ_E_NS1_11comp_targetILNS1_3genE3ELNS1_11target_archE908ELNS1_3gpuE7ELNS1_3repE0EEENS1_47radix_sort_onesweep_sort_config_static_selectorELNS0_4arch9wavefront6targetE1EEEvSG_.uses_vcc, 0
	.set _ZN7rocprim17ROCPRIM_400000_NS6detail17trampoline_kernelINS0_14default_configENS1_35radix_sort_onesweep_config_selectorIllEEZZNS1_29radix_sort_onesweep_iterationIS3_Lb0EPlS7_N6thrust23THRUST_200600_302600_NS10device_ptrIlEESB_jNS0_19identity_decomposerENS1_16block_id_wrapperIjLb0EEEEE10hipError_tT1_PNSt15iterator_traitsISG_E10value_typeET2_T3_PNSH_ISM_E10value_typeET4_T5_PSR_SS_PNS1_23onesweep_lookback_stateEbbT6_jjT7_P12ihipStream_tbENKUlT_T0_SG_SL_E_clIS7_S7_SB_SB_EEDaSZ_S10_SG_SL_EUlSZ_E_NS1_11comp_targetILNS1_3genE3ELNS1_11target_archE908ELNS1_3gpuE7ELNS1_3repE0EEENS1_47radix_sort_onesweep_sort_config_static_selectorELNS0_4arch9wavefront6targetE1EEEvSG_.uses_flat_scratch, 0
	.set _ZN7rocprim17ROCPRIM_400000_NS6detail17trampoline_kernelINS0_14default_configENS1_35radix_sort_onesweep_config_selectorIllEEZZNS1_29radix_sort_onesweep_iterationIS3_Lb0EPlS7_N6thrust23THRUST_200600_302600_NS10device_ptrIlEESB_jNS0_19identity_decomposerENS1_16block_id_wrapperIjLb0EEEEE10hipError_tT1_PNSt15iterator_traitsISG_E10value_typeET2_T3_PNSH_ISM_E10value_typeET4_T5_PSR_SS_PNS1_23onesweep_lookback_stateEbbT6_jjT7_P12ihipStream_tbENKUlT_T0_SG_SL_E_clIS7_S7_SB_SB_EEDaSZ_S10_SG_SL_EUlSZ_E_NS1_11comp_targetILNS1_3genE3ELNS1_11target_archE908ELNS1_3gpuE7ELNS1_3repE0EEENS1_47radix_sort_onesweep_sort_config_static_selectorELNS0_4arch9wavefront6targetE1EEEvSG_.has_dyn_sized_stack, 0
	.set _ZN7rocprim17ROCPRIM_400000_NS6detail17trampoline_kernelINS0_14default_configENS1_35radix_sort_onesweep_config_selectorIllEEZZNS1_29radix_sort_onesweep_iterationIS3_Lb0EPlS7_N6thrust23THRUST_200600_302600_NS10device_ptrIlEESB_jNS0_19identity_decomposerENS1_16block_id_wrapperIjLb0EEEEE10hipError_tT1_PNSt15iterator_traitsISG_E10value_typeET2_T3_PNSH_ISM_E10value_typeET4_T5_PSR_SS_PNS1_23onesweep_lookback_stateEbbT6_jjT7_P12ihipStream_tbENKUlT_T0_SG_SL_E_clIS7_S7_SB_SB_EEDaSZ_S10_SG_SL_EUlSZ_E_NS1_11comp_targetILNS1_3genE3ELNS1_11target_archE908ELNS1_3gpuE7ELNS1_3repE0EEENS1_47radix_sort_onesweep_sort_config_static_selectorELNS0_4arch9wavefront6targetE1EEEvSG_.has_recursion, 0
	.set _ZN7rocprim17ROCPRIM_400000_NS6detail17trampoline_kernelINS0_14default_configENS1_35radix_sort_onesweep_config_selectorIllEEZZNS1_29radix_sort_onesweep_iterationIS3_Lb0EPlS7_N6thrust23THRUST_200600_302600_NS10device_ptrIlEESB_jNS0_19identity_decomposerENS1_16block_id_wrapperIjLb0EEEEE10hipError_tT1_PNSt15iterator_traitsISG_E10value_typeET2_T3_PNSH_ISM_E10value_typeET4_T5_PSR_SS_PNS1_23onesweep_lookback_stateEbbT6_jjT7_P12ihipStream_tbENKUlT_T0_SG_SL_E_clIS7_S7_SB_SB_EEDaSZ_S10_SG_SL_EUlSZ_E_NS1_11comp_targetILNS1_3genE3ELNS1_11target_archE908ELNS1_3gpuE7ELNS1_3repE0EEENS1_47radix_sort_onesweep_sort_config_static_selectorELNS0_4arch9wavefront6targetE1EEEvSG_.has_indirect_call, 0
	.section	.AMDGPU.csdata,"",@progbits
; Kernel info:
; codeLenInByte = 0
; TotalNumSgprs: 4
; NumVgprs: 0
; ScratchSize: 0
; MemoryBound: 0
; FloatMode: 240
; IeeeMode: 1
; LDSByteSize: 0 bytes/workgroup (compile time only)
; SGPRBlocks: 0
; VGPRBlocks: 0
; NumSGPRsForWavesPerEU: 4
; NumVGPRsForWavesPerEU: 1
; Occupancy: 10
; WaveLimiterHint : 0
; COMPUTE_PGM_RSRC2:SCRATCH_EN: 0
; COMPUTE_PGM_RSRC2:USER_SGPR: 6
; COMPUTE_PGM_RSRC2:TRAP_HANDLER: 0
; COMPUTE_PGM_RSRC2:TGID_X_EN: 1
; COMPUTE_PGM_RSRC2:TGID_Y_EN: 0
; COMPUTE_PGM_RSRC2:TGID_Z_EN: 0
; COMPUTE_PGM_RSRC2:TIDIG_COMP_CNT: 0
	.section	.text._ZN7rocprim17ROCPRIM_400000_NS6detail17trampoline_kernelINS0_14default_configENS1_35radix_sort_onesweep_config_selectorIllEEZZNS1_29radix_sort_onesweep_iterationIS3_Lb0EPlS7_N6thrust23THRUST_200600_302600_NS10device_ptrIlEESB_jNS0_19identity_decomposerENS1_16block_id_wrapperIjLb0EEEEE10hipError_tT1_PNSt15iterator_traitsISG_E10value_typeET2_T3_PNSH_ISM_E10value_typeET4_T5_PSR_SS_PNS1_23onesweep_lookback_stateEbbT6_jjT7_P12ihipStream_tbENKUlT_T0_SG_SL_E_clIS7_S7_SB_SB_EEDaSZ_S10_SG_SL_EUlSZ_E_NS1_11comp_targetILNS1_3genE10ELNS1_11target_archE1201ELNS1_3gpuE5ELNS1_3repE0EEENS1_47radix_sort_onesweep_sort_config_static_selectorELNS0_4arch9wavefront6targetE1EEEvSG_,"axG",@progbits,_ZN7rocprim17ROCPRIM_400000_NS6detail17trampoline_kernelINS0_14default_configENS1_35radix_sort_onesweep_config_selectorIllEEZZNS1_29radix_sort_onesweep_iterationIS3_Lb0EPlS7_N6thrust23THRUST_200600_302600_NS10device_ptrIlEESB_jNS0_19identity_decomposerENS1_16block_id_wrapperIjLb0EEEEE10hipError_tT1_PNSt15iterator_traitsISG_E10value_typeET2_T3_PNSH_ISM_E10value_typeET4_T5_PSR_SS_PNS1_23onesweep_lookback_stateEbbT6_jjT7_P12ihipStream_tbENKUlT_T0_SG_SL_E_clIS7_S7_SB_SB_EEDaSZ_S10_SG_SL_EUlSZ_E_NS1_11comp_targetILNS1_3genE10ELNS1_11target_archE1201ELNS1_3gpuE5ELNS1_3repE0EEENS1_47radix_sort_onesweep_sort_config_static_selectorELNS0_4arch9wavefront6targetE1EEEvSG_,comdat
	.protected	_ZN7rocprim17ROCPRIM_400000_NS6detail17trampoline_kernelINS0_14default_configENS1_35radix_sort_onesweep_config_selectorIllEEZZNS1_29radix_sort_onesweep_iterationIS3_Lb0EPlS7_N6thrust23THRUST_200600_302600_NS10device_ptrIlEESB_jNS0_19identity_decomposerENS1_16block_id_wrapperIjLb0EEEEE10hipError_tT1_PNSt15iterator_traitsISG_E10value_typeET2_T3_PNSH_ISM_E10value_typeET4_T5_PSR_SS_PNS1_23onesweep_lookback_stateEbbT6_jjT7_P12ihipStream_tbENKUlT_T0_SG_SL_E_clIS7_S7_SB_SB_EEDaSZ_S10_SG_SL_EUlSZ_E_NS1_11comp_targetILNS1_3genE10ELNS1_11target_archE1201ELNS1_3gpuE5ELNS1_3repE0EEENS1_47radix_sort_onesweep_sort_config_static_selectorELNS0_4arch9wavefront6targetE1EEEvSG_ ; -- Begin function _ZN7rocprim17ROCPRIM_400000_NS6detail17trampoline_kernelINS0_14default_configENS1_35radix_sort_onesweep_config_selectorIllEEZZNS1_29radix_sort_onesweep_iterationIS3_Lb0EPlS7_N6thrust23THRUST_200600_302600_NS10device_ptrIlEESB_jNS0_19identity_decomposerENS1_16block_id_wrapperIjLb0EEEEE10hipError_tT1_PNSt15iterator_traitsISG_E10value_typeET2_T3_PNSH_ISM_E10value_typeET4_T5_PSR_SS_PNS1_23onesweep_lookback_stateEbbT6_jjT7_P12ihipStream_tbENKUlT_T0_SG_SL_E_clIS7_S7_SB_SB_EEDaSZ_S10_SG_SL_EUlSZ_E_NS1_11comp_targetILNS1_3genE10ELNS1_11target_archE1201ELNS1_3gpuE5ELNS1_3repE0EEENS1_47radix_sort_onesweep_sort_config_static_selectorELNS0_4arch9wavefront6targetE1EEEvSG_
	.globl	_ZN7rocprim17ROCPRIM_400000_NS6detail17trampoline_kernelINS0_14default_configENS1_35radix_sort_onesweep_config_selectorIllEEZZNS1_29radix_sort_onesweep_iterationIS3_Lb0EPlS7_N6thrust23THRUST_200600_302600_NS10device_ptrIlEESB_jNS0_19identity_decomposerENS1_16block_id_wrapperIjLb0EEEEE10hipError_tT1_PNSt15iterator_traitsISG_E10value_typeET2_T3_PNSH_ISM_E10value_typeET4_T5_PSR_SS_PNS1_23onesweep_lookback_stateEbbT6_jjT7_P12ihipStream_tbENKUlT_T0_SG_SL_E_clIS7_S7_SB_SB_EEDaSZ_S10_SG_SL_EUlSZ_E_NS1_11comp_targetILNS1_3genE10ELNS1_11target_archE1201ELNS1_3gpuE5ELNS1_3repE0EEENS1_47radix_sort_onesweep_sort_config_static_selectorELNS0_4arch9wavefront6targetE1EEEvSG_
	.p2align	8
	.type	_ZN7rocprim17ROCPRIM_400000_NS6detail17trampoline_kernelINS0_14default_configENS1_35radix_sort_onesweep_config_selectorIllEEZZNS1_29radix_sort_onesweep_iterationIS3_Lb0EPlS7_N6thrust23THRUST_200600_302600_NS10device_ptrIlEESB_jNS0_19identity_decomposerENS1_16block_id_wrapperIjLb0EEEEE10hipError_tT1_PNSt15iterator_traitsISG_E10value_typeET2_T3_PNSH_ISM_E10value_typeET4_T5_PSR_SS_PNS1_23onesweep_lookback_stateEbbT6_jjT7_P12ihipStream_tbENKUlT_T0_SG_SL_E_clIS7_S7_SB_SB_EEDaSZ_S10_SG_SL_EUlSZ_E_NS1_11comp_targetILNS1_3genE10ELNS1_11target_archE1201ELNS1_3gpuE5ELNS1_3repE0EEENS1_47radix_sort_onesweep_sort_config_static_selectorELNS0_4arch9wavefront6targetE1EEEvSG_,@function
_ZN7rocprim17ROCPRIM_400000_NS6detail17trampoline_kernelINS0_14default_configENS1_35radix_sort_onesweep_config_selectorIllEEZZNS1_29radix_sort_onesweep_iterationIS3_Lb0EPlS7_N6thrust23THRUST_200600_302600_NS10device_ptrIlEESB_jNS0_19identity_decomposerENS1_16block_id_wrapperIjLb0EEEEE10hipError_tT1_PNSt15iterator_traitsISG_E10value_typeET2_T3_PNSH_ISM_E10value_typeET4_T5_PSR_SS_PNS1_23onesweep_lookback_stateEbbT6_jjT7_P12ihipStream_tbENKUlT_T0_SG_SL_E_clIS7_S7_SB_SB_EEDaSZ_S10_SG_SL_EUlSZ_E_NS1_11comp_targetILNS1_3genE10ELNS1_11target_archE1201ELNS1_3gpuE5ELNS1_3repE0EEENS1_47radix_sort_onesweep_sort_config_static_selectorELNS0_4arch9wavefront6targetE1EEEvSG_: ; @_ZN7rocprim17ROCPRIM_400000_NS6detail17trampoline_kernelINS0_14default_configENS1_35radix_sort_onesweep_config_selectorIllEEZZNS1_29radix_sort_onesweep_iterationIS3_Lb0EPlS7_N6thrust23THRUST_200600_302600_NS10device_ptrIlEESB_jNS0_19identity_decomposerENS1_16block_id_wrapperIjLb0EEEEE10hipError_tT1_PNSt15iterator_traitsISG_E10value_typeET2_T3_PNSH_ISM_E10value_typeET4_T5_PSR_SS_PNS1_23onesweep_lookback_stateEbbT6_jjT7_P12ihipStream_tbENKUlT_T0_SG_SL_E_clIS7_S7_SB_SB_EEDaSZ_S10_SG_SL_EUlSZ_E_NS1_11comp_targetILNS1_3genE10ELNS1_11target_archE1201ELNS1_3gpuE5ELNS1_3repE0EEENS1_47radix_sort_onesweep_sort_config_static_selectorELNS0_4arch9wavefront6targetE1EEEvSG_
; %bb.0:
	.section	.rodata,"a",@progbits
	.p2align	6, 0x0
	.amdhsa_kernel _ZN7rocprim17ROCPRIM_400000_NS6detail17trampoline_kernelINS0_14default_configENS1_35radix_sort_onesweep_config_selectorIllEEZZNS1_29radix_sort_onesweep_iterationIS3_Lb0EPlS7_N6thrust23THRUST_200600_302600_NS10device_ptrIlEESB_jNS0_19identity_decomposerENS1_16block_id_wrapperIjLb0EEEEE10hipError_tT1_PNSt15iterator_traitsISG_E10value_typeET2_T3_PNSH_ISM_E10value_typeET4_T5_PSR_SS_PNS1_23onesweep_lookback_stateEbbT6_jjT7_P12ihipStream_tbENKUlT_T0_SG_SL_E_clIS7_S7_SB_SB_EEDaSZ_S10_SG_SL_EUlSZ_E_NS1_11comp_targetILNS1_3genE10ELNS1_11target_archE1201ELNS1_3gpuE5ELNS1_3repE0EEENS1_47radix_sort_onesweep_sort_config_static_selectorELNS0_4arch9wavefront6targetE1EEEvSG_
		.amdhsa_group_segment_fixed_size 0
		.amdhsa_private_segment_fixed_size 0
		.amdhsa_kernarg_size 88
		.amdhsa_user_sgpr_count 6
		.amdhsa_user_sgpr_private_segment_buffer 1
		.amdhsa_user_sgpr_dispatch_ptr 0
		.amdhsa_user_sgpr_queue_ptr 0
		.amdhsa_user_sgpr_kernarg_segment_ptr 1
		.amdhsa_user_sgpr_dispatch_id 0
		.amdhsa_user_sgpr_flat_scratch_init 0
		.amdhsa_user_sgpr_private_segment_size 0
		.amdhsa_uses_dynamic_stack 0
		.amdhsa_system_sgpr_private_segment_wavefront_offset 0
		.amdhsa_system_sgpr_workgroup_id_x 1
		.amdhsa_system_sgpr_workgroup_id_y 0
		.amdhsa_system_sgpr_workgroup_id_z 0
		.amdhsa_system_sgpr_workgroup_info 0
		.amdhsa_system_vgpr_workitem_id 0
		.amdhsa_next_free_vgpr 1
		.amdhsa_next_free_sgpr 0
		.amdhsa_reserve_vcc 0
		.amdhsa_reserve_flat_scratch 0
		.amdhsa_float_round_mode_32 0
		.amdhsa_float_round_mode_16_64 0
		.amdhsa_float_denorm_mode_32 3
		.amdhsa_float_denorm_mode_16_64 3
		.amdhsa_dx10_clamp 1
		.amdhsa_ieee_mode 1
		.amdhsa_fp16_overflow 0
		.amdhsa_exception_fp_ieee_invalid_op 0
		.amdhsa_exception_fp_denorm_src 0
		.amdhsa_exception_fp_ieee_div_zero 0
		.amdhsa_exception_fp_ieee_overflow 0
		.amdhsa_exception_fp_ieee_underflow 0
		.amdhsa_exception_fp_ieee_inexact 0
		.amdhsa_exception_int_div_zero 0
	.end_amdhsa_kernel
	.section	.text._ZN7rocprim17ROCPRIM_400000_NS6detail17trampoline_kernelINS0_14default_configENS1_35radix_sort_onesweep_config_selectorIllEEZZNS1_29radix_sort_onesweep_iterationIS3_Lb0EPlS7_N6thrust23THRUST_200600_302600_NS10device_ptrIlEESB_jNS0_19identity_decomposerENS1_16block_id_wrapperIjLb0EEEEE10hipError_tT1_PNSt15iterator_traitsISG_E10value_typeET2_T3_PNSH_ISM_E10value_typeET4_T5_PSR_SS_PNS1_23onesweep_lookback_stateEbbT6_jjT7_P12ihipStream_tbENKUlT_T0_SG_SL_E_clIS7_S7_SB_SB_EEDaSZ_S10_SG_SL_EUlSZ_E_NS1_11comp_targetILNS1_3genE10ELNS1_11target_archE1201ELNS1_3gpuE5ELNS1_3repE0EEENS1_47radix_sort_onesweep_sort_config_static_selectorELNS0_4arch9wavefront6targetE1EEEvSG_,"axG",@progbits,_ZN7rocprim17ROCPRIM_400000_NS6detail17trampoline_kernelINS0_14default_configENS1_35radix_sort_onesweep_config_selectorIllEEZZNS1_29radix_sort_onesweep_iterationIS3_Lb0EPlS7_N6thrust23THRUST_200600_302600_NS10device_ptrIlEESB_jNS0_19identity_decomposerENS1_16block_id_wrapperIjLb0EEEEE10hipError_tT1_PNSt15iterator_traitsISG_E10value_typeET2_T3_PNSH_ISM_E10value_typeET4_T5_PSR_SS_PNS1_23onesweep_lookback_stateEbbT6_jjT7_P12ihipStream_tbENKUlT_T0_SG_SL_E_clIS7_S7_SB_SB_EEDaSZ_S10_SG_SL_EUlSZ_E_NS1_11comp_targetILNS1_3genE10ELNS1_11target_archE1201ELNS1_3gpuE5ELNS1_3repE0EEENS1_47radix_sort_onesweep_sort_config_static_selectorELNS0_4arch9wavefront6targetE1EEEvSG_,comdat
.Lfunc_end1165:
	.size	_ZN7rocprim17ROCPRIM_400000_NS6detail17trampoline_kernelINS0_14default_configENS1_35radix_sort_onesweep_config_selectorIllEEZZNS1_29radix_sort_onesweep_iterationIS3_Lb0EPlS7_N6thrust23THRUST_200600_302600_NS10device_ptrIlEESB_jNS0_19identity_decomposerENS1_16block_id_wrapperIjLb0EEEEE10hipError_tT1_PNSt15iterator_traitsISG_E10value_typeET2_T3_PNSH_ISM_E10value_typeET4_T5_PSR_SS_PNS1_23onesweep_lookback_stateEbbT6_jjT7_P12ihipStream_tbENKUlT_T0_SG_SL_E_clIS7_S7_SB_SB_EEDaSZ_S10_SG_SL_EUlSZ_E_NS1_11comp_targetILNS1_3genE10ELNS1_11target_archE1201ELNS1_3gpuE5ELNS1_3repE0EEENS1_47radix_sort_onesweep_sort_config_static_selectorELNS0_4arch9wavefront6targetE1EEEvSG_, .Lfunc_end1165-_ZN7rocprim17ROCPRIM_400000_NS6detail17trampoline_kernelINS0_14default_configENS1_35radix_sort_onesweep_config_selectorIllEEZZNS1_29radix_sort_onesweep_iterationIS3_Lb0EPlS7_N6thrust23THRUST_200600_302600_NS10device_ptrIlEESB_jNS0_19identity_decomposerENS1_16block_id_wrapperIjLb0EEEEE10hipError_tT1_PNSt15iterator_traitsISG_E10value_typeET2_T3_PNSH_ISM_E10value_typeET4_T5_PSR_SS_PNS1_23onesweep_lookback_stateEbbT6_jjT7_P12ihipStream_tbENKUlT_T0_SG_SL_E_clIS7_S7_SB_SB_EEDaSZ_S10_SG_SL_EUlSZ_E_NS1_11comp_targetILNS1_3genE10ELNS1_11target_archE1201ELNS1_3gpuE5ELNS1_3repE0EEENS1_47radix_sort_onesweep_sort_config_static_selectorELNS0_4arch9wavefront6targetE1EEEvSG_
                                        ; -- End function
	.set _ZN7rocprim17ROCPRIM_400000_NS6detail17trampoline_kernelINS0_14default_configENS1_35radix_sort_onesweep_config_selectorIllEEZZNS1_29radix_sort_onesweep_iterationIS3_Lb0EPlS7_N6thrust23THRUST_200600_302600_NS10device_ptrIlEESB_jNS0_19identity_decomposerENS1_16block_id_wrapperIjLb0EEEEE10hipError_tT1_PNSt15iterator_traitsISG_E10value_typeET2_T3_PNSH_ISM_E10value_typeET4_T5_PSR_SS_PNS1_23onesweep_lookback_stateEbbT6_jjT7_P12ihipStream_tbENKUlT_T0_SG_SL_E_clIS7_S7_SB_SB_EEDaSZ_S10_SG_SL_EUlSZ_E_NS1_11comp_targetILNS1_3genE10ELNS1_11target_archE1201ELNS1_3gpuE5ELNS1_3repE0EEENS1_47radix_sort_onesweep_sort_config_static_selectorELNS0_4arch9wavefront6targetE1EEEvSG_.num_vgpr, 0
	.set _ZN7rocprim17ROCPRIM_400000_NS6detail17trampoline_kernelINS0_14default_configENS1_35radix_sort_onesweep_config_selectorIllEEZZNS1_29radix_sort_onesweep_iterationIS3_Lb0EPlS7_N6thrust23THRUST_200600_302600_NS10device_ptrIlEESB_jNS0_19identity_decomposerENS1_16block_id_wrapperIjLb0EEEEE10hipError_tT1_PNSt15iterator_traitsISG_E10value_typeET2_T3_PNSH_ISM_E10value_typeET4_T5_PSR_SS_PNS1_23onesweep_lookback_stateEbbT6_jjT7_P12ihipStream_tbENKUlT_T0_SG_SL_E_clIS7_S7_SB_SB_EEDaSZ_S10_SG_SL_EUlSZ_E_NS1_11comp_targetILNS1_3genE10ELNS1_11target_archE1201ELNS1_3gpuE5ELNS1_3repE0EEENS1_47radix_sort_onesweep_sort_config_static_selectorELNS0_4arch9wavefront6targetE1EEEvSG_.num_agpr, 0
	.set _ZN7rocprim17ROCPRIM_400000_NS6detail17trampoline_kernelINS0_14default_configENS1_35radix_sort_onesweep_config_selectorIllEEZZNS1_29radix_sort_onesweep_iterationIS3_Lb0EPlS7_N6thrust23THRUST_200600_302600_NS10device_ptrIlEESB_jNS0_19identity_decomposerENS1_16block_id_wrapperIjLb0EEEEE10hipError_tT1_PNSt15iterator_traitsISG_E10value_typeET2_T3_PNSH_ISM_E10value_typeET4_T5_PSR_SS_PNS1_23onesweep_lookback_stateEbbT6_jjT7_P12ihipStream_tbENKUlT_T0_SG_SL_E_clIS7_S7_SB_SB_EEDaSZ_S10_SG_SL_EUlSZ_E_NS1_11comp_targetILNS1_3genE10ELNS1_11target_archE1201ELNS1_3gpuE5ELNS1_3repE0EEENS1_47radix_sort_onesweep_sort_config_static_selectorELNS0_4arch9wavefront6targetE1EEEvSG_.numbered_sgpr, 0
	.set _ZN7rocprim17ROCPRIM_400000_NS6detail17trampoline_kernelINS0_14default_configENS1_35radix_sort_onesweep_config_selectorIllEEZZNS1_29radix_sort_onesweep_iterationIS3_Lb0EPlS7_N6thrust23THRUST_200600_302600_NS10device_ptrIlEESB_jNS0_19identity_decomposerENS1_16block_id_wrapperIjLb0EEEEE10hipError_tT1_PNSt15iterator_traitsISG_E10value_typeET2_T3_PNSH_ISM_E10value_typeET4_T5_PSR_SS_PNS1_23onesweep_lookback_stateEbbT6_jjT7_P12ihipStream_tbENKUlT_T0_SG_SL_E_clIS7_S7_SB_SB_EEDaSZ_S10_SG_SL_EUlSZ_E_NS1_11comp_targetILNS1_3genE10ELNS1_11target_archE1201ELNS1_3gpuE5ELNS1_3repE0EEENS1_47radix_sort_onesweep_sort_config_static_selectorELNS0_4arch9wavefront6targetE1EEEvSG_.num_named_barrier, 0
	.set _ZN7rocprim17ROCPRIM_400000_NS6detail17trampoline_kernelINS0_14default_configENS1_35radix_sort_onesweep_config_selectorIllEEZZNS1_29radix_sort_onesweep_iterationIS3_Lb0EPlS7_N6thrust23THRUST_200600_302600_NS10device_ptrIlEESB_jNS0_19identity_decomposerENS1_16block_id_wrapperIjLb0EEEEE10hipError_tT1_PNSt15iterator_traitsISG_E10value_typeET2_T3_PNSH_ISM_E10value_typeET4_T5_PSR_SS_PNS1_23onesweep_lookback_stateEbbT6_jjT7_P12ihipStream_tbENKUlT_T0_SG_SL_E_clIS7_S7_SB_SB_EEDaSZ_S10_SG_SL_EUlSZ_E_NS1_11comp_targetILNS1_3genE10ELNS1_11target_archE1201ELNS1_3gpuE5ELNS1_3repE0EEENS1_47radix_sort_onesweep_sort_config_static_selectorELNS0_4arch9wavefront6targetE1EEEvSG_.private_seg_size, 0
	.set _ZN7rocprim17ROCPRIM_400000_NS6detail17trampoline_kernelINS0_14default_configENS1_35radix_sort_onesweep_config_selectorIllEEZZNS1_29radix_sort_onesweep_iterationIS3_Lb0EPlS7_N6thrust23THRUST_200600_302600_NS10device_ptrIlEESB_jNS0_19identity_decomposerENS1_16block_id_wrapperIjLb0EEEEE10hipError_tT1_PNSt15iterator_traitsISG_E10value_typeET2_T3_PNSH_ISM_E10value_typeET4_T5_PSR_SS_PNS1_23onesweep_lookback_stateEbbT6_jjT7_P12ihipStream_tbENKUlT_T0_SG_SL_E_clIS7_S7_SB_SB_EEDaSZ_S10_SG_SL_EUlSZ_E_NS1_11comp_targetILNS1_3genE10ELNS1_11target_archE1201ELNS1_3gpuE5ELNS1_3repE0EEENS1_47radix_sort_onesweep_sort_config_static_selectorELNS0_4arch9wavefront6targetE1EEEvSG_.uses_vcc, 0
	.set _ZN7rocprim17ROCPRIM_400000_NS6detail17trampoline_kernelINS0_14default_configENS1_35radix_sort_onesweep_config_selectorIllEEZZNS1_29radix_sort_onesweep_iterationIS3_Lb0EPlS7_N6thrust23THRUST_200600_302600_NS10device_ptrIlEESB_jNS0_19identity_decomposerENS1_16block_id_wrapperIjLb0EEEEE10hipError_tT1_PNSt15iterator_traitsISG_E10value_typeET2_T3_PNSH_ISM_E10value_typeET4_T5_PSR_SS_PNS1_23onesweep_lookback_stateEbbT6_jjT7_P12ihipStream_tbENKUlT_T0_SG_SL_E_clIS7_S7_SB_SB_EEDaSZ_S10_SG_SL_EUlSZ_E_NS1_11comp_targetILNS1_3genE10ELNS1_11target_archE1201ELNS1_3gpuE5ELNS1_3repE0EEENS1_47radix_sort_onesweep_sort_config_static_selectorELNS0_4arch9wavefront6targetE1EEEvSG_.uses_flat_scratch, 0
	.set _ZN7rocprim17ROCPRIM_400000_NS6detail17trampoline_kernelINS0_14default_configENS1_35radix_sort_onesweep_config_selectorIllEEZZNS1_29radix_sort_onesweep_iterationIS3_Lb0EPlS7_N6thrust23THRUST_200600_302600_NS10device_ptrIlEESB_jNS0_19identity_decomposerENS1_16block_id_wrapperIjLb0EEEEE10hipError_tT1_PNSt15iterator_traitsISG_E10value_typeET2_T3_PNSH_ISM_E10value_typeET4_T5_PSR_SS_PNS1_23onesweep_lookback_stateEbbT6_jjT7_P12ihipStream_tbENKUlT_T0_SG_SL_E_clIS7_S7_SB_SB_EEDaSZ_S10_SG_SL_EUlSZ_E_NS1_11comp_targetILNS1_3genE10ELNS1_11target_archE1201ELNS1_3gpuE5ELNS1_3repE0EEENS1_47radix_sort_onesweep_sort_config_static_selectorELNS0_4arch9wavefront6targetE1EEEvSG_.has_dyn_sized_stack, 0
	.set _ZN7rocprim17ROCPRIM_400000_NS6detail17trampoline_kernelINS0_14default_configENS1_35radix_sort_onesweep_config_selectorIllEEZZNS1_29radix_sort_onesweep_iterationIS3_Lb0EPlS7_N6thrust23THRUST_200600_302600_NS10device_ptrIlEESB_jNS0_19identity_decomposerENS1_16block_id_wrapperIjLb0EEEEE10hipError_tT1_PNSt15iterator_traitsISG_E10value_typeET2_T3_PNSH_ISM_E10value_typeET4_T5_PSR_SS_PNS1_23onesweep_lookback_stateEbbT6_jjT7_P12ihipStream_tbENKUlT_T0_SG_SL_E_clIS7_S7_SB_SB_EEDaSZ_S10_SG_SL_EUlSZ_E_NS1_11comp_targetILNS1_3genE10ELNS1_11target_archE1201ELNS1_3gpuE5ELNS1_3repE0EEENS1_47radix_sort_onesweep_sort_config_static_selectorELNS0_4arch9wavefront6targetE1EEEvSG_.has_recursion, 0
	.set _ZN7rocprim17ROCPRIM_400000_NS6detail17trampoline_kernelINS0_14default_configENS1_35radix_sort_onesweep_config_selectorIllEEZZNS1_29radix_sort_onesweep_iterationIS3_Lb0EPlS7_N6thrust23THRUST_200600_302600_NS10device_ptrIlEESB_jNS0_19identity_decomposerENS1_16block_id_wrapperIjLb0EEEEE10hipError_tT1_PNSt15iterator_traitsISG_E10value_typeET2_T3_PNSH_ISM_E10value_typeET4_T5_PSR_SS_PNS1_23onesweep_lookback_stateEbbT6_jjT7_P12ihipStream_tbENKUlT_T0_SG_SL_E_clIS7_S7_SB_SB_EEDaSZ_S10_SG_SL_EUlSZ_E_NS1_11comp_targetILNS1_3genE10ELNS1_11target_archE1201ELNS1_3gpuE5ELNS1_3repE0EEENS1_47radix_sort_onesweep_sort_config_static_selectorELNS0_4arch9wavefront6targetE1EEEvSG_.has_indirect_call, 0
	.section	.AMDGPU.csdata,"",@progbits
; Kernel info:
; codeLenInByte = 0
; TotalNumSgprs: 4
; NumVgprs: 0
; ScratchSize: 0
; MemoryBound: 0
; FloatMode: 240
; IeeeMode: 1
; LDSByteSize: 0 bytes/workgroup (compile time only)
; SGPRBlocks: 0
; VGPRBlocks: 0
; NumSGPRsForWavesPerEU: 4
; NumVGPRsForWavesPerEU: 1
; Occupancy: 10
; WaveLimiterHint : 0
; COMPUTE_PGM_RSRC2:SCRATCH_EN: 0
; COMPUTE_PGM_RSRC2:USER_SGPR: 6
; COMPUTE_PGM_RSRC2:TRAP_HANDLER: 0
; COMPUTE_PGM_RSRC2:TGID_X_EN: 1
; COMPUTE_PGM_RSRC2:TGID_Y_EN: 0
; COMPUTE_PGM_RSRC2:TGID_Z_EN: 0
; COMPUTE_PGM_RSRC2:TIDIG_COMP_CNT: 0
	.section	.text._ZN7rocprim17ROCPRIM_400000_NS6detail17trampoline_kernelINS0_14default_configENS1_35radix_sort_onesweep_config_selectorIllEEZZNS1_29radix_sort_onesweep_iterationIS3_Lb0EPlS7_N6thrust23THRUST_200600_302600_NS10device_ptrIlEESB_jNS0_19identity_decomposerENS1_16block_id_wrapperIjLb0EEEEE10hipError_tT1_PNSt15iterator_traitsISG_E10value_typeET2_T3_PNSH_ISM_E10value_typeET4_T5_PSR_SS_PNS1_23onesweep_lookback_stateEbbT6_jjT7_P12ihipStream_tbENKUlT_T0_SG_SL_E_clIS7_S7_SB_SB_EEDaSZ_S10_SG_SL_EUlSZ_E_NS1_11comp_targetILNS1_3genE9ELNS1_11target_archE1100ELNS1_3gpuE3ELNS1_3repE0EEENS1_47radix_sort_onesweep_sort_config_static_selectorELNS0_4arch9wavefront6targetE1EEEvSG_,"axG",@progbits,_ZN7rocprim17ROCPRIM_400000_NS6detail17trampoline_kernelINS0_14default_configENS1_35radix_sort_onesweep_config_selectorIllEEZZNS1_29radix_sort_onesweep_iterationIS3_Lb0EPlS7_N6thrust23THRUST_200600_302600_NS10device_ptrIlEESB_jNS0_19identity_decomposerENS1_16block_id_wrapperIjLb0EEEEE10hipError_tT1_PNSt15iterator_traitsISG_E10value_typeET2_T3_PNSH_ISM_E10value_typeET4_T5_PSR_SS_PNS1_23onesweep_lookback_stateEbbT6_jjT7_P12ihipStream_tbENKUlT_T0_SG_SL_E_clIS7_S7_SB_SB_EEDaSZ_S10_SG_SL_EUlSZ_E_NS1_11comp_targetILNS1_3genE9ELNS1_11target_archE1100ELNS1_3gpuE3ELNS1_3repE0EEENS1_47radix_sort_onesweep_sort_config_static_selectorELNS0_4arch9wavefront6targetE1EEEvSG_,comdat
	.protected	_ZN7rocprim17ROCPRIM_400000_NS6detail17trampoline_kernelINS0_14default_configENS1_35radix_sort_onesweep_config_selectorIllEEZZNS1_29radix_sort_onesweep_iterationIS3_Lb0EPlS7_N6thrust23THRUST_200600_302600_NS10device_ptrIlEESB_jNS0_19identity_decomposerENS1_16block_id_wrapperIjLb0EEEEE10hipError_tT1_PNSt15iterator_traitsISG_E10value_typeET2_T3_PNSH_ISM_E10value_typeET4_T5_PSR_SS_PNS1_23onesweep_lookback_stateEbbT6_jjT7_P12ihipStream_tbENKUlT_T0_SG_SL_E_clIS7_S7_SB_SB_EEDaSZ_S10_SG_SL_EUlSZ_E_NS1_11comp_targetILNS1_3genE9ELNS1_11target_archE1100ELNS1_3gpuE3ELNS1_3repE0EEENS1_47radix_sort_onesweep_sort_config_static_selectorELNS0_4arch9wavefront6targetE1EEEvSG_ ; -- Begin function _ZN7rocprim17ROCPRIM_400000_NS6detail17trampoline_kernelINS0_14default_configENS1_35radix_sort_onesweep_config_selectorIllEEZZNS1_29radix_sort_onesweep_iterationIS3_Lb0EPlS7_N6thrust23THRUST_200600_302600_NS10device_ptrIlEESB_jNS0_19identity_decomposerENS1_16block_id_wrapperIjLb0EEEEE10hipError_tT1_PNSt15iterator_traitsISG_E10value_typeET2_T3_PNSH_ISM_E10value_typeET4_T5_PSR_SS_PNS1_23onesweep_lookback_stateEbbT6_jjT7_P12ihipStream_tbENKUlT_T0_SG_SL_E_clIS7_S7_SB_SB_EEDaSZ_S10_SG_SL_EUlSZ_E_NS1_11comp_targetILNS1_3genE9ELNS1_11target_archE1100ELNS1_3gpuE3ELNS1_3repE0EEENS1_47radix_sort_onesweep_sort_config_static_selectorELNS0_4arch9wavefront6targetE1EEEvSG_
	.globl	_ZN7rocprim17ROCPRIM_400000_NS6detail17trampoline_kernelINS0_14default_configENS1_35radix_sort_onesweep_config_selectorIllEEZZNS1_29radix_sort_onesweep_iterationIS3_Lb0EPlS7_N6thrust23THRUST_200600_302600_NS10device_ptrIlEESB_jNS0_19identity_decomposerENS1_16block_id_wrapperIjLb0EEEEE10hipError_tT1_PNSt15iterator_traitsISG_E10value_typeET2_T3_PNSH_ISM_E10value_typeET4_T5_PSR_SS_PNS1_23onesweep_lookback_stateEbbT6_jjT7_P12ihipStream_tbENKUlT_T0_SG_SL_E_clIS7_S7_SB_SB_EEDaSZ_S10_SG_SL_EUlSZ_E_NS1_11comp_targetILNS1_3genE9ELNS1_11target_archE1100ELNS1_3gpuE3ELNS1_3repE0EEENS1_47radix_sort_onesweep_sort_config_static_selectorELNS0_4arch9wavefront6targetE1EEEvSG_
	.p2align	8
	.type	_ZN7rocprim17ROCPRIM_400000_NS6detail17trampoline_kernelINS0_14default_configENS1_35radix_sort_onesweep_config_selectorIllEEZZNS1_29radix_sort_onesweep_iterationIS3_Lb0EPlS7_N6thrust23THRUST_200600_302600_NS10device_ptrIlEESB_jNS0_19identity_decomposerENS1_16block_id_wrapperIjLb0EEEEE10hipError_tT1_PNSt15iterator_traitsISG_E10value_typeET2_T3_PNSH_ISM_E10value_typeET4_T5_PSR_SS_PNS1_23onesweep_lookback_stateEbbT6_jjT7_P12ihipStream_tbENKUlT_T0_SG_SL_E_clIS7_S7_SB_SB_EEDaSZ_S10_SG_SL_EUlSZ_E_NS1_11comp_targetILNS1_3genE9ELNS1_11target_archE1100ELNS1_3gpuE3ELNS1_3repE0EEENS1_47radix_sort_onesweep_sort_config_static_selectorELNS0_4arch9wavefront6targetE1EEEvSG_,@function
_ZN7rocprim17ROCPRIM_400000_NS6detail17trampoline_kernelINS0_14default_configENS1_35radix_sort_onesweep_config_selectorIllEEZZNS1_29radix_sort_onesweep_iterationIS3_Lb0EPlS7_N6thrust23THRUST_200600_302600_NS10device_ptrIlEESB_jNS0_19identity_decomposerENS1_16block_id_wrapperIjLb0EEEEE10hipError_tT1_PNSt15iterator_traitsISG_E10value_typeET2_T3_PNSH_ISM_E10value_typeET4_T5_PSR_SS_PNS1_23onesweep_lookback_stateEbbT6_jjT7_P12ihipStream_tbENKUlT_T0_SG_SL_E_clIS7_S7_SB_SB_EEDaSZ_S10_SG_SL_EUlSZ_E_NS1_11comp_targetILNS1_3genE9ELNS1_11target_archE1100ELNS1_3gpuE3ELNS1_3repE0EEENS1_47radix_sort_onesweep_sort_config_static_selectorELNS0_4arch9wavefront6targetE1EEEvSG_: ; @_ZN7rocprim17ROCPRIM_400000_NS6detail17trampoline_kernelINS0_14default_configENS1_35radix_sort_onesweep_config_selectorIllEEZZNS1_29radix_sort_onesweep_iterationIS3_Lb0EPlS7_N6thrust23THRUST_200600_302600_NS10device_ptrIlEESB_jNS0_19identity_decomposerENS1_16block_id_wrapperIjLb0EEEEE10hipError_tT1_PNSt15iterator_traitsISG_E10value_typeET2_T3_PNSH_ISM_E10value_typeET4_T5_PSR_SS_PNS1_23onesweep_lookback_stateEbbT6_jjT7_P12ihipStream_tbENKUlT_T0_SG_SL_E_clIS7_S7_SB_SB_EEDaSZ_S10_SG_SL_EUlSZ_E_NS1_11comp_targetILNS1_3genE9ELNS1_11target_archE1100ELNS1_3gpuE3ELNS1_3repE0EEENS1_47radix_sort_onesweep_sort_config_static_selectorELNS0_4arch9wavefront6targetE1EEEvSG_
; %bb.0:
	.section	.rodata,"a",@progbits
	.p2align	6, 0x0
	.amdhsa_kernel _ZN7rocprim17ROCPRIM_400000_NS6detail17trampoline_kernelINS0_14default_configENS1_35radix_sort_onesweep_config_selectorIllEEZZNS1_29radix_sort_onesweep_iterationIS3_Lb0EPlS7_N6thrust23THRUST_200600_302600_NS10device_ptrIlEESB_jNS0_19identity_decomposerENS1_16block_id_wrapperIjLb0EEEEE10hipError_tT1_PNSt15iterator_traitsISG_E10value_typeET2_T3_PNSH_ISM_E10value_typeET4_T5_PSR_SS_PNS1_23onesweep_lookback_stateEbbT6_jjT7_P12ihipStream_tbENKUlT_T0_SG_SL_E_clIS7_S7_SB_SB_EEDaSZ_S10_SG_SL_EUlSZ_E_NS1_11comp_targetILNS1_3genE9ELNS1_11target_archE1100ELNS1_3gpuE3ELNS1_3repE0EEENS1_47radix_sort_onesweep_sort_config_static_selectorELNS0_4arch9wavefront6targetE1EEEvSG_
		.amdhsa_group_segment_fixed_size 0
		.amdhsa_private_segment_fixed_size 0
		.amdhsa_kernarg_size 88
		.amdhsa_user_sgpr_count 6
		.amdhsa_user_sgpr_private_segment_buffer 1
		.amdhsa_user_sgpr_dispatch_ptr 0
		.amdhsa_user_sgpr_queue_ptr 0
		.amdhsa_user_sgpr_kernarg_segment_ptr 1
		.amdhsa_user_sgpr_dispatch_id 0
		.amdhsa_user_sgpr_flat_scratch_init 0
		.amdhsa_user_sgpr_private_segment_size 0
		.amdhsa_uses_dynamic_stack 0
		.amdhsa_system_sgpr_private_segment_wavefront_offset 0
		.amdhsa_system_sgpr_workgroup_id_x 1
		.amdhsa_system_sgpr_workgroup_id_y 0
		.amdhsa_system_sgpr_workgroup_id_z 0
		.amdhsa_system_sgpr_workgroup_info 0
		.amdhsa_system_vgpr_workitem_id 0
		.amdhsa_next_free_vgpr 1
		.amdhsa_next_free_sgpr 0
		.amdhsa_reserve_vcc 0
		.amdhsa_reserve_flat_scratch 0
		.amdhsa_float_round_mode_32 0
		.amdhsa_float_round_mode_16_64 0
		.amdhsa_float_denorm_mode_32 3
		.amdhsa_float_denorm_mode_16_64 3
		.amdhsa_dx10_clamp 1
		.amdhsa_ieee_mode 1
		.amdhsa_fp16_overflow 0
		.amdhsa_exception_fp_ieee_invalid_op 0
		.amdhsa_exception_fp_denorm_src 0
		.amdhsa_exception_fp_ieee_div_zero 0
		.amdhsa_exception_fp_ieee_overflow 0
		.amdhsa_exception_fp_ieee_underflow 0
		.amdhsa_exception_fp_ieee_inexact 0
		.amdhsa_exception_int_div_zero 0
	.end_amdhsa_kernel
	.section	.text._ZN7rocprim17ROCPRIM_400000_NS6detail17trampoline_kernelINS0_14default_configENS1_35radix_sort_onesweep_config_selectorIllEEZZNS1_29radix_sort_onesweep_iterationIS3_Lb0EPlS7_N6thrust23THRUST_200600_302600_NS10device_ptrIlEESB_jNS0_19identity_decomposerENS1_16block_id_wrapperIjLb0EEEEE10hipError_tT1_PNSt15iterator_traitsISG_E10value_typeET2_T3_PNSH_ISM_E10value_typeET4_T5_PSR_SS_PNS1_23onesweep_lookback_stateEbbT6_jjT7_P12ihipStream_tbENKUlT_T0_SG_SL_E_clIS7_S7_SB_SB_EEDaSZ_S10_SG_SL_EUlSZ_E_NS1_11comp_targetILNS1_3genE9ELNS1_11target_archE1100ELNS1_3gpuE3ELNS1_3repE0EEENS1_47radix_sort_onesweep_sort_config_static_selectorELNS0_4arch9wavefront6targetE1EEEvSG_,"axG",@progbits,_ZN7rocprim17ROCPRIM_400000_NS6detail17trampoline_kernelINS0_14default_configENS1_35radix_sort_onesweep_config_selectorIllEEZZNS1_29radix_sort_onesweep_iterationIS3_Lb0EPlS7_N6thrust23THRUST_200600_302600_NS10device_ptrIlEESB_jNS0_19identity_decomposerENS1_16block_id_wrapperIjLb0EEEEE10hipError_tT1_PNSt15iterator_traitsISG_E10value_typeET2_T3_PNSH_ISM_E10value_typeET4_T5_PSR_SS_PNS1_23onesweep_lookback_stateEbbT6_jjT7_P12ihipStream_tbENKUlT_T0_SG_SL_E_clIS7_S7_SB_SB_EEDaSZ_S10_SG_SL_EUlSZ_E_NS1_11comp_targetILNS1_3genE9ELNS1_11target_archE1100ELNS1_3gpuE3ELNS1_3repE0EEENS1_47radix_sort_onesweep_sort_config_static_selectorELNS0_4arch9wavefront6targetE1EEEvSG_,comdat
.Lfunc_end1166:
	.size	_ZN7rocprim17ROCPRIM_400000_NS6detail17trampoline_kernelINS0_14default_configENS1_35radix_sort_onesweep_config_selectorIllEEZZNS1_29radix_sort_onesweep_iterationIS3_Lb0EPlS7_N6thrust23THRUST_200600_302600_NS10device_ptrIlEESB_jNS0_19identity_decomposerENS1_16block_id_wrapperIjLb0EEEEE10hipError_tT1_PNSt15iterator_traitsISG_E10value_typeET2_T3_PNSH_ISM_E10value_typeET4_T5_PSR_SS_PNS1_23onesweep_lookback_stateEbbT6_jjT7_P12ihipStream_tbENKUlT_T0_SG_SL_E_clIS7_S7_SB_SB_EEDaSZ_S10_SG_SL_EUlSZ_E_NS1_11comp_targetILNS1_3genE9ELNS1_11target_archE1100ELNS1_3gpuE3ELNS1_3repE0EEENS1_47radix_sort_onesweep_sort_config_static_selectorELNS0_4arch9wavefront6targetE1EEEvSG_, .Lfunc_end1166-_ZN7rocprim17ROCPRIM_400000_NS6detail17trampoline_kernelINS0_14default_configENS1_35radix_sort_onesweep_config_selectorIllEEZZNS1_29radix_sort_onesweep_iterationIS3_Lb0EPlS7_N6thrust23THRUST_200600_302600_NS10device_ptrIlEESB_jNS0_19identity_decomposerENS1_16block_id_wrapperIjLb0EEEEE10hipError_tT1_PNSt15iterator_traitsISG_E10value_typeET2_T3_PNSH_ISM_E10value_typeET4_T5_PSR_SS_PNS1_23onesweep_lookback_stateEbbT6_jjT7_P12ihipStream_tbENKUlT_T0_SG_SL_E_clIS7_S7_SB_SB_EEDaSZ_S10_SG_SL_EUlSZ_E_NS1_11comp_targetILNS1_3genE9ELNS1_11target_archE1100ELNS1_3gpuE3ELNS1_3repE0EEENS1_47radix_sort_onesweep_sort_config_static_selectorELNS0_4arch9wavefront6targetE1EEEvSG_
                                        ; -- End function
	.set _ZN7rocprim17ROCPRIM_400000_NS6detail17trampoline_kernelINS0_14default_configENS1_35radix_sort_onesweep_config_selectorIllEEZZNS1_29radix_sort_onesweep_iterationIS3_Lb0EPlS7_N6thrust23THRUST_200600_302600_NS10device_ptrIlEESB_jNS0_19identity_decomposerENS1_16block_id_wrapperIjLb0EEEEE10hipError_tT1_PNSt15iterator_traitsISG_E10value_typeET2_T3_PNSH_ISM_E10value_typeET4_T5_PSR_SS_PNS1_23onesweep_lookback_stateEbbT6_jjT7_P12ihipStream_tbENKUlT_T0_SG_SL_E_clIS7_S7_SB_SB_EEDaSZ_S10_SG_SL_EUlSZ_E_NS1_11comp_targetILNS1_3genE9ELNS1_11target_archE1100ELNS1_3gpuE3ELNS1_3repE0EEENS1_47radix_sort_onesweep_sort_config_static_selectorELNS0_4arch9wavefront6targetE1EEEvSG_.num_vgpr, 0
	.set _ZN7rocprim17ROCPRIM_400000_NS6detail17trampoline_kernelINS0_14default_configENS1_35radix_sort_onesweep_config_selectorIllEEZZNS1_29radix_sort_onesweep_iterationIS3_Lb0EPlS7_N6thrust23THRUST_200600_302600_NS10device_ptrIlEESB_jNS0_19identity_decomposerENS1_16block_id_wrapperIjLb0EEEEE10hipError_tT1_PNSt15iterator_traitsISG_E10value_typeET2_T3_PNSH_ISM_E10value_typeET4_T5_PSR_SS_PNS1_23onesweep_lookback_stateEbbT6_jjT7_P12ihipStream_tbENKUlT_T0_SG_SL_E_clIS7_S7_SB_SB_EEDaSZ_S10_SG_SL_EUlSZ_E_NS1_11comp_targetILNS1_3genE9ELNS1_11target_archE1100ELNS1_3gpuE3ELNS1_3repE0EEENS1_47radix_sort_onesweep_sort_config_static_selectorELNS0_4arch9wavefront6targetE1EEEvSG_.num_agpr, 0
	.set _ZN7rocprim17ROCPRIM_400000_NS6detail17trampoline_kernelINS0_14default_configENS1_35radix_sort_onesweep_config_selectorIllEEZZNS1_29radix_sort_onesweep_iterationIS3_Lb0EPlS7_N6thrust23THRUST_200600_302600_NS10device_ptrIlEESB_jNS0_19identity_decomposerENS1_16block_id_wrapperIjLb0EEEEE10hipError_tT1_PNSt15iterator_traitsISG_E10value_typeET2_T3_PNSH_ISM_E10value_typeET4_T5_PSR_SS_PNS1_23onesweep_lookback_stateEbbT6_jjT7_P12ihipStream_tbENKUlT_T0_SG_SL_E_clIS7_S7_SB_SB_EEDaSZ_S10_SG_SL_EUlSZ_E_NS1_11comp_targetILNS1_3genE9ELNS1_11target_archE1100ELNS1_3gpuE3ELNS1_3repE0EEENS1_47radix_sort_onesweep_sort_config_static_selectorELNS0_4arch9wavefront6targetE1EEEvSG_.numbered_sgpr, 0
	.set _ZN7rocprim17ROCPRIM_400000_NS6detail17trampoline_kernelINS0_14default_configENS1_35radix_sort_onesweep_config_selectorIllEEZZNS1_29radix_sort_onesweep_iterationIS3_Lb0EPlS7_N6thrust23THRUST_200600_302600_NS10device_ptrIlEESB_jNS0_19identity_decomposerENS1_16block_id_wrapperIjLb0EEEEE10hipError_tT1_PNSt15iterator_traitsISG_E10value_typeET2_T3_PNSH_ISM_E10value_typeET4_T5_PSR_SS_PNS1_23onesweep_lookback_stateEbbT6_jjT7_P12ihipStream_tbENKUlT_T0_SG_SL_E_clIS7_S7_SB_SB_EEDaSZ_S10_SG_SL_EUlSZ_E_NS1_11comp_targetILNS1_3genE9ELNS1_11target_archE1100ELNS1_3gpuE3ELNS1_3repE0EEENS1_47radix_sort_onesweep_sort_config_static_selectorELNS0_4arch9wavefront6targetE1EEEvSG_.num_named_barrier, 0
	.set _ZN7rocprim17ROCPRIM_400000_NS6detail17trampoline_kernelINS0_14default_configENS1_35radix_sort_onesweep_config_selectorIllEEZZNS1_29radix_sort_onesweep_iterationIS3_Lb0EPlS7_N6thrust23THRUST_200600_302600_NS10device_ptrIlEESB_jNS0_19identity_decomposerENS1_16block_id_wrapperIjLb0EEEEE10hipError_tT1_PNSt15iterator_traitsISG_E10value_typeET2_T3_PNSH_ISM_E10value_typeET4_T5_PSR_SS_PNS1_23onesweep_lookback_stateEbbT6_jjT7_P12ihipStream_tbENKUlT_T0_SG_SL_E_clIS7_S7_SB_SB_EEDaSZ_S10_SG_SL_EUlSZ_E_NS1_11comp_targetILNS1_3genE9ELNS1_11target_archE1100ELNS1_3gpuE3ELNS1_3repE0EEENS1_47radix_sort_onesweep_sort_config_static_selectorELNS0_4arch9wavefront6targetE1EEEvSG_.private_seg_size, 0
	.set _ZN7rocprim17ROCPRIM_400000_NS6detail17trampoline_kernelINS0_14default_configENS1_35radix_sort_onesweep_config_selectorIllEEZZNS1_29radix_sort_onesweep_iterationIS3_Lb0EPlS7_N6thrust23THRUST_200600_302600_NS10device_ptrIlEESB_jNS0_19identity_decomposerENS1_16block_id_wrapperIjLb0EEEEE10hipError_tT1_PNSt15iterator_traitsISG_E10value_typeET2_T3_PNSH_ISM_E10value_typeET4_T5_PSR_SS_PNS1_23onesweep_lookback_stateEbbT6_jjT7_P12ihipStream_tbENKUlT_T0_SG_SL_E_clIS7_S7_SB_SB_EEDaSZ_S10_SG_SL_EUlSZ_E_NS1_11comp_targetILNS1_3genE9ELNS1_11target_archE1100ELNS1_3gpuE3ELNS1_3repE0EEENS1_47radix_sort_onesweep_sort_config_static_selectorELNS0_4arch9wavefront6targetE1EEEvSG_.uses_vcc, 0
	.set _ZN7rocprim17ROCPRIM_400000_NS6detail17trampoline_kernelINS0_14default_configENS1_35radix_sort_onesweep_config_selectorIllEEZZNS1_29radix_sort_onesweep_iterationIS3_Lb0EPlS7_N6thrust23THRUST_200600_302600_NS10device_ptrIlEESB_jNS0_19identity_decomposerENS1_16block_id_wrapperIjLb0EEEEE10hipError_tT1_PNSt15iterator_traitsISG_E10value_typeET2_T3_PNSH_ISM_E10value_typeET4_T5_PSR_SS_PNS1_23onesweep_lookback_stateEbbT6_jjT7_P12ihipStream_tbENKUlT_T0_SG_SL_E_clIS7_S7_SB_SB_EEDaSZ_S10_SG_SL_EUlSZ_E_NS1_11comp_targetILNS1_3genE9ELNS1_11target_archE1100ELNS1_3gpuE3ELNS1_3repE0EEENS1_47radix_sort_onesweep_sort_config_static_selectorELNS0_4arch9wavefront6targetE1EEEvSG_.uses_flat_scratch, 0
	.set _ZN7rocprim17ROCPRIM_400000_NS6detail17trampoline_kernelINS0_14default_configENS1_35radix_sort_onesweep_config_selectorIllEEZZNS1_29radix_sort_onesweep_iterationIS3_Lb0EPlS7_N6thrust23THRUST_200600_302600_NS10device_ptrIlEESB_jNS0_19identity_decomposerENS1_16block_id_wrapperIjLb0EEEEE10hipError_tT1_PNSt15iterator_traitsISG_E10value_typeET2_T3_PNSH_ISM_E10value_typeET4_T5_PSR_SS_PNS1_23onesweep_lookback_stateEbbT6_jjT7_P12ihipStream_tbENKUlT_T0_SG_SL_E_clIS7_S7_SB_SB_EEDaSZ_S10_SG_SL_EUlSZ_E_NS1_11comp_targetILNS1_3genE9ELNS1_11target_archE1100ELNS1_3gpuE3ELNS1_3repE0EEENS1_47radix_sort_onesweep_sort_config_static_selectorELNS0_4arch9wavefront6targetE1EEEvSG_.has_dyn_sized_stack, 0
	.set _ZN7rocprim17ROCPRIM_400000_NS6detail17trampoline_kernelINS0_14default_configENS1_35radix_sort_onesweep_config_selectorIllEEZZNS1_29radix_sort_onesweep_iterationIS3_Lb0EPlS7_N6thrust23THRUST_200600_302600_NS10device_ptrIlEESB_jNS0_19identity_decomposerENS1_16block_id_wrapperIjLb0EEEEE10hipError_tT1_PNSt15iterator_traitsISG_E10value_typeET2_T3_PNSH_ISM_E10value_typeET4_T5_PSR_SS_PNS1_23onesweep_lookback_stateEbbT6_jjT7_P12ihipStream_tbENKUlT_T0_SG_SL_E_clIS7_S7_SB_SB_EEDaSZ_S10_SG_SL_EUlSZ_E_NS1_11comp_targetILNS1_3genE9ELNS1_11target_archE1100ELNS1_3gpuE3ELNS1_3repE0EEENS1_47radix_sort_onesweep_sort_config_static_selectorELNS0_4arch9wavefront6targetE1EEEvSG_.has_recursion, 0
	.set _ZN7rocprim17ROCPRIM_400000_NS6detail17trampoline_kernelINS0_14default_configENS1_35radix_sort_onesweep_config_selectorIllEEZZNS1_29radix_sort_onesweep_iterationIS3_Lb0EPlS7_N6thrust23THRUST_200600_302600_NS10device_ptrIlEESB_jNS0_19identity_decomposerENS1_16block_id_wrapperIjLb0EEEEE10hipError_tT1_PNSt15iterator_traitsISG_E10value_typeET2_T3_PNSH_ISM_E10value_typeET4_T5_PSR_SS_PNS1_23onesweep_lookback_stateEbbT6_jjT7_P12ihipStream_tbENKUlT_T0_SG_SL_E_clIS7_S7_SB_SB_EEDaSZ_S10_SG_SL_EUlSZ_E_NS1_11comp_targetILNS1_3genE9ELNS1_11target_archE1100ELNS1_3gpuE3ELNS1_3repE0EEENS1_47radix_sort_onesweep_sort_config_static_selectorELNS0_4arch9wavefront6targetE1EEEvSG_.has_indirect_call, 0
	.section	.AMDGPU.csdata,"",@progbits
; Kernel info:
; codeLenInByte = 0
; TotalNumSgprs: 4
; NumVgprs: 0
; ScratchSize: 0
; MemoryBound: 0
; FloatMode: 240
; IeeeMode: 1
; LDSByteSize: 0 bytes/workgroup (compile time only)
; SGPRBlocks: 0
; VGPRBlocks: 0
; NumSGPRsForWavesPerEU: 4
; NumVGPRsForWavesPerEU: 1
; Occupancy: 10
; WaveLimiterHint : 0
; COMPUTE_PGM_RSRC2:SCRATCH_EN: 0
; COMPUTE_PGM_RSRC2:USER_SGPR: 6
; COMPUTE_PGM_RSRC2:TRAP_HANDLER: 0
; COMPUTE_PGM_RSRC2:TGID_X_EN: 1
; COMPUTE_PGM_RSRC2:TGID_Y_EN: 0
; COMPUTE_PGM_RSRC2:TGID_Z_EN: 0
; COMPUTE_PGM_RSRC2:TIDIG_COMP_CNT: 0
	.section	.text._ZN7rocprim17ROCPRIM_400000_NS6detail17trampoline_kernelINS0_14default_configENS1_35radix_sort_onesweep_config_selectorIllEEZZNS1_29radix_sort_onesweep_iterationIS3_Lb0EPlS7_N6thrust23THRUST_200600_302600_NS10device_ptrIlEESB_jNS0_19identity_decomposerENS1_16block_id_wrapperIjLb0EEEEE10hipError_tT1_PNSt15iterator_traitsISG_E10value_typeET2_T3_PNSH_ISM_E10value_typeET4_T5_PSR_SS_PNS1_23onesweep_lookback_stateEbbT6_jjT7_P12ihipStream_tbENKUlT_T0_SG_SL_E_clIS7_S7_SB_SB_EEDaSZ_S10_SG_SL_EUlSZ_E_NS1_11comp_targetILNS1_3genE8ELNS1_11target_archE1030ELNS1_3gpuE2ELNS1_3repE0EEENS1_47radix_sort_onesweep_sort_config_static_selectorELNS0_4arch9wavefront6targetE1EEEvSG_,"axG",@progbits,_ZN7rocprim17ROCPRIM_400000_NS6detail17trampoline_kernelINS0_14default_configENS1_35radix_sort_onesweep_config_selectorIllEEZZNS1_29radix_sort_onesweep_iterationIS3_Lb0EPlS7_N6thrust23THRUST_200600_302600_NS10device_ptrIlEESB_jNS0_19identity_decomposerENS1_16block_id_wrapperIjLb0EEEEE10hipError_tT1_PNSt15iterator_traitsISG_E10value_typeET2_T3_PNSH_ISM_E10value_typeET4_T5_PSR_SS_PNS1_23onesweep_lookback_stateEbbT6_jjT7_P12ihipStream_tbENKUlT_T0_SG_SL_E_clIS7_S7_SB_SB_EEDaSZ_S10_SG_SL_EUlSZ_E_NS1_11comp_targetILNS1_3genE8ELNS1_11target_archE1030ELNS1_3gpuE2ELNS1_3repE0EEENS1_47radix_sort_onesweep_sort_config_static_selectorELNS0_4arch9wavefront6targetE1EEEvSG_,comdat
	.protected	_ZN7rocprim17ROCPRIM_400000_NS6detail17trampoline_kernelINS0_14default_configENS1_35radix_sort_onesweep_config_selectorIllEEZZNS1_29radix_sort_onesweep_iterationIS3_Lb0EPlS7_N6thrust23THRUST_200600_302600_NS10device_ptrIlEESB_jNS0_19identity_decomposerENS1_16block_id_wrapperIjLb0EEEEE10hipError_tT1_PNSt15iterator_traitsISG_E10value_typeET2_T3_PNSH_ISM_E10value_typeET4_T5_PSR_SS_PNS1_23onesweep_lookback_stateEbbT6_jjT7_P12ihipStream_tbENKUlT_T0_SG_SL_E_clIS7_S7_SB_SB_EEDaSZ_S10_SG_SL_EUlSZ_E_NS1_11comp_targetILNS1_3genE8ELNS1_11target_archE1030ELNS1_3gpuE2ELNS1_3repE0EEENS1_47radix_sort_onesweep_sort_config_static_selectorELNS0_4arch9wavefront6targetE1EEEvSG_ ; -- Begin function _ZN7rocprim17ROCPRIM_400000_NS6detail17trampoline_kernelINS0_14default_configENS1_35radix_sort_onesweep_config_selectorIllEEZZNS1_29radix_sort_onesweep_iterationIS3_Lb0EPlS7_N6thrust23THRUST_200600_302600_NS10device_ptrIlEESB_jNS0_19identity_decomposerENS1_16block_id_wrapperIjLb0EEEEE10hipError_tT1_PNSt15iterator_traitsISG_E10value_typeET2_T3_PNSH_ISM_E10value_typeET4_T5_PSR_SS_PNS1_23onesweep_lookback_stateEbbT6_jjT7_P12ihipStream_tbENKUlT_T0_SG_SL_E_clIS7_S7_SB_SB_EEDaSZ_S10_SG_SL_EUlSZ_E_NS1_11comp_targetILNS1_3genE8ELNS1_11target_archE1030ELNS1_3gpuE2ELNS1_3repE0EEENS1_47radix_sort_onesweep_sort_config_static_selectorELNS0_4arch9wavefront6targetE1EEEvSG_
	.globl	_ZN7rocprim17ROCPRIM_400000_NS6detail17trampoline_kernelINS0_14default_configENS1_35radix_sort_onesweep_config_selectorIllEEZZNS1_29radix_sort_onesweep_iterationIS3_Lb0EPlS7_N6thrust23THRUST_200600_302600_NS10device_ptrIlEESB_jNS0_19identity_decomposerENS1_16block_id_wrapperIjLb0EEEEE10hipError_tT1_PNSt15iterator_traitsISG_E10value_typeET2_T3_PNSH_ISM_E10value_typeET4_T5_PSR_SS_PNS1_23onesweep_lookback_stateEbbT6_jjT7_P12ihipStream_tbENKUlT_T0_SG_SL_E_clIS7_S7_SB_SB_EEDaSZ_S10_SG_SL_EUlSZ_E_NS1_11comp_targetILNS1_3genE8ELNS1_11target_archE1030ELNS1_3gpuE2ELNS1_3repE0EEENS1_47radix_sort_onesweep_sort_config_static_selectorELNS0_4arch9wavefront6targetE1EEEvSG_
	.p2align	8
	.type	_ZN7rocprim17ROCPRIM_400000_NS6detail17trampoline_kernelINS0_14default_configENS1_35radix_sort_onesweep_config_selectorIllEEZZNS1_29radix_sort_onesweep_iterationIS3_Lb0EPlS7_N6thrust23THRUST_200600_302600_NS10device_ptrIlEESB_jNS0_19identity_decomposerENS1_16block_id_wrapperIjLb0EEEEE10hipError_tT1_PNSt15iterator_traitsISG_E10value_typeET2_T3_PNSH_ISM_E10value_typeET4_T5_PSR_SS_PNS1_23onesweep_lookback_stateEbbT6_jjT7_P12ihipStream_tbENKUlT_T0_SG_SL_E_clIS7_S7_SB_SB_EEDaSZ_S10_SG_SL_EUlSZ_E_NS1_11comp_targetILNS1_3genE8ELNS1_11target_archE1030ELNS1_3gpuE2ELNS1_3repE0EEENS1_47radix_sort_onesweep_sort_config_static_selectorELNS0_4arch9wavefront6targetE1EEEvSG_,@function
_ZN7rocprim17ROCPRIM_400000_NS6detail17trampoline_kernelINS0_14default_configENS1_35radix_sort_onesweep_config_selectorIllEEZZNS1_29radix_sort_onesweep_iterationIS3_Lb0EPlS7_N6thrust23THRUST_200600_302600_NS10device_ptrIlEESB_jNS0_19identity_decomposerENS1_16block_id_wrapperIjLb0EEEEE10hipError_tT1_PNSt15iterator_traitsISG_E10value_typeET2_T3_PNSH_ISM_E10value_typeET4_T5_PSR_SS_PNS1_23onesweep_lookback_stateEbbT6_jjT7_P12ihipStream_tbENKUlT_T0_SG_SL_E_clIS7_S7_SB_SB_EEDaSZ_S10_SG_SL_EUlSZ_E_NS1_11comp_targetILNS1_3genE8ELNS1_11target_archE1030ELNS1_3gpuE2ELNS1_3repE0EEENS1_47radix_sort_onesweep_sort_config_static_selectorELNS0_4arch9wavefront6targetE1EEEvSG_: ; @_ZN7rocprim17ROCPRIM_400000_NS6detail17trampoline_kernelINS0_14default_configENS1_35radix_sort_onesweep_config_selectorIllEEZZNS1_29radix_sort_onesweep_iterationIS3_Lb0EPlS7_N6thrust23THRUST_200600_302600_NS10device_ptrIlEESB_jNS0_19identity_decomposerENS1_16block_id_wrapperIjLb0EEEEE10hipError_tT1_PNSt15iterator_traitsISG_E10value_typeET2_T3_PNSH_ISM_E10value_typeET4_T5_PSR_SS_PNS1_23onesweep_lookback_stateEbbT6_jjT7_P12ihipStream_tbENKUlT_T0_SG_SL_E_clIS7_S7_SB_SB_EEDaSZ_S10_SG_SL_EUlSZ_E_NS1_11comp_targetILNS1_3genE8ELNS1_11target_archE1030ELNS1_3gpuE2ELNS1_3repE0EEENS1_47radix_sort_onesweep_sort_config_static_selectorELNS0_4arch9wavefront6targetE1EEEvSG_
; %bb.0:
	.section	.rodata,"a",@progbits
	.p2align	6, 0x0
	.amdhsa_kernel _ZN7rocprim17ROCPRIM_400000_NS6detail17trampoline_kernelINS0_14default_configENS1_35radix_sort_onesweep_config_selectorIllEEZZNS1_29radix_sort_onesweep_iterationIS3_Lb0EPlS7_N6thrust23THRUST_200600_302600_NS10device_ptrIlEESB_jNS0_19identity_decomposerENS1_16block_id_wrapperIjLb0EEEEE10hipError_tT1_PNSt15iterator_traitsISG_E10value_typeET2_T3_PNSH_ISM_E10value_typeET4_T5_PSR_SS_PNS1_23onesweep_lookback_stateEbbT6_jjT7_P12ihipStream_tbENKUlT_T0_SG_SL_E_clIS7_S7_SB_SB_EEDaSZ_S10_SG_SL_EUlSZ_E_NS1_11comp_targetILNS1_3genE8ELNS1_11target_archE1030ELNS1_3gpuE2ELNS1_3repE0EEENS1_47radix_sort_onesweep_sort_config_static_selectorELNS0_4arch9wavefront6targetE1EEEvSG_
		.amdhsa_group_segment_fixed_size 0
		.amdhsa_private_segment_fixed_size 0
		.amdhsa_kernarg_size 88
		.amdhsa_user_sgpr_count 6
		.amdhsa_user_sgpr_private_segment_buffer 1
		.amdhsa_user_sgpr_dispatch_ptr 0
		.amdhsa_user_sgpr_queue_ptr 0
		.amdhsa_user_sgpr_kernarg_segment_ptr 1
		.amdhsa_user_sgpr_dispatch_id 0
		.amdhsa_user_sgpr_flat_scratch_init 0
		.amdhsa_user_sgpr_private_segment_size 0
		.amdhsa_uses_dynamic_stack 0
		.amdhsa_system_sgpr_private_segment_wavefront_offset 0
		.amdhsa_system_sgpr_workgroup_id_x 1
		.amdhsa_system_sgpr_workgroup_id_y 0
		.amdhsa_system_sgpr_workgroup_id_z 0
		.amdhsa_system_sgpr_workgroup_info 0
		.amdhsa_system_vgpr_workitem_id 0
		.amdhsa_next_free_vgpr 1
		.amdhsa_next_free_sgpr 0
		.amdhsa_reserve_vcc 0
		.amdhsa_reserve_flat_scratch 0
		.amdhsa_float_round_mode_32 0
		.amdhsa_float_round_mode_16_64 0
		.amdhsa_float_denorm_mode_32 3
		.amdhsa_float_denorm_mode_16_64 3
		.amdhsa_dx10_clamp 1
		.amdhsa_ieee_mode 1
		.amdhsa_fp16_overflow 0
		.amdhsa_exception_fp_ieee_invalid_op 0
		.amdhsa_exception_fp_denorm_src 0
		.amdhsa_exception_fp_ieee_div_zero 0
		.amdhsa_exception_fp_ieee_overflow 0
		.amdhsa_exception_fp_ieee_underflow 0
		.amdhsa_exception_fp_ieee_inexact 0
		.amdhsa_exception_int_div_zero 0
	.end_amdhsa_kernel
	.section	.text._ZN7rocprim17ROCPRIM_400000_NS6detail17trampoline_kernelINS0_14default_configENS1_35radix_sort_onesweep_config_selectorIllEEZZNS1_29radix_sort_onesweep_iterationIS3_Lb0EPlS7_N6thrust23THRUST_200600_302600_NS10device_ptrIlEESB_jNS0_19identity_decomposerENS1_16block_id_wrapperIjLb0EEEEE10hipError_tT1_PNSt15iterator_traitsISG_E10value_typeET2_T3_PNSH_ISM_E10value_typeET4_T5_PSR_SS_PNS1_23onesweep_lookback_stateEbbT6_jjT7_P12ihipStream_tbENKUlT_T0_SG_SL_E_clIS7_S7_SB_SB_EEDaSZ_S10_SG_SL_EUlSZ_E_NS1_11comp_targetILNS1_3genE8ELNS1_11target_archE1030ELNS1_3gpuE2ELNS1_3repE0EEENS1_47radix_sort_onesweep_sort_config_static_selectorELNS0_4arch9wavefront6targetE1EEEvSG_,"axG",@progbits,_ZN7rocprim17ROCPRIM_400000_NS6detail17trampoline_kernelINS0_14default_configENS1_35radix_sort_onesweep_config_selectorIllEEZZNS1_29radix_sort_onesweep_iterationIS3_Lb0EPlS7_N6thrust23THRUST_200600_302600_NS10device_ptrIlEESB_jNS0_19identity_decomposerENS1_16block_id_wrapperIjLb0EEEEE10hipError_tT1_PNSt15iterator_traitsISG_E10value_typeET2_T3_PNSH_ISM_E10value_typeET4_T5_PSR_SS_PNS1_23onesweep_lookback_stateEbbT6_jjT7_P12ihipStream_tbENKUlT_T0_SG_SL_E_clIS7_S7_SB_SB_EEDaSZ_S10_SG_SL_EUlSZ_E_NS1_11comp_targetILNS1_3genE8ELNS1_11target_archE1030ELNS1_3gpuE2ELNS1_3repE0EEENS1_47radix_sort_onesweep_sort_config_static_selectorELNS0_4arch9wavefront6targetE1EEEvSG_,comdat
.Lfunc_end1167:
	.size	_ZN7rocprim17ROCPRIM_400000_NS6detail17trampoline_kernelINS0_14default_configENS1_35radix_sort_onesweep_config_selectorIllEEZZNS1_29radix_sort_onesweep_iterationIS3_Lb0EPlS7_N6thrust23THRUST_200600_302600_NS10device_ptrIlEESB_jNS0_19identity_decomposerENS1_16block_id_wrapperIjLb0EEEEE10hipError_tT1_PNSt15iterator_traitsISG_E10value_typeET2_T3_PNSH_ISM_E10value_typeET4_T5_PSR_SS_PNS1_23onesweep_lookback_stateEbbT6_jjT7_P12ihipStream_tbENKUlT_T0_SG_SL_E_clIS7_S7_SB_SB_EEDaSZ_S10_SG_SL_EUlSZ_E_NS1_11comp_targetILNS1_3genE8ELNS1_11target_archE1030ELNS1_3gpuE2ELNS1_3repE0EEENS1_47radix_sort_onesweep_sort_config_static_selectorELNS0_4arch9wavefront6targetE1EEEvSG_, .Lfunc_end1167-_ZN7rocprim17ROCPRIM_400000_NS6detail17trampoline_kernelINS0_14default_configENS1_35radix_sort_onesweep_config_selectorIllEEZZNS1_29radix_sort_onesweep_iterationIS3_Lb0EPlS7_N6thrust23THRUST_200600_302600_NS10device_ptrIlEESB_jNS0_19identity_decomposerENS1_16block_id_wrapperIjLb0EEEEE10hipError_tT1_PNSt15iterator_traitsISG_E10value_typeET2_T3_PNSH_ISM_E10value_typeET4_T5_PSR_SS_PNS1_23onesweep_lookback_stateEbbT6_jjT7_P12ihipStream_tbENKUlT_T0_SG_SL_E_clIS7_S7_SB_SB_EEDaSZ_S10_SG_SL_EUlSZ_E_NS1_11comp_targetILNS1_3genE8ELNS1_11target_archE1030ELNS1_3gpuE2ELNS1_3repE0EEENS1_47radix_sort_onesweep_sort_config_static_selectorELNS0_4arch9wavefront6targetE1EEEvSG_
                                        ; -- End function
	.set _ZN7rocprim17ROCPRIM_400000_NS6detail17trampoline_kernelINS0_14default_configENS1_35radix_sort_onesweep_config_selectorIllEEZZNS1_29radix_sort_onesweep_iterationIS3_Lb0EPlS7_N6thrust23THRUST_200600_302600_NS10device_ptrIlEESB_jNS0_19identity_decomposerENS1_16block_id_wrapperIjLb0EEEEE10hipError_tT1_PNSt15iterator_traitsISG_E10value_typeET2_T3_PNSH_ISM_E10value_typeET4_T5_PSR_SS_PNS1_23onesweep_lookback_stateEbbT6_jjT7_P12ihipStream_tbENKUlT_T0_SG_SL_E_clIS7_S7_SB_SB_EEDaSZ_S10_SG_SL_EUlSZ_E_NS1_11comp_targetILNS1_3genE8ELNS1_11target_archE1030ELNS1_3gpuE2ELNS1_3repE0EEENS1_47radix_sort_onesweep_sort_config_static_selectorELNS0_4arch9wavefront6targetE1EEEvSG_.num_vgpr, 0
	.set _ZN7rocprim17ROCPRIM_400000_NS6detail17trampoline_kernelINS0_14default_configENS1_35radix_sort_onesweep_config_selectorIllEEZZNS1_29radix_sort_onesweep_iterationIS3_Lb0EPlS7_N6thrust23THRUST_200600_302600_NS10device_ptrIlEESB_jNS0_19identity_decomposerENS1_16block_id_wrapperIjLb0EEEEE10hipError_tT1_PNSt15iterator_traitsISG_E10value_typeET2_T3_PNSH_ISM_E10value_typeET4_T5_PSR_SS_PNS1_23onesweep_lookback_stateEbbT6_jjT7_P12ihipStream_tbENKUlT_T0_SG_SL_E_clIS7_S7_SB_SB_EEDaSZ_S10_SG_SL_EUlSZ_E_NS1_11comp_targetILNS1_3genE8ELNS1_11target_archE1030ELNS1_3gpuE2ELNS1_3repE0EEENS1_47radix_sort_onesweep_sort_config_static_selectorELNS0_4arch9wavefront6targetE1EEEvSG_.num_agpr, 0
	.set _ZN7rocprim17ROCPRIM_400000_NS6detail17trampoline_kernelINS0_14default_configENS1_35radix_sort_onesweep_config_selectorIllEEZZNS1_29radix_sort_onesweep_iterationIS3_Lb0EPlS7_N6thrust23THRUST_200600_302600_NS10device_ptrIlEESB_jNS0_19identity_decomposerENS1_16block_id_wrapperIjLb0EEEEE10hipError_tT1_PNSt15iterator_traitsISG_E10value_typeET2_T3_PNSH_ISM_E10value_typeET4_T5_PSR_SS_PNS1_23onesweep_lookback_stateEbbT6_jjT7_P12ihipStream_tbENKUlT_T0_SG_SL_E_clIS7_S7_SB_SB_EEDaSZ_S10_SG_SL_EUlSZ_E_NS1_11comp_targetILNS1_3genE8ELNS1_11target_archE1030ELNS1_3gpuE2ELNS1_3repE0EEENS1_47radix_sort_onesweep_sort_config_static_selectorELNS0_4arch9wavefront6targetE1EEEvSG_.numbered_sgpr, 0
	.set _ZN7rocprim17ROCPRIM_400000_NS6detail17trampoline_kernelINS0_14default_configENS1_35radix_sort_onesweep_config_selectorIllEEZZNS1_29radix_sort_onesweep_iterationIS3_Lb0EPlS7_N6thrust23THRUST_200600_302600_NS10device_ptrIlEESB_jNS0_19identity_decomposerENS1_16block_id_wrapperIjLb0EEEEE10hipError_tT1_PNSt15iterator_traitsISG_E10value_typeET2_T3_PNSH_ISM_E10value_typeET4_T5_PSR_SS_PNS1_23onesweep_lookback_stateEbbT6_jjT7_P12ihipStream_tbENKUlT_T0_SG_SL_E_clIS7_S7_SB_SB_EEDaSZ_S10_SG_SL_EUlSZ_E_NS1_11comp_targetILNS1_3genE8ELNS1_11target_archE1030ELNS1_3gpuE2ELNS1_3repE0EEENS1_47radix_sort_onesweep_sort_config_static_selectorELNS0_4arch9wavefront6targetE1EEEvSG_.num_named_barrier, 0
	.set _ZN7rocprim17ROCPRIM_400000_NS6detail17trampoline_kernelINS0_14default_configENS1_35radix_sort_onesweep_config_selectorIllEEZZNS1_29radix_sort_onesweep_iterationIS3_Lb0EPlS7_N6thrust23THRUST_200600_302600_NS10device_ptrIlEESB_jNS0_19identity_decomposerENS1_16block_id_wrapperIjLb0EEEEE10hipError_tT1_PNSt15iterator_traitsISG_E10value_typeET2_T3_PNSH_ISM_E10value_typeET4_T5_PSR_SS_PNS1_23onesweep_lookback_stateEbbT6_jjT7_P12ihipStream_tbENKUlT_T0_SG_SL_E_clIS7_S7_SB_SB_EEDaSZ_S10_SG_SL_EUlSZ_E_NS1_11comp_targetILNS1_3genE8ELNS1_11target_archE1030ELNS1_3gpuE2ELNS1_3repE0EEENS1_47radix_sort_onesweep_sort_config_static_selectorELNS0_4arch9wavefront6targetE1EEEvSG_.private_seg_size, 0
	.set _ZN7rocprim17ROCPRIM_400000_NS6detail17trampoline_kernelINS0_14default_configENS1_35radix_sort_onesweep_config_selectorIllEEZZNS1_29radix_sort_onesweep_iterationIS3_Lb0EPlS7_N6thrust23THRUST_200600_302600_NS10device_ptrIlEESB_jNS0_19identity_decomposerENS1_16block_id_wrapperIjLb0EEEEE10hipError_tT1_PNSt15iterator_traitsISG_E10value_typeET2_T3_PNSH_ISM_E10value_typeET4_T5_PSR_SS_PNS1_23onesweep_lookback_stateEbbT6_jjT7_P12ihipStream_tbENKUlT_T0_SG_SL_E_clIS7_S7_SB_SB_EEDaSZ_S10_SG_SL_EUlSZ_E_NS1_11comp_targetILNS1_3genE8ELNS1_11target_archE1030ELNS1_3gpuE2ELNS1_3repE0EEENS1_47radix_sort_onesweep_sort_config_static_selectorELNS0_4arch9wavefront6targetE1EEEvSG_.uses_vcc, 0
	.set _ZN7rocprim17ROCPRIM_400000_NS6detail17trampoline_kernelINS0_14default_configENS1_35radix_sort_onesweep_config_selectorIllEEZZNS1_29radix_sort_onesweep_iterationIS3_Lb0EPlS7_N6thrust23THRUST_200600_302600_NS10device_ptrIlEESB_jNS0_19identity_decomposerENS1_16block_id_wrapperIjLb0EEEEE10hipError_tT1_PNSt15iterator_traitsISG_E10value_typeET2_T3_PNSH_ISM_E10value_typeET4_T5_PSR_SS_PNS1_23onesweep_lookback_stateEbbT6_jjT7_P12ihipStream_tbENKUlT_T0_SG_SL_E_clIS7_S7_SB_SB_EEDaSZ_S10_SG_SL_EUlSZ_E_NS1_11comp_targetILNS1_3genE8ELNS1_11target_archE1030ELNS1_3gpuE2ELNS1_3repE0EEENS1_47radix_sort_onesweep_sort_config_static_selectorELNS0_4arch9wavefront6targetE1EEEvSG_.uses_flat_scratch, 0
	.set _ZN7rocprim17ROCPRIM_400000_NS6detail17trampoline_kernelINS0_14default_configENS1_35radix_sort_onesweep_config_selectorIllEEZZNS1_29radix_sort_onesweep_iterationIS3_Lb0EPlS7_N6thrust23THRUST_200600_302600_NS10device_ptrIlEESB_jNS0_19identity_decomposerENS1_16block_id_wrapperIjLb0EEEEE10hipError_tT1_PNSt15iterator_traitsISG_E10value_typeET2_T3_PNSH_ISM_E10value_typeET4_T5_PSR_SS_PNS1_23onesweep_lookback_stateEbbT6_jjT7_P12ihipStream_tbENKUlT_T0_SG_SL_E_clIS7_S7_SB_SB_EEDaSZ_S10_SG_SL_EUlSZ_E_NS1_11comp_targetILNS1_3genE8ELNS1_11target_archE1030ELNS1_3gpuE2ELNS1_3repE0EEENS1_47radix_sort_onesweep_sort_config_static_selectorELNS0_4arch9wavefront6targetE1EEEvSG_.has_dyn_sized_stack, 0
	.set _ZN7rocprim17ROCPRIM_400000_NS6detail17trampoline_kernelINS0_14default_configENS1_35radix_sort_onesweep_config_selectorIllEEZZNS1_29radix_sort_onesweep_iterationIS3_Lb0EPlS7_N6thrust23THRUST_200600_302600_NS10device_ptrIlEESB_jNS0_19identity_decomposerENS1_16block_id_wrapperIjLb0EEEEE10hipError_tT1_PNSt15iterator_traitsISG_E10value_typeET2_T3_PNSH_ISM_E10value_typeET4_T5_PSR_SS_PNS1_23onesweep_lookback_stateEbbT6_jjT7_P12ihipStream_tbENKUlT_T0_SG_SL_E_clIS7_S7_SB_SB_EEDaSZ_S10_SG_SL_EUlSZ_E_NS1_11comp_targetILNS1_3genE8ELNS1_11target_archE1030ELNS1_3gpuE2ELNS1_3repE0EEENS1_47radix_sort_onesweep_sort_config_static_selectorELNS0_4arch9wavefront6targetE1EEEvSG_.has_recursion, 0
	.set _ZN7rocprim17ROCPRIM_400000_NS6detail17trampoline_kernelINS0_14default_configENS1_35radix_sort_onesweep_config_selectorIllEEZZNS1_29radix_sort_onesweep_iterationIS3_Lb0EPlS7_N6thrust23THRUST_200600_302600_NS10device_ptrIlEESB_jNS0_19identity_decomposerENS1_16block_id_wrapperIjLb0EEEEE10hipError_tT1_PNSt15iterator_traitsISG_E10value_typeET2_T3_PNSH_ISM_E10value_typeET4_T5_PSR_SS_PNS1_23onesweep_lookback_stateEbbT6_jjT7_P12ihipStream_tbENKUlT_T0_SG_SL_E_clIS7_S7_SB_SB_EEDaSZ_S10_SG_SL_EUlSZ_E_NS1_11comp_targetILNS1_3genE8ELNS1_11target_archE1030ELNS1_3gpuE2ELNS1_3repE0EEENS1_47radix_sort_onesweep_sort_config_static_selectorELNS0_4arch9wavefront6targetE1EEEvSG_.has_indirect_call, 0
	.section	.AMDGPU.csdata,"",@progbits
; Kernel info:
; codeLenInByte = 0
; TotalNumSgprs: 4
; NumVgprs: 0
; ScratchSize: 0
; MemoryBound: 0
; FloatMode: 240
; IeeeMode: 1
; LDSByteSize: 0 bytes/workgroup (compile time only)
; SGPRBlocks: 0
; VGPRBlocks: 0
; NumSGPRsForWavesPerEU: 4
; NumVGPRsForWavesPerEU: 1
; Occupancy: 10
; WaveLimiterHint : 0
; COMPUTE_PGM_RSRC2:SCRATCH_EN: 0
; COMPUTE_PGM_RSRC2:USER_SGPR: 6
; COMPUTE_PGM_RSRC2:TRAP_HANDLER: 0
; COMPUTE_PGM_RSRC2:TGID_X_EN: 1
; COMPUTE_PGM_RSRC2:TGID_Y_EN: 0
; COMPUTE_PGM_RSRC2:TGID_Z_EN: 0
; COMPUTE_PGM_RSRC2:TIDIG_COMP_CNT: 0
	.section	.text._ZN7rocprim17ROCPRIM_400000_NS6detail17trampoline_kernelINS0_14default_configENS1_35radix_sort_onesweep_config_selectorIllEEZZNS1_29radix_sort_onesweep_iterationIS3_Lb0EPlS7_N6thrust23THRUST_200600_302600_NS10device_ptrIlEESB_jNS0_19identity_decomposerENS1_16block_id_wrapperIjLb0EEEEE10hipError_tT1_PNSt15iterator_traitsISG_E10value_typeET2_T3_PNSH_ISM_E10value_typeET4_T5_PSR_SS_PNS1_23onesweep_lookback_stateEbbT6_jjT7_P12ihipStream_tbENKUlT_T0_SG_SL_E_clIS7_S7_SB_S7_EEDaSZ_S10_SG_SL_EUlSZ_E_NS1_11comp_targetILNS1_3genE0ELNS1_11target_archE4294967295ELNS1_3gpuE0ELNS1_3repE0EEENS1_47radix_sort_onesweep_sort_config_static_selectorELNS0_4arch9wavefront6targetE1EEEvSG_,"axG",@progbits,_ZN7rocprim17ROCPRIM_400000_NS6detail17trampoline_kernelINS0_14default_configENS1_35radix_sort_onesweep_config_selectorIllEEZZNS1_29radix_sort_onesweep_iterationIS3_Lb0EPlS7_N6thrust23THRUST_200600_302600_NS10device_ptrIlEESB_jNS0_19identity_decomposerENS1_16block_id_wrapperIjLb0EEEEE10hipError_tT1_PNSt15iterator_traitsISG_E10value_typeET2_T3_PNSH_ISM_E10value_typeET4_T5_PSR_SS_PNS1_23onesweep_lookback_stateEbbT6_jjT7_P12ihipStream_tbENKUlT_T0_SG_SL_E_clIS7_S7_SB_S7_EEDaSZ_S10_SG_SL_EUlSZ_E_NS1_11comp_targetILNS1_3genE0ELNS1_11target_archE4294967295ELNS1_3gpuE0ELNS1_3repE0EEENS1_47radix_sort_onesweep_sort_config_static_selectorELNS0_4arch9wavefront6targetE1EEEvSG_,comdat
	.protected	_ZN7rocprim17ROCPRIM_400000_NS6detail17trampoline_kernelINS0_14default_configENS1_35radix_sort_onesweep_config_selectorIllEEZZNS1_29radix_sort_onesweep_iterationIS3_Lb0EPlS7_N6thrust23THRUST_200600_302600_NS10device_ptrIlEESB_jNS0_19identity_decomposerENS1_16block_id_wrapperIjLb0EEEEE10hipError_tT1_PNSt15iterator_traitsISG_E10value_typeET2_T3_PNSH_ISM_E10value_typeET4_T5_PSR_SS_PNS1_23onesweep_lookback_stateEbbT6_jjT7_P12ihipStream_tbENKUlT_T0_SG_SL_E_clIS7_S7_SB_S7_EEDaSZ_S10_SG_SL_EUlSZ_E_NS1_11comp_targetILNS1_3genE0ELNS1_11target_archE4294967295ELNS1_3gpuE0ELNS1_3repE0EEENS1_47radix_sort_onesweep_sort_config_static_selectorELNS0_4arch9wavefront6targetE1EEEvSG_ ; -- Begin function _ZN7rocprim17ROCPRIM_400000_NS6detail17trampoline_kernelINS0_14default_configENS1_35radix_sort_onesweep_config_selectorIllEEZZNS1_29radix_sort_onesweep_iterationIS3_Lb0EPlS7_N6thrust23THRUST_200600_302600_NS10device_ptrIlEESB_jNS0_19identity_decomposerENS1_16block_id_wrapperIjLb0EEEEE10hipError_tT1_PNSt15iterator_traitsISG_E10value_typeET2_T3_PNSH_ISM_E10value_typeET4_T5_PSR_SS_PNS1_23onesweep_lookback_stateEbbT6_jjT7_P12ihipStream_tbENKUlT_T0_SG_SL_E_clIS7_S7_SB_S7_EEDaSZ_S10_SG_SL_EUlSZ_E_NS1_11comp_targetILNS1_3genE0ELNS1_11target_archE4294967295ELNS1_3gpuE0ELNS1_3repE0EEENS1_47radix_sort_onesweep_sort_config_static_selectorELNS0_4arch9wavefront6targetE1EEEvSG_
	.globl	_ZN7rocprim17ROCPRIM_400000_NS6detail17trampoline_kernelINS0_14default_configENS1_35radix_sort_onesweep_config_selectorIllEEZZNS1_29radix_sort_onesweep_iterationIS3_Lb0EPlS7_N6thrust23THRUST_200600_302600_NS10device_ptrIlEESB_jNS0_19identity_decomposerENS1_16block_id_wrapperIjLb0EEEEE10hipError_tT1_PNSt15iterator_traitsISG_E10value_typeET2_T3_PNSH_ISM_E10value_typeET4_T5_PSR_SS_PNS1_23onesweep_lookback_stateEbbT6_jjT7_P12ihipStream_tbENKUlT_T0_SG_SL_E_clIS7_S7_SB_S7_EEDaSZ_S10_SG_SL_EUlSZ_E_NS1_11comp_targetILNS1_3genE0ELNS1_11target_archE4294967295ELNS1_3gpuE0ELNS1_3repE0EEENS1_47radix_sort_onesweep_sort_config_static_selectorELNS0_4arch9wavefront6targetE1EEEvSG_
	.p2align	8
	.type	_ZN7rocprim17ROCPRIM_400000_NS6detail17trampoline_kernelINS0_14default_configENS1_35radix_sort_onesweep_config_selectorIllEEZZNS1_29radix_sort_onesweep_iterationIS3_Lb0EPlS7_N6thrust23THRUST_200600_302600_NS10device_ptrIlEESB_jNS0_19identity_decomposerENS1_16block_id_wrapperIjLb0EEEEE10hipError_tT1_PNSt15iterator_traitsISG_E10value_typeET2_T3_PNSH_ISM_E10value_typeET4_T5_PSR_SS_PNS1_23onesweep_lookback_stateEbbT6_jjT7_P12ihipStream_tbENKUlT_T0_SG_SL_E_clIS7_S7_SB_S7_EEDaSZ_S10_SG_SL_EUlSZ_E_NS1_11comp_targetILNS1_3genE0ELNS1_11target_archE4294967295ELNS1_3gpuE0ELNS1_3repE0EEENS1_47radix_sort_onesweep_sort_config_static_selectorELNS0_4arch9wavefront6targetE1EEEvSG_,@function
_ZN7rocprim17ROCPRIM_400000_NS6detail17trampoline_kernelINS0_14default_configENS1_35radix_sort_onesweep_config_selectorIllEEZZNS1_29radix_sort_onesweep_iterationIS3_Lb0EPlS7_N6thrust23THRUST_200600_302600_NS10device_ptrIlEESB_jNS0_19identity_decomposerENS1_16block_id_wrapperIjLb0EEEEE10hipError_tT1_PNSt15iterator_traitsISG_E10value_typeET2_T3_PNSH_ISM_E10value_typeET4_T5_PSR_SS_PNS1_23onesweep_lookback_stateEbbT6_jjT7_P12ihipStream_tbENKUlT_T0_SG_SL_E_clIS7_S7_SB_S7_EEDaSZ_S10_SG_SL_EUlSZ_E_NS1_11comp_targetILNS1_3genE0ELNS1_11target_archE4294967295ELNS1_3gpuE0ELNS1_3repE0EEENS1_47radix_sort_onesweep_sort_config_static_selectorELNS0_4arch9wavefront6targetE1EEEvSG_: ; @_ZN7rocprim17ROCPRIM_400000_NS6detail17trampoline_kernelINS0_14default_configENS1_35radix_sort_onesweep_config_selectorIllEEZZNS1_29radix_sort_onesweep_iterationIS3_Lb0EPlS7_N6thrust23THRUST_200600_302600_NS10device_ptrIlEESB_jNS0_19identity_decomposerENS1_16block_id_wrapperIjLb0EEEEE10hipError_tT1_PNSt15iterator_traitsISG_E10value_typeET2_T3_PNSH_ISM_E10value_typeET4_T5_PSR_SS_PNS1_23onesweep_lookback_stateEbbT6_jjT7_P12ihipStream_tbENKUlT_T0_SG_SL_E_clIS7_S7_SB_S7_EEDaSZ_S10_SG_SL_EUlSZ_E_NS1_11comp_targetILNS1_3genE0ELNS1_11target_archE4294967295ELNS1_3gpuE0ELNS1_3repE0EEENS1_47radix_sort_onesweep_sort_config_static_selectorELNS0_4arch9wavefront6targetE1EEEvSG_
; %bb.0:
	.section	.rodata,"a",@progbits
	.p2align	6, 0x0
	.amdhsa_kernel _ZN7rocprim17ROCPRIM_400000_NS6detail17trampoline_kernelINS0_14default_configENS1_35radix_sort_onesweep_config_selectorIllEEZZNS1_29radix_sort_onesweep_iterationIS3_Lb0EPlS7_N6thrust23THRUST_200600_302600_NS10device_ptrIlEESB_jNS0_19identity_decomposerENS1_16block_id_wrapperIjLb0EEEEE10hipError_tT1_PNSt15iterator_traitsISG_E10value_typeET2_T3_PNSH_ISM_E10value_typeET4_T5_PSR_SS_PNS1_23onesweep_lookback_stateEbbT6_jjT7_P12ihipStream_tbENKUlT_T0_SG_SL_E_clIS7_S7_SB_S7_EEDaSZ_S10_SG_SL_EUlSZ_E_NS1_11comp_targetILNS1_3genE0ELNS1_11target_archE4294967295ELNS1_3gpuE0ELNS1_3repE0EEENS1_47radix_sort_onesweep_sort_config_static_selectorELNS0_4arch9wavefront6targetE1EEEvSG_
		.amdhsa_group_segment_fixed_size 0
		.amdhsa_private_segment_fixed_size 0
		.amdhsa_kernarg_size 88
		.amdhsa_user_sgpr_count 6
		.amdhsa_user_sgpr_private_segment_buffer 1
		.amdhsa_user_sgpr_dispatch_ptr 0
		.amdhsa_user_sgpr_queue_ptr 0
		.amdhsa_user_sgpr_kernarg_segment_ptr 1
		.amdhsa_user_sgpr_dispatch_id 0
		.amdhsa_user_sgpr_flat_scratch_init 0
		.amdhsa_user_sgpr_private_segment_size 0
		.amdhsa_uses_dynamic_stack 0
		.amdhsa_system_sgpr_private_segment_wavefront_offset 0
		.amdhsa_system_sgpr_workgroup_id_x 1
		.amdhsa_system_sgpr_workgroup_id_y 0
		.amdhsa_system_sgpr_workgroup_id_z 0
		.amdhsa_system_sgpr_workgroup_info 0
		.amdhsa_system_vgpr_workitem_id 0
		.amdhsa_next_free_vgpr 1
		.amdhsa_next_free_sgpr 0
		.amdhsa_reserve_vcc 0
		.amdhsa_reserve_flat_scratch 0
		.amdhsa_float_round_mode_32 0
		.amdhsa_float_round_mode_16_64 0
		.amdhsa_float_denorm_mode_32 3
		.amdhsa_float_denorm_mode_16_64 3
		.amdhsa_dx10_clamp 1
		.amdhsa_ieee_mode 1
		.amdhsa_fp16_overflow 0
		.amdhsa_exception_fp_ieee_invalid_op 0
		.amdhsa_exception_fp_denorm_src 0
		.amdhsa_exception_fp_ieee_div_zero 0
		.amdhsa_exception_fp_ieee_overflow 0
		.amdhsa_exception_fp_ieee_underflow 0
		.amdhsa_exception_fp_ieee_inexact 0
		.amdhsa_exception_int_div_zero 0
	.end_amdhsa_kernel
	.section	.text._ZN7rocprim17ROCPRIM_400000_NS6detail17trampoline_kernelINS0_14default_configENS1_35radix_sort_onesweep_config_selectorIllEEZZNS1_29radix_sort_onesweep_iterationIS3_Lb0EPlS7_N6thrust23THRUST_200600_302600_NS10device_ptrIlEESB_jNS0_19identity_decomposerENS1_16block_id_wrapperIjLb0EEEEE10hipError_tT1_PNSt15iterator_traitsISG_E10value_typeET2_T3_PNSH_ISM_E10value_typeET4_T5_PSR_SS_PNS1_23onesweep_lookback_stateEbbT6_jjT7_P12ihipStream_tbENKUlT_T0_SG_SL_E_clIS7_S7_SB_S7_EEDaSZ_S10_SG_SL_EUlSZ_E_NS1_11comp_targetILNS1_3genE0ELNS1_11target_archE4294967295ELNS1_3gpuE0ELNS1_3repE0EEENS1_47radix_sort_onesweep_sort_config_static_selectorELNS0_4arch9wavefront6targetE1EEEvSG_,"axG",@progbits,_ZN7rocprim17ROCPRIM_400000_NS6detail17trampoline_kernelINS0_14default_configENS1_35radix_sort_onesweep_config_selectorIllEEZZNS1_29radix_sort_onesweep_iterationIS3_Lb0EPlS7_N6thrust23THRUST_200600_302600_NS10device_ptrIlEESB_jNS0_19identity_decomposerENS1_16block_id_wrapperIjLb0EEEEE10hipError_tT1_PNSt15iterator_traitsISG_E10value_typeET2_T3_PNSH_ISM_E10value_typeET4_T5_PSR_SS_PNS1_23onesweep_lookback_stateEbbT6_jjT7_P12ihipStream_tbENKUlT_T0_SG_SL_E_clIS7_S7_SB_S7_EEDaSZ_S10_SG_SL_EUlSZ_E_NS1_11comp_targetILNS1_3genE0ELNS1_11target_archE4294967295ELNS1_3gpuE0ELNS1_3repE0EEENS1_47radix_sort_onesweep_sort_config_static_selectorELNS0_4arch9wavefront6targetE1EEEvSG_,comdat
.Lfunc_end1168:
	.size	_ZN7rocprim17ROCPRIM_400000_NS6detail17trampoline_kernelINS0_14default_configENS1_35radix_sort_onesweep_config_selectorIllEEZZNS1_29radix_sort_onesweep_iterationIS3_Lb0EPlS7_N6thrust23THRUST_200600_302600_NS10device_ptrIlEESB_jNS0_19identity_decomposerENS1_16block_id_wrapperIjLb0EEEEE10hipError_tT1_PNSt15iterator_traitsISG_E10value_typeET2_T3_PNSH_ISM_E10value_typeET4_T5_PSR_SS_PNS1_23onesweep_lookback_stateEbbT6_jjT7_P12ihipStream_tbENKUlT_T0_SG_SL_E_clIS7_S7_SB_S7_EEDaSZ_S10_SG_SL_EUlSZ_E_NS1_11comp_targetILNS1_3genE0ELNS1_11target_archE4294967295ELNS1_3gpuE0ELNS1_3repE0EEENS1_47radix_sort_onesweep_sort_config_static_selectorELNS0_4arch9wavefront6targetE1EEEvSG_, .Lfunc_end1168-_ZN7rocprim17ROCPRIM_400000_NS6detail17trampoline_kernelINS0_14default_configENS1_35radix_sort_onesweep_config_selectorIllEEZZNS1_29radix_sort_onesweep_iterationIS3_Lb0EPlS7_N6thrust23THRUST_200600_302600_NS10device_ptrIlEESB_jNS0_19identity_decomposerENS1_16block_id_wrapperIjLb0EEEEE10hipError_tT1_PNSt15iterator_traitsISG_E10value_typeET2_T3_PNSH_ISM_E10value_typeET4_T5_PSR_SS_PNS1_23onesweep_lookback_stateEbbT6_jjT7_P12ihipStream_tbENKUlT_T0_SG_SL_E_clIS7_S7_SB_S7_EEDaSZ_S10_SG_SL_EUlSZ_E_NS1_11comp_targetILNS1_3genE0ELNS1_11target_archE4294967295ELNS1_3gpuE0ELNS1_3repE0EEENS1_47radix_sort_onesweep_sort_config_static_selectorELNS0_4arch9wavefront6targetE1EEEvSG_
                                        ; -- End function
	.set _ZN7rocprim17ROCPRIM_400000_NS6detail17trampoline_kernelINS0_14default_configENS1_35radix_sort_onesweep_config_selectorIllEEZZNS1_29radix_sort_onesweep_iterationIS3_Lb0EPlS7_N6thrust23THRUST_200600_302600_NS10device_ptrIlEESB_jNS0_19identity_decomposerENS1_16block_id_wrapperIjLb0EEEEE10hipError_tT1_PNSt15iterator_traitsISG_E10value_typeET2_T3_PNSH_ISM_E10value_typeET4_T5_PSR_SS_PNS1_23onesweep_lookback_stateEbbT6_jjT7_P12ihipStream_tbENKUlT_T0_SG_SL_E_clIS7_S7_SB_S7_EEDaSZ_S10_SG_SL_EUlSZ_E_NS1_11comp_targetILNS1_3genE0ELNS1_11target_archE4294967295ELNS1_3gpuE0ELNS1_3repE0EEENS1_47radix_sort_onesweep_sort_config_static_selectorELNS0_4arch9wavefront6targetE1EEEvSG_.num_vgpr, 0
	.set _ZN7rocprim17ROCPRIM_400000_NS6detail17trampoline_kernelINS0_14default_configENS1_35radix_sort_onesweep_config_selectorIllEEZZNS1_29radix_sort_onesweep_iterationIS3_Lb0EPlS7_N6thrust23THRUST_200600_302600_NS10device_ptrIlEESB_jNS0_19identity_decomposerENS1_16block_id_wrapperIjLb0EEEEE10hipError_tT1_PNSt15iterator_traitsISG_E10value_typeET2_T3_PNSH_ISM_E10value_typeET4_T5_PSR_SS_PNS1_23onesweep_lookback_stateEbbT6_jjT7_P12ihipStream_tbENKUlT_T0_SG_SL_E_clIS7_S7_SB_S7_EEDaSZ_S10_SG_SL_EUlSZ_E_NS1_11comp_targetILNS1_3genE0ELNS1_11target_archE4294967295ELNS1_3gpuE0ELNS1_3repE0EEENS1_47radix_sort_onesweep_sort_config_static_selectorELNS0_4arch9wavefront6targetE1EEEvSG_.num_agpr, 0
	.set _ZN7rocprim17ROCPRIM_400000_NS6detail17trampoline_kernelINS0_14default_configENS1_35radix_sort_onesweep_config_selectorIllEEZZNS1_29radix_sort_onesweep_iterationIS3_Lb0EPlS7_N6thrust23THRUST_200600_302600_NS10device_ptrIlEESB_jNS0_19identity_decomposerENS1_16block_id_wrapperIjLb0EEEEE10hipError_tT1_PNSt15iterator_traitsISG_E10value_typeET2_T3_PNSH_ISM_E10value_typeET4_T5_PSR_SS_PNS1_23onesweep_lookback_stateEbbT6_jjT7_P12ihipStream_tbENKUlT_T0_SG_SL_E_clIS7_S7_SB_S7_EEDaSZ_S10_SG_SL_EUlSZ_E_NS1_11comp_targetILNS1_3genE0ELNS1_11target_archE4294967295ELNS1_3gpuE0ELNS1_3repE0EEENS1_47radix_sort_onesweep_sort_config_static_selectorELNS0_4arch9wavefront6targetE1EEEvSG_.numbered_sgpr, 0
	.set _ZN7rocprim17ROCPRIM_400000_NS6detail17trampoline_kernelINS0_14default_configENS1_35radix_sort_onesweep_config_selectorIllEEZZNS1_29radix_sort_onesweep_iterationIS3_Lb0EPlS7_N6thrust23THRUST_200600_302600_NS10device_ptrIlEESB_jNS0_19identity_decomposerENS1_16block_id_wrapperIjLb0EEEEE10hipError_tT1_PNSt15iterator_traitsISG_E10value_typeET2_T3_PNSH_ISM_E10value_typeET4_T5_PSR_SS_PNS1_23onesweep_lookback_stateEbbT6_jjT7_P12ihipStream_tbENKUlT_T0_SG_SL_E_clIS7_S7_SB_S7_EEDaSZ_S10_SG_SL_EUlSZ_E_NS1_11comp_targetILNS1_3genE0ELNS1_11target_archE4294967295ELNS1_3gpuE0ELNS1_3repE0EEENS1_47radix_sort_onesweep_sort_config_static_selectorELNS0_4arch9wavefront6targetE1EEEvSG_.num_named_barrier, 0
	.set _ZN7rocprim17ROCPRIM_400000_NS6detail17trampoline_kernelINS0_14default_configENS1_35radix_sort_onesweep_config_selectorIllEEZZNS1_29radix_sort_onesweep_iterationIS3_Lb0EPlS7_N6thrust23THRUST_200600_302600_NS10device_ptrIlEESB_jNS0_19identity_decomposerENS1_16block_id_wrapperIjLb0EEEEE10hipError_tT1_PNSt15iterator_traitsISG_E10value_typeET2_T3_PNSH_ISM_E10value_typeET4_T5_PSR_SS_PNS1_23onesweep_lookback_stateEbbT6_jjT7_P12ihipStream_tbENKUlT_T0_SG_SL_E_clIS7_S7_SB_S7_EEDaSZ_S10_SG_SL_EUlSZ_E_NS1_11comp_targetILNS1_3genE0ELNS1_11target_archE4294967295ELNS1_3gpuE0ELNS1_3repE0EEENS1_47radix_sort_onesweep_sort_config_static_selectorELNS0_4arch9wavefront6targetE1EEEvSG_.private_seg_size, 0
	.set _ZN7rocprim17ROCPRIM_400000_NS6detail17trampoline_kernelINS0_14default_configENS1_35radix_sort_onesweep_config_selectorIllEEZZNS1_29radix_sort_onesweep_iterationIS3_Lb0EPlS7_N6thrust23THRUST_200600_302600_NS10device_ptrIlEESB_jNS0_19identity_decomposerENS1_16block_id_wrapperIjLb0EEEEE10hipError_tT1_PNSt15iterator_traitsISG_E10value_typeET2_T3_PNSH_ISM_E10value_typeET4_T5_PSR_SS_PNS1_23onesweep_lookback_stateEbbT6_jjT7_P12ihipStream_tbENKUlT_T0_SG_SL_E_clIS7_S7_SB_S7_EEDaSZ_S10_SG_SL_EUlSZ_E_NS1_11comp_targetILNS1_3genE0ELNS1_11target_archE4294967295ELNS1_3gpuE0ELNS1_3repE0EEENS1_47radix_sort_onesweep_sort_config_static_selectorELNS0_4arch9wavefront6targetE1EEEvSG_.uses_vcc, 0
	.set _ZN7rocprim17ROCPRIM_400000_NS6detail17trampoline_kernelINS0_14default_configENS1_35radix_sort_onesweep_config_selectorIllEEZZNS1_29radix_sort_onesweep_iterationIS3_Lb0EPlS7_N6thrust23THRUST_200600_302600_NS10device_ptrIlEESB_jNS0_19identity_decomposerENS1_16block_id_wrapperIjLb0EEEEE10hipError_tT1_PNSt15iterator_traitsISG_E10value_typeET2_T3_PNSH_ISM_E10value_typeET4_T5_PSR_SS_PNS1_23onesweep_lookback_stateEbbT6_jjT7_P12ihipStream_tbENKUlT_T0_SG_SL_E_clIS7_S7_SB_S7_EEDaSZ_S10_SG_SL_EUlSZ_E_NS1_11comp_targetILNS1_3genE0ELNS1_11target_archE4294967295ELNS1_3gpuE0ELNS1_3repE0EEENS1_47radix_sort_onesweep_sort_config_static_selectorELNS0_4arch9wavefront6targetE1EEEvSG_.uses_flat_scratch, 0
	.set _ZN7rocprim17ROCPRIM_400000_NS6detail17trampoline_kernelINS0_14default_configENS1_35radix_sort_onesweep_config_selectorIllEEZZNS1_29radix_sort_onesweep_iterationIS3_Lb0EPlS7_N6thrust23THRUST_200600_302600_NS10device_ptrIlEESB_jNS0_19identity_decomposerENS1_16block_id_wrapperIjLb0EEEEE10hipError_tT1_PNSt15iterator_traitsISG_E10value_typeET2_T3_PNSH_ISM_E10value_typeET4_T5_PSR_SS_PNS1_23onesweep_lookback_stateEbbT6_jjT7_P12ihipStream_tbENKUlT_T0_SG_SL_E_clIS7_S7_SB_S7_EEDaSZ_S10_SG_SL_EUlSZ_E_NS1_11comp_targetILNS1_3genE0ELNS1_11target_archE4294967295ELNS1_3gpuE0ELNS1_3repE0EEENS1_47radix_sort_onesweep_sort_config_static_selectorELNS0_4arch9wavefront6targetE1EEEvSG_.has_dyn_sized_stack, 0
	.set _ZN7rocprim17ROCPRIM_400000_NS6detail17trampoline_kernelINS0_14default_configENS1_35radix_sort_onesweep_config_selectorIllEEZZNS1_29radix_sort_onesweep_iterationIS3_Lb0EPlS7_N6thrust23THRUST_200600_302600_NS10device_ptrIlEESB_jNS0_19identity_decomposerENS1_16block_id_wrapperIjLb0EEEEE10hipError_tT1_PNSt15iterator_traitsISG_E10value_typeET2_T3_PNSH_ISM_E10value_typeET4_T5_PSR_SS_PNS1_23onesweep_lookback_stateEbbT6_jjT7_P12ihipStream_tbENKUlT_T0_SG_SL_E_clIS7_S7_SB_S7_EEDaSZ_S10_SG_SL_EUlSZ_E_NS1_11comp_targetILNS1_3genE0ELNS1_11target_archE4294967295ELNS1_3gpuE0ELNS1_3repE0EEENS1_47radix_sort_onesweep_sort_config_static_selectorELNS0_4arch9wavefront6targetE1EEEvSG_.has_recursion, 0
	.set _ZN7rocprim17ROCPRIM_400000_NS6detail17trampoline_kernelINS0_14default_configENS1_35radix_sort_onesweep_config_selectorIllEEZZNS1_29radix_sort_onesweep_iterationIS3_Lb0EPlS7_N6thrust23THRUST_200600_302600_NS10device_ptrIlEESB_jNS0_19identity_decomposerENS1_16block_id_wrapperIjLb0EEEEE10hipError_tT1_PNSt15iterator_traitsISG_E10value_typeET2_T3_PNSH_ISM_E10value_typeET4_T5_PSR_SS_PNS1_23onesweep_lookback_stateEbbT6_jjT7_P12ihipStream_tbENKUlT_T0_SG_SL_E_clIS7_S7_SB_S7_EEDaSZ_S10_SG_SL_EUlSZ_E_NS1_11comp_targetILNS1_3genE0ELNS1_11target_archE4294967295ELNS1_3gpuE0ELNS1_3repE0EEENS1_47radix_sort_onesweep_sort_config_static_selectorELNS0_4arch9wavefront6targetE1EEEvSG_.has_indirect_call, 0
	.section	.AMDGPU.csdata,"",@progbits
; Kernel info:
; codeLenInByte = 0
; TotalNumSgprs: 4
; NumVgprs: 0
; ScratchSize: 0
; MemoryBound: 0
; FloatMode: 240
; IeeeMode: 1
; LDSByteSize: 0 bytes/workgroup (compile time only)
; SGPRBlocks: 0
; VGPRBlocks: 0
; NumSGPRsForWavesPerEU: 4
; NumVGPRsForWavesPerEU: 1
; Occupancy: 10
; WaveLimiterHint : 0
; COMPUTE_PGM_RSRC2:SCRATCH_EN: 0
; COMPUTE_PGM_RSRC2:USER_SGPR: 6
; COMPUTE_PGM_RSRC2:TRAP_HANDLER: 0
; COMPUTE_PGM_RSRC2:TGID_X_EN: 1
; COMPUTE_PGM_RSRC2:TGID_Y_EN: 0
; COMPUTE_PGM_RSRC2:TGID_Z_EN: 0
; COMPUTE_PGM_RSRC2:TIDIG_COMP_CNT: 0
	.section	.text._ZN7rocprim17ROCPRIM_400000_NS6detail17trampoline_kernelINS0_14default_configENS1_35radix_sort_onesweep_config_selectorIllEEZZNS1_29radix_sort_onesweep_iterationIS3_Lb0EPlS7_N6thrust23THRUST_200600_302600_NS10device_ptrIlEESB_jNS0_19identity_decomposerENS1_16block_id_wrapperIjLb0EEEEE10hipError_tT1_PNSt15iterator_traitsISG_E10value_typeET2_T3_PNSH_ISM_E10value_typeET4_T5_PSR_SS_PNS1_23onesweep_lookback_stateEbbT6_jjT7_P12ihipStream_tbENKUlT_T0_SG_SL_E_clIS7_S7_SB_S7_EEDaSZ_S10_SG_SL_EUlSZ_E_NS1_11comp_targetILNS1_3genE6ELNS1_11target_archE950ELNS1_3gpuE13ELNS1_3repE0EEENS1_47radix_sort_onesweep_sort_config_static_selectorELNS0_4arch9wavefront6targetE1EEEvSG_,"axG",@progbits,_ZN7rocprim17ROCPRIM_400000_NS6detail17trampoline_kernelINS0_14default_configENS1_35radix_sort_onesweep_config_selectorIllEEZZNS1_29radix_sort_onesweep_iterationIS3_Lb0EPlS7_N6thrust23THRUST_200600_302600_NS10device_ptrIlEESB_jNS0_19identity_decomposerENS1_16block_id_wrapperIjLb0EEEEE10hipError_tT1_PNSt15iterator_traitsISG_E10value_typeET2_T3_PNSH_ISM_E10value_typeET4_T5_PSR_SS_PNS1_23onesweep_lookback_stateEbbT6_jjT7_P12ihipStream_tbENKUlT_T0_SG_SL_E_clIS7_S7_SB_S7_EEDaSZ_S10_SG_SL_EUlSZ_E_NS1_11comp_targetILNS1_3genE6ELNS1_11target_archE950ELNS1_3gpuE13ELNS1_3repE0EEENS1_47radix_sort_onesweep_sort_config_static_selectorELNS0_4arch9wavefront6targetE1EEEvSG_,comdat
	.protected	_ZN7rocprim17ROCPRIM_400000_NS6detail17trampoline_kernelINS0_14default_configENS1_35radix_sort_onesweep_config_selectorIllEEZZNS1_29radix_sort_onesweep_iterationIS3_Lb0EPlS7_N6thrust23THRUST_200600_302600_NS10device_ptrIlEESB_jNS0_19identity_decomposerENS1_16block_id_wrapperIjLb0EEEEE10hipError_tT1_PNSt15iterator_traitsISG_E10value_typeET2_T3_PNSH_ISM_E10value_typeET4_T5_PSR_SS_PNS1_23onesweep_lookback_stateEbbT6_jjT7_P12ihipStream_tbENKUlT_T0_SG_SL_E_clIS7_S7_SB_S7_EEDaSZ_S10_SG_SL_EUlSZ_E_NS1_11comp_targetILNS1_3genE6ELNS1_11target_archE950ELNS1_3gpuE13ELNS1_3repE0EEENS1_47radix_sort_onesweep_sort_config_static_selectorELNS0_4arch9wavefront6targetE1EEEvSG_ ; -- Begin function _ZN7rocprim17ROCPRIM_400000_NS6detail17trampoline_kernelINS0_14default_configENS1_35radix_sort_onesweep_config_selectorIllEEZZNS1_29radix_sort_onesweep_iterationIS3_Lb0EPlS7_N6thrust23THRUST_200600_302600_NS10device_ptrIlEESB_jNS0_19identity_decomposerENS1_16block_id_wrapperIjLb0EEEEE10hipError_tT1_PNSt15iterator_traitsISG_E10value_typeET2_T3_PNSH_ISM_E10value_typeET4_T5_PSR_SS_PNS1_23onesweep_lookback_stateEbbT6_jjT7_P12ihipStream_tbENKUlT_T0_SG_SL_E_clIS7_S7_SB_S7_EEDaSZ_S10_SG_SL_EUlSZ_E_NS1_11comp_targetILNS1_3genE6ELNS1_11target_archE950ELNS1_3gpuE13ELNS1_3repE0EEENS1_47radix_sort_onesweep_sort_config_static_selectorELNS0_4arch9wavefront6targetE1EEEvSG_
	.globl	_ZN7rocprim17ROCPRIM_400000_NS6detail17trampoline_kernelINS0_14default_configENS1_35radix_sort_onesweep_config_selectorIllEEZZNS1_29radix_sort_onesweep_iterationIS3_Lb0EPlS7_N6thrust23THRUST_200600_302600_NS10device_ptrIlEESB_jNS0_19identity_decomposerENS1_16block_id_wrapperIjLb0EEEEE10hipError_tT1_PNSt15iterator_traitsISG_E10value_typeET2_T3_PNSH_ISM_E10value_typeET4_T5_PSR_SS_PNS1_23onesweep_lookback_stateEbbT6_jjT7_P12ihipStream_tbENKUlT_T0_SG_SL_E_clIS7_S7_SB_S7_EEDaSZ_S10_SG_SL_EUlSZ_E_NS1_11comp_targetILNS1_3genE6ELNS1_11target_archE950ELNS1_3gpuE13ELNS1_3repE0EEENS1_47radix_sort_onesweep_sort_config_static_selectorELNS0_4arch9wavefront6targetE1EEEvSG_
	.p2align	8
	.type	_ZN7rocprim17ROCPRIM_400000_NS6detail17trampoline_kernelINS0_14default_configENS1_35radix_sort_onesweep_config_selectorIllEEZZNS1_29radix_sort_onesweep_iterationIS3_Lb0EPlS7_N6thrust23THRUST_200600_302600_NS10device_ptrIlEESB_jNS0_19identity_decomposerENS1_16block_id_wrapperIjLb0EEEEE10hipError_tT1_PNSt15iterator_traitsISG_E10value_typeET2_T3_PNSH_ISM_E10value_typeET4_T5_PSR_SS_PNS1_23onesweep_lookback_stateEbbT6_jjT7_P12ihipStream_tbENKUlT_T0_SG_SL_E_clIS7_S7_SB_S7_EEDaSZ_S10_SG_SL_EUlSZ_E_NS1_11comp_targetILNS1_3genE6ELNS1_11target_archE950ELNS1_3gpuE13ELNS1_3repE0EEENS1_47radix_sort_onesweep_sort_config_static_selectorELNS0_4arch9wavefront6targetE1EEEvSG_,@function
_ZN7rocprim17ROCPRIM_400000_NS6detail17trampoline_kernelINS0_14default_configENS1_35radix_sort_onesweep_config_selectorIllEEZZNS1_29radix_sort_onesweep_iterationIS3_Lb0EPlS7_N6thrust23THRUST_200600_302600_NS10device_ptrIlEESB_jNS0_19identity_decomposerENS1_16block_id_wrapperIjLb0EEEEE10hipError_tT1_PNSt15iterator_traitsISG_E10value_typeET2_T3_PNSH_ISM_E10value_typeET4_T5_PSR_SS_PNS1_23onesweep_lookback_stateEbbT6_jjT7_P12ihipStream_tbENKUlT_T0_SG_SL_E_clIS7_S7_SB_S7_EEDaSZ_S10_SG_SL_EUlSZ_E_NS1_11comp_targetILNS1_3genE6ELNS1_11target_archE950ELNS1_3gpuE13ELNS1_3repE0EEENS1_47radix_sort_onesweep_sort_config_static_selectorELNS0_4arch9wavefront6targetE1EEEvSG_: ; @_ZN7rocprim17ROCPRIM_400000_NS6detail17trampoline_kernelINS0_14default_configENS1_35radix_sort_onesweep_config_selectorIllEEZZNS1_29radix_sort_onesweep_iterationIS3_Lb0EPlS7_N6thrust23THRUST_200600_302600_NS10device_ptrIlEESB_jNS0_19identity_decomposerENS1_16block_id_wrapperIjLb0EEEEE10hipError_tT1_PNSt15iterator_traitsISG_E10value_typeET2_T3_PNSH_ISM_E10value_typeET4_T5_PSR_SS_PNS1_23onesweep_lookback_stateEbbT6_jjT7_P12ihipStream_tbENKUlT_T0_SG_SL_E_clIS7_S7_SB_S7_EEDaSZ_S10_SG_SL_EUlSZ_E_NS1_11comp_targetILNS1_3genE6ELNS1_11target_archE950ELNS1_3gpuE13ELNS1_3repE0EEENS1_47radix_sort_onesweep_sort_config_static_selectorELNS0_4arch9wavefront6targetE1EEEvSG_
; %bb.0:
	.section	.rodata,"a",@progbits
	.p2align	6, 0x0
	.amdhsa_kernel _ZN7rocprim17ROCPRIM_400000_NS6detail17trampoline_kernelINS0_14default_configENS1_35radix_sort_onesweep_config_selectorIllEEZZNS1_29radix_sort_onesweep_iterationIS3_Lb0EPlS7_N6thrust23THRUST_200600_302600_NS10device_ptrIlEESB_jNS0_19identity_decomposerENS1_16block_id_wrapperIjLb0EEEEE10hipError_tT1_PNSt15iterator_traitsISG_E10value_typeET2_T3_PNSH_ISM_E10value_typeET4_T5_PSR_SS_PNS1_23onesweep_lookback_stateEbbT6_jjT7_P12ihipStream_tbENKUlT_T0_SG_SL_E_clIS7_S7_SB_S7_EEDaSZ_S10_SG_SL_EUlSZ_E_NS1_11comp_targetILNS1_3genE6ELNS1_11target_archE950ELNS1_3gpuE13ELNS1_3repE0EEENS1_47radix_sort_onesweep_sort_config_static_selectorELNS0_4arch9wavefront6targetE1EEEvSG_
		.amdhsa_group_segment_fixed_size 0
		.amdhsa_private_segment_fixed_size 0
		.amdhsa_kernarg_size 88
		.amdhsa_user_sgpr_count 6
		.amdhsa_user_sgpr_private_segment_buffer 1
		.amdhsa_user_sgpr_dispatch_ptr 0
		.amdhsa_user_sgpr_queue_ptr 0
		.amdhsa_user_sgpr_kernarg_segment_ptr 1
		.amdhsa_user_sgpr_dispatch_id 0
		.amdhsa_user_sgpr_flat_scratch_init 0
		.amdhsa_user_sgpr_private_segment_size 0
		.amdhsa_uses_dynamic_stack 0
		.amdhsa_system_sgpr_private_segment_wavefront_offset 0
		.amdhsa_system_sgpr_workgroup_id_x 1
		.amdhsa_system_sgpr_workgroup_id_y 0
		.amdhsa_system_sgpr_workgroup_id_z 0
		.amdhsa_system_sgpr_workgroup_info 0
		.amdhsa_system_vgpr_workitem_id 0
		.amdhsa_next_free_vgpr 1
		.amdhsa_next_free_sgpr 0
		.amdhsa_reserve_vcc 0
		.amdhsa_reserve_flat_scratch 0
		.amdhsa_float_round_mode_32 0
		.amdhsa_float_round_mode_16_64 0
		.amdhsa_float_denorm_mode_32 3
		.amdhsa_float_denorm_mode_16_64 3
		.amdhsa_dx10_clamp 1
		.amdhsa_ieee_mode 1
		.amdhsa_fp16_overflow 0
		.amdhsa_exception_fp_ieee_invalid_op 0
		.amdhsa_exception_fp_denorm_src 0
		.amdhsa_exception_fp_ieee_div_zero 0
		.amdhsa_exception_fp_ieee_overflow 0
		.amdhsa_exception_fp_ieee_underflow 0
		.amdhsa_exception_fp_ieee_inexact 0
		.amdhsa_exception_int_div_zero 0
	.end_amdhsa_kernel
	.section	.text._ZN7rocprim17ROCPRIM_400000_NS6detail17trampoline_kernelINS0_14default_configENS1_35radix_sort_onesweep_config_selectorIllEEZZNS1_29radix_sort_onesweep_iterationIS3_Lb0EPlS7_N6thrust23THRUST_200600_302600_NS10device_ptrIlEESB_jNS0_19identity_decomposerENS1_16block_id_wrapperIjLb0EEEEE10hipError_tT1_PNSt15iterator_traitsISG_E10value_typeET2_T3_PNSH_ISM_E10value_typeET4_T5_PSR_SS_PNS1_23onesweep_lookback_stateEbbT6_jjT7_P12ihipStream_tbENKUlT_T0_SG_SL_E_clIS7_S7_SB_S7_EEDaSZ_S10_SG_SL_EUlSZ_E_NS1_11comp_targetILNS1_3genE6ELNS1_11target_archE950ELNS1_3gpuE13ELNS1_3repE0EEENS1_47radix_sort_onesweep_sort_config_static_selectorELNS0_4arch9wavefront6targetE1EEEvSG_,"axG",@progbits,_ZN7rocprim17ROCPRIM_400000_NS6detail17trampoline_kernelINS0_14default_configENS1_35radix_sort_onesweep_config_selectorIllEEZZNS1_29radix_sort_onesweep_iterationIS3_Lb0EPlS7_N6thrust23THRUST_200600_302600_NS10device_ptrIlEESB_jNS0_19identity_decomposerENS1_16block_id_wrapperIjLb0EEEEE10hipError_tT1_PNSt15iterator_traitsISG_E10value_typeET2_T3_PNSH_ISM_E10value_typeET4_T5_PSR_SS_PNS1_23onesweep_lookback_stateEbbT6_jjT7_P12ihipStream_tbENKUlT_T0_SG_SL_E_clIS7_S7_SB_S7_EEDaSZ_S10_SG_SL_EUlSZ_E_NS1_11comp_targetILNS1_3genE6ELNS1_11target_archE950ELNS1_3gpuE13ELNS1_3repE0EEENS1_47radix_sort_onesweep_sort_config_static_selectorELNS0_4arch9wavefront6targetE1EEEvSG_,comdat
.Lfunc_end1169:
	.size	_ZN7rocprim17ROCPRIM_400000_NS6detail17trampoline_kernelINS0_14default_configENS1_35radix_sort_onesweep_config_selectorIllEEZZNS1_29radix_sort_onesweep_iterationIS3_Lb0EPlS7_N6thrust23THRUST_200600_302600_NS10device_ptrIlEESB_jNS0_19identity_decomposerENS1_16block_id_wrapperIjLb0EEEEE10hipError_tT1_PNSt15iterator_traitsISG_E10value_typeET2_T3_PNSH_ISM_E10value_typeET4_T5_PSR_SS_PNS1_23onesweep_lookback_stateEbbT6_jjT7_P12ihipStream_tbENKUlT_T0_SG_SL_E_clIS7_S7_SB_S7_EEDaSZ_S10_SG_SL_EUlSZ_E_NS1_11comp_targetILNS1_3genE6ELNS1_11target_archE950ELNS1_3gpuE13ELNS1_3repE0EEENS1_47radix_sort_onesweep_sort_config_static_selectorELNS0_4arch9wavefront6targetE1EEEvSG_, .Lfunc_end1169-_ZN7rocprim17ROCPRIM_400000_NS6detail17trampoline_kernelINS0_14default_configENS1_35radix_sort_onesweep_config_selectorIllEEZZNS1_29radix_sort_onesweep_iterationIS3_Lb0EPlS7_N6thrust23THRUST_200600_302600_NS10device_ptrIlEESB_jNS0_19identity_decomposerENS1_16block_id_wrapperIjLb0EEEEE10hipError_tT1_PNSt15iterator_traitsISG_E10value_typeET2_T3_PNSH_ISM_E10value_typeET4_T5_PSR_SS_PNS1_23onesweep_lookback_stateEbbT6_jjT7_P12ihipStream_tbENKUlT_T0_SG_SL_E_clIS7_S7_SB_S7_EEDaSZ_S10_SG_SL_EUlSZ_E_NS1_11comp_targetILNS1_3genE6ELNS1_11target_archE950ELNS1_3gpuE13ELNS1_3repE0EEENS1_47radix_sort_onesweep_sort_config_static_selectorELNS0_4arch9wavefront6targetE1EEEvSG_
                                        ; -- End function
	.set _ZN7rocprim17ROCPRIM_400000_NS6detail17trampoline_kernelINS0_14default_configENS1_35radix_sort_onesweep_config_selectorIllEEZZNS1_29radix_sort_onesweep_iterationIS3_Lb0EPlS7_N6thrust23THRUST_200600_302600_NS10device_ptrIlEESB_jNS0_19identity_decomposerENS1_16block_id_wrapperIjLb0EEEEE10hipError_tT1_PNSt15iterator_traitsISG_E10value_typeET2_T3_PNSH_ISM_E10value_typeET4_T5_PSR_SS_PNS1_23onesweep_lookback_stateEbbT6_jjT7_P12ihipStream_tbENKUlT_T0_SG_SL_E_clIS7_S7_SB_S7_EEDaSZ_S10_SG_SL_EUlSZ_E_NS1_11comp_targetILNS1_3genE6ELNS1_11target_archE950ELNS1_3gpuE13ELNS1_3repE0EEENS1_47radix_sort_onesweep_sort_config_static_selectorELNS0_4arch9wavefront6targetE1EEEvSG_.num_vgpr, 0
	.set _ZN7rocprim17ROCPRIM_400000_NS6detail17trampoline_kernelINS0_14default_configENS1_35radix_sort_onesweep_config_selectorIllEEZZNS1_29radix_sort_onesweep_iterationIS3_Lb0EPlS7_N6thrust23THRUST_200600_302600_NS10device_ptrIlEESB_jNS0_19identity_decomposerENS1_16block_id_wrapperIjLb0EEEEE10hipError_tT1_PNSt15iterator_traitsISG_E10value_typeET2_T3_PNSH_ISM_E10value_typeET4_T5_PSR_SS_PNS1_23onesweep_lookback_stateEbbT6_jjT7_P12ihipStream_tbENKUlT_T0_SG_SL_E_clIS7_S7_SB_S7_EEDaSZ_S10_SG_SL_EUlSZ_E_NS1_11comp_targetILNS1_3genE6ELNS1_11target_archE950ELNS1_3gpuE13ELNS1_3repE0EEENS1_47radix_sort_onesweep_sort_config_static_selectorELNS0_4arch9wavefront6targetE1EEEvSG_.num_agpr, 0
	.set _ZN7rocprim17ROCPRIM_400000_NS6detail17trampoline_kernelINS0_14default_configENS1_35radix_sort_onesweep_config_selectorIllEEZZNS1_29radix_sort_onesweep_iterationIS3_Lb0EPlS7_N6thrust23THRUST_200600_302600_NS10device_ptrIlEESB_jNS0_19identity_decomposerENS1_16block_id_wrapperIjLb0EEEEE10hipError_tT1_PNSt15iterator_traitsISG_E10value_typeET2_T3_PNSH_ISM_E10value_typeET4_T5_PSR_SS_PNS1_23onesweep_lookback_stateEbbT6_jjT7_P12ihipStream_tbENKUlT_T0_SG_SL_E_clIS7_S7_SB_S7_EEDaSZ_S10_SG_SL_EUlSZ_E_NS1_11comp_targetILNS1_3genE6ELNS1_11target_archE950ELNS1_3gpuE13ELNS1_3repE0EEENS1_47radix_sort_onesweep_sort_config_static_selectorELNS0_4arch9wavefront6targetE1EEEvSG_.numbered_sgpr, 0
	.set _ZN7rocprim17ROCPRIM_400000_NS6detail17trampoline_kernelINS0_14default_configENS1_35radix_sort_onesweep_config_selectorIllEEZZNS1_29radix_sort_onesweep_iterationIS3_Lb0EPlS7_N6thrust23THRUST_200600_302600_NS10device_ptrIlEESB_jNS0_19identity_decomposerENS1_16block_id_wrapperIjLb0EEEEE10hipError_tT1_PNSt15iterator_traitsISG_E10value_typeET2_T3_PNSH_ISM_E10value_typeET4_T5_PSR_SS_PNS1_23onesweep_lookback_stateEbbT6_jjT7_P12ihipStream_tbENKUlT_T0_SG_SL_E_clIS7_S7_SB_S7_EEDaSZ_S10_SG_SL_EUlSZ_E_NS1_11comp_targetILNS1_3genE6ELNS1_11target_archE950ELNS1_3gpuE13ELNS1_3repE0EEENS1_47radix_sort_onesweep_sort_config_static_selectorELNS0_4arch9wavefront6targetE1EEEvSG_.num_named_barrier, 0
	.set _ZN7rocprim17ROCPRIM_400000_NS6detail17trampoline_kernelINS0_14default_configENS1_35radix_sort_onesweep_config_selectorIllEEZZNS1_29radix_sort_onesweep_iterationIS3_Lb0EPlS7_N6thrust23THRUST_200600_302600_NS10device_ptrIlEESB_jNS0_19identity_decomposerENS1_16block_id_wrapperIjLb0EEEEE10hipError_tT1_PNSt15iterator_traitsISG_E10value_typeET2_T3_PNSH_ISM_E10value_typeET4_T5_PSR_SS_PNS1_23onesweep_lookback_stateEbbT6_jjT7_P12ihipStream_tbENKUlT_T0_SG_SL_E_clIS7_S7_SB_S7_EEDaSZ_S10_SG_SL_EUlSZ_E_NS1_11comp_targetILNS1_3genE6ELNS1_11target_archE950ELNS1_3gpuE13ELNS1_3repE0EEENS1_47radix_sort_onesweep_sort_config_static_selectorELNS0_4arch9wavefront6targetE1EEEvSG_.private_seg_size, 0
	.set _ZN7rocprim17ROCPRIM_400000_NS6detail17trampoline_kernelINS0_14default_configENS1_35radix_sort_onesweep_config_selectorIllEEZZNS1_29radix_sort_onesweep_iterationIS3_Lb0EPlS7_N6thrust23THRUST_200600_302600_NS10device_ptrIlEESB_jNS0_19identity_decomposerENS1_16block_id_wrapperIjLb0EEEEE10hipError_tT1_PNSt15iterator_traitsISG_E10value_typeET2_T3_PNSH_ISM_E10value_typeET4_T5_PSR_SS_PNS1_23onesweep_lookback_stateEbbT6_jjT7_P12ihipStream_tbENKUlT_T0_SG_SL_E_clIS7_S7_SB_S7_EEDaSZ_S10_SG_SL_EUlSZ_E_NS1_11comp_targetILNS1_3genE6ELNS1_11target_archE950ELNS1_3gpuE13ELNS1_3repE0EEENS1_47radix_sort_onesweep_sort_config_static_selectorELNS0_4arch9wavefront6targetE1EEEvSG_.uses_vcc, 0
	.set _ZN7rocprim17ROCPRIM_400000_NS6detail17trampoline_kernelINS0_14default_configENS1_35radix_sort_onesweep_config_selectorIllEEZZNS1_29radix_sort_onesweep_iterationIS3_Lb0EPlS7_N6thrust23THRUST_200600_302600_NS10device_ptrIlEESB_jNS0_19identity_decomposerENS1_16block_id_wrapperIjLb0EEEEE10hipError_tT1_PNSt15iterator_traitsISG_E10value_typeET2_T3_PNSH_ISM_E10value_typeET4_T5_PSR_SS_PNS1_23onesweep_lookback_stateEbbT6_jjT7_P12ihipStream_tbENKUlT_T0_SG_SL_E_clIS7_S7_SB_S7_EEDaSZ_S10_SG_SL_EUlSZ_E_NS1_11comp_targetILNS1_3genE6ELNS1_11target_archE950ELNS1_3gpuE13ELNS1_3repE0EEENS1_47radix_sort_onesweep_sort_config_static_selectorELNS0_4arch9wavefront6targetE1EEEvSG_.uses_flat_scratch, 0
	.set _ZN7rocprim17ROCPRIM_400000_NS6detail17trampoline_kernelINS0_14default_configENS1_35radix_sort_onesweep_config_selectorIllEEZZNS1_29radix_sort_onesweep_iterationIS3_Lb0EPlS7_N6thrust23THRUST_200600_302600_NS10device_ptrIlEESB_jNS0_19identity_decomposerENS1_16block_id_wrapperIjLb0EEEEE10hipError_tT1_PNSt15iterator_traitsISG_E10value_typeET2_T3_PNSH_ISM_E10value_typeET4_T5_PSR_SS_PNS1_23onesweep_lookback_stateEbbT6_jjT7_P12ihipStream_tbENKUlT_T0_SG_SL_E_clIS7_S7_SB_S7_EEDaSZ_S10_SG_SL_EUlSZ_E_NS1_11comp_targetILNS1_3genE6ELNS1_11target_archE950ELNS1_3gpuE13ELNS1_3repE0EEENS1_47radix_sort_onesweep_sort_config_static_selectorELNS0_4arch9wavefront6targetE1EEEvSG_.has_dyn_sized_stack, 0
	.set _ZN7rocprim17ROCPRIM_400000_NS6detail17trampoline_kernelINS0_14default_configENS1_35radix_sort_onesweep_config_selectorIllEEZZNS1_29radix_sort_onesweep_iterationIS3_Lb0EPlS7_N6thrust23THRUST_200600_302600_NS10device_ptrIlEESB_jNS0_19identity_decomposerENS1_16block_id_wrapperIjLb0EEEEE10hipError_tT1_PNSt15iterator_traitsISG_E10value_typeET2_T3_PNSH_ISM_E10value_typeET4_T5_PSR_SS_PNS1_23onesweep_lookback_stateEbbT6_jjT7_P12ihipStream_tbENKUlT_T0_SG_SL_E_clIS7_S7_SB_S7_EEDaSZ_S10_SG_SL_EUlSZ_E_NS1_11comp_targetILNS1_3genE6ELNS1_11target_archE950ELNS1_3gpuE13ELNS1_3repE0EEENS1_47radix_sort_onesweep_sort_config_static_selectorELNS0_4arch9wavefront6targetE1EEEvSG_.has_recursion, 0
	.set _ZN7rocprim17ROCPRIM_400000_NS6detail17trampoline_kernelINS0_14default_configENS1_35radix_sort_onesweep_config_selectorIllEEZZNS1_29radix_sort_onesweep_iterationIS3_Lb0EPlS7_N6thrust23THRUST_200600_302600_NS10device_ptrIlEESB_jNS0_19identity_decomposerENS1_16block_id_wrapperIjLb0EEEEE10hipError_tT1_PNSt15iterator_traitsISG_E10value_typeET2_T3_PNSH_ISM_E10value_typeET4_T5_PSR_SS_PNS1_23onesweep_lookback_stateEbbT6_jjT7_P12ihipStream_tbENKUlT_T0_SG_SL_E_clIS7_S7_SB_S7_EEDaSZ_S10_SG_SL_EUlSZ_E_NS1_11comp_targetILNS1_3genE6ELNS1_11target_archE950ELNS1_3gpuE13ELNS1_3repE0EEENS1_47radix_sort_onesweep_sort_config_static_selectorELNS0_4arch9wavefront6targetE1EEEvSG_.has_indirect_call, 0
	.section	.AMDGPU.csdata,"",@progbits
; Kernel info:
; codeLenInByte = 0
; TotalNumSgprs: 4
; NumVgprs: 0
; ScratchSize: 0
; MemoryBound: 0
; FloatMode: 240
; IeeeMode: 1
; LDSByteSize: 0 bytes/workgroup (compile time only)
; SGPRBlocks: 0
; VGPRBlocks: 0
; NumSGPRsForWavesPerEU: 4
; NumVGPRsForWavesPerEU: 1
; Occupancy: 10
; WaveLimiterHint : 0
; COMPUTE_PGM_RSRC2:SCRATCH_EN: 0
; COMPUTE_PGM_RSRC2:USER_SGPR: 6
; COMPUTE_PGM_RSRC2:TRAP_HANDLER: 0
; COMPUTE_PGM_RSRC2:TGID_X_EN: 1
; COMPUTE_PGM_RSRC2:TGID_Y_EN: 0
; COMPUTE_PGM_RSRC2:TGID_Z_EN: 0
; COMPUTE_PGM_RSRC2:TIDIG_COMP_CNT: 0
	.section	.text._ZN7rocprim17ROCPRIM_400000_NS6detail17trampoline_kernelINS0_14default_configENS1_35radix_sort_onesweep_config_selectorIllEEZZNS1_29radix_sort_onesweep_iterationIS3_Lb0EPlS7_N6thrust23THRUST_200600_302600_NS10device_ptrIlEESB_jNS0_19identity_decomposerENS1_16block_id_wrapperIjLb0EEEEE10hipError_tT1_PNSt15iterator_traitsISG_E10value_typeET2_T3_PNSH_ISM_E10value_typeET4_T5_PSR_SS_PNS1_23onesweep_lookback_stateEbbT6_jjT7_P12ihipStream_tbENKUlT_T0_SG_SL_E_clIS7_S7_SB_S7_EEDaSZ_S10_SG_SL_EUlSZ_E_NS1_11comp_targetILNS1_3genE5ELNS1_11target_archE942ELNS1_3gpuE9ELNS1_3repE0EEENS1_47radix_sort_onesweep_sort_config_static_selectorELNS0_4arch9wavefront6targetE1EEEvSG_,"axG",@progbits,_ZN7rocprim17ROCPRIM_400000_NS6detail17trampoline_kernelINS0_14default_configENS1_35radix_sort_onesweep_config_selectorIllEEZZNS1_29radix_sort_onesweep_iterationIS3_Lb0EPlS7_N6thrust23THRUST_200600_302600_NS10device_ptrIlEESB_jNS0_19identity_decomposerENS1_16block_id_wrapperIjLb0EEEEE10hipError_tT1_PNSt15iterator_traitsISG_E10value_typeET2_T3_PNSH_ISM_E10value_typeET4_T5_PSR_SS_PNS1_23onesweep_lookback_stateEbbT6_jjT7_P12ihipStream_tbENKUlT_T0_SG_SL_E_clIS7_S7_SB_S7_EEDaSZ_S10_SG_SL_EUlSZ_E_NS1_11comp_targetILNS1_3genE5ELNS1_11target_archE942ELNS1_3gpuE9ELNS1_3repE0EEENS1_47radix_sort_onesweep_sort_config_static_selectorELNS0_4arch9wavefront6targetE1EEEvSG_,comdat
	.protected	_ZN7rocprim17ROCPRIM_400000_NS6detail17trampoline_kernelINS0_14default_configENS1_35radix_sort_onesweep_config_selectorIllEEZZNS1_29radix_sort_onesweep_iterationIS3_Lb0EPlS7_N6thrust23THRUST_200600_302600_NS10device_ptrIlEESB_jNS0_19identity_decomposerENS1_16block_id_wrapperIjLb0EEEEE10hipError_tT1_PNSt15iterator_traitsISG_E10value_typeET2_T3_PNSH_ISM_E10value_typeET4_T5_PSR_SS_PNS1_23onesweep_lookback_stateEbbT6_jjT7_P12ihipStream_tbENKUlT_T0_SG_SL_E_clIS7_S7_SB_S7_EEDaSZ_S10_SG_SL_EUlSZ_E_NS1_11comp_targetILNS1_3genE5ELNS1_11target_archE942ELNS1_3gpuE9ELNS1_3repE0EEENS1_47radix_sort_onesweep_sort_config_static_selectorELNS0_4arch9wavefront6targetE1EEEvSG_ ; -- Begin function _ZN7rocprim17ROCPRIM_400000_NS6detail17trampoline_kernelINS0_14default_configENS1_35radix_sort_onesweep_config_selectorIllEEZZNS1_29radix_sort_onesweep_iterationIS3_Lb0EPlS7_N6thrust23THRUST_200600_302600_NS10device_ptrIlEESB_jNS0_19identity_decomposerENS1_16block_id_wrapperIjLb0EEEEE10hipError_tT1_PNSt15iterator_traitsISG_E10value_typeET2_T3_PNSH_ISM_E10value_typeET4_T5_PSR_SS_PNS1_23onesweep_lookback_stateEbbT6_jjT7_P12ihipStream_tbENKUlT_T0_SG_SL_E_clIS7_S7_SB_S7_EEDaSZ_S10_SG_SL_EUlSZ_E_NS1_11comp_targetILNS1_3genE5ELNS1_11target_archE942ELNS1_3gpuE9ELNS1_3repE0EEENS1_47radix_sort_onesweep_sort_config_static_selectorELNS0_4arch9wavefront6targetE1EEEvSG_
	.globl	_ZN7rocprim17ROCPRIM_400000_NS6detail17trampoline_kernelINS0_14default_configENS1_35radix_sort_onesweep_config_selectorIllEEZZNS1_29radix_sort_onesweep_iterationIS3_Lb0EPlS7_N6thrust23THRUST_200600_302600_NS10device_ptrIlEESB_jNS0_19identity_decomposerENS1_16block_id_wrapperIjLb0EEEEE10hipError_tT1_PNSt15iterator_traitsISG_E10value_typeET2_T3_PNSH_ISM_E10value_typeET4_T5_PSR_SS_PNS1_23onesweep_lookback_stateEbbT6_jjT7_P12ihipStream_tbENKUlT_T0_SG_SL_E_clIS7_S7_SB_S7_EEDaSZ_S10_SG_SL_EUlSZ_E_NS1_11comp_targetILNS1_3genE5ELNS1_11target_archE942ELNS1_3gpuE9ELNS1_3repE0EEENS1_47radix_sort_onesweep_sort_config_static_selectorELNS0_4arch9wavefront6targetE1EEEvSG_
	.p2align	8
	.type	_ZN7rocprim17ROCPRIM_400000_NS6detail17trampoline_kernelINS0_14default_configENS1_35radix_sort_onesweep_config_selectorIllEEZZNS1_29radix_sort_onesweep_iterationIS3_Lb0EPlS7_N6thrust23THRUST_200600_302600_NS10device_ptrIlEESB_jNS0_19identity_decomposerENS1_16block_id_wrapperIjLb0EEEEE10hipError_tT1_PNSt15iterator_traitsISG_E10value_typeET2_T3_PNSH_ISM_E10value_typeET4_T5_PSR_SS_PNS1_23onesweep_lookback_stateEbbT6_jjT7_P12ihipStream_tbENKUlT_T0_SG_SL_E_clIS7_S7_SB_S7_EEDaSZ_S10_SG_SL_EUlSZ_E_NS1_11comp_targetILNS1_3genE5ELNS1_11target_archE942ELNS1_3gpuE9ELNS1_3repE0EEENS1_47radix_sort_onesweep_sort_config_static_selectorELNS0_4arch9wavefront6targetE1EEEvSG_,@function
_ZN7rocprim17ROCPRIM_400000_NS6detail17trampoline_kernelINS0_14default_configENS1_35radix_sort_onesweep_config_selectorIllEEZZNS1_29radix_sort_onesweep_iterationIS3_Lb0EPlS7_N6thrust23THRUST_200600_302600_NS10device_ptrIlEESB_jNS0_19identity_decomposerENS1_16block_id_wrapperIjLb0EEEEE10hipError_tT1_PNSt15iterator_traitsISG_E10value_typeET2_T3_PNSH_ISM_E10value_typeET4_T5_PSR_SS_PNS1_23onesweep_lookback_stateEbbT6_jjT7_P12ihipStream_tbENKUlT_T0_SG_SL_E_clIS7_S7_SB_S7_EEDaSZ_S10_SG_SL_EUlSZ_E_NS1_11comp_targetILNS1_3genE5ELNS1_11target_archE942ELNS1_3gpuE9ELNS1_3repE0EEENS1_47radix_sort_onesweep_sort_config_static_selectorELNS0_4arch9wavefront6targetE1EEEvSG_: ; @_ZN7rocprim17ROCPRIM_400000_NS6detail17trampoline_kernelINS0_14default_configENS1_35radix_sort_onesweep_config_selectorIllEEZZNS1_29radix_sort_onesweep_iterationIS3_Lb0EPlS7_N6thrust23THRUST_200600_302600_NS10device_ptrIlEESB_jNS0_19identity_decomposerENS1_16block_id_wrapperIjLb0EEEEE10hipError_tT1_PNSt15iterator_traitsISG_E10value_typeET2_T3_PNSH_ISM_E10value_typeET4_T5_PSR_SS_PNS1_23onesweep_lookback_stateEbbT6_jjT7_P12ihipStream_tbENKUlT_T0_SG_SL_E_clIS7_S7_SB_S7_EEDaSZ_S10_SG_SL_EUlSZ_E_NS1_11comp_targetILNS1_3genE5ELNS1_11target_archE942ELNS1_3gpuE9ELNS1_3repE0EEENS1_47radix_sort_onesweep_sort_config_static_selectorELNS0_4arch9wavefront6targetE1EEEvSG_
; %bb.0:
	.section	.rodata,"a",@progbits
	.p2align	6, 0x0
	.amdhsa_kernel _ZN7rocprim17ROCPRIM_400000_NS6detail17trampoline_kernelINS0_14default_configENS1_35radix_sort_onesweep_config_selectorIllEEZZNS1_29radix_sort_onesweep_iterationIS3_Lb0EPlS7_N6thrust23THRUST_200600_302600_NS10device_ptrIlEESB_jNS0_19identity_decomposerENS1_16block_id_wrapperIjLb0EEEEE10hipError_tT1_PNSt15iterator_traitsISG_E10value_typeET2_T3_PNSH_ISM_E10value_typeET4_T5_PSR_SS_PNS1_23onesweep_lookback_stateEbbT6_jjT7_P12ihipStream_tbENKUlT_T0_SG_SL_E_clIS7_S7_SB_S7_EEDaSZ_S10_SG_SL_EUlSZ_E_NS1_11comp_targetILNS1_3genE5ELNS1_11target_archE942ELNS1_3gpuE9ELNS1_3repE0EEENS1_47radix_sort_onesweep_sort_config_static_selectorELNS0_4arch9wavefront6targetE1EEEvSG_
		.amdhsa_group_segment_fixed_size 0
		.amdhsa_private_segment_fixed_size 0
		.amdhsa_kernarg_size 88
		.amdhsa_user_sgpr_count 6
		.amdhsa_user_sgpr_private_segment_buffer 1
		.amdhsa_user_sgpr_dispatch_ptr 0
		.amdhsa_user_sgpr_queue_ptr 0
		.amdhsa_user_sgpr_kernarg_segment_ptr 1
		.amdhsa_user_sgpr_dispatch_id 0
		.amdhsa_user_sgpr_flat_scratch_init 0
		.amdhsa_user_sgpr_private_segment_size 0
		.amdhsa_uses_dynamic_stack 0
		.amdhsa_system_sgpr_private_segment_wavefront_offset 0
		.amdhsa_system_sgpr_workgroup_id_x 1
		.amdhsa_system_sgpr_workgroup_id_y 0
		.amdhsa_system_sgpr_workgroup_id_z 0
		.amdhsa_system_sgpr_workgroup_info 0
		.amdhsa_system_vgpr_workitem_id 0
		.amdhsa_next_free_vgpr 1
		.amdhsa_next_free_sgpr 0
		.amdhsa_reserve_vcc 0
		.amdhsa_reserve_flat_scratch 0
		.amdhsa_float_round_mode_32 0
		.amdhsa_float_round_mode_16_64 0
		.amdhsa_float_denorm_mode_32 3
		.amdhsa_float_denorm_mode_16_64 3
		.amdhsa_dx10_clamp 1
		.amdhsa_ieee_mode 1
		.amdhsa_fp16_overflow 0
		.amdhsa_exception_fp_ieee_invalid_op 0
		.amdhsa_exception_fp_denorm_src 0
		.amdhsa_exception_fp_ieee_div_zero 0
		.amdhsa_exception_fp_ieee_overflow 0
		.amdhsa_exception_fp_ieee_underflow 0
		.amdhsa_exception_fp_ieee_inexact 0
		.amdhsa_exception_int_div_zero 0
	.end_amdhsa_kernel
	.section	.text._ZN7rocprim17ROCPRIM_400000_NS6detail17trampoline_kernelINS0_14default_configENS1_35radix_sort_onesweep_config_selectorIllEEZZNS1_29radix_sort_onesweep_iterationIS3_Lb0EPlS7_N6thrust23THRUST_200600_302600_NS10device_ptrIlEESB_jNS0_19identity_decomposerENS1_16block_id_wrapperIjLb0EEEEE10hipError_tT1_PNSt15iterator_traitsISG_E10value_typeET2_T3_PNSH_ISM_E10value_typeET4_T5_PSR_SS_PNS1_23onesweep_lookback_stateEbbT6_jjT7_P12ihipStream_tbENKUlT_T0_SG_SL_E_clIS7_S7_SB_S7_EEDaSZ_S10_SG_SL_EUlSZ_E_NS1_11comp_targetILNS1_3genE5ELNS1_11target_archE942ELNS1_3gpuE9ELNS1_3repE0EEENS1_47radix_sort_onesweep_sort_config_static_selectorELNS0_4arch9wavefront6targetE1EEEvSG_,"axG",@progbits,_ZN7rocprim17ROCPRIM_400000_NS6detail17trampoline_kernelINS0_14default_configENS1_35radix_sort_onesweep_config_selectorIllEEZZNS1_29radix_sort_onesweep_iterationIS3_Lb0EPlS7_N6thrust23THRUST_200600_302600_NS10device_ptrIlEESB_jNS0_19identity_decomposerENS1_16block_id_wrapperIjLb0EEEEE10hipError_tT1_PNSt15iterator_traitsISG_E10value_typeET2_T3_PNSH_ISM_E10value_typeET4_T5_PSR_SS_PNS1_23onesweep_lookback_stateEbbT6_jjT7_P12ihipStream_tbENKUlT_T0_SG_SL_E_clIS7_S7_SB_S7_EEDaSZ_S10_SG_SL_EUlSZ_E_NS1_11comp_targetILNS1_3genE5ELNS1_11target_archE942ELNS1_3gpuE9ELNS1_3repE0EEENS1_47radix_sort_onesweep_sort_config_static_selectorELNS0_4arch9wavefront6targetE1EEEvSG_,comdat
.Lfunc_end1170:
	.size	_ZN7rocprim17ROCPRIM_400000_NS6detail17trampoline_kernelINS0_14default_configENS1_35radix_sort_onesweep_config_selectorIllEEZZNS1_29radix_sort_onesweep_iterationIS3_Lb0EPlS7_N6thrust23THRUST_200600_302600_NS10device_ptrIlEESB_jNS0_19identity_decomposerENS1_16block_id_wrapperIjLb0EEEEE10hipError_tT1_PNSt15iterator_traitsISG_E10value_typeET2_T3_PNSH_ISM_E10value_typeET4_T5_PSR_SS_PNS1_23onesweep_lookback_stateEbbT6_jjT7_P12ihipStream_tbENKUlT_T0_SG_SL_E_clIS7_S7_SB_S7_EEDaSZ_S10_SG_SL_EUlSZ_E_NS1_11comp_targetILNS1_3genE5ELNS1_11target_archE942ELNS1_3gpuE9ELNS1_3repE0EEENS1_47radix_sort_onesweep_sort_config_static_selectorELNS0_4arch9wavefront6targetE1EEEvSG_, .Lfunc_end1170-_ZN7rocprim17ROCPRIM_400000_NS6detail17trampoline_kernelINS0_14default_configENS1_35radix_sort_onesweep_config_selectorIllEEZZNS1_29radix_sort_onesweep_iterationIS3_Lb0EPlS7_N6thrust23THRUST_200600_302600_NS10device_ptrIlEESB_jNS0_19identity_decomposerENS1_16block_id_wrapperIjLb0EEEEE10hipError_tT1_PNSt15iterator_traitsISG_E10value_typeET2_T3_PNSH_ISM_E10value_typeET4_T5_PSR_SS_PNS1_23onesweep_lookback_stateEbbT6_jjT7_P12ihipStream_tbENKUlT_T0_SG_SL_E_clIS7_S7_SB_S7_EEDaSZ_S10_SG_SL_EUlSZ_E_NS1_11comp_targetILNS1_3genE5ELNS1_11target_archE942ELNS1_3gpuE9ELNS1_3repE0EEENS1_47radix_sort_onesweep_sort_config_static_selectorELNS0_4arch9wavefront6targetE1EEEvSG_
                                        ; -- End function
	.set _ZN7rocprim17ROCPRIM_400000_NS6detail17trampoline_kernelINS0_14default_configENS1_35radix_sort_onesweep_config_selectorIllEEZZNS1_29radix_sort_onesweep_iterationIS3_Lb0EPlS7_N6thrust23THRUST_200600_302600_NS10device_ptrIlEESB_jNS0_19identity_decomposerENS1_16block_id_wrapperIjLb0EEEEE10hipError_tT1_PNSt15iterator_traitsISG_E10value_typeET2_T3_PNSH_ISM_E10value_typeET4_T5_PSR_SS_PNS1_23onesweep_lookback_stateEbbT6_jjT7_P12ihipStream_tbENKUlT_T0_SG_SL_E_clIS7_S7_SB_S7_EEDaSZ_S10_SG_SL_EUlSZ_E_NS1_11comp_targetILNS1_3genE5ELNS1_11target_archE942ELNS1_3gpuE9ELNS1_3repE0EEENS1_47radix_sort_onesweep_sort_config_static_selectorELNS0_4arch9wavefront6targetE1EEEvSG_.num_vgpr, 0
	.set _ZN7rocprim17ROCPRIM_400000_NS6detail17trampoline_kernelINS0_14default_configENS1_35radix_sort_onesweep_config_selectorIllEEZZNS1_29radix_sort_onesweep_iterationIS3_Lb0EPlS7_N6thrust23THRUST_200600_302600_NS10device_ptrIlEESB_jNS0_19identity_decomposerENS1_16block_id_wrapperIjLb0EEEEE10hipError_tT1_PNSt15iterator_traitsISG_E10value_typeET2_T3_PNSH_ISM_E10value_typeET4_T5_PSR_SS_PNS1_23onesweep_lookback_stateEbbT6_jjT7_P12ihipStream_tbENKUlT_T0_SG_SL_E_clIS7_S7_SB_S7_EEDaSZ_S10_SG_SL_EUlSZ_E_NS1_11comp_targetILNS1_3genE5ELNS1_11target_archE942ELNS1_3gpuE9ELNS1_3repE0EEENS1_47radix_sort_onesweep_sort_config_static_selectorELNS0_4arch9wavefront6targetE1EEEvSG_.num_agpr, 0
	.set _ZN7rocprim17ROCPRIM_400000_NS6detail17trampoline_kernelINS0_14default_configENS1_35radix_sort_onesweep_config_selectorIllEEZZNS1_29radix_sort_onesweep_iterationIS3_Lb0EPlS7_N6thrust23THRUST_200600_302600_NS10device_ptrIlEESB_jNS0_19identity_decomposerENS1_16block_id_wrapperIjLb0EEEEE10hipError_tT1_PNSt15iterator_traitsISG_E10value_typeET2_T3_PNSH_ISM_E10value_typeET4_T5_PSR_SS_PNS1_23onesweep_lookback_stateEbbT6_jjT7_P12ihipStream_tbENKUlT_T0_SG_SL_E_clIS7_S7_SB_S7_EEDaSZ_S10_SG_SL_EUlSZ_E_NS1_11comp_targetILNS1_3genE5ELNS1_11target_archE942ELNS1_3gpuE9ELNS1_3repE0EEENS1_47radix_sort_onesweep_sort_config_static_selectorELNS0_4arch9wavefront6targetE1EEEvSG_.numbered_sgpr, 0
	.set _ZN7rocprim17ROCPRIM_400000_NS6detail17trampoline_kernelINS0_14default_configENS1_35radix_sort_onesweep_config_selectorIllEEZZNS1_29radix_sort_onesweep_iterationIS3_Lb0EPlS7_N6thrust23THRUST_200600_302600_NS10device_ptrIlEESB_jNS0_19identity_decomposerENS1_16block_id_wrapperIjLb0EEEEE10hipError_tT1_PNSt15iterator_traitsISG_E10value_typeET2_T3_PNSH_ISM_E10value_typeET4_T5_PSR_SS_PNS1_23onesweep_lookback_stateEbbT6_jjT7_P12ihipStream_tbENKUlT_T0_SG_SL_E_clIS7_S7_SB_S7_EEDaSZ_S10_SG_SL_EUlSZ_E_NS1_11comp_targetILNS1_3genE5ELNS1_11target_archE942ELNS1_3gpuE9ELNS1_3repE0EEENS1_47radix_sort_onesweep_sort_config_static_selectorELNS0_4arch9wavefront6targetE1EEEvSG_.num_named_barrier, 0
	.set _ZN7rocprim17ROCPRIM_400000_NS6detail17trampoline_kernelINS0_14default_configENS1_35radix_sort_onesweep_config_selectorIllEEZZNS1_29radix_sort_onesweep_iterationIS3_Lb0EPlS7_N6thrust23THRUST_200600_302600_NS10device_ptrIlEESB_jNS0_19identity_decomposerENS1_16block_id_wrapperIjLb0EEEEE10hipError_tT1_PNSt15iterator_traitsISG_E10value_typeET2_T3_PNSH_ISM_E10value_typeET4_T5_PSR_SS_PNS1_23onesweep_lookback_stateEbbT6_jjT7_P12ihipStream_tbENKUlT_T0_SG_SL_E_clIS7_S7_SB_S7_EEDaSZ_S10_SG_SL_EUlSZ_E_NS1_11comp_targetILNS1_3genE5ELNS1_11target_archE942ELNS1_3gpuE9ELNS1_3repE0EEENS1_47radix_sort_onesweep_sort_config_static_selectorELNS0_4arch9wavefront6targetE1EEEvSG_.private_seg_size, 0
	.set _ZN7rocprim17ROCPRIM_400000_NS6detail17trampoline_kernelINS0_14default_configENS1_35radix_sort_onesweep_config_selectorIllEEZZNS1_29radix_sort_onesweep_iterationIS3_Lb0EPlS7_N6thrust23THRUST_200600_302600_NS10device_ptrIlEESB_jNS0_19identity_decomposerENS1_16block_id_wrapperIjLb0EEEEE10hipError_tT1_PNSt15iterator_traitsISG_E10value_typeET2_T3_PNSH_ISM_E10value_typeET4_T5_PSR_SS_PNS1_23onesweep_lookback_stateEbbT6_jjT7_P12ihipStream_tbENKUlT_T0_SG_SL_E_clIS7_S7_SB_S7_EEDaSZ_S10_SG_SL_EUlSZ_E_NS1_11comp_targetILNS1_3genE5ELNS1_11target_archE942ELNS1_3gpuE9ELNS1_3repE0EEENS1_47radix_sort_onesweep_sort_config_static_selectorELNS0_4arch9wavefront6targetE1EEEvSG_.uses_vcc, 0
	.set _ZN7rocprim17ROCPRIM_400000_NS6detail17trampoline_kernelINS0_14default_configENS1_35radix_sort_onesweep_config_selectorIllEEZZNS1_29radix_sort_onesweep_iterationIS3_Lb0EPlS7_N6thrust23THRUST_200600_302600_NS10device_ptrIlEESB_jNS0_19identity_decomposerENS1_16block_id_wrapperIjLb0EEEEE10hipError_tT1_PNSt15iterator_traitsISG_E10value_typeET2_T3_PNSH_ISM_E10value_typeET4_T5_PSR_SS_PNS1_23onesweep_lookback_stateEbbT6_jjT7_P12ihipStream_tbENKUlT_T0_SG_SL_E_clIS7_S7_SB_S7_EEDaSZ_S10_SG_SL_EUlSZ_E_NS1_11comp_targetILNS1_3genE5ELNS1_11target_archE942ELNS1_3gpuE9ELNS1_3repE0EEENS1_47radix_sort_onesweep_sort_config_static_selectorELNS0_4arch9wavefront6targetE1EEEvSG_.uses_flat_scratch, 0
	.set _ZN7rocprim17ROCPRIM_400000_NS6detail17trampoline_kernelINS0_14default_configENS1_35radix_sort_onesweep_config_selectorIllEEZZNS1_29radix_sort_onesweep_iterationIS3_Lb0EPlS7_N6thrust23THRUST_200600_302600_NS10device_ptrIlEESB_jNS0_19identity_decomposerENS1_16block_id_wrapperIjLb0EEEEE10hipError_tT1_PNSt15iterator_traitsISG_E10value_typeET2_T3_PNSH_ISM_E10value_typeET4_T5_PSR_SS_PNS1_23onesweep_lookback_stateEbbT6_jjT7_P12ihipStream_tbENKUlT_T0_SG_SL_E_clIS7_S7_SB_S7_EEDaSZ_S10_SG_SL_EUlSZ_E_NS1_11comp_targetILNS1_3genE5ELNS1_11target_archE942ELNS1_3gpuE9ELNS1_3repE0EEENS1_47radix_sort_onesweep_sort_config_static_selectorELNS0_4arch9wavefront6targetE1EEEvSG_.has_dyn_sized_stack, 0
	.set _ZN7rocprim17ROCPRIM_400000_NS6detail17trampoline_kernelINS0_14default_configENS1_35radix_sort_onesweep_config_selectorIllEEZZNS1_29radix_sort_onesweep_iterationIS3_Lb0EPlS7_N6thrust23THRUST_200600_302600_NS10device_ptrIlEESB_jNS0_19identity_decomposerENS1_16block_id_wrapperIjLb0EEEEE10hipError_tT1_PNSt15iterator_traitsISG_E10value_typeET2_T3_PNSH_ISM_E10value_typeET4_T5_PSR_SS_PNS1_23onesweep_lookback_stateEbbT6_jjT7_P12ihipStream_tbENKUlT_T0_SG_SL_E_clIS7_S7_SB_S7_EEDaSZ_S10_SG_SL_EUlSZ_E_NS1_11comp_targetILNS1_3genE5ELNS1_11target_archE942ELNS1_3gpuE9ELNS1_3repE0EEENS1_47radix_sort_onesweep_sort_config_static_selectorELNS0_4arch9wavefront6targetE1EEEvSG_.has_recursion, 0
	.set _ZN7rocprim17ROCPRIM_400000_NS6detail17trampoline_kernelINS0_14default_configENS1_35radix_sort_onesweep_config_selectorIllEEZZNS1_29radix_sort_onesweep_iterationIS3_Lb0EPlS7_N6thrust23THRUST_200600_302600_NS10device_ptrIlEESB_jNS0_19identity_decomposerENS1_16block_id_wrapperIjLb0EEEEE10hipError_tT1_PNSt15iterator_traitsISG_E10value_typeET2_T3_PNSH_ISM_E10value_typeET4_T5_PSR_SS_PNS1_23onesweep_lookback_stateEbbT6_jjT7_P12ihipStream_tbENKUlT_T0_SG_SL_E_clIS7_S7_SB_S7_EEDaSZ_S10_SG_SL_EUlSZ_E_NS1_11comp_targetILNS1_3genE5ELNS1_11target_archE942ELNS1_3gpuE9ELNS1_3repE0EEENS1_47radix_sort_onesweep_sort_config_static_selectorELNS0_4arch9wavefront6targetE1EEEvSG_.has_indirect_call, 0
	.section	.AMDGPU.csdata,"",@progbits
; Kernel info:
; codeLenInByte = 0
; TotalNumSgprs: 4
; NumVgprs: 0
; ScratchSize: 0
; MemoryBound: 0
; FloatMode: 240
; IeeeMode: 1
; LDSByteSize: 0 bytes/workgroup (compile time only)
; SGPRBlocks: 0
; VGPRBlocks: 0
; NumSGPRsForWavesPerEU: 4
; NumVGPRsForWavesPerEU: 1
; Occupancy: 10
; WaveLimiterHint : 0
; COMPUTE_PGM_RSRC2:SCRATCH_EN: 0
; COMPUTE_PGM_RSRC2:USER_SGPR: 6
; COMPUTE_PGM_RSRC2:TRAP_HANDLER: 0
; COMPUTE_PGM_RSRC2:TGID_X_EN: 1
; COMPUTE_PGM_RSRC2:TGID_Y_EN: 0
; COMPUTE_PGM_RSRC2:TGID_Z_EN: 0
; COMPUTE_PGM_RSRC2:TIDIG_COMP_CNT: 0
	.section	.text._ZN7rocprim17ROCPRIM_400000_NS6detail17trampoline_kernelINS0_14default_configENS1_35radix_sort_onesweep_config_selectorIllEEZZNS1_29radix_sort_onesweep_iterationIS3_Lb0EPlS7_N6thrust23THRUST_200600_302600_NS10device_ptrIlEESB_jNS0_19identity_decomposerENS1_16block_id_wrapperIjLb0EEEEE10hipError_tT1_PNSt15iterator_traitsISG_E10value_typeET2_T3_PNSH_ISM_E10value_typeET4_T5_PSR_SS_PNS1_23onesweep_lookback_stateEbbT6_jjT7_P12ihipStream_tbENKUlT_T0_SG_SL_E_clIS7_S7_SB_S7_EEDaSZ_S10_SG_SL_EUlSZ_E_NS1_11comp_targetILNS1_3genE2ELNS1_11target_archE906ELNS1_3gpuE6ELNS1_3repE0EEENS1_47radix_sort_onesweep_sort_config_static_selectorELNS0_4arch9wavefront6targetE1EEEvSG_,"axG",@progbits,_ZN7rocprim17ROCPRIM_400000_NS6detail17trampoline_kernelINS0_14default_configENS1_35radix_sort_onesweep_config_selectorIllEEZZNS1_29radix_sort_onesweep_iterationIS3_Lb0EPlS7_N6thrust23THRUST_200600_302600_NS10device_ptrIlEESB_jNS0_19identity_decomposerENS1_16block_id_wrapperIjLb0EEEEE10hipError_tT1_PNSt15iterator_traitsISG_E10value_typeET2_T3_PNSH_ISM_E10value_typeET4_T5_PSR_SS_PNS1_23onesweep_lookback_stateEbbT6_jjT7_P12ihipStream_tbENKUlT_T0_SG_SL_E_clIS7_S7_SB_S7_EEDaSZ_S10_SG_SL_EUlSZ_E_NS1_11comp_targetILNS1_3genE2ELNS1_11target_archE906ELNS1_3gpuE6ELNS1_3repE0EEENS1_47radix_sort_onesweep_sort_config_static_selectorELNS0_4arch9wavefront6targetE1EEEvSG_,comdat
	.protected	_ZN7rocprim17ROCPRIM_400000_NS6detail17trampoline_kernelINS0_14default_configENS1_35radix_sort_onesweep_config_selectorIllEEZZNS1_29radix_sort_onesweep_iterationIS3_Lb0EPlS7_N6thrust23THRUST_200600_302600_NS10device_ptrIlEESB_jNS0_19identity_decomposerENS1_16block_id_wrapperIjLb0EEEEE10hipError_tT1_PNSt15iterator_traitsISG_E10value_typeET2_T3_PNSH_ISM_E10value_typeET4_T5_PSR_SS_PNS1_23onesweep_lookback_stateEbbT6_jjT7_P12ihipStream_tbENKUlT_T0_SG_SL_E_clIS7_S7_SB_S7_EEDaSZ_S10_SG_SL_EUlSZ_E_NS1_11comp_targetILNS1_3genE2ELNS1_11target_archE906ELNS1_3gpuE6ELNS1_3repE0EEENS1_47radix_sort_onesweep_sort_config_static_selectorELNS0_4arch9wavefront6targetE1EEEvSG_ ; -- Begin function _ZN7rocprim17ROCPRIM_400000_NS6detail17trampoline_kernelINS0_14default_configENS1_35radix_sort_onesweep_config_selectorIllEEZZNS1_29radix_sort_onesweep_iterationIS3_Lb0EPlS7_N6thrust23THRUST_200600_302600_NS10device_ptrIlEESB_jNS0_19identity_decomposerENS1_16block_id_wrapperIjLb0EEEEE10hipError_tT1_PNSt15iterator_traitsISG_E10value_typeET2_T3_PNSH_ISM_E10value_typeET4_T5_PSR_SS_PNS1_23onesweep_lookback_stateEbbT6_jjT7_P12ihipStream_tbENKUlT_T0_SG_SL_E_clIS7_S7_SB_S7_EEDaSZ_S10_SG_SL_EUlSZ_E_NS1_11comp_targetILNS1_3genE2ELNS1_11target_archE906ELNS1_3gpuE6ELNS1_3repE0EEENS1_47radix_sort_onesweep_sort_config_static_selectorELNS0_4arch9wavefront6targetE1EEEvSG_
	.globl	_ZN7rocprim17ROCPRIM_400000_NS6detail17trampoline_kernelINS0_14default_configENS1_35radix_sort_onesweep_config_selectorIllEEZZNS1_29radix_sort_onesweep_iterationIS3_Lb0EPlS7_N6thrust23THRUST_200600_302600_NS10device_ptrIlEESB_jNS0_19identity_decomposerENS1_16block_id_wrapperIjLb0EEEEE10hipError_tT1_PNSt15iterator_traitsISG_E10value_typeET2_T3_PNSH_ISM_E10value_typeET4_T5_PSR_SS_PNS1_23onesweep_lookback_stateEbbT6_jjT7_P12ihipStream_tbENKUlT_T0_SG_SL_E_clIS7_S7_SB_S7_EEDaSZ_S10_SG_SL_EUlSZ_E_NS1_11comp_targetILNS1_3genE2ELNS1_11target_archE906ELNS1_3gpuE6ELNS1_3repE0EEENS1_47radix_sort_onesweep_sort_config_static_selectorELNS0_4arch9wavefront6targetE1EEEvSG_
	.p2align	8
	.type	_ZN7rocprim17ROCPRIM_400000_NS6detail17trampoline_kernelINS0_14default_configENS1_35radix_sort_onesweep_config_selectorIllEEZZNS1_29radix_sort_onesweep_iterationIS3_Lb0EPlS7_N6thrust23THRUST_200600_302600_NS10device_ptrIlEESB_jNS0_19identity_decomposerENS1_16block_id_wrapperIjLb0EEEEE10hipError_tT1_PNSt15iterator_traitsISG_E10value_typeET2_T3_PNSH_ISM_E10value_typeET4_T5_PSR_SS_PNS1_23onesweep_lookback_stateEbbT6_jjT7_P12ihipStream_tbENKUlT_T0_SG_SL_E_clIS7_S7_SB_S7_EEDaSZ_S10_SG_SL_EUlSZ_E_NS1_11comp_targetILNS1_3genE2ELNS1_11target_archE906ELNS1_3gpuE6ELNS1_3repE0EEENS1_47radix_sort_onesweep_sort_config_static_selectorELNS0_4arch9wavefront6targetE1EEEvSG_,@function
_ZN7rocprim17ROCPRIM_400000_NS6detail17trampoline_kernelINS0_14default_configENS1_35radix_sort_onesweep_config_selectorIllEEZZNS1_29radix_sort_onesweep_iterationIS3_Lb0EPlS7_N6thrust23THRUST_200600_302600_NS10device_ptrIlEESB_jNS0_19identity_decomposerENS1_16block_id_wrapperIjLb0EEEEE10hipError_tT1_PNSt15iterator_traitsISG_E10value_typeET2_T3_PNSH_ISM_E10value_typeET4_T5_PSR_SS_PNS1_23onesweep_lookback_stateEbbT6_jjT7_P12ihipStream_tbENKUlT_T0_SG_SL_E_clIS7_S7_SB_S7_EEDaSZ_S10_SG_SL_EUlSZ_E_NS1_11comp_targetILNS1_3genE2ELNS1_11target_archE906ELNS1_3gpuE6ELNS1_3repE0EEENS1_47radix_sort_onesweep_sort_config_static_selectorELNS0_4arch9wavefront6targetE1EEEvSG_: ; @_ZN7rocprim17ROCPRIM_400000_NS6detail17trampoline_kernelINS0_14default_configENS1_35radix_sort_onesweep_config_selectorIllEEZZNS1_29radix_sort_onesweep_iterationIS3_Lb0EPlS7_N6thrust23THRUST_200600_302600_NS10device_ptrIlEESB_jNS0_19identity_decomposerENS1_16block_id_wrapperIjLb0EEEEE10hipError_tT1_PNSt15iterator_traitsISG_E10value_typeET2_T3_PNSH_ISM_E10value_typeET4_T5_PSR_SS_PNS1_23onesweep_lookback_stateEbbT6_jjT7_P12ihipStream_tbENKUlT_T0_SG_SL_E_clIS7_S7_SB_S7_EEDaSZ_S10_SG_SL_EUlSZ_E_NS1_11comp_targetILNS1_3genE2ELNS1_11target_archE906ELNS1_3gpuE6ELNS1_3repE0EEENS1_47radix_sort_onesweep_sort_config_static_selectorELNS0_4arch9wavefront6targetE1EEEvSG_
; %bb.0:
	s_add_u32 s0, s0, s7
	s_load_dwordx4 s[40:43], s[4:5], 0x44
	s_load_dwordx8 s[24:31], s[4:5], 0x0
	s_load_dwordx4 s[36:39], s[4:5], 0x28
	s_load_dwordx2 s[34:35], s[4:5], 0x38
	s_addc_u32 s1, s1, 0
	s_mov_b64 s[8:9], -1
	s_waitcnt lgkmcnt(0)
	s_cmp_ge_u32 s6, s42
	s_mul_i32 s44, s6, 0xc00
	v_mbcnt_lo_u32_b32 v21, -1, 0
	s_cbranch_scc0 .LBB1171_72
; %bb.1:
	s_load_dword s7, s[4:5], 0x20
	s_mul_i32 s8, s42, 0xfffff400
	s_mov_b32 s45, 0
	v_mbcnt_hi_u32_b32 v19, -1, v21
	s_lshl_b64 s[42:43], s[44:45], 3
	s_waitcnt lgkmcnt(0)
	s_add_i32 s7, s7, s8
	s_add_u32 s8, s24, s42
	v_and_b32_e32 v3, 63, v19
	s_addc_u32 s9, s25, s43
	v_and_b32_e32 v20, 0x1c0, v0
	v_lshlrev_b32_e32 v22, 3, v3
	v_mul_u32_u24_e32 v4, 6, v20
	v_mov_b32_e32 v5, s9
	v_add_co_u32_e32 v6, vcc, s8, v22
	v_addc_co_u32_e32 v5, vcc, 0, v5, vcc
	v_lshlrev_b32_e32 v23, 3, v4
	v_add_co_u32_e32 v15, vcc, v6, v23
	v_addc_co_u32_e32 v16, vcc, 0, v5, vcc
	v_or_b32_e32 v17, v3, v4
	v_mov_b32_e32 v3, -1
	v_mov_b32_e32 v5, -1
	;; [unrolled: 1-line block ×4, first 2 shown]
	v_cmp_gt_u32_e32 vcc, s7, v17
	s_and_saveexec_b64 s[8:9], vcc
	s_cbranch_execz .LBB1171_3
; %bb.2:
	global_load_dwordx2 v[5:6], v[15:16], off
	s_waitcnt vmcnt(0)
	v_xor_b32_e32 v6, 0x80000000, v6
.LBB1171_3:
	s_or_b64 exec, exec, s[8:9]
	v_or_b32_e32 v7, 64, v17
	v_cmp_gt_u32_e64 s[20:21], s7, v7
	s_and_saveexec_b64 s[8:9], s[20:21]
	s_cbranch_execz .LBB1171_5
; %bb.4:
	global_load_dwordx2 v[3:4], v[15:16], off offset:512
	s_waitcnt vmcnt(0)
	v_xor_b32_e32 v4, 0x80000000, v4
.LBB1171_5:
	s_or_b64 exec, exec, s[8:9]
	v_add_u32_e32 v11, 0x80, v17
	v_mov_b32_e32 v7, -1
	v_mov_b32_e32 v9, -1
	;; [unrolled: 1-line block ×4, first 2 shown]
	v_cmp_gt_u32_e64 s[8:9], s7, v11
	s_and_saveexec_b64 s[10:11], s[8:9]
	s_cbranch_execz .LBB1171_7
; %bb.6:
	global_load_dwordx2 v[9:10], v[15:16], off offset:1024
	s_waitcnt vmcnt(0)
	v_xor_b32_e32 v10, 0x80000000, v10
.LBB1171_7:
	s_or_b64 exec, exec, s[10:11]
	v_add_u32_e32 v11, 0xc0, v17
	v_cmp_gt_u32_e64 s[10:11], s7, v11
	s_and_saveexec_b64 s[12:13], s[10:11]
	s_cbranch_execz .LBB1171_9
; %bb.8:
	global_load_dwordx2 v[7:8], v[15:16], off offset:1536
	s_waitcnt vmcnt(0)
	v_xor_b32_e32 v8, 0x80000000, v8
.LBB1171_9:
	s_or_b64 exec, exec, s[12:13]
	v_add_u32_e32 v18, 0x100, v17
	v_mov_b32_e32 v11, -1
	v_mov_b32_e32 v13, -1
	;; [unrolled: 1-line block ×4, first 2 shown]
	v_cmp_gt_u32_e64 s[12:13], s7, v18
	s_and_saveexec_b64 s[14:15], s[12:13]
	s_cbranch_execz .LBB1171_11
; %bb.10:
	global_load_dwordx2 v[13:14], v[15:16], off offset:2048
	s_waitcnt vmcnt(0)
	v_xor_b32_e32 v14, 0x80000000, v14
.LBB1171_11:
	s_or_b64 exec, exec, s[14:15]
	v_add_u32_e32 v17, 0x140, v17
	v_cmp_gt_u32_e64 s[14:15], s7, v17
	s_and_saveexec_b64 s[16:17], s[14:15]
	s_cbranch_execz .LBB1171_13
; %bb.12:
	global_load_dwordx2 v[11:12], v[15:16], off offset:2560
	s_waitcnt vmcnt(0)
	v_xor_b32_e32 v12, 0x80000000, v12
.LBB1171_13:
	s_or_b64 exec, exec, s[16:17]
	s_load_dword s16, s[4:5], 0x64
	s_load_dword s33, s[4:5], 0x58
	s_add_u32 s17, s4, 0x58
	s_addc_u32 s18, s5, 0
	v_mov_b32_e32 v15, 0
	s_waitcnt lgkmcnt(0)
	s_lshr_b32 s19, s16, 16
	s_cmp_lt_u32 s6, s33
	s_cselect_b32 s16, 12, 18
	s_add_u32 s16, s17, s16
	s_addc_u32 s17, s18, 0
	global_load_ushort v18, v15, s[16:17]
	v_lshrrev_b64 v[16:17], s40, v[5:6]
	s_lshl_b32 s16, -1, s41
	s_not_b32 s45, s16
	v_and_b32_e32 v25, s45, v16
	v_and_b32_e32 v26, 1, v25
	v_add_co_u32_e64 v28, s[16:17], -1, v26
	v_lshlrev_b32_e32 v16, 30, v25
	v_addc_co_u32_e64 v29, s[16:17], 0, -1, s[16:17]
	v_mad_u32_u24 v17, v2, s19, v1
	v_cmp_ne_u32_e64 s[16:17], 0, v26
	v_cmp_gt_i64_e64 s[18:19], 0, v[15:16]
	v_not_b32_e32 v26, v16
	v_lshlrev_b32_e32 v16, 29, v25
	v_xor_b32_e32 v29, s17, v29
	v_xor_b32_e32 v28, s16, v28
	v_ashrrev_i32_e32 v26, 31, v26
	v_cmp_gt_i64_e64 s[16:17], 0, v[15:16]
	v_not_b32_e32 v30, v16
	v_lshlrev_b32_e32 v16, 28, v25
	v_and_b32_e32 v29, exec_hi, v29
	v_and_b32_e32 v28, exec_lo, v28
	v_xor_b32_e32 v31, s19, v26
	v_xor_b32_e32 v26, s18, v26
	v_ashrrev_i32_e32 v30, 31, v30
	v_cmp_gt_i64_e64 s[18:19], 0, v[15:16]
	v_not_b32_e32 v32, v16
	v_lshlrev_b32_e32 v16, 27, v25
	v_and_b32_e32 v29, v29, v31
	v_and_b32_e32 v26, v28, v26
	v_xor_b32_e32 v28, s17, v30
	v_xor_b32_e32 v30, s16, v30
	v_ashrrev_i32_e32 v31, 31, v32
	v_cmp_gt_i64_e64 s[16:17], 0, v[15:16]
	v_not_b32_e32 v32, v16
	v_lshlrev_b32_e32 v16, 26, v25
	v_and_b32_e32 v28, v29, v28
	v_and_b32_e32 v26, v26, v30
	;; [unrolled: 8-line block ×3, first 2 shown]
	v_xor_b32_e32 v29, s17, v31
	v_xor_b32_e32 v30, s16, v31
	v_ashrrev_i32_e32 v31, 31, v32
	v_cmp_gt_i64_e64 s[16:17], 0, v[15:16]
	v_not_b32_e32 v32, v16
	v_mul_lo_u32 v27, v25, 36
	v_lshlrev_b32_e32 v16, 24, v25
	v_and_b32_e32 v25, v28, v29
	v_and_b32_e32 v26, v26, v30
	v_xor_b32_e32 v28, s19, v31
	v_xor_b32_e32 v29, s18, v31
	v_ashrrev_i32_e32 v30, 31, v32
	v_and_b32_e32 v25, v25, v28
	v_and_b32_e32 v26, v26, v29
	v_xor_b32_e32 v28, s17, v30
	v_xor_b32_e32 v29, s16, v30
	v_cmp_gt_i64_e64 s[18:19], 0, v[15:16]
	v_not_b32_e32 v16, v16
	v_and_b32_e32 v28, v25, v28
	v_and_b32_e32 v29, v26, v29
	v_ashrrev_i32_e32 v16, 31, v16
	v_xor_b32_e32 v30, s19, v16
	v_xor_b32_e32 v16, s18, v16
	v_and_b32_e32 v16, v29, v16
	v_mul_u32_u24_e32 v24, 20, v0
	ds_write2_b32 v24, v15, v15 offset0:8 offset1:9
	ds_write2_b32 v24, v15, v15 offset0:10 offset1:11
	ds_write_b32 v24, v15 offset:48
	s_waitcnt vmcnt(0) lgkmcnt(0)
	s_barrier
	; wave barrier
	v_mad_u64_u32 v[25:26], s[16:17], v17, v18, v[0:1]
	v_and_b32_e32 v17, v28, v30
	v_cmp_ne_u64_e64 s[16:17], 0, v[16:17]
	v_lshrrev_b32_e32 v18, 6, v25
	v_mbcnt_lo_u32_b32 v25, v16, 0
	v_mbcnt_hi_u32_b32 v25, v17, v25
	v_cmp_eq_u32_e64 s[18:19], 0, v25
	v_lshl_add_u32 v29, v18, 2, v27
	s_and_b64 s[18:19], s[16:17], s[18:19]
	s_and_saveexec_b64 s[16:17], s[18:19]
; %bb.14:
	v_bcnt_u32_b32 v16, v16, 0
	v_bcnt_u32_b32 v16, v17, v16
	ds_write_b32 v29, v16 offset:32
; %bb.15:
	s_or_b64 exec, exec, s[16:17]
	v_lshrrev_b64 v[16:17], s40, v[3:4]
	v_and_b32_e32 v17, s45, v16
	v_mul_lo_u32 v16, v17, 36
	v_and_b32_e32 v27, 1, v17
	; wave barrier
	v_lshl_add_u32 v30, v18, 2, v16
	v_add_co_u32_e64 v16, s[16:17], -1, v27
	v_addc_co_u32_e64 v28, s[16:17], 0, -1, s[16:17]
	v_cmp_ne_u32_e64 s[16:17], 0, v27
	v_xor_b32_e32 v16, s16, v16
	v_xor_b32_e32 v27, s17, v28
	v_and_b32_e32 v28, exec_lo, v16
	v_lshlrev_b32_e32 v16, 30, v17
	v_cmp_gt_i64_e64 s[16:17], 0, v[15:16]
	v_not_b32_e32 v16, v16
	v_ashrrev_i32_e32 v16, 31, v16
	v_xor_b32_e32 v31, s17, v16
	v_xor_b32_e32 v16, s16, v16
	v_and_b32_e32 v28, v28, v16
	v_lshlrev_b32_e32 v16, 29, v17
	v_cmp_gt_i64_e64 s[16:17], 0, v[15:16]
	v_not_b32_e32 v16, v16
	v_and_b32_e32 v27, exec_hi, v27
	v_ashrrev_i32_e32 v16, 31, v16
	v_and_b32_e32 v27, v27, v31
	v_xor_b32_e32 v31, s17, v16
	v_xor_b32_e32 v16, s16, v16
	v_and_b32_e32 v28, v28, v16
	v_lshlrev_b32_e32 v16, 28, v17
	v_cmp_gt_i64_e64 s[16:17], 0, v[15:16]
	v_not_b32_e32 v16, v16
	v_ashrrev_i32_e32 v16, 31, v16
	v_and_b32_e32 v27, v27, v31
	v_xor_b32_e32 v31, s17, v16
	v_xor_b32_e32 v16, s16, v16
	v_and_b32_e32 v28, v28, v16
	v_lshlrev_b32_e32 v16, 27, v17
	v_cmp_gt_i64_e64 s[16:17], 0, v[15:16]
	v_not_b32_e32 v16, v16
	;; [unrolled: 8-line block ×5, first 2 shown]
	v_ashrrev_i32_e32 v15, 31, v15
	v_xor_b32_e32 v16, s17, v15
	v_xor_b32_e32 v15, s16, v15
	ds_read_b32 v26, v30 offset:32
	v_and_b32_e32 v27, v27, v31
	v_and_b32_e32 v15, v28, v15
	;; [unrolled: 1-line block ×3, first 2 shown]
	v_mbcnt_lo_u32_b32 v17, v15, 0
	v_mbcnt_hi_u32_b32 v27, v16, v17
	v_cmp_ne_u64_e64 s[16:17], 0, v[15:16]
	v_cmp_eq_u32_e64 s[18:19], 0, v27
	s_and_b64 s[18:19], s[16:17], s[18:19]
	; wave barrier
	s_and_saveexec_b64 s[16:17], s[18:19]
	s_cbranch_execz .LBB1171_17
; %bb.16:
	v_bcnt_u32_b32 v15, v15, 0
	v_bcnt_u32_b32 v15, v16, v15
	s_waitcnt lgkmcnt(0)
	v_add_u32_e32 v15, v26, v15
	ds_write_b32 v30, v15 offset:32
.LBB1171_17:
	s_or_b64 exec, exec, s[16:17]
	v_lshrrev_b64 v[15:16], s40, v[9:10]
	v_and_b32_e32 v17, s45, v15
	v_mul_lo_u32 v16, v17, 36
	v_and_b32_e32 v31, 1, v17
	v_mov_b32_e32 v15, 0
	; wave barrier
	v_lshl_add_u32 v33, v18, 2, v16
	v_add_co_u32_e64 v16, s[16:17], -1, v31
	v_addc_co_u32_e64 v32, s[16:17], 0, -1, s[16:17]
	v_cmp_ne_u32_e64 s[16:17], 0, v31
	v_xor_b32_e32 v16, s16, v16
	v_xor_b32_e32 v31, s17, v32
	v_and_b32_e32 v32, exec_lo, v16
	v_lshlrev_b32_e32 v16, 30, v17
	v_cmp_gt_i64_e64 s[16:17], 0, v[15:16]
	v_not_b32_e32 v16, v16
	v_ashrrev_i32_e32 v16, 31, v16
	v_xor_b32_e32 v34, s17, v16
	v_xor_b32_e32 v16, s16, v16
	v_and_b32_e32 v32, v32, v16
	v_lshlrev_b32_e32 v16, 29, v17
	v_cmp_gt_i64_e64 s[16:17], 0, v[15:16]
	v_not_b32_e32 v16, v16
	v_and_b32_e32 v31, exec_hi, v31
	v_ashrrev_i32_e32 v16, 31, v16
	v_and_b32_e32 v31, v31, v34
	v_xor_b32_e32 v34, s17, v16
	v_xor_b32_e32 v16, s16, v16
	v_and_b32_e32 v32, v32, v16
	v_lshlrev_b32_e32 v16, 28, v17
	v_cmp_gt_i64_e64 s[16:17], 0, v[15:16]
	v_not_b32_e32 v16, v16
	v_ashrrev_i32_e32 v16, 31, v16
	v_and_b32_e32 v31, v31, v34
	v_xor_b32_e32 v34, s17, v16
	v_xor_b32_e32 v16, s16, v16
	v_and_b32_e32 v32, v32, v16
	v_lshlrev_b32_e32 v16, 27, v17
	v_cmp_gt_i64_e64 s[16:17], 0, v[15:16]
	v_not_b32_e32 v16, v16
	;; [unrolled: 8-line block ×5, first 2 shown]
	v_ashrrev_i32_e32 v16, 31, v16
	v_xor_b32_e32 v17, s17, v16
	v_xor_b32_e32 v16, s16, v16
	ds_read_b32 v28, v33 offset:32
	v_and_b32_e32 v31, v31, v34
	v_and_b32_e32 v16, v32, v16
	;; [unrolled: 1-line block ×3, first 2 shown]
	v_mbcnt_lo_u32_b32 v31, v16, 0
	v_mbcnt_hi_u32_b32 v31, v17, v31
	v_cmp_ne_u64_e64 s[16:17], 0, v[16:17]
	v_cmp_eq_u32_e64 s[18:19], 0, v31
	s_and_b64 s[18:19], s[16:17], s[18:19]
	; wave barrier
	s_and_saveexec_b64 s[16:17], s[18:19]
	s_cbranch_execz .LBB1171_19
; %bb.18:
	v_bcnt_u32_b32 v16, v16, 0
	v_bcnt_u32_b32 v16, v17, v16
	s_waitcnt lgkmcnt(0)
	v_add_u32_e32 v16, v28, v16
	ds_write_b32 v33, v16 offset:32
.LBB1171_19:
	s_or_b64 exec, exec, s[16:17]
	v_lshrrev_b64 v[16:17], s40, v[7:8]
	v_and_b32_e32 v17, s45, v16
	v_mul_lo_u32 v16, v17, 36
	v_and_b32_e32 v34, 1, v17
	; wave barrier
	v_lshl_add_u32 v36, v18, 2, v16
	v_add_co_u32_e64 v16, s[16:17], -1, v34
	v_addc_co_u32_e64 v35, s[16:17], 0, -1, s[16:17]
	v_cmp_ne_u32_e64 s[16:17], 0, v34
	v_xor_b32_e32 v16, s16, v16
	v_xor_b32_e32 v34, s17, v35
	v_and_b32_e32 v35, exec_lo, v16
	v_lshlrev_b32_e32 v16, 30, v17
	v_cmp_gt_i64_e64 s[16:17], 0, v[15:16]
	v_not_b32_e32 v16, v16
	v_ashrrev_i32_e32 v16, 31, v16
	v_xor_b32_e32 v37, s17, v16
	v_xor_b32_e32 v16, s16, v16
	v_and_b32_e32 v35, v35, v16
	v_lshlrev_b32_e32 v16, 29, v17
	v_cmp_gt_i64_e64 s[16:17], 0, v[15:16]
	v_not_b32_e32 v16, v16
	v_and_b32_e32 v34, exec_hi, v34
	v_ashrrev_i32_e32 v16, 31, v16
	v_and_b32_e32 v34, v34, v37
	v_xor_b32_e32 v37, s17, v16
	v_xor_b32_e32 v16, s16, v16
	v_and_b32_e32 v35, v35, v16
	v_lshlrev_b32_e32 v16, 28, v17
	v_cmp_gt_i64_e64 s[16:17], 0, v[15:16]
	v_not_b32_e32 v16, v16
	v_ashrrev_i32_e32 v16, 31, v16
	v_and_b32_e32 v34, v34, v37
	v_xor_b32_e32 v37, s17, v16
	v_xor_b32_e32 v16, s16, v16
	v_and_b32_e32 v35, v35, v16
	v_lshlrev_b32_e32 v16, 27, v17
	v_cmp_gt_i64_e64 s[16:17], 0, v[15:16]
	v_not_b32_e32 v16, v16
	;; [unrolled: 8-line block ×5, first 2 shown]
	v_ashrrev_i32_e32 v15, 31, v15
	v_xor_b32_e32 v16, s17, v15
	v_xor_b32_e32 v15, s16, v15
	ds_read_b32 v32, v36 offset:32
	v_and_b32_e32 v34, v34, v37
	v_and_b32_e32 v15, v35, v15
	;; [unrolled: 1-line block ×3, first 2 shown]
	v_mbcnt_lo_u32_b32 v17, v15, 0
	v_mbcnt_hi_u32_b32 v34, v16, v17
	v_cmp_ne_u64_e64 s[16:17], 0, v[15:16]
	v_cmp_eq_u32_e64 s[18:19], 0, v34
	s_and_b64 s[18:19], s[16:17], s[18:19]
	; wave barrier
	s_and_saveexec_b64 s[16:17], s[18:19]
	s_cbranch_execz .LBB1171_21
; %bb.20:
	v_bcnt_u32_b32 v15, v15, 0
	v_bcnt_u32_b32 v15, v16, v15
	s_waitcnt lgkmcnt(0)
	v_add_u32_e32 v15, v32, v15
	ds_write_b32 v36, v15 offset:32
.LBB1171_21:
	s_or_b64 exec, exec, s[16:17]
	v_lshrrev_b64 v[15:16], s40, v[13:14]
	v_and_b32_e32 v17, s45, v15
	v_mul_lo_u32 v16, v17, 36
	v_and_b32_e32 v37, 1, v17
	v_mov_b32_e32 v15, 0
	; wave barrier
	v_lshl_add_u32 v39, v18, 2, v16
	v_add_co_u32_e64 v16, s[16:17], -1, v37
	v_addc_co_u32_e64 v38, s[16:17], 0, -1, s[16:17]
	v_cmp_ne_u32_e64 s[16:17], 0, v37
	v_xor_b32_e32 v16, s16, v16
	v_xor_b32_e32 v37, s17, v38
	v_and_b32_e32 v38, exec_lo, v16
	v_lshlrev_b32_e32 v16, 30, v17
	v_cmp_gt_i64_e64 s[16:17], 0, v[15:16]
	v_not_b32_e32 v16, v16
	v_ashrrev_i32_e32 v16, 31, v16
	v_xor_b32_e32 v40, s17, v16
	v_xor_b32_e32 v16, s16, v16
	v_and_b32_e32 v38, v38, v16
	v_lshlrev_b32_e32 v16, 29, v17
	v_cmp_gt_i64_e64 s[16:17], 0, v[15:16]
	v_not_b32_e32 v16, v16
	v_and_b32_e32 v37, exec_hi, v37
	v_ashrrev_i32_e32 v16, 31, v16
	v_and_b32_e32 v37, v37, v40
	v_xor_b32_e32 v40, s17, v16
	v_xor_b32_e32 v16, s16, v16
	v_and_b32_e32 v38, v38, v16
	v_lshlrev_b32_e32 v16, 28, v17
	v_cmp_gt_i64_e64 s[16:17], 0, v[15:16]
	v_not_b32_e32 v16, v16
	v_ashrrev_i32_e32 v16, 31, v16
	v_and_b32_e32 v37, v37, v40
	v_xor_b32_e32 v40, s17, v16
	v_xor_b32_e32 v16, s16, v16
	v_and_b32_e32 v38, v38, v16
	v_lshlrev_b32_e32 v16, 27, v17
	v_cmp_gt_i64_e64 s[16:17], 0, v[15:16]
	v_not_b32_e32 v16, v16
	;; [unrolled: 8-line block ×5, first 2 shown]
	v_ashrrev_i32_e32 v16, 31, v16
	v_xor_b32_e32 v17, s17, v16
	v_xor_b32_e32 v16, s16, v16
	ds_read_b32 v35, v39 offset:32
	v_and_b32_e32 v37, v37, v40
	v_and_b32_e32 v16, v38, v16
	;; [unrolled: 1-line block ×3, first 2 shown]
	v_mbcnt_lo_u32_b32 v37, v16, 0
	v_mbcnt_hi_u32_b32 v37, v17, v37
	v_cmp_ne_u64_e64 s[16:17], 0, v[16:17]
	v_cmp_eq_u32_e64 s[18:19], 0, v37
	s_and_b64 s[18:19], s[16:17], s[18:19]
	; wave barrier
	s_and_saveexec_b64 s[16:17], s[18:19]
	s_cbranch_execz .LBB1171_23
; %bb.22:
	v_bcnt_u32_b32 v16, v16, 0
	v_bcnt_u32_b32 v16, v17, v16
	s_waitcnt lgkmcnt(0)
	v_add_u32_e32 v16, v35, v16
	ds_write_b32 v39, v16 offset:32
.LBB1171_23:
	s_or_b64 exec, exec, s[16:17]
	v_lshrrev_b64 v[16:17], s40, v[11:12]
	v_and_b32_e32 v17, s45, v16
	v_mul_lo_u32 v16, v17, 36
	v_and_b32_e32 v40, 1, v17
	; wave barrier
	v_lshl_add_u32 v41, v18, 2, v16
	v_add_co_u32_e64 v16, s[16:17], -1, v40
	v_addc_co_u32_e64 v18, s[16:17], 0, -1, s[16:17]
	v_cmp_ne_u32_e64 s[16:17], 0, v40
	v_xor_b32_e32 v16, s16, v16
	v_and_b32_e32 v40, exec_lo, v16
	v_lshlrev_b32_e32 v16, 30, v17
	v_xor_b32_e32 v18, s17, v18
	v_cmp_gt_i64_e64 s[16:17], 0, v[15:16]
	v_not_b32_e32 v16, v16
	v_ashrrev_i32_e32 v16, 31, v16
	v_xor_b32_e32 v42, s17, v16
	v_xor_b32_e32 v16, s16, v16
	v_and_b32_e32 v40, v40, v16
	v_lshlrev_b32_e32 v16, 29, v17
	v_cmp_gt_i64_e64 s[16:17], 0, v[15:16]
	v_not_b32_e32 v16, v16
	v_and_b32_e32 v18, exec_hi, v18
	v_ashrrev_i32_e32 v16, 31, v16
	v_and_b32_e32 v18, v18, v42
	v_xor_b32_e32 v42, s17, v16
	v_xor_b32_e32 v16, s16, v16
	v_and_b32_e32 v40, v40, v16
	v_lshlrev_b32_e32 v16, 28, v17
	v_cmp_gt_i64_e64 s[16:17], 0, v[15:16]
	v_not_b32_e32 v16, v16
	v_ashrrev_i32_e32 v16, 31, v16
	v_and_b32_e32 v18, v18, v42
	v_xor_b32_e32 v42, s17, v16
	v_xor_b32_e32 v16, s16, v16
	v_and_b32_e32 v40, v40, v16
	v_lshlrev_b32_e32 v16, 27, v17
	v_cmp_gt_i64_e64 s[16:17], 0, v[15:16]
	v_not_b32_e32 v16, v16
	;; [unrolled: 8-line block ×5, first 2 shown]
	v_ashrrev_i32_e32 v15, 31, v15
	v_xor_b32_e32 v16, s17, v15
	v_xor_b32_e32 v15, s16, v15
	ds_read_b32 v38, v41 offset:32
	v_and_b32_e32 v18, v18, v42
	v_and_b32_e32 v15, v40, v15
	v_and_b32_e32 v16, v18, v16
	v_mbcnt_lo_u32_b32 v17, v15, 0
	v_mbcnt_hi_u32_b32 v40, v16, v17
	v_cmp_ne_u64_e64 s[16:17], 0, v[15:16]
	v_cmp_eq_u32_e64 s[18:19], 0, v40
	s_and_b64 s[18:19], s[16:17], s[18:19]
	; wave barrier
	s_and_saveexec_b64 s[16:17], s[18:19]
	s_cbranch_execz .LBB1171_25
; %bb.24:
	v_bcnt_u32_b32 v15, v15, 0
	v_bcnt_u32_b32 v15, v16, v15
	s_waitcnt lgkmcnt(0)
	v_add_u32_e32 v15, v38, v15
	ds_write_b32 v41, v15 offset:32
.LBB1171_25:
	s_or_b64 exec, exec, s[16:17]
	; wave barrier
	s_waitcnt lgkmcnt(0)
	s_barrier
	ds_read2_b32 v[17:18], v24 offset0:8 offset1:9
	ds_read2_b32 v[15:16], v24 offset0:10 offset1:11
	ds_read_b32 v42, v24 offset:48
	v_min_u32_e32 v20, 0x1c0, v20
	v_or_b32_e32 v20, 63, v20
	s_waitcnt lgkmcnt(1)
	v_add3_u32 v43, v18, v17, v15
	s_waitcnt lgkmcnt(0)
	v_add3_u32 v42, v43, v16, v42
	v_and_b32_e32 v43, 15, v19
	v_cmp_ne_u32_e64 s[16:17], 0, v43
	v_mov_b32_dpp v44, v42 row_shr:1 row_mask:0xf bank_mask:0xf
	v_cndmask_b32_e64 v44, 0, v44, s[16:17]
	v_add_u32_e32 v42, v44, v42
	v_cmp_lt_u32_e64 s[16:17], 1, v43
	s_nop 0
	v_mov_b32_dpp v44, v42 row_shr:2 row_mask:0xf bank_mask:0xf
	v_cndmask_b32_e64 v44, 0, v44, s[16:17]
	v_add_u32_e32 v42, v42, v44
	v_cmp_lt_u32_e64 s[16:17], 3, v43
	s_nop 0
	;; [unrolled: 5-line block ×3, first 2 shown]
	v_mov_b32_dpp v44, v42 row_shr:8 row_mask:0xf bank_mask:0xf
	v_cndmask_b32_e64 v43, 0, v44, s[16:17]
	v_add_u32_e32 v42, v42, v43
	v_bfe_i32 v44, v19, 4, 1
	v_cmp_lt_u32_e64 s[16:17], 31, v19
	v_mov_b32_dpp v43, v42 row_bcast:15 row_mask:0xf bank_mask:0xf
	v_and_b32_e32 v43, v44, v43
	v_add_u32_e32 v42, v42, v43
	s_nop 1
	v_mov_b32_dpp v43, v42 row_bcast:31 row_mask:0xf bank_mask:0xf
	v_cndmask_b32_e64 v43, 0, v43, s[16:17]
	v_add_u32_e32 v42, v42, v43
	v_lshrrev_b32_e32 v43, 6, v0
	v_cmp_eq_u32_e64 s[16:17], v0, v20
	s_and_saveexec_b64 s[18:19], s[16:17]
; %bb.26:
	v_lshlrev_b32_e32 v20, 2, v43
	ds_write_b32 v20, v42
; %bb.27:
	s_or_b64 exec, exec, s[18:19]
	v_cmp_gt_u32_e64 s[16:17], 8, v0
	s_waitcnt lgkmcnt(0)
	s_barrier
	s_and_saveexec_b64 s[18:19], s[16:17]
	s_cbranch_execz .LBB1171_29
; %bb.28:
	v_lshlrev_b32_e32 v20, 2, v0
	ds_read_b32 v44, v20
	v_and_b32_e32 v45, 7, v19
	v_cmp_ne_u32_e64 s[16:17], 0, v45
	s_waitcnt lgkmcnt(0)
	v_mov_b32_dpp v46, v44 row_shr:1 row_mask:0xf bank_mask:0xf
	v_cndmask_b32_e64 v46, 0, v46, s[16:17]
	v_add_u32_e32 v44, v46, v44
	v_cmp_lt_u32_e64 s[16:17], 1, v45
	s_nop 0
	v_mov_b32_dpp v46, v44 row_shr:2 row_mask:0xf bank_mask:0xf
	v_cndmask_b32_e64 v46, 0, v46, s[16:17]
	v_add_u32_e32 v44, v44, v46
	v_cmp_lt_u32_e64 s[16:17], 3, v45
	s_nop 0
	v_mov_b32_dpp v46, v44 row_shr:4 row_mask:0xf bank_mask:0xf
	v_cndmask_b32_e64 v45, 0, v46, s[16:17]
	v_add_u32_e32 v44, v44, v45
	ds_write_b32 v20, v44
.LBB1171_29:
	s_or_b64 exec, exec, s[18:19]
	v_cmp_lt_u32_e64 s[16:17], 63, v0
	v_mov_b32_e32 v20, 0
	s_waitcnt lgkmcnt(0)
	s_barrier
	s_and_saveexec_b64 s[18:19], s[16:17]
; %bb.30:
	v_lshl_add_u32 v20, v43, 2, -4
	ds_read_b32 v20, v20
; %bb.31:
	s_or_b64 exec, exec, s[18:19]
	v_subrev_co_u32_e64 v43, s[16:17], 1, v19
	v_and_b32_e32 v44, 64, v19
	v_cmp_lt_i32_e64 s[18:19], v43, v44
	v_cndmask_b32_e64 v19, v43, v19, s[18:19]
	s_waitcnt lgkmcnt(0)
	v_add_u32_e32 v42, v20, v42
	v_lshlrev_b32_e32 v19, 2, v19
	ds_bpermute_b32 v19, v19, v42
	s_movk_i32 s22, 0x100
	v_cmp_gt_u32_e64 s[18:19], s22, v0
	s_waitcnt lgkmcnt(0)
	v_cndmask_b32_e64 v19, v19, v20, s[16:17]
	v_cmp_ne_u32_e64 s[16:17], 0, v0
	v_cndmask_b32_e64 v19, 0, v19, s[16:17]
	v_add_u32_e32 v17, v19, v17
	v_add_u32_e32 v18, v17, v18
	v_add_u32_e32 v15, v18, v15
	v_add_u32_e32 v16, v15, v16
	ds_write2_b32 v24, v19, v17 offset0:8 offset1:9
	ds_write2_b32 v24, v18, v15 offset0:10 offset1:11
	ds_write_b32 v24, v16 offset:48
	s_waitcnt lgkmcnt(0)
	s_barrier
	ds_read_b32 v43, v29 offset:32
	ds_read_b32 v42, v30 offset:32
	;; [unrolled: 1-line block ×6, first 2 shown]
	s_movk_i32 s16, 0xff
	v_cmp_lt_u32_e64 s[16:17], s16, v0
                                        ; implicit-def: $vgpr24
                                        ; implicit-def: $vgpr29
	s_and_saveexec_b64 s[46:47], s[18:19]
	s_cbranch_execz .LBB1171_35
; %bb.32:
	v_mul_u32_u24_e32 v15, 36, v0
	ds_read_b32 v24, v15 offset:32
	v_add_u32_e32 v16, 1, v0
	v_cmp_ne_u32_e64 s[22:23], s22, v16
	v_mov_b32_e32 v15, 0xc00
	s_and_saveexec_b64 s[48:49], s[22:23]
; %bb.33:
	v_mul_u32_u24_e32 v15, 36, v16
	ds_read_b32 v15, v15 offset:32
; %bb.34:
	s_or_b64 exec, exec, s[48:49]
	s_waitcnt lgkmcnt(0)
	v_sub_u32_e32 v29, v15, v24
.LBB1171_35:
	s_or_b64 exec, exec, s[46:47]
	v_mov_b32_e32 v16, 0
	v_lshlrev_b32_e32 v30, 2, v0
	s_waitcnt lgkmcnt(0)
	s_barrier
	s_and_saveexec_b64 s[22:23], s[18:19]
	s_cbranch_execz .LBB1171_45
; %bb.36:
	v_lshl_add_u32 v15, s6, 8, v0
	v_lshlrev_b64 v[17:18], 2, v[15:16]
	v_mov_b32_e32 v44, s35
	v_add_co_u32_e64 v17, s[18:19], s34, v17
	v_addc_co_u32_e64 v18, s[18:19], v44, v18, s[18:19]
	v_or_b32_e32 v15, 2.0, v29
	s_mov_b64 s[46:47], 0
	s_brev_b32 s52, -4
	s_mov_b32 s53, s6
	v_mov_b32_e32 v45, 0
	global_store_dword v[17:18], v15, off
                                        ; implicit-def: $sgpr18_sgpr19
	s_branch .LBB1171_39
.LBB1171_37:                            ;   in Loop: Header=BB1171_39 Depth=1
	s_or_b64 exec, exec, s[50:51]
.LBB1171_38:                            ;   in Loop: Header=BB1171_39 Depth=1
	s_or_b64 exec, exec, s[48:49]
	v_and_b32_e32 v19, 0x3fffffff, v15
	v_add_u32_e32 v45, v19, v45
	v_cmp_gt_i32_e64 s[18:19], -2.0, v15
	s_and_b64 s[48:49], exec, s[18:19]
	s_or_b64 s[46:47], s[48:49], s[46:47]
	s_andn2_b64 exec, exec, s[46:47]
	s_cbranch_execz .LBB1171_44
.LBB1171_39:                            ; =>This Loop Header: Depth=1
                                        ;     Child Loop BB1171_42 Depth 2
	s_or_b64 s[18:19], s[18:19], exec
	s_cmp_eq_u32 s53, 0
	s_cbranch_scc1 .LBB1171_43
; %bb.40:                               ;   in Loop: Header=BB1171_39 Depth=1
	s_add_i32 s53, s53, -1
	v_lshl_or_b32 v15, s53, 8, v0
	v_lshlrev_b64 v[19:20], 2, v[15:16]
	v_add_co_u32_e64 v19, s[18:19], s34, v19
	v_addc_co_u32_e64 v20, s[18:19], v44, v20, s[18:19]
	global_load_dword v15, v[19:20], off glc
	s_waitcnt vmcnt(0)
	v_cmp_gt_u32_e64 s[18:19], 2.0, v15
	s_and_saveexec_b64 s[48:49], s[18:19]
	s_cbranch_execz .LBB1171_38
; %bb.41:                               ;   in Loop: Header=BB1171_39 Depth=1
	s_mov_b64 s[50:51], 0
.LBB1171_42:                            ;   Parent Loop BB1171_39 Depth=1
                                        ; =>  This Inner Loop Header: Depth=2
	global_load_dword v15, v[19:20], off glc
	s_waitcnt vmcnt(0)
	v_cmp_lt_u32_e64 s[18:19], s52, v15
	s_or_b64 s[50:51], s[18:19], s[50:51]
	s_andn2_b64 exec, exec, s[50:51]
	s_cbranch_execnz .LBB1171_42
	s_branch .LBB1171_37
.LBB1171_43:                            ;   in Loop: Header=BB1171_39 Depth=1
                                        ; implicit-def: $sgpr53
	s_and_b64 s[48:49], exec, s[18:19]
	s_or_b64 s[46:47], s[48:49], s[46:47]
	s_andn2_b64 exec, exec, s[46:47]
	s_cbranch_execnz .LBB1171_39
.LBB1171_44:
	s_or_b64 exec, exec, s[46:47]
	v_add_u32_e32 v15, v45, v29
	v_or_b32_e32 v15, 0x80000000, v15
	global_store_dword v[17:18], v15, off
	global_load_dword v15, v30, s[36:37]
	v_sub_u32_e32 v16, v45, v24
	s_waitcnt vmcnt(0)
	v_add_u32_e32 v15, v16, v15
	ds_write_b32 v30, v15
.LBB1171_45:
	s_or_b64 exec, exec, s[22:23]
	v_add_u32_e32 v17, v43, v25
	v_add3_u32 v18, v40, v41, v38
	v_add3_u32 v19, v37, v39, v35
	v_add3_u32 v20, v34, v36, v32
	v_add3_u32 v25, v31, v33, v28
	v_add3_u32 v26, v27, v42, v26
	s_mov_b32 s46, 0
	s_mov_b32 s47, 0
	v_add_u32_e32 v27, v30, v30
	v_mov_b32_e32 v16, 0
	s_movk_i32 s48, 0x200
	v_mov_b32_e32 v28, v0
	s_branch .LBB1171_47
.LBB1171_46:                            ;   in Loop: Header=BB1171_47 Depth=1
	s_or_b64 exec, exec, s[22:23]
	s_addk_i32 s47, 0xfc00
	s_add_i32 s46, s46, 8
	s_cmpk_eq_i32 s47, 0xf400
	v_add_u32_e32 v28, 0x400, v28
	s_waitcnt vmcnt(0)
	s_barrier
	s_cbranch_scc1 .LBB1171_51
.LBB1171_47:                            ; =>This Inner Loop Header: Depth=1
	v_add_u32_e32 v15, s47, v17
	v_min_u32_e32 v15, 0x400, v15
	v_lshlrev_b32_e32 v15, 3, v15
	ds_write_b64 v15, v[5:6] offset:1024
	v_add_u32_e32 v15, s47, v26
	v_min_u32_e32 v15, 0x400, v15
	v_lshlrev_b32_e32 v15, 3, v15
	ds_write_b64 v15, v[3:4] offset:1024
	;; [unrolled: 4-line block ×5, first 2 shown]
	v_add_u32_e32 v15, s47, v18
	v_min_u32_e32 v15, 0x400, v15
	v_lshlrev_b32_e32 v15, 3, v15
	v_cmp_gt_u32_e64 s[18:19], s7, v28
	ds_write_b64 v15, v[11:12] offset:1024
	s_waitcnt lgkmcnt(0)
	s_barrier
	s_and_saveexec_b64 s[22:23], s[18:19]
	s_cbranch_execz .LBB1171_49
; %bb.48:                               ;   in Loop: Header=BB1171_47 Depth=1
	ds_read_b64 v[31:32], v27 offset:1024
	v_mov_b32_e32 v36, s27
	v_mov_b32_e32 v37, s46
	s_waitcnt lgkmcnt(0)
	v_lshrrev_b64 v[33:34], s40, v[31:32]
	v_xor_b32_e32 v32, 0x80000000, v32
	v_and_b32_e32 v35, s45, v33
	v_lshlrev_b32_e32 v15, 2, v35
	ds_read_b32 v15, v15
	buffer_store_dword v35, v37, s[0:3], 0 offen
	s_waitcnt lgkmcnt(0)
	v_add_u32_e32 v15, v28, v15
	v_lshlrev_b64 v[33:34], 3, v[15:16]
	v_add_co_u32_e64 v33, s[18:19], s26, v33
	v_addc_co_u32_e64 v34, s[18:19], v36, v34, s[18:19]
	global_store_dwordx2 v[33:34], v[31:32], off
.LBB1171_49:                            ;   in Loop: Header=BB1171_47 Depth=1
	s_or_b64 exec, exec, s[22:23]
	v_add_u32_e32 v15, 0x200, v28
	v_cmp_gt_u32_e64 s[18:19], s7, v15
	s_and_saveexec_b64 s[22:23], s[18:19]
	s_cbranch_execz .LBB1171_46
; %bb.50:                               ;   in Loop: Header=BB1171_47 Depth=1
	ds_read_b64 v[31:32], v27 offset:5120
	v_mov_b32_e32 v36, s27
	v_mov_b32_e32 v37, s46
	s_waitcnt lgkmcnt(0)
	v_lshrrev_b64 v[33:34], s40, v[31:32]
	v_xor_b32_e32 v32, 0x80000000, v32
	v_and_b32_e32 v35, s45, v33
	v_lshlrev_b32_e32 v15, 2, v35
	ds_read_b32 v15, v15
	buffer_store_dword v35, v37, s[0:3], 0 offen offset:4
	s_waitcnt lgkmcnt(0)
	v_add3_u32 v15, v28, v15, s48
	v_lshlrev_b64 v[33:34], 3, v[15:16]
	v_add_co_u32_e64 v33, s[18:19], s26, v33
	v_addc_co_u32_e64 v34, s[18:19], v36, v34, s[18:19]
	global_store_dwordx2 v[33:34], v[31:32], off
	s_branch .LBB1171_46
.LBB1171_51:
	s_add_u32 s18, s28, s42
	s_addc_u32 s19, s29, s43
	v_mov_b32_e32 v3, s19
	v_add_co_u32_e64 v4, s[18:19], s18, v22
	v_addc_co_u32_e64 v3, s[18:19], 0, v3, s[18:19]
	v_add_co_u32_e64 v15, s[18:19], v4, v23
	v_addc_co_u32_e64 v16, s[18:19], 0, v3, s[18:19]
                                        ; implicit-def: $vgpr3_vgpr4
	s_and_saveexec_b64 s[18:19], vcc
	s_cbranch_execz .LBB1171_57
; %bb.52:
	global_load_dwordx2 v[3:4], v[15:16], off
	s_or_b64 exec, exec, s[18:19]
                                        ; implicit-def: $vgpr5_vgpr6
	s_and_saveexec_b64 s[18:19], s[20:21]
	s_cbranch_execnz .LBB1171_58
.LBB1171_53:
	s_or_b64 exec, exec, s[18:19]
                                        ; implicit-def: $vgpr7_vgpr8
	s_and_saveexec_b64 s[18:19], s[8:9]
	s_cbranch_execz .LBB1171_59
.LBB1171_54:
	global_load_dwordx2 v[7:8], v[15:16], off offset:1024
	s_or_b64 exec, exec, s[18:19]
                                        ; implicit-def: $vgpr9_vgpr10
	s_and_saveexec_b64 s[8:9], s[10:11]
	s_cbranch_execnz .LBB1171_60
.LBB1171_55:
	s_or_b64 exec, exec, s[8:9]
                                        ; implicit-def: $vgpr11_vgpr12
	s_and_saveexec_b64 s[8:9], s[12:13]
	s_cbranch_execz .LBB1171_61
.LBB1171_56:
	global_load_dwordx2 v[11:12], v[15:16], off offset:2048
	s_or_b64 exec, exec, s[8:9]
                                        ; implicit-def: $vgpr13_vgpr14
	s_and_saveexec_b64 s[8:9], s[14:15]
	s_cbranch_execnz .LBB1171_62
	s_branch .LBB1171_63
.LBB1171_57:
	s_or_b64 exec, exec, s[18:19]
                                        ; implicit-def: $vgpr5_vgpr6
	s_and_saveexec_b64 s[18:19], s[20:21]
	s_cbranch_execz .LBB1171_53
.LBB1171_58:
	global_load_dwordx2 v[5:6], v[15:16], off offset:512
	s_or_b64 exec, exec, s[18:19]
                                        ; implicit-def: $vgpr7_vgpr8
	s_and_saveexec_b64 s[18:19], s[8:9]
	s_cbranch_execnz .LBB1171_54
.LBB1171_59:
	s_or_b64 exec, exec, s[18:19]
                                        ; implicit-def: $vgpr9_vgpr10
	s_and_saveexec_b64 s[8:9], s[10:11]
	s_cbranch_execz .LBB1171_55
.LBB1171_60:
	global_load_dwordx2 v[9:10], v[15:16], off offset:1536
	s_or_b64 exec, exec, s[8:9]
                                        ; implicit-def: $vgpr11_vgpr12
	s_and_saveexec_b64 s[8:9], s[12:13]
	s_cbranch_execnz .LBB1171_56
.LBB1171_61:
	s_or_b64 exec, exec, s[8:9]
                                        ; implicit-def: $vgpr13_vgpr14
	s_and_saveexec_b64 s[8:9], s[14:15]
	s_cbranch_execz .LBB1171_63
.LBB1171_62:
	global_load_dwordx2 v[13:14], v[15:16], off offset:2560
.LBB1171_63:
	s_or_b64 exec, exec, s[8:9]
	s_mov_b32 s10, 0
	s_mov_b32 s11, 0
	v_mov_b32_e32 v16, 0
	s_movk_i32 s12, 0x200
	v_mov_b32_e32 v22, v0
	s_branch .LBB1171_65
.LBB1171_64:                            ;   in Loop: Header=BB1171_65 Depth=1
	s_or_b64 exec, exec, s[8:9]
	s_addk_i32 s11, 0xfc00
	s_add_i32 s10, s10, 8
	s_cmpk_eq_i32 s11, 0xf400
	v_add_u32_e32 v22, 0x400, v22
	s_waitcnt vmcnt(0)
	s_barrier
	s_cbranch_scc1 .LBB1171_69
.LBB1171_65:                            ; =>This Inner Loop Header: Depth=1
	v_add_u32_e32 v15, s11, v17
	v_min_u32_e32 v15, 0x400, v15
	v_lshlrev_b32_e32 v15, 3, v15
	s_waitcnt vmcnt(0)
	ds_write_b64 v15, v[3:4] offset:1024
	v_add_u32_e32 v15, s11, v26
	v_min_u32_e32 v15, 0x400, v15
	v_lshlrev_b32_e32 v15, 3, v15
	ds_write_b64 v15, v[5:6] offset:1024
	v_add_u32_e32 v15, s11, v25
	v_min_u32_e32 v15, 0x400, v15
	v_lshlrev_b32_e32 v15, 3, v15
	;; [unrolled: 4-line block ×5, first 2 shown]
	v_cmp_gt_u32_e32 vcc, s7, v22
	ds_write_b64 v15, v[13:14] offset:1024
	s_waitcnt lgkmcnt(0)
	s_barrier
	s_and_saveexec_b64 s[8:9], vcc
	s_cbranch_execz .LBB1171_67
; %bb.66:                               ;   in Loop: Header=BB1171_65 Depth=1
	v_mov_b32_e32 v15, s10
	buffer_load_dword v15, v15, s[0:3], 0 offen
	v_mov_b32_e32 v23, s31
	s_waitcnt vmcnt(0)
	v_lshlrev_b32_e32 v15, 2, v15
	ds_read_b32 v15, v15
	ds_read_b64 v[31:32], v27 offset:1024
	s_waitcnt lgkmcnt(1)
	v_add_u32_e32 v15, v22, v15
	v_lshlrev_b64 v[33:34], 3, v[15:16]
	v_add_co_u32_e32 v33, vcc, s30, v33
	v_addc_co_u32_e32 v34, vcc, v23, v34, vcc
	s_waitcnt lgkmcnt(0)
	global_store_dwordx2 v[33:34], v[31:32], off
.LBB1171_67:                            ;   in Loop: Header=BB1171_65 Depth=1
	s_or_b64 exec, exec, s[8:9]
	v_add_u32_e32 v15, 0x200, v22
	v_cmp_gt_u32_e32 vcc, s7, v15
	s_and_saveexec_b64 s[8:9], vcc
	s_cbranch_execz .LBB1171_64
; %bb.68:                               ;   in Loop: Header=BB1171_65 Depth=1
	v_mov_b32_e32 v15, s10
	buffer_load_dword v15, v15, s[0:3], 0 offen offset:4
	v_mov_b32_e32 v23, s31
	s_waitcnt vmcnt(0)
	v_lshlrev_b32_e32 v15, 2, v15
	ds_read_b32 v15, v15
	ds_read_b64 v[31:32], v27 offset:5120
	s_waitcnt lgkmcnt(1)
	v_add3_u32 v15, v22, v15, s12
	v_lshlrev_b64 v[33:34], 3, v[15:16]
	v_add_co_u32_e32 v33, vcc, s30, v33
	v_addc_co_u32_e32 v34, vcc, v23, v34, vcc
	s_waitcnt lgkmcnt(0)
	global_store_dwordx2 v[33:34], v[31:32], off
	s_branch .LBB1171_64
.LBB1171_69:
	s_add_i32 s33, s33, -1
	s_cmp_eq_u32 s6, s33
	s_cselect_b64 s[8:9], -1, 0
	s_xor_b64 s[10:11], s[16:17], -1
	s_and_b64 s[10:11], s[10:11], s[8:9]
	s_and_saveexec_b64 s[8:9], s[10:11]
	s_cbranch_execz .LBB1171_71
; %bb.70:
	ds_read_b32 v3, v30
	s_waitcnt lgkmcnt(0)
	v_add3_u32 v3, v24, v29, v3
	global_store_dword v30, v3, s[38:39]
.LBB1171_71:
	s_or_b64 exec, exec, s[8:9]
	s_mov_b64 s[8:9], 0
.LBB1171_72:
	s_and_b64 vcc, exec, s[8:9]
	s_cbranch_vccz .LBB1171_111
; %bb.73:
	s_mov_b32 s45, 0
	s_lshl_b64 s[10:11], s[44:45], 3
	v_mbcnt_hi_u32_b32 v17, -1, v21
	s_add_u32 s7, s24, s10
	v_and_b32_e32 v3, 63, v17
	s_addc_u32 s8, s25, s11
	v_and_b32_e32 v18, 0x1c0, v0
	v_lshlrev_b32_e32 v19, 3, v3
	v_mul_u32_u24_e32 v4, 6, v18
	v_mov_b32_e32 v3, s8
	v_add_co_u32_e32 v5, vcc, s7, v19
	v_addc_co_u32_e32 v3, vcc, 0, v3, vcc
	v_lshlrev_b32_e32 v20, 3, v4
	v_add_co_u32_e32 v21, vcc, v5, v20
	v_addc_co_u32_e32 v22, vcc, 0, v3, vcc
	global_load_dwordx2 v[3:4], v[21:22], off
	s_load_dword s8, s[4:5], 0x64
	s_load_dword s7, s[4:5], 0x58
	s_add_u32 s4, s4, 0x58
	s_addc_u32 s5, s5, 0
	v_mov_b32_e32 v15, 0
	s_waitcnt lgkmcnt(0)
	s_lshr_b32 s12, s8, 16
	s_cmp_lt_u32 s6, s7
	s_cselect_b32 s8, 12, 18
	s_add_u32 s4, s4, s8
	s_addc_u32 s5, s5, 0
	global_load_ushort v23, v15, s[4:5]
	global_load_dwordx2 v[5:6], v[21:22], off offset:512
	global_load_dwordx2 v[7:8], v[21:22], off offset:1024
	;; [unrolled: 1-line block ×5, first 2 shown]
	s_lshl_b32 s4, -1, s41
	s_not_b32 s18, s4
	v_mad_u32_u24 v1, v2, s12, v1
	s_waitcnt vmcnt(6)
	v_xor_b32_e32 v4, 0x80000000, v4
	v_lshrrev_b64 v[21:22], s40, v[3:4]
	v_and_b32_e32 v24, s18, v21
	v_and_b32_e32 v21, 1, v24
	v_lshlrev_b32_e32 v16, 30, v24
	v_cmp_ne_u32_e32 vcc, 0, v21
	v_add_co_u32_e64 v21, s[8:9], -1, v21
	v_cmp_gt_i64_e64 s[4:5], 0, v[15:16]
	v_addc_co_u32_e64 v22, s[8:9], 0, -1, s[8:9]
	v_not_b32_e32 v25, v16
	v_lshlrev_b32_e32 v16, 29, v24
	v_xor_b32_e32 v22, vcc_hi, v22
	v_ashrrev_i32_e32 v25, 31, v25
	v_xor_b32_e32 v21, vcc_lo, v21
	v_cmp_gt_i64_e32 vcc, 0, v[15:16]
	v_not_b32_e32 v26, v16
	v_lshlrev_b32_e32 v16, 28, v24
	v_and_b32_e32 v22, exec_hi, v22
	v_xor_b32_e32 v27, s5, v25
	v_and_b32_e32 v21, exec_lo, v21
	v_xor_b32_e32 v25, s4, v25
	v_ashrrev_i32_e32 v26, 31, v26
	v_cmp_gt_i64_e64 s[4:5], 0, v[15:16]
	v_not_b32_e32 v28, v16
	v_lshlrev_b32_e32 v16, 27, v24
	v_and_b32_e32 v22, v22, v27
	v_and_b32_e32 v21, v21, v25
	v_xor_b32_e32 v25, vcc_hi, v26
	v_xor_b32_e32 v26, vcc_lo, v26
	v_ashrrev_i32_e32 v27, 31, v28
	v_cmp_gt_i64_e32 vcc, 0, v[15:16]
	v_not_b32_e32 v28, v16
	v_lshlrev_b32_e32 v16, 26, v24
	v_and_b32_e32 v22, v22, v25
	v_and_b32_e32 v21, v21, v26
	v_xor_b32_e32 v25, s5, v27
	v_xor_b32_e32 v26, s4, v27
	v_ashrrev_i32_e32 v27, 31, v28
	v_cmp_gt_i64_e64 s[4:5], 0, v[15:16]
	v_not_b32_e32 v28, v16
	v_lshlrev_b32_e32 v16, 25, v24
	v_and_b32_e32 v22, v22, v25
	v_and_b32_e32 v21, v21, v26
	v_xor_b32_e32 v25, vcc_hi, v27
	v_xor_b32_e32 v26, vcc_lo, v27
	v_ashrrev_i32_e32 v27, 31, v28
	v_cmp_gt_i64_e32 vcc, 0, v[15:16]
	v_not_b32_e32 v28, v16
	v_lshlrev_b32_e32 v16, 24, v24
	v_and_b32_e32 v22, v22, v25
	v_and_b32_e32 v21, v21, v26
	v_xor_b32_e32 v25, s5, v27
	v_xor_b32_e32 v26, s4, v27
	v_ashrrev_i32_e32 v27, 31, v28
	v_cmp_gt_i64_e64 s[4:5], 0, v[15:16]
	v_and_b32_e32 v22, v22, v25
	v_and_b32_e32 v21, v21, v26
	v_xor_b32_e32 v25, vcc_hi, v27
	v_xor_b32_e32 v26, vcc_lo, v27
	v_not_b32_e32 v16, v16
	v_and_b32_e32 v25, v22, v25
	v_and_b32_e32 v26, v21, v26
	v_ashrrev_i32_e32 v16, 31, v16
	s_waitcnt vmcnt(5)
	v_mad_u64_u32 v[21:22], s[8:9], v1, v23, v[0:1]
	v_xor_b32_e32 v27, s5, v16
	v_xor_b32_e32 v1, s4, v16
	v_mul_lo_u32 v16, v24, 36
	v_and_b32_e32 v1, v26, v1
	v_lshrrev_b32_e32 v32, 6, v21
	v_and_b32_e32 v2, v25, v27
	v_lshl_add_u32 v26, v32, 2, v16
	v_mbcnt_lo_u32_b32 v16, v1, 0
	v_mbcnt_hi_u32_b32 v21, v2, v16
	v_cmp_ne_u64_e32 vcc, 0, v[1:2]
	v_cmp_eq_u32_e64 s[4:5], 0, v21
	v_mul_u32_u24_e32 v25, 20, v0
	s_and_b64 s[8:9], vcc, s[4:5]
	ds_write2_b32 v25, v15, v15 offset0:8 offset1:9
	ds_write2_b32 v25, v15, v15 offset0:10 offset1:11
	ds_write_b32 v25, v15 offset:48
	s_waitcnt vmcnt(0) lgkmcnt(0)
	s_barrier
	; wave barrier
	s_and_saveexec_b64 s[4:5], s[8:9]
; %bb.74:
	v_bcnt_u32_b32 v1, v1, 0
	v_bcnt_u32_b32 v1, v2, v1
	ds_write_b32 v26, v1 offset:32
; %bb.75:
	s_or_b64 exec, exec, s[4:5]
	v_xor_b32_e32 v6, 0x80000000, v6
	v_lshrrev_b64 v[1:2], s40, v[5:6]
	v_and_b32_e32 v1, s18, v1
	v_mul_lo_u32 v2, v1, 36
	v_and_b32_e32 v16, 1, v1
	; wave barrier
	v_lshl_add_u32 v27, v32, 2, v2
	v_add_co_u32_e32 v2, vcc, -1, v16
	v_addc_co_u32_e64 v23, s[4:5], 0, -1, vcc
	v_cmp_ne_u32_e32 vcc, 0, v16
	v_xor_b32_e32 v16, vcc_hi, v23
	v_and_b32_e32 v23, exec_hi, v16
	v_lshlrev_b32_e32 v16, 30, v1
	v_xor_b32_e32 v2, vcc_lo, v2
	v_cmp_gt_i64_e32 vcc, 0, v[15:16]
	v_not_b32_e32 v16, v16
	v_ashrrev_i32_e32 v16, 31, v16
	v_and_b32_e32 v2, exec_lo, v2
	v_xor_b32_e32 v24, vcc_hi, v16
	v_xor_b32_e32 v16, vcc_lo, v16
	v_and_b32_e32 v2, v2, v16
	v_lshlrev_b32_e32 v16, 29, v1
	v_cmp_gt_i64_e32 vcc, 0, v[15:16]
	v_not_b32_e32 v16, v16
	v_ashrrev_i32_e32 v16, 31, v16
	v_and_b32_e32 v23, v23, v24
	v_xor_b32_e32 v24, vcc_hi, v16
	v_xor_b32_e32 v16, vcc_lo, v16
	v_and_b32_e32 v2, v2, v16
	v_lshlrev_b32_e32 v16, 28, v1
	v_cmp_gt_i64_e32 vcc, 0, v[15:16]
	v_not_b32_e32 v16, v16
	v_ashrrev_i32_e32 v16, 31, v16
	v_and_b32_e32 v23, v23, v24
	;; [unrolled: 8-line block ×5, first 2 shown]
	v_xor_b32_e32 v24, vcc_hi, v16
	v_xor_b32_e32 v16, vcc_lo, v16
	v_and_b32_e32 v23, v23, v24
	v_and_b32_e32 v24, v2, v16
	v_lshlrev_b32_e32 v16, 24, v1
	v_cmp_gt_i64_e32 vcc, 0, v[15:16]
	v_not_b32_e32 v1, v16
	v_ashrrev_i32_e32 v1, 31, v1
	v_xor_b32_e32 v2, vcc_hi, v1
	v_xor_b32_e32 v1, vcc_lo, v1
	ds_read_b32 v22, v27 offset:32
	v_and_b32_e32 v1, v24, v1
	v_and_b32_e32 v2, v23, v2
	v_mbcnt_lo_u32_b32 v15, v1, 0
	v_mbcnt_hi_u32_b32 v23, v2, v15
	v_cmp_ne_u64_e32 vcc, 0, v[1:2]
	v_cmp_eq_u32_e64 s[4:5], 0, v23
	s_and_b64 s[8:9], vcc, s[4:5]
	; wave barrier
	s_and_saveexec_b64 s[4:5], s[8:9]
	s_cbranch_execz .LBB1171_77
; %bb.76:
	v_bcnt_u32_b32 v1, v1, 0
	v_bcnt_u32_b32 v1, v2, v1
	s_waitcnt lgkmcnt(0)
	v_add_u32_e32 v1, v22, v1
	ds_write_b32 v27, v1 offset:32
.LBB1171_77:
	s_or_b64 exec, exec, s[4:5]
	v_xor_b32_e32 v8, 0x80000000, v8
	v_lshrrev_b64 v[1:2], s40, v[7:8]
	v_and_b32_e32 v15, s18, v1
	v_mul_lo_u32 v2, v15, 36
	v_and_b32_e32 v16, 1, v15
	v_mov_b32_e32 v1, 0
	; wave barrier
	v_lshl_add_u32 v30, v32, 2, v2
	v_add_co_u32_e32 v2, vcc, -1, v16
	v_addc_co_u32_e64 v28, s[4:5], 0, -1, vcc
	v_cmp_ne_u32_e32 vcc, 0, v16
	v_xor_b32_e32 v2, vcc_lo, v2
	v_xor_b32_e32 v16, vcc_hi, v28
	v_and_b32_e32 v28, exec_lo, v2
	v_lshlrev_b32_e32 v2, 30, v15
	v_cmp_gt_i64_e32 vcc, 0, v[1:2]
	v_not_b32_e32 v2, v2
	v_ashrrev_i32_e32 v2, 31, v2
	v_xor_b32_e32 v29, vcc_hi, v2
	v_xor_b32_e32 v2, vcc_lo, v2
	v_and_b32_e32 v28, v28, v2
	v_lshlrev_b32_e32 v2, 29, v15
	v_cmp_gt_i64_e32 vcc, 0, v[1:2]
	v_not_b32_e32 v2, v2
	v_and_b32_e32 v16, exec_hi, v16
	v_ashrrev_i32_e32 v2, 31, v2
	v_and_b32_e32 v16, v16, v29
	v_xor_b32_e32 v29, vcc_hi, v2
	v_xor_b32_e32 v2, vcc_lo, v2
	v_and_b32_e32 v28, v28, v2
	v_lshlrev_b32_e32 v2, 28, v15
	v_cmp_gt_i64_e32 vcc, 0, v[1:2]
	v_not_b32_e32 v2, v2
	v_ashrrev_i32_e32 v2, 31, v2
	v_and_b32_e32 v16, v16, v29
	v_xor_b32_e32 v29, vcc_hi, v2
	v_xor_b32_e32 v2, vcc_lo, v2
	v_and_b32_e32 v28, v28, v2
	v_lshlrev_b32_e32 v2, 27, v15
	v_cmp_gt_i64_e32 vcc, 0, v[1:2]
	v_not_b32_e32 v2, v2
	;; [unrolled: 8-line block ×5, first 2 shown]
	v_ashrrev_i32_e32 v2, 31, v2
	v_and_b32_e32 v16, v16, v29
	v_xor_b32_e32 v15, vcc_hi, v2
	v_xor_b32_e32 v2, vcc_lo, v2
	ds_read_b32 v24, v30 offset:32
	v_and_b32_e32 v16, v16, v15
	v_and_b32_e32 v15, v28, v2
	v_mbcnt_lo_u32_b32 v2, v15, 0
	v_mbcnt_hi_u32_b32 v28, v16, v2
	v_cmp_ne_u64_e32 vcc, 0, v[15:16]
	v_cmp_eq_u32_e64 s[4:5], 0, v28
	s_and_b64 s[8:9], vcc, s[4:5]
	; wave barrier
	s_and_saveexec_b64 s[4:5], s[8:9]
	s_cbranch_execz .LBB1171_79
; %bb.78:
	v_bcnt_u32_b32 v2, v15, 0
	v_bcnt_u32_b32 v2, v16, v2
	s_waitcnt lgkmcnt(0)
	v_add_u32_e32 v2, v24, v2
	ds_write_b32 v30, v2 offset:32
.LBB1171_79:
	s_or_b64 exec, exec, s[4:5]
	v_xor_b32_e32 v10, 0x80000000, v10
	v_lshrrev_b64 v[15:16], s40, v[9:10]
	v_and_b32_e32 v15, s18, v15
	v_mul_lo_u32 v2, v15, 36
	v_and_b32_e32 v16, 1, v15
	; wave barrier
	v_lshl_add_u32 v34, v32, 2, v2
	v_add_co_u32_e32 v2, vcc, -1, v16
	v_addc_co_u32_e64 v31, s[4:5], 0, -1, vcc
	v_cmp_ne_u32_e32 vcc, 0, v16
	v_xor_b32_e32 v2, vcc_lo, v2
	v_xor_b32_e32 v16, vcc_hi, v31
	v_and_b32_e32 v31, exec_lo, v2
	v_lshlrev_b32_e32 v2, 30, v15
	v_cmp_gt_i64_e32 vcc, 0, v[1:2]
	v_not_b32_e32 v2, v2
	v_ashrrev_i32_e32 v2, 31, v2
	v_xor_b32_e32 v33, vcc_hi, v2
	v_xor_b32_e32 v2, vcc_lo, v2
	v_and_b32_e32 v31, v31, v2
	v_lshlrev_b32_e32 v2, 29, v15
	v_cmp_gt_i64_e32 vcc, 0, v[1:2]
	v_not_b32_e32 v2, v2
	v_and_b32_e32 v16, exec_hi, v16
	v_ashrrev_i32_e32 v2, 31, v2
	v_and_b32_e32 v16, v16, v33
	v_xor_b32_e32 v33, vcc_hi, v2
	v_xor_b32_e32 v2, vcc_lo, v2
	v_and_b32_e32 v31, v31, v2
	v_lshlrev_b32_e32 v2, 28, v15
	v_cmp_gt_i64_e32 vcc, 0, v[1:2]
	v_not_b32_e32 v2, v2
	v_ashrrev_i32_e32 v2, 31, v2
	v_and_b32_e32 v16, v16, v33
	v_xor_b32_e32 v33, vcc_hi, v2
	v_xor_b32_e32 v2, vcc_lo, v2
	v_and_b32_e32 v31, v31, v2
	v_lshlrev_b32_e32 v2, 27, v15
	v_cmp_gt_i64_e32 vcc, 0, v[1:2]
	v_not_b32_e32 v2, v2
	;; [unrolled: 8-line block ×5, first 2 shown]
	v_ashrrev_i32_e32 v1, 31, v1
	v_xor_b32_e32 v2, vcc_hi, v1
	v_xor_b32_e32 v1, vcc_lo, v1
	ds_read_b32 v29, v34 offset:32
	v_and_b32_e32 v16, v16, v33
	v_and_b32_e32 v1, v31, v1
	;; [unrolled: 1-line block ×3, first 2 shown]
	v_mbcnt_lo_u32_b32 v15, v1, 0
	v_mbcnt_hi_u32_b32 v31, v2, v15
	v_cmp_ne_u64_e32 vcc, 0, v[1:2]
	v_cmp_eq_u32_e64 s[4:5], 0, v31
	s_and_b64 s[8:9], vcc, s[4:5]
	; wave barrier
	s_and_saveexec_b64 s[4:5], s[8:9]
	s_cbranch_execz .LBB1171_81
; %bb.80:
	v_bcnt_u32_b32 v1, v1, 0
	v_bcnt_u32_b32 v1, v2, v1
	s_waitcnt lgkmcnt(0)
	v_add_u32_e32 v1, v29, v1
	ds_write_b32 v34, v1 offset:32
.LBB1171_81:
	s_or_b64 exec, exec, s[4:5]
	v_xor_b32_e32 v12, 0x80000000, v12
	v_lshrrev_b64 v[1:2], s40, v[11:12]
	v_and_b32_e32 v15, s18, v1
	v_mul_lo_u32 v2, v15, 36
	v_and_b32_e32 v16, 1, v15
	v_mov_b32_e32 v1, 0
	; wave barrier
	v_lshl_add_u32 v37, v32, 2, v2
	v_add_co_u32_e32 v2, vcc, -1, v16
	v_addc_co_u32_e64 v35, s[4:5], 0, -1, vcc
	v_cmp_ne_u32_e32 vcc, 0, v16
	v_xor_b32_e32 v2, vcc_lo, v2
	v_xor_b32_e32 v16, vcc_hi, v35
	v_and_b32_e32 v35, exec_lo, v2
	v_lshlrev_b32_e32 v2, 30, v15
	v_cmp_gt_i64_e32 vcc, 0, v[1:2]
	v_not_b32_e32 v2, v2
	v_ashrrev_i32_e32 v2, 31, v2
	v_xor_b32_e32 v36, vcc_hi, v2
	v_xor_b32_e32 v2, vcc_lo, v2
	v_and_b32_e32 v35, v35, v2
	v_lshlrev_b32_e32 v2, 29, v15
	v_cmp_gt_i64_e32 vcc, 0, v[1:2]
	v_not_b32_e32 v2, v2
	v_and_b32_e32 v16, exec_hi, v16
	v_ashrrev_i32_e32 v2, 31, v2
	v_and_b32_e32 v16, v16, v36
	v_xor_b32_e32 v36, vcc_hi, v2
	v_xor_b32_e32 v2, vcc_lo, v2
	v_and_b32_e32 v35, v35, v2
	v_lshlrev_b32_e32 v2, 28, v15
	v_cmp_gt_i64_e32 vcc, 0, v[1:2]
	v_not_b32_e32 v2, v2
	v_ashrrev_i32_e32 v2, 31, v2
	v_and_b32_e32 v16, v16, v36
	v_xor_b32_e32 v36, vcc_hi, v2
	v_xor_b32_e32 v2, vcc_lo, v2
	v_and_b32_e32 v35, v35, v2
	v_lshlrev_b32_e32 v2, 27, v15
	v_cmp_gt_i64_e32 vcc, 0, v[1:2]
	v_not_b32_e32 v2, v2
	;; [unrolled: 8-line block ×5, first 2 shown]
	v_ashrrev_i32_e32 v2, 31, v2
	v_and_b32_e32 v16, v16, v36
	v_xor_b32_e32 v15, vcc_hi, v2
	v_xor_b32_e32 v2, vcc_lo, v2
	ds_read_b32 v33, v37 offset:32
	v_and_b32_e32 v16, v16, v15
	v_and_b32_e32 v15, v35, v2
	v_mbcnt_lo_u32_b32 v2, v15, 0
	v_mbcnt_hi_u32_b32 v35, v16, v2
	v_cmp_ne_u64_e32 vcc, 0, v[15:16]
	v_cmp_eq_u32_e64 s[4:5], 0, v35
	s_and_b64 s[8:9], vcc, s[4:5]
	; wave barrier
	s_and_saveexec_b64 s[4:5], s[8:9]
	s_cbranch_execz .LBB1171_83
; %bb.82:
	v_bcnt_u32_b32 v2, v15, 0
	v_bcnt_u32_b32 v2, v16, v2
	s_waitcnt lgkmcnt(0)
	v_add_u32_e32 v2, v33, v2
	ds_write_b32 v37, v2 offset:32
.LBB1171_83:
	s_or_b64 exec, exec, s[4:5]
	v_xor_b32_e32 v14, 0x80000000, v14
	v_lshrrev_b64 v[15:16], s40, v[13:14]
	v_and_b32_e32 v15, s18, v15
	v_mul_lo_u32 v2, v15, 36
	v_and_b32_e32 v16, 1, v15
	; wave barrier
	v_lshl_add_u32 v39, v32, 2, v2
	v_add_co_u32_e32 v2, vcc, -1, v16
	v_addc_co_u32_e64 v32, s[4:5], 0, -1, vcc
	v_cmp_ne_u32_e32 vcc, 0, v16
	v_xor_b32_e32 v2, vcc_lo, v2
	v_xor_b32_e32 v16, vcc_hi, v32
	v_and_b32_e32 v32, exec_lo, v2
	v_lshlrev_b32_e32 v2, 30, v15
	v_cmp_gt_i64_e32 vcc, 0, v[1:2]
	v_not_b32_e32 v2, v2
	v_ashrrev_i32_e32 v2, 31, v2
	v_xor_b32_e32 v38, vcc_hi, v2
	v_xor_b32_e32 v2, vcc_lo, v2
	v_and_b32_e32 v32, v32, v2
	v_lshlrev_b32_e32 v2, 29, v15
	v_cmp_gt_i64_e32 vcc, 0, v[1:2]
	v_not_b32_e32 v2, v2
	v_and_b32_e32 v16, exec_hi, v16
	v_ashrrev_i32_e32 v2, 31, v2
	v_and_b32_e32 v16, v16, v38
	v_xor_b32_e32 v38, vcc_hi, v2
	v_xor_b32_e32 v2, vcc_lo, v2
	v_and_b32_e32 v32, v32, v2
	v_lshlrev_b32_e32 v2, 28, v15
	v_cmp_gt_i64_e32 vcc, 0, v[1:2]
	v_not_b32_e32 v2, v2
	v_ashrrev_i32_e32 v2, 31, v2
	v_and_b32_e32 v16, v16, v38
	v_xor_b32_e32 v38, vcc_hi, v2
	v_xor_b32_e32 v2, vcc_lo, v2
	v_and_b32_e32 v32, v32, v2
	v_lshlrev_b32_e32 v2, 27, v15
	v_cmp_gt_i64_e32 vcc, 0, v[1:2]
	v_not_b32_e32 v2, v2
	;; [unrolled: 8-line block ×5, first 2 shown]
	v_ashrrev_i32_e32 v1, 31, v1
	v_xor_b32_e32 v2, vcc_hi, v1
	v_xor_b32_e32 v1, vcc_lo, v1
	ds_read_b32 v36, v39 offset:32
	v_and_b32_e32 v16, v16, v38
	v_and_b32_e32 v1, v32, v1
	;; [unrolled: 1-line block ×3, first 2 shown]
	v_mbcnt_lo_u32_b32 v15, v1, 0
	v_mbcnt_hi_u32_b32 v38, v2, v15
	v_cmp_ne_u64_e32 vcc, 0, v[1:2]
	v_cmp_eq_u32_e64 s[4:5], 0, v38
	s_and_b64 s[8:9], vcc, s[4:5]
	; wave barrier
	s_and_saveexec_b64 s[4:5], s[8:9]
	s_cbranch_execz .LBB1171_85
; %bb.84:
	v_bcnt_u32_b32 v1, v1, 0
	v_bcnt_u32_b32 v1, v2, v1
	s_waitcnt lgkmcnt(0)
	v_add_u32_e32 v1, v36, v1
	ds_write_b32 v39, v1 offset:32
.LBB1171_85:
	s_or_b64 exec, exec, s[4:5]
	; wave barrier
	s_waitcnt lgkmcnt(0)
	s_barrier
	ds_read2_b32 v[15:16], v25 offset0:8 offset1:9
	ds_read2_b32 v[1:2], v25 offset0:10 offset1:11
	ds_read_b32 v32, v25 offset:48
	v_min_u32_e32 v18, 0x1c0, v18
	v_or_b32_e32 v18, 63, v18
	s_waitcnt lgkmcnt(1)
	v_add3_u32 v40, v16, v15, v1
	s_waitcnt lgkmcnt(0)
	v_add3_u32 v32, v40, v2, v32
	v_and_b32_e32 v40, 15, v17
	v_cmp_ne_u32_e32 vcc, 0, v40
	v_mov_b32_dpp v41, v32 row_shr:1 row_mask:0xf bank_mask:0xf
	v_cndmask_b32_e32 v41, 0, v41, vcc
	v_add_u32_e32 v32, v41, v32
	v_cmp_lt_u32_e32 vcc, 1, v40
	s_nop 0
	v_mov_b32_dpp v41, v32 row_shr:2 row_mask:0xf bank_mask:0xf
	v_cndmask_b32_e32 v41, 0, v41, vcc
	v_add_u32_e32 v32, v32, v41
	v_cmp_lt_u32_e32 vcc, 3, v40
	s_nop 0
	;; [unrolled: 5-line block ×3, first 2 shown]
	v_mov_b32_dpp v41, v32 row_shr:8 row_mask:0xf bank_mask:0xf
	v_cndmask_b32_e32 v40, 0, v41, vcc
	v_add_u32_e32 v32, v32, v40
	v_bfe_i32 v41, v17, 4, 1
	v_cmp_lt_u32_e32 vcc, 31, v17
	v_mov_b32_dpp v40, v32 row_bcast:15 row_mask:0xf bank_mask:0xf
	v_and_b32_e32 v40, v41, v40
	v_add_u32_e32 v32, v32, v40
	v_lshrrev_b32_e32 v41, 6, v0
	s_nop 0
	v_mov_b32_dpp v40, v32 row_bcast:31 row_mask:0xf bank_mask:0xf
	v_cndmask_b32_e32 v40, 0, v40, vcc
	v_add_u32_e32 v40, v32, v40
	v_cmp_eq_u32_e32 vcc, v0, v18
	s_and_saveexec_b64 s[4:5], vcc
; %bb.86:
	v_lshlrev_b32_e32 v18, 2, v41
	ds_write_b32 v18, v40
; %bb.87:
	s_or_b64 exec, exec, s[4:5]
	v_cmp_gt_u32_e32 vcc, 8, v0
	v_lshlrev_b32_e32 v32, 2, v0
	s_waitcnt lgkmcnt(0)
	s_barrier
	s_and_saveexec_b64 s[4:5], vcc
	s_cbranch_execz .LBB1171_89
; %bb.88:
	ds_read_b32 v18, v32
	v_and_b32_e32 v42, 7, v17
	v_cmp_ne_u32_e32 vcc, 0, v42
	s_waitcnt lgkmcnt(0)
	v_mov_b32_dpp v43, v18 row_shr:1 row_mask:0xf bank_mask:0xf
	v_cndmask_b32_e32 v43, 0, v43, vcc
	v_add_u32_e32 v18, v43, v18
	v_cmp_lt_u32_e32 vcc, 1, v42
	s_nop 0
	v_mov_b32_dpp v43, v18 row_shr:2 row_mask:0xf bank_mask:0xf
	v_cndmask_b32_e32 v43, 0, v43, vcc
	v_add_u32_e32 v18, v18, v43
	v_cmp_lt_u32_e32 vcc, 3, v42
	s_nop 0
	v_mov_b32_dpp v43, v18 row_shr:4 row_mask:0xf bank_mask:0xf
	v_cndmask_b32_e32 v42, 0, v43, vcc
	v_add_u32_e32 v18, v18, v42
	ds_write_b32 v32, v18
.LBB1171_89:
	s_or_b64 exec, exec, s[4:5]
	v_cmp_lt_u32_e32 vcc, 63, v0
	v_mov_b32_e32 v18, 0
	s_waitcnt lgkmcnt(0)
	s_barrier
	s_and_saveexec_b64 s[4:5], vcc
; %bb.90:
	v_lshl_add_u32 v18, v41, 2, -4
	ds_read_b32 v18, v18
; %bb.91:
	s_or_b64 exec, exec, s[4:5]
	v_subrev_co_u32_e32 v41, vcc, 1, v17
	v_and_b32_e32 v42, 64, v17
	v_cmp_lt_i32_e64 s[4:5], v41, v42
	v_cndmask_b32_e64 v17, v41, v17, s[4:5]
	s_waitcnt lgkmcnt(0)
	v_add_u32_e32 v40, v18, v40
	v_lshlrev_b32_e32 v17, 2, v17
	ds_bpermute_b32 v17, v17, v40
	s_movk_i32 s4, 0xff
	s_movk_i32 s8, 0x100
	s_waitcnt lgkmcnt(0)
	v_cndmask_b32_e32 v17, v17, v18, vcc
	v_cmp_ne_u32_e32 vcc, 0, v0
	v_cndmask_b32_e32 v17, 0, v17, vcc
	v_add_u32_e32 v15, v17, v15
	v_add_u32_e32 v16, v15, v16
	;; [unrolled: 1-line block ×4, first 2 shown]
	ds_write2_b32 v25, v17, v15 offset0:8 offset1:9
	ds_write2_b32 v25, v16, v1 offset0:10 offset1:11
	ds_write_b32 v25, v2 offset:48
	s_waitcnt lgkmcnt(0)
	s_barrier
	ds_read_b32 v40, v26 offset:32
	ds_read_b32 v27, v27 offset:32
	;; [unrolled: 1-line block ×6, first 2 shown]
	v_cmp_lt_u32_e32 vcc, s4, v0
	v_cmp_gt_u32_e64 s[4:5], s8, v0
                                        ; implicit-def: $vgpr25
                                        ; implicit-def: $vgpr26
	s_and_saveexec_b64 s[12:13], s[4:5]
	s_cbranch_execz .LBB1171_95
; %bb.92:
	v_mul_u32_u24_e32 v1, 36, v0
	ds_read_b32 v25, v1 offset:32
	v_add_u32_e32 v2, 1, v0
	v_cmp_ne_u32_e64 s[8:9], s8, v2
	v_mov_b32_e32 v1, 0xc00
	s_and_saveexec_b64 s[14:15], s[8:9]
; %bb.93:
	v_mul_u32_u24_e32 v1, 36, v2
	ds_read_b32 v1, v1 offset:32
; %bb.94:
	s_or_b64 exec, exec, s[14:15]
	s_waitcnt lgkmcnt(0)
	v_sub_u32_e32 v26, v1, v25
.LBB1171_95:
	s_or_b64 exec, exec, s[12:13]
	v_mov_b32_e32 v2, 0
	s_waitcnt lgkmcnt(0)
	s_barrier
	s_and_saveexec_b64 s[8:9], s[4:5]
	s_cbranch_execz .LBB1171_105
; %bb.96:
	v_lshl_add_u32 v1, s6, 8, v0
	v_lshlrev_b64 v[15:16], 2, v[1:2]
	v_mov_b32_e32 v41, s35
	v_add_co_u32_e64 v15, s[4:5], s34, v15
	v_addc_co_u32_e64 v16, s[4:5], v41, v16, s[4:5]
	v_or_b32_e32 v1, 2.0, v26
	s_mov_b64 s[12:13], 0
	s_brev_b32 s19, -4
	s_mov_b32 s20, s6
	v_mov_b32_e32 v42, 0
	global_store_dword v[15:16], v1, off
                                        ; implicit-def: $sgpr4_sgpr5
	s_branch .LBB1171_99
.LBB1171_97:                            ;   in Loop: Header=BB1171_99 Depth=1
	s_or_b64 exec, exec, s[16:17]
.LBB1171_98:                            ;   in Loop: Header=BB1171_99 Depth=1
	s_or_b64 exec, exec, s[14:15]
	v_and_b32_e32 v17, 0x3fffffff, v1
	v_add_u32_e32 v42, v17, v42
	v_cmp_gt_i32_e64 s[4:5], -2.0, v1
	s_and_b64 s[14:15], exec, s[4:5]
	s_or_b64 s[12:13], s[14:15], s[12:13]
	s_andn2_b64 exec, exec, s[12:13]
	s_cbranch_execz .LBB1171_104
.LBB1171_99:                            ; =>This Loop Header: Depth=1
                                        ;     Child Loop BB1171_102 Depth 2
	s_or_b64 s[4:5], s[4:5], exec
	s_cmp_eq_u32 s20, 0
	s_cbranch_scc1 .LBB1171_103
; %bb.100:                              ;   in Loop: Header=BB1171_99 Depth=1
	s_add_i32 s20, s20, -1
	v_lshl_or_b32 v1, s20, 8, v0
	v_lshlrev_b64 v[17:18], 2, v[1:2]
	v_add_co_u32_e64 v17, s[4:5], s34, v17
	v_addc_co_u32_e64 v18, s[4:5], v41, v18, s[4:5]
	global_load_dword v1, v[17:18], off glc
	s_waitcnt vmcnt(0)
	v_cmp_gt_u32_e64 s[4:5], 2.0, v1
	s_and_saveexec_b64 s[14:15], s[4:5]
	s_cbranch_execz .LBB1171_98
; %bb.101:                              ;   in Loop: Header=BB1171_99 Depth=1
	s_mov_b64 s[16:17], 0
.LBB1171_102:                           ;   Parent Loop BB1171_99 Depth=1
                                        ; =>  This Inner Loop Header: Depth=2
	global_load_dword v1, v[17:18], off glc
	s_waitcnt vmcnt(0)
	v_cmp_lt_u32_e64 s[4:5], s19, v1
	s_or_b64 s[16:17], s[4:5], s[16:17]
	s_andn2_b64 exec, exec, s[16:17]
	s_cbranch_execnz .LBB1171_102
	s_branch .LBB1171_97
.LBB1171_103:                           ;   in Loop: Header=BB1171_99 Depth=1
                                        ; implicit-def: $sgpr20
	s_and_b64 s[14:15], exec, s[4:5]
	s_or_b64 s[12:13], s[14:15], s[12:13]
	s_andn2_b64 exec, exec, s[12:13]
	s_cbranch_execnz .LBB1171_99
.LBB1171_104:
	s_or_b64 exec, exec, s[12:13]
	v_add_u32_e32 v1, v42, v26
	v_or_b32_e32 v1, 0x80000000, v1
	global_store_dword v[15:16], v1, off
	global_load_dword v1, v32, s[36:37]
	v_sub_u32_e32 v2, v42, v25
	s_waitcnt vmcnt(0)
	v_add_u32_e32 v1, v2, v1
	ds_write_b32 v32, v1
.LBB1171_105:
	s_or_b64 exec, exec, s[8:9]
	v_add_u32_e32 v15, v40, v21
	v_add3_u32 v16, v38, v39, v36
	v_add3_u32 v17, v35, v37, v33
	;; [unrolled: 1-line block ×5, first 2 shown]
	s_mov_b32 s8, 0
	s_mov_b32 s9, 0
	v_add_u32_e32 v23, v32, v32
	v_mov_b32_e32 v2, 0
	v_mov_b32_e32 v24, s27
	s_movk_i32 s12, 0x200
	v_mov_b32_e32 v27, v0
.LBB1171_106:                           ; =>This Inner Loop Header: Depth=1
	v_add_u32_e32 v1, s9, v15
	v_add_u32_e32 v28, s9, v22
	v_add_u32_e32 v29, s9, v21
	v_add_u32_e32 v30, s9, v18
	v_add_u32_e32 v31, s9, v17
	v_add_u32_e32 v33, s9, v16
	v_min_u32_e32 v1, 0x400, v1
	v_min_u32_e32 v28, 0x400, v28
	;; [unrolled: 1-line block ×6, first 2 shown]
	v_lshlrev_b32_e32 v1, 3, v1
	v_lshlrev_b32_e32 v28, 3, v28
	v_lshlrev_b32_e32 v29, 3, v29
	v_lshlrev_b32_e32 v30, 3, v30
	v_lshlrev_b32_e32 v31, 3, v31
	v_lshlrev_b32_e32 v33, 3, v33
	ds_write_b64 v1, v[3:4] offset:1024
	ds_write_b64 v28, v[5:6] offset:1024
	;; [unrolled: 1-line block ×6, first 2 shown]
	s_waitcnt lgkmcnt(0)
	s_barrier
	ds_read2st64_b64 v[28:31], v23 offset0:2 offset1:10
	v_mov_b32_e32 v36, s8
	s_addk_i32 s9, 0xfc00
	s_add_i32 s8, s8, 8
	s_cmpk_lg_i32 s9, 0xf400
	s_waitcnt lgkmcnt(0)
	v_lshrrev_b64 v[33:34], s40, v[28:29]
	v_lshrrev_b64 v[34:35], s40, v[30:31]
	v_and_b32_e32 v1, s18, v33
	v_and_b32_e32 v33, s18, v34
	v_lshlrev_b32_e32 v34, 2, v1
	buffer_store_dword v1, v36, s[0:3], 0 offen
	buffer_store_dword v33, v36, s[0:3], 0 offen offset:4
	v_lshlrev_b32_e32 v1, 2, v33
	ds_read_b32 v33, v34
	ds_read_b32 v35, v1
	v_xor_b32_e32 v29, 0x80000000, v29
	v_xor_b32_e32 v31, 0x80000000, v31
	s_waitcnt lgkmcnt(1)
	v_add_u32_e32 v1, v27, v33
	v_lshlrev_b64 v[33:34], 3, v[1:2]
	s_waitcnt lgkmcnt(0)
	v_add3_u32 v1, v27, v35, s12
	v_lshlrev_b64 v[35:36], 3, v[1:2]
	v_add_co_u32_e64 v33, s[4:5], s26, v33
	v_addc_co_u32_e64 v34, s[4:5], v24, v34, s[4:5]
	global_store_dwordx2 v[33:34], v[28:29], off
	v_add_co_u32_e64 v28, s[4:5], s26, v35
	v_add_u32_e32 v27, 0x400, v27
	v_addc_co_u32_e64 v29, s[4:5], v24, v36, s[4:5]
	global_store_dwordx2 v[28:29], v[30:31], off
	s_waitcnt vmcnt(0)
	s_barrier
	s_cbranch_scc1 .LBB1171_106
; %bb.107:
	s_add_u32 s4, s28, s10
	s_addc_u32 s5, s29, s11
	v_mov_b32_e32 v1, s5
	v_add_co_u32_e64 v2, s[4:5], s4, v19
	v_addc_co_u32_e64 v1, s[4:5], 0, v1, s[4:5]
	v_add_co_u32_e64 v13, s[4:5], v2, v20
	v_addc_co_u32_e64 v14, s[4:5], 0, v1, s[4:5]
	global_load_dwordx2 v[1:2], v[13:14], off
	global_load_dwordx2 v[3:4], v[13:14], off offset:512
	global_load_dwordx2 v[5:6], v[13:14], off offset:1024
	;; [unrolled: 1-line block ×5, first 2 shown]
	v_mov_b32_e32 v14, 0
	s_mov_b32 s8, 0
	s_mov_b32 s9, 0
	v_mov_b32_e32 v19, s31
	s_movk_i32 s10, 0x200
.LBB1171_108:                           ; =>This Inner Loop Header: Depth=1
	v_add_u32_e32 v13, s9, v15
	v_add_u32_e32 v20, s9, v22
	;; [unrolled: 1-line block ×6, first 2 shown]
	v_min_u32_e32 v13, 0x400, v13
	v_min_u32_e32 v20, 0x400, v20
	v_mov_b32_e32 v30, s8
	v_min_u32_e32 v24, 0x400, v24
	v_min_u32_e32 v27, 0x400, v27
	;; [unrolled: 1-line block ×4, first 2 shown]
	v_lshlrev_b32_e32 v13, 3, v13
	v_lshlrev_b32_e32 v20, 3, v20
	;; [unrolled: 1-line block ×6, first 2 shown]
	s_waitcnt vmcnt(5)
	ds_write_b64 v13, v[1:2] offset:1024
	s_waitcnt vmcnt(4)
	ds_write_b64 v20, v[3:4] offset:1024
	;; [unrolled: 2-line block ×6, first 2 shown]
	s_waitcnt lgkmcnt(0)
	s_barrier
	buffer_load_dword v13, v30, s[0:3], 0 offen
	buffer_load_dword v20, v30, s[0:3], 0 offen offset:4
	ds_read2st64_b64 v[27:30], v23 offset0:2 offset1:10
	s_addk_i32 s9, 0xfc00
	s_add_i32 s8, s8, 8
	s_cmpk_lg_i32 s9, 0xf400
	s_waitcnt vmcnt(1)
	v_lshlrev_b32_e32 v13, 2, v13
	s_waitcnt vmcnt(0)
	v_lshlrev_b32_e32 v20, 2, v20
	ds_read_b32 v13, v13
	ds_read_b32 v20, v20
	s_waitcnt lgkmcnt(1)
	v_add_u32_e32 v13, v0, v13
	v_lshlrev_b64 v[33:34], 3, v[13:14]
	s_waitcnt lgkmcnt(0)
	v_add3_u32 v13, v0, v20, s10
	v_lshlrev_b64 v[35:36], 3, v[13:14]
	v_add_co_u32_e64 v33, s[4:5], s30, v33
	v_addc_co_u32_e64 v34, s[4:5], v19, v34, s[4:5]
	global_store_dwordx2 v[33:34], v[27:28], off
	v_add_co_u32_e64 v27, s[4:5], s30, v35
	v_add_u32_e32 v0, 0x400, v0
	v_addc_co_u32_e64 v28, s[4:5], v19, v36, s[4:5]
	global_store_dwordx2 v[27:28], v[29:30], off
	s_waitcnt vmcnt(0)
	s_barrier
	s_cbranch_scc1 .LBB1171_108
; %bb.109:
	s_add_i32 s7, s7, -1
	s_cmp_eq_u32 s6, s7
	s_cselect_b64 s[4:5], -1, 0
	s_xor_b64 s[6:7], vcc, -1
	s_and_b64 s[4:5], s[6:7], s[4:5]
	s_and_saveexec_b64 s[6:7], s[4:5]
	s_cbranch_execz .LBB1171_111
; %bb.110:
	ds_read_b32 v0, v32
	s_waitcnt lgkmcnt(0)
	v_add3_u32 v0, v25, v26, v0
	global_store_dword v32, v0, s[38:39]
.LBB1171_111:
	s_endpgm
	.section	.rodata,"a",@progbits
	.p2align	6, 0x0
	.amdhsa_kernel _ZN7rocprim17ROCPRIM_400000_NS6detail17trampoline_kernelINS0_14default_configENS1_35radix_sort_onesweep_config_selectorIllEEZZNS1_29radix_sort_onesweep_iterationIS3_Lb0EPlS7_N6thrust23THRUST_200600_302600_NS10device_ptrIlEESB_jNS0_19identity_decomposerENS1_16block_id_wrapperIjLb0EEEEE10hipError_tT1_PNSt15iterator_traitsISG_E10value_typeET2_T3_PNSH_ISM_E10value_typeET4_T5_PSR_SS_PNS1_23onesweep_lookback_stateEbbT6_jjT7_P12ihipStream_tbENKUlT_T0_SG_SL_E_clIS7_S7_SB_S7_EEDaSZ_S10_SG_SL_EUlSZ_E_NS1_11comp_targetILNS1_3genE2ELNS1_11target_archE906ELNS1_3gpuE6ELNS1_3repE0EEENS1_47radix_sort_onesweep_sort_config_static_selectorELNS0_4arch9wavefront6targetE1EEEvSG_
		.amdhsa_group_segment_fixed_size 10280
		.amdhsa_private_segment_fixed_size 32
		.amdhsa_kernarg_size 344
		.amdhsa_user_sgpr_count 6
		.amdhsa_user_sgpr_private_segment_buffer 1
		.amdhsa_user_sgpr_dispatch_ptr 0
		.amdhsa_user_sgpr_queue_ptr 0
		.amdhsa_user_sgpr_kernarg_segment_ptr 1
		.amdhsa_user_sgpr_dispatch_id 0
		.amdhsa_user_sgpr_flat_scratch_init 0
		.amdhsa_user_sgpr_private_segment_size 0
		.amdhsa_uses_dynamic_stack 0
		.amdhsa_system_sgpr_private_segment_wavefront_offset 1
		.amdhsa_system_sgpr_workgroup_id_x 1
		.amdhsa_system_sgpr_workgroup_id_y 0
		.amdhsa_system_sgpr_workgroup_id_z 0
		.amdhsa_system_sgpr_workgroup_info 0
		.amdhsa_system_vgpr_workitem_id 2
		.amdhsa_next_free_vgpr 47
		.amdhsa_next_free_sgpr 54
		.amdhsa_reserve_vcc 1
		.amdhsa_reserve_flat_scratch 0
		.amdhsa_float_round_mode_32 0
		.amdhsa_float_round_mode_16_64 0
		.amdhsa_float_denorm_mode_32 3
		.amdhsa_float_denorm_mode_16_64 3
		.amdhsa_dx10_clamp 1
		.amdhsa_ieee_mode 1
		.amdhsa_fp16_overflow 0
		.amdhsa_exception_fp_ieee_invalid_op 0
		.amdhsa_exception_fp_denorm_src 0
		.amdhsa_exception_fp_ieee_div_zero 0
		.amdhsa_exception_fp_ieee_overflow 0
		.amdhsa_exception_fp_ieee_underflow 0
		.amdhsa_exception_fp_ieee_inexact 0
		.amdhsa_exception_int_div_zero 0
	.end_amdhsa_kernel
	.section	.text._ZN7rocprim17ROCPRIM_400000_NS6detail17trampoline_kernelINS0_14default_configENS1_35radix_sort_onesweep_config_selectorIllEEZZNS1_29radix_sort_onesweep_iterationIS3_Lb0EPlS7_N6thrust23THRUST_200600_302600_NS10device_ptrIlEESB_jNS0_19identity_decomposerENS1_16block_id_wrapperIjLb0EEEEE10hipError_tT1_PNSt15iterator_traitsISG_E10value_typeET2_T3_PNSH_ISM_E10value_typeET4_T5_PSR_SS_PNS1_23onesweep_lookback_stateEbbT6_jjT7_P12ihipStream_tbENKUlT_T0_SG_SL_E_clIS7_S7_SB_S7_EEDaSZ_S10_SG_SL_EUlSZ_E_NS1_11comp_targetILNS1_3genE2ELNS1_11target_archE906ELNS1_3gpuE6ELNS1_3repE0EEENS1_47radix_sort_onesweep_sort_config_static_selectorELNS0_4arch9wavefront6targetE1EEEvSG_,"axG",@progbits,_ZN7rocprim17ROCPRIM_400000_NS6detail17trampoline_kernelINS0_14default_configENS1_35radix_sort_onesweep_config_selectorIllEEZZNS1_29radix_sort_onesweep_iterationIS3_Lb0EPlS7_N6thrust23THRUST_200600_302600_NS10device_ptrIlEESB_jNS0_19identity_decomposerENS1_16block_id_wrapperIjLb0EEEEE10hipError_tT1_PNSt15iterator_traitsISG_E10value_typeET2_T3_PNSH_ISM_E10value_typeET4_T5_PSR_SS_PNS1_23onesweep_lookback_stateEbbT6_jjT7_P12ihipStream_tbENKUlT_T0_SG_SL_E_clIS7_S7_SB_S7_EEDaSZ_S10_SG_SL_EUlSZ_E_NS1_11comp_targetILNS1_3genE2ELNS1_11target_archE906ELNS1_3gpuE6ELNS1_3repE0EEENS1_47radix_sort_onesweep_sort_config_static_selectorELNS0_4arch9wavefront6targetE1EEEvSG_,comdat
.Lfunc_end1171:
	.size	_ZN7rocprim17ROCPRIM_400000_NS6detail17trampoline_kernelINS0_14default_configENS1_35radix_sort_onesweep_config_selectorIllEEZZNS1_29radix_sort_onesweep_iterationIS3_Lb0EPlS7_N6thrust23THRUST_200600_302600_NS10device_ptrIlEESB_jNS0_19identity_decomposerENS1_16block_id_wrapperIjLb0EEEEE10hipError_tT1_PNSt15iterator_traitsISG_E10value_typeET2_T3_PNSH_ISM_E10value_typeET4_T5_PSR_SS_PNS1_23onesweep_lookback_stateEbbT6_jjT7_P12ihipStream_tbENKUlT_T0_SG_SL_E_clIS7_S7_SB_S7_EEDaSZ_S10_SG_SL_EUlSZ_E_NS1_11comp_targetILNS1_3genE2ELNS1_11target_archE906ELNS1_3gpuE6ELNS1_3repE0EEENS1_47radix_sort_onesweep_sort_config_static_selectorELNS0_4arch9wavefront6targetE1EEEvSG_, .Lfunc_end1171-_ZN7rocprim17ROCPRIM_400000_NS6detail17trampoline_kernelINS0_14default_configENS1_35radix_sort_onesweep_config_selectorIllEEZZNS1_29radix_sort_onesweep_iterationIS3_Lb0EPlS7_N6thrust23THRUST_200600_302600_NS10device_ptrIlEESB_jNS0_19identity_decomposerENS1_16block_id_wrapperIjLb0EEEEE10hipError_tT1_PNSt15iterator_traitsISG_E10value_typeET2_T3_PNSH_ISM_E10value_typeET4_T5_PSR_SS_PNS1_23onesweep_lookback_stateEbbT6_jjT7_P12ihipStream_tbENKUlT_T0_SG_SL_E_clIS7_S7_SB_S7_EEDaSZ_S10_SG_SL_EUlSZ_E_NS1_11comp_targetILNS1_3genE2ELNS1_11target_archE906ELNS1_3gpuE6ELNS1_3repE0EEENS1_47radix_sort_onesweep_sort_config_static_selectorELNS0_4arch9wavefront6targetE1EEEvSG_
                                        ; -- End function
	.set _ZN7rocprim17ROCPRIM_400000_NS6detail17trampoline_kernelINS0_14default_configENS1_35radix_sort_onesweep_config_selectorIllEEZZNS1_29radix_sort_onesweep_iterationIS3_Lb0EPlS7_N6thrust23THRUST_200600_302600_NS10device_ptrIlEESB_jNS0_19identity_decomposerENS1_16block_id_wrapperIjLb0EEEEE10hipError_tT1_PNSt15iterator_traitsISG_E10value_typeET2_T3_PNSH_ISM_E10value_typeET4_T5_PSR_SS_PNS1_23onesweep_lookback_stateEbbT6_jjT7_P12ihipStream_tbENKUlT_T0_SG_SL_E_clIS7_S7_SB_S7_EEDaSZ_S10_SG_SL_EUlSZ_E_NS1_11comp_targetILNS1_3genE2ELNS1_11target_archE906ELNS1_3gpuE6ELNS1_3repE0EEENS1_47radix_sort_onesweep_sort_config_static_selectorELNS0_4arch9wavefront6targetE1EEEvSG_.num_vgpr, 47
	.set _ZN7rocprim17ROCPRIM_400000_NS6detail17trampoline_kernelINS0_14default_configENS1_35radix_sort_onesweep_config_selectorIllEEZZNS1_29radix_sort_onesweep_iterationIS3_Lb0EPlS7_N6thrust23THRUST_200600_302600_NS10device_ptrIlEESB_jNS0_19identity_decomposerENS1_16block_id_wrapperIjLb0EEEEE10hipError_tT1_PNSt15iterator_traitsISG_E10value_typeET2_T3_PNSH_ISM_E10value_typeET4_T5_PSR_SS_PNS1_23onesweep_lookback_stateEbbT6_jjT7_P12ihipStream_tbENKUlT_T0_SG_SL_E_clIS7_S7_SB_S7_EEDaSZ_S10_SG_SL_EUlSZ_E_NS1_11comp_targetILNS1_3genE2ELNS1_11target_archE906ELNS1_3gpuE6ELNS1_3repE0EEENS1_47radix_sort_onesweep_sort_config_static_selectorELNS0_4arch9wavefront6targetE1EEEvSG_.num_agpr, 0
	.set _ZN7rocprim17ROCPRIM_400000_NS6detail17trampoline_kernelINS0_14default_configENS1_35radix_sort_onesweep_config_selectorIllEEZZNS1_29radix_sort_onesweep_iterationIS3_Lb0EPlS7_N6thrust23THRUST_200600_302600_NS10device_ptrIlEESB_jNS0_19identity_decomposerENS1_16block_id_wrapperIjLb0EEEEE10hipError_tT1_PNSt15iterator_traitsISG_E10value_typeET2_T3_PNSH_ISM_E10value_typeET4_T5_PSR_SS_PNS1_23onesweep_lookback_stateEbbT6_jjT7_P12ihipStream_tbENKUlT_T0_SG_SL_E_clIS7_S7_SB_S7_EEDaSZ_S10_SG_SL_EUlSZ_E_NS1_11comp_targetILNS1_3genE2ELNS1_11target_archE906ELNS1_3gpuE6ELNS1_3repE0EEENS1_47radix_sort_onesweep_sort_config_static_selectorELNS0_4arch9wavefront6targetE1EEEvSG_.numbered_sgpr, 54
	.set _ZN7rocprim17ROCPRIM_400000_NS6detail17trampoline_kernelINS0_14default_configENS1_35radix_sort_onesweep_config_selectorIllEEZZNS1_29radix_sort_onesweep_iterationIS3_Lb0EPlS7_N6thrust23THRUST_200600_302600_NS10device_ptrIlEESB_jNS0_19identity_decomposerENS1_16block_id_wrapperIjLb0EEEEE10hipError_tT1_PNSt15iterator_traitsISG_E10value_typeET2_T3_PNSH_ISM_E10value_typeET4_T5_PSR_SS_PNS1_23onesweep_lookback_stateEbbT6_jjT7_P12ihipStream_tbENKUlT_T0_SG_SL_E_clIS7_S7_SB_S7_EEDaSZ_S10_SG_SL_EUlSZ_E_NS1_11comp_targetILNS1_3genE2ELNS1_11target_archE906ELNS1_3gpuE6ELNS1_3repE0EEENS1_47radix_sort_onesweep_sort_config_static_selectorELNS0_4arch9wavefront6targetE1EEEvSG_.num_named_barrier, 0
	.set _ZN7rocprim17ROCPRIM_400000_NS6detail17trampoline_kernelINS0_14default_configENS1_35radix_sort_onesweep_config_selectorIllEEZZNS1_29radix_sort_onesweep_iterationIS3_Lb0EPlS7_N6thrust23THRUST_200600_302600_NS10device_ptrIlEESB_jNS0_19identity_decomposerENS1_16block_id_wrapperIjLb0EEEEE10hipError_tT1_PNSt15iterator_traitsISG_E10value_typeET2_T3_PNSH_ISM_E10value_typeET4_T5_PSR_SS_PNS1_23onesweep_lookback_stateEbbT6_jjT7_P12ihipStream_tbENKUlT_T0_SG_SL_E_clIS7_S7_SB_S7_EEDaSZ_S10_SG_SL_EUlSZ_E_NS1_11comp_targetILNS1_3genE2ELNS1_11target_archE906ELNS1_3gpuE6ELNS1_3repE0EEENS1_47radix_sort_onesweep_sort_config_static_selectorELNS0_4arch9wavefront6targetE1EEEvSG_.private_seg_size, 32
	.set _ZN7rocprim17ROCPRIM_400000_NS6detail17trampoline_kernelINS0_14default_configENS1_35radix_sort_onesweep_config_selectorIllEEZZNS1_29radix_sort_onesweep_iterationIS3_Lb0EPlS7_N6thrust23THRUST_200600_302600_NS10device_ptrIlEESB_jNS0_19identity_decomposerENS1_16block_id_wrapperIjLb0EEEEE10hipError_tT1_PNSt15iterator_traitsISG_E10value_typeET2_T3_PNSH_ISM_E10value_typeET4_T5_PSR_SS_PNS1_23onesweep_lookback_stateEbbT6_jjT7_P12ihipStream_tbENKUlT_T0_SG_SL_E_clIS7_S7_SB_S7_EEDaSZ_S10_SG_SL_EUlSZ_E_NS1_11comp_targetILNS1_3genE2ELNS1_11target_archE906ELNS1_3gpuE6ELNS1_3repE0EEENS1_47radix_sort_onesweep_sort_config_static_selectorELNS0_4arch9wavefront6targetE1EEEvSG_.uses_vcc, 1
	.set _ZN7rocprim17ROCPRIM_400000_NS6detail17trampoline_kernelINS0_14default_configENS1_35radix_sort_onesweep_config_selectorIllEEZZNS1_29radix_sort_onesweep_iterationIS3_Lb0EPlS7_N6thrust23THRUST_200600_302600_NS10device_ptrIlEESB_jNS0_19identity_decomposerENS1_16block_id_wrapperIjLb0EEEEE10hipError_tT1_PNSt15iterator_traitsISG_E10value_typeET2_T3_PNSH_ISM_E10value_typeET4_T5_PSR_SS_PNS1_23onesweep_lookback_stateEbbT6_jjT7_P12ihipStream_tbENKUlT_T0_SG_SL_E_clIS7_S7_SB_S7_EEDaSZ_S10_SG_SL_EUlSZ_E_NS1_11comp_targetILNS1_3genE2ELNS1_11target_archE906ELNS1_3gpuE6ELNS1_3repE0EEENS1_47radix_sort_onesweep_sort_config_static_selectorELNS0_4arch9wavefront6targetE1EEEvSG_.uses_flat_scratch, 0
	.set _ZN7rocprim17ROCPRIM_400000_NS6detail17trampoline_kernelINS0_14default_configENS1_35radix_sort_onesweep_config_selectorIllEEZZNS1_29radix_sort_onesweep_iterationIS3_Lb0EPlS7_N6thrust23THRUST_200600_302600_NS10device_ptrIlEESB_jNS0_19identity_decomposerENS1_16block_id_wrapperIjLb0EEEEE10hipError_tT1_PNSt15iterator_traitsISG_E10value_typeET2_T3_PNSH_ISM_E10value_typeET4_T5_PSR_SS_PNS1_23onesweep_lookback_stateEbbT6_jjT7_P12ihipStream_tbENKUlT_T0_SG_SL_E_clIS7_S7_SB_S7_EEDaSZ_S10_SG_SL_EUlSZ_E_NS1_11comp_targetILNS1_3genE2ELNS1_11target_archE906ELNS1_3gpuE6ELNS1_3repE0EEENS1_47radix_sort_onesweep_sort_config_static_selectorELNS0_4arch9wavefront6targetE1EEEvSG_.has_dyn_sized_stack, 0
	.set _ZN7rocprim17ROCPRIM_400000_NS6detail17trampoline_kernelINS0_14default_configENS1_35radix_sort_onesweep_config_selectorIllEEZZNS1_29radix_sort_onesweep_iterationIS3_Lb0EPlS7_N6thrust23THRUST_200600_302600_NS10device_ptrIlEESB_jNS0_19identity_decomposerENS1_16block_id_wrapperIjLb0EEEEE10hipError_tT1_PNSt15iterator_traitsISG_E10value_typeET2_T3_PNSH_ISM_E10value_typeET4_T5_PSR_SS_PNS1_23onesweep_lookback_stateEbbT6_jjT7_P12ihipStream_tbENKUlT_T0_SG_SL_E_clIS7_S7_SB_S7_EEDaSZ_S10_SG_SL_EUlSZ_E_NS1_11comp_targetILNS1_3genE2ELNS1_11target_archE906ELNS1_3gpuE6ELNS1_3repE0EEENS1_47radix_sort_onesweep_sort_config_static_selectorELNS0_4arch9wavefront6targetE1EEEvSG_.has_recursion, 0
	.set _ZN7rocprim17ROCPRIM_400000_NS6detail17trampoline_kernelINS0_14default_configENS1_35radix_sort_onesweep_config_selectorIllEEZZNS1_29radix_sort_onesweep_iterationIS3_Lb0EPlS7_N6thrust23THRUST_200600_302600_NS10device_ptrIlEESB_jNS0_19identity_decomposerENS1_16block_id_wrapperIjLb0EEEEE10hipError_tT1_PNSt15iterator_traitsISG_E10value_typeET2_T3_PNSH_ISM_E10value_typeET4_T5_PSR_SS_PNS1_23onesweep_lookback_stateEbbT6_jjT7_P12ihipStream_tbENKUlT_T0_SG_SL_E_clIS7_S7_SB_S7_EEDaSZ_S10_SG_SL_EUlSZ_E_NS1_11comp_targetILNS1_3genE2ELNS1_11target_archE906ELNS1_3gpuE6ELNS1_3repE0EEENS1_47radix_sort_onesweep_sort_config_static_selectorELNS0_4arch9wavefront6targetE1EEEvSG_.has_indirect_call, 0
	.section	.AMDGPU.csdata,"",@progbits
; Kernel info:
; codeLenInByte = 9836
; TotalNumSgprs: 58
; NumVgprs: 47
; ScratchSize: 32
; MemoryBound: 1
; FloatMode: 240
; IeeeMode: 1
; LDSByteSize: 10280 bytes/workgroup (compile time only)
; SGPRBlocks: 7
; VGPRBlocks: 11
; NumSGPRsForWavesPerEU: 58
; NumVGPRsForWavesPerEU: 47
; Occupancy: 5
; WaveLimiterHint : 1
; COMPUTE_PGM_RSRC2:SCRATCH_EN: 1
; COMPUTE_PGM_RSRC2:USER_SGPR: 6
; COMPUTE_PGM_RSRC2:TRAP_HANDLER: 0
; COMPUTE_PGM_RSRC2:TGID_X_EN: 1
; COMPUTE_PGM_RSRC2:TGID_Y_EN: 0
; COMPUTE_PGM_RSRC2:TGID_Z_EN: 0
; COMPUTE_PGM_RSRC2:TIDIG_COMP_CNT: 2
	.section	.text._ZN7rocprim17ROCPRIM_400000_NS6detail17trampoline_kernelINS0_14default_configENS1_35radix_sort_onesweep_config_selectorIllEEZZNS1_29radix_sort_onesweep_iterationIS3_Lb0EPlS7_N6thrust23THRUST_200600_302600_NS10device_ptrIlEESB_jNS0_19identity_decomposerENS1_16block_id_wrapperIjLb0EEEEE10hipError_tT1_PNSt15iterator_traitsISG_E10value_typeET2_T3_PNSH_ISM_E10value_typeET4_T5_PSR_SS_PNS1_23onesweep_lookback_stateEbbT6_jjT7_P12ihipStream_tbENKUlT_T0_SG_SL_E_clIS7_S7_SB_S7_EEDaSZ_S10_SG_SL_EUlSZ_E_NS1_11comp_targetILNS1_3genE4ELNS1_11target_archE910ELNS1_3gpuE8ELNS1_3repE0EEENS1_47radix_sort_onesweep_sort_config_static_selectorELNS0_4arch9wavefront6targetE1EEEvSG_,"axG",@progbits,_ZN7rocprim17ROCPRIM_400000_NS6detail17trampoline_kernelINS0_14default_configENS1_35radix_sort_onesweep_config_selectorIllEEZZNS1_29radix_sort_onesweep_iterationIS3_Lb0EPlS7_N6thrust23THRUST_200600_302600_NS10device_ptrIlEESB_jNS0_19identity_decomposerENS1_16block_id_wrapperIjLb0EEEEE10hipError_tT1_PNSt15iterator_traitsISG_E10value_typeET2_T3_PNSH_ISM_E10value_typeET4_T5_PSR_SS_PNS1_23onesweep_lookback_stateEbbT6_jjT7_P12ihipStream_tbENKUlT_T0_SG_SL_E_clIS7_S7_SB_S7_EEDaSZ_S10_SG_SL_EUlSZ_E_NS1_11comp_targetILNS1_3genE4ELNS1_11target_archE910ELNS1_3gpuE8ELNS1_3repE0EEENS1_47radix_sort_onesweep_sort_config_static_selectorELNS0_4arch9wavefront6targetE1EEEvSG_,comdat
	.protected	_ZN7rocprim17ROCPRIM_400000_NS6detail17trampoline_kernelINS0_14default_configENS1_35radix_sort_onesweep_config_selectorIllEEZZNS1_29radix_sort_onesweep_iterationIS3_Lb0EPlS7_N6thrust23THRUST_200600_302600_NS10device_ptrIlEESB_jNS0_19identity_decomposerENS1_16block_id_wrapperIjLb0EEEEE10hipError_tT1_PNSt15iterator_traitsISG_E10value_typeET2_T3_PNSH_ISM_E10value_typeET4_T5_PSR_SS_PNS1_23onesweep_lookback_stateEbbT6_jjT7_P12ihipStream_tbENKUlT_T0_SG_SL_E_clIS7_S7_SB_S7_EEDaSZ_S10_SG_SL_EUlSZ_E_NS1_11comp_targetILNS1_3genE4ELNS1_11target_archE910ELNS1_3gpuE8ELNS1_3repE0EEENS1_47radix_sort_onesweep_sort_config_static_selectorELNS0_4arch9wavefront6targetE1EEEvSG_ ; -- Begin function _ZN7rocprim17ROCPRIM_400000_NS6detail17trampoline_kernelINS0_14default_configENS1_35radix_sort_onesweep_config_selectorIllEEZZNS1_29radix_sort_onesweep_iterationIS3_Lb0EPlS7_N6thrust23THRUST_200600_302600_NS10device_ptrIlEESB_jNS0_19identity_decomposerENS1_16block_id_wrapperIjLb0EEEEE10hipError_tT1_PNSt15iterator_traitsISG_E10value_typeET2_T3_PNSH_ISM_E10value_typeET4_T5_PSR_SS_PNS1_23onesweep_lookback_stateEbbT6_jjT7_P12ihipStream_tbENKUlT_T0_SG_SL_E_clIS7_S7_SB_S7_EEDaSZ_S10_SG_SL_EUlSZ_E_NS1_11comp_targetILNS1_3genE4ELNS1_11target_archE910ELNS1_3gpuE8ELNS1_3repE0EEENS1_47radix_sort_onesweep_sort_config_static_selectorELNS0_4arch9wavefront6targetE1EEEvSG_
	.globl	_ZN7rocprim17ROCPRIM_400000_NS6detail17trampoline_kernelINS0_14default_configENS1_35radix_sort_onesweep_config_selectorIllEEZZNS1_29radix_sort_onesweep_iterationIS3_Lb0EPlS7_N6thrust23THRUST_200600_302600_NS10device_ptrIlEESB_jNS0_19identity_decomposerENS1_16block_id_wrapperIjLb0EEEEE10hipError_tT1_PNSt15iterator_traitsISG_E10value_typeET2_T3_PNSH_ISM_E10value_typeET4_T5_PSR_SS_PNS1_23onesweep_lookback_stateEbbT6_jjT7_P12ihipStream_tbENKUlT_T0_SG_SL_E_clIS7_S7_SB_S7_EEDaSZ_S10_SG_SL_EUlSZ_E_NS1_11comp_targetILNS1_3genE4ELNS1_11target_archE910ELNS1_3gpuE8ELNS1_3repE0EEENS1_47radix_sort_onesweep_sort_config_static_selectorELNS0_4arch9wavefront6targetE1EEEvSG_
	.p2align	8
	.type	_ZN7rocprim17ROCPRIM_400000_NS6detail17trampoline_kernelINS0_14default_configENS1_35radix_sort_onesweep_config_selectorIllEEZZNS1_29radix_sort_onesweep_iterationIS3_Lb0EPlS7_N6thrust23THRUST_200600_302600_NS10device_ptrIlEESB_jNS0_19identity_decomposerENS1_16block_id_wrapperIjLb0EEEEE10hipError_tT1_PNSt15iterator_traitsISG_E10value_typeET2_T3_PNSH_ISM_E10value_typeET4_T5_PSR_SS_PNS1_23onesweep_lookback_stateEbbT6_jjT7_P12ihipStream_tbENKUlT_T0_SG_SL_E_clIS7_S7_SB_S7_EEDaSZ_S10_SG_SL_EUlSZ_E_NS1_11comp_targetILNS1_3genE4ELNS1_11target_archE910ELNS1_3gpuE8ELNS1_3repE0EEENS1_47radix_sort_onesweep_sort_config_static_selectorELNS0_4arch9wavefront6targetE1EEEvSG_,@function
_ZN7rocprim17ROCPRIM_400000_NS6detail17trampoline_kernelINS0_14default_configENS1_35radix_sort_onesweep_config_selectorIllEEZZNS1_29radix_sort_onesweep_iterationIS3_Lb0EPlS7_N6thrust23THRUST_200600_302600_NS10device_ptrIlEESB_jNS0_19identity_decomposerENS1_16block_id_wrapperIjLb0EEEEE10hipError_tT1_PNSt15iterator_traitsISG_E10value_typeET2_T3_PNSH_ISM_E10value_typeET4_T5_PSR_SS_PNS1_23onesweep_lookback_stateEbbT6_jjT7_P12ihipStream_tbENKUlT_T0_SG_SL_E_clIS7_S7_SB_S7_EEDaSZ_S10_SG_SL_EUlSZ_E_NS1_11comp_targetILNS1_3genE4ELNS1_11target_archE910ELNS1_3gpuE8ELNS1_3repE0EEENS1_47radix_sort_onesweep_sort_config_static_selectorELNS0_4arch9wavefront6targetE1EEEvSG_: ; @_ZN7rocprim17ROCPRIM_400000_NS6detail17trampoline_kernelINS0_14default_configENS1_35radix_sort_onesweep_config_selectorIllEEZZNS1_29radix_sort_onesweep_iterationIS3_Lb0EPlS7_N6thrust23THRUST_200600_302600_NS10device_ptrIlEESB_jNS0_19identity_decomposerENS1_16block_id_wrapperIjLb0EEEEE10hipError_tT1_PNSt15iterator_traitsISG_E10value_typeET2_T3_PNSH_ISM_E10value_typeET4_T5_PSR_SS_PNS1_23onesweep_lookback_stateEbbT6_jjT7_P12ihipStream_tbENKUlT_T0_SG_SL_E_clIS7_S7_SB_S7_EEDaSZ_S10_SG_SL_EUlSZ_E_NS1_11comp_targetILNS1_3genE4ELNS1_11target_archE910ELNS1_3gpuE8ELNS1_3repE0EEENS1_47radix_sort_onesweep_sort_config_static_selectorELNS0_4arch9wavefront6targetE1EEEvSG_
; %bb.0:
	.section	.rodata,"a",@progbits
	.p2align	6, 0x0
	.amdhsa_kernel _ZN7rocprim17ROCPRIM_400000_NS6detail17trampoline_kernelINS0_14default_configENS1_35radix_sort_onesweep_config_selectorIllEEZZNS1_29radix_sort_onesweep_iterationIS3_Lb0EPlS7_N6thrust23THRUST_200600_302600_NS10device_ptrIlEESB_jNS0_19identity_decomposerENS1_16block_id_wrapperIjLb0EEEEE10hipError_tT1_PNSt15iterator_traitsISG_E10value_typeET2_T3_PNSH_ISM_E10value_typeET4_T5_PSR_SS_PNS1_23onesweep_lookback_stateEbbT6_jjT7_P12ihipStream_tbENKUlT_T0_SG_SL_E_clIS7_S7_SB_S7_EEDaSZ_S10_SG_SL_EUlSZ_E_NS1_11comp_targetILNS1_3genE4ELNS1_11target_archE910ELNS1_3gpuE8ELNS1_3repE0EEENS1_47radix_sort_onesweep_sort_config_static_selectorELNS0_4arch9wavefront6targetE1EEEvSG_
		.amdhsa_group_segment_fixed_size 0
		.amdhsa_private_segment_fixed_size 0
		.amdhsa_kernarg_size 88
		.amdhsa_user_sgpr_count 6
		.amdhsa_user_sgpr_private_segment_buffer 1
		.amdhsa_user_sgpr_dispatch_ptr 0
		.amdhsa_user_sgpr_queue_ptr 0
		.amdhsa_user_sgpr_kernarg_segment_ptr 1
		.amdhsa_user_sgpr_dispatch_id 0
		.amdhsa_user_sgpr_flat_scratch_init 0
		.amdhsa_user_sgpr_private_segment_size 0
		.amdhsa_uses_dynamic_stack 0
		.amdhsa_system_sgpr_private_segment_wavefront_offset 0
		.amdhsa_system_sgpr_workgroup_id_x 1
		.amdhsa_system_sgpr_workgroup_id_y 0
		.amdhsa_system_sgpr_workgroup_id_z 0
		.amdhsa_system_sgpr_workgroup_info 0
		.amdhsa_system_vgpr_workitem_id 0
		.amdhsa_next_free_vgpr 1
		.amdhsa_next_free_sgpr 0
		.amdhsa_reserve_vcc 0
		.amdhsa_reserve_flat_scratch 0
		.amdhsa_float_round_mode_32 0
		.amdhsa_float_round_mode_16_64 0
		.amdhsa_float_denorm_mode_32 3
		.amdhsa_float_denorm_mode_16_64 3
		.amdhsa_dx10_clamp 1
		.amdhsa_ieee_mode 1
		.amdhsa_fp16_overflow 0
		.amdhsa_exception_fp_ieee_invalid_op 0
		.amdhsa_exception_fp_denorm_src 0
		.amdhsa_exception_fp_ieee_div_zero 0
		.amdhsa_exception_fp_ieee_overflow 0
		.amdhsa_exception_fp_ieee_underflow 0
		.amdhsa_exception_fp_ieee_inexact 0
		.amdhsa_exception_int_div_zero 0
	.end_amdhsa_kernel
	.section	.text._ZN7rocprim17ROCPRIM_400000_NS6detail17trampoline_kernelINS0_14default_configENS1_35radix_sort_onesweep_config_selectorIllEEZZNS1_29radix_sort_onesweep_iterationIS3_Lb0EPlS7_N6thrust23THRUST_200600_302600_NS10device_ptrIlEESB_jNS0_19identity_decomposerENS1_16block_id_wrapperIjLb0EEEEE10hipError_tT1_PNSt15iterator_traitsISG_E10value_typeET2_T3_PNSH_ISM_E10value_typeET4_T5_PSR_SS_PNS1_23onesweep_lookback_stateEbbT6_jjT7_P12ihipStream_tbENKUlT_T0_SG_SL_E_clIS7_S7_SB_S7_EEDaSZ_S10_SG_SL_EUlSZ_E_NS1_11comp_targetILNS1_3genE4ELNS1_11target_archE910ELNS1_3gpuE8ELNS1_3repE0EEENS1_47radix_sort_onesweep_sort_config_static_selectorELNS0_4arch9wavefront6targetE1EEEvSG_,"axG",@progbits,_ZN7rocprim17ROCPRIM_400000_NS6detail17trampoline_kernelINS0_14default_configENS1_35radix_sort_onesweep_config_selectorIllEEZZNS1_29radix_sort_onesweep_iterationIS3_Lb0EPlS7_N6thrust23THRUST_200600_302600_NS10device_ptrIlEESB_jNS0_19identity_decomposerENS1_16block_id_wrapperIjLb0EEEEE10hipError_tT1_PNSt15iterator_traitsISG_E10value_typeET2_T3_PNSH_ISM_E10value_typeET4_T5_PSR_SS_PNS1_23onesweep_lookback_stateEbbT6_jjT7_P12ihipStream_tbENKUlT_T0_SG_SL_E_clIS7_S7_SB_S7_EEDaSZ_S10_SG_SL_EUlSZ_E_NS1_11comp_targetILNS1_3genE4ELNS1_11target_archE910ELNS1_3gpuE8ELNS1_3repE0EEENS1_47radix_sort_onesweep_sort_config_static_selectorELNS0_4arch9wavefront6targetE1EEEvSG_,comdat
.Lfunc_end1172:
	.size	_ZN7rocprim17ROCPRIM_400000_NS6detail17trampoline_kernelINS0_14default_configENS1_35radix_sort_onesweep_config_selectorIllEEZZNS1_29radix_sort_onesweep_iterationIS3_Lb0EPlS7_N6thrust23THRUST_200600_302600_NS10device_ptrIlEESB_jNS0_19identity_decomposerENS1_16block_id_wrapperIjLb0EEEEE10hipError_tT1_PNSt15iterator_traitsISG_E10value_typeET2_T3_PNSH_ISM_E10value_typeET4_T5_PSR_SS_PNS1_23onesweep_lookback_stateEbbT6_jjT7_P12ihipStream_tbENKUlT_T0_SG_SL_E_clIS7_S7_SB_S7_EEDaSZ_S10_SG_SL_EUlSZ_E_NS1_11comp_targetILNS1_3genE4ELNS1_11target_archE910ELNS1_3gpuE8ELNS1_3repE0EEENS1_47radix_sort_onesweep_sort_config_static_selectorELNS0_4arch9wavefront6targetE1EEEvSG_, .Lfunc_end1172-_ZN7rocprim17ROCPRIM_400000_NS6detail17trampoline_kernelINS0_14default_configENS1_35radix_sort_onesweep_config_selectorIllEEZZNS1_29radix_sort_onesweep_iterationIS3_Lb0EPlS7_N6thrust23THRUST_200600_302600_NS10device_ptrIlEESB_jNS0_19identity_decomposerENS1_16block_id_wrapperIjLb0EEEEE10hipError_tT1_PNSt15iterator_traitsISG_E10value_typeET2_T3_PNSH_ISM_E10value_typeET4_T5_PSR_SS_PNS1_23onesweep_lookback_stateEbbT6_jjT7_P12ihipStream_tbENKUlT_T0_SG_SL_E_clIS7_S7_SB_S7_EEDaSZ_S10_SG_SL_EUlSZ_E_NS1_11comp_targetILNS1_3genE4ELNS1_11target_archE910ELNS1_3gpuE8ELNS1_3repE0EEENS1_47radix_sort_onesweep_sort_config_static_selectorELNS0_4arch9wavefront6targetE1EEEvSG_
                                        ; -- End function
	.set _ZN7rocprim17ROCPRIM_400000_NS6detail17trampoline_kernelINS0_14default_configENS1_35radix_sort_onesweep_config_selectorIllEEZZNS1_29radix_sort_onesweep_iterationIS3_Lb0EPlS7_N6thrust23THRUST_200600_302600_NS10device_ptrIlEESB_jNS0_19identity_decomposerENS1_16block_id_wrapperIjLb0EEEEE10hipError_tT1_PNSt15iterator_traitsISG_E10value_typeET2_T3_PNSH_ISM_E10value_typeET4_T5_PSR_SS_PNS1_23onesweep_lookback_stateEbbT6_jjT7_P12ihipStream_tbENKUlT_T0_SG_SL_E_clIS7_S7_SB_S7_EEDaSZ_S10_SG_SL_EUlSZ_E_NS1_11comp_targetILNS1_3genE4ELNS1_11target_archE910ELNS1_3gpuE8ELNS1_3repE0EEENS1_47radix_sort_onesweep_sort_config_static_selectorELNS0_4arch9wavefront6targetE1EEEvSG_.num_vgpr, 0
	.set _ZN7rocprim17ROCPRIM_400000_NS6detail17trampoline_kernelINS0_14default_configENS1_35radix_sort_onesweep_config_selectorIllEEZZNS1_29radix_sort_onesweep_iterationIS3_Lb0EPlS7_N6thrust23THRUST_200600_302600_NS10device_ptrIlEESB_jNS0_19identity_decomposerENS1_16block_id_wrapperIjLb0EEEEE10hipError_tT1_PNSt15iterator_traitsISG_E10value_typeET2_T3_PNSH_ISM_E10value_typeET4_T5_PSR_SS_PNS1_23onesweep_lookback_stateEbbT6_jjT7_P12ihipStream_tbENKUlT_T0_SG_SL_E_clIS7_S7_SB_S7_EEDaSZ_S10_SG_SL_EUlSZ_E_NS1_11comp_targetILNS1_3genE4ELNS1_11target_archE910ELNS1_3gpuE8ELNS1_3repE0EEENS1_47radix_sort_onesweep_sort_config_static_selectorELNS0_4arch9wavefront6targetE1EEEvSG_.num_agpr, 0
	.set _ZN7rocprim17ROCPRIM_400000_NS6detail17trampoline_kernelINS0_14default_configENS1_35radix_sort_onesweep_config_selectorIllEEZZNS1_29radix_sort_onesweep_iterationIS3_Lb0EPlS7_N6thrust23THRUST_200600_302600_NS10device_ptrIlEESB_jNS0_19identity_decomposerENS1_16block_id_wrapperIjLb0EEEEE10hipError_tT1_PNSt15iterator_traitsISG_E10value_typeET2_T3_PNSH_ISM_E10value_typeET4_T5_PSR_SS_PNS1_23onesweep_lookback_stateEbbT6_jjT7_P12ihipStream_tbENKUlT_T0_SG_SL_E_clIS7_S7_SB_S7_EEDaSZ_S10_SG_SL_EUlSZ_E_NS1_11comp_targetILNS1_3genE4ELNS1_11target_archE910ELNS1_3gpuE8ELNS1_3repE0EEENS1_47radix_sort_onesweep_sort_config_static_selectorELNS0_4arch9wavefront6targetE1EEEvSG_.numbered_sgpr, 0
	.set _ZN7rocprim17ROCPRIM_400000_NS6detail17trampoline_kernelINS0_14default_configENS1_35radix_sort_onesweep_config_selectorIllEEZZNS1_29radix_sort_onesweep_iterationIS3_Lb0EPlS7_N6thrust23THRUST_200600_302600_NS10device_ptrIlEESB_jNS0_19identity_decomposerENS1_16block_id_wrapperIjLb0EEEEE10hipError_tT1_PNSt15iterator_traitsISG_E10value_typeET2_T3_PNSH_ISM_E10value_typeET4_T5_PSR_SS_PNS1_23onesweep_lookback_stateEbbT6_jjT7_P12ihipStream_tbENKUlT_T0_SG_SL_E_clIS7_S7_SB_S7_EEDaSZ_S10_SG_SL_EUlSZ_E_NS1_11comp_targetILNS1_3genE4ELNS1_11target_archE910ELNS1_3gpuE8ELNS1_3repE0EEENS1_47radix_sort_onesweep_sort_config_static_selectorELNS0_4arch9wavefront6targetE1EEEvSG_.num_named_barrier, 0
	.set _ZN7rocprim17ROCPRIM_400000_NS6detail17trampoline_kernelINS0_14default_configENS1_35radix_sort_onesweep_config_selectorIllEEZZNS1_29radix_sort_onesweep_iterationIS3_Lb0EPlS7_N6thrust23THRUST_200600_302600_NS10device_ptrIlEESB_jNS0_19identity_decomposerENS1_16block_id_wrapperIjLb0EEEEE10hipError_tT1_PNSt15iterator_traitsISG_E10value_typeET2_T3_PNSH_ISM_E10value_typeET4_T5_PSR_SS_PNS1_23onesweep_lookback_stateEbbT6_jjT7_P12ihipStream_tbENKUlT_T0_SG_SL_E_clIS7_S7_SB_S7_EEDaSZ_S10_SG_SL_EUlSZ_E_NS1_11comp_targetILNS1_3genE4ELNS1_11target_archE910ELNS1_3gpuE8ELNS1_3repE0EEENS1_47radix_sort_onesweep_sort_config_static_selectorELNS0_4arch9wavefront6targetE1EEEvSG_.private_seg_size, 0
	.set _ZN7rocprim17ROCPRIM_400000_NS6detail17trampoline_kernelINS0_14default_configENS1_35radix_sort_onesweep_config_selectorIllEEZZNS1_29radix_sort_onesweep_iterationIS3_Lb0EPlS7_N6thrust23THRUST_200600_302600_NS10device_ptrIlEESB_jNS0_19identity_decomposerENS1_16block_id_wrapperIjLb0EEEEE10hipError_tT1_PNSt15iterator_traitsISG_E10value_typeET2_T3_PNSH_ISM_E10value_typeET4_T5_PSR_SS_PNS1_23onesweep_lookback_stateEbbT6_jjT7_P12ihipStream_tbENKUlT_T0_SG_SL_E_clIS7_S7_SB_S7_EEDaSZ_S10_SG_SL_EUlSZ_E_NS1_11comp_targetILNS1_3genE4ELNS1_11target_archE910ELNS1_3gpuE8ELNS1_3repE0EEENS1_47radix_sort_onesweep_sort_config_static_selectorELNS0_4arch9wavefront6targetE1EEEvSG_.uses_vcc, 0
	.set _ZN7rocprim17ROCPRIM_400000_NS6detail17trampoline_kernelINS0_14default_configENS1_35radix_sort_onesweep_config_selectorIllEEZZNS1_29radix_sort_onesweep_iterationIS3_Lb0EPlS7_N6thrust23THRUST_200600_302600_NS10device_ptrIlEESB_jNS0_19identity_decomposerENS1_16block_id_wrapperIjLb0EEEEE10hipError_tT1_PNSt15iterator_traitsISG_E10value_typeET2_T3_PNSH_ISM_E10value_typeET4_T5_PSR_SS_PNS1_23onesweep_lookback_stateEbbT6_jjT7_P12ihipStream_tbENKUlT_T0_SG_SL_E_clIS7_S7_SB_S7_EEDaSZ_S10_SG_SL_EUlSZ_E_NS1_11comp_targetILNS1_3genE4ELNS1_11target_archE910ELNS1_3gpuE8ELNS1_3repE0EEENS1_47radix_sort_onesweep_sort_config_static_selectorELNS0_4arch9wavefront6targetE1EEEvSG_.uses_flat_scratch, 0
	.set _ZN7rocprim17ROCPRIM_400000_NS6detail17trampoline_kernelINS0_14default_configENS1_35radix_sort_onesweep_config_selectorIllEEZZNS1_29radix_sort_onesweep_iterationIS3_Lb0EPlS7_N6thrust23THRUST_200600_302600_NS10device_ptrIlEESB_jNS0_19identity_decomposerENS1_16block_id_wrapperIjLb0EEEEE10hipError_tT1_PNSt15iterator_traitsISG_E10value_typeET2_T3_PNSH_ISM_E10value_typeET4_T5_PSR_SS_PNS1_23onesweep_lookback_stateEbbT6_jjT7_P12ihipStream_tbENKUlT_T0_SG_SL_E_clIS7_S7_SB_S7_EEDaSZ_S10_SG_SL_EUlSZ_E_NS1_11comp_targetILNS1_3genE4ELNS1_11target_archE910ELNS1_3gpuE8ELNS1_3repE0EEENS1_47radix_sort_onesweep_sort_config_static_selectorELNS0_4arch9wavefront6targetE1EEEvSG_.has_dyn_sized_stack, 0
	.set _ZN7rocprim17ROCPRIM_400000_NS6detail17trampoline_kernelINS0_14default_configENS1_35radix_sort_onesweep_config_selectorIllEEZZNS1_29radix_sort_onesweep_iterationIS3_Lb0EPlS7_N6thrust23THRUST_200600_302600_NS10device_ptrIlEESB_jNS0_19identity_decomposerENS1_16block_id_wrapperIjLb0EEEEE10hipError_tT1_PNSt15iterator_traitsISG_E10value_typeET2_T3_PNSH_ISM_E10value_typeET4_T5_PSR_SS_PNS1_23onesweep_lookback_stateEbbT6_jjT7_P12ihipStream_tbENKUlT_T0_SG_SL_E_clIS7_S7_SB_S7_EEDaSZ_S10_SG_SL_EUlSZ_E_NS1_11comp_targetILNS1_3genE4ELNS1_11target_archE910ELNS1_3gpuE8ELNS1_3repE0EEENS1_47radix_sort_onesweep_sort_config_static_selectorELNS0_4arch9wavefront6targetE1EEEvSG_.has_recursion, 0
	.set _ZN7rocprim17ROCPRIM_400000_NS6detail17trampoline_kernelINS0_14default_configENS1_35radix_sort_onesweep_config_selectorIllEEZZNS1_29radix_sort_onesweep_iterationIS3_Lb0EPlS7_N6thrust23THRUST_200600_302600_NS10device_ptrIlEESB_jNS0_19identity_decomposerENS1_16block_id_wrapperIjLb0EEEEE10hipError_tT1_PNSt15iterator_traitsISG_E10value_typeET2_T3_PNSH_ISM_E10value_typeET4_T5_PSR_SS_PNS1_23onesweep_lookback_stateEbbT6_jjT7_P12ihipStream_tbENKUlT_T0_SG_SL_E_clIS7_S7_SB_S7_EEDaSZ_S10_SG_SL_EUlSZ_E_NS1_11comp_targetILNS1_3genE4ELNS1_11target_archE910ELNS1_3gpuE8ELNS1_3repE0EEENS1_47radix_sort_onesweep_sort_config_static_selectorELNS0_4arch9wavefront6targetE1EEEvSG_.has_indirect_call, 0
	.section	.AMDGPU.csdata,"",@progbits
; Kernel info:
; codeLenInByte = 0
; TotalNumSgprs: 4
; NumVgprs: 0
; ScratchSize: 0
; MemoryBound: 0
; FloatMode: 240
; IeeeMode: 1
; LDSByteSize: 0 bytes/workgroup (compile time only)
; SGPRBlocks: 0
; VGPRBlocks: 0
; NumSGPRsForWavesPerEU: 4
; NumVGPRsForWavesPerEU: 1
; Occupancy: 10
; WaveLimiterHint : 0
; COMPUTE_PGM_RSRC2:SCRATCH_EN: 0
; COMPUTE_PGM_RSRC2:USER_SGPR: 6
; COMPUTE_PGM_RSRC2:TRAP_HANDLER: 0
; COMPUTE_PGM_RSRC2:TGID_X_EN: 1
; COMPUTE_PGM_RSRC2:TGID_Y_EN: 0
; COMPUTE_PGM_RSRC2:TGID_Z_EN: 0
; COMPUTE_PGM_RSRC2:TIDIG_COMP_CNT: 0
	.section	.text._ZN7rocprim17ROCPRIM_400000_NS6detail17trampoline_kernelINS0_14default_configENS1_35radix_sort_onesweep_config_selectorIllEEZZNS1_29radix_sort_onesweep_iterationIS3_Lb0EPlS7_N6thrust23THRUST_200600_302600_NS10device_ptrIlEESB_jNS0_19identity_decomposerENS1_16block_id_wrapperIjLb0EEEEE10hipError_tT1_PNSt15iterator_traitsISG_E10value_typeET2_T3_PNSH_ISM_E10value_typeET4_T5_PSR_SS_PNS1_23onesweep_lookback_stateEbbT6_jjT7_P12ihipStream_tbENKUlT_T0_SG_SL_E_clIS7_S7_SB_S7_EEDaSZ_S10_SG_SL_EUlSZ_E_NS1_11comp_targetILNS1_3genE3ELNS1_11target_archE908ELNS1_3gpuE7ELNS1_3repE0EEENS1_47radix_sort_onesweep_sort_config_static_selectorELNS0_4arch9wavefront6targetE1EEEvSG_,"axG",@progbits,_ZN7rocprim17ROCPRIM_400000_NS6detail17trampoline_kernelINS0_14default_configENS1_35radix_sort_onesweep_config_selectorIllEEZZNS1_29radix_sort_onesweep_iterationIS3_Lb0EPlS7_N6thrust23THRUST_200600_302600_NS10device_ptrIlEESB_jNS0_19identity_decomposerENS1_16block_id_wrapperIjLb0EEEEE10hipError_tT1_PNSt15iterator_traitsISG_E10value_typeET2_T3_PNSH_ISM_E10value_typeET4_T5_PSR_SS_PNS1_23onesweep_lookback_stateEbbT6_jjT7_P12ihipStream_tbENKUlT_T0_SG_SL_E_clIS7_S7_SB_S7_EEDaSZ_S10_SG_SL_EUlSZ_E_NS1_11comp_targetILNS1_3genE3ELNS1_11target_archE908ELNS1_3gpuE7ELNS1_3repE0EEENS1_47radix_sort_onesweep_sort_config_static_selectorELNS0_4arch9wavefront6targetE1EEEvSG_,comdat
	.protected	_ZN7rocprim17ROCPRIM_400000_NS6detail17trampoline_kernelINS0_14default_configENS1_35radix_sort_onesweep_config_selectorIllEEZZNS1_29radix_sort_onesweep_iterationIS3_Lb0EPlS7_N6thrust23THRUST_200600_302600_NS10device_ptrIlEESB_jNS0_19identity_decomposerENS1_16block_id_wrapperIjLb0EEEEE10hipError_tT1_PNSt15iterator_traitsISG_E10value_typeET2_T3_PNSH_ISM_E10value_typeET4_T5_PSR_SS_PNS1_23onesweep_lookback_stateEbbT6_jjT7_P12ihipStream_tbENKUlT_T0_SG_SL_E_clIS7_S7_SB_S7_EEDaSZ_S10_SG_SL_EUlSZ_E_NS1_11comp_targetILNS1_3genE3ELNS1_11target_archE908ELNS1_3gpuE7ELNS1_3repE0EEENS1_47radix_sort_onesweep_sort_config_static_selectorELNS0_4arch9wavefront6targetE1EEEvSG_ ; -- Begin function _ZN7rocprim17ROCPRIM_400000_NS6detail17trampoline_kernelINS0_14default_configENS1_35radix_sort_onesweep_config_selectorIllEEZZNS1_29radix_sort_onesweep_iterationIS3_Lb0EPlS7_N6thrust23THRUST_200600_302600_NS10device_ptrIlEESB_jNS0_19identity_decomposerENS1_16block_id_wrapperIjLb0EEEEE10hipError_tT1_PNSt15iterator_traitsISG_E10value_typeET2_T3_PNSH_ISM_E10value_typeET4_T5_PSR_SS_PNS1_23onesweep_lookback_stateEbbT6_jjT7_P12ihipStream_tbENKUlT_T0_SG_SL_E_clIS7_S7_SB_S7_EEDaSZ_S10_SG_SL_EUlSZ_E_NS1_11comp_targetILNS1_3genE3ELNS1_11target_archE908ELNS1_3gpuE7ELNS1_3repE0EEENS1_47radix_sort_onesweep_sort_config_static_selectorELNS0_4arch9wavefront6targetE1EEEvSG_
	.globl	_ZN7rocprim17ROCPRIM_400000_NS6detail17trampoline_kernelINS0_14default_configENS1_35radix_sort_onesweep_config_selectorIllEEZZNS1_29radix_sort_onesweep_iterationIS3_Lb0EPlS7_N6thrust23THRUST_200600_302600_NS10device_ptrIlEESB_jNS0_19identity_decomposerENS1_16block_id_wrapperIjLb0EEEEE10hipError_tT1_PNSt15iterator_traitsISG_E10value_typeET2_T3_PNSH_ISM_E10value_typeET4_T5_PSR_SS_PNS1_23onesweep_lookback_stateEbbT6_jjT7_P12ihipStream_tbENKUlT_T0_SG_SL_E_clIS7_S7_SB_S7_EEDaSZ_S10_SG_SL_EUlSZ_E_NS1_11comp_targetILNS1_3genE3ELNS1_11target_archE908ELNS1_3gpuE7ELNS1_3repE0EEENS1_47radix_sort_onesweep_sort_config_static_selectorELNS0_4arch9wavefront6targetE1EEEvSG_
	.p2align	8
	.type	_ZN7rocprim17ROCPRIM_400000_NS6detail17trampoline_kernelINS0_14default_configENS1_35radix_sort_onesweep_config_selectorIllEEZZNS1_29radix_sort_onesweep_iterationIS3_Lb0EPlS7_N6thrust23THRUST_200600_302600_NS10device_ptrIlEESB_jNS0_19identity_decomposerENS1_16block_id_wrapperIjLb0EEEEE10hipError_tT1_PNSt15iterator_traitsISG_E10value_typeET2_T3_PNSH_ISM_E10value_typeET4_T5_PSR_SS_PNS1_23onesweep_lookback_stateEbbT6_jjT7_P12ihipStream_tbENKUlT_T0_SG_SL_E_clIS7_S7_SB_S7_EEDaSZ_S10_SG_SL_EUlSZ_E_NS1_11comp_targetILNS1_3genE3ELNS1_11target_archE908ELNS1_3gpuE7ELNS1_3repE0EEENS1_47radix_sort_onesweep_sort_config_static_selectorELNS0_4arch9wavefront6targetE1EEEvSG_,@function
_ZN7rocprim17ROCPRIM_400000_NS6detail17trampoline_kernelINS0_14default_configENS1_35radix_sort_onesweep_config_selectorIllEEZZNS1_29radix_sort_onesweep_iterationIS3_Lb0EPlS7_N6thrust23THRUST_200600_302600_NS10device_ptrIlEESB_jNS0_19identity_decomposerENS1_16block_id_wrapperIjLb0EEEEE10hipError_tT1_PNSt15iterator_traitsISG_E10value_typeET2_T3_PNSH_ISM_E10value_typeET4_T5_PSR_SS_PNS1_23onesweep_lookback_stateEbbT6_jjT7_P12ihipStream_tbENKUlT_T0_SG_SL_E_clIS7_S7_SB_S7_EEDaSZ_S10_SG_SL_EUlSZ_E_NS1_11comp_targetILNS1_3genE3ELNS1_11target_archE908ELNS1_3gpuE7ELNS1_3repE0EEENS1_47radix_sort_onesweep_sort_config_static_selectorELNS0_4arch9wavefront6targetE1EEEvSG_: ; @_ZN7rocprim17ROCPRIM_400000_NS6detail17trampoline_kernelINS0_14default_configENS1_35radix_sort_onesweep_config_selectorIllEEZZNS1_29radix_sort_onesweep_iterationIS3_Lb0EPlS7_N6thrust23THRUST_200600_302600_NS10device_ptrIlEESB_jNS0_19identity_decomposerENS1_16block_id_wrapperIjLb0EEEEE10hipError_tT1_PNSt15iterator_traitsISG_E10value_typeET2_T3_PNSH_ISM_E10value_typeET4_T5_PSR_SS_PNS1_23onesweep_lookback_stateEbbT6_jjT7_P12ihipStream_tbENKUlT_T0_SG_SL_E_clIS7_S7_SB_S7_EEDaSZ_S10_SG_SL_EUlSZ_E_NS1_11comp_targetILNS1_3genE3ELNS1_11target_archE908ELNS1_3gpuE7ELNS1_3repE0EEENS1_47radix_sort_onesweep_sort_config_static_selectorELNS0_4arch9wavefront6targetE1EEEvSG_
; %bb.0:
	.section	.rodata,"a",@progbits
	.p2align	6, 0x0
	.amdhsa_kernel _ZN7rocprim17ROCPRIM_400000_NS6detail17trampoline_kernelINS0_14default_configENS1_35radix_sort_onesweep_config_selectorIllEEZZNS1_29radix_sort_onesweep_iterationIS3_Lb0EPlS7_N6thrust23THRUST_200600_302600_NS10device_ptrIlEESB_jNS0_19identity_decomposerENS1_16block_id_wrapperIjLb0EEEEE10hipError_tT1_PNSt15iterator_traitsISG_E10value_typeET2_T3_PNSH_ISM_E10value_typeET4_T5_PSR_SS_PNS1_23onesweep_lookback_stateEbbT6_jjT7_P12ihipStream_tbENKUlT_T0_SG_SL_E_clIS7_S7_SB_S7_EEDaSZ_S10_SG_SL_EUlSZ_E_NS1_11comp_targetILNS1_3genE3ELNS1_11target_archE908ELNS1_3gpuE7ELNS1_3repE0EEENS1_47radix_sort_onesweep_sort_config_static_selectorELNS0_4arch9wavefront6targetE1EEEvSG_
		.amdhsa_group_segment_fixed_size 0
		.amdhsa_private_segment_fixed_size 0
		.amdhsa_kernarg_size 88
		.amdhsa_user_sgpr_count 6
		.amdhsa_user_sgpr_private_segment_buffer 1
		.amdhsa_user_sgpr_dispatch_ptr 0
		.amdhsa_user_sgpr_queue_ptr 0
		.amdhsa_user_sgpr_kernarg_segment_ptr 1
		.amdhsa_user_sgpr_dispatch_id 0
		.amdhsa_user_sgpr_flat_scratch_init 0
		.amdhsa_user_sgpr_private_segment_size 0
		.amdhsa_uses_dynamic_stack 0
		.amdhsa_system_sgpr_private_segment_wavefront_offset 0
		.amdhsa_system_sgpr_workgroup_id_x 1
		.amdhsa_system_sgpr_workgroup_id_y 0
		.amdhsa_system_sgpr_workgroup_id_z 0
		.amdhsa_system_sgpr_workgroup_info 0
		.amdhsa_system_vgpr_workitem_id 0
		.amdhsa_next_free_vgpr 1
		.amdhsa_next_free_sgpr 0
		.amdhsa_reserve_vcc 0
		.amdhsa_reserve_flat_scratch 0
		.amdhsa_float_round_mode_32 0
		.amdhsa_float_round_mode_16_64 0
		.amdhsa_float_denorm_mode_32 3
		.amdhsa_float_denorm_mode_16_64 3
		.amdhsa_dx10_clamp 1
		.amdhsa_ieee_mode 1
		.amdhsa_fp16_overflow 0
		.amdhsa_exception_fp_ieee_invalid_op 0
		.amdhsa_exception_fp_denorm_src 0
		.amdhsa_exception_fp_ieee_div_zero 0
		.amdhsa_exception_fp_ieee_overflow 0
		.amdhsa_exception_fp_ieee_underflow 0
		.amdhsa_exception_fp_ieee_inexact 0
		.amdhsa_exception_int_div_zero 0
	.end_amdhsa_kernel
	.section	.text._ZN7rocprim17ROCPRIM_400000_NS6detail17trampoline_kernelINS0_14default_configENS1_35radix_sort_onesweep_config_selectorIllEEZZNS1_29radix_sort_onesweep_iterationIS3_Lb0EPlS7_N6thrust23THRUST_200600_302600_NS10device_ptrIlEESB_jNS0_19identity_decomposerENS1_16block_id_wrapperIjLb0EEEEE10hipError_tT1_PNSt15iterator_traitsISG_E10value_typeET2_T3_PNSH_ISM_E10value_typeET4_T5_PSR_SS_PNS1_23onesweep_lookback_stateEbbT6_jjT7_P12ihipStream_tbENKUlT_T0_SG_SL_E_clIS7_S7_SB_S7_EEDaSZ_S10_SG_SL_EUlSZ_E_NS1_11comp_targetILNS1_3genE3ELNS1_11target_archE908ELNS1_3gpuE7ELNS1_3repE0EEENS1_47radix_sort_onesweep_sort_config_static_selectorELNS0_4arch9wavefront6targetE1EEEvSG_,"axG",@progbits,_ZN7rocprim17ROCPRIM_400000_NS6detail17trampoline_kernelINS0_14default_configENS1_35radix_sort_onesweep_config_selectorIllEEZZNS1_29radix_sort_onesweep_iterationIS3_Lb0EPlS7_N6thrust23THRUST_200600_302600_NS10device_ptrIlEESB_jNS0_19identity_decomposerENS1_16block_id_wrapperIjLb0EEEEE10hipError_tT1_PNSt15iterator_traitsISG_E10value_typeET2_T3_PNSH_ISM_E10value_typeET4_T5_PSR_SS_PNS1_23onesweep_lookback_stateEbbT6_jjT7_P12ihipStream_tbENKUlT_T0_SG_SL_E_clIS7_S7_SB_S7_EEDaSZ_S10_SG_SL_EUlSZ_E_NS1_11comp_targetILNS1_3genE3ELNS1_11target_archE908ELNS1_3gpuE7ELNS1_3repE0EEENS1_47radix_sort_onesweep_sort_config_static_selectorELNS0_4arch9wavefront6targetE1EEEvSG_,comdat
.Lfunc_end1173:
	.size	_ZN7rocprim17ROCPRIM_400000_NS6detail17trampoline_kernelINS0_14default_configENS1_35radix_sort_onesweep_config_selectorIllEEZZNS1_29radix_sort_onesweep_iterationIS3_Lb0EPlS7_N6thrust23THRUST_200600_302600_NS10device_ptrIlEESB_jNS0_19identity_decomposerENS1_16block_id_wrapperIjLb0EEEEE10hipError_tT1_PNSt15iterator_traitsISG_E10value_typeET2_T3_PNSH_ISM_E10value_typeET4_T5_PSR_SS_PNS1_23onesweep_lookback_stateEbbT6_jjT7_P12ihipStream_tbENKUlT_T0_SG_SL_E_clIS7_S7_SB_S7_EEDaSZ_S10_SG_SL_EUlSZ_E_NS1_11comp_targetILNS1_3genE3ELNS1_11target_archE908ELNS1_3gpuE7ELNS1_3repE0EEENS1_47radix_sort_onesweep_sort_config_static_selectorELNS0_4arch9wavefront6targetE1EEEvSG_, .Lfunc_end1173-_ZN7rocprim17ROCPRIM_400000_NS6detail17trampoline_kernelINS0_14default_configENS1_35radix_sort_onesweep_config_selectorIllEEZZNS1_29radix_sort_onesweep_iterationIS3_Lb0EPlS7_N6thrust23THRUST_200600_302600_NS10device_ptrIlEESB_jNS0_19identity_decomposerENS1_16block_id_wrapperIjLb0EEEEE10hipError_tT1_PNSt15iterator_traitsISG_E10value_typeET2_T3_PNSH_ISM_E10value_typeET4_T5_PSR_SS_PNS1_23onesweep_lookback_stateEbbT6_jjT7_P12ihipStream_tbENKUlT_T0_SG_SL_E_clIS7_S7_SB_S7_EEDaSZ_S10_SG_SL_EUlSZ_E_NS1_11comp_targetILNS1_3genE3ELNS1_11target_archE908ELNS1_3gpuE7ELNS1_3repE0EEENS1_47radix_sort_onesweep_sort_config_static_selectorELNS0_4arch9wavefront6targetE1EEEvSG_
                                        ; -- End function
	.set _ZN7rocprim17ROCPRIM_400000_NS6detail17trampoline_kernelINS0_14default_configENS1_35radix_sort_onesweep_config_selectorIllEEZZNS1_29radix_sort_onesweep_iterationIS3_Lb0EPlS7_N6thrust23THRUST_200600_302600_NS10device_ptrIlEESB_jNS0_19identity_decomposerENS1_16block_id_wrapperIjLb0EEEEE10hipError_tT1_PNSt15iterator_traitsISG_E10value_typeET2_T3_PNSH_ISM_E10value_typeET4_T5_PSR_SS_PNS1_23onesweep_lookback_stateEbbT6_jjT7_P12ihipStream_tbENKUlT_T0_SG_SL_E_clIS7_S7_SB_S7_EEDaSZ_S10_SG_SL_EUlSZ_E_NS1_11comp_targetILNS1_3genE3ELNS1_11target_archE908ELNS1_3gpuE7ELNS1_3repE0EEENS1_47radix_sort_onesweep_sort_config_static_selectorELNS0_4arch9wavefront6targetE1EEEvSG_.num_vgpr, 0
	.set _ZN7rocprim17ROCPRIM_400000_NS6detail17trampoline_kernelINS0_14default_configENS1_35radix_sort_onesweep_config_selectorIllEEZZNS1_29radix_sort_onesweep_iterationIS3_Lb0EPlS7_N6thrust23THRUST_200600_302600_NS10device_ptrIlEESB_jNS0_19identity_decomposerENS1_16block_id_wrapperIjLb0EEEEE10hipError_tT1_PNSt15iterator_traitsISG_E10value_typeET2_T3_PNSH_ISM_E10value_typeET4_T5_PSR_SS_PNS1_23onesweep_lookback_stateEbbT6_jjT7_P12ihipStream_tbENKUlT_T0_SG_SL_E_clIS7_S7_SB_S7_EEDaSZ_S10_SG_SL_EUlSZ_E_NS1_11comp_targetILNS1_3genE3ELNS1_11target_archE908ELNS1_3gpuE7ELNS1_3repE0EEENS1_47radix_sort_onesweep_sort_config_static_selectorELNS0_4arch9wavefront6targetE1EEEvSG_.num_agpr, 0
	.set _ZN7rocprim17ROCPRIM_400000_NS6detail17trampoline_kernelINS0_14default_configENS1_35radix_sort_onesweep_config_selectorIllEEZZNS1_29radix_sort_onesweep_iterationIS3_Lb0EPlS7_N6thrust23THRUST_200600_302600_NS10device_ptrIlEESB_jNS0_19identity_decomposerENS1_16block_id_wrapperIjLb0EEEEE10hipError_tT1_PNSt15iterator_traitsISG_E10value_typeET2_T3_PNSH_ISM_E10value_typeET4_T5_PSR_SS_PNS1_23onesweep_lookback_stateEbbT6_jjT7_P12ihipStream_tbENKUlT_T0_SG_SL_E_clIS7_S7_SB_S7_EEDaSZ_S10_SG_SL_EUlSZ_E_NS1_11comp_targetILNS1_3genE3ELNS1_11target_archE908ELNS1_3gpuE7ELNS1_3repE0EEENS1_47radix_sort_onesweep_sort_config_static_selectorELNS0_4arch9wavefront6targetE1EEEvSG_.numbered_sgpr, 0
	.set _ZN7rocprim17ROCPRIM_400000_NS6detail17trampoline_kernelINS0_14default_configENS1_35radix_sort_onesweep_config_selectorIllEEZZNS1_29radix_sort_onesweep_iterationIS3_Lb0EPlS7_N6thrust23THRUST_200600_302600_NS10device_ptrIlEESB_jNS0_19identity_decomposerENS1_16block_id_wrapperIjLb0EEEEE10hipError_tT1_PNSt15iterator_traitsISG_E10value_typeET2_T3_PNSH_ISM_E10value_typeET4_T5_PSR_SS_PNS1_23onesweep_lookback_stateEbbT6_jjT7_P12ihipStream_tbENKUlT_T0_SG_SL_E_clIS7_S7_SB_S7_EEDaSZ_S10_SG_SL_EUlSZ_E_NS1_11comp_targetILNS1_3genE3ELNS1_11target_archE908ELNS1_3gpuE7ELNS1_3repE0EEENS1_47radix_sort_onesweep_sort_config_static_selectorELNS0_4arch9wavefront6targetE1EEEvSG_.num_named_barrier, 0
	.set _ZN7rocprim17ROCPRIM_400000_NS6detail17trampoline_kernelINS0_14default_configENS1_35radix_sort_onesweep_config_selectorIllEEZZNS1_29radix_sort_onesweep_iterationIS3_Lb0EPlS7_N6thrust23THRUST_200600_302600_NS10device_ptrIlEESB_jNS0_19identity_decomposerENS1_16block_id_wrapperIjLb0EEEEE10hipError_tT1_PNSt15iterator_traitsISG_E10value_typeET2_T3_PNSH_ISM_E10value_typeET4_T5_PSR_SS_PNS1_23onesweep_lookback_stateEbbT6_jjT7_P12ihipStream_tbENKUlT_T0_SG_SL_E_clIS7_S7_SB_S7_EEDaSZ_S10_SG_SL_EUlSZ_E_NS1_11comp_targetILNS1_3genE3ELNS1_11target_archE908ELNS1_3gpuE7ELNS1_3repE0EEENS1_47radix_sort_onesweep_sort_config_static_selectorELNS0_4arch9wavefront6targetE1EEEvSG_.private_seg_size, 0
	.set _ZN7rocprim17ROCPRIM_400000_NS6detail17trampoline_kernelINS0_14default_configENS1_35radix_sort_onesweep_config_selectorIllEEZZNS1_29radix_sort_onesweep_iterationIS3_Lb0EPlS7_N6thrust23THRUST_200600_302600_NS10device_ptrIlEESB_jNS0_19identity_decomposerENS1_16block_id_wrapperIjLb0EEEEE10hipError_tT1_PNSt15iterator_traitsISG_E10value_typeET2_T3_PNSH_ISM_E10value_typeET4_T5_PSR_SS_PNS1_23onesweep_lookback_stateEbbT6_jjT7_P12ihipStream_tbENKUlT_T0_SG_SL_E_clIS7_S7_SB_S7_EEDaSZ_S10_SG_SL_EUlSZ_E_NS1_11comp_targetILNS1_3genE3ELNS1_11target_archE908ELNS1_3gpuE7ELNS1_3repE0EEENS1_47radix_sort_onesweep_sort_config_static_selectorELNS0_4arch9wavefront6targetE1EEEvSG_.uses_vcc, 0
	.set _ZN7rocprim17ROCPRIM_400000_NS6detail17trampoline_kernelINS0_14default_configENS1_35radix_sort_onesweep_config_selectorIllEEZZNS1_29radix_sort_onesweep_iterationIS3_Lb0EPlS7_N6thrust23THRUST_200600_302600_NS10device_ptrIlEESB_jNS0_19identity_decomposerENS1_16block_id_wrapperIjLb0EEEEE10hipError_tT1_PNSt15iterator_traitsISG_E10value_typeET2_T3_PNSH_ISM_E10value_typeET4_T5_PSR_SS_PNS1_23onesweep_lookback_stateEbbT6_jjT7_P12ihipStream_tbENKUlT_T0_SG_SL_E_clIS7_S7_SB_S7_EEDaSZ_S10_SG_SL_EUlSZ_E_NS1_11comp_targetILNS1_3genE3ELNS1_11target_archE908ELNS1_3gpuE7ELNS1_3repE0EEENS1_47radix_sort_onesweep_sort_config_static_selectorELNS0_4arch9wavefront6targetE1EEEvSG_.uses_flat_scratch, 0
	.set _ZN7rocprim17ROCPRIM_400000_NS6detail17trampoline_kernelINS0_14default_configENS1_35radix_sort_onesweep_config_selectorIllEEZZNS1_29radix_sort_onesweep_iterationIS3_Lb0EPlS7_N6thrust23THRUST_200600_302600_NS10device_ptrIlEESB_jNS0_19identity_decomposerENS1_16block_id_wrapperIjLb0EEEEE10hipError_tT1_PNSt15iterator_traitsISG_E10value_typeET2_T3_PNSH_ISM_E10value_typeET4_T5_PSR_SS_PNS1_23onesweep_lookback_stateEbbT6_jjT7_P12ihipStream_tbENKUlT_T0_SG_SL_E_clIS7_S7_SB_S7_EEDaSZ_S10_SG_SL_EUlSZ_E_NS1_11comp_targetILNS1_3genE3ELNS1_11target_archE908ELNS1_3gpuE7ELNS1_3repE0EEENS1_47radix_sort_onesweep_sort_config_static_selectorELNS0_4arch9wavefront6targetE1EEEvSG_.has_dyn_sized_stack, 0
	.set _ZN7rocprim17ROCPRIM_400000_NS6detail17trampoline_kernelINS0_14default_configENS1_35radix_sort_onesweep_config_selectorIllEEZZNS1_29radix_sort_onesweep_iterationIS3_Lb0EPlS7_N6thrust23THRUST_200600_302600_NS10device_ptrIlEESB_jNS0_19identity_decomposerENS1_16block_id_wrapperIjLb0EEEEE10hipError_tT1_PNSt15iterator_traitsISG_E10value_typeET2_T3_PNSH_ISM_E10value_typeET4_T5_PSR_SS_PNS1_23onesweep_lookback_stateEbbT6_jjT7_P12ihipStream_tbENKUlT_T0_SG_SL_E_clIS7_S7_SB_S7_EEDaSZ_S10_SG_SL_EUlSZ_E_NS1_11comp_targetILNS1_3genE3ELNS1_11target_archE908ELNS1_3gpuE7ELNS1_3repE0EEENS1_47radix_sort_onesweep_sort_config_static_selectorELNS0_4arch9wavefront6targetE1EEEvSG_.has_recursion, 0
	.set _ZN7rocprim17ROCPRIM_400000_NS6detail17trampoline_kernelINS0_14default_configENS1_35radix_sort_onesweep_config_selectorIllEEZZNS1_29radix_sort_onesweep_iterationIS3_Lb0EPlS7_N6thrust23THRUST_200600_302600_NS10device_ptrIlEESB_jNS0_19identity_decomposerENS1_16block_id_wrapperIjLb0EEEEE10hipError_tT1_PNSt15iterator_traitsISG_E10value_typeET2_T3_PNSH_ISM_E10value_typeET4_T5_PSR_SS_PNS1_23onesweep_lookback_stateEbbT6_jjT7_P12ihipStream_tbENKUlT_T0_SG_SL_E_clIS7_S7_SB_S7_EEDaSZ_S10_SG_SL_EUlSZ_E_NS1_11comp_targetILNS1_3genE3ELNS1_11target_archE908ELNS1_3gpuE7ELNS1_3repE0EEENS1_47radix_sort_onesweep_sort_config_static_selectorELNS0_4arch9wavefront6targetE1EEEvSG_.has_indirect_call, 0
	.section	.AMDGPU.csdata,"",@progbits
; Kernel info:
; codeLenInByte = 0
; TotalNumSgprs: 4
; NumVgprs: 0
; ScratchSize: 0
; MemoryBound: 0
; FloatMode: 240
; IeeeMode: 1
; LDSByteSize: 0 bytes/workgroup (compile time only)
; SGPRBlocks: 0
; VGPRBlocks: 0
; NumSGPRsForWavesPerEU: 4
; NumVGPRsForWavesPerEU: 1
; Occupancy: 10
; WaveLimiterHint : 0
; COMPUTE_PGM_RSRC2:SCRATCH_EN: 0
; COMPUTE_PGM_RSRC2:USER_SGPR: 6
; COMPUTE_PGM_RSRC2:TRAP_HANDLER: 0
; COMPUTE_PGM_RSRC2:TGID_X_EN: 1
; COMPUTE_PGM_RSRC2:TGID_Y_EN: 0
; COMPUTE_PGM_RSRC2:TGID_Z_EN: 0
; COMPUTE_PGM_RSRC2:TIDIG_COMP_CNT: 0
	.section	.text._ZN7rocprim17ROCPRIM_400000_NS6detail17trampoline_kernelINS0_14default_configENS1_35radix_sort_onesweep_config_selectorIllEEZZNS1_29radix_sort_onesweep_iterationIS3_Lb0EPlS7_N6thrust23THRUST_200600_302600_NS10device_ptrIlEESB_jNS0_19identity_decomposerENS1_16block_id_wrapperIjLb0EEEEE10hipError_tT1_PNSt15iterator_traitsISG_E10value_typeET2_T3_PNSH_ISM_E10value_typeET4_T5_PSR_SS_PNS1_23onesweep_lookback_stateEbbT6_jjT7_P12ihipStream_tbENKUlT_T0_SG_SL_E_clIS7_S7_SB_S7_EEDaSZ_S10_SG_SL_EUlSZ_E_NS1_11comp_targetILNS1_3genE10ELNS1_11target_archE1201ELNS1_3gpuE5ELNS1_3repE0EEENS1_47radix_sort_onesweep_sort_config_static_selectorELNS0_4arch9wavefront6targetE1EEEvSG_,"axG",@progbits,_ZN7rocprim17ROCPRIM_400000_NS6detail17trampoline_kernelINS0_14default_configENS1_35radix_sort_onesweep_config_selectorIllEEZZNS1_29radix_sort_onesweep_iterationIS3_Lb0EPlS7_N6thrust23THRUST_200600_302600_NS10device_ptrIlEESB_jNS0_19identity_decomposerENS1_16block_id_wrapperIjLb0EEEEE10hipError_tT1_PNSt15iterator_traitsISG_E10value_typeET2_T3_PNSH_ISM_E10value_typeET4_T5_PSR_SS_PNS1_23onesweep_lookback_stateEbbT6_jjT7_P12ihipStream_tbENKUlT_T0_SG_SL_E_clIS7_S7_SB_S7_EEDaSZ_S10_SG_SL_EUlSZ_E_NS1_11comp_targetILNS1_3genE10ELNS1_11target_archE1201ELNS1_3gpuE5ELNS1_3repE0EEENS1_47radix_sort_onesweep_sort_config_static_selectorELNS0_4arch9wavefront6targetE1EEEvSG_,comdat
	.protected	_ZN7rocprim17ROCPRIM_400000_NS6detail17trampoline_kernelINS0_14default_configENS1_35radix_sort_onesweep_config_selectorIllEEZZNS1_29radix_sort_onesweep_iterationIS3_Lb0EPlS7_N6thrust23THRUST_200600_302600_NS10device_ptrIlEESB_jNS0_19identity_decomposerENS1_16block_id_wrapperIjLb0EEEEE10hipError_tT1_PNSt15iterator_traitsISG_E10value_typeET2_T3_PNSH_ISM_E10value_typeET4_T5_PSR_SS_PNS1_23onesweep_lookback_stateEbbT6_jjT7_P12ihipStream_tbENKUlT_T0_SG_SL_E_clIS7_S7_SB_S7_EEDaSZ_S10_SG_SL_EUlSZ_E_NS1_11comp_targetILNS1_3genE10ELNS1_11target_archE1201ELNS1_3gpuE5ELNS1_3repE0EEENS1_47radix_sort_onesweep_sort_config_static_selectorELNS0_4arch9wavefront6targetE1EEEvSG_ ; -- Begin function _ZN7rocprim17ROCPRIM_400000_NS6detail17trampoline_kernelINS0_14default_configENS1_35radix_sort_onesweep_config_selectorIllEEZZNS1_29radix_sort_onesweep_iterationIS3_Lb0EPlS7_N6thrust23THRUST_200600_302600_NS10device_ptrIlEESB_jNS0_19identity_decomposerENS1_16block_id_wrapperIjLb0EEEEE10hipError_tT1_PNSt15iterator_traitsISG_E10value_typeET2_T3_PNSH_ISM_E10value_typeET4_T5_PSR_SS_PNS1_23onesweep_lookback_stateEbbT6_jjT7_P12ihipStream_tbENKUlT_T0_SG_SL_E_clIS7_S7_SB_S7_EEDaSZ_S10_SG_SL_EUlSZ_E_NS1_11comp_targetILNS1_3genE10ELNS1_11target_archE1201ELNS1_3gpuE5ELNS1_3repE0EEENS1_47radix_sort_onesweep_sort_config_static_selectorELNS0_4arch9wavefront6targetE1EEEvSG_
	.globl	_ZN7rocprim17ROCPRIM_400000_NS6detail17trampoline_kernelINS0_14default_configENS1_35radix_sort_onesweep_config_selectorIllEEZZNS1_29radix_sort_onesweep_iterationIS3_Lb0EPlS7_N6thrust23THRUST_200600_302600_NS10device_ptrIlEESB_jNS0_19identity_decomposerENS1_16block_id_wrapperIjLb0EEEEE10hipError_tT1_PNSt15iterator_traitsISG_E10value_typeET2_T3_PNSH_ISM_E10value_typeET4_T5_PSR_SS_PNS1_23onesweep_lookback_stateEbbT6_jjT7_P12ihipStream_tbENKUlT_T0_SG_SL_E_clIS7_S7_SB_S7_EEDaSZ_S10_SG_SL_EUlSZ_E_NS1_11comp_targetILNS1_3genE10ELNS1_11target_archE1201ELNS1_3gpuE5ELNS1_3repE0EEENS1_47radix_sort_onesweep_sort_config_static_selectorELNS0_4arch9wavefront6targetE1EEEvSG_
	.p2align	8
	.type	_ZN7rocprim17ROCPRIM_400000_NS6detail17trampoline_kernelINS0_14default_configENS1_35radix_sort_onesweep_config_selectorIllEEZZNS1_29radix_sort_onesweep_iterationIS3_Lb0EPlS7_N6thrust23THRUST_200600_302600_NS10device_ptrIlEESB_jNS0_19identity_decomposerENS1_16block_id_wrapperIjLb0EEEEE10hipError_tT1_PNSt15iterator_traitsISG_E10value_typeET2_T3_PNSH_ISM_E10value_typeET4_T5_PSR_SS_PNS1_23onesweep_lookback_stateEbbT6_jjT7_P12ihipStream_tbENKUlT_T0_SG_SL_E_clIS7_S7_SB_S7_EEDaSZ_S10_SG_SL_EUlSZ_E_NS1_11comp_targetILNS1_3genE10ELNS1_11target_archE1201ELNS1_3gpuE5ELNS1_3repE0EEENS1_47radix_sort_onesweep_sort_config_static_selectorELNS0_4arch9wavefront6targetE1EEEvSG_,@function
_ZN7rocprim17ROCPRIM_400000_NS6detail17trampoline_kernelINS0_14default_configENS1_35radix_sort_onesweep_config_selectorIllEEZZNS1_29radix_sort_onesweep_iterationIS3_Lb0EPlS7_N6thrust23THRUST_200600_302600_NS10device_ptrIlEESB_jNS0_19identity_decomposerENS1_16block_id_wrapperIjLb0EEEEE10hipError_tT1_PNSt15iterator_traitsISG_E10value_typeET2_T3_PNSH_ISM_E10value_typeET4_T5_PSR_SS_PNS1_23onesweep_lookback_stateEbbT6_jjT7_P12ihipStream_tbENKUlT_T0_SG_SL_E_clIS7_S7_SB_S7_EEDaSZ_S10_SG_SL_EUlSZ_E_NS1_11comp_targetILNS1_3genE10ELNS1_11target_archE1201ELNS1_3gpuE5ELNS1_3repE0EEENS1_47radix_sort_onesweep_sort_config_static_selectorELNS0_4arch9wavefront6targetE1EEEvSG_: ; @_ZN7rocprim17ROCPRIM_400000_NS6detail17trampoline_kernelINS0_14default_configENS1_35radix_sort_onesweep_config_selectorIllEEZZNS1_29radix_sort_onesweep_iterationIS3_Lb0EPlS7_N6thrust23THRUST_200600_302600_NS10device_ptrIlEESB_jNS0_19identity_decomposerENS1_16block_id_wrapperIjLb0EEEEE10hipError_tT1_PNSt15iterator_traitsISG_E10value_typeET2_T3_PNSH_ISM_E10value_typeET4_T5_PSR_SS_PNS1_23onesweep_lookback_stateEbbT6_jjT7_P12ihipStream_tbENKUlT_T0_SG_SL_E_clIS7_S7_SB_S7_EEDaSZ_S10_SG_SL_EUlSZ_E_NS1_11comp_targetILNS1_3genE10ELNS1_11target_archE1201ELNS1_3gpuE5ELNS1_3repE0EEENS1_47radix_sort_onesweep_sort_config_static_selectorELNS0_4arch9wavefront6targetE1EEEvSG_
; %bb.0:
	.section	.rodata,"a",@progbits
	.p2align	6, 0x0
	.amdhsa_kernel _ZN7rocprim17ROCPRIM_400000_NS6detail17trampoline_kernelINS0_14default_configENS1_35radix_sort_onesweep_config_selectorIllEEZZNS1_29radix_sort_onesweep_iterationIS3_Lb0EPlS7_N6thrust23THRUST_200600_302600_NS10device_ptrIlEESB_jNS0_19identity_decomposerENS1_16block_id_wrapperIjLb0EEEEE10hipError_tT1_PNSt15iterator_traitsISG_E10value_typeET2_T3_PNSH_ISM_E10value_typeET4_T5_PSR_SS_PNS1_23onesweep_lookback_stateEbbT6_jjT7_P12ihipStream_tbENKUlT_T0_SG_SL_E_clIS7_S7_SB_S7_EEDaSZ_S10_SG_SL_EUlSZ_E_NS1_11comp_targetILNS1_3genE10ELNS1_11target_archE1201ELNS1_3gpuE5ELNS1_3repE0EEENS1_47radix_sort_onesweep_sort_config_static_selectorELNS0_4arch9wavefront6targetE1EEEvSG_
		.amdhsa_group_segment_fixed_size 0
		.amdhsa_private_segment_fixed_size 0
		.amdhsa_kernarg_size 88
		.amdhsa_user_sgpr_count 6
		.amdhsa_user_sgpr_private_segment_buffer 1
		.amdhsa_user_sgpr_dispatch_ptr 0
		.amdhsa_user_sgpr_queue_ptr 0
		.amdhsa_user_sgpr_kernarg_segment_ptr 1
		.amdhsa_user_sgpr_dispatch_id 0
		.amdhsa_user_sgpr_flat_scratch_init 0
		.amdhsa_user_sgpr_private_segment_size 0
		.amdhsa_uses_dynamic_stack 0
		.amdhsa_system_sgpr_private_segment_wavefront_offset 0
		.amdhsa_system_sgpr_workgroup_id_x 1
		.amdhsa_system_sgpr_workgroup_id_y 0
		.amdhsa_system_sgpr_workgroup_id_z 0
		.amdhsa_system_sgpr_workgroup_info 0
		.amdhsa_system_vgpr_workitem_id 0
		.amdhsa_next_free_vgpr 1
		.amdhsa_next_free_sgpr 0
		.amdhsa_reserve_vcc 0
		.amdhsa_reserve_flat_scratch 0
		.amdhsa_float_round_mode_32 0
		.amdhsa_float_round_mode_16_64 0
		.amdhsa_float_denorm_mode_32 3
		.amdhsa_float_denorm_mode_16_64 3
		.amdhsa_dx10_clamp 1
		.amdhsa_ieee_mode 1
		.amdhsa_fp16_overflow 0
		.amdhsa_exception_fp_ieee_invalid_op 0
		.amdhsa_exception_fp_denorm_src 0
		.amdhsa_exception_fp_ieee_div_zero 0
		.amdhsa_exception_fp_ieee_overflow 0
		.amdhsa_exception_fp_ieee_underflow 0
		.amdhsa_exception_fp_ieee_inexact 0
		.amdhsa_exception_int_div_zero 0
	.end_amdhsa_kernel
	.section	.text._ZN7rocprim17ROCPRIM_400000_NS6detail17trampoline_kernelINS0_14default_configENS1_35radix_sort_onesweep_config_selectorIllEEZZNS1_29radix_sort_onesweep_iterationIS3_Lb0EPlS7_N6thrust23THRUST_200600_302600_NS10device_ptrIlEESB_jNS0_19identity_decomposerENS1_16block_id_wrapperIjLb0EEEEE10hipError_tT1_PNSt15iterator_traitsISG_E10value_typeET2_T3_PNSH_ISM_E10value_typeET4_T5_PSR_SS_PNS1_23onesweep_lookback_stateEbbT6_jjT7_P12ihipStream_tbENKUlT_T0_SG_SL_E_clIS7_S7_SB_S7_EEDaSZ_S10_SG_SL_EUlSZ_E_NS1_11comp_targetILNS1_3genE10ELNS1_11target_archE1201ELNS1_3gpuE5ELNS1_3repE0EEENS1_47radix_sort_onesweep_sort_config_static_selectorELNS0_4arch9wavefront6targetE1EEEvSG_,"axG",@progbits,_ZN7rocprim17ROCPRIM_400000_NS6detail17trampoline_kernelINS0_14default_configENS1_35radix_sort_onesweep_config_selectorIllEEZZNS1_29radix_sort_onesweep_iterationIS3_Lb0EPlS7_N6thrust23THRUST_200600_302600_NS10device_ptrIlEESB_jNS0_19identity_decomposerENS1_16block_id_wrapperIjLb0EEEEE10hipError_tT1_PNSt15iterator_traitsISG_E10value_typeET2_T3_PNSH_ISM_E10value_typeET4_T5_PSR_SS_PNS1_23onesweep_lookback_stateEbbT6_jjT7_P12ihipStream_tbENKUlT_T0_SG_SL_E_clIS7_S7_SB_S7_EEDaSZ_S10_SG_SL_EUlSZ_E_NS1_11comp_targetILNS1_3genE10ELNS1_11target_archE1201ELNS1_3gpuE5ELNS1_3repE0EEENS1_47radix_sort_onesweep_sort_config_static_selectorELNS0_4arch9wavefront6targetE1EEEvSG_,comdat
.Lfunc_end1174:
	.size	_ZN7rocprim17ROCPRIM_400000_NS6detail17trampoline_kernelINS0_14default_configENS1_35radix_sort_onesweep_config_selectorIllEEZZNS1_29radix_sort_onesweep_iterationIS3_Lb0EPlS7_N6thrust23THRUST_200600_302600_NS10device_ptrIlEESB_jNS0_19identity_decomposerENS1_16block_id_wrapperIjLb0EEEEE10hipError_tT1_PNSt15iterator_traitsISG_E10value_typeET2_T3_PNSH_ISM_E10value_typeET4_T5_PSR_SS_PNS1_23onesweep_lookback_stateEbbT6_jjT7_P12ihipStream_tbENKUlT_T0_SG_SL_E_clIS7_S7_SB_S7_EEDaSZ_S10_SG_SL_EUlSZ_E_NS1_11comp_targetILNS1_3genE10ELNS1_11target_archE1201ELNS1_3gpuE5ELNS1_3repE0EEENS1_47radix_sort_onesweep_sort_config_static_selectorELNS0_4arch9wavefront6targetE1EEEvSG_, .Lfunc_end1174-_ZN7rocprim17ROCPRIM_400000_NS6detail17trampoline_kernelINS0_14default_configENS1_35radix_sort_onesweep_config_selectorIllEEZZNS1_29radix_sort_onesweep_iterationIS3_Lb0EPlS7_N6thrust23THRUST_200600_302600_NS10device_ptrIlEESB_jNS0_19identity_decomposerENS1_16block_id_wrapperIjLb0EEEEE10hipError_tT1_PNSt15iterator_traitsISG_E10value_typeET2_T3_PNSH_ISM_E10value_typeET4_T5_PSR_SS_PNS1_23onesweep_lookback_stateEbbT6_jjT7_P12ihipStream_tbENKUlT_T0_SG_SL_E_clIS7_S7_SB_S7_EEDaSZ_S10_SG_SL_EUlSZ_E_NS1_11comp_targetILNS1_3genE10ELNS1_11target_archE1201ELNS1_3gpuE5ELNS1_3repE0EEENS1_47radix_sort_onesweep_sort_config_static_selectorELNS0_4arch9wavefront6targetE1EEEvSG_
                                        ; -- End function
	.set _ZN7rocprim17ROCPRIM_400000_NS6detail17trampoline_kernelINS0_14default_configENS1_35radix_sort_onesweep_config_selectorIllEEZZNS1_29radix_sort_onesweep_iterationIS3_Lb0EPlS7_N6thrust23THRUST_200600_302600_NS10device_ptrIlEESB_jNS0_19identity_decomposerENS1_16block_id_wrapperIjLb0EEEEE10hipError_tT1_PNSt15iterator_traitsISG_E10value_typeET2_T3_PNSH_ISM_E10value_typeET4_T5_PSR_SS_PNS1_23onesweep_lookback_stateEbbT6_jjT7_P12ihipStream_tbENKUlT_T0_SG_SL_E_clIS7_S7_SB_S7_EEDaSZ_S10_SG_SL_EUlSZ_E_NS1_11comp_targetILNS1_3genE10ELNS1_11target_archE1201ELNS1_3gpuE5ELNS1_3repE0EEENS1_47radix_sort_onesweep_sort_config_static_selectorELNS0_4arch9wavefront6targetE1EEEvSG_.num_vgpr, 0
	.set _ZN7rocprim17ROCPRIM_400000_NS6detail17trampoline_kernelINS0_14default_configENS1_35radix_sort_onesweep_config_selectorIllEEZZNS1_29radix_sort_onesweep_iterationIS3_Lb0EPlS7_N6thrust23THRUST_200600_302600_NS10device_ptrIlEESB_jNS0_19identity_decomposerENS1_16block_id_wrapperIjLb0EEEEE10hipError_tT1_PNSt15iterator_traitsISG_E10value_typeET2_T3_PNSH_ISM_E10value_typeET4_T5_PSR_SS_PNS1_23onesweep_lookback_stateEbbT6_jjT7_P12ihipStream_tbENKUlT_T0_SG_SL_E_clIS7_S7_SB_S7_EEDaSZ_S10_SG_SL_EUlSZ_E_NS1_11comp_targetILNS1_3genE10ELNS1_11target_archE1201ELNS1_3gpuE5ELNS1_3repE0EEENS1_47radix_sort_onesweep_sort_config_static_selectorELNS0_4arch9wavefront6targetE1EEEvSG_.num_agpr, 0
	.set _ZN7rocprim17ROCPRIM_400000_NS6detail17trampoline_kernelINS0_14default_configENS1_35radix_sort_onesweep_config_selectorIllEEZZNS1_29radix_sort_onesweep_iterationIS3_Lb0EPlS7_N6thrust23THRUST_200600_302600_NS10device_ptrIlEESB_jNS0_19identity_decomposerENS1_16block_id_wrapperIjLb0EEEEE10hipError_tT1_PNSt15iterator_traitsISG_E10value_typeET2_T3_PNSH_ISM_E10value_typeET4_T5_PSR_SS_PNS1_23onesweep_lookback_stateEbbT6_jjT7_P12ihipStream_tbENKUlT_T0_SG_SL_E_clIS7_S7_SB_S7_EEDaSZ_S10_SG_SL_EUlSZ_E_NS1_11comp_targetILNS1_3genE10ELNS1_11target_archE1201ELNS1_3gpuE5ELNS1_3repE0EEENS1_47radix_sort_onesweep_sort_config_static_selectorELNS0_4arch9wavefront6targetE1EEEvSG_.numbered_sgpr, 0
	.set _ZN7rocprim17ROCPRIM_400000_NS6detail17trampoline_kernelINS0_14default_configENS1_35radix_sort_onesweep_config_selectorIllEEZZNS1_29radix_sort_onesweep_iterationIS3_Lb0EPlS7_N6thrust23THRUST_200600_302600_NS10device_ptrIlEESB_jNS0_19identity_decomposerENS1_16block_id_wrapperIjLb0EEEEE10hipError_tT1_PNSt15iterator_traitsISG_E10value_typeET2_T3_PNSH_ISM_E10value_typeET4_T5_PSR_SS_PNS1_23onesweep_lookback_stateEbbT6_jjT7_P12ihipStream_tbENKUlT_T0_SG_SL_E_clIS7_S7_SB_S7_EEDaSZ_S10_SG_SL_EUlSZ_E_NS1_11comp_targetILNS1_3genE10ELNS1_11target_archE1201ELNS1_3gpuE5ELNS1_3repE0EEENS1_47radix_sort_onesweep_sort_config_static_selectorELNS0_4arch9wavefront6targetE1EEEvSG_.num_named_barrier, 0
	.set _ZN7rocprim17ROCPRIM_400000_NS6detail17trampoline_kernelINS0_14default_configENS1_35radix_sort_onesweep_config_selectorIllEEZZNS1_29radix_sort_onesweep_iterationIS3_Lb0EPlS7_N6thrust23THRUST_200600_302600_NS10device_ptrIlEESB_jNS0_19identity_decomposerENS1_16block_id_wrapperIjLb0EEEEE10hipError_tT1_PNSt15iterator_traitsISG_E10value_typeET2_T3_PNSH_ISM_E10value_typeET4_T5_PSR_SS_PNS1_23onesweep_lookback_stateEbbT6_jjT7_P12ihipStream_tbENKUlT_T0_SG_SL_E_clIS7_S7_SB_S7_EEDaSZ_S10_SG_SL_EUlSZ_E_NS1_11comp_targetILNS1_3genE10ELNS1_11target_archE1201ELNS1_3gpuE5ELNS1_3repE0EEENS1_47radix_sort_onesweep_sort_config_static_selectorELNS0_4arch9wavefront6targetE1EEEvSG_.private_seg_size, 0
	.set _ZN7rocprim17ROCPRIM_400000_NS6detail17trampoline_kernelINS0_14default_configENS1_35radix_sort_onesweep_config_selectorIllEEZZNS1_29radix_sort_onesweep_iterationIS3_Lb0EPlS7_N6thrust23THRUST_200600_302600_NS10device_ptrIlEESB_jNS0_19identity_decomposerENS1_16block_id_wrapperIjLb0EEEEE10hipError_tT1_PNSt15iterator_traitsISG_E10value_typeET2_T3_PNSH_ISM_E10value_typeET4_T5_PSR_SS_PNS1_23onesweep_lookback_stateEbbT6_jjT7_P12ihipStream_tbENKUlT_T0_SG_SL_E_clIS7_S7_SB_S7_EEDaSZ_S10_SG_SL_EUlSZ_E_NS1_11comp_targetILNS1_3genE10ELNS1_11target_archE1201ELNS1_3gpuE5ELNS1_3repE0EEENS1_47radix_sort_onesweep_sort_config_static_selectorELNS0_4arch9wavefront6targetE1EEEvSG_.uses_vcc, 0
	.set _ZN7rocprim17ROCPRIM_400000_NS6detail17trampoline_kernelINS0_14default_configENS1_35radix_sort_onesweep_config_selectorIllEEZZNS1_29radix_sort_onesweep_iterationIS3_Lb0EPlS7_N6thrust23THRUST_200600_302600_NS10device_ptrIlEESB_jNS0_19identity_decomposerENS1_16block_id_wrapperIjLb0EEEEE10hipError_tT1_PNSt15iterator_traitsISG_E10value_typeET2_T3_PNSH_ISM_E10value_typeET4_T5_PSR_SS_PNS1_23onesweep_lookback_stateEbbT6_jjT7_P12ihipStream_tbENKUlT_T0_SG_SL_E_clIS7_S7_SB_S7_EEDaSZ_S10_SG_SL_EUlSZ_E_NS1_11comp_targetILNS1_3genE10ELNS1_11target_archE1201ELNS1_3gpuE5ELNS1_3repE0EEENS1_47radix_sort_onesweep_sort_config_static_selectorELNS0_4arch9wavefront6targetE1EEEvSG_.uses_flat_scratch, 0
	.set _ZN7rocprim17ROCPRIM_400000_NS6detail17trampoline_kernelINS0_14default_configENS1_35radix_sort_onesweep_config_selectorIllEEZZNS1_29radix_sort_onesweep_iterationIS3_Lb0EPlS7_N6thrust23THRUST_200600_302600_NS10device_ptrIlEESB_jNS0_19identity_decomposerENS1_16block_id_wrapperIjLb0EEEEE10hipError_tT1_PNSt15iterator_traitsISG_E10value_typeET2_T3_PNSH_ISM_E10value_typeET4_T5_PSR_SS_PNS1_23onesweep_lookback_stateEbbT6_jjT7_P12ihipStream_tbENKUlT_T0_SG_SL_E_clIS7_S7_SB_S7_EEDaSZ_S10_SG_SL_EUlSZ_E_NS1_11comp_targetILNS1_3genE10ELNS1_11target_archE1201ELNS1_3gpuE5ELNS1_3repE0EEENS1_47radix_sort_onesweep_sort_config_static_selectorELNS0_4arch9wavefront6targetE1EEEvSG_.has_dyn_sized_stack, 0
	.set _ZN7rocprim17ROCPRIM_400000_NS6detail17trampoline_kernelINS0_14default_configENS1_35radix_sort_onesweep_config_selectorIllEEZZNS1_29radix_sort_onesweep_iterationIS3_Lb0EPlS7_N6thrust23THRUST_200600_302600_NS10device_ptrIlEESB_jNS0_19identity_decomposerENS1_16block_id_wrapperIjLb0EEEEE10hipError_tT1_PNSt15iterator_traitsISG_E10value_typeET2_T3_PNSH_ISM_E10value_typeET4_T5_PSR_SS_PNS1_23onesweep_lookback_stateEbbT6_jjT7_P12ihipStream_tbENKUlT_T0_SG_SL_E_clIS7_S7_SB_S7_EEDaSZ_S10_SG_SL_EUlSZ_E_NS1_11comp_targetILNS1_3genE10ELNS1_11target_archE1201ELNS1_3gpuE5ELNS1_3repE0EEENS1_47radix_sort_onesweep_sort_config_static_selectorELNS0_4arch9wavefront6targetE1EEEvSG_.has_recursion, 0
	.set _ZN7rocprim17ROCPRIM_400000_NS6detail17trampoline_kernelINS0_14default_configENS1_35radix_sort_onesweep_config_selectorIllEEZZNS1_29radix_sort_onesweep_iterationIS3_Lb0EPlS7_N6thrust23THRUST_200600_302600_NS10device_ptrIlEESB_jNS0_19identity_decomposerENS1_16block_id_wrapperIjLb0EEEEE10hipError_tT1_PNSt15iterator_traitsISG_E10value_typeET2_T3_PNSH_ISM_E10value_typeET4_T5_PSR_SS_PNS1_23onesweep_lookback_stateEbbT6_jjT7_P12ihipStream_tbENKUlT_T0_SG_SL_E_clIS7_S7_SB_S7_EEDaSZ_S10_SG_SL_EUlSZ_E_NS1_11comp_targetILNS1_3genE10ELNS1_11target_archE1201ELNS1_3gpuE5ELNS1_3repE0EEENS1_47radix_sort_onesweep_sort_config_static_selectorELNS0_4arch9wavefront6targetE1EEEvSG_.has_indirect_call, 0
	.section	.AMDGPU.csdata,"",@progbits
; Kernel info:
; codeLenInByte = 0
; TotalNumSgprs: 4
; NumVgprs: 0
; ScratchSize: 0
; MemoryBound: 0
; FloatMode: 240
; IeeeMode: 1
; LDSByteSize: 0 bytes/workgroup (compile time only)
; SGPRBlocks: 0
; VGPRBlocks: 0
; NumSGPRsForWavesPerEU: 4
; NumVGPRsForWavesPerEU: 1
; Occupancy: 10
; WaveLimiterHint : 0
; COMPUTE_PGM_RSRC2:SCRATCH_EN: 0
; COMPUTE_PGM_RSRC2:USER_SGPR: 6
; COMPUTE_PGM_RSRC2:TRAP_HANDLER: 0
; COMPUTE_PGM_RSRC2:TGID_X_EN: 1
; COMPUTE_PGM_RSRC2:TGID_Y_EN: 0
; COMPUTE_PGM_RSRC2:TGID_Z_EN: 0
; COMPUTE_PGM_RSRC2:TIDIG_COMP_CNT: 0
	.section	.text._ZN7rocprim17ROCPRIM_400000_NS6detail17trampoline_kernelINS0_14default_configENS1_35radix_sort_onesweep_config_selectorIllEEZZNS1_29radix_sort_onesweep_iterationIS3_Lb0EPlS7_N6thrust23THRUST_200600_302600_NS10device_ptrIlEESB_jNS0_19identity_decomposerENS1_16block_id_wrapperIjLb0EEEEE10hipError_tT1_PNSt15iterator_traitsISG_E10value_typeET2_T3_PNSH_ISM_E10value_typeET4_T5_PSR_SS_PNS1_23onesweep_lookback_stateEbbT6_jjT7_P12ihipStream_tbENKUlT_T0_SG_SL_E_clIS7_S7_SB_S7_EEDaSZ_S10_SG_SL_EUlSZ_E_NS1_11comp_targetILNS1_3genE9ELNS1_11target_archE1100ELNS1_3gpuE3ELNS1_3repE0EEENS1_47radix_sort_onesweep_sort_config_static_selectorELNS0_4arch9wavefront6targetE1EEEvSG_,"axG",@progbits,_ZN7rocprim17ROCPRIM_400000_NS6detail17trampoline_kernelINS0_14default_configENS1_35radix_sort_onesweep_config_selectorIllEEZZNS1_29radix_sort_onesweep_iterationIS3_Lb0EPlS7_N6thrust23THRUST_200600_302600_NS10device_ptrIlEESB_jNS0_19identity_decomposerENS1_16block_id_wrapperIjLb0EEEEE10hipError_tT1_PNSt15iterator_traitsISG_E10value_typeET2_T3_PNSH_ISM_E10value_typeET4_T5_PSR_SS_PNS1_23onesweep_lookback_stateEbbT6_jjT7_P12ihipStream_tbENKUlT_T0_SG_SL_E_clIS7_S7_SB_S7_EEDaSZ_S10_SG_SL_EUlSZ_E_NS1_11comp_targetILNS1_3genE9ELNS1_11target_archE1100ELNS1_3gpuE3ELNS1_3repE0EEENS1_47radix_sort_onesweep_sort_config_static_selectorELNS0_4arch9wavefront6targetE1EEEvSG_,comdat
	.protected	_ZN7rocprim17ROCPRIM_400000_NS6detail17trampoline_kernelINS0_14default_configENS1_35radix_sort_onesweep_config_selectorIllEEZZNS1_29radix_sort_onesweep_iterationIS3_Lb0EPlS7_N6thrust23THRUST_200600_302600_NS10device_ptrIlEESB_jNS0_19identity_decomposerENS1_16block_id_wrapperIjLb0EEEEE10hipError_tT1_PNSt15iterator_traitsISG_E10value_typeET2_T3_PNSH_ISM_E10value_typeET4_T5_PSR_SS_PNS1_23onesweep_lookback_stateEbbT6_jjT7_P12ihipStream_tbENKUlT_T0_SG_SL_E_clIS7_S7_SB_S7_EEDaSZ_S10_SG_SL_EUlSZ_E_NS1_11comp_targetILNS1_3genE9ELNS1_11target_archE1100ELNS1_3gpuE3ELNS1_3repE0EEENS1_47radix_sort_onesweep_sort_config_static_selectorELNS0_4arch9wavefront6targetE1EEEvSG_ ; -- Begin function _ZN7rocprim17ROCPRIM_400000_NS6detail17trampoline_kernelINS0_14default_configENS1_35radix_sort_onesweep_config_selectorIllEEZZNS1_29radix_sort_onesweep_iterationIS3_Lb0EPlS7_N6thrust23THRUST_200600_302600_NS10device_ptrIlEESB_jNS0_19identity_decomposerENS1_16block_id_wrapperIjLb0EEEEE10hipError_tT1_PNSt15iterator_traitsISG_E10value_typeET2_T3_PNSH_ISM_E10value_typeET4_T5_PSR_SS_PNS1_23onesweep_lookback_stateEbbT6_jjT7_P12ihipStream_tbENKUlT_T0_SG_SL_E_clIS7_S7_SB_S7_EEDaSZ_S10_SG_SL_EUlSZ_E_NS1_11comp_targetILNS1_3genE9ELNS1_11target_archE1100ELNS1_3gpuE3ELNS1_3repE0EEENS1_47radix_sort_onesweep_sort_config_static_selectorELNS0_4arch9wavefront6targetE1EEEvSG_
	.globl	_ZN7rocprim17ROCPRIM_400000_NS6detail17trampoline_kernelINS0_14default_configENS1_35radix_sort_onesweep_config_selectorIllEEZZNS1_29radix_sort_onesweep_iterationIS3_Lb0EPlS7_N6thrust23THRUST_200600_302600_NS10device_ptrIlEESB_jNS0_19identity_decomposerENS1_16block_id_wrapperIjLb0EEEEE10hipError_tT1_PNSt15iterator_traitsISG_E10value_typeET2_T3_PNSH_ISM_E10value_typeET4_T5_PSR_SS_PNS1_23onesweep_lookback_stateEbbT6_jjT7_P12ihipStream_tbENKUlT_T0_SG_SL_E_clIS7_S7_SB_S7_EEDaSZ_S10_SG_SL_EUlSZ_E_NS1_11comp_targetILNS1_3genE9ELNS1_11target_archE1100ELNS1_3gpuE3ELNS1_3repE0EEENS1_47radix_sort_onesweep_sort_config_static_selectorELNS0_4arch9wavefront6targetE1EEEvSG_
	.p2align	8
	.type	_ZN7rocprim17ROCPRIM_400000_NS6detail17trampoline_kernelINS0_14default_configENS1_35radix_sort_onesweep_config_selectorIllEEZZNS1_29radix_sort_onesweep_iterationIS3_Lb0EPlS7_N6thrust23THRUST_200600_302600_NS10device_ptrIlEESB_jNS0_19identity_decomposerENS1_16block_id_wrapperIjLb0EEEEE10hipError_tT1_PNSt15iterator_traitsISG_E10value_typeET2_T3_PNSH_ISM_E10value_typeET4_T5_PSR_SS_PNS1_23onesweep_lookback_stateEbbT6_jjT7_P12ihipStream_tbENKUlT_T0_SG_SL_E_clIS7_S7_SB_S7_EEDaSZ_S10_SG_SL_EUlSZ_E_NS1_11comp_targetILNS1_3genE9ELNS1_11target_archE1100ELNS1_3gpuE3ELNS1_3repE0EEENS1_47radix_sort_onesweep_sort_config_static_selectorELNS0_4arch9wavefront6targetE1EEEvSG_,@function
_ZN7rocprim17ROCPRIM_400000_NS6detail17trampoline_kernelINS0_14default_configENS1_35radix_sort_onesweep_config_selectorIllEEZZNS1_29radix_sort_onesweep_iterationIS3_Lb0EPlS7_N6thrust23THRUST_200600_302600_NS10device_ptrIlEESB_jNS0_19identity_decomposerENS1_16block_id_wrapperIjLb0EEEEE10hipError_tT1_PNSt15iterator_traitsISG_E10value_typeET2_T3_PNSH_ISM_E10value_typeET4_T5_PSR_SS_PNS1_23onesweep_lookback_stateEbbT6_jjT7_P12ihipStream_tbENKUlT_T0_SG_SL_E_clIS7_S7_SB_S7_EEDaSZ_S10_SG_SL_EUlSZ_E_NS1_11comp_targetILNS1_3genE9ELNS1_11target_archE1100ELNS1_3gpuE3ELNS1_3repE0EEENS1_47radix_sort_onesweep_sort_config_static_selectorELNS0_4arch9wavefront6targetE1EEEvSG_: ; @_ZN7rocprim17ROCPRIM_400000_NS6detail17trampoline_kernelINS0_14default_configENS1_35radix_sort_onesweep_config_selectorIllEEZZNS1_29radix_sort_onesweep_iterationIS3_Lb0EPlS7_N6thrust23THRUST_200600_302600_NS10device_ptrIlEESB_jNS0_19identity_decomposerENS1_16block_id_wrapperIjLb0EEEEE10hipError_tT1_PNSt15iterator_traitsISG_E10value_typeET2_T3_PNSH_ISM_E10value_typeET4_T5_PSR_SS_PNS1_23onesweep_lookback_stateEbbT6_jjT7_P12ihipStream_tbENKUlT_T0_SG_SL_E_clIS7_S7_SB_S7_EEDaSZ_S10_SG_SL_EUlSZ_E_NS1_11comp_targetILNS1_3genE9ELNS1_11target_archE1100ELNS1_3gpuE3ELNS1_3repE0EEENS1_47radix_sort_onesweep_sort_config_static_selectorELNS0_4arch9wavefront6targetE1EEEvSG_
; %bb.0:
	.section	.rodata,"a",@progbits
	.p2align	6, 0x0
	.amdhsa_kernel _ZN7rocprim17ROCPRIM_400000_NS6detail17trampoline_kernelINS0_14default_configENS1_35radix_sort_onesweep_config_selectorIllEEZZNS1_29radix_sort_onesweep_iterationIS3_Lb0EPlS7_N6thrust23THRUST_200600_302600_NS10device_ptrIlEESB_jNS0_19identity_decomposerENS1_16block_id_wrapperIjLb0EEEEE10hipError_tT1_PNSt15iterator_traitsISG_E10value_typeET2_T3_PNSH_ISM_E10value_typeET4_T5_PSR_SS_PNS1_23onesweep_lookback_stateEbbT6_jjT7_P12ihipStream_tbENKUlT_T0_SG_SL_E_clIS7_S7_SB_S7_EEDaSZ_S10_SG_SL_EUlSZ_E_NS1_11comp_targetILNS1_3genE9ELNS1_11target_archE1100ELNS1_3gpuE3ELNS1_3repE0EEENS1_47radix_sort_onesweep_sort_config_static_selectorELNS0_4arch9wavefront6targetE1EEEvSG_
		.amdhsa_group_segment_fixed_size 0
		.amdhsa_private_segment_fixed_size 0
		.amdhsa_kernarg_size 88
		.amdhsa_user_sgpr_count 6
		.amdhsa_user_sgpr_private_segment_buffer 1
		.amdhsa_user_sgpr_dispatch_ptr 0
		.amdhsa_user_sgpr_queue_ptr 0
		.amdhsa_user_sgpr_kernarg_segment_ptr 1
		.amdhsa_user_sgpr_dispatch_id 0
		.amdhsa_user_sgpr_flat_scratch_init 0
		.amdhsa_user_sgpr_private_segment_size 0
		.amdhsa_uses_dynamic_stack 0
		.amdhsa_system_sgpr_private_segment_wavefront_offset 0
		.amdhsa_system_sgpr_workgroup_id_x 1
		.amdhsa_system_sgpr_workgroup_id_y 0
		.amdhsa_system_sgpr_workgroup_id_z 0
		.amdhsa_system_sgpr_workgroup_info 0
		.amdhsa_system_vgpr_workitem_id 0
		.amdhsa_next_free_vgpr 1
		.amdhsa_next_free_sgpr 0
		.amdhsa_reserve_vcc 0
		.amdhsa_reserve_flat_scratch 0
		.amdhsa_float_round_mode_32 0
		.amdhsa_float_round_mode_16_64 0
		.amdhsa_float_denorm_mode_32 3
		.amdhsa_float_denorm_mode_16_64 3
		.amdhsa_dx10_clamp 1
		.amdhsa_ieee_mode 1
		.amdhsa_fp16_overflow 0
		.amdhsa_exception_fp_ieee_invalid_op 0
		.amdhsa_exception_fp_denorm_src 0
		.amdhsa_exception_fp_ieee_div_zero 0
		.amdhsa_exception_fp_ieee_overflow 0
		.amdhsa_exception_fp_ieee_underflow 0
		.amdhsa_exception_fp_ieee_inexact 0
		.amdhsa_exception_int_div_zero 0
	.end_amdhsa_kernel
	.section	.text._ZN7rocprim17ROCPRIM_400000_NS6detail17trampoline_kernelINS0_14default_configENS1_35radix_sort_onesweep_config_selectorIllEEZZNS1_29radix_sort_onesweep_iterationIS3_Lb0EPlS7_N6thrust23THRUST_200600_302600_NS10device_ptrIlEESB_jNS0_19identity_decomposerENS1_16block_id_wrapperIjLb0EEEEE10hipError_tT1_PNSt15iterator_traitsISG_E10value_typeET2_T3_PNSH_ISM_E10value_typeET4_T5_PSR_SS_PNS1_23onesweep_lookback_stateEbbT6_jjT7_P12ihipStream_tbENKUlT_T0_SG_SL_E_clIS7_S7_SB_S7_EEDaSZ_S10_SG_SL_EUlSZ_E_NS1_11comp_targetILNS1_3genE9ELNS1_11target_archE1100ELNS1_3gpuE3ELNS1_3repE0EEENS1_47radix_sort_onesweep_sort_config_static_selectorELNS0_4arch9wavefront6targetE1EEEvSG_,"axG",@progbits,_ZN7rocprim17ROCPRIM_400000_NS6detail17trampoline_kernelINS0_14default_configENS1_35radix_sort_onesweep_config_selectorIllEEZZNS1_29radix_sort_onesweep_iterationIS3_Lb0EPlS7_N6thrust23THRUST_200600_302600_NS10device_ptrIlEESB_jNS0_19identity_decomposerENS1_16block_id_wrapperIjLb0EEEEE10hipError_tT1_PNSt15iterator_traitsISG_E10value_typeET2_T3_PNSH_ISM_E10value_typeET4_T5_PSR_SS_PNS1_23onesweep_lookback_stateEbbT6_jjT7_P12ihipStream_tbENKUlT_T0_SG_SL_E_clIS7_S7_SB_S7_EEDaSZ_S10_SG_SL_EUlSZ_E_NS1_11comp_targetILNS1_3genE9ELNS1_11target_archE1100ELNS1_3gpuE3ELNS1_3repE0EEENS1_47radix_sort_onesweep_sort_config_static_selectorELNS0_4arch9wavefront6targetE1EEEvSG_,comdat
.Lfunc_end1175:
	.size	_ZN7rocprim17ROCPRIM_400000_NS6detail17trampoline_kernelINS0_14default_configENS1_35radix_sort_onesweep_config_selectorIllEEZZNS1_29radix_sort_onesweep_iterationIS3_Lb0EPlS7_N6thrust23THRUST_200600_302600_NS10device_ptrIlEESB_jNS0_19identity_decomposerENS1_16block_id_wrapperIjLb0EEEEE10hipError_tT1_PNSt15iterator_traitsISG_E10value_typeET2_T3_PNSH_ISM_E10value_typeET4_T5_PSR_SS_PNS1_23onesweep_lookback_stateEbbT6_jjT7_P12ihipStream_tbENKUlT_T0_SG_SL_E_clIS7_S7_SB_S7_EEDaSZ_S10_SG_SL_EUlSZ_E_NS1_11comp_targetILNS1_3genE9ELNS1_11target_archE1100ELNS1_3gpuE3ELNS1_3repE0EEENS1_47radix_sort_onesweep_sort_config_static_selectorELNS0_4arch9wavefront6targetE1EEEvSG_, .Lfunc_end1175-_ZN7rocprim17ROCPRIM_400000_NS6detail17trampoline_kernelINS0_14default_configENS1_35radix_sort_onesweep_config_selectorIllEEZZNS1_29radix_sort_onesweep_iterationIS3_Lb0EPlS7_N6thrust23THRUST_200600_302600_NS10device_ptrIlEESB_jNS0_19identity_decomposerENS1_16block_id_wrapperIjLb0EEEEE10hipError_tT1_PNSt15iterator_traitsISG_E10value_typeET2_T3_PNSH_ISM_E10value_typeET4_T5_PSR_SS_PNS1_23onesweep_lookback_stateEbbT6_jjT7_P12ihipStream_tbENKUlT_T0_SG_SL_E_clIS7_S7_SB_S7_EEDaSZ_S10_SG_SL_EUlSZ_E_NS1_11comp_targetILNS1_3genE9ELNS1_11target_archE1100ELNS1_3gpuE3ELNS1_3repE0EEENS1_47radix_sort_onesweep_sort_config_static_selectorELNS0_4arch9wavefront6targetE1EEEvSG_
                                        ; -- End function
	.set _ZN7rocprim17ROCPRIM_400000_NS6detail17trampoline_kernelINS0_14default_configENS1_35radix_sort_onesweep_config_selectorIllEEZZNS1_29radix_sort_onesweep_iterationIS3_Lb0EPlS7_N6thrust23THRUST_200600_302600_NS10device_ptrIlEESB_jNS0_19identity_decomposerENS1_16block_id_wrapperIjLb0EEEEE10hipError_tT1_PNSt15iterator_traitsISG_E10value_typeET2_T3_PNSH_ISM_E10value_typeET4_T5_PSR_SS_PNS1_23onesweep_lookback_stateEbbT6_jjT7_P12ihipStream_tbENKUlT_T0_SG_SL_E_clIS7_S7_SB_S7_EEDaSZ_S10_SG_SL_EUlSZ_E_NS1_11comp_targetILNS1_3genE9ELNS1_11target_archE1100ELNS1_3gpuE3ELNS1_3repE0EEENS1_47radix_sort_onesweep_sort_config_static_selectorELNS0_4arch9wavefront6targetE1EEEvSG_.num_vgpr, 0
	.set _ZN7rocprim17ROCPRIM_400000_NS6detail17trampoline_kernelINS0_14default_configENS1_35radix_sort_onesweep_config_selectorIllEEZZNS1_29radix_sort_onesweep_iterationIS3_Lb0EPlS7_N6thrust23THRUST_200600_302600_NS10device_ptrIlEESB_jNS0_19identity_decomposerENS1_16block_id_wrapperIjLb0EEEEE10hipError_tT1_PNSt15iterator_traitsISG_E10value_typeET2_T3_PNSH_ISM_E10value_typeET4_T5_PSR_SS_PNS1_23onesweep_lookback_stateEbbT6_jjT7_P12ihipStream_tbENKUlT_T0_SG_SL_E_clIS7_S7_SB_S7_EEDaSZ_S10_SG_SL_EUlSZ_E_NS1_11comp_targetILNS1_3genE9ELNS1_11target_archE1100ELNS1_3gpuE3ELNS1_3repE0EEENS1_47radix_sort_onesweep_sort_config_static_selectorELNS0_4arch9wavefront6targetE1EEEvSG_.num_agpr, 0
	.set _ZN7rocprim17ROCPRIM_400000_NS6detail17trampoline_kernelINS0_14default_configENS1_35radix_sort_onesweep_config_selectorIllEEZZNS1_29radix_sort_onesweep_iterationIS3_Lb0EPlS7_N6thrust23THRUST_200600_302600_NS10device_ptrIlEESB_jNS0_19identity_decomposerENS1_16block_id_wrapperIjLb0EEEEE10hipError_tT1_PNSt15iterator_traitsISG_E10value_typeET2_T3_PNSH_ISM_E10value_typeET4_T5_PSR_SS_PNS1_23onesweep_lookback_stateEbbT6_jjT7_P12ihipStream_tbENKUlT_T0_SG_SL_E_clIS7_S7_SB_S7_EEDaSZ_S10_SG_SL_EUlSZ_E_NS1_11comp_targetILNS1_3genE9ELNS1_11target_archE1100ELNS1_3gpuE3ELNS1_3repE0EEENS1_47radix_sort_onesweep_sort_config_static_selectorELNS0_4arch9wavefront6targetE1EEEvSG_.numbered_sgpr, 0
	.set _ZN7rocprim17ROCPRIM_400000_NS6detail17trampoline_kernelINS0_14default_configENS1_35radix_sort_onesweep_config_selectorIllEEZZNS1_29radix_sort_onesweep_iterationIS3_Lb0EPlS7_N6thrust23THRUST_200600_302600_NS10device_ptrIlEESB_jNS0_19identity_decomposerENS1_16block_id_wrapperIjLb0EEEEE10hipError_tT1_PNSt15iterator_traitsISG_E10value_typeET2_T3_PNSH_ISM_E10value_typeET4_T5_PSR_SS_PNS1_23onesweep_lookback_stateEbbT6_jjT7_P12ihipStream_tbENKUlT_T0_SG_SL_E_clIS7_S7_SB_S7_EEDaSZ_S10_SG_SL_EUlSZ_E_NS1_11comp_targetILNS1_3genE9ELNS1_11target_archE1100ELNS1_3gpuE3ELNS1_3repE0EEENS1_47radix_sort_onesweep_sort_config_static_selectorELNS0_4arch9wavefront6targetE1EEEvSG_.num_named_barrier, 0
	.set _ZN7rocprim17ROCPRIM_400000_NS6detail17trampoline_kernelINS0_14default_configENS1_35radix_sort_onesweep_config_selectorIllEEZZNS1_29radix_sort_onesweep_iterationIS3_Lb0EPlS7_N6thrust23THRUST_200600_302600_NS10device_ptrIlEESB_jNS0_19identity_decomposerENS1_16block_id_wrapperIjLb0EEEEE10hipError_tT1_PNSt15iterator_traitsISG_E10value_typeET2_T3_PNSH_ISM_E10value_typeET4_T5_PSR_SS_PNS1_23onesweep_lookback_stateEbbT6_jjT7_P12ihipStream_tbENKUlT_T0_SG_SL_E_clIS7_S7_SB_S7_EEDaSZ_S10_SG_SL_EUlSZ_E_NS1_11comp_targetILNS1_3genE9ELNS1_11target_archE1100ELNS1_3gpuE3ELNS1_3repE0EEENS1_47radix_sort_onesweep_sort_config_static_selectorELNS0_4arch9wavefront6targetE1EEEvSG_.private_seg_size, 0
	.set _ZN7rocprim17ROCPRIM_400000_NS6detail17trampoline_kernelINS0_14default_configENS1_35radix_sort_onesweep_config_selectorIllEEZZNS1_29radix_sort_onesweep_iterationIS3_Lb0EPlS7_N6thrust23THRUST_200600_302600_NS10device_ptrIlEESB_jNS0_19identity_decomposerENS1_16block_id_wrapperIjLb0EEEEE10hipError_tT1_PNSt15iterator_traitsISG_E10value_typeET2_T3_PNSH_ISM_E10value_typeET4_T5_PSR_SS_PNS1_23onesweep_lookback_stateEbbT6_jjT7_P12ihipStream_tbENKUlT_T0_SG_SL_E_clIS7_S7_SB_S7_EEDaSZ_S10_SG_SL_EUlSZ_E_NS1_11comp_targetILNS1_3genE9ELNS1_11target_archE1100ELNS1_3gpuE3ELNS1_3repE0EEENS1_47radix_sort_onesweep_sort_config_static_selectorELNS0_4arch9wavefront6targetE1EEEvSG_.uses_vcc, 0
	.set _ZN7rocprim17ROCPRIM_400000_NS6detail17trampoline_kernelINS0_14default_configENS1_35radix_sort_onesweep_config_selectorIllEEZZNS1_29radix_sort_onesweep_iterationIS3_Lb0EPlS7_N6thrust23THRUST_200600_302600_NS10device_ptrIlEESB_jNS0_19identity_decomposerENS1_16block_id_wrapperIjLb0EEEEE10hipError_tT1_PNSt15iterator_traitsISG_E10value_typeET2_T3_PNSH_ISM_E10value_typeET4_T5_PSR_SS_PNS1_23onesweep_lookback_stateEbbT6_jjT7_P12ihipStream_tbENKUlT_T0_SG_SL_E_clIS7_S7_SB_S7_EEDaSZ_S10_SG_SL_EUlSZ_E_NS1_11comp_targetILNS1_3genE9ELNS1_11target_archE1100ELNS1_3gpuE3ELNS1_3repE0EEENS1_47radix_sort_onesweep_sort_config_static_selectorELNS0_4arch9wavefront6targetE1EEEvSG_.uses_flat_scratch, 0
	.set _ZN7rocprim17ROCPRIM_400000_NS6detail17trampoline_kernelINS0_14default_configENS1_35radix_sort_onesweep_config_selectorIllEEZZNS1_29radix_sort_onesweep_iterationIS3_Lb0EPlS7_N6thrust23THRUST_200600_302600_NS10device_ptrIlEESB_jNS0_19identity_decomposerENS1_16block_id_wrapperIjLb0EEEEE10hipError_tT1_PNSt15iterator_traitsISG_E10value_typeET2_T3_PNSH_ISM_E10value_typeET4_T5_PSR_SS_PNS1_23onesweep_lookback_stateEbbT6_jjT7_P12ihipStream_tbENKUlT_T0_SG_SL_E_clIS7_S7_SB_S7_EEDaSZ_S10_SG_SL_EUlSZ_E_NS1_11comp_targetILNS1_3genE9ELNS1_11target_archE1100ELNS1_3gpuE3ELNS1_3repE0EEENS1_47radix_sort_onesweep_sort_config_static_selectorELNS0_4arch9wavefront6targetE1EEEvSG_.has_dyn_sized_stack, 0
	.set _ZN7rocprim17ROCPRIM_400000_NS6detail17trampoline_kernelINS0_14default_configENS1_35radix_sort_onesweep_config_selectorIllEEZZNS1_29radix_sort_onesweep_iterationIS3_Lb0EPlS7_N6thrust23THRUST_200600_302600_NS10device_ptrIlEESB_jNS0_19identity_decomposerENS1_16block_id_wrapperIjLb0EEEEE10hipError_tT1_PNSt15iterator_traitsISG_E10value_typeET2_T3_PNSH_ISM_E10value_typeET4_T5_PSR_SS_PNS1_23onesweep_lookback_stateEbbT6_jjT7_P12ihipStream_tbENKUlT_T0_SG_SL_E_clIS7_S7_SB_S7_EEDaSZ_S10_SG_SL_EUlSZ_E_NS1_11comp_targetILNS1_3genE9ELNS1_11target_archE1100ELNS1_3gpuE3ELNS1_3repE0EEENS1_47radix_sort_onesweep_sort_config_static_selectorELNS0_4arch9wavefront6targetE1EEEvSG_.has_recursion, 0
	.set _ZN7rocprim17ROCPRIM_400000_NS6detail17trampoline_kernelINS0_14default_configENS1_35radix_sort_onesweep_config_selectorIllEEZZNS1_29radix_sort_onesweep_iterationIS3_Lb0EPlS7_N6thrust23THRUST_200600_302600_NS10device_ptrIlEESB_jNS0_19identity_decomposerENS1_16block_id_wrapperIjLb0EEEEE10hipError_tT1_PNSt15iterator_traitsISG_E10value_typeET2_T3_PNSH_ISM_E10value_typeET4_T5_PSR_SS_PNS1_23onesweep_lookback_stateEbbT6_jjT7_P12ihipStream_tbENKUlT_T0_SG_SL_E_clIS7_S7_SB_S7_EEDaSZ_S10_SG_SL_EUlSZ_E_NS1_11comp_targetILNS1_3genE9ELNS1_11target_archE1100ELNS1_3gpuE3ELNS1_3repE0EEENS1_47radix_sort_onesweep_sort_config_static_selectorELNS0_4arch9wavefront6targetE1EEEvSG_.has_indirect_call, 0
	.section	.AMDGPU.csdata,"",@progbits
; Kernel info:
; codeLenInByte = 0
; TotalNumSgprs: 4
; NumVgprs: 0
; ScratchSize: 0
; MemoryBound: 0
; FloatMode: 240
; IeeeMode: 1
; LDSByteSize: 0 bytes/workgroup (compile time only)
; SGPRBlocks: 0
; VGPRBlocks: 0
; NumSGPRsForWavesPerEU: 4
; NumVGPRsForWavesPerEU: 1
; Occupancy: 10
; WaveLimiterHint : 0
; COMPUTE_PGM_RSRC2:SCRATCH_EN: 0
; COMPUTE_PGM_RSRC2:USER_SGPR: 6
; COMPUTE_PGM_RSRC2:TRAP_HANDLER: 0
; COMPUTE_PGM_RSRC2:TGID_X_EN: 1
; COMPUTE_PGM_RSRC2:TGID_Y_EN: 0
; COMPUTE_PGM_RSRC2:TGID_Z_EN: 0
; COMPUTE_PGM_RSRC2:TIDIG_COMP_CNT: 0
	.section	.text._ZN7rocprim17ROCPRIM_400000_NS6detail17trampoline_kernelINS0_14default_configENS1_35radix_sort_onesweep_config_selectorIllEEZZNS1_29radix_sort_onesweep_iterationIS3_Lb0EPlS7_N6thrust23THRUST_200600_302600_NS10device_ptrIlEESB_jNS0_19identity_decomposerENS1_16block_id_wrapperIjLb0EEEEE10hipError_tT1_PNSt15iterator_traitsISG_E10value_typeET2_T3_PNSH_ISM_E10value_typeET4_T5_PSR_SS_PNS1_23onesweep_lookback_stateEbbT6_jjT7_P12ihipStream_tbENKUlT_T0_SG_SL_E_clIS7_S7_SB_S7_EEDaSZ_S10_SG_SL_EUlSZ_E_NS1_11comp_targetILNS1_3genE8ELNS1_11target_archE1030ELNS1_3gpuE2ELNS1_3repE0EEENS1_47radix_sort_onesweep_sort_config_static_selectorELNS0_4arch9wavefront6targetE1EEEvSG_,"axG",@progbits,_ZN7rocprim17ROCPRIM_400000_NS6detail17trampoline_kernelINS0_14default_configENS1_35radix_sort_onesweep_config_selectorIllEEZZNS1_29radix_sort_onesweep_iterationIS3_Lb0EPlS7_N6thrust23THRUST_200600_302600_NS10device_ptrIlEESB_jNS0_19identity_decomposerENS1_16block_id_wrapperIjLb0EEEEE10hipError_tT1_PNSt15iterator_traitsISG_E10value_typeET2_T3_PNSH_ISM_E10value_typeET4_T5_PSR_SS_PNS1_23onesweep_lookback_stateEbbT6_jjT7_P12ihipStream_tbENKUlT_T0_SG_SL_E_clIS7_S7_SB_S7_EEDaSZ_S10_SG_SL_EUlSZ_E_NS1_11comp_targetILNS1_3genE8ELNS1_11target_archE1030ELNS1_3gpuE2ELNS1_3repE0EEENS1_47radix_sort_onesweep_sort_config_static_selectorELNS0_4arch9wavefront6targetE1EEEvSG_,comdat
	.protected	_ZN7rocprim17ROCPRIM_400000_NS6detail17trampoline_kernelINS0_14default_configENS1_35radix_sort_onesweep_config_selectorIllEEZZNS1_29radix_sort_onesweep_iterationIS3_Lb0EPlS7_N6thrust23THRUST_200600_302600_NS10device_ptrIlEESB_jNS0_19identity_decomposerENS1_16block_id_wrapperIjLb0EEEEE10hipError_tT1_PNSt15iterator_traitsISG_E10value_typeET2_T3_PNSH_ISM_E10value_typeET4_T5_PSR_SS_PNS1_23onesweep_lookback_stateEbbT6_jjT7_P12ihipStream_tbENKUlT_T0_SG_SL_E_clIS7_S7_SB_S7_EEDaSZ_S10_SG_SL_EUlSZ_E_NS1_11comp_targetILNS1_3genE8ELNS1_11target_archE1030ELNS1_3gpuE2ELNS1_3repE0EEENS1_47radix_sort_onesweep_sort_config_static_selectorELNS0_4arch9wavefront6targetE1EEEvSG_ ; -- Begin function _ZN7rocprim17ROCPRIM_400000_NS6detail17trampoline_kernelINS0_14default_configENS1_35radix_sort_onesweep_config_selectorIllEEZZNS1_29radix_sort_onesweep_iterationIS3_Lb0EPlS7_N6thrust23THRUST_200600_302600_NS10device_ptrIlEESB_jNS0_19identity_decomposerENS1_16block_id_wrapperIjLb0EEEEE10hipError_tT1_PNSt15iterator_traitsISG_E10value_typeET2_T3_PNSH_ISM_E10value_typeET4_T5_PSR_SS_PNS1_23onesweep_lookback_stateEbbT6_jjT7_P12ihipStream_tbENKUlT_T0_SG_SL_E_clIS7_S7_SB_S7_EEDaSZ_S10_SG_SL_EUlSZ_E_NS1_11comp_targetILNS1_3genE8ELNS1_11target_archE1030ELNS1_3gpuE2ELNS1_3repE0EEENS1_47radix_sort_onesweep_sort_config_static_selectorELNS0_4arch9wavefront6targetE1EEEvSG_
	.globl	_ZN7rocprim17ROCPRIM_400000_NS6detail17trampoline_kernelINS0_14default_configENS1_35radix_sort_onesweep_config_selectorIllEEZZNS1_29radix_sort_onesweep_iterationIS3_Lb0EPlS7_N6thrust23THRUST_200600_302600_NS10device_ptrIlEESB_jNS0_19identity_decomposerENS1_16block_id_wrapperIjLb0EEEEE10hipError_tT1_PNSt15iterator_traitsISG_E10value_typeET2_T3_PNSH_ISM_E10value_typeET4_T5_PSR_SS_PNS1_23onesweep_lookback_stateEbbT6_jjT7_P12ihipStream_tbENKUlT_T0_SG_SL_E_clIS7_S7_SB_S7_EEDaSZ_S10_SG_SL_EUlSZ_E_NS1_11comp_targetILNS1_3genE8ELNS1_11target_archE1030ELNS1_3gpuE2ELNS1_3repE0EEENS1_47radix_sort_onesweep_sort_config_static_selectorELNS0_4arch9wavefront6targetE1EEEvSG_
	.p2align	8
	.type	_ZN7rocprim17ROCPRIM_400000_NS6detail17trampoline_kernelINS0_14default_configENS1_35radix_sort_onesweep_config_selectorIllEEZZNS1_29radix_sort_onesweep_iterationIS3_Lb0EPlS7_N6thrust23THRUST_200600_302600_NS10device_ptrIlEESB_jNS0_19identity_decomposerENS1_16block_id_wrapperIjLb0EEEEE10hipError_tT1_PNSt15iterator_traitsISG_E10value_typeET2_T3_PNSH_ISM_E10value_typeET4_T5_PSR_SS_PNS1_23onesweep_lookback_stateEbbT6_jjT7_P12ihipStream_tbENKUlT_T0_SG_SL_E_clIS7_S7_SB_S7_EEDaSZ_S10_SG_SL_EUlSZ_E_NS1_11comp_targetILNS1_3genE8ELNS1_11target_archE1030ELNS1_3gpuE2ELNS1_3repE0EEENS1_47radix_sort_onesweep_sort_config_static_selectorELNS0_4arch9wavefront6targetE1EEEvSG_,@function
_ZN7rocprim17ROCPRIM_400000_NS6detail17trampoline_kernelINS0_14default_configENS1_35radix_sort_onesweep_config_selectorIllEEZZNS1_29radix_sort_onesweep_iterationIS3_Lb0EPlS7_N6thrust23THRUST_200600_302600_NS10device_ptrIlEESB_jNS0_19identity_decomposerENS1_16block_id_wrapperIjLb0EEEEE10hipError_tT1_PNSt15iterator_traitsISG_E10value_typeET2_T3_PNSH_ISM_E10value_typeET4_T5_PSR_SS_PNS1_23onesweep_lookback_stateEbbT6_jjT7_P12ihipStream_tbENKUlT_T0_SG_SL_E_clIS7_S7_SB_S7_EEDaSZ_S10_SG_SL_EUlSZ_E_NS1_11comp_targetILNS1_3genE8ELNS1_11target_archE1030ELNS1_3gpuE2ELNS1_3repE0EEENS1_47radix_sort_onesweep_sort_config_static_selectorELNS0_4arch9wavefront6targetE1EEEvSG_: ; @_ZN7rocprim17ROCPRIM_400000_NS6detail17trampoline_kernelINS0_14default_configENS1_35radix_sort_onesweep_config_selectorIllEEZZNS1_29radix_sort_onesweep_iterationIS3_Lb0EPlS7_N6thrust23THRUST_200600_302600_NS10device_ptrIlEESB_jNS0_19identity_decomposerENS1_16block_id_wrapperIjLb0EEEEE10hipError_tT1_PNSt15iterator_traitsISG_E10value_typeET2_T3_PNSH_ISM_E10value_typeET4_T5_PSR_SS_PNS1_23onesweep_lookback_stateEbbT6_jjT7_P12ihipStream_tbENKUlT_T0_SG_SL_E_clIS7_S7_SB_S7_EEDaSZ_S10_SG_SL_EUlSZ_E_NS1_11comp_targetILNS1_3genE8ELNS1_11target_archE1030ELNS1_3gpuE2ELNS1_3repE0EEENS1_47radix_sort_onesweep_sort_config_static_selectorELNS0_4arch9wavefront6targetE1EEEvSG_
; %bb.0:
	.section	.rodata,"a",@progbits
	.p2align	6, 0x0
	.amdhsa_kernel _ZN7rocprim17ROCPRIM_400000_NS6detail17trampoline_kernelINS0_14default_configENS1_35radix_sort_onesweep_config_selectorIllEEZZNS1_29radix_sort_onesweep_iterationIS3_Lb0EPlS7_N6thrust23THRUST_200600_302600_NS10device_ptrIlEESB_jNS0_19identity_decomposerENS1_16block_id_wrapperIjLb0EEEEE10hipError_tT1_PNSt15iterator_traitsISG_E10value_typeET2_T3_PNSH_ISM_E10value_typeET4_T5_PSR_SS_PNS1_23onesweep_lookback_stateEbbT6_jjT7_P12ihipStream_tbENKUlT_T0_SG_SL_E_clIS7_S7_SB_S7_EEDaSZ_S10_SG_SL_EUlSZ_E_NS1_11comp_targetILNS1_3genE8ELNS1_11target_archE1030ELNS1_3gpuE2ELNS1_3repE0EEENS1_47radix_sort_onesweep_sort_config_static_selectorELNS0_4arch9wavefront6targetE1EEEvSG_
		.amdhsa_group_segment_fixed_size 0
		.amdhsa_private_segment_fixed_size 0
		.amdhsa_kernarg_size 88
		.amdhsa_user_sgpr_count 6
		.amdhsa_user_sgpr_private_segment_buffer 1
		.amdhsa_user_sgpr_dispatch_ptr 0
		.amdhsa_user_sgpr_queue_ptr 0
		.amdhsa_user_sgpr_kernarg_segment_ptr 1
		.amdhsa_user_sgpr_dispatch_id 0
		.amdhsa_user_sgpr_flat_scratch_init 0
		.amdhsa_user_sgpr_private_segment_size 0
		.amdhsa_uses_dynamic_stack 0
		.amdhsa_system_sgpr_private_segment_wavefront_offset 0
		.amdhsa_system_sgpr_workgroup_id_x 1
		.amdhsa_system_sgpr_workgroup_id_y 0
		.amdhsa_system_sgpr_workgroup_id_z 0
		.amdhsa_system_sgpr_workgroup_info 0
		.amdhsa_system_vgpr_workitem_id 0
		.amdhsa_next_free_vgpr 1
		.amdhsa_next_free_sgpr 0
		.amdhsa_reserve_vcc 0
		.amdhsa_reserve_flat_scratch 0
		.amdhsa_float_round_mode_32 0
		.amdhsa_float_round_mode_16_64 0
		.amdhsa_float_denorm_mode_32 3
		.amdhsa_float_denorm_mode_16_64 3
		.amdhsa_dx10_clamp 1
		.amdhsa_ieee_mode 1
		.amdhsa_fp16_overflow 0
		.amdhsa_exception_fp_ieee_invalid_op 0
		.amdhsa_exception_fp_denorm_src 0
		.amdhsa_exception_fp_ieee_div_zero 0
		.amdhsa_exception_fp_ieee_overflow 0
		.amdhsa_exception_fp_ieee_underflow 0
		.amdhsa_exception_fp_ieee_inexact 0
		.amdhsa_exception_int_div_zero 0
	.end_amdhsa_kernel
	.section	.text._ZN7rocprim17ROCPRIM_400000_NS6detail17trampoline_kernelINS0_14default_configENS1_35radix_sort_onesweep_config_selectorIllEEZZNS1_29radix_sort_onesweep_iterationIS3_Lb0EPlS7_N6thrust23THRUST_200600_302600_NS10device_ptrIlEESB_jNS0_19identity_decomposerENS1_16block_id_wrapperIjLb0EEEEE10hipError_tT1_PNSt15iterator_traitsISG_E10value_typeET2_T3_PNSH_ISM_E10value_typeET4_T5_PSR_SS_PNS1_23onesweep_lookback_stateEbbT6_jjT7_P12ihipStream_tbENKUlT_T0_SG_SL_E_clIS7_S7_SB_S7_EEDaSZ_S10_SG_SL_EUlSZ_E_NS1_11comp_targetILNS1_3genE8ELNS1_11target_archE1030ELNS1_3gpuE2ELNS1_3repE0EEENS1_47radix_sort_onesweep_sort_config_static_selectorELNS0_4arch9wavefront6targetE1EEEvSG_,"axG",@progbits,_ZN7rocprim17ROCPRIM_400000_NS6detail17trampoline_kernelINS0_14default_configENS1_35radix_sort_onesweep_config_selectorIllEEZZNS1_29radix_sort_onesweep_iterationIS3_Lb0EPlS7_N6thrust23THRUST_200600_302600_NS10device_ptrIlEESB_jNS0_19identity_decomposerENS1_16block_id_wrapperIjLb0EEEEE10hipError_tT1_PNSt15iterator_traitsISG_E10value_typeET2_T3_PNSH_ISM_E10value_typeET4_T5_PSR_SS_PNS1_23onesweep_lookback_stateEbbT6_jjT7_P12ihipStream_tbENKUlT_T0_SG_SL_E_clIS7_S7_SB_S7_EEDaSZ_S10_SG_SL_EUlSZ_E_NS1_11comp_targetILNS1_3genE8ELNS1_11target_archE1030ELNS1_3gpuE2ELNS1_3repE0EEENS1_47radix_sort_onesweep_sort_config_static_selectorELNS0_4arch9wavefront6targetE1EEEvSG_,comdat
.Lfunc_end1176:
	.size	_ZN7rocprim17ROCPRIM_400000_NS6detail17trampoline_kernelINS0_14default_configENS1_35radix_sort_onesweep_config_selectorIllEEZZNS1_29radix_sort_onesweep_iterationIS3_Lb0EPlS7_N6thrust23THRUST_200600_302600_NS10device_ptrIlEESB_jNS0_19identity_decomposerENS1_16block_id_wrapperIjLb0EEEEE10hipError_tT1_PNSt15iterator_traitsISG_E10value_typeET2_T3_PNSH_ISM_E10value_typeET4_T5_PSR_SS_PNS1_23onesweep_lookback_stateEbbT6_jjT7_P12ihipStream_tbENKUlT_T0_SG_SL_E_clIS7_S7_SB_S7_EEDaSZ_S10_SG_SL_EUlSZ_E_NS1_11comp_targetILNS1_3genE8ELNS1_11target_archE1030ELNS1_3gpuE2ELNS1_3repE0EEENS1_47radix_sort_onesweep_sort_config_static_selectorELNS0_4arch9wavefront6targetE1EEEvSG_, .Lfunc_end1176-_ZN7rocprim17ROCPRIM_400000_NS6detail17trampoline_kernelINS0_14default_configENS1_35radix_sort_onesweep_config_selectorIllEEZZNS1_29radix_sort_onesweep_iterationIS3_Lb0EPlS7_N6thrust23THRUST_200600_302600_NS10device_ptrIlEESB_jNS0_19identity_decomposerENS1_16block_id_wrapperIjLb0EEEEE10hipError_tT1_PNSt15iterator_traitsISG_E10value_typeET2_T3_PNSH_ISM_E10value_typeET4_T5_PSR_SS_PNS1_23onesweep_lookback_stateEbbT6_jjT7_P12ihipStream_tbENKUlT_T0_SG_SL_E_clIS7_S7_SB_S7_EEDaSZ_S10_SG_SL_EUlSZ_E_NS1_11comp_targetILNS1_3genE8ELNS1_11target_archE1030ELNS1_3gpuE2ELNS1_3repE0EEENS1_47radix_sort_onesweep_sort_config_static_selectorELNS0_4arch9wavefront6targetE1EEEvSG_
                                        ; -- End function
	.set _ZN7rocprim17ROCPRIM_400000_NS6detail17trampoline_kernelINS0_14default_configENS1_35radix_sort_onesweep_config_selectorIllEEZZNS1_29radix_sort_onesweep_iterationIS3_Lb0EPlS7_N6thrust23THRUST_200600_302600_NS10device_ptrIlEESB_jNS0_19identity_decomposerENS1_16block_id_wrapperIjLb0EEEEE10hipError_tT1_PNSt15iterator_traitsISG_E10value_typeET2_T3_PNSH_ISM_E10value_typeET4_T5_PSR_SS_PNS1_23onesweep_lookback_stateEbbT6_jjT7_P12ihipStream_tbENKUlT_T0_SG_SL_E_clIS7_S7_SB_S7_EEDaSZ_S10_SG_SL_EUlSZ_E_NS1_11comp_targetILNS1_3genE8ELNS1_11target_archE1030ELNS1_3gpuE2ELNS1_3repE0EEENS1_47radix_sort_onesweep_sort_config_static_selectorELNS0_4arch9wavefront6targetE1EEEvSG_.num_vgpr, 0
	.set _ZN7rocprim17ROCPRIM_400000_NS6detail17trampoline_kernelINS0_14default_configENS1_35radix_sort_onesweep_config_selectorIllEEZZNS1_29radix_sort_onesweep_iterationIS3_Lb0EPlS7_N6thrust23THRUST_200600_302600_NS10device_ptrIlEESB_jNS0_19identity_decomposerENS1_16block_id_wrapperIjLb0EEEEE10hipError_tT1_PNSt15iterator_traitsISG_E10value_typeET2_T3_PNSH_ISM_E10value_typeET4_T5_PSR_SS_PNS1_23onesweep_lookback_stateEbbT6_jjT7_P12ihipStream_tbENKUlT_T0_SG_SL_E_clIS7_S7_SB_S7_EEDaSZ_S10_SG_SL_EUlSZ_E_NS1_11comp_targetILNS1_3genE8ELNS1_11target_archE1030ELNS1_3gpuE2ELNS1_3repE0EEENS1_47radix_sort_onesweep_sort_config_static_selectorELNS0_4arch9wavefront6targetE1EEEvSG_.num_agpr, 0
	.set _ZN7rocprim17ROCPRIM_400000_NS6detail17trampoline_kernelINS0_14default_configENS1_35radix_sort_onesweep_config_selectorIllEEZZNS1_29radix_sort_onesweep_iterationIS3_Lb0EPlS7_N6thrust23THRUST_200600_302600_NS10device_ptrIlEESB_jNS0_19identity_decomposerENS1_16block_id_wrapperIjLb0EEEEE10hipError_tT1_PNSt15iterator_traitsISG_E10value_typeET2_T3_PNSH_ISM_E10value_typeET4_T5_PSR_SS_PNS1_23onesweep_lookback_stateEbbT6_jjT7_P12ihipStream_tbENKUlT_T0_SG_SL_E_clIS7_S7_SB_S7_EEDaSZ_S10_SG_SL_EUlSZ_E_NS1_11comp_targetILNS1_3genE8ELNS1_11target_archE1030ELNS1_3gpuE2ELNS1_3repE0EEENS1_47radix_sort_onesweep_sort_config_static_selectorELNS0_4arch9wavefront6targetE1EEEvSG_.numbered_sgpr, 0
	.set _ZN7rocprim17ROCPRIM_400000_NS6detail17trampoline_kernelINS0_14default_configENS1_35radix_sort_onesweep_config_selectorIllEEZZNS1_29radix_sort_onesweep_iterationIS3_Lb0EPlS7_N6thrust23THRUST_200600_302600_NS10device_ptrIlEESB_jNS0_19identity_decomposerENS1_16block_id_wrapperIjLb0EEEEE10hipError_tT1_PNSt15iterator_traitsISG_E10value_typeET2_T3_PNSH_ISM_E10value_typeET4_T5_PSR_SS_PNS1_23onesweep_lookback_stateEbbT6_jjT7_P12ihipStream_tbENKUlT_T0_SG_SL_E_clIS7_S7_SB_S7_EEDaSZ_S10_SG_SL_EUlSZ_E_NS1_11comp_targetILNS1_3genE8ELNS1_11target_archE1030ELNS1_3gpuE2ELNS1_3repE0EEENS1_47radix_sort_onesweep_sort_config_static_selectorELNS0_4arch9wavefront6targetE1EEEvSG_.num_named_barrier, 0
	.set _ZN7rocprim17ROCPRIM_400000_NS6detail17trampoline_kernelINS0_14default_configENS1_35radix_sort_onesweep_config_selectorIllEEZZNS1_29radix_sort_onesweep_iterationIS3_Lb0EPlS7_N6thrust23THRUST_200600_302600_NS10device_ptrIlEESB_jNS0_19identity_decomposerENS1_16block_id_wrapperIjLb0EEEEE10hipError_tT1_PNSt15iterator_traitsISG_E10value_typeET2_T3_PNSH_ISM_E10value_typeET4_T5_PSR_SS_PNS1_23onesweep_lookback_stateEbbT6_jjT7_P12ihipStream_tbENKUlT_T0_SG_SL_E_clIS7_S7_SB_S7_EEDaSZ_S10_SG_SL_EUlSZ_E_NS1_11comp_targetILNS1_3genE8ELNS1_11target_archE1030ELNS1_3gpuE2ELNS1_3repE0EEENS1_47radix_sort_onesweep_sort_config_static_selectorELNS0_4arch9wavefront6targetE1EEEvSG_.private_seg_size, 0
	.set _ZN7rocprim17ROCPRIM_400000_NS6detail17trampoline_kernelINS0_14default_configENS1_35radix_sort_onesweep_config_selectorIllEEZZNS1_29radix_sort_onesweep_iterationIS3_Lb0EPlS7_N6thrust23THRUST_200600_302600_NS10device_ptrIlEESB_jNS0_19identity_decomposerENS1_16block_id_wrapperIjLb0EEEEE10hipError_tT1_PNSt15iterator_traitsISG_E10value_typeET2_T3_PNSH_ISM_E10value_typeET4_T5_PSR_SS_PNS1_23onesweep_lookback_stateEbbT6_jjT7_P12ihipStream_tbENKUlT_T0_SG_SL_E_clIS7_S7_SB_S7_EEDaSZ_S10_SG_SL_EUlSZ_E_NS1_11comp_targetILNS1_3genE8ELNS1_11target_archE1030ELNS1_3gpuE2ELNS1_3repE0EEENS1_47radix_sort_onesweep_sort_config_static_selectorELNS0_4arch9wavefront6targetE1EEEvSG_.uses_vcc, 0
	.set _ZN7rocprim17ROCPRIM_400000_NS6detail17trampoline_kernelINS0_14default_configENS1_35radix_sort_onesweep_config_selectorIllEEZZNS1_29radix_sort_onesweep_iterationIS3_Lb0EPlS7_N6thrust23THRUST_200600_302600_NS10device_ptrIlEESB_jNS0_19identity_decomposerENS1_16block_id_wrapperIjLb0EEEEE10hipError_tT1_PNSt15iterator_traitsISG_E10value_typeET2_T3_PNSH_ISM_E10value_typeET4_T5_PSR_SS_PNS1_23onesweep_lookback_stateEbbT6_jjT7_P12ihipStream_tbENKUlT_T0_SG_SL_E_clIS7_S7_SB_S7_EEDaSZ_S10_SG_SL_EUlSZ_E_NS1_11comp_targetILNS1_3genE8ELNS1_11target_archE1030ELNS1_3gpuE2ELNS1_3repE0EEENS1_47radix_sort_onesweep_sort_config_static_selectorELNS0_4arch9wavefront6targetE1EEEvSG_.uses_flat_scratch, 0
	.set _ZN7rocprim17ROCPRIM_400000_NS6detail17trampoline_kernelINS0_14default_configENS1_35radix_sort_onesweep_config_selectorIllEEZZNS1_29radix_sort_onesweep_iterationIS3_Lb0EPlS7_N6thrust23THRUST_200600_302600_NS10device_ptrIlEESB_jNS0_19identity_decomposerENS1_16block_id_wrapperIjLb0EEEEE10hipError_tT1_PNSt15iterator_traitsISG_E10value_typeET2_T3_PNSH_ISM_E10value_typeET4_T5_PSR_SS_PNS1_23onesweep_lookback_stateEbbT6_jjT7_P12ihipStream_tbENKUlT_T0_SG_SL_E_clIS7_S7_SB_S7_EEDaSZ_S10_SG_SL_EUlSZ_E_NS1_11comp_targetILNS1_3genE8ELNS1_11target_archE1030ELNS1_3gpuE2ELNS1_3repE0EEENS1_47radix_sort_onesweep_sort_config_static_selectorELNS0_4arch9wavefront6targetE1EEEvSG_.has_dyn_sized_stack, 0
	.set _ZN7rocprim17ROCPRIM_400000_NS6detail17trampoline_kernelINS0_14default_configENS1_35radix_sort_onesweep_config_selectorIllEEZZNS1_29radix_sort_onesweep_iterationIS3_Lb0EPlS7_N6thrust23THRUST_200600_302600_NS10device_ptrIlEESB_jNS0_19identity_decomposerENS1_16block_id_wrapperIjLb0EEEEE10hipError_tT1_PNSt15iterator_traitsISG_E10value_typeET2_T3_PNSH_ISM_E10value_typeET4_T5_PSR_SS_PNS1_23onesweep_lookback_stateEbbT6_jjT7_P12ihipStream_tbENKUlT_T0_SG_SL_E_clIS7_S7_SB_S7_EEDaSZ_S10_SG_SL_EUlSZ_E_NS1_11comp_targetILNS1_3genE8ELNS1_11target_archE1030ELNS1_3gpuE2ELNS1_3repE0EEENS1_47radix_sort_onesweep_sort_config_static_selectorELNS0_4arch9wavefront6targetE1EEEvSG_.has_recursion, 0
	.set _ZN7rocprim17ROCPRIM_400000_NS6detail17trampoline_kernelINS0_14default_configENS1_35radix_sort_onesweep_config_selectorIllEEZZNS1_29radix_sort_onesweep_iterationIS3_Lb0EPlS7_N6thrust23THRUST_200600_302600_NS10device_ptrIlEESB_jNS0_19identity_decomposerENS1_16block_id_wrapperIjLb0EEEEE10hipError_tT1_PNSt15iterator_traitsISG_E10value_typeET2_T3_PNSH_ISM_E10value_typeET4_T5_PSR_SS_PNS1_23onesweep_lookback_stateEbbT6_jjT7_P12ihipStream_tbENKUlT_T0_SG_SL_E_clIS7_S7_SB_S7_EEDaSZ_S10_SG_SL_EUlSZ_E_NS1_11comp_targetILNS1_3genE8ELNS1_11target_archE1030ELNS1_3gpuE2ELNS1_3repE0EEENS1_47radix_sort_onesweep_sort_config_static_selectorELNS0_4arch9wavefront6targetE1EEEvSG_.has_indirect_call, 0
	.section	.AMDGPU.csdata,"",@progbits
; Kernel info:
; codeLenInByte = 0
; TotalNumSgprs: 4
; NumVgprs: 0
; ScratchSize: 0
; MemoryBound: 0
; FloatMode: 240
; IeeeMode: 1
; LDSByteSize: 0 bytes/workgroup (compile time only)
; SGPRBlocks: 0
; VGPRBlocks: 0
; NumSGPRsForWavesPerEU: 4
; NumVGPRsForWavesPerEU: 1
; Occupancy: 10
; WaveLimiterHint : 0
; COMPUTE_PGM_RSRC2:SCRATCH_EN: 0
; COMPUTE_PGM_RSRC2:USER_SGPR: 6
; COMPUTE_PGM_RSRC2:TRAP_HANDLER: 0
; COMPUTE_PGM_RSRC2:TGID_X_EN: 1
; COMPUTE_PGM_RSRC2:TGID_Y_EN: 0
; COMPUTE_PGM_RSRC2:TGID_Z_EN: 0
; COMPUTE_PGM_RSRC2:TIDIG_COMP_CNT: 0
	.section	.text._ZN7rocprim17ROCPRIM_400000_NS6detail17trampoline_kernelINS0_14default_configENS1_35radix_sort_onesweep_config_selectorIllEEZZNS1_29radix_sort_onesweep_iterationIS3_Lb0EPlS7_N6thrust23THRUST_200600_302600_NS10device_ptrIlEESB_jNS0_19identity_decomposerENS1_16block_id_wrapperIjLb0EEEEE10hipError_tT1_PNSt15iterator_traitsISG_E10value_typeET2_T3_PNSH_ISM_E10value_typeET4_T5_PSR_SS_PNS1_23onesweep_lookback_stateEbbT6_jjT7_P12ihipStream_tbENKUlT_T0_SG_SL_E_clIS7_S7_S7_SB_EEDaSZ_S10_SG_SL_EUlSZ_E_NS1_11comp_targetILNS1_3genE0ELNS1_11target_archE4294967295ELNS1_3gpuE0ELNS1_3repE0EEENS1_47radix_sort_onesweep_sort_config_static_selectorELNS0_4arch9wavefront6targetE1EEEvSG_,"axG",@progbits,_ZN7rocprim17ROCPRIM_400000_NS6detail17trampoline_kernelINS0_14default_configENS1_35radix_sort_onesweep_config_selectorIllEEZZNS1_29radix_sort_onesweep_iterationIS3_Lb0EPlS7_N6thrust23THRUST_200600_302600_NS10device_ptrIlEESB_jNS0_19identity_decomposerENS1_16block_id_wrapperIjLb0EEEEE10hipError_tT1_PNSt15iterator_traitsISG_E10value_typeET2_T3_PNSH_ISM_E10value_typeET4_T5_PSR_SS_PNS1_23onesweep_lookback_stateEbbT6_jjT7_P12ihipStream_tbENKUlT_T0_SG_SL_E_clIS7_S7_S7_SB_EEDaSZ_S10_SG_SL_EUlSZ_E_NS1_11comp_targetILNS1_3genE0ELNS1_11target_archE4294967295ELNS1_3gpuE0ELNS1_3repE0EEENS1_47radix_sort_onesweep_sort_config_static_selectorELNS0_4arch9wavefront6targetE1EEEvSG_,comdat
	.protected	_ZN7rocprim17ROCPRIM_400000_NS6detail17trampoline_kernelINS0_14default_configENS1_35radix_sort_onesweep_config_selectorIllEEZZNS1_29radix_sort_onesweep_iterationIS3_Lb0EPlS7_N6thrust23THRUST_200600_302600_NS10device_ptrIlEESB_jNS0_19identity_decomposerENS1_16block_id_wrapperIjLb0EEEEE10hipError_tT1_PNSt15iterator_traitsISG_E10value_typeET2_T3_PNSH_ISM_E10value_typeET4_T5_PSR_SS_PNS1_23onesweep_lookback_stateEbbT6_jjT7_P12ihipStream_tbENKUlT_T0_SG_SL_E_clIS7_S7_S7_SB_EEDaSZ_S10_SG_SL_EUlSZ_E_NS1_11comp_targetILNS1_3genE0ELNS1_11target_archE4294967295ELNS1_3gpuE0ELNS1_3repE0EEENS1_47radix_sort_onesweep_sort_config_static_selectorELNS0_4arch9wavefront6targetE1EEEvSG_ ; -- Begin function _ZN7rocprim17ROCPRIM_400000_NS6detail17trampoline_kernelINS0_14default_configENS1_35radix_sort_onesweep_config_selectorIllEEZZNS1_29radix_sort_onesweep_iterationIS3_Lb0EPlS7_N6thrust23THRUST_200600_302600_NS10device_ptrIlEESB_jNS0_19identity_decomposerENS1_16block_id_wrapperIjLb0EEEEE10hipError_tT1_PNSt15iterator_traitsISG_E10value_typeET2_T3_PNSH_ISM_E10value_typeET4_T5_PSR_SS_PNS1_23onesweep_lookback_stateEbbT6_jjT7_P12ihipStream_tbENKUlT_T0_SG_SL_E_clIS7_S7_S7_SB_EEDaSZ_S10_SG_SL_EUlSZ_E_NS1_11comp_targetILNS1_3genE0ELNS1_11target_archE4294967295ELNS1_3gpuE0ELNS1_3repE0EEENS1_47radix_sort_onesweep_sort_config_static_selectorELNS0_4arch9wavefront6targetE1EEEvSG_
	.globl	_ZN7rocprim17ROCPRIM_400000_NS6detail17trampoline_kernelINS0_14default_configENS1_35radix_sort_onesweep_config_selectorIllEEZZNS1_29radix_sort_onesweep_iterationIS3_Lb0EPlS7_N6thrust23THRUST_200600_302600_NS10device_ptrIlEESB_jNS0_19identity_decomposerENS1_16block_id_wrapperIjLb0EEEEE10hipError_tT1_PNSt15iterator_traitsISG_E10value_typeET2_T3_PNSH_ISM_E10value_typeET4_T5_PSR_SS_PNS1_23onesweep_lookback_stateEbbT6_jjT7_P12ihipStream_tbENKUlT_T0_SG_SL_E_clIS7_S7_S7_SB_EEDaSZ_S10_SG_SL_EUlSZ_E_NS1_11comp_targetILNS1_3genE0ELNS1_11target_archE4294967295ELNS1_3gpuE0ELNS1_3repE0EEENS1_47radix_sort_onesweep_sort_config_static_selectorELNS0_4arch9wavefront6targetE1EEEvSG_
	.p2align	8
	.type	_ZN7rocprim17ROCPRIM_400000_NS6detail17trampoline_kernelINS0_14default_configENS1_35radix_sort_onesweep_config_selectorIllEEZZNS1_29radix_sort_onesweep_iterationIS3_Lb0EPlS7_N6thrust23THRUST_200600_302600_NS10device_ptrIlEESB_jNS0_19identity_decomposerENS1_16block_id_wrapperIjLb0EEEEE10hipError_tT1_PNSt15iterator_traitsISG_E10value_typeET2_T3_PNSH_ISM_E10value_typeET4_T5_PSR_SS_PNS1_23onesweep_lookback_stateEbbT6_jjT7_P12ihipStream_tbENKUlT_T0_SG_SL_E_clIS7_S7_S7_SB_EEDaSZ_S10_SG_SL_EUlSZ_E_NS1_11comp_targetILNS1_3genE0ELNS1_11target_archE4294967295ELNS1_3gpuE0ELNS1_3repE0EEENS1_47radix_sort_onesweep_sort_config_static_selectorELNS0_4arch9wavefront6targetE1EEEvSG_,@function
_ZN7rocprim17ROCPRIM_400000_NS6detail17trampoline_kernelINS0_14default_configENS1_35radix_sort_onesweep_config_selectorIllEEZZNS1_29radix_sort_onesweep_iterationIS3_Lb0EPlS7_N6thrust23THRUST_200600_302600_NS10device_ptrIlEESB_jNS0_19identity_decomposerENS1_16block_id_wrapperIjLb0EEEEE10hipError_tT1_PNSt15iterator_traitsISG_E10value_typeET2_T3_PNSH_ISM_E10value_typeET4_T5_PSR_SS_PNS1_23onesweep_lookback_stateEbbT6_jjT7_P12ihipStream_tbENKUlT_T0_SG_SL_E_clIS7_S7_S7_SB_EEDaSZ_S10_SG_SL_EUlSZ_E_NS1_11comp_targetILNS1_3genE0ELNS1_11target_archE4294967295ELNS1_3gpuE0ELNS1_3repE0EEENS1_47radix_sort_onesweep_sort_config_static_selectorELNS0_4arch9wavefront6targetE1EEEvSG_: ; @_ZN7rocprim17ROCPRIM_400000_NS6detail17trampoline_kernelINS0_14default_configENS1_35radix_sort_onesweep_config_selectorIllEEZZNS1_29radix_sort_onesweep_iterationIS3_Lb0EPlS7_N6thrust23THRUST_200600_302600_NS10device_ptrIlEESB_jNS0_19identity_decomposerENS1_16block_id_wrapperIjLb0EEEEE10hipError_tT1_PNSt15iterator_traitsISG_E10value_typeET2_T3_PNSH_ISM_E10value_typeET4_T5_PSR_SS_PNS1_23onesweep_lookback_stateEbbT6_jjT7_P12ihipStream_tbENKUlT_T0_SG_SL_E_clIS7_S7_S7_SB_EEDaSZ_S10_SG_SL_EUlSZ_E_NS1_11comp_targetILNS1_3genE0ELNS1_11target_archE4294967295ELNS1_3gpuE0ELNS1_3repE0EEENS1_47radix_sort_onesweep_sort_config_static_selectorELNS0_4arch9wavefront6targetE1EEEvSG_
; %bb.0:
	.section	.rodata,"a",@progbits
	.p2align	6, 0x0
	.amdhsa_kernel _ZN7rocprim17ROCPRIM_400000_NS6detail17trampoline_kernelINS0_14default_configENS1_35radix_sort_onesweep_config_selectorIllEEZZNS1_29radix_sort_onesweep_iterationIS3_Lb0EPlS7_N6thrust23THRUST_200600_302600_NS10device_ptrIlEESB_jNS0_19identity_decomposerENS1_16block_id_wrapperIjLb0EEEEE10hipError_tT1_PNSt15iterator_traitsISG_E10value_typeET2_T3_PNSH_ISM_E10value_typeET4_T5_PSR_SS_PNS1_23onesweep_lookback_stateEbbT6_jjT7_P12ihipStream_tbENKUlT_T0_SG_SL_E_clIS7_S7_S7_SB_EEDaSZ_S10_SG_SL_EUlSZ_E_NS1_11comp_targetILNS1_3genE0ELNS1_11target_archE4294967295ELNS1_3gpuE0ELNS1_3repE0EEENS1_47radix_sort_onesweep_sort_config_static_selectorELNS0_4arch9wavefront6targetE1EEEvSG_
		.amdhsa_group_segment_fixed_size 0
		.amdhsa_private_segment_fixed_size 0
		.amdhsa_kernarg_size 88
		.amdhsa_user_sgpr_count 6
		.amdhsa_user_sgpr_private_segment_buffer 1
		.amdhsa_user_sgpr_dispatch_ptr 0
		.amdhsa_user_sgpr_queue_ptr 0
		.amdhsa_user_sgpr_kernarg_segment_ptr 1
		.amdhsa_user_sgpr_dispatch_id 0
		.amdhsa_user_sgpr_flat_scratch_init 0
		.amdhsa_user_sgpr_private_segment_size 0
		.amdhsa_uses_dynamic_stack 0
		.amdhsa_system_sgpr_private_segment_wavefront_offset 0
		.amdhsa_system_sgpr_workgroup_id_x 1
		.amdhsa_system_sgpr_workgroup_id_y 0
		.amdhsa_system_sgpr_workgroup_id_z 0
		.amdhsa_system_sgpr_workgroup_info 0
		.amdhsa_system_vgpr_workitem_id 0
		.amdhsa_next_free_vgpr 1
		.amdhsa_next_free_sgpr 0
		.amdhsa_reserve_vcc 0
		.amdhsa_reserve_flat_scratch 0
		.amdhsa_float_round_mode_32 0
		.amdhsa_float_round_mode_16_64 0
		.amdhsa_float_denorm_mode_32 3
		.amdhsa_float_denorm_mode_16_64 3
		.amdhsa_dx10_clamp 1
		.amdhsa_ieee_mode 1
		.amdhsa_fp16_overflow 0
		.amdhsa_exception_fp_ieee_invalid_op 0
		.amdhsa_exception_fp_denorm_src 0
		.amdhsa_exception_fp_ieee_div_zero 0
		.amdhsa_exception_fp_ieee_overflow 0
		.amdhsa_exception_fp_ieee_underflow 0
		.amdhsa_exception_fp_ieee_inexact 0
		.amdhsa_exception_int_div_zero 0
	.end_amdhsa_kernel
	.section	.text._ZN7rocprim17ROCPRIM_400000_NS6detail17trampoline_kernelINS0_14default_configENS1_35radix_sort_onesweep_config_selectorIllEEZZNS1_29radix_sort_onesweep_iterationIS3_Lb0EPlS7_N6thrust23THRUST_200600_302600_NS10device_ptrIlEESB_jNS0_19identity_decomposerENS1_16block_id_wrapperIjLb0EEEEE10hipError_tT1_PNSt15iterator_traitsISG_E10value_typeET2_T3_PNSH_ISM_E10value_typeET4_T5_PSR_SS_PNS1_23onesweep_lookback_stateEbbT6_jjT7_P12ihipStream_tbENKUlT_T0_SG_SL_E_clIS7_S7_S7_SB_EEDaSZ_S10_SG_SL_EUlSZ_E_NS1_11comp_targetILNS1_3genE0ELNS1_11target_archE4294967295ELNS1_3gpuE0ELNS1_3repE0EEENS1_47radix_sort_onesweep_sort_config_static_selectorELNS0_4arch9wavefront6targetE1EEEvSG_,"axG",@progbits,_ZN7rocprim17ROCPRIM_400000_NS6detail17trampoline_kernelINS0_14default_configENS1_35radix_sort_onesweep_config_selectorIllEEZZNS1_29radix_sort_onesweep_iterationIS3_Lb0EPlS7_N6thrust23THRUST_200600_302600_NS10device_ptrIlEESB_jNS0_19identity_decomposerENS1_16block_id_wrapperIjLb0EEEEE10hipError_tT1_PNSt15iterator_traitsISG_E10value_typeET2_T3_PNSH_ISM_E10value_typeET4_T5_PSR_SS_PNS1_23onesweep_lookback_stateEbbT6_jjT7_P12ihipStream_tbENKUlT_T0_SG_SL_E_clIS7_S7_S7_SB_EEDaSZ_S10_SG_SL_EUlSZ_E_NS1_11comp_targetILNS1_3genE0ELNS1_11target_archE4294967295ELNS1_3gpuE0ELNS1_3repE0EEENS1_47radix_sort_onesweep_sort_config_static_selectorELNS0_4arch9wavefront6targetE1EEEvSG_,comdat
.Lfunc_end1177:
	.size	_ZN7rocprim17ROCPRIM_400000_NS6detail17trampoline_kernelINS0_14default_configENS1_35radix_sort_onesweep_config_selectorIllEEZZNS1_29radix_sort_onesweep_iterationIS3_Lb0EPlS7_N6thrust23THRUST_200600_302600_NS10device_ptrIlEESB_jNS0_19identity_decomposerENS1_16block_id_wrapperIjLb0EEEEE10hipError_tT1_PNSt15iterator_traitsISG_E10value_typeET2_T3_PNSH_ISM_E10value_typeET4_T5_PSR_SS_PNS1_23onesweep_lookback_stateEbbT6_jjT7_P12ihipStream_tbENKUlT_T0_SG_SL_E_clIS7_S7_S7_SB_EEDaSZ_S10_SG_SL_EUlSZ_E_NS1_11comp_targetILNS1_3genE0ELNS1_11target_archE4294967295ELNS1_3gpuE0ELNS1_3repE0EEENS1_47radix_sort_onesweep_sort_config_static_selectorELNS0_4arch9wavefront6targetE1EEEvSG_, .Lfunc_end1177-_ZN7rocprim17ROCPRIM_400000_NS6detail17trampoline_kernelINS0_14default_configENS1_35radix_sort_onesweep_config_selectorIllEEZZNS1_29radix_sort_onesweep_iterationIS3_Lb0EPlS7_N6thrust23THRUST_200600_302600_NS10device_ptrIlEESB_jNS0_19identity_decomposerENS1_16block_id_wrapperIjLb0EEEEE10hipError_tT1_PNSt15iterator_traitsISG_E10value_typeET2_T3_PNSH_ISM_E10value_typeET4_T5_PSR_SS_PNS1_23onesweep_lookback_stateEbbT6_jjT7_P12ihipStream_tbENKUlT_T0_SG_SL_E_clIS7_S7_S7_SB_EEDaSZ_S10_SG_SL_EUlSZ_E_NS1_11comp_targetILNS1_3genE0ELNS1_11target_archE4294967295ELNS1_3gpuE0ELNS1_3repE0EEENS1_47radix_sort_onesweep_sort_config_static_selectorELNS0_4arch9wavefront6targetE1EEEvSG_
                                        ; -- End function
	.set _ZN7rocprim17ROCPRIM_400000_NS6detail17trampoline_kernelINS0_14default_configENS1_35radix_sort_onesweep_config_selectorIllEEZZNS1_29radix_sort_onesweep_iterationIS3_Lb0EPlS7_N6thrust23THRUST_200600_302600_NS10device_ptrIlEESB_jNS0_19identity_decomposerENS1_16block_id_wrapperIjLb0EEEEE10hipError_tT1_PNSt15iterator_traitsISG_E10value_typeET2_T3_PNSH_ISM_E10value_typeET4_T5_PSR_SS_PNS1_23onesweep_lookback_stateEbbT6_jjT7_P12ihipStream_tbENKUlT_T0_SG_SL_E_clIS7_S7_S7_SB_EEDaSZ_S10_SG_SL_EUlSZ_E_NS1_11comp_targetILNS1_3genE0ELNS1_11target_archE4294967295ELNS1_3gpuE0ELNS1_3repE0EEENS1_47radix_sort_onesweep_sort_config_static_selectorELNS0_4arch9wavefront6targetE1EEEvSG_.num_vgpr, 0
	.set _ZN7rocprim17ROCPRIM_400000_NS6detail17trampoline_kernelINS0_14default_configENS1_35radix_sort_onesweep_config_selectorIllEEZZNS1_29radix_sort_onesweep_iterationIS3_Lb0EPlS7_N6thrust23THRUST_200600_302600_NS10device_ptrIlEESB_jNS0_19identity_decomposerENS1_16block_id_wrapperIjLb0EEEEE10hipError_tT1_PNSt15iterator_traitsISG_E10value_typeET2_T3_PNSH_ISM_E10value_typeET4_T5_PSR_SS_PNS1_23onesweep_lookback_stateEbbT6_jjT7_P12ihipStream_tbENKUlT_T0_SG_SL_E_clIS7_S7_S7_SB_EEDaSZ_S10_SG_SL_EUlSZ_E_NS1_11comp_targetILNS1_3genE0ELNS1_11target_archE4294967295ELNS1_3gpuE0ELNS1_3repE0EEENS1_47radix_sort_onesweep_sort_config_static_selectorELNS0_4arch9wavefront6targetE1EEEvSG_.num_agpr, 0
	.set _ZN7rocprim17ROCPRIM_400000_NS6detail17trampoline_kernelINS0_14default_configENS1_35radix_sort_onesweep_config_selectorIllEEZZNS1_29radix_sort_onesweep_iterationIS3_Lb0EPlS7_N6thrust23THRUST_200600_302600_NS10device_ptrIlEESB_jNS0_19identity_decomposerENS1_16block_id_wrapperIjLb0EEEEE10hipError_tT1_PNSt15iterator_traitsISG_E10value_typeET2_T3_PNSH_ISM_E10value_typeET4_T5_PSR_SS_PNS1_23onesweep_lookback_stateEbbT6_jjT7_P12ihipStream_tbENKUlT_T0_SG_SL_E_clIS7_S7_S7_SB_EEDaSZ_S10_SG_SL_EUlSZ_E_NS1_11comp_targetILNS1_3genE0ELNS1_11target_archE4294967295ELNS1_3gpuE0ELNS1_3repE0EEENS1_47radix_sort_onesweep_sort_config_static_selectorELNS0_4arch9wavefront6targetE1EEEvSG_.numbered_sgpr, 0
	.set _ZN7rocprim17ROCPRIM_400000_NS6detail17trampoline_kernelINS0_14default_configENS1_35radix_sort_onesweep_config_selectorIllEEZZNS1_29radix_sort_onesweep_iterationIS3_Lb0EPlS7_N6thrust23THRUST_200600_302600_NS10device_ptrIlEESB_jNS0_19identity_decomposerENS1_16block_id_wrapperIjLb0EEEEE10hipError_tT1_PNSt15iterator_traitsISG_E10value_typeET2_T3_PNSH_ISM_E10value_typeET4_T5_PSR_SS_PNS1_23onesweep_lookback_stateEbbT6_jjT7_P12ihipStream_tbENKUlT_T0_SG_SL_E_clIS7_S7_S7_SB_EEDaSZ_S10_SG_SL_EUlSZ_E_NS1_11comp_targetILNS1_3genE0ELNS1_11target_archE4294967295ELNS1_3gpuE0ELNS1_3repE0EEENS1_47radix_sort_onesweep_sort_config_static_selectorELNS0_4arch9wavefront6targetE1EEEvSG_.num_named_barrier, 0
	.set _ZN7rocprim17ROCPRIM_400000_NS6detail17trampoline_kernelINS0_14default_configENS1_35radix_sort_onesweep_config_selectorIllEEZZNS1_29radix_sort_onesweep_iterationIS3_Lb0EPlS7_N6thrust23THRUST_200600_302600_NS10device_ptrIlEESB_jNS0_19identity_decomposerENS1_16block_id_wrapperIjLb0EEEEE10hipError_tT1_PNSt15iterator_traitsISG_E10value_typeET2_T3_PNSH_ISM_E10value_typeET4_T5_PSR_SS_PNS1_23onesweep_lookback_stateEbbT6_jjT7_P12ihipStream_tbENKUlT_T0_SG_SL_E_clIS7_S7_S7_SB_EEDaSZ_S10_SG_SL_EUlSZ_E_NS1_11comp_targetILNS1_3genE0ELNS1_11target_archE4294967295ELNS1_3gpuE0ELNS1_3repE0EEENS1_47radix_sort_onesweep_sort_config_static_selectorELNS0_4arch9wavefront6targetE1EEEvSG_.private_seg_size, 0
	.set _ZN7rocprim17ROCPRIM_400000_NS6detail17trampoline_kernelINS0_14default_configENS1_35radix_sort_onesweep_config_selectorIllEEZZNS1_29radix_sort_onesweep_iterationIS3_Lb0EPlS7_N6thrust23THRUST_200600_302600_NS10device_ptrIlEESB_jNS0_19identity_decomposerENS1_16block_id_wrapperIjLb0EEEEE10hipError_tT1_PNSt15iterator_traitsISG_E10value_typeET2_T3_PNSH_ISM_E10value_typeET4_T5_PSR_SS_PNS1_23onesweep_lookback_stateEbbT6_jjT7_P12ihipStream_tbENKUlT_T0_SG_SL_E_clIS7_S7_S7_SB_EEDaSZ_S10_SG_SL_EUlSZ_E_NS1_11comp_targetILNS1_3genE0ELNS1_11target_archE4294967295ELNS1_3gpuE0ELNS1_3repE0EEENS1_47radix_sort_onesweep_sort_config_static_selectorELNS0_4arch9wavefront6targetE1EEEvSG_.uses_vcc, 0
	.set _ZN7rocprim17ROCPRIM_400000_NS6detail17trampoline_kernelINS0_14default_configENS1_35radix_sort_onesweep_config_selectorIllEEZZNS1_29radix_sort_onesweep_iterationIS3_Lb0EPlS7_N6thrust23THRUST_200600_302600_NS10device_ptrIlEESB_jNS0_19identity_decomposerENS1_16block_id_wrapperIjLb0EEEEE10hipError_tT1_PNSt15iterator_traitsISG_E10value_typeET2_T3_PNSH_ISM_E10value_typeET4_T5_PSR_SS_PNS1_23onesweep_lookback_stateEbbT6_jjT7_P12ihipStream_tbENKUlT_T0_SG_SL_E_clIS7_S7_S7_SB_EEDaSZ_S10_SG_SL_EUlSZ_E_NS1_11comp_targetILNS1_3genE0ELNS1_11target_archE4294967295ELNS1_3gpuE0ELNS1_3repE0EEENS1_47radix_sort_onesweep_sort_config_static_selectorELNS0_4arch9wavefront6targetE1EEEvSG_.uses_flat_scratch, 0
	.set _ZN7rocprim17ROCPRIM_400000_NS6detail17trampoline_kernelINS0_14default_configENS1_35radix_sort_onesweep_config_selectorIllEEZZNS1_29radix_sort_onesweep_iterationIS3_Lb0EPlS7_N6thrust23THRUST_200600_302600_NS10device_ptrIlEESB_jNS0_19identity_decomposerENS1_16block_id_wrapperIjLb0EEEEE10hipError_tT1_PNSt15iterator_traitsISG_E10value_typeET2_T3_PNSH_ISM_E10value_typeET4_T5_PSR_SS_PNS1_23onesweep_lookback_stateEbbT6_jjT7_P12ihipStream_tbENKUlT_T0_SG_SL_E_clIS7_S7_S7_SB_EEDaSZ_S10_SG_SL_EUlSZ_E_NS1_11comp_targetILNS1_3genE0ELNS1_11target_archE4294967295ELNS1_3gpuE0ELNS1_3repE0EEENS1_47radix_sort_onesweep_sort_config_static_selectorELNS0_4arch9wavefront6targetE1EEEvSG_.has_dyn_sized_stack, 0
	.set _ZN7rocprim17ROCPRIM_400000_NS6detail17trampoline_kernelINS0_14default_configENS1_35radix_sort_onesweep_config_selectorIllEEZZNS1_29radix_sort_onesweep_iterationIS3_Lb0EPlS7_N6thrust23THRUST_200600_302600_NS10device_ptrIlEESB_jNS0_19identity_decomposerENS1_16block_id_wrapperIjLb0EEEEE10hipError_tT1_PNSt15iterator_traitsISG_E10value_typeET2_T3_PNSH_ISM_E10value_typeET4_T5_PSR_SS_PNS1_23onesweep_lookback_stateEbbT6_jjT7_P12ihipStream_tbENKUlT_T0_SG_SL_E_clIS7_S7_S7_SB_EEDaSZ_S10_SG_SL_EUlSZ_E_NS1_11comp_targetILNS1_3genE0ELNS1_11target_archE4294967295ELNS1_3gpuE0ELNS1_3repE0EEENS1_47radix_sort_onesweep_sort_config_static_selectorELNS0_4arch9wavefront6targetE1EEEvSG_.has_recursion, 0
	.set _ZN7rocprim17ROCPRIM_400000_NS6detail17trampoline_kernelINS0_14default_configENS1_35radix_sort_onesweep_config_selectorIllEEZZNS1_29radix_sort_onesweep_iterationIS3_Lb0EPlS7_N6thrust23THRUST_200600_302600_NS10device_ptrIlEESB_jNS0_19identity_decomposerENS1_16block_id_wrapperIjLb0EEEEE10hipError_tT1_PNSt15iterator_traitsISG_E10value_typeET2_T3_PNSH_ISM_E10value_typeET4_T5_PSR_SS_PNS1_23onesweep_lookback_stateEbbT6_jjT7_P12ihipStream_tbENKUlT_T0_SG_SL_E_clIS7_S7_S7_SB_EEDaSZ_S10_SG_SL_EUlSZ_E_NS1_11comp_targetILNS1_3genE0ELNS1_11target_archE4294967295ELNS1_3gpuE0ELNS1_3repE0EEENS1_47radix_sort_onesweep_sort_config_static_selectorELNS0_4arch9wavefront6targetE1EEEvSG_.has_indirect_call, 0
	.section	.AMDGPU.csdata,"",@progbits
; Kernel info:
; codeLenInByte = 0
; TotalNumSgprs: 4
; NumVgprs: 0
; ScratchSize: 0
; MemoryBound: 0
; FloatMode: 240
; IeeeMode: 1
; LDSByteSize: 0 bytes/workgroup (compile time only)
; SGPRBlocks: 0
; VGPRBlocks: 0
; NumSGPRsForWavesPerEU: 4
; NumVGPRsForWavesPerEU: 1
; Occupancy: 10
; WaveLimiterHint : 0
; COMPUTE_PGM_RSRC2:SCRATCH_EN: 0
; COMPUTE_PGM_RSRC2:USER_SGPR: 6
; COMPUTE_PGM_RSRC2:TRAP_HANDLER: 0
; COMPUTE_PGM_RSRC2:TGID_X_EN: 1
; COMPUTE_PGM_RSRC2:TGID_Y_EN: 0
; COMPUTE_PGM_RSRC2:TGID_Z_EN: 0
; COMPUTE_PGM_RSRC2:TIDIG_COMP_CNT: 0
	.section	.text._ZN7rocprim17ROCPRIM_400000_NS6detail17trampoline_kernelINS0_14default_configENS1_35radix_sort_onesweep_config_selectorIllEEZZNS1_29radix_sort_onesweep_iterationIS3_Lb0EPlS7_N6thrust23THRUST_200600_302600_NS10device_ptrIlEESB_jNS0_19identity_decomposerENS1_16block_id_wrapperIjLb0EEEEE10hipError_tT1_PNSt15iterator_traitsISG_E10value_typeET2_T3_PNSH_ISM_E10value_typeET4_T5_PSR_SS_PNS1_23onesweep_lookback_stateEbbT6_jjT7_P12ihipStream_tbENKUlT_T0_SG_SL_E_clIS7_S7_S7_SB_EEDaSZ_S10_SG_SL_EUlSZ_E_NS1_11comp_targetILNS1_3genE6ELNS1_11target_archE950ELNS1_3gpuE13ELNS1_3repE0EEENS1_47radix_sort_onesweep_sort_config_static_selectorELNS0_4arch9wavefront6targetE1EEEvSG_,"axG",@progbits,_ZN7rocprim17ROCPRIM_400000_NS6detail17trampoline_kernelINS0_14default_configENS1_35radix_sort_onesweep_config_selectorIllEEZZNS1_29radix_sort_onesweep_iterationIS3_Lb0EPlS7_N6thrust23THRUST_200600_302600_NS10device_ptrIlEESB_jNS0_19identity_decomposerENS1_16block_id_wrapperIjLb0EEEEE10hipError_tT1_PNSt15iterator_traitsISG_E10value_typeET2_T3_PNSH_ISM_E10value_typeET4_T5_PSR_SS_PNS1_23onesweep_lookback_stateEbbT6_jjT7_P12ihipStream_tbENKUlT_T0_SG_SL_E_clIS7_S7_S7_SB_EEDaSZ_S10_SG_SL_EUlSZ_E_NS1_11comp_targetILNS1_3genE6ELNS1_11target_archE950ELNS1_3gpuE13ELNS1_3repE0EEENS1_47radix_sort_onesweep_sort_config_static_selectorELNS0_4arch9wavefront6targetE1EEEvSG_,comdat
	.protected	_ZN7rocprim17ROCPRIM_400000_NS6detail17trampoline_kernelINS0_14default_configENS1_35radix_sort_onesweep_config_selectorIllEEZZNS1_29radix_sort_onesweep_iterationIS3_Lb0EPlS7_N6thrust23THRUST_200600_302600_NS10device_ptrIlEESB_jNS0_19identity_decomposerENS1_16block_id_wrapperIjLb0EEEEE10hipError_tT1_PNSt15iterator_traitsISG_E10value_typeET2_T3_PNSH_ISM_E10value_typeET4_T5_PSR_SS_PNS1_23onesweep_lookback_stateEbbT6_jjT7_P12ihipStream_tbENKUlT_T0_SG_SL_E_clIS7_S7_S7_SB_EEDaSZ_S10_SG_SL_EUlSZ_E_NS1_11comp_targetILNS1_3genE6ELNS1_11target_archE950ELNS1_3gpuE13ELNS1_3repE0EEENS1_47radix_sort_onesweep_sort_config_static_selectorELNS0_4arch9wavefront6targetE1EEEvSG_ ; -- Begin function _ZN7rocprim17ROCPRIM_400000_NS6detail17trampoline_kernelINS0_14default_configENS1_35radix_sort_onesweep_config_selectorIllEEZZNS1_29radix_sort_onesweep_iterationIS3_Lb0EPlS7_N6thrust23THRUST_200600_302600_NS10device_ptrIlEESB_jNS0_19identity_decomposerENS1_16block_id_wrapperIjLb0EEEEE10hipError_tT1_PNSt15iterator_traitsISG_E10value_typeET2_T3_PNSH_ISM_E10value_typeET4_T5_PSR_SS_PNS1_23onesweep_lookback_stateEbbT6_jjT7_P12ihipStream_tbENKUlT_T0_SG_SL_E_clIS7_S7_S7_SB_EEDaSZ_S10_SG_SL_EUlSZ_E_NS1_11comp_targetILNS1_3genE6ELNS1_11target_archE950ELNS1_3gpuE13ELNS1_3repE0EEENS1_47radix_sort_onesweep_sort_config_static_selectorELNS0_4arch9wavefront6targetE1EEEvSG_
	.globl	_ZN7rocprim17ROCPRIM_400000_NS6detail17trampoline_kernelINS0_14default_configENS1_35radix_sort_onesweep_config_selectorIllEEZZNS1_29radix_sort_onesweep_iterationIS3_Lb0EPlS7_N6thrust23THRUST_200600_302600_NS10device_ptrIlEESB_jNS0_19identity_decomposerENS1_16block_id_wrapperIjLb0EEEEE10hipError_tT1_PNSt15iterator_traitsISG_E10value_typeET2_T3_PNSH_ISM_E10value_typeET4_T5_PSR_SS_PNS1_23onesweep_lookback_stateEbbT6_jjT7_P12ihipStream_tbENKUlT_T0_SG_SL_E_clIS7_S7_S7_SB_EEDaSZ_S10_SG_SL_EUlSZ_E_NS1_11comp_targetILNS1_3genE6ELNS1_11target_archE950ELNS1_3gpuE13ELNS1_3repE0EEENS1_47radix_sort_onesweep_sort_config_static_selectorELNS0_4arch9wavefront6targetE1EEEvSG_
	.p2align	8
	.type	_ZN7rocprim17ROCPRIM_400000_NS6detail17trampoline_kernelINS0_14default_configENS1_35radix_sort_onesweep_config_selectorIllEEZZNS1_29radix_sort_onesweep_iterationIS3_Lb0EPlS7_N6thrust23THRUST_200600_302600_NS10device_ptrIlEESB_jNS0_19identity_decomposerENS1_16block_id_wrapperIjLb0EEEEE10hipError_tT1_PNSt15iterator_traitsISG_E10value_typeET2_T3_PNSH_ISM_E10value_typeET4_T5_PSR_SS_PNS1_23onesweep_lookback_stateEbbT6_jjT7_P12ihipStream_tbENKUlT_T0_SG_SL_E_clIS7_S7_S7_SB_EEDaSZ_S10_SG_SL_EUlSZ_E_NS1_11comp_targetILNS1_3genE6ELNS1_11target_archE950ELNS1_3gpuE13ELNS1_3repE0EEENS1_47radix_sort_onesweep_sort_config_static_selectorELNS0_4arch9wavefront6targetE1EEEvSG_,@function
_ZN7rocprim17ROCPRIM_400000_NS6detail17trampoline_kernelINS0_14default_configENS1_35radix_sort_onesweep_config_selectorIllEEZZNS1_29radix_sort_onesweep_iterationIS3_Lb0EPlS7_N6thrust23THRUST_200600_302600_NS10device_ptrIlEESB_jNS0_19identity_decomposerENS1_16block_id_wrapperIjLb0EEEEE10hipError_tT1_PNSt15iterator_traitsISG_E10value_typeET2_T3_PNSH_ISM_E10value_typeET4_T5_PSR_SS_PNS1_23onesweep_lookback_stateEbbT6_jjT7_P12ihipStream_tbENKUlT_T0_SG_SL_E_clIS7_S7_S7_SB_EEDaSZ_S10_SG_SL_EUlSZ_E_NS1_11comp_targetILNS1_3genE6ELNS1_11target_archE950ELNS1_3gpuE13ELNS1_3repE0EEENS1_47radix_sort_onesweep_sort_config_static_selectorELNS0_4arch9wavefront6targetE1EEEvSG_: ; @_ZN7rocprim17ROCPRIM_400000_NS6detail17trampoline_kernelINS0_14default_configENS1_35radix_sort_onesweep_config_selectorIllEEZZNS1_29radix_sort_onesweep_iterationIS3_Lb0EPlS7_N6thrust23THRUST_200600_302600_NS10device_ptrIlEESB_jNS0_19identity_decomposerENS1_16block_id_wrapperIjLb0EEEEE10hipError_tT1_PNSt15iterator_traitsISG_E10value_typeET2_T3_PNSH_ISM_E10value_typeET4_T5_PSR_SS_PNS1_23onesweep_lookback_stateEbbT6_jjT7_P12ihipStream_tbENKUlT_T0_SG_SL_E_clIS7_S7_S7_SB_EEDaSZ_S10_SG_SL_EUlSZ_E_NS1_11comp_targetILNS1_3genE6ELNS1_11target_archE950ELNS1_3gpuE13ELNS1_3repE0EEENS1_47radix_sort_onesweep_sort_config_static_selectorELNS0_4arch9wavefront6targetE1EEEvSG_
; %bb.0:
	.section	.rodata,"a",@progbits
	.p2align	6, 0x0
	.amdhsa_kernel _ZN7rocprim17ROCPRIM_400000_NS6detail17trampoline_kernelINS0_14default_configENS1_35radix_sort_onesweep_config_selectorIllEEZZNS1_29radix_sort_onesweep_iterationIS3_Lb0EPlS7_N6thrust23THRUST_200600_302600_NS10device_ptrIlEESB_jNS0_19identity_decomposerENS1_16block_id_wrapperIjLb0EEEEE10hipError_tT1_PNSt15iterator_traitsISG_E10value_typeET2_T3_PNSH_ISM_E10value_typeET4_T5_PSR_SS_PNS1_23onesweep_lookback_stateEbbT6_jjT7_P12ihipStream_tbENKUlT_T0_SG_SL_E_clIS7_S7_S7_SB_EEDaSZ_S10_SG_SL_EUlSZ_E_NS1_11comp_targetILNS1_3genE6ELNS1_11target_archE950ELNS1_3gpuE13ELNS1_3repE0EEENS1_47radix_sort_onesweep_sort_config_static_selectorELNS0_4arch9wavefront6targetE1EEEvSG_
		.amdhsa_group_segment_fixed_size 0
		.amdhsa_private_segment_fixed_size 0
		.amdhsa_kernarg_size 88
		.amdhsa_user_sgpr_count 6
		.amdhsa_user_sgpr_private_segment_buffer 1
		.amdhsa_user_sgpr_dispatch_ptr 0
		.amdhsa_user_sgpr_queue_ptr 0
		.amdhsa_user_sgpr_kernarg_segment_ptr 1
		.amdhsa_user_sgpr_dispatch_id 0
		.amdhsa_user_sgpr_flat_scratch_init 0
		.amdhsa_user_sgpr_private_segment_size 0
		.amdhsa_uses_dynamic_stack 0
		.amdhsa_system_sgpr_private_segment_wavefront_offset 0
		.amdhsa_system_sgpr_workgroup_id_x 1
		.amdhsa_system_sgpr_workgroup_id_y 0
		.amdhsa_system_sgpr_workgroup_id_z 0
		.amdhsa_system_sgpr_workgroup_info 0
		.amdhsa_system_vgpr_workitem_id 0
		.amdhsa_next_free_vgpr 1
		.amdhsa_next_free_sgpr 0
		.amdhsa_reserve_vcc 0
		.amdhsa_reserve_flat_scratch 0
		.amdhsa_float_round_mode_32 0
		.amdhsa_float_round_mode_16_64 0
		.amdhsa_float_denorm_mode_32 3
		.amdhsa_float_denorm_mode_16_64 3
		.amdhsa_dx10_clamp 1
		.amdhsa_ieee_mode 1
		.amdhsa_fp16_overflow 0
		.amdhsa_exception_fp_ieee_invalid_op 0
		.amdhsa_exception_fp_denorm_src 0
		.amdhsa_exception_fp_ieee_div_zero 0
		.amdhsa_exception_fp_ieee_overflow 0
		.amdhsa_exception_fp_ieee_underflow 0
		.amdhsa_exception_fp_ieee_inexact 0
		.amdhsa_exception_int_div_zero 0
	.end_amdhsa_kernel
	.section	.text._ZN7rocprim17ROCPRIM_400000_NS6detail17trampoline_kernelINS0_14default_configENS1_35radix_sort_onesweep_config_selectorIllEEZZNS1_29radix_sort_onesweep_iterationIS3_Lb0EPlS7_N6thrust23THRUST_200600_302600_NS10device_ptrIlEESB_jNS0_19identity_decomposerENS1_16block_id_wrapperIjLb0EEEEE10hipError_tT1_PNSt15iterator_traitsISG_E10value_typeET2_T3_PNSH_ISM_E10value_typeET4_T5_PSR_SS_PNS1_23onesweep_lookback_stateEbbT6_jjT7_P12ihipStream_tbENKUlT_T0_SG_SL_E_clIS7_S7_S7_SB_EEDaSZ_S10_SG_SL_EUlSZ_E_NS1_11comp_targetILNS1_3genE6ELNS1_11target_archE950ELNS1_3gpuE13ELNS1_3repE0EEENS1_47radix_sort_onesweep_sort_config_static_selectorELNS0_4arch9wavefront6targetE1EEEvSG_,"axG",@progbits,_ZN7rocprim17ROCPRIM_400000_NS6detail17trampoline_kernelINS0_14default_configENS1_35radix_sort_onesweep_config_selectorIllEEZZNS1_29radix_sort_onesweep_iterationIS3_Lb0EPlS7_N6thrust23THRUST_200600_302600_NS10device_ptrIlEESB_jNS0_19identity_decomposerENS1_16block_id_wrapperIjLb0EEEEE10hipError_tT1_PNSt15iterator_traitsISG_E10value_typeET2_T3_PNSH_ISM_E10value_typeET4_T5_PSR_SS_PNS1_23onesweep_lookback_stateEbbT6_jjT7_P12ihipStream_tbENKUlT_T0_SG_SL_E_clIS7_S7_S7_SB_EEDaSZ_S10_SG_SL_EUlSZ_E_NS1_11comp_targetILNS1_3genE6ELNS1_11target_archE950ELNS1_3gpuE13ELNS1_3repE0EEENS1_47radix_sort_onesweep_sort_config_static_selectorELNS0_4arch9wavefront6targetE1EEEvSG_,comdat
.Lfunc_end1178:
	.size	_ZN7rocprim17ROCPRIM_400000_NS6detail17trampoline_kernelINS0_14default_configENS1_35radix_sort_onesweep_config_selectorIllEEZZNS1_29radix_sort_onesweep_iterationIS3_Lb0EPlS7_N6thrust23THRUST_200600_302600_NS10device_ptrIlEESB_jNS0_19identity_decomposerENS1_16block_id_wrapperIjLb0EEEEE10hipError_tT1_PNSt15iterator_traitsISG_E10value_typeET2_T3_PNSH_ISM_E10value_typeET4_T5_PSR_SS_PNS1_23onesweep_lookback_stateEbbT6_jjT7_P12ihipStream_tbENKUlT_T0_SG_SL_E_clIS7_S7_S7_SB_EEDaSZ_S10_SG_SL_EUlSZ_E_NS1_11comp_targetILNS1_3genE6ELNS1_11target_archE950ELNS1_3gpuE13ELNS1_3repE0EEENS1_47radix_sort_onesweep_sort_config_static_selectorELNS0_4arch9wavefront6targetE1EEEvSG_, .Lfunc_end1178-_ZN7rocprim17ROCPRIM_400000_NS6detail17trampoline_kernelINS0_14default_configENS1_35radix_sort_onesweep_config_selectorIllEEZZNS1_29radix_sort_onesweep_iterationIS3_Lb0EPlS7_N6thrust23THRUST_200600_302600_NS10device_ptrIlEESB_jNS0_19identity_decomposerENS1_16block_id_wrapperIjLb0EEEEE10hipError_tT1_PNSt15iterator_traitsISG_E10value_typeET2_T3_PNSH_ISM_E10value_typeET4_T5_PSR_SS_PNS1_23onesweep_lookback_stateEbbT6_jjT7_P12ihipStream_tbENKUlT_T0_SG_SL_E_clIS7_S7_S7_SB_EEDaSZ_S10_SG_SL_EUlSZ_E_NS1_11comp_targetILNS1_3genE6ELNS1_11target_archE950ELNS1_3gpuE13ELNS1_3repE0EEENS1_47radix_sort_onesweep_sort_config_static_selectorELNS0_4arch9wavefront6targetE1EEEvSG_
                                        ; -- End function
	.set _ZN7rocprim17ROCPRIM_400000_NS6detail17trampoline_kernelINS0_14default_configENS1_35radix_sort_onesweep_config_selectorIllEEZZNS1_29radix_sort_onesweep_iterationIS3_Lb0EPlS7_N6thrust23THRUST_200600_302600_NS10device_ptrIlEESB_jNS0_19identity_decomposerENS1_16block_id_wrapperIjLb0EEEEE10hipError_tT1_PNSt15iterator_traitsISG_E10value_typeET2_T3_PNSH_ISM_E10value_typeET4_T5_PSR_SS_PNS1_23onesweep_lookback_stateEbbT6_jjT7_P12ihipStream_tbENKUlT_T0_SG_SL_E_clIS7_S7_S7_SB_EEDaSZ_S10_SG_SL_EUlSZ_E_NS1_11comp_targetILNS1_3genE6ELNS1_11target_archE950ELNS1_3gpuE13ELNS1_3repE0EEENS1_47radix_sort_onesweep_sort_config_static_selectorELNS0_4arch9wavefront6targetE1EEEvSG_.num_vgpr, 0
	.set _ZN7rocprim17ROCPRIM_400000_NS6detail17trampoline_kernelINS0_14default_configENS1_35radix_sort_onesweep_config_selectorIllEEZZNS1_29radix_sort_onesweep_iterationIS3_Lb0EPlS7_N6thrust23THRUST_200600_302600_NS10device_ptrIlEESB_jNS0_19identity_decomposerENS1_16block_id_wrapperIjLb0EEEEE10hipError_tT1_PNSt15iterator_traitsISG_E10value_typeET2_T3_PNSH_ISM_E10value_typeET4_T5_PSR_SS_PNS1_23onesweep_lookback_stateEbbT6_jjT7_P12ihipStream_tbENKUlT_T0_SG_SL_E_clIS7_S7_S7_SB_EEDaSZ_S10_SG_SL_EUlSZ_E_NS1_11comp_targetILNS1_3genE6ELNS1_11target_archE950ELNS1_3gpuE13ELNS1_3repE0EEENS1_47radix_sort_onesweep_sort_config_static_selectorELNS0_4arch9wavefront6targetE1EEEvSG_.num_agpr, 0
	.set _ZN7rocprim17ROCPRIM_400000_NS6detail17trampoline_kernelINS0_14default_configENS1_35radix_sort_onesweep_config_selectorIllEEZZNS1_29radix_sort_onesweep_iterationIS3_Lb0EPlS7_N6thrust23THRUST_200600_302600_NS10device_ptrIlEESB_jNS0_19identity_decomposerENS1_16block_id_wrapperIjLb0EEEEE10hipError_tT1_PNSt15iterator_traitsISG_E10value_typeET2_T3_PNSH_ISM_E10value_typeET4_T5_PSR_SS_PNS1_23onesweep_lookback_stateEbbT6_jjT7_P12ihipStream_tbENKUlT_T0_SG_SL_E_clIS7_S7_S7_SB_EEDaSZ_S10_SG_SL_EUlSZ_E_NS1_11comp_targetILNS1_3genE6ELNS1_11target_archE950ELNS1_3gpuE13ELNS1_3repE0EEENS1_47radix_sort_onesweep_sort_config_static_selectorELNS0_4arch9wavefront6targetE1EEEvSG_.numbered_sgpr, 0
	.set _ZN7rocprim17ROCPRIM_400000_NS6detail17trampoline_kernelINS0_14default_configENS1_35radix_sort_onesweep_config_selectorIllEEZZNS1_29radix_sort_onesweep_iterationIS3_Lb0EPlS7_N6thrust23THRUST_200600_302600_NS10device_ptrIlEESB_jNS0_19identity_decomposerENS1_16block_id_wrapperIjLb0EEEEE10hipError_tT1_PNSt15iterator_traitsISG_E10value_typeET2_T3_PNSH_ISM_E10value_typeET4_T5_PSR_SS_PNS1_23onesweep_lookback_stateEbbT6_jjT7_P12ihipStream_tbENKUlT_T0_SG_SL_E_clIS7_S7_S7_SB_EEDaSZ_S10_SG_SL_EUlSZ_E_NS1_11comp_targetILNS1_3genE6ELNS1_11target_archE950ELNS1_3gpuE13ELNS1_3repE0EEENS1_47radix_sort_onesweep_sort_config_static_selectorELNS0_4arch9wavefront6targetE1EEEvSG_.num_named_barrier, 0
	.set _ZN7rocprim17ROCPRIM_400000_NS6detail17trampoline_kernelINS0_14default_configENS1_35radix_sort_onesweep_config_selectorIllEEZZNS1_29radix_sort_onesweep_iterationIS3_Lb0EPlS7_N6thrust23THRUST_200600_302600_NS10device_ptrIlEESB_jNS0_19identity_decomposerENS1_16block_id_wrapperIjLb0EEEEE10hipError_tT1_PNSt15iterator_traitsISG_E10value_typeET2_T3_PNSH_ISM_E10value_typeET4_T5_PSR_SS_PNS1_23onesweep_lookback_stateEbbT6_jjT7_P12ihipStream_tbENKUlT_T0_SG_SL_E_clIS7_S7_S7_SB_EEDaSZ_S10_SG_SL_EUlSZ_E_NS1_11comp_targetILNS1_3genE6ELNS1_11target_archE950ELNS1_3gpuE13ELNS1_3repE0EEENS1_47radix_sort_onesweep_sort_config_static_selectorELNS0_4arch9wavefront6targetE1EEEvSG_.private_seg_size, 0
	.set _ZN7rocprim17ROCPRIM_400000_NS6detail17trampoline_kernelINS0_14default_configENS1_35radix_sort_onesweep_config_selectorIllEEZZNS1_29radix_sort_onesweep_iterationIS3_Lb0EPlS7_N6thrust23THRUST_200600_302600_NS10device_ptrIlEESB_jNS0_19identity_decomposerENS1_16block_id_wrapperIjLb0EEEEE10hipError_tT1_PNSt15iterator_traitsISG_E10value_typeET2_T3_PNSH_ISM_E10value_typeET4_T5_PSR_SS_PNS1_23onesweep_lookback_stateEbbT6_jjT7_P12ihipStream_tbENKUlT_T0_SG_SL_E_clIS7_S7_S7_SB_EEDaSZ_S10_SG_SL_EUlSZ_E_NS1_11comp_targetILNS1_3genE6ELNS1_11target_archE950ELNS1_3gpuE13ELNS1_3repE0EEENS1_47radix_sort_onesweep_sort_config_static_selectorELNS0_4arch9wavefront6targetE1EEEvSG_.uses_vcc, 0
	.set _ZN7rocprim17ROCPRIM_400000_NS6detail17trampoline_kernelINS0_14default_configENS1_35radix_sort_onesweep_config_selectorIllEEZZNS1_29radix_sort_onesweep_iterationIS3_Lb0EPlS7_N6thrust23THRUST_200600_302600_NS10device_ptrIlEESB_jNS0_19identity_decomposerENS1_16block_id_wrapperIjLb0EEEEE10hipError_tT1_PNSt15iterator_traitsISG_E10value_typeET2_T3_PNSH_ISM_E10value_typeET4_T5_PSR_SS_PNS1_23onesweep_lookback_stateEbbT6_jjT7_P12ihipStream_tbENKUlT_T0_SG_SL_E_clIS7_S7_S7_SB_EEDaSZ_S10_SG_SL_EUlSZ_E_NS1_11comp_targetILNS1_3genE6ELNS1_11target_archE950ELNS1_3gpuE13ELNS1_3repE0EEENS1_47radix_sort_onesweep_sort_config_static_selectorELNS0_4arch9wavefront6targetE1EEEvSG_.uses_flat_scratch, 0
	.set _ZN7rocprim17ROCPRIM_400000_NS6detail17trampoline_kernelINS0_14default_configENS1_35radix_sort_onesweep_config_selectorIllEEZZNS1_29radix_sort_onesweep_iterationIS3_Lb0EPlS7_N6thrust23THRUST_200600_302600_NS10device_ptrIlEESB_jNS0_19identity_decomposerENS1_16block_id_wrapperIjLb0EEEEE10hipError_tT1_PNSt15iterator_traitsISG_E10value_typeET2_T3_PNSH_ISM_E10value_typeET4_T5_PSR_SS_PNS1_23onesweep_lookback_stateEbbT6_jjT7_P12ihipStream_tbENKUlT_T0_SG_SL_E_clIS7_S7_S7_SB_EEDaSZ_S10_SG_SL_EUlSZ_E_NS1_11comp_targetILNS1_3genE6ELNS1_11target_archE950ELNS1_3gpuE13ELNS1_3repE0EEENS1_47radix_sort_onesweep_sort_config_static_selectorELNS0_4arch9wavefront6targetE1EEEvSG_.has_dyn_sized_stack, 0
	.set _ZN7rocprim17ROCPRIM_400000_NS6detail17trampoline_kernelINS0_14default_configENS1_35radix_sort_onesweep_config_selectorIllEEZZNS1_29radix_sort_onesweep_iterationIS3_Lb0EPlS7_N6thrust23THRUST_200600_302600_NS10device_ptrIlEESB_jNS0_19identity_decomposerENS1_16block_id_wrapperIjLb0EEEEE10hipError_tT1_PNSt15iterator_traitsISG_E10value_typeET2_T3_PNSH_ISM_E10value_typeET4_T5_PSR_SS_PNS1_23onesweep_lookback_stateEbbT6_jjT7_P12ihipStream_tbENKUlT_T0_SG_SL_E_clIS7_S7_S7_SB_EEDaSZ_S10_SG_SL_EUlSZ_E_NS1_11comp_targetILNS1_3genE6ELNS1_11target_archE950ELNS1_3gpuE13ELNS1_3repE0EEENS1_47radix_sort_onesweep_sort_config_static_selectorELNS0_4arch9wavefront6targetE1EEEvSG_.has_recursion, 0
	.set _ZN7rocprim17ROCPRIM_400000_NS6detail17trampoline_kernelINS0_14default_configENS1_35radix_sort_onesweep_config_selectorIllEEZZNS1_29radix_sort_onesweep_iterationIS3_Lb0EPlS7_N6thrust23THRUST_200600_302600_NS10device_ptrIlEESB_jNS0_19identity_decomposerENS1_16block_id_wrapperIjLb0EEEEE10hipError_tT1_PNSt15iterator_traitsISG_E10value_typeET2_T3_PNSH_ISM_E10value_typeET4_T5_PSR_SS_PNS1_23onesweep_lookback_stateEbbT6_jjT7_P12ihipStream_tbENKUlT_T0_SG_SL_E_clIS7_S7_S7_SB_EEDaSZ_S10_SG_SL_EUlSZ_E_NS1_11comp_targetILNS1_3genE6ELNS1_11target_archE950ELNS1_3gpuE13ELNS1_3repE0EEENS1_47radix_sort_onesweep_sort_config_static_selectorELNS0_4arch9wavefront6targetE1EEEvSG_.has_indirect_call, 0
	.section	.AMDGPU.csdata,"",@progbits
; Kernel info:
; codeLenInByte = 0
; TotalNumSgprs: 4
; NumVgprs: 0
; ScratchSize: 0
; MemoryBound: 0
; FloatMode: 240
; IeeeMode: 1
; LDSByteSize: 0 bytes/workgroup (compile time only)
; SGPRBlocks: 0
; VGPRBlocks: 0
; NumSGPRsForWavesPerEU: 4
; NumVGPRsForWavesPerEU: 1
; Occupancy: 10
; WaveLimiterHint : 0
; COMPUTE_PGM_RSRC2:SCRATCH_EN: 0
; COMPUTE_PGM_RSRC2:USER_SGPR: 6
; COMPUTE_PGM_RSRC2:TRAP_HANDLER: 0
; COMPUTE_PGM_RSRC2:TGID_X_EN: 1
; COMPUTE_PGM_RSRC2:TGID_Y_EN: 0
; COMPUTE_PGM_RSRC2:TGID_Z_EN: 0
; COMPUTE_PGM_RSRC2:TIDIG_COMP_CNT: 0
	.section	.text._ZN7rocprim17ROCPRIM_400000_NS6detail17trampoline_kernelINS0_14default_configENS1_35radix_sort_onesweep_config_selectorIllEEZZNS1_29radix_sort_onesweep_iterationIS3_Lb0EPlS7_N6thrust23THRUST_200600_302600_NS10device_ptrIlEESB_jNS0_19identity_decomposerENS1_16block_id_wrapperIjLb0EEEEE10hipError_tT1_PNSt15iterator_traitsISG_E10value_typeET2_T3_PNSH_ISM_E10value_typeET4_T5_PSR_SS_PNS1_23onesweep_lookback_stateEbbT6_jjT7_P12ihipStream_tbENKUlT_T0_SG_SL_E_clIS7_S7_S7_SB_EEDaSZ_S10_SG_SL_EUlSZ_E_NS1_11comp_targetILNS1_3genE5ELNS1_11target_archE942ELNS1_3gpuE9ELNS1_3repE0EEENS1_47radix_sort_onesweep_sort_config_static_selectorELNS0_4arch9wavefront6targetE1EEEvSG_,"axG",@progbits,_ZN7rocprim17ROCPRIM_400000_NS6detail17trampoline_kernelINS0_14default_configENS1_35radix_sort_onesweep_config_selectorIllEEZZNS1_29radix_sort_onesweep_iterationIS3_Lb0EPlS7_N6thrust23THRUST_200600_302600_NS10device_ptrIlEESB_jNS0_19identity_decomposerENS1_16block_id_wrapperIjLb0EEEEE10hipError_tT1_PNSt15iterator_traitsISG_E10value_typeET2_T3_PNSH_ISM_E10value_typeET4_T5_PSR_SS_PNS1_23onesweep_lookback_stateEbbT6_jjT7_P12ihipStream_tbENKUlT_T0_SG_SL_E_clIS7_S7_S7_SB_EEDaSZ_S10_SG_SL_EUlSZ_E_NS1_11comp_targetILNS1_3genE5ELNS1_11target_archE942ELNS1_3gpuE9ELNS1_3repE0EEENS1_47radix_sort_onesweep_sort_config_static_selectorELNS0_4arch9wavefront6targetE1EEEvSG_,comdat
	.protected	_ZN7rocprim17ROCPRIM_400000_NS6detail17trampoline_kernelINS0_14default_configENS1_35radix_sort_onesweep_config_selectorIllEEZZNS1_29radix_sort_onesweep_iterationIS3_Lb0EPlS7_N6thrust23THRUST_200600_302600_NS10device_ptrIlEESB_jNS0_19identity_decomposerENS1_16block_id_wrapperIjLb0EEEEE10hipError_tT1_PNSt15iterator_traitsISG_E10value_typeET2_T3_PNSH_ISM_E10value_typeET4_T5_PSR_SS_PNS1_23onesweep_lookback_stateEbbT6_jjT7_P12ihipStream_tbENKUlT_T0_SG_SL_E_clIS7_S7_S7_SB_EEDaSZ_S10_SG_SL_EUlSZ_E_NS1_11comp_targetILNS1_3genE5ELNS1_11target_archE942ELNS1_3gpuE9ELNS1_3repE0EEENS1_47radix_sort_onesweep_sort_config_static_selectorELNS0_4arch9wavefront6targetE1EEEvSG_ ; -- Begin function _ZN7rocprim17ROCPRIM_400000_NS6detail17trampoline_kernelINS0_14default_configENS1_35radix_sort_onesweep_config_selectorIllEEZZNS1_29radix_sort_onesweep_iterationIS3_Lb0EPlS7_N6thrust23THRUST_200600_302600_NS10device_ptrIlEESB_jNS0_19identity_decomposerENS1_16block_id_wrapperIjLb0EEEEE10hipError_tT1_PNSt15iterator_traitsISG_E10value_typeET2_T3_PNSH_ISM_E10value_typeET4_T5_PSR_SS_PNS1_23onesweep_lookback_stateEbbT6_jjT7_P12ihipStream_tbENKUlT_T0_SG_SL_E_clIS7_S7_S7_SB_EEDaSZ_S10_SG_SL_EUlSZ_E_NS1_11comp_targetILNS1_3genE5ELNS1_11target_archE942ELNS1_3gpuE9ELNS1_3repE0EEENS1_47radix_sort_onesweep_sort_config_static_selectorELNS0_4arch9wavefront6targetE1EEEvSG_
	.globl	_ZN7rocprim17ROCPRIM_400000_NS6detail17trampoline_kernelINS0_14default_configENS1_35radix_sort_onesweep_config_selectorIllEEZZNS1_29radix_sort_onesweep_iterationIS3_Lb0EPlS7_N6thrust23THRUST_200600_302600_NS10device_ptrIlEESB_jNS0_19identity_decomposerENS1_16block_id_wrapperIjLb0EEEEE10hipError_tT1_PNSt15iterator_traitsISG_E10value_typeET2_T3_PNSH_ISM_E10value_typeET4_T5_PSR_SS_PNS1_23onesweep_lookback_stateEbbT6_jjT7_P12ihipStream_tbENKUlT_T0_SG_SL_E_clIS7_S7_S7_SB_EEDaSZ_S10_SG_SL_EUlSZ_E_NS1_11comp_targetILNS1_3genE5ELNS1_11target_archE942ELNS1_3gpuE9ELNS1_3repE0EEENS1_47radix_sort_onesweep_sort_config_static_selectorELNS0_4arch9wavefront6targetE1EEEvSG_
	.p2align	8
	.type	_ZN7rocprim17ROCPRIM_400000_NS6detail17trampoline_kernelINS0_14default_configENS1_35radix_sort_onesweep_config_selectorIllEEZZNS1_29radix_sort_onesweep_iterationIS3_Lb0EPlS7_N6thrust23THRUST_200600_302600_NS10device_ptrIlEESB_jNS0_19identity_decomposerENS1_16block_id_wrapperIjLb0EEEEE10hipError_tT1_PNSt15iterator_traitsISG_E10value_typeET2_T3_PNSH_ISM_E10value_typeET4_T5_PSR_SS_PNS1_23onesweep_lookback_stateEbbT6_jjT7_P12ihipStream_tbENKUlT_T0_SG_SL_E_clIS7_S7_S7_SB_EEDaSZ_S10_SG_SL_EUlSZ_E_NS1_11comp_targetILNS1_3genE5ELNS1_11target_archE942ELNS1_3gpuE9ELNS1_3repE0EEENS1_47radix_sort_onesweep_sort_config_static_selectorELNS0_4arch9wavefront6targetE1EEEvSG_,@function
_ZN7rocprim17ROCPRIM_400000_NS6detail17trampoline_kernelINS0_14default_configENS1_35radix_sort_onesweep_config_selectorIllEEZZNS1_29radix_sort_onesweep_iterationIS3_Lb0EPlS7_N6thrust23THRUST_200600_302600_NS10device_ptrIlEESB_jNS0_19identity_decomposerENS1_16block_id_wrapperIjLb0EEEEE10hipError_tT1_PNSt15iterator_traitsISG_E10value_typeET2_T3_PNSH_ISM_E10value_typeET4_T5_PSR_SS_PNS1_23onesweep_lookback_stateEbbT6_jjT7_P12ihipStream_tbENKUlT_T0_SG_SL_E_clIS7_S7_S7_SB_EEDaSZ_S10_SG_SL_EUlSZ_E_NS1_11comp_targetILNS1_3genE5ELNS1_11target_archE942ELNS1_3gpuE9ELNS1_3repE0EEENS1_47radix_sort_onesweep_sort_config_static_selectorELNS0_4arch9wavefront6targetE1EEEvSG_: ; @_ZN7rocprim17ROCPRIM_400000_NS6detail17trampoline_kernelINS0_14default_configENS1_35radix_sort_onesweep_config_selectorIllEEZZNS1_29radix_sort_onesweep_iterationIS3_Lb0EPlS7_N6thrust23THRUST_200600_302600_NS10device_ptrIlEESB_jNS0_19identity_decomposerENS1_16block_id_wrapperIjLb0EEEEE10hipError_tT1_PNSt15iterator_traitsISG_E10value_typeET2_T3_PNSH_ISM_E10value_typeET4_T5_PSR_SS_PNS1_23onesweep_lookback_stateEbbT6_jjT7_P12ihipStream_tbENKUlT_T0_SG_SL_E_clIS7_S7_S7_SB_EEDaSZ_S10_SG_SL_EUlSZ_E_NS1_11comp_targetILNS1_3genE5ELNS1_11target_archE942ELNS1_3gpuE9ELNS1_3repE0EEENS1_47radix_sort_onesweep_sort_config_static_selectorELNS0_4arch9wavefront6targetE1EEEvSG_
; %bb.0:
	.section	.rodata,"a",@progbits
	.p2align	6, 0x0
	.amdhsa_kernel _ZN7rocprim17ROCPRIM_400000_NS6detail17trampoline_kernelINS0_14default_configENS1_35radix_sort_onesweep_config_selectorIllEEZZNS1_29radix_sort_onesweep_iterationIS3_Lb0EPlS7_N6thrust23THRUST_200600_302600_NS10device_ptrIlEESB_jNS0_19identity_decomposerENS1_16block_id_wrapperIjLb0EEEEE10hipError_tT1_PNSt15iterator_traitsISG_E10value_typeET2_T3_PNSH_ISM_E10value_typeET4_T5_PSR_SS_PNS1_23onesweep_lookback_stateEbbT6_jjT7_P12ihipStream_tbENKUlT_T0_SG_SL_E_clIS7_S7_S7_SB_EEDaSZ_S10_SG_SL_EUlSZ_E_NS1_11comp_targetILNS1_3genE5ELNS1_11target_archE942ELNS1_3gpuE9ELNS1_3repE0EEENS1_47radix_sort_onesweep_sort_config_static_selectorELNS0_4arch9wavefront6targetE1EEEvSG_
		.amdhsa_group_segment_fixed_size 0
		.amdhsa_private_segment_fixed_size 0
		.amdhsa_kernarg_size 88
		.amdhsa_user_sgpr_count 6
		.amdhsa_user_sgpr_private_segment_buffer 1
		.amdhsa_user_sgpr_dispatch_ptr 0
		.amdhsa_user_sgpr_queue_ptr 0
		.amdhsa_user_sgpr_kernarg_segment_ptr 1
		.amdhsa_user_sgpr_dispatch_id 0
		.amdhsa_user_sgpr_flat_scratch_init 0
		.amdhsa_user_sgpr_private_segment_size 0
		.amdhsa_uses_dynamic_stack 0
		.amdhsa_system_sgpr_private_segment_wavefront_offset 0
		.amdhsa_system_sgpr_workgroup_id_x 1
		.amdhsa_system_sgpr_workgroup_id_y 0
		.amdhsa_system_sgpr_workgroup_id_z 0
		.amdhsa_system_sgpr_workgroup_info 0
		.amdhsa_system_vgpr_workitem_id 0
		.amdhsa_next_free_vgpr 1
		.amdhsa_next_free_sgpr 0
		.amdhsa_reserve_vcc 0
		.amdhsa_reserve_flat_scratch 0
		.amdhsa_float_round_mode_32 0
		.amdhsa_float_round_mode_16_64 0
		.amdhsa_float_denorm_mode_32 3
		.amdhsa_float_denorm_mode_16_64 3
		.amdhsa_dx10_clamp 1
		.amdhsa_ieee_mode 1
		.amdhsa_fp16_overflow 0
		.amdhsa_exception_fp_ieee_invalid_op 0
		.amdhsa_exception_fp_denorm_src 0
		.amdhsa_exception_fp_ieee_div_zero 0
		.amdhsa_exception_fp_ieee_overflow 0
		.amdhsa_exception_fp_ieee_underflow 0
		.amdhsa_exception_fp_ieee_inexact 0
		.amdhsa_exception_int_div_zero 0
	.end_amdhsa_kernel
	.section	.text._ZN7rocprim17ROCPRIM_400000_NS6detail17trampoline_kernelINS0_14default_configENS1_35radix_sort_onesweep_config_selectorIllEEZZNS1_29radix_sort_onesweep_iterationIS3_Lb0EPlS7_N6thrust23THRUST_200600_302600_NS10device_ptrIlEESB_jNS0_19identity_decomposerENS1_16block_id_wrapperIjLb0EEEEE10hipError_tT1_PNSt15iterator_traitsISG_E10value_typeET2_T3_PNSH_ISM_E10value_typeET4_T5_PSR_SS_PNS1_23onesweep_lookback_stateEbbT6_jjT7_P12ihipStream_tbENKUlT_T0_SG_SL_E_clIS7_S7_S7_SB_EEDaSZ_S10_SG_SL_EUlSZ_E_NS1_11comp_targetILNS1_3genE5ELNS1_11target_archE942ELNS1_3gpuE9ELNS1_3repE0EEENS1_47radix_sort_onesweep_sort_config_static_selectorELNS0_4arch9wavefront6targetE1EEEvSG_,"axG",@progbits,_ZN7rocprim17ROCPRIM_400000_NS6detail17trampoline_kernelINS0_14default_configENS1_35radix_sort_onesweep_config_selectorIllEEZZNS1_29radix_sort_onesweep_iterationIS3_Lb0EPlS7_N6thrust23THRUST_200600_302600_NS10device_ptrIlEESB_jNS0_19identity_decomposerENS1_16block_id_wrapperIjLb0EEEEE10hipError_tT1_PNSt15iterator_traitsISG_E10value_typeET2_T3_PNSH_ISM_E10value_typeET4_T5_PSR_SS_PNS1_23onesweep_lookback_stateEbbT6_jjT7_P12ihipStream_tbENKUlT_T0_SG_SL_E_clIS7_S7_S7_SB_EEDaSZ_S10_SG_SL_EUlSZ_E_NS1_11comp_targetILNS1_3genE5ELNS1_11target_archE942ELNS1_3gpuE9ELNS1_3repE0EEENS1_47radix_sort_onesweep_sort_config_static_selectorELNS0_4arch9wavefront6targetE1EEEvSG_,comdat
.Lfunc_end1179:
	.size	_ZN7rocprim17ROCPRIM_400000_NS6detail17trampoline_kernelINS0_14default_configENS1_35radix_sort_onesweep_config_selectorIllEEZZNS1_29radix_sort_onesweep_iterationIS3_Lb0EPlS7_N6thrust23THRUST_200600_302600_NS10device_ptrIlEESB_jNS0_19identity_decomposerENS1_16block_id_wrapperIjLb0EEEEE10hipError_tT1_PNSt15iterator_traitsISG_E10value_typeET2_T3_PNSH_ISM_E10value_typeET4_T5_PSR_SS_PNS1_23onesweep_lookback_stateEbbT6_jjT7_P12ihipStream_tbENKUlT_T0_SG_SL_E_clIS7_S7_S7_SB_EEDaSZ_S10_SG_SL_EUlSZ_E_NS1_11comp_targetILNS1_3genE5ELNS1_11target_archE942ELNS1_3gpuE9ELNS1_3repE0EEENS1_47radix_sort_onesweep_sort_config_static_selectorELNS0_4arch9wavefront6targetE1EEEvSG_, .Lfunc_end1179-_ZN7rocprim17ROCPRIM_400000_NS6detail17trampoline_kernelINS0_14default_configENS1_35radix_sort_onesweep_config_selectorIllEEZZNS1_29radix_sort_onesweep_iterationIS3_Lb0EPlS7_N6thrust23THRUST_200600_302600_NS10device_ptrIlEESB_jNS0_19identity_decomposerENS1_16block_id_wrapperIjLb0EEEEE10hipError_tT1_PNSt15iterator_traitsISG_E10value_typeET2_T3_PNSH_ISM_E10value_typeET4_T5_PSR_SS_PNS1_23onesweep_lookback_stateEbbT6_jjT7_P12ihipStream_tbENKUlT_T0_SG_SL_E_clIS7_S7_S7_SB_EEDaSZ_S10_SG_SL_EUlSZ_E_NS1_11comp_targetILNS1_3genE5ELNS1_11target_archE942ELNS1_3gpuE9ELNS1_3repE0EEENS1_47radix_sort_onesweep_sort_config_static_selectorELNS0_4arch9wavefront6targetE1EEEvSG_
                                        ; -- End function
	.set _ZN7rocprim17ROCPRIM_400000_NS6detail17trampoline_kernelINS0_14default_configENS1_35radix_sort_onesweep_config_selectorIllEEZZNS1_29radix_sort_onesweep_iterationIS3_Lb0EPlS7_N6thrust23THRUST_200600_302600_NS10device_ptrIlEESB_jNS0_19identity_decomposerENS1_16block_id_wrapperIjLb0EEEEE10hipError_tT1_PNSt15iterator_traitsISG_E10value_typeET2_T3_PNSH_ISM_E10value_typeET4_T5_PSR_SS_PNS1_23onesweep_lookback_stateEbbT6_jjT7_P12ihipStream_tbENKUlT_T0_SG_SL_E_clIS7_S7_S7_SB_EEDaSZ_S10_SG_SL_EUlSZ_E_NS1_11comp_targetILNS1_3genE5ELNS1_11target_archE942ELNS1_3gpuE9ELNS1_3repE0EEENS1_47radix_sort_onesweep_sort_config_static_selectorELNS0_4arch9wavefront6targetE1EEEvSG_.num_vgpr, 0
	.set _ZN7rocprim17ROCPRIM_400000_NS6detail17trampoline_kernelINS0_14default_configENS1_35radix_sort_onesweep_config_selectorIllEEZZNS1_29radix_sort_onesweep_iterationIS3_Lb0EPlS7_N6thrust23THRUST_200600_302600_NS10device_ptrIlEESB_jNS0_19identity_decomposerENS1_16block_id_wrapperIjLb0EEEEE10hipError_tT1_PNSt15iterator_traitsISG_E10value_typeET2_T3_PNSH_ISM_E10value_typeET4_T5_PSR_SS_PNS1_23onesweep_lookback_stateEbbT6_jjT7_P12ihipStream_tbENKUlT_T0_SG_SL_E_clIS7_S7_S7_SB_EEDaSZ_S10_SG_SL_EUlSZ_E_NS1_11comp_targetILNS1_3genE5ELNS1_11target_archE942ELNS1_3gpuE9ELNS1_3repE0EEENS1_47radix_sort_onesweep_sort_config_static_selectorELNS0_4arch9wavefront6targetE1EEEvSG_.num_agpr, 0
	.set _ZN7rocprim17ROCPRIM_400000_NS6detail17trampoline_kernelINS0_14default_configENS1_35radix_sort_onesweep_config_selectorIllEEZZNS1_29radix_sort_onesweep_iterationIS3_Lb0EPlS7_N6thrust23THRUST_200600_302600_NS10device_ptrIlEESB_jNS0_19identity_decomposerENS1_16block_id_wrapperIjLb0EEEEE10hipError_tT1_PNSt15iterator_traitsISG_E10value_typeET2_T3_PNSH_ISM_E10value_typeET4_T5_PSR_SS_PNS1_23onesweep_lookback_stateEbbT6_jjT7_P12ihipStream_tbENKUlT_T0_SG_SL_E_clIS7_S7_S7_SB_EEDaSZ_S10_SG_SL_EUlSZ_E_NS1_11comp_targetILNS1_3genE5ELNS1_11target_archE942ELNS1_3gpuE9ELNS1_3repE0EEENS1_47radix_sort_onesweep_sort_config_static_selectorELNS0_4arch9wavefront6targetE1EEEvSG_.numbered_sgpr, 0
	.set _ZN7rocprim17ROCPRIM_400000_NS6detail17trampoline_kernelINS0_14default_configENS1_35radix_sort_onesweep_config_selectorIllEEZZNS1_29radix_sort_onesweep_iterationIS3_Lb0EPlS7_N6thrust23THRUST_200600_302600_NS10device_ptrIlEESB_jNS0_19identity_decomposerENS1_16block_id_wrapperIjLb0EEEEE10hipError_tT1_PNSt15iterator_traitsISG_E10value_typeET2_T3_PNSH_ISM_E10value_typeET4_T5_PSR_SS_PNS1_23onesweep_lookback_stateEbbT6_jjT7_P12ihipStream_tbENKUlT_T0_SG_SL_E_clIS7_S7_S7_SB_EEDaSZ_S10_SG_SL_EUlSZ_E_NS1_11comp_targetILNS1_3genE5ELNS1_11target_archE942ELNS1_3gpuE9ELNS1_3repE0EEENS1_47radix_sort_onesweep_sort_config_static_selectorELNS0_4arch9wavefront6targetE1EEEvSG_.num_named_barrier, 0
	.set _ZN7rocprim17ROCPRIM_400000_NS6detail17trampoline_kernelINS0_14default_configENS1_35radix_sort_onesweep_config_selectorIllEEZZNS1_29radix_sort_onesweep_iterationIS3_Lb0EPlS7_N6thrust23THRUST_200600_302600_NS10device_ptrIlEESB_jNS0_19identity_decomposerENS1_16block_id_wrapperIjLb0EEEEE10hipError_tT1_PNSt15iterator_traitsISG_E10value_typeET2_T3_PNSH_ISM_E10value_typeET4_T5_PSR_SS_PNS1_23onesweep_lookback_stateEbbT6_jjT7_P12ihipStream_tbENKUlT_T0_SG_SL_E_clIS7_S7_S7_SB_EEDaSZ_S10_SG_SL_EUlSZ_E_NS1_11comp_targetILNS1_3genE5ELNS1_11target_archE942ELNS1_3gpuE9ELNS1_3repE0EEENS1_47radix_sort_onesweep_sort_config_static_selectorELNS0_4arch9wavefront6targetE1EEEvSG_.private_seg_size, 0
	.set _ZN7rocprim17ROCPRIM_400000_NS6detail17trampoline_kernelINS0_14default_configENS1_35radix_sort_onesweep_config_selectorIllEEZZNS1_29radix_sort_onesweep_iterationIS3_Lb0EPlS7_N6thrust23THRUST_200600_302600_NS10device_ptrIlEESB_jNS0_19identity_decomposerENS1_16block_id_wrapperIjLb0EEEEE10hipError_tT1_PNSt15iterator_traitsISG_E10value_typeET2_T3_PNSH_ISM_E10value_typeET4_T5_PSR_SS_PNS1_23onesweep_lookback_stateEbbT6_jjT7_P12ihipStream_tbENKUlT_T0_SG_SL_E_clIS7_S7_S7_SB_EEDaSZ_S10_SG_SL_EUlSZ_E_NS1_11comp_targetILNS1_3genE5ELNS1_11target_archE942ELNS1_3gpuE9ELNS1_3repE0EEENS1_47radix_sort_onesweep_sort_config_static_selectorELNS0_4arch9wavefront6targetE1EEEvSG_.uses_vcc, 0
	.set _ZN7rocprim17ROCPRIM_400000_NS6detail17trampoline_kernelINS0_14default_configENS1_35radix_sort_onesweep_config_selectorIllEEZZNS1_29radix_sort_onesweep_iterationIS3_Lb0EPlS7_N6thrust23THRUST_200600_302600_NS10device_ptrIlEESB_jNS0_19identity_decomposerENS1_16block_id_wrapperIjLb0EEEEE10hipError_tT1_PNSt15iterator_traitsISG_E10value_typeET2_T3_PNSH_ISM_E10value_typeET4_T5_PSR_SS_PNS1_23onesweep_lookback_stateEbbT6_jjT7_P12ihipStream_tbENKUlT_T0_SG_SL_E_clIS7_S7_S7_SB_EEDaSZ_S10_SG_SL_EUlSZ_E_NS1_11comp_targetILNS1_3genE5ELNS1_11target_archE942ELNS1_3gpuE9ELNS1_3repE0EEENS1_47radix_sort_onesweep_sort_config_static_selectorELNS0_4arch9wavefront6targetE1EEEvSG_.uses_flat_scratch, 0
	.set _ZN7rocprim17ROCPRIM_400000_NS6detail17trampoline_kernelINS0_14default_configENS1_35radix_sort_onesweep_config_selectorIllEEZZNS1_29radix_sort_onesweep_iterationIS3_Lb0EPlS7_N6thrust23THRUST_200600_302600_NS10device_ptrIlEESB_jNS0_19identity_decomposerENS1_16block_id_wrapperIjLb0EEEEE10hipError_tT1_PNSt15iterator_traitsISG_E10value_typeET2_T3_PNSH_ISM_E10value_typeET4_T5_PSR_SS_PNS1_23onesweep_lookback_stateEbbT6_jjT7_P12ihipStream_tbENKUlT_T0_SG_SL_E_clIS7_S7_S7_SB_EEDaSZ_S10_SG_SL_EUlSZ_E_NS1_11comp_targetILNS1_3genE5ELNS1_11target_archE942ELNS1_3gpuE9ELNS1_3repE0EEENS1_47radix_sort_onesweep_sort_config_static_selectorELNS0_4arch9wavefront6targetE1EEEvSG_.has_dyn_sized_stack, 0
	.set _ZN7rocprim17ROCPRIM_400000_NS6detail17trampoline_kernelINS0_14default_configENS1_35radix_sort_onesweep_config_selectorIllEEZZNS1_29radix_sort_onesweep_iterationIS3_Lb0EPlS7_N6thrust23THRUST_200600_302600_NS10device_ptrIlEESB_jNS0_19identity_decomposerENS1_16block_id_wrapperIjLb0EEEEE10hipError_tT1_PNSt15iterator_traitsISG_E10value_typeET2_T3_PNSH_ISM_E10value_typeET4_T5_PSR_SS_PNS1_23onesweep_lookback_stateEbbT6_jjT7_P12ihipStream_tbENKUlT_T0_SG_SL_E_clIS7_S7_S7_SB_EEDaSZ_S10_SG_SL_EUlSZ_E_NS1_11comp_targetILNS1_3genE5ELNS1_11target_archE942ELNS1_3gpuE9ELNS1_3repE0EEENS1_47radix_sort_onesweep_sort_config_static_selectorELNS0_4arch9wavefront6targetE1EEEvSG_.has_recursion, 0
	.set _ZN7rocprim17ROCPRIM_400000_NS6detail17trampoline_kernelINS0_14default_configENS1_35radix_sort_onesweep_config_selectorIllEEZZNS1_29radix_sort_onesweep_iterationIS3_Lb0EPlS7_N6thrust23THRUST_200600_302600_NS10device_ptrIlEESB_jNS0_19identity_decomposerENS1_16block_id_wrapperIjLb0EEEEE10hipError_tT1_PNSt15iterator_traitsISG_E10value_typeET2_T3_PNSH_ISM_E10value_typeET4_T5_PSR_SS_PNS1_23onesweep_lookback_stateEbbT6_jjT7_P12ihipStream_tbENKUlT_T0_SG_SL_E_clIS7_S7_S7_SB_EEDaSZ_S10_SG_SL_EUlSZ_E_NS1_11comp_targetILNS1_3genE5ELNS1_11target_archE942ELNS1_3gpuE9ELNS1_3repE0EEENS1_47radix_sort_onesweep_sort_config_static_selectorELNS0_4arch9wavefront6targetE1EEEvSG_.has_indirect_call, 0
	.section	.AMDGPU.csdata,"",@progbits
; Kernel info:
; codeLenInByte = 0
; TotalNumSgprs: 4
; NumVgprs: 0
; ScratchSize: 0
; MemoryBound: 0
; FloatMode: 240
; IeeeMode: 1
; LDSByteSize: 0 bytes/workgroup (compile time only)
; SGPRBlocks: 0
; VGPRBlocks: 0
; NumSGPRsForWavesPerEU: 4
; NumVGPRsForWavesPerEU: 1
; Occupancy: 10
; WaveLimiterHint : 0
; COMPUTE_PGM_RSRC2:SCRATCH_EN: 0
; COMPUTE_PGM_RSRC2:USER_SGPR: 6
; COMPUTE_PGM_RSRC2:TRAP_HANDLER: 0
; COMPUTE_PGM_RSRC2:TGID_X_EN: 1
; COMPUTE_PGM_RSRC2:TGID_Y_EN: 0
; COMPUTE_PGM_RSRC2:TGID_Z_EN: 0
; COMPUTE_PGM_RSRC2:TIDIG_COMP_CNT: 0
	.section	.text._ZN7rocprim17ROCPRIM_400000_NS6detail17trampoline_kernelINS0_14default_configENS1_35radix_sort_onesweep_config_selectorIllEEZZNS1_29radix_sort_onesweep_iterationIS3_Lb0EPlS7_N6thrust23THRUST_200600_302600_NS10device_ptrIlEESB_jNS0_19identity_decomposerENS1_16block_id_wrapperIjLb0EEEEE10hipError_tT1_PNSt15iterator_traitsISG_E10value_typeET2_T3_PNSH_ISM_E10value_typeET4_T5_PSR_SS_PNS1_23onesweep_lookback_stateEbbT6_jjT7_P12ihipStream_tbENKUlT_T0_SG_SL_E_clIS7_S7_S7_SB_EEDaSZ_S10_SG_SL_EUlSZ_E_NS1_11comp_targetILNS1_3genE2ELNS1_11target_archE906ELNS1_3gpuE6ELNS1_3repE0EEENS1_47radix_sort_onesweep_sort_config_static_selectorELNS0_4arch9wavefront6targetE1EEEvSG_,"axG",@progbits,_ZN7rocprim17ROCPRIM_400000_NS6detail17trampoline_kernelINS0_14default_configENS1_35radix_sort_onesweep_config_selectorIllEEZZNS1_29radix_sort_onesweep_iterationIS3_Lb0EPlS7_N6thrust23THRUST_200600_302600_NS10device_ptrIlEESB_jNS0_19identity_decomposerENS1_16block_id_wrapperIjLb0EEEEE10hipError_tT1_PNSt15iterator_traitsISG_E10value_typeET2_T3_PNSH_ISM_E10value_typeET4_T5_PSR_SS_PNS1_23onesweep_lookback_stateEbbT6_jjT7_P12ihipStream_tbENKUlT_T0_SG_SL_E_clIS7_S7_S7_SB_EEDaSZ_S10_SG_SL_EUlSZ_E_NS1_11comp_targetILNS1_3genE2ELNS1_11target_archE906ELNS1_3gpuE6ELNS1_3repE0EEENS1_47radix_sort_onesweep_sort_config_static_selectorELNS0_4arch9wavefront6targetE1EEEvSG_,comdat
	.protected	_ZN7rocprim17ROCPRIM_400000_NS6detail17trampoline_kernelINS0_14default_configENS1_35radix_sort_onesweep_config_selectorIllEEZZNS1_29radix_sort_onesweep_iterationIS3_Lb0EPlS7_N6thrust23THRUST_200600_302600_NS10device_ptrIlEESB_jNS0_19identity_decomposerENS1_16block_id_wrapperIjLb0EEEEE10hipError_tT1_PNSt15iterator_traitsISG_E10value_typeET2_T3_PNSH_ISM_E10value_typeET4_T5_PSR_SS_PNS1_23onesweep_lookback_stateEbbT6_jjT7_P12ihipStream_tbENKUlT_T0_SG_SL_E_clIS7_S7_S7_SB_EEDaSZ_S10_SG_SL_EUlSZ_E_NS1_11comp_targetILNS1_3genE2ELNS1_11target_archE906ELNS1_3gpuE6ELNS1_3repE0EEENS1_47radix_sort_onesweep_sort_config_static_selectorELNS0_4arch9wavefront6targetE1EEEvSG_ ; -- Begin function _ZN7rocprim17ROCPRIM_400000_NS6detail17trampoline_kernelINS0_14default_configENS1_35radix_sort_onesweep_config_selectorIllEEZZNS1_29radix_sort_onesweep_iterationIS3_Lb0EPlS7_N6thrust23THRUST_200600_302600_NS10device_ptrIlEESB_jNS0_19identity_decomposerENS1_16block_id_wrapperIjLb0EEEEE10hipError_tT1_PNSt15iterator_traitsISG_E10value_typeET2_T3_PNSH_ISM_E10value_typeET4_T5_PSR_SS_PNS1_23onesweep_lookback_stateEbbT6_jjT7_P12ihipStream_tbENKUlT_T0_SG_SL_E_clIS7_S7_S7_SB_EEDaSZ_S10_SG_SL_EUlSZ_E_NS1_11comp_targetILNS1_3genE2ELNS1_11target_archE906ELNS1_3gpuE6ELNS1_3repE0EEENS1_47radix_sort_onesweep_sort_config_static_selectorELNS0_4arch9wavefront6targetE1EEEvSG_
	.globl	_ZN7rocprim17ROCPRIM_400000_NS6detail17trampoline_kernelINS0_14default_configENS1_35radix_sort_onesweep_config_selectorIllEEZZNS1_29radix_sort_onesweep_iterationIS3_Lb0EPlS7_N6thrust23THRUST_200600_302600_NS10device_ptrIlEESB_jNS0_19identity_decomposerENS1_16block_id_wrapperIjLb0EEEEE10hipError_tT1_PNSt15iterator_traitsISG_E10value_typeET2_T3_PNSH_ISM_E10value_typeET4_T5_PSR_SS_PNS1_23onesweep_lookback_stateEbbT6_jjT7_P12ihipStream_tbENKUlT_T0_SG_SL_E_clIS7_S7_S7_SB_EEDaSZ_S10_SG_SL_EUlSZ_E_NS1_11comp_targetILNS1_3genE2ELNS1_11target_archE906ELNS1_3gpuE6ELNS1_3repE0EEENS1_47radix_sort_onesweep_sort_config_static_selectorELNS0_4arch9wavefront6targetE1EEEvSG_
	.p2align	8
	.type	_ZN7rocprim17ROCPRIM_400000_NS6detail17trampoline_kernelINS0_14default_configENS1_35radix_sort_onesweep_config_selectorIllEEZZNS1_29radix_sort_onesweep_iterationIS3_Lb0EPlS7_N6thrust23THRUST_200600_302600_NS10device_ptrIlEESB_jNS0_19identity_decomposerENS1_16block_id_wrapperIjLb0EEEEE10hipError_tT1_PNSt15iterator_traitsISG_E10value_typeET2_T3_PNSH_ISM_E10value_typeET4_T5_PSR_SS_PNS1_23onesweep_lookback_stateEbbT6_jjT7_P12ihipStream_tbENKUlT_T0_SG_SL_E_clIS7_S7_S7_SB_EEDaSZ_S10_SG_SL_EUlSZ_E_NS1_11comp_targetILNS1_3genE2ELNS1_11target_archE906ELNS1_3gpuE6ELNS1_3repE0EEENS1_47radix_sort_onesweep_sort_config_static_selectorELNS0_4arch9wavefront6targetE1EEEvSG_,@function
_ZN7rocprim17ROCPRIM_400000_NS6detail17trampoline_kernelINS0_14default_configENS1_35radix_sort_onesweep_config_selectorIllEEZZNS1_29radix_sort_onesweep_iterationIS3_Lb0EPlS7_N6thrust23THRUST_200600_302600_NS10device_ptrIlEESB_jNS0_19identity_decomposerENS1_16block_id_wrapperIjLb0EEEEE10hipError_tT1_PNSt15iterator_traitsISG_E10value_typeET2_T3_PNSH_ISM_E10value_typeET4_T5_PSR_SS_PNS1_23onesweep_lookback_stateEbbT6_jjT7_P12ihipStream_tbENKUlT_T0_SG_SL_E_clIS7_S7_S7_SB_EEDaSZ_S10_SG_SL_EUlSZ_E_NS1_11comp_targetILNS1_3genE2ELNS1_11target_archE906ELNS1_3gpuE6ELNS1_3repE0EEENS1_47radix_sort_onesweep_sort_config_static_selectorELNS0_4arch9wavefront6targetE1EEEvSG_: ; @_ZN7rocprim17ROCPRIM_400000_NS6detail17trampoline_kernelINS0_14default_configENS1_35radix_sort_onesweep_config_selectorIllEEZZNS1_29radix_sort_onesweep_iterationIS3_Lb0EPlS7_N6thrust23THRUST_200600_302600_NS10device_ptrIlEESB_jNS0_19identity_decomposerENS1_16block_id_wrapperIjLb0EEEEE10hipError_tT1_PNSt15iterator_traitsISG_E10value_typeET2_T3_PNSH_ISM_E10value_typeET4_T5_PSR_SS_PNS1_23onesweep_lookback_stateEbbT6_jjT7_P12ihipStream_tbENKUlT_T0_SG_SL_E_clIS7_S7_S7_SB_EEDaSZ_S10_SG_SL_EUlSZ_E_NS1_11comp_targetILNS1_3genE2ELNS1_11target_archE906ELNS1_3gpuE6ELNS1_3repE0EEENS1_47radix_sort_onesweep_sort_config_static_selectorELNS0_4arch9wavefront6targetE1EEEvSG_
; %bb.0:
	s_add_u32 s0, s0, s7
	s_load_dwordx4 s[40:43], s[4:5], 0x44
	s_load_dwordx8 s[24:31], s[4:5], 0x0
	s_load_dwordx4 s[36:39], s[4:5], 0x28
	s_load_dwordx2 s[34:35], s[4:5], 0x38
	s_addc_u32 s1, s1, 0
	s_mov_b64 s[8:9], -1
	s_waitcnt lgkmcnt(0)
	s_cmp_ge_u32 s6, s42
	s_mul_i32 s44, s6, 0xc00
	v_mbcnt_lo_u32_b32 v21, -1, 0
	s_cbranch_scc0 .LBB1180_72
; %bb.1:
	s_load_dword s7, s[4:5], 0x20
	s_mul_i32 s8, s42, 0xfffff400
	s_mov_b32 s45, 0
	v_mbcnt_hi_u32_b32 v19, -1, v21
	s_lshl_b64 s[42:43], s[44:45], 3
	s_waitcnt lgkmcnt(0)
	s_add_i32 s7, s7, s8
	s_add_u32 s8, s24, s42
	v_and_b32_e32 v3, 63, v19
	s_addc_u32 s9, s25, s43
	v_and_b32_e32 v20, 0x1c0, v0
	v_lshlrev_b32_e32 v22, 3, v3
	v_mul_u32_u24_e32 v4, 6, v20
	v_mov_b32_e32 v5, s9
	v_add_co_u32_e32 v6, vcc, s8, v22
	v_addc_co_u32_e32 v5, vcc, 0, v5, vcc
	v_lshlrev_b32_e32 v23, 3, v4
	v_add_co_u32_e32 v15, vcc, v6, v23
	v_addc_co_u32_e32 v16, vcc, 0, v5, vcc
	v_or_b32_e32 v17, v3, v4
	v_mov_b32_e32 v3, -1
	v_mov_b32_e32 v5, -1
	;; [unrolled: 1-line block ×4, first 2 shown]
	v_cmp_gt_u32_e32 vcc, s7, v17
	s_and_saveexec_b64 s[8:9], vcc
	s_cbranch_execz .LBB1180_3
; %bb.2:
	global_load_dwordx2 v[5:6], v[15:16], off
	s_waitcnt vmcnt(0)
	v_xor_b32_e32 v6, 0x80000000, v6
.LBB1180_3:
	s_or_b64 exec, exec, s[8:9]
	v_or_b32_e32 v7, 64, v17
	v_cmp_gt_u32_e64 s[20:21], s7, v7
	s_and_saveexec_b64 s[8:9], s[20:21]
	s_cbranch_execz .LBB1180_5
; %bb.4:
	global_load_dwordx2 v[3:4], v[15:16], off offset:512
	s_waitcnt vmcnt(0)
	v_xor_b32_e32 v4, 0x80000000, v4
.LBB1180_5:
	s_or_b64 exec, exec, s[8:9]
	v_add_u32_e32 v11, 0x80, v17
	v_mov_b32_e32 v7, -1
	v_mov_b32_e32 v9, -1
	;; [unrolled: 1-line block ×4, first 2 shown]
	v_cmp_gt_u32_e64 s[8:9], s7, v11
	s_and_saveexec_b64 s[10:11], s[8:9]
	s_cbranch_execz .LBB1180_7
; %bb.6:
	global_load_dwordx2 v[9:10], v[15:16], off offset:1024
	s_waitcnt vmcnt(0)
	v_xor_b32_e32 v10, 0x80000000, v10
.LBB1180_7:
	s_or_b64 exec, exec, s[10:11]
	v_add_u32_e32 v11, 0xc0, v17
	v_cmp_gt_u32_e64 s[10:11], s7, v11
	s_and_saveexec_b64 s[12:13], s[10:11]
	s_cbranch_execz .LBB1180_9
; %bb.8:
	global_load_dwordx2 v[7:8], v[15:16], off offset:1536
	s_waitcnt vmcnt(0)
	v_xor_b32_e32 v8, 0x80000000, v8
.LBB1180_9:
	s_or_b64 exec, exec, s[12:13]
	v_add_u32_e32 v18, 0x100, v17
	v_mov_b32_e32 v11, -1
	v_mov_b32_e32 v13, -1
	;; [unrolled: 1-line block ×4, first 2 shown]
	v_cmp_gt_u32_e64 s[12:13], s7, v18
	s_and_saveexec_b64 s[14:15], s[12:13]
	s_cbranch_execz .LBB1180_11
; %bb.10:
	global_load_dwordx2 v[13:14], v[15:16], off offset:2048
	s_waitcnt vmcnt(0)
	v_xor_b32_e32 v14, 0x80000000, v14
.LBB1180_11:
	s_or_b64 exec, exec, s[14:15]
	v_add_u32_e32 v17, 0x140, v17
	v_cmp_gt_u32_e64 s[14:15], s7, v17
	s_and_saveexec_b64 s[16:17], s[14:15]
	s_cbranch_execz .LBB1180_13
; %bb.12:
	global_load_dwordx2 v[11:12], v[15:16], off offset:2560
	s_waitcnt vmcnt(0)
	v_xor_b32_e32 v12, 0x80000000, v12
.LBB1180_13:
	s_or_b64 exec, exec, s[16:17]
	s_load_dword s16, s[4:5], 0x64
	s_load_dword s33, s[4:5], 0x58
	s_add_u32 s17, s4, 0x58
	s_addc_u32 s18, s5, 0
	v_mov_b32_e32 v15, 0
	s_waitcnt lgkmcnt(0)
	s_lshr_b32 s19, s16, 16
	s_cmp_lt_u32 s6, s33
	s_cselect_b32 s16, 12, 18
	s_add_u32 s16, s17, s16
	s_addc_u32 s17, s18, 0
	global_load_ushort v18, v15, s[16:17]
	v_lshrrev_b64 v[16:17], s40, v[5:6]
	s_lshl_b32 s16, -1, s41
	s_not_b32 s45, s16
	v_and_b32_e32 v25, s45, v16
	v_and_b32_e32 v26, 1, v25
	v_add_co_u32_e64 v28, s[16:17], -1, v26
	v_lshlrev_b32_e32 v16, 30, v25
	v_addc_co_u32_e64 v29, s[16:17], 0, -1, s[16:17]
	v_mad_u32_u24 v17, v2, s19, v1
	v_cmp_ne_u32_e64 s[16:17], 0, v26
	v_cmp_gt_i64_e64 s[18:19], 0, v[15:16]
	v_not_b32_e32 v26, v16
	v_lshlrev_b32_e32 v16, 29, v25
	v_xor_b32_e32 v29, s17, v29
	v_xor_b32_e32 v28, s16, v28
	v_ashrrev_i32_e32 v26, 31, v26
	v_cmp_gt_i64_e64 s[16:17], 0, v[15:16]
	v_not_b32_e32 v30, v16
	v_lshlrev_b32_e32 v16, 28, v25
	v_and_b32_e32 v29, exec_hi, v29
	v_and_b32_e32 v28, exec_lo, v28
	v_xor_b32_e32 v31, s19, v26
	v_xor_b32_e32 v26, s18, v26
	v_ashrrev_i32_e32 v30, 31, v30
	v_cmp_gt_i64_e64 s[18:19], 0, v[15:16]
	v_not_b32_e32 v32, v16
	v_lshlrev_b32_e32 v16, 27, v25
	v_and_b32_e32 v29, v29, v31
	v_and_b32_e32 v26, v28, v26
	v_xor_b32_e32 v28, s17, v30
	v_xor_b32_e32 v30, s16, v30
	v_ashrrev_i32_e32 v31, 31, v32
	v_cmp_gt_i64_e64 s[16:17], 0, v[15:16]
	v_not_b32_e32 v32, v16
	v_lshlrev_b32_e32 v16, 26, v25
	v_and_b32_e32 v28, v29, v28
	v_and_b32_e32 v26, v26, v30
	v_xor_b32_e32 v29, s19, v31
	v_xor_b32_e32 v30, s18, v31
	v_ashrrev_i32_e32 v31, 31, v32
	v_cmp_gt_i64_e64 s[18:19], 0, v[15:16]
	v_not_b32_e32 v32, v16
	v_lshlrev_b32_e32 v16, 25, v25
	v_and_b32_e32 v28, v28, v29
	v_and_b32_e32 v26, v26, v30
	v_xor_b32_e32 v29, s17, v31
	v_xor_b32_e32 v30, s16, v31
	v_ashrrev_i32_e32 v31, 31, v32
	v_cmp_gt_i64_e64 s[16:17], 0, v[15:16]
	v_not_b32_e32 v32, v16
	v_mul_lo_u32 v27, v25, 36
	v_lshlrev_b32_e32 v16, 24, v25
	v_and_b32_e32 v25, v28, v29
	v_and_b32_e32 v26, v26, v30
	v_xor_b32_e32 v28, s19, v31
	v_xor_b32_e32 v29, s18, v31
	v_ashrrev_i32_e32 v30, 31, v32
	v_and_b32_e32 v25, v25, v28
	v_and_b32_e32 v26, v26, v29
	v_xor_b32_e32 v28, s17, v30
	v_xor_b32_e32 v29, s16, v30
	v_cmp_gt_i64_e64 s[18:19], 0, v[15:16]
	v_not_b32_e32 v16, v16
	v_and_b32_e32 v28, v25, v28
	v_and_b32_e32 v29, v26, v29
	v_ashrrev_i32_e32 v16, 31, v16
	v_xor_b32_e32 v30, s19, v16
	v_xor_b32_e32 v16, s18, v16
	v_and_b32_e32 v16, v29, v16
	v_mul_u32_u24_e32 v24, 20, v0
	ds_write2_b32 v24, v15, v15 offset0:8 offset1:9
	ds_write2_b32 v24, v15, v15 offset0:10 offset1:11
	ds_write_b32 v24, v15 offset:48
	s_waitcnt vmcnt(0) lgkmcnt(0)
	s_barrier
	; wave barrier
	v_mad_u64_u32 v[25:26], s[16:17], v17, v18, v[0:1]
	v_and_b32_e32 v17, v28, v30
	v_cmp_ne_u64_e64 s[16:17], 0, v[16:17]
	v_lshrrev_b32_e32 v18, 6, v25
	v_mbcnt_lo_u32_b32 v25, v16, 0
	v_mbcnt_hi_u32_b32 v25, v17, v25
	v_cmp_eq_u32_e64 s[18:19], 0, v25
	v_lshl_add_u32 v29, v18, 2, v27
	s_and_b64 s[18:19], s[16:17], s[18:19]
	s_and_saveexec_b64 s[16:17], s[18:19]
; %bb.14:
	v_bcnt_u32_b32 v16, v16, 0
	v_bcnt_u32_b32 v16, v17, v16
	ds_write_b32 v29, v16 offset:32
; %bb.15:
	s_or_b64 exec, exec, s[16:17]
	v_lshrrev_b64 v[16:17], s40, v[3:4]
	v_and_b32_e32 v17, s45, v16
	v_mul_lo_u32 v16, v17, 36
	v_and_b32_e32 v27, 1, v17
	; wave barrier
	v_lshl_add_u32 v30, v18, 2, v16
	v_add_co_u32_e64 v16, s[16:17], -1, v27
	v_addc_co_u32_e64 v28, s[16:17], 0, -1, s[16:17]
	v_cmp_ne_u32_e64 s[16:17], 0, v27
	v_xor_b32_e32 v16, s16, v16
	v_xor_b32_e32 v27, s17, v28
	v_and_b32_e32 v28, exec_lo, v16
	v_lshlrev_b32_e32 v16, 30, v17
	v_cmp_gt_i64_e64 s[16:17], 0, v[15:16]
	v_not_b32_e32 v16, v16
	v_ashrrev_i32_e32 v16, 31, v16
	v_xor_b32_e32 v31, s17, v16
	v_xor_b32_e32 v16, s16, v16
	v_and_b32_e32 v28, v28, v16
	v_lshlrev_b32_e32 v16, 29, v17
	v_cmp_gt_i64_e64 s[16:17], 0, v[15:16]
	v_not_b32_e32 v16, v16
	v_and_b32_e32 v27, exec_hi, v27
	v_ashrrev_i32_e32 v16, 31, v16
	v_and_b32_e32 v27, v27, v31
	v_xor_b32_e32 v31, s17, v16
	v_xor_b32_e32 v16, s16, v16
	v_and_b32_e32 v28, v28, v16
	v_lshlrev_b32_e32 v16, 28, v17
	v_cmp_gt_i64_e64 s[16:17], 0, v[15:16]
	v_not_b32_e32 v16, v16
	v_ashrrev_i32_e32 v16, 31, v16
	v_and_b32_e32 v27, v27, v31
	v_xor_b32_e32 v31, s17, v16
	v_xor_b32_e32 v16, s16, v16
	v_and_b32_e32 v28, v28, v16
	v_lshlrev_b32_e32 v16, 27, v17
	v_cmp_gt_i64_e64 s[16:17], 0, v[15:16]
	v_not_b32_e32 v16, v16
	;; [unrolled: 8-line block ×5, first 2 shown]
	v_ashrrev_i32_e32 v15, 31, v15
	v_xor_b32_e32 v16, s17, v15
	v_xor_b32_e32 v15, s16, v15
	ds_read_b32 v26, v30 offset:32
	v_and_b32_e32 v27, v27, v31
	v_and_b32_e32 v15, v28, v15
	;; [unrolled: 1-line block ×3, first 2 shown]
	v_mbcnt_lo_u32_b32 v17, v15, 0
	v_mbcnt_hi_u32_b32 v27, v16, v17
	v_cmp_ne_u64_e64 s[16:17], 0, v[15:16]
	v_cmp_eq_u32_e64 s[18:19], 0, v27
	s_and_b64 s[18:19], s[16:17], s[18:19]
	; wave barrier
	s_and_saveexec_b64 s[16:17], s[18:19]
	s_cbranch_execz .LBB1180_17
; %bb.16:
	v_bcnt_u32_b32 v15, v15, 0
	v_bcnt_u32_b32 v15, v16, v15
	s_waitcnt lgkmcnt(0)
	v_add_u32_e32 v15, v26, v15
	ds_write_b32 v30, v15 offset:32
.LBB1180_17:
	s_or_b64 exec, exec, s[16:17]
	v_lshrrev_b64 v[15:16], s40, v[9:10]
	v_and_b32_e32 v17, s45, v15
	v_mul_lo_u32 v16, v17, 36
	v_and_b32_e32 v31, 1, v17
	v_mov_b32_e32 v15, 0
	; wave barrier
	v_lshl_add_u32 v33, v18, 2, v16
	v_add_co_u32_e64 v16, s[16:17], -1, v31
	v_addc_co_u32_e64 v32, s[16:17], 0, -1, s[16:17]
	v_cmp_ne_u32_e64 s[16:17], 0, v31
	v_xor_b32_e32 v16, s16, v16
	v_xor_b32_e32 v31, s17, v32
	v_and_b32_e32 v32, exec_lo, v16
	v_lshlrev_b32_e32 v16, 30, v17
	v_cmp_gt_i64_e64 s[16:17], 0, v[15:16]
	v_not_b32_e32 v16, v16
	v_ashrrev_i32_e32 v16, 31, v16
	v_xor_b32_e32 v34, s17, v16
	v_xor_b32_e32 v16, s16, v16
	v_and_b32_e32 v32, v32, v16
	v_lshlrev_b32_e32 v16, 29, v17
	v_cmp_gt_i64_e64 s[16:17], 0, v[15:16]
	v_not_b32_e32 v16, v16
	v_and_b32_e32 v31, exec_hi, v31
	v_ashrrev_i32_e32 v16, 31, v16
	v_and_b32_e32 v31, v31, v34
	v_xor_b32_e32 v34, s17, v16
	v_xor_b32_e32 v16, s16, v16
	v_and_b32_e32 v32, v32, v16
	v_lshlrev_b32_e32 v16, 28, v17
	v_cmp_gt_i64_e64 s[16:17], 0, v[15:16]
	v_not_b32_e32 v16, v16
	v_ashrrev_i32_e32 v16, 31, v16
	v_and_b32_e32 v31, v31, v34
	v_xor_b32_e32 v34, s17, v16
	v_xor_b32_e32 v16, s16, v16
	v_and_b32_e32 v32, v32, v16
	v_lshlrev_b32_e32 v16, 27, v17
	v_cmp_gt_i64_e64 s[16:17], 0, v[15:16]
	v_not_b32_e32 v16, v16
	;; [unrolled: 8-line block ×5, first 2 shown]
	v_ashrrev_i32_e32 v16, 31, v16
	v_xor_b32_e32 v17, s17, v16
	v_xor_b32_e32 v16, s16, v16
	ds_read_b32 v28, v33 offset:32
	v_and_b32_e32 v31, v31, v34
	v_and_b32_e32 v16, v32, v16
	;; [unrolled: 1-line block ×3, first 2 shown]
	v_mbcnt_lo_u32_b32 v31, v16, 0
	v_mbcnt_hi_u32_b32 v31, v17, v31
	v_cmp_ne_u64_e64 s[16:17], 0, v[16:17]
	v_cmp_eq_u32_e64 s[18:19], 0, v31
	s_and_b64 s[18:19], s[16:17], s[18:19]
	; wave barrier
	s_and_saveexec_b64 s[16:17], s[18:19]
	s_cbranch_execz .LBB1180_19
; %bb.18:
	v_bcnt_u32_b32 v16, v16, 0
	v_bcnt_u32_b32 v16, v17, v16
	s_waitcnt lgkmcnt(0)
	v_add_u32_e32 v16, v28, v16
	ds_write_b32 v33, v16 offset:32
.LBB1180_19:
	s_or_b64 exec, exec, s[16:17]
	v_lshrrev_b64 v[16:17], s40, v[7:8]
	v_and_b32_e32 v17, s45, v16
	v_mul_lo_u32 v16, v17, 36
	v_and_b32_e32 v34, 1, v17
	; wave barrier
	v_lshl_add_u32 v36, v18, 2, v16
	v_add_co_u32_e64 v16, s[16:17], -1, v34
	v_addc_co_u32_e64 v35, s[16:17], 0, -1, s[16:17]
	v_cmp_ne_u32_e64 s[16:17], 0, v34
	v_xor_b32_e32 v16, s16, v16
	v_xor_b32_e32 v34, s17, v35
	v_and_b32_e32 v35, exec_lo, v16
	v_lshlrev_b32_e32 v16, 30, v17
	v_cmp_gt_i64_e64 s[16:17], 0, v[15:16]
	v_not_b32_e32 v16, v16
	v_ashrrev_i32_e32 v16, 31, v16
	v_xor_b32_e32 v37, s17, v16
	v_xor_b32_e32 v16, s16, v16
	v_and_b32_e32 v35, v35, v16
	v_lshlrev_b32_e32 v16, 29, v17
	v_cmp_gt_i64_e64 s[16:17], 0, v[15:16]
	v_not_b32_e32 v16, v16
	v_and_b32_e32 v34, exec_hi, v34
	v_ashrrev_i32_e32 v16, 31, v16
	v_and_b32_e32 v34, v34, v37
	v_xor_b32_e32 v37, s17, v16
	v_xor_b32_e32 v16, s16, v16
	v_and_b32_e32 v35, v35, v16
	v_lshlrev_b32_e32 v16, 28, v17
	v_cmp_gt_i64_e64 s[16:17], 0, v[15:16]
	v_not_b32_e32 v16, v16
	v_ashrrev_i32_e32 v16, 31, v16
	v_and_b32_e32 v34, v34, v37
	v_xor_b32_e32 v37, s17, v16
	v_xor_b32_e32 v16, s16, v16
	v_and_b32_e32 v35, v35, v16
	v_lshlrev_b32_e32 v16, 27, v17
	v_cmp_gt_i64_e64 s[16:17], 0, v[15:16]
	v_not_b32_e32 v16, v16
	;; [unrolled: 8-line block ×5, first 2 shown]
	v_ashrrev_i32_e32 v15, 31, v15
	v_xor_b32_e32 v16, s17, v15
	v_xor_b32_e32 v15, s16, v15
	ds_read_b32 v32, v36 offset:32
	v_and_b32_e32 v34, v34, v37
	v_and_b32_e32 v15, v35, v15
	;; [unrolled: 1-line block ×3, first 2 shown]
	v_mbcnt_lo_u32_b32 v17, v15, 0
	v_mbcnt_hi_u32_b32 v34, v16, v17
	v_cmp_ne_u64_e64 s[16:17], 0, v[15:16]
	v_cmp_eq_u32_e64 s[18:19], 0, v34
	s_and_b64 s[18:19], s[16:17], s[18:19]
	; wave barrier
	s_and_saveexec_b64 s[16:17], s[18:19]
	s_cbranch_execz .LBB1180_21
; %bb.20:
	v_bcnt_u32_b32 v15, v15, 0
	v_bcnt_u32_b32 v15, v16, v15
	s_waitcnt lgkmcnt(0)
	v_add_u32_e32 v15, v32, v15
	ds_write_b32 v36, v15 offset:32
.LBB1180_21:
	s_or_b64 exec, exec, s[16:17]
	v_lshrrev_b64 v[15:16], s40, v[13:14]
	v_and_b32_e32 v17, s45, v15
	v_mul_lo_u32 v16, v17, 36
	v_and_b32_e32 v37, 1, v17
	v_mov_b32_e32 v15, 0
	; wave barrier
	v_lshl_add_u32 v39, v18, 2, v16
	v_add_co_u32_e64 v16, s[16:17], -1, v37
	v_addc_co_u32_e64 v38, s[16:17], 0, -1, s[16:17]
	v_cmp_ne_u32_e64 s[16:17], 0, v37
	v_xor_b32_e32 v16, s16, v16
	v_xor_b32_e32 v37, s17, v38
	v_and_b32_e32 v38, exec_lo, v16
	v_lshlrev_b32_e32 v16, 30, v17
	v_cmp_gt_i64_e64 s[16:17], 0, v[15:16]
	v_not_b32_e32 v16, v16
	v_ashrrev_i32_e32 v16, 31, v16
	v_xor_b32_e32 v40, s17, v16
	v_xor_b32_e32 v16, s16, v16
	v_and_b32_e32 v38, v38, v16
	v_lshlrev_b32_e32 v16, 29, v17
	v_cmp_gt_i64_e64 s[16:17], 0, v[15:16]
	v_not_b32_e32 v16, v16
	v_and_b32_e32 v37, exec_hi, v37
	v_ashrrev_i32_e32 v16, 31, v16
	v_and_b32_e32 v37, v37, v40
	v_xor_b32_e32 v40, s17, v16
	v_xor_b32_e32 v16, s16, v16
	v_and_b32_e32 v38, v38, v16
	v_lshlrev_b32_e32 v16, 28, v17
	v_cmp_gt_i64_e64 s[16:17], 0, v[15:16]
	v_not_b32_e32 v16, v16
	v_ashrrev_i32_e32 v16, 31, v16
	v_and_b32_e32 v37, v37, v40
	v_xor_b32_e32 v40, s17, v16
	v_xor_b32_e32 v16, s16, v16
	v_and_b32_e32 v38, v38, v16
	v_lshlrev_b32_e32 v16, 27, v17
	v_cmp_gt_i64_e64 s[16:17], 0, v[15:16]
	v_not_b32_e32 v16, v16
	v_ashrrev_i32_e32 v16, 31, v16
	v_and_b32_e32 v37, v37, v40
	v_xor_b32_e32 v40, s17, v16
	v_xor_b32_e32 v16, s16, v16
	v_and_b32_e32 v38, v38, v16
	v_lshlrev_b32_e32 v16, 26, v17
	v_cmp_gt_i64_e64 s[16:17], 0, v[15:16]
	v_not_b32_e32 v16, v16
	v_ashrrev_i32_e32 v16, 31, v16
	v_and_b32_e32 v37, v37, v40
	v_xor_b32_e32 v40, s17, v16
	v_xor_b32_e32 v16, s16, v16
	v_and_b32_e32 v38, v38, v16
	v_lshlrev_b32_e32 v16, 25, v17
	v_cmp_gt_i64_e64 s[16:17], 0, v[15:16]
	v_not_b32_e32 v16, v16
	v_ashrrev_i32_e32 v16, 31, v16
	v_and_b32_e32 v37, v37, v40
	v_xor_b32_e32 v40, s17, v16
	v_xor_b32_e32 v16, s16, v16
	v_and_b32_e32 v38, v38, v16
	v_lshlrev_b32_e32 v16, 24, v17
	v_cmp_gt_i64_e64 s[16:17], 0, v[15:16]
	v_not_b32_e32 v16, v16
	v_ashrrev_i32_e32 v16, 31, v16
	v_xor_b32_e32 v17, s17, v16
	v_xor_b32_e32 v16, s16, v16
	ds_read_b32 v35, v39 offset:32
	v_and_b32_e32 v37, v37, v40
	v_and_b32_e32 v16, v38, v16
	;; [unrolled: 1-line block ×3, first 2 shown]
	v_mbcnt_lo_u32_b32 v37, v16, 0
	v_mbcnt_hi_u32_b32 v37, v17, v37
	v_cmp_ne_u64_e64 s[16:17], 0, v[16:17]
	v_cmp_eq_u32_e64 s[18:19], 0, v37
	s_and_b64 s[18:19], s[16:17], s[18:19]
	; wave barrier
	s_and_saveexec_b64 s[16:17], s[18:19]
	s_cbranch_execz .LBB1180_23
; %bb.22:
	v_bcnt_u32_b32 v16, v16, 0
	v_bcnt_u32_b32 v16, v17, v16
	s_waitcnt lgkmcnt(0)
	v_add_u32_e32 v16, v35, v16
	ds_write_b32 v39, v16 offset:32
.LBB1180_23:
	s_or_b64 exec, exec, s[16:17]
	v_lshrrev_b64 v[16:17], s40, v[11:12]
	v_and_b32_e32 v17, s45, v16
	v_mul_lo_u32 v16, v17, 36
	v_and_b32_e32 v40, 1, v17
	; wave barrier
	v_lshl_add_u32 v41, v18, 2, v16
	v_add_co_u32_e64 v16, s[16:17], -1, v40
	v_addc_co_u32_e64 v18, s[16:17], 0, -1, s[16:17]
	v_cmp_ne_u32_e64 s[16:17], 0, v40
	v_xor_b32_e32 v16, s16, v16
	v_and_b32_e32 v40, exec_lo, v16
	v_lshlrev_b32_e32 v16, 30, v17
	v_xor_b32_e32 v18, s17, v18
	v_cmp_gt_i64_e64 s[16:17], 0, v[15:16]
	v_not_b32_e32 v16, v16
	v_ashrrev_i32_e32 v16, 31, v16
	v_xor_b32_e32 v42, s17, v16
	v_xor_b32_e32 v16, s16, v16
	v_and_b32_e32 v40, v40, v16
	v_lshlrev_b32_e32 v16, 29, v17
	v_cmp_gt_i64_e64 s[16:17], 0, v[15:16]
	v_not_b32_e32 v16, v16
	v_and_b32_e32 v18, exec_hi, v18
	v_ashrrev_i32_e32 v16, 31, v16
	v_and_b32_e32 v18, v18, v42
	v_xor_b32_e32 v42, s17, v16
	v_xor_b32_e32 v16, s16, v16
	v_and_b32_e32 v40, v40, v16
	v_lshlrev_b32_e32 v16, 28, v17
	v_cmp_gt_i64_e64 s[16:17], 0, v[15:16]
	v_not_b32_e32 v16, v16
	v_ashrrev_i32_e32 v16, 31, v16
	v_and_b32_e32 v18, v18, v42
	v_xor_b32_e32 v42, s17, v16
	v_xor_b32_e32 v16, s16, v16
	v_and_b32_e32 v40, v40, v16
	v_lshlrev_b32_e32 v16, 27, v17
	v_cmp_gt_i64_e64 s[16:17], 0, v[15:16]
	v_not_b32_e32 v16, v16
	;; [unrolled: 8-line block ×5, first 2 shown]
	v_ashrrev_i32_e32 v15, 31, v15
	v_xor_b32_e32 v16, s17, v15
	v_xor_b32_e32 v15, s16, v15
	ds_read_b32 v38, v41 offset:32
	v_and_b32_e32 v18, v18, v42
	v_and_b32_e32 v15, v40, v15
	;; [unrolled: 1-line block ×3, first 2 shown]
	v_mbcnt_lo_u32_b32 v17, v15, 0
	v_mbcnt_hi_u32_b32 v40, v16, v17
	v_cmp_ne_u64_e64 s[16:17], 0, v[15:16]
	v_cmp_eq_u32_e64 s[18:19], 0, v40
	s_and_b64 s[18:19], s[16:17], s[18:19]
	; wave barrier
	s_and_saveexec_b64 s[16:17], s[18:19]
	s_cbranch_execz .LBB1180_25
; %bb.24:
	v_bcnt_u32_b32 v15, v15, 0
	v_bcnt_u32_b32 v15, v16, v15
	s_waitcnt lgkmcnt(0)
	v_add_u32_e32 v15, v38, v15
	ds_write_b32 v41, v15 offset:32
.LBB1180_25:
	s_or_b64 exec, exec, s[16:17]
	; wave barrier
	s_waitcnt lgkmcnt(0)
	s_barrier
	ds_read2_b32 v[17:18], v24 offset0:8 offset1:9
	ds_read2_b32 v[15:16], v24 offset0:10 offset1:11
	ds_read_b32 v42, v24 offset:48
	v_min_u32_e32 v20, 0x1c0, v20
	v_or_b32_e32 v20, 63, v20
	s_waitcnt lgkmcnt(1)
	v_add3_u32 v43, v18, v17, v15
	s_waitcnt lgkmcnt(0)
	v_add3_u32 v42, v43, v16, v42
	v_and_b32_e32 v43, 15, v19
	v_cmp_ne_u32_e64 s[16:17], 0, v43
	v_mov_b32_dpp v44, v42 row_shr:1 row_mask:0xf bank_mask:0xf
	v_cndmask_b32_e64 v44, 0, v44, s[16:17]
	v_add_u32_e32 v42, v44, v42
	v_cmp_lt_u32_e64 s[16:17], 1, v43
	s_nop 0
	v_mov_b32_dpp v44, v42 row_shr:2 row_mask:0xf bank_mask:0xf
	v_cndmask_b32_e64 v44, 0, v44, s[16:17]
	v_add_u32_e32 v42, v42, v44
	v_cmp_lt_u32_e64 s[16:17], 3, v43
	s_nop 0
	;; [unrolled: 5-line block ×3, first 2 shown]
	v_mov_b32_dpp v44, v42 row_shr:8 row_mask:0xf bank_mask:0xf
	v_cndmask_b32_e64 v43, 0, v44, s[16:17]
	v_add_u32_e32 v42, v42, v43
	v_bfe_i32 v44, v19, 4, 1
	v_cmp_lt_u32_e64 s[16:17], 31, v19
	v_mov_b32_dpp v43, v42 row_bcast:15 row_mask:0xf bank_mask:0xf
	v_and_b32_e32 v43, v44, v43
	v_add_u32_e32 v42, v42, v43
	s_nop 1
	v_mov_b32_dpp v43, v42 row_bcast:31 row_mask:0xf bank_mask:0xf
	v_cndmask_b32_e64 v43, 0, v43, s[16:17]
	v_add_u32_e32 v42, v42, v43
	v_lshrrev_b32_e32 v43, 6, v0
	v_cmp_eq_u32_e64 s[16:17], v0, v20
	s_and_saveexec_b64 s[18:19], s[16:17]
; %bb.26:
	v_lshlrev_b32_e32 v20, 2, v43
	ds_write_b32 v20, v42
; %bb.27:
	s_or_b64 exec, exec, s[18:19]
	v_cmp_gt_u32_e64 s[16:17], 8, v0
	s_waitcnt lgkmcnt(0)
	s_barrier
	s_and_saveexec_b64 s[18:19], s[16:17]
	s_cbranch_execz .LBB1180_29
; %bb.28:
	v_lshlrev_b32_e32 v20, 2, v0
	ds_read_b32 v44, v20
	v_and_b32_e32 v45, 7, v19
	v_cmp_ne_u32_e64 s[16:17], 0, v45
	s_waitcnt lgkmcnt(0)
	v_mov_b32_dpp v46, v44 row_shr:1 row_mask:0xf bank_mask:0xf
	v_cndmask_b32_e64 v46, 0, v46, s[16:17]
	v_add_u32_e32 v44, v46, v44
	v_cmp_lt_u32_e64 s[16:17], 1, v45
	s_nop 0
	v_mov_b32_dpp v46, v44 row_shr:2 row_mask:0xf bank_mask:0xf
	v_cndmask_b32_e64 v46, 0, v46, s[16:17]
	v_add_u32_e32 v44, v44, v46
	v_cmp_lt_u32_e64 s[16:17], 3, v45
	s_nop 0
	v_mov_b32_dpp v46, v44 row_shr:4 row_mask:0xf bank_mask:0xf
	v_cndmask_b32_e64 v45, 0, v46, s[16:17]
	v_add_u32_e32 v44, v44, v45
	ds_write_b32 v20, v44
.LBB1180_29:
	s_or_b64 exec, exec, s[18:19]
	v_cmp_lt_u32_e64 s[16:17], 63, v0
	v_mov_b32_e32 v20, 0
	s_waitcnt lgkmcnt(0)
	s_barrier
	s_and_saveexec_b64 s[18:19], s[16:17]
; %bb.30:
	v_lshl_add_u32 v20, v43, 2, -4
	ds_read_b32 v20, v20
; %bb.31:
	s_or_b64 exec, exec, s[18:19]
	v_subrev_co_u32_e64 v43, s[16:17], 1, v19
	v_and_b32_e32 v44, 64, v19
	v_cmp_lt_i32_e64 s[18:19], v43, v44
	v_cndmask_b32_e64 v19, v43, v19, s[18:19]
	s_waitcnt lgkmcnt(0)
	v_add_u32_e32 v42, v20, v42
	v_lshlrev_b32_e32 v19, 2, v19
	ds_bpermute_b32 v19, v19, v42
	s_movk_i32 s22, 0x100
	v_cmp_gt_u32_e64 s[18:19], s22, v0
	s_waitcnt lgkmcnt(0)
	v_cndmask_b32_e64 v19, v19, v20, s[16:17]
	v_cmp_ne_u32_e64 s[16:17], 0, v0
	v_cndmask_b32_e64 v19, 0, v19, s[16:17]
	v_add_u32_e32 v17, v19, v17
	v_add_u32_e32 v18, v17, v18
	v_add_u32_e32 v15, v18, v15
	v_add_u32_e32 v16, v15, v16
	ds_write2_b32 v24, v19, v17 offset0:8 offset1:9
	ds_write2_b32 v24, v18, v15 offset0:10 offset1:11
	ds_write_b32 v24, v16 offset:48
	s_waitcnt lgkmcnt(0)
	s_barrier
	ds_read_b32 v43, v29 offset:32
	ds_read_b32 v42, v30 offset:32
	;; [unrolled: 1-line block ×6, first 2 shown]
	s_movk_i32 s16, 0xff
	v_cmp_lt_u32_e64 s[16:17], s16, v0
                                        ; implicit-def: $vgpr24
                                        ; implicit-def: $vgpr29
	s_and_saveexec_b64 s[46:47], s[18:19]
	s_cbranch_execz .LBB1180_35
; %bb.32:
	v_mul_u32_u24_e32 v15, 36, v0
	ds_read_b32 v24, v15 offset:32
	v_add_u32_e32 v16, 1, v0
	v_cmp_ne_u32_e64 s[22:23], s22, v16
	v_mov_b32_e32 v15, 0xc00
	s_and_saveexec_b64 s[48:49], s[22:23]
; %bb.33:
	v_mul_u32_u24_e32 v15, 36, v16
	ds_read_b32 v15, v15 offset:32
; %bb.34:
	s_or_b64 exec, exec, s[48:49]
	s_waitcnt lgkmcnt(0)
	v_sub_u32_e32 v29, v15, v24
.LBB1180_35:
	s_or_b64 exec, exec, s[46:47]
	v_mov_b32_e32 v16, 0
	v_lshlrev_b32_e32 v30, 2, v0
	s_waitcnt lgkmcnt(0)
	s_barrier
	s_and_saveexec_b64 s[22:23], s[18:19]
	s_cbranch_execz .LBB1180_45
; %bb.36:
	v_lshl_add_u32 v15, s6, 8, v0
	v_lshlrev_b64 v[17:18], 2, v[15:16]
	v_mov_b32_e32 v44, s35
	v_add_co_u32_e64 v17, s[18:19], s34, v17
	v_addc_co_u32_e64 v18, s[18:19], v44, v18, s[18:19]
	v_or_b32_e32 v15, 2.0, v29
	s_mov_b64 s[46:47], 0
	s_brev_b32 s52, -4
	s_mov_b32 s53, s6
	v_mov_b32_e32 v45, 0
	global_store_dword v[17:18], v15, off
                                        ; implicit-def: $sgpr18_sgpr19
	s_branch .LBB1180_39
.LBB1180_37:                            ;   in Loop: Header=BB1180_39 Depth=1
	s_or_b64 exec, exec, s[50:51]
.LBB1180_38:                            ;   in Loop: Header=BB1180_39 Depth=1
	s_or_b64 exec, exec, s[48:49]
	v_and_b32_e32 v19, 0x3fffffff, v15
	v_add_u32_e32 v45, v19, v45
	v_cmp_gt_i32_e64 s[18:19], -2.0, v15
	s_and_b64 s[48:49], exec, s[18:19]
	s_or_b64 s[46:47], s[48:49], s[46:47]
	s_andn2_b64 exec, exec, s[46:47]
	s_cbranch_execz .LBB1180_44
.LBB1180_39:                            ; =>This Loop Header: Depth=1
                                        ;     Child Loop BB1180_42 Depth 2
	s_or_b64 s[18:19], s[18:19], exec
	s_cmp_eq_u32 s53, 0
	s_cbranch_scc1 .LBB1180_43
; %bb.40:                               ;   in Loop: Header=BB1180_39 Depth=1
	s_add_i32 s53, s53, -1
	v_lshl_or_b32 v15, s53, 8, v0
	v_lshlrev_b64 v[19:20], 2, v[15:16]
	v_add_co_u32_e64 v19, s[18:19], s34, v19
	v_addc_co_u32_e64 v20, s[18:19], v44, v20, s[18:19]
	global_load_dword v15, v[19:20], off glc
	s_waitcnt vmcnt(0)
	v_cmp_gt_u32_e64 s[18:19], 2.0, v15
	s_and_saveexec_b64 s[48:49], s[18:19]
	s_cbranch_execz .LBB1180_38
; %bb.41:                               ;   in Loop: Header=BB1180_39 Depth=1
	s_mov_b64 s[50:51], 0
.LBB1180_42:                            ;   Parent Loop BB1180_39 Depth=1
                                        ; =>  This Inner Loop Header: Depth=2
	global_load_dword v15, v[19:20], off glc
	s_waitcnt vmcnt(0)
	v_cmp_lt_u32_e64 s[18:19], s52, v15
	s_or_b64 s[50:51], s[18:19], s[50:51]
	s_andn2_b64 exec, exec, s[50:51]
	s_cbranch_execnz .LBB1180_42
	s_branch .LBB1180_37
.LBB1180_43:                            ;   in Loop: Header=BB1180_39 Depth=1
                                        ; implicit-def: $sgpr53
	s_and_b64 s[48:49], exec, s[18:19]
	s_or_b64 s[46:47], s[48:49], s[46:47]
	s_andn2_b64 exec, exec, s[46:47]
	s_cbranch_execnz .LBB1180_39
.LBB1180_44:
	s_or_b64 exec, exec, s[46:47]
	v_add_u32_e32 v15, v45, v29
	v_or_b32_e32 v15, 0x80000000, v15
	global_store_dword v[17:18], v15, off
	global_load_dword v15, v30, s[36:37]
	v_sub_u32_e32 v16, v45, v24
	s_waitcnt vmcnt(0)
	v_add_u32_e32 v15, v16, v15
	ds_write_b32 v30, v15
.LBB1180_45:
	s_or_b64 exec, exec, s[22:23]
	v_add_u32_e32 v17, v43, v25
	v_add3_u32 v18, v40, v41, v38
	v_add3_u32 v19, v37, v39, v35
	v_add3_u32 v20, v34, v36, v32
	v_add3_u32 v25, v31, v33, v28
	v_add3_u32 v26, v27, v42, v26
	s_mov_b32 s46, 0
	s_mov_b32 s47, 0
	v_add_u32_e32 v27, v30, v30
	v_mov_b32_e32 v16, 0
	s_movk_i32 s48, 0x200
	v_mov_b32_e32 v28, v0
	s_branch .LBB1180_47
.LBB1180_46:                            ;   in Loop: Header=BB1180_47 Depth=1
	s_or_b64 exec, exec, s[22:23]
	s_addk_i32 s47, 0xfc00
	s_add_i32 s46, s46, 8
	s_cmpk_eq_i32 s47, 0xf400
	v_add_u32_e32 v28, 0x400, v28
	s_waitcnt vmcnt(0)
	s_barrier
	s_cbranch_scc1 .LBB1180_51
.LBB1180_47:                            ; =>This Inner Loop Header: Depth=1
	v_add_u32_e32 v15, s47, v17
	v_min_u32_e32 v15, 0x400, v15
	v_lshlrev_b32_e32 v15, 3, v15
	ds_write_b64 v15, v[5:6] offset:1024
	v_add_u32_e32 v15, s47, v26
	v_min_u32_e32 v15, 0x400, v15
	v_lshlrev_b32_e32 v15, 3, v15
	ds_write_b64 v15, v[3:4] offset:1024
	;; [unrolled: 4-line block ×5, first 2 shown]
	v_add_u32_e32 v15, s47, v18
	v_min_u32_e32 v15, 0x400, v15
	v_lshlrev_b32_e32 v15, 3, v15
	v_cmp_gt_u32_e64 s[18:19], s7, v28
	ds_write_b64 v15, v[11:12] offset:1024
	s_waitcnt lgkmcnt(0)
	s_barrier
	s_and_saveexec_b64 s[22:23], s[18:19]
	s_cbranch_execz .LBB1180_49
; %bb.48:                               ;   in Loop: Header=BB1180_47 Depth=1
	ds_read_b64 v[31:32], v27 offset:1024
	v_mov_b32_e32 v36, s27
	v_mov_b32_e32 v37, s46
	s_waitcnt lgkmcnt(0)
	v_lshrrev_b64 v[33:34], s40, v[31:32]
	v_xor_b32_e32 v32, 0x80000000, v32
	v_and_b32_e32 v35, s45, v33
	v_lshlrev_b32_e32 v15, 2, v35
	ds_read_b32 v15, v15
	buffer_store_dword v35, v37, s[0:3], 0 offen
	s_waitcnt lgkmcnt(0)
	v_add_u32_e32 v15, v28, v15
	v_lshlrev_b64 v[33:34], 3, v[15:16]
	v_add_co_u32_e64 v33, s[18:19], s26, v33
	v_addc_co_u32_e64 v34, s[18:19], v36, v34, s[18:19]
	global_store_dwordx2 v[33:34], v[31:32], off
.LBB1180_49:                            ;   in Loop: Header=BB1180_47 Depth=1
	s_or_b64 exec, exec, s[22:23]
	v_add_u32_e32 v15, 0x200, v28
	v_cmp_gt_u32_e64 s[18:19], s7, v15
	s_and_saveexec_b64 s[22:23], s[18:19]
	s_cbranch_execz .LBB1180_46
; %bb.50:                               ;   in Loop: Header=BB1180_47 Depth=1
	ds_read_b64 v[31:32], v27 offset:5120
	v_mov_b32_e32 v36, s27
	v_mov_b32_e32 v37, s46
	s_waitcnt lgkmcnt(0)
	v_lshrrev_b64 v[33:34], s40, v[31:32]
	v_xor_b32_e32 v32, 0x80000000, v32
	v_and_b32_e32 v35, s45, v33
	v_lshlrev_b32_e32 v15, 2, v35
	ds_read_b32 v15, v15
	buffer_store_dword v35, v37, s[0:3], 0 offen offset:4
	s_waitcnt lgkmcnt(0)
	v_add3_u32 v15, v28, v15, s48
	v_lshlrev_b64 v[33:34], 3, v[15:16]
	v_add_co_u32_e64 v33, s[18:19], s26, v33
	v_addc_co_u32_e64 v34, s[18:19], v36, v34, s[18:19]
	global_store_dwordx2 v[33:34], v[31:32], off
	s_branch .LBB1180_46
.LBB1180_51:
	s_add_u32 s18, s28, s42
	s_addc_u32 s19, s29, s43
	v_mov_b32_e32 v3, s19
	v_add_co_u32_e64 v4, s[18:19], s18, v22
	v_addc_co_u32_e64 v3, s[18:19], 0, v3, s[18:19]
	v_add_co_u32_e64 v15, s[18:19], v4, v23
	v_addc_co_u32_e64 v16, s[18:19], 0, v3, s[18:19]
                                        ; implicit-def: $vgpr3_vgpr4
	s_and_saveexec_b64 s[18:19], vcc
	s_cbranch_execz .LBB1180_57
; %bb.52:
	global_load_dwordx2 v[3:4], v[15:16], off
	s_or_b64 exec, exec, s[18:19]
                                        ; implicit-def: $vgpr5_vgpr6
	s_and_saveexec_b64 s[18:19], s[20:21]
	s_cbranch_execnz .LBB1180_58
.LBB1180_53:
	s_or_b64 exec, exec, s[18:19]
                                        ; implicit-def: $vgpr7_vgpr8
	s_and_saveexec_b64 s[18:19], s[8:9]
	s_cbranch_execz .LBB1180_59
.LBB1180_54:
	global_load_dwordx2 v[7:8], v[15:16], off offset:1024
	s_or_b64 exec, exec, s[18:19]
                                        ; implicit-def: $vgpr9_vgpr10
	s_and_saveexec_b64 s[8:9], s[10:11]
	s_cbranch_execnz .LBB1180_60
.LBB1180_55:
	s_or_b64 exec, exec, s[8:9]
                                        ; implicit-def: $vgpr11_vgpr12
	s_and_saveexec_b64 s[8:9], s[12:13]
	s_cbranch_execz .LBB1180_61
.LBB1180_56:
	global_load_dwordx2 v[11:12], v[15:16], off offset:2048
	s_or_b64 exec, exec, s[8:9]
                                        ; implicit-def: $vgpr13_vgpr14
	s_and_saveexec_b64 s[8:9], s[14:15]
	s_cbranch_execnz .LBB1180_62
	s_branch .LBB1180_63
.LBB1180_57:
	s_or_b64 exec, exec, s[18:19]
                                        ; implicit-def: $vgpr5_vgpr6
	s_and_saveexec_b64 s[18:19], s[20:21]
	s_cbranch_execz .LBB1180_53
.LBB1180_58:
	global_load_dwordx2 v[5:6], v[15:16], off offset:512
	s_or_b64 exec, exec, s[18:19]
                                        ; implicit-def: $vgpr7_vgpr8
	s_and_saveexec_b64 s[18:19], s[8:9]
	s_cbranch_execnz .LBB1180_54
.LBB1180_59:
	s_or_b64 exec, exec, s[18:19]
                                        ; implicit-def: $vgpr9_vgpr10
	s_and_saveexec_b64 s[8:9], s[10:11]
	s_cbranch_execz .LBB1180_55
.LBB1180_60:
	global_load_dwordx2 v[9:10], v[15:16], off offset:1536
	s_or_b64 exec, exec, s[8:9]
                                        ; implicit-def: $vgpr11_vgpr12
	s_and_saveexec_b64 s[8:9], s[12:13]
	s_cbranch_execnz .LBB1180_56
.LBB1180_61:
	s_or_b64 exec, exec, s[8:9]
                                        ; implicit-def: $vgpr13_vgpr14
	s_and_saveexec_b64 s[8:9], s[14:15]
	s_cbranch_execz .LBB1180_63
.LBB1180_62:
	global_load_dwordx2 v[13:14], v[15:16], off offset:2560
.LBB1180_63:
	s_or_b64 exec, exec, s[8:9]
	s_mov_b32 s10, 0
	s_mov_b32 s11, 0
	v_mov_b32_e32 v16, 0
	s_movk_i32 s12, 0x200
	v_mov_b32_e32 v22, v0
	s_branch .LBB1180_65
.LBB1180_64:                            ;   in Loop: Header=BB1180_65 Depth=1
	s_or_b64 exec, exec, s[8:9]
	s_addk_i32 s11, 0xfc00
	s_add_i32 s10, s10, 8
	s_cmpk_eq_i32 s11, 0xf400
	v_add_u32_e32 v22, 0x400, v22
	s_waitcnt vmcnt(0)
	s_barrier
	s_cbranch_scc1 .LBB1180_69
.LBB1180_65:                            ; =>This Inner Loop Header: Depth=1
	v_add_u32_e32 v15, s11, v17
	v_min_u32_e32 v15, 0x400, v15
	v_lshlrev_b32_e32 v15, 3, v15
	s_waitcnt vmcnt(0)
	ds_write_b64 v15, v[3:4] offset:1024
	v_add_u32_e32 v15, s11, v26
	v_min_u32_e32 v15, 0x400, v15
	v_lshlrev_b32_e32 v15, 3, v15
	ds_write_b64 v15, v[5:6] offset:1024
	v_add_u32_e32 v15, s11, v25
	v_min_u32_e32 v15, 0x400, v15
	v_lshlrev_b32_e32 v15, 3, v15
	;; [unrolled: 4-line block ×5, first 2 shown]
	v_cmp_gt_u32_e32 vcc, s7, v22
	ds_write_b64 v15, v[13:14] offset:1024
	s_waitcnt lgkmcnt(0)
	s_barrier
	s_and_saveexec_b64 s[8:9], vcc
	s_cbranch_execz .LBB1180_67
; %bb.66:                               ;   in Loop: Header=BB1180_65 Depth=1
	v_mov_b32_e32 v15, s10
	buffer_load_dword v15, v15, s[0:3], 0 offen
	v_mov_b32_e32 v23, s31
	s_waitcnt vmcnt(0)
	v_lshlrev_b32_e32 v15, 2, v15
	ds_read_b32 v15, v15
	ds_read_b64 v[31:32], v27 offset:1024
	s_waitcnt lgkmcnt(1)
	v_add_u32_e32 v15, v22, v15
	v_lshlrev_b64 v[33:34], 3, v[15:16]
	v_add_co_u32_e32 v33, vcc, s30, v33
	v_addc_co_u32_e32 v34, vcc, v23, v34, vcc
	s_waitcnt lgkmcnt(0)
	global_store_dwordx2 v[33:34], v[31:32], off
.LBB1180_67:                            ;   in Loop: Header=BB1180_65 Depth=1
	s_or_b64 exec, exec, s[8:9]
	v_add_u32_e32 v15, 0x200, v22
	v_cmp_gt_u32_e32 vcc, s7, v15
	s_and_saveexec_b64 s[8:9], vcc
	s_cbranch_execz .LBB1180_64
; %bb.68:                               ;   in Loop: Header=BB1180_65 Depth=1
	v_mov_b32_e32 v15, s10
	buffer_load_dword v15, v15, s[0:3], 0 offen offset:4
	v_mov_b32_e32 v23, s31
	s_waitcnt vmcnt(0)
	v_lshlrev_b32_e32 v15, 2, v15
	ds_read_b32 v15, v15
	ds_read_b64 v[31:32], v27 offset:5120
	s_waitcnt lgkmcnt(1)
	v_add3_u32 v15, v22, v15, s12
	v_lshlrev_b64 v[33:34], 3, v[15:16]
	v_add_co_u32_e32 v33, vcc, s30, v33
	v_addc_co_u32_e32 v34, vcc, v23, v34, vcc
	s_waitcnt lgkmcnt(0)
	global_store_dwordx2 v[33:34], v[31:32], off
	s_branch .LBB1180_64
.LBB1180_69:
	s_add_i32 s33, s33, -1
	s_cmp_eq_u32 s6, s33
	s_cselect_b64 s[8:9], -1, 0
	s_xor_b64 s[10:11], s[16:17], -1
	s_and_b64 s[10:11], s[10:11], s[8:9]
	s_and_saveexec_b64 s[8:9], s[10:11]
	s_cbranch_execz .LBB1180_71
; %bb.70:
	ds_read_b32 v3, v30
	s_waitcnt lgkmcnt(0)
	v_add3_u32 v3, v24, v29, v3
	global_store_dword v30, v3, s[38:39]
.LBB1180_71:
	s_or_b64 exec, exec, s[8:9]
	s_mov_b64 s[8:9], 0
.LBB1180_72:
	s_and_b64 vcc, exec, s[8:9]
	s_cbranch_vccz .LBB1180_111
; %bb.73:
	s_mov_b32 s45, 0
	s_lshl_b64 s[10:11], s[44:45], 3
	v_mbcnt_hi_u32_b32 v17, -1, v21
	s_add_u32 s7, s24, s10
	v_and_b32_e32 v3, 63, v17
	s_addc_u32 s8, s25, s11
	v_and_b32_e32 v18, 0x1c0, v0
	v_lshlrev_b32_e32 v19, 3, v3
	v_mul_u32_u24_e32 v4, 6, v18
	v_mov_b32_e32 v3, s8
	v_add_co_u32_e32 v5, vcc, s7, v19
	v_addc_co_u32_e32 v3, vcc, 0, v3, vcc
	v_lshlrev_b32_e32 v20, 3, v4
	v_add_co_u32_e32 v21, vcc, v5, v20
	v_addc_co_u32_e32 v22, vcc, 0, v3, vcc
	global_load_dwordx2 v[3:4], v[21:22], off
	s_load_dword s8, s[4:5], 0x64
	s_load_dword s7, s[4:5], 0x58
	s_add_u32 s4, s4, 0x58
	s_addc_u32 s5, s5, 0
	v_mov_b32_e32 v15, 0
	s_waitcnt lgkmcnt(0)
	s_lshr_b32 s12, s8, 16
	s_cmp_lt_u32 s6, s7
	s_cselect_b32 s8, 12, 18
	s_add_u32 s4, s4, s8
	s_addc_u32 s5, s5, 0
	global_load_ushort v23, v15, s[4:5]
	global_load_dwordx2 v[5:6], v[21:22], off offset:512
	global_load_dwordx2 v[7:8], v[21:22], off offset:1024
	global_load_dwordx2 v[9:10], v[21:22], off offset:1536
	global_load_dwordx2 v[11:12], v[21:22], off offset:2048
	global_load_dwordx2 v[13:14], v[21:22], off offset:2560
	s_lshl_b32 s4, -1, s41
	s_not_b32 s18, s4
	v_mad_u32_u24 v1, v2, s12, v1
	s_waitcnt vmcnt(6)
	v_xor_b32_e32 v4, 0x80000000, v4
	v_lshrrev_b64 v[21:22], s40, v[3:4]
	v_and_b32_e32 v24, s18, v21
	v_and_b32_e32 v21, 1, v24
	v_lshlrev_b32_e32 v16, 30, v24
	v_cmp_ne_u32_e32 vcc, 0, v21
	v_add_co_u32_e64 v21, s[8:9], -1, v21
	v_cmp_gt_i64_e64 s[4:5], 0, v[15:16]
	v_addc_co_u32_e64 v22, s[8:9], 0, -1, s[8:9]
	v_not_b32_e32 v25, v16
	v_lshlrev_b32_e32 v16, 29, v24
	v_xor_b32_e32 v22, vcc_hi, v22
	v_ashrrev_i32_e32 v25, 31, v25
	v_xor_b32_e32 v21, vcc_lo, v21
	v_cmp_gt_i64_e32 vcc, 0, v[15:16]
	v_not_b32_e32 v26, v16
	v_lshlrev_b32_e32 v16, 28, v24
	v_and_b32_e32 v22, exec_hi, v22
	v_xor_b32_e32 v27, s5, v25
	v_and_b32_e32 v21, exec_lo, v21
	v_xor_b32_e32 v25, s4, v25
	v_ashrrev_i32_e32 v26, 31, v26
	v_cmp_gt_i64_e64 s[4:5], 0, v[15:16]
	v_not_b32_e32 v28, v16
	v_lshlrev_b32_e32 v16, 27, v24
	v_and_b32_e32 v22, v22, v27
	v_and_b32_e32 v21, v21, v25
	v_xor_b32_e32 v25, vcc_hi, v26
	v_xor_b32_e32 v26, vcc_lo, v26
	v_ashrrev_i32_e32 v27, 31, v28
	v_cmp_gt_i64_e32 vcc, 0, v[15:16]
	v_not_b32_e32 v28, v16
	v_lshlrev_b32_e32 v16, 26, v24
	v_and_b32_e32 v22, v22, v25
	v_and_b32_e32 v21, v21, v26
	v_xor_b32_e32 v25, s5, v27
	v_xor_b32_e32 v26, s4, v27
	v_ashrrev_i32_e32 v27, 31, v28
	v_cmp_gt_i64_e64 s[4:5], 0, v[15:16]
	v_not_b32_e32 v28, v16
	v_lshlrev_b32_e32 v16, 25, v24
	v_and_b32_e32 v22, v22, v25
	v_and_b32_e32 v21, v21, v26
	v_xor_b32_e32 v25, vcc_hi, v27
	v_xor_b32_e32 v26, vcc_lo, v27
	v_ashrrev_i32_e32 v27, 31, v28
	v_cmp_gt_i64_e32 vcc, 0, v[15:16]
	v_not_b32_e32 v28, v16
	v_lshlrev_b32_e32 v16, 24, v24
	v_and_b32_e32 v22, v22, v25
	v_and_b32_e32 v21, v21, v26
	v_xor_b32_e32 v25, s5, v27
	v_xor_b32_e32 v26, s4, v27
	v_ashrrev_i32_e32 v27, 31, v28
	v_cmp_gt_i64_e64 s[4:5], 0, v[15:16]
	v_and_b32_e32 v22, v22, v25
	v_and_b32_e32 v21, v21, v26
	v_xor_b32_e32 v25, vcc_hi, v27
	v_xor_b32_e32 v26, vcc_lo, v27
	v_not_b32_e32 v16, v16
	v_and_b32_e32 v25, v22, v25
	v_and_b32_e32 v26, v21, v26
	v_ashrrev_i32_e32 v16, 31, v16
	s_waitcnt vmcnt(5)
	v_mad_u64_u32 v[21:22], s[8:9], v1, v23, v[0:1]
	v_xor_b32_e32 v27, s5, v16
	v_xor_b32_e32 v1, s4, v16
	v_mul_lo_u32 v16, v24, 36
	v_and_b32_e32 v1, v26, v1
	v_lshrrev_b32_e32 v32, 6, v21
	v_and_b32_e32 v2, v25, v27
	v_lshl_add_u32 v26, v32, 2, v16
	v_mbcnt_lo_u32_b32 v16, v1, 0
	v_mbcnt_hi_u32_b32 v21, v2, v16
	v_cmp_ne_u64_e32 vcc, 0, v[1:2]
	v_cmp_eq_u32_e64 s[4:5], 0, v21
	v_mul_u32_u24_e32 v25, 20, v0
	s_and_b64 s[8:9], vcc, s[4:5]
	ds_write2_b32 v25, v15, v15 offset0:8 offset1:9
	ds_write2_b32 v25, v15, v15 offset0:10 offset1:11
	ds_write_b32 v25, v15 offset:48
	s_waitcnt vmcnt(0) lgkmcnt(0)
	s_barrier
	; wave barrier
	s_and_saveexec_b64 s[4:5], s[8:9]
; %bb.74:
	v_bcnt_u32_b32 v1, v1, 0
	v_bcnt_u32_b32 v1, v2, v1
	ds_write_b32 v26, v1 offset:32
; %bb.75:
	s_or_b64 exec, exec, s[4:5]
	v_xor_b32_e32 v6, 0x80000000, v6
	v_lshrrev_b64 v[1:2], s40, v[5:6]
	v_and_b32_e32 v1, s18, v1
	v_mul_lo_u32 v2, v1, 36
	v_and_b32_e32 v16, 1, v1
	; wave barrier
	v_lshl_add_u32 v27, v32, 2, v2
	v_add_co_u32_e32 v2, vcc, -1, v16
	v_addc_co_u32_e64 v23, s[4:5], 0, -1, vcc
	v_cmp_ne_u32_e32 vcc, 0, v16
	v_xor_b32_e32 v16, vcc_hi, v23
	v_and_b32_e32 v23, exec_hi, v16
	v_lshlrev_b32_e32 v16, 30, v1
	v_xor_b32_e32 v2, vcc_lo, v2
	v_cmp_gt_i64_e32 vcc, 0, v[15:16]
	v_not_b32_e32 v16, v16
	v_ashrrev_i32_e32 v16, 31, v16
	v_and_b32_e32 v2, exec_lo, v2
	v_xor_b32_e32 v24, vcc_hi, v16
	v_xor_b32_e32 v16, vcc_lo, v16
	v_and_b32_e32 v2, v2, v16
	v_lshlrev_b32_e32 v16, 29, v1
	v_cmp_gt_i64_e32 vcc, 0, v[15:16]
	v_not_b32_e32 v16, v16
	v_ashrrev_i32_e32 v16, 31, v16
	v_and_b32_e32 v23, v23, v24
	v_xor_b32_e32 v24, vcc_hi, v16
	v_xor_b32_e32 v16, vcc_lo, v16
	v_and_b32_e32 v2, v2, v16
	v_lshlrev_b32_e32 v16, 28, v1
	v_cmp_gt_i64_e32 vcc, 0, v[15:16]
	v_not_b32_e32 v16, v16
	v_ashrrev_i32_e32 v16, 31, v16
	v_and_b32_e32 v23, v23, v24
	;; [unrolled: 8-line block ×5, first 2 shown]
	v_xor_b32_e32 v24, vcc_hi, v16
	v_xor_b32_e32 v16, vcc_lo, v16
	v_and_b32_e32 v23, v23, v24
	v_and_b32_e32 v24, v2, v16
	v_lshlrev_b32_e32 v16, 24, v1
	v_cmp_gt_i64_e32 vcc, 0, v[15:16]
	v_not_b32_e32 v1, v16
	v_ashrrev_i32_e32 v1, 31, v1
	v_xor_b32_e32 v2, vcc_hi, v1
	v_xor_b32_e32 v1, vcc_lo, v1
	ds_read_b32 v22, v27 offset:32
	v_and_b32_e32 v1, v24, v1
	v_and_b32_e32 v2, v23, v2
	v_mbcnt_lo_u32_b32 v15, v1, 0
	v_mbcnt_hi_u32_b32 v23, v2, v15
	v_cmp_ne_u64_e32 vcc, 0, v[1:2]
	v_cmp_eq_u32_e64 s[4:5], 0, v23
	s_and_b64 s[8:9], vcc, s[4:5]
	; wave barrier
	s_and_saveexec_b64 s[4:5], s[8:9]
	s_cbranch_execz .LBB1180_77
; %bb.76:
	v_bcnt_u32_b32 v1, v1, 0
	v_bcnt_u32_b32 v1, v2, v1
	s_waitcnt lgkmcnt(0)
	v_add_u32_e32 v1, v22, v1
	ds_write_b32 v27, v1 offset:32
.LBB1180_77:
	s_or_b64 exec, exec, s[4:5]
	v_xor_b32_e32 v8, 0x80000000, v8
	v_lshrrev_b64 v[1:2], s40, v[7:8]
	v_and_b32_e32 v15, s18, v1
	v_mul_lo_u32 v2, v15, 36
	v_and_b32_e32 v16, 1, v15
	v_mov_b32_e32 v1, 0
	; wave barrier
	v_lshl_add_u32 v30, v32, 2, v2
	v_add_co_u32_e32 v2, vcc, -1, v16
	v_addc_co_u32_e64 v28, s[4:5], 0, -1, vcc
	v_cmp_ne_u32_e32 vcc, 0, v16
	v_xor_b32_e32 v2, vcc_lo, v2
	v_xor_b32_e32 v16, vcc_hi, v28
	v_and_b32_e32 v28, exec_lo, v2
	v_lshlrev_b32_e32 v2, 30, v15
	v_cmp_gt_i64_e32 vcc, 0, v[1:2]
	v_not_b32_e32 v2, v2
	v_ashrrev_i32_e32 v2, 31, v2
	v_xor_b32_e32 v29, vcc_hi, v2
	v_xor_b32_e32 v2, vcc_lo, v2
	v_and_b32_e32 v28, v28, v2
	v_lshlrev_b32_e32 v2, 29, v15
	v_cmp_gt_i64_e32 vcc, 0, v[1:2]
	v_not_b32_e32 v2, v2
	v_and_b32_e32 v16, exec_hi, v16
	v_ashrrev_i32_e32 v2, 31, v2
	v_and_b32_e32 v16, v16, v29
	v_xor_b32_e32 v29, vcc_hi, v2
	v_xor_b32_e32 v2, vcc_lo, v2
	v_and_b32_e32 v28, v28, v2
	v_lshlrev_b32_e32 v2, 28, v15
	v_cmp_gt_i64_e32 vcc, 0, v[1:2]
	v_not_b32_e32 v2, v2
	v_ashrrev_i32_e32 v2, 31, v2
	v_and_b32_e32 v16, v16, v29
	v_xor_b32_e32 v29, vcc_hi, v2
	v_xor_b32_e32 v2, vcc_lo, v2
	v_and_b32_e32 v28, v28, v2
	v_lshlrev_b32_e32 v2, 27, v15
	v_cmp_gt_i64_e32 vcc, 0, v[1:2]
	v_not_b32_e32 v2, v2
	;; [unrolled: 8-line block ×5, first 2 shown]
	v_ashrrev_i32_e32 v2, 31, v2
	v_and_b32_e32 v16, v16, v29
	v_xor_b32_e32 v15, vcc_hi, v2
	v_xor_b32_e32 v2, vcc_lo, v2
	ds_read_b32 v24, v30 offset:32
	v_and_b32_e32 v16, v16, v15
	v_and_b32_e32 v15, v28, v2
	v_mbcnt_lo_u32_b32 v2, v15, 0
	v_mbcnt_hi_u32_b32 v28, v16, v2
	v_cmp_ne_u64_e32 vcc, 0, v[15:16]
	v_cmp_eq_u32_e64 s[4:5], 0, v28
	s_and_b64 s[8:9], vcc, s[4:5]
	; wave barrier
	s_and_saveexec_b64 s[4:5], s[8:9]
	s_cbranch_execz .LBB1180_79
; %bb.78:
	v_bcnt_u32_b32 v2, v15, 0
	v_bcnt_u32_b32 v2, v16, v2
	s_waitcnt lgkmcnt(0)
	v_add_u32_e32 v2, v24, v2
	ds_write_b32 v30, v2 offset:32
.LBB1180_79:
	s_or_b64 exec, exec, s[4:5]
	v_xor_b32_e32 v10, 0x80000000, v10
	v_lshrrev_b64 v[15:16], s40, v[9:10]
	v_and_b32_e32 v15, s18, v15
	v_mul_lo_u32 v2, v15, 36
	v_and_b32_e32 v16, 1, v15
	; wave barrier
	v_lshl_add_u32 v34, v32, 2, v2
	v_add_co_u32_e32 v2, vcc, -1, v16
	v_addc_co_u32_e64 v31, s[4:5], 0, -1, vcc
	v_cmp_ne_u32_e32 vcc, 0, v16
	v_xor_b32_e32 v2, vcc_lo, v2
	v_xor_b32_e32 v16, vcc_hi, v31
	v_and_b32_e32 v31, exec_lo, v2
	v_lshlrev_b32_e32 v2, 30, v15
	v_cmp_gt_i64_e32 vcc, 0, v[1:2]
	v_not_b32_e32 v2, v2
	v_ashrrev_i32_e32 v2, 31, v2
	v_xor_b32_e32 v33, vcc_hi, v2
	v_xor_b32_e32 v2, vcc_lo, v2
	v_and_b32_e32 v31, v31, v2
	v_lshlrev_b32_e32 v2, 29, v15
	v_cmp_gt_i64_e32 vcc, 0, v[1:2]
	v_not_b32_e32 v2, v2
	v_and_b32_e32 v16, exec_hi, v16
	v_ashrrev_i32_e32 v2, 31, v2
	v_and_b32_e32 v16, v16, v33
	v_xor_b32_e32 v33, vcc_hi, v2
	v_xor_b32_e32 v2, vcc_lo, v2
	v_and_b32_e32 v31, v31, v2
	v_lshlrev_b32_e32 v2, 28, v15
	v_cmp_gt_i64_e32 vcc, 0, v[1:2]
	v_not_b32_e32 v2, v2
	v_ashrrev_i32_e32 v2, 31, v2
	v_and_b32_e32 v16, v16, v33
	v_xor_b32_e32 v33, vcc_hi, v2
	v_xor_b32_e32 v2, vcc_lo, v2
	v_and_b32_e32 v31, v31, v2
	v_lshlrev_b32_e32 v2, 27, v15
	v_cmp_gt_i64_e32 vcc, 0, v[1:2]
	v_not_b32_e32 v2, v2
	;; [unrolled: 8-line block ×5, first 2 shown]
	v_ashrrev_i32_e32 v1, 31, v1
	v_xor_b32_e32 v2, vcc_hi, v1
	v_xor_b32_e32 v1, vcc_lo, v1
	ds_read_b32 v29, v34 offset:32
	v_and_b32_e32 v16, v16, v33
	v_and_b32_e32 v1, v31, v1
	;; [unrolled: 1-line block ×3, first 2 shown]
	v_mbcnt_lo_u32_b32 v15, v1, 0
	v_mbcnt_hi_u32_b32 v31, v2, v15
	v_cmp_ne_u64_e32 vcc, 0, v[1:2]
	v_cmp_eq_u32_e64 s[4:5], 0, v31
	s_and_b64 s[8:9], vcc, s[4:5]
	; wave barrier
	s_and_saveexec_b64 s[4:5], s[8:9]
	s_cbranch_execz .LBB1180_81
; %bb.80:
	v_bcnt_u32_b32 v1, v1, 0
	v_bcnt_u32_b32 v1, v2, v1
	s_waitcnt lgkmcnt(0)
	v_add_u32_e32 v1, v29, v1
	ds_write_b32 v34, v1 offset:32
.LBB1180_81:
	s_or_b64 exec, exec, s[4:5]
	v_xor_b32_e32 v12, 0x80000000, v12
	v_lshrrev_b64 v[1:2], s40, v[11:12]
	v_and_b32_e32 v15, s18, v1
	v_mul_lo_u32 v2, v15, 36
	v_and_b32_e32 v16, 1, v15
	v_mov_b32_e32 v1, 0
	; wave barrier
	v_lshl_add_u32 v37, v32, 2, v2
	v_add_co_u32_e32 v2, vcc, -1, v16
	v_addc_co_u32_e64 v35, s[4:5], 0, -1, vcc
	v_cmp_ne_u32_e32 vcc, 0, v16
	v_xor_b32_e32 v2, vcc_lo, v2
	v_xor_b32_e32 v16, vcc_hi, v35
	v_and_b32_e32 v35, exec_lo, v2
	v_lshlrev_b32_e32 v2, 30, v15
	v_cmp_gt_i64_e32 vcc, 0, v[1:2]
	v_not_b32_e32 v2, v2
	v_ashrrev_i32_e32 v2, 31, v2
	v_xor_b32_e32 v36, vcc_hi, v2
	v_xor_b32_e32 v2, vcc_lo, v2
	v_and_b32_e32 v35, v35, v2
	v_lshlrev_b32_e32 v2, 29, v15
	v_cmp_gt_i64_e32 vcc, 0, v[1:2]
	v_not_b32_e32 v2, v2
	v_and_b32_e32 v16, exec_hi, v16
	v_ashrrev_i32_e32 v2, 31, v2
	v_and_b32_e32 v16, v16, v36
	v_xor_b32_e32 v36, vcc_hi, v2
	v_xor_b32_e32 v2, vcc_lo, v2
	v_and_b32_e32 v35, v35, v2
	v_lshlrev_b32_e32 v2, 28, v15
	v_cmp_gt_i64_e32 vcc, 0, v[1:2]
	v_not_b32_e32 v2, v2
	v_ashrrev_i32_e32 v2, 31, v2
	v_and_b32_e32 v16, v16, v36
	v_xor_b32_e32 v36, vcc_hi, v2
	v_xor_b32_e32 v2, vcc_lo, v2
	v_and_b32_e32 v35, v35, v2
	v_lshlrev_b32_e32 v2, 27, v15
	v_cmp_gt_i64_e32 vcc, 0, v[1:2]
	v_not_b32_e32 v2, v2
	;; [unrolled: 8-line block ×5, first 2 shown]
	v_ashrrev_i32_e32 v2, 31, v2
	v_and_b32_e32 v16, v16, v36
	v_xor_b32_e32 v15, vcc_hi, v2
	v_xor_b32_e32 v2, vcc_lo, v2
	ds_read_b32 v33, v37 offset:32
	v_and_b32_e32 v16, v16, v15
	v_and_b32_e32 v15, v35, v2
	v_mbcnt_lo_u32_b32 v2, v15, 0
	v_mbcnt_hi_u32_b32 v35, v16, v2
	v_cmp_ne_u64_e32 vcc, 0, v[15:16]
	v_cmp_eq_u32_e64 s[4:5], 0, v35
	s_and_b64 s[8:9], vcc, s[4:5]
	; wave barrier
	s_and_saveexec_b64 s[4:5], s[8:9]
	s_cbranch_execz .LBB1180_83
; %bb.82:
	v_bcnt_u32_b32 v2, v15, 0
	v_bcnt_u32_b32 v2, v16, v2
	s_waitcnt lgkmcnt(0)
	v_add_u32_e32 v2, v33, v2
	ds_write_b32 v37, v2 offset:32
.LBB1180_83:
	s_or_b64 exec, exec, s[4:5]
	v_xor_b32_e32 v14, 0x80000000, v14
	v_lshrrev_b64 v[15:16], s40, v[13:14]
	v_and_b32_e32 v15, s18, v15
	v_mul_lo_u32 v2, v15, 36
	v_and_b32_e32 v16, 1, v15
	; wave barrier
	v_lshl_add_u32 v39, v32, 2, v2
	v_add_co_u32_e32 v2, vcc, -1, v16
	v_addc_co_u32_e64 v32, s[4:5], 0, -1, vcc
	v_cmp_ne_u32_e32 vcc, 0, v16
	v_xor_b32_e32 v2, vcc_lo, v2
	v_xor_b32_e32 v16, vcc_hi, v32
	v_and_b32_e32 v32, exec_lo, v2
	v_lshlrev_b32_e32 v2, 30, v15
	v_cmp_gt_i64_e32 vcc, 0, v[1:2]
	v_not_b32_e32 v2, v2
	v_ashrrev_i32_e32 v2, 31, v2
	v_xor_b32_e32 v38, vcc_hi, v2
	v_xor_b32_e32 v2, vcc_lo, v2
	v_and_b32_e32 v32, v32, v2
	v_lshlrev_b32_e32 v2, 29, v15
	v_cmp_gt_i64_e32 vcc, 0, v[1:2]
	v_not_b32_e32 v2, v2
	v_and_b32_e32 v16, exec_hi, v16
	v_ashrrev_i32_e32 v2, 31, v2
	v_and_b32_e32 v16, v16, v38
	v_xor_b32_e32 v38, vcc_hi, v2
	v_xor_b32_e32 v2, vcc_lo, v2
	v_and_b32_e32 v32, v32, v2
	v_lshlrev_b32_e32 v2, 28, v15
	v_cmp_gt_i64_e32 vcc, 0, v[1:2]
	v_not_b32_e32 v2, v2
	v_ashrrev_i32_e32 v2, 31, v2
	v_and_b32_e32 v16, v16, v38
	v_xor_b32_e32 v38, vcc_hi, v2
	v_xor_b32_e32 v2, vcc_lo, v2
	v_and_b32_e32 v32, v32, v2
	v_lshlrev_b32_e32 v2, 27, v15
	v_cmp_gt_i64_e32 vcc, 0, v[1:2]
	v_not_b32_e32 v2, v2
	;; [unrolled: 8-line block ×5, first 2 shown]
	v_ashrrev_i32_e32 v1, 31, v1
	v_xor_b32_e32 v2, vcc_hi, v1
	v_xor_b32_e32 v1, vcc_lo, v1
	ds_read_b32 v36, v39 offset:32
	v_and_b32_e32 v16, v16, v38
	v_and_b32_e32 v1, v32, v1
	;; [unrolled: 1-line block ×3, first 2 shown]
	v_mbcnt_lo_u32_b32 v15, v1, 0
	v_mbcnt_hi_u32_b32 v38, v2, v15
	v_cmp_ne_u64_e32 vcc, 0, v[1:2]
	v_cmp_eq_u32_e64 s[4:5], 0, v38
	s_and_b64 s[8:9], vcc, s[4:5]
	; wave barrier
	s_and_saveexec_b64 s[4:5], s[8:9]
	s_cbranch_execz .LBB1180_85
; %bb.84:
	v_bcnt_u32_b32 v1, v1, 0
	v_bcnt_u32_b32 v1, v2, v1
	s_waitcnt lgkmcnt(0)
	v_add_u32_e32 v1, v36, v1
	ds_write_b32 v39, v1 offset:32
.LBB1180_85:
	s_or_b64 exec, exec, s[4:5]
	; wave barrier
	s_waitcnt lgkmcnt(0)
	s_barrier
	ds_read2_b32 v[15:16], v25 offset0:8 offset1:9
	ds_read2_b32 v[1:2], v25 offset0:10 offset1:11
	ds_read_b32 v32, v25 offset:48
	v_min_u32_e32 v18, 0x1c0, v18
	v_or_b32_e32 v18, 63, v18
	s_waitcnt lgkmcnt(1)
	v_add3_u32 v40, v16, v15, v1
	s_waitcnt lgkmcnt(0)
	v_add3_u32 v32, v40, v2, v32
	v_and_b32_e32 v40, 15, v17
	v_cmp_ne_u32_e32 vcc, 0, v40
	v_mov_b32_dpp v41, v32 row_shr:1 row_mask:0xf bank_mask:0xf
	v_cndmask_b32_e32 v41, 0, v41, vcc
	v_add_u32_e32 v32, v41, v32
	v_cmp_lt_u32_e32 vcc, 1, v40
	s_nop 0
	v_mov_b32_dpp v41, v32 row_shr:2 row_mask:0xf bank_mask:0xf
	v_cndmask_b32_e32 v41, 0, v41, vcc
	v_add_u32_e32 v32, v32, v41
	v_cmp_lt_u32_e32 vcc, 3, v40
	s_nop 0
	;; [unrolled: 5-line block ×3, first 2 shown]
	v_mov_b32_dpp v41, v32 row_shr:8 row_mask:0xf bank_mask:0xf
	v_cndmask_b32_e32 v40, 0, v41, vcc
	v_add_u32_e32 v32, v32, v40
	v_bfe_i32 v41, v17, 4, 1
	v_cmp_lt_u32_e32 vcc, 31, v17
	v_mov_b32_dpp v40, v32 row_bcast:15 row_mask:0xf bank_mask:0xf
	v_and_b32_e32 v40, v41, v40
	v_add_u32_e32 v32, v32, v40
	v_lshrrev_b32_e32 v41, 6, v0
	s_nop 0
	v_mov_b32_dpp v40, v32 row_bcast:31 row_mask:0xf bank_mask:0xf
	v_cndmask_b32_e32 v40, 0, v40, vcc
	v_add_u32_e32 v40, v32, v40
	v_cmp_eq_u32_e32 vcc, v0, v18
	s_and_saveexec_b64 s[4:5], vcc
; %bb.86:
	v_lshlrev_b32_e32 v18, 2, v41
	ds_write_b32 v18, v40
; %bb.87:
	s_or_b64 exec, exec, s[4:5]
	v_cmp_gt_u32_e32 vcc, 8, v0
	v_lshlrev_b32_e32 v32, 2, v0
	s_waitcnt lgkmcnt(0)
	s_barrier
	s_and_saveexec_b64 s[4:5], vcc
	s_cbranch_execz .LBB1180_89
; %bb.88:
	ds_read_b32 v18, v32
	v_and_b32_e32 v42, 7, v17
	v_cmp_ne_u32_e32 vcc, 0, v42
	s_waitcnt lgkmcnt(0)
	v_mov_b32_dpp v43, v18 row_shr:1 row_mask:0xf bank_mask:0xf
	v_cndmask_b32_e32 v43, 0, v43, vcc
	v_add_u32_e32 v18, v43, v18
	v_cmp_lt_u32_e32 vcc, 1, v42
	s_nop 0
	v_mov_b32_dpp v43, v18 row_shr:2 row_mask:0xf bank_mask:0xf
	v_cndmask_b32_e32 v43, 0, v43, vcc
	v_add_u32_e32 v18, v18, v43
	v_cmp_lt_u32_e32 vcc, 3, v42
	s_nop 0
	v_mov_b32_dpp v43, v18 row_shr:4 row_mask:0xf bank_mask:0xf
	v_cndmask_b32_e32 v42, 0, v43, vcc
	v_add_u32_e32 v18, v18, v42
	ds_write_b32 v32, v18
.LBB1180_89:
	s_or_b64 exec, exec, s[4:5]
	v_cmp_lt_u32_e32 vcc, 63, v0
	v_mov_b32_e32 v18, 0
	s_waitcnt lgkmcnt(0)
	s_barrier
	s_and_saveexec_b64 s[4:5], vcc
; %bb.90:
	v_lshl_add_u32 v18, v41, 2, -4
	ds_read_b32 v18, v18
; %bb.91:
	s_or_b64 exec, exec, s[4:5]
	v_subrev_co_u32_e32 v41, vcc, 1, v17
	v_and_b32_e32 v42, 64, v17
	v_cmp_lt_i32_e64 s[4:5], v41, v42
	v_cndmask_b32_e64 v17, v41, v17, s[4:5]
	s_waitcnt lgkmcnt(0)
	v_add_u32_e32 v40, v18, v40
	v_lshlrev_b32_e32 v17, 2, v17
	ds_bpermute_b32 v17, v17, v40
	s_movk_i32 s4, 0xff
	s_movk_i32 s8, 0x100
	s_waitcnt lgkmcnt(0)
	v_cndmask_b32_e32 v17, v17, v18, vcc
	v_cmp_ne_u32_e32 vcc, 0, v0
	v_cndmask_b32_e32 v17, 0, v17, vcc
	v_add_u32_e32 v15, v17, v15
	v_add_u32_e32 v16, v15, v16
	;; [unrolled: 1-line block ×4, first 2 shown]
	ds_write2_b32 v25, v17, v15 offset0:8 offset1:9
	ds_write2_b32 v25, v16, v1 offset0:10 offset1:11
	ds_write_b32 v25, v2 offset:48
	s_waitcnt lgkmcnt(0)
	s_barrier
	ds_read_b32 v40, v26 offset:32
	ds_read_b32 v27, v27 offset:32
	;; [unrolled: 1-line block ×6, first 2 shown]
	v_cmp_lt_u32_e32 vcc, s4, v0
	v_cmp_gt_u32_e64 s[4:5], s8, v0
                                        ; implicit-def: $vgpr25
                                        ; implicit-def: $vgpr26
	s_and_saveexec_b64 s[12:13], s[4:5]
	s_cbranch_execz .LBB1180_95
; %bb.92:
	v_mul_u32_u24_e32 v1, 36, v0
	ds_read_b32 v25, v1 offset:32
	v_add_u32_e32 v2, 1, v0
	v_cmp_ne_u32_e64 s[8:9], s8, v2
	v_mov_b32_e32 v1, 0xc00
	s_and_saveexec_b64 s[14:15], s[8:9]
; %bb.93:
	v_mul_u32_u24_e32 v1, 36, v2
	ds_read_b32 v1, v1 offset:32
; %bb.94:
	s_or_b64 exec, exec, s[14:15]
	s_waitcnt lgkmcnt(0)
	v_sub_u32_e32 v26, v1, v25
.LBB1180_95:
	s_or_b64 exec, exec, s[12:13]
	v_mov_b32_e32 v2, 0
	s_waitcnt lgkmcnt(0)
	s_barrier
	s_and_saveexec_b64 s[8:9], s[4:5]
	s_cbranch_execz .LBB1180_105
; %bb.96:
	v_lshl_add_u32 v1, s6, 8, v0
	v_lshlrev_b64 v[15:16], 2, v[1:2]
	v_mov_b32_e32 v41, s35
	v_add_co_u32_e64 v15, s[4:5], s34, v15
	v_addc_co_u32_e64 v16, s[4:5], v41, v16, s[4:5]
	v_or_b32_e32 v1, 2.0, v26
	s_mov_b64 s[12:13], 0
	s_brev_b32 s19, -4
	s_mov_b32 s20, s6
	v_mov_b32_e32 v42, 0
	global_store_dword v[15:16], v1, off
                                        ; implicit-def: $sgpr4_sgpr5
	s_branch .LBB1180_99
.LBB1180_97:                            ;   in Loop: Header=BB1180_99 Depth=1
	s_or_b64 exec, exec, s[16:17]
.LBB1180_98:                            ;   in Loop: Header=BB1180_99 Depth=1
	s_or_b64 exec, exec, s[14:15]
	v_and_b32_e32 v17, 0x3fffffff, v1
	v_add_u32_e32 v42, v17, v42
	v_cmp_gt_i32_e64 s[4:5], -2.0, v1
	s_and_b64 s[14:15], exec, s[4:5]
	s_or_b64 s[12:13], s[14:15], s[12:13]
	s_andn2_b64 exec, exec, s[12:13]
	s_cbranch_execz .LBB1180_104
.LBB1180_99:                            ; =>This Loop Header: Depth=1
                                        ;     Child Loop BB1180_102 Depth 2
	s_or_b64 s[4:5], s[4:5], exec
	s_cmp_eq_u32 s20, 0
	s_cbranch_scc1 .LBB1180_103
; %bb.100:                              ;   in Loop: Header=BB1180_99 Depth=1
	s_add_i32 s20, s20, -1
	v_lshl_or_b32 v1, s20, 8, v0
	v_lshlrev_b64 v[17:18], 2, v[1:2]
	v_add_co_u32_e64 v17, s[4:5], s34, v17
	v_addc_co_u32_e64 v18, s[4:5], v41, v18, s[4:5]
	global_load_dword v1, v[17:18], off glc
	s_waitcnt vmcnt(0)
	v_cmp_gt_u32_e64 s[4:5], 2.0, v1
	s_and_saveexec_b64 s[14:15], s[4:5]
	s_cbranch_execz .LBB1180_98
; %bb.101:                              ;   in Loop: Header=BB1180_99 Depth=1
	s_mov_b64 s[16:17], 0
.LBB1180_102:                           ;   Parent Loop BB1180_99 Depth=1
                                        ; =>  This Inner Loop Header: Depth=2
	global_load_dword v1, v[17:18], off glc
	s_waitcnt vmcnt(0)
	v_cmp_lt_u32_e64 s[4:5], s19, v1
	s_or_b64 s[16:17], s[4:5], s[16:17]
	s_andn2_b64 exec, exec, s[16:17]
	s_cbranch_execnz .LBB1180_102
	s_branch .LBB1180_97
.LBB1180_103:                           ;   in Loop: Header=BB1180_99 Depth=1
                                        ; implicit-def: $sgpr20
	s_and_b64 s[14:15], exec, s[4:5]
	s_or_b64 s[12:13], s[14:15], s[12:13]
	s_andn2_b64 exec, exec, s[12:13]
	s_cbranch_execnz .LBB1180_99
.LBB1180_104:
	s_or_b64 exec, exec, s[12:13]
	v_add_u32_e32 v1, v42, v26
	v_or_b32_e32 v1, 0x80000000, v1
	global_store_dword v[15:16], v1, off
	global_load_dword v1, v32, s[36:37]
	v_sub_u32_e32 v2, v42, v25
	s_waitcnt vmcnt(0)
	v_add_u32_e32 v1, v2, v1
	ds_write_b32 v32, v1
.LBB1180_105:
	s_or_b64 exec, exec, s[8:9]
	v_add_u32_e32 v15, v40, v21
	v_add3_u32 v16, v38, v39, v36
	v_add3_u32 v17, v35, v37, v33
	;; [unrolled: 1-line block ×5, first 2 shown]
	s_mov_b32 s8, 0
	s_mov_b32 s9, 0
	v_add_u32_e32 v23, v32, v32
	v_mov_b32_e32 v2, 0
	v_mov_b32_e32 v24, s27
	s_movk_i32 s12, 0x200
	v_mov_b32_e32 v27, v0
.LBB1180_106:                           ; =>This Inner Loop Header: Depth=1
	v_add_u32_e32 v1, s9, v15
	v_add_u32_e32 v28, s9, v22
	;; [unrolled: 1-line block ×6, first 2 shown]
	v_min_u32_e32 v1, 0x400, v1
	v_min_u32_e32 v28, 0x400, v28
	;; [unrolled: 1-line block ×6, first 2 shown]
	v_lshlrev_b32_e32 v1, 3, v1
	v_lshlrev_b32_e32 v28, 3, v28
	;; [unrolled: 1-line block ×6, first 2 shown]
	ds_write_b64 v1, v[3:4] offset:1024
	ds_write_b64 v28, v[5:6] offset:1024
	;; [unrolled: 1-line block ×6, first 2 shown]
	s_waitcnt lgkmcnt(0)
	s_barrier
	ds_read2st64_b64 v[28:31], v23 offset0:2 offset1:10
	v_mov_b32_e32 v36, s8
	s_addk_i32 s9, 0xfc00
	s_add_i32 s8, s8, 8
	s_cmpk_lg_i32 s9, 0xf400
	s_waitcnt lgkmcnt(0)
	v_lshrrev_b64 v[33:34], s40, v[28:29]
	v_lshrrev_b64 v[34:35], s40, v[30:31]
	v_and_b32_e32 v1, s18, v33
	v_and_b32_e32 v33, s18, v34
	v_lshlrev_b32_e32 v34, 2, v1
	buffer_store_dword v1, v36, s[0:3], 0 offen
	buffer_store_dword v33, v36, s[0:3], 0 offen offset:4
	v_lshlrev_b32_e32 v1, 2, v33
	ds_read_b32 v33, v34
	ds_read_b32 v35, v1
	v_xor_b32_e32 v29, 0x80000000, v29
	v_xor_b32_e32 v31, 0x80000000, v31
	s_waitcnt lgkmcnt(1)
	v_add_u32_e32 v1, v27, v33
	v_lshlrev_b64 v[33:34], 3, v[1:2]
	s_waitcnt lgkmcnt(0)
	v_add3_u32 v1, v27, v35, s12
	v_lshlrev_b64 v[35:36], 3, v[1:2]
	v_add_co_u32_e64 v33, s[4:5], s26, v33
	v_addc_co_u32_e64 v34, s[4:5], v24, v34, s[4:5]
	global_store_dwordx2 v[33:34], v[28:29], off
	v_add_co_u32_e64 v28, s[4:5], s26, v35
	v_add_u32_e32 v27, 0x400, v27
	v_addc_co_u32_e64 v29, s[4:5], v24, v36, s[4:5]
	global_store_dwordx2 v[28:29], v[30:31], off
	s_waitcnt vmcnt(0)
	s_barrier
	s_cbranch_scc1 .LBB1180_106
; %bb.107:
	s_add_u32 s4, s28, s10
	s_addc_u32 s5, s29, s11
	v_mov_b32_e32 v1, s5
	v_add_co_u32_e64 v2, s[4:5], s4, v19
	v_addc_co_u32_e64 v1, s[4:5], 0, v1, s[4:5]
	v_add_co_u32_e64 v13, s[4:5], v2, v20
	v_addc_co_u32_e64 v14, s[4:5], 0, v1, s[4:5]
	global_load_dwordx2 v[1:2], v[13:14], off
	global_load_dwordx2 v[3:4], v[13:14], off offset:512
	global_load_dwordx2 v[5:6], v[13:14], off offset:1024
	;; [unrolled: 1-line block ×5, first 2 shown]
	v_mov_b32_e32 v14, 0
	s_mov_b32 s8, 0
	s_mov_b32 s9, 0
	v_mov_b32_e32 v19, s31
	s_movk_i32 s10, 0x200
.LBB1180_108:                           ; =>This Inner Loop Header: Depth=1
	v_add_u32_e32 v13, s9, v15
	v_add_u32_e32 v20, s9, v22
	;; [unrolled: 1-line block ×6, first 2 shown]
	v_min_u32_e32 v13, 0x400, v13
	v_min_u32_e32 v20, 0x400, v20
	v_mov_b32_e32 v30, s8
	v_min_u32_e32 v24, 0x400, v24
	v_min_u32_e32 v27, 0x400, v27
	v_min_u32_e32 v28, 0x400, v28
	v_min_u32_e32 v29, 0x400, v29
	v_lshlrev_b32_e32 v13, 3, v13
	v_lshlrev_b32_e32 v20, 3, v20
	;; [unrolled: 1-line block ×6, first 2 shown]
	s_waitcnt vmcnt(5)
	ds_write_b64 v13, v[1:2] offset:1024
	s_waitcnt vmcnt(4)
	ds_write_b64 v20, v[3:4] offset:1024
	;; [unrolled: 2-line block ×6, first 2 shown]
	s_waitcnt lgkmcnt(0)
	s_barrier
	buffer_load_dword v13, v30, s[0:3], 0 offen
	buffer_load_dword v20, v30, s[0:3], 0 offen offset:4
	ds_read2st64_b64 v[27:30], v23 offset0:2 offset1:10
	s_addk_i32 s9, 0xfc00
	s_add_i32 s8, s8, 8
	s_cmpk_lg_i32 s9, 0xf400
	s_waitcnt vmcnt(1)
	v_lshlrev_b32_e32 v13, 2, v13
	s_waitcnt vmcnt(0)
	v_lshlrev_b32_e32 v20, 2, v20
	ds_read_b32 v13, v13
	ds_read_b32 v20, v20
	s_waitcnt lgkmcnt(1)
	v_add_u32_e32 v13, v0, v13
	v_lshlrev_b64 v[33:34], 3, v[13:14]
	s_waitcnt lgkmcnt(0)
	v_add3_u32 v13, v0, v20, s10
	v_lshlrev_b64 v[35:36], 3, v[13:14]
	v_add_co_u32_e64 v33, s[4:5], s30, v33
	v_addc_co_u32_e64 v34, s[4:5], v19, v34, s[4:5]
	global_store_dwordx2 v[33:34], v[27:28], off
	v_add_co_u32_e64 v27, s[4:5], s30, v35
	v_add_u32_e32 v0, 0x400, v0
	v_addc_co_u32_e64 v28, s[4:5], v19, v36, s[4:5]
	global_store_dwordx2 v[27:28], v[29:30], off
	s_waitcnt vmcnt(0)
	s_barrier
	s_cbranch_scc1 .LBB1180_108
; %bb.109:
	s_add_i32 s7, s7, -1
	s_cmp_eq_u32 s6, s7
	s_cselect_b64 s[4:5], -1, 0
	s_xor_b64 s[6:7], vcc, -1
	s_and_b64 s[4:5], s[6:7], s[4:5]
	s_and_saveexec_b64 s[6:7], s[4:5]
	s_cbranch_execz .LBB1180_111
; %bb.110:
	ds_read_b32 v0, v32
	s_waitcnt lgkmcnt(0)
	v_add3_u32 v0, v25, v26, v0
	global_store_dword v32, v0, s[38:39]
.LBB1180_111:
	s_endpgm
	.section	.rodata,"a",@progbits
	.p2align	6, 0x0
	.amdhsa_kernel _ZN7rocprim17ROCPRIM_400000_NS6detail17trampoline_kernelINS0_14default_configENS1_35radix_sort_onesweep_config_selectorIllEEZZNS1_29radix_sort_onesweep_iterationIS3_Lb0EPlS7_N6thrust23THRUST_200600_302600_NS10device_ptrIlEESB_jNS0_19identity_decomposerENS1_16block_id_wrapperIjLb0EEEEE10hipError_tT1_PNSt15iterator_traitsISG_E10value_typeET2_T3_PNSH_ISM_E10value_typeET4_T5_PSR_SS_PNS1_23onesweep_lookback_stateEbbT6_jjT7_P12ihipStream_tbENKUlT_T0_SG_SL_E_clIS7_S7_S7_SB_EEDaSZ_S10_SG_SL_EUlSZ_E_NS1_11comp_targetILNS1_3genE2ELNS1_11target_archE906ELNS1_3gpuE6ELNS1_3repE0EEENS1_47radix_sort_onesweep_sort_config_static_selectorELNS0_4arch9wavefront6targetE1EEEvSG_
		.amdhsa_group_segment_fixed_size 10280
		.amdhsa_private_segment_fixed_size 32
		.amdhsa_kernarg_size 344
		.amdhsa_user_sgpr_count 6
		.amdhsa_user_sgpr_private_segment_buffer 1
		.amdhsa_user_sgpr_dispatch_ptr 0
		.amdhsa_user_sgpr_queue_ptr 0
		.amdhsa_user_sgpr_kernarg_segment_ptr 1
		.amdhsa_user_sgpr_dispatch_id 0
		.amdhsa_user_sgpr_flat_scratch_init 0
		.amdhsa_user_sgpr_private_segment_size 0
		.amdhsa_uses_dynamic_stack 0
		.amdhsa_system_sgpr_private_segment_wavefront_offset 1
		.amdhsa_system_sgpr_workgroup_id_x 1
		.amdhsa_system_sgpr_workgroup_id_y 0
		.amdhsa_system_sgpr_workgroup_id_z 0
		.amdhsa_system_sgpr_workgroup_info 0
		.amdhsa_system_vgpr_workitem_id 2
		.amdhsa_next_free_vgpr 47
		.amdhsa_next_free_sgpr 54
		.amdhsa_reserve_vcc 1
		.amdhsa_reserve_flat_scratch 0
		.amdhsa_float_round_mode_32 0
		.amdhsa_float_round_mode_16_64 0
		.amdhsa_float_denorm_mode_32 3
		.amdhsa_float_denorm_mode_16_64 3
		.amdhsa_dx10_clamp 1
		.amdhsa_ieee_mode 1
		.amdhsa_fp16_overflow 0
		.amdhsa_exception_fp_ieee_invalid_op 0
		.amdhsa_exception_fp_denorm_src 0
		.amdhsa_exception_fp_ieee_div_zero 0
		.amdhsa_exception_fp_ieee_overflow 0
		.amdhsa_exception_fp_ieee_underflow 0
		.amdhsa_exception_fp_ieee_inexact 0
		.amdhsa_exception_int_div_zero 0
	.end_amdhsa_kernel
	.section	.text._ZN7rocprim17ROCPRIM_400000_NS6detail17trampoline_kernelINS0_14default_configENS1_35radix_sort_onesweep_config_selectorIllEEZZNS1_29radix_sort_onesweep_iterationIS3_Lb0EPlS7_N6thrust23THRUST_200600_302600_NS10device_ptrIlEESB_jNS0_19identity_decomposerENS1_16block_id_wrapperIjLb0EEEEE10hipError_tT1_PNSt15iterator_traitsISG_E10value_typeET2_T3_PNSH_ISM_E10value_typeET4_T5_PSR_SS_PNS1_23onesweep_lookback_stateEbbT6_jjT7_P12ihipStream_tbENKUlT_T0_SG_SL_E_clIS7_S7_S7_SB_EEDaSZ_S10_SG_SL_EUlSZ_E_NS1_11comp_targetILNS1_3genE2ELNS1_11target_archE906ELNS1_3gpuE6ELNS1_3repE0EEENS1_47radix_sort_onesweep_sort_config_static_selectorELNS0_4arch9wavefront6targetE1EEEvSG_,"axG",@progbits,_ZN7rocprim17ROCPRIM_400000_NS6detail17trampoline_kernelINS0_14default_configENS1_35radix_sort_onesweep_config_selectorIllEEZZNS1_29radix_sort_onesweep_iterationIS3_Lb0EPlS7_N6thrust23THRUST_200600_302600_NS10device_ptrIlEESB_jNS0_19identity_decomposerENS1_16block_id_wrapperIjLb0EEEEE10hipError_tT1_PNSt15iterator_traitsISG_E10value_typeET2_T3_PNSH_ISM_E10value_typeET4_T5_PSR_SS_PNS1_23onesweep_lookback_stateEbbT6_jjT7_P12ihipStream_tbENKUlT_T0_SG_SL_E_clIS7_S7_S7_SB_EEDaSZ_S10_SG_SL_EUlSZ_E_NS1_11comp_targetILNS1_3genE2ELNS1_11target_archE906ELNS1_3gpuE6ELNS1_3repE0EEENS1_47radix_sort_onesweep_sort_config_static_selectorELNS0_4arch9wavefront6targetE1EEEvSG_,comdat
.Lfunc_end1180:
	.size	_ZN7rocprim17ROCPRIM_400000_NS6detail17trampoline_kernelINS0_14default_configENS1_35radix_sort_onesweep_config_selectorIllEEZZNS1_29radix_sort_onesweep_iterationIS3_Lb0EPlS7_N6thrust23THRUST_200600_302600_NS10device_ptrIlEESB_jNS0_19identity_decomposerENS1_16block_id_wrapperIjLb0EEEEE10hipError_tT1_PNSt15iterator_traitsISG_E10value_typeET2_T3_PNSH_ISM_E10value_typeET4_T5_PSR_SS_PNS1_23onesweep_lookback_stateEbbT6_jjT7_P12ihipStream_tbENKUlT_T0_SG_SL_E_clIS7_S7_S7_SB_EEDaSZ_S10_SG_SL_EUlSZ_E_NS1_11comp_targetILNS1_3genE2ELNS1_11target_archE906ELNS1_3gpuE6ELNS1_3repE0EEENS1_47radix_sort_onesweep_sort_config_static_selectorELNS0_4arch9wavefront6targetE1EEEvSG_, .Lfunc_end1180-_ZN7rocprim17ROCPRIM_400000_NS6detail17trampoline_kernelINS0_14default_configENS1_35radix_sort_onesweep_config_selectorIllEEZZNS1_29radix_sort_onesweep_iterationIS3_Lb0EPlS7_N6thrust23THRUST_200600_302600_NS10device_ptrIlEESB_jNS0_19identity_decomposerENS1_16block_id_wrapperIjLb0EEEEE10hipError_tT1_PNSt15iterator_traitsISG_E10value_typeET2_T3_PNSH_ISM_E10value_typeET4_T5_PSR_SS_PNS1_23onesweep_lookback_stateEbbT6_jjT7_P12ihipStream_tbENKUlT_T0_SG_SL_E_clIS7_S7_S7_SB_EEDaSZ_S10_SG_SL_EUlSZ_E_NS1_11comp_targetILNS1_3genE2ELNS1_11target_archE906ELNS1_3gpuE6ELNS1_3repE0EEENS1_47radix_sort_onesweep_sort_config_static_selectorELNS0_4arch9wavefront6targetE1EEEvSG_
                                        ; -- End function
	.set _ZN7rocprim17ROCPRIM_400000_NS6detail17trampoline_kernelINS0_14default_configENS1_35radix_sort_onesweep_config_selectorIllEEZZNS1_29radix_sort_onesweep_iterationIS3_Lb0EPlS7_N6thrust23THRUST_200600_302600_NS10device_ptrIlEESB_jNS0_19identity_decomposerENS1_16block_id_wrapperIjLb0EEEEE10hipError_tT1_PNSt15iterator_traitsISG_E10value_typeET2_T3_PNSH_ISM_E10value_typeET4_T5_PSR_SS_PNS1_23onesweep_lookback_stateEbbT6_jjT7_P12ihipStream_tbENKUlT_T0_SG_SL_E_clIS7_S7_S7_SB_EEDaSZ_S10_SG_SL_EUlSZ_E_NS1_11comp_targetILNS1_3genE2ELNS1_11target_archE906ELNS1_3gpuE6ELNS1_3repE0EEENS1_47radix_sort_onesweep_sort_config_static_selectorELNS0_4arch9wavefront6targetE1EEEvSG_.num_vgpr, 47
	.set _ZN7rocprim17ROCPRIM_400000_NS6detail17trampoline_kernelINS0_14default_configENS1_35radix_sort_onesweep_config_selectorIllEEZZNS1_29radix_sort_onesweep_iterationIS3_Lb0EPlS7_N6thrust23THRUST_200600_302600_NS10device_ptrIlEESB_jNS0_19identity_decomposerENS1_16block_id_wrapperIjLb0EEEEE10hipError_tT1_PNSt15iterator_traitsISG_E10value_typeET2_T3_PNSH_ISM_E10value_typeET4_T5_PSR_SS_PNS1_23onesweep_lookback_stateEbbT6_jjT7_P12ihipStream_tbENKUlT_T0_SG_SL_E_clIS7_S7_S7_SB_EEDaSZ_S10_SG_SL_EUlSZ_E_NS1_11comp_targetILNS1_3genE2ELNS1_11target_archE906ELNS1_3gpuE6ELNS1_3repE0EEENS1_47radix_sort_onesweep_sort_config_static_selectorELNS0_4arch9wavefront6targetE1EEEvSG_.num_agpr, 0
	.set _ZN7rocprim17ROCPRIM_400000_NS6detail17trampoline_kernelINS0_14default_configENS1_35radix_sort_onesweep_config_selectorIllEEZZNS1_29radix_sort_onesweep_iterationIS3_Lb0EPlS7_N6thrust23THRUST_200600_302600_NS10device_ptrIlEESB_jNS0_19identity_decomposerENS1_16block_id_wrapperIjLb0EEEEE10hipError_tT1_PNSt15iterator_traitsISG_E10value_typeET2_T3_PNSH_ISM_E10value_typeET4_T5_PSR_SS_PNS1_23onesweep_lookback_stateEbbT6_jjT7_P12ihipStream_tbENKUlT_T0_SG_SL_E_clIS7_S7_S7_SB_EEDaSZ_S10_SG_SL_EUlSZ_E_NS1_11comp_targetILNS1_3genE2ELNS1_11target_archE906ELNS1_3gpuE6ELNS1_3repE0EEENS1_47radix_sort_onesweep_sort_config_static_selectorELNS0_4arch9wavefront6targetE1EEEvSG_.numbered_sgpr, 54
	.set _ZN7rocprim17ROCPRIM_400000_NS6detail17trampoline_kernelINS0_14default_configENS1_35radix_sort_onesweep_config_selectorIllEEZZNS1_29radix_sort_onesweep_iterationIS3_Lb0EPlS7_N6thrust23THRUST_200600_302600_NS10device_ptrIlEESB_jNS0_19identity_decomposerENS1_16block_id_wrapperIjLb0EEEEE10hipError_tT1_PNSt15iterator_traitsISG_E10value_typeET2_T3_PNSH_ISM_E10value_typeET4_T5_PSR_SS_PNS1_23onesweep_lookback_stateEbbT6_jjT7_P12ihipStream_tbENKUlT_T0_SG_SL_E_clIS7_S7_S7_SB_EEDaSZ_S10_SG_SL_EUlSZ_E_NS1_11comp_targetILNS1_3genE2ELNS1_11target_archE906ELNS1_3gpuE6ELNS1_3repE0EEENS1_47radix_sort_onesweep_sort_config_static_selectorELNS0_4arch9wavefront6targetE1EEEvSG_.num_named_barrier, 0
	.set _ZN7rocprim17ROCPRIM_400000_NS6detail17trampoline_kernelINS0_14default_configENS1_35radix_sort_onesweep_config_selectorIllEEZZNS1_29radix_sort_onesweep_iterationIS3_Lb0EPlS7_N6thrust23THRUST_200600_302600_NS10device_ptrIlEESB_jNS0_19identity_decomposerENS1_16block_id_wrapperIjLb0EEEEE10hipError_tT1_PNSt15iterator_traitsISG_E10value_typeET2_T3_PNSH_ISM_E10value_typeET4_T5_PSR_SS_PNS1_23onesweep_lookback_stateEbbT6_jjT7_P12ihipStream_tbENKUlT_T0_SG_SL_E_clIS7_S7_S7_SB_EEDaSZ_S10_SG_SL_EUlSZ_E_NS1_11comp_targetILNS1_3genE2ELNS1_11target_archE906ELNS1_3gpuE6ELNS1_3repE0EEENS1_47radix_sort_onesweep_sort_config_static_selectorELNS0_4arch9wavefront6targetE1EEEvSG_.private_seg_size, 32
	.set _ZN7rocprim17ROCPRIM_400000_NS6detail17trampoline_kernelINS0_14default_configENS1_35radix_sort_onesweep_config_selectorIllEEZZNS1_29radix_sort_onesweep_iterationIS3_Lb0EPlS7_N6thrust23THRUST_200600_302600_NS10device_ptrIlEESB_jNS0_19identity_decomposerENS1_16block_id_wrapperIjLb0EEEEE10hipError_tT1_PNSt15iterator_traitsISG_E10value_typeET2_T3_PNSH_ISM_E10value_typeET4_T5_PSR_SS_PNS1_23onesweep_lookback_stateEbbT6_jjT7_P12ihipStream_tbENKUlT_T0_SG_SL_E_clIS7_S7_S7_SB_EEDaSZ_S10_SG_SL_EUlSZ_E_NS1_11comp_targetILNS1_3genE2ELNS1_11target_archE906ELNS1_3gpuE6ELNS1_3repE0EEENS1_47radix_sort_onesweep_sort_config_static_selectorELNS0_4arch9wavefront6targetE1EEEvSG_.uses_vcc, 1
	.set _ZN7rocprim17ROCPRIM_400000_NS6detail17trampoline_kernelINS0_14default_configENS1_35radix_sort_onesweep_config_selectorIllEEZZNS1_29radix_sort_onesweep_iterationIS3_Lb0EPlS7_N6thrust23THRUST_200600_302600_NS10device_ptrIlEESB_jNS0_19identity_decomposerENS1_16block_id_wrapperIjLb0EEEEE10hipError_tT1_PNSt15iterator_traitsISG_E10value_typeET2_T3_PNSH_ISM_E10value_typeET4_T5_PSR_SS_PNS1_23onesweep_lookback_stateEbbT6_jjT7_P12ihipStream_tbENKUlT_T0_SG_SL_E_clIS7_S7_S7_SB_EEDaSZ_S10_SG_SL_EUlSZ_E_NS1_11comp_targetILNS1_3genE2ELNS1_11target_archE906ELNS1_3gpuE6ELNS1_3repE0EEENS1_47radix_sort_onesweep_sort_config_static_selectorELNS0_4arch9wavefront6targetE1EEEvSG_.uses_flat_scratch, 0
	.set _ZN7rocprim17ROCPRIM_400000_NS6detail17trampoline_kernelINS0_14default_configENS1_35radix_sort_onesweep_config_selectorIllEEZZNS1_29radix_sort_onesweep_iterationIS3_Lb0EPlS7_N6thrust23THRUST_200600_302600_NS10device_ptrIlEESB_jNS0_19identity_decomposerENS1_16block_id_wrapperIjLb0EEEEE10hipError_tT1_PNSt15iterator_traitsISG_E10value_typeET2_T3_PNSH_ISM_E10value_typeET4_T5_PSR_SS_PNS1_23onesweep_lookback_stateEbbT6_jjT7_P12ihipStream_tbENKUlT_T0_SG_SL_E_clIS7_S7_S7_SB_EEDaSZ_S10_SG_SL_EUlSZ_E_NS1_11comp_targetILNS1_3genE2ELNS1_11target_archE906ELNS1_3gpuE6ELNS1_3repE0EEENS1_47radix_sort_onesweep_sort_config_static_selectorELNS0_4arch9wavefront6targetE1EEEvSG_.has_dyn_sized_stack, 0
	.set _ZN7rocprim17ROCPRIM_400000_NS6detail17trampoline_kernelINS0_14default_configENS1_35radix_sort_onesweep_config_selectorIllEEZZNS1_29radix_sort_onesweep_iterationIS3_Lb0EPlS7_N6thrust23THRUST_200600_302600_NS10device_ptrIlEESB_jNS0_19identity_decomposerENS1_16block_id_wrapperIjLb0EEEEE10hipError_tT1_PNSt15iterator_traitsISG_E10value_typeET2_T3_PNSH_ISM_E10value_typeET4_T5_PSR_SS_PNS1_23onesweep_lookback_stateEbbT6_jjT7_P12ihipStream_tbENKUlT_T0_SG_SL_E_clIS7_S7_S7_SB_EEDaSZ_S10_SG_SL_EUlSZ_E_NS1_11comp_targetILNS1_3genE2ELNS1_11target_archE906ELNS1_3gpuE6ELNS1_3repE0EEENS1_47radix_sort_onesweep_sort_config_static_selectorELNS0_4arch9wavefront6targetE1EEEvSG_.has_recursion, 0
	.set _ZN7rocprim17ROCPRIM_400000_NS6detail17trampoline_kernelINS0_14default_configENS1_35radix_sort_onesweep_config_selectorIllEEZZNS1_29radix_sort_onesweep_iterationIS3_Lb0EPlS7_N6thrust23THRUST_200600_302600_NS10device_ptrIlEESB_jNS0_19identity_decomposerENS1_16block_id_wrapperIjLb0EEEEE10hipError_tT1_PNSt15iterator_traitsISG_E10value_typeET2_T3_PNSH_ISM_E10value_typeET4_T5_PSR_SS_PNS1_23onesweep_lookback_stateEbbT6_jjT7_P12ihipStream_tbENKUlT_T0_SG_SL_E_clIS7_S7_S7_SB_EEDaSZ_S10_SG_SL_EUlSZ_E_NS1_11comp_targetILNS1_3genE2ELNS1_11target_archE906ELNS1_3gpuE6ELNS1_3repE0EEENS1_47radix_sort_onesweep_sort_config_static_selectorELNS0_4arch9wavefront6targetE1EEEvSG_.has_indirect_call, 0
	.section	.AMDGPU.csdata,"",@progbits
; Kernel info:
; codeLenInByte = 9836
; TotalNumSgprs: 58
; NumVgprs: 47
; ScratchSize: 32
; MemoryBound: 1
; FloatMode: 240
; IeeeMode: 1
; LDSByteSize: 10280 bytes/workgroup (compile time only)
; SGPRBlocks: 7
; VGPRBlocks: 11
; NumSGPRsForWavesPerEU: 58
; NumVGPRsForWavesPerEU: 47
; Occupancy: 5
; WaveLimiterHint : 1
; COMPUTE_PGM_RSRC2:SCRATCH_EN: 1
; COMPUTE_PGM_RSRC2:USER_SGPR: 6
; COMPUTE_PGM_RSRC2:TRAP_HANDLER: 0
; COMPUTE_PGM_RSRC2:TGID_X_EN: 1
; COMPUTE_PGM_RSRC2:TGID_Y_EN: 0
; COMPUTE_PGM_RSRC2:TGID_Z_EN: 0
; COMPUTE_PGM_RSRC2:TIDIG_COMP_CNT: 2
	.section	.text._ZN7rocprim17ROCPRIM_400000_NS6detail17trampoline_kernelINS0_14default_configENS1_35radix_sort_onesweep_config_selectorIllEEZZNS1_29radix_sort_onesweep_iterationIS3_Lb0EPlS7_N6thrust23THRUST_200600_302600_NS10device_ptrIlEESB_jNS0_19identity_decomposerENS1_16block_id_wrapperIjLb0EEEEE10hipError_tT1_PNSt15iterator_traitsISG_E10value_typeET2_T3_PNSH_ISM_E10value_typeET4_T5_PSR_SS_PNS1_23onesweep_lookback_stateEbbT6_jjT7_P12ihipStream_tbENKUlT_T0_SG_SL_E_clIS7_S7_S7_SB_EEDaSZ_S10_SG_SL_EUlSZ_E_NS1_11comp_targetILNS1_3genE4ELNS1_11target_archE910ELNS1_3gpuE8ELNS1_3repE0EEENS1_47radix_sort_onesweep_sort_config_static_selectorELNS0_4arch9wavefront6targetE1EEEvSG_,"axG",@progbits,_ZN7rocprim17ROCPRIM_400000_NS6detail17trampoline_kernelINS0_14default_configENS1_35radix_sort_onesweep_config_selectorIllEEZZNS1_29radix_sort_onesweep_iterationIS3_Lb0EPlS7_N6thrust23THRUST_200600_302600_NS10device_ptrIlEESB_jNS0_19identity_decomposerENS1_16block_id_wrapperIjLb0EEEEE10hipError_tT1_PNSt15iterator_traitsISG_E10value_typeET2_T3_PNSH_ISM_E10value_typeET4_T5_PSR_SS_PNS1_23onesweep_lookback_stateEbbT6_jjT7_P12ihipStream_tbENKUlT_T0_SG_SL_E_clIS7_S7_S7_SB_EEDaSZ_S10_SG_SL_EUlSZ_E_NS1_11comp_targetILNS1_3genE4ELNS1_11target_archE910ELNS1_3gpuE8ELNS1_3repE0EEENS1_47radix_sort_onesweep_sort_config_static_selectorELNS0_4arch9wavefront6targetE1EEEvSG_,comdat
	.protected	_ZN7rocprim17ROCPRIM_400000_NS6detail17trampoline_kernelINS0_14default_configENS1_35radix_sort_onesweep_config_selectorIllEEZZNS1_29radix_sort_onesweep_iterationIS3_Lb0EPlS7_N6thrust23THRUST_200600_302600_NS10device_ptrIlEESB_jNS0_19identity_decomposerENS1_16block_id_wrapperIjLb0EEEEE10hipError_tT1_PNSt15iterator_traitsISG_E10value_typeET2_T3_PNSH_ISM_E10value_typeET4_T5_PSR_SS_PNS1_23onesweep_lookback_stateEbbT6_jjT7_P12ihipStream_tbENKUlT_T0_SG_SL_E_clIS7_S7_S7_SB_EEDaSZ_S10_SG_SL_EUlSZ_E_NS1_11comp_targetILNS1_3genE4ELNS1_11target_archE910ELNS1_3gpuE8ELNS1_3repE0EEENS1_47radix_sort_onesweep_sort_config_static_selectorELNS0_4arch9wavefront6targetE1EEEvSG_ ; -- Begin function _ZN7rocprim17ROCPRIM_400000_NS6detail17trampoline_kernelINS0_14default_configENS1_35radix_sort_onesweep_config_selectorIllEEZZNS1_29radix_sort_onesweep_iterationIS3_Lb0EPlS7_N6thrust23THRUST_200600_302600_NS10device_ptrIlEESB_jNS0_19identity_decomposerENS1_16block_id_wrapperIjLb0EEEEE10hipError_tT1_PNSt15iterator_traitsISG_E10value_typeET2_T3_PNSH_ISM_E10value_typeET4_T5_PSR_SS_PNS1_23onesweep_lookback_stateEbbT6_jjT7_P12ihipStream_tbENKUlT_T0_SG_SL_E_clIS7_S7_S7_SB_EEDaSZ_S10_SG_SL_EUlSZ_E_NS1_11comp_targetILNS1_3genE4ELNS1_11target_archE910ELNS1_3gpuE8ELNS1_3repE0EEENS1_47radix_sort_onesweep_sort_config_static_selectorELNS0_4arch9wavefront6targetE1EEEvSG_
	.globl	_ZN7rocprim17ROCPRIM_400000_NS6detail17trampoline_kernelINS0_14default_configENS1_35radix_sort_onesweep_config_selectorIllEEZZNS1_29radix_sort_onesweep_iterationIS3_Lb0EPlS7_N6thrust23THRUST_200600_302600_NS10device_ptrIlEESB_jNS0_19identity_decomposerENS1_16block_id_wrapperIjLb0EEEEE10hipError_tT1_PNSt15iterator_traitsISG_E10value_typeET2_T3_PNSH_ISM_E10value_typeET4_T5_PSR_SS_PNS1_23onesweep_lookback_stateEbbT6_jjT7_P12ihipStream_tbENKUlT_T0_SG_SL_E_clIS7_S7_S7_SB_EEDaSZ_S10_SG_SL_EUlSZ_E_NS1_11comp_targetILNS1_3genE4ELNS1_11target_archE910ELNS1_3gpuE8ELNS1_3repE0EEENS1_47radix_sort_onesweep_sort_config_static_selectorELNS0_4arch9wavefront6targetE1EEEvSG_
	.p2align	8
	.type	_ZN7rocprim17ROCPRIM_400000_NS6detail17trampoline_kernelINS0_14default_configENS1_35radix_sort_onesweep_config_selectorIllEEZZNS1_29radix_sort_onesweep_iterationIS3_Lb0EPlS7_N6thrust23THRUST_200600_302600_NS10device_ptrIlEESB_jNS0_19identity_decomposerENS1_16block_id_wrapperIjLb0EEEEE10hipError_tT1_PNSt15iterator_traitsISG_E10value_typeET2_T3_PNSH_ISM_E10value_typeET4_T5_PSR_SS_PNS1_23onesweep_lookback_stateEbbT6_jjT7_P12ihipStream_tbENKUlT_T0_SG_SL_E_clIS7_S7_S7_SB_EEDaSZ_S10_SG_SL_EUlSZ_E_NS1_11comp_targetILNS1_3genE4ELNS1_11target_archE910ELNS1_3gpuE8ELNS1_3repE0EEENS1_47radix_sort_onesweep_sort_config_static_selectorELNS0_4arch9wavefront6targetE1EEEvSG_,@function
_ZN7rocprim17ROCPRIM_400000_NS6detail17trampoline_kernelINS0_14default_configENS1_35radix_sort_onesweep_config_selectorIllEEZZNS1_29radix_sort_onesweep_iterationIS3_Lb0EPlS7_N6thrust23THRUST_200600_302600_NS10device_ptrIlEESB_jNS0_19identity_decomposerENS1_16block_id_wrapperIjLb0EEEEE10hipError_tT1_PNSt15iterator_traitsISG_E10value_typeET2_T3_PNSH_ISM_E10value_typeET4_T5_PSR_SS_PNS1_23onesweep_lookback_stateEbbT6_jjT7_P12ihipStream_tbENKUlT_T0_SG_SL_E_clIS7_S7_S7_SB_EEDaSZ_S10_SG_SL_EUlSZ_E_NS1_11comp_targetILNS1_3genE4ELNS1_11target_archE910ELNS1_3gpuE8ELNS1_3repE0EEENS1_47radix_sort_onesweep_sort_config_static_selectorELNS0_4arch9wavefront6targetE1EEEvSG_: ; @_ZN7rocprim17ROCPRIM_400000_NS6detail17trampoline_kernelINS0_14default_configENS1_35radix_sort_onesweep_config_selectorIllEEZZNS1_29radix_sort_onesweep_iterationIS3_Lb0EPlS7_N6thrust23THRUST_200600_302600_NS10device_ptrIlEESB_jNS0_19identity_decomposerENS1_16block_id_wrapperIjLb0EEEEE10hipError_tT1_PNSt15iterator_traitsISG_E10value_typeET2_T3_PNSH_ISM_E10value_typeET4_T5_PSR_SS_PNS1_23onesweep_lookback_stateEbbT6_jjT7_P12ihipStream_tbENKUlT_T0_SG_SL_E_clIS7_S7_S7_SB_EEDaSZ_S10_SG_SL_EUlSZ_E_NS1_11comp_targetILNS1_3genE4ELNS1_11target_archE910ELNS1_3gpuE8ELNS1_3repE0EEENS1_47radix_sort_onesweep_sort_config_static_selectorELNS0_4arch9wavefront6targetE1EEEvSG_
; %bb.0:
	.section	.rodata,"a",@progbits
	.p2align	6, 0x0
	.amdhsa_kernel _ZN7rocprim17ROCPRIM_400000_NS6detail17trampoline_kernelINS0_14default_configENS1_35radix_sort_onesweep_config_selectorIllEEZZNS1_29radix_sort_onesweep_iterationIS3_Lb0EPlS7_N6thrust23THRUST_200600_302600_NS10device_ptrIlEESB_jNS0_19identity_decomposerENS1_16block_id_wrapperIjLb0EEEEE10hipError_tT1_PNSt15iterator_traitsISG_E10value_typeET2_T3_PNSH_ISM_E10value_typeET4_T5_PSR_SS_PNS1_23onesweep_lookback_stateEbbT6_jjT7_P12ihipStream_tbENKUlT_T0_SG_SL_E_clIS7_S7_S7_SB_EEDaSZ_S10_SG_SL_EUlSZ_E_NS1_11comp_targetILNS1_3genE4ELNS1_11target_archE910ELNS1_3gpuE8ELNS1_3repE0EEENS1_47radix_sort_onesweep_sort_config_static_selectorELNS0_4arch9wavefront6targetE1EEEvSG_
		.amdhsa_group_segment_fixed_size 0
		.amdhsa_private_segment_fixed_size 0
		.amdhsa_kernarg_size 88
		.amdhsa_user_sgpr_count 6
		.amdhsa_user_sgpr_private_segment_buffer 1
		.amdhsa_user_sgpr_dispatch_ptr 0
		.amdhsa_user_sgpr_queue_ptr 0
		.amdhsa_user_sgpr_kernarg_segment_ptr 1
		.amdhsa_user_sgpr_dispatch_id 0
		.amdhsa_user_sgpr_flat_scratch_init 0
		.amdhsa_user_sgpr_private_segment_size 0
		.amdhsa_uses_dynamic_stack 0
		.amdhsa_system_sgpr_private_segment_wavefront_offset 0
		.amdhsa_system_sgpr_workgroup_id_x 1
		.amdhsa_system_sgpr_workgroup_id_y 0
		.amdhsa_system_sgpr_workgroup_id_z 0
		.amdhsa_system_sgpr_workgroup_info 0
		.amdhsa_system_vgpr_workitem_id 0
		.amdhsa_next_free_vgpr 1
		.amdhsa_next_free_sgpr 0
		.amdhsa_reserve_vcc 0
		.amdhsa_reserve_flat_scratch 0
		.amdhsa_float_round_mode_32 0
		.amdhsa_float_round_mode_16_64 0
		.amdhsa_float_denorm_mode_32 3
		.amdhsa_float_denorm_mode_16_64 3
		.amdhsa_dx10_clamp 1
		.amdhsa_ieee_mode 1
		.amdhsa_fp16_overflow 0
		.amdhsa_exception_fp_ieee_invalid_op 0
		.amdhsa_exception_fp_denorm_src 0
		.amdhsa_exception_fp_ieee_div_zero 0
		.amdhsa_exception_fp_ieee_overflow 0
		.amdhsa_exception_fp_ieee_underflow 0
		.amdhsa_exception_fp_ieee_inexact 0
		.amdhsa_exception_int_div_zero 0
	.end_amdhsa_kernel
	.section	.text._ZN7rocprim17ROCPRIM_400000_NS6detail17trampoline_kernelINS0_14default_configENS1_35radix_sort_onesweep_config_selectorIllEEZZNS1_29radix_sort_onesweep_iterationIS3_Lb0EPlS7_N6thrust23THRUST_200600_302600_NS10device_ptrIlEESB_jNS0_19identity_decomposerENS1_16block_id_wrapperIjLb0EEEEE10hipError_tT1_PNSt15iterator_traitsISG_E10value_typeET2_T3_PNSH_ISM_E10value_typeET4_T5_PSR_SS_PNS1_23onesweep_lookback_stateEbbT6_jjT7_P12ihipStream_tbENKUlT_T0_SG_SL_E_clIS7_S7_S7_SB_EEDaSZ_S10_SG_SL_EUlSZ_E_NS1_11comp_targetILNS1_3genE4ELNS1_11target_archE910ELNS1_3gpuE8ELNS1_3repE0EEENS1_47radix_sort_onesweep_sort_config_static_selectorELNS0_4arch9wavefront6targetE1EEEvSG_,"axG",@progbits,_ZN7rocprim17ROCPRIM_400000_NS6detail17trampoline_kernelINS0_14default_configENS1_35radix_sort_onesweep_config_selectorIllEEZZNS1_29radix_sort_onesweep_iterationIS3_Lb0EPlS7_N6thrust23THRUST_200600_302600_NS10device_ptrIlEESB_jNS0_19identity_decomposerENS1_16block_id_wrapperIjLb0EEEEE10hipError_tT1_PNSt15iterator_traitsISG_E10value_typeET2_T3_PNSH_ISM_E10value_typeET4_T5_PSR_SS_PNS1_23onesweep_lookback_stateEbbT6_jjT7_P12ihipStream_tbENKUlT_T0_SG_SL_E_clIS7_S7_S7_SB_EEDaSZ_S10_SG_SL_EUlSZ_E_NS1_11comp_targetILNS1_3genE4ELNS1_11target_archE910ELNS1_3gpuE8ELNS1_3repE0EEENS1_47radix_sort_onesweep_sort_config_static_selectorELNS0_4arch9wavefront6targetE1EEEvSG_,comdat
.Lfunc_end1181:
	.size	_ZN7rocprim17ROCPRIM_400000_NS6detail17trampoline_kernelINS0_14default_configENS1_35radix_sort_onesweep_config_selectorIllEEZZNS1_29radix_sort_onesweep_iterationIS3_Lb0EPlS7_N6thrust23THRUST_200600_302600_NS10device_ptrIlEESB_jNS0_19identity_decomposerENS1_16block_id_wrapperIjLb0EEEEE10hipError_tT1_PNSt15iterator_traitsISG_E10value_typeET2_T3_PNSH_ISM_E10value_typeET4_T5_PSR_SS_PNS1_23onesweep_lookback_stateEbbT6_jjT7_P12ihipStream_tbENKUlT_T0_SG_SL_E_clIS7_S7_S7_SB_EEDaSZ_S10_SG_SL_EUlSZ_E_NS1_11comp_targetILNS1_3genE4ELNS1_11target_archE910ELNS1_3gpuE8ELNS1_3repE0EEENS1_47radix_sort_onesweep_sort_config_static_selectorELNS0_4arch9wavefront6targetE1EEEvSG_, .Lfunc_end1181-_ZN7rocprim17ROCPRIM_400000_NS6detail17trampoline_kernelINS0_14default_configENS1_35radix_sort_onesweep_config_selectorIllEEZZNS1_29radix_sort_onesweep_iterationIS3_Lb0EPlS7_N6thrust23THRUST_200600_302600_NS10device_ptrIlEESB_jNS0_19identity_decomposerENS1_16block_id_wrapperIjLb0EEEEE10hipError_tT1_PNSt15iterator_traitsISG_E10value_typeET2_T3_PNSH_ISM_E10value_typeET4_T5_PSR_SS_PNS1_23onesweep_lookback_stateEbbT6_jjT7_P12ihipStream_tbENKUlT_T0_SG_SL_E_clIS7_S7_S7_SB_EEDaSZ_S10_SG_SL_EUlSZ_E_NS1_11comp_targetILNS1_3genE4ELNS1_11target_archE910ELNS1_3gpuE8ELNS1_3repE0EEENS1_47radix_sort_onesweep_sort_config_static_selectorELNS0_4arch9wavefront6targetE1EEEvSG_
                                        ; -- End function
	.set _ZN7rocprim17ROCPRIM_400000_NS6detail17trampoline_kernelINS0_14default_configENS1_35radix_sort_onesweep_config_selectorIllEEZZNS1_29radix_sort_onesweep_iterationIS3_Lb0EPlS7_N6thrust23THRUST_200600_302600_NS10device_ptrIlEESB_jNS0_19identity_decomposerENS1_16block_id_wrapperIjLb0EEEEE10hipError_tT1_PNSt15iterator_traitsISG_E10value_typeET2_T3_PNSH_ISM_E10value_typeET4_T5_PSR_SS_PNS1_23onesweep_lookback_stateEbbT6_jjT7_P12ihipStream_tbENKUlT_T0_SG_SL_E_clIS7_S7_S7_SB_EEDaSZ_S10_SG_SL_EUlSZ_E_NS1_11comp_targetILNS1_3genE4ELNS1_11target_archE910ELNS1_3gpuE8ELNS1_3repE0EEENS1_47radix_sort_onesweep_sort_config_static_selectorELNS0_4arch9wavefront6targetE1EEEvSG_.num_vgpr, 0
	.set _ZN7rocprim17ROCPRIM_400000_NS6detail17trampoline_kernelINS0_14default_configENS1_35radix_sort_onesweep_config_selectorIllEEZZNS1_29radix_sort_onesweep_iterationIS3_Lb0EPlS7_N6thrust23THRUST_200600_302600_NS10device_ptrIlEESB_jNS0_19identity_decomposerENS1_16block_id_wrapperIjLb0EEEEE10hipError_tT1_PNSt15iterator_traitsISG_E10value_typeET2_T3_PNSH_ISM_E10value_typeET4_T5_PSR_SS_PNS1_23onesweep_lookback_stateEbbT6_jjT7_P12ihipStream_tbENKUlT_T0_SG_SL_E_clIS7_S7_S7_SB_EEDaSZ_S10_SG_SL_EUlSZ_E_NS1_11comp_targetILNS1_3genE4ELNS1_11target_archE910ELNS1_3gpuE8ELNS1_3repE0EEENS1_47radix_sort_onesweep_sort_config_static_selectorELNS0_4arch9wavefront6targetE1EEEvSG_.num_agpr, 0
	.set _ZN7rocprim17ROCPRIM_400000_NS6detail17trampoline_kernelINS0_14default_configENS1_35radix_sort_onesweep_config_selectorIllEEZZNS1_29radix_sort_onesweep_iterationIS3_Lb0EPlS7_N6thrust23THRUST_200600_302600_NS10device_ptrIlEESB_jNS0_19identity_decomposerENS1_16block_id_wrapperIjLb0EEEEE10hipError_tT1_PNSt15iterator_traitsISG_E10value_typeET2_T3_PNSH_ISM_E10value_typeET4_T5_PSR_SS_PNS1_23onesweep_lookback_stateEbbT6_jjT7_P12ihipStream_tbENKUlT_T0_SG_SL_E_clIS7_S7_S7_SB_EEDaSZ_S10_SG_SL_EUlSZ_E_NS1_11comp_targetILNS1_3genE4ELNS1_11target_archE910ELNS1_3gpuE8ELNS1_3repE0EEENS1_47radix_sort_onesweep_sort_config_static_selectorELNS0_4arch9wavefront6targetE1EEEvSG_.numbered_sgpr, 0
	.set _ZN7rocprim17ROCPRIM_400000_NS6detail17trampoline_kernelINS0_14default_configENS1_35radix_sort_onesweep_config_selectorIllEEZZNS1_29radix_sort_onesweep_iterationIS3_Lb0EPlS7_N6thrust23THRUST_200600_302600_NS10device_ptrIlEESB_jNS0_19identity_decomposerENS1_16block_id_wrapperIjLb0EEEEE10hipError_tT1_PNSt15iterator_traitsISG_E10value_typeET2_T3_PNSH_ISM_E10value_typeET4_T5_PSR_SS_PNS1_23onesweep_lookback_stateEbbT6_jjT7_P12ihipStream_tbENKUlT_T0_SG_SL_E_clIS7_S7_S7_SB_EEDaSZ_S10_SG_SL_EUlSZ_E_NS1_11comp_targetILNS1_3genE4ELNS1_11target_archE910ELNS1_3gpuE8ELNS1_3repE0EEENS1_47radix_sort_onesweep_sort_config_static_selectorELNS0_4arch9wavefront6targetE1EEEvSG_.num_named_barrier, 0
	.set _ZN7rocprim17ROCPRIM_400000_NS6detail17trampoline_kernelINS0_14default_configENS1_35radix_sort_onesweep_config_selectorIllEEZZNS1_29radix_sort_onesweep_iterationIS3_Lb0EPlS7_N6thrust23THRUST_200600_302600_NS10device_ptrIlEESB_jNS0_19identity_decomposerENS1_16block_id_wrapperIjLb0EEEEE10hipError_tT1_PNSt15iterator_traitsISG_E10value_typeET2_T3_PNSH_ISM_E10value_typeET4_T5_PSR_SS_PNS1_23onesweep_lookback_stateEbbT6_jjT7_P12ihipStream_tbENKUlT_T0_SG_SL_E_clIS7_S7_S7_SB_EEDaSZ_S10_SG_SL_EUlSZ_E_NS1_11comp_targetILNS1_3genE4ELNS1_11target_archE910ELNS1_3gpuE8ELNS1_3repE0EEENS1_47radix_sort_onesweep_sort_config_static_selectorELNS0_4arch9wavefront6targetE1EEEvSG_.private_seg_size, 0
	.set _ZN7rocprim17ROCPRIM_400000_NS6detail17trampoline_kernelINS0_14default_configENS1_35radix_sort_onesweep_config_selectorIllEEZZNS1_29radix_sort_onesweep_iterationIS3_Lb0EPlS7_N6thrust23THRUST_200600_302600_NS10device_ptrIlEESB_jNS0_19identity_decomposerENS1_16block_id_wrapperIjLb0EEEEE10hipError_tT1_PNSt15iterator_traitsISG_E10value_typeET2_T3_PNSH_ISM_E10value_typeET4_T5_PSR_SS_PNS1_23onesweep_lookback_stateEbbT6_jjT7_P12ihipStream_tbENKUlT_T0_SG_SL_E_clIS7_S7_S7_SB_EEDaSZ_S10_SG_SL_EUlSZ_E_NS1_11comp_targetILNS1_3genE4ELNS1_11target_archE910ELNS1_3gpuE8ELNS1_3repE0EEENS1_47radix_sort_onesweep_sort_config_static_selectorELNS0_4arch9wavefront6targetE1EEEvSG_.uses_vcc, 0
	.set _ZN7rocprim17ROCPRIM_400000_NS6detail17trampoline_kernelINS0_14default_configENS1_35radix_sort_onesweep_config_selectorIllEEZZNS1_29radix_sort_onesweep_iterationIS3_Lb0EPlS7_N6thrust23THRUST_200600_302600_NS10device_ptrIlEESB_jNS0_19identity_decomposerENS1_16block_id_wrapperIjLb0EEEEE10hipError_tT1_PNSt15iterator_traitsISG_E10value_typeET2_T3_PNSH_ISM_E10value_typeET4_T5_PSR_SS_PNS1_23onesweep_lookback_stateEbbT6_jjT7_P12ihipStream_tbENKUlT_T0_SG_SL_E_clIS7_S7_S7_SB_EEDaSZ_S10_SG_SL_EUlSZ_E_NS1_11comp_targetILNS1_3genE4ELNS1_11target_archE910ELNS1_3gpuE8ELNS1_3repE0EEENS1_47radix_sort_onesweep_sort_config_static_selectorELNS0_4arch9wavefront6targetE1EEEvSG_.uses_flat_scratch, 0
	.set _ZN7rocprim17ROCPRIM_400000_NS6detail17trampoline_kernelINS0_14default_configENS1_35radix_sort_onesweep_config_selectorIllEEZZNS1_29radix_sort_onesweep_iterationIS3_Lb0EPlS7_N6thrust23THRUST_200600_302600_NS10device_ptrIlEESB_jNS0_19identity_decomposerENS1_16block_id_wrapperIjLb0EEEEE10hipError_tT1_PNSt15iterator_traitsISG_E10value_typeET2_T3_PNSH_ISM_E10value_typeET4_T5_PSR_SS_PNS1_23onesweep_lookback_stateEbbT6_jjT7_P12ihipStream_tbENKUlT_T0_SG_SL_E_clIS7_S7_S7_SB_EEDaSZ_S10_SG_SL_EUlSZ_E_NS1_11comp_targetILNS1_3genE4ELNS1_11target_archE910ELNS1_3gpuE8ELNS1_3repE0EEENS1_47radix_sort_onesweep_sort_config_static_selectorELNS0_4arch9wavefront6targetE1EEEvSG_.has_dyn_sized_stack, 0
	.set _ZN7rocprim17ROCPRIM_400000_NS6detail17trampoline_kernelINS0_14default_configENS1_35radix_sort_onesweep_config_selectorIllEEZZNS1_29radix_sort_onesweep_iterationIS3_Lb0EPlS7_N6thrust23THRUST_200600_302600_NS10device_ptrIlEESB_jNS0_19identity_decomposerENS1_16block_id_wrapperIjLb0EEEEE10hipError_tT1_PNSt15iterator_traitsISG_E10value_typeET2_T3_PNSH_ISM_E10value_typeET4_T5_PSR_SS_PNS1_23onesweep_lookback_stateEbbT6_jjT7_P12ihipStream_tbENKUlT_T0_SG_SL_E_clIS7_S7_S7_SB_EEDaSZ_S10_SG_SL_EUlSZ_E_NS1_11comp_targetILNS1_3genE4ELNS1_11target_archE910ELNS1_3gpuE8ELNS1_3repE0EEENS1_47radix_sort_onesweep_sort_config_static_selectorELNS0_4arch9wavefront6targetE1EEEvSG_.has_recursion, 0
	.set _ZN7rocprim17ROCPRIM_400000_NS6detail17trampoline_kernelINS0_14default_configENS1_35radix_sort_onesweep_config_selectorIllEEZZNS1_29radix_sort_onesweep_iterationIS3_Lb0EPlS7_N6thrust23THRUST_200600_302600_NS10device_ptrIlEESB_jNS0_19identity_decomposerENS1_16block_id_wrapperIjLb0EEEEE10hipError_tT1_PNSt15iterator_traitsISG_E10value_typeET2_T3_PNSH_ISM_E10value_typeET4_T5_PSR_SS_PNS1_23onesweep_lookback_stateEbbT6_jjT7_P12ihipStream_tbENKUlT_T0_SG_SL_E_clIS7_S7_S7_SB_EEDaSZ_S10_SG_SL_EUlSZ_E_NS1_11comp_targetILNS1_3genE4ELNS1_11target_archE910ELNS1_3gpuE8ELNS1_3repE0EEENS1_47radix_sort_onesweep_sort_config_static_selectorELNS0_4arch9wavefront6targetE1EEEvSG_.has_indirect_call, 0
	.section	.AMDGPU.csdata,"",@progbits
; Kernel info:
; codeLenInByte = 0
; TotalNumSgprs: 4
; NumVgprs: 0
; ScratchSize: 0
; MemoryBound: 0
; FloatMode: 240
; IeeeMode: 1
; LDSByteSize: 0 bytes/workgroup (compile time only)
; SGPRBlocks: 0
; VGPRBlocks: 0
; NumSGPRsForWavesPerEU: 4
; NumVGPRsForWavesPerEU: 1
; Occupancy: 10
; WaveLimiterHint : 0
; COMPUTE_PGM_RSRC2:SCRATCH_EN: 0
; COMPUTE_PGM_RSRC2:USER_SGPR: 6
; COMPUTE_PGM_RSRC2:TRAP_HANDLER: 0
; COMPUTE_PGM_RSRC2:TGID_X_EN: 1
; COMPUTE_PGM_RSRC2:TGID_Y_EN: 0
; COMPUTE_PGM_RSRC2:TGID_Z_EN: 0
; COMPUTE_PGM_RSRC2:TIDIG_COMP_CNT: 0
	.section	.text._ZN7rocprim17ROCPRIM_400000_NS6detail17trampoline_kernelINS0_14default_configENS1_35radix_sort_onesweep_config_selectorIllEEZZNS1_29radix_sort_onesweep_iterationIS3_Lb0EPlS7_N6thrust23THRUST_200600_302600_NS10device_ptrIlEESB_jNS0_19identity_decomposerENS1_16block_id_wrapperIjLb0EEEEE10hipError_tT1_PNSt15iterator_traitsISG_E10value_typeET2_T3_PNSH_ISM_E10value_typeET4_T5_PSR_SS_PNS1_23onesweep_lookback_stateEbbT6_jjT7_P12ihipStream_tbENKUlT_T0_SG_SL_E_clIS7_S7_S7_SB_EEDaSZ_S10_SG_SL_EUlSZ_E_NS1_11comp_targetILNS1_3genE3ELNS1_11target_archE908ELNS1_3gpuE7ELNS1_3repE0EEENS1_47radix_sort_onesweep_sort_config_static_selectorELNS0_4arch9wavefront6targetE1EEEvSG_,"axG",@progbits,_ZN7rocprim17ROCPRIM_400000_NS6detail17trampoline_kernelINS0_14default_configENS1_35radix_sort_onesweep_config_selectorIllEEZZNS1_29radix_sort_onesweep_iterationIS3_Lb0EPlS7_N6thrust23THRUST_200600_302600_NS10device_ptrIlEESB_jNS0_19identity_decomposerENS1_16block_id_wrapperIjLb0EEEEE10hipError_tT1_PNSt15iterator_traitsISG_E10value_typeET2_T3_PNSH_ISM_E10value_typeET4_T5_PSR_SS_PNS1_23onesweep_lookback_stateEbbT6_jjT7_P12ihipStream_tbENKUlT_T0_SG_SL_E_clIS7_S7_S7_SB_EEDaSZ_S10_SG_SL_EUlSZ_E_NS1_11comp_targetILNS1_3genE3ELNS1_11target_archE908ELNS1_3gpuE7ELNS1_3repE0EEENS1_47radix_sort_onesweep_sort_config_static_selectorELNS0_4arch9wavefront6targetE1EEEvSG_,comdat
	.protected	_ZN7rocprim17ROCPRIM_400000_NS6detail17trampoline_kernelINS0_14default_configENS1_35radix_sort_onesweep_config_selectorIllEEZZNS1_29radix_sort_onesweep_iterationIS3_Lb0EPlS7_N6thrust23THRUST_200600_302600_NS10device_ptrIlEESB_jNS0_19identity_decomposerENS1_16block_id_wrapperIjLb0EEEEE10hipError_tT1_PNSt15iterator_traitsISG_E10value_typeET2_T3_PNSH_ISM_E10value_typeET4_T5_PSR_SS_PNS1_23onesweep_lookback_stateEbbT6_jjT7_P12ihipStream_tbENKUlT_T0_SG_SL_E_clIS7_S7_S7_SB_EEDaSZ_S10_SG_SL_EUlSZ_E_NS1_11comp_targetILNS1_3genE3ELNS1_11target_archE908ELNS1_3gpuE7ELNS1_3repE0EEENS1_47radix_sort_onesweep_sort_config_static_selectorELNS0_4arch9wavefront6targetE1EEEvSG_ ; -- Begin function _ZN7rocprim17ROCPRIM_400000_NS6detail17trampoline_kernelINS0_14default_configENS1_35radix_sort_onesweep_config_selectorIllEEZZNS1_29radix_sort_onesweep_iterationIS3_Lb0EPlS7_N6thrust23THRUST_200600_302600_NS10device_ptrIlEESB_jNS0_19identity_decomposerENS1_16block_id_wrapperIjLb0EEEEE10hipError_tT1_PNSt15iterator_traitsISG_E10value_typeET2_T3_PNSH_ISM_E10value_typeET4_T5_PSR_SS_PNS1_23onesweep_lookback_stateEbbT6_jjT7_P12ihipStream_tbENKUlT_T0_SG_SL_E_clIS7_S7_S7_SB_EEDaSZ_S10_SG_SL_EUlSZ_E_NS1_11comp_targetILNS1_3genE3ELNS1_11target_archE908ELNS1_3gpuE7ELNS1_3repE0EEENS1_47radix_sort_onesweep_sort_config_static_selectorELNS0_4arch9wavefront6targetE1EEEvSG_
	.globl	_ZN7rocprim17ROCPRIM_400000_NS6detail17trampoline_kernelINS0_14default_configENS1_35radix_sort_onesweep_config_selectorIllEEZZNS1_29radix_sort_onesweep_iterationIS3_Lb0EPlS7_N6thrust23THRUST_200600_302600_NS10device_ptrIlEESB_jNS0_19identity_decomposerENS1_16block_id_wrapperIjLb0EEEEE10hipError_tT1_PNSt15iterator_traitsISG_E10value_typeET2_T3_PNSH_ISM_E10value_typeET4_T5_PSR_SS_PNS1_23onesweep_lookback_stateEbbT6_jjT7_P12ihipStream_tbENKUlT_T0_SG_SL_E_clIS7_S7_S7_SB_EEDaSZ_S10_SG_SL_EUlSZ_E_NS1_11comp_targetILNS1_3genE3ELNS1_11target_archE908ELNS1_3gpuE7ELNS1_3repE0EEENS1_47radix_sort_onesweep_sort_config_static_selectorELNS0_4arch9wavefront6targetE1EEEvSG_
	.p2align	8
	.type	_ZN7rocprim17ROCPRIM_400000_NS6detail17trampoline_kernelINS0_14default_configENS1_35radix_sort_onesweep_config_selectorIllEEZZNS1_29radix_sort_onesweep_iterationIS3_Lb0EPlS7_N6thrust23THRUST_200600_302600_NS10device_ptrIlEESB_jNS0_19identity_decomposerENS1_16block_id_wrapperIjLb0EEEEE10hipError_tT1_PNSt15iterator_traitsISG_E10value_typeET2_T3_PNSH_ISM_E10value_typeET4_T5_PSR_SS_PNS1_23onesweep_lookback_stateEbbT6_jjT7_P12ihipStream_tbENKUlT_T0_SG_SL_E_clIS7_S7_S7_SB_EEDaSZ_S10_SG_SL_EUlSZ_E_NS1_11comp_targetILNS1_3genE3ELNS1_11target_archE908ELNS1_3gpuE7ELNS1_3repE0EEENS1_47radix_sort_onesweep_sort_config_static_selectorELNS0_4arch9wavefront6targetE1EEEvSG_,@function
_ZN7rocprim17ROCPRIM_400000_NS6detail17trampoline_kernelINS0_14default_configENS1_35radix_sort_onesweep_config_selectorIllEEZZNS1_29radix_sort_onesweep_iterationIS3_Lb0EPlS7_N6thrust23THRUST_200600_302600_NS10device_ptrIlEESB_jNS0_19identity_decomposerENS1_16block_id_wrapperIjLb0EEEEE10hipError_tT1_PNSt15iterator_traitsISG_E10value_typeET2_T3_PNSH_ISM_E10value_typeET4_T5_PSR_SS_PNS1_23onesweep_lookback_stateEbbT6_jjT7_P12ihipStream_tbENKUlT_T0_SG_SL_E_clIS7_S7_S7_SB_EEDaSZ_S10_SG_SL_EUlSZ_E_NS1_11comp_targetILNS1_3genE3ELNS1_11target_archE908ELNS1_3gpuE7ELNS1_3repE0EEENS1_47radix_sort_onesweep_sort_config_static_selectorELNS0_4arch9wavefront6targetE1EEEvSG_: ; @_ZN7rocprim17ROCPRIM_400000_NS6detail17trampoline_kernelINS0_14default_configENS1_35radix_sort_onesweep_config_selectorIllEEZZNS1_29radix_sort_onesweep_iterationIS3_Lb0EPlS7_N6thrust23THRUST_200600_302600_NS10device_ptrIlEESB_jNS0_19identity_decomposerENS1_16block_id_wrapperIjLb0EEEEE10hipError_tT1_PNSt15iterator_traitsISG_E10value_typeET2_T3_PNSH_ISM_E10value_typeET4_T5_PSR_SS_PNS1_23onesweep_lookback_stateEbbT6_jjT7_P12ihipStream_tbENKUlT_T0_SG_SL_E_clIS7_S7_S7_SB_EEDaSZ_S10_SG_SL_EUlSZ_E_NS1_11comp_targetILNS1_3genE3ELNS1_11target_archE908ELNS1_3gpuE7ELNS1_3repE0EEENS1_47radix_sort_onesweep_sort_config_static_selectorELNS0_4arch9wavefront6targetE1EEEvSG_
; %bb.0:
	.section	.rodata,"a",@progbits
	.p2align	6, 0x0
	.amdhsa_kernel _ZN7rocprim17ROCPRIM_400000_NS6detail17trampoline_kernelINS0_14default_configENS1_35radix_sort_onesweep_config_selectorIllEEZZNS1_29radix_sort_onesweep_iterationIS3_Lb0EPlS7_N6thrust23THRUST_200600_302600_NS10device_ptrIlEESB_jNS0_19identity_decomposerENS1_16block_id_wrapperIjLb0EEEEE10hipError_tT1_PNSt15iterator_traitsISG_E10value_typeET2_T3_PNSH_ISM_E10value_typeET4_T5_PSR_SS_PNS1_23onesweep_lookback_stateEbbT6_jjT7_P12ihipStream_tbENKUlT_T0_SG_SL_E_clIS7_S7_S7_SB_EEDaSZ_S10_SG_SL_EUlSZ_E_NS1_11comp_targetILNS1_3genE3ELNS1_11target_archE908ELNS1_3gpuE7ELNS1_3repE0EEENS1_47radix_sort_onesweep_sort_config_static_selectorELNS0_4arch9wavefront6targetE1EEEvSG_
		.amdhsa_group_segment_fixed_size 0
		.amdhsa_private_segment_fixed_size 0
		.amdhsa_kernarg_size 88
		.amdhsa_user_sgpr_count 6
		.amdhsa_user_sgpr_private_segment_buffer 1
		.amdhsa_user_sgpr_dispatch_ptr 0
		.amdhsa_user_sgpr_queue_ptr 0
		.amdhsa_user_sgpr_kernarg_segment_ptr 1
		.amdhsa_user_sgpr_dispatch_id 0
		.amdhsa_user_sgpr_flat_scratch_init 0
		.amdhsa_user_sgpr_private_segment_size 0
		.amdhsa_uses_dynamic_stack 0
		.amdhsa_system_sgpr_private_segment_wavefront_offset 0
		.amdhsa_system_sgpr_workgroup_id_x 1
		.amdhsa_system_sgpr_workgroup_id_y 0
		.amdhsa_system_sgpr_workgroup_id_z 0
		.amdhsa_system_sgpr_workgroup_info 0
		.amdhsa_system_vgpr_workitem_id 0
		.amdhsa_next_free_vgpr 1
		.amdhsa_next_free_sgpr 0
		.amdhsa_reserve_vcc 0
		.amdhsa_reserve_flat_scratch 0
		.amdhsa_float_round_mode_32 0
		.amdhsa_float_round_mode_16_64 0
		.amdhsa_float_denorm_mode_32 3
		.amdhsa_float_denorm_mode_16_64 3
		.amdhsa_dx10_clamp 1
		.amdhsa_ieee_mode 1
		.amdhsa_fp16_overflow 0
		.amdhsa_exception_fp_ieee_invalid_op 0
		.amdhsa_exception_fp_denorm_src 0
		.amdhsa_exception_fp_ieee_div_zero 0
		.amdhsa_exception_fp_ieee_overflow 0
		.amdhsa_exception_fp_ieee_underflow 0
		.amdhsa_exception_fp_ieee_inexact 0
		.amdhsa_exception_int_div_zero 0
	.end_amdhsa_kernel
	.section	.text._ZN7rocprim17ROCPRIM_400000_NS6detail17trampoline_kernelINS0_14default_configENS1_35radix_sort_onesweep_config_selectorIllEEZZNS1_29radix_sort_onesweep_iterationIS3_Lb0EPlS7_N6thrust23THRUST_200600_302600_NS10device_ptrIlEESB_jNS0_19identity_decomposerENS1_16block_id_wrapperIjLb0EEEEE10hipError_tT1_PNSt15iterator_traitsISG_E10value_typeET2_T3_PNSH_ISM_E10value_typeET4_T5_PSR_SS_PNS1_23onesweep_lookback_stateEbbT6_jjT7_P12ihipStream_tbENKUlT_T0_SG_SL_E_clIS7_S7_S7_SB_EEDaSZ_S10_SG_SL_EUlSZ_E_NS1_11comp_targetILNS1_3genE3ELNS1_11target_archE908ELNS1_3gpuE7ELNS1_3repE0EEENS1_47radix_sort_onesweep_sort_config_static_selectorELNS0_4arch9wavefront6targetE1EEEvSG_,"axG",@progbits,_ZN7rocprim17ROCPRIM_400000_NS6detail17trampoline_kernelINS0_14default_configENS1_35radix_sort_onesweep_config_selectorIllEEZZNS1_29radix_sort_onesweep_iterationIS3_Lb0EPlS7_N6thrust23THRUST_200600_302600_NS10device_ptrIlEESB_jNS0_19identity_decomposerENS1_16block_id_wrapperIjLb0EEEEE10hipError_tT1_PNSt15iterator_traitsISG_E10value_typeET2_T3_PNSH_ISM_E10value_typeET4_T5_PSR_SS_PNS1_23onesweep_lookback_stateEbbT6_jjT7_P12ihipStream_tbENKUlT_T0_SG_SL_E_clIS7_S7_S7_SB_EEDaSZ_S10_SG_SL_EUlSZ_E_NS1_11comp_targetILNS1_3genE3ELNS1_11target_archE908ELNS1_3gpuE7ELNS1_3repE0EEENS1_47radix_sort_onesweep_sort_config_static_selectorELNS0_4arch9wavefront6targetE1EEEvSG_,comdat
.Lfunc_end1182:
	.size	_ZN7rocprim17ROCPRIM_400000_NS6detail17trampoline_kernelINS0_14default_configENS1_35radix_sort_onesweep_config_selectorIllEEZZNS1_29radix_sort_onesweep_iterationIS3_Lb0EPlS7_N6thrust23THRUST_200600_302600_NS10device_ptrIlEESB_jNS0_19identity_decomposerENS1_16block_id_wrapperIjLb0EEEEE10hipError_tT1_PNSt15iterator_traitsISG_E10value_typeET2_T3_PNSH_ISM_E10value_typeET4_T5_PSR_SS_PNS1_23onesweep_lookback_stateEbbT6_jjT7_P12ihipStream_tbENKUlT_T0_SG_SL_E_clIS7_S7_S7_SB_EEDaSZ_S10_SG_SL_EUlSZ_E_NS1_11comp_targetILNS1_3genE3ELNS1_11target_archE908ELNS1_3gpuE7ELNS1_3repE0EEENS1_47radix_sort_onesweep_sort_config_static_selectorELNS0_4arch9wavefront6targetE1EEEvSG_, .Lfunc_end1182-_ZN7rocprim17ROCPRIM_400000_NS6detail17trampoline_kernelINS0_14default_configENS1_35radix_sort_onesweep_config_selectorIllEEZZNS1_29radix_sort_onesweep_iterationIS3_Lb0EPlS7_N6thrust23THRUST_200600_302600_NS10device_ptrIlEESB_jNS0_19identity_decomposerENS1_16block_id_wrapperIjLb0EEEEE10hipError_tT1_PNSt15iterator_traitsISG_E10value_typeET2_T3_PNSH_ISM_E10value_typeET4_T5_PSR_SS_PNS1_23onesweep_lookback_stateEbbT6_jjT7_P12ihipStream_tbENKUlT_T0_SG_SL_E_clIS7_S7_S7_SB_EEDaSZ_S10_SG_SL_EUlSZ_E_NS1_11comp_targetILNS1_3genE3ELNS1_11target_archE908ELNS1_3gpuE7ELNS1_3repE0EEENS1_47radix_sort_onesweep_sort_config_static_selectorELNS0_4arch9wavefront6targetE1EEEvSG_
                                        ; -- End function
	.set _ZN7rocprim17ROCPRIM_400000_NS6detail17trampoline_kernelINS0_14default_configENS1_35radix_sort_onesweep_config_selectorIllEEZZNS1_29radix_sort_onesweep_iterationIS3_Lb0EPlS7_N6thrust23THRUST_200600_302600_NS10device_ptrIlEESB_jNS0_19identity_decomposerENS1_16block_id_wrapperIjLb0EEEEE10hipError_tT1_PNSt15iterator_traitsISG_E10value_typeET2_T3_PNSH_ISM_E10value_typeET4_T5_PSR_SS_PNS1_23onesweep_lookback_stateEbbT6_jjT7_P12ihipStream_tbENKUlT_T0_SG_SL_E_clIS7_S7_S7_SB_EEDaSZ_S10_SG_SL_EUlSZ_E_NS1_11comp_targetILNS1_3genE3ELNS1_11target_archE908ELNS1_3gpuE7ELNS1_3repE0EEENS1_47radix_sort_onesweep_sort_config_static_selectorELNS0_4arch9wavefront6targetE1EEEvSG_.num_vgpr, 0
	.set _ZN7rocprim17ROCPRIM_400000_NS6detail17trampoline_kernelINS0_14default_configENS1_35radix_sort_onesweep_config_selectorIllEEZZNS1_29radix_sort_onesweep_iterationIS3_Lb0EPlS7_N6thrust23THRUST_200600_302600_NS10device_ptrIlEESB_jNS0_19identity_decomposerENS1_16block_id_wrapperIjLb0EEEEE10hipError_tT1_PNSt15iterator_traitsISG_E10value_typeET2_T3_PNSH_ISM_E10value_typeET4_T5_PSR_SS_PNS1_23onesweep_lookback_stateEbbT6_jjT7_P12ihipStream_tbENKUlT_T0_SG_SL_E_clIS7_S7_S7_SB_EEDaSZ_S10_SG_SL_EUlSZ_E_NS1_11comp_targetILNS1_3genE3ELNS1_11target_archE908ELNS1_3gpuE7ELNS1_3repE0EEENS1_47radix_sort_onesweep_sort_config_static_selectorELNS0_4arch9wavefront6targetE1EEEvSG_.num_agpr, 0
	.set _ZN7rocprim17ROCPRIM_400000_NS6detail17trampoline_kernelINS0_14default_configENS1_35radix_sort_onesweep_config_selectorIllEEZZNS1_29radix_sort_onesweep_iterationIS3_Lb0EPlS7_N6thrust23THRUST_200600_302600_NS10device_ptrIlEESB_jNS0_19identity_decomposerENS1_16block_id_wrapperIjLb0EEEEE10hipError_tT1_PNSt15iterator_traitsISG_E10value_typeET2_T3_PNSH_ISM_E10value_typeET4_T5_PSR_SS_PNS1_23onesweep_lookback_stateEbbT6_jjT7_P12ihipStream_tbENKUlT_T0_SG_SL_E_clIS7_S7_S7_SB_EEDaSZ_S10_SG_SL_EUlSZ_E_NS1_11comp_targetILNS1_3genE3ELNS1_11target_archE908ELNS1_3gpuE7ELNS1_3repE0EEENS1_47radix_sort_onesweep_sort_config_static_selectorELNS0_4arch9wavefront6targetE1EEEvSG_.numbered_sgpr, 0
	.set _ZN7rocprim17ROCPRIM_400000_NS6detail17trampoline_kernelINS0_14default_configENS1_35radix_sort_onesweep_config_selectorIllEEZZNS1_29radix_sort_onesweep_iterationIS3_Lb0EPlS7_N6thrust23THRUST_200600_302600_NS10device_ptrIlEESB_jNS0_19identity_decomposerENS1_16block_id_wrapperIjLb0EEEEE10hipError_tT1_PNSt15iterator_traitsISG_E10value_typeET2_T3_PNSH_ISM_E10value_typeET4_T5_PSR_SS_PNS1_23onesweep_lookback_stateEbbT6_jjT7_P12ihipStream_tbENKUlT_T0_SG_SL_E_clIS7_S7_S7_SB_EEDaSZ_S10_SG_SL_EUlSZ_E_NS1_11comp_targetILNS1_3genE3ELNS1_11target_archE908ELNS1_3gpuE7ELNS1_3repE0EEENS1_47radix_sort_onesweep_sort_config_static_selectorELNS0_4arch9wavefront6targetE1EEEvSG_.num_named_barrier, 0
	.set _ZN7rocprim17ROCPRIM_400000_NS6detail17trampoline_kernelINS0_14default_configENS1_35radix_sort_onesweep_config_selectorIllEEZZNS1_29radix_sort_onesweep_iterationIS3_Lb0EPlS7_N6thrust23THRUST_200600_302600_NS10device_ptrIlEESB_jNS0_19identity_decomposerENS1_16block_id_wrapperIjLb0EEEEE10hipError_tT1_PNSt15iterator_traitsISG_E10value_typeET2_T3_PNSH_ISM_E10value_typeET4_T5_PSR_SS_PNS1_23onesweep_lookback_stateEbbT6_jjT7_P12ihipStream_tbENKUlT_T0_SG_SL_E_clIS7_S7_S7_SB_EEDaSZ_S10_SG_SL_EUlSZ_E_NS1_11comp_targetILNS1_3genE3ELNS1_11target_archE908ELNS1_3gpuE7ELNS1_3repE0EEENS1_47radix_sort_onesweep_sort_config_static_selectorELNS0_4arch9wavefront6targetE1EEEvSG_.private_seg_size, 0
	.set _ZN7rocprim17ROCPRIM_400000_NS6detail17trampoline_kernelINS0_14default_configENS1_35radix_sort_onesweep_config_selectorIllEEZZNS1_29radix_sort_onesweep_iterationIS3_Lb0EPlS7_N6thrust23THRUST_200600_302600_NS10device_ptrIlEESB_jNS0_19identity_decomposerENS1_16block_id_wrapperIjLb0EEEEE10hipError_tT1_PNSt15iterator_traitsISG_E10value_typeET2_T3_PNSH_ISM_E10value_typeET4_T5_PSR_SS_PNS1_23onesweep_lookback_stateEbbT6_jjT7_P12ihipStream_tbENKUlT_T0_SG_SL_E_clIS7_S7_S7_SB_EEDaSZ_S10_SG_SL_EUlSZ_E_NS1_11comp_targetILNS1_3genE3ELNS1_11target_archE908ELNS1_3gpuE7ELNS1_3repE0EEENS1_47radix_sort_onesweep_sort_config_static_selectorELNS0_4arch9wavefront6targetE1EEEvSG_.uses_vcc, 0
	.set _ZN7rocprim17ROCPRIM_400000_NS6detail17trampoline_kernelINS0_14default_configENS1_35radix_sort_onesweep_config_selectorIllEEZZNS1_29radix_sort_onesweep_iterationIS3_Lb0EPlS7_N6thrust23THRUST_200600_302600_NS10device_ptrIlEESB_jNS0_19identity_decomposerENS1_16block_id_wrapperIjLb0EEEEE10hipError_tT1_PNSt15iterator_traitsISG_E10value_typeET2_T3_PNSH_ISM_E10value_typeET4_T5_PSR_SS_PNS1_23onesweep_lookback_stateEbbT6_jjT7_P12ihipStream_tbENKUlT_T0_SG_SL_E_clIS7_S7_S7_SB_EEDaSZ_S10_SG_SL_EUlSZ_E_NS1_11comp_targetILNS1_3genE3ELNS1_11target_archE908ELNS1_3gpuE7ELNS1_3repE0EEENS1_47radix_sort_onesweep_sort_config_static_selectorELNS0_4arch9wavefront6targetE1EEEvSG_.uses_flat_scratch, 0
	.set _ZN7rocprim17ROCPRIM_400000_NS6detail17trampoline_kernelINS0_14default_configENS1_35radix_sort_onesweep_config_selectorIllEEZZNS1_29radix_sort_onesweep_iterationIS3_Lb0EPlS7_N6thrust23THRUST_200600_302600_NS10device_ptrIlEESB_jNS0_19identity_decomposerENS1_16block_id_wrapperIjLb0EEEEE10hipError_tT1_PNSt15iterator_traitsISG_E10value_typeET2_T3_PNSH_ISM_E10value_typeET4_T5_PSR_SS_PNS1_23onesweep_lookback_stateEbbT6_jjT7_P12ihipStream_tbENKUlT_T0_SG_SL_E_clIS7_S7_S7_SB_EEDaSZ_S10_SG_SL_EUlSZ_E_NS1_11comp_targetILNS1_3genE3ELNS1_11target_archE908ELNS1_3gpuE7ELNS1_3repE0EEENS1_47radix_sort_onesweep_sort_config_static_selectorELNS0_4arch9wavefront6targetE1EEEvSG_.has_dyn_sized_stack, 0
	.set _ZN7rocprim17ROCPRIM_400000_NS6detail17trampoline_kernelINS0_14default_configENS1_35radix_sort_onesweep_config_selectorIllEEZZNS1_29radix_sort_onesweep_iterationIS3_Lb0EPlS7_N6thrust23THRUST_200600_302600_NS10device_ptrIlEESB_jNS0_19identity_decomposerENS1_16block_id_wrapperIjLb0EEEEE10hipError_tT1_PNSt15iterator_traitsISG_E10value_typeET2_T3_PNSH_ISM_E10value_typeET4_T5_PSR_SS_PNS1_23onesweep_lookback_stateEbbT6_jjT7_P12ihipStream_tbENKUlT_T0_SG_SL_E_clIS7_S7_S7_SB_EEDaSZ_S10_SG_SL_EUlSZ_E_NS1_11comp_targetILNS1_3genE3ELNS1_11target_archE908ELNS1_3gpuE7ELNS1_3repE0EEENS1_47radix_sort_onesweep_sort_config_static_selectorELNS0_4arch9wavefront6targetE1EEEvSG_.has_recursion, 0
	.set _ZN7rocprim17ROCPRIM_400000_NS6detail17trampoline_kernelINS0_14default_configENS1_35radix_sort_onesweep_config_selectorIllEEZZNS1_29radix_sort_onesweep_iterationIS3_Lb0EPlS7_N6thrust23THRUST_200600_302600_NS10device_ptrIlEESB_jNS0_19identity_decomposerENS1_16block_id_wrapperIjLb0EEEEE10hipError_tT1_PNSt15iterator_traitsISG_E10value_typeET2_T3_PNSH_ISM_E10value_typeET4_T5_PSR_SS_PNS1_23onesweep_lookback_stateEbbT6_jjT7_P12ihipStream_tbENKUlT_T0_SG_SL_E_clIS7_S7_S7_SB_EEDaSZ_S10_SG_SL_EUlSZ_E_NS1_11comp_targetILNS1_3genE3ELNS1_11target_archE908ELNS1_3gpuE7ELNS1_3repE0EEENS1_47radix_sort_onesweep_sort_config_static_selectorELNS0_4arch9wavefront6targetE1EEEvSG_.has_indirect_call, 0
	.section	.AMDGPU.csdata,"",@progbits
; Kernel info:
; codeLenInByte = 0
; TotalNumSgprs: 4
; NumVgprs: 0
; ScratchSize: 0
; MemoryBound: 0
; FloatMode: 240
; IeeeMode: 1
; LDSByteSize: 0 bytes/workgroup (compile time only)
; SGPRBlocks: 0
; VGPRBlocks: 0
; NumSGPRsForWavesPerEU: 4
; NumVGPRsForWavesPerEU: 1
; Occupancy: 10
; WaveLimiterHint : 0
; COMPUTE_PGM_RSRC2:SCRATCH_EN: 0
; COMPUTE_PGM_RSRC2:USER_SGPR: 6
; COMPUTE_PGM_RSRC2:TRAP_HANDLER: 0
; COMPUTE_PGM_RSRC2:TGID_X_EN: 1
; COMPUTE_PGM_RSRC2:TGID_Y_EN: 0
; COMPUTE_PGM_RSRC2:TGID_Z_EN: 0
; COMPUTE_PGM_RSRC2:TIDIG_COMP_CNT: 0
	.section	.text._ZN7rocprim17ROCPRIM_400000_NS6detail17trampoline_kernelINS0_14default_configENS1_35radix_sort_onesweep_config_selectorIllEEZZNS1_29radix_sort_onesweep_iterationIS3_Lb0EPlS7_N6thrust23THRUST_200600_302600_NS10device_ptrIlEESB_jNS0_19identity_decomposerENS1_16block_id_wrapperIjLb0EEEEE10hipError_tT1_PNSt15iterator_traitsISG_E10value_typeET2_T3_PNSH_ISM_E10value_typeET4_T5_PSR_SS_PNS1_23onesweep_lookback_stateEbbT6_jjT7_P12ihipStream_tbENKUlT_T0_SG_SL_E_clIS7_S7_S7_SB_EEDaSZ_S10_SG_SL_EUlSZ_E_NS1_11comp_targetILNS1_3genE10ELNS1_11target_archE1201ELNS1_3gpuE5ELNS1_3repE0EEENS1_47radix_sort_onesweep_sort_config_static_selectorELNS0_4arch9wavefront6targetE1EEEvSG_,"axG",@progbits,_ZN7rocprim17ROCPRIM_400000_NS6detail17trampoline_kernelINS0_14default_configENS1_35radix_sort_onesweep_config_selectorIllEEZZNS1_29radix_sort_onesweep_iterationIS3_Lb0EPlS7_N6thrust23THRUST_200600_302600_NS10device_ptrIlEESB_jNS0_19identity_decomposerENS1_16block_id_wrapperIjLb0EEEEE10hipError_tT1_PNSt15iterator_traitsISG_E10value_typeET2_T3_PNSH_ISM_E10value_typeET4_T5_PSR_SS_PNS1_23onesweep_lookback_stateEbbT6_jjT7_P12ihipStream_tbENKUlT_T0_SG_SL_E_clIS7_S7_S7_SB_EEDaSZ_S10_SG_SL_EUlSZ_E_NS1_11comp_targetILNS1_3genE10ELNS1_11target_archE1201ELNS1_3gpuE5ELNS1_3repE0EEENS1_47radix_sort_onesweep_sort_config_static_selectorELNS0_4arch9wavefront6targetE1EEEvSG_,comdat
	.protected	_ZN7rocprim17ROCPRIM_400000_NS6detail17trampoline_kernelINS0_14default_configENS1_35radix_sort_onesweep_config_selectorIllEEZZNS1_29radix_sort_onesweep_iterationIS3_Lb0EPlS7_N6thrust23THRUST_200600_302600_NS10device_ptrIlEESB_jNS0_19identity_decomposerENS1_16block_id_wrapperIjLb0EEEEE10hipError_tT1_PNSt15iterator_traitsISG_E10value_typeET2_T3_PNSH_ISM_E10value_typeET4_T5_PSR_SS_PNS1_23onesweep_lookback_stateEbbT6_jjT7_P12ihipStream_tbENKUlT_T0_SG_SL_E_clIS7_S7_S7_SB_EEDaSZ_S10_SG_SL_EUlSZ_E_NS1_11comp_targetILNS1_3genE10ELNS1_11target_archE1201ELNS1_3gpuE5ELNS1_3repE0EEENS1_47radix_sort_onesweep_sort_config_static_selectorELNS0_4arch9wavefront6targetE1EEEvSG_ ; -- Begin function _ZN7rocprim17ROCPRIM_400000_NS6detail17trampoline_kernelINS0_14default_configENS1_35radix_sort_onesweep_config_selectorIllEEZZNS1_29radix_sort_onesweep_iterationIS3_Lb0EPlS7_N6thrust23THRUST_200600_302600_NS10device_ptrIlEESB_jNS0_19identity_decomposerENS1_16block_id_wrapperIjLb0EEEEE10hipError_tT1_PNSt15iterator_traitsISG_E10value_typeET2_T3_PNSH_ISM_E10value_typeET4_T5_PSR_SS_PNS1_23onesweep_lookback_stateEbbT6_jjT7_P12ihipStream_tbENKUlT_T0_SG_SL_E_clIS7_S7_S7_SB_EEDaSZ_S10_SG_SL_EUlSZ_E_NS1_11comp_targetILNS1_3genE10ELNS1_11target_archE1201ELNS1_3gpuE5ELNS1_3repE0EEENS1_47radix_sort_onesweep_sort_config_static_selectorELNS0_4arch9wavefront6targetE1EEEvSG_
	.globl	_ZN7rocprim17ROCPRIM_400000_NS6detail17trampoline_kernelINS0_14default_configENS1_35radix_sort_onesweep_config_selectorIllEEZZNS1_29radix_sort_onesweep_iterationIS3_Lb0EPlS7_N6thrust23THRUST_200600_302600_NS10device_ptrIlEESB_jNS0_19identity_decomposerENS1_16block_id_wrapperIjLb0EEEEE10hipError_tT1_PNSt15iterator_traitsISG_E10value_typeET2_T3_PNSH_ISM_E10value_typeET4_T5_PSR_SS_PNS1_23onesweep_lookback_stateEbbT6_jjT7_P12ihipStream_tbENKUlT_T0_SG_SL_E_clIS7_S7_S7_SB_EEDaSZ_S10_SG_SL_EUlSZ_E_NS1_11comp_targetILNS1_3genE10ELNS1_11target_archE1201ELNS1_3gpuE5ELNS1_3repE0EEENS1_47radix_sort_onesweep_sort_config_static_selectorELNS0_4arch9wavefront6targetE1EEEvSG_
	.p2align	8
	.type	_ZN7rocprim17ROCPRIM_400000_NS6detail17trampoline_kernelINS0_14default_configENS1_35radix_sort_onesweep_config_selectorIllEEZZNS1_29radix_sort_onesweep_iterationIS3_Lb0EPlS7_N6thrust23THRUST_200600_302600_NS10device_ptrIlEESB_jNS0_19identity_decomposerENS1_16block_id_wrapperIjLb0EEEEE10hipError_tT1_PNSt15iterator_traitsISG_E10value_typeET2_T3_PNSH_ISM_E10value_typeET4_T5_PSR_SS_PNS1_23onesweep_lookback_stateEbbT6_jjT7_P12ihipStream_tbENKUlT_T0_SG_SL_E_clIS7_S7_S7_SB_EEDaSZ_S10_SG_SL_EUlSZ_E_NS1_11comp_targetILNS1_3genE10ELNS1_11target_archE1201ELNS1_3gpuE5ELNS1_3repE0EEENS1_47radix_sort_onesweep_sort_config_static_selectorELNS0_4arch9wavefront6targetE1EEEvSG_,@function
_ZN7rocprim17ROCPRIM_400000_NS6detail17trampoline_kernelINS0_14default_configENS1_35radix_sort_onesweep_config_selectorIllEEZZNS1_29radix_sort_onesweep_iterationIS3_Lb0EPlS7_N6thrust23THRUST_200600_302600_NS10device_ptrIlEESB_jNS0_19identity_decomposerENS1_16block_id_wrapperIjLb0EEEEE10hipError_tT1_PNSt15iterator_traitsISG_E10value_typeET2_T3_PNSH_ISM_E10value_typeET4_T5_PSR_SS_PNS1_23onesweep_lookback_stateEbbT6_jjT7_P12ihipStream_tbENKUlT_T0_SG_SL_E_clIS7_S7_S7_SB_EEDaSZ_S10_SG_SL_EUlSZ_E_NS1_11comp_targetILNS1_3genE10ELNS1_11target_archE1201ELNS1_3gpuE5ELNS1_3repE0EEENS1_47radix_sort_onesweep_sort_config_static_selectorELNS0_4arch9wavefront6targetE1EEEvSG_: ; @_ZN7rocprim17ROCPRIM_400000_NS6detail17trampoline_kernelINS0_14default_configENS1_35radix_sort_onesweep_config_selectorIllEEZZNS1_29radix_sort_onesweep_iterationIS3_Lb0EPlS7_N6thrust23THRUST_200600_302600_NS10device_ptrIlEESB_jNS0_19identity_decomposerENS1_16block_id_wrapperIjLb0EEEEE10hipError_tT1_PNSt15iterator_traitsISG_E10value_typeET2_T3_PNSH_ISM_E10value_typeET4_T5_PSR_SS_PNS1_23onesweep_lookback_stateEbbT6_jjT7_P12ihipStream_tbENKUlT_T0_SG_SL_E_clIS7_S7_S7_SB_EEDaSZ_S10_SG_SL_EUlSZ_E_NS1_11comp_targetILNS1_3genE10ELNS1_11target_archE1201ELNS1_3gpuE5ELNS1_3repE0EEENS1_47radix_sort_onesweep_sort_config_static_selectorELNS0_4arch9wavefront6targetE1EEEvSG_
; %bb.0:
	.section	.rodata,"a",@progbits
	.p2align	6, 0x0
	.amdhsa_kernel _ZN7rocprim17ROCPRIM_400000_NS6detail17trampoline_kernelINS0_14default_configENS1_35radix_sort_onesweep_config_selectorIllEEZZNS1_29radix_sort_onesweep_iterationIS3_Lb0EPlS7_N6thrust23THRUST_200600_302600_NS10device_ptrIlEESB_jNS0_19identity_decomposerENS1_16block_id_wrapperIjLb0EEEEE10hipError_tT1_PNSt15iterator_traitsISG_E10value_typeET2_T3_PNSH_ISM_E10value_typeET4_T5_PSR_SS_PNS1_23onesweep_lookback_stateEbbT6_jjT7_P12ihipStream_tbENKUlT_T0_SG_SL_E_clIS7_S7_S7_SB_EEDaSZ_S10_SG_SL_EUlSZ_E_NS1_11comp_targetILNS1_3genE10ELNS1_11target_archE1201ELNS1_3gpuE5ELNS1_3repE0EEENS1_47radix_sort_onesweep_sort_config_static_selectorELNS0_4arch9wavefront6targetE1EEEvSG_
		.amdhsa_group_segment_fixed_size 0
		.amdhsa_private_segment_fixed_size 0
		.amdhsa_kernarg_size 88
		.amdhsa_user_sgpr_count 6
		.amdhsa_user_sgpr_private_segment_buffer 1
		.amdhsa_user_sgpr_dispatch_ptr 0
		.amdhsa_user_sgpr_queue_ptr 0
		.amdhsa_user_sgpr_kernarg_segment_ptr 1
		.amdhsa_user_sgpr_dispatch_id 0
		.amdhsa_user_sgpr_flat_scratch_init 0
		.amdhsa_user_sgpr_private_segment_size 0
		.amdhsa_uses_dynamic_stack 0
		.amdhsa_system_sgpr_private_segment_wavefront_offset 0
		.amdhsa_system_sgpr_workgroup_id_x 1
		.amdhsa_system_sgpr_workgroup_id_y 0
		.amdhsa_system_sgpr_workgroup_id_z 0
		.amdhsa_system_sgpr_workgroup_info 0
		.amdhsa_system_vgpr_workitem_id 0
		.amdhsa_next_free_vgpr 1
		.amdhsa_next_free_sgpr 0
		.amdhsa_reserve_vcc 0
		.amdhsa_reserve_flat_scratch 0
		.amdhsa_float_round_mode_32 0
		.amdhsa_float_round_mode_16_64 0
		.amdhsa_float_denorm_mode_32 3
		.amdhsa_float_denorm_mode_16_64 3
		.amdhsa_dx10_clamp 1
		.amdhsa_ieee_mode 1
		.amdhsa_fp16_overflow 0
		.amdhsa_exception_fp_ieee_invalid_op 0
		.amdhsa_exception_fp_denorm_src 0
		.amdhsa_exception_fp_ieee_div_zero 0
		.amdhsa_exception_fp_ieee_overflow 0
		.amdhsa_exception_fp_ieee_underflow 0
		.amdhsa_exception_fp_ieee_inexact 0
		.amdhsa_exception_int_div_zero 0
	.end_amdhsa_kernel
	.section	.text._ZN7rocprim17ROCPRIM_400000_NS6detail17trampoline_kernelINS0_14default_configENS1_35radix_sort_onesweep_config_selectorIllEEZZNS1_29radix_sort_onesweep_iterationIS3_Lb0EPlS7_N6thrust23THRUST_200600_302600_NS10device_ptrIlEESB_jNS0_19identity_decomposerENS1_16block_id_wrapperIjLb0EEEEE10hipError_tT1_PNSt15iterator_traitsISG_E10value_typeET2_T3_PNSH_ISM_E10value_typeET4_T5_PSR_SS_PNS1_23onesweep_lookback_stateEbbT6_jjT7_P12ihipStream_tbENKUlT_T0_SG_SL_E_clIS7_S7_S7_SB_EEDaSZ_S10_SG_SL_EUlSZ_E_NS1_11comp_targetILNS1_3genE10ELNS1_11target_archE1201ELNS1_3gpuE5ELNS1_3repE0EEENS1_47radix_sort_onesweep_sort_config_static_selectorELNS0_4arch9wavefront6targetE1EEEvSG_,"axG",@progbits,_ZN7rocprim17ROCPRIM_400000_NS6detail17trampoline_kernelINS0_14default_configENS1_35radix_sort_onesweep_config_selectorIllEEZZNS1_29radix_sort_onesweep_iterationIS3_Lb0EPlS7_N6thrust23THRUST_200600_302600_NS10device_ptrIlEESB_jNS0_19identity_decomposerENS1_16block_id_wrapperIjLb0EEEEE10hipError_tT1_PNSt15iterator_traitsISG_E10value_typeET2_T3_PNSH_ISM_E10value_typeET4_T5_PSR_SS_PNS1_23onesweep_lookback_stateEbbT6_jjT7_P12ihipStream_tbENKUlT_T0_SG_SL_E_clIS7_S7_S7_SB_EEDaSZ_S10_SG_SL_EUlSZ_E_NS1_11comp_targetILNS1_3genE10ELNS1_11target_archE1201ELNS1_3gpuE5ELNS1_3repE0EEENS1_47radix_sort_onesweep_sort_config_static_selectorELNS0_4arch9wavefront6targetE1EEEvSG_,comdat
.Lfunc_end1183:
	.size	_ZN7rocprim17ROCPRIM_400000_NS6detail17trampoline_kernelINS0_14default_configENS1_35radix_sort_onesweep_config_selectorIllEEZZNS1_29radix_sort_onesweep_iterationIS3_Lb0EPlS7_N6thrust23THRUST_200600_302600_NS10device_ptrIlEESB_jNS0_19identity_decomposerENS1_16block_id_wrapperIjLb0EEEEE10hipError_tT1_PNSt15iterator_traitsISG_E10value_typeET2_T3_PNSH_ISM_E10value_typeET4_T5_PSR_SS_PNS1_23onesweep_lookback_stateEbbT6_jjT7_P12ihipStream_tbENKUlT_T0_SG_SL_E_clIS7_S7_S7_SB_EEDaSZ_S10_SG_SL_EUlSZ_E_NS1_11comp_targetILNS1_3genE10ELNS1_11target_archE1201ELNS1_3gpuE5ELNS1_3repE0EEENS1_47radix_sort_onesweep_sort_config_static_selectorELNS0_4arch9wavefront6targetE1EEEvSG_, .Lfunc_end1183-_ZN7rocprim17ROCPRIM_400000_NS6detail17trampoline_kernelINS0_14default_configENS1_35radix_sort_onesweep_config_selectorIllEEZZNS1_29radix_sort_onesweep_iterationIS3_Lb0EPlS7_N6thrust23THRUST_200600_302600_NS10device_ptrIlEESB_jNS0_19identity_decomposerENS1_16block_id_wrapperIjLb0EEEEE10hipError_tT1_PNSt15iterator_traitsISG_E10value_typeET2_T3_PNSH_ISM_E10value_typeET4_T5_PSR_SS_PNS1_23onesweep_lookback_stateEbbT6_jjT7_P12ihipStream_tbENKUlT_T0_SG_SL_E_clIS7_S7_S7_SB_EEDaSZ_S10_SG_SL_EUlSZ_E_NS1_11comp_targetILNS1_3genE10ELNS1_11target_archE1201ELNS1_3gpuE5ELNS1_3repE0EEENS1_47radix_sort_onesweep_sort_config_static_selectorELNS0_4arch9wavefront6targetE1EEEvSG_
                                        ; -- End function
	.set _ZN7rocprim17ROCPRIM_400000_NS6detail17trampoline_kernelINS0_14default_configENS1_35radix_sort_onesweep_config_selectorIllEEZZNS1_29radix_sort_onesweep_iterationIS3_Lb0EPlS7_N6thrust23THRUST_200600_302600_NS10device_ptrIlEESB_jNS0_19identity_decomposerENS1_16block_id_wrapperIjLb0EEEEE10hipError_tT1_PNSt15iterator_traitsISG_E10value_typeET2_T3_PNSH_ISM_E10value_typeET4_T5_PSR_SS_PNS1_23onesweep_lookback_stateEbbT6_jjT7_P12ihipStream_tbENKUlT_T0_SG_SL_E_clIS7_S7_S7_SB_EEDaSZ_S10_SG_SL_EUlSZ_E_NS1_11comp_targetILNS1_3genE10ELNS1_11target_archE1201ELNS1_3gpuE5ELNS1_3repE0EEENS1_47radix_sort_onesweep_sort_config_static_selectorELNS0_4arch9wavefront6targetE1EEEvSG_.num_vgpr, 0
	.set _ZN7rocprim17ROCPRIM_400000_NS6detail17trampoline_kernelINS0_14default_configENS1_35radix_sort_onesweep_config_selectorIllEEZZNS1_29radix_sort_onesweep_iterationIS3_Lb0EPlS7_N6thrust23THRUST_200600_302600_NS10device_ptrIlEESB_jNS0_19identity_decomposerENS1_16block_id_wrapperIjLb0EEEEE10hipError_tT1_PNSt15iterator_traitsISG_E10value_typeET2_T3_PNSH_ISM_E10value_typeET4_T5_PSR_SS_PNS1_23onesweep_lookback_stateEbbT6_jjT7_P12ihipStream_tbENKUlT_T0_SG_SL_E_clIS7_S7_S7_SB_EEDaSZ_S10_SG_SL_EUlSZ_E_NS1_11comp_targetILNS1_3genE10ELNS1_11target_archE1201ELNS1_3gpuE5ELNS1_3repE0EEENS1_47radix_sort_onesweep_sort_config_static_selectorELNS0_4arch9wavefront6targetE1EEEvSG_.num_agpr, 0
	.set _ZN7rocprim17ROCPRIM_400000_NS6detail17trampoline_kernelINS0_14default_configENS1_35radix_sort_onesweep_config_selectorIllEEZZNS1_29radix_sort_onesweep_iterationIS3_Lb0EPlS7_N6thrust23THRUST_200600_302600_NS10device_ptrIlEESB_jNS0_19identity_decomposerENS1_16block_id_wrapperIjLb0EEEEE10hipError_tT1_PNSt15iterator_traitsISG_E10value_typeET2_T3_PNSH_ISM_E10value_typeET4_T5_PSR_SS_PNS1_23onesweep_lookback_stateEbbT6_jjT7_P12ihipStream_tbENKUlT_T0_SG_SL_E_clIS7_S7_S7_SB_EEDaSZ_S10_SG_SL_EUlSZ_E_NS1_11comp_targetILNS1_3genE10ELNS1_11target_archE1201ELNS1_3gpuE5ELNS1_3repE0EEENS1_47radix_sort_onesweep_sort_config_static_selectorELNS0_4arch9wavefront6targetE1EEEvSG_.numbered_sgpr, 0
	.set _ZN7rocprim17ROCPRIM_400000_NS6detail17trampoline_kernelINS0_14default_configENS1_35radix_sort_onesweep_config_selectorIllEEZZNS1_29radix_sort_onesweep_iterationIS3_Lb0EPlS7_N6thrust23THRUST_200600_302600_NS10device_ptrIlEESB_jNS0_19identity_decomposerENS1_16block_id_wrapperIjLb0EEEEE10hipError_tT1_PNSt15iterator_traitsISG_E10value_typeET2_T3_PNSH_ISM_E10value_typeET4_T5_PSR_SS_PNS1_23onesweep_lookback_stateEbbT6_jjT7_P12ihipStream_tbENKUlT_T0_SG_SL_E_clIS7_S7_S7_SB_EEDaSZ_S10_SG_SL_EUlSZ_E_NS1_11comp_targetILNS1_3genE10ELNS1_11target_archE1201ELNS1_3gpuE5ELNS1_3repE0EEENS1_47radix_sort_onesweep_sort_config_static_selectorELNS0_4arch9wavefront6targetE1EEEvSG_.num_named_barrier, 0
	.set _ZN7rocprim17ROCPRIM_400000_NS6detail17trampoline_kernelINS0_14default_configENS1_35radix_sort_onesweep_config_selectorIllEEZZNS1_29radix_sort_onesweep_iterationIS3_Lb0EPlS7_N6thrust23THRUST_200600_302600_NS10device_ptrIlEESB_jNS0_19identity_decomposerENS1_16block_id_wrapperIjLb0EEEEE10hipError_tT1_PNSt15iterator_traitsISG_E10value_typeET2_T3_PNSH_ISM_E10value_typeET4_T5_PSR_SS_PNS1_23onesweep_lookback_stateEbbT6_jjT7_P12ihipStream_tbENKUlT_T0_SG_SL_E_clIS7_S7_S7_SB_EEDaSZ_S10_SG_SL_EUlSZ_E_NS1_11comp_targetILNS1_3genE10ELNS1_11target_archE1201ELNS1_3gpuE5ELNS1_3repE0EEENS1_47radix_sort_onesweep_sort_config_static_selectorELNS0_4arch9wavefront6targetE1EEEvSG_.private_seg_size, 0
	.set _ZN7rocprim17ROCPRIM_400000_NS6detail17trampoline_kernelINS0_14default_configENS1_35radix_sort_onesweep_config_selectorIllEEZZNS1_29radix_sort_onesweep_iterationIS3_Lb0EPlS7_N6thrust23THRUST_200600_302600_NS10device_ptrIlEESB_jNS0_19identity_decomposerENS1_16block_id_wrapperIjLb0EEEEE10hipError_tT1_PNSt15iterator_traitsISG_E10value_typeET2_T3_PNSH_ISM_E10value_typeET4_T5_PSR_SS_PNS1_23onesweep_lookback_stateEbbT6_jjT7_P12ihipStream_tbENKUlT_T0_SG_SL_E_clIS7_S7_S7_SB_EEDaSZ_S10_SG_SL_EUlSZ_E_NS1_11comp_targetILNS1_3genE10ELNS1_11target_archE1201ELNS1_3gpuE5ELNS1_3repE0EEENS1_47radix_sort_onesweep_sort_config_static_selectorELNS0_4arch9wavefront6targetE1EEEvSG_.uses_vcc, 0
	.set _ZN7rocprim17ROCPRIM_400000_NS6detail17trampoline_kernelINS0_14default_configENS1_35radix_sort_onesweep_config_selectorIllEEZZNS1_29radix_sort_onesweep_iterationIS3_Lb0EPlS7_N6thrust23THRUST_200600_302600_NS10device_ptrIlEESB_jNS0_19identity_decomposerENS1_16block_id_wrapperIjLb0EEEEE10hipError_tT1_PNSt15iterator_traitsISG_E10value_typeET2_T3_PNSH_ISM_E10value_typeET4_T5_PSR_SS_PNS1_23onesweep_lookback_stateEbbT6_jjT7_P12ihipStream_tbENKUlT_T0_SG_SL_E_clIS7_S7_S7_SB_EEDaSZ_S10_SG_SL_EUlSZ_E_NS1_11comp_targetILNS1_3genE10ELNS1_11target_archE1201ELNS1_3gpuE5ELNS1_3repE0EEENS1_47radix_sort_onesweep_sort_config_static_selectorELNS0_4arch9wavefront6targetE1EEEvSG_.uses_flat_scratch, 0
	.set _ZN7rocprim17ROCPRIM_400000_NS6detail17trampoline_kernelINS0_14default_configENS1_35radix_sort_onesweep_config_selectorIllEEZZNS1_29radix_sort_onesweep_iterationIS3_Lb0EPlS7_N6thrust23THRUST_200600_302600_NS10device_ptrIlEESB_jNS0_19identity_decomposerENS1_16block_id_wrapperIjLb0EEEEE10hipError_tT1_PNSt15iterator_traitsISG_E10value_typeET2_T3_PNSH_ISM_E10value_typeET4_T5_PSR_SS_PNS1_23onesweep_lookback_stateEbbT6_jjT7_P12ihipStream_tbENKUlT_T0_SG_SL_E_clIS7_S7_S7_SB_EEDaSZ_S10_SG_SL_EUlSZ_E_NS1_11comp_targetILNS1_3genE10ELNS1_11target_archE1201ELNS1_3gpuE5ELNS1_3repE0EEENS1_47radix_sort_onesweep_sort_config_static_selectorELNS0_4arch9wavefront6targetE1EEEvSG_.has_dyn_sized_stack, 0
	.set _ZN7rocprim17ROCPRIM_400000_NS6detail17trampoline_kernelINS0_14default_configENS1_35radix_sort_onesweep_config_selectorIllEEZZNS1_29radix_sort_onesweep_iterationIS3_Lb0EPlS7_N6thrust23THRUST_200600_302600_NS10device_ptrIlEESB_jNS0_19identity_decomposerENS1_16block_id_wrapperIjLb0EEEEE10hipError_tT1_PNSt15iterator_traitsISG_E10value_typeET2_T3_PNSH_ISM_E10value_typeET4_T5_PSR_SS_PNS1_23onesweep_lookback_stateEbbT6_jjT7_P12ihipStream_tbENKUlT_T0_SG_SL_E_clIS7_S7_S7_SB_EEDaSZ_S10_SG_SL_EUlSZ_E_NS1_11comp_targetILNS1_3genE10ELNS1_11target_archE1201ELNS1_3gpuE5ELNS1_3repE0EEENS1_47radix_sort_onesweep_sort_config_static_selectorELNS0_4arch9wavefront6targetE1EEEvSG_.has_recursion, 0
	.set _ZN7rocprim17ROCPRIM_400000_NS6detail17trampoline_kernelINS0_14default_configENS1_35radix_sort_onesweep_config_selectorIllEEZZNS1_29radix_sort_onesweep_iterationIS3_Lb0EPlS7_N6thrust23THRUST_200600_302600_NS10device_ptrIlEESB_jNS0_19identity_decomposerENS1_16block_id_wrapperIjLb0EEEEE10hipError_tT1_PNSt15iterator_traitsISG_E10value_typeET2_T3_PNSH_ISM_E10value_typeET4_T5_PSR_SS_PNS1_23onesweep_lookback_stateEbbT6_jjT7_P12ihipStream_tbENKUlT_T0_SG_SL_E_clIS7_S7_S7_SB_EEDaSZ_S10_SG_SL_EUlSZ_E_NS1_11comp_targetILNS1_3genE10ELNS1_11target_archE1201ELNS1_3gpuE5ELNS1_3repE0EEENS1_47radix_sort_onesweep_sort_config_static_selectorELNS0_4arch9wavefront6targetE1EEEvSG_.has_indirect_call, 0
	.section	.AMDGPU.csdata,"",@progbits
; Kernel info:
; codeLenInByte = 0
; TotalNumSgprs: 4
; NumVgprs: 0
; ScratchSize: 0
; MemoryBound: 0
; FloatMode: 240
; IeeeMode: 1
; LDSByteSize: 0 bytes/workgroup (compile time only)
; SGPRBlocks: 0
; VGPRBlocks: 0
; NumSGPRsForWavesPerEU: 4
; NumVGPRsForWavesPerEU: 1
; Occupancy: 10
; WaveLimiterHint : 0
; COMPUTE_PGM_RSRC2:SCRATCH_EN: 0
; COMPUTE_PGM_RSRC2:USER_SGPR: 6
; COMPUTE_PGM_RSRC2:TRAP_HANDLER: 0
; COMPUTE_PGM_RSRC2:TGID_X_EN: 1
; COMPUTE_PGM_RSRC2:TGID_Y_EN: 0
; COMPUTE_PGM_RSRC2:TGID_Z_EN: 0
; COMPUTE_PGM_RSRC2:TIDIG_COMP_CNT: 0
	.section	.text._ZN7rocprim17ROCPRIM_400000_NS6detail17trampoline_kernelINS0_14default_configENS1_35radix_sort_onesweep_config_selectorIllEEZZNS1_29radix_sort_onesweep_iterationIS3_Lb0EPlS7_N6thrust23THRUST_200600_302600_NS10device_ptrIlEESB_jNS0_19identity_decomposerENS1_16block_id_wrapperIjLb0EEEEE10hipError_tT1_PNSt15iterator_traitsISG_E10value_typeET2_T3_PNSH_ISM_E10value_typeET4_T5_PSR_SS_PNS1_23onesweep_lookback_stateEbbT6_jjT7_P12ihipStream_tbENKUlT_T0_SG_SL_E_clIS7_S7_S7_SB_EEDaSZ_S10_SG_SL_EUlSZ_E_NS1_11comp_targetILNS1_3genE9ELNS1_11target_archE1100ELNS1_3gpuE3ELNS1_3repE0EEENS1_47radix_sort_onesweep_sort_config_static_selectorELNS0_4arch9wavefront6targetE1EEEvSG_,"axG",@progbits,_ZN7rocprim17ROCPRIM_400000_NS6detail17trampoline_kernelINS0_14default_configENS1_35radix_sort_onesweep_config_selectorIllEEZZNS1_29radix_sort_onesweep_iterationIS3_Lb0EPlS7_N6thrust23THRUST_200600_302600_NS10device_ptrIlEESB_jNS0_19identity_decomposerENS1_16block_id_wrapperIjLb0EEEEE10hipError_tT1_PNSt15iterator_traitsISG_E10value_typeET2_T3_PNSH_ISM_E10value_typeET4_T5_PSR_SS_PNS1_23onesweep_lookback_stateEbbT6_jjT7_P12ihipStream_tbENKUlT_T0_SG_SL_E_clIS7_S7_S7_SB_EEDaSZ_S10_SG_SL_EUlSZ_E_NS1_11comp_targetILNS1_3genE9ELNS1_11target_archE1100ELNS1_3gpuE3ELNS1_3repE0EEENS1_47radix_sort_onesweep_sort_config_static_selectorELNS0_4arch9wavefront6targetE1EEEvSG_,comdat
	.protected	_ZN7rocprim17ROCPRIM_400000_NS6detail17trampoline_kernelINS0_14default_configENS1_35radix_sort_onesweep_config_selectorIllEEZZNS1_29radix_sort_onesweep_iterationIS3_Lb0EPlS7_N6thrust23THRUST_200600_302600_NS10device_ptrIlEESB_jNS0_19identity_decomposerENS1_16block_id_wrapperIjLb0EEEEE10hipError_tT1_PNSt15iterator_traitsISG_E10value_typeET2_T3_PNSH_ISM_E10value_typeET4_T5_PSR_SS_PNS1_23onesweep_lookback_stateEbbT6_jjT7_P12ihipStream_tbENKUlT_T0_SG_SL_E_clIS7_S7_S7_SB_EEDaSZ_S10_SG_SL_EUlSZ_E_NS1_11comp_targetILNS1_3genE9ELNS1_11target_archE1100ELNS1_3gpuE3ELNS1_3repE0EEENS1_47radix_sort_onesweep_sort_config_static_selectorELNS0_4arch9wavefront6targetE1EEEvSG_ ; -- Begin function _ZN7rocprim17ROCPRIM_400000_NS6detail17trampoline_kernelINS0_14default_configENS1_35radix_sort_onesweep_config_selectorIllEEZZNS1_29radix_sort_onesweep_iterationIS3_Lb0EPlS7_N6thrust23THRUST_200600_302600_NS10device_ptrIlEESB_jNS0_19identity_decomposerENS1_16block_id_wrapperIjLb0EEEEE10hipError_tT1_PNSt15iterator_traitsISG_E10value_typeET2_T3_PNSH_ISM_E10value_typeET4_T5_PSR_SS_PNS1_23onesweep_lookback_stateEbbT6_jjT7_P12ihipStream_tbENKUlT_T0_SG_SL_E_clIS7_S7_S7_SB_EEDaSZ_S10_SG_SL_EUlSZ_E_NS1_11comp_targetILNS1_3genE9ELNS1_11target_archE1100ELNS1_3gpuE3ELNS1_3repE0EEENS1_47radix_sort_onesweep_sort_config_static_selectorELNS0_4arch9wavefront6targetE1EEEvSG_
	.globl	_ZN7rocprim17ROCPRIM_400000_NS6detail17trampoline_kernelINS0_14default_configENS1_35radix_sort_onesweep_config_selectorIllEEZZNS1_29radix_sort_onesweep_iterationIS3_Lb0EPlS7_N6thrust23THRUST_200600_302600_NS10device_ptrIlEESB_jNS0_19identity_decomposerENS1_16block_id_wrapperIjLb0EEEEE10hipError_tT1_PNSt15iterator_traitsISG_E10value_typeET2_T3_PNSH_ISM_E10value_typeET4_T5_PSR_SS_PNS1_23onesweep_lookback_stateEbbT6_jjT7_P12ihipStream_tbENKUlT_T0_SG_SL_E_clIS7_S7_S7_SB_EEDaSZ_S10_SG_SL_EUlSZ_E_NS1_11comp_targetILNS1_3genE9ELNS1_11target_archE1100ELNS1_3gpuE3ELNS1_3repE0EEENS1_47radix_sort_onesweep_sort_config_static_selectorELNS0_4arch9wavefront6targetE1EEEvSG_
	.p2align	8
	.type	_ZN7rocprim17ROCPRIM_400000_NS6detail17trampoline_kernelINS0_14default_configENS1_35radix_sort_onesweep_config_selectorIllEEZZNS1_29radix_sort_onesweep_iterationIS3_Lb0EPlS7_N6thrust23THRUST_200600_302600_NS10device_ptrIlEESB_jNS0_19identity_decomposerENS1_16block_id_wrapperIjLb0EEEEE10hipError_tT1_PNSt15iterator_traitsISG_E10value_typeET2_T3_PNSH_ISM_E10value_typeET4_T5_PSR_SS_PNS1_23onesweep_lookback_stateEbbT6_jjT7_P12ihipStream_tbENKUlT_T0_SG_SL_E_clIS7_S7_S7_SB_EEDaSZ_S10_SG_SL_EUlSZ_E_NS1_11comp_targetILNS1_3genE9ELNS1_11target_archE1100ELNS1_3gpuE3ELNS1_3repE0EEENS1_47radix_sort_onesweep_sort_config_static_selectorELNS0_4arch9wavefront6targetE1EEEvSG_,@function
_ZN7rocprim17ROCPRIM_400000_NS6detail17trampoline_kernelINS0_14default_configENS1_35radix_sort_onesweep_config_selectorIllEEZZNS1_29radix_sort_onesweep_iterationIS3_Lb0EPlS7_N6thrust23THRUST_200600_302600_NS10device_ptrIlEESB_jNS0_19identity_decomposerENS1_16block_id_wrapperIjLb0EEEEE10hipError_tT1_PNSt15iterator_traitsISG_E10value_typeET2_T3_PNSH_ISM_E10value_typeET4_T5_PSR_SS_PNS1_23onesweep_lookback_stateEbbT6_jjT7_P12ihipStream_tbENKUlT_T0_SG_SL_E_clIS7_S7_S7_SB_EEDaSZ_S10_SG_SL_EUlSZ_E_NS1_11comp_targetILNS1_3genE9ELNS1_11target_archE1100ELNS1_3gpuE3ELNS1_3repE0EEENS1_47radix_sort_onesweep_sort_config_static_selectorELNS0_4arch9wavefront6targetE1EEEvSG_: ; @_ZN7rocprim17ROCPRIM_400000_NS6detail17trampoline_kernelINS0_14default_configENS1_35radix_sort_onesweep_config_selectorIllEEZZNS1_29radix_sort_onesweep_iterationIS3_Lb0EPlS7_N6thrust23THRUST_200600_302600_NS10device_ptrIlEESB_jNS0_19identity_decomposerENS1_16block_id_wrapperIjLb0EEEEE10hipError_tT1_PNSt15iterator_traitsISG_E10value_typeET2_T3_PNSH_ISM_E10value_typeET4_T5_PSR_SS_PNS1_23onesweep_lookback_stateEbbT6_jjT7_P12ihipStream_tbENKUlT_T0_SG_SL_E_clIS7_S7_S7_SB_EEDaSZ_S10_SG_SL_EUlSZ_E_NS1_11comp_targetILNS1_3genE9ELNS1_11target_archE1100ELNS1_3gpuE3ELNS1_3repE0EEENS1_47radix_sort_onesweep_sort_config_static_selectorELNS0_4arch9wavefront6targetE1EEEvSG_
; %bb.0:
	.section	.rodata,"a",@progbits
	.p2align	6, 0x0
	.amdhsa_kernel _ZN7rocprim17ROCPRIM_400000_NS6detail17trampoline_kernelINS0_14default_configENS1_35radix_sort_onesweep_config_selectorIllEEZZNS1_29radix_sort_onesweep_iterationIS3_Lb0EPlS7_N6thrust23THRUST_200600_302600_NS10device_ptrIlEESB_jNS0_19identity_decomposerENS1_16block_id_wrapperIjLb0EEEEE10hipError_tT1_PNSt15iterator_traitsISG_E10value_typeET2_T3_PNSH_ISM_E10value_typeET4_T5_PSR_SS_PNS1_23onesweep_lookback_stateEbbT6_jjT7_P12ihipStream_tbENKUlT_T0_SG_SL_E_clIS7_S7_S7_SB_EEDaSZ_S10_SG_SL_EUlSZ_E_NS1_11comp_targetILNS1_3genE9ELNS1_11target_archE1100ELNS1_3gpuE3ELNS1_3repE0EEENS1_47radix_sort_onesweep_sort_config_static_selectorELNS0_4arch9wavefront6targetE1EEEvSG_
		.amdhsa_group_segment_fixed_size 0
		.amdhsa_private_segment_fixed_size 0
		.amdhsa_kernarg_size 88
		.amdhsa_user_sgpr_count 6
		.amdhsa_user_sgpr_private_segment_buffer 1
		.amdhsa_user_sgpr_dispatch_ptr 0
		.amdhsa_user_sgpr_queue_ptr 0
		.amdhsa_user_sgpr_kernarg_segment_ptr 1
		.amdhsa_user_sgpr_dispatch_id 0
		.amdhsa_user_sgpr_flat_scratch_init 0
		.amdhsa_user_sgpr_private_segment_size 0
		.amdhsa_uses_dynamic_stack 0
		.amdhsa_system_sgpr_private_segment_wavefront_offset 0
		.amdhsa_system_sgpr_workgroup_id_x 1
		.amdhsa_system_sgpr_workgroup_id_y 0
		.amdhsa_system_sgpr_workgroup_id_z 0
		.amdhsa_system_sgpr_workgroup_info 0
		.amdhsa_system_vgpr_workitem_id 0
		.amdhsa_next_free_vgpr 1
		.amdhsa_next_free_sgpr 0
		.amdhsa_reserve_vcc 0
		.amdhsa_reserve_flat_scratch 0
		.amdhsa_float_round_mode_32 0
		.amdhsa_float_round_mode_16_64 0
		.amdhsa_float_denorm_mode_32 3
		.amdhsa_float_denorm_mode_16_64 3
		.amdhsa_dx10_clamp 1
		.amdhsa_ieee_mode 1
		.amdhsa_fp16_overflow 0
		.amdhsa_exception_fp_ieee_invalid_op 0
		.amdhsa_exception_fp_denorm_src 0
		.amdhsa_exception_fp_ieee_div_zero 0
		.amdhsa_exception_fp_ieee_overflow 0
		.amdhsa_exception_fp_ieee_underflow 0
		.amdhsa_exception_fp_ieee_inexact 0
		.amdhsa_exception_int_div_zero 0
	.end_amdhsa_kernel
	.section	.text._ZN7rocprim17ROCPRIM_400000_NS6detail17trampoline_kernelINS0_14default_configENS1_35radix_sort_onesweep_config_selectorIllEEZZNS1_29radix_sort_onesweep_iterationIS3_Lb0EPlS7_N6thrust23THRUST_200600_302600_NS10device_ptrIlEESB_jNS0_19identity_decomposerENS1_16block_id_wrapperIjLb0EEEEE10hipError_tT1_PNSt15iterator_traitsISG_E10value_typeET2_T3_PNSH_ISM_E10value_typeET4_T5_PSR_SS_PNS1_23onesweep_lookback_stateEbbT6_jjT7_P12ihipStream_tbENKUlT_T0_SG_SL_E_clIS7_S7_S7_SB_EEDaSZ_S10_SG_SL_EUlSZ_E_NS1_11comp_targetILNS1_3genE9ELNS1_11target_archE1100ELNS1_3gpuE3ELNS1_3repE0EEENS1_47radix_sort_onesweep_sort_config_static_selectorELNS0_4arch9wavefront6targetE1EEEvSG_,"axG",@progbits,_ZN7rocprim17ROCPRIM_400000_NS6detail17trampoline_kernelINS0_14default_configENS1_35radix_sort_onesweep_config_selectorIllEEZZNS1_29radix_sort_onesweep_iterationIS3_Lb0EPlS7_N6thrust23THRUST_200600_302600_NS10device_ptrIlEESB_jNS0_19identity_decomposerENS1_16block_id_wrapperIjLb0EEEEE10hipError_tT1_PNSt15iterator_traitsISG_E10value_typeET2_T3_PNSH_ISM_E10value_typeET4_T5_PSR_SS_PNS1_23onesweep_lookback_stateEbbT6_jjT7_P12ihipStream_tbENKUlT_T0_SG_SL_E_clIS7_S7_S7_SB_EEDaSZ_S10_SG_SL_EUlSZ_E_NS1_11comp_targetILNS1_3genE9ELNS1_11target_archE1100ELNS1_3gpuE3ELNS1_3repE0EEENS1_47radix_sort_onesweep_sort_config_static_selectorELNS0_4arch9wavefront6targetE1EEEvSG_,comdat
.Lfunc_end1184:
	.size	_ZN7rocprim17ROCPRIM_400000_NS6detail17trampoline_kernelINS0_14default_configENS1_35radix_sort_onesweep_config_selectorIllEEZZNS1_29radix_sort_onesweep_iterationIS3_Lb0EPlS7_N6thrust23THRUST_200600_302600_NS10device_ptrIlEESB_jNS0_19identity_decomposerENS1_16block_id_wrapperIjLb0EEEEE10hipError_tT1_PNSt15iterator_traitsISG_E10value_typeET2_T3_PNSH_ISM_E10value_typeET4_T5_PSR_SS_PNS1_23onesweep_lookback_stateEbbT6_jjT7_P12ihipStream_tbENKUlT_T0_SG_SL_E_clIS7_S7_S7_SB_EEDaSZ_S10_SG_SL_EUlSZ_E_NS1_11comp_targetILNS1_3genE9ELNS1_11target_archE1100ELNS1_3gpuE3ELNS1_3repE0EEENS1_47radix_sort_onesweep_sort_config_static_selectorELNS0_4arch9wavefront6targetE1EEEvSG_, .Lfunc_end1184-_ZN7rocprim17ROCPRIM_400000_NS6detail17trampoline_kernelINS0_14default_configENS1_35radix_sort_onesweep_config_selectorIllEEZZNS1_29radix_sort_onesweep_iterationIS3_Lb0EPlS7_N6thrust23THRUST_200600_302600_NS10device_ptrIlEESB_jNS0_19identity_decomposerENS1_16block_id_wrapperIjLb0EEEEE10hipError_tT1_PNSt15iterator_traitsISG_E10value_typeET2_T3_PNSH_ISM_E10value_typeET4_T5_PSR_SS_PNS1_23onesweep_lookback_stateEbbT6_jjT7_P12ihipStream_tbENKUlT_T0_SG_SL_E_clIS7_S7_S7_SB_EEDaSZ_S10_SG_SL_EUlSZ_E_NS1_11comp_targetILNS1_3genE9ELNS1_11target_archE1100ELNS1_3gpuE3ELNS1_3repE0EEENS1_47radix_sort_onesweep_sort_config_static_selectorELNS0_4arch9wavefront6targetE1EEEvSG_
                                        ; -- End function
	.set _ZN7rocprim17ROCPRIM_400000_NS6detail17trampoline_kernelINS0_14default_configENS1_35radix_sort_onesweep_config_selectorIllEEZZNS1_29radix_sort_onesweep_iterationIS3_Lb0EPlS7_N6thrust23THRUST_200600_302600_NS10device_ptrIlEESB_jNS0_19identity_decomposerENS1_16block_id_wrapperIjLb0EEEEE10hipError_tT1_PNSt15iterator_traitsISG_E10value_typeET2_T3_PNSH_ISM_E10value_typeET4_T5_PSR_SS_PNS1_23onesweep_lookback_stateEbbT6_jjT7_P12ihipStream_tbENKUlT_T0_SG_SL_E_clIS7_S7_S7_SB_EEDaSZ_S10_SG_SL_EUlSZ_E_NS1_11comp_targetILNS1_3genE9ELNS1_11target_archE1100ELNS1_3gpuE3ELNS1_3repE0EEENS1_47radix_sort_onesweep_sort_config_static_selectorELNS0_4arch9wavefront6targetE1EEEvSG_.num_vgpr, 0
	.set _ZN7rocprim17ROCPRIM_400000_NS6detail17trampoline_kernelINS0_14default_configENS1_35radix_sort_onesweep_config_selectorIllEEZZNS1_29radix_sort_onesweep_iterationIS3_Lb0EPlS7_N6thrust23THRUST_200600_302600_NS10device_ptrIlEESB_jNS0_19identity_decomposerENS1_16block_id_wrapperIjLb0EEEEE10hipError_tT1_PNSt15iterator_traitsISG_E10value_typeET2_T3_PNSH_ISM_E10value_typeET4_T5_PSR_SS_PNS1_23onesweep_lookback_stateEbbT6_jjT7_P12ihipStream_tbENKUlT_T0_SG_SL_E_clIS7_S7_S7_SB_EEDaSZ_S10_SG_SL_EUlSZ_E_NS1_11comp_targetILNS1_3genE9ELNS1_11target_archE1100ELNS1_3gpuE3ELNS1_3repE0EEENS1_47radix_sort_onesweep_sort_config_static_selectorELNS0_4arch9wavefront6targetE1EEEvSG_.num_agpr, 0
	.set _ZN7rocprim17ROCPRIM_400000_NS6detail17trampoline_kernelINS0_14default_configENS1_35radix_sort_onesweep_config_selectorIllEEZZNS1_29radix_sort_onesweep_iterationIS3_Lb0EPlS7_N6thrust23THRUST_200600_302600_NS10device_ptrIlEESB_jNS0_19identity_decomposerENS1_16block_id_wrapperIjLb0EEEEE10hipError_tT1_PNSt15iterator_traitsISG_E10value_typeET2_T3_PNSH_ISM_E10value_typeET4_T5_PSR_SS_PNS1_23onesweep_lookback_stateEbbT6_jjT7_P12ihipStream_tbENKUlT_T0_SG_SL_E_clIS7_S7_S7_SB_EEDaSZ_S10_SG_SL_EUlSZ_E_NS1_11comp_targetILNS1_3genE9ELNS1_11target_archE1100ELNS1_3gpuE3ELNS1_3repE0EEENS1_47radix_sort_onesweep_sort_config_static_selectorELNS0_4arch9wavefront6targetE1EEEvSG_.numbered_sgpr, 0
	.set _ZN7rocprim17ROCPRIM_400000_NS6detail17trampoline_kernelINS0_14default_configENS1_35radix_sort_onesweep_config_selectorIllEEZZNS1_29radix_sort_onesweep_iterationIS3_Lb0EPlS7_N6thrust23THRUST_200600_302600_NS10device_ptrIlEESB_jNS0_19identity_decomposerENS1_16block_id_wrapperIjLb0EEEEE10hipError_tT1_PNSt15iterator_traitsISG_E10value_typeET2_T3_PNSH_ISM_E10value_typeET4_T5_PSR_SS_PNS1_23onesweep_lookback_stateEbbT6_jjT7_P12ihipStream_tbENKUlT_T0_SG_SL_E_clIS7_S7_S7_SB_EEDaSZ_S10_SG_SL_EUlSZ_E_NS1_11comp_targetILNS1_3genE9ELNS1_11target_archE1100ELNS1_3gpuE3ELNS1_3repE0EEENS1_47radix_sort_onesweep_sort_config_static_selectorELNS0_4arch9wavefront6targetE1EEEvSG_.num_named_barrier, 0
	.set _ZN7rocprim17ROCPRIM_400000_NS6detail17trampoline_kernelINS0_14default_configENS1_35radix_sort_onesweep_config_selectorIllEEZZNS1_29radix_sort_onesweep_iterationIS3_Lb0EPlS7_N6thrust23THRUST_200600_302600_NS10device_ptrIlEESB_jNS0_19identity_decomposerENS1_16block_id_wrapperIjLb0EEEEE10hipError_tT1_PNSt15iterator_traitsISG_E10value_typeET2_T3_PNSH_ISM_E10value_typeET4_T5_PSR_SS_PNS1_23onesweep_lookback_stateEbbT6_jjT7_P12ihipStream_tbENKUlT_T0_SG_SL_E_clIS7_S7_S7_SB_EEDaSZ_S10_SG_SL_EUlSZ_E_NS1_11comp_targetILNS1_3genE9ELNS1_11target_archE1100ELNS1_3gpuE3ELNS1_3repE0EEENS1_47radix_sort_onesweep_sort_config_static_selectorELNS0_4arch9wavefront6targetE1EEEvSG_.private_seg_size, 0
	.set _ZN7rocprim17ROCPRIM_400000_NS6detail17trampoline_kernelINS0_14default_configENS1_35radix_sort_onesweep_config_selectorIllEEZZNS1_29radix_sort_onesweep_iterationIS3_Lb0EPlS7_N6thrust23THRUST_200600_302600_NS10device_ptrIlEESB_jNS0_19identity_decomposerENS1_16block_id_wrapperIjLb0EEEEE10hipError_tT1_PNSt15iterator_traitsISG_E10value_typeET2_T3_PNSH_ISM_E10value_typeET4_T5_PSR_SS_PNS1_23onesweep_lookback_stateEbbT6_jjT7_P12ihipStream_tbENKUlT_T0_SG_SL_E_clIS7_S7_S7_SB_EEDaSZ_S10_SG_SL_EUlSZ_E_NS1_11comp_targetILNS1_3genE9ELNS1_11target_archE1100ELNS1_3gpuE3ELNS1_3repE0EEENS1_47radix_sort_onesweep_sort_config_static_selectorELNS0_4arch9wavefront6targetE1EEEvSG_.uses_vcc, 0
	.set _ZN7rocprim17ROCPRIM_400000_NS6detail17trampoline_kernelINS0_14default_configENS1_35radix_sort_onesweep_config_selectorIllEEZZNS1_29radix_sort_onesweep_iterationIS3_Lb0EPlS7_N6thrust23THRUST_200600_302600_NS10device_ptrIlEESB_jNS0_19identity_decomposerENS1_16block_id_wrapperIjLb0EEEEE10hipError_tT1_PNSt15iterator_traitsISG_E10value_typeET2_T3_PNSH_ISM_E10value_typeET4_T5_PSR_SS_PNS1_23onesweep_lookback_stateEbbT6_jjT7_P12ihipStream_tbENKUlT_T0_SG_SL_E_clIS7_S7_S7_SB_EEDaSZ_S10_SG_SL_EUlSZ_E_NS1_11comp_targetILNS1_3genE9ELNS1_11target_archE1100ELNS1_3gpuE3ELNS1_3repE0EEENS1_47radix_sort_onesweep_sort_config_static_selectorELNS0_4arch9wavefront6targetE1EEEvSG_.uses_flat_scratch, 0
	.set _ZN7rocprim17ROCPRIM_400000_NS6detail17trampoline_kernelINS0_14default_configENS1_35radix_sort_onesweep_config_selectorIllEEZZNS1_29radix_sort_onesweep_iterationIS3_Lb0EPlS7_N6thrust23THRUST_200600_302600_NS10device_ptrIlEESB_jNS0_19identity_decomposerENS1_16block_id_wrapperIjLb0EEEEE10hipError_tT1_PNSt15iterator_traitsISG_E10value_typeET2_T3_PNSH_ISM_E10value_typeET4_T5_PSR_SS_PNS1_23onesweep_lookback_stateEbbT6_jjT7_P12ihipStream_tbENKUlT_T0_SG_SL_E_clIS7_S7_S7_SB_EEDaSZ_S10_SG_SL_EUlSZ_E_NS1_11comp_targetILNS1_3genE9ELNS1_11target_archE1100ELNS1_3gpuE3ELNS1_3repE0EEENS1_47radix_sort_onesweep_sort_config_static_selectorELNS0_4arch9wavefront6targetE1EEEvSG_.has_dyn_sized_stack, 0
	.set _ZN7rocprim17ROCPRIM_400000_NS6detail17trampoline_kernelINS0_14default_configENS1_35radix_sort_onesweep_config_selectorIllEEZZNS1_29radix_sort_onesweep_iterationIS3_Lb0EPlS7_N6thrust23THRUST_200600_302600_NS10device_ptrIlEESB_jNS0_19identity_decomposerENS1_16block_id_wrapperIjLb0EEEEE10hipError_tT1_PNSt15iterator_traitsISG_E10value_typeET2_T3_PNSH_ISM_E10value_typeET4_T5_PSR_SS_PNS1_23onesweep_lookback_stateEbbT6_jjT7_P12ihipStream_tbENKUlT_T0_SG_SL_E_clIS7_S7_S7_SB_EEDaSZ_S10_SG_SL_EUlSZ_E_NS1_11comp_targetILNS1_3genE9ELNS1_11target_archE1100ELNS1_3gpuE3ELNS1_3repE0EEENS1_47radix_sort_onesweep_sort_config_static_selectorELNS0_4arch9wavefront6targetE1EEEvSG_.has_recursion, 0
	.set _ZN7rocprim17ROCPRIM_400000_NS6detail17trampoline_kernelINS0_14default_configENS1_35radix_sort_onesweep_config_selectorIllEEZZNS1_29radix_sort_onesweep_iterationIS3_Lb0EPlS7_N6thrust23THRUST_200600_302600_NS10device_ptrIlEESB_jNS0_19identity_decomposerENS1_16block_id_wrapperIjLb0EEEEE10hipError_tT1_PNSt15iterator_traitsISG_E10value_typeET2_T3_PNSH_ISM_E10value_typeET4_T5_PSR_SS_PNS1_23onesweep_lookback_stateEbbT6_jjT7_P12ihipStream_tbENKUlT_T0_SG_SL_E_clIS7_S7_S7_SB_EEDaSZ_S10_SG_SL_EUlSZ_E_NS1_11comp_targetILNS1_3genE9ELNS1_11target_archE1100ELNS1_3gpuE3ELNS1_3repE0EEENS1_47radix_sort_onesweep_sort_config_static_selectorELNS0_4arch9wavefront6targetE1EEEvSG_.has_indirect_call, 0
	.section	.AMDGPU.csdata,"",@progbits
; Kernel info:
; codeLenInByte = 0
; TotalNumSgprs: 4
; NumVgprs: 0
; ScratchSize: 0
; MemoryBound: 0
; FloatMode: 240
; IeeeMode: 1
; LDSByteSize: 0 bytes/workgroup (compile time only)
; SGPRBlocks: 0
; VGPRBlocks: 0
; NumSGPRsForWavesPerEU: 4
; NumVGPRsForWavesPerEU: 1
; Occupancy: 10
; WaveLimiterHint : 0
; COMPUTE_PGM_RSRC2:SCRATCH_EN: 0
; COMPUTE_PGM_RSRC2:USER_SGPR: 6
; COMPUTE_PGM_RSRC2:TRAP_HANDLER: 0
; COMPUTE_PGM_RSRC2:TGID_X_EN: 1
; COMPUTE_PGM_RSRC2:TGID_Y_EN: 0
; COMPUTE_PGM_RSRC2:TGID_Z_EN: 0
; COMPUTE_PGM_RSRC2:TIDIG_COMP_CNT: 0
	.section	.text._ZN7rocprim17ROCPRIM_400000_NS6detail17trampoline_kernelINS0_14default_configENS1_35radix_sort_onesweep_config_selectorIllEEZZNS1_29radix_sort_onesweep_iterationIS3_Lb0EPlS7_N6thrust23THRUST_200600_302600_NS10device_ptrIlEESB_jNS0_19identity_decomposerENS1_16block_id_wrapperIjLb0EEEEE10hipError_tT1_PNSt15iterator_traitsISG_E10value_typeET2_T3_PNSH_ISM_E10value_typeET4_T5_PSR_SS_PNS1_23onesweep_lookback_stateEbbT6_jjT7_P12ihipStream_tbENKUlT_T0_SG_SL_E_clIS7_S7_S7_SB_EEDaSZ_S10_SG_SL_EUlSZ_E_NS1_11comp_targetILNS1_3genE8ELNS1_11target_archE1030ELNS1_3gpuE2ELNS1_3repE0EEENS1_47radix_sort_onesweep_sort_config_static_selectorELNS0_4arch9wavefront6targetE1EEEvSG_,"axG",@progbits,_ZN7rocprim17ROCPRIM_400000_NS6detail17trampoline_kernelINS0_14default_configENS1_35radix_sort_onesweep_config_selectorIllEEZZNS1_29radix_sort_onesweep_iterationIS3_Lb0EPlS7_N6thrust23THRUST_200600_302600_NS10device_ptrIlEESB_jNS0_19identity_decomposerENS1_16block_id_wrapperIjLb0EEEEE10hipError_tT1_PNSt15iterator_traitsISG_E10value_typeET2_T3_PNSH_ISM_E10value_typeET4_T5_PSR_SS_PNS1_23onesweep_lookback_stateEbbT6_jjT7_P12ihipStream_tbENKUlT_T0_SG_SL_E_clIS7_S7_S7_SB_EEDaSZ_S10_SG_SL_EUlSZ_E_NS1_11comp_targetILNS1_3genE8ELNS1_11target_archE1030ELNS1_3gpuE2ELNS1_3repE0EEENS1_47radix_sort_onesweep_sort_config_static_selectorELNS0_4arch9wavefront6targetE1EEEvSG_,comdat
	.protected	_ZN7rocprim17ROCPRIM_400000_NS6detail17trampoline_kernelINS0_14default_configENS1_35radix_sort_onesweep_config_selectorIllEEZZNS1_29radix_sort_onesweep_iterationIS3_Lb0EPlS7_N6thrust23THRUST_200600_302600_NS10device_ptrIlEESB_jNS0_19identity_decomposerENS1_16block_id_wrapperIjLb0EEEEE10hipError_tT1_PNSt15iterator_traitsISG_E10value_typeET2_T3_PNSH_ISM_E10value_typeET4_T5_PSR_SS_PNS1_23onesweep_lookback_stateEbbT6_jjT7_P12ihipStream_tbENKUlT_T0_SG_SL_E_clIS7_S7_S7_SB_EEDaSZ_S10_SG_SL_EUlSZ_E_NS1_11comp_targetILNS1_3genE8ELNS1_11target_archE1030ELNS1_3gpuE2ELNS1_3repE0EEENS1_47radix_sort_onesweep_sort_config_static_selectorELNS0_4arch9wavefront6targetE1EEEvSG_ ; -- Begin function _ZN7rocprim17ROCPRIM_400000_NS6detail17trampoline_kernelINS0_14default_configENS1_35radix_sort_onesweep_config_selectorIllEEZZNS1_29radix_sort_onesweep_iterationIS3_Lb0EPlS7_N6thrust23THRUST_200600_302600_NS10device_ptrIlEESB_jNS0_19identity_decomposerENS1_16block_id_wrapperIjLb0EEEEE10hipError_tT1_PNSt15iterator_traitsISG_E10value_typeET2_T3_PNSH_ISM_E10value_typeET4_T5_PSR_SS_PNS1_23onesweep_lookback_stateEbbT6_jjT7_P12ihipStream_tbENKUlT_T0_SG_SL_E_clIS7_S7_S7_SB_EEDaSZ_S10_SG_SL_EUlSZ_E_NS1_11comp_targetILNS1_3genE8ELNS1_11target_archE1030ELNS1_3gpuE2ELNS1_3repE0EEENS1_47radix_sort_onesweep_sort_config_static_selectorELNS0_4arch9wavefront6targetE1EEEvSG_
	.globl	_ZN7rocprim17ROCPRIM_400000_NS6detail17trampoline_kernelINS0_14default_configENS1_35radix_sort_onesweep_config_selectorIllEEZZNS1_29radix_sort_onesweep_iterationIS3_Lb0EPlS7_N6thrust23THRUST_200600_302600_NS10device_ptrIlEESB_jNS0_19identity_decomposerENS1_16block_id_wrapperIjLb0EEEEE10hipError_tT1_PNSt15iterator_traitsISG_E10value_typeET2_T3_PNSH_ISM_E10value_typeET4_T5_PSR_SS_PNS1_23onesweep_lookback_stateEbbT6_jjT7_P12ihipStream_tbENKUlT_T0_SG_SL_E_clIS7_S7_S7_SB_EEDaSZ_S10_SG_SL_EUlSZ_E_NS1_11comp_targetILNS1_3genE8ELNS1_11target_archE1030ELNS1_3gpuE2ELNS1_3repE0EEENS1_47radix_sort_onesweep_sort_config_static_selectorELNS0_4arch9wavefront6targetE1EEEvSG_
	.p2align	8
	.type	_ZN7rocprim17ROCPRIM_400000_NS6detail17trampoline_kernelINS0_14default_configENS1_35radix_sort_onesweep_config_selectorIllEEZZNS1_29radix_sort_onesweep_iterationIS3_Lb0EPlS7_N6thrust23THRUST_200600_302600_NS10device_ptrIlEESB_jNS0_19identity_decomposerENS1_16block_id_wrapperIjLb0EEEEE10hipError_tT1_PNSt15iterator_traitsISG_E10value_typeET2_T3_PNSH_ISM_E10value_typeET4_T5_PSR_SS_PNS1_23onesweep_lookback_stateEbbT6_jjT7_P12ihipStream_tbENKUlT_T0_SG_SL_E_clIS7_S7_S7_SB_EEDaSZ_S10_SG_SL_EUlSZ_E_NS1_11comp_targetILNS1_3genE8ELNS1_11target_archE1030ELNS1_3gpuE2ELNS1_3repE0EEENS1_47radix_sort_onesweep_sort_config_static_selectorELNS0_4arch9wavefront6targetE1EEEvSG_,@function
_ZN7rocprim17ROCPRIM_400000_NS6detail17trampoline_kernelINS0_14default_configENS1_35radix_sort_onesweep_config_selectorIllEEZZNS1_29radix_sort_onesweep_iterationIS3_Lb0EPlS7_N6thrust23THRUST_200600_302600_NS10device_ptrIlEESB_jNS0_19identity_decomposerENS1_16block_id_wrapperIjLb0EEEEE10hipError_tT1_PNSt15iterator_traitsISG_E10value_typeET2_T3_PNSH_ISM_E10value_typeET4_T5_PSR_SS_PNS1_23onesweep_lookback_stateEbbT6_jjT7_P12ihipStream_tbENKUlT_T0_SG_SL_E_clIS7_S7_S7_SB_EEDaSZ_S10_SG_SL_EUlSZ_E_NS1_11comp_targetILNS1_3genE8ELNS1_11target_archE1030ELNS1_3gpuE2ELNS1_3repE0EEENS1_47radix_sort_onesweep_sort_config_static_selectorELNS0_4arch9wavefront6targetE1EEEvSG_: ; @_ZN7rocprim17ROCPRIM_400000_NS6detail17trampoline_kernelINS0_14default_configENS1_35radix_sort_onesweep_config_selectorIllEEZZNS1_29radix_sort_onesweep_iterationIS3_Lb0EPlS7_N6thrust23THRUST_200600_302600_NS10device_ptrIlEESB_jNS0_19identity_decomposerENS1_16block_id_wrapperIjLb0EEEEE10hipError_tT1_PNSt15iterator_traitsISG_E10value_typeET2_T3_PNSH_ISM_E10value_typeET4_T5_PSR_SS_PNS1_23onesweep_lookback_stateEbbT6_jjT7_P12ihipStream_tbENKUlT_T0_SG_SL_E_clIS7_S7_S7_SB_EEDaSZ_S10_SG_SL_EUlSZ_E_NS1_11comp_targetILNS1_3genE8ELNS1_11target_archE1030ELNS1_3gpuE2ELNS1_3repE0EEENS1_47radix_sort_onesweep_sort_config_static_selectorELNS0_4arch9wavefront6targetE1EEEvSG_
; %bb.0:
	.section	.rodata,"a",@progbits
	.p2align	6, 0x0
	.amdhsa_kernel _ZN7rocprim17ROCPRIM_400000_NS6detail17trampoline_kernelINS0_14default_configENS1_35radix_sort_onesweep_config_selectorIllEEZZNS1_29radix_sort_onesweep_iterationIS3_Lb0EPlS7_N6thrust23THRUST_200600_302600_NS10device_ptrIlEESB_jNS0_19identity_decomposerENS1_16block_id_wrapperIjLb0EEEEE10hipError_tT1_PNSt15iterator_traitsISG_E10value_typeET2_T3_PNSH_ISM_E10value_typeET4_T5_PSR_SS_PNS1_23onesweep_lookback_stateEbbT6_jjT7_P12ihipStream_tbENKUlT_T0_SG_SL_E_clIS7_S7_S7_SB_EEDaSZ_S10_SG_SL_EUlSZ_E_NS1_11comp_targetILNS1_3genE8ELNS1_11target_archE1030ELNS1_3gpuE2ELNS1_3repE0EEENS1_47radix_sort_onesweep_sort_config_static_selectorELNS0_4arch9wavefront6targetE1EEEvSG_
		.amdhsa_group_segment_fixed_size 0
		.amdhsa_private_segment_fixed_size 0
		.amdhsa_kernarg_size 88
		.amdhsa_user_sgpr_count 6
		.amdhsa_user_sgpr_private_segment_buffer 1
		.amdhsa_user_sgpr_dispatch_ptr 0
		.amdhsa_user_sgpr_queue_ptr 0
		.amdhsa_user_sgpr_kernarg_segment_ptr 1
		.amdhsa_user_sgpr_dispatch_id 0
		.amdhsa_user_sgpr_flat_scratch_init 0
		.amdhsa_user_sgpr_private_segment_size 0
		.amdhsa_uses_dynamic_stack 0
		.amdhsa_system_sgpr_private_segment_wavefront_offset 0
		.amdhsa_system_sgpr_workgroup_id_x 1
		.amdhsa_system_sgpr_workgroup_id_y 0
		.amdhsa_system_sgpr_workgroup_id_z 0
		.amdhsa_system_sgpr_workgroup_info 0
		.amdhsa_system_vgpr_workitem_id 0
		.amdhsa_next_free_vgpr 1
		.amdhsa_next_free_sgpr 0
		.amdhsa_reserve_vcc 0
		.amdhsa_reserve_flat_scratch 0
		.amdhsa_float_round_mode_32 0
		.amdhsa_float_round_mode_16_64 0
		.amdhsa_float_denorm_mode_32 3
		.amdhsa_float_denorm_mode_16_64 3
		.amdhsa_dx10_clamp 1
		.amdhsa_ieee_mode 1
		.amdhsa_fp16_overflow 0
		.amdhsa_exception_fp_ieee_invalid_op 0
		.amdhsa_exception_fp_denorm_src 0
		.amdhsa_exception_fp_ieee_div_zero 0
		.amdhsa_exception_fp_ieee_overflow 0
		.amdhsa_exception_fp_ieee_underflow 0
		.amdhsa_exception_fp_ieee_inexact 0
		.amdhsa_exception_int_div_zero 0
	.end_amdhsa_kernel
	.section	.text._ZN7rocprim17ROCPRIM_400000_NS6detail17trampoline_kernelINS0_14default_configENS1_35radix_sort_onesweep_config_selectorIllEEZZNS1_29radix_sort_onesweep_iterationIS3_Lb0EPlS7_N6thrust23THRUST_200600_302600_NS10device_ptrIlEESB_jNS0_19identity_decomposerENS1_16block_id_wrapperIjLb0EEEEE10hipError_tT1_PNSt15iterator_traitsISG_E10value_typeET2_T3_PNSH_ISM_E10value_typeET4_T5_PSR_SS_PNS1_23onesweep_lookback_stateEbbT6_jjT7_P12ihipStream_tbENKUlT_T0_SG_SL_E_clIS7_S7_S7_SB_EEDaSZ_S10_SG_SL_EUlSZ_E_NS1_11comp_targetILNS1_3genE8ELNS1_11target_archE1030ELNS1_3gpuE2ELNS1_3repE0EEENS1_47radix_sort_onesweep_sort_config_static_selectorELNS0_4arch9wavefront6targetE1EEEvSG_,"axG",@progbits,_ZN7rocprim17ROCPRIM_400000_NS6detail17trampoline_kernelINS0_14default_configENS1_35radix_sort_onesweep_config_selectorIllEEZZNS1_29radix_sort_onesweep_iterationIS3_Lb0EPlS7_N6thrust23THRUST_200600_302600_NS10device_ptrIlEESB_jNS0_19identity_decomposerENS1_16block_id_wrapperIjLb0EEEEE10hipError_tT1_PNSt15iterator_traitsISG_E10value_typeET2_T3_PNSH_ISM_E10value_typeET4_T5_PSR_SS_PNS1_23onesweep_lookback_stateEbbT6_jjT7_P12ihipStream_tbENKUlT_T0_SG_SL_E_clIS7_S7_S7_SB_EEDaSZ_S10_SG_SL_EUlSZ_E_NS1_11comp_targetILNS1_3genE8ELNS1_11target_archE1030ELNS1_3gpuE2ELNS1_3repE0EEENS1_47radix_sort_onesweep_sort_config_static_selectorELNS0_4arch9wavefront6targetE1EEEvSG_,comdat
.Lfunc_end1185:
	.size	_ZN7rocprim17ROCPRIM_400000_NS6detail17trampoline_kernelINS0_14default_configENS1_35radix_sort_onesweep_config_selectorIllEEZZNS1_29radix_sort_onesweep_iterationIS3_Lb0EPlS7_N6thrust23THRUST_200600_302600_NS10device_ptrIlEESB_jNS0_19identity_decomposerENS1_16block_id_wrapperIjLb0EEEEE10hipError_tT1_PNSt15iterator_traitsISG_E10value_typeET2_T3_PNSH_ISM_E10value_typeET4_T5_PSR_SS_PNS1_23onesweep_lookback_stateEbbT6_jjT7_P12ihipStream_tbENKUlT_T0_SG_SL_E_clIS7_S7_S7_SB_EEDaSZ_S10_SG_SL_EUlSZ_E_NS1_11comp_targetILNS1_3genE8ELNS1_11target_archE1030ELNS1_3gpuE2ELNS1_3repE0EEENS1_47radix_sort_onesweep_sort_config_static_selectorELNS0_4arch9wavefront6targetE1EEEvSG_, .Lfunc_end1185-_ZN7rocprim17ROCPRIM_400000_NS6detail17trampoline_kernelINS0_14default_configENS1_35radix_sort_onesweep_config_selectorIllEEZZNS1_29radix_sort_onesweep_iterationIS3_Lb0EPlS7_N6thrust23THRUST_200600_302600_NS10device_ptrIlEESB_jNS0_19identity_decomposerENS1_16block_id_wrapperIjLb0EEEEE10hipError_tT1_PNSt15iterator_traitsISG_E10value_typeET2_T3_PNSH_ISM_E10value_typeET4_T5_PSR_SS_PNS1_23onesweep_lookback_stateEbbT6_jjT7_P12ihipStream_tbENKUlT_T0_SG_SL_E_clIS7_S7_S7_SB_EEDaSZ_S10_SG_SL_EUlSZ_E_NS1_11comp_targetILNS1_3genE8ELNS1_11target_archE1030ELNS1_3gpuE2ELNS1_3repE0EEENS1_47radix_sort_onesweep_sort_config_static_selectorELNS0_4arch9wavefront6targetE1EEEvSG_
                                        ; -- End function
	.set _ZN7rocprim17ROCPRIM_400000_NS6detail17trampoline_kernelINS0_14default_configENS1_35radix_sort_onesweep_config_selectorIllEEZZNS1_29radix_sort_onesweep_iterationIS3_Lb0EPlS7_N6thrust23THRUST_200600_302600_NS10device_ptrIlEESB_jNS0_19identity_decomposerENS1_16block_id_wrapperIjLb0EEEEE10hipError_tT1_PNSt15iterator_traitsISG_E10value_typeET2_T3_PNSH_ISM_E10value_typeET4_T5_PSR_SS_PNS1_23onesweep_lookback_stateEbbT6_jjT7_P12ihipStream_tbENKUlT_T0_SG_SL_E_clIS7_S7_S7_SB_EEDaSZ_S10_SG_SL_EUlSZ_E_NS1_11comp_targetILNS1_3genE8ELNS1_11target_archE1030ELNS1_3gpuE2ELNS1_3repE0EEENS1_47radix_sort_onesweep_sort_config_static_selectorELNS0_4arch9wavefront6targetE1EEEvSG_.num_vgpr, 0
	.set _ZN7rocprim17ROCPRIM_400000_NS6detail17trampoline_kernelINS0_14default_configENS1_35radix_sort_onesweep_config_selectorIllEEZZNS1_29radix_sort_onesweep_iterationIS3_Lb0EPlS7_N6thrust23THRUST_200600_302600_NS10device_ptrIlEESB_jNS0_19identity_decomposerENS1_16block_id_wrapperIjLb0EEEEE10hipError_tT1_PNSt15iterator_traitsISG_E10value_typeET2_T3_PNSH_ISM_E10value_typeET4_T5_PSR_SS_PNS1_23onesweep_lookback_stateEbbT6_jjT7_P12ihipStream_tbENKUlT_T0_SG_SL_E_clIS7_S7_S7_SB_EEDaSZ_S10_SG_SL_EUlSZ_E_NS1_11comp_targetILNS1_3genE8ELNS1_11target_archE1030ELNS1_3gpuE2ELNS1_3repE0EEENS1_47radix_sort_onesweep_sort_config_static_selectorELNS0_4arch9wavefront6targetE1EEEvSG_.num_agpr, 0
	.set _ZN7rocprim17ROCPRIM_400000_NS6detail17trampoline_kernelINS0_14default_configENS1_35radix_sort_onesweep_config_selectorIllEEZZNS1_29radix_sort_onesweep_iterationIS3_Lb0EPlS7_N6thrust23THRUST_200600_302600_NS10device_ptrIlEESB_jNS0_19identity_decomposerENS1_16block_id_wrapperIjLb0EEEEE10hipError_tT1_PNSt15iterator_traitsISG_E10value_typeET2_T3_PNSH_ISM_E10value_typeET4_T5_PSR_SS_PNS1_23onesweep_lookback_stateEbbT6_jjT7_P12ihipStream_tbENKUlT_T0_SG_SL_E_clIS7_S7_S7_SB_EEDaSZ_S10_SG_SL_EUlSZ_E_NS1_11comp_targetILNS1_3genE8ELNS1_11target_archE1030ELNS1_3gpuE2ELNS1_3repE0EEENS1_47radix_sort_onesweep_sort_config_static_selectorELNS0_4arch9wavefront6targetE1EEEvSG_.numbered_sgpr, 0
	.set _ZN7rocprim17ROCPRIM_400000_NS6detail17trampoline_kernelINS0_14default_configENS1_35radix_sort_onesweep_config_selectorIllEEZZNS1_29radix_sort_onesweep_iterationIS3_Lb0EPlS7_N6thrust23THRUST_200600_302600_NS10device_ptrIlEESB_jNS0_19identity_decomposerENS1_16block_id_wrapperIjLb0EEEEE10hipError_tT1_PNSt15iterator_traitsISG_E10value_typeET2_T3_PNSH_ISM_E10value_typeET4_T5_PSR_SS_PNS1_23onesweep_lookback_stateEbbT6_jjT7_P12ihipStream_tbENKUlT_T0_SG_SL_E_clIS7_S7_S7_SB_EEDaSZ_S10_SG_SL_EUlSZ_E_NS1_11comp_targetILNS1_3genE8ELNS1_11target_archE1030ELNS1_3gpuE2ELNS1_3repE0EEENS1_47radix_sort_onesweep_sort_config_static_selectorELNS0_4arch9wavefront6targetE1EEEvSG_.num_named_barrier, 0
	.set _ZN7rocprim17ROCPRIM_400000_NS6detail17trampoline_kernelINS0_14default_configENS1_35radix_sort_onesweep_config_selectorIllEEZZNS1_29radix_sort_onesweep_iterationIS3_Lb0EPlS7_N6thrust23THRUST_200600_302600_NS10device_ptrIlEESB_jNS0_19identity_decomposerENS1_16block_id_wrapperIjLb0EEEEE10hipError_tT1_PNSt15iterator_traitsISG_E10value_typeET2_T3_PNSH_ISM_E10value_typeET4_T5_PSR_SS_PNS1_23onesweep_lookback_stateEbbT6_jjT7_P12ihipStream_tbENKUlT_T0_SG_SL_E_clIS7_S7_S7_SB_EEDaSZ_S10_SG_SL_EUlSZ_E_NS1_11comp_targetILNS1_3genE8ELNS1_11target_archE1030ELNS1_3gpuE2ELNS1_3repE0EEENS1_47radix_sort_onesweep_sort_config_static_selectorELNS0_4arch9wavefront6targetE1EEEvSG_.private_seg_size, 0
	.set _ZN7rocprim17ROCPRIM_400000_NS6detail17trampoline_kernelINS0_14default_configENS1_35radix_sort_onesweep_config_selectorIllEEZZNS1_29radix_sort_onesweep_iterationIS3_Lb0EPlS7_N6thrust23THRUST_200600_302600_NS10device_ptrIlEESB_jNS0_19identity_decomposerENS1_16block_id_wrapperIjLb0EEEEE10hipError_tT1_PNSt15iterator_traitsISG_E10value_typeET2_T3_PNSH_ISM_E10value_typeET4_T5_PSR_SS_PNS1_23onesweep_lookback_stateEbbT6_jjT7_P12ihipStream_tbENKUlT_T0_SG_SL_E_clIS7_S7_S7_SB_EEDaSZ_S10_SG_SL_EUlSZ_E_NS1_11comp_targetILNS1_3genE8ELNS1_11target_archE1030ELNS1_3gpuE2ELNS1_3repE0EEENS1_47radix_sort_onesweep_sort_config_static_selectorELNS0_4arch9wavefront6targetE1EEEvSG_.uses_vcc, 0
	.set _ZN7rocprim17ROCPRIM_400000_NS6detail17trampoline_kernelINS0_14default_configENS1_35radix_sort_onesweep_config_selectorIllEEZZNS1_29radix_sort_onesweep_iterationIS3_Lb0EPlS7_N6thrust23THRUST_200600_302600_NS10device_ptrIlEESB_jNS0_19identity_decomposerENS1_16block_id_wrapperIjLb0EEEEE10hipError_tT1_PNSt15iterator_traitsISG_E10value_typeET2_T3_PNSH_ISM_E10value_typeET4_T5_PSR_SS_PNS1_23onesweep_lookback_stateEbbT6_jjT7_P12ihipStream_tbENKUlT_T0_SG_SL_E_clIS7_S7_S7_SB_EEDaSZ_S10_SG_SL_EUlSZ_E_NS1_11comp_targetILNS1_3genE8ELNS1_11target_archE1030ELNS1_3gpuE2ELNS1_3repE0EEENS1_47radix_sort_onesweep_sort_config_static_selectorELNS0_4arch9wavefront6targetE1EEEvSG_.uses_flat_scratch, 0
	.set _ZN7rocprim17ROCPRIM_400000_NS6detail17trampoline_kernelINS0_14default_configENS1_35radix_sort_onesweep_config_selectorIllEEZZNS1_29radix_sort_onesweep_iterationIS3_Lb0EPlS7_N6thrust23THRUST_200600_302600_NS10device_ptrIlEESB_jNS0_19identity_decomposerENS1_16block_id_wrapperIjLb0EEEEE10hipError_tT1_PNSt15iterator_traitsISG_E10value_typeET2_T3_PNSH_ISM_E10value_typeET4_T5_PSR_SS_PNS1_23onesweep_lookback_stateEbbT6_jjT7_P12ihipStream_tbENKUlT_T0_SG_SL_E_clIS7_S7_S7_SB_EEDaSZ_S10_SG_SL_EUlSZ_E_NS1_11comp_targetILNS1_3genE8ELNS1_11target_archE1030ELNS1_3gpuE2ELNS1_3repE0EEENS1_47radix_sort_onesweep_sort_config_static_selectorELNS0_4arch9wavefront6targetE1EEEvSG_.has_dyn_sized_stack, 0
	.set _ZN7rocprim17ROCPRIM_400000_NS6detail17trampoline_kernelINS0_14default_configENS1_35radix_sort_onesweep_config_selectorIllEEZZNS1_29radix_sort_onesweep_iterationIS3_Lb0EPlS7_N6thrust23THRUST_200600_302600_NS10device_ptrIlEESB_jNS0_19identity_decomposerENS1_16block_id_wrapperIjLb0EEEEE10hipError_tT1_PNSt15iterator_traitsISG_E10value_typeET2_T3_PNSH_ISM_E10value_typeET4_T5_PSR_SS_PNS1_23onesweep_lookback_stateEbbT6_jjT7_P12ihipStream_tbENKUlT_T0_SG_SL_E_clIS7_S7_S7_SB_EEDaSZ_S10_SG_SL_EUlSZ_E_NS1_11comp_targetILNS1_3genE8ELNS1_11target_archE1030ELNS1_3gpuE2ELNS1_3repE0EEENS1_47radix_sort_onesweep_sort_config_static_selectorELNS0_4arch9wavefront6targetE1EEEvSG_.has_recursion, 0
	.set _ZN7rocprim17ROCPRIM_400000_NS6detail17trampoline_kernelINS0_14default_configENS1_35radix_sort_onesweep_config_selectorIllEEZZNS1_29radix_sort_onesweep_iterationIS3_Lb0EPlS7_N6thrust23THRUST_200600_302600_NS10device_ptrIlEESB_jNS0_19identity_decomposerENS1_16block_id_wrapperIjLb0EEEEE10hipError_tT1_PNSt15iterator_traitsISG_E10value_typeET2_T3_PNSH_ISM_E10value_typeET4_T5_PSR_SS_PNS1_23onesweep_lookback_stateEbbT6_jjT7_P12ihipStream_tbENKUlT_T0_SG_SL_E_clIS7_S7_S7_SB_EEDaSZ_S10_SG_SL_EUlSZ_E_NS1_11comp_targetILNS1_3genE8ELNS1_11target_archE1030ELNS1_3gpuE2ELNS1_3repE0EEENS1_47radix_sort_onesweep_sort_config_static_selectorELNS0_4arch9wavefront6targetE1EEEvSG_.has_indirect_call, 0
	.section	.AMDGPU.csdata,"",@progbits
; Kernel info:
; codeLenInByte = 0
; TotalNumSgprs: 4
; NumVgprs: 0
; ScratchSize: 0
; MemoryBound: 0
; FloatMode: 240
; IeeeMode: 1
; LDSByteSize: 0 bytes/workgroup (compile time only)
; SGPRBlocks: 0
; VGPRBlocks: 0
; NumSGPRsForWavesPerEU: 4
; NumVGPRsForWavesPerEU: 1
; Occupancy: 10
; WaveLimiterHint : 0
; COMPUTE_PGM_RSRC2:SCRATCH_EN: 0
; COMPUTE_PGM_RSRC2:USER_SGPR: 6
; COMPUTE_PGM_RSRC2:TRAP_HANDLER: 0
; COMPUTE_PGM_RSRC2:TGID_X_EN: 1
; COMPUTE_PGM_RSRC2:TGID_Y_EN: 0
; COMPUTE_PGM_RSRC2:TGID_Z_EN: 0
; COMPUTE_PGM_RSRC2:TIDIG_COMP_CNT: 0
	.section	.text._ZN7rocprim17ROCPRIM_400000_NS6detail17trampoline_kernelINS0_14default_configENS1_22reduce_config_selectorIiEEZNS1_11reduce_implILb1ES3_N6thrust23THRUST_200600_302600_NS11hip_rocprim35transform_pair_of_input_iterators_tIiPlSB_NS8_12not_equal_toIlEEEEPiiNS8_4plusIiEEEE10hipError_tPvRmT1_T2_T3_mT4_P12ihipStream_tbEUlT_E0_NS1_11comp_targetILNS1_3genE0ELNS1_11target_archE4294967295ELNS1_3gpuE0ELNS1_3repE0EEENS1_30default_config_static_selectorELNS0_4arch9wavefront6targetE1EEEvSL_,"axG",@progbits,_ZN7rocprim17ROCPRIM_400000_NS6detail17trampoline_kernelINS0_14default_configENS1_22reduce_config_selectorIiEEZNS1_11reduce_implILb1ES3_N6thrust23THRUST_200600_302600_NS11hip_rocprim35transform_pair_of_input_iterators_tIiPlSB_NS8_12not_equal_toIlEEEEPiiNS8_4plusIiEEEE10hipError_tPvRmT1_T2_T3_mT4_P12ihipStream_tbEUlT_E0_NS1_11comp_targetILNS1_3genE0ELNS1_11target_archE4294967295ELNS1_3gpuE0ELNS1_3repE0EEENS1_30default_config_static_selectorELNS0_4arch9wavefront6targetE1EEEvSL_,comdat
	.protected	_ZN7rocprim17ROCPRIM_400000_NS6detail17trampoline_kernelINS0_14default_configENS1_22reduce_config_selectorIiEEZNS1_11reduce_implILb1ES3_N6thrust23THRUST_200600_302600_NS11hip_rocprim35transform_pair_of_input_iterators_tIiPlSB_NS8_12not_equal_toIlEEEEPiiNS8_4plusIiEEEE10hipError_tPvRmT1_T2_T3_mT4_P12ihipStream_tbEUlT_E0_NS1_11comp_targetILNS1_3genE0ELNS1_11target_archE4294967295ELNS1_3gpuE0ELNS1_3repE0EEENS1_30default_config_static_selectorELNS0_4arch9wavefront6targetE1EEEvSL_ ; -- Begin function _ZN7rocprim17ROCPRIM_400000_NS6detail17trampoline_kernelINS0_14default_configENS1_22reduce_config_selectorIiEEZNS1_11reduce_implILb1ES3_N6thrust23THRUST_200600_302600_NS11hip_rocprim35transform_pair_of_input_iterators_tIiPlSB_NS8_12not_equal_toIlEEEEPiiNS8_4plusIiEEEE10hipError_tPvRmT1_T2_T3_mT4_P12ihipStream_tbEUlT_E0_NS1_11comp_targetILNS1_3genE0ELNS1_11target_archE4294967295ELNS1_3gpuE0ELNS1_3repE0EEENS1_30default_config_static_selectorELNS0_4arch9wavefront6targetE1EEEvSL_
	.globl	_ZN7rocprim17ROCPRIM_400000_NS6detail17trampoline_kernelINS0_14default_configENS1_22reduce_config_selectorIiEEZNS1_11reduce_implILb1ES3_N6thrust23THRUST_200600_302600_NS11hip_rocprim35transform_pair_of_input_iterators_tIiPlSB_NS8_12not_equal_toIlEEEEPiiNS8_4plusIiEEEE10hipError_tPvRmT1_T2_T3_mT4_P12ihipStream_tbEUlT_E0_NS1_11comp_targetILNS1_3genE0ELNS1_11target_archE4294967295ELNS1_3gpuE0ELNS1_3repE0EEENS1_30default_config_static_selectorELNS0_4arch9wavefront6targetE1EEEvSL_
	.p2align	8
	.type	_ZN7rocprim17ROCPRIM_400000_NS6detail17trampoline_kernelINS0_14default_configENS1_22reduce_config_selectorIiEEZNS1_11reduce_implILb1ES3_N6thrust23THRUST_200600_302600_NS11hip_rocprim35transform_pair_of_input_iterators_tIiPlSB_NS8_12not_equal_toIlEEEEPiiNS8_4plusIiEEEE10hipError_tPvRmT1_T2_T3_mT4_P12ihipStream_tbEUlT_E0_NS1_11comp_targetILNS1_3genE0ELNS1_11target_archE4294967295ELNS1_3gpuE0ELNS1_3repE0EEENS1_30default_config_static_selectorELNS0_4arch9wavefront6targetE1EEEvSL_,@function
_ZN7rocprim17ROCPRIM_400000_NS6detail17trampoline_kernelINS0_14default_configENS1_22reduce_config_selectorIiEEZNS1_11reduce_implILb1ES3_N6thrust23THRUST_200600_302600_NS11hip_rocprim35transform_pair_of_input_iterators_tIiPlSB_NS8_12not_equal_toIlEEEEPiiNS8_4plusIiEEEE10hipError_tPvRmT1_T2_T3_mT4_P12ihipStream_tbEUlT_E0_NS1_11comp_targetILNS1_3genE0ELNS1_11target_archE4294967295ELNS1_3gpuE0ELNS1_3repE0EEENS1_30default_config_static_selectorELNS0_4arch9wavefront6targetE1EEEvSL_: ; @_ZN7rocprim17ROCPRIM_400000_NS6detail17trampoline_kernelINS0_14default_configENS1_22reduce_config_selectorIiEEZNS1_11reduce_implILb1ES3_N6thrust23THRUST_200600_302600_NS11hip_rocprim35transform_pair_of_input_iterators_tIiPlSB_NS8_12not_equal_toIlEEEEPiiNS8_4plusIiEEEE10hipError_tPvRmT1_T2_T3_mT4_P12ihipStream_tbEUlT_E0_NS1_11comp_targetILNS1_3genE0ELNS1_11target_archE4294967295ELNS1_3gpuE0ELNS1_3repE0EEENS1_30default_config_static_selectorELNS0_4arch9wavefront6targetE1EEEvSL_
; %bb.0:
	.section	.rodata,"a",@progbits
	.p2align	6, 0x0
	.amdhsa_kernel _ZN7rocprim17ROCPRIM_400000_NS6detail17trampoline_kernelINS0_14default_configENS1_22reduce_config_selectorIiEEZNS1_11reduce_implILb1ES3_N6thrust23THRUST_200600_302600_NS11hip_rocprim35transform_pair_of_input_iterators_tIiPlSB_NS8_12not_equal_toIlEEEEPiiNS8_4plusIiEEEE10hipError_tPvRmT1_T2_T3_mT4_P12ihipStream_tbEUlT_E0_NS1_11comp_targetILNS1_3genE0ELNS1_11target_archE4294967295ELNS1_3gpuE0ELNS1_3repE0EEENS1_30default_config_static_selectorELNS0_4arch9wavefront6targetE1EEEvSL_
		.amdhsa_group_segment_fixed_size 0
		.amdhsa_private_segment_fixed_size 0
		.amdhsa_kernarg_size 72
		.amdhsa_user_sgpr_count 6
		.amdhsa_user_sgpr_private_segment_buffer 1
		.amdhsa_user_sgpr_dispatch_ptr 0
		.amdhsa_user_sgpr_queue_ptr 0
		.amdhsa_user_sgpr_kernarg_segment_ptr 1
		.amdhsa_user_sgpr_dispatch_id 0
		.amdhsa_user_sgpr_flat_scratch_init 0
		.amdhsa_user_sgpr_private_segment_size 0
		.amdhsa_uses_dynamic_stack 0
		.amdhsa_system_sgpr_private_segment_wavefront_offset 0
		.amdhsa_system_sgpr_workgroup_id_x 1
		.amdhsa_system_sgpr_workgroup_id_y 0
		.amdhsa_system_sgpr_workgroup_id_z 0
		.amdhsa_system_sgpr_workgroup_info 0
		.amdhsa_system_vgpr_workitem_id 0
		.amdhsa_next_free_vgpr 1
		.amdhsa_next_free_sgpr 0
		.amdhsa_reserve_vcc 0
		.amdhsa_reserve_flat_scratch 0
		.amdhsa_float_round_mode_32 0
		.amdhsa_float_round_mode_16_64 0
		.amdhsa_float_denorm_mode_32 3
		.amdhsa_float_denorm_mode_16_64 3
		.amdhsa_dx10_clamp 1
		.amdhsa_ieee_mode 1
		.amdhsa_fp16_overflow 0
		.amdhsa_exception_fp_ieee_invalid_op 0
		.amdhsa_exception_fp_denorm_src 0
		.amdhsa_exception_fp_ieee_div_zero 0
		.amdhsa_exception_fp_ieee_overflow 0
		.amdhsa_exception_fp_ieee_underflow 0
		.amdhsa_exception_fp_ieee_inexact 0
		.amdhsa_exception_int_div_zero 0
	.end_amdhsa_kernel
	.section	.text._ZN7rocprim17ROCPRIM_400000_NS6detail17trampoline_kernelINS0_14default_configENS1_22reduce_config_selectorIiEEZNS1_11reduce_implILb1ES3_N6thrust23THRUST_200600_302600_NS11hip_rocprim35transform_pair_of_input_iterators_tIiPlSB_NS8_12not_equal_toIlEEEEPiiNS8_4plusIiEEEE10hipError_tPvRmT1_T2_T3_mT4_P12ihipStream_tbEUlT_E0_NS1_11comp_targetILNS1_3genE0ELNS1_11target_archE4294967295ELNS1_3gpuE0ELNS1_3repE0EEENS1_30default_config_static_selectorELNS0_4arch9wavefront6targetE1EEEvSL_,"axG",@progbits,_ZN7rocprim17ROCPRIM_400000_NS6detail17trampoline_kernelINS0_14default_configENS1_22reduce_config_selectorIiEEZNS1_11reduce_implILb1ES3_N6thrust23THRUST_200600_302600_NS11hip_rocprim35transform_pair_of_input_iterators_tIiPlSB_NS8_12not_equal_toIlEEEEPiiNS8_4plusIiEEEE10hipError_tPvRmT1_T2_T3_mT4_P12ihipStream_tbEUlT_E0_NS1_11comp_targetILNS1_3genE0ELNS1_11target_archE4294967295ELNS1_3gpuE0ELNS1_3repE0EEENS1_30default_config_static_selectorELNS0_4arch9wavefront6targetE1EEEvSL_,comdat
.Lfunc_end1186:
	.size	_ZN7rocprim17ROCPRIM_400000_NS6detail17trampoline_kernelINS0_14default_configENS1_22reduce_config_selectorIiEEZNS1_11reduce_implILb1ES3_N6thrust23THRUST_200600_302600_NS11hip_rocprim35transform_pair_of_input_iterators_tIiPlSB_NS8_12not_equal_toIlEEEEPiiNS8_4plusIiEEEE10hipError_tPvRmT1_T2_T3_mT4_P12ihipStream_tbEUlT_E0_NS1_11comp_targetILNS1_3genE0ELNS1_11target_archE4294967295ELNS1_3gpuE0ELNS1_3repE0EEENS1_30default_config_static_selectorELNS0_4arch9wavefront6targetE1EEEvSL_, .Lfunc_end1186-_ZN7rocprim17ROCPRIM_400000_NS6detail17trampoline_kernelINS0_14default_configENS1_22reduce_config_selectorIiEEZNS1_11reduce_implILb1ES3_N6thrust23THRUST_200600_302600_NS11hip_rocprim35transform_pair_of_input_iterators_tIiPlSB_NS8_12not_equal_toIlEEEEPiiNS8_4plusIiEEEE10hipError_tPvRmT1_T2_T3_mT4_P12ihipStream_tbEUlT_E0_NS1_11comp_targetILNS1_3genE0ELNS1_11target_archE4294967295ELNS1_3gpuE0ELNS1_3repE0EEENS1_30default_config_static_selectorELNS0_4arch9wavefront6targetE1EEEvSL_
                                        ; -- End function
	.set _ZN7rocprim17ROCPRIM_400000_NS6detail17trampoline_kernelINS0_14default_configENS1_22reduce_config_selectorIiEEZNS1_11reduce_implILb1ES3_N6thrust23THRUST_200600_302600_NS11hip_rocprim35transform_pair_of_input_iterators_tIiPlSB_NS8_12not_equal_toIlEEEEPiiNS8_4plusIiEEEE10hipError_tPvRmT1_T2_T3_mT4_P12ihipStream_tbEUlT_E0_NS1_11comp_targetILNS1_3genE0ELNS1_11target_archE4294967295ELNS1_3gpuE0ELNS1_3repE0EEENS1_30default_config_static_selectorELNS0_4arch9wavefront6targetE1EEEvSL_.num_vgpr, 0
	.set _ZN7rocprim17ROCPRIM_400000_NS6detail17trampoline_kernelINS0_14default_configENS1_22reduce_config_selectorIiEEZNS1_11reduce_implILb1ES3_N6thrust23THRUST_200600_302600_NS11hip_rocprim35transform_pair_of_input_iterators_tIiPlSB_NS8_12not_equal_toIlEEEEPiiNS8_4plusIiEEEE10hipError_tPvRmT1_T2_T3_mT4_P12ihipStream_tbEUlT_E0_NS1_11comp_targetILNS1_3genE0ELNS1_11target_archE4294967295ELNS1_3gpuE0ELNS1_3repE0EEENS1_30default_config_static_selectorELNS0_4arch9wavefront6targetE1EEEvSL_.num_agpr, 0
	.set _ZN7rocprim17ROCPRIM_400000_NS6detail17trampoline_kernelINS0_14default_configENS1_22reduce_config_selectorIiEEZNS1_11reduce_implILb1ES3_N6thrust23THRUST_200600_302600_NS11hip_rocprim35transform_pair_of_input_iterators_tIiPlSB_NS8_12not_equal_toIlEEEEPiiNS8_4plusIiEEEE10hipError_tPvRmT1_T2_T3_mT4_P12ihipStream_tbEUlT_E0_NS1_11comp_targetILNS1_3genE0ELNS1_11target_archE4294967295ELNS1_3gpuE0ELNS1_3repE0EEENS1_30default_config_static_selectorELNS0_4arch9wavefront6targetE1EEEvSL_.numbered_sgpr, 0
	.set _ZN7rocprim17ROCPRIM_400000_NS6detail17trampoline_kernelINS0_14default_configENS1_22reduce_config_selectorIiEEZNS1_11reduce_implILb1ES3_N6thrust23THRUST_200600_302600_NS11hip_rocprim35transform_pair_of_input_iterators_tIiPlSB_NS8_12not_equal_toIlEEEEPiiNS8_4plusIiEEEE10hipError_tPvRmT1_T2_T3_mT4_P12ihipStream_tbEUlT_E0_NS1_11comp_targetILNS1_3genE0ELNS1_11target_archE4294967295ELNS1_3gpuE0ELNS1_3repE0EEENS1_30default_config_static_selectorELNS0_4arch9wavefront6targetE1EEEvSL_.num_named_barrier, 0
	.set _ZN7rocprim17ROCPRIM_400000_NS6detail17trampoline_kernelINS0_14default_configENS1_22reduce_config_selectorIiEEZNS1_11reduce_implILb1ES3_N6thrust23THRUST_200600_302600_NS11hip_rocprim35transform_pair_of_input_iterators_tIiPlSB_NS8_12not_equal_toIlEEEEPiiNS8_4plusIiEEEE10hipError_tPvRmT1_T2_T3_mT4_P12ihipStream_tbEUlT_E0_NS1_11comp_targetILNS1_3genE0ELNS1_11target_archE4294967295ELNS1_3gpuE0ELNS1_3repE0EEENS1_30default_config_static_selectorELNS0_4arch9wavefront6targetE1EEEvSL_.private_seg_size, 0
	.set _ZN7rocprim17ROCPRIM_400000_NS6detail17trampoline_kernelINS0_14default_configENS1_22reduce_config_selectorIiEEZNS1_11reduce_implILb1ES3_N6thrust23THRUST_200600_302600_NS11hip_rocprim35transform_pair_of_input_iterators_tIiPlSB_NS8_12not_equal_toIlEEEEPiiNS8_4plusIiEEEE10hipError_tPvRmT1_T2_T3_mT4_P12ihipStream_tbEUlT_E0_NS1_11comp_targetILNS1_3genE0ELNS1_11target_archE4294967295ELNS1_3gpuE0ELNS1_3repE0EEENS1_30default_config_static_selectorELNS0_4arch9wavefront6targetE1EEEvSL_.uses_vcc, 0
	.set _ZN7rocprim17ROCPRIM_400000_NS6detail17trampoline_kernelINS0_14default_configENS1_22reduce_config_selectorIiEEZNS1_11reduce_implILb1ES3_N6thrust23THRUST_200600_302600_NS11hip_rocprim35transform_pair_of_input_iterators_tIiPlSB_NS8_12not_equal_toIlEEEEPiiNS8_4plusIiEEEE10hipError_tPvRmT1_T2_T3_mT4_P12ihipStream_tbEUlT_E0_NS1_11comp_targetILNS1_3genE0ELNS1_11target_archE4294967295ELNS1_3gpuE0ELNS1_3repE0EEENS1_30default_config_static_selectorELNS0_4arch9wavefront6targetE1EEEvSL_.uses_flat_scratch, 0
	.set _ZN7rocprim17ROCPRIM_400000_NS6detail17trampoline_kernelINS0_14default_configENS1_22reduce_config_selectorIiEEZNS1_11reduce_implILb1ES3_N6thrust23THRUST_200600_302600_NS11hip_rocprim35transform_pair_of_input_iterators_tIiPlSB_NS8_12not_equal_toIlEEEEPiiNS8_4plusIiEEEE10hipError_tPvRmT1_T2_T3_mT4_P12ihipStream_tbEUlT_E0_NS1_11comp_targetILNS1_3genE0ELNS1_11target_archE4294967295ELNS1_3gpuE0ELNS1_3repE0EEENS1_30default_config_static_selectorELNS0_4arch9wavefront6targetE1EEEvSL_.has_dyn_sized_stack, 0
	.set _ZN7rocprim17ROCPRIM_400000_NS6detail17trampoline_kernelINS0_14default_configENS1_22reduce_config_selectorIiEEZNS1_11reduce_implILb1ES3_N6thrust23THRUST_200600_302600_NS11hip_rocprim35transform_pair_of_input_iterators_tIiPlSB_NS8_12not_equal_toIlEEEEPiiNS8_4plusIiEEEE10hipError_tPvRmT1_T2_T3_mT4_P12ihipStream_tbEUlT_E0_NS1_11comp_targetILNS1_3genE0ELNS1_11target_archE4294967295ELNS1_3gpuE0ELNS1_3repE0EEENS1_30default_config_static_selectorELNS0_4arch9wavefront6targetE1EEEvSL_.has_recursion, 0
	.set _ZN7rocprim17ROCPRIM_400000_NS6detail17trampoline_kernelINS0_14default_configENS1_22reduce_config_selectorIiEEZNS1_11reduce_implILb1ES3_N6thrust23THRUST_200600_302600_NS11hip_rocprim35transform_pair_of_input_iterators_tIiPlSB_NS8_12not_equal_toIlEEEEPiiNS8_4plusIiEEEE10hipError_tPvRmT1_T2_T3_mT4_P12ihipStream_tbEUlT_E0_NS1_11comp_targetILNS1_3genE0ELNS1_11target_archE4294967295ELNS1_3gpuE0ELNS1_3repE0EEENS1_30default_config_static_selectorELNS0_4arch9wavefront6targetE1EEEvSL_.has_indirect_call, 0
	.section	.AMDGPU.csdata,"",@progbits
; Kernel info:
; codeLenInByte = 0
; TotalNumSgprs: 4
; NumVgprs: 0
; ScratchSize: 0
; MemoryBound: 0
; FloatMode: 240
; IeeeMode: 1
; LDSByteSize: 0 bytes/workgroup (compile time only)
; SGPRBlocks: 0
; VGPRBlocks: 0
; NumSGPRsForWavesPerEU: 4
; NumVGPRsForWavesPerEU: 1
; Occupancy: 10
; WaveLimiterHint : 0
; COMPUTE_PGM_RSRC2:SCRATCH_EN: 0
; COMPUTE_PGM_RSRC2:USER_SGPR: 6
; COMPUTE_PGM_RSRC2:TRAP_HANDLER: 0
; COMPUTE_PGM_RSRC2:TGID_X_EN: 1
; COMPUTE_PGM_RSRC2:TGID_Y_EN: 0
; COMPUTE_PGM_RSRC2:TGID_Z_EN: 0
; COMPUTE_PGM_RSRC2:TIDIG_COMP_CNT: 0
	.section	.text._ZN7rocprim17ROCPRIM_400000_NS6detail17trampoline_kernelINS0_14default_configENS1_22reduce_config_selectorIiEEZNS1_11reduce_implILb1ES3_N6thrust23THRUST_200600_302600_NS11hip_rocprim35transform_pair_of_input_iterators_tIiPlSB_NS8_12not_equal_toIlEEEEPiiNS8_4plusIiEEEE10hipError_tPvRmT1_T2_T3_mT4_P12ihipStream_tbEUlT_E0_NS1_11comp_targetILNS1_3genE5ELNS1_11target_archE942ELNS1_3gpuE9ELNS1_3repE0EEENS1_30default_config_static_selectorELNS0_4arch9wavefront6targetE1EEEvSL_,"axG",@progbits,_ZN7rocprim17ROCPRIM_400000_NS6detail17trampoline_kernelINS0_14default_configENS1_22reduce_config_selectorIiEEZNS1_11reduce_implILb1ES3_N6thrust23THRUST_200600_302600_NS11hip_rocprim35transform_pair_of_input_iterators_tIiPlSB_NS8_12not_equal_toIlEEEEPiiNS8_4plusIiEEEE10hipError_tPvRmT1_T2_T3_mT4_P12ihipStream_tbEUlT_E0_NS1_11comp_targetILNS1_3genE5ELNS1_11target_archE942ELNS1_3gpuE9ELNS1_3repE0EEENS1_30default_config_static_selectorELNS0_4arch9wavefront6targetE1EEEvSL_,comdat
	.protected	_ZN7rocprim17ROCPRIM_400000_NS6detail17trampoline_kernelINS0_14default_configENS1_22reduce_config_selectorIiEEZNS1_11reduce_implILb1ES3_N6thrust23THRUST_200600_302600_NS11hip_rocprim35transform_pair_of_input_iterators_tIiPlSB_NS8_12not_equal_toIlEEEEPiiNS8_4plusIiEEEE10hipError_tPvRmT1_T2_T3_mT4_P12ihipStream_tbEUlT_E0_NS1_11comp_targetILNS1_3genE5ELNS1_11target_archE942ELNS1_3gpuE9ELNS1_3repE0EEENS1_30default_config_static_selectorELNS0_4arch9wavefront6targetE1EEEvSL_ ; -- Begin function _ZN7rocprim17ROCPRIM_400000_NS6detail17trampoline_kernelINS0_14default_configENS1_22reduce_config_selectorIiEEZNS1_11reduce_implILb1ES3_N6thrust23THRUST_200600_302600_NS11hip_rocprim35transform_pair_of_input_iterators_tIiPlSB_NS8_12not_equal_toIlEEEEPiiNS8_4plusIiEEEE10hipError_tPvRmT1_T2_T3_mT4_P12ihipStream_tbEUlT_E0_NS1_11comp_targetILNS1_3genE5ELNS1_11target_archE942ELNS1_3gpuE9ELNS1_3repE0EEENS1_30default_config_static_selectorELNS0_4arch9wavefront6targetE1EEEvSL_
	.globl	_ZN7rocprim17ROCPRIM_400000_NS6detail17trampoline_kernelINS0_14default_configENS1_22reduce_config_selectorIiEEZNS1_11reduce_implILb1ES3_N6thrust23THRUST_200600_302600_NS11hip_rocprim35transform_pair_of_input_iterators_tIiPlSB_NS8_12not_equal_toIlEEEEPiiNS8_4plusIiEEEE10hipError_tPvRmT1_T2_T3_mT4_P12ihipStream_tbEUlT_E0_NS1_11comp_targetILNS1_3genE5ELNS1_11target_archE942ELNS1_3gpuE9ELNS1_3repE0EEENS1_30default_config_static_selectorELNS0_4arch9wavefront6targetE1EEEvSL_
	.p2align	8
	.type	_ZN7rocprim17ROCPRIM_400000_NS6detail17trampoline_kernelINS0_14default_configENS1_22reduce_config_selectorIiEEZNS1_11reduce_implILb1ES3_N6thrust23THRUST_200600_302600_NS11hip_rocprim35transform_pair_of_input_iterators_tIiPlSB_NS8_12not_equal_toIlEEEEPiiNS8_4plusIiEEEE10hipError_tPvRmT1_T2_T3_mT4_P12ihipStream_tbEUlT_E0_NS1_11comp_targetILNS1_3genE5ELNS1_11target_archE942ELNS1_3gpuE9ELNS1_3repE0EEENS1_30default_config_static_selectorELNS0_4arch9wavefront6targetE1EEEvSL_,@function
_ZN7rocprim17ROCPRIM_400000_NS6detail17trampoline_kernelINS0_14default_configENS1_22reduce_config_selectorIiEEZNS1_11reduce_implILb1ES3_N6thrust23THRUST_200600_302600_NS11hip_rocprim35transform_pair_of_input_iterators_tIiPlSB_NS8_12not_equal_toIlEEEEPiiNS8_4plusIiEEEE10hipError_tPvRmT1_T2_T3_mT4_P12ihipStream_tbEUlT_E0_NS1_11comp_targetILNS1_3genE5ELNS1_11target_archE942ELNS1_3gpuE9ELNS1_3repE0EEENS1_30default_config_static_selectorELNS0_4arch9wavefront6targetE1EEEvSL_: ; @_ZN7rocprim17ROCPRIM_400000_NS6detail17trampoline_kernelINS0_14default_configENS1_22reduce_config_selectorIiEEZNS1_11reduce_implILb1ES3_N6thrust23THRUST_200600_302600_NS11hip_rocprim35transform_pair_of_input_iterators_tIiPlSB_NS8_12not_equal_toIlEEEEPiiNS8_4plusIiEEEE10hipError_tPvRmT1_T2_T3_mT4_P12ihipStream_tbEUlT_E0_NS1_11comp_targetILNS1_3genE5ELNS1_11target_archE942ELNS1_3gpuE9ELNS1_3repE0EEENS1_30default_config_static_selectorELNS0_4arch9wavefront6targetE1EEEvSL_
; %bb.0:
	.section	.rodata,"a",@progbits
	.p2align	6, 0x0
	.amdhsa_kernel _ZN7rocprim17ROCPRIM_400000_NS6detail17trampoline_kernelINS0_14default_configENS1_22reduce_config_selectorIiEEZNS1_11reduce_implILb1ES3_N6thrust23THRUST_200600_302600_NS11hip_rocprim35transform_pair_of_input_iterators_tIiPlSB_NS8_12not_equal_toIlEEEEPiiNS8_4plusIiEEEE10hipError_tPvRmT1_T2_T3_mT4_P12ihipStream_tbEUlT_E0_NS1_11comp_targetILNS1_3genE5ELNS1_11target_archE942ELNS1_3gpuE9ELNS1_3repE0EEENS1_30default_config_static_selectorELNS0_4arch9wavefront6targetE1EEEvSL_
		.amdhsa_group_segment_fixed_size 0
		.amdhsa_private_segment_fixed_size 0
		.amdhsa_kernarg_size 72
		.amdhsa_user_sgpr_count 6
		.amdhsa_user_sgpr_private_segment_buffer 1
		.amdhsa_user_sgpr_dispatch_ptr 0
		.amdhsa_user_sgpr_queue_ptr 0
		.amdhsa_user_sgpr_kernarg_segment_ptr 1
		.amdhsa_user_sgpr_dispatch_id 0
		.amdhsa_user_sgpr_flat_scratch_init 0
		.amdhsa_user_sgpr_private_segment_size 0
		.amdhsa_uses_dynamic_stack 0
		.amdhsa_system_sgpr_private_segment_wavefront_offset 0
		.amdhsa_system_sgpr_workgroup_id_x 1
		.amdhsa_system_sgpr_workgroup_id_y 0
		.amdhsa_system_sgpr_workgroup_id_z 0
		.amdhsa_system_sgpr_workgroup_info 0
		.amdhsa_system_vgpr_workitem_id 0
		.amdhsa_next_free_vgpr 1
		.amdhsa_next_free_sgpr 0
		.amdhsa_reserve_vcc 0
		.amdhsa_reserve_flat_scratch 0
		.amdhsa_float_round_mode_32 0
		.amdhsa_float_round_mode_16_64 0
		.amdhsa_float_denorm_mode_32 3
		.amdhsa_float_denorm_mode_16_64 3
		.amdhsa_dx10_clamp 1
		.amdhsa_ieee_mode 1
		.amdhsa_fp16_overflow 0
		.amdhsa_exception_fp_ieee_invalid_op 0
		.amdhsa_exception_fp_denorm_src 0
		.amdhsa_exception_fp_ieee_div_zero 0
		.amdhsa_exception_fp_ieee_overflow 0
		.amdhsa_exception_fp_ieee_underflow 0
		.amdhsa_exception_fp_ieee_inexact 0
		.amdhsa_exception_int_div_zero 0
	.end_amdhsa_kernel
	.section	.text._ZN7rocprim17ROCPRIM_400000_NS6detail17trampoline_kernelINS0_14default_configENS1_22reduce_config_selectorIiEEZNS1_11reduce_implILb1ES3_N6thrust23THRUST_200600_302600_NS11hip_rocprim35transform_pair_of_input_iterators_tIiPlSB_NS8_12not_equal_toIlEEEEPiiNS8_4plusIiEEEE10hipError_tPvRmT1_T2_T3_mT4_P12ihipStream_tbEUlT_E0_NS1_11comp_targetILNS1_3genE5ELNS1_11target_archE942ELNS1_3gpuE9ELNS1_3repE0EEENS1_30default_config_static_selectorELNS0_4arch9wavefront6targetE1EEEvSL_,"axG",@progbits,_ZN7rocprim17ROCPRIM_400000_NS6detail17trampoline_kernelINS0_14default_configENS1_22reduce_config_selectorIiEEZNS1_11reduce_implILb1ES3_N6thrust23THRUST_200600_302600_NS11hip_rocprim35transform_pair_of_input_iterators_tIiPlSB_NS8_12not_equal_toIlEEEEPiiNS8_4plusIiEEEE10hipError_tPvRmT1_T2_T3_mT4_P12ihipStream_tbEUlT_E0_NS1_11comp_targetILNS1_3genE5ELNS1_11target_archE942ELNS1_3gpuE9ELNS1_3repE0EEENS1_30default_config_static_selectorELNS0_4arch9wavefront6targetE1EEEvSL_,comdat
.Lfunc_end1187:
	.size	_ZN7rocprim17ROCPRIM_400000_NS6detail17trampoline_kernelINS0_14default_configENS1_22reduce_config_selectorIiEEZNS1_11reduce_implILb1ES3_N6thrust23THRUST_200600_302600_NS11hip_rocprim35transform_pair_of_input_iterators_tIiPlSB_NS8_12not_equal_toIlEEEEPiiNS8_4plusIiEEEE10hipError_tPvRmT1_T2_T3_mT4_P12ihipStream_tbEUlT_E0_NS1_11comp_targetILNS1_3genE5ELNS1_11target_archE942ELNS1_3gpuE9ELNS1_3repE0EEENS1_30default_config_static_selectorELNS0_4arch9wavefront6targetE1EEEvSL_, .Lfunc_end1187-_ZN7rocprim17ROCPRIM_400000_NS6detail17trampoline_kernelINS0_14default_configENS1_22reduce_config_selectorIiEEZNS1_11reduce_implILb1ES3_N6thrust23THRUST_200600_302600_NS11hip_rocprim35transform_pair_of_input_iterators_tIiPlSB_NS8_12not_equal_toIlEEEEPiiNS8_4plusIiEEEE10hipError_tPvRmT1_T2_T3_mT4_P12ihipStream_tbEUlT_E0_NS1_11comp_targetILNS1_3genE5ELNS1_11target_archE942ELNS1_3gpuE9ELNS1_3repE0EEENS1_30default_config_static_selectorELNS0_4arch9wavefront6targetE1EEEvSL_
                                        ; -- End function
	.set _ZN7rocprim17ROCPRIM_400000_NS6detail17trampoline_kernelINS0_14default_configENS1_22reduce_config_selectorIiEEZNS1_11reduce_implILb1ES3_N6thrust23THRUST_200600_302600_NS11hip_rocprim35transform_pair_of_input_iterators_tIiPlSB_NS8_12not_equal_toIlEEEEPiiNS8_4plusIiEEEE10hipError_tPvRmT1_T2_T3_mT4_P12ihipStream_tbEUlT_E0_NS1_11comp_targetILNS1_3genE5ELNS1_11target_archE942ELNS1_3gpuE9ELNS1_3repE0EEENS1_30default_config_static_selectorELNS0_4arch9wavefront6targetE1EEEvSL_.num_vgpr, 0
	.set _ZN7rocprim17ROCPRIM_400000_NS6detail17trampoline_kernelINS0_14default_configENS1_22reduce_config_selectorIiEEZNS1_11reduce_implILb1ES3_N6thrust23THRUST_200600_302600_NS11hip_rocprim35transform_pair_of_input_iterators_tIiPlSB_NS8_12not_equal_toIlEEEEPiiNS8_4plusIiEEEE10hipError_tPvRmT1_T2_T3_mT4_P12ihipStream_tbEUlT_E0_NS1_11comp_targetILNS1_3genE5ELNS1_11target_archE942ELNS1_3gpuE9ELNS1_3repE0EEENS1_30default_config_static_selectorELNS0_4arch9wavefront6targetE1EEEvSL_.num_agpr, 0
	.set _ZN7rocprim17ROCPRIM_400000_NS6detail17trampoline_kernelINS0_14default_configENS1_22reduce_config_selectorIiEEZNS1_11reduce_implILb1ES3_N6thrust23THRUST_200600_302600_NS11hip_rocprim35transform_pair_of_input_iterators_tIiPlSB_NS8_12not_equal_toIlEEEEPiiNS8_4plusIiEEEE10hipError_tPvRmT1_T2_T3_mT4_P12ihipStream_tbEUlT_E0_NS1_11comp_targetILNS1_3genE5ELNS1_11target_archE942ELNS1_3gpuE9ELNS1_3repE0EEENS1_30default_config_static_selectorELNS0_4arch9wavefront6targetE1EEEvSL_.numbered_sgpr, 0
	.set _ZN7rocprim17ROCPRIM_400000_NS6detail17trampoline_kernelINS0_14default_configENS1_22reduce_config_selectorIiEEZNS1_11reduce_implILb1ES3_N6thrust23THRUST_200600_302600_NS11hip_rocprim35transform_pair_of_input_iterators_tIiPlSB_NS8_12not_equal_toIlEEEEPiiNS8_4plusIiEEEE10hipError_tPvRmT1_T2_T3_mT4_P12ihipStream_tbEUlT_E0_NS1_11comp_targetILNS1_3genE5ELNS1_11target_archE942ELNS1_3gpuE9ELNS1_3repE0EEENS1_30default_config_static_selectorELNS0_4arch9wavefront6targetE1EEEvSL_.num_named_barrier, 0
	.set _ZN7rocprim17ROCPRIM_400000_NS6detail17trampoline_kernelINS0_14default_configENS1_22reduce_config_selectorIiEEZNS1_11reduce_implILb1ES3_N6thrust23THRUST_200600_302600_NS11hip_rocprim35transform_pair_of_input_iterators_tIiPlSB_NS8_12not_equal_toIlEEEEPiiNS8_4plusIiEEEE10hipError_tPvRmT1_T2_T3_mT4_P12ihipStream_tbEUlT_E0_NS1_11comp_targetILNS1_3genE5ELNS1_11target_archE942ELNS1_3gpuE9ELNS1_3repE0EEENS1_30default_config_static_selectorELNS0_4arch9wavefront6targetE1EEEvSL_.private_seg_size, 0
	.set _ZN7rocprim17ROCPRIM_400000_NS6detail17trampoline_kernelINS0_14default_configENS1_22reduce_config_selectorIiEEZNS1_11reduce_implILb1ES3_N6thrust23THRUST_200600_302600_NS11hip_rocprim35transform_pair_of_input_iterators_tIiPlSB_NS8_12not_equal_toIlEEEEPiiNS8_4plusIiEEEE10hipError_tPvRmT1_T2_T3_mT4_P12ihipStream_tbEUlT_E0_NS1_11comp_targetILNS1_3genE5ELNS1_11target_archE942ELNS1_3gpuE9ELNS1_3repE0EEENS1_30default_config_static_selectorELNS0_4arch9wavefront6targetE1EEEvSL_.uses_vcc, 0
	.set _ZN7rocprim17ROCPRIM_400000_NS6detail17trampoline_kernelINS0_14default_configENS1_22reduce_config_selectorIiEEZNS1_11reduce_implILb1ES3_N6thrust23THRUST_200600_302600_NS11hip_rocprim35transform_pair_of_input_iterators_tIiPlSB_NS8_12not_equal_toIlEEEEPiiNS8_4plusIiEEEE10hipError_tPvRmT1_T2_T3_mT4_P12ihipStream_tbEUlT_E0_NS1_11comp_targetILNS1_3genE5ELNS1_11target_archE942ELNS1_3gpuE9ELNS1_3repE0EEENS1_30default_config_static_selectorELNS0_4arch9wavefront6targetE1EEEvSL_.uses_flat_scratch, 0
	.set _ZN7rocprim17ROCPRIM_400000_NS6detail17trampoline_kernelINS0_14default_configENS1_22reduce_config_selectorIiEEZNS1_11reduce_implILb1ES3_N6thrust23THRUST_200600_302600_NS11hip_rocprim35transform_pair_of_input_iterators_tIiPlSB_NS8_12not_equal_toIlEEEEPiiNS8_4plusIiEEEE10hipError_tPvRmT1_T2_T3_mT4_P12ihipStream_tbEUlT_E0_NS1_11comp_targetILNS1_3genE5ELNS1_11target_archE942ELNS1_3gpuE9ELNS1_3repE0EEENS1_30default_config_static_selectorELNS0_4arch9wavefront6targetE1EEEvSL_.has_dyn_sized_stack, 0
	.set _ZN7rocprim17ROCPRIM_400000_NS6detail17trampoline_kernelINS0_14default_configENS1_22reduce_config_selectorIiEEZNS1_11reduce_implILb1ES3_N6thrust23THRUST_200600_302600_NS11hip_rocprim35transform_pair_of_input_iterators_tIiPlSB_NS8_12not_equal_toIlEEEEPiiNS8_4plusIiEEEE10hipError_tPvRmT1_T2_T3_mT4_P12ihipStream_tbEUlT_E0_NS1_11comp_targetILNS1_3genE5ELNS1_11target_archE942ELNS1_3gpuE9ELNS1_3repE0EEENS1_30default_config_static_selectorELNS0_4arch9wavefront6targetE1EEEvSL_.has_recursion, 0
	.set _ZN7rocprim17ROCPRIM_400000_NS6detail17trampoline_kernelINS0_14default_configENS1_22reduce_config_selectorIiEEZNS1_11reduce_implILb1ES3_N6thrust23THRUST_200600_302600_NS11hip_rocprim35transform_pair_of_input_iterators_tIiPlSB_NS8_12not_equal_toIlEEEEPiiNS8_4plusIiEEEE10hipError_tPvRmT1_T2_T3_mT4_P12ihipStream_tbEUlT_E0_NS1_11comp_targetILNS1_3genE5ELNS1_11target_archE942ELNS1_3gpuE9ELNS1_3repE0EEENS1_30default_config_static_selectorELNS0_4arch9wavefront6targetE1EEEvSL_.has_indirect_call, 0
	.section	.AMDGPU.csdata,"",@progbits
; Kernel info:
; codeLenInByte = 0
; TotalNumSgprs: 4
; NumVgprs: 0
; ScratchSize: 0
; MemoryBound: 0
; FloatMode: 240
; IeeeMode: 1
; LDSByteSize: 0 bytes/workgroup (compile time only)
; SGPRBlocks: 0
; VGPRBlocks: 0
; NumSGPRsForWavesPerEU: 4
; NumVGPRsForWavesPerEU: 1
; Occupancy: 10
; WaveLimiterHint : 0
; COMPUTE_PGM_RSRC2:SCRATCH_EN: 0
; COMPUTE_PGM_RSRC2:USER_SGPR: 6
; COMPUTE_PGM_RSRC2:TRAP_HANDLER: 0
; COMPUTE_PGM_RSRC2:TGID_X_EN: 1
; COMPUTE_PGM_RSRC2:TGID_Y_EN: 0
; COMPUTE_PGM_RSRC2:TGID_Z_EN: 0
; COMPUTE_PGM_RSRC2:TIDIG_COMP_CNT: 0
	.section	.text._ZN7rocprim17ROCPRIM_400000_NS6detail17trampoline_kernelINS0_14default_configENS1_22reduce_config_selectorIiEEZNS1_11reduce_implILb1ES3_N6thrust23THRUST_200600_302600_NS11hip_rocprim35transform_pair_of_input_iterators_tIiPlSB_NS8_12not_equal_toIlEEEEPiiNS8_4plusIiEEEE10hipError_tPvRmT1_T2_T3_mT4_P12ihipStream_tbEUlT_E0_NS1_11comp_targetILNS1_3genE4ELNS1_11target_archE910ELNS1_3gpuE8ELNS1_3repE0EEENS1_30default_config_static_selectorELNS0_4arch9wavefront6targetE1EEEvSL_,"axG",@progbits,_ZN7rocprim17ROCPRIM_400000_NS6detail17trampoline_kernelINS0_14default_configENS1_22reduce_config_selectorIiEEZNS1_11reduce_implILb1ES3_N6thrust23THRUST_200600_302600_NS11hip_rocprim35transform_pair_of_input_iterators_tIiPlSB_NS8_12not_equal_toIlEEEEPiiNS8_4plusIiEEEE10hipError_tPvRmT1_T2_T3_mT4_P12ihipStream_tbEUlT_E0_NS1_11comp_targetILNS1_3genE4ELNS1_11target_archE910ELNS1_3gpuE8ELNS1_3repE0EEENS1_30default_config_static_selectorELNS0_4arch9wavefront6targetE1EEEvSL_,comdat
	.protected	_ZN7rocprim17ROCPRIM_400000_NS6detail17trampoline_kernelINS0_14default_configENS1_22reduce_config_selectorIiEEZNS1_11reduce_implILb1ES3_N6thrust23THRUST_200600_302600_NS11hip_rocprim35transform_pair_of_input_iterators_tIiPlSB_NS8_12not_equal_toIlEEEEPiiNS8_4plusIiEEEE10hipError_tPvRmT1_T2_T3_mT4_P12ihipStream_tbEUlT_E0_NS1_11comp_targetILNS1_3genE4ELNS1_11target_archE910ELNS1_3gpuE8ELNS1_3repE0EEENS1_30default_config_static_selectorELNS0_4arch9wavefront6targetE1EEEvSL_ ; -- Begin function _ZN7rocprim17ROCPRIM_400000_NS6detail17trampoline_kernelINS0_14default_configENS1_22reduce_config_selectorIiEEZNS1_11reduce_implILb1ES3_N6thrust23THRUST_200600_302600_NS11hip_rocprim35transform_pair_of_input_iterators_tIiPlSB_NS8_12not_equal_toIlEEEEPiiNS8_4plusIiEEEE10hipError_tPvRmT1_T2_T3_mT4_P12ihipStream_tbEUlT_E0_NS1_11comp_targetILNS1_3genE4ELNS1_11target_archE910ELNS1_3gpuE8ELNS1_3repE0EEENS1_30default_config_static_selectorELNS0_4arch9wavefront6targetE1EEEvSL_
	.globl	_ZN7rocprim17ROCPRIM_400000_NS6detail17trampoline_kernelINS0_14default_configENS1_22reduce_config_selectorIiEEZNS1_11reduce_implILb1ES3_N6thrust23THRUST_200600_302600_NS11hip_rocprim35transform_pair_of_input_iterators_tIiPlSB_NS8_12not_equal_toIlEEEEPiiNS8_4plusIiEEEE10hipError_tPvRmT1_T2_T3_mT4_P12ihipStream_tbEUlT_E0_NS1_11comp_targetILNS1_3genE4ELNS1_11target_archE910ELNS1_3gpuE8ELNS1_3repE0EEENS1_30default_config_static_selectorELNS0_4arch9wavefront6targetE1EEEvSL_
	.p2align	8
	.type	_ZN7rocprim17ROCPRIM_400000_NS6detail17trampoline_kernelINS0_14default_configENS1_22reduce_config_selectorIiEEZNS1_11reduce_implILb1ES3_N6thrust23THRUST_200600_302600_NS11hip_rocprim35transform_pair_of_input_iterators_tIiPlSB_NS8_12not_equal_toIlEEEEPiiNS8_4plusIiEEEE10hipError_tPvRmT1_T2_T3_mT4_P12ihipStream_tbEUlT_E0_NS1_11comp_targetILNS1_3genE4ELNS1_11target_archE910ELNS1_3gpuE8ELNS1_3repE0EEENS1_30default_config_static_selectorELNS0_4arch9wavefront6targetE1EEEvSL_,@function
_ZN7rocprim17ROCPRIM_400000_NS6detail17trampoline_kernelINS0_14default_configENS1_22reduce_config_selectorIiEEZNS1_11reduce_implILb1ES3_N6thrust23THRUST_200600_302600_NS11hip_rocprim35transform_pair_of_input_iterators_tIiPlSB_NS8_12not_equal_toIlEEEEPiiNS8_4plusIiEEEE10hipError_tPvRmT1_T2_T3_mT4_P12ihipStream_tbEUlT_E0_NS1_11comp_targetILNS1_3genE4ELNS1_11target_archE910ELNS1_3gpuE8ELNS1_3repE0EEENS1_30default_config_static_selectorELNS0_4arch9wavefront6targetE1EEEvSL_: ; @_ZN7rocprim17ROCPRIM_400000_NS6detail17trampoline_kernelINS0_14default_configENS1_22reduce_config_selectorIiEEZNS1_11reduce_implILb1ES3_N6thrust23THRUST_200600_302600_NS11hip_rocprim35transform_pair_of_input_iterators_tIiPlSB_NS8_12not_equal_toIlEEEEPiiNS8_4plusIiEEEE10hipError_tPvRmT1_T2_T3_mT4_P12ihipStream_tbEUlT_E0_NS1_11comp_targetILNS1_3genE4ELNS1_11target_archE910ELNS1_3gpuE8ELNS1_3repE0EEENS1_30default_config_static_selectorELNS0_4arch9wavefront6targetE1EEEvSL_
; %bb.0:
	.section	.rodata,"a",@progbits
	.p2align	6, 0x0
	.amdhsa_kernel _ZN7rocprim17ROCPRIM_400000_NS6detail17trampoline_kernelINS0_14default_configENS1_22reduce_config_selectorIiEEZNS1_11reduce_implILb1ES3_N6thrust23THRUST_200600_302600_NS11hip_rocprim35transform_pair_of_input_iterators_tIiPlSB_NS8_12not_equal_toIlEEEEPiiNS8_4plusIiEEEE10hipError_tPvRmT1_T2_T3_mT4_P12ihipStream_tbEUlT_E0_NS1_11comp_targetILNS1_3genE4ELNS1_11target_archE910ELNS1_3gpuE8ELNS1_3repE0EEENS1_30default_config_static_selectorELNS0_4arch9wavefront6targetE1EEEvSL_
		.amdhsa_group_segment_fixed_size 0
		.amdhsa_private_segment_fixed_size 0
		.amdhsa_kernarg_size 72
		.amdhsa_user_sgpr_count 6
		.amdhsa_user_sgpr_private_segment_buffer 1
		.amdhsa_user_sgpr_dispatch_ptr 0
		.amdhsa_user_sgpr_queue_ptr 0
		.amdhsa_user_sgpr_kernarg_segment_ptr 1
		.amdhsa_user_sgpr_dispatch_id 0
		.amdhsa_user_sgpr_flat_scratch_init 0
		.amdhsa_user_sgpr_private_segment_size 0
		.amdhsa_uses_dynamic_stack 0
		.amdhsa_system_sgpr_private_segment_wavefront_offset 0
		.amdhsa_system_sgpr_workgroup_id_x 1
		.amdhsa_system_sgpr_workgroup_id_y 0
		.amdhsa_system_sgpr_workgroup_id_z 0
		.amdhsa_system_sgpr_workgroup_info 0
		.amdhsa_system_vgpr_workitem_id 0
		.amdhsa_next_free_vgpr 1
		.amdhsa_next_free_sgpr 0
		.amdhsa_reserve_vcc 0
		.amdhsa_reserve_flat_scratch 0
		.amdhsa_float_round_mode_32 0
		.amdhsa_float_round_mode_16_64 0
		.amdhsa_float_denorm_mode_32 3
		.amdhsa_float_denorm_mode_16_64 3
		.amdhsa_dx10_clamp 1
		.amdhsa_ieee_mode 1
		.amdhsa_fp16_overflow 0
		.amdhsa_exception_fp_ieee_invalid_op 0
		.amdhsa_exception_fp_denorm_src 0
		.amdhsa_exception_fp_ieee_div_zero 0
		.amdhsa_exception_fp_ieee_overflow 0
		.amdhsa_exception_fp_ieee_underflow 0
		.amdhsa_exception_fp_ieee_inexact 0
		.amdhsa_exception_int_div_zero 0
	.end_amdhsa_kernel
	.section	.text._ZN7rocprim17ROCPRIM_400000_NS6detail17trampoline_kernelINS0_14default_configENS1_22reduce_config_selectorIiEEZNS1_11reduce_implILb1ES3_N6thrust23THRUST_200600_302600_NS11hip_rocprim35transform_pair_of_input_iterators_tIiPlSB_NS8_12not_equal_toIlEEEEPiiNS8_4plusIiEEEE10hipError_tPvRmT1_T2_T3_mT4_P12ihipStream_tbEUlT_E0_NS1_11comp_targetILNS1_3genE4ELNS1_11target_archE910ELNS1_3gpuE8ELNS1_3repE0EEENS1_30default_config_static_selectorELNS0_4arch9wavefront6targetE1EEEvSL_,"axG",@progbits,_ZN7rocprim17ROCPRIM_400000_NS6detail17trampoline_kernelINS0_14default_configENS1_22reduce_config_selectorIiEEZNS1_11reduce_implILb1ES3_N6thrust23THRUST_200600_302600_NS11hip_rocprim35transform_pair_of_input_iterators_tIiPlSB_NS8_12not_equal_toIlEEEEPiiNS8_4plusIiEEEE10hipError_tPvRmT1_T2_T3_mT4_P12ihipStream_tbEUlT_E0_NS1_11comp_targetILNS1_3genE4ELNS1_11target_archE910ELNS1_3gpuE8ELNS1_3repE0EEENS1_30default_config_static_selectorELNS0_4arch9wavefront6targetE1EEEvSL_,comdat
.Lfunc_end1188:
	.size	_ZN7rocprim17ROCPRIM_400000_NS6detail17trampoline_kernelINS0_14default_configENS1_22reduce_config_selectorIiEEZNS1_11reduce_implILb1ES3_N6thrust23THRUST_200600_302600_NS11hip_rocprim35transform_pair_of_input_iterators_tIiPlSB_NS8_12not_equal_toIlEEEEPiiNS8_4plusIiEEEE10hipError_tPvRmT1_T2_T3_mT4_P12ihipStream_tbEUlT_E0_NS1_11comp_targetILNS1_3genE4ELNS1_11target_archE910ELNS1_3gpuE8ELNS1_3repE0EEENS1_30default_config_static_selectorELNS0_4arch9wavefront6targetE1EEEvSL_, .Lfunc_end1188-_ZN7rocprim17ROCPRIM_400000_NS6detail17trampoline_kernelINS0_14default_configENS1_22reduce_config_selectorIiEEZNS1_11reduce_implILb1ES3_N6thrust23THRUST_200600_302600_NS11hip_rocprim35transform_pair_of_input_iterators_tIiPlSB_NS8_12not_equal_toIlEEEEPiiNS8_4plusIiEEEE10hipError_tPvRmT1_T2_T3_mT4_P12ihipStream_tbEUlT_E0_NS1_11comp_targetILNS1_3genE4ELNS1_11target_archE910ELNS1_3gpuE8ELNS1_3repE0EEENS1_30default_config_static_selectorELNS0_4arch9wavefront6targetE1EEEvSL_
                                        ; -- End function
	.set _ZN7rocprim17ROCPRIM_400000_NS6detail17trampoline_kernelINS0_14default_configENS1_22reduce_config_selectorIiEEZNS1_11reduce_implILb1ES3_N6thrust23THRUST_200600_302600_NS11hip_rocprim35transform_pair_of_input_iterators_tIiPlSB_NS8_12not_equal_toIlEEEEPiiNS8_4plusIiEEEE10hipError_tPvRmT1_T2_T3_mT4_P12ihipStream_tbEUlT_E0_NS1_11comp_targetILNS1_3genE4ELNS1_11target_archE910ELNS1_3gpuE8ELNS1_3repE0EEENS1_30default_config_static_selectorELNS0_4arch9wavefront6targetE1EEEvSL_.num_vgpr, 0
	.set _ZN7rocprim17ROCPRIM_400000_NS6detail17trampoline_kernelINS0_14default_configENS1_22reduce_config_selectorIiEEZNS1_11reduce_implILb1ES3_N6thrust23THRUST_200600_302600_NS11hip_rocprim35transform_pair_of_input_iterators_tIiPlSB_NS8_12not_equal_toIlEEEEPiiNS8_4plusIiEEEE10hipError_tPvRmT1_T2_T3_mT4_P12ihipStream_tbEUlT_E0_NS1_11comp_targetILNS1_3genE4ELNS1_11target_archE910ELNS1_3gpuE8ELNS1_3repE0EEENS1_30default_config_static_selectorELNS0_4arch9wavefront6targetE1EEEvSL_.num_agpr, 0
	.set _ZN7rocprim17ROCPRIM_400000_NS6detail17trampoline_kernelINS0_14default_configENS1_22reduce_config_selectorIiEEZNS1_11reduce_implILb1ES3_N6thrust23THRUST_200600_302600_NS11hip_rocprim35transform_pair_of_input_iterators_tIiPlSB_NS8_12not_equal_toIlEEEEPiiNS8_4plusIiEEEE10hipError_tPvRmT1_T2_T3_mT4_P12ihipStream_tbEUlT_E0_NS1_11comp_targetILNS1_3genE4ELNS1_11target_archE910ELNS1_3gpuE8ELNS1_3repE0EEENS1_30default_config_static_selectorELNS0_4arch9wavefront6targetE1EEEvSL_.numbered_sgpr, 0
	.set _ZN7rocprim17ROCPRIM_400000_NS6detail17trampoline_kernelINS0_14default_configENS1_22reduce_config_selectorIiEEZNS1_11reduce_implILb1ES3_N6thrust23THRUST_200600_302600_NS11hip_rocprim35transform_pair_of_input_iterators_tIiPlSB_NS8_12not_equal_toIlEEEEPiiNS8_4plusIiEEEE10hipError_tPvRmT1_T2_T3_mT4_P12ihipStream_tbEUlT_E0_NS1_11comp_targetILNS1_3genE4ELNS1_11target_archE910ELNS1_3gpuE8ELNS1_3repE0EEENS1_30default_config_static_selectorELNS0_4arch9wavefront6targetE1EEEvSL_.num_named_barrier, 0
	.set _ZN7rocprim17ROCPRIM_400000_NS6detail17trampoline_kernelINS0_14default_configENS1_22reduce_config_selectorIiEEZNS1_11reduce_implILb1ES3_N6thrust23THRUST_200600_302600_NS11hip_rocprim35transform_pair_of_input_iterators_tIiPlSB_NS8_12not_equal_toIlEEEEPiiNS8_4plusIiEEEE10hipError_tPvRmT1_T2_T3_mT4_P12ihipStream_tbEUlT_E0_NS1_11comp_targetILNS1_3genE4ELNS1_11target_archE910ELNS1_3gpuE8ELNS1_3repE0EEENS1_30default_config_static_selectorELNS0_4arch9wavefront6targetE1EEEvSL_.private_seg_size, 0
	.set _ZN7rocprim17ROCPRIM_400000_NS6detail17trampoline_kernelINS0_14default_configENS1_22reduce_config_selectorIiEEZNS1_11reduce_implILb1ES3_N6thrust23THRUST_200600_302600_NS11hip_rocprim35transform_pair_of_input_iterators_tIiPlSB_NS8_12not_equal_toIlEEEEPiiNS8_4plusIiEEEE10hipError_tPvRmT1_T2_T3_mT4_P12ihipStream_tbEUlT_E0_NS1_11comp_targetILNS1_3genE4ELNS1_11target_archE910ELNS1_3gpuE8ELNS1_3repE0EEENS1_30default_config_static_selectorELNS0_4arch9wavefront6targetE1EEEvSL_.uses_vcc, 0
	.set _ZN7rocprim17ROCPRIM_400000_NS6detail17trampoline_kernelINS0_14default_configENS1_22reduce_config_selectorIiEEZNS1_11reduce_implILb1ES3_N6thrust23THRUST_200600_302600_NS11hip_rocprim35transform_pair_of_input_iterators_tIiPlSB_NS8_12not_equal_toIlEEEEPiiNS8_4plusIiEEEE10hipError_tPvRmT1_T2_T3_mT4_P12ihipStream_tbEUlT_E0_NS1_11comp_targetILNS1_3genE4ELNS1_11target_archE910ELNS1_3gpuE8ELNS1_3repE0EEENS1_30default_config_static_selectorELNS0_4arch9wavefront6targetE1EEEvSL_.uses_flat_scratch, 0
	.set _ZN7rocprim17ROCPRIM_400000_NS6detail17trampoline_kernelINS0_14default_configENS1_22reduce_config_selectorIiEEZNS1_11reduce_implILb1ES3_N6thrust23THRUST_200600_302600_NS11hip_rocprim35transform_pair_of_input_iterators_tIiPlSB_NS8_12not_equal_toIlEEEEPiiNS8_4plusIiEEEE10hipError_tPvRmT1_T2_T3_mT4_P12ihipStream_tbEUlT_E0_NS1_11comp_targetILNS1_3genE4ELNS1_11target_archE910ELNS1_3gpuE8ELNS1_3repE0EEENS1_30default_config_static_selectorELNS0_4arch9wavefront6targetE1EEEvSL_.has_dyn_sized_stack, 0
	.set _ZN7rocprim17ROCPRIM_400000_NS6detail17trampoline_kernelINS0_14default_configENS1_22reduce_config_selectorIiEEZNS1_11reduce_implILb1ES3_N6thrust23THRUST_200600_302600_NS11hip_rocprim35transform_pair_of_input_iterators_tIiPlSB_NS8_12not_equal_toIlEEEEPiiNS8_4plusIiEEEE10hipError_tPvRmT1_T2_T3_mT4_P12ihipStream_tbEUlT_E0_NS1_11comp_targetILNS1_3genE4ELNS1_11target_archE910ELNS1_3gpuE8ELNS1_3repE0EEENS1_30default_config_static_selectorELNS0_4arch9wavefront6targetE1EEEvSL_.has_recursion, 0
	.set _ZN7rocprim17ROCPRIM_400000_NS6detail17trampoline_kernelINS0_14default_configENS1_22reduce_config_selectorIiEEZNS1_11reduce_implILb1ES3_N6thrust23THRUST_200600_302600_NS11hip_rocprim35transform_pair_of_input_iterators_tIiPlSB_NS8_12not_equal_toIlEEEEPiiNS8_4plusIiEEEE10hipError_tPvRmT1_T2_T3_mT4_P12ihipStream_tbEUlT_E0_NS1_11comp_targetILNS1_3genE4ELNS1_11target_archE910ELNS1_3gpuE8ELNS1_3repE0EEENS1_30default_config_static_selectorELNS0_4arch9wavefront6targetE1EEEvSL_.has_indirect_call, 0
	.section	.AMDGPU.csdata,"",@progbits
; Kernel info:
; codeLenInByte = 0
; TotalNumSgprs: 4
; NumVgprs: 0
; ScratchSize: 0
; MemoryBound: 0
; FloatMode: 240
; IeeeMode: 1
; LDSByteSize: 0 bytes/workgroup (compile time only)
; SGPRBlocks: 0
; VGPRBlocks: 0
; NumSGPRsForWavesPerEU: 4
; NumVGPRsForWavesPerEU: 1
; Occupancy: 10
; WaveLimiterHint : 0
; COMPUTE_PGM_RSRC2:SCRATCH_EN: 0
; COMPUTE_PGM_RSRC2:USER_SGPR: 6
; COMPUTE_PGM_RSRC2:TRAP_HANDLER: 0
; COMPUTE_PGM_RSRC2:TGID_X_EN: 1
; COMPUTE_PGM_RSRC2:TGID_Y_EN: 0
; COMPUTE_PGM_RSRC2:TGID_Z_EN: 0
; COMPUTE_PGM_RSRC2:TIDIG_COMP_CNT: 0
	.section	.text._ZN7rocprim17ROCPRIM_400000_NS6detail17trampoline_kernelINS0_14default_configENS1_22reduce_config_selectorIiEEZNS1_11reduce_implILb1ES3_N6thrust23THRUST_200600_302600_NS11hip_rocprim35transform_pair_of_input_iterators_tIiPlSB_NS8_12not_equal_toIlEEEEPiiNS8_4plusIiEEEE10hipError_tPvRmT1_T2_T3_mT4_P12ihipStream_tbEUlT_E0_NS1_11comp_targetILNS1_3genE3ELNS1_11target_archE908ELNS1_3gpuE7ELNS1_3repE0EEENS1_30default_config_static_selectorELNS0_4arch9wavefront6targetE1EEEvSL_,"axG",@progbits,_ZN7rocprim17ROCPRIM_400000_NS6detail17trampoline_kernelINS0_14default_configENS1_22reduce_config_selectorIiEEZNS1_11reduce_implILb1ES3_N6thrust23THRUST_200600_302600_NS11hip_rocprim35transform_pair_of_input_iterators_tIiPlSB_NS8_12not_equal_toIlEEEEPiiNS8_4plusIiEEEE10hipError_tPvRmT1_T2_T3_mT4_P12ihipStream_tbEUlT_E0_NS1_11comp_targetILNS1_3genE3ELNS1_11target_archE908ELNS1_3gpuE7ELNS1_3repE0EEENS1_30default_config_static_selectorELNS0_4arch9wavefront6targetE1EEEvSL_,comdat
	.protected	_ZN7rocprim17ROCPRIM_400000_NS6detail17trampoline_kernelINS0_14default_configENS1_22reduce_config_selectorIiEEZNS1_11reduce_implILb1ES3_N6thrust23THRUST_200600_302600_NS11hip_rocprim35transform_pair_of_input_iterators_tIiPlSB_NS8_12not_equal_toIlEEEEPiiNS8_4plusIiEEEE10hipError_tPvRmT1_T2_T3_mT4_P12ihipStream_tbEUlT_E0_NS1_11comp_targetILNS1_3genE3ELNS1_11target_archE908ELNS1_3gpuE7ELNS1_3repE0EEENS1_30default_config_static_selectorELNS0_4arch9wavefront6targetE1EEEvSL_ ; -- Begin function _ZN7rocprim17ROCPRIM_400000_NS6detail17trampoline_kernelINS0_14default_configENS1_22reduce_config_selectorIiEEZNS1_11reduce_implILb1ES3_N6thrust23THRUST_200600_302600_NS11hip_rocprim35transform_pair_of_input_iterators_tIiPlSB_NS8_12not_equal_toIlEEEEPiiNS8_4plusIiEEEE10hipError_tPvRmT1_T2_T3_mT4_P12ihipStream_tbEUlT_E0_NS1_11comp_targetILNS1_3genE3ELNS1_11target_archE908ELNS1_3gpuE7ELNS1_3repE0EEENS1_30default_config_static_selectorELNS0_4arch9wavefront6targetE1EEEvSL_
	.globl	_ZN7rocprim17ROCPRIM_400000_NS6detail17trampoline_kernelINS0_14default_configENS1_22reduce_config_selectorIiEEZNS1_11reduce_implILb1ES3_N6thrust23THRUST_200600_302600_NS11hip_rocprim35transform_pair_of_input_iterators_tIiPlSB_NS8_12not_equal_toIlEEEEPiiNS8_4plusIiEEEE10hipError_tPvRmT1_T2_T3_mT4_P12ihipStream_tbEUlT_E0_NS1_11comp_targetILNS1_3genE3ELNS1_11target_archE908ELNS1_3gpuE7ELNS1_3repE0EEENS1_30default_config_static_selectorELNS0_4arch9wavefront6targetE1EEEvSL_
	.p2align	8
	.type	_ZN7rocprim17ROCPRIM_400000_NS6detail17trampoline_kernelINS0_14default_configENS1_22reduce_config_selectorIiEEZNS1_11reduce_implILb1ES3_N6thrust23THRUST_200600_302600_NS11hip_rocprim35transform_pair_of_input_iterators_tIiPlSB_NS8_12not_equal_toIlEEEEPiiNS8_4plusIiEEEE10hipError_tPvRmT1_T2_T3_mT4_P12ihipStream_tbEUlT_E0_NS1_11comp_targetILNS1_3genE3ELNS1_11target_archE908ELNS1_3gpuE7ELNS1_3repE0EEENS1_30default_config_static_selectorELNS0_4arch9wavefront6targetE1EEEvSL_,@function
_ZN7rocprim17ROCPRIM_400000_NS6detail17trampoline_kernelINS0_14default_configENS1_22reduce_config_selectorIiEEZNS1_11reduce_implILb1ES3_N6thrust23THRUST_200600_302600_NS11hip_rocprim35transform_pair_of_input_iterators_tIiPlSB_NS8_12not_equal_toIlEEEEPiiNS8_4plusIiEEEE10hipError_tPvRmT1_T2_T3_mT4_P12ihipStream_tbEUlT_E0_NS1_11comp_targetILNS1_3genE3ELNS1_11target_archE908ELNS1_3gpuE7ELNS1_3repE0EEENS1_30default_config_static_selectorELNS0_4arch9wavefront6targetE1EEEvSL_: ; @_ZN7rocprim17ROCPRIM_400000_NS6detail17trampoline_kernelINS0_14default_configENS1_22reduce_config_selectorIiEEZNS1_11reduce_implILb1ES3_N6thrust23THRUST_200600_302600_NS11hip_rocprim35transform_pair_of_input_iterators_tIiPlSB_NS8_12not_equal_toIlEEEEPiiNS8_4plusIiEEEE10hipError_tPvRmT1_T2_T3_mT4_P12ihipStream_tbEUlT_E0_NS1_11comp_targetILNS1_3genE3ELNS1_11target_archE908ELNS1_3gpuE7ELNS1_3repE0EEENS1_30default_config_static_selectorELNS0_4arch9wavefront6targetE1EEEvSL_
; %bb.0:
	.section	.rodata,"a",@progbits
	.p2align	6, 0x0
	.amdhsa_kernel _ZN7rocprim17ROCPRIM_400000_NS6detail17trampoline_kernelINS0_14default_configENS1_22reduce_config_selectorIiEEZNS1_11reduce_implILb1ES3_N6thrust23THRUST_200600_302600_NS11hip_rocprim35transform_pair_of_input_iterators_tIiPlSB_NS8_12not_equal_toIlEEEEPiiNS8_4plusIiEEEE10hipError_tPvRmT1_T2_T3_mT4_P12ihipStream_tbEUlT_E0_NS1_11comp_targetILNS1_3genE3ELNS1_11target_archE908ELNS1_3gpuE7ELNS1_3repE0EEENS1_30default_config_static_selectorELNS0_4arch9wavefront6targetE1EEEvSL_
		.amdhsa_group_segment_fixed_size 0
		.amdhsa_private_segment_fixed_size 0
		.amdhsa_kernarg_size 72
		.amdhsa_user_sgpr_count 6
		.amdhsa_user_sgpr_private_segment_buffer 1
		.amdhsa_user_sgpr_dispatch_ptr 0
		.amdhsa_user_sgpr_queue_ptr 0
		.amdhsa_user_sgpr_kernarg_segment_ptr 1
		.amdhsa_user_sgpr_dispatch_id 0
		.amdhsa_user_sgpr_flat_scratch_init 0
		.amdhsa_user_sgpr_private_segment_size 0
		.amdhsa_uses_dynamic_stack 0
		.amdhsa_system_sgpr_private_segment_wavefront_offset 0
		.amdhsa_system_sgpr_workgroup_id_x 1
		.amdhsa_system_sgpr_workgroup_id_y 0
		.amdhsa_system_sgpr_workgroup_id_z 0
		.amdhsa_system_sgpr_workgroup_info 0
		.amdhsa_system_vgpr_workitem_id 0
		.amdhsa_next_free_vgpr 1
		.amdhsa_next_free_sgpr 0
		.amdhsa_reserve_vcc 0
		.amdhsa_reserve_flat_scratch 0
		.amdhsa_float_round_mode_32 0
		.amdhsa_float_round_mode_16_64 0
		.amdhsa_float_denorm_mode_32 3
		.amdhsa_float_denorm_mode_16_64 3
		.amdhsa_dx10_clamp 1
		.amdhsa_ieee_mode 1
		.amdhsa_fp16_overflow 0
		.amdhsa_exception_fp_ieee_invalid_op 0
		.amdhsa_exception_fp_denorm_src 0
		.amdhsa_exception_fp_ieee_div_zero 0
		.amdhsa_exception_fp_ieee_overflow 0
		.amdhsa_exception_fp_ieee_underflow 0
		.amdhsa_exception_fp_ieee_inexact 0
		.amdhsa_exception_int_div_zero 0
	.end_amdhsa_kernel
	.section	.text._ZN7rocprim17ROCPRIM_400000_NS6detail17trampoline_kernelINS0_14default_configENS1_22reduce_config_selectorIiEEZNS1_11reduce_implILb1ES3_N6thrust23THRUST_200600_302600_NS11hip_rocprim35transform_pair_of_input_iterators_tIiPlSB_NS8_12not_equal_toIlEEEEPiiNS8_4plusIiEEEE10hipError_tPvRmT1_T2_T3_mT4_P12ihipStream_tbEUlT_E0_NS1_11comp_targetILNS1_3genE3ELNS1_11target_archE908ELNS1_3gpuE7ELNS1_3repE0EEENS1_30default_config_static_selectorELNS0_4arch9wavefront6targetE1EEEvSL_,"axG",@progbits,_ZN7rocprim17ROCPRIM_400000_NS6detail17trampoline_kernelINS0_14default_configENS1_22reduce_config_selectorIiEEZNS1_11reduce_implILb1ES3_N6thrust23THRUST_200600_302600_NS11hip_rocprim35transform_pair_of_input_iterators_tIiPlSB_NS8_12not_equal_toIlEEEEPiiNS8_4plusIiEEEE10hipError_tPvRmT1_T2_T3_mT4_P12ihipStream_tbEUlT_E0_NS1_11comp_targetILNS1_3genE3ELNS1_11target_archE908ELNS1_3gpuE7ELNS1_3repE0EEENS1_30default_config_static_selectorELNS0_4arch9wavefront6targetE1EEEvSL_,comdat
.Lfunc_end1189:
	.size	_ZN7rocprim17ROCPRIM_400000_NS6detail17trampoline_kernelINS0_14default_configENS1_22reduce_config_selectorIiEEZNS1_11reduce_implILb1ES3_N6thrust23THRUST_200600_302600_NS11hip_rocprim35transform_pair_of_input_iterators_tIiPlSB_NS8_12not_equal_toIlEEEEPiiNS8_4plusIiEEEE10hipError_tPvRmT1_T2_T3_mT4_P12ihipStream_tbEUlT_E0_NS1_11comp_targetILNS1_3genE3ELNS1_11target_archE908ELNS1_3gpuE7ELNS1_3repE0EEENS1_30default_config_static_selectorELNS0_4arch9wavefront6targetE1EEEvSL_, .Lfunc_end1189-_ZN7rocprim17ROCPRIM_400000_NS6detail17trampoline_kernelINS0_14default_configENS1_22reduce_config_selectorIiEEZNS1_11reduce_implILb1ES3_N6thrust23THRUST_200600_302600_NS11hip_rocprim35transform_pair_of_input_iterators_tIiPlSB_NS8_12not_equal_toIlEEEEPiiNS8_4plusIiEEEE10hipError_tPvRmT1_T2_T3_mT4_P12ihipStream_tbEUlT_E0_NS1_11comp_targetILNS1_3genE3ELNS1_11target_archE908ELNS1_3gpuE7ELNS1_3repE0EEENS1_30default_config_static_selectorELNS0_4arch9wavefront6targetE1EEEvSL_
                                        ; -- End function
	.set _ZN7rocprim17ROCPRIM_400000_NS6detail17trampoline_kernelINS0_14default_configENS1_22reduce_config_selectorIiEEZNS1_11reduce_implILb1ES3_N6thrust23THRUST_200600_302600_NS11hip_rocprim35transform_pair_of_input_iterators_tIiPlSB_NS8_12not_equal_toIlEEEEPiiNS8_4plusIiEEEE10hipError_tPvRmT1_T2_T3_mT4_P12ihipStream_tbEUlT_E0_NS1_11comp_targetILNS1_3genE3ELNS1_11target_archE908ELNS1_3gpuE7ELNS1_3repE0EEENS1_30default_config_static_selectorELNS0_4arch9wavefront6targetE1EEEvSL_.num_vgpr, 0
	.set _ZN7rocprim17ROCPRIM_400000_NS6detail17trampoline_kernelINS0_14default_configENS1_22reduce_config_selectorIiEEZNS1_11reduce_implILb1ES3_N6thrust23THRUST_200600_302600_NS11hip_rocprim35transform_pair_of_input_iterators_tIiPlSB_NS8_12not_equal_toIlEEEEPiiNS8_4plusIiEEEE10hipError_tPvRmT1_T2_T3_mT4_P12ihipStream_tbEUlT_E0_NS1_11comp_targetILNS1_3genE3ELNS1_11target_archE908ELNS1_3gpuE7ELNS1_3repE0EEENS1_30default_config_static_selectorELNS0_4arch9wavefront6targetE1EEEvSL_.num_agpr, 0
	.set _ZN7rocprim17ROCPRIM_400000_NS6detail17trampoline_kernelINS0_14default_configENS1_22reduce_config_selectorIiEEZNS1_11reduce_implILb1ES3_N6thrust23THRUST_200600_302600_NS11hip_rocprim35transform_pair_of_input_iterators_tIiPlSB_NS8_12not_equal_toIlEEEEPiiNS8_4plusIiEEEE10hipError_tPvRmT1_T2_T3_mT4_P12ihipStream_tbEUlT_E0_NS1_11comp_targetILNS1_3genE3ELNS1_11target_archE908ELNS1_3gpuE7ELNS1_3repE0EEENS1_30default_config_static_selectorELNS0_4arch9wavefront6targetE1EEEvSL_.numbered_sgpr, 0
	.set _ZN7rocprim17ROCPRIM_400000_NS6detail17trampoline_kernelINS0_14default_configENS1_22reduce_config_selectorIiEEZNS1_11reduce_implILb1ES3_N6thrust23THRUST_200600_302600_NS11hip_rocprim35transform_pair_of_input_iterators_tIiPlSB_NS8_12not_equal_toIlEEEEPiiNS8_4plusIiEEEE10hipError_tPvRmT1_T2_T3_mT4_P12ihipStream_tbEUlT_E0_NS1_11comp_targetILNS1_3genE3ELNS1_11target_archE908ELNS1_3gpuE7ELNS1_3repE0EEENS1_30default_config_static_selectorELNS0_4arch9wavefront6targetE1EEEvSL_.num_named_barrier, 0
	.set _ZN7rocprim17ROCPRIM_400000_NS6detail17trampoline_kernelINS0_14default_configENS1_22reduce_config_selectorIiEEZNS1_11reduce_implILb1ES3_N6thrust23THRUST_200600_302600_NS11hip_rocprim35transform_pair_of_input_iterators_tIiPlSB_NS8_12not_equal_toIlEEEEPiiNS8_4plusIiEEEE10hipError_tPvRmT1_T2_T3_mT4_P12ihipStream_tbEUlT_E0_NS1_11comp_targetILNS1_3genE3ELNS1_11target_archE908ELNS1_3gpuE7ELNS1_3repE0EEENS1_30default_config_static_selectorELNS0_4arch9wavefront6targetE1EEEvSL_.private_seg_size, 0
	.set _ZN7rocprim17ROCPRIM_400000_NS6detail17trampoline_kernelINS0_14default_configENS1_22reduce_config_selectorIiEEZNS1_11reduce_implILb1ES3_N6thrust23THRUST_200600_302600_NS11hip_rocprim35transform_pair_of_input_iterators_tIiPlSB_NS8_12not_equal_toIlEEEEPiiNS8_4plusIiEEEE10hipError_tPvRmT1_T2_T3_mT4_P12ihipStream_tbEUlT_E0_NS1_11comp_targetILNS1_3genE3ELNS1_11target_archE908ELNS1_3gpuE7ELNS1_3repE0EEENS1_30default_config_static_selectorELNS0_4arch9wavefront6targetE1EEEvSL_.uses_vcc, 0
	.set _ZN7rocprim17ROCPRIM_400000_NS6detail17trampoline_kernelINS0_14default_configENS1_22reduce_config_selectorIiEEZNS1_11reduce_implILb1ES3_N6thrust23THRUST_200600_302600_NS11hip_rocprim35transform_pair_of_input_iterators_tIiPlSB_NS8_12not_equal_toIlEEEEPiiNS8_4plusIiEEEE10hipError_tPvRmT1_T2_T3_mT4_P12ihipStream_tbEUlT_E0_NS1_11comp_targetILNS1_3genE3ELNS1_11target_archE908ELNS1_3gpuE7ELNS1_3repE0EEENS1_30default_config_static_selectorELNS0_4arch9wavefront6targetE1EEEvSL_.uses_flat_scratch, 0
	.set _ZN7rocprim17ROCPRIM_400000_NS6detail17trampoline_kernelINS0_14default_configENS1_22reduce_config_selectorIiEEZNS1_11reduce_implILb1ES3_N6thrust23THRUST_200600_302600_NS11hip_rocprim35transform_pair_of_input_iterators_tIiPlSB_NS8_12not_equal_toIlEEEEPiiNS8_4plusIiEEEE10hipError_tPvRmT1_T2_T3_mT4_P12ihipStream_tbEUlT_E0_NS1_11comp_targetILNS1_3genE3ELNS1_11target_archE908ELNS1_3gpuE7ELNS1_3repE0EEENS1_30default_config_static_selectorELNS0_4arch9wavefront6targetE1EEEvSL_.has_dyn_sized_stack, 0
	.set _ZN7rocprim17ROCPRIM_400000_NS6detail17trampoline_kernelINS0_14default_configENS1_22reduce_config_selectorIiEEZNS1_11reduce_implILb1ES3_N6thrust23THRUST_200600_302600_NS11hip_rocprim35transform_pair_of_input_iterators_tIiPlSB_NS8_12not_equal_toIlEEEEPiiNS8_4plusIiEEEE10hipError_tPvRmT1_T2_T3_mT4_P12ihipStream_tbEUlT_E0_NS1_11comp_targetILNS1_3genE3ELNS1_11target_archE908ELNS1_3gpuE7ELNS1_3repE0EEENS1_30default_config_static_selectorELNS0_4arch9wavefront6targetE1EEEvSL_.has_recursion, 0
	.set _ZN7rocprim17ROCPRIM_400000_NS6detail17trampoline_kernelINS0_14default_configENS1_22reduce_config_selectorIiEEZNS1_11reduce_implILb1ES3_N6thrust23THRUST_200600_302600_NS11hip_rocprim35transform_pair_of_input_iterators_tIiPlSB_NS8_12not_equal_toIlEEEEPiiNS8_4plusIiEEEE10hipError_tPvRmT1_T2_T3_mT4_P12ihipStream_tbEUlT_E0_NS1_11comp_targetILNS1_3genE3ELNS1_11target_archE908ELNS1_3gpuE7ELNS1_3repE0EEENS1_30default_config_static_selectorELNS0_4arch9wavefront6targetE1EEEvSL_.has_indirect_call, 0
	.section	.AMDGPU.csdata,"",@progbits
; Kernel info:
; codeLenInByte = 0
; TotalNumSgprs: 4
; NumVgprs: 0
; ScratchSize: 0
; MemoryBound: 0
; FloatMode: 240
; IeeeMode: 1
; LDSByteSize: 0 bytes/workgroup (compile time only)
; SGPRBlocks: 0
; VGPRBlocks: 0
; NumSGPRsForWavesPerEU: 4
; NumVGPRsForWavesPerEU: 1
; Occupancy: 10
; WaveLimiterHint : 0
; COMPUTE_PGM_RSRC2:SCRATCH_EN: 0
; COMPUTE_PGM_RSRC2:USER_SGPR: 6
; COMPUTE_PGM_RSRC2:TRAP_HANDLER: 0
; COMPUTE_PGM_RSRC2:TGID_X_EN: 1
; COMPUTE_PGM_RSRC2:TGID_Y_EN: 0
; COMPUTE_PGM_RSRC2:TGID_Z_EN: 0
; COMPUTE_PGM_RSRC2:TIDIG_COMP_CNT: 0
	.section	.text._ZN7rocprim17ROCPRIM_400000_NS6detail17trampoline_kernelINS0_14default_configENS1_22reduce_config_selectorIiEEZNS1_11reduce_implILb1ES3_N6thrust23THRUST_200600_302600_NS11hip_rocprim35transform_pair_of_input_iterators_tIiPlSB_NS8_12not_equal_toIlEEEEPiiNS8_4plusIiEEEE10hipError_tPvRmT1_T2_T3_mT4_P12ihipStream_tbEUlT_E0_NS1_11comp_targetILNS1_3genE2ELNS1_11target_archE906ELNS1_3gpuE6ELNS1_3repE0EEENS1_30default_config_static_selectorELNS0_4arch9wavefront6targetE1EEEvSL_,"axG",@progbits,_ZN7rocprim17ROCPRIM_400000_NS6detail17trampoline_kernelINS0_14default_configENS1_22reduce_config_selectorIiEEZNS1_11reduce_implILb1ES3_N6thrust23THRUST_200600_302600_NS11hip_rocprim35transform_pair_of_input_iterators_tIiPlSB_NS8_12not_equal_toIlEEEEPiiNS8_4plusIiEEEE10hipError_tPvRmT1_T2_T3_mT4_P12ihipStream_tbEUlT_E0_NS1_11comp_targetILNS1_3genE2ELNS1_11target_archE906ELNS1_3gpuE6ELNS1_3repE0EEENS1_30default_config_static_selectorELNS0_4arch9wavefront6targetE1EEEvSL_,comdat
	.protected	_ZN7rocprim17ROCPRIM_400000_NS6detail17trampoline_kernelINS0_14default_configENS1_22reduce_config_selectorIiEEZNS1_11reduce_implILb1ES3_N6thrust23THRUST_200600_302600_NS11hip_rocprim35transform_pair_of_input_iterators_tIiPlSB_NS8_12not_equal_toIlEEEEPiiNS8_4plusIiEEEE10hipError_tPvRmT1_T2_T3_mT4_P12ihipStream_tbEUlT_E0_NS1_11comp_targetILNS1_3genE2ELNS1_11target_archE906ELNS1_3gpuE6ELNS1_3repE0EEENS1_30default_config_static_selectorELNS0_4arch9wavefront6targetE1EEEvSL_ ; -- Begin function _ZN7rocprim17ROCPRIM_400000_NS6detail17trampoline_kernelINS0_14default_configENS1_22reduce_config_selectorIiEEZNS1_11reduce_implILb1ES3_N6thrust23THRUST_200600_302600_NS11hip_rocprim35transform_pair_of_input_iterators_tIiPlSB_NS8_12not_equal_toIlEEEEPiiNS8_4plusIiEEEE10hipError_tPvRmT1_T2_T3_mT4_P12ihipStream_tbEUlT_E0_NS1_11comp_targetILNS1_3genE2ELNS1_11target_archE906ELNS1_3gpuE6ELNS1_3repE0EEENS1_30default_config_static_selectorELNS0_4arch9wavefront6targetE1EEEvSL_
	.globl	_ZN7rocprim17ROCPRIM_400000_NS6detail17trampoline_kernelINS0_14default_configENS1_22reduce_config_selectorIiEEZNS1_11reduce_implILb1ES3_N6thrust23THRUST_200600_302600_NS11hip_rocprim35transform_pair_of_input_iterators_tIiPlSB_NS8_12not_equal_toIlEEEEPiiNS8_4plusIiEEEE10hipError_tPvRmT1_T2_T3_mT4_P12ihipStream_tbEUlT_E0_NS1_11comp_targetILNS1_3genE2ELNS1_11target_archE906ELNS1_3gpuE6ELNS1_3repE0EEENS1_30default_config_static_selectorELNS0_4arch9wavefront6targetE1EEEvSL_
	.p2align	8
	.type	_ZN7rocprim17ROCPRIM_400000_NS6detail17trampoline_kernelINS0_14default_configENS1_22reduce_config_selectorIiEEZNS1_11reduce_implILb1ES3_N6thrust23THRUST_200600_302600_NS11hip_rocprim35transform_pair_of_input_iterators_tIiPlSB_NS8_12not_equal_toIlEEEEPiiNS8_4plusIiEEEE10hipError_tPvRmT1_T2_T3_mT4_P12ihipStream_tbEUlT_E0_NS1_11comp_targetILNS1_3genE2ELNS1_11target_archE906ELNS1_3gpuE6ELNS1_3repE0EEENS1_30default_config_static_selectorELNS0_4arch9wavefront6targetE1EEEvSL_,@function
_ZN7rocprim17ROCPRIM_400000_NS6detail17trampoline_kernelINS0_14default_configENS1_22reduce_config_selectorIiEEZNS1_11reduce_implILb1ES3_N6thrust23THRUST_200600_302600_NS11hip_rocprim35transform_pair_of_input_iterators_tIiPlSB_NS8_12not_equal_toIlEEEEPiiNS8_4plusIiEEEE10hipError_tPvRmT1_T2_T3_mT4_P12ihipStream_tbEUlT_E0_NS1_11comp_targetILNS1_3genE2ELNS1_11target_archE906ELNS1_3gpuE6ELNS1_3repE0EEENS1_30default_config_static_selectorELNS0_4arch9wavefront6targetE1EEEvSL_: ; @_ZN7rocprim17ROCPRIM_400000_NS6detail17trampoline_kernelINS0_14default_configENS1_22reduce_config_selectorIiEEZNS1_11reduce_implILb1ES3_N6thrust23THRUST_200600_302600_NS11hip_rocprim35transform_pair_of_input_iterators_tIiPlSB_NS8_12not_equal_toIlEEEEPiiNS8_4plusIiEEEE10hipError_tPvRmT1_T2_T3_mT4_P12ihipStream_tbEUlT_E0_NS1_11comp_targetILNS1_3genE2ELNS1_11target_archE906ELNS1_3gpuE6ELNS1_3repE0EEENS1_30default_config_static_selectorELNS0_4arch9wavefront6targetE1EEEvSL_
; %bb.0:
	s_load_dwordx8 s[8:15], s[4:5], 0x18
	s_load_dwordx4 s[0:3], s[4:5], 0x0
	s_load_dwordx2 s[16:17], s[4:5], 0x38
	v_lshlrev_b32_e32 v6, 3, v0
	v_mbcnt_lo_u32_b32 v5, -1, 0
	s_waitcnt lgkmcnt(0)
	s_lshl_b64 s[8:9], s[8:9], 3
	s_add_u32 s20, s0, s8
	s_addc_u32 s21, s1, s9
	s_add_u32 s22, s2, s8
	s_addc_u32 s23, s3, s9
	s_lshl_b32 s0, s6, 10
	s_mov_b32 s1, 0
	s_lshr_b64 s[2:3], s[10:11], 10
	s_lshl_b64 s[18:19], s[0:1], 3
	s_add_u32 s8, s20, s18
	s_addc_u32 s9, s21, s19
	s_add_u32 s18, s22, s18
	s_mov_b32 s7, s1
	s_addc_u32 s19, s23, s19
	s_cmp_lg_u64 s[2:3], s[6:7]
	s_cbranch_scc0 .LBB1190_6
; %bb.1:
	v_mov_b32_e32 v1, s9
	v_add_co_u32_e32 v2, vcc, s8, v6
	v_addc_co_u32_e32 v3, vcc, 0, v1, vcc
	v_mov_b32_e32 v1, s19
	v_add_co_u32_e32 v4, vcc, s18, v6
	v_addc_co_u32_e32 v15, vcc, 0, v1, vcc
	global_load_dwordx2 v[7:8], v6, s[8:9]
	global_load_dwordx2 v[9:10], v6, s[18:19]
	global_load_dwordx2 v[11:12], v6, s[18:19] offset:2048
	global_load_dwordx2 v[13:14], v6, s[8:9] offset:2048
	v_add_co_u32_e32 v1, vcc, 0x1000, v2
	v_addc_co_u32_e32 v2, vcc, 0, v3, vcc
	v_add_co_u32_e32 v3, vcc, 0x1000, v4
	v_addc_co_u32_e32 v4, vcc, 0, v15, vcc
	global_load_dwordx2 v[15:16], v[3:4], off
	global_load_dwordx2 v[17:18], v[1:2], off
	global_load_dwordx2 v[19:20], v[1:2], off offset:2048
	global_load_dwordx2 v[21:22], v[3:4], off offset:2048
	v_mbcnt_hi_u32_b32 v2, -1, v5
	v_lshlrev_b32_e32 v3, 2, v2
	s_waitcnt vmcnt(6)
	v_cmp_ne_u64_e32 vcc, v[7:8], v[9:10]
	v_cndmask_b32_e64 v1, 0, 1, vcc
	s_waitcnt vmcnt(4)
	v_cmp_ne_u64_e32 vcc, v[13:14], v[11:12]
	v_addc_co_u32_e32 v1, vcc, 0, v1, vcc
	s_waitcnt vmcnt(2)
	v_cmp_ne_u64_e32 vcc, v[17:18], v[15:16]
	v_cndmask_b32_e64 v4, 0, 1, vcc
	s_waitcnt vmcnt(0)
	v_cmp_ne_u64_e32 vcc, v[19:20], v[21:22]
	v_addc_co_u32_e32 v1, vcc, v1, v4, vcc
	s_nop 1
	v_add_u32_dpp v1, v1, v1 quad_perm:[1,0,3,2] row_mask:0xf bank_mask:0xf bound_ctrl:1
	v_or_b32_e32 v4, 0xfc, v3
	v_cmp_eq_u32_e32 vcc, 0, v2
	v_add_u32_dpp v1, v1, v1 quad_perm:[2,3,0,1] row_mask:0xf bank_mask:0xf bound_ctrl:1
	s_nop 1
	v_add_u32_dpp v1, v1, v1 row_ror:4 row_mask:0xf bank_mask:0xf bound_ctrl:1
	s_nop 1
	v_add_u32_dpp v1, v1, v1 row_ror:8 row_mask:0xf bank_mask:0xf bound_ctrl:1
	s_nop 1
	v_add_u32_dpp v1, v1, v1 row_bcast:15 row_mask:0xf bank_mask:0xf bound_ctrl:1
	s_nop 1
	v_add_u32_dpp v1, v1, v1 row_bcast:31 row_mask:0xf bank_mask:0xf bound_ctrl:1
	ds_bpermute_b32 v1, v4, v1
	s_and_saveexec_b64 s[2:3], vcc
	s_cbranch_execz .LBB1190_3
; %bb.2:
	v_lshrrev_b32_e32 v4, 4, v0
	v_and_b32_e32 v4, 12, v4
	s_waitcnt lgkmcnt(0)
	ds_write_b32 v4, v1
.LBB1190_3:
	s_or_b64 exec, exec, s[2:3]
	v_cmp_gt_u32_e32 vcc, 64, v0
	s_waitcnt lgkmcnt(0)
	s_barrier
	s_and_saveexec_b64 s[2:3], vcc
	s_cbranch_execz .LBB1190_5
; %bb.4:
	v_and_b32_e32 v1, 3, v2
	v_lshlrev_b32_e32 v4, 2, v1
	ds_read_b32 v4, v4
	v_cmp_ne_u32_e32 vcc, 3, v1
	v_addc_co_u32_e32 v1, vcc, 0, v2, vcc
	v_lshlrev_b32_e32 v1, 2, v1
	s_waitcnt lgkmcnt(0)
	ds_bpermute_b32 v1, v1, v4
	v_or_b32_e32 v2, 8, v3
	s_waitcnt lgkmcnt(0)
	v_add_u32_e32 v1, v1, v4
	ds_bpermute_b32 v2, v2, v1
	s_waitcnt lgkmcnt(0)
	v_add_u32_e32 v1, v2, v1
.LBB1190_5:
	s_or_b64 exec, exec, s[2:3]
	s_load_dword s22, s[4:5], 0x40
	s_branch .LBB1190_20
.LBB1190_6:
                                        ; implicit-def: $vgpr1
	s_load_dword s22, s[4:5], 0x40
	s_cbranch_execz .LBB1190_20
; %bb.7:
	s_sub_i32 s23, s10, s0
	v_mov_b32_e32 v1, 0
	v_cmp_gt_u32_e32 vcc, s23, v0
	v_mov_b32_e32 v2, v1
	v_mov_b32_e32 v3, v1
	;; [unrolled: 1-line block ×3, first 2 shown]
	s_and_saveexec_b64 s[0:1], vcc
	s_cbranch_execz .LBB1190_9
; %bb.8:
	global_load_dwordx2 v[2:3], v6, s[8:9]
	global_load_dwordx2 v[10:11], v6, s[18:19]
	v_mov_b32_e32 v8, v1
	v_mov_b32_e32 v9, v1
	s_waitcnt vmcnt(0)
	v_cmp_ne_u64_e32 vcc, v[2:3], v[10:11]
	v_mov_b32_e32 v10, v1
	v_cndmask_b32_e64 v2, 0, 1, vcc
	v_and_b32_e32 v7, 0xffff, v2
	v_mov_b32_e32 v1, v7
	v_mov_b32_e32 v2, v8
	;; [unrolled: 1-line block ×4, first 2 shown]
.LBB1190_9:
	s_or_b64 exec, exec, s[0:1]
	v_or_b32_e32 v7, 0x100, v0
	v_cmp_gt_u32_e32 vcc, s23, v7
	s_and_saveexec_b64 s[2:3], vcc
	s_cbranch_execz .LBB1190_11
; %bb.10:
	global_load_dwordx2 v[7:8], v6, s[8:9] offset:2048
	global_load_dwordx2 v[9:10], v6, s[18:19] offset:2048
	s_waitcnt vmcnt(0)
	v_cmp_ne_u64_e64 s[0:1], v[7:8], v[9:10]
	v_cndmask_b32_e64 v2, 0, 1, s[0:1]
.LBB1190_11:
	s_or_b64 exec, exec, s[2:3]
	v_or_b32_e32 v6, 0x200, v0
	v_cmp_gt_u32_e64 s[0:1], s23, v6
	s_and_saveexec_b64 s[4:5], s[0:1]
	s_cbranch_execz .LBB1190_13
; %bb.12:
	v_lshlrev_b32_e32 v3, 3, v6
	global_load_dwordx2 v[6:7], v3, s[8:9]
	global_load_dwordx2 v[8:9], v3, s[18:19]
	s_waitcnt vmcnt(0)
	v_cmp_ne_u64_e64 s[2:3], v[6:7], v[8:9]
	v_cndmask_b32_e64 v3, 0, 1, s[2:3]
.LBB1190_13:
	s_or_b64 exec, exec, s[4:5]
	v_or_b32_e32 v6, 0x300, v0
	v_cmp_gt_u32_e64 s[2:3], s23, v6
	s_and_saveexec_b64 s[20:21], s[2:3]
	s_cbranch_execz .LBB1190_15
; %bb.14:
	v_lshlrev_b32_e32 v4, 3, v6
	global_load_dwordx2 v[6:7], v4, s[8:9]
	global_load_dwordx2 v[8:9], v4, s[18:19]
	s_waitcnt vmcnt(0)
	v_cmp_ne_u64_e64 s[4:5], v[6:7], v[8:9]
	v_cndmask_b32_e64 v4, 0, 1, s[4:5]
.LBB1190_15:
	s_or_b64 exec, exec, s[20:21]
	v_cndmask_b32_e32 v2, 0, v2, vcc
	v_add_u32_e32 v1, v2, v1
	v_cndmask_b32_e64 v2, 0, v3, s[0:1]
	v_cndmask_b32_e64 v3, 0, v4, s[2:3]
	v_add3_u32 v1, v1, v2, v3
	v_mbcnt_hi_u32_b32 v2, -1, v5
	v_and_b32_e32 v4, 63, v2
	v_cmp_ne_u32_e32 vcc, 63, v4
	v_addc_co_u32_e32 v3, vcc, 0, v2, vcc
	v_lshlrev_b32_e32 v3, 2, v3
	ds_bpermute_b32 v3, v3, v1
	s_min_u32 s2, s23, 0x100
	v_and_b32_e32 v5, 0xc0, v0
	v_sub_u32_e64 v5, s2, v5 clamp
	v_add_u32_e32 v6, 1, v4
	v_cmp_lt_u32_e32 vcc, v6, v5
	s_waitcnt lgkmcnt(0)
	v_cndmask_b32_e32 v3, 0, v3, vcc
	v_cmp_gt_u32_e32 vcc, 62, v4
	v_add_u32_e32 v1, v3, v1
	v_cndmask_b32_e64 v3, 0, 2, vcc
	v_add_lshl_u32 v3, v3, v2, 2
	ds_bpermute_b32 v3, v3, v1
	v_add_u32_e32 v6, 2, v4
	v_cmp_lt_u32_e32 vcc, v6, v5
	v_add_u32_e32 v6, 4, v4
	s_waitcnt lgkmcnt(0)
	v_cndmask_b32_e32 v3, 0, v3, vcc
	v_cmp_gt_u32_e32 vcc, 60, v4
	v_add_u32_e32 v1, v1, v3
	v_cndmask_b32_e64 v3, 0, 4, vcc
	v_add_lshl_u32 v3, v3, v2, 2
	ds_bpermute_b32 v3, v3, v1
	v_cmp_lt_u32_e32 vcc, v6, v5
	v_add_u32_e32 v6, 8, v4
	s_waitcnt lgkmcnt(0)
	v_cndmask_b32_e32 v3, 0, v3, vcc
	v_cmp_gt_u32_e32 vcc, 56, v4
	v_add_u32_e32 v1, v1, v3
	v_cndmask_b32_e64 v3, 0, 8, vcc
	v_add_lshl_u32 v3, v3, v2, 2
	ds_bpermute_b32 v3, v3, v1
	;; [unrolled: 9-line block ×3, first 2 shown]
	v_cmp_lt_u32_e32 vcc, v6, v5
	v_add_u32_e32 v4, 32, v4
	s_waitcnt lgkmcnt(0)
	v_cndmask_b32_e32 v3, 0, v3, vcc
	v_add_u32_e32 v1, v1, v3
	v_lshlrev_b32_e32 v3, 2, v2
	v_or_b32_e32 v6, 0x80, v3
	ds_bpermute_b32 v6, v6, v1
	v_cmp_lt_u32_e32 vcc, v4, v5
	s_waitcnt lgkmcnt(0)
	v_cndmask_b32_e32 v4, 0, v6, vcc
	v_add_u32_e32 v1, v1, v4
	v_cmp_eq_u32_e32 vcc, 0, v2
	s_and_saveexec_b64 s[0:1], vcc
; %bb.16:
	v_lshrrev_b32_e32 v4, 4, v0
	v_and_b32_e32 v4, 12, v4
	ds_write_b32 v4, v1 offset:16
; %bb.17:
	s_or_b64 exec, exec, s[0:1]
	v_cmp_gt_u32_e32 vcc, 4, v0
	s_waitcnt lgkmcnt(0)
	s_barrier
	s_and_saveexec_b64 s[0:1], vcc
	s_cbranch_execz .LBB1190_19
; %bb.18:
	ds_read_b32 v1, v3 offset:16
	v_and_b32_e32 v4, 3, v2
	v_cmp_ne_u32_e32 vcc, 3, v4
	v_addc_co_u32_e32 v2, vcc, 0, v2, vcc
	v_lshlrev_b32_e32 v2, 2, v2
	s_waitcnt lgkmcnt(0)
	ds_bpermute_b32 v2, v2, v1
	s_add_i32 s2, s2, 63
	s_lshr_b32 s2, s2, 6
	v_add_u32_e32 v5, 1, v4
	v_cmp_gt_u32_e32 vcc, s2, v5
	s_waitcnt lgkmcnt(0)
	v_cndmask_b32_e32 v2, 0, v2, vcc
	v_add_u32_e32 v1, v2, v1
	v_or_b32_e32 v2, 8, v3
	ds_bpermute_b32 v2, v2, v1
	v_add_u32_e32 v3, 2, v4
	v_cmp_gt_u32_e32 vcc, s2, v3
	s_waitcnt lgkmcnt(0)
	v_cndmask_b32_e32 v2, 0, v2, vcc
	v_add_u32_e32 v1, v1, v2
.LBB1190_19:
	s_or_b64 exec, exec, s[0:1]
.LBB1190_20:
	v_cmp_eq_u32_e32 vcc, 0, v0
	s_and_saveexec_b64 s[0:1], vcc
	s_cbranch_execnz .LBB1190_22
; %bb.21:
	s_endpgm
.LBB1190_22:
	s_mul_i32 s0, s16, s15
	s_mul_hi_u32 s1, s16, s14
	s_add_i32 s0, s1, s0
	s_mul_i32 s1, s17, s14
	s_add_i32 s1, s0, s1
	s_mul_i32 s0, s16, s14
	s_lshl_b64 s[0:1], s[0:1], 2
	s_add_u32 s2, s12, s0
	s_addc_u32 s3, s13, s1
	s_cmp_eq_u64 s[10:11], 0
	s_cselect_b64 vcc, -1, 0
	s_lshl_b64 s[0:1], s[6:7], 2
	s_waitcnt lgkmcnt(0)
	v_mov_b32_e32 v0, s22
	s_add_u32 s0, s2, s0
	v_cndmask_b32_e32 v0, v1, v0, vcc
	s_addc_u32 s1, s3, s1
	v_mov_b32_e32 v1, 0
	global_store_dword v1, v0, s[0:1]
	s_endpgm
	.section	.rodata,"a",@progbits
	.p2align	6, 0x0
	.amdhsa_kernel _ZN7rocprim17ROCPRIM_400000_NS6detail17trampoline_kernelINS0_14default_configENS1_22reduce_config_selectorIiEEZNS1_11reduce_implILb1ES3_N6thrust23THRUST_200600_302600_NS11hip_rocprim35transform_pair_of_input_iterators_tIiPlSB_NS8_12not_equal_toIlEEEEPiiNS8_4plusIiEEEE10hipError_tPvRmT1_T2_T3_mT4_P12ihipStream_tbEUlT_E0_NS1_11comp_targetILNS1_3genE2ELNS1_11target_archE906ELNS1_3gpuE6ELNS1_3repE0EEENS1_30default_config_static_selectorELNS0_4arch9wavefront6targetE1EEEvSL_
		.amdhsa_group_segment_fixed_size 32
		.amdhsa_private_segment_fixed_size 0
		.amdhsa_kernarg_size 72
		.amdhsa_user_sgpr_count 6
		.amdhsa_user_sgpr_private_segment_buffer 1
		.amdhsa_user_sgpr_dispatch_ptr 0
		.amdhsa_user_sgpr_queue_ptr 0
		.amdhsa_user_sgpr_kernarg_segment_ptr 1
		.amdhsa_user_sgpr_dispatch_id 0
		.amdhsa_user_sgpr_flat_scratch_init 0
		.amdhsa_user_sgpr_private_segment_size 0
		.amdhsa_uses_dynamic_stack 0
		.amdhsa_system_sgpr_private_segment_wavefront_offset 0
		.amdhsa_system_sgpr_workgroup_id_x 1
		.amdhsa_system_sgpr_workgroup_id_y 0
		.amdhsa_system_sgpr_workgroup_id_z 0
		.amdhsa_system_sgpr_workgroup_info 0
		.amdhsa_system_vgpr_workitem_id 0
		.amdhsa_next_free_vgpr 23
		.amdhsa_next_free_sgpr 24
		.amdhsa_reserve_vcc 1
		.amdhsa_reserve_flat_scratch 0
		.amdhsa_float_round_mode_32 0
		.amdhsa_float_round_mode_16_64 0
		.amdhsa_float_denorm_mode_32 3
		.amdhsa_float_denorm_mode_16_64 3
		.amdhsa_dx10_clamp 1
		.amdhsa_ieee_mode 1
		.amdhsa_fp16_overflow 0
		.amdhsa_exception_fp_ieee_invalid_op 0
		.amdhsa_exception_fp_denorm_src 0
		.amdhsa_exception_fp_ieee_div_zero 0
		.amdhsa_exception_fp_ieee_overflow 0
		.amdhsa_exception_fp_ieee_underflow 0
		.amdhsa_exception_fp_ieee_inexact 0
		.amdhsa_exception_int_div_zero 0
	.end_amdhsa_kernel
	.section	.text._ZN7rocprim17ROCPRIM_400000_NS6detail17trampoline_kernelINS0_14default_configENS1_22reduce_config_selectorIiEEZNS1_11reduce_implILb1ES3_N6thrust23THRUST_200600_302600_NS11hip_rocprim35transform_pair_of_input_iterators_tIiPlSB_NS8_12not_equal_toIlEEEEPiiNS8_4plusIiEEEE10hipError_tPvRmT1_T2_T3_mT4_P12ihipStream_tbEUlT_E0_NS1_11comp_targetILNS1_3genE2ELNS1_11target_archE906ELNS1_3gpuE6ELNS1_3repE0EEENS1_30default_config_static_selectorELNS0_4arch9wavefront6targetE1EEEvSL_,"axG",@progbits,_ZN7rocprim17ROCPRIM_400000_NS6detail17trampoline_kernelINS0_14default_configENS1_22reduce_config_selectorIiEEZNS1_11reduce_implILb1ES3_N6thrust23THRUST_200600_302600_NS11hip_rocprim35transform_pair_of_input_iterators_tIiPlSB_NS8_12not_equal_toIlEEEEPiiNS8_4plusIiEEEE10hipError_tPvRmT1_T2_T3_mT4_P12ihipStream_tbEUlT_E0_NS1_11comp_targetILNS1_3genE2ELNS1_11target_archE906ELNS1_3gpuE6ELNS1_3repE0EEENS1_30default_config_static_selectorELNS0_4arch9wavefront6targetE1EEEvSL_,comdat
.Lfunc_end1190:
	.size	_ZN7rocprim17ROCPRIM_400000_NS6detail17trampoline_kernelINS0_14default_configENS1_22reduce_config_selectorIiEEZNS1_11reduce_implILb1ES3_N6thrust23THRUST_200600_302600_NS11hip_rocprim35transform_pair_of_input_iterators_tIiPlSB_NS8_12not_equal_toIlEEEEPiiNS8_4plusIiEEEE10hipError_tPvRmT1_T2_T3_mT4_P12ihipStream_tbEUlT_E0_NS1_11comp_targetILNS1_3genE2ELNS1_11target_archE906ELNS1_3gpuE6ELNS1_3repE0EEENS1_30default_config_static_selectorELNS0_4arch9wavefront6targetE1EEEvSL_, .Lfunc_end1190-_ZN7rocprim17ROCPRIM_400000_NS6detail17trampoline_kernelINS0_14default_configENS1_22reduce_config_selectorIiEEZNS1_11reduce_implILb1ES3_N6thrust23THRUST_200600_302600_NS11hip_rocprim35transform_pair_of_input_iterators_tIiPlSB_NS8_12not_equal_toIlEEEEPiiNS8_4plusIiEEEE10hipError_tPvRmT1_T2_T3_mT4_P12ihipStream_tbEUlT_E0_NS1_11comp_targetILNS1_3genE2ELNS1_11target_archE906ELNS1_3gpuE6ELNS1_3repE0EEENS1_30default_config_static_selectorELNS0_4arch9wavefront6targetE1EEEvSL_
                                        ; -- End function
	.set _ZN7rocprim17ROCPRIM_400000_NS6detail17trampoline_kernelINS0_14default_configENS1_22reduce_config_selectorIiEEZNS1_11reduce_implILb1ES3_N6thrust23THRUST_200600_302600_NS11hip_rocprim35transform_pair_of_input_iterators_tIiPlSB_NS8_12not_equal_toIlEEEEPiiNS8_4plusIiEEEE10hipError_tPvRmT1_T2_T3_mT4_P12ihipStream_tbEUlT_E0_NS1_11comp_targetILNS1_3genE2ELNS1_11target_archE906ELNS1_3gpuE6ELNS1_3repE0EEENS1_30default_config_static_selectorELNS0_4arch9wavefront6targetE1EEEvSL_.num_vgpr, 23
	.set _ZN7rocprim17ROCPRIM_400000_NS6detail17trampoline_kernelINS0_14default_configENS1_22reduce_config_selectorIiEEZNS1_11reduce_implILb1ES3_N6thrust23THRUST_200600_302600_NS11hip_rocprim35transform_pair_of_input_iterators_tIiPlSB_NS8_12not_equal_toIlEEEEPiiNS8_4plusIiEEEE10hipError_tPvRmT1_T2_T3_mT4_P12ihipStream_tbEUlT_E0_NS1_11comp_targetILNS1_3genE2ELNS1_11target_archE906ELNS1_3gpuE6ELNS1_3repE0EEENS1_30default_config_static_selectorELNS0_4arch9wavefront6targetE1EEEvSL_.num_agpr, 0
	.set _ZN7rocprim17ROCPRIM_400000_NS6detail17trampoline_kernelINS0_14default_configENS1_22reduce_config_selectorIiEEZNS1_11reduce_implILb1ES3_N6thrust23THRUST_200600_302600_NS11hip_rocprim35transform_pair_of_input_iterators_tIiPlSB_NS8_12not_equal_toIlEEEEPiiNS8_4plusIiEEEE10hipError_tPvRmT1_T2_T3_mT4_P12ihipStream_tbEUlT_E0_NS1_11comp_targetILNS1_3genE2ELNS1_11target_archE906ELNS1_3gpuE6ELNS1_3repE0EEENS1_30default_config_static_selectorELNS0_4arch9wavefront6targetE1EEEvSL_.numbered_sgpr, 24
	.set _ZN7rocprim17ROCPRIM_400000_NS6detail17trampoline_kernelINS0_14default_configENS1_22reduce_config_selectorIiEEZNS1_11reduce_implILb1ES3_N6thrust23THRUST_200600_302600_NS11hip_rocprim35transform_pair_of_input_iterators_tIiPlSB_NS8_12not_equal_toIlEEEEPiiNS8_4plusIiEEEE10hipError_tPvRmT1_T2_T3_mT4_P12ihipStream_tbEUlT_E0_NS1_11comp_targetILNS1_3genE2ELNS1_11target_archE906ELNS1_3gpuE6ELNS1_3repE0EEENS1_30default_config_static_selectorELNS0_4arch9wavefront6targetE1EEEvSL_.num_named_barrier, 0
	.set _ZN7rocprim17ROCPRIM_400000_NS6detail17trampoline_kernelINS0_14default_configENS1_22reduce_config_selectorIiEEZNS1_11reduce_implILb1ES3_N6thrust23THRUST_200600_302600_NS11hip_rocprim35transform_pair_of_input_iterators_tIiPlSB_NS8_12not_equal_toIlEEEEPiiNS8_4plusIiEEEE10hipError_tPvRmT1_T2_T3_mT4_P12ihipStream_tbEUlT_E0_NS1_11comp_targetILNS1_3genE2ELNS1_11target_archE906ELNS1_3gpuE6ELNS1_3repE0EEENS1_30default_config_static_selectorELNS0_4arch9wavefront6targetE1EEEvSL_.private_seg_size, 0
	.set _ZN7rocprim17ROCPRIM_400000_NS6detail17trampoline_kernelINS0_14default_configENS1_22reduce_config_selectorIiEEZNS1_11reduce_implILb1ES3_N6thrust23THRUST_200600_302600_NS11hip_rocprim35transform_pair_of_input_iterators_tIiPlSB_NS8_12not_equal_toIlEEEEPiiNS8_4plusIiEEEE10hipError_tPvRmT1_T2_T3_mT4_P12ihipStream_tbEUlT_E0_NS1_11comp_targetILNS1_3genE2ELNS1_11target_archE906ELNS1_3gpuE6ELNS1_3repE0EEENS1_30default_config_static_selectorELNS0_4arch9wavefront6targetE1EEEvSL_.uses_vcc, 1
	.set _ZN7rocprim17ROCPRIM_400000_NS6detail17trampoline_kernelINS0_14default_configENS1_22reduce_config_selectorIiEEZNS1_11reduce_implILb1ES3_N6thrust23THRUST_200600_302600_NS11hip_rocprim35transform_pair_of_input_iterators_tIiPlSB_NS8_12not_equal_toIlEEEEPiiNS8_4plusIiEEEE10hipError_tPvRmT1_T2_T3_mT4_P12ihipStream_tbEUlT_E0_NS1_11comp_targetILNS1_3genE2ELNS1_11target_archE906ELNS1_3gpuE6ELNS1_3repE0EEENS1_30default_config_static_selectorELNS0_4arch9wavefront6targetE1EEEvSL_.uses_flat_scratch, 0
	.set _ZN7rocprim17ROCPRIM_400000_NS6detail17trampoline_kernelINS0_14default_configENS1_22reduce_config_selectorIiEEZNS1_11reduce_implILb1ES3_N6thrust23THRUST_200600_302600_NS11hip_rocprim35transform_pair_of_input_iterators_tIiPlSB_NS8_12not_equal_toIlEEEEPiiNS8_4plusIiEEEE10hipError_tPvRmT1_T2_T3_mT4_P12ihipStream_tbEUlT_E0_NS1_11comp_targetILNS1_3genE2ELNS1_11target_archE906ELNS1_3gpuE6ELNS1_3repE0EEENS1_30default_config_static_selectorELNS0_4arch9wavefront6targetE1EEEvSL_.has_dyn_sized_stack, 0
	.set _ZN7rocprim17ROCPRIM_400000_NS6detail17trampoline_kernelINS0_14default_configENS1_22reduce_config_selectorIiEEZNS1_11reduce_implILb1ES3_N6thrust23THRUST_200600_302600_NS11hip_rocprim35transform_pair_of_input_iterators_tIiPlSB_NS8_12not_equal_toIlEEEEPiiNS8_4plusIiEEEE10hipError_tPvRmT1_T2_T3_mT4_P12ihipStream_tbEUlT_E0_NS1_11comp_targetILNS1_3genE2ELNS1_11target_archE906ELNS1_3gpuE6ELNS1_3repE0EEENS1_30default_config_static_selectorELNS0_4arch9wavefront6targetE1EEEvSL_.has_recursion, 0
	.set _ZN7rocprim17ROCPRIM_400000_NS6detail17trampoline_kernelINS0_14default_configENS1_22reduce_config_selectorIiEEZNS1_11reduce_implILb1ES3_N6thrust23THRUST_200600_302600_NS11hip_rocprim35transform_pair_of_input_iterators_tIiPlSB_NS8_12not_equal_toIlEEEEPiiNS8_4plusIiEEEE10hipError_tPvRmT1_T2_T3_mT4_P12ihipStream_tbEUlT_E0_NS1_11comp_targetILNS1_3genE2ELNS1_11target_archE906ELNS1_3gpuE6ELNS1_3repE0EEENS1_30default_config_static_selectorELNS0_4arch9wavefront6targetE1EEEvSL_.has_indirect_call, 0
	.section	.AMDGPU.csdata,"",@progbits
; Kernel info:
; codeLenInByte = 1408
; TotalNumSgprs: 28
; NumVgprs: 23
; ScratchSize: 0
; MemoryBound: 0
; FloatMode: 240
; IeeeMode: 1
; LDSByteSize: 32 bytes/workgroup (compile time only)
; SGPRBlocks: 3
; VGPRBlocks: 5
; NumSGPRsForWavesPerEU: 28
; NumVGPRsForWavesPerEU: 23
; Occupancy: 10
; WaveLimiterHint : 0
; COMPUTE_PGM_RSRC2:SCRATCH_EN: 0
; COMPUTE_PGM_RSRC2:USER_SGPR: 6
; COMPUTE_PGM_RSRC2:TRAP_HANDLER: 0
; COMPUTE_PGM_RSRC2:TGID_X_EN: 1
; COMPUTE_PGM_RSRC2:TGID_Y_EN: 0
; COMPUTE_PGM_RSRC2:TGID_Z_EN: 0
; COMPUTE_PGM_RSRC2:TIDIG_COMP_CNT: 0
	.section	.text._ZN7rocprim17ROCPRIM_400000_NS6detail17trampoline_kernelINS0_14default_configENS1_22reduce_config_selectorIiEEZNS1_11reduce_implILb1ES3_N6thrust23THRUST_200600_302600_NS11hip_rocprim35transform_pair_of_input_iterators_tIiPlSB_NS8_12not_equal_toIlEEEEPiiNS8_4plusIiEEEE10hipError_tPvRmT1_T2_T3_mT4_P12ihipStream_tbEUlT_E0_NS1_11comp_targetILNS1_3genE10ELNS1_11target_archE1201ELNS1_3gpuE5ELNS1_3repE0EEENS1_30default_config_static_selectorELNS0_4arch9wavefront6targetE1EEEvSL_,"axG",@progbits,_ZN7rocprim17ROCPRIM_400000_NS6detail17trampoline_kernelINS0_14default_configENS1_22reduce_config_selectorIiEEZNS1_11reduce_implILb1ES3_N6thrust23THRUST_200600_302600_NS11hip_rocprim35transform_pair_of_input_iterators_tIiPlSB_NS8_12not_equal_toIlEEEEPiiNS8_4plusIiEEEE10hipError_tPvRmT1_T2_T3_mT4_P12ihipStream_tbEUlT_E0_NS1_11comp_targetILNS1_3genE10ELNS1_11target_archE1201ELNS1_3gpuE5ELNS1_3repE0EEENS1_30default_config_static_selectorELNS0_4arch9wavefront6targetE1EEEvSL_,comdat
	.protected	_ZN7rocprim17ROCPRIM_400000_NS6detail17trampoline_kernelINS0_14default_configENS1_22reduce_config_selectorIiEEZNS1_11reduce_implILb1ES3_N6thrust23THRUST_200600_302600_NS11hip_rocprim35transform_pair_of_input_iterators_tIiPlSB_NS8_12not_equal_toIlEEEEPiiNS8_4plusIiEEEE10hipError_tPvRmT1_T2_T3_mT4_P12ihipStream_tbEUlT_E0_NS1_11comp_targetILNS1_3genE10ELNS1_11target_archE1201ELNS1_3gpuE5ELNS1_3repE0EEENS1_30default_config_static_selectorELNS0_4arch9wavefront6targetE1EEEvSL_ ; -- Begin function _ZN7rocprim17ROCPRIM_400000_NS6detail17trampoline_kernelINS0_14default_configENS1_22reduce_config_selectorIiEEZNS1_11reduce_implILb1ES3_N6thrust23THRUST_200600_302600_NS11hip_rocprim35transform_pair_of_input_iterators_tIiPlSB_NS8_12not_equal_toIlEEEEPiiNS8_4plusIiEEEE10hipError_tPvRmT1_T2_T3_mT4_P12ihipStream_tbEUlT_E0_NS1_11comp_targetILNS1_3genE10ELNS1_11target_archE1201ELNS1_3gpuE5ELNS1_3repE0EEENS1_30default_config_static_selectorELNS0_4arch9wavefront6targetE1EEEvSL_
	.globl	_ZN7rocprim17ROCPRIM_400000_NS6detail17trampoline_kernelINS0_14default_configENS1_22reduce_config_selectorIiEEZNS1_11reduce_implILb1ES3_N6thrust23THRUST_200600_302600_NS11hip_rocprim35transform_pair_of_input_iterators_tIiPlSB_NS8_12not_equal_toIlEEEEPiiNS8_4plusIiEEEE10hipError_tPvRmT1_T2_T3_mT4_P12ihipStream_tbEUlT_E0_NS1_11comp_targetILNS1_3genE10ELNS1_11target_archE1201ELNS1_3gpuE5ELNS1_3repE0EEENS1_30default_config_static_selectorELNS0_4arch9wavefront6targetE1EEEvSL_
	.p2align	8
	.type	_ZN7rocprim17ROCPRIM_400000_NS6detail17trampoline_kernelINS0_14default_configENS1_22reduce_config_selectorIiEEZNS1_11reduce_implILb1ES3_N6thrust23THRUST_200600_302600_NS11hip_rocprim35transform_pair_of_input_iterators_tIiPlSB_NS8_12not_equal_toIlEEEEPiiNS8_4plusIiEEEE10hipError_tPvRmT1_T2_T3_mT4_P12ihipStream_tbEUlT_E0_NS1_11comp_targetILNS1_3genE10ELNS1_11target_archE1201ELNS1_3gpuE5ELNS1_3repE0EEENS1_30default_config_static_selectorELNS0_4arch9wavefront6targetE1EEEvSL_,@function
_ZN7rocprim17ROCPRIM_400000_NS6detail17trampoline_kernelINS0_14default_configENS1_22reduce_config_selectorIiEEZNS1_11reduce_implILb1ES3_N6thrust23THRUST_200600_302600_NS11hip_rocprim35transform_pair_of_input_iterators_tIiPlSB_NS8_12not_equal_toIlEEEEPiiNS8_4plusIiEEEE10hipError_tPvRmT1_T2_T3_mT4_P12ihipStream_tbEUlT_E0_NS1_11comp_targetILNS1_3genE10ELNS1_11target_archE1201ELNS1_3gpuE5ELNS1_3repE0EEENS1_30default_config_static_selectorELNS0_4arch9wavefront6targetE1EEEvSL_: ; @_ZN7rocprim17ROCPRIM_400000_NS6detail17trampoline_kernelINS0_14default_configENS1_22reduce_config_selectorIiEEZNS1_11reduce_implILb1ES3_N6thrust23THRUST_200600_302600_NS11hip_rocprim35transform_pair_of_input_iterators_tIiPlSB_NS8_12not_equal_toIlEEEEPiiNS8_4plusIiEEEE10hipError_tPvRmT1_T2_T3_mT4_P12ihipStream_tbEUlT_E0_NS1_11comp_targetILNS1_3genE10ELNS1_11target_archE1201ELNS1_3gpuE5ELNS1_3repE0EEENS1_30default_config_static_selectorELNS0_4arch9wavefront6targetE1EEEvSL_
; %bb.0:
	.section	.rodata,"a",@progbits
	.p2align	6, 0x0
	.amdhsa_kernel _ZN7rocprim17ROCPRIM_400000_NS6detail17trampoline_kernelINS0_14default_configENS1_22reduce_config_selectorIiEEZNS1_11reduce_implILb1ES3_N6thrust23THRUST_200600_302600_NS11hip_rocprim35transform_pair_of_input_iterators_tIiPlSB_NS8_12not_equal_toIlEEEEPiiNS8_4plusIiEEEE10hipError_tPvRmT1_T2_T3_mT4_P12ihipStream_tbEUlT_E0_NS1_11comp_targetILNS1_3genE10ELNS1_11target_archE1201ELNS1_3gpuE5ELNS1_3repE0EEENS1_30default_config_static_selectorELNS0_4arch9wavefront6targetE1EEEvSL_
		.amdhsa_group_segment_fixed_size 0
		.amdhsa_private_segment_fixed_size 0
		.amdhsa_kernarg_size 72
		.amdhsa_user_sgpr_count 6
		.amdhsa_user_sgpr_private_segment_buffer 1
		.amdhsa_user_sgpr_dispatch_ptr 0
		.amdhsa_user_sgpr_queue_ptr 0
		.amdhsa_user_sgpr_kernarg_segment_ptr 1
		.amdhsa_user_sgpr_dispatch_id 0
		.amdhsa_user_sgpr_flat_scratch_init 0
		.amdhsa_user_sgpr_private_segment_size 0
		.amdhsa_uses_dynamic_stack 0
		.amdhsa_system_sgpr_private_segment_wavefront_offset 0
		.amdhsa_system_sgpr_workgroup_id_x 1
		.amdhsa_system_sgpr_workgroup_id_y 0
		.amdhsa_system_sgpr_workgroup_id_z 0
		.amdhsa_system_sgpr_workgroup_info 0
		.amdhsa_system_vgpr_workitem_id 0
		.amdhsa_next_free_vgpr 1
		.amdhsa_next_free_sgpr 0
		.amdhsa_reserve_vcc 0
		.amdhsa_reserve_flat_scratch 0
		.amdhsa_float_round_mode_32 0
		.amdhsa_float_round_mode_16_64 0
		.amdhsa_float_denorm_mode_32 3
		.amdhsa_float_denorm_mode_16_64 3
		.amdhsa_dx10_clamp 1
		.amdhsa_ieee_mode 1
		.amdhsa_fp16_overflow 0
		.amdhsa_exception_fp_ieee_invalid_op 0
		.amdhsa_exception_fp_denorm_src 0
		.amdhsa_exception_fp_ieee_div_zero 0
		.amdhsa_exception_fp_ieee_overflow 0
		.amdhsa_exception_fp_ieee_underflow 0
		.amdhsa_exception_fp_ieee_inexact 0
		.amdhsa_exception_int_div_zero 0
	.end_amdhsa_kernel
	.section	.text._ZN7rocprim17ROCPRIM_400000_NS6detail17trampoline_kernelINS0_14default_configENS1_22reduce_config_selectorIiEEZNS1_11reduce_implILb1ES3_N6thrust23THRUST_200600_302600_NS11hip_rocprim35transform_pair_of_input_iterators_tIiPlSB_NS8_12not_equal_toIlEEEEPiiNS8_4plusIiEEEE10hipError_tPvRmT1_T2_T3_mT4_P12ihipStream_tbEUlT_E0_NS1_11comp_targetILNS1_3genE10ELNS1_11target_archE1201ELNS1_3gpuE5ELNS1_3repE0EEENS1_30default_config_static_selectorELNS0_4arch9wavefront6targetE1EEEvSL_,"axG",@progbits,_ZN7rocprim17ROCPRIM_400000_NS6detail17trampoline_kernelINS0_14default_configENS1_22reduce_config_selectorIiEEZNS1_11reduce_implILb1ES3_N6thrust23THRUST_200600_302600_NS11hip_rocprim35transform_pair_of_input_iterators_tIiPlSB_NS8_12not_equal_toIlEEEEPiiNS8_4plusIiEEEE10hipError_tPvRmT1_T2_T3_mT4_P12ihipStream_tbEUlT_E0_NS1_11comp_targetILNS1_3genE10ELNS1_11target_archE1201ELNS1_3gpuE5ELNS1_3repE0EEENS1_30default_config_static_selectorELNS0_4arch9wavefront6targetE1EEEvSL_,comdat
.Lfunc_end1191:
	.size	_ZN7rocprim17ROCPRIM_400000_NS6detail17trampoline_kernelINS0_14default_configENS1_22reduce_config_selectorIiEEZNS1_11reduce_implILb1ES3_N6thrust23THRUST_200600_302600_NS11hip_rocprim35transform_pair_of_input_iterators_tIiPlSB_NS8_12not_equal_toIlEEEEPiiNS8_4plusIiEEEE10hipError_tPvRmT1_T2_T3_mT4_P12ihipStream_tbEUlT_E0_NS1_11comp_targetILNS1_3genE10ELNS1_11target_archE1201ELNS1_3gpuE5ELNS1_3repE0EEENS1_30default_config_static_selectorELNS0_4arch9wavefront6targetE1EEEvSL_, .Lfunc_end1191-_ZN7rocprim17ROCPRIM_400000_NS6detail17trampoline_kernelINS0_14default_configENS1_22reduce_config_selectorIiEEZNS1_11reduce_implILb1ES3_N6thrust23THRUST_200600_302600_NS11hip_rocprim35transform_pair_of_input_iterators_tIiPlSB_NS8_12not_equal_toIlEEEEPiiNS8_4plusIiEEEE10hipError_tPvRmT1_T2_T3_mT4_P12ihipStream_tbEUlT_E0_NS1_11comp_targetILNS1_3genE10ELNS1_11target_archE1201ELNS1_3gpuE5ELNS1_3repE0EEENS1_30default_config_static_selectorELNS0_4arch9wavefront6targetE1EEEvSL_
                                        ; -- End function
	.set _ZN7rocprim17ROCPRIM_400000_NS6detail17trampoline_kernelINS0_14default_configENS1_22reduce_config_selectorIiEEZNS1_11reduce_implILb1ES3_N6thrust23THRUST_200600_302600_NS11hip_rocprim35transform_pair_of_input_iterators_tIiPlSB_NS8_12not_equal_toIlEEEEPiiNS8_4plusIiEEEE10hipError_tPvRmT1_T2_T3_mT4_P12ihipStream_tbEUlT_E0_NS1_11comp_targetILNS1_3genE10ELNS1_11target_archE1201ELNS1_3gpuE5ELNS1_3repE0EEENS1_30default_config_static_selectorELNS0_4arch9wavefront6targetE1EEEvSL_.num_vgpr, 0
	.set _ZN7rocprim17ROCPRIM_400000_NS6detail17trampoline_kernelINS0_14default_configENS1_22reduce_config_selectorIiEEZNS1_11reduce_implILb1ES3_N6thrust23THRUST_200600_302600_NS11hip_rocprim35transform_pair_of_input_iterators_tIiPlSB_NS8_12not_equal_toIlEEEEPiiNS8_4plusIiEEEE10hipError_tPvRmT1_T2_T3_mT4_P12ihipStream_tbEUlT_E0_NS1_11comp_targetILNS1_3genE10ELNS1_11target_archE1201ELNS1_3gpuE5ELNS1_3repE0EEENS1_30default_config_static_selectorELNS0_4arch9wavefront6targetE1EEEvSL_.num_agpr, 0
	.set _ZN7rocprim17ROCPRIM_400000_NS6detail17trampoline_kernelINS0_14default_configENS1_22reduce_config_selectorIiEEZNS1_11reduce_implILb1ES3_N6thrust23THRUST_200600_302600_NS11hip_rocprim35transform_pair_of_input_iterators_tIiPlSB_NS8_12not_equal_toIlEEEEPiiNS8_4plusIiEEEE10hipError_tPvRmT1_T2_T3_mT4_P12ihipStream_tbEUlT_E0_NS1_11comp_targetILNS1_3genE10ELNS1_11target_archE1201ELNS1_3gpuE5ELNS1_3repE0EEENS1_30default_config_static_selectorELNS0_4arch9wavefront6targetE1EEEvSL_.numbered_sgpr, 0
	.set _ZN7rocprim17ROCPRIM_400000_NS6detail17trampoline_kernelINS0_14default_configENS1_22reduce_config_selectorIiEEZNS1_11reduce_implILb1ES3_N6thrust23THRUST_200600_302600_NS11hip_rocprim35transform_pair_of_input_iterators_tIiPlSB_NS8_12not_equal_toIlEEEEPiiNS8_4plusIiEEEE10hipError_tPvRmT1_T2_T3_mT4_P12ihipStream_tbEUlT_E0_NS1_11comp_targetILNS1_3genE10ELNS1_11target_archE1201ELNS1_3gpuE5ELNS1_3repE0EEENS1_30default_config_static_selectorELNS0_4arch9wavefront6targetE1EEEvSL_.num_named_barrier, 0
	.set _ZN7rocprim17ROCPRIM_400000_NS6detail17trampoline_kernelINS0_14default_configENS1_22reduce_config_selectorIiEEZNS1_11reduce_implILb1ES3_N6thrust23THRUST_200600_302600_NS11hip_rocprim35transform_pair_of_input_iterators_tIiPlSB_NS8_12not_equal_toIlEEEEPiiNS8_4plusIiEEEE10hipError_tPvRmT1_T2_T3_mT4_P12ihipStream_tbEUlT_E0_NS1_11comp_targetILNS1_3genE10ELNS1_11target_archE1201ELNS1_3gpuE5ELNS1_3repE0EEENS1_30default_config_static_selectorELNS0_4arch9wavefront6targetE1EEEvSL_.private_seg_size, 0
	.set _ZN7rocprim17ROCPRIM_400000_NS6detail17trampoline_kernelINS0_14default_configENS1_22reduce_config_selectorIiEEZNS1_11reduce_implILb1ES3_N6thrust23THRUST_200600_302600_NS11hip_rocprim35transform_pair_of_input_iterators_tIiPlSB_NS8_12not_equal_toIlEEEEPiiNS8_4plusIiEEEE10hipError_tPvRmT1_T2_T3_mT4_P12ihipStream_tbEUlT_E0_NS1_11comp_targetILNS1_3genE10ELNS1_11target_archE1201ELNS1_3gpuE5ELNS1_3repE0EEENS1_30default_config_static_selectorELNS0_4arch9wavefront6targetE1EEEvSL_.uses_vcc, 0
	.set _ZN7rocprim17ROCPRIM_400000_NS6detail17trampoline_kernelINS0_14default_configENS1_22reduce_config_selectorIiEEZNS1_11reduce_implILb1ES3_N6thrust23THRUST_200600_302600_NS11hip_rocprim35transform_pair_of_input_iterators_tIiPlSB_NS8_12not_equal_toIlEEEEPiiNS8_4plusIiEEEE10hipError_tPvRmT1_T2_T3_mT4_P12ihipStream_tbEUlT_E0_NS1_11comp_targetILNS1_3genE10ELNS1_11target_archE1201ELNS1_3gpuE5ELNS1_3repE0EEENS1_30default_config_static_selectorELNS0_4arch9wavefront6targetE1EEEvSL_.uses_flat_scratch, 0
	.set _ZN7rocprim17ROCPRIM_400000_NS6detail17trampoline_kernelINS0_14default_configENS1_22reduce_config_selectorIiEEZNS1_11reduce_implILb1ES3_N6thrust23THRUST_200600_302600_NS11hip_rocprim35transform_pair_of_input_iterators_tIiPlSB_NS8_12not_equal_toIlEEEEPiiNS8_4plusIiEEEE10hipError_tPvRmT1_T2_T3_mT4_P12ihipStream_tbEUlT_E0_NS1_11comp_targetILNS1_3genE10ELNS1_11target_archE1201ELNS1_3gpuE5ELNS1_3repE0EEENS1_30default_config_static_selectorELNS0_4arch9wavefront6targetE1EEEvSL_.has_dyn_sized_stack, 0
	.set _ZN7rocprim17ROCPRIM_400000_NS6detail17trampoline_kernelINS0_14default_configENS1_22reduce_config_selectorIiEEZNS1_11reduce_implILb1ES3_N6thrust23THRUST_200600_302600_NS11hip_rocprim35transform_pair_of_input_iterators_tIiPlSB_NS8_12not_equal_toIlEEEEPiiNS8_4plusIiEEEE10hipError_tPvRmT1_T2_T3_mT4_P12ihipStream_tbEUlT_E0_NS1_11comp_targetILNS1_3genE10ELNS1_11target_archE1201ELNS1_3gpuE5ELNS1_3repE0EEENS1_30default_config_static_selectorELNS0_4arch9wavefront6targetE1EEEvSL_.has_recursion, 0
	.set _ZN7rocprim17ROCPRIM_400000_NS6detail17trampoline_kernelINS0_14default_configENS1_22reduce_config_selectorIiEEZNS1_11reduce_implILb1ES3_N6thrust23THRUST_200600_302600_NS11hip_rocprim35transform_pair_of_input_iterators_tIiPlSB_NS8_12not_equal_toIlEEEEPiiNS8_4plusIiEEEE10hipError_tPvRmT1_T2_T3_mT4_P12ihipStream_tbEUlT_E0_NS1_11comp_targetILNS1_3genE10ELNS1_11target_archE1201ELNS1_3gpuE5ELNS1_3repE0EEENS1_30default_config_static_selectorELNS0_4arch9wavefront6targetE1EEEvSL_.has_indirect_call, 0
	.section	.AMDGPU.csdata,"",@progbits
; Kernel info:
; codeLenInByte = 0
; TotalNumSgprs: 4
; NumVgprs: 0
; ScratchSize: 0
; MemoryBound: 0
; FloatMode: 240
; IeeeMode: 1
; LDSByteSize: 0 bytes/workgroup (compile time only)
; SGPRBlocks: 0
; VGPRBlocks: 0
; NumSGPRsForWavesPerEU: 4
; NumVGPRsForWavesPerEU: 1
; Occupancy: 10
; WaveLimiterHint : 0
; COMPUTE_PGM_RSRC2:SCRATCH_EN: 0
; COMPUTE_PGM_RSRC2:USER_SGPR: 6
; COMPUTE_PGM_RSRC2:TRAP_HANDLER: 0
; COMPUTE_PGM_RSRC2:TGID_X_EN: 1
; COMPUTE_PGM_RSRC2:TGID_Y_EN: 0
; COMPUTE_PGM_RSRC2:TGID_Z_EN: 0
; COMPUTE_PGM_RSRC2:TIDIG_COMP_CNT: 0
	.section	.text._ZN7rocprim17ROCPRIM_400000_NS6detail17trampoline_kernelINS0_14default_configENS1_22reduce_config_selectorIiEEZNS1_11reduce_implILb1ES3_N6thrust23THRUST_200600_302600_NS11hip_rocprim35transform_pair_of_input_iterators_tIiPlSB_NS8_12not_equal_toIlEEEEPiiNS8_4plusIiEEEE10hipError_tPvRmT1_T2_T3_mT4_P12ihipStream_tbEUlT_E0_NS1_11comp_targetILNS1_3genE10ELNS1_11target_archE1200ELNS1_3gpuE4ELNS1_3repE0EEENS1_30default_config_static_selectorELNS0_4arch9wavefront6targetE1EEEvSL_,"axG",@progbits,_ZN7rocprim17ROCPRIM_400000_NS6detail17trampoline_kernelINS0_14default_configENS1_22reduce_config_selectorIiEEZNS1_11reduce_implILb1ES3_N6thrust23THRUST_200600_302600_NS11hip_rocprim35transform_pair_of_input_iterators_tIiPlSB_NS8_12not_equal_toIlEEEEPiiNS8_4plusIiEEEE10hipError_tPvRmT1_T2_T3_mT4_P12ihipStream_tbEUlT_E0_NS1_11comp_targetILNS1_3genE10ELNS1_11target_archE1200ELNS1_3gpuE4ELNS1_3repE0EEENS1_30default_config_static_selectorELNS0_4arch9wavefront6targetE1EEEvSL_,comdat
	.protected	_ZN7rocprim17ROCPRIM_400000_NS6detail17trampoline_kernelINS0_14default_configENS1_22reduce_config_selectorIiEEZNS1_11reduce_implILb1ES3_N6thrust23THRUST_200600_302600_NS11hip_rocprim35transform_pair_of_input_iterators_tIiPlSB_NS8_12not_equal_toIlEEEEPiiNS8_4plusIiEEEE10hipError_tPvRmT1_T2_T3_mT4_P12ihipStream_tbEUlT_E0_NS1_11comp_targetILNS1_3genE10ELNS1_11target_archE1200ELNS1_3gpuE4ELNS1_3repE0EEENS1_30default_config_static_selectorELNS0_4arch9wavefront6targetE1EEEvSL_ ; -- Begin function _ZN7rocprim17ROCPRIM_400000_NS6detail17trampoline_kernelINS0_14default_configENS1_22reduce_config_selectorIiEEZNS1_11reduce_implILb1ES3_N6thrust23THRUST_200600_302600_NS11hip_rocprim35transform_pair_of_input_iterators_tIiPlSB_NS8_12not_equal_toIlEEEEPiiNS8_4plusIiEEEE10hipError_tPvRmT1_T2_T3_mT4_P12ihipStream_tbEUlT_E0_NS1_11comp_targetILNS1_3genE10ELNS1_11target_archE1200ELNS1_3gpuE4ELNS1_3repE0EEENS1_30default_config_static_selectorELNS0_4arch9wavefront6targetE1EEEvSL_
	.globl	_ZN7rocprim17ROCPRIM_400000_NS6detail17trampoline_kernelINS0_14default_configENS1_22reduce_config_selectorIiEEZNS1_11reduce_implILb1ES3_N6thrust23THRUST_200600_302600_NS11hip_rocprim35transform_pair_of_input_iterators_tIiPlSB_NS8_12not_equal_toIlEEEEPiiNS8_4plusIiEEEE10hipError_tPvRmT1_T2_T3_mT4_P12ihipStream_tbEUlT_E0_NS1_11comp_targetILNS1_3genE10ELNS1_11target_archE1200ELNS1_3gpuE4ELNS1_3repE0EEENS1_30default_config_static_selectorELNS0_4arch9wavefront6targetE1EEEvSL_
	.p2align	8
	.type	_ZN7rocprim17ROCPRIM_400000_NS6detail17trampoline_kernelINS0_14default_configENS1_22reduce_config_selectorIiEEZNS1_11reduce_implILb1ES3_N6thrust23THRUST_200600_302600_NS11hip_rocprim35transform_pair_of_input_iterators_tIiPlSB_NS8_12not_equal_toIlEEEEPiiNS8_4plusIiEEEE10hipError_tPvRmT1_T2_T3_mT4_P12ihipStream_tbEUlT_E0_NS1_11comp_targetILNS1_3genE10ELNS1_11target_archE1200ELNS1_3gpuE4ELNS1_3repE0EEENS1_30default_config_static_selectorELNS0_4arch9wavefront6targetE1EEEvSL_,@function
_ZN7rocprim17ROCPRIM_400000_NS6detail17trampoline_kernelINS0_14default_configENS1_22reduce_config_selectorIiEEZNS1_11reduce_implILb1ES3_N6thrust23THRUST_200600_302600_NS11hip_rocprim35transform_pair_of_input_iterators_tIiPlSB_NS8_12not_equal_toIlEEEEPiiNS8_4plusIiEEEE10hipError_tPvRmT1_T2_T3_mT4_P12ihipStream_tbEUlT_E0_NS1_11comp_targetILNS1_3genE10ELNS1_11target_archE1200ELNS1_3gpuE4ELNS1_3repE0EEENS1_30default_config_static_selectorELNS0_4arch9wavefront6targetE1EEEvSL_: ; @_ZN7rocprim17ROCPRIM_400000_NS6detail17trampoline_kernelINS0_14default_configENS1_22reduce_config_selectorIiEEZNS1_11reduce_implILb1ES3_N6thrust23THRUST_200600_302600_NS11hip_rocprim35transform_pair_of_input_iterators_tIiPlSB_NS8_12not_equal_toIlEEEEPiiNS8_4plusIiEEEE10hipError_tPvRmT1_T2_T3_mT4_P12ihipStream_tbEUlT_E0_NS1_11comp_targetILNS1_3genE10ELNS1_11target_archE1200ELNS1_3gpuE4ELNS1_3repE0EEENS1_30default_config_static_selectorELNS0_4arch9wavefront6targetE1EEEvSL_
; %bb.0:
	.section	.rodata,"a",@progbits
	.p2align	6, 0x0
	.amdhsa_kernel _ZN7rocprim17ROCPRIM_400000_NS6detail17trampoline_kernelINS0_14default_configENS1_22reduce_config_selectorIiEEZNS1_11reduce_implILb1ES3_N6thrust23THRUST_200600_302600_NS11hip_rocprim35transform_pair_of_input_iterators_tIiPlSB_NS8_12not_equal_toIlEEEEPiiNS8_4plusIiEEEE10hipError_tPvRmT1_T2_T3_mT4_P12ihipStream_tbEUlT_E0_NS1_11comp_targetILNS1_3genE10ELNS1_11target_archE1200ELNS1_3gpuE4ELNS1_3repE0EEENS1_30default_config_static_selectorELNS0_4arch9wavefront6targetE1EEEvSL_
		.amdhsa_group_segment_fixed_size 0
		.amdhsa_private_segment_fixed_size 0
		.amdhsa_kernarg_size 72
		.amdhsa_user_sgpr_count 6
		.amdhsa_user_sgpr_private_segment_buffer 1
		.amdhsa_user_sgpr_dispatch_ptr 0
		.amdhsa_user_sgpr_queue_ptr 0
		.amdhsa_user_sgpr_kernarg_segment_ptr 1
		.amdhsa_user_sgpr_dispatch_id 0
		.amdhsa_user_sgpr_flat_scratch_init 0
		.amdhsa_user_sgpr_private_segment_size 0
		.amdhsa_uses_dynamic_stack 0
		.amdhsa_system_sgpr_private_segment_wavefront_offset 0
		.amdhsa_system_sgpr_workgroup_id_x 1
		.amdhsa_system_sgpr_workgroup_id_y 0
		.amdhsa_system_sgpr_workgroup_id_z 0
		.amdhsa_system_sgpr_workgroup_info 0
		.amdhsa_system_vgpr_workitem_id 0
		.amdhsa_next_free_vgpr 1
		.amdhsa_next_free_sgpr 0
		.amdhsa_reserve_vcc 0
		.amdhsa_reserve_flat_scratch 0
		.amdhsa_float_round_mode_32 0
		.amdhsa_float_round_mode_16_64 0
		.amdhsa_float_denorm_mode_32 3
		.amdhsa_float_denorm_mode_16_64 3
		.amdhsa_dx10_clamp 1
		.amdhsa_ieee_mode 1
		.amdhsa_fp16_overflow 0
		.amdhsa_exception_fp_ieee_invalid_op 0
		.amdhsa_exception_fp_denorm_src 0
		.amdhsa_exception_fp_ieee_div_zero 0
		.amdhsa_exception_fp_ieee_overflow 0
		.amdhsa_exception_fp_ieee_underflow 0
		.amdhsa_exception_fp_ieee_inexact 0
		.amdhsa_exception_int_div_zero 0
	.end_amdhsa_kernel
	.section	.text._ZN7rocprim17ROCPRIM_400000_NS6detail17trampoline_kernelINS0_14default_configENS1_22reduce_config_selectorIiEEZNS1_11reduce_implILb1ES3_N6thrust23THRUST_200600_302600_NS11hip_rocprim35transform_pair_of_input_iterators_tIiPlSB_NS8_12not_equal_toIlEEEEPiiNS8_4plusIiEEEE10hipError_tPvRmT1_T2_T3_mT4_P12ihipStream_tbEUlT_E0_NS1_11comp_targetILNS1_3genE10ELNS1_11target_archE1200ELNS1_3gpuE4ELNS1_3repE0EEENS1_30default_config_static_selectorELNS0_4arch9wavefront6targetE1EEEvSL_,"axG",@progbits,_ZN7rocprim17ROCPRIM_400000_NS6detail17trampoline_kernelINS0_14default_configENS1_22reduce_config_selectorIiEEZNS1_11reduce_implILb1ES3_N6thrust23THRUST_200600_302600_NS11hip_rocprim35transform_pair_of_input_iterators_tIiPlSB_NS8_12not_equal_toIlEEEEPiiNS8_4plusIiEEEE10hipError_tPvRmT1_T2_T3_mT4_P12ihipStream_tbEUlT_E0_NS1_11comp_targetILNS1_3genE10ELNS1_11target_archE1200ELNS1_3gpuE4ELNS1_3repE0EEENS1_30default_config_static_selectorELNS0_4arch9wavefront6targetE1EEEvSL_,comdat
.Lfunc_end1192:
	.size	_ZN7rocprim17ROCPRIM_400000_NS6detail17trampoline_kernelINS0_14default_configENS1_22reduce_config_selectorIiEEZNS1_11reduce_implILb1ES3_N6thrust23THRUST_200600_302600_NS11hip_rocprim35transform_pair_of_input_iterators_tIiPlSB_NS8_12not_equal_toIlEEEEPiiNS8_4plusIiEEEE10hipError_tPvRmT1_T2_T3_mT4_P12ihipStream_tbEUlT_E0_NS1_11comp_targetILNS1_3genE10ELNS1_11target_archE1200ELNS1_3gpuE4ELNS1_3repE0EEENS1_30default_config_static_selectorELNS0_4arch9wavefront6targetE1EEEvSL_, .Lfunc_end1192-_ZN7rocprim17ROCPRIM_400000_NS6detail17trampoline_kernelINS0_14default_configENS1_22reduce_config_selectorIiEEZNS1_11reduce_implILb1ES3_N6thrust23THRUST_200600_302600_NS11hip_rocprim35transform_pair_of_input_iterators_tIiPlSB_NS8_12not_equal_toIlEEEEPiiNS8_4plusIiEEEE10hipError_tPvRmT1_T2_T3_mT4_P12ihipStream_tbEUlT_E0_NS1_11comp_targetILNS1_3genE10ELNS1_11target_archE1200ELNS1_3gpuE4ELNS1_3repE0EEENS1_30default_config_static_selectorELNS0_4arch9wavefront6targetE1EEEvSL_
                                        ; -- End function
	.set _ZN7rocprim17ROCPRIM_400000_NS6detail17trampoline_kernelINS0_14default_configENS1_22reduce_config_selectorIiEEZNS1_11reduce_implILb1ES3_N6thrust23THRUST_200600_302600_NS11hip_rocprim35transform_pair_of_input_iterators_tIiPlSB_NS8_12not_equal_toIlEEEEPiiNS8_4plusIiEEEE10hipError_tPvRmT1_T2_T3_mT4_P12ihipStream_tbEUlT_E0_NS1_11comp_targetILNS1_3genE10ELNS1_11target_archE1200ELNS1_3gpuE4ELNS1_3repE0EEENS1_30default_config_static_selectorELNS0_4arch9wavefront6targetE1EEEvSL_.num_vgpr, 0
	.set _ZN7rocprim17ROCPRIM_400000_NS6detail17trampoline_kernelINS0_14default_configENS1_22reduce_config_selectorIiEEZNS1_11reduce_implILb1ES3_N6thrust23THRUST_200600_302600_NS11hip_rocprim35transform_pair_of_input_iterators_tIiPlSB_NS8_12not_equal_toIlEEEEPiiNS8_4plusIiEEEE10hipError_tPvRmT1_T2_T3_mT4_P12ihipStream_tbEUlT_E0_NS1_11comp_targetILNS1_3genE10ELNS1_11target_archE1200ELNS1_3gpuE4ELNS1_3repE0EEENS1_30default_config_static_selectorELNS0_4arch9wavefront6targetE1EEEvSL_.num_agpr, 0
	.set _ZN7rocprim17ROCPRIM_400000_NS6detail17trampoline_kernelINS0_14default_configENS1_22reduce_config_selectorIiEEZNS1_11reduce_implILb1ES3_N6thrust23THRUST_200600_302600_NS11hip_rocprim35transform_pair_of_input_iterators_tIiPlSB_NS8_12not_equal_toIlEEEEPiiNS8_4plusIiEEEE10hipError_tPvRmT1_T2_T3_mT4_P12ihipStream_tbEUlT_E0_NS1_11comp_targetILNS1_3genE10ELNS1_11target_archE1200ELNS1_3gpuE4ELNS1_3repE0EEENS1_30default_config_static_selectorELNS0_4arch9wavefront6targetE1EEEvSL_.numbered_sgpr, 0
	.set _ZN7rocprim17ROCPRIM_400000_NS6detail17trampoline_kernelINS0_14default_configENS1_22reduce_config_selectorIiEEZNS1_11reduce_implILb1ES3_N6thrust23THRUST_200600_302600_NS11hip_rocprim35transform_pair_of_input_iterators_tIiPlSB_NS8_12not_equal_toIlEEEEPiiNS8_4plusIiEEEE10hipError_tPvRmT1_T2_T3_mT4_P12ihipStream_tbEUlT_E0_NS1_11comp_targetILNS1_3genE10ELNS1_11target_archE1200ELNS1_3gpuE4ELNS1_3repE0EEENS1_30default_config_static_selectorELNS0_4arch9wavefront6targetE1EEEvSL_.num_named_barrier, 0
	.set _ZN7rocprim17ROCPRIM_400000_NS6detail17trampoline_kernelINS0_14default_configENS1_22reduce_config_selectorIiEEZNS1_11reduce_implILb1ES3_N6thrust23THRUST_200600_302600_NS11hip_rocprim35transform_pair_of_input_iterators_tIiPlSB_NS8_12not_equal_toIlEEEEPiiNS8_4plusIiEEEE10hipError_tPvRmT1_T2_T3_mT4_P12ihipStream_tbEUlT_E0_NS1_11comp_targetILNS1_3genE10ELNS1_11target_archE1200ELNS1_3gpuE4ELNS1_3repE0EEENS1_30default_config_static_selectorELNS0_4arch9wavefront6targetE1EEEvSL_.private_seg_size, 0
	.set _ZN7rocprim17ROCPRIM_400000_NS6detail17trampoline_kernelINS0_14default_configENS1_22reduce_config_selectorIiEEZNS1_11reduce_implILb1ES3_N6thrust23THRUST_200600_302600_NS11hip_rocprim35transform_pair_of_input_iterators_tIiPlSB_NS8_12not_equal_toIlEEEEPiiNS8_4plusIiEEEE10hipError_tPvRmT1_T2_T3_mT4_P12ihipStream_tbEUlT_E0_NS1_11comp_targetILNS1_3genE10ELNS1_11target_archE1200ELNS1_3gpuE4ELNS1_3repE0EEENS1_30default_config_static_selectorELNS0_4arch9wavefront6targetE1EEEvSL_.uses_vcc, 0
	.set _ZN7rocprim17ROCPRIM_400000_NS6detail17trampoline_kernelINS0_14default_configENS1_22reduce_config_selectorIiEEZNS1_11reduce_implILb1ES3_N6thrust23THRUST_200600_302600_NS11hip_rocprim35transform_pair_of_input_iterators_tIiPlSB_NS8_12not_equal_toIlEEEEPiiNS8_4plusIiEEEE10hipError_tPvRmT1_T2_T3_mT4_P12ihipStream_tbEUlT_E0_NS1_11comp_targetILNS1_3genE10ELNS1_11target_archE1200ELNS1_3gpuE4ELNS1_3repE0EEENS1_30default_config_static_selectorELNS0_4arch9wavefront6targetE1EEEvSL_.uses_flat_scratch, 0
	.set _ZN7rocprim17ROCPRIM_400000_NS6detail17trampoline_kernelINS0_14default_configENS1_22reduce_config_selectorIiEEZNS1_11reduce_implILb1ES3_N6thrust23THRUST_200600_302600_NS11hip_rocprim35transform_pair_of_input_iterators_tIiPlSB_NS8_12not_equal_toIlEEEEPiiNS8_4plusIiEEEE10hipError_tPvRmT1_T2_T3_mT4_P12ihipStream_tbEUlT_E0_NS1_11comp_targetILNS1_3genE10ELNS1_11target_archE1200ELNS1_3gpuE4ELNS1_3repE0EEENS1_30default_config_static_selectorELNS0_4arch9wavefront6targetE1EEEvSL_.has_dyn_sized_stack, 0
	.set _ZN7rocprim17ROCPRIM_400000_NS6detail17trampoline_kernelINS0_14default_configENS1_22reduce_config_selectorIiEEZNS1_11reduce_implILb1ES3_N6thrust23THRUST_200600_302600_NS11hip_rocprim35transform_pair_of_input_iterators_tIiPlSB_NS8_12not_equal_toIlEEEEPiiNS8_4plusIiEEEE10hipError_tPvRmT1_T2_T3_mT4_P12ihipStream_tbEUlT_E0_NS1_11comp_targetILNS1_3genE10ELNS1_11target_archE1200ELNS1_3gpuE4ELNS1_3repE0EEENS1_30default_config_static_selectorELNS0_4arch9wavefront6targetE1EEEvSL_.has_recursion, 0
	.set _ZN7rocprim17ROCPRIM_400000_NS6detail17trampoline_kernelINS0_14default_configENS1_22reduce_config_selectorIiEEZNS1_11reduce_implILb1ES3_N6thrust23THRUST_200600_302600_NS11hip_rocprim35transform_pair_of_input_iterators_tIiPlSB_NS8_12not_equal_toIlEEEEPiiNS8_4plusIiEEEE10hipError_tPvRmT1_T2_T3_mT4_P12ihipStream_tbEUlT_E0_NS1_11comp_targetILNS1_3genE10ELNS1_11target_archE1200ELNS1_3gpuE4ELNS1_3repE0EEENS1_30default_config_static_selectorELNS0_4arch9wavefront6targetE1EEEvSL_.has_indirect_call, 0
	.section	.AMDGPU.csdata,"",@progbits
; Kernel info:
; codeLenInByte = 0
; TotalNumSgprs: 4
; NumVgprs: 0
; ScratchSize: 0
; MemoryBound: 0
; FloatMode: 240
; IeeeMode: 1
; LDSByteSize: 0 bytes/workgroup (compile time only)
; SGPRBlocks: 0
; VGPRBlocks: 0
; NumSGPRsForWavesPerEU: 4
; NumVGPRsForWavesPerEU: 1
; Occupancy: 10
; WaveLimiterHint : 0
; COMPUTE_PGM_RSRC2:SCRATCH_EN: 0
; COMPUTE_PGM_RSRC2:USER_SGPR: 6
; COMPUTE_PGM_RSRC2:TRAP_HANDLER: 0
; COMPUTE_PGM_RSRC2:TGID_X_EN: 1
; COMPUTE_PGM_RSRC2:TGID_Y_EN: 0
; COMPUTE_PGM_RSRC2:TGID_Z_EN: 0
; COMPUTE_PGM_RSRC2:TIDIG_COMP_CNT: 0
	.section	.text._ZN7rocprim17ROCPRIM_400000_NS6detail17trampoline_kernelINS0_14default_configENS1_22reduce_config_selectorIiEEZNS1_11reduce_implILb1ES3_N6thrust23THRUST_200600_302600_NS11hip_rocprim35transform_pair_of_input_iterators_tIiPlSB_NS8_12not_equal_toIlEEEEPiiNS8_4plusIiEEEE10hipError_tPvRmT1_T2_T3_mT4_P12ihipStream_tbEUlT_E0_NS1_11comp_targetILNS1_3genE9ELNS1_11target_archE1100ELNS1_3gpuE3ELNS1_3repE0EEENS1_30default_config_static_selectorELNS0_4arch9wavefront6targetE1EEEvSL_,"axG",@progbits,_ZN7rocprim17ROCPRIM_400000_NS6detail17trampoline_kernelINS0_14default_configENS1_22reduce_config_selectorIiEEZNS1_11reduce_implILb1ES3_N6thrust23THRUST_200600_302600_NS11hip_rocprim35transform_pair_of_input_iterators_tIiPlSB_NS8_12not_equal_toIlEEEEPiiNS8_4plusIiEEEE10hipError_tPvRmT1_T2_T3_mT4_P12ihipStream_tbEUlT_E0_NS1_11comp_targetILNS1_3genE9ELNS1_11target_archE1100ELNS1_3gpuE3ELNS1_3repE0EEENS1_30default_config_static_selectorELNS0_4arch9wavefront6targetE1EEEvSL_,comdat
	.protected	_ZN7rocprim17ROCPRIM_400000_NS6detail17trampoline_kernelINS0_14default_configENS1_22reduce_config_selectorIiEEZNS1_11reduce_implILb1ES3_N6thrust23THRUST_200600_302600_NS11hip_rocprim35transform_pair_of_input_iterators_tIiPlSB_NS8_12not_equal_toIlEEEEPiiNS8_4plusIiEEEE10hipError_tPvRmT1_T2_T3_mT4_P12ihipStream_tbEUlT_E0_NS1_11comp_targetILNS1_3genE9ELNS1_11target_archE1100ELNS1_3gpuE3ELNS1_3repE0EEENS1_30default_config_static_selectorELNS0_4arch9wavefront6targetE1EEEvSL_ ; -- Begin function _ZN7rocprim17ROCPRIM_400000_NS6detail17trampoline_kernelINS0_14default_configENS1_22reduce_config_selectorIiEEZNS1_11reduce_implILb1ES3_N6thrust23THRUST_200600_302600_NS11hip_rocprim35transform_pair_of_input_iterators_tIiPlSB_NS8_12not_equal_toIlEEEEPiiNS8_4plusIiEEEE10hipError_tPvRmT1_T2_T3_mT4_P12ihipStream_tbEUlT_E0_NS1_11comp_targetILNS1_3genE9ELNS1_11target_archE1100ELNS1_3gpuE3ELNS1_3repE0EEENS1_30default_config_static_selectorELNS0_4arch9wavefront6targetE1EEEvSL_
	.globl	_ZN7rocprim17ROCPRIM_400000_NS6detail17trampoline_kernelINS0_14default_configENS1_22reduce_config_selectorIiEEZNS1_11reduce_implILb1ES3_N6thrust23THRUST_200600_302600_NS11hip_rocprim35transform_pair_of_input_iterators_tIiPlSB_NS8_12not_equal_toIlEEEEPiiNS8_4plusIiEEEE10hipError_tPvRmT1_T2_T3_mT4_P12ihipStream_tbEUlT_E0_NS1_11comp_targetILNS1_3genE9ELNS1_11target_archE1100ELNS1_3gpuE3ELNS1_3repE0EEENS1_30default_config_static_selectorELNS0_4arch9wavefront6targetE1EEEvSL_
	.p2align	8
	.type	_ZN7rocprim17ROCPRIM_400000_NS6detail17trampoline_kernelINS0_14default_configENS1_22reduce_config_selectorIiEEZNS1_11reduce_implILb1ES3_N6thrust23THRUST_200600_302600_NS11hip_rocprim35transform_pair_of_input_iterators_tIiPlSB_NS8_12not_equal_toIlEEEEPiiNS8_4plusIiEEEE10hipError_tPvRmT1_T2_T3_mT4_P12ihipStream_tbEUlT_E0_NS1_11comp_targetILNS1_3genE9ELNS1_11target_archE1100ELNS1_3gpuE3ELNS1_3repE0EEENS1_30default_config_static_selectorELNS0_4arch9wavefront6targetE1EEEvSL_,@function
_ZN7rocprim17ROCPRIM_400000_NS6detail17trampoline_kernelINS0_14default_configENS1_22reduce_config_selectorIiEEZNS1_11reduce_implILb1ES3_N6thrust23THRUST_200600_302600_NS11hip_rocprim35transform_pair_of_input_iterators_tIiPlSB_NS8_12not_equal_toIlEEEEPiiNS8_4plusIiEEEE10hipError_tPvRmT1_T2_T3_mT4_P12ihipStream_tbEUlT_E0_NS1_11comp_targetILNS1_3genE9ELNS1_11target_archE1100ELNS1_3gpuE3ELNS1_3repE0EEENS1_30default_config_static_selectorELNS0_4arch9wavefront6targetE1EEEvSL_: ; @_ZN7rocprim17ROCPRIM_400000_NS6detail17trampoline_kernelINS0_14default_configENS1_22reduce_config_selectorIiEEZNS1_11reduce_implILb1ES3_N6thrust23THRUST_200600_302600_NS11hip_rocprim35transform_pair_of_input_iterators_tIiPlSB_NS8_12not_equal_toIlEEEEPiiNS8_4plusIiEEEE10hipError_tPvRmT1_T2_T3_mT4_P12ihipStream_tbEUlT_E0_NS1_11comp_targetILNS1_3genE9ELNS1_11target_archE1100ELNS1_3gpuE3ELNS1_3repE0EEENS1_30default_config_static_selectorELNS0_4arch9wavefront6targetE1EEEvSL_
; %bb.0:
	.section	.rodata,"a",@progbits
	.p2align	6, 0x0
	.amdhsa_kernel _ZN7rocprim17ROCPRIM_400000_NS6detail17trampoline_kernelINS0_14default_configENS1_22reduce_config_selectorIiEEZNS1_11reduce_implILb1ES3_N6thrust23THRUST_200600_302600_NS11hip_rocprim35transform_pair_of_input_iterators_tIiPlSB_NS8_12not_equal_toIlEEEEPiiNS8_4plusIiEEEE10hipError_tPvRmT1_T2_T3_mT4_P12ihipStream_tbEUlT_E0_NS1_11comp_targetILNS1_3genE9ELNS1_11target_archE1100ELNS1_3gpuE3ELNS1_3repE0EEENS1_30default_config_static_selectorELNS0_4arch9wavefront6targetE1EEEvSL_
		.amdhsa_group_segment_fixed_size 0
		.amdhsa_private_segment_fixed_size 0
		.amdhsa_kernarg_size 72
		.amdhsa_user_sgpr_count 6
		.amdhsa_user_sgpr_private_segment_buffer 1
		.amdhsa_user_sgpr_dispatch_ptr 0
		.amdhsa_user_sgpr_queue_ptr 0
		.amdhsa_user_sgpr_kernarg_segment_ptr 1
		.amdhsa_user_sgpr_dispatch_id 0
		.amdhsa_user_sgpr_flat_scratch_init 0
		.amdhsa_user_sgpr_private_segment_size 0
		.amdhsa_uses_dynamic_stack 0
		.amdhsa_system_sgpr_private_segment_wavefront_offset 0
		.amdhsa_system_sgpr_workgroup_id_x 1
		.amdhsa_system_sgpr_workgroup_id_y 0
		.amdhsa_system_sgpr_workgroup_id_z 0
		.amdhsa_system_sgpr_workgroup_info 0
		.amdhsa_system_vgpr_workitem_id 0
		.amdhsa_next_free_vgpr 1
		.amdhsa_next_free_sgpr 0
		.amdhsa_reserve_vcc 0
		.amdhsa_reserve_flat_scratch 0
		.amdhsa_float_round_mode_32 0
		.amdhsa_float_round_mode_16_64 0
		.amdhsa_float_denorm_mode_32 3
		.amdhsa_float_denorm_mode_16_64 3
		.amdhsa_dx10_clamp 1
		.amdhsa_ieee_mode 1
		.amdhsa_fp16_overflow 0
		.amdhsa_exception_fp_ieee_invalid_op 0
		.amdhsa_exception_fp_denorm_src 0
		.amdhsa_exception_fp_ieee_div_zero 0
		.amdhsa_exception_fp_ieee_overflow 0
		.amdhsa_exception_fp_ieee_underflow 0
		.amdhsa_exception_fp_ieee_inexact 0
		.amdhsa_exception_int_div_zero 0
	.end_amdhsa_kernel
	.section	.text._ZN7rocprim17ROCPRIM_400000_NS6detail17trampoline_kernelINS0_14default_configENS1_22reduce_config_selectorIiEEZNS1_11reduce_implILb1ES3_N6thrust23THRUST_200600_302600_NS11hip_rocprim35transform_pair_of_input_iterators_tIiPlSB_NS8_12not_equal_toIlEEEEPiiNS8_4plusIiEEEE10hipError_tPvRmT1_T2_T3_mT4_P12ihipStream_tbEUlT_E0_NS1_11comp_targetILNS1_3genE9ELNS1_11target_archE1100ELNS1_3gpuE3ELNS1_3repE0EEENS1_30default_config_static_selectorELNS0_4arch9wavefront6targetE1EEEvSL_,"axG",@progbits,_ZN7rocprim17ROCPRIM_400000_NS6detail17trampoline_kernelINS0_14default_configENS1_22reduce_config_selectorIiEEZNS1_11reduce_implILb1ES3_N6thrust23THRUST_200600_302600_NS11hip_rocprim35transform_pair_of_input_iterators_tIiPlSB_NS8_12not_equal_toIlEEEEPiiNS8_4plusIiEEEE10hipError_tPvRmT1_T2_T3_mT4_P12ihipStream_tbEUlT_E0_NS1_11comp_targetILNS1_3genE9ELNS1_11target_archE1100ELNS1_3gpuE3ELNS1_3repE0EEENS1_30default_config_static_selectorELNS0_4arch9wavefront6targetE1EEEvSL_,comdat
.Lfunc_end1193:
	.size	_ZN7rocprim17ROCPRIM_400000_NS6detail17trampoline_kernelINS0_14default_configENS1_22reduce_config_selectorIiEEZNS1_11reduce_implILb1ES3_N6thrust23THRUST_200600_302600_NS11hip_rocprim35transform_pair_of_input_iterators_tIiPlSB_NS8_12not_equal_toIlEEEEPiiNS8_4plusIiEEEE10hipError_tPvRmT1_T2_T3_mT4_P12ihipStream_tbEUlT_E0_NS1_11comp_targetILNS1_3genE9ELNS1_11target_archE1100ELNS1_3gpuE3ELNS1_3repE0EEENS1_30default_config_static_selectorELNS0_4arch9wavefront6targetE1EEEvSL_, .Lfunc_end1193-_ZN7rocprim17ROCPRIM_400000_NS6detail17trampoline_kernelINS0_14default_configENS1_22reduce_config_selectorIiEEZNS1_11reduce_implILb1ES3_N6thrust23THRUST_200600_302600_NS11hip_rocprim35transform_pair_of_input_iterators_tIiPlSB_NS8_12not_equal_toIlEEEEPiiNS8_4plusIiEEEE10hipError_tPvRmT1_T2_T3_mT4_P12ihipStream_tbEUlT_E0_NS1_11comp_targetILNS1_3genE9ELNS1_11target_archE1100ELNS1_3gpuE3ELNS1_3repE0EEENS1_30default_config_static_selectorELNS0_4arch9wavefront6targetE1EEEvSL_
                                        ; -- End function
	.set _ZN7rocprim17ROCPRIM_400000_NS6detail17trampoline_kernelINS0_14default_configENS1_22reduce_config_selectorIiEEZNS1_11reduce_implILb1ES3_N6thrust23THRUST_200600_302600_NS11hip_rocprim35transform_pair_of_input_iterators_tIiPlSB_NS8_12not_equal_toIlEEEEPiiNS8_4plusIiEEEE10hipError_tPvRmT1_T2_T3_mT4_P12ihipStream_tbEUlT_E0_NS1_11comp_targetILNS1_3genE9ELNS1_11target_archE1100ELNS1_3gpuE3ELNS1_3repE0EEENS1_30default_config_static_selectorELNS0_4arch9wavefront6targetE1EEEvSL_.num_vgpr, 0
	.set _ZN7rocprim17ROCPRIM_400000_NS6detail17trampoline_kernelINS0_14default_configENS1_22reduce_config_selectorIiEEZNS1_11reduce_implILb1ES3_N6thrust23THRUST_200600_302600_NS11hip_rocprim35transform_pair_of_input_iterators_tIiPlSB_NS8_12not_equal_toIlEEEEPiiNS8_4plusIiEEEE10hipError_tPvRmT1_T2_T3_mT4_P12ihipStream_tbEUlT_E0_NS1_11comp_targetILNS1_3genE9ELNS1_11target_archE1100ELNS1_3gpuE3ELNS1_3repE0EEENS1_30default_config_static_selectorELNS0_4arch9wavefront6targetE1EEEvSL_.num_agpr, 0
	.set _ZN7rocprim17ROCPRIM_400000_NS6detail17trampoline_kernelINS0_14default_configENS1_22reduce_config_selectorIiEEZNS1_11reduce_implILb1ES3_N6thrust23THRUST_200600_302600_NS11hip_rocprim35transform_pair_of_input_iterators_tIiPlSB_NS8_12not_equal_toIlEEEEPiiNS8_4plusIiEEEE10hipError_tPvRmT1_T2_T3_mT4_P12ihipStream_tbEUlT_E0_NS1_11comp_targetILNS1_3genE9ELNS1_11target_archE1100ELNS1_3gpuE3ELNS1_3repE0EEENS1_30default_config_static_selectorELNS0_4arch9wavefront6targetE1EEEvSL_.numbered_sgpr, 0
	.set _ZN7rocprim17ROCPRIM_400000_NS6detail17trampoline_kernelINS0_14default_configENS1_22reduce_config_selectorIiEEZNS1_11reduce_implILb1ES3_N6thrust23THRUST_200600_302600_NS11hip_rocprim35transform_pair_of_input_iterators_tIiPlSB_NS8_12not_equal_toIlEEEEPiiNS8_4plusIiEEEE10hipError_tPvRmT1_T2_T3_mT4_P12ihipStream_tbEUlT_E0_NS1_11comp_targetILNS1_3genE9ELNS1_11target_archE1100ELNS1_3gpuE3ELNS1_3repE0EEENS1_30default_config_static_selectorELNS0_4arch9wavefront6targetE1EEEvSL_.num_named_barrier, 0
	.set _ZN7rocprim17ROCPRIM_400000_NS6detail17trampoline_kernelINS0_14default_configENS1_22reduce_config_selectorIiEEZNS1_11reduce_implILb1ES3_N6thrust23THRUST_200600_302600_NS11hip_rocprim35transform_pair_of_input_iterators_tIiPlSB_NS8_12not_equal_toIlEEEEPiiNS8_4plusIiEEEE10hipError_tPvRmT1_T2_T3_mT4_P12ihipStream_tbEUlT_E0_NS1_11comp_targetILNS1_3genE9ELNS1_11target_archE1100ELNS1_3gpuE3ELNS1_3repE0EEENS1_30default_config_static_selectorELNS0_4arch9wavefront6targetE1EEEvSL_.private_seg_size, 0
	.set _ZN7rocprim17ROCPRIM_400000_NS6detail17trampoline_kernelINS0_14default_configENS1_22reduce_config_selectorIiEEZNS1_11reduce_implILb1ES3_N6thrust23THRUST_200600_302600_NS11hip_rocprim35transform_pair_of_input_iterators_tIiPlSB_NS8_12not_equal_toIlEEEEPiiNS8_4plusIiEEEE10hipError_tPvRmT1_T2_T3_mT4_P12ihipStream_tbEUlT_E0_NS1_11comp_targetILNS1_3genE9ELNS1_11target_archE1100ELNS1_3gpuE3ELNS1_3repE0EEENS1_30default_config_static_selectorELNS0_4arch9wavefront6targetE1EEEvSL_.uses_vcc, 0
	.set _ZN7rocprim17ROCPRIM_400000_NS6detail17trampoline_kernelINS0_14default_configENS1_22reduce_config_selectorIiEEZNS1_11reduce_implILb1ES3_N6thrust23THRUST_200600_302600_NS11hip_rocprim35transform_pair_of_input_iterators_tIiPlSB_NS8_12not_equal_toIlEEEEPiiNS8_4plusIiEEEE10hipError_tPvRmT1_T2_T3_mT4_P12ihipStream_tbEUlT_E0_NS1_11comp_targetILNS1_3genE9ELNS1_11target_archE1100ELNS1_3gpuE3ELNS1_3repE0EEENS1_30default_config_static_selectorELNS0_4arch9wavefront6targetE1EEEvSL_.uses_flat_scratch, 0
	.set _ZN7rocprim17ROCPRIM_400000_NS6detail17trampoline_kernelINS0_14default_configENS1_22reduce_config_selectorIiEEZNS1_11reduce_implILb1ES3_N6thrust23THRUST_200600_302600_NS11hip_rocprim35transform_pair_of_input_iterators_tIiPlSB_NS8_12not_equal_toIlEEEEPiiNS8_4plusIiEEEE10hipError_tPvRmT1_T2_T3_mT4_P12ihipStream_tbEUlT_E0_NS1_11comp_targetILNS1_3genE9ELNS1_11target_archE1100ELNS1_3gpuE3ELNS1_3repE0EEENS1_30default_config_static_selectorELNS0_4arch9wavefront6targetE1EEEvSL_.has_dyn_sized_stack, 0
	.set _ZN7rocprim17ROCPRIM_400000_NS6detail17trampoline_kernelINS0_14default_configENS1_22reduce_config_selectorIiEEZNS1_11reduce_implILb1ES3_N6thrust23THRUST_200600_302600_NS11hip_rocprim35transform_pair_of_input_iterators_tIiPlSB_NS8_12not_equal_toIlEEEEPiiNS8_4plusIiEEEE10hipError_tPvRmT1_T2_T3_mT4_P12ihipStream_tbEUlT_E0_NS1_11comp_targetILNS1_3genE9ELNS1_11target_archE1100ELNS1_3gpuE3ELNS1_3repE0EEENS1_30default_config_static_selectorELNS0_4arch9wavefront6targetE1EEEvSL_.has_recursion, 0
	.set _ZN7rocprim17ROCPRIM_400000_NS6detail17trampoline_kernelINS0_14default_configENS1_22reduce_config_selectorIiEEZNS1_11reduce_implILb1ES3_N6thrust23THRUST_200600_302600_NS11hip_rocprim35transform_pair_of_input_iterators_tIiPlSB_NS8_12not_equal_toIlEEEEPiiNS8_4plusIiEEEE10hipError_tPvRmT1_T2_T3_mT4_P12ihipStream_tbEUlT_E0_NS1_11comp_targetILNS1_3genE9ELNS1_11target_archE1100ELNS1_3gpuE3ELNS1_3repE0EEENS1_30default_config_static_selectorELNS0_4arch9wavefront6targetE1EEEvSL_.has_indirect_call, 0
	.section	.AMDGPU.csdata,"",@progbits
; Kernel info:
; codeLenInByte = 0
; TotalNumSgprs: 4
; NumVgprs: 0
; ScratchSize: 0
; MemoryBound: 0
; FloatMode: 240
; IeeeMode: 1
; LDSByteSize: 0 bytes/workgroup (compile time only)
; SGPRBlocks: 0
; VGPRBlocks: 0
; NumSGPRsForWavesPerEU: 4
; NumVGPRsForWavesPerEU: 1
; Occupancy: 10
; WaveLimiterHint : 0
; COMPUTE_PGM_RSRC2:SCRATCH_EN: 0
; COMPUTE_PGM_RSRC2:USER_SGPR: 6
; COMPUTE_PGM_RSRC2:TRAP_HANDLER: 0
; COMPUTE_PGM_RSRC2:TGID_X_EN: 1
; COMPUTE_PGM_RSRC2:TGID_Y_EN: 0
; COMPUTE_PGM_RSRC2:TGID_Z_EN: 0
; COMPUTE_PGM_RSRC2:TIDIG_COMP_CNT: 0
	.section	.text._ZN7rocprim17ROCPRIM_400000_NS6detail17trampoline_kernelINS0_14default_configENS1_22reduce_config_selectorIiEEZNS1_11reduce_implILb1ES3_N6thrust23THRUST_200600_302600_NS11hip_rocprim35transform_pair_of_input_iterators_tIiPlSB_NS8_12not_equal_toIlEEEEPiiNS8_4plusIiEEEE10hipError_tPvRmT1_T2_T3_mT4_P12ihipStream_tbEUlT_E0_NS1_11comp_targetILNS1_3genE8ELNS1_11target_archE1030ELNS1_3gpuE2ELNS1_3repE0EEENS1_30default_config_static_selectorELNS0_4arch9wavefront6targetE1EEEvSL_,"axG",@progbits,_ZN7rocprim17ROCPRIM_400000_NS6detail17trampoline_kernelINS0_14default_configENS1_22reduce_config_selectorIiEEZNS1_11reduce_implILb1ES3_N6thrust23THRUST_200600_302600_NS11hip_rocprim35transform_pair_of_input_iterators_tIiPlSB_NS8_12not_equal_toIlEEEEPiiNS8_4plusIiEEEE10hipError_tPvRmT1_T2_T3_mT4_P12ihipStream_tbEUlT_E0_NS1_11comp_targetILNS1_3genE8ELNS1_11target_archE1030ELNS1_3gpuE2ELNS1_3repE0EEENS1_30default_config_static_selectorELNS0_4arch9wavefront6targetE1EEEvSL_,comdat
	.protected	_ZN7rocprim17ROCPRIM_400000_NS6detail17trampoline_kernelINS0_14default_configENS1_22reduce_config_selectorIiEEZNS1_11reduce_implILb1ES3_N6thrust23THRUST_200600_302600_NS11hip_rocprim35transform_pair_of_input_iterators_tIiPlSB_NS8_12not_equal_toIlEEEEPiiNS8_4plusIiEEEE10hipError_tPvRmT1_T2_T3_mT4_P12ihipStream_tbEUlT_E0_NS1_11comp_targetILNS1_3genE8ELNS1_11target_archE1030ELNS1_3gpuE2ELNS1_3repE0EEENS1_30default_config_static_selectorELNS0_4arch9wavefront6targetE1EEEvSL_ ; -- Begin function _ZN7rocprim17ROCPRIM_400000_NS6detail17trampoline_kernelINS0_14default_configENS1_22reduce_config_selectorIiEEZNS1_11reduce_implILb1ES3_N6thrust23THRUST_200600_302600_NS11hip_rocprim35transform_pair_of_input_iterators_tIiPlSB_NS8_12not_equal_toIlEEEEPiiNS8_4plusIiEEEE10hipError_tPvRmT1_T2_T3_mT4_P12ihipStream_tbEUlT_E0_NS1_11comp_targetILNS1_3genE8ELNS1_11target_archE1030ELNS1_3gpuE2ELNS1_3repE0EEENS1_30default_config_static_selectorELNS0_4arch9wavefront6targetE1EEEvSL_
	.globl	_ZN7rocprim17ROCPRIM_400000_NS6detail17trampoline_kernelINS0_14default_configENS1_22reduce_config_selectorIiEEZNS1_11reduce_implILb1ES3_N6thrust23THRUST_200600_302600_NS11hip_rocprim35transform_pair_of_input_iterators_tIiPlSB_NS8_12not_equal_toIlEEEEPiiNS8_4plusIiEEEE10hipError_tPvRmT1_T2_T3_mT4_P12ihipStream_tbEUlT_E0_NS1_11comp_targetILNS1_3genE8ELNS1_11target_archE1030ELNS1_3gpuE2ELNS1_3repE0EEENS1_30default_config_static_selectorELNS0_4arch9wavefront6targetE1EEEvSL_
	.p2align	8
	.type	_ZN7rocprim17ROCPRIM_400000_NS6detail17trampoline_kernelINS0_14default_configENS1_22reduce_config_selectorIiEEZNS1_11reduce_implILb1ES3_N6thrust23THRUST_200600_302600_NS11hip_rocprim35transform_pair_of_input_iterators_tIiPlSB_NS8_12not_equal_toIlEEEEPiiNS8_4plusIiEEEE10hipError_tPvRmT1_T2_T3_mT4_P12ihipStream_tbEUlT_E0_NS1_11comp_targetILNS1_3genE8ELNS1_11target_archE1030ELNS1_3gpuE2ELNS1_3repE0EEENS1_30default_config_static_selectorELNS0_4arch9wavefront6targetE1EEEvSL_,@function
_ZN7rocprim17ROCPRIM_400000_NS6detail17trampoline_kernelINS0_14default_configENS1_22reduce_config_selectorIiEEZNS1_11reduce_implILb1ES3_N6thrust23THRUST_200600_302600_NS11hip_rocprim35transform_pair_of_input_iterators_tIiPlSB_NS8_12not_equal_toIlEEEEPiiNS8_4plusIiEEEE10hipError_tPvRmT1_T2_T3_mT4_P12ihipStream_tbEUlT_E0_NS1_11comp_targetILNS1_3genE8ELNS1_11target_archE1030ELNS1_3gpuE2ELNS1_3repE0EEENS1_30default_config_static_selectorELNS0_4arch9wavefront6targetE1EEEvSL_: ; @_ZN7rocprim17ROCPRIM_400000_NS6detail17trampoline_kernelINS0_14default_configENS1_22reduce_config_selectorIiEEZNS1_11reduce_implILb1ES3_N6thrust23THRUST_200600_302600_NS11hip_rocprim35transform_pair_of_input_iterators_tIiPlSB_NS8_12not_equal_toIlEEEEPiiNS8_4plusIiEEEE10hipError_tPvRmT1_T2_T3_mT4_P12ihipStream_tbEUlT_E0_NS1_11comp_targetILNS1_3genE8ELNS1_11target_archE1030ELNS1_3gpuE2ELNS1_3repE0EEENS1_30default_config_static_selectorELNS0_4arch9wavefront6targetE1EEEvSL_
; %bb.0:
	.section	.rodata,"a",@progbits
	.p2align	6, 0x0
	.amdhsa_kernel _ZN7rocprim17ROCPRIM_400000_NS6detail17trampoline_kernelINS0_14default_configENS1_22reduce_config_selectorIiEEZNS1_11reduce_implILb1ES3_N6thrust23THRUST_200600_302600_NS11hip_rocprim35transform_pair_of_input_iterators_tIiPlSB_NS8_12not_equal_toIlEEEEPiiNS8_4plusIiEEEE10hipError_tPvRmT1_T2_T3_mT4_P12ihipStream_tbEUlT_E0_NS1_11comp_targetILNS1_3genE8ELNS1_11target_archE1030ELNS1_3gpuE2ELNS1_3repE0EEENS1_30default_config_static_selectorELNS0_4arch9wavefront6targetE1EEEvSL_
		.amdhsa_group_segment_fixed_size 0
		.amdhsa_private_segment_fixed_size 0
		.amdhsa_kernarg_size 72
		.amdhsa_user_sgpr_count 6
		.amdhsa_user_sgpr_private_segment_buffer 1
		.amdhsa_user_sgpr_dispatch_ptr 0
		.amdhsa_user_sgpr_queue_ptr 0
		.amdhsa_user_sgpr_kernarg_segment_ptr 1
		.amdhsa_user_sgpr_dispatch_id 0
		.amdhsa_user_sgpr_flat_scratch_init 0
		.amdhsa_user_sgpr_private_segment_size 0
		.amdhsa_uses_dynamic_stack 0
		.amdhsa_system_sgpr_private_segment_wavefront_offset 0
		.amdhsa_system_sgpr_workgroup_id_x 1
		.amdhsa_system_sgpr_workgroup_id_y 0
		.amdhsa_system_sgpr_workgroup_id_z 0
		.amdhsa_system_sgpr_workgroup_info 0
		.amdhsa_system_vgpr_workitem_id 0
		.amdhsa_next_free_vgpr 1
		.amdhsa_next_free_sgpr 0
		.amdhsa_reserve_vcc 0
		.amdhsa_reserve_flat_scratch 0
		.amdhsa_float_round_mode_32 0
		.amdhsa_float_round_mode_16_64 0
		.amdhsa_float_denorm_mode_32 3
		.amdhsa_float_denorm_mode_16_64 3
		.amdhsa_dx10_clamp 1
		.amdhsa_ieee_mode 1
		.amdhsa_fp16_overflow 0
		.amdhsa_exception_fp_ieee_invalid_op 0
		.amdhsa_exception_fp_denorm_src 0
		.amdhsa_exception_fp_ieee_div_zero 0
		.amdhsa_exception_fp_ieee_overflow 0
		.amdhsa_exception_fp_ieee_underflow 0
		.amdhsa_exception_fp_ieee_inexact 0
		.amdhsa_exception_int_div_zero 0
	.end_amdhsa_kernel
	.section	.text._ZN7rocprim17ROCPRIM_400000_NS6detail17trampoline_kernelINS0_14default_configENS1_22reduce_config_selectorIiEEZNS1_11reduce_implILb1ES3_N6thrust23THRUST_200600_302600_NS11hip_rocprim35transform_pair_of_input_iterators_tIiPlSB_NS8_12not_equal_toIlEEEEPiiNS8_4plusIiEEEE10hipError_tPvRmT1_T2_T3_mT4_P12ihipStream_tbEUlT_E0_NS1_11comp_targetILNS1_3genE8ELNS1_11target_archE1030ELNS1_3gpuE2ELNS1_3repE0EEENS1_30default_config_static_selectorELNS0_4arch9wavefront6targetE1EEEvSL_,"axG",@progbits,_ZN7rocprim17ROCPRIM_400000_NS6detail17trampoline_kernelINS0_14default_configENS1_22reduce_config_selectorIiEEZNS1_11reduce_implILb1ES3_N6thrust23THRUST_200600_302600_NS11hip_rocprim35transform_pair_of_input_iterators_tIiPlSB_NS8_12not_equal_toIlEEEEPiiNS8_4plusIiEEEE10hipError_tPvRmT1_T2_T3_mT4_P12ihipStream_tbEUlT_E0_NS1_11comp_targetILNS1_3genE8ELNS1_11target_archE1030ELNS1_3gpuE2ELNS1_3repE0EEENS1_30default_config_static_selectorELNS0_4arch9wavefront6targetE1EEEvSL_,comdat
.Lfunc_end1194:
	.size	_ZN7rocprim17ROCPRIM_400000_NS6detail17trampoline_kernelINS0_14default_configENS1_22reduce_config_selectorIiEEZNS1_11reduce_implILb1ES3_N6thrust23THRUST_200600_302600_NS11hip_rocprim35transform_pair_of_input_iterators_tIiPlSB_NS8_12not_equal_toIlEEEEPiiNS8_4plusIiEEEE10hipError_tPvRmT1_T2_T3_mT4_P12ihipStream_tbEUlT_E0_NS1_11comp_targetILNS1_3genE8ELNS1_11target_archE1030ELNS1_3gpuE2ELNS1_3repE0EEENS1_30default_config_static_selectorELNS0_4arch9wavefront6targetE1EEEvSL_, .Lfunc_end1194-_ZN7rocprim17ROCPRIM_400000_NS6detail17trampoline_kernelINS0_14default_configENS1_22reduce_config_selectorIiEEZNS1_11reduce_implILb1ES3_N6thrust23THRUST_200600_302600_NS11hip_rocprim35transform_pair_of_input_iterators_tIiPlSB_NS8_12not_equal_toIlEEEEPiiNS8_4plusIiEEEE10hipError_tPvRmT1_T2_T3_mT4_P12ihipStream_tbEUlT_E0_NS1_11comp_targetILNS1_3genE8ELNS1_11target_archE1030ELNS1_3gpuE2ELNS1_3repE0EEENS1_30default_config_static_selectorELNS0_4arch9wavefront6targetE1EEEvSL_
                                        ; -- End function
	.set _ZN7rocprim17ROCPRIM_400000_NS6detail17trampoline_kernelINS0_14default_configENS1_22reduce_config_selectorIiEEZNS1_11reduce_implILb1ES3_N6thrust23THRUST_200600_302600_NS11hip_rocprim35transform_pair_of_input_iterators_tIiPlSB_NS8_12not_equal_toIlEEEEPiiNS8_4plusIiEEEE10hipError_tPvRmT1_T2_T3_mT4_P12ihipStream_tbEUlT_E0_NS1_11comp_targetILNS1_3genE8ELNS1_11target_archE1030ELNS1_3gpuE2ELNS1_3repE0EEENS1_30default_config_static_selectorELNS0_4arch9wavefront6targetE1EEEvSL_.num_vgpr, 0
	.set _ZN7rocprim17ROCPRIM_400000_NS6detail17trampoline_kernelINS0_14default_configENS1_22reduce_config_selectorIiEEZNS1_11reduce_implILb1ES3_N6thrust23THRUST_200600_302600_NS11hip_rocprim35transform_pair_of_input_iterators_tIiPlSB_NS8_12not_equal_toIlEEEEPiiNS8_4plusIiEEEE10hipError_tPvRmT1_T2_T3_mT4_P12ihipStream_tbEUlT_E0_NS1_11comp_targetILNS1_3genE8ELNS1_11target_archE1030ELNS1_3gpuE2ELNS1_3repE0EEENS1_30default_config_static_selectorELNS0_4arch9wavefront6targetE1EEEvSL_.num_agpr, 0
	.set _ZN7rocprim17ROCPRIM_400000_NS6detail17trampoline_kernelINS0_14default_configENS1_22reduce_config_selectorIiEEZNS1_11reduce_implILb1ES3_N6thrust23THRUST_200600_302600_NS11hip_rocprim35transform_pair_of_input_iterators_tIiPlSB_NS8_12not_equal_toIlEEEEPiiNS8_4plusIiEEEE10hipError_tPvRmT1_T2_T3_mT4_P12ihipStream_tbEUlT_E0_NS1_11comp_targetILNS1_3genE8ELNS1_11target_archE1030ELNS1_3gpuE2ELNS1_3repE0EEENS1_30default_config_static_selectorELNS0_4arch9wavefront6targetE1EEEvSL_.numbered_sgpr, 0
	.set _ZN7rocprim17ROCPRIM_400000_NS6detail17trampoline_kernelINS0_14default_configENS1_22reduce_config_selectorIiEEZNS1_11reduce_implILb1ES3_N6thrust23THRUST_200600_302600_NS11hip_rocprim35transform_pair_of_input_iterators_tIiPlSB_NS8_12not_equal_toIlEEEEPiiNS8_4plusIiEEEE10hipError_tPvRmT1_T2_T3_mT4_P12ihipStream_tbEUlT_E0_NS1_11comp_targetILNS1_3genE8ELNS1_11target_archE1030ELNS1_3gpuE2ELNS1_3repE0EEENS1_30default_config_static_selectorELNS0_4arch9wavefront6targetE1EEEvSL_.num_named_barrier, 0
	.set _ZN7rocprim17ROCPRIM_400000_NS6detail17trampoline_kernelINS0_14default_configENS1_22reduce_config_selectorIiEEZNS1_11reduce_implILb1ES3_N6thrust23THRUST_200600_302600_NS11hip_rocprim35transform_pair_of_input_iterators_tIiPlSB_NS8_12not_equal_toIlEEEEPiiNS8_4plusIiEEEE10hipError_tPvRmT1_T2_T3_mT4_P12ihipStream_tbEUlT_E0_NS1_11comp_targetILNS1_3genE8ELNS1_11target_archE1030ELNS1_3gpuE2ELNS1_3repE0EEENS1_30default_config_static_selectorELNS0_4arch9wavefront6targetE1EEEvSL_.private_seg_size, 0
	.set _ZN7rocprim17ROCPRIM_400000_NS6detail17trampoline_kernelINS0_14default_configENS1_22reduce_config_selectorIiEEZNS1_11reduce_implILb1ES3_N6thrust23THRUST_200600_302600_NS11hip_rocprim35transform_pair_of_input_iterators_tIiPlSB_NS8_12not_equal_toIlEEEEPiiNS8_4plusIiEEEE10hipError_tPvRmT1_T2_T3_mT4_P12ihipStream_tbEUlT_E0_NS1_11comp_targetILNS1_3genE8ELNS1_11target_archE1030ELNS1_3gpuE2ELNS1_3repE0EEENS1_30default_config_static_selectorELNS0_4arch9wavefront6targetE1EEEvSL_.uses_vcc, 0
	.set _ZN7rocprim17ROCPRIM_400000_NS6detail17trampoline_kernelINS0_14default_configENS1_22reduce_config_selectorIiEEZNS1_11reduce_implILb1ES3_N6thrust23THRUST_200600_302600_NS11hip_rocprim35transform_pair_of_input_iterators_tIiPlSB_NS8_12not_equal_toIlEEEEPiiNS8_4plusIiEEEE10hipError_tPvRmT1_T2_T3_mT4_P12ihipStream_tbEUlT_E0_NS1_11comp_targetILNS1_3genE8ELNS1_11target_archE1030ELNS1_3gpuE2ELNS1_3repE0EEENS1_30default_config_static_selectorELNS0_4arch9wavefront6targetE1EEEvSL_.uses_flat_scratch, 0
	.set _ZN7rocprim17ROCPRIM_400000_NS6detail17trampoline_kernelINS0_14default_configENS1_22reduce_config_selectorIiEEZNS1_11reduce_implILb1ES3_N6thrust23THRUST_200600_302600_NS11hip_rocprim35transform_pair_of_input_iterators_tIiPlSB_NS8_12not_equal_toIlEEEEPiiNS8_4plusIiEEEE10hipError_tPvRmT1_T2_T3_mT4_P12ihipStream_tbEUlT_E0_NS1_11comp_targetILNS1_3genE8ELNS1_11target_archE1030ELNS1_3gpuE2ELNS1_3repE0EEENS1_30default_config_static_selectorELNS0_4arch9wavefront6targetE1EEEvSL_.has_dyn_sized_stack, 0
	.set _ZN7rocprim17ROCPRIM_400000_NS6detail17trampoline_kernelINS0_14default_configENS1_22reduce_config_selectorIiEEZNS1_11reduce_implILb1ES3_N6thrust23THRUST_200600_302600_NS11hip_rocprim35transform_pair_of_input_iterators_tIiPlSB_NS8_12not_equal_toIlEEEEPiiNS8_4plusIiEEEE10hipError_tPvRmT1_T2_T3_mT4_P12ihipStream_tbEUlT_E0_NS1_11comp_targetILNS1_3genE8ELNS1_11target_archE1030ELNS1_3gpuE2ELNS1_3repE0EEENS1_30default_config_static_selectorELNS0_4arch9wavefront6targetE1EEEvSL_.has_recursion, 0
	.set _ZN7rocprim17ROCPRIM_400000_NS6detail17trampoline_kernelINS0_14default_configENS1_22reduce_config_selectorIiEEZNS1_11reduce_implILb1ES3_N6thrust23THRUST_200600_302600_NS11hip_rocprim35transform_pair_of_input_iterators_tIiPlSB_NS8_12not_equal_toIlEEEEPiiNS8_4plusIiEEEE10hipError_tPvRmT1_T2_T3_mT4_P12ihipStream_tbEUlT_E0_NS1_11comp_targetILNS1_3genE8ELNS1_11target_archE1030ELNS1_3gpuE2ELNS1_3repE0EEENS1_30default_config_static_selectorELNS0_4arch9wavefront6targetE1EEEvSL_.has_indirect_call, 0
	.section	.AMDGPU.csdata,"",@progbits
; Kernel info:
; codeLenInByte = 0
; TotalNumSgprs: 4
; NumVgprs: 0
; ScratchSize: 0
; MemoryBound: 0
; FloatMode: 240
; IeeeMode: 1
; LDSByteSize: 0 bytes/workgroup (compile time only)
; SGPRBlocks: 0
; VGPRBlocks: 0
; NumSGPRsForWavesPerEU: 4
; NumVGPRsForWavesPerEU: 1
; Occupancy: 10
; WaveLimiterHint : 0
; COMPUTE_PGM_RSRC2:SCRATCH_EN: 0
; COMPUTE_PGM_RSRC2:USER_SGPR: 6
; COMPUTE_PGM_RSRC2:TRAP_HANDLER: 0
; COMPUTE_PGM_RSRC2:TGID_X_EN: 1
; COMPUTE_PGM_RSRC2:TGID_Y_EN: 0
; COMPUTE_PGM_RSRC2:TGID_Z_EN: 0
; COMPUTE_PGM_RSRC2:TIDIG_COMP_CNT: 0
	.section	.text._ZN7rocprim17ROCPRIM_400000_NS6detail17trampoline_kernelINS0_14default_configENS1_22reduce_config_selectorIiEEZNS1_11reduce_implILb1ES3_N6thrust23THRUST_200600_302600_NS11hip_rocprim35transform_pair_of_input_iterators_tIiPlSB_NS8_12not_equal_toIlEEEEPiiNS8_4plusIiEEEE10hipError_tPvRmT1_T2_T3_mT4_P12ihipStream_tbEUlT_E1_NS1_11comp_targetILNS1_3genE0ELNS1_11target_archE4294967295ELNS1_3gpuE0ELNS1_3repE0EEENS1_30default_config_static_selectorELNS0_4arch9wavefront6targetE1EEEvSL_,"axG",@progbits,_ZN7rocprim17ROCPRIM_400000_NS6detail17trampoline_kernelINS0_14default_configENS1_22reduce_config_selectorIiEEZNS1_11reduce_implILb1ES3_N6thrust23THRUST_200600_302600_NS11hip_rocprim35transform_pair_of_input_iterators_tIiPlSB_NS8_12not_equal_toIlEEEEPiiNS8_4plusIiEEEE10hipError_tPvRmT1_T2_T3_mT4_P12ihipStream_tbEUlT_E1_NS1_11comp_targetILNS1_3genE0ELNS1_11target_archE4294967295ELNS1_3gpuE0ELNS1_3repE0EEENS1_30default_config_static_selectorELNS0_4arch9wavefront6targetE1EEEvSL_,comdat
	.protected	_ZN7rocprim17ROCPRIM_400000_NS6detail17trampoline_kernelINS0_14default_configENS1_22reduce_config_selectorIiEEZNS1_11reduce_implILb1ES3_N6thrust23THRUST_200600_302600_NS11hip_rocprim35transform_pair_of_input_iterators_tIiPlSB_NS8_12not_equal_toIlEEEEPiiNS8_4plusIiEEEE10hipError_tPvRmT1_T2_T3_mT4_P12ihipStream_tbEUlT_E1_NS1_11comp_targetILNS1_3genE0ELNS1_11target_archE4294967295ELNS1_3gpuE0ELNS1_3repE0EEENS1_30default_config_static_selectorELNS0_4arch9wavefront6targetE1EEEvSL_ ; -- Begin function _ZN7rocprim17ROCPRIM_400000_NS6detail17trampoline_kernelINS0_14default_configENS1_22reduce_config_selectorIiEEZNS1_11reduce_implILb1ES3_N6thrust23THRUST_200600_302600_NS11hip_rocprim35transform_pair_of_input_iterators_tIiPlSB_NS8_12not_equal_toIlEEEEPiiNS8_4plusIiEEEE10hipError_tPvRmT1_T2_T3_mT4_P12ihipStream_tbEUlT_E1_NS1_11comp_targetILNS1_3genE0ELNS1_11target_archE4294967295ELNS1_3gpuE0ELNS1_3repE0EEENS1_30default_config_static_selectorELNS0_4arch9wavefront6targetE1EEEvSL_
	.globl	_ZN7rocprim17ROCPRIM_400000_NS6detail17trampoline_kernelINS0_14default_configENS1_22reduce_config_selectorIiEEZNS1_11reduce_implILb1ES3_N6thrust23THRUST_200600_302600_NS11hip_rocprim35transform_pair_of_input_iterators_tIiPlSB_NS8_12not_equal_toIlEEEEPiiNS8_4plusIiEEEE10hipError_tPvRmT1_T2_T3_mT4_P12ihipStream_tbEUlT_E1_NS1_11comp_targetILNS1_3genE0ELNS1_11target_archE4294967295ELNS1_3gpuE0ELNS1_3repE0EEENS1_30default_config_static_selectorELNS0_4arch9wavefront6targetE1EEEvSL_
	.p2align	8
	.type	_ZN7rocprim17ROCPRIM_400000_NS6detail17trampoline_kernelINS0_14default_configENS1_22reduce_config_selectorIiEEZNS1_11reduce_implILb1ES3_N6thrust23THRUST_200600_302600_NS11hip_rocprim35transform_pair_of_input_iterators_tIiPlSB_NS8_12not_equal_toIlEEEEPiiNS8_4plusIiEEEE10hipError_tPvRmT1_T2_T3_mT4_P12ihipStream_tbEUlT_E1_NS1_11comp_targetILNS1_3genE0ELNS1_11target_archE4294967295ELNS1_3gpuE0ELNS1_3repE0EEENS1_30default_config_static_selectorELNS0_4arch9wavefront6targetE1EEEvSL_,@function
_ZN7rocprim17ROCPRIM_400000_NS6detail17trampoline_kernelINS0_14default_configENS1_22reduce_config_selectorIiEEZNS1_11reduce_implILb1ES3_N6thrust23THRUST_200600_302600_NS11hip_rocprim35transform_pair_of_input_iterators_tIiPlSB_NS8_12not_equal_toIlEEEEPiiNS8_4plusIiEEEE10hipError_tPvRmT1_T2_T3_mT4_P12ihipStream_tbEUlT_E1_NS1_11comp_targetILNS1_3genE0ELNS1_11target_archE4294967295ELNS1_3gpuE0ELNS1_3repE0EEENS1_30default_config_static_selectorELNS0_4arch9wavefront6targetE1EEEvSL_: ; @_ZN7rocprim17ROCPRIM_400000_NS6detail17trampoline_kernelINS0_14default_configENS1_22reduce_config_selectorIiEEZNS1_11reduce_implILb1ES3_N6thrust23THRUST_200600_302600_NS11hip_rocprim35transform_pair_of_input_iterators_tIiPlSB_NS8_12not_equal_toIlEEEEPiiNS8_4plusIiEEEE10hipError_tPvRmT1_T2_T3_mT4_P12ihipStream_tbEUlT_E1_NS1_11comp_targetILNS1_3genE0ELNS1_11target_archE4294967295ELNS1_3gpuE0ELNS1_3repE0EEENS1_30default_config_static_selectorELNS0_4arch9wavefront6targetE1EEEvSL_
; %bb.0:
	.section	.rodata,"a",@progbits
	.p2align	6, 0x0
	.amdhsa_kernel _ZN7rocprim17ROCPRIM_400000_NS6detail17trampoline_kernelINS0_14default_configENS1_22reduce_config_selectorIiEEZNS1_11reduce_implILb1ES3_N6thrust23THRUST_200600_302600_NS11hip_rocprim35transform_pair_of_input_iterators_tIiPlSB_NS8_12not_equal_toIlEEEEPiiNS8_4plusIiEEEE10hipError_tPvRmT1_T2_T3_mT4_P12ihipStream_tbEUlT_E1_NS1_11comp_targetILNS1_3genE0ELNS1_11target_archE4294967295ELNS1_3gpuE0ELNS1_3repE0EEENS1_30default_config_static_selectorELNS0_4arch9wavefront6targetE1EEEvSL_
		.amdhsa_group_segment_fixed_size 0
		.amdhsa_private_segment_fixed_size 0
		.amdhsa_kernarg_size 56
		.amdhsa_user_sgpr_count 6
		.amdhsa_user_sgpr_private_segment_buffer 1
		.amdhsa_user_sgpr_dispatch_ptr 0
		.amdhsa_user_sgpr_queue_ptr 0
		.amdhsa_user_sgpr_kernarg_segment_ptr 1
		.amdhsa_user_sgpr_dispatch_id 0
		.amdhsa_user_sgpr_flat_scratch_init 0
		.amdhsa_user_sgpr_private_segment_size 0
		.amdhsa_uses_dynamic_stack 0
		.amdhsa_system_sgpr_private_segment_wavefront_offset 0
		.amdhsa_system_sgpr_workgroup_id_x 1
		.amdhsa_system_sgpr_workgroup_id_y 0
		.amdhsa_system_sgpr_workgroup_id_z 0
		.amdhsa_system_sgpr_workgroup_info 0
		.amdhsa_system_vgpr_workitem_id 0
		.amdhsa_next_free_vgpr 1
		.amdhsa_next_free_sgpr 0
		.amdhsa_reserve_vcc 0
		.amdhsa_reserve_flat_scratch 0
		.amdhsa_float_round_mode_32 0
		.amdhsa_float_round_mode_16_64 0
		.amdhsa_float_denorm_mode_32 3
		.amdhsa_float_denorm_mode_16_64 3
		.amdhsa_dx10_clamp 1
		.amdhsa_ieee_mode 1
		.amdhsa_fp16_overflow 0
		.amdhsa_exception_fp_ieee_invalid_op 0
		.amdhsa_exception_fp_denorm_src 0
		.amdhsa_exception_fp_ieee_div_zero 0
		.amdhsa_exception_fp_ieee_overflow 0
		.amdhsa_exception_fp_ieee_underflow 0
		.amdhsa_exception_fp_ieee_inexact 0
		.amdhsa_exception_int_div_zero 0
	.end_amdhsa_kernel
	.section	.text._ZN7rocprim17ROCPRIM_400000_NS6detail17trampoline_kernelINS0_14default_configENS1_22reduce_config_selectorIiEEZNS1_11reduce_implILb1ES3_N6thrust23THRUST_200600_302600_NS11hip_rocprim35transform_pair_of_input_iterators_tIiPlSB_NS8_12not_equal_toIlEEEEPiiNS8_4plusIiEEEE10hipError_tPvRmT1_T2_T3_mT4_P12ihipStream_tbEUlT_E1_NS1_11comp_targetILNS1_3genE0ELNS1_11target_archE4294967295ELNS1_3gpuE0ELNS1_3repE0EEENS1_30default_config_static_selectorELNS0_4arch9wavefront6targetE1EEEvSL_,"axG",@progbits,_ZN7rocprim17ROCPRIM_400000_NS6detail17trampoline_kernelINS0_14default_configENS1_22reduce_config_selectorIiEEZNS1_11reduce_implILb1ES3_N6thrust23THRUST_200600_302600_NS11hip_rocprim35transform_pair_of_input_iterators_tIiPlSB_NS8_12not_equal_toIlEEEEPiiNS8_4plusIiEEEE10hipError_tPvRmT1_T2_T3_mT4_P12ihipStream_tbEUlT_E1_NS1_11comp_targetILNS1_3genE0ELNS1_11target_archE4294967295ELNS1_3gpuE0ELNS1_3repE0EEENS1_30default_config_static_selectorELNS0_4arch9wavefront6targetE1EEEvSL_,comdat
.Lfunc_end1195:
	.size	_ZN7rocprim17ROCPRIM_400000_NS6detail17trampoline_kernelINS0_14default_configENS1_22reduce_config_selectorIiEEZNS1_11reduce_implILb1ES3_N6thrust23THRUST_200600_302600_NS11hip_rocprim35transform_pair_of_input_iterators_tIiPlSB_NS8_12not_equal_toIlEEEEPiiNS8_4plusIiEEEE10hipError_tPvRmT1_T2_T3_mT4_P12ihipStream_tbEUlT_E1_NS1_11comp_targetILNS1_3genE0ELNS1_11target_archE4294967295ELNS1_3gpuE0ELNS1_3repE0EEENS1_30default_config_static_selectorELNS0_4arch9wavefront6targetE1EEEvSL_, .Lfunc_end1195-_ZN7rocprim17ROCPRIM_400000_NS6detail17trampoline_kernelINS0_14default_configENS1_22reduce_config_selectorIiEEZNS1_11reduce_implILb1ES3_N6thrust23THRUST_200600_302600_NS11hip_rocprim35transform_pair_of_input_iterators_tIiPlSB_NS8_12not_equal_toIlEEEEPiiNS8_4plusIiEEEE10hipError_tPvRmT1_T2_T3_mT4_P12ihipStream_tbEUlT_E1_NS1_11comp_targetILNS1_3genE0ELNS1_11target_archE4294967295ELNS1_3gpuE0ELNS1_3repE0EEENS1_30default_config_static_selectorELNS0_4arch9wavefront6targetE1EEEvSL_
                                        ; -- End function
	.set _ZN7rocprim17ROCPRIM_400000_NS6detail17trampoline_kernelINS0_14default_configENS1_22reduce_config_selectorIiEEZNS1_11reduce_implILb1ES3_N6thrust23THRUST_200600_302600_NS11hip_rocprim35transform_pair_of_input_iterators_tIiPlSB_NS8_12not_equal_toIlEEEEPiiNS8_4plusIiEEEE10hipError_tPvRmT1_T2_T3_mT4_P12ihipStream_tbEUlT_E1_NS1_11comp_targetILNS1_3genE0ELNS1_11target_archE4294967295ELNS1_3gpuE0ELNS1_3repE0EEENS1_30default_config_static_selectorELNS0_4arch9wavefront6targetE1EEEvSL_.num_vgpr, 0
	.set _ZN7rocprim17ROCPRIM_400000_NS6detail17trampoline_kernelINS0_14default_configENS1_22reduce_config_selectorIiEEZNS1_11reduce_implILb1ES3_N6thrust23THRUST_200600_302600_NS11hip_rocprim35transform_pair_of_input_iterators_tIiPlSB_NS8_12not_equal_toIlEEEEPiiNS8_4plusIiEEEE10hipError_tPvRmT1_T2_T3_mT4_P12ihipStream_tbEUlT_E1_NS1_11comp_targetILNS1_3genE0ELNS1_11target_archE4294967295ELNS1_3gpuE0ELNS1_3repE0EEENS1_30default_config_static_selectorELNS0_4arch9wavefront6targetE1EEEvSL_.num_agpr, 0
	.set _ZN7rocprim17ROCPRIM_400000_NS6detail17trampoline_kernelINS0_14default_configENS1_22reduce_config_selectorIiEEZNS1_11reduce_implILb1ES3_N6thrust23THRUST_200600_302600_NS11hip_rocprim35transform_pair_of_input_iterators_tIiPlSB_NS8_12not_equal_toIlEEEEPiiNS8_4plusIiEEEE10hipError_tPvRmT1_T2_T3_mT4_P12ihipStream_tbEUlT_E1_NS1_11comp_targetILNS1_3genE0ELNS1_11target_archE4294967295ELNS1_3gpuE0ELNS1_3repE0EEENS1_30default_config_static_selectorELNS0_4arch9wavefront6targetE1EEEvSL_.numbered_sgpr, 0
	.set _ZN7rocprim17ROCPRIM_400000_NS6detail17trampoline_kernelINS0_14default_configENS1_22reduce_config_selectorIiEEZNS1_11reduce_implILb1ES3_N6thrust23THRUST_200600_302600_NS11hip_rocprim35transform_pair_of_input_iterators_tIiPlSB_NS8_12not_equal_toIlEEEEPiiNS8_4plusIiEEEE10hipError_tPvRmT1_T2_T3_mT4_P12ihipStream_tbEUlT_E1_NS1_11comp_targetILNS1_3genE0ELNS1_11target_archE4294967295ELNS1_3gpuE0ELNS1_3repE0EEENS1_30default_config_static_selectorELNS0_4arch9wavefront6targetE1EEEvSL_.num_named_barrier, 0
	.set _ZN7rocprim17ROCPRIM_400000_NS6detail17trampoline_kernelINS0_14default_configENS1_22reduce_config_selectorIiEEZNS1_11reduce_implILb1ES3_N6thrust23THRUST_200600_302600_NS11hip_rocprim35transform_pair_of_input_iterators_tIiPlSB_NS8_12not_equal_toIlEEEEPiiNS8_4plusIiEEEE10hipError_tPvRmT1_T2_T3_mT4_P12ihipStream_tbEUlT_E1_NS1_11comp_targetILNS1_3genE0ELNS1_11target_archE4294967295ELNS1_3gpuE0ELNS1_3repE0EEENS1_30default_config_static_selectorELNS0_4arch9wavefront6targetE1EEEvSL_.private_seg_size, 0
	.set _ZN7rocprim17ROCPRIM_400000_NS6detail17trampoline_kernelINS0_14default_configENS1_22reduce_config_selectorIiEEZNS1_11reduce_implILb1ES3_N6thrust23THRUST_200600_302600_NS11hip_rocprim35transform_pair_of_input_iterators_tIiPlSB_NS8_12not_equal_toIlEEEEPiiNS8_4plusIiEEEE10hipError_tPvRmT1_T2_T3_mT4_P12ihipStream_tbEUlT_E1_NS1_11comp_targetILNS1_3genE0ELNS1_11target_archE4294967295ELNS1_3gpuE0ELNS1_3repE0EEENS1_30default_config_static_selectorELNS0_4arch9wavefront6targetE1EEEvSL_.uses_vcc, 0
	.set _ZN7rocprim17ROCPRIM_400000_NS6detail17trampoline_kernelINS0_14default_configENS1_22reduce_config_selectorIiEEZNS1_11reduce_implILb1ES3_N6thrust23THRUST_200600_302600_NS11hip_rocprim35transform_pair_of_input_iterators_tIiPlSB_NS8_12not_equal_toIlEEEEPiiNS8_4plusIiEEEE10hipError_tPvRmT1_T2_T3_mT4_P12ihipStream_tbEUlT_E1_NS1_11comp_targetILNS1_3genE0ELNS1_11target_archE4294967295ELNS1_3gpuE0ELNS1_3repE0EEENS1_30default_config_static_selectorELNS0_4arch9wavefront6targetE1EEEvSL_.uses_flat_scratch, 0
	.set _ZN7rocprim17ROCPRIM_400000_NS6detail17trampoline_kernelINS0_14default_configENS1_22reduce_config_selectorIiEEZNS1_11reduce_implILb1ES3_N6thrust23THRUST_200600_302600_NS11hip_rocprim35transform_pair_of_input_iterators_tIiPlSB_NS8_12not_equal_toIlEEEEPiiNS8_4plusIiEEEE10hipError_tPvRmT1_T2_T3_mT4_P12ihipStream_tbEUlT_E1_NS1_11comp_targetILNS1_3genE0ELNS1_11target_archE4294967295ELNS1_3gpuE0ELNS1_3repE0EEENS1_30default_config_static_selectorELNS0_4arch9wavefront6targetE1EEEvSL_.has_dyn_sized_stack, 0
	.set _ZN7rocprim17ROCPRIM_400000_NS6detail17trampoline_kernelINS0_14default_configENS1_22reduce_config_selectorIiEEZNS1_11reduce_implILb1ES3_N6thrust23THRUST_200600_302600_NS11hip_rocprim35transform_pair_of_input_iterators_tIiPlSB_NS8_12not_equal_toIlEEEEPiiNS8_4plusIiEEEE10hipError_tPvRmT1_T2_T3_mT4_P12ihipStream_tbEUlT_E1_NS1_11comp_targetILNS1_3genE0ELNS1_11target_archE4294967295ELNS1_3gpuE0ELNS1_3repE0EEENS1_30default_config_static_selectorELNS0_4arch9wavefront6targetE1EEEvSL_.has_recursion, 0
	.set _ZN7rocprim17ROCPRIM_400000_NS6detail17trampoline_kernelINS0_14default_configENS1_22reduce_config_selectorIiEEZNS1_11reduce_implILb1ES3_N6thrust23THRUST_200600_302600_NS11hip_rocprim35transform_pair_of_input_iterators_tIiPlSB_NS8_12not_equal_toIlEEEEPiiNS8_4plusIiEEEE10hipError_tPvRmT1_T2_T3_mT4_P12ihipStream_tbEUlT_E1_NS1_11comp_targetILNS1_3genE0ELNS1_11target_archE4294967295ELNS1_3gpuE0ELNS1_3repE0EEENS1_30default_config_static_selectorELNS0_4arch9wavefront6targetE1EEEvSL_.has_indirect_call, 0
	.section	.AMDGPU.csdata,"",@progbits
; Kernel info:
; codeLenInByte = 0
; TotalNumSgprs: 4
; NumVgprs: 0
; ScratchSize: 0
; MemoryBound: 0
; FloatMode: 240
; IeeeMode: 1
; LDSByteSize: 0 bytes/workgroup (compile time only)
; SGPRBlocks: 0
; VGPRBlocks: 0
; NumSGPRsForWavesPerEU: 4
; NumVGPRsForWavesPerEU: 1
; Occupancy: 10
; WaveLimiterHint : 0
; COMPUTE_PGM_RSRC2:SCRATCH_EN: 0
; COMPUTE_PGM_RSRC2:USER_SGPR: 6
; COMPUTE_PGM_RSRC2:TRAP_HANDLER: 0
; COMPUTE_PGM_RSRC2:TGID_X_EN: 1
; COMPUTE_PGM_RSRC2:TGID_Y_EN: 0
; COMPUTE_PGM_RSRC2:TGID_Z_EN: 0
; COMPUTE_PGM_RSRC2:TIDIG_COMP_CNT: 0
	.section	.text._ZN7rocprim17ROCPRIM_400000_NS6detail17trampoline_kernelINS0_14default_configENS1_22reduce_config_selectorIiEEZNS1_11reduce_implILb1ES3_N6thrust23THRUST_200600_302600_NS11hip_rocprim35transform_pair_of_input_iterators_tIiPlSB_NS8_12not_equal_toIlEEEEPiiNS8_4plusIiEEEE10hipError_tPvRmT1_T2_T3_mT4_P12ihipStream_tbEUlT_E1_NS1_11comp_targetILNS1_3genE5ELNS1_11target_archE942ELNS1_3gpuE9ELNS1_3repE0EEENS1_30default_config_static_selectorELNS0_4arch9wavefront6targetE1EEEvSL_,"axG",@progbits,_ZN7rocprim17ROCPRIM_400000_NS6detail17trampoline_kernelINS0_14default_configENS1_22reduce_config_selectorIiEEZNS1_11reduce_implILb1ES3_N6thrust23THRUST_200600_302600_NS11hip_rocprim35transform_pair_of_input_iterators_tIiPlSB_NS8_12not_equal_toIlEEEEPiiNS8_4plusIiEEEE10hipError_tPvRmT1_T2_T3_mT4_P12ihipStream_tbEUlT_E1_NS1_11comp_targetILNS1_3genE5ELNS1_11target_archE942ELNS1_3gpuE9ELNS1_3repE0EEENS1_30default_config_static_selectorELNS0_4arch9wavefront6targetE1EEEvSL_,comdat
	.protected	_ZN7rocprim17ROCPRIM_400000_NS6detail17trampoline_kernelINS0_14default_configENS1_22reduce_config_selectorIiEEZNS1_11reduce_implILb1ES3_N6thrust23THRUST_200600_302600_NS11hip_rocprim35transform_pair_of_input_iterators_tIiPlSB_NS8_12not_equal_toIlEEEEPiiNS8_4plusIiEEEE10hipError_tPvRmT1_T2_T3_mT4_P12ihipStream_tbEUlT_E1_NS1_11comp_targetILNS1_3genE5ELNS1_11target_archE942ELNS1_3gpuE9ELNS1_3repE0EEENS1_30default_config_static_selectorELNS0_4arch9wavefront6targetE1EEEvSL_ ; -- Begin function _ZN7rocprim17ROCPRIM_400000_NS6detail17trampoline_kernelINS0_14default_configENS1_22reduce_config_selectorIiEEZNS1_11reduce_implILb1ES3_N6thrust23THRUST_200600_302600_NS11hip_rocprim35transform_pair_of_input_iterators_tIiPlSB_NS8_12not_equal_toIlEEEEPiiNS8_4plusIiEEEE10hipError_tPvRmT1_T2_T3_mT4_P12ihipStream_tbEUlT_E1_NS1_11comp_targetILNS1_3genE5ELNS1_11target_archE942ELNS1_3gpuE9ELNS1_3repE0EEENS1_30default_config_static_selectorELNS0_4arch9wavefront6targetE1EEEvSL_
	.globl	_ZN7rocprim17ROCPRIM_400000_NS6detail17trampoline_kernelINS0_14default_configENS1_22reduce_config_selectorIiEEZNS1_11reduce_implILb1ES3_N6thrust23THRUST_200600_302600_NS11hip_rocprim35transform_pair_of_input_iterators_tIiPlSB_NS8_12not_equal_toIlEEEEPiiNS8_4plusIiEEEE10hipError_tPvRmT1_T2_T3_mT4_P12ihipStream_tbEUlT_E1_NS1_11comp_targetILNS1_3genE5ELNS1_11target_archE942ELNS1_3gpuE9ELNS1_3repE0EEENS1_30default_config_static_selectorELNS0_4arch9wavefront6targetE1EEEvSL_
	.p2align	8
	.type	_ZN7rocprim17ROCPRIM_400000_NS6detail17trampoline_kernelINS0_14default_configENS1_22reduce_config_selectorIiEEZNS1_11reduce_implILb1ES3_N6thrust23THRUST_200600_302600_NS11hip_rocprim35transform_pair_of_input_iterators_tIiPlSB_NS8_12not_equal_toIlEEEEPiiNS8_4plusIiEEEE10hipError_tPvRmT1_T2_T3_mT4_P12ihipStream_tbEUlT_E1_NS1_11comp_targetILNS1_3genE5ELNS1_11target_archE942ELNS1_3gpuE9ELNS1_3repE0EEENS1_30default_config_static_selectorELNS0_4arch9wavefront6targetE1EEEvSL_,@function
_ZN7rocprim17ROCPRIM_400000_NS6detail17trampoline_kernelINS0_14default_configENS1_22reduce_config_selectorIiEEZNS1_11reduce_implILb1ES3_N6thrust23THRUST_200600_302600_NS11hip_rocprim35transform_pair_of_input_iterators_tIiPlSB_NS8_12not_equal_toIlEEEEPiiNS8_4plusIiEEEE10hipError_tPvRmT1_T2_T3_mT4_P12ihipStream_tbEUlT_E1_NS1_11comp_targetILNS1_3genE5ELNS1_11target_archE942ELNS1_3gpuE9ELNS1_3repE0EEENS1_30default_config_static_selectorELNS0_4arch9wavefront6targetE1EEEvSL_: ; @_ZN7rocprim17ROCPRIM_400000_NS6detail17trampoline_kernelINS0_14default_configENS1_22reduce_config_selectorIiEEZNS1_11reduce_implILb1ES3_N6thrust23THRUST_200600_302600_NS11hip_rocprim35transform_pair_of_input_iterators_tIiPlSB_NS8_12not_equal_toIlEEEEPiiNS8_4plusIiEEEE10hipError_tPvRmT1_T2_T3_mT4_P12ihipStream_tbEUlT_E1_NS1_11comp_targetILNS1_3genE5ELNS1_11target_archE942ELNS1_3gpuE9ELNS1_3repE0EEENS1_30default_config_static_selectorELNS0_4arch9wavefront6targetE1EEEvSL_
; %bb.0:
	.section	.rodata,"a",@progbits
	.p2align	6, 0x0
	.amdhsa_kernel _ZN7rocprim17ROCPRIM_400000_NS6detail17trampoline_kernelINS0_14default_configENS1_22reduce_config_selectorIiEEZNS1_11reduce_implILb1ES3_N6thrust23THRUST_200600_302600_NS11hip_rocprim35transform_pair_of_input_iterators_tIiPlSB_NS8_12not_equal_toIlEEEEPiiNS8_4plusIiEEEE10hipError_tPvRmT1_T2_T3_mT4_P12ihipStream_tbEUlT_E1_NS1_11comp_targetILNS1_3genE5ELNS1_11target_archE942ELNS1_3gpuE9ELNS1_3repE0EEENS1_30default_config_static_selectorELNS0_4arch9wavefront6targetE1EEEvSL_
		.amdhsa_group_segment_fixed_size 0
		.amdhsa_private_segment_fixed_size 0
		.amdhsa_kernarg_size 56
		.amdhsa_user_sgpr_count 6
		.amdhsa_user_sgpr_private_segment_buffer 1
		.amdhsa_user_sgpr_dispatch_ptr 0
		.amdhsa_user_sgpr_queue_ptr 0
		.amdhsa_user_sgpr_kernarg_segment_ptr 1
		.amdhsa_user_sgpr_dispatch_id 0
		.amdhsa_user_sgpr_flat_scratch_init 0
		.amdhsa_user_sgpr_private_segment_size 0
		.amdhsa_uses_dynamic_stack 0
		.amdhsa_system_sgpr_private_segment_wavefront_offset 0
		.amdhsa_system_sgpr_workgroup_id_x 1
		.amdhsa_system_sgpr_workgroup_id_y 0
		.amdhsa_system_sgpr_workgroup_id_z 0
		.amdhsa_system_sgpr_workgroup_info 0
		.amdhsa_system_vgpr_workitem_id 0
		.amdhsa_next_free_vgpr 1
		.amdhsa_next_free_sgpr 0
		.amdhsa_reserve_vcc 0
		.amdhsa_reserve_flat_scratch 0
		.amdhsa_float_round_mode_32 0
		.amdhsa_float_round_mode_16_64 0
		.amdhsa_float_denorm_mode_32 3
		.amdhsa_float_denorm_mode_16_64 3
		.amdhsa_dx10_clamp 1
		.amdhsa_ieee_mode 1
		.amdhsa_fp16_overflow 0
		.amdhsa_exception_fp_ieee_invalid_op 0
		.amdhsa_exception_fp_denorm_src 0
		.amdhsa_exception_fp_ieee_div_zero 0
		.amdhsa_exception_fp_ieee_overflow 0
		.amdhsa_exception_fp_ieee_underflow 0
		.amdhsa_exception_fp_ieee_inexact 0
		.amdhsa_exception_int_div_zero 0
	.end_amdhsa_kernel
	.section	.text._ZN7rocprim17ROCPRIM_400000_NS6detail17trampoline_kernelINS0_14default_configENS1_22reduce_config_selectorIiEEZNS1_11reduce_implILb1ES3_N6thrust23THRUST_200600_302600_NS11hip_rocprim35transform_pair_of_input_iterators_tIiPlSB_NS8_12not_equal_toIlEEEEPiiNS8_4plusIiEEEE10hipError_tPvRmT1_T2_T3_mT4_P12ihipStream_tbEUlT_E1_NS1_11comp_targetILNS1_3genE5ELNS1_11target_archE942ELNS1_3gpuE9ELNS1_3repE0EEENS1_30default_config_static_selectorELNS0_4arch9wavefront6targetE1EEEvSL_,"axG",@progbits,_ZN7rocprim17ROCPRIM_400000_NS6detail17trampoline_kernelINS0_14default_configENS1_22reduce_config_selectorIiEEZNS1_11reduce_implILb1ES3_N6thrust23THRUST_200600_302600_NS11hip_rocprim35transform_pair_of_input_iterators_tIiPlSB_NS8_12not_equal_toIlEEEEPiiNS8_4plusIiEEEE10hipError_tPvRmT1_T2_T3_mT4_P12ihipStream_tbEUlT_E1_NS1_11comp_targetILNS1_3genE5ELNS1_11target_archE942ELNS1_3gpuE9ELNS1_3repE0EEENS1_30default_config_static_selectorELNS0_4arch9wavefront6targetE1EEEvSL_,comdat
.Lfunc_end1196:
	.size	_ZN7rocprim17ROCPRIM_400000_NS6detail17trampoline_kernelINS0_14default_configENS1_22reduce_config_selectorIiEEZNS1_11reduce_implILb1ES3_N6thrust23THRUST_200600_302600_NS11hip_rocprim35transform_pair_of_input_iterators_tIiPlSB_NS8_12not_equal_toIlEEEEPiiNS8_4plusIiEEEE10hipError_tPvRmT1_T2_T3_mT4_P12ihipStream_tbEUlT_E1_NS1_11comp_targetILNS1_3genE5ELNS1_11target_archE942ELNS1_3gpuE9ELNS1_3repE0EEENS1_30default_config_static_selectorELNS0_4arch9wavefront6targetE1EEEvSL_, .Lfunc_end1196-_ZN7rocprim17ROCPRIM_400000_NS6detail17trampoline_kernelINS0_14default_configENS1_22reduce_config_selectorIiEEZNS1_11reduce_implILb1ES3_N6thrust23THRUST_200600_302600_NS11hip_rocprim35transform_pair_of_input_iterators_tIiPlSB_NS8_12not_equal_toIlEEEEPiiNS8_4plusIiEEEE10hipError_tPvRmT1_T2_T3_mT4_P12ihipStream_tbEUlT_E1_NS1_11comp_targetILNS1_3genE5ELNS1_11target_archE942ELNS1_3gpuE9ELNS1_3repE0EEENS1_30default_config_static_selectorELNS0_4arch9wavefront6targetE1EEEvSL_
                                        ; -- End function
	.set _ZN7rocprim17ROCPRIM_400000_NS6detail17trampoline_kernelINS0_14default_configENS1_22reduce_config_selectorIiEEZNS1_11reduce_implILb1ES3_N6thrust23THRUST_200600_302600_NS11hip_rocprim35transform_pair_of_input_iterators_tIiPlSB_NS8_12not_equal_toIlEEEEPiiNS8_4plusIiEEEE10hipError_tPvRmT1_T2_T3_mT4_P12ihipStream_tbEUlT_E1_NS1_11comp_targetILNS1_3genE5ELNS1_11target_archE942ELNS1_3gpuE9ELNS1_3repE0EEENS1_30default_config_static_selectorELNS0_4arch9wavefront6targetE1EEEvSL_.num_vgpr, 0
	.set _ZN7rocprim17ROCPRIM_400000_NS6detail17trampoline_kernelINS0_14default_configENS1_22reduce_config_selectorIiEEZNS1_11reduce_implILb1ES3_N6thrust23THRUST_200600_302600_NS11hip_rocprim35transform_pair_of_input_iterators_tIiPlSB_NS8_12not_equal_toIlEEEEPiiNS8_4plusIiEEEE10hipError_tPvRmT1_T2_T3_mT4_P12ihipStream_tbEUlT_E1_NS1_11comp_targetILNS1_3genE5ELNS1_11target_archE942ELNS1_3gpuE9ELNS1_3repE0EEENS1_30default_config_static_selectorELNS0_4arch9wavefront6targetE1EEEvSL_.num_agpr, 0
	.set _ZN7rocprim17ROCPRIM_400000_NS6detail17trampoline_kernelINS0_14default_configENS1_22reduce_config_selectorIiEEZNS1_11reduce_implILb1ES3_N6thrust23THRUST_200600_302600_NS11hip_rocprim35transform_pair_of_input_iterators_tIiPlSB_NS8_12not_equal_toIlEEEEPiiNS8_4plusIiEEEE10hipError_tPvRmT1_T2_T3_mT4_P12ihipStream_tbEUlT_E1_NS1_11comp_targetILNS1_3genE5ELNS1_11target_archE942ELNS1_3gpuE9ELNS1_3repE0EEENS1_30default_config_static_selectorELNS0_4arch9wavefront6targetE1EEEvSL_.numbered_sgpr, 0
	.set _ZN7rocprim17ROCPRIM_400000_NS6detail17trampoline_kernelINS0_14default_configENS1_22reduce_config_selectorIiEEZNS1_11reduce_implILb1ES3_N6thrust23THRUST_200600_302600_NS11hip_rocprim35transform_pair_of_input_iterators_tIiPlSB_NS8_12not_equal_toIlEEEEPiiNS8_4plusIiEEEE10hipError_tPvRmT1_T2_T3_mT4_P12ihipStream_tbEUlT_E1_NS1_11comp_targetILNS1_3genE5ELNS1_11target_archE942ELNS1_3gpuE9ELNS1_3repE0EEENS1_30default_config_static_selectorELNS0_4arch9wavefront6targetE1EEEvSL_.num_named_barrier, 0
	.set _ZN7rocprim17ROCPRIM_400000_NS6detail17trampoline_kernelINS0_14default_configENS1_22reduce_config_selectorIiEEZNS1_11reduce_implILb1ES3_N6thrust23THRUST_200600_302600_NS11hip_rocprim35transform_pair_of_input_iterators_tIiPlSB_NS8_12not_equal_toIlEEEEPiiNS8_4plusIiEEEE10hipError_tPvRmT1_T2_T3_mT4_P12ihipStream_tbEUlT_E1_NS1_11comp_targetILNS1_3genE5ELNS1_11target_archE942ELNS1_3gpuE9ELNS1_3repE0EEENS1_30default_config_static_selectorELNS0_4arch9wavefront6targetE1EEEvSL_.private_seg_size, 0
	.set _ZN7rocprim17ROCPRIM_400000_NS6detail17trampoline_kernelINS0_14default_configENS1_22reduce_config_selectorIiEEZNS1_11reduce_implILb1ES3_N6thrust23THRUST_200600_302600_NS11hip_rocprim35transform_pair_of_input_iterators_tIiPlSB_NS8_12not_equal_toIlEEEEPiiNS8_4plusIiEEEE10hipError_tPvRmT1_T2_T3_mT4_P12ihipStream_tbEUlT_E1_NS1_11comp_targetILNS1_3genE5ELNS1_11target_archE942ELNS1_3gpuE9ELNS1_3repE0EEENS1_30default_config_static_selectorELNS0_4arch9wavefront6targetE1EEEvSL_.uses_vcc, 0
	.set _ZN7rocprim17ROCPRIM_400000_NS6detail17trampoline_kernelINS0_14default_configENS1_22reduce_config_selectorIiEEZNS1_11reduce_implILb1ES3_N6thrust23THRUST_200600_302600_NS11hip_rocprim35transform_pair_of_input_iterators_tIiPlSB_NS8_12not_equal_toIlEEEEPiiNS8_4plusIiEEEE10hipError_tPvRmT1_T2_T3_mT4_P12ihipStream_tbEUlT_E1_NS1_11comp_targetILNS1_3genE5ELNS1_11target_archE942ELNS1_3gpuE9ELNS1_3repE0EEENS1_30default_config_static_selectorELNS0_4arch9wavefront6targetE1EEEvSL_.uses_flat_scratch, 0
	.set _ZN7rocprim17ROCPRIM_400000_NS6detail17trampoline_kernelINS0_14default_configENS1_22reduce_config_selectorIiEEZNS1_11reduce_implILb1ES3_N6thrust23THRUST_200600_302600_NS11hip_rocprim35transform_pair_of_input_iterators_tIiPlSB_NS8_12not_equal_toIlEEEEPiiNS8_4plusIiEEEE10hipError_tPvRmT1_T2_T3_mT4_P12ihipStream_tbEUlT_E1_NS1_11comp_targetILNS1_3genE5ELNS1_11target_archE942ELNS1_3gpuE9ELNS1_3repE0EEENS1_30default_config_static_selectorELNS0_4arch9wavefront6targetE1EEEvSL_.has_dyn_sized_stack, 0
	.set _ZN7rocprim17ROCPRIM_400000_NS6detail17trampoline_kernelINS0_14default_configENS1_22reduce_config_selectorIiEEZNS1_11reduce_implILb1ES3_N6thrust23THRUST_200600_302600_NS11hip_rocprim35transform_pair_of_input_iterators_tIiPlSB_NS8_12not_equal_toIlEEEEPiiNS8_4plusIiEEEE10hipError_tPvRmT1_T2_T3_mT4_P12ihipStream_tbEUlT_E1_NS1_11comp_targetILNS1_3genE5ELNS1_11target_archE942ELNS1_3gpuE9ELNS1_3repE0EEENS1_30default_config_static_selectorELNS0_4arch9wavefront6targetE1EEEvSL_.has_recursion, 0
	.set _ZN7rocprim17ROCPRIM_400000_NS6detail17trampoline_kernelINS0_14default_configENS1_22reduce_config_selectorIiEEZNS1_11reduce_implILb1ES3_N6thrust23THRUST_200600_302600_NS11hip_rocprim35transform_pair_of_input_iterators_tIiPlSB_NS8_12not_equal_toIlEEEEPiiNS8_4plusIiEEEE10hipError_tPvRmT1_T2_T3_mT4_P12ihipStream_tbEUlT_E1_NS1_11comp_targetILNS1_3genE5ELNS1_11target_archE942ELNS1_3gpuE9ELNS1_3repE0EEENS1_30default_config_static_selectorELNS0_4arch9wavefront6targetE1EEEvSL_.has_indirect_call, 0
	.section	.AMDGPU.csdata,"",@progbits
; Kernel info:
; codeLenInByte = 0
; TotalNumSgprs: 4
; NumVgprs: 0
; ScratchSize: 0
; MemoryBound: 0
; FloatMode: 240
; IeeeMode: 1
; LDSByteSize: 0 bytes/workgroup (compile time only)
; SGPRBlocks: 0
; VGPRBlocks: 0
; NumSGPRsForWavesPerEU: 4
; NumVGPRsForWavesPerEU: 1
; Occupancy: 10
; WaveLimiterHint : 0
; COMPUTE_PGM_RSRC2:SCRATCH_EN: 0
; COMPUTE_PGM_RSRC2:USER_SGPR: 6
; COMPUTE_PGM_RSRC2:TRAP_HANDLER: 0
; COMPUTE_PGM_RSRC2:TGID_X_EN: 1
; COMPUTE_PGM_RSRC2:TGID_Y_EN: 0
; COMPUTE_PGM_RSRC2:TGID_Z_EN: 0
; COMPUTE_PGM_RSRC2:TIDIG_COMP_CNT: 0
	.section	.text._ZN7rocprim17ROCPRIM_400000_NS6detail17trampoline_kernelINS0_14default_configENS1_22reduce_config_selectorIiEEZNS1_11reduce_implILb1ES3_N6thrust23THRUST_200600_302600_NS11hip_rocprim35transform_pair_of_input_iterators_tIiPlSB_NS8_12not_equal_toIlEEEEPiiNS8_4plusIiEEEE10hipError_tPvRmT1_T2_T3_mT4_P12ihipStream_tbEUlT_E1_NS1_11comp_targetILNS1_3genE4ELNS1_11target_archE910ELNS1_3gpuE8ELNS1_3repE0EEENS1_30default_config_static_selectorELNS0_4arch9wavefront6targetE1EEEvSL_,"axG",@progbits,_ZN7rocprim17ROCPRIM_400000_NS6detail17trampoline_kernelINS0_14default_configENS1_22reduce_config_selectorIiEEZNS1_11reduce_implILb1ES3_N6thrust23THRUST_200600_302600_NS11hip_rocprim35transform_pair_of_input_iterators_tIiPlSB_NS8_12not_equal_toIlEEEEPiiNS8_4plusIiEEEE10hipError_tPvRmT1_T2_T3_mT4_P12ihipStream_tbEUlT_E1_NS1_11comp_targetILNS1_3genE4ELNS1_11target_archE910ELNS1_3gpuE8ELNS1_3repE0EEENS1_30default_config_static_selectorELNS0_4arch9wavefront6targetE1EEEvSL_,comdat
	.protected	_ZN7rocprim17ROCPRIM_400000_NS6detail17trampoline_kernelINS0_14default_configENS1_22reduce_config_selectorIiEEZNS1_11reduce_implILb1ES3_N6thrust23THRUST_200600_302600_NS11hip_rocprim35transform_pair_of_input_iterators_tIiPlSB_NS8_12not_equal_toIlEEEEPiiNS8_4plusIiEEEE10hipError_tPvRmT1_T2_T3_mT4_P12ihipStream_tbEUlT_E1_NS1_11comp_targetILNS1_3genE4ELNS1_11target_archE910ELNS1_3gpuE8ELNS1_3repE0EEENS1_30default_config_static_selectorELNS0_4arch9wavefront6targetE1EEEvSL_ ; -- Begin function _ZN7rocprim17ROCPRIM_400000_NS6detail17trampoline_kernelINS0_14default_configENS1_22reduce_config_selectorIiEEZNS1_11reduce_implILb1ES3_N6thrust23THRUST_200600_302600_NS11hip_rocprim35transform_pair_of_input_iterators_tIiPlSB_NS8_12not_equal_toIlEEEEPiiNS8_4plusIiEEEE10hipError_tPvRmT1_T2_T3_mT4_P12ihipStream_tbEUlT_E1_NS1_11comp_targetILNS1_3genE4ELNS1_11target_archE910ELNS1_3gpuE8ELNS1_3repE0EEENS1_30default_config_static_selectorELNS0_4arch9wavefront6targetE1EEEvSL_
	.globl	_ZN7rocprim17ROCPRIM_400000_NS6detail17trampoline_kernelINS0_14default_configENS1_22reduce_config_selectorIiEEZNS1_11reduce_implILb1ES3_N6thrust23THRUST_200600_302600_NS11hip_rocprim35transform_pair_of_input_iterators_tIiPlSB_NS8_12not_equal_toIlEEEEPiiNS8_4plusIiEEEE10hipError_tPvRmT1_T2_T3_mT4_P12ihipStream_tbEUlT_E1_NS1_11comp_targetILNS1_3genE4ELNS1_11target_archE910ELNS1_3gpuE8ELNS1_3repE0EEENS1_30default_config_static_selectorELNS0_4arch9wavefront6targetE1EEEvSL_
	.p2align	8
	.type	_ZN7rocprim17ROCPRIM_400000_NS6detail17trampoline_kernelINS0_14default_configENS1_22reduce_config_selectorIiEEZNS1_11reduce_implILb1ES3_N6thrust23THRUST_200600_302600_NS11hip_rocprim35transform_pair_of_input_iterators_tIiPlSB_NS8_12not_equal_toIlEEEEPiiNS8_4plusIiEEEE10hipError_tPvRmT1_T2_T3_mT4_P12ihipStream_tbEUlT_E1_NS1_11comp_targetILNS1_3genE4ELNS1_11target_archE910ELNS1_3gpuE8ELNS1_3repE0EEENS1_30default_config_static_selectorELNS0_4arch9wavefront6targetE1EEEvSL_,@function
_ZN7rocprim17ROCPRIM_400000_NS6detail17trampoline_kernelINS0_14default_configENS1_22reduce_config_selectorIiEEZNS1_11reduce_implILb1ES3_N6thrust23THRUST_200600_302600_NS11hip_rocprim35transform_pair_of_input_iterators_tIiPlSB_NS8_12not_equal_toIlEEEEPiiNS8_4plusIiEEEE10hipError_tPvRmT1_T2_T3_mT4_P12ihipStream_tbEUlT_E1_NS1_11comp_targetILNS1_3genE4ELNS1_11target_archE910ELNS1_3gpuE8ELNS1_3repE0EEENS1_30default_config_static_selectorELNS0_4arch9wavefront6targetE1EEEvSL_: ; @_ZN7rocprim17ROCPRIM_400000_NS6detail17trampoline_kernelINS0_14default_configENS1_22reduce_config_selectorIiEEZNS1_11reduce_implILb1ES3_N6thrust23THRUST_200600_302600_NS11hip_rocprim35transform_pair_of_input_iterators_tIiPlSB_NS8_12not_equal_toIlEEEEPiiNS8_4plusIiEEEE10hipError_tPvRmT1_T2_T3_mT4_P12ihipStream_tbEUlT_E1_NS1_11comp_targetILNS1_3genE4ELNS1_11target_archE910ELNS1_3gpuE8ELNS1_3repE0EEENS1_30default_config_static_selectorELNS0_4arch9wavefront6targetE1EEEvSL_
; %bb.0:
	.section	.rodata,"a",@progbits
	.p2align	6, 0x0
	.amdhsa_kernel _ZN7rocprim17ROCPRIM_400000_NS6detail17trampoline_kernelINS0_14default_configENS1_22reduce_config_selectorIiEEZNS1_11reduce_implILb1ES3_N6thrust23THRUST_200600_302600_NS11hip_rocprim35transform_pair_of_input_iterators_tIiPlSB_NS8_12not_equal_toIlEEEEPiiNS8_4plusIiEEEE10hipError_tPvRmT1_T2_T3_mT4_P12ihipStream_tbEUlT_E1_NS1_11comp_targetILNS1_3genE4ELNS1_11target_archE910ELNS1_3gpuE8ELNS1_3repE0EEENS1_30default_config_static_selectorELNS0_4arch9wavefront6targetE1EEEvSL_
		.amdhsa_group_segment_fixed_size 0
		.amdhsa_private_segment_fixed_size 0
		.amdhsa_kernarg_size 56
		.amdhsa_user_sgpr_count 6
		.amdhsa_user_sgpr_private_segment_buffer 1
		.amdhsa_user_sgpr_dispatch_ptr 0
		.amdhsa_user_sgpr_queue_ptr 0
		.amdhsa_user_sgpr_kernarg_segment_ptr 1
		.amdhsa_user_sgpr_dispatch_id 0
		.amdhsa_user_sgpr_flat_scratch_init 0
		.amdhsa_user_sgpr_private_segment_size 0
		.amdhsa_uses_dynamic_stack 0
		.amdhsa_system_sgpr_private_segment_wavefront_offset 0
		.amdhsa_system_sgpr_workgroup_id_x 1
		.amdhsa_system_sgpr_workgroup_id_y 0
		.amdhsa_system_sgpr_workgroup_id_z 0
		.amdhsa_system_sgpr_workgroup_info 0
		.amdhsa_system_vgpr_workitem_id 0
		.amdhsa_next_free_vgpr 1
		.amdhsa_next_free_sgpr 0
		.amdhsa_reserve_vcc 0
		.amdhsa_reserve_flat_scratch 0
		.amdhsa_float_round_mode_32 0
		.amdhsa_float_round_mode_16_64 0
		.amdhsa_float_denorm_mode_32 3
		.amdhsa_float_denorm_mode_16_64 3
		.amdhsa_dx10_clamp 1
		.amdhsa_ieee_mode 1
		.amdhsa_fp16_overflow 0
		.amdhsa_exception_fp_ieee_invalid_op 0
		.amdhsa_exception_fp_denorm_src 0
		.amdhsa_exception_fp_ieee_div_zero 0
		.amdhsa_exception_fp_ieee_overflow 0
		.amdhsa_exception_fp_ieee_underflow 0
		.amdhsa_exception_fp_ieee_inexact 0
		.amdhsa_exception_int_div_zero 0
	.end_amdhsa_kernel
	.section	.text._ZN7rocprim17ROCPRIM_400000_NS6detail17trampoline_kernelINS0_14default_configENS1_22reduce_config_selectorIiEEZNS1_11reduce_implILb1ES3_N6thrust23THRUST_200600_302600_NS11hip_rocprim35transform_pair_of_input_iterators_tIiPlSB_NS8_12not_equal_toIlEEEEPiiNS8_4plusIiEEEE10hipError_tPvRmT1_T2_T3_mT4_P12ihipStream_tbEUlT_E1_NS1_11comp_targetILNS1_3genE4ELNS1_11target_archE910ELNS1_3gpuE8ELNS1_3repE0EEENS1_30default_config_static_selectorELNS0_4arch9wavefront6targetE1EEEvSL_,"axG",@progbits,_ZN7rocprim17ROCPRIM_400000_NS6detail17trampoline_kernelINS0_14default_configENS1_22reduce_config_selectorIiEEZNS1_11reduce_implILb1ES3_N6thrust23THRUST_200600_302600_NS11hip_rocprim35transform_pair_of_input_iterators_tIiPlSB_NS8_12not_equal_toIlEEEEPiiNS8_4plusIiEEEE10hipError_tPvRmT1_T2_T3_mT4_P12ihipStream_tbEUlT_E1_NS1_11comp_targetILNS1_3genE4ELNS1_11target_archE910ELNS1_3gpuE8ELNS1_3repE0EEENS1_30default_config_static_selectorELNS0_4arch9wavefront6targetE1EEEvSL_,comdat
.Lfunc_end1197:
	.size	_ZN7rocprim17ROCPRIM_400000_NS6detail17trampoline_kernelINS0_14default_configENS1_22reduce_config_selectorIiEEZNS1_11reduce_implILb1ES3_N6thrust23THRUST_200600_302600_NS11hip_rocprim35transform_pair_of_input_iterators_tIiPlSB_NS8_12not_equal_toIlEEEEPiiNS8_4plusIiEEEE10hipError_tPvRmT1_T2_T3_mT4_P12ihipStream_tbEUlT_E1_NS1_11comp_targetILNS1_3genE4ELNS1_11target_archE910ELNS1_3gpuE8ELNS1_3repE0EEENS1_30default_config_static_selectorELNS0_4arch9wavefront6targetE1EEEvSL_, .Lfunc_end1197-_ZN7rocprim17ROCPRIM_400000_NS6detail17trampoline_kernelINS0_14default_configENS1_22reduce_config_selectorIiEEZNS1_11reduce_implILb1ES3_N6thrust23THRUST_200600_302600_NS11hip_rocprim35transform_pair_of_input_iterators_tIiPlSB_NS8_12not_equal_toIlEEEEPiiNS8_4plusIiEEEE10hipError_tPvRmT1_T2_T3_mT4_P12ihipStream_tbEUlT_E1_NS1_11comp_targetILNS1_3genE4ELNS1_11target_archE910ELNS1_3gpuE8ELNS1_3repE0EEENS1_30default_config_static_selectorELNS0_4arch9wavefront6targetE1EEEvSL_
                                        ; -- End function
	.set _ZN7rocprim17ROCPRIM_400000_NS6detail17trampoline_kernelINS0_14default_configENS1_22reduce_config_selectorIiEEZNS1_11reduce_implILb1ES3_N6thrust23THRUST_200600_302600_NS11hip_rocprim35transform_pair_of_input_iterators_tIiPlSB_NS8_12not_equal_toIlEEEEPiiNS8_4plusIiEEEE10hipError_tPvRmT1_T2_T3_mT4_P12ihipStream_tbEUlT_E1_NS1_11comp_targetILNS1_3genE4ELNS1_11target_archE910ELNS1_3gpuE8ELNS1_3repE0EEENS1_30default_config_static_selectorELNS0_4arch9wavefront6targetE1EEEvSL_.num_vgpr, 0
	.set _ZN7rocprim17ROCPRIM_400000_NS6detail17trampoline_kernelINS0_14default_configENS1_22reduce_config_selectorIiEEZNS1_11reduce_implILb1ES3_N6thrust23THRUST_200600_302600_NS11hip_rocprim35transform_pair_of_input_iterators_tIiPlSB_NS8_12not_equal_toIlEEEEPiiNS8_4plusIiEEEE10hipError_tPvRmT1_T2_T3_mT4_P12ihipStream_tbEUlT_E1_NS1_11comp_targetILNS1_3genE4ELNS1_11target_archE910ELNS1_3gpuE8ELNS1_3repE0EEENS1_30default_config_static_selectorELNS0_4arch9wavefront6targetE1EEEvSL_.num_agpr, 0
	.set _ZN7rocprim17ROCPRIM_400000_NS6detail17trampoline_kernelINS0_14default_configENS1_22reduce_config_selectorIiEEZNS1_11reduce_implILb1ES3_N6thrust23THRUST_200600_302600_NS11hip_rocprim35transform_pair_of_input_iterators_tIiPlSB_NS8_12not_equal_toIlEEEEPiiNS8_4plusIiEEEE10hipError_tPvRmT1_T2_T3_mT4_P12ihipStream_tbEUlT_E1_NS1_11comp_targetILNS1_3genE4ELNS1_11target_archE910ELNS1_3gpuE8ELNS1_3repE0EEENS1_30default_config_static_selectorELNS0_4arch9wavefront6targetE1EEEvSL_.numbered_sgpr, 0
	.set _ZN7rocprim17ROCPRIM_400000_NS6detail17trampoline_kernelINS0_14default_configENS1_22reduce_config_selectorIiEEZNS1_11reduce_implILb1ES3_N6thrust23THRUST_200600_302600_NS11hip_rocprim35transform_pair_of_input_iterators_tIiPlSB_NS8_12not_equal_toIlEEEEPiiNS8_4plusIiEEEE10hipError_tPvRmT1_T2_T3_mT4_P12ihipStream_tbEUlT_E1_NS1_11comp_targetILNS1_3genE4ELNS1_11target_archE910ELNS1_3gpuE8ELNS1_3repE0EEENS1_30default_config_static_selectorELNS0_4arch9wavefront6targetE1EEEvSL_.num_named_barrier, 0
	.set _ZN7rocprim17ROCPRIM_400000_NS6detail17trampoline_kernelINS0_14default_configENS1_22reduce_config_selectorIiEEZNS1_11reduce_implILb1ES3_N6thrust23THRUST_200600_302600_NS11hip_rocprim35transform_pair_of_input_iterators_tIiPlSB_NS8_12not_equal_toIlEEEEPiiNS8_4plusIiEEEE10hipError_tPvRmT1_T2_T3_mT4_P12ihipStream_tbEUlT_E1_NS1_11comp_targetILNS1_3genE4ELNS1_11target_archE910ELNS1_3gpuE8ELNS1_3repE0EEENS1_30default_config_static_selectorELNS0_4arch9wavefront6targetE1EEEvSL_.private_seg_size, 0
	.set _ZN7rocprim17ROCPRIM_400000_NS6detail17trampoline_kernelINS0_14default_configENS1_22reduce_config_selectorIiEEZNS1_11reduce_implILb1ES3_N6thrust23THRUST_200600_302600_NS11hip_rocprim35transform_pair_of_input_iterators_tIiPlSB_NS8_12not_equal_toIlEEEEPiiNS8_4plusIiEEEE10hipError_tPvRmT1_T2_T3_mT4_P12ihipStream_tbEUlT_E1_NS1_11comp_targetILNS1_3genE4ELNS1_11target_archE910ELNS1_3gpuE8ELNS1_3repE0EEENS1_30default_config_static_selectorELNS0_4arch9wavefront6targetE1EEEvSL_.uses_vcc, 0
	.set _ZN7rocprim17ROCPRIM_400000_NS6detail17trampoline_kernelINS0_14default_configENS1_22reduce_config_selectorIiEEZNS1_11reduce_implILb1ES3_N6thrust23THRUST_200600_302600_NS11hip_rocprim35transform_pair_of_input_iterators_tIiPlSB_NS8_12not_equal_toIlEEEEPiiNS8_4plusIiEEEE10hipError_tPvRmT1_T2_T3_mT4_P12ihipStream_tbEUlT_E1_NS1_11comp_targetILNS1_3genE4ELNS1_11target_archE910ELNS1_3gpuE8ELNS1_3repE0EEENS1_30default_config_static_selectorELNS0_4arch9wavefront6targetE1EEEvSL_.uses_flat_scratch, 0
	.set _ZN7rocprim17ROCPRIM_400000_NS6detail17trampoline_kernelINS0_14default_configENS1_22reduce_config_selectorIiEEZNS1_11reduce_implILb1ES3_N6thrust23THRUST_200600_302600_NS11hip_rocprim35transform_pair_of_input_iterators_tIiPlSB_NS8_12not_equal_toIlEEEEPiiNS8_4plusIiEEEE10hipError_tPvRmT1_T2_T3_mT4_P12ihipStream_tbEUlT_E1_NS1_11comp_targetILNS1_3genE4ELNS1_11target_archE910ELNS1_3gpuE8ELNS1_3repE0EEENS1_30default_config_static_selectorELNS0_4arch9wavefront6targetE1EEEvSL_.has_dyn_sized_stack, 0
	.set _ZN7rocprim17ROCPRIM_400000_NS6detail17trampoline_kernelINS0_14default_configENS1_22reduce_config_selectorIiEEZNS1_11reduce_implILb1ES3_N6thrust23THRUST_200600_302600_NS11hip_rocprim35transform_pair_of_input_iterators_tIiPlSB_NS8_12not_equal_toIlEEEEPiiNS8_4plusIiEEEE10hipError_tPvRmT1_T2_T3_mT4_P12ihipStream_tbEUlT_E1_NS1_11comp_targetILNS1_3genE4ELNS1_11target_archE910ELNS1_3gpuE8ELNS1_3repE0EEENS1_30default_config_static_selectorELNS0_4arch9wavefront6targetE1EEEvSL_.has_recursion, 0
	.set _ZN7rocprim17ROCPRIM_400000_NS6detail17trampoline_kernelINS0_14default_configENS1_22reduce_config_selectorIiEEZNS1_11reduce_implILb1ES3_N6thrust23THRUST_200600_302600_NS11hip_rocprim35transform_pair_of_input_iterators_tIiPlSB_NS8_12not_equal_toIlEEEEPiiNS8_4plusIiEEEE10hipError_tPvRmT1_T2_T3_mT4_P12ihipStream_tbEUlT_E1_NS1_11comp_targetILNS1_3genE4ELNS1_11target_archE910ELNS1_3gpuE8ELNS1_3repE0EEENS1_30default_config_static_selectorELNS0_4arch9wavefront6targetE1EEEvSL_.has_indirect_call, 0
	.section	.AMDGPU.csdata,"",@progbits
; Kernel info:
; codeLenInByte = 0
; TotalNumSgprs: 4
; NumVgprs: 0
; ScratchSize: 0
; MemoryBound: 0
; FloatMode: 240
; IeeeMode: 1
; LDSByteSize: 0 bytes/workgroup (compile time only)
; SGPRBlocks: 0
; VGPRBlocks: 0
; NumSGPRsForWavesPerEU: 4
; NumVGPRsForWavesPerEU: 1
; Occupancy: 10
; WaveLimiterHint : 0
; COMPUTE_PGM_RSRC2:SCRATCH_EN: 0
; COMPUTE_PGM_RSRC2:USER_SGPR: 6
; COMPUTE_PGM_RSRC2:TRAP_HANDLER: 0
; COMPUTE_PGM_RSRC2:TGID_X_EN: 1
; COMPUTE_PGM_RSRC2:TGID_Y_EN: 0
; COMPUTE_PGM_RSRC2:TGID_Z_EN: 0
; COMPUTE_PGM_RSRC2:TIDIG_COMP_CNT: 0
	.section	.text._ZN7rocprim17ROCPRIM_400000_NS6detail17trampoline_kernelINS0_14default_configENS1_22reduce_config_selectorIiEEZNS1_11reduce_implILb1ES3_N6thrust23THRUST_200600_302600_NS11hip_rocprim35transform_pair_of_input_iterators_tIiPlSB_NS8_12not_equal_toIlEEEEPiiNS8_4plusIiEEEE10hipError_tPvRmT1_T2_T3_mT4_P12ihipStream_tbEUlT_E1_NS1_11comp_targetILNS1_3genE3ELNS1_11target_archE908ELNS1_3gpuE7ELNS1_3repE0EEENS1_30default_config_static_selectorELNS0_4arch9wavefront6targetE1EEEvSL_,"axG",@progbits,_ZN7rocprim17ROCPRIM_400000_NS6detail17trampoline_kernelINS0_14default_configENS1_22reduce_config_selectorIiEEZNS1_11reduce_implILb1ES3_N6thrust23THRUST_200600_302600_NS11hip_rocprim35transform_pair_of_input_iterators_tIiPlSB_NS8_12not_equal_toIlEEEEPiiNS8_4plusIiEEEE10hipError_tPvRmT1_T2_T3_mT4_P12ihipStream_tbEUlT_E1_NS1_11comp_targetILNS1_3genE3ELNS1_11target_archE908ELNS1_3gpuE7ELNS1_3repE0EEENS1_30default_config_static_selectorELNS0_4arch9wavefront6targetE1EEEvSL_,comdat
	.protected	_ZN7rocprim17ROCPRIM_400000_NS6detail17trampoline_kernelINS0_14default_configENS1_22reduce_config_selectorIiEEZNS1_11reduce_implILb1ES3_N6thrust23THRUST_200600_302600_NS11hip_rocprim35transform_pair_of_input_iterators_tIiPlSB_NS8_12not_equal_toIlEEEEPiiNS8_4plusIiEEEE10hipError_tPvRmT1_T2_T3_mT4_P12ihipStream_tbEUlT_E1_NS1_11comp_targetILNS1_3genE3ELNS1_11target_archE908ELNS1_3gpuE7ELNS1_3repE0EEENS1_30default_config_static_selectorELNS0_4arch9wavefront6targetE1EEEvSL_ ; -- Begin function _ZN7rocprim17ROCPRIM_400000_NS6detail17trampoline_kernelINS0_14default_configENS1_22reduce_config_selectorIiEEZNS1_11reduce_implILb1ES3_N6thrust23THRUST_200600_302600_NS11hip_rocprim35transform_pair_of_input_iterators_tIiPlSB_NS8_12not_equal_toIlEEEEPiiNS8_4plusIiEEEE10hipError_tPvRmT1_T2_T3_mT4_P12ihipStream_tbEUlT_E1_NS1_11comp_targetILNS1_3genE3ELNS1_11target_archE908ELNS1_3gpuE7ELNS1_3repE0EEENS1_30default_config_static_selectorELNS0_4arch9wavefront6targetE1EEEvSL_
	.globl	_ZN7rocprim17ROCPRIM_400000_NS6detail17trampoline_kernelINS0_14default_configENS1_22reduce_config_selectorIiEEZNS1_11reduce_implILb1ES3_N6thrust23THRUST_200600_302600_NS11hip_rocprim35transform_pair_of_input_iterators_tIiPlSB_NS8_12not_equal_toIlEEEEPiiNS8_4plusIiEEEE10hipError_tPvRmT1_T2_T3_mT4_P12ihipStream_tbEUlT_E1_NS1_11comp_targetILNS1_3genE3ELNS1_11target_archE908ELNS1_3gpuE7ELNS1_3repE0EEENS1_30default_config_static_selectorELNS0_4arch9wavefront6targetE1EEEvSL_
	.p2align	8
	.type	_ZN7rocprim17ROCPRIM_400000_NS6detail17trampoline_kernelINS0_14default_configENS1_22reduce_config_selectorIiEEZNS1_11reduce_implILb1ES3_N6thrust23THRUST_200600_302600_NS11hip_rocprim35transform_pair_of_input_iterators_tIiPlSB_NS8_12not_equal_toIlEEEEPiiNS8_4plusIiEEEE10hipError_tPvRmT1_T2_T3_mT4_P12ihipStream_tbEUlT_E1_NS1_11comp_targetILNS1_3genE3ELNS1_11target_archE908ELNS1_3gpuE7ELNS1_3repE0EEENS1_30default_config_static_selectorELNS0_4arch9wavefront6targetE1EEEvSL_,@function
_ZN7rocprim17ROCPRIM_400000_NS6detail17trampoline_kernelINS0_14default_configENS1_22reduce_config_selectorIiEEZNS1_11reduce_implILb1ES3_N6thrust23THRUST_200600_302600_NS11hip_rocprim35transform_pair_of_input_iterators_tIiPlSB_NS8_12not_equal_toIlEEEEPiiNS8_4plusIiEEEE10hipError_tPvRmT1_T2_T3_mT4_P12ihipStream_tbEUlT_E1_NS1_11comp_targetILNS1_3genE3ELNS1_11target_archE908ELNS1_3gpuE7ELNS1_3repE0EEENS1_30default_config_static_selectorELNS0_4arch9wavefront6targetE1EEEvSL_: ; @_ZN7rocprim17ROCPRIM_400000_NS6detail17trampoline_kernelINS0_14default_configENS1_22reduce_config_selectorIiEEZNS1_11reduce_implILb1ES3_N6thrust23THRUST_200600_302600_NS11hip_rocprim35transform_pair_of_input_iterators_tIiPlSB_NS8_12not_equal_toIlEEEEPiiNS8_4plusIiEEEE10hipError_tPvRmT1_T2_T3_mT4_P12ihipStream_tbEUlT_E1_NS1_11comp_targetILNS1_3genE3ELNS1_11target_archE908ELNS1_3gpuE7ELNS1_3repE0EEENS1_30default_config_static_selectorELNS0_4arch9wavefront6targetE1EEEvSL_
; %bb.0:
	.section	.rodata,"a",@progbits
	.p2align	6, 0x0
	.amdhsa_kernel _ZN7rocprim17ROCPRIM_400000_NS6detail17trampoline_kernelINS0_14default_configENS1_22reduce_config_selectorIiEEZNS1_11reduce_implILb1ES3_N6thrust23THRUST_200600_302600_NS11hip_rocprim35transform_pair_of_input_iterators_tIiPlSB_NS8_12not_equal_toIlEEEEPiiNS8_4plusIiEEEE10hipError_tPvRmT1_T2_T3_mT4_P12ihipStream_tbEUlT_E1_NS1_11comp_targetILNS1_3genE3ELNS1_11target_archE908ELNS1_3gpuE7ELNS1_3repE0EEENS1_30default_config_static_selectorELNS0_4arch9wavefront6targetE1EEEvSL_
		.amdhsa_group_segment_fixed_size 0
		.amdhsa_private_segment_fixed_size 0
		.amdhsa_kernarg_size 56
		.amdhsa_user_sgpr_count 6
		.amdhsa_user_sgpr_private_segment_buffer 1
		.amdhsa_user_sgpr_dispatch_ptr 0
		.amdhsa_user_sgpr_queue_ptr 0
		.amdhsa_user_sgpr_kernarg_segment_ptr 1
		.amdhsa_user_sgpr_dispatch_id 0
		.amdhsa_user_sgpr_flat_scratch_init 0
		.amdhsa_user_sgpr_private_segment_size 0
		.amdhsa_uses_dynamic_stack 0
		.amdhsa_system_sgpr_private_segment_wavefront_offset 0
		.amdhsa_system_sgpr_workgroup_id_x 1
		.amdhsa_system_sgpr_workgroup_id_y 0
		.amdhsa_system_sgpr_workgroup_id_z 0
		.amdhsa_system_sgpr_workgroup_info 0
		.amdhsa_system_vgpr_workitem_id 0
		.amdhsa_next_free_vgpr 1
		.amdhsa_next_free_sgpr 0
		.amdhsa_reserve_vcc 0
		.amdhsa_reserve_flat_scratch 0
		.amdhsa_float_round_mode_32 0
		.amdhsa_float_round_mode_16_64 0
		.amdhsa_float_denorm_mode_32 3
		.amdhsa_float_denorm_mode_16_64 3
		.amdhsa_dx10_clamp 1
		.amdhsa_ieee_mode 1
		.amdhsa_fp16_overflow 0
		.amdhsa_exception_fp_ieee_invalid_op 0
		.amdhsa_exception_fp_denorm_src 0
		.amdhsa_exception_fp_ieee_div_zero 0
		.amdhsa_exception_fp_ieee_overflow 0
		.amdhsa_exception_fp_ieee_underflow 0
		.amdhsa_exception_fp_ieee_inexact 0
		.amdhsa_exception_int_div_zero 0
	.end_amdhsa_kernel
	.section	.text._ZN7rocprim17ROCPRIM_400000_NS6detail17trampoline_kernelINS0_14default_configENS1_22reduce_config_selectorIiEEZNS1_11reduce_implILb1ES3_N6thrust23THRUST_200600_302600_NS11hip_rocprim35transform_pair_of_input_iterators_tIiPlSB_NS8_12not_equal_toIlEEEEPiiNS8_4plusIiEEEE10hipError_tPvRmT1_T2_T3_mT4_P12ihipStream_tbEUlT_E1_NS1_11comp_targetILNS1_3genE3ELNS1_11target_archE908ELNS1_3gpuE7ELNS1_3repE0EEENS1_30default_config_static_selectorELNS0_4arch9wavefront6targetE1EEEvSL_,"axG",@progbits,_ZN7rocprim17ROCPRIM_400000_NS6detail17trampoline_kernelINS0_14default_configENS1_22reduce_config_selectorIiEEZNS1_11reduce_implILb1ES3_N6thrust23THRUST_200600_302600_NS11hip_rocprim35transform_pair_of_input_iterators_tIiPlSB_NS8_12not_equal_toIlEEEEPiiNS8_4plusIiEEEE10hipError_tPvRmT1_T2_T3_mT4_P12ihipStream_tbEUlT_E1_NS1_11comp_targetILNS1_3genE3ELNS1_11target_archE908ELNS1_3gpuE7ELNS1_3repE0EEENS1_30default_config_static_selectorELNS0_4arch9wavefront6targetE1EEEvSL_,comdat
.Lfunc_end1198:
	.size	_ZN7rocprim17ROCPRIM_400000_NS6detail17trampoline_kernelINS0_14default_configENS1_22reduce_config_selectorIiEEZNS1_11reduce_implILb1ES3_N6thrust23THRUST_200600_302600_NS11hip_rocprim35transform_pair_of_input_iterators_tIiPlSB_NS8_12not_equal_toIlEEEEPiiNS8_4plusIiEEEE10hipError_tPvRmT1_T2_T3_mT4_P12ihipStream_tbEUlT_E1_NS1_11comp_targetILNS1_3genE3ELNS1_11target_archE908ELNS1_3gpuE7ELNS1_3repE0EEENS1_30default_config_static_selectorELNS0_4arch9wavefront6targetE1EEEvSL_, .Lfunc_end1198-_ZN7rocprim17ROCPRIM_400000_NS6detail17trampoline_kernelINS0_14default_configENS1_22reduce_config_selectorIiEEZNS1_11reduce_implILb1ES3_N6thrust23THRUST_200600_302600_NS11hip_rocprim35transform_pair_of_input_iterators_tIiPlSB_NS8_12not_equal_toIlEEEEPiiNS8_4plusIiEEEE10hipError_tPvRmT1_T2_T3_mT4_P12ihipStream_tbEUlT_E1_NS1_11comp_targetILNS1_3genE3ELNS1_11target_archE908ELNS1_3gpuE7ELNS1_3repE0EEENS1_30default_config_static_selectorELNS0_4arch9wavefront6targetE1EEEvSL_
                                        ; -- End function
	.set _ZN7rocprim17ROCPRIM_400000_NS6detail17trampoline_kernelINS0_14default_configENS1_22reduce_config_selectorIiEEZNS1_11reduce_implILb1ES3_N6thrust23THRUST_200600_302600_NS11hip_rocprim35transform_pair_of_input_iterators_tIiPlSB_NS8_12not_equal_toIlEEEEPiiNS8_4plusIiEEEE10hipError_tPvRmT1_T2_T3_mT4_P12ihipStream_tbEUlT_E1_NS1_11comp_targetILNS1_3genE3ELNS1_11target_archE908ELNS1_3gpuE7ELNS1_3repE0EEENS1_30default_config_static_selectorELNS0_4arch9wavefront6targetE1EEEvSL_.num_vgpr, 0
	.set _ZN7rocprim17ROCPRIM_400000_NS6detail17trampoline_kernelINS0_14default_configENS1_22reduce_config_selectorIiEEZNS1_11reduce_implILb1ES3_N6thrust23THRUST_200600_302600_NS11hip_rocprim35transform_pair_of_input_iterators_tIiPlSB_NS8_12not_equal_toIlEEEEPiiNS8_4plusIiEEEE10hipError_tPvRmT1_T2_T3_mT4_P12ihipStream_tbEUlT_E1_NS1_11comp_targetILNS1_3genE3ELNS1_11target_archE908ELNS1_3gpuE7ELNS1_3repE0EEENS1_30default_config_static_selectorELNS0_4arch9wavefront6targetE1EEEvSL_.num_agpr, 0
	.set _ZN7rocprim17ROCPRIM_400000_NS6detail17trampoline_kernelINS0_14default_configENS1_22reduce_config_selectorIiEEZNS1_11reduce_implILb1ES3_N6thrust23THRUST_200600_302600_NS11hip_rocprim35transform_pair_of_input_iterators_tIiPlSB_NS8_12not_equal_toIlEEEEPiiNS8_4plusIiEEEE10hipError_tPvRmT1_T2_T3_mT4_P12ihipStream_tbEUlT_E1_NS1_11comp_targetILNS1_3genE3ELNS1_11target_archE908ELNS1_3gpuE7ELNS1_3repE0EEENS1_30default_config_static_selectorELNS0_4arch9wavefront6targetE1EEEvSL_.numbered_sgpr, 0
	.set _ZN7rocprim17ROCPRIM_400000_NS6detail17trampoline_kernelINS0_14default_configENS1_22reduce_config_selectorIiEEZNS1_11reduce_implILb1ES3_N6thrust23THRUST_200600_302600_NS11hip_rocprim35transform_pair_of_input_iterators_tIiPlSB_NS8_12not_equal_toIlEEEEPiiNS8_4plusIiEEEE10hipError_tPvRmT1_T2_T3_mT4_P12ihipStream_tbEUlT_E1_NS1_11comp_targetILNS1_3genE3ELNS1_11target_archE908ELNS1_3gpuE7ELNS1_3repE0EEENS1_30default_config_static_selectorELNS0_4arch9wavefront6targetE1EEEvSL_.num_named_barrier, 0
	.set _ZN7rocprim17ROCPRIM_400000_NS6detail17trampoline_kernelINS0_14default_configENS1_22reduce_config_selectorIiEEZNS1_11reduce_implILb1ES3_N6thrust23THRUST_200600_302600_NS11hip_rocprim35transform_pair_of_input_iterators_tIiPlSB_NS8_12not_equal_toIlEEEEPiiNS8_4plusIiEEEE10hipError_tPvRmT1_T2_T3_mT4_P12ihipStream_tbEUlT_E1_NS1_11comp_targetILNS1_3genE3ELNS1_11target_archE908ELNS1_3gpuE7ELNS1_3repE0EEENS1_30default_config_static_selectorELNS0_4arch9wavefront6targetE1EEEvSL_.private_seg_size, 0
	.set _ZN7rocprim17ROCPRIM_400000_NS6detail17trampoline_kernelINS0_14default_configENS1_22reduce_config_selectorIiEEZNS1_11reduce_implILb1ES3_N6thrust23THRUST_200600_302600_NS11hip_rocprim35transform_pair_of_input_iterators_tIiPlSB_NS8_12not_equal_toIlEEEEPiiNS8_4plusIiEEEE10hipError_tPvRmT1_T2_T3_mT4_P12ihipStream_tbEUlT_E1_NS1_11comp_targetILNS1_3genE3ELNS1_11target_archE908ELNS1_3gpuE7ELNS1_3repE0EEENS1_30default_config_static_selectorELNS0_4arch9wavefront6targetE1EEEvSL_.uses_vcc, 0
	.set _ZN7rocprim17ROCPRIM_400000_NS6detail17trampoline_kernelINS0_14default_configENS1_22reduce_config_selectorIiEEZNS1_11reduce_implILb1ES3_N6thrust23THRUST_200600_302600_NS11hip_rocprim35transform_pair_of_input_iterators_tIiPlSB_NS8_12not_equal_toIlEEEEPiiNS8_4plusIiEEEE10hipError_tPvRmT1_T2_T3_mT4_P12ihipStream_tbEUlT_E1_NS1_11comp_targetILNS1_3genE3ELNS1_11target_archE908ELNS1_3gpuE7ELNS1_3repE0EEENS1_30default_config_static_selectorELNS0_4arch9wavefront6targetE1EEEvSL_.uses_flat_scratch, 0
	.set _ZN7rocprim17ROCPRIM_400000_NS6detail17trampoline_kernelINS0_14default_configENS1_22reduce_config_selectorIiEEZNS1_11reduce_implILb1ES3_N6thrust23THRUST_200600_302600_NS11hip_rocprim35transform_pair_of_input_iterators_tIiPlSB_NS8_12not_equal_toIlEEEEPiiNS8_4plusIiEEEE10hipError_tPvRmT1_T2_T3_mT4_P12ihipStream_tbEUlT_E1_NS1_11comp_targetILNS1_3genE3ELNS1_11target_archE908ELNS1_3gpuE7ELNS1_3repE0EEENS1_30default_config_static_selectorELNS0_4arch9wavefront6targetE1EEEvSL_.has_dyn_sized_stack, 0
	.set _ZN7rocprim17ROCPRIM_400000_NS6detail17trampoline_kernelINS0_14default_configENS1_22reduce_config_selectorIiEEZNS1_11reduce_implILb1ES3_N6thrust23THRUST_200600_302600_NS11hip_rocprim35transform_pair_of_input_iterators_tIiPlSB_NS8_12not_equal_toIlEEEEPiiNS8_4plusIiEEEE10hipError_tPvRmT1_T2_T3_mT4_P12ihipStream_tbEUlT_E1_NS1_11comp_targetILNS1_3genE3ELNS1_11target_archE908ELNS1_3gpuE7ELNS1_3repE0EEENS1_30default_config_static_selectorELNS0_4arch9wavefront6targetE1EEEvSL_.has_recursion, 0
	.set _ZN7rocprim17ROCPRIM_400000_NS6detail17trampoline_kernelINS0_14default_configENS1_22reduce_config_selectorIiEEZNS1_11reduce_implILb1ES3_N6thrust23THRUST_200600_302600_NS11hip_rocprim35transform_pair_of_input_iterators_tIiPlSB_NS8_12not_equal_toIlEEEEPiiNS8_4plusIiEEEE10hipError_tPvRmT1_T2_T3_mT4_P12ihipStream_tbEUlT_E1_NS1_11comp_targetILNS1_3genE3ELNS1_11target_archE908ELNS1_3gpuE7ELNS1_3repE0EEENS1_30default_config_static_selectorELNS0_4arch9wavefront6targetE1EEEvSL_.has_indirect_call, 0
	.section	.AMDGPU.csdata,"",@progbits
; Kernel info:
; codeLenInByte = 0
; TotalNumSgprs: 4
; NumVgprs: 0
; ScratchSize: 0
; MemoryBound: 0
; FloatMode: 240
; IeeeMode: 1
; LDSByteSize: 0 bytes/workgroup (compile time only)
; SGPRBlocks: 0
; VGPRBlocks: 0
; NumSGPRsForWavesPerEU: 4
; NumVGPRsForWavesPerEU: 1
; Occupancy: 10
; WaveLimiterHint : 0
; COMPUTE_PGM_RSRC2:SCRATCH_EN: 0
; COMPUTE_PGM_RSRC2:USER_SGPR: 6
; COMPUTE_PGM_RSRC2:TRAP_HANDLER: 0
; COMPUTE_PGM_RSRC2:TGID_X_EN: 1
; COMPUTE_PGM_RSRC2:TGID_Y_EN: 0
; COMPUTE_PGM_RSRC2:TGID_Z_EN: 0
; COMPUTE_PGM_RSRC2:TIDIG_COMP_CNT: 0
	.section	.text._ZN7rocprim17ROCPRIM_400000_NS6detail17trampoline_kernelINS0_14default_configENS1_22reduce_config_selectorIiEEZNS1_11reduce_implILb1ES3_N6thrust23THRUST_200600_302600_NS11hip_rocprim35transform_pair_of_input_iterators_tIiPlSB_NS8_12not_equal_toIlEEEEPiiNS8_4plusIiEEEE10hipError_tPvRmT1_T2_T3_mT4_P12ihipStream_tbEUlT_E1_NS1_11comp_targetILNS1_3genE2ELNS1_11target_archE906ELNS1_3gpuE6ELNS1_3repE0EEENS1_30default_config_static_selectorELNS0_4arch9wavefront6targetE1EEEvSL_,"axG",@progbits,_ZN7rocprim17ROCPRIM_400000_NS6detail17trampoline_kernelINS0_14default_configENS1_22reduce_config_selectorIiEEZNS1_11reduce_implILb1ES3_N6thrust23THRUST_200600_302600_NS11hip_rocprim35transform_pair_of_input_iterators_tIiPlSB_NS8_12not_equal_toIlEEEEPiiNS8_4plusIiEEEE10hipError_tPvRmT1_T2_T3_mT4_P12ihipStream_tbEUlT_E1_NS1_11comp_targetILNS1_3genE2ELNS1_11target_archE906ELNS1_3gpuE6ELNS1_3repE0EEENS1_30default_config_static_selectorELNS0_4arch9wavefront6targetE1EEEvSL_,comdat
	.protected	_ZN7rocprim17ROCPRIM_400000_NS6detail17trampoline_kernelINS0_14default_configENS1_22reduce_config_selectorIiEEZNS1_11reduce_implILb1ES3_N6thrust23THRUST_200600_302600_NS11hip_rocprim35transform_pair_of_input_iterators_tIiPlSB_NS8_12not_equal_toIlEEEEPiiNS8_4plusIiEEEE10hipError_tPvRmT1_T2_T3_mT4_P12ihipStream_tbEUlT_E1_NS1_11comp_targetILNS1_3genE2ELNS1_11target_archE906ELNS1_3gpuE6ELNS1_3repE0EEENS1_30default_config_static_selectorELNS0_4arch9wavefront6targetE1EEEvSL_ ; -- Begin function _ZN7rocprim17ROCPRIM_400000_NS6detail17trampoline_kernelINS0_14default_configENS1_22reduce_config_selectorIiEEZNS1_11reduce_implILb1ES3_N6thrust23THRUST_200600_302600_NS11hip_rocprim35transform_pair_of_input_iterators_tIiPlSB_NS8_12not_equal_toIlEEEEPiiNS8_4plusIiEEEE10hipError_tPvRmT1_T2_T3_mT4_P12ihipStream_tbEUlT_E1_NS1_11comp_targetILNS1_3genE2ELNS1_11target_archE906ELNS1_3gpuE6ELNS1_3repE0EEENS1_30default_config_static_selectorELNS0_4arch9wavefront6targetE1EEEvSL_
	.globl	_ZN7rocprim17ROCPRIM_400000_NS6detail17trampoline_kernelINS0_14default_configENS1_22reduce_config_selectorIiEEZNS1_11reduce_implILb1ES3_N6thrust23THRUST_200600_302600_NS11hip_rocprim35transform_pair_of_input_iterators_tIiPlSB_NS8_12not_equal_toIlEEEEPiiNS8_4plusIiEEEE10hipError_tPvRmT1_T2_T3_mT4_P12ihipStream_tbEUlT_E1_NS1_11comp_targetILNS1_3genE2ELNS1_11target_archE906ELNS1_3gpuE6ELNS1_3repE0EEENS1_30default_config_static_selectorELNS0_4arch9wavefront6targetE1EEEvSL_
	.p2align	8
	.type	_ZN7rocprim17ROCPRIM_400000_NS6detail17trampoline_kernelINS0_14default_configENS1_22reduce_config_selectorIiEEZNS1_11reduce_implILb1ES3_N6thrust23THRUST_200600_302600_NS11hip_rocprim35transform_pair_of_input_iterators_tIiPlSB_NS8_12not_equal_toIlEEEEPiiNS8_4plusIiEEEE10hipError_tPvRmT1_T2_T3_mT4_P12ihipStream_tbEUlT_E1_NS1_11comp_targetILNS1_3genE2ELNS1_11target_archE906ELNS1_3gpuE6ELNS1_3repE0EEENS1_30default_config_static_selectorELNS0_4arch9wavefront6targetE1EEEvSL_,@function
_ZN7rocprim17ROCPRIM_400000_NS6detail17trampoline_kernelINS0_14default_configENS1_22reduce_config_selectorIiEEZNS1_11reduce_implILb1ES3_N6thrust23THRUST_200600_302600_NS11hip_rocprim35transform_pair_of_input_iterators_tIiPlSB_NS8_12not_equal_toIlEEEEPiiNS8_4plusIiEEEE10hipError_tPvRmT1_T2_T3_mT4_P12ihipStream_tbEUlT_E1_NS1_11comp_targetILNS1_3genE2ELNS1_11target_archE906ELNS1_3gpuE6ELNS1_3repE0EEENS1_30default_config_static_selectorELNS0_4arch9wavefront6targetE1EEEvSL_: ; @_ZN7rocprim17ROCPRIM_400000_NS6detail17trampoline_kernelINS0_14default_configENS1_22reduce_config_selectorIiEEZNS1_11reduce_implILb1ES3_N6thrust23THRUST_200600_302600_NS11hip_rocprim35transform_pair_of_input_iterators_tIiPlSB_NS8_12not_equal_toIlEEEEPiiNS8_4plusIiEEEE10hipError_tPvRmT1_T2_T3_mT4_P12ihipStream_tbEUlT_E1_NS1_11comp_targetILNS1_3genE2ELNS1_11target_archE906ELNS1_3gpuE6ELNS1_3repE0EEENS1_30default_config_static_selectorELNS0_4arch9wavefront6targetE1EEEvSL_
; %bb.0:
	s_load_dword s33, s[4:5], 0x4
	s_load_dwordx4 s[40:43], s[4:5], 0x8
	s_load_dwordx4 s[36:39], s[4:5], 0x20
	s_waitcnt lgkmcnt(0)
	s_cmp_lt_i32 s33, 8
	s_cbranch_scc1 .LBB1199_11
; %bb.1:
	s_cmp_gt_i32 s33, 15
	s_cbranch_scc0 .LBB1199_12
; %bb.2:
	s_cmp_gt_i32 s33, 31
	s_cbranch_scc0 .LBB1199_13
; %bb.3:
	s_cmp_eq_u32 s33, 32
	s_mov_b64 s[14:15], 0
	s_cbranch_scc0 .LBB1199_14
; %bb.4:
	s_mov_b32 s7, 0
	s_lshl_b32 s20, s6, 13
	s_mov_b32 s21, s7
	s_lshr_b64 s[0:1], s[36:37], 13
	s_lshl_b64 s[2:3], s[20:21], 3
	s_add_u32 s16, s40, s2
	s_addc_u32 s17, s41, s3
	s_add_u32 s18, s42, s2
	s_addc_u32 s19, s43, s3
	s_cmp_lg_u64 s[0:1], s[6:7]
	s_cbranch_scc0 .LBB1199_23
; %bb.5:
	v_lshlrev_b32_e32 v9, 3, v0
	v_mov_b32_e32 v1, s17
	v_add_co_u32_e32 v37, vcc, s16, v9
	v_addc_co_u32_e32 v38, vcc, 0, v1, vcc
	global_load_dwordx2 v[1:2], v9, s[16:17]
	global_load_dwordx2 v[3:4], v9, s[18:19]
	v_mov_b32_e32 v5, s19
	v_add_co_u32_e32 v39, vcc, s18, v9
	v_addc_co_u32_e32 v40, vcc, 0, v5, vcc
	global_load_dwordx2 v[5:6], v9, s[18:19] offset:2048
	global_load_dwordx2 v[7:8], v9, s[16:17] offset:2048
	v_add_co_u32_e32 v9, vcc, 0x1000, v37
	v_addc_co_u32_e32 v10, vcc, 0, v38, vcc
	v_add_co_u32_e32 v11, vcc, 0x1000, v39
	v_addc_co_u32_e32 v12, vcc, 0, v40, vcc
	global_load_dwordx2 v[13:14], v[11:12], off
	global_load_dwordx2 v[15:16], v[9:10], off
	global_load_dwordx2 v[17:18], v[9:10], off offset:2048
	global_load_dwordx2 v[19:20], v[11:12], off offset:2048
	v_add_co_u32_e32 v9, vcc, 0x2000, v37
	v_addc_co_u32_e32 v10, vcc, 0, v38, vcc
	v_add_co_u32_e32 v11, vcc, 0x2000, v39
	v_addc_co_u32_e32 v12, vcc, 0, v40, vcc
	global_load_dwordx2 v[21:22], v[9:10], off
	global_load_dwordx2 v[25:26], v[11:12], off
	v_add_co_u32_e32 v23, vcc, 0x3000, v37
	s_mov_b64 s[0:1], vcc
	v_add_co_u32_e32 v27, vcc, 0x3000, v39
	s_mov_b64 s[2:3], vcc
	v_add_co_u32_e32 v29, vcc, 0x4000, v37
	v_addc_co_u32_e32 v30, vcc, 0, v38, vcc
	s_waitcnt vmcnt(8)
	v_cmp_ne_u64_e64 s[8:9], v[1:2], v[3:4]
	v_add_co_u32_e32 v1, vcc, 0x4000, v39
	v_addc_co_u32_e32 v2, vcc, 0, v40, vcc
	global_load_dwordx2 v[3:4], v[29:30], off
	v_cndmask_b32_e64 v24, 0, 1, s[8:9]
	s_waitcnt vmcnt(7)
	v_cmp_ne_u64_e64 s[8:9], v[7:8], v[5:6]
	global_load_dwordx2 v[7:8], v[1:2], off
	v_add_co_u32_e32 v5, vcc, 0x5000, v37
	v_addc_co_u32_e32 v6, vcc, 0, v38, vcc
	s_waitcnt vmcnt(6)
	v_cmp_ne_u64_e64 s[10:11], v[15:16], v[13:14]
	v_add_co_u32_e32 v13, vcc, 0x5000, v39
	global_load_dwordx2 v[15:16], v[5:6], off
	v_addc_co_u32_e64 v41, s[8:9], 0, v24, s[8:9]
	v_addc_co_u32_e32 v14, vcc, 0, v40, vcc
	s_waitcnt vmcnt(5)
	v_cmp_ne_u64_e64 s[8:9], v[17:18], v[19:20]
	global_load_dwordx2 v[17:18], v[13:14], off
	global_load_dwordx2 v[19:20], v[9:10], off offset:2048
	global_load_dwordx2 v[31:32], v[11:12], off offset:2048
	v_addc_co_u32_e64 v24, vcc, 0, v38, s[0:1]
	v_addc_co_u32_e64 v28, vcc, 0, v40, s[2:3]
	s_waitcnt vmcnt(6)
	v_cmp_ne_u64_e64 s[0:1], v[21:22], v[25:26]
	global_load_dwordx2 v[9:10], v[23:24], off
	global_load_dwordx2 v[11:12], v[23:24], off offset:2048
	global_load_dwordx2 v[21:22], v[27:28], off
	global_load_dwordx2 v[25:26], v[27:28], off offset:2048
	global_load_dwordx2 v[33:34], v[29:30], off offset:2048
	;; [unrolled: 1-line block ×3, first 2 shown]
	v_cndmask_b32_e64 v42, 0, 1, s[10:11]
	s_waitcnt vmcnt(10)
	v_cmp_ne_u64_e64 s[2:3], v[3:4], v[7:8]
	global_load_dwordx2 v[1:2], v[5:6], off offset:2048
	global_load_dwordx2 v[3:4], v[13:14], off offset:2048
	v_add_co_u32_e32 v5, vcc, 0x6000, v37
	v_addc_co_u32_e32 v6, vcc, 0, v38, vcc
	v_add_co_u32_e32 v13, vcc, 0x6000, v39
	v_addc_co_u32_e32 v14, vcc, 0, v40, vcc
	global_load_dwordx2 v[7:8], v[5:6], off
	s_waitcnt vmcnt(11)
	v_cmp_ne_u64_e64 s[10:11], v[15:16], v[17:18]
	global_load_dwordx2 v[15:16], v[13:14], off
	v_cndmask_b32_e64 v17, 0, 1, s[0:1]
	v_cndmask_b32_e64 v29, 0, 1, s[10:11]
	s_waitcnt vmcnt(7)
	v_cmp_ne_u64_e32 vcc, v[9:10], v[21:22]
	v_cndmask_b32_e64 v10, 0, 1, s[2:3]
	v_cndmask_b32_e64 v9, 0, 1, vcc
	v_addc_co_u32_e64 v18, vcc, v41, v42, s[8:9]
	v_cmp_ne_u64_e32 vcc, v[19:20], v[31:32]
	v_addc_co_u32_e32 v17, vcc, v18, v17, vcc
	s_waitcnt vmcnt(6)
	v_cmp_ne_u64_e32 vcc, v[11:12], v[25:26]
	v_addc_co_u32_e32 v9, vcc, v17, v9, vcc
	s_waitcnt vmcnt(4)
	;; [unrolled: 3-line block ×3, first 2 shown]
	v_cmp_ne_u64_e64 s[0:1], v[1:2], v[3:4]
	global_load_dwordx2 v[1:2], v[5:6], off offset:2048
	global_load_dwordx2 v[3:4], v[13:14], off offset:2048
	v_add_co_u32_e32 v5, vcc, 0x7000, v37
	v_addc_co_u32_e32 v6, vcc, 0, v38, vcc
	s_waitcnt vmcnt(2)
	v_cmp_ne_u64_e64 s[2:3], v[7:8], v[15:16]
	v_add_co_u32_e32 v7, vcc, 0x7000, v39
	v_addc_co_u32_e32 v8, vcc, 0, v40, vcc
	global_load_dwordx2 v[9:10], v[5:6], off
	global_load_dwordx2 v[11:12], v[5:6], off offset:2048
	global_load_dwordx2 v[13:14], v[7:8], off
	global_load_dwordx2 v[15:16], v[7:8], off offset:2048
	v_add_co_u32_e32 v5, vcc, 0x8000, v37
	v_addc_co_u32_e32 v6, vcc, 0, v38, vcc
	v_add_co_u32_e32 v17, vcc, 0x8000, v39
	v_addc_co_u32_e32 v18, vcc, 0, v40, vcc
	v_add_co_u32_e32 v21, vcc, 0x9000, v37
	global_load_dwordx2 v[7:8], v[5:6], off
	global_load_dwordx2 v[19:20], v[17:18], off
	v_addc_co_u32_e32 v22, vcc, 0, v38, vcc
	v_add_co_u32_e32 v25, vcc, 0x9000, v39
	v_addc_co_u32_e32 v26, vcc, 0, v40, vcc
	global_load_dwordx2 v[23:24], v[21:22], off
	global_load_dwordx2 v[27:28], v[25:26], off
	v_cndmask_b32_e64 v31, 0, 1, s[2:3]
	s_waitcnt vmcnt(5)
	v_cmp_ne_u64_e32 vcc, v[9:10], v[13:14]
	v_cndmask_b32_e64 v32, 0, 1, vcc
	v_addc_co_u32_e64 v9, vcc, v30, v29, s[0:1]
	v_cmp_ne_u64_e32 vcc, v[1:2], v[3:4]
	global_load_dwordx2 v[1:2], v[5:6], off offset:2048
	global_load_dwordx2 v[3:4], v[17:18], off offset:2048
	v_addc_co_u32_e32 v29, vcc, v9, v31, vcc
	v_add_co_u32_e32 v9, vcc, 0xa000, v37
	v_addc_co_u32_e32 v10, vcc, 0, v38, vcc
	v_add_co_u32_e32 v13, vcc, 0xa000, v39
	;; [unrolled: 2-line block ×3, first 2 shown]
	s_waitcnt vmcnt(4)
	v_cmp_ne_u64_e64 s[2:3], v[7:8], v[19:20]
	s_mov_b64 s[10:11], vcc
	v_add_co_u32_e32 v19, vcc, 0xb000, v39
	s_mov_b64 s[12:13], vcc
	v_add_co_u32_e32 v20, vcc, 0xc000, v37
	global_load_dwordx2 v[5:6], v[21:22], off offset:2048
	global_load_dwordx2 v[7:8], v[25:26], off offset:2048
	v_addc_co_u32_e32 v21, vcc, 0, v38, vcc
	s_waitcnt vmcnt(4)
	v_cmp_ne_u64_e64 s[8:9], v[23:24], v[27:28]
	v_add_co_u32_e32 v24, vcc, 0xc000, v39
	v_addc_co_u32_e32 v25, vcc, 0, v40, vcc
	global_load_dwordx2 v[22:23], v[20:21], off
	global_load_dwordx2 v[26:27], v[24:25], off
	v_cmp_ne_u64_e64 s[0:1], v[11:12], v[15:16]
	global_load_dwordx2 v[11:12], v[9:10], off
	global_load_dwordx2 v[15:16], v[13:14], off
	v_addc_co_u32_e64 v28, vcc, v29, v32, s[0:1]
	v_cndmask_b32_e64 v18, 0, 1, s[2:3]
	v_cndmask_b32_e64 v41, 0, 1, s[8:9]
	s_waitcnt vmcnt(6)
	v_cmp_ne_u64_e32 vcc, v[1:2], v[3:4]
	global_load_dwordx2 v[1:2], v[9:10], off offset:2048
	global_load_dwordx2 v[3:4], v[13:14], off offset:2048
	v_addc_co_u32_e32 v42, vcc, v28, v18, vcc
	v_add_co_u32_e32 v9, vcc, 0xd000, v37
	v_addc_co_u32_e32 v10, vcc, 0, v38, vcc
	v_add_co_u32_e32 v13, vcc, 0xd000, v39
	v_addc_co_u32_e32 v14, vcc, 0, v40, vcc
	s_waitcnt vmcnt(6)
	v_cmp_ne_u64_e64 s[0:1], v[5:6], v[7:8]
	global_load_dwordx2 v[5:6], v[20:21], off offset:2048
	global_load_dwordx2 v[7:8], v[24:25], off offset:2048
	v_add_co_u32_e32 v21, vcc, 0xe000, v37
	s_waitcnt vmcnt(6)
	v_cmp_ne_u64_e64 s[8:9], v[22:23], v[26:27]
	v_addc_co_u32_e32 v22, vcc, 0, v38, vcc
	s_waitcnt vmcnt(4)
	v_cmp_ne_u64_e64 s[2:3], v[11:12], v[15:16]
	global_load_dwordx2 v[11:12], v[9:10], off
	global_load_dwordx2 v[15:16], v[13:14], off
	v_add_co_u32_e32 v25, vcc, 0xe000, v39
	v_addc_co_u32_e32 v26, vcc, 0, v40, vcc
	global_load_dwordx2 v[23:24], v[21:22], off
	global_load_dwordx2 v[27:28], v[25:26], off
	v_addc_co_u32_e64 v18, vcc, 0, v38, s[10:11]
	v_addc_co_u32_e64 v20, vcc, 0, v40, s[12:13]
	global_load_dwordx2 v[29:30], v[9:10], off offset:2048
	global_load_dwordx2 v[31:32], v[13:14], off offset:2048
	s_waitcnt vmcnt(4)
	v_cmp_ne_u64_e64 s[10:11], v[11:12], v[15:16]
	global_load_dwordx2 v[9:10], v[17:18], off
	global_load_dwordx2 v[11:12], v[19:20], off
	global_load_dwordx2 v[13:14], v[21:22], off offset:2048
	global_load_dwordx2 v[15:16], v[25:26], off offset:2048
	v_add_co_u32_e32 v21, vcc, 0xf000, v37
	v_addc_co_u32_e32 v22, vcc, 0, v38, vcc
	s_waitcnt vmcnt(6)
	v_cmp_ne_u64_e64 s[12:13], v[23:24], v[27:28]
	global_load_dwordx2 v[23:24], v[21:22], off
	v_add_co_u32_e32 v25, vcc, 0xf000, v39
	v_addc_co_u32_e32 v26, vcc, 0, v40, vcc
	global_load_dwordx2 v[27:28], v[25:26], off
	global_load_dwordx2 v[33:34], v[17:18], off offset:2048
	global_load_dwordx2 v[35:36], v[19:20], off offset:2048
	;; [unrolled: 1-line block ×4, first 2 shown]
	v_cndmask_b32_e64 v17, 0, 1, s[2:3]
	s_waitcnt vmcnt(8)
	v_cmp_ne_u64_e32 vcc, v[9:10], v[11:12]
	v_cndmask_b32_e64 v10, 0, 1, s[8:9]
	v_cndmask_b32_e64 v9, 0, 1, vcc
	v_cndmask_b32_e64 v11, 0, 1, s[10:11]
	v_cndmask_b32_e64 v12, 0, 1, s[12:13]
	s_waitcnt vmcnt(4)
	v_cmp_ne_u64_e32 vcc, v[23:24], v[27:28]
	v_cndmask_b32_e64 v18, 0, 1, vcc
	v_addc_co_u32_e64 v19, vcc, v42, v41, s[0:1]
	v_cmp_ne_u64_e32 vcc, v[1:2], v[3:4]
	v_mbcnt_lo_u32_b32 v2, -1, 0
	v_addc_co_u32_e32 v1, vcc, v19, v17, vcc
	s_waitcnt vmcnt(2)
	v_cmp_ne_u64_e32 vcc, v[33:34], v[35:36]
	v_mbcnt_hi_u32_b32 v2, -1, v2
	v_addc_co_u32_e32 v1, vcc, v1, v9, vcc
	v_cmp_ne_u64_e32 vcc, v[5:6], v[7:8]
	v_lshlrev_b32_e32 v3, 2, v2
	v_addc_co_u32_e32 v1, vcc, v1, v10, vcc
	v_cmp_ne_u64_e32 vcc, v[29:30], v[31:32]
	v_or_b32_e32 v4, 0xfc, v3
	v_addc_co_u32_e32 v1, vcc, v1, v11, vcc
	v_cmp_ne_u64_e32 vcc, v[13:14], v[15:16]
	v_addc_co_u32_e32 v1, vcc, v1, v12, vcc
	s_waitcnt vmcnt(0)
	v_cmp_ne_u64_e32 vcc, v[37:38], v[39:40]
	v_addc_co_u32_e32 v1, vcc, v1, v18, vcc
	s_nop 1
	v_add_u32_dpp v1, v1, v1 quad_perm:[1,0,3,2] row_mask:0xf bank_mask:0xf bound_ctrl:1
	v_cmp_eq_u32_e32 vcc, 0, v2
	s_nop 0
	v_add_u32_dpp v1, v1, v1 quad_perm:[2,3,0,1] row_mask:0xf bank_mask:0xf bound_ctrl:1
	s_nop 1
	v_add_u32_dpp v1, v1, v1 row_ror:4 row_mask:0xf bank_mask:0xf bound_ctrl:1
	s_nop 1
	v_add_u32_dpp v1, v1, v1 row_ror:8 row_mask:0xf bank_mask:0xf bound_ctrl:1
	s_nop 1
	v_add_u32_dpp v1, v1, v1 row_bcast:15 row_mask:0xf bank_mask:0xf bound_ctrl:1
	s_nop 1
	v_add_u32_dpp v1, v1, v1 row_bcast:31 row_mask:0xf bank_mask:0xf bound_ctrl:1
	ds_bpermute_b32 v1, v4, v1
	s_and_saveexec_b64 s[0:1], vcc
	s_cbranch_execz .LBB1199_7
; %bb.6:
	v_lshrrev_b32_e32 v4, 4, v0
	v_and_b32_e32 v4, 12, v4
	s_waitcnt lgkmcnt(0)
	ds_write_b32 v4, v1 offset:48
.LBB1199_7:
	s_or_b64 exec, exec, s[0:1]
	v_cmp_gt_u32_e32 vcc, 64, v0
	s_waitcnt lgkmcnt(0)
	s_barrier
	s_and_saveexec_b64 s[0:1], vcc
	s_cbranch_execz .LBB1199_9
; %bb.8:
	v_and_b32_e32 v1, 3, v2
	v_lshlrev_b32_e32 v4, 2, v1
	ds_read_b32 v4, v4 offset:48
	v_cmp_ne_u32_e32 vcc, 3, v1
	v_addc_co_u32_e32 v1, vcc, 0, v2, vcc
	v_lshlrev_b32_e32 v1, 2, v1
	s_waitcnt lgkmcnt(0)
	ds_bpermute_b32 v1, v1, v4
	v_or_b32_e32 v2, 8, v3
	s_waitcnt lgkmcnt(0)
	v_add_u32_e32 v1, v1, v4
	ds_bpermute_b32 v2, v2, v1
	s_waitcnt lgkmcnt(0)
	v_add_u32_e32 v1, v2, v1
.LBB1199_9:
	s_or_b64 exec, exec, s[0:1]
.LBB1199_10:
	v_cmp_eq_u32_e64 s[0:1], 0, v0
	s_and_b64 vcc, exec, s[14:15]
	s_cbranch_vccnz .LBB1199_15
	s_branch .LBB1199_93
.LBB1199_11:
	s_mov_b64 s[0:1], 0
                                        ; implicit-def: $vgpr1
	s_cbranch_execnz .LBB1199_166
	s_branch .LBB1199_224
.LBB1199_12:
	s_mov_b64 s[0:1], 0
                                        ; implicit-def: $vgpr1
	s_cbranch_execnz .LBB1199_134
	s_branch .LBB1199_142
.LBB1199_13:
	s_mov_b64 s[14:15], -1
.LBB1199_14:
	s_mov_b64 s[0:1], 0
                                        ; implicit-def: $vgpr1
	s_and_b64 vcc, exec, s[14:15]
	s_cbranch_vccz .LBB1199_93
.LBB1199_15:
	s_cmp_eq_u32 s33, 16
	s_cbranch_scc0 .LBB1199_22
; %bb.16:
	s_mov_b32 s7, 0
	s_lshl_b32 s16, s6, 12
	s_mov_b32 s17, s7
	s_lshr_b64 s[0:1], s[36:37], 12
	s_lshl_b64 s[2:3], s[16:17], 3
	s_add_u32 s34, s40, s2
	s_addc_u32 s35, s41, s3
	s_add_u32 s44, s42, s2
	s_addc_u32 s45, s43, s3
	s_cmp_lg_u64 s[0:1], s[6:7]
	s_cbranch_scc0 .LBB1199_94
; %bb.17:
	v_lshlrev_b32_e32 v9, 3, v0
	global_load_dwordx2 v[1:2], v9, s[34:35]
	global_load_dwordx2 v[3:4], v9, s[44:45]
	global_load_dwordx2 v[5:6], v9, s[44:45] offset:2048
	global_load_dwordx2 v[7:8], v9, s[34:35] offset:2048
	v_mov_b32_e32 v10, s35
	v_add_co_u32_e32 v35, vcc, s34, v9
	v_addc_co_u32_e32 v36, vcc, 0, v10, vcc
	v_mov_b32_e32 v11, s45
	v_add_co_u32_e32 v37, vcc, s44, v9
	v_addc_co_u32_e32 v38, vcc, 0, v11, vcc
	v_add_co_u32_e32 v9, vcc, 0x1000, v35
	v_addc_co_u32_e32 v10, vcc, 0, v36, vcc
	;; [unrolled: 2-line block ×3, first 2 shown]
	global_load_dwordx2 v[13:14], v[9:10], off
	global_load_dwordx2 v[15:16], v[9:10], off offset:2048
	v_add_co_u32_e32 v9, vcc, 0x2000, v35
	v_addc_co_u32_e32 v10, vcc, 0, v36, vcc
	global_load_dwordx2 v[17:18], v[11:12], off
	global_load_dwordx2 v[19:20], v[11:12], off offset:2048
	v_add_co_u32_e32 v11, vcc, 0x2000, v37
	v_addc_co_u32_e32 v12, vcc, 0, v38, vcc
	v_add_co_u32_e32 v23, vcc, 0x3000, v35
	s_mov_b64 s[2:3], vcc
	v_add_co_u32_e32 v26, vcc, 0x3000, v37
	s_mov_b64 s[0:1], vcc
	v_add_co_u32_e32 v27, vcc, 0x4000, v35
	global_load_dwordx2 v[21:22], v[9:10], off
	global_load_dwordx2 v[24:25], v[11:12], off
	v_addc_co_u32_e32 v28, vcc, 0, v36, vcc
	s_waitcnt vmcnt(8)
	v_cmp_ne_u64_e64 s[8:9], v[1:2], v[3:4]
	v_add_co_u32_e32 v1, vcc, 0x4000, v37
	global_load_dwordx2 v[3:4], v[27:28], off
	v_addc_co_u32_e32 v2, vcc, 0, v38, vcc
	v_cndmask_b32_e64 v31, 0, 1, s[8:9]
	s_waitcnt vmcnt(7)
	v_cmp_ne_u64_e64 s[8:9], v[7:8], v[5:6]
	global_load_dwordx2 v[5:6], v[1:2], off
	global_load_dwordx2 v[7:8], v[9:10], off offset:2048
	global_load_dwordx2 v[29:30], v[11:12], off offset:2048
	v_add_co_u32_e32 v9, vcc, 0x5000, v35
	v_addc_co_u32_e32 v10, vcc, 0, v36, vcc
	global_load_dwordx2 v[11:12], v[27:28], off offset:2048
	s_waitcnt vmcnt(8)
	v_cmp_ne_u64_e64 s[10:11], v[13:14], v[17:18]
	v_add_co_u32_e32 v13, vcc, 0x5000, v37
	v_addc_co_u32_e32 v14, vcc, 0, v38, vcc
	v_add_co_u32_e32 v17, vcc, 0x6000, v35
	v_addc_co_u32_e32 v18, vcc, 0, v36, vcc
	v_cndmask_b32_e64 v43, 0, 1, s[10:11]
	global_load_dwordx2 v[1:2], v[1:2], off offset:2048
	s_waitcnt vmcnt(6)
	v_cmp_ne_u64_e64 s[10:11], v[21:22], v[24:25]
	global_load_dwordx2 v[21:22], v[17:18], off
	v_addc_co_u32_e64 v28, s[8:9], 0, v31, s[8:9]
	v_cmp_ne_u64_e64 s[8:9], v[15:16], v[19:20]
	global_load_dwordx2 v[15:16], v[9:10], off
	global_load_dwordx2 v[19:20], v[13:14], off
	s_waitcnt vmcnt(7)
	v_cmp_ne_u64_e64 s[12:13], v[3:4], v[5:6]
	v_add_co_u32_e32 v3, vcc, 0x6000, v37
	v_addc_co_u32_e32 v4, vcc, 0, v38, vcc
	global_load_dwordx2 v[5:6], v[3:4], off
	global_load_dwordx2 v[31:32], v[9:10], off offset:2048
	global_load_dwordx2 v[33:34], v[13:14], off offset:2048
	v_addc_co_u32_e64 v24, vcc, 0, v36, s[2:3]
	global_load_dwordx2 v[9:10], v[17:18], off offset:2048
	global_load_dwordx2 v[13:14], v[3:4], off offset:2048
	v_add_co_u32_e32 v3, vcc, 0x7000, v35
	v_addc_co_u32_e32 v4, vcc, 0, v36, vcc
	v_addc_co_u32_e64 v27, vcc, 0, v38, s[0:1]
	s_waitcnt vmcnt(5)
	v_cmp_ne_u64_e64 s[14:15], v[15:16], v[19:20]
	v_add_co_u32_e32 v19, vcc, 0x7000, v37
	v_addc_co_u32_e32 v20, vcc, 0, v38, vcc
	s_waitcnt vmcnt(4)
	v_cmp_ne_u64_e64 s[2:3], v[21:22], v[5:6]
	global_load_dwordx2 v[5:6], v[26:27], off
	global_load_dwordx2 v[15:16], v[23:24], off
	;; [unrolled: 1-line block ×4, first 2 shown]
	global_load_dwordx2 v[35:36], v[23:24], off offset:2048
	global_load_dwordx2 v[37:38], v[26:27], off offset:2048
	;; [unrolled: 1-line block ×4, first 2 shown]
	v_cndmask_b32_e64 v3, 0, 1, s[10:11]
	s_waitcnt vmcnt(6)
	v_cmp_ne_u64_e32 vcc, v[15:16], v[5:6]
	v_cndmask_b32_e64 v5, 0, 1, s[12:13]
	v_cndmask_b32_e64 v4, 0, 1, vcc
	v_addc_co_u32_e64 v16, vcc, v28, v43, s[8:9]
	s_waitcnt vmcnt(4)
	v_cmp_ne_u64_e32 vcc, v[17:18], v[21:22]
	v_cndmask_b32_e64 v6, 0, 1, s[14:15]
	v_cndmask_b32_e64 v17, 0, 1, vcc
	v_cmp_ne_u64_e32 vcc, v[7:8], v[29:30]
	v_cndmask_b32_e64 v15, 0, 1, s[2:3]
	v_addc_co_u32_e32 v3, vcc, v16, v3, vcc
	s_waitcnt vmcnt(2)
	v_cmp_ne_u64_e32 vcc, v[35:36], v[37:38]
	v_addc_co_u32_e32 v3, vcc, v3, v4, vcc
	v_cmp_ne_u64_e32 vcc, v[11:12], v[1:2]
	v_mbcnt_lo_u32_b32 v2, -1, 0
	v_addc_co_u32_e32 v1, vcc, v3, v5, vcc
	v_cmp_ne_u64_e32 vcc, v[31:32], v[33:34]
	v_mbcnt_hi_u32_b32 v2, -1, v2
	v_addc_co_u32_e32 v1, vcc, v1, v6, vcc
	v_cmp_ne_u64_e32 vcc, v[9:10], v[13:14]
	v_lshlrev_b32_e32 v3, 2, v2
	v_addc_co_u32_e32 v1, vcc, v1, v15, vcc
	s_waitcnt vmcnt(0)
	v_cmp_ne_u64_e32 vcc, v[39:40], v[41:42]
	v_or_b32_e32 v4, 0xfc, v3
	v_addc_co_u32_e32 v1, vcc, v1, v17, vcc
	v_cmp_eq_u32_e32 vcc, 0, v2
	s_nop 0
	v_add_u32_dpp v1, v1, v1 quad_perm:[1,0,3,2] row_mask:0xf bank_mask:0xf bound_ctrl:1
	s_nop 1
	v_add_u32_dpp v1, v1, v1 quad_perm:[2,3,0,1] row_mask:0xf bank_mask:0xf bound_ctrl:1
	s_nop 1
	v_add_u32_dpp v1, v1, v1 row_ror:4 row_mask:0xf bank_mask:0xf bound_ctrl:1
	s_nop 1
	v_add_u32_dpp v1, v1, v1 row_ror:8 row_mask:0xf bank_mask:0xf bound_ctrl:1
	s_nop 1
	v_add_u32_dpp v1, v1, v1 row_bcast:15 row_mask:0xf bank_mask:0xf bound_ctrl:1
	s_nop 1
	v_add_u32_dpp v1, v1, v1 row_bcast:31 row_mask:0xf bank_mask:0xf bound_ctrl:1
	ds_bpermute_b32 v1, v4, v1
	s_and_saveexec_b64 s[0:1], vcc
	s_cbranch_execz .LBB1199_19
; %bb.18:
	v_lshrrev_b32_e32 v4, 4, v0
	v_and_b32_e32 v4, 12, v4
	s_waitcnt lgkmcnt(0)
	ds_write_b32 v4, v1
.LBB1199_19:
	s_or_b64 exec, exec, s[0:1]
	v_cmp_gt_u32_e32 vcc, 64, v0
	s_waitcnt lgkmcnt(0)
	s_barrier
	s_and_saveexec_b64 s[0:1], vcc
	s_cbranch_execz .LBB1199_21
; %bb.20:
	v_and_b32_e32 v1, 3, v2
	v_lshlrev_b32_e32 v4, 2, v1
	ds_read_b32 v4, v4
	v_cmp_ne_u32_e32 vcc, 3, v1
	v_addc_co_u32_e32 v1, vcc, 0, v2, vcc
	v_lshlrev_b32_e32 v1, 2, v1
	s_waitcnt lgkmcnt(0)
	ds_bpermute_b32 v1, v1, v4
	v_or_b32_e32 v2, 8, v3
	s_waitcnt lgkmcnt(0)
	v_add_u32_e32 v1, v1, v4
	ds_bpermute_b32 v2, v2, v1
	s_waitcnt lgkmcnt(0)
	v_add_u32_e32 v1, v2, v1
.LBB1199_21:
	s_or_b64 exec, exec, s[0:1]
	s_mov_b64 s[0:1], 0
	s_branch .LBB1199_95
.LBB1199_22:
                                        ; implicit-def: $vgpr1
	s_branch .LBB1199_142
.LBB1199_23:
                                        ; implicit-def: $vgpr1
	s_cbranch_execz .LBB1199_10
; %bb.24:
	s_sub_i32 s2, s36, s20
	v_cmp_gt_u32_e32 vcc, s2, v0
                                        ; implicit-def: $vgpr1
	s_and_saveexec_b64 s[0:1], vcc
	s_cbranch_execz .LBB1199_26
; %bb.25:
	v_lshlrev_b32_e32 v5, 3, v0
	global_load_dwordx2 v[1:2], v5, s[16:17]
	global_load_dwordx2 v[3:4], v5, s[18:19]
	s_waitcnt vmcnt(0)
	v_cmp_ne_u64_e32 vcc, v[1:2], v[3:4]
	v_cndmask_b32_e64 v1, 0, 1, vcc
.LBB1199_26:
	s_or_b64 exec, exec, s[0:1]
	v_or_b32_e32 v2, 0x100, v0
	v_cmp_gt_u32_e32 vcc, s2, v2
	v_mov_b32_e32 v2, 0
	v_mov_b32_e32 v3, 0
	s_and_saveexec_b64 s[0:1], vcc
	s_cbranch_execz .LBB1199_28
; %bb.27:
	v_lshlrev_b32_e32 v7, 3, v0
	global_load_dwordx2 v[3:4], v7, s[16:17] offset:2048
	global_load_dwordx2 v[5:6], v7, s[18:19] offset:2048
	s_waitcnt vmcnt(0)
	v_cmp_ne_u64_e32 vcc, v[3:4], v[5:6]
	v_cndmask_b32_e64 v3, 0, 1, vcc
.LBB1199_28:
	s_or_b64 exec, exec, s[0:1]
	v_or_b32_e32 v4, 0x200, v0
	v_cmp_gt_u32_e32 vcc, s2, v4
	s_and_saveexec_b64 s[0:1], vcc
	s_cbranch_execz .LBB1199_30
; %bb.29:
	v_lshlrev_b32_e32 v2, 3, v4
	global_load_dwordx2 v[4:5], v2, s[16:17]
	global_load_dwordx2 v[6:7], v2, s[18:19]
	s_waitcnt vmcnt(0)
	v_cmp_ne_u64_e32 vcc, v[4:5], v[6:7]
	v_cndmask_b32_e64 v2, 0, 1, vcc
.LBB1199_30:
	s_or_b64 exec, exec, s[0:1]
	v_or_b32_e32 v6, 0x300, v0
	v_cmp_gt_u32_e32 vcc, s2, v6
	v_mov_b32_e32 v4, 0
	v_mov_b32_e32 v5, 0
	s_and_saveexec_b64 s[0:1], vcc
	s_cbranch_execz .LBB1199_32
; %bb.31:
	v_lshlrev_b32_e32 v9, 3, v6
	global_load_dwordx2 v[5:6], v9, s[16:17]
	global_load_dwordx2 v[7:8], v9, s[18:19]
	s_waitcnt vmcnt(0)
	v_cmp_ne_u64_e32 vcc, v[5:6], v[7:8]
	v_cndmask_b32_e64 v5, 0, 1, vcc
.LBB1199_32:
	s_or_b64 exec, exec, s[0:1]
	v_or_b32_e32 v6, 0x400, v0
	v_cmp_gt_u32_e32 vcc, s2, v6
	s_and_saveexec_b64 s[0:1], vcc
	s_cbranch_execz .LBB1199_34
; %bb.33:
	v_lshlrev_b32_e32 v4, 3, v6
	global_load_dwordx2 v[6:7], v4, s[16:17]
	global_load_dwordx2 v[8:9], v4, s[18:19]
	s_waitcnt vmcnt(0)
	v_cmp_ne_u64_e32 vcc, v[6:7], v[8:9]
	v_cndmask_b32_e64 v4, 0, 1, vcc
.LBB1199_34:
	s_or_b64 exec, exec, s[0:1]
	v_or_b32_e32 v8, 0x500, v0
	v_cmp_gt_u32_e32 vcc, s2, v8
	v_mov_b32_e32 v6, 0
	v_mov_b32_e32 v7, 0
	s_and_saveexec_b64 s[0:1], vcc
	s_cbranch_execz .LBB1199_36
; %bb.35:
	v_lshlrev_b32_e32 v11, 3, v8
	global_load_dwordx2 v[7:8], v11, s[16:17]
	global_load_dwordx2 v[9:10], v11, s[18:19]
	s_waitcnt vmcnt(0)
	v_cmp_ne_u64_e32 vcc, v[7:8], v[9:10]
	v_cndmask_b32_e64 v7, 0, 1, vcc
.LBB1199_36:
	;; [unrolled: 28-line block ×14, first 2 shown]
	s_or_b64 exec, exec, s[0:1]
	v_or_b32_e32 v32, 0x1e00, v0
	v_cmp_gt_u32_e32 vcc, s2, v32
	s_and_saveexec_b64 s[0:1], vcc
	s_cbranch_execz .LBB1199_86
; %bb.85:
	v_lshlrev_b32_e32 v30, 3, v32
	global_load_dwordx2 v[32:33], v30, s[16:17]
	global_load_dwordx2 v[34:35], v30, s[18:19]
	s_waitcnt vmcnt(0)
	v_cmp_ne_u64_e32 vcc, v[32:33], v[34:35]
	v_cndmask_b32_e64 v30, 0, 1, vcc
.LBB1199_86:
	s_or_b64 exec, exec, s[0:1]
	v_or_b32_e32 v33, 0x1f00, v0
	v_cmp_gt_u32_e32 vcc, s2, v33
	v_mov_b32_e32 v32, 0
	s_and_saveexec_b64 s[0:1], vcc
	s_cbranch_execz .LBB1199_88
; %bb.87:
	v_lshlrev_b32_e32 v36, 3, v33
	global_load_dwordx2 v[32:33], v36, s[16:17]
	global_load_dwordx2 v[34:35], v36, s[18:19]
	s_waitcnt vmcnt(0)
	v_cmp_ne_u64_e32 vcc, v[32:33], v[34:35]
	v_cndmask_b32_e64 v32, 0, 1, vcc
.LBB1199_88:
	s_or_b64 exec, exec, s[0:1]
	v_add_u32_e32 v1, v3, v1
	v_add3_u32 v1, v1, v2, v5
	v_add3_u32 v1, v1, v4, v7
	;; [unrolled: 1-line block ×10, first 2 shown]
	v_mbcnt_lo_u32_b32 v2, -1, 0
	v_add3_u32 v1, v1, v22, v25
	v_mbcnt_hi_u32_b32 v2, -1, v2
	v_add3_u32 v1, v1, v24, v27
	v_and_b32_e32 v4, 63, v2
	v_add3_u32 v1, v1, v26, v29
	v_cmp_ne_u32_e32 vcc, 63, v4
	v_add3_u32 v1, v1, v28, v31
	v_addc_co_u32_e32 v3, vcc, 0, v2, vcc
	v_add3_u32 v1, v1, v30, v32
	v_lshlrev_b32_e32 v3, 2, v3
	ds_bpermute_b32 v3, v3, v1
	s_min_u32 s2, s2, 0x100
	v_and_b32_e32 v5, 0xc0, v0
	v_sub_u32_e64 v5, s2, v5 clamp
	v_add_u32_e32 v6, 1, v4
	v_cmp_lt_u32_e32 vcc, v6, v5
	s_waitcnt lgkmcnt(0)
	v_cndmask_b32_e32 v3, 0, v3, vcc
	v_cmp_gt_u32_e32 vcc, 62, v4
	v_add_u32_e32 v1, v3, v1
	v_cndmask_b32_e64 v3, 0, 2, vcc
	v_add_lshl_u32 v3, v3, v2, 2
	ds_bpermute_b32 v3, v3, v1
	v_add_u32_e32 v6, 2, v4
	v_cmp_lt_u32_e32 vcc, v6, v5
	v_add_u32_e32 v6, 4, v4
	s_waitcnt lgkmcnt(0)
	v_cndmask_b32_e32 v3, 0, v3, vcc
	v_cmp_gt_u32_e32 vcc, 60, v4
	v_add_u32_e32 v1, v1, v3
	v_cndmask_b32_e64 v3, 0, 4, vcc
	v_add_lshl_u32 v3, v3, v2, 2
	ds_bpermute_b32 v3, v3, v1
	v_cmp_lt_u32_e32 vcc, v6, v5
	v_add_u32_e32 v6, 8, v4
	s_waitcnt lgkmcnt(0)
	v_cndmask_b32_e32 v3, 0, v3, vcc
	v_cmp_gt_u32_e32 vcc, 56, v4
	v_add_u32_e32 v1, v1, v3
	v_cndmask_b32_e64 v3, 0, 8, vcc
	v_add_lshl_u32 v3, v3, v2, 2
	ds_bpermute_b32 v3, v3, v1
	;; [unrolled: 9-line block ×3, first 2 shown]
	v_cmp_lt_u32_e32 vcc, v6, v5
	v_add_u32_e32 v4, 32, v4
	s_waitcnt lgkmcnt(0)
	v_cndmask_b32_e32 v3, 0, v3, vcc
	v_add_u32_e32 v1, v1, v3
	v_lshlrev_b32_e32 v3, 2, v2
	v_or_b32_e32 v6, 0x80, v3
	ds_bpermute_b32 v6, v6, v1
	v_cmp_lt_u32_e32 vcc, v4, v5
	s_waitcnt lgkmcnt(0)
	v_cndmask_b32_e32 v4, 0, v6, vcc
	v_add_u32_e32 v1, v1, v4
	v_cmp_eq_u32_e32 vcc, 0, v2
	s_and_saveexec_b64 s[0:1], vcc
; %bb.89:
	v_lshrrev_b32_e32 v4, 4, v0
	v_and_b32_e32 v4, 12, v4
	ds_write_b32 v4, v1 offset:96
; %bb.90:
	s_or_b64 exec, exec, s[0:1]
	v_cmp_gt_u32_e32 vcc, 4, v0
	s_waitcnt lgkmcnt(0)
	s_barrier
	s_and_saveexec_b64 s[0:1], vcc
	s_cbranch_execz .LBB1199_92
; %bb.91:
	ds_read_b32 v1, v3 offset:96
	v_and_b32_e32 v4, 3, v2
	v_cmp_ne_u32_e32 vcc, 3, v4
	v_addc_co_u32_e32 v2, vcc, 0, v2, vcc
	v_lshlrev_b32_e32 v2, 2, v2
	s_waitcnt lgkmcnt(0)
	ds_bpermute_b32 v2, v2, v1
	s_add_i32 s2, s2, 63
	s_lshr_b32 s2, s2, 6
	v_add_u32_e32 v5, 1, v4
	v_cmp_gt_u32_e32 vcc, s2, v5
	s_waitcnt lgkmcnt(0)
	v_cndmask_b32_e32 v2, 0, v2, vcc
	v_add_u32_e32 v1, v2, v1
	v_or_b32_e32 v2, 8, v3
	ds_bpermute_b32 v2, v2, v1
	v_add_u32_e32 v3, 2, v4
	v_cmp_gt_u32_e32 vcc, s2, v3
	s_waitcnt lgkmcnt(0)
	v_cndmask_b32_e32 v2, 0, v2, vcc
	v_add_u32_e32 v1, v1, v2
.LBB1199_92:
	s_or_b64 exec, exec, s[0:1]
	v_cmp_eq_u32_e64 s[0:1], 0, v0
	s_and_b64 vcc, exec, s[14:15]
	s_cbranch_vccnz .LBB1199_15
.LBB1199_93:
	s_branch .LBB1199_142
.LBB1199_94:
	s_mov_b64 s[0:1], -1
                                        ; implicit-def: $vgpr1
.LBB1199_95:
	s_and_b64 vcc, exec, s[0:1]
	s_cbranch_vccz .LBB1199_133
; %bb.96:
	s_sub_i32 s48, s36, s16
	v_mov_b32_e32 v1, 0
	v_cmp_gt_u32_e32 vcc, s48, v0
	v_mov_b32_e32 v2, v1
	v_mov_b32_e32 v3, v1
	;; [unrolled: 1-line block ×15, first 2 shown]
	s_and_saveexec_b64 s[0:1], vcc
	s_cbranch_execz .LBB1199_98
; %bb.97:
	v_mov_b32_e32 v2, v1
	v_mov_b32_e32 v3, v1
	;; [unrolled: 1-line block ×15, first 2 shown]
	v_lshlrev_b32_e32 v1, 3, v0
	global_load_dwordx2 v[17:18], v1, s[34:35]
	global_load_dwordx2 v[19:20], v1, s[44:45]
	s_waitcnt vmcnt(0)
	v_cmp_ne_u64_e32 vcc, v[17:18], v[19:20]
	v_cndmask_b32_e64 v1, 0, 1, vcc
	v_and_b32_e32 v1, 0xffff, v1
.LBB1199_98:
	s_or_b64 exec, exec, s[0:1]
	v_or_b32_e32 v17, 0x100, v0
	v_cmp_gt_u32_e32 vcc, s48, v17
	s_and_saveexec_b64 s[2:3], vcc
	s_cbranch_execz .LBB1199_100
; %bb.99:
	v_lshlrev_b32_e32 v2, 3, v0
	global_load_dwordx2 v[17:18], v2, s[34:35] offset:2048
	global_load_dwordx2 v[19:20], v2, s[44:45] offset:2048
	s_waitcnt vmcnt(0)
	v_cmp_ne_u64_e64 s[0:1], v[17:18], v[19:20]
	v_cndmask_b32_e64 v2, 0, 1, s[0:1]
.LBB1199_100:
	s_or_b64 exec, exec, s[2:3]
	v_or_b32_e32 v17, 0x200, v0
	v_cmp_gt_u32_e64 s[0:1], s48, v17
	s_and_saveexec_b64 s[8:9], s[0:1]
	s_cbranch_execz .LBB1199_102
; %bb.101:
	v_lshlrev_b32_e32 v3, 3, v17
	global_load_dwordx2 v[17:18], v3, s[34:35]
	global_load_dwordx2 v[19:20], v3, s[44:45]
	s_waitcnt vmcnt(0)
	v_cmp_ne_u64_e64 s[2:3], v[17:18], v[19:20]
	v_cndmask_b32_e64 v3, 0, 1, s[2:3]
.LBB1199_102:
	s_or_b64 exec, exec, s[8:9]
	v_or_b32_e32 v17, 0x300, v0
	v_cmp_gt_u32_e64 s[2:3], s48, v17
	s_and_saveexec_b64 s[10:11], s[2:3]
	s_cbranch_execz .LBB1199_104
; %bb.103:
	v_lshlrev_b32_e32 v4, 3, v17
	global_load_dwordx2 v[17:18], v4, s[34:35]
	global_load_dwordx2 v[19:20], v4, s[44:45]
	s_waitcnt vmcnt(0)
	v_cmp_ne_u64_e64 s[8:9], v[17:18], v[19:20]
	v_cndmask_b32_e64 v4, 0, 1, s[8:9]
.LBB1199_104:
	;; [unrolled: 13-line block ×13, first 2 shown]
	s_or_b64 exec, exec, s[46:47]
	v_or_b32_e32 v17, 0xf00, v0
	v_cmp_gt_u32_e64 s[30:31], s48, v17
	s_and_saveexec_b64 s[46:47], s[30:31]
	s_cbranch_execz .LBB1199_128
; %bb.127:
	v_lshlrev_b32_e32 v18, 3, v17
	global_load_dwordx2 v[16:17], v18, s[34:35]
	s_nop 0
	global_load_dwordx2 v[18:19], v18, s[44:45]
	s_waitcnt vmcnt(0)
	v_cmp_ne_u64_e64 s[34:35], v[16:17], v[18:19]
	v_cndmask_b32_e64 v16, 0, 1, s[34:35]
.LBB1199_128:
	s_or_b64 exec, exec, s[46:47]
	v_cndmask_b32_e32 v2, 0, v2, vcc
	v_add_u32_e32 v1, v2, v1
	v_cndmask_b32_e64 v2, 0, v3, s[0:1]
	v_cndmask_b32_e64 v3, 0, v4, s[2:3]
	v_add3_u32 v1, v1, v2, v3
	v_cndmask_b32_e64 v2, 0, v5, s[8:9]
	v_cndmask_b32_e64 v3, 0, v6, s[10:11]
	v_add3_u32 v1, v1, v2, v3
	;; [unrolled: 3-line block ×7, first 2 shown]
	v_mbcnt_lo_u32_b32 v2, -1, 0
	v_mbcnt_hi_u32_b32 v2, -1, v2
	v_and_b32_e32 v4, 63, v2
	v_cmp_ne_u32_e32 vcc, 63, v4
	v_addc_co_u32_e32 v3, vcc, 0, v2, vcc
	v_lshlrev_b32_e32 v3, 2, v3
	ds_bpermute_b32 v3, v3, v1
	s_min_u32 s2, s48, 0x100
	v_and_b32_e32 v5, 0xc0, v0
	v_sub_u32_e64 v5, s2, v5 clamp
	v_add_u32_e32 v6, 1, v4
	v_cmp_lt_u32_e32 vcc, v6, v5
	s_waitcnt lgkmcnt(0)
	v_cndmask_b32_e32 v3, 0, v3, vcc
	v_cmp_gt_u32_e32 vcc, 62, v4
	v_add_u32_e32 v1, v1, v3
	v_cndmask_b32_e64 v3, 0, 2, vcc
	v_add_lshl_u32 v3, v3, v2, 2
	ds_bpermute_b32 v3, v3, v1
	v_add_u32_e32 v6, 2, v4
	v_cmp_lt_u32_e32 vcc, v6, v5
	v_add_u32_e32 v6, 4, v4
	s_waitcnt lgkmcnt(0)
	v_cndmask_b32_e32 v3, 0, v3, vcc
	v_cmp_gt_u32_e32 vcc, 60, v4
	v_add_u32_e32 v1, v1, v3
	v_cndmask_b32_e64 v3, 0, 4, vcc
	v_add_lshl_u32 v3, v3, v2, 2
	ds_bpermute_b32 v3, v3, v1
	v_cmp_lt_u32_e32 vcc, v6, v5
	v_add_u32_e32 v6, 8, v4
	s_waitcnt lgkmcnt(0)
	v_cndmask_b32_e32 v3, 0, v3, vcc
	v_cmp_gt_u32_e32 vcc, 56, v4
	v_add_u32_e32 v1, v1, v3
	v_cndmask_b32_e64 v3, 0, 8, vcc
	v_add_lshl_u32 v3, v3, v2, 2
	ds_bpermute_b32 v3, v3, v1
	;; [unrolled: 9-line block ×3, first 2 shown]
	v_cmp_lt_u32_e32 vcc, v6, v5
	v_add_u32_e32 v4, 32, v4
	s_waitcnt lgkmcnt(0)
	v_cndmask_b32_e32 v3, 0, v3, vcc
	v_add_u32_e32 v1, v1, v3
	v_lshlrev_b32_e32 v3, 2, v2
	v_or_b32_e32 v6, 0x80, v3
	ds_bpermute_b32 v6, v6, v1
	v_cmp_lt_u32_e32 vcc, v4, v5
	s_waitcnt lgkmcnt(0)
	v_cndmask_b32_e32 v4, 0, v6, vcc
	v_add_u32_e32 v1, v1, v4
	v_cmp_eq_u32_e32 vcc, 0, v2
	s_and_saveexec_b64 s[0:1], vcc
; %bb.129:
	v_lshrrev_b32_e32 v4, 4, v0
	v_and_b32_e32 v4, 12, v4
	ds_write_b32 v4, v1 offset:96
; %bb.130:
	s_or_b64 exec, exec, s[0:1]
	v_cmp_gt_u32_e32 vcc, 4, v0
	s_waitcnt lgkmcnt(0)
	s_barrier
	s_and_saveexec_b64 s[0:1], vcc
	s_cbranch_execz .LBB1199_132
; %bb.131:
	ds_read_b32 v1, v3 offset:96
	v_and_b32_e32 v4, 3, v2
	v_cmp_ne_u32_e32 vcc, 3, v4
	v_addc_co_u32_e32 v2, vcc, 0, v2, vcc
	v_lshlrev_b32_e32 v2, 2, v2
	s_waitcnt lgkmcnt(0)
	ds_bpermute_b32 v2, v2, v1
	s_add_i32 s2, s2, 63
	s_lshr_b32 s2, s2, 6
	v_add_u32_e32 v5, 1, v4
	v_cmp_gt_u32_e32 vcc, s2, v5
	s_waitcnt lgkmcnt(0)
	v_cndmask_b32_e32 v2, 0, v2, vcc
	v_add_u32_e32 v1, v2, v1
	v_or_b32_e32 v2, 8, v3
	ds_bpermute_b32 v2, v2, v1
	v_add_u32_e32 v3, 2, v4
	v_cmp_gt_u32_e32 vcc, s2, v3
	s_waitcnt lgkmcnt(0)
	v_cndmask_b32_e32 v2, 0, v2, vcc
	v_add_u32_e32 v1, v1, v2
.LBB1199_132:
	s_or_b64 exec, exec, s[0:1]
.LBB1199_133:
	v_cmp_eq_u32_e64 s[0:1], 0, v0
	s_branch .LBB1199_142
.LBB1199_134:
	s_cmp_eq_u32 s33, 8
	s_cbranch_scc0 .LBB1199_141
; %bb.135:
	s_mov_b32 s7, 0
	s_lshl_b32 s0, s6, 11
	s_mov_b32 s1, s7
	s_lshr_b64 s[2:3], s[36:37], 11
	s_lshl_b64 s[8:9], s[0:1], 3
	s_add_u32 s16, s40, s8
	s_addc_u32 s17, s41, s9
	s_add_u32 s18, s42, s8
	s_addc_u32 s19, s43, s9
	s_cmp_lg_u64 s[2:3], s[6:7]
	s_cbranch_scc0 .LBB1199_143
; %bb.136:
	v_lshlrev_b32_e32 v1, 3, v0
	v_mov_b32_e32 v2, s17
	v_add_co_u32_e32 v26, vcc, s16, v1
	v_addc_co_u32_e32 v30, vcc, 0, v2, vcc
	v_mov_b32_e32 v3, s19
	v_add_co_u32_e32 v31, vcc, s18, v1
	v_addc_co_u32_e32 v3, vcc, 0, v3, vcc
	global_load_dwordx2 v[4:5], v1, s[16:17]
	global_load_dwordx2 v[6:7], v1, s[18:19]
	global_load_dwordx2 v[8:9], v1, s[18:19] offset:2048
	global_load_dwordx2 v[10:11], v1, s[16:17] offset:2048
	v_add_co_u32_e32 v1, vcc, 0x1000, v26
	v_addc_co_u32_e32 v2, vcc, 0, v30, vcc
	v_add_co_u32_e32 v12, vcc, 0x1000, v31
	v_addc_co_u32_e32 v13, vcc, 0, v3, vcc
	global_load_dwordx2 v[14:15], v[1:2], off
	global_load_dwordx2 v[16:17], v[1:2], off offset:2048
	global_load_dwordx2 v[18:19], v[12:13], off
	global_load_dwordx2 v[20:21], v[12:13], off offset:2048
	v_add_co_u32_e32 v1, vcc, 0x2000, v26
	v_addc_co_u32_e32 v2, vcc, 0, v30, vcc
	v_add_co_u32_e32 v12, vcc, 0x2000, v31
	v_addc_co_u32_e32 v13, vcc, 0, v3, vcc
	global_load_dwordx2 v[22:23], v[1:2], off
	global_load_dwordx2 v[24:25], v[1:2], off offset:2048
	v_add_co_u32_e32 v1, vcc, 0x3000, v26
	global_load_dwordx2 v[26:27], v[12:13], off
	global_load_dwordx2 v[28:29], v[12:13], off offset:2048
	v_addc_co_u32_e32 v2, vcc, 0, v30, vcc
	v_add_co_u32_e32 v12, vcc, 0x3000, v31
	v_addc_co_u32_e32 v13, vcc, 0, v3, vcc
	global_load_dwordx2 v[30:31], v[12:13], off
	global_load_dwordx2 v[32:33], v[1:2], off
	global_load_dwordx2 v[34:35], v[1:2], off offset:2048
	global_load_dwordx2 v[36:37], v[12:13], off offset:2048
	v_mbcnt_lo_u32_b32 v1, -1, 0
	v_mbcnt_hi_u32_b32 v2, -1, v1
	v_lshlrev_b32_e32 v3, 2, v2
	s_waitcnt vmcnt(14)
	v_cmp_ne_u64_e32 vcc, v[4:5], v[6:7]
	v_cndmask_b32_e64 v1, 0, 1, vcc
	s_waitcnt vmcnt(12)
	v_cmp_ne_u64_e32 vcc, v[10:11], v[8:9]
	v_addc_co_u32_e32 v1, vcc, 0, v1, vcc
	s_waitcnt vmcnt(9)
	v_cmp_ne_u64_e32 vcc, v[14:15], v[18:19]
	v_cndmask_b32_e64 v4, 0, 1, vcc
	s_waitcnt vmcnt(8)
	v_cmp_ne_u64_e32 vcc, v[16:17], v[20:21]
	v_addc_co_u32_e32 v1, vcc, v1, v4, vcc
	;; [unrolled: 6-line block ×4, first 2 shown]
	s_nop 1
	v_add_u32_dpp v1, v1, v1 quad_perm:[1,0,3,2] row_mask:0xf bank_mask:0xf bound_ctrl:1
	v_or_b32_e32 v4, 0xfc, v3
	v_cmp_eq_u32_e32 vcc, 0, v2
	v_add_u32_dpp v1, v1, v1 quad_perm:[2,3,0,1] row_mask:0xf bank_mask:0xf bound_ctrl:1
	s_nop 1
	v_add_u32_dpp v1, v1, v1 row_ror:4 row_mask:0xf bank_mask:0xf bound_ctrl:1
	s_nop 1
	v_add_u32_dpp v1, v1, v1 row_ror:8 row_mask:0xf bank_mask:0xf bound_ctrl:1
	s_nop 1
	v_add_u32_dpp v1, v1, v1 row_bcast:15 row_mask:0xf bank_mask:0xf bound_ctrl:1
	s_nop 1
	v_add_u32_dpp v1, v1, v1 row_bcast:31 row_mask:0xf bank_mask:0xf bound_ctrl:1
	ds_bpermute_b32 v1, v4, v1
	s_and_saveexec_b64 s[2:3], vcc
	s_cbranch_execz .LBB1199_138
; %bb.137:
	v_lshrrev_b32_e32 v4, 4, v0
	v_and_b32_e32 v4, 12, v4
	s_waitcnt lgkmcnt(0)
	ds_write_b32 v4, v1 offset:80
.LBB1199_138:
	s_or_b64 exec, exec, s[2:3]
	v_cmp_gt_u32_e32 vcc, 64, v0
	s_waitcnt lgkmcnt(0)
	s_barrier
	s_and_saveexec_b64 s[2:3], vcc
	s_cbranch_execz .LBB1199_140
; %bb.139:
	v_and_b32_e32 v1, 3, v2
	v_lshlrev_b32_e32 v4, 2, v1
	ds_read_b32 v4, v4 offset:80
	v_cmp_ne_u32_e32 vcc, 3, v1
	v_addc_co_u32_e32 v1, vcc, 0, v2, vcc
	v_lshlrev_b32_e32 v1, 2, v1
	s_waitcnt lgkmcnt(0)
	ds_bpermute_b32 v1, v1, v4
	v_or_b32_e32 v2, 8, v3
	s_waitcnt lgkmcnt(0)
	v_add_u32_e32 v1, v1, v4
	ds_bpermute_b32 v2, v2, v1
	s_waitcnt lgkmcnt(0)
	v_add_u32_e32 v1, v2, v1
.LBB1199_140:
	s_or_b64 exec, exec, s[2:3]
	s_branch .LBB1199_165
.LBB1199_141:
                                        ; implicit-def: $vgpr1
.LBB1199_142:
	s_branch .LBB1199_224
.LBB1199_143:
                                        ; implicit-def: $vgpr1
	s_cbranch_execz .LBB1199_165
; %bb.144:
	s_sub_i32 s22, s36, s0
	v_mov_b32_e32 v1, 0
	v_cmp_gt_u32_e32 vcc, s22, v0
	v_mov_b32_e32 v2, v1
	v_mov_b32_e32 v3, v1
	;; [unrolled: 1-line block ×7, first 2 shown]
	s_and_saveexec_b64 s[0:1], vcc
	s_cbranch_execz .LBB1199_146
; %bb.145:
	v_lshlrev_b32_e32 v2, 3, v0
	global_load_dwordx2 v[9:10], v2, s[16:17]
	global_load_dwordx2 v[11:12], v2, s[18:19]
	v_mov_b32_e32 v3, v1
	v_mov_b32_e32 v4, v1
	;; [unrolled: 1-line block ×6, first 2 shown]
	s_waitcnt vmcnt(0)
	v_cmp_ne_u64_e32 vcc, v[9:10], v[11:12]
	v_mov_b32_e32 v9, v1
	v_cndmask_b32_e64 v2, 0, 1, vcc
	v_and_b32_e32 v2, 0xffff, v2
	v_mov_b32_e32 v1, v2
	v_mov_b32_e32 v2, v3
	;; [unrolled: 1-line block ×8, first 2 shown]
.LBB1199_146:
	s_or_b64 exec, exec, s[0:1]
	v_or_b32_e32 v9, 0x100, v0
	v_cmp_gt_u32_e32 vcc, s22, v9
	s_and_saveexec_b64 s[2:3], vcc
	s_cbranch_execz .LBB1199_148
; %bb.147:
	v_lshlrev_b32_e32 v2, 3, v0
	global_load_dwordx2 v[9:10], v2, s[16:17] offset:2048
	global_load_dwordx2 v[11:12], v2, s[18:19] offset:2048
	s_waitcnt vmcnt(0)
	v_cmp_ne_u64_e64 s[0:1], v[9:10], v[11:12]
	v_cndmask_b32_e64 v2, 0, 1, s[0:1]
.LBB1199_148:
	s_or_b64 exec, exec, s[2:3]
	v_or_b32_e32 v9, 0x200, v0
	v_cmp_gt_u32_e64 s[0:1], s22, v9
	s_and_saveexec_b64 s[8:9], s[0:1]
	s_cbranch_execz .LBB1199_150
; %bb.149:
	v_lshlrev_b32_e32 v3, 3, v9
	global_load_dwordx2 v[9:10], v3, s[16:17]
	global_load_dwordx2 v[11:12], v3, s[18:19]
	s_waitcnt vmcnt(0)
	v_cmp_ne_u64_e64 s[2:3], v[9:10], v[11:12]
	v_cndmask_b32_e64 v3, 0, 1, s[2:3]
.LBB1199_150:
	s_or_b64 exec, exec, s[8:9]
	v_or_b32_e32 v9, 0x300, v0
	v_cmp_gt_u32_e64 s[2:3], s22, v9
	s_and_saveexec_b64 s[10:11], s[2:3]
	s_cbranch_execz .LBB1199_152
; %bb.151:
	v_lshlrev_b32_e32 v4, 3, v9
	global_load_dwordx2 v[9:10], v4, s[16:17]
	global_load_dwordx2 v[11:12], v4, s[18:19]
	s_waitcnt vmcnt(0)
	v_cmp_ne_u64_e64 s[8:9], v[9:10], v[11:12]
	v_cndmask_b32_e64 v4, 0, 1, s[8:9]
.LBB1199_152:
	;; [unrolled: 13-line block ×6, first 2 shown]
	s_or_b64 exec, exec, s[20:21]
	v_cndmask_b32_e32 v2, 0, v2, vcc
	v_add_u32_e32 v1, v2, v1
	v_cndmask_b32_e64 v2, 0, v3, s[0:1]
	v_cndmask_b32_e64 v3, 0, v4, s[2:3]
	v_add3_u32 v1, v1, v2, v3
	v_cndmask_b32_e64 v2, 0, v5, s[8:9]
	v_cndmask_b32_e64 v3, 0, v6, s[10:11]
	v_add3_u32 v1, v1, v2, v3
	;; [unrolled: 3-line block ×3, first 2 shown]
	v_mbcnt_lo_u32_b32 v2, -1, 0
	v_mbcnt_hi_u32_b32 v2, -1, v2
	v_and_b32_e32 v4, 63, v2
	v_cmp_ne_u32_e32 vcc, 63, v4
	v_addc_co_u32_e32 v3, vcc, 0, v2, vcc
	v_lshlrev_b32_e32 v3, 2, v3
	ds_bpermute_b32 v3, v3, v1
	s_min_u32 s2, s22, 0x100
	v_and_b32_e32 v5, 0xc0, v0
	v_sub_u32_e64 v5, s2, v5 clamp
	v_add_u32_e32 v6, 1, v4
	v_cmp_lt_u32_e32 vcc, v6, v5
	s_waitcnt lgkmcnt(0)
	v_cndmask_b32_e32 v3, 0, v3, vcc
	v_cmp_gt_u32_e32 vcc, 62, v4
	v_add_u32_e32 v1, v1, v3
	v_cndmask_b32_e64 v3, 0, 2, vcc
	v_add_lshl_u32 v3, v3, v2, 2
	ds_bpermute_b32 v3, v3, v1
	v_add_u32_e32 v6, 2, v4
	v_cmp_lt_u32_e32 vcc, v6, v5
	v_add_u32_e32 v6, 4, v4
	s_waitcnt lgkmcnt(0)
	v_cndmask_b32_e32 v3, 0, v3, vcc
	v_cmp_gt_u32_e32 vcc, 60, v4
	v_add_u32_e32 v1, v1, v3
	v_cndmask_b32_e64 v3, 0, 4, vcc
	v_add_lshl_u32 v3, v3, v2, 2
	ds_bpermute_b32 v3, v3, v1
	v_cmp_lt_u32_e32 vcc, v6, v5
	v_add_u32_e32 v6, 8, v4
	s_waitcnt lgkmcnt(0)
	v_cndmask_b32_e32 v3, 0, v3, vcc
	v_cmp_gt_u32_e32 vcc, 56, v4
	v_add_u32_e32 v1, v1, v3
	v_cndmask_b32_e64 v3, 0, 8, vcc
	v_add_lshl_u32 v3, v3, v2, 2
	ds_bpermute_b32 v3, v3, v1
	;; [unrolled: 9-line block ×3, first 2 shown]
	v_cmp_lt_u32_e32 vcc, v6, v5
	v_add_u32_e32 v4, 32, v4
	s_waitcnt lgkmcnt(0)
	v_cndmask_b32_e32 v3, 0, v3, vcc
	v_add_u32_e32 v1, v1, v3
	v_lshlrev_b32_e32 v3, 2, v2
	v_or_b32_e32 v6, 0x80, v3
	ds_bpermute_b32 v6, v6, v1
	v_cmp_lt_u32_e32 vcc, v4, v5
	s_waitcnt lgkmcnt(0)
	v_cndmask_b32_e32 v4, 0, v6, vcc
	v_add_u32_e32 v1, v1, v4
	v_cmp_eq_u32_e32 vcc, 0, v2
	s_and_saveexec_b64 s[0:1], vcc
; %bb.161:
	v_lshrrev_b32_e32 v4, 4, v0
	v_and_b32_e32 v4, 12, v4
	ds_write_b32 v4, v1 offset:96
; %bb.162:
	s_or_b64 exec, exec, s[0:1]
	v_cmp_gt_u32_e32 vcc, 4, v0
	s_waitcnt lgkmcnt(0)
	s_barrier
	s_and_saveexec_b64 s[0:1], vcc
	s_cbranch_execz .LBB1199_164
; %bb.163:
	ds_read_b32 v1, v3 offset:96
	v_and_b32_e32 v4, 3, v2
	v_cmp_ne_u32_e32 vcc, 3, v4
	v_addc_co_u32_e32 v2, vcc, 0, v2, vcc
	v_lshlrev_b32_e32 v2, 2, v2
	s_waitcnt lgkmcnt(0)
	ds_bpermute_b32 v2, v2, v1
	s_add_i32 s2, s2, 63
	s_lshr_b32 s2, s2, 6
	v_add_u32_e32 v5, 1, v4
	v_cmp_gt_u32_e32 vcc, s2, v5
	s_waitcnt lgkmcnt(0)
	v_cndmask_b32_e32 v2, 0, v2, vcc
	v_add_u32_e32 v1, v2, v1
	v_or_b32_e32 v2, 8, v3
	ds_bpermute_b32 v2, v2, v1
	v_add_u32_e32 v3, 2, v4
	v_cmp_gt_u32_e32 vcc, s2, v3
	s_waitcnt lgkmcnt(0)
	v_cndmask_b32_e32 v2, 0, v2, vcc
	v_add_u32_e32 v1, v1, v2
.LBB1199_164:
	s_or_b64 exec, exec, s[0:1]
.LBB1199_165:
	v_cmp_eq_u32_e64 s[0:1], 0, v0
	s_branch .LBB1199_224
.LBB1199_166:
	s_cmp_gt_i32 s33, 1
	s_cbranch_scc0 .LBB1199_175
; %bb.167:
	s_cmp_gt_i32 s33, 3
	s_cbranch_scc0 .LBB1199_176
; %bb.168:
	s_cmp_eq_u32 s33, 4
	s_cbranch_scc0 .LBB1199_177
; %bb.169:
	s_mov_b32 s7, 0
	s_lshl_b32 s0, s6, 10
	s_mov_b32 s1, s7
	s_lshr_b64 s[2:3], s[36:37], 10
	s_lshl_b64 s[10:11], s[0:1], 3
	s_add_u32 s8, s40, s10
	s_addc_u32 s9, s41, s11
	s_add_u32 s10, s42, s10
	s_addc_u32 s11, s43, s11
	s_cmp_lg_u64 s[2:3], s[6:7]
	s_cbranch_scc0 .LBB1199_179
; %bb.170:
	v_lshlrev_b32_e32 v1, 3, v0
	v_mov_b32_e32 v2, s9
	v_add_co_u32_e32 v3, vcc, s8, v1
	v_addc_co_u32_e32 v2, vcc, 0, v2, vcc
	v_mov_b32_e32 v4, s11
	v_add_co_u32_e32 v12, vcc, s10, v1
	v_addc_co_u32_e32 v13, vcc, 0, v4, vcc
	global_load_dwordx2 v[4:5], v1, s[8:9]
	global_load_dwordx2 v[6:7], v1, s[10:11]
	global_load_dwordx2 v[8:9], v1, s[10:11] offset:2048
	global_load_dwordx2 v[10:11], v1, s[8:9] offset:2048
	v_add_co_u32_e32 v1, vcc, 0x1000, v3
	v_addc_co_u32_e32 v2, vcc, 0, v2, vcc
	v_add_co_u32_e32 v12, vcc, 0x1000, v12
	v_addc_co_u32_e32 v13, vcc, 0, v13, vcc
	global_load_dwordx2 v[14:15], v[12:13], off
	global_load_dwordx2 v[16:17], v[1:2], off
	global_load_dwordx2 v[18:19], v[1:2], off offset:2048
	global_load_dwordx2 v[20:21], v[12:13], off offset:2048
	v_mbcnt_lo_u32_b32 v1, -1, 0
	v_mbcnt_hi_u32_b32 v2, -1, v1
	v_lshlrev_b32_e32 v3, 2, v2
	s_waitcnt vmcnt(6)
	v_cmp_ne_u64_e32 vcc, v[4:5], v[6:7]
	v_cndmask_b32_e64 v1, 0, 1, vcc
	s_waitcnt vmcnt(4)
	v_cmp_ne_u64_e32 vcc, v[10:11], v[8:9]
	v_addc_co_u32_e32 v1, vcc, 0, v1, vcc
	s_waitcnt vmcnt(2)
	v_cmp_ne_u64_e32 vcc, v[16:17], v[14:15]
	v_cndmask_b32_e64 v4, 0, 1, vcc
	s_waitcnt vmcnt(0)
	v_cmp_ne_u64_e32 vcc, v[18:19], v[20:21]
	v_addc_co_u32_e32 v1, vcc, v1, v4, vcc
	s_nop 1
	v_add_u32_dpp v1, v1, v1 quad_perm:[1,0,3,2] row_mask:0xf bank_mask:0xf bound_ctrl:1
	v_or_b32_e32 v4, 0xfc, v3
	v_cmp_eq_u32_e32 vcc, 0, v2
	v_add_u32_dpp v1, v1, v1 quad_perm:[2,3,0,1] row_mask:0xf bank_mask:0xf bound_ctrl:1
	s_nop 1
	v_add_u32_dpp v1, v1, v1 row_ror:4 row_mask:0xf bank_mask:0xf bound_ctrl:1
	s_nop 1
	v_add_u32_dpp v1, v1, v1 row_ror:8 row_mask:0xf bank_mask:0xf bound_ctrl:1
	s_nop 1
	v_add_u32_dpp v1, v1, v1 row_bcast:15 row_mask:0xf bank_mask:0xf bound_ctrl:1
	s_nop 1
	v_add_u32_dpp v1, v1, v1 row_bcast:31 row_mask:0xf bank_mask:0xf bound_ctrl:1
	ds_bpermute_b32 v1, v4, v1
	s_and_saveexec_b64 s[2:3], vcc
	s_cbranch_execz .LBB1199_172
; %bb.171:
	v_lshrrev_b32_e32 v4, 4, v0
	v_and_b32_e32 v4, 12, v4
	s_waitcnt lgkmcnt(0)
	ds_write_b32 v4, v1 offset:64
.LBB1199_172:
	s_or_b64 exec, exec, s[2:3]
	v_cmp_gt_u32_e32 vcc, 64, v0
	s_waitcnt lgkmcnt(0)
	s_barrier
	s_and_saveexec_b64 s[2:3], vcc
	s_cbranch_execz .LBB1199_174
; %bb.173:
	v_and_b32_e32 v1, 3, v2
	v_lshlrev_b32_e32 v4, 2, v1
	ds_read_b32 v4, v4 offset:64
	v_cmp_ne_u32_e32 vcc, 3, v1
	v_addc_co_u32_e32 v1, vcc, 0, v2, vcc
	v_lshlrev_b32_e32 v1, 2, v1
	s_waitcnt lgkmcnt(0)
	ds_bpermute_b32 v1, v1, v4
	v_or_b32_e32 v2, 8, v3
	s_waitcnt lgkmcnt(0)
	v_add_u32_e32 v1, v1, v4
	ds_bpermute_b32 v2, v2, v1
	s_waitcnt lgkmcnt(0)
	v_add_u32_e32 v1, v2, v1
.LBB1199_174:
	s_or_b64 exec, exec, s[2:3]
	s_mov_b64 s[2:3], 0
	s_branch .LBB1199_180
.LBB1199_175:
                                        ; implicit-def: $vgpr1
	s_cbranch_execnz .LBB1199_215
	s_branch .LBB1199_224
.LBB1199_176:
                                        ; implicit-def: $vgpr1
	s_cbranch_execz .LBB1199_178
	s_branch .LBB1199_195
.LBB1199_177:
                                        ; implicit-def: $vgpr1
.LBB1199_178:
	s_branch .LBB1199_224
.LBB1199_179:
	s_mov_b64 s[2:3], -1
                                        ; implicit-def: $vgpr1
.LBB1199_180:
	s_and_b64 vcc, exec, s[2:3]
	s_cbranch_vccz .LBB1199_194
; %bb.181:
	s_sub_i32 s14, s36, s0
	v_mov_b32_e32 v1, 0
	v_cmp_gt_u32_e32 vcc, s14, v0
	v_mov_b32_e32 v2, v1
	v_mov_b32_e32 v3, v1
	;; [unrolled: 1-line block ×3, first 2 shown]
	s_and_saveexec_b64 s[0:1], vcc
	s_cbranch_execz .LBB1199_183
; %bb.182:
	v_lshlrev_b32_e32 v2, 3, v0
	global_load_dwordx2 v[5:6], v2, s[8:9]
	global_load_dwordx2 v[7:8], v2, s[10:11]
	v_mov_b32_e32 v3, v1
	v_mov_b32_e32 v4, v1
	s_waitcnt vmcnt(0)
	v_cmp_ne_u64_e32 vcc, v[5:6], v[7:8]
	v_mov_b32_e32 v5, v1
	v_cndmask_b32_e64 v2, 0, 1, vcc
	v_and_b32_e32 v2, 0xffff, v2
	v_mov_b32_e32 v1, v2
	v_mov_b32_e32 v2, v3
	;; [unrolled: 1-line block ×4, first 2 shown]
.LBB1199_183:
	s_or_b64 exec, exec, s[0:1]
	v_or_b32_e32 v5, 0x100, v0
	v_cmp_gt_u32_e32 vcc, s14, v5
	s_and_saveexec_b64 s[2:3], vcc
	s_cbranch_execz .LBB1199_185
; %bb.184:
	v_lshlrev_b32_e32 v2, 3, v0
	global_load_dwordx2 v[5:6], v2, s[8:9] offset:2048
	global_load_dwordx2 v[7:8], v2, s[10:11] offset:2048
	s_waitcnt vmcnt(0)
	v_cmp_ne_u64_e64 s[0:1], v[5:6], v[7:8]
	v_cndmask_b32_e64 v2, 0, 1, s[0:1]
.LBB1199_185:
	s_or_b64 exec, exec, s[2:3]
	v_or_b32_e32 v5, 0x200, v0
	v_cmp_gt_u32_e64 s[0:1], s14, v5
	s_and_saveexec_b64 s[12:13], s[0:1]
	s_cbranch_execz .LBB1199_187
; %bb.186:
	v_lshlrev_b32_e32 v3, 3, v5
	global_load_dwordx2 v[5:6], v3, s[8:9]
	global_load_dwordx2 v[7:8], v3, s[10:11]
	s_waitcnt vmcnt(0)
	v_cmp_ne_u64_e64 s[2:3], v[5:6], v[7:8]
	v_cndmask_b32_e64 v3, 0, 1, s[2:3]
.LBB1199_187:
	s_or_b64 exec, exec, s[12:13]
	v_or_b32_e32 v5, 0x300, v0
	v_cmp_gt_u32_e64 s[2:3], s14, v5
	s_and_saveexec_b64 s[12:13], s[2:3]
	s_cbranch_execz .LBB1199_189
; %bb.188:
	v_lshlrev_b32_e32 v8, 3, v5
	global_load_dwordx2 v[4:5], v8, s[8:9]
	global_load_dwordx2 v[6:7], v8, s[10:11]
	s_waitcnt vmcnt(0)
	v_cmp_ne_u64_e64 s[8:9], v[4:5], v[6:7]
	v_cndmask_b32_e64 v4, 0, 1, s[8:9]
.LBB1199_189:
	s_or_b64 exec, exec, s[12:13]
	v_cndmask_b32_e32 v2, 0, v2, vcc
	v_add_u32_e32 v1, v2, v1
	v_cndmask_b32_e64 v2, 0, v3, s[0:1]
	v_cndmask_b32_e64 v3, 0, v4, s[2:3]
	v_add3_u32 v1, v1, v2, v3
	v_mbcnt_lo_u32_b32 v2, -1, 0
	v_mbcnt_hi_u32_b32 v2, -1, v2
	v_and_b32_e32 v4, 63, v2
	v_cmp_ne_u32_e32 vcc, 63, v4
	v_addc_co_u32_e32 v3, vcc, 0, v2, vcc
	v_lshlrev_b32_e32 v3, 2, v3
	ds_bpermute_b32 v3, v3, v1
	s_min_u32 s2, s14, 0x100
	v_and_b32_e32 v5, 0xc0, v0
	v_sub_u32_e64 v5, s2, v5 clamp
	v_add_u32_e32 v6, 1, v4
	v_cmp_lt_u32_e32 vcc, v6, v5
	s_waitcnt lgkmcnt(0)
	v_cndmask_b32_e32 v3, 0, v3, vcc
	v_cmp_gt_u32_e32 vcc, 62, v4
	v_add_u32_e32 v1, v3, v1
	v_cndmask_b32_e64 v3, 0, 2, vcc
	v_add_lshl_u32 v3, v3, v2, 2
	ds_bpermute_b32 v3, v3, v1
	v_add_u32_e32 v6, 2, v4
	v_cmp_lt_u32_e32 vcc, v6, v5
	v_add_u32_e32 v6, 4, v4
	s_waitcnt lgkmcnt(0)
	v_cndmask_b32_e32 v3, 0, v3, vcc
	v_cmp_gt_u32_e32 vcc, 60, v4
	v_add_u32_e32 v1, v1, v3
	v_cndmask_b32_e64 v3, 0, 4, vcc
	v_add_lshl_u32 v3, v3, v2, 2
	ds_bpermute_b32 v3, v3, v1
	v_cmp_lt_u32_e32 vcc, v6, v5
	v_add_u32_e32 v6, 8, v4
	s_waitcnt lgkmcnt(0)
	v_cndmask_b32_e32 v3, 0, v3, vcc
	v_cmp_gt_u32_e32 vcc, 56, v4
	v_add_u32_e32 v1, v1, v3
	v_cndmask_b32_e64 v3, 0, 8, vcc
	v_add_lshl_u32 v3, v3, v2, 2
	ds_bpermute_b32 v3, v3, v1
	;; [unrolled: 9-line block ×3, first 2 shown]
	v_cmp_lt_u32_e32 vcc, v6, v5
	v_add_u32_e32 v4, 32, v4
	s_waitcnt lgkmcnt(0)
	v_cndmask_b32_e32 v3, 0, v3, vcc
	v_add_u32_e32 v1, v1, v3
	v_lshlrev_b32_e32 v3, 2, v2
	v_or_b32_e32 v6, 0x80, v3
	ds_bpermute_b32 v6, v6, v1
	v_cmp_lt_u32_e32 vcc, v4, v5
	s_waitcnt lgkmcnt(0)
	v_cndmask_b32_e32 v4, 0, v6, vcc
	v_add_u32_e32 v1, v1, v4
	v_cmp_eq_u32_e32 vcc, 0, v2
	s_and_saveexec_b64 s[0:1], vcc
; %bb.190:
	v_lshrrev_b32_e32 v4, 4, v0
	v_and_b32_e32 v4, 12, v4
	ds_write_b32 v4, v1 offset:96
; %bb.191:
	s_or_b64 exec, exec, s[0:1]
	v_cmp_gt_u32_e32 vcc, 4, v0
	s_waitcnt lgkmcnt(0)
	s_barrier
	s_and_saveexec_b64 s[0:1], vcc
	s_cbranch_execz .LBB1199_193
; %bb.192:
	ds_read_b32 v1, v3 offset:96
	v_and_b32_e32 v4, 3, v2
	v_cmp_ne_u32_e32 vcc, 3, v4
	v_addc_co_u32_e32 v2, vcc, 0, v2, vcc
	v_lshlrev_b32_e32 v2, 2, v2
	s_waitcnt lgkmcnt(0)
	ds_bpermute_b32 v2, v2, v1
	s_add_i32 s2, s2, 63
	s_lshr_b32 s2, s2, 6
	v_add_u32_e32 v5, 1, v4
	v_cmp_gt_u32_e32 vcc, s2, v5
	s_waitcnt lgkmcnt(0)
	v_cndmask_b32_e32 v2, 0, v2, vcc
	v_add_u32_e32 v1, v2, v1
	v_or_b32_e32 v2, 8, v3
	ds_bpermute_b32 v2, v2, v1
	v_add_u32_e32 v3, 2, v4
	v_cmp_gt_u32_e32 vcc, s2, v3
	s_waitcnt lgkmcnt(0)
	v_cndmask_b32_e32 v2, 0, v2, vcc
	v_add_u32_e32 v1, v1, v2
.LBB1199_193:
	s_or_b64 exec, exec, s[0:1]
.LBB1199_194:
	v_cmp_eq_u32_e64 s[0:1], 0, v0
	s_branch .LBB1199_178
.LBB1199_195:
	s_cmp_eq_u32 s33, 2
	s_cbranch_scc0 .LBB1199_202
; %bb.196:
	s_mov_b32 s7, 0
	s_lshl_b32 s10, s6, 9
	s_mov_b32 s11, s7
	s_lshr_b64 s[0:1], s[36:37], 9
	s_lshl_b64 s[8:9], s[10:11], 3
	s_add_u32 s2, s40, s8
	s_addc_u32 s3, s41, s9
	s_add_u32 s8, s42, s8
	s_addc_u32 s9, s43, s9
	s_cmp_lg_u64 s[0:1], s[6:7]
	s_cbranch_scc0 .LBB1199_203
; %bb.197:
	v_lshlrev_b32_e32 v1, 3, v0
	global_load_dwordx2 v[4:5], v1, s[2:3]
	global_load_dwordx2 v[6:7], v1, s[8:9]
	global_load_dwordx2 v[8:9], v1, s[8:9] offset:2048
	global_load_dwordx2 v[10:11], v1, s[2:3] offset:2048
	v_mbcnt_lo_u32_b32 v1, -1, 0
	v_mbcnt_hi_u32_b32 v2, -1, v1
	v_lshlrev_b32_e32 v3, 2, v2
	s_waitcnt vmcnt(2)
	v_cmp_ne_u64_e32 vcc, v[4:5], v[6:7]
	v_cndmask_b32_e64 v1, 0, 1, vcc
	s_waitcnt vmcnt(0)
	v_cmp_ne_u64_e32 vcc, v[10:11], v[8:9]
	v_addc_co_u32_e64 v4, s[0:1], 0, v1, vcc
	s_nop 1
	v_mov_b32_dpp v4, v4 quad_perm:[1,0,3,2] row_mask:0xf bank_mask:0xf bound_ctrl:1
	v_addc_co_u32_e32 v1, vcc, v4, v1, vcc
	v_or_b32_e32 v4, 0xfc, v3
	s_nop 0
	v_add_u32_dpp v1, v1, v1 quad_perm:[2,3,0,1] row_mask:0xf bank_mask:0xf bound_ctrl:1
	v_cmp_eq_u32_e32 vcc, 0, v2
	s_nop 0
	v_add_u32_dpp v1, v1, v1 row_ror:4 row_mask:0xf bank_mask:0xf bound_ctrl:1
	s_nop 1
	v_add_u32_dpp v1, v1, v1 row_ror:8 row_mask:0xf bank_mask:0xf bound_ctrl:1
	s_nop 1
	v_add_u32_dpp v1, v1, v1 row_bcast:15 row_mask:0xf bank_mask:0xf bound_ctrl:1
	s_nop 1
	v_add_u32_dpp v1, v1, v1 row_bcast:31 row_mask:0xf bank_mask:0xf bound_ctrl:1
	ds_bpermute_b32 v1, v4, v1
	s_and_saveexec_b64 s[0:1], vcc
	s_cbranch_execz .LBB1199_199
; %bb.198:
	v_lshrrev_b32_e32 v4, 4, v0
	v_and_b32_e32 v4, 12, v4
	s_waitcnt lgkmcnt(0)
	ds_write_b32 v4, v1 offset:32
.LBB1199_199:
	s_or_b64 exec, exec, s[0:1]
	v_cmp_gt_u32_e32 vcc, 64, v0
	s_waitcnt lgkmcnt(0)
	s_barrier
	s_and_saveexec_b64 s[0:1], vcc
	s_cbranch_execz .LBB1199_201
; %bb.200:
	v_and_b32_e32 v1, 3, v2
	v_lshlrev_b32_e32 v4, 2, v1
	ds_read_b32 v4, v4 offset:32
	v_cmp_ne_u32_e32 vcc, 3, v1
	v_addc_co_u32_e32 v1, vcc, 0, v2, vcc
	v_lshlrev_b32_e32 v1, 2, v1
	s_waitcnt lgkmcnt(0)
	ds_bpermute_b32 v1, v1, v4
	v_or_b32_e32 v2, 8, v3
	s_waitcnt lgkmcnt(0)
	v_add_u32_e32 v1, v1, v4
	ds_bpermute_b32 v2, v2, v1
	s_waitcnt lgkmcnt(0)
	v_add_u32_e32 v1, v2, v1
.LBB1199_201:
	s_or_b64 exec, exec, s[0:1]
	s_mov_b64 s[0:1], 0
	s_branch .LBB1199_204
.LBB1199_202:
                                        ; implicit-def: $vgpr1
	s_branch .LBB1199_224
.LBB1199_203:
	s_mov_b64 s[0:1], -1
                                        ; implicit-def: $vgpr1
.LBB1199_204:
	s_and_b64 vcc, exec, s[0:1]
	s_cbranch_vccz .LBB1199_214
; %bb.205:
	s_sub_i32 s12, s36, s10
	v_mov_b32_e32 v1, 0
	v_cmp_gt_u32_e32 vcc, s12, v0
	v_mov_b32_e32 v2, v1
	s_and_saveexec_b64 s[0:1], vcc
	s_cbranch_execz .LBB1199_207
; %bb.206:
	v_lshlrev_b32_e32 v6, 3, v0
	global_load_dwordx2 v[2:3], v6, s[2:3]
	global_load_dwordx2 v[4:5], v6, s[8:9]
	s_waitcnt vmcnt(0)
	v_cmp_ne_u64_e32 vcc, v[2:3], v[4:5]
	v_mov_b32_e32 v3, v1
	v_cndmask_b32_e64 v2, 0, 1, vcc
	v_and_b32_e32 v2, 0xffff, v2
	v_mov_b32_e32 v1, v2
	v_mov_b32_e32 v2, v3
.LBB1199_207:
	s_or_b64 exec, exec, s[0:1]
	v_or_b32_e32 v3, 0x100, v0
	v_cmp_gt_u32_e32 vcc, s12, v3
	s_and_saveexec_b64 s[10:11], vcc
	s_cbranch_execz .LBB1199_209
; %bb.208:
	v_lshlrev_b32_e32 v6, 3, v0
	global_load_dwordx2 v[2:3], v6, s[2:3] offset:2048
	global_load_dwordx2 v[4:5], v6, s[8:9] offset:2048
	s_waitcnt vmcnt(0)
	v_cmp_ne_u64_e64 s[0:1], v[2:3], v[4:5]
	v_cndmask_b32_e64 v2, 0, 1, s[0:1]
.LBB1199_209:
	s_or_b64 exec, exec, s[10:11]
	v_cndmask_b32_e32 v2, 0, v2, vcc
	v_add_u32_e32 v1, v2, v1
	v_mbcnt_lo_u32_b32 v2, -1, 0
	v_mbcnt_hi_u32_b32 v2, -1, v2
	v_and_b32_e32 v4, 63, v2
	v_cmp_ne_u32_e32 vcc, 63, v4
	v_addc_co_u32_e32 v3, vcc, 0, v2, vcc
	v_lshlrev_b32_e32 v3, 2, v3
	ds_bpermute_b32 v3, v3, v1
	s_min_u32 s2, s12, 0x100
	v_and_b32_e32 v5, 0xc0, v0
	v_sub_u32_e64 v5, s2, v5 clamp
	v_add_u32_e32 v6, 1, v4
	v_cmp_lt_u32_e32 vcc, v6, v5
	s_waitcnt lgkmcnt(0)
	v_cndmask_b32_e32 v3, 0, v3, vcc
	v_cmp_gt_u32_e32 vcc, 62, v4
	v_add_u32_e32 v1, v3, v1
	v_cndmask_b32_e64 v3, 0, 2, vcc
	v_add_lshl_u32 v3, v3, v2, 2
	ds_bpermute_b32 v3, v3, v1
	v_add_u32_e32 v6, 2, v4
	v_cmp_lt_u32_e32 vcc, v6, v5
	v_add_u32_e32 v6, 4, v4
	s_waitcnt lgkmcnt(0)
	v_cndmask_b32_e32 v3, 0, v3, vcc
	v_cmp_gt_u32_e32 vcc, 60, v4
	v_add_u32_e32 v1, v1, v3
	v_cndmask_b32_e64 v3, 0, 4, vcc
	v_add_lshl_u32 v3, v3, v2, 2
	ds_bpermute_b32 v3, v3, v1
	v_cmp_lt_u32_e32 vcc, v6, v5
	v_add_u32_e32 v6, 8, v4
	s_waitcnt lgkmcnt(0)
	v_cndmask_b32_e32 v3, 0, v3, vcc
	v_cmp_gt_u32_e32 vcc, 56, v4
	v_add_u32_e32 v1, v1, v3
	v_cndmask_b32_e64 v3, 0, 8, vcc
	v_add_lshl_u32 v3, v3, v2, 2
	ds_bpermute_b32 v3, v3, v1
	;; [unrolled: 9-line block ×3, first 2 shown]
	v_cmp_lt_u32_e32 vcc, v6, v5
	v_add_u32_e32 v4, 32, v4
	s_waitcnt lgkmcnt(0)
	v_cndmask_b32_e32 v3, 0, v3, vcc
	v_add_u32_e32 v1, v1, v3
	v_lshlrev_b32_e32 v3, 2, v2
	v_or_b32_e32 v6, 0x80, v3
	ds_bpermute_b32 v6, v6, v1
	v_cmp_lt_u32_e32 vcc, v4, v5
	s_waitcnt lgkmcnt(0)
	v_cndmask_b32_e32 v4, 0, v6, vcc
	v_add_u32_e32 v1, v1, v4
	v_cmp_eq_u32_e32 vcc, 0, v2
	s_and_saveexec_b64 s[0:1], vcc
; %bb.210:
	v_lshrrev_b32_e32 v4, 4, v0
	v_and_b32_e32 v4, 12, v4
	ds_write_b32 v4, v1 offset:96
; %bb.211:
	s_or_b64 exec, exec, s[0:1]
	v_cmp_gt_u32_e32 vcc, 4, v0
	s_waitcnt lgkmcnt(0)
	s_barrier
	s_and_saveexec_b64 s[0:1], vcc
	s_cbranch_execz .LBB1199_213
; %bb.212:
	ds_read_b32 v1, v3 offset:96
	v_and_b32_e32 v4, 3, v2
	v_cmp_ne_u32_e32 vcc, 3, v4
	v_addc_co_u32_e32 v2, vcc, 0, v2, vcc
	v_lshlrev_b32_e32 v2, 2, v2
	s_waitcnt lgkmcnt(0)
	ds_bpermute_b32 v2, v2, v1
	s_add_i32 s2, s2, 63
	s_lshr_b32 s2, s2, 6
	v_add_u32_e32 v5, 1, v4
	v_cmp_gt_u32_e32 vcc, s2, v5
	s_waitcnt lgkmcnt(0)
	v_cndmask_b32_e32 v2, 0, v2, vcc
	v_add_u32_e32 v1, v2, v1
	v_or_b32_e32 v2, 8, v3
	ds_bpermute_b32 v2, v2, v1
	v_add_u32_e32 v3, 2, v4
	v_cmp_gt_u32_e32 vcc, s2, v3
	s_waitcnt lgkmcnt(0)
	v_cndmask_b32_e32 v2, 0, v2, vcc
	v_add_u32_e32 v1, v1, v2
.LBB1199_213:
	s_or_b64 exec, exec, s[0:1]
.LBB1199_214:
	v_cmp_eq_u32_e64 s[0:1], 0, v0
	s_branch .LBB1199_224
.LBB1199_215:
	s_cmp_eq_u32 s33, 1
	s_cbranch_scc0 .LBB1199_223
; %bb.216:
	s_mov_b32 s3, 0
	s_lshl_b32 s2, s6, 8
	s_mov_b32 s7, s3
	s_lshr_b64 s[0:1], s[36:37], 8
	s_cmp_lg_u64 s[0:1], s[6:7]
	v_mbcnt_lo_u32_b32 v2, -1, 0
	s_cbranch_scc0 .LBB1199_227
; %bb.217:
	s_lshl_b64 s[0:1], s[2:3], 3
	s_add_u32 s8, s40, s0
	s_addc_u32 s9, s41, s1
	s_add_u32 s0, s42, s0
	v_lshlrev_b32_e32 v1, 3, v0
	s_addc_u32 s1, s43, s1
	global_load_dwordx2 v[5:6], v1, s[8:9]
	global_load_dwordx2 v[7:8], v1, s[0:1]
	v_mbcnt_hi_u32_b32 v3, -1, v2
	v_lshlrev_b32_e32 v4, 2, v3
	s_waitcnt vmcnt(0)
	v_cmp_ne_u64_e32 vcc, v[5:6], v[7:8]
	v_cndmask_b32_e64 v1, 0, 1, vcc
	s_nop 1
	v_mov_b32_dpp v1, v1 quad_perm:[1,0,3,2] row_mask:0xf bank_mask:0xf bound_ctrl:1
	v_addc_co_u32_e64 v5, s[0:1], 0, v1, vcc
	s_nop 1
	v_mov_b32_dpp v5, v5 quad_perm:[2,3,0,1] row_mask:0xf bank_mask:0xf bound_ctrl:1
	v_addc_co_u32_e32 v1, vcc, v5, v1, vcc
	v_or_b32_e32 v5, 0xfc, v4
	s_nop 0
	v_add_u32_dpp v1, v1, v1 row_ror:4 row_mask:0xf bank_mask:0xf bound_ctrl:1
	v_cmp_eq_u32_e32 vcc, 0, v3
	s_nop 0
	v_add_u32_dpp v1, v1, v1 row_ror:8 row_mask:0xf bank_mask:0xf bound_ctrl:1
	s_nop 1
	v_add_u32_dpp v1, v1, v1 row_bcast:15 row_mask:0xf bank_mask:0xf bound_ctrl:1
	s_nop 1
	v_add_u32_dpp v1, v1, v1 row_bcast:31 row_mask:0xf bank_mask:0xf bound_ctrl:1
	ds_bpermute_b32 v1, v5, v1
	s_and_saveexec_b64 s[0:1], vcc
	s_cbranch_execz .LBB1199_219
; %bb.218:
	v_lshrrev_b32_e32 v5, 4, v0
	v_and_b32_e32 v5, 12, v5
	s_waitcnt lgkmcnt(0)
	ds_write_b32 v5, v1 offset:16
.LBB1199_219:
	s_or_b64 exec, exec, s[0:1]
	v_cmp_gt_u32_e32 vcc, 64, v0
	s_waitcnt lgkmcnt(0)
	s_barrier
	s_and_saveexec_b64 s[0:1], vcc
	s_cbranch_execz .LBB1199_221
; %bb.220:
	v_and_b32_e32 v1, 3, v3
	v_lshlrev_b32_e32 v5, 2, v1
	ds_read_b32 v5, v5 offset:16
	v_cmp_ne_u32_e32 vcc, 3, v1
	v_addc_co_u32_e32 v1, vcc, 0, v3, vcc
	v_lshlrev_b32_e32 v1, 2, v1
	s_waitcnt lgkmcnt(0)
	ds_bpermute_b32 v1, v1, v5
	v_or_b32_e32 v3, 8, v4
	s_waitcnt lgkmcnt(0)
	v_add_u32_e32 v1, v1, v5
	ds_bpermute_b32 v3, v3, v1
	s_waitcnt lgkmcnt(0)
	v_add_u32_e32 v1, v3, v1
.LBB1199_221:
	s_or_b64 exec, exec, s[0:1]
.LBB1199_222:
	v_cmp_eq_u32_e64 s[0:1], 0, v0
	s_and_saveexec_b64 s[2:3], s[0:1]
	s_cbranch_execnz .LBB1199_225
	s_branch .LBB1199_226
.LBB1199_223:
                                        ; implicit-def: $vgpr1
                                        ; implicit-def: $sgpr6_sgpr7
.LBB1199_224:
	s_and_saveexec_b64 s[2:3], s[0:1]
	s_cbranch_execz .LBB1199_226
.LBB1199_225:
	s_lshl_b64 s[0:1], s[6:7], 2
	s_load_dword s2, s[4:5], 0x30
	s_add_u32 s0, s38, s0
	s_addc_u32 s1, s39, s1
	s_cmp_lg_u64 s[36:37], 0
	s_cselect_b64 vcc, -1, 0
	v_cndmask_b32_e32 v1, 0, v1, vcc
	v_mov_b32_e32 v0, 0
	s_waitcnt lgkmcnt(0)
	v_add_u32_e32 v1, s2, v1
	global_store_dword v0, v1, s[0:1]
.LBB1199_226:
	s_endpgm
.LBB1199_227:
                                        ; implicit-def: $vgpr1
	s_cbranch_execz .LBB1199_222
; %bb.228:
	s_sub_i32 s8, s36, s2
	v_cmp_gt_u32_e32 vcc, s8, v0
                                        ; implicit-def: $vgpr1
	s_and_saveexec_b64 s[0:1], vcc
	s_cbranch_execz .LBB1199_230
; %bb.229:
	s_lshl_b64 s[2:3], s[2:3], 3
	s_add_u32 s10, s42, s2
	s_addc_u32 s11, s43, s3
	s_add_u32 s2, s40, s2
	v_lshlrev_b32_e32 v1, 3, v0
	s_addc_u32 s3, s41, s3
	global_load_dwordx2 v[3:4], v1, s[2:3]
	global_load_dwordx2 v[5:6], v1, s[10:11]
	s_waitcnt vmcnt(0)
	v_cmp_ne_u64_e32 vcc, v[3:4], v[5:6]
	v_cndmask_b32_e64 v1, 0, 1, vcc
.LBB1199_230:
	s_or_b64 exec, exec, s[0:1]
	v_mbcnt_hi_u32_b32 v2, -1, v2
	v_and_b32_e32 v4, 63, v2
	v_cmp_ne_u32_e32 vcc, 63, v4
	v_addc_co_u32_e32 v3, vcc, 0, v2, vcc
	v_lshlrev_b32_e32 v3, 2, v3
	ds_bpermute_b32 v3, v3, v1
	s_min_u32 s2, s8, 0x100
	v_and_b32_e32 v5, 0xc0, v0
	v_sub_u32_e64 v5, s2, v5 clamp
	v_add_u32_e32 v6, 1, v4
	v_cmp_lt_u32_e32 vcc, v6, v5
	s_waitcnt lgkmcnt(0)
	v_cndmask_b32_e32 v3, 0, v3, vcc
	v_cmp_gt_u32_e32 vcc, 62, v4
	v_add_u32_e32 v1, v3, v1
	v_cndmask_b32_e64 v3, 0, 2, vcc
	v_add_lshl_u32 v3, v3, v2, 2
	ds_bpermute_b32 v3, v3, v1
	v_add_u32_e32 v6, 2, v4
	v_cmp_lt_u32_e32 vcc, v6, v5
	v_add_u32_e32 v6, 4, v4
	s_waitcnt lgkmcnt(0)
	v_cndmask_b32_e32 v3, 0, v3, vcc
	v_cmp_gt_u32_e32 vcc, 60, v4
	v_add_u32_e32 v1, v1, v3
	v_cndmask_b32_e64 v3, 0, 4, vcc
	v_add_lshl_u32 v3, v3, v2, 2
	ds_bpermute_b32 v3, v3, v1
	v_cmp_lt_u32_e32 vcc, v6, v5
	v_add_u32_e32 v6, 8, v4
	s_waitcnt lgkmcnt(0)
	v_cndmask_b32_e32 v3, 0, v3, vcc
	v_cmp_gt_u32_e32 vcc, 56, v4
	v_add_u32_e32 v1, v1, v3
	v_cndmask_b32_e64 v3, 0, 8, vcc
	v_add_lshl_u32 v3, v3, v2, 2
	ds_bpermute_b32 v3, v3, v1
	;; [unrolled: 9-line block ×3, first 2 shown]
	v_cmp_lt_u32_e32 vcc, v6, v5
	v_add_u32_e32 v4, 32, v4
	s_waitcnt lgkmcnt(0)
	v_cndmask_b32_e32 v3, 0, v3, vcc
	v_add_u32_e32 v1, v1, v3
	v_lshlrev_b32_e32 v3, 2, v2
	v_or_b32_e32 v6, 0x80, v3
	ds_bpermute_b32 v6, v6, v1
	v_cmp_lt_u32_e32 vcc, v4, v5
	s_waitcnt lgkmcnt(0)
	v_cndmask_b32_e32 v4, 0, v6, vcc
	v_add_u32_e32 v1, v1, v4
	v_cmp_eq_u32_e32 vcc, 0, v2
	s_and_saveexec_b64 s[0:1], vcc
; %bb.231:
	v_lshrrev_b32_e32 v4, 4, v0
	v_and_b32_e32 v4, 12, v4
	ds_write_b32 v4, v1 offset:96
; %bb.232:
	s_or_b64 exec, exec, s[0:1]
	v_cmp_gt_u32_e32 vcc, 4, v0
	s_waitcnt lgkmcnt(0)
	s_barrier
	s_and_saveexec_b64 s[0:1], vcc
	s_cbranch_execz .LBB1199_234
; %bb.233:
	ds_read_b32 v1, v3 offset:96
	v_and_b32_e32 v4, 3, v2
	v_cmp_ne_u32_e32 vcc, 3, v4
	v_addc_co_u32_e32 v2, vcc, 0, v2, vcc
	v_lshlrev_b32_e32 v2, 2, v2
	s_waitcnt lgkmcnt(0)
	ds_bpermute_b32 v2, v2, v1
	s_add_i32 s2, s2, 63
	s_lshr_b32 s2, s2, 6
	v_add_u32_e32 v5, 1, v4
	v_cmp_gt_u32_e32 vcc, s2, v5
	s_waitcnt lgkmcnt(0)
	v_cndmask_b32_e32 v2, 0, v2, vcc
	v_add_u32_e32 v1, v2, v1
	v_or_b32_e32 v2, 8, v3
	ds_bpermute_b32 v2, v2, v1
	v_add_u32_e32 v3, 2, v4
	v_cmp_gt_u32_e32 vcc, s2, v3
	s_waitcnt lgkmcnt(0)
	v_cndmask_b32_e32 v2, 0, v2, vcc
	v_add_u32_e32 v1, v1, v2
.LBB1199_234:
	s_or_b64 exec, exec, s[0:1]
	v_cmp_eq_u32_e64 s[0:1], 0, v0
	s_and_saveexec_b64 s[2:3], s[0:1]
	s_cbranch_execnz .LBB1199_225
	s_branch .LBB1199_226
	.section	.rodata,"a",@progbits
	.p2align	6, 0x0
	.amdhsa_kernel _ZN7rocprim17ROCPRIM_400000_NS6detail17trampoline_kernelINS0_14default_configENS1_22reduce_config_selectorIiEEZNS1_11reduce_implILb1ES3_N6thrust23THRUST_200600_302600_NS11hip_rocprim35transform_pair_of_input_iterators_tIiPlSB_NS8_12not_equal_toIlEEEEPiiNS8_4plusIiEEEE10hipError_tPvRmT1_T2_T3_mT4_P12ihipStream_tbEUlT_E1_NS1_11comp_targetILNS1_3genE2ELNS1_11target_archE906ELNS1_3gpuE6ELNS1_3repE0EEENS1_30default_config_static_selectorELNS0_4arch9wavefront6targetE1EEEvSL_
		.amdhsa_group_segment_fixed_size 112
		.amdhsa_private_segment_fixed_size 0
		.amdhsa_kernarg_size 56
		.amdhsa_user_sgpr_count 6
		.amdhsa_user_sgpr_private_segment_buffer 1
		.amdhsa_user_sgpr_dispatch_ptr 0
		.amdhsa_user_sgpr_queue_ptr 0
		.amdhsa_user_sgpr_kernarg_segment_ptr 1
		.amdhsa_user_sgpr_dispatch_id 0
		.amdhsa_user_sgpr_flat_scratch_init 0
		.amdhsa_user_sgpr_private_segment_size 0
		.amdhsa_uses_dynamic_stack 0
		.amdhsa_system_sgpr_private_segment_wavefront_offset 0
		.amdhsa_system_sgpr_workgroup_id_x 1
		.amdhsa_system_sgpr_workgroup_id_y 0
		.amdhsa_system_sgpr_workgroup_id_z 0
		.amdhsa_system_sgpr_workgroup_info 0
		.amdhsa_system_vgpr_workitem_id 0
		.amdhsa_next_free_vgpr 44
		.amdhsa_next_free_sgpr 49
		.amdhsa_reserve_vcc 1
		.amdhsa_reserve_flat_scratch 0
		.amdhsa_float_round_mode_32 0
		.amdhsa_float_round_mode_16_64 0
		.amdhsa_float_denorm_mode_32 3
		.amdhsa_float_denorm_mode_16_64 3
		.amdhsa_dx10_clamp 1
		.amdhsa_ieee_mode 1
		.amdhsa_fp16_overflow 0
		.amdhsa_exception_fp_ieee_invalid_op 0
		.amdhsa_exception_fp_denorm_src 0
		.amdhsa_exception_fp_ieee_div_zero 0
		.amdhsa_exception_fp_ieee_overflow 0
		.amdhsa_exception_fp_ieee_underflow 0
		.amdhsa_exception_fp_ieee_inexact 0
		.amdhsa_exception_int_div_zero 0
	.end_amdhsa_kernel
	.section	.text._ZN7rocprim17ROCPRIM_400000_NS6detail17trampoline_kernelINS0_14default_configENS1_22reduce_config_selectorIiEEZNS1_11reduce_implILb1ES3_N6thrust23THRUST_200600_302600_NS11hip_rocprim35transform_pair_of_input_iterators_tIiPlSB_NS8_12not_equal_toIlEEEEPiiNS8_4plusIiEEEE10hipError_tPvRmT1_T2_T3_mT4_P12ihipStream_tbEUlT_E1_NS1_11comp_targetILNS1_3genE2ELNS1_11target_archE906ELNS1_3gpuE6ELNS1_3repE0EEENS1_30default_config_static_selectorELNS0_4arch9wavefront6targetE1EEEvSL_,"axG",@progbits,_ZN7rocprim17ROCPRIM_400000_NS6detail17trampoline_kernelINS0_14default_configENS1_22reduce_config_selectorIiEEZNS1_11reduce_implILb1ES3_N6thrust23THRUST_200600_302600_NS11hip_rocprim35transform_pair_of_input_iterators_tIiPlSB_NS8_12not_equal_toIlEEEEPiiNS8_4plusIiEEEE10hipError_tPvRmT1_T2_T3_mT4_P12ihipStream_tbEUlT_E1_NS1_11comp_targetILNS1_3genE2ELNS1_11target_archE906ELNS1_3gpuE6ELNS1_3repE0EEENS1_30default_config_static_selectorELNS0_4arch9wavefront6targetE1EEEvSL_,comdat
.Lfunc_end1199:
	.size	_ZN7rocprim17ROCPRIM_400000_NS6detail17trampoline_kernelINS0_14default_configENS1_22reduce_config_selectorIiEEZNS1_11reduce_implILb1ES3_N6thrust23THRUST_200600_302600_NS11hip_rocprim35transform_pair_of_input_iterators_tIiPlSB_NS8_12not_equal_toIlEEEEPiiNS8_4plusIiEEEE10hipError_tPvRmT1_T2_T3_mT4_P12ihipStream_tbEUlT_E1_NS1_11comp_targetILNS1_3genE2ELNS1_11target_archE906ELNS1_3gpuE6ELNS1_3repE0EEENS1_30default_config_static_selectorELNS0_4arch9wavefront6targetE1EEEvSL_, .Lfunc_end1199-_ZN7rocprim17ROCPRIM_400000_NS6detail17trampoline_kernelINS0_14default_configENS1_22reduce_config_selectorIiEEZNS1_11reduce_implILb1ES3_N6thrust23THRUST_200600_302600_NS11hip_rocprim35transform_pair_of_input_iterators_tIiPlSB_NS8_12not_equal_toIlEEEEPiiNS8_4plusIiEEEE10hipError_tPvRmT1_T2_T3_mT4_P12ihipStream_tbEUlT_E1_NS1_11comp_targetILNS1_3genE2ELNS1_11target_archE906ELNS1_3gpuE6ELNS1_3repE0EEENS1_30default_config_static_selectorELNS0_4arch9wavefront6targetE1EEEvSL_
                                        ; -- End function
	.set _ZN7rocprim17ROCPRIM_400000_NS6detail17trampoline_kernelINS0_14default_configENS1_22reduce_config_selectorIiEEZNS1_11reduce_implILb1ES3_N6thrust23THRUST_200600_302600_NS11hip_rocprim35transform_pair_of_input_iterators_tIiPlSB_NS8_12not_equal_toIlEEEEPiiNS8_4plusIiEEEE10hipError_tPvRmT1_T2_T3_mT4_P12ihipStream_tbEUlT_E1_NS1_11comp_targetILNS1_3genE2ELNS1_11target_archE906ELNS1_3gpuE6ELNS1_3repE0EEENS1_30default_config_static_selectorELNS0_4arch9wavefront6targetE1EEEvSL_.num_vgpr, 44
	.set _ZN7rocprim17ROCPRIM_400000_NS6detail17trampoline_kernelINS0_14default_configENS1_22reduce_config_selectorIiEEZNS1_11reduce_implILb1ES3_N6thrust23THRUST_200600_302600_NS11hip_rocprim35transform_pair_of_input_iterators_tIiPlSB_NS8_12not_equal_toIlEEEEPiiNS8_4plusIiEEEE10hipError_tPvRmT1_T2_T3_mT4_P12ihipStream_tbEUlT_E1_NS1_11comp_targetILNS1_3genE2ELNS1_11target_archE906ELNS1_3gpuE6ELNS1_3repE0EEENS1_30default_config_static_selectorELNS0_4arch9wavefront6targetE1EEEvSL_.num_agpr, 0
	.set _ZN7rocprim17ROCPRIM_400000_NS6detail17trampoline_kernelINS0_14default_configENS1_22reduce_config_selectorIiEEZNS1_11reduce_implILb1ES3_N6thrust23THRUST_200600_302600_NS11hip_rocprim35transform_pair_of_input_iterators_tIiPlSB_NS8_12not_equal_toIlEEEEPiiNS8_4plusIiEEEE10hipError_tPvRmT1_T2_T3_mT4_P12ihipStream_tbEUlT_E1_NS1_11comp_targetILNS1_3genE2ELNS1_11target_archE906ELNS1_3gpuE6ELNS1_3repE0EEENS1_30default_config_static_selectorELNS0_4arch9wavefront6targetE1EEEvSL_.numbered_sgpr, 49
	.set _ZN7rocprim17ROCPRIM_400000_NS6detail17trampoline_kernelINS0_14default_configENS1_22reduce_config_selectorIiEEZNS1_11reduce_implILb1ES3_N6thrust23THRUST_200600_302600_NS11hip_rocprim35transform_pair_of_input_iterators_tIiPlSB_NS8_12not_equal_toIlEEEEPiiNS8_4plusIiEEEE10hipError_tPvRmT1_T2_T3_mT4_P12ihipStream_tbEUlT_E1_NS1_11comp_targetILNS1_3genE2ELNS1_11target_archE906ELNS1_3gpuE6ELNS1_3repE0EEENS1_30default_config_static_selectorELNS0_4arch9wavefront6targetE1EEEvSL_.num_named_barrier, 0
	.set _ZN7rocprim17ROCPRIM_400000_NS6detail17trampoline_kernelINS0_14default_configENS1_22reduce_config_selectorIiEEZNS1_11reduce_implILb1ES3_N6thrust23THRUST_200600_302600_NS11hip_rocprim35transform_pair_of_input_iterators_tIiPlSB_NS8_12not_equal_toIlEEEEPiiNS8_4plusIiEEEE10hipError_tPvRmT1_T2_T3_mT4_P12ihipStream_tbEUlT_E1_NS1_11comp_targetILNS1_3genE2ELNS1_11target_archE906ELNS1_3gpuE6ELNS1_3repE0EEENS1_30default_config_static_selectorELNS0_4arch9wavefront6targetE1EEEvSL_.private_seg_size, 0
	.set _ZN7rocprim17ROCPRIM_400000_NS6detail17trampoline_kernelINS0_14default_configENS1_22reduce_config_selectorIiEEZNS1_11reduce_implILb1ES3_N6thrust23THRUST_200600_302600_NS11hip_rocprim35transform_pair_of_input_iterators_tIiPlSB_NS8_12not_equal_toIlEEEEPiiNS8_4plusIiEEEE10hipError_tPvRmT1_T2_T3_mT4_P12ihipStream_tbEUlT_E1_NS1_11comp_targetILNS1_3genE2ELNS1_11target_archE906ELNS1_3gpuE6ELNS1_3repE0EEENS1_30default_config_static_selectorELNS0_4arch9wavefront6targetE1EEEvSL_.uses_vcc, 1
	.set _ZN7rocprim17ROCPRIM_400000_NS6detail17trampoline_kernelINS0_14default_configENS1_22reduce_config_selectorIiEEZNS1_11reduce_implILb1ES3_N6thrust23THRUST_200600_302600_NS11hip_rocprim35transform_pair_of_input_iterators_tIiPlSB_NS8_12not_equal_toIlEEEEPiiNS8_4plusIiEEEE10hipError_tPvRmT1_T2_T3_mT4_P12ihipStream_tbEUlT_E1_NS1_11comp_targetILNS1_3genE2ELNS1_11target_archE906ELNS1_3gpuE6ELNS1_3repE0EEENS1_30default_config_static_selectorELNS0_4arch9wavefront6targetE1EEEvSL_.uses_flat_scratch, 0
	.set _ZN7rocprim17ROCPRIM_400000_NS6detail17trampoline_kernelINS0_14default_configENS1_22reduce_config_selectorIiEEZNS1_11reduce_implILb1ES3_N6thrust23THRUST_200600_302600_NS11hip_rocprim35transform_pair_of_input_iterators_tIiPlSB_NS8_12not_equal_toIlEEEEPiiNS8_4plusIiEEEE10hipError_tPvRmT1_T2_T3_mT4_P12ihipStream_tbEUlT_E1_NS1_11comp_targetILNS1_3genE2ELNS1_11target_archE906ELNS1_3gpuE6ELNS1_3repE0EEENS1_30default_config_static_selectorELNS0_4arch9wavefront6targetE1EEEvSL_.has_dyn_sized_stack, 0
	.set _ZN7rocprim17ROCPRIM_400000_NS6detail17trampoline_kernelINS0_14default_configENS1_22reduce_config_selectorIiEEZNS1_11reduce_implILb1ES3_N6thrust23THRUST_200600_302600_NS11hip_rocprim35transform_pair_of_input_iterators_tIiPlSB_NS8_12not_equal_toIlEEEEPiiNS8_4plusIiEEEE10hipError_tPvRmT1_T2_T3_mT4_P12ihipStream_tbEUlT_E1_NS1_11comp_targetILNS1_3genE2ELNS1_11target_archE906ELNS1_3gpuE6ELNS1_3repE0EEENS1_30default_config_static_selectorELNS0_4arch9wavefront6targetE1EEEvSL_.has_recursion, 0
	.set _ZN7rocprim17ROCPRIM_400000_NS6detail17trampoline_kernelINS0_14default_configENS1_22reduce_config_selectorIiEEZNS1_11reduce_implILb1ES3_N6thrust23THRUST_200600_302600_NS11hip_rocprim35transform_pair_of_input_iterators_tIiPlSB_NS8_12not_equal_toIlEEEEPiiNS8_4plusIiEEEE10hipError_tPvRmT1_T2_T3_mT4_P12ihipStream_tbEUlT_E1_NS1_11comp_targetILNS1_3genE2ELNS1_11target_archE906ELNS1_3gpuE6ELNS1_3repE0EEENS1_30default_config_static_selectorELNS0_4arch9wavefront6targetE1EEEvSL_.has_indirect_call, 0
	.section	.AMDGPU.csdata,"",@progbits
; Kernel info:
; codeLenInByte = 12520
; TotalNumSgprs: 53
; NumVgprs: 44
; ScratchSize: 0
; MemoryBound: 1
; FloatMode: 240
; IeeeMode: 1
; LDSByteSize: 112 bytes/workgroup (compile time only)
; SGPRBlocks: 6
; VGPRBlocks: 10
; NumSGPRsForWavesPerEU: 53
; NumVGPRsForWavesPerEU: 44
; Occupancy: 5
; WaveLimiterHint : 0
; COMPUTE_PGM_RSRC2:SCRATCH_EN: 0
; COMPUTE_PGM_RSRC2:USER_SGPR: 6
; COMPUTE_PGM_RSRC2:TRAP_HANDLER: 0
; COMPUTE_PGM_RSRC2:TGID_X_EN: 1
; COMPUTE_PGM_RSRC2:TGID_Y_EN: 0
; COMPUTE_PGM_RSRC2:TGID_Z_EN: 0
; COMPUTE_PGM_RSRC2:TIDIG_COMP_CNT: 0
	.section	.text._ZN7rocprim17ROCPRIM_400000_NS6detail17trampoline_kernelINS0_14default_configENS1_22reduce_config_selectorIiEEZNS1_11reduce_implILb1ES3_N6thrust23THRUST_200600_302600_NS11hip_rocprim35transform_pair_of_input_iterators_tIiPlSB_NS8_12not_equal_toIlEEEEPiiNS8_4plusIiEEEE10hipError_tPvRmT1_T2_T3_mT4_P12ihipStream_tbEUlT_E1_NS1_11comp_targetILNS1_3genE10ELNS1_11target_archE1201ELNS1_3gpuE5ELNS1_3repE0EEENS1_30default_config_static_selectorELNS0_4arch9wavefront6targetE1EEEvSL_,"axG",@progbits,_ZN7rocprim17ROCPRIM_400000_NS6detail17trampoline_kernelINS0_14default_configENS1_22reduce_config_selectorIiEEZNS1_11reduce_implILb1ES3_N6thrust23THRUST_200600_302600_NS11hip_rocprim35transform_pair_of_input_iterators_tIiPlSB_NS8_12not_equal_toIlEEEEPiiNS8_4plusIiEEEE10hipError_tPvRmT1_T2_T3_mT4_P12ihipStream_tbEUlT_E1_NS1_11comp_targetILNS1_3genE10ELNS1_11target_archE1201ELNS1_3gpuE5ELNS1_3repE0EEENS1_30default_config_static_selectorELNS0_4arch9wavefront6targetE1EEEvSL_,comdat
	.protected	_ZN7rocprim17ROCPRIM_400000_NS6detail17trampoline_kernelINS0_14default_configENS1_22reduce_config_selectorIiEEZNS1_11reduce_implILb1ES3_N6thrust23THRUST_200600_302600_NS11hip_rocprim35transform_pair_of_input_iterators_tIiPlSB_NS8_12not_equal_toIlEEEEPiiNS8_4plusIiEEEE10hipError_tPvRmT1_T2_T3_mT4_P12ihipStream_tbEUlT_E1_NS1_11comp_targetILNS1_3genE10ELNS1_11target_archE1201ELNS1_3gpuE5ELNS1_3repE0EEENS1_30default_config_static_selectorELNS0_4arch9wavefront6targetE1EEEvSL_ ; -- Begin function _ZN7rocprim17ROCPRIM_400000_NS6detail17trampoline_kernelINS0_14default_configENS1_22reduce_config_selectorIiEEZNS1_11reduce_implILb1ES3_N6thrust23THRUST_200600_302600_NS11hip_rocprim35transform_pair_of_input_iterators_tIiPlSB_NS8_12not_equal_toIlEEEEPiiNS8_4plusIiEEEE10hipError_tPvRmT1_T2_T3_mT4_P12ihipStream_tbEUlT_E1_NS1_11comp_targetILNS1_3genE10ELNS1_11target_archE1201ELNS1_3gpuE5ELNS1_3repE0EEENS1_30default_config_static_selectorELNS0_4arch9wavefront6targetE1EEEvSL_
	.globl	_ZN7rocprim17ROCPRIM_400000_NS6detail17trampoline_kernelINS0_14default_configENS1_22reduce_config_selectorIiEEZNS1_11reduce_implILb1ES3_N6thrust23THRUST_200600_302600_NS11hip_rocprim35transform_pair_of_input_iterators_tIiPlSB_NS8_12not_equal_toIlEEEEPiiNS8_4plusIiEEEE10hipError_tPvRmT1_T2_T3_mT4_P12ihipStream_tbEUlT_E1_NS1_11comp_targetILNS1_3genE10ELNS1_11target_archE1201ELNS1_3gpuE5ELNS1_3repE0EEENS1_30default_config_static_selectorELNS0_4arch9wavefront6targetE1EEEvSL_
	.p2align	8
	.type	_ZN7rocprim17ROCPRIM_400000_NS6detail17trampoline_kernelINS0_14default_configENS1_22reduce_config_selectorIiEEZNS1_11reduce_implILb1ES3_N6thrust23THRUST_200600_302600_NS11hip_rocprim35transform_pair_of_input_iterators_tIiPlSB_NS8_12not_equal_toIlEEEEPiiNS8_4plusIiEEEE10hipError_tPvRmT1_T2_T3_mT4_P12ihipStream_tbEUlT_E1_NS1_11comp_targetILNS1_3genE10ELNS1_11target_archE1201ELNS1_3gpuE5ELNS1_3repE0EEENS1_30default_config_static_selectorELNS0_4arch9wavefront6targetE1EEEvSL_,@function
_ZN7rocprim17ROCPRIM_400000_NS6detail17trampoline_kernelINS0_14default_configENS1_22reduce_config_selectorIiEEZNS1_11reduce_implILb1ES3_N6thrust23THRUST_200600_302600_NS11hip_rocprim35transform_pair_of_input_iterators_tIiPlSB_NS8_12not_equal_toIlEEEEPiiNS8_4plusIiEEEE10hipError_tPvRmT1_T2_T3_mT4_P12ihipStream_tbEUlT_E1_NS1_11comp_targetILNS1_3genE10ELNS1_11target_archE1201ELNS1_3gpuE5ELNS1_3repE0EEENS1_30default_config_static_selectorELNS0_4arch9wavefront6targetE1EEEvSL_: ; @_ZN7rocprim17ROCPRIM_400000_NS6detail17trampoline_kernelINS0_14default_configENS1_22reduce_config_selectorIiEEZNS1_11reduce_implILb1ES3_N6thrust23THRUST_200600_302600_NS11hip_rocprim35transform_pair_of_input_iterators_tIiPlSB_NS8_12not_equal_toIlEEEEPiiNS8_4plusIiEEEE10hipError_tPvRmT1_T2_T3_mT4_P12ihipStream_tbEUlT_E1_NS1_11comp_targetILNS1_3genE10ELNS1_11target_archE1201ELNS1_3gpuE5ELNS1_3repE0EEENS1_30default_config_static_selectorELNS0_4arch9wavefront6targetE1EEEvSL_
; %bb.0:
	.section	.rodata,"a",@progbits
	.p2align	6, 0x0
	.amdhsa_kernel _ZN7rocprim17ROCPRIM_400000_NS6detail17trampoline_kernelINS0_14default_configENS1_22reduce_config_selectorIiEEZNS1_11reduce_implILb1ES3_N6thrust23THRUST_200600_302600_NS11hip_rocprim35transform_pair_of_input_iterators_tIiPlSB_NS8_12not_equal_toIlEEEEPiiNS8_4plusIiEEEE10hipError_tPvRmT1_T2_T3_mT4_P12ihipStream_tbEUlT_E1_NS1_11comp_targetILNS1_3genE10ELNS1_11target_archE1201ELNS1_3gpuE5ELNS1_3repE0EEENS1_30default_config_static_selectorELNS0_4arch9wavefront6targetE1EEEvSL_
		.amdhsa_group_segment_fixed_size 0
		.amdhsa_private_segment_fixed_size 0
		.amdhsa_kernarg_size 56
		.amdhsa_user_sgpr_count 6
		.amdhsa_user_sgpr_private_segment_buffer 1
		.amdhsa_user_sgpr_dispatch_ptr 0
		.amdhsa_user_sgpr_queue_ptr 0
		.amdhsa_user_sgpr_kernarg_segment_ptr 1
		.amdhsa_user_sgpr_dispatch_id 0
		.amdhsa_user_sgpr_flat_scratch_init 0
		.amdhsa_user_sgpr_private_segment_size 0
		.amdhsa_uses_dynamic_stack 0
		.amdhsa_system_sgpr_private_segment_wavefront_offset 0
		.amdhsa_system_sgpr_workgroup_id_x 1
		.amdhsa_system_sgpr_workgroup_id_y 0
		.amdhsa_system_sgpr_workgroup_id_z 0
		.amdhsa_system_sgpr_workgroup_info 0
		.amdhsa_system_vgpr_workitem_id 0
		.amdhsa_next_free_vgpr 1
		.amdhsa_next_free_sgpr 0
		.amdhsa_reserve_vcc 0
		.amdhsa_reserve_flat_scratch 0
		.amdhsa_float_round_mode_32 0
		.amdhsa_float_round_mode_16_64 0
		.amdhsa_float_denorm_mode_32 3
		.amdhsa_float_denorm_mode_16_64 3
		.amdhsa_dx10_clamp 1
		.amdhsa_ieee_mode 1
		.amdhsa_fp16_overflow 0
		.amdhsa_exception_fp_ieee_invalid_op 0
		.amdhsa_exception_fp_denorm_src 0
		.amdhsa_exception_fp_ieee_div_zero 0
		.amdhsa_exception_fp_ieee_overflow 0
		.amdhsa_exception_fp_ieee_underflow 0
		.amdhsa_exception_fp_ieee_inexact 0
		.amdhsa_exception_int_div_zero 0
	.end_amdhsa_kernel
	.section	.text._ZN7rocprim17ROCPRIM_400000_NS6detail17trampoline_kernelINS0_14default_configENS1_22reduce_config_selectorIiEEZNS1_11reduce_implILb1ES3_N6thrust23THRUST_200600_302600_NS11hip_rocprim35transform_pair_of_input_iterators_tIiPlSB_NS8_12not_equal_toIlEEEEPiiNS8_4plusIiEEEE10hipError_tPvRmT1_T2_T3_mT4_P12ihipStream_tbEUlT_E1_NS1_11comp_targetILNS1_3genE10ELNS1_11target_archE1201ELNS1_3gpuE5ELNS1_3repE0EEENS1_30default_config_static_selectorELNS0_4arch9wavefront6targetE1EEEvSL_,"axG",@progbits,_ZN7rocprim17ROCPRIM_400000_NS6detail17trampoline_kernelINS0_14default_configENS1_22reduce_config_selectorIiEEZNS1_11reduce_implILb1ES3_N6thrust23THRUST_200600_302600_NS11hip_rocprim35transform_pair_of_input_iterators_tIiPlSB_NS8_12not_equal_toIlEEEEPiiNS8_4plusIiEEEE10hipError_tPvRmT1_T2_T3_mT4_P12ihipStream_tbEUlT_E1_NS1_11comp_targetILNS1_3genE10ELNS1_11target_archE1201ELNS1_3gpuE5ELNS1_3repE0EEENS1_30default_config_static_selectorELNS0_4arch9wavefront6targetE1EEEvSL_,comdat
.Lfunc_end1200:
	.size	_ZN7rocprim17ROCPRIM_400000_NS6detail17trampoline_kernelINS0_14default_configENS1_22reduce_config_selectorIiEEZNS1_11reduce_implILb1ES3_N6thrust23THRUST_200600_302600_NS11hip_rocprim35transform_pair_of_input_iterators_tIiPlSB_NS8_12not_equal_toIlEEEEPiiNS8_4plusIiEEEE10hipError_tPvRmT1_T2_T3_mT4_P12ihipStream_tbEUlT_E1_NS1_11comp_targetILNS1_3genE10ELNS1_11target_archE1201ELNS1_3gpuE5ELNS1_3repE0EEENS1_30default_config_static_selectorELNS0_4arch9wavefront6targetE1EEEvSL_, .Lfunc_end1200-_ZN7rocprim17ROCPRIM_400000_NS6detail17trampoline_kernelINS0_14default_configENS1_22reduce_config_selectorIiEEZNS1_11reduce_implILb1ES3_N6thrust23THRUST_200600_302600_NS11hip_rocprim35transform_pair_of_input_iterators_tIiPlSB_NS8_12not_equal_toIlEEEEPiiNS8_4plusIiEEEE10hipError_tPvRmT1_T2_T3_mT4_P12ihipStream_tbEUlT_E1_NS1_11comp_targetILNS1_3genE10ELNS1_11target_archE1201ELNS1_3gpuE5ELNS1_3repE0EEENS1_30default_config_static_selectorELNS0_4arch9wavefront6targetE1EEEvSL_
                                        ; -- End function
	.set _ZN7rocprim17ROCPRIM_400000_NS6detail17trampoline_kernelINS0_14default_configENS1_22reduce_config_selectorIiEEZNS1_11reduce_implILb1ES3_N6thrust23THRUST_200600_302600_NS11hip_rocprim35transform_pair_of_input_iterators_tIiPlSB_NS8_12not_equal_toIlEEEEPiiNS8_4plusIiEEEE10hipError_tPvRmT1_T2_T3_mT4_P12ihipStream_tbEUlT_E1_NS1_11comp_targetILNS1_3genE10ELNS1_11target_archE1201ELNS1_3gpuE5ELNS1_3repE0EEENS1_30default_config_static_selectorELNS0_4arch9wavefront6targetE1EEEvSL_.num_vgpr, 0
	.set _ZN7rocprim17ROCPRIM_400000_NS6detail17trampoline_kernelINS0_14default_configENS1_22reduce_config_selectorIiEEZNS1_11reduce_implILb1ES3_N6thrust23THRUST_200600_302600_NS11hip_rocprim35transform_pair_of_input_iterators_tIiPlSB_NS8_12not_equal_toIlEEEEPiiNS8_4plusIiEEEE10hipError_tPvRmT1_T2_T3_mT4_P12ihipStream_tbEUlT_E1_NS1_11comp_targetILNS1_3genE10ELNS1_11target_archE1201ELNS1_3gpuE5ELNS1_3repE0EEENS1_30default_config_static_selectorELNS0_4arch9wavefront6targetE1EEEvSL_.num_agpr, 0
	.set _ZN7rocprim17ROCPRIM_400000_NS6detail17trampoline_kernelINS0_14default_configENS1_22reduce_config_selectorIiEEZNS1_11reduce_implILb1ES3_N6thrust23THRUST_200600_302600_NS11hip_rocprim35transform_pair_of_input_iterators_tIiPlSB_NS8_12not_equal_toIlEEEEPiiNS8_4plusIiEEEE10hipError_tPvRmT1_T2_T3_mT4_P12ihipStream_tbEUlT_E1_NS1_11comp_targetILNS1_3genE10ELNS1_11target_archE1201ELNS1_3gpuE5ELNS1_3repE0EEENS1_30default_config_static_selectorELNS0_4arch9wavefront6targetE1EEEvSL_.numbered_sgpr, 0
	.set _ZN7rocprim17ROCPRIM_400000_NS6detail17trampoline_kernelINS0_14default_configENS1_22reduce_config_selectorIiEEZNS1_11reduce_implILb1ES3_N6thrust23THRUST_200600_302600_NS11hip_rocprim35transform_pair_of_input_iterators_tIiPlSB_NS8_12not_equal_toIlEEEEPiiNS8_4plusIiEEEE10hipError_tPvRmT1_T2_T3_mT4_P12ihipStream_tbEUlT_E1_NS1_11comp_targetILNS1_3genE10ELNS1_11target_archE1201ELNS1_3gpuE5ELNS1_3repE0EEENS1_30default_config_static_selectorELNS0_4arch9wavefront6targetE1EEEvSL_.num_named_barrier, 0
	.set _ZN7rocprim17ROCPRIM_400000_NS6detail17trampoline_kernelINS0_14default_configENS1_22reduce_config_selectorIiEEZNS1_11reduce_implILb1ES3_N6thrust23THRUST_200600_302600_NS11hip_rocprim35transform_pair_of_input_iterators_tIiPlSB_NS8_12not_equal_toIlEEEEPiiNS8_4plusIiEEEE10hipError_tPvRmT1_T2_T3_mT4_P12ihipStream_tbEUlT_E1_NS1_11comp_targetILNS1_3genE10ELNS1_11target_archE1201ELNS1_3gpuE5ELNS1_3repE0EEENS1_30default_config_static_selectorELNS0_4arch9wavefront6targetE1EEEvSL_.private_seg_size, 0
	.set _ZN7rocprim17ROCPRIM_400000_NS6detail17trampoline_kernelINS0_14default_configENS1_22reduce_config_selectorIiEEZNS1_11reduce_implILb1ES3_N6thrust23THRUST_200600_302600_NS11hip_rocprim35transform_pair_of_input_iterators_tIiPlSB_NS8_12not_equal_toIlEEEEPiiNS8_4plusIiEEEE10hipError_tPvRmT1_T2_T3_mT4_P12ihipStream_tbEUlT_E1_NS1_11comp_targetILNS1_3genE10ELNS1_11target_archE1201ELNS1_3gpuE5ELNS1_3repE0EEENS1_30default_config_static_selectorELNS0_4arch9wavefront6targetE1EEEvSL_.uses_vcc, 0
	.set _ZN7rocprim17ROCPRIM_400000_NS6detail17trampoline_kernelINS0_14default_configENS1_22reduce_config_selectorIiEEZNS1_11reduce_implILb1ES3_N6thrust23THRUST_200600_302600_NS11hip_rocprim35transform_pair_of_input_iterators_tIiPlSB_NS8_12not_equal_toIlEEEEPiiNS8_4plusIiEEEE10hipError_tPvRmT1_T2_T3_mT4_P12ihipStream_tbEUlT_E1_NS1_11comp_targetILNS1_3genE10ELNS1_11target_archE1201ELNS1_3gpuE5ELNS1_3repE0EEENS1_30default_config_static_selectorELNS0_4arch9wavefront6targetE1EEEvSL_.uses_flat_scratch, 0
	.set _ZN7rocprim17ROCPRIM_400000_NS6detail17trampoline_kernelINS0_14default_configENS1_22reduce_config_selectorIiEEZNS1_11reduce_implILb1ES3_N6thrust23THRUST_200600_302600_NS11hip_rocprim35transform_pair_of_input_iterators_tIiPlSB_NS8_12not_equal_toIlEEEEPiiNS8_4plusIiEEEE10hipError_tPvRmT1_T2_T3_mT4_P12ihipStream_tbEUlT_E1_NS1_11comp_targetILNS1_3genE10ELNS1_11target_archE1201ELNS1_3gpuE5ELNS1_3repE0EEENS1_30default_config_static_selectorELNS0_4arch9wavefront6targetE1EEEvSL_.has_dyn_sized_stack, 0
	.set _ZN7rocprim17ROCPRIM_400000_NS6detail17trampoline_kernelINS0_14default_configENS1_22reduce_config_selectorIiEEZNS1_11reduce_implILb1ES3_N6thrust23THRUST_200600_302600_NS11hip_rocprim35transform_pair_of_input_iterators_tIiPlSB_NS8_12not_equal_toIlEEEEPiiNS8_4plusIiEEEE10hipError_tPvRmT1_T2_T3_mT4_P12ihipStream_tbEUlT_E1_NS1_11comp_targetILNS1_3genE10ELNS1_11target_archE1201ELNS1_3gpuE5ELNS1_3repE0EEENS1_30default_config_static_selectorELNS0_4arch9wavefront6targetE1EEEvSL_.has_recursion, 0
	.set _ZN7rocprim17ROCPRIM_400000_NS6detail17trampoline_kernelINS0_14default_configENS1_22reduce_config_selectorIiEEZNS1_11reduce_implILb1ES3_N6thrust23THRUST_200600_302600_NS11hip_rocprim35transform_pair_of_input_iterators_tIiPlSB_NS8_12not_equal_toIlEEEEPiiNS8_4plusIiEEEE10hipError_tPvRmT1_T2_T3_mT4_P12ihipStream_tbEUlT_E1_NS1_11comp_targetILNS1_3genE10ELNS1_11target_archE1201ELNS1_3gpuE5ELNS1_3repE0EEENS1_30default_config_static_selectorELNS0_4arch9wavefront6targetE1EEEvSL_.has_indirect_call, 0
	.section	.AMDGPU.csdata,"",@progbits
; Kernel info:
; codeLenInByte = 0
; TotalNumSgprs: 4
; NumVgprs: 0
; ScratchSize: 0
; MemoryBound: 0
; FloatMode: 240
; IeeeMode: 1
; LDSByteSize: 0 bytes/workgroup (compile time only)
; SGPRBlocks: 0
; VGPRBlocks: 0
; NumSGPRsForWavesPerEU: 4
; NumVGPRsForWavesPerEU: 1
; Occupancy: 10
; WaveLimiterHint : 0
; COMPUTE_PGM_RSRC2:SCRATCH_EN: 0
; COMPUTE_PGM_RSRC2:USER_SGPR: 6
; COMPUTE_PGM_RSRC2:TRAP_HANDLER: 0
; COMPUTE_PGM_RSRC2:TGID_X_EN: 1
; COMPUTE_PGM_RSRC2:TGID_Y_EN: 0
; COMPUTE_PGM_RSRC2:TGID_Z_EN: 0
; COMPUTE_PGM_RSRC2:TIDIG_COMP_CNT: 0
	.section	.text._ZN7rocprim17ROCPRIM_400000_NS6detail17trampoline_kernelINS0_14default_configENS1_22reduce_config_selectorIiEEZNS1_11reduce_implILb1ES3_N6thrust23THRUST_200600_302600_NS11hip_rocprim35transform_pair_of_input_iterators_tIiPlSB_NS8_12not_equal_toIlEEEEPiiNS8_4plusIiEEEE10hipError_tPvRmT1_T2_T3_mT4_P12ihipStream_tbEUlT_E1_NS1_11comp_targetILNS1_3genE10ELNS1_11target_archE1200ELNS1_3gpuE4ELNS1_3repE0EEENS1_30default_config_static_selectorELNS0_4arch9wavefront6targetE1EEEvSL_,"axG",@progbits,_ZN7rocprim17ROCPRIM_400000_NS6detail17trampoline_kernelINS0_14default_configENS1_22reduce_config_selectorIiEEZNS1_11reduce_implILb1ES3_N6thrust23THRUST_200600_302600_NS11hip_rocprim35transform_pair_of_input_iterators_tIiPlSB_NS8_12not_equal_toIlEEEEPiiNS8_4plusIiEEEE10hipError_tPvRmT1_T2_T3_mT4_P12ihipStream_tbEUlT_E1_NS1_11comp_targetILNS1_3genE10ELNS1_11target_archE1200ELNS1_3gpuE4ELNS1_3repE0EEENS1_30default_config_static_selectorELNS0_4arch9wavefront6targetE1EEEvSL_,comdat
	.protected	_ZN7rocprim17ROCPRIM_400000_NS6detail17trampoline_kernelINS0_14default_configENS1_22reduce_config_selectorIiEEZNS1_11reduce_implILb1ES3_N6thrust23THRUST_200600_302600_NS11hip_rocprim35transform_pair_of_input_iterators_tIiPlSB_NS8_12not_equal_toIlEEEEPiiNS8_4plusIiEEEE10hipError_tPvRmT1_T2_T3_mT4_P12ihipStream_tbEUlT_E1_NS1_11comp_targetILNS1_3genE10ELNS1_11target_archE1200ELNS1_3gpuE4ELNS1_3repE0EEENS1_30default_config_static_selectorELNS0_4arch9wavefront6targetE1EEEvSL_ ; -- Begin function _ZN7rocprim17ROCPRIM_400000_NS6detail17trampoline_kernelINS0_14default_configENS1_22reduce_config_selectorIiEEZNS1_11reduce_implILb1ES3_N6thrust23THRUST_200600_302600_NS11hip_rocprim35transform_pair_of_input_iterators_tIiPlSB_NS8_12not_equal_toIlEEEEPiiNS8_4plusIiEEEE10hipError_tPvRmT1_T2_T3_mT4_P12ihipStream_tbEUlT_E1_NS1_11comp_targetILNS1_3genE10ELNS1_11target_archE1200ELNS1_3gpuE4ELNS1_3repE0EEENS1_30default_config_static_selectorELNS0_4arch9wavefront6targetE1EEEvSL_
	.globl	_ZN7rocprim17ROCPRIM_400000_NS6detail17trampoline_kernelINS0_14default_configENS1_22reduce_config_selectorIiEEZNS1_11reduce_implILb1ES3_N6thrust23THRUST_200600_302600_NS11hip_rocprim35transform_pair_of_input_iterators_tIiPlSB_NS8_12not_equal_toIlEEEEPiiNS8_4plusIiEEEE10hipError_tPvRmT1_T2_T3_mT4_P12ihipStream_tbEUlT_E1_NS1_11comp_targetILNS1_3genE10ELNS1_11target_archE1200ELNS1_3gpuE4ELNS1_3repE0EEENS1_30default_config_static_selectorELNS0_4arch9wavefront6targetE1EEEvSL_
	.p2align	8
	.type	_ZN7rocprim17ROCPRIM_400000_NS6detail17trampoline_kernelINS0_14default_configENS1_22reduce_config_selectorIiEEZNS1_11reduce_implILb1ES3_N6thrust23THRUST_200600_302600_NS11hip_rocprim35transform_pair_of_input_iterators_tIiPlSB_NS8_12not_equal_toIlEEEEPiiNS8_4plusIiEEEE10hipError_tPvRmT1_T2_T3_mT4_P12ihipStream_tbEUlT_E1_NS1_11comp_targetILNS1_3genE10ELNS1_11target_archE1200ELNS1_3gpuE4ELNS1_3repE0EEENS1_30default_config_static_selectorELNS0_4arch9wavefront6targetE1EEEvSL_,@function
_ZN7rocprim17ROCPRIM_400000_NS6detail17trampoline_kernelINS0_14default_configENS1_22reduce_config_selectorIiEEZNS1_11reduce_implILb1ES3_N6thrust23THRUST_200600_302600_NS11hip_rocprim35transform_pair_of_input_iterators_tIiPlSB_NS8_12not_equal_toIlEEEEPiiNS8_4plusIiEEEE10hipError_tPvRmT1_T2_T3_mT4_P12ihipStream_tbEUlT_E1_NS1_11comp_targetILNS1_3genE10ELNS1_11target_archE1200ELNS1_3gpuE4ELNS1_3repE0EEENS1_30default_config_static_selectorELNS0_4arch9wavefront6targetE1EEEvSL_: ; @_ZN7rocprim17ROCPRIM_400000_NS6detail17trampoline_kernelINS0_14default_configENS1_22reduce_config_selectorIiEEZNS1_11reduce_implILb1ES3_N6thrust23THRUST_200600_302600_NS11hip_rocprim35transform_pair_of_input_iterators_tIiPlSB_NS8_12not_equal_toIlEEEEPiiNS8_4plusIiEEEE10hipError_tPvRmT1_T2_T3_mT4_P12ihipStream_tbEUlT_E1_NS1_11comp_targetILNS1_3genE10ELNS1_11target_archE1200ELNS1_3gpuE4ELNS1_3repE0EEENS1_30default_config_static_selectorELNS0_4arch9wavefront6targetE1EEEvSL_
; %bb.0:
	.section	.rodata,"a",@progbits
	.p2align	6, 0x0
	.amdhsa_kernel _ZN7rocprim17ROCPRIM_400000_NS6detail17trampoline_kernelINS0_14default_configENS1_22reduce_config_selectorIiEEZNS1_11reduce_implILb1ES3_N6thrust23THRUST_200600_302600_NS11hip_rocprim35transform_pair_of_input_iterators_tIiPlSB_NS8_12not_equal_toIlEEEEPiiNS8_4plusIiEEEE10hipError_tPvRmT1_T2_T3_mT4_P12ihipStream_tbEUlT_E1_NS1_11comp_targetILNS1_3genE10ELNS1_11target_archE1200ELNS1_3gpuE4ELNS1_3repE0EEENS1_30default_config_static_selectorELNS0_4arch9wavefront6targetE1EEEvSL_
		.amdhsa_group_segment_fixed_size 0
		.amdhsa_private_segment_fixed_size 0
		.amdhsa_kernarg_size 56
		.amdhsa_user_sgpr_count 6
		.amdhsa_user_sgpr_private_segment_buffer 1
		.amdhsa_user_sgpr_dispatch_ptr 0
		.amdhsa_user_sgpr_queue_ptr 0
		.amdhsa_user_sgpr_kernarg_segment_ptr 1
		.amdhsa_user_sgpr_dispatch_id 0
		.amdhsa_user_sgpr_flat_scratch_init 0
		.amdhsa_user_sgpr_private_segment_size 0
		.amdhsa_uses_dynamic_stack 0
		.amdhsa_system_sgpr_private_segment_wavefront_offset 0
		.amdhsa_system_sgpr_workgroup_id_x 1
		.amdhsa_system_sgpr_workgroup_id_y 0
		.amdhsa_system_sgpr_workgroup_id_z 0
		.amdhsa_system_sgpr_workgroup_info 0
		.amdhsa_system_vgpr_workitem_id 0
		.amdhsa_next_free_vgpr 1
		.amdhsa_next_free_sgpr 0
		.amdhsa_reserve_vcc 0
		.amdhsa_reserve_flat_scratch 0
		.amdhsa_float_round_mode_32 0
		.amdhsa_float_round_mode_16_64 0
		.amdhsa_float_denorm_mode_32 3
		.amdhsa_float_denorm_mode_16_64 3
		.amdhsa_dx10_clamp 1
		.amdhsa_ieee_mode 1
		.amdhsa_fp16_overflow 0
		.amdhsa_exception_fp_ieee_invalid_op 0
		.amdhsa_exception_fp_denorm_src 0
		.amdhsa_exception_fp_ieee_div_zero 0
		.amdhsa_exception_fp_ieee_overflow 0
		.amdhsa_exception_fp_ieee_underflow 0
		.amdhsa_exception_fp_ieee_inexact 0
		.amdhsa_exception_int_div_zero 0
	.end_amdhsa_kernel
	.section	.text._ZN7rocprim17ROCPRIM_400000_NS6detail17trampoline_kernelINS0_14default_configENS1_22reduce_config_selectorIiEEZNS1_11reduce_implILb1ES3_N6thrust23THRUST_200600_302600_NS11hip_rocprim35transform_pair_of_input_iterators_tIiPlSB_NS8_12not_equal_toIlEEEEPiiNS8_4plusIiEEEE10hipError_tPvRmT1_T2_T3_mT4_P12ihipStream_tbEUlT_E1_NS1_11comp_targetILNS1_3genE10ELNS1_11target_archE1200ELNS1_3gpuE4ELNS1_3repE0EEENS1_30default_config_static_selectorELNS0_4arch9wavefront6targetE1EEEvSL_,"axG",@progbits,_ZN7rocprim17ROCPRIM_400000_NS6detail17trampoline_kernelINS0_14default_configENS1_22reduce_config_selectorIiEEZNS1_11reduce_implILb1ES3_N6thrust23THRUST_200600_302600_NS11hip_rocprim35transform_pair_of_input_iterators_tIiPlSB_NS8_12not_equal_toIlEEEEPiiNS8_4plusIiEEEE10hipError_tPvRmT1_T2_T3_mT4_P12ihipStream_tbEUlT_E1_NS1_11comp_targetILNS1_3genE10ELNS1_11target_archE1200ELNS1_3gpuE4ELNS1_3repE0EEENS1_30default_config_static_selectorELNS0_4arch9wavefront6targetE1EEEvSL_,comdat
.Lfunc_end1201:
	.size	_ZN7rocprim17ROCPRIM_400000_NS6detail17trampoline_kernelINS0_14default_configENS1_22reduce_config_selectorIiEEZNS1_11reduce_implILb1ES3_N6thrust23THRUST_200600_302600_NS11hip_rocprim35transform_pair_of_input_iterators_tIiPlSB_NS8_12not_equal_toIlEEEEPiiNS8_4plusIiEEEE10hipError_tPvRmT1_T2_T3_mT4_P12ihipStream_tbEUlT_E1_NS1_11comp_targetILNS1_3genE10ELNS1_11target_archE1200ELNS1_3gpuE4ELNS1_3repE0EEENS1_30default_config_static_selectorELNS0_4arch9wavefront6targetE1EEEvSL_, .Lfunc_end1201-_ZN7rocprim17ROCPRIM_400000_NS6detail17trampoline_kernelINS0_14default_configENS1_22reduce_config_selectorIiEEZNS1_11reduce_implILb1ES3_N6thrust23THRUST_200600_302600_NS11hip_rocprim35transform_pair_of_input_iterators_tIiPlSB_NS8_12not_equal_toIlEEEEPiiNS8_4plusIiEEEE10hipError_tPvRmT1_T2_T3_mT4_P12ihipStream_tbEUlT_E1_NS1_11comp_targetILNS1_3genE10ELNS1_11target_archE1200ELNS1_3gpuE4ELNS1_3repE0EEENS1_30default_config_static_selectorELNS0_4arch9wavefront6targetE1EEEvSL_
                                        ; -- End function
	.set _ZN7rocprim17ROCPRIM_400000_NS6detail17trampoline_kernelINS0_14default_configENS1_22reduce_config_selectorIiEEZNS1_11reduce_implILb1ES3_N6thrust23THRUST_200600_302600_NS11hip_rocprim35transform_pair_of_input_iterators_tIiPlSB_NS8_12not_equal_toIlEEEEPiiNS8_4plusIiEEEE10hipError_tPvRmT1_T2_T3_mT4_P12ihipStream_tbEUlT_E1_NS1_11comp_targetILNS1_3genE10ELNS1_11target_archE1200ELNS1_3gpuE4ELNS1_3repE0EEENS1_30default_config_static_selectorELNS0_4arch9wavefront6targetE1EEEvSL_.num_vgpr, 0
	.set _ZN7rocprim17ROCPRIM_400000_NS6detail17trampoline_kernelINS0_14default_configENS1_22reduce_config_selectorIiEEZNS1_11reduce_implILb1ES3_N6thrust23THRUST_200600_302600_NS11hip_rocprim35transform_pair_of_input_iterators_tIiPlSB_NS8_12not_equal_toIlEEEEPiiNS8_4plusIiEEEE10hipError_tPvRmT1_T2_T3_mT4_P12ihipStream_tbEUlT_E1_NS1_11comp_targetILNS1_3genE10ELNS1_11target_archE1200ELNS1_3gpuE4ELNS1_3repE0EEENS1_30default_config_static_selectorELNS0_4arch9wavefront6targetE1EEEvSL_.num_agpr, 0
	.set _ZN7rocprim17ROCPRIM_400000_NS6detail17trampoline_kernelINS0_14default_configENS1_22reduce_config_selectorIiEEZNS1_11reduce_implILb1ES3_N6thrust23THRUST_200600_302600_NS11hip_rocprim35transform_pair_of_input_iterators_tIiPlSB_NS8_12not_equal_toIlEEEEPiiNS8_4plusIiEEEE10hipError_tPvRmT1_T2_T3_mT4_P12ihipStream_tbEUlT_E1_NS1_11comp_targetILNS1_3genE10ELNS1_11target_archE1200ELNS1_3gpuE4ELNS1_3repE0EEENS1_30default_config_static_selectorELNS0_4arch9wavefront6targetE1EEEvSL_.numbered_sgpr, 0
	.set _ZN7rocprim17ROCPRIM_400000_NS6detail17trampoline_kernelINS0_14default_configENS1_22reduce_config_selectorIiEEZNS1_11reduce_implILb1ES3_N6thrust23THRUST_200600_302600_NS11hip_rocprim35transform_pair_of_input_iterators_tIiPlSB_NS8_12not_equal_toIlEEEEPiiNS8_4plusIiEEEE10hipError_tPvRmT1_T2_T3_mT4_P12ihipStream_tbEUlT_E1_NS1_11comp_targetILNS1_3genE10ELNS1_11target_archE1200ELNS1_3gpuE4ELNS1_3repE0EEENS1_30default_config_static_selectorELNS0_4arch9wavefront6targetE1EEEvSL_.num_named_barrier, 0
	.set _ZN7rocprim17ROCPRIM_400000_NS6detail17trampoline_kernelINS0_14default_configENS1_22reduce_config_selectorIiEEZNS1_11reduce_implILb1ES3_N6thrust23THRUST_200600_302600_NS11hip_rocprim35transform_pair_of_input_iterators_tIiPlSB_NS8_12not_equal_toIlEEEEPiiNS8_4plusIiEEEE10hipError_tPvRmT1_T2_T3_mT4_P12ihipStream_tbEUlT_E1_NS1_11comp_targetILNS1_3genE10ELNS1_11target_archE1200ELNS1_3gpuE4ELNS1_3repE0EEENS1_30default_config_static_selectorELNS0_4arch9wavefront6targetE1EEEvSL_.private_seg_size, 0
	.set _ZN7rocprim17ROCPRIM_400000_NS6detail17trampoline_kernelINS0_14default_configENS1_22reduce_config_selectorIiEEZNS1_11reduce_implILb1ES3_N6thrust23THRUST_200600_302600_NS11hip_rocprim35transform_pair_of_input_iterators_tIiPlSB_NS8_12not_equal_toIlEEEEPiiNS8_4plusIiEEEE10hipError_tPvRmT1_T2_T3_mT4_P12ihipStream_tbEUlT_E1_NS1_11comp_targetILNS1_3genE10ELNS1_11target_archE1200ELNS1_3gpuE4ELNS1_3repE0EEENS1_30default_config_static_selectorELNS0_4arch9wavefront6targetE1EEEvSL_.uses_vcc, 0
	.set _ZN7rocprim17ROCPRIM_400000_NS6detail17trampoline_kernelINS0_14default_configENS1_22reduce_config_selectorIiEEZNS1_11reduce_implILb1ES3_N6thrust23THRUST_200600_302600_NS11hip_rocprim35transform_pair_of_input_iterators_tIiPlSB_NS8_12not_equal_toIlEEEEPiiNS8_4plusIiEEEE10hipError_tPvRmT1_T2_T3_mT4_P12ihipStream_tbEUlT_E1_NS1_11comp_targetILNS1_3genE10ELNS1_11target_archE1200ELNS1_3gpuE4ELNS1_3repE0EEENS1_30default_config_static_selectorELNS0_4arch9wavefront6targetE1EEEvSL_.uses_flat_scratch, 0
	.set _ZN7rocprim17ROCPRIM_400000_NS6detail17trampoline_kernelINS0_14default_configENS1_22reduce_config_selectorIiEEZNS1_11reduce_implILb1ES3_N6thrust23THRUST_200600_302600_NS11hip_rocprim35transform_pair_of_input_iterators_tIiPlSB_NS8_12not_equal_toIlEEEEPiiNS8_4plusIiEEEE10hipError_tPvRmT1_T2_T3_mT4_P12ihipStream_tbEUlT_E1_NS1_11comp_targetILNS1_3genE10ELNS1_11target_archE1200ELNS1_3gpuE4ELNS1_3repE0EEENS1_30default_config_static_selectorELNS0_4arch9wavefront6targetE1EEEvSL_.has_dyn_sized_stack, 0
	.set _ZN7rocprim17ROCPRIM_400000_NS6detail17trampoline_kernelINS0_14default_configENS1_22reduce_config_selectorIiEEZNS1_11reduce_implILb1ES3_N6thrust23THRUST_200600_302600_NS11hip_rocprim35transform_pair_of_input_iterators_tIiPlSB_NS8_12not_equal_toIlEEEEPiiNS8_4plusIiEEEE10hipError_tPvRmT1_T2_T3_mT4_P12ihipStream_tbEUlT_E1_NS1_11comp_targetILNS1_3genE10ELNS1_11target_archE1200ELNS1_3gpuE4ELNS1_3repE0EEENS1_30default_config_static_selectorELNS0_4arch9wavefront6targetE1EEEvSL_.has_recursion, 0
	.set _ZN7rocprim17ROCPRIM_400000_NS6detail17trampoline_kernelINS0_14default_configENS1_22reduce_config_selectorIiEEZNS1_11reduce_implILb1ES3_N6thrust23THRUST_200600_302600_NS11hip_rocprim35transform_pair_of_input_iterators_tIiPlSB_NS8_12not_equal_toIlEEEEPiiNS8_4plusIiEEEE10hipError_tPvRmT1_T2_T3_mT4_P12ihipStream_tbEUlT_E1_NS1_11comp_targetILNS1_3genE10ELNS1_11target_archE1200ELNS1_3gpuE4ELNS1_3repE0EEENS1_30default_config_static_selectorELNS0_4arch9wavefront6targetE1EEEvSL_.has_indirect_call, 0
	.section	.AMDGPU.csdata,"",@progbits
; Kernel info:
; codeLenInByte = 0
; TotalNumSgprs: 4
; NumVgprs: 0
; ScratchSize: 0
; MemoryBound: 0
; FloatMode: 240
; IeeeMode: 1
; LDSByteSize: 0 bytes/workgroup (compile time only)
; SGPRBlocks: 0
; VGPRBlocks: 0
; NumSGPRsForWavesPerEU: 4
; NumVGPRsForWavesPerEU: 1
; Occupancy: 10
; WaveLimiterHint : 0
; COMPUTE_PGM_RSRC2:SCRATCH_EN: 0
; COMPUTE_PGM_RSRC2:USER_SGPR: 6
; COMPUTE_PGM_RSRC2:TRAP_HANDLER: 0
; COMPUTE_PGM_RSRC2:TGID_X_EN: 1
; COMPUTE_PGM_RSRC2:TGID_Y_EN: 0
; COMPUTE_PGM_RSRC2:TGID_Z_EN: 0
; COMPUTE_PGM_RSRC2:TIDIG_COMP_CNT: 0
	.section	.text._ZN7rocprim17ROCPRIM_400000_NS6detail17trampoline_kernelINS0_14default_configENS1_22reduce_config_selectorIiEEZNS1_11reduce_implILb1ES3_N6thrust23THRUST_200600_302600_NS11hip_rocprim35transform_pair_of_input_iterators_tIiPlSB_NS8_12not_equal_toIlEEEEPiiNS8_4plusIiEEEE10hipError_tPvRmT1_T2_T3_mT4_P12ihipStream_tbEUlT_E1_NS1_11comp_targetILNS1_3genE9ELNS1_11target_archE1100ELNS1_3gpuE3ELNS1_3repE0EEENS1_30default_config_static_selectorELNS0_4arch9wavefront6targetE1EEEvSL_,"axG",@progbits,_ZN7rocprim17ROCPRIM_400000_NS6detail17trampoline_kernelINS0_14default_configENS1_22reduce_config_selectorIiEEZNS1_11reduce_implILb1ES3_N6thrust23THRUST_200600_302600_NS11hip_rocprim35transform_pair_of_input_iterators_tIiPlSB_NS8_12not_equal_toIlEEEEPiiNS8_4plusIiEEEE10hipError_tPvRmT1_T2_T3_mT4_P12ihipStream_tbEUlT_E1_NS1_11comp_targetILNS1_3genE9ELNS1_11target_archE1100ELNS1_3gpuE3ELNS1_3repE0EEENS1_30default_config_static_selectorELNS0_4arch9wavefront6targetE1EEEvSL_,comdat
	.protected	_ZN7rocprim17ROCPRIM_400000_NS6detail17trampoline_kernelINS0_14default_configENS1_22reduce_config_selectorIiEEZNS1_11reduce_implILb1ES3_N6thrust23THRUST_200600_302600_NS11hip_rocprim35transform_pair_of_input_iterators_tIiPlSB_NS8_12not_equal_toIlEEEEPiiNS8_4plusIiEEEE10hipError_tPvRmT1_T2_T3_mT4_P12ihipStream_tbEUlT_E1_NS1_11comp_targetILNS1_3genE9ELNS1_11target_archE1100ELNS1_3gpuE3ELNS1_3repE0EEENS1_30default_config_static_selectorELNS0_4arch9wavefront6targetE1EEEvSL_ ; -- Begin function _ZN7rocprim17ROCPRIM_400000_NS6detail17trampoline_kernelINS0_14default_configENS1_22reduce_config_selectorIiEEZNS1_11reduce_implILb1ES3_N6thrust23THRUST_200600_302600_NS11hip_rocprim35transform_pair_of_input_iterators_tIiPlSB_NS8_12not_equal_toIlEEEEPiiNS8_4plusIiEEEE10hipError_tPvRmT1_T2_T3_mT4_P12ihipStream_tbEUlT_E1_NS1_11comp_targetILNS1_3genE9ELNS1_11target_archE1100ELNS1_3gpuE3ELNS1_3repE0EEENS1_30default_config_static_selectorELNS0_4arch9wavefront6targetE1EEEvSL_
	.globl	_ZN7rocprim17ROCPRIM_400000_NS6detail17trampoline_kernelINS0_14default_configENS1_22reduce_config_selectorIiEEZNS1_11reduce_implILb1ES3_N6thrust23THRUST_200600_302600_NS11hip_rocprim35transform_pair_of_input_iterators_tIiPlSB_NS8_12not_equal_toIlEEEEPiiNS8_4plusIiEEEE10hipError_tPvRmT1_T2_T3_mT4_P12ihipStream_tbEUlT_E1_NS1_11comp_targetILNS1_3genE9ELNS1_11target_archE1100ELNS1_3gpuE3ELNS1_3repE0EEENS1_30default_config_static_selectorELNS0_4arch9wavefront6targetE1EEEvSL_
	.p2align	8
	.type	_ZN7rocprim17ROCPRIM_400000_NS6detail17trampoline_kernelINS0_14default_configENS1_22reduce_config_selectorIiEEZNS1_11reduce_implILb1ES3_N6thrust23THRUST_200600_302600_NS11hip_rocprim35transform_pair_of_input_iterators_tIiPlSB_NS8_12not_equal_toIlEEEEPiiNS8_4plusIiEEEE10hipError_tPvRmT1_T2_T3_mT4_P12ihipStream_tbEUlT_E1_NS1_11comp_targetILNS1_3genE9ELNS1_11target_archE1100ELNS1_3gpuE3ELNS1_3repE0EEENS1_30default_config_static_selectorELNS0_4arch9wavefront6targetE1EEEvSL_,@function
_ZN7rocprim17ROCPRIM_400000_NS6detail17trampoline_kernelINS0_14default_configENS1_22reduce_config_selectorIiEEZNS1_11reduce_implILb1ES3_N6thrust23THRUST_200600_302600_NS11hip_rocprim35transform_pair_of_input_iterators_tIiPlSB_NS8_12not_equal_toIlEEEEPiiNS8_4plusIiEEEE10hipError_tPvRmT1_T2_T3_mT4_P12ihipStream_tbEUlT_E1_NS1_11comp_targetILNS1_3genE9ELNS1_11target_archE1100ELNS1_3gpuE3ELNS1_3repE0EEENS1_30default_config_static_selectorELNS0_4arch9wavefront6targetE1EEEvSL_: ; @_ZN7rocprim17ROCPRIM_400000_NS6detail17trampoline_kernelINS0_14default_configENS1_22reduce_config_selectorIiEEZNS1_11reduce_implILb1ES3_N6thrust23THRUST_200600_302600_NS11hip_rocprim35transform_pair_of_input_iterators_tIiPlSB_NS8_12not_equal_toIlEEEEPiiNS8_4plusIiEEEE10hipError_tPvRmT1_T2_T3_mT4_P12ihipStream_tbEUlT_E1_NS1_11comp_targetILNS1_3genE9ELNS1_11target_archE1100ELNS1_3gpuE3ELNS1_3repE0EEENS1_30default_config_static_selectorELNS0_4arch9wavefront6targetE1EEEvSL_
; %bb.0:
	.section	.rodata,"a",@progbits
	.p2align	6, 0x0
	.amdhsa_kernel _ZN7rocprim17ROCPRIM_400000_NS6detail17trampoline_kernelINS0_14default_configENS1_22reduce_config_selectorIiEEZNS1_11reduce_implILb1ES3_N6thrust23THRUST_200600_302600_NS11hip_rocprim35transform_pair_of_input_iterators_tIiPlSB_NS8_12not_equal_toIlEEEEPiiNS8_4plusIiEEEE10hipError_tPvRmT1_T2_T3_mT4_P12ihipStream_tbEUlT_E1_NS1_11comp_targetILNS1_3genE9ELNS1_11target_archE1100ELNS1_3gpuE3ELNS1_3repE0EEENS1_30default_config_static_selectorELNS0_4arch9wavefront6targetE1EEEvSL_
		.amdhsa_group_segment_fixed_size 0
		.amdhsa_private_segment_fixed_size 0
		.amdhsa_kernarg_size 56
		.amdhsa_user_sgpr_count 6
		.amdhsa_user_sgpr_private_segment_buffer 1
		.amdhsa_user_sgpr_dispatch_ptr 0
		.amdhsa_user_sgpr_queue_ptr 0
		.amdhsa_user_sgpr_kernarg_segment_ptr 1
		.amdhsa_user_sgpr_dispatch_id 0
		.amdhsa_user_sgpr_flat_scratch_init 0
		.amdhsa_user_sgpr_private_segment_size 0
		.amdhsa_uses_dynamic_stack 0
		.amdhsa_system_sgpr_private_segment_wavefront_offset 0
		.amdhsa_system_sgpr_workgroup_id_x 1
		.amdhsa_system_sgpr_workgroup_id_y 0
		.amdhsa_system_sgpr_workgroup_id_z 0
		.amdhsa_system_sgpr_workgroup_info 0
		.amdhsa_system_vgpr_workitem_id 0
		.amdhsa_next_free_vgpr 1
		.amdhsa_next_free_sgpr 0
		.amdhsa_reserve_vcc 0
		.amdhsa_reserve_flat_scratch 0
		.amdhsa_float_round_mode_32 0
		.amdhsa_float_round_mode_16_64 0
		.amdhsa_float_denorm_mode_32 3
		.amdhsa_float_denorm_mode_16_64 3
		.amdhsa_dx10_clamp 1
		.amdhsa_ieee_mode 1
		.amdhsa_fp16_overflow 0
		.amdhsa_exception_fp_ieee_invalid_op 0
		.amdhsa_exception_fp_denorm_src 0
		.amdhsa_exception_fp_ieee_div_zero 0
		.amdhsa_exception_fp_ieee_overflow 0
		.amdhsa_exception_fp_ieee_underflow 0
		.amdhsa_exception_fp_ieee_inexact 0
		.amdhsa_exception_int_div_zero 0
	.end_amdhsa_kernel
	.section	.text._ZN7rocprim17ROCPRIM_400000_NS6detail17trampoline_kernelINS0_14default_configENS1_22reduce_config_selectorIiEEZNS1_11reduce_implILb1ES3_N6thrust23THRUST_200600_302600_NS11hip_rocprim35transform_pair_of_input_iterators_tIiPlSB_NS8_12not_equal_toIlEEEEPiiNS8_4plusIiEEEE10hipError_tPvRmT1_T2_T3_mT4_P12ihipStream_tbEUlT_E1_NS1_11comp_targetILNS1_3genE9ELNS1_11target_archE1100ELNS1_3gpuE3ELNS1_3repE0EEENS1_30default_config_static_selectorELNS0_4arch9wavefront6targetE1EEEvSL_,"axG",@progbits,_ZN7rocprim17ROCPRIM_400000_NS6detail17trampoline_kernelINS0_14default_configENS1_22reduce_config_selectorIiEEZNS1_11reduce_implILb1ES3_N6thrust23THRUST_200600_302600_NS11hip_rocprim35transform_pair_of_input_iterators_tIiPlSB_NS8_12not_equal_toIlEEEEPiiNS8_4plusIiEEEE10hipError_tPvRmT1_T2_T3_mT4_P12ihipStream_tbEUlT_E1_NS1_11comp_targetILNS1_3genE9ELNS1_11target_archE1100ELNS1_3gpuE3ELNS1_3repE0EEENS1_30default_config_static_selectorELNS0_4arch9wavefront6targetE1EEEvSL_,comdat
.Lfunc_end1202:
	.size	_ZN7rocprim17ROCPRIM_400000_NS6detail17trampoline_kernelINS0_14default_configENS1_22reduce_config_selectorIiEEZNS1_11reduce_implILb1ES3_N6thrust23THRUST_200600_302600_NS11hip_rocprim35transform_pair_of_input_iterators_tIiPlSB_NS8_12not_equal_toIlEEEEPiiNS8_4plusIiEEEE10hipError_tPvRmT1_T2_T3_mT4_P12ihipStream_tbEUlT_E1_NS1_11comp_targetILNS1_3genE9ELNS1_11target_archE1100ELNS1_3gpuE3ELNS1_3repE0EEENS1_30default_config_static_selectorELNS0_4arch9wavefront6targetE1EEEvSL_, .Lfunc_end1202-_ZN7rocprim17ROCPRIM_400000_NS6detail17trampoline_kernelINS0_14default_configENS1_22reduce_config_selectorIiEEZNS1_11reduce_implILb1ES3_N6thrust23THRUST_200600_302600_NS11hip_rocprim35transform_pair_of_input_iterators_tIiPlSB_NS8_12not_equal_toIlEEEEPiiNS8_4plusIiEEEE10hipError_tPvRmT1_T2_T3_mT4_P12ihipStream_tbEUlT_E1_NS1_11comp_targetILNS1_3genE9ELNS1_11target_archE1100ELNS1_3gpuE3ELNS1_3repE0EEENS1_30default_config_static_selectorELNS0_4arch9wavefront6targetE1EEEvSL_
                                        ; -- End function
	.set _ZN7rocprim17ROCPRIM_400000_NS6detail17trampoline_kernelINS0_14default_configENS1_22reduce_config_selectorIiEEZNS1_11reduce_implILb1ES3_N6thrust23THRUST_200600_302600_NS11hip_rocprim35transform_pair_of_input_iterators_tIiPlSB_NS8_12not_equal_toIlEEEEPiiNS8_4plusIiEEEE10hipError_tPvRmT1_T2_T3_mT4_P12ihipStream_tbEUlT_E1_NS1_11comp_targetILNS1_3genE9ELNS1_11target_archE1100ELNS1_3gpuE3ELNS1_3repE0EEENS1_30default_config_static_selectorELNS0_4arch9wavefront6targetE1EEEvSL_.num_vgpr, 0
	.set _ZN7rocprim17ROCPRIM_400000_NS6detail17trampoline_kernelINS0_14default_configENS1_22reduce_config_selectorIiEEZNS1_11reduce_implILb1ES3_N6thrust23THRUST_200600_302600_NS11hip_rocprim35transform_pair_of_input_iterators_tIiPlSB_NS8_12not_equal_toIlEEEEPiiNS8_4plusIiEEEE10hipError_tPvRmT1_T2_T3_mT4_P12ihipStream_tbEUlT_E1_NS1_11comp_targetILNS1_3genE9ELNS1_11target_archE1100ELNS1_3gpuE3ELNS1_3repE0EEENS1_30default_config_static_selectorELNS0_4arch9wavefront6targetE1EEEvSL_.num_agpr, 0
	.set _ZN7rocprim17ROCPRIM_400000_NS6detail17trampoline_kernelINS0_14default_configENS1_22reduce_config_selectorIiEEZNS1_11reduce_implILb1ES3_N6thrust23THRUST_200600_302600_NS11hip_rocprim35transform_pair_of_input_iterators_tIiPlSB_NS8_12not_equal_toIlEEEEPiiNS8_4plusIiEEEE10hipError_tPvRmT1_T2_T3_mT4_P12ihipStream_tbEUlT_E1_NS1_11comp_targetILNS1_3genE9ELNS1_11target_archE1100ELNS1_3gpuE3ELNS1_3repE0EEENS1_30default_config_static_selectorELNS0_4arch9wavefront6targetE1EEEvSL_.numbered_sgpr, 0
	.set _ZN7rocprim17ROCPRIM_400000_NS6detail17trampoline_kernelINS0_14default_configENS1_22reduce_config_selectorIiEEZNS1_11reduce_implILb1ES3_N6thrust23THRUST_200600_302600_NS11hip_rocprim35transform_pair_of_input_iterators_tIiPlSB_NS8_12not_equal_toIlEEEEPiiNS8_4plusIiEEEE10hipError_tPvRmT1_T2_T3_mT4_P12ihipStream_tbEUlT_E1_NS1_11comp_targetILNS1_3genE9ELNS1_11target_archE1100ELNS1_3gpuE3ELNS1_3repE0EEENS1_30default_config_static_selectorELNS0_4arch9wavefront6targetE1EEEvSL_.num_named_barrier, 0
	.set _ZN7rocprim17ROCPRIM_400000_NS6detail17trampoline_kernelINS0_14default_configENS1_22reduce_config_selectorIiEEZNS1_11reduce_implILb1ES3_N6thrust23THRUST_200600_302600_NS11hip_rocprim35transform_pair_of_input_iterators_tIiPlSB_NS8_12not_equal_toIlEEEEPiiNS8_4plusIiEEEE10hipError_tPvRmT1_T2_T3_mT4_P12ihipStream_tbEUlT_E1_NS1_11comp_targetILNS1_3genE9ELNS1_11target_archE1100ELNS1_3gpuE3ELNS1_3repE0EEENS1_30default_config_static_selectorELNS0_4arch9wavefront6targetE1EEEvSL_.private_seg_size, 0
	.set _ZN7rocprim17ROCPRIM_400000_NS6detail17trampoline_kernelINS0_14default_configENS1_22reduce_config_selectorIiEEZNS1_11reduce_implILb1ES3_N6thrust23THRUST_200600_302600_NS11hip_rocprim35transform_pair_of_input_iterators_tIiPlSB_NS8_12not_equal_toIlEEEEPiiNS8_4plusIiEEEE10hipError_tPvRmT1_T2_T3_mT4_P12ihipStream_tbEUlT_E1_NS1_11comp_targetILNS1_3genE9ELNS1_11target_archE1100ELNS1_3gpuE3ELNS1_3repE0EEENS1_30default_config_static_selectorELNS0_4arch9wavefront6targetE1EEEvSL_.uses_vcc, 0
	.set _ZN7rocprim17ROCPRIM_400000_NS6detail17trampoline_kernelINS0_14default_configENS1_22reduce_config_selectorIiEEZNS1_11reduce_implILb1ES3_N6thrust23THRUST_200600_302600_NS11hip_rocprim35transform_pair_of_input_iterators_tIiPlSB_NS8_12not_equal_toIlEEEEPiiNS8_4plusIiEEEE10hipError_tPvRmT1_T2_T3_mT4_P12ihipStream_tbEUlT_E1_NS1_11comp_targetILNS1_3genE9ELNS1_11target_archE1100ELNS1_3gpuE3ELNS1_3repE0EEENS1_30default_config_static_selectorELNS0_4arch9wavefront6targetE1EEEvSL_.uses_flat_scratch, 0
	.set _ZN7rocprim17ROCPRIM_400000_NS6detail17trampoline_kernelINS0_14default_configENS1_22reduce_config_selectorIiEEZNS1_11reduce_implILb1ES3_N6thrust23THRUST_200600_302600_NS11hip_rocprim35transform_pair_of_input_iterators_tIiPlSB_NS8_12not_equal_toIlEEEEPiiNS8_4plusIiEEEE10hipError_tPvRmT1_T2_T3_mT4_P12ihipStream_tbEUlT_E1_NS1_11comp_targetILNS1_3genE9ELNS1_11target_archE1100ELNS1_3gpuE3ELNS1_3repE0EEENS1_30default_config_static_selectorELNS0_4arch9wavefront6targetE1EEEvSL_.has_dyn_sized_stack, 0
	.set _ZN7rocprim17ROCPRIM_400000_NS6detail17trampoline_kernelINS0_14default_configENS1_22reduce_config_selectorIiEEZNS1_11reduce_implILb1ES3_N6thrust23THRUST_200600_302600_NS11hip_rocprim35transform_pair_of_input_iterators_tIiPlSB_NS8_12not_equal_toIlEEEEPiiNS8_4plusIiEEEE10hipError_tPvRmT1_T2_T3_mT4_P12ihipStream_tbEUlT_E1_NS1_11comp_targetILNS1_3genE9ELNS1_11target_archE1100ELNS1_3gpuE3ELNS1_3repE0EEENS1_30default_config_static_selectorELNS0_4arch9wavefront6targetE1EEEvSL_.has_recursion, 0
	.set _ZN7rocprim17ROCPRIM_400000_NS6detail17trampoline_kernelINS0_14default_configENS1_22reduce_config_selectorIiEEZNS1_11reduce_implILb1ES3_N6thrust23THRUST_200600_302600_NS11hip_rocprim35transform_pair_of_input_iterators_tIiPlSB_NS8_12not_equal_toIlEEEEPiiNS8_4plusIiEEEE10hipError_tPvRmT1_T2_T3_mT4_P12ihipStream_tbEUlT_E1_NS1_11comp_targetILNS1_3genE9ELNS1_11target_archE1100ELNS1_3gpuE3ELNS1_3repE0EEENS1_30default_config_static_selectorELNS0_4arch9wavefront6targetE1EEEvSL_.has_indirect_call, 0
	.section	.AMDGPU.csdata,"",@progbits
; Kernel info:
; codeLenInByte = 0
; TotalNumSgprs: 4
; NumVgprs: 0
; ScratchSize: 0
; MemoryBound: 0
; FloatMode: 240
; IeeeMode: 1
; LDSByteSize: 0 bytes/workgroup (compile time only)
; SGPRBlocks: 0
; VGPRBlocks: 0
; NumSGPRsForWavesPerEU: 4
; NumVGPRsForWavesPerEU: 1
; Occupancy: 10
; WaveLimiterHint : 0
; COMPUTE_PGM_RSRC2:SCRATCH_EN: 0
; COMPUTE_PGM_RSRC2:USER_SGPR: 6
; COMPUTE_PGM_RSRC2:TRAP_HANDLER: 0
; COMPUTE_PGM_RSRC2:TGID_X_EN: 1
; COMPUTE_PGM_RSRC2:TGID_Y_EN: 0
; COMPUTE_PGM_RSRC2:TGID_Z_EN: 0
; COMPUTE_PGM_RSRC2:TIDIG_COMP_CNT: 0
	.section	.text._ZN7rocprim17ROCPRIM_400000_NS6detail17trampoline_kernelINS0_14default_configENS1_22reduce_config_selectorIiEEZNS1_11reduce_implILb1ES3_N6thrust23THRUST_200600_302600_NS11hip_rocprim35transform_pair_of_input_iterators_tIiPlSB_NS8_12not_equal_toIlEEEEPiiNS8_4plusIiEEEE10hipError_tPvRmT1_T2_T3_mT4_P12ihipStream_tbEUlT_E1_NS1_11comp_targetILNS1_3genE8ELNS1_11target_archE1030ELNS1_3gpuE2ELNS1_3repE0EEENS1_30default_config_static_selectorELNS0_4arch9wavefront6targetE1EEEvSL_,"axG",@progbits,_ZN7rocprim17ROCPRIM_400000_NS6detail17trampoline_kernelINS0_14default_configENS1_22reduce_config_selectorIiEEZNS1_11reduce_implILb1ES3_N6thrust23THRUST_200600_302600_NS11hip_rocprim35transform_pair_of_input_iterators_tIiPlSB_NS8_12not_equal_toIlEEEEPiiNS8_4plusIiEEEE10hipError_tPvRmT1_T2_T3_mT4_P12ihipStream_tbEUlT_E1_NS1_11comp_targetILNS1_3genE8ELNS1_11target_archE1030ELNS1_3gpuE2ELNS1_3repE0EEENS1_30default_config_static_selectorELNS0_4arch9wavefront6targetE1EEEvSL_,comdat
	.protected	_ZN7rocprim17ROCPRIM_400000_NS6detail17trampoline_kernelINS0_14default_configENS1_22reduce_config_selectorIiEEZNS1_11reduce_implILb1ES3_N6thrust23THRUST_200600_302600_NS11hip_rocprim35transform_pair_of_input_iterators_tIiPlSB_NS8_12not_equal_toIlEEEEPiiNS8_4plusIiEEEE10hipError_tPvRmT1_T2_T3_mT4_P12ihipStream_tbEUlT_E1_NS1_11comp_targetILNS1_3genE8ELNS1_11target_archE1030ELNS1_3gpuE2ELNS1_3repE0EEENS1_30default_config_static_selectorELNS0_4arch9wavefront6targetE1EEEvSL_ ; -- Begin function _ZN7rocprim17ROCPRIM_400000_NS6detail17trampoline_kernelINS0_14default_configENS1_22reduce_config_selectorIiEEZNS1_11reduce_implILb1ES3_N6thrust23THRUST_200600_302600_NS11hip_rocprim35transform_pair_of_input_iterators_tIiPlSB_NS8_12not_equal_toIlEEEEPiiNS8_4plusIiEEEE10hipError_tPvRmT1_T2_T3_mT4_P12ihipStream_tbEUlT_E1_NS1_11comp_targetILNS1_3genE8ELNS1_11target_archE1030ELNS1_3gpuE2ELNS1_3repE0EEENS1_30default_config_static_selectorELNS0_4arch9wavefront6targetE1EEEvSL_
	.globl	_ZN7rocprim17ROCPRIM_400000_NS6detail17trampoline_kernelINS0_14default_configENS1_22reduce_config_selectorIiEEZNS1_11reduce_implILb1ES3_N6thrust23THRUST_200600_302600_NS11hip_rocprim35transform_pair_of_input_iterators_tIiPlSB_NS8_12not_equal_toIlEEEEPiiNS8_4plusIiEEEE10hipError_tPvRmT1_T2_T3_mT4_P12ihipStream_tbEUlT_E1_NS1_11comp_targetILNS1_3genE8ELNS1_11target_archE1030ELNS1_3gpuE2ELNS1_3repE0EEENS1_30default_config_static_selectorELNS0_4arch9wavefront6targetE1EEEvSL_
	.p2align	8
	.type	_ZN7rocprim17ROCPRIM_400000_NS6detail17trampoline_kernelINS0_14default_configENS1_22reduce_config_selectorIiEEZNS1_11reduce_implILb1ES3_N6thrust23THRUST_200600_302600_NS11hip_rocprim35transform_pair_of_input_iterators_tIiPlSB_NS8_12not_equal_toIlEEEEPiiNS8_4plusIiEEEE10hipError_tPvRmT1_T2_T3_mT4_P12ihipStream_tbEUlT_E1_NS1_11comp_targetILNS1_3genE8ELNS1_11target_archE1030ELNS1_3gpuE2ELNS1_3repE0EEENS1_30default_config_static_selectorELNS0_4arch9wavefront6targetE1EEEvSL_,@function
_ZN7rocprim17ROCPRIM_400000_NS6detail17trampoline_kernelINS0_14default_configENS1_22reduce_config_selectorIiEEZNS1_11reduce_implILb1ES3_N6thrust23THRUST_200600_302600_NS11hip_rocprim35transform_pair_of_input_iterators_tIiPlSB_NS8_12not_equal_toIlEEEEPiiNS8_4plusIiEEEE10hipError_tPvRmT1_T2_T3_mT4_P12ihipStream_tbEUlT_E1_NS1_11comp_targetILNS1_3genE8ELNS1_11target_archE1030ELNS1_3gpuE2ELNS1_3repE0EEENS1_30default_config_static_selectorELNS0_4arch9wavefront6targetE1EEEvSL_: ; @_ZN7rocprim17ROCPRIM_400000_NS6detail17trampoline_kernelINS0_14default_configENS1_22reduce_config_selectorIiEEZNS1_11reduce_implILb1ES3_N6thrust23THRUST_200600_302600_NS11hip_rocprim35transform_pair_of_input_iterators_tIiPlSB_NS8_12not_equal_toIlEEEEPiiNS8_4plusIiEEEE10hipError_tPvRmT1_T2_T3_mT4_P12ihipStream_tbEUlT_E1_NS1_11comp_targetILNS1_3genE8ELNS1_11target_archE1030ELNS1_3gpuE2ELNS1_3repE0EEENS1_30default_config_static_selectorELNS0_4arch9wavefront6targetE1EEEvSL_
; %bb.0:
	.section	.rodata,"a",@progbits
	.p2align	6, 0x0
	.amdhsa_kernel _ZN7rocprim17ROCPRIM_400000_NS6detail17trampoline_kernelINS0_14default_configENS1_22reduce_config_selectorIiEEZNS1_11reduce_implILb1ES3_N6thrust23THRUST_200600_302600_NS11hip_rocprim35transform_pair_of_input_iterators_tIiPlSB_NS8_12not_equal_toIlEEEEPiiNS8_4plusIiEEEE10hipError_tPvRmT1_T2_T3_mT4_P12ihipStream_tbEUlT_E1_NS1_11comp_targetILNS1_3genE8ELNS1_11target_archE1030ELNS1_3gpuE2ELNS1_3repE0EEENS1_30default_config_static_selectorELNS0_4arch9wavefront6targetE1EEEvSL_
		.amdhsa_group_segment_fixed_size 0
		.amdhsa_private_segment_fixed_size 0
		.amdhsa_kernarg_size 56
		.amdhsa_user_sgpr_count 6
		.amdhsa_user_sgpr_private_segment_buffer 1
		.amdhsa_user_sgpr_dispatch_ptr 0
		.amdhsa_user_sgpr_queue_ptr 0
		.amdhsa_user_sgpr_kernarg_segment_ptr 1
		.amdhsa_user_sgpr_dispatch_id 0
		.amdhsa_user_sgpr_flat_scratch_init 0
		.amdhsa_user_sgpr_private_segment_size 0
		.amdhsa_uses_dynamic_stack 0
		.amdhsa_system_sgpr_private_segment_wavefront_offset 0
		.amdhsa_system_sgpr_workgroup_id_x 1
		.amdhsa_system_sgpr_workgroup_id_y 0
		.amdhsa_system_sgpr_workgroup_id_z 0
		.amdhsa_system_sgpr_workgroup_info 0
		.amdhsa_system_vgpr_workitem_id 0
		.amdhsa_next_free_vgpr 1
		.amdhsa_next_free_sgpr 0
		.amdhsa_reserve_vcc 0
		.amdhsa_reserve_flat_scratch 0
		.amdhsa_float_round_mode_32 0
		.amdhsa_float_round_mode_16_64 0
		.amdhsa_float_denorm_mode_32 3
		.amdhsa_float_denorm_mode_16_64 3
		.amdhsa_dx10_clamp 1
		.amdhsa_ieee_mode 1
		.amdhsa_fp16_overflow 0
		.amdhsa_exception_fp_ieee_invalid_op 0
		.amdhsa_exception_fp_denorm_src 0
		.amdhsa_exception_fp_ieee_div_zero 0
		.amdhsa_exception_fp_ieee_overflow 0
		.amdhsa_exception_fp_ieee_underflow 0
		.amdhsa_exception_fp_ieee_inexact 0
		.amdhsa_exception_int_div_zero 0
	.end_amdhsa_kernel
	.section	.text._ZN7rocprim17ROCPRIM_400000_NS6detail17trampoline_kernelINS0_14default_configENS1_22reduce_config_selectorIiEEZNS1_11reduce_implILb1ES3_N6thrust23THRUST_200600_302600_NS11hip_rocprim35transform_pair_of_input_iterators_tIiPlSB_NS8_12not_equal_toIlEEEEPiiNS8_4plusIiEEEE10hipError_tPvRmT1_T2_T3_mT4_P12ihipStream_tbEUlT_E1_NS1_11comp_targetILNS1_3genE8ELNS1_11target_archE1030ELNS1_3gpuE2ELNS1_3repE0EEENS1_30default_config_static_selectorELNS0_4arch9wavefront6targetE1EEEvSL_,"axG",@progbits,_ZN7rocprim17ROCPRIM_400000_NS6detail17trampoline_kernelINS0_14default_configENS1_22reduce_config_selectorIiEEZNS1_11reduce_implILb1ES3_N6thrust23THRUST_200600_302600_NS11hip_rocprim35transform_pair_of_input_iterators_tIiPlSB_NS8_12not_equal_toIlEEEEPiiNS8_4plusIiEEEE10hipError_tPvRmT1_T2_T3_mT4_P12ihipStream_tbEUlT_E1_NS1_11comp_targetILNS1_3genE8ELNS1_11target_archE1030ELNS1_3gpuE2ELNS1_3repE0EEENS1_30default_config_static_selectorELNS0_4arch9wavefront6targetE1EEEvSL_,comdat
.Lfunc_end1203:
	.size	_ZN7rocprim17ROCPRIM_400000_NS6detail17trampoline_kernelINS0_14default_configENS1_22reduce_config_selectorIiEEZNS1_11reduce_implILb1ES3_N6thrust23THRUST_200600_302600_NS11hip_rocprim35transform_pair_of_input_iterators_tIiPlSB_NS8_12not_equal_toIlEEEEPiiNS8_4plusIiEEEE10hipError_tPvRmT1_T2_T3_mT4_P12ihipStream_tbEUlT_E1_NS1_11comp_targetILNS1_3genE8ELNS1_11target_archE1030ELNS1_3gpuE2ELNS1_3repE0EEENS1_30default_config_static_selectorELNS0_4arch9wavefront6targetE1EEEvSL_, .Lfunc_end1203-_ZN7rocprim17ROCPRIM_400000_NS6detail17trampoline_kernelINS0_14default_configENS1_22reduce_config_selectorIiEEZNS1_11reduce_implILb1ES3_N6thrust23THRUST_200600_302600_NS11hip_rocprim35transform_pair_of_input_iterators_tIiPlSB_NS8_12not_equal_toIlEEEEPiiNS8_4plusIiEEEE10hipError_tPvRmT1_T2_T3_mT4_P12ihipStream_tbEUlT_E1_NS1_11comp_targetILNS1_3genE8ELNS1_11target_archE1030ELNS1_3gpuE2ELNS1_3repE0EEENS1_30default_config_static_selectorELNS0_4arch9wavefront6targetE1EEEvSL_
                                        ; -- End function
	.set _ZN7rocprim17ROCPRIM_400000_NS6detail17trampoline_kernelINS0_14default_configENS1_22reduce_config_selectorIiEEZNS1_11reduce_implILb1ES3_N6thrust23THRUST_200600_302600_NS11hip_rocprim35transform_pair_of_input_iterators_tIiPlSB_NS8_12not_equal_toIlEEEEPiiNS8_4plusIiEEEE10hipError_tPvRmT1_T2_T3_mT4_P12ihipStream_tbEUlT_E1_NS1_11comp_targetILNS1_3genE8ELNS1_11target_archE1030ELNS1_3gpuE2ELNS1_3repE0EEENS1_30default_config_static_selectorELNS0_4arch9wavefront6targetE1EEEvSL_.num_vgpr, 0
	.set _ZN7rocprim17ROCPRIM_400000_NS6detail17trampoline_kernelINS0_14default_configENS1_22reduce_config_selectorIiEEZNS1_11reduce_implILb1ES3_N6thrust23THRUST_200600_302600_NS11hip_rocprim35transform_pair_of_input_iterators_tIiPlSB_NS8_12not_equal_toIlEEEEPiiNS8_4plusIiEEEE10hipError_tPvRmT1_T2_T3_mT4_P12ihipStream_tbEUlT_E1_NS1_11comp_targetILNS1_3genE8ELNS1_11target_archE1030ELNS1_3gpuE2ELNS1_3repE0EEENS1_30default_config_static_selectorELNS0_4arch9wavefront6targetE1EEEvSL_.num_agpr, 0
	.set _ZN7rocprim17ROCPRIM_400000_NS6detail17trampoline_kernelINS0_14default_configENS1_22reduce_config_selectorIiEEZNS1_11reduce_implILb1ES3_N6thrust23THRUST_200600_302600_NS11hip_rocprim35transform_pair_of_input_iterators_tIiPlSB_NS8_12not_equal_toIlEEEEPiiNS8_4plusIiEEEE10hipError_tPvRmT1_T2_T3_mT4_P12ihipStream_tbEUlT_E1_NS1_11comp_targetILNS1_3genE8ELNS1_11target_archE1030ELNS1_3gpuE2ELNS1_3repE0EEENS1_30default_config_static_selectorELNS0_4arch9wavefront6targetE1EEEvSL_.numbered_sgpr, 0
	.set _ZN7rocprim17ROCPRIM_400000_NS6detail17trampoline_kernelINS0_14default_configENS1_22reduce_config_selectorIiEEZNS1_11reduce_implILb1ES3_N6thrust23THRUST_200600_302600_NS11hip_rocprim35transform_pair_of_input_iterators_tIiPlSB_NS8_12not_equal_toIlEEEEPiiNS8_4plusIiEEEE10hipError_tPvRmT1_T2_T3_mT4_P12ihipStream_tbEUlT_E1_NS1_11comp_targetILNS1_3genE8ELNS1_11target_archE1030ELNS1_3gpuE2ELNS1_3repE0EEENS1_30default_config_static_selectorELNS0_4arch9wavefront6targetE1EEEvSL_.num_named_barrier, 0
	.set _ZN7rocprim17ROCPRIM_400000_NS6detail17trampoline_kernelINS0_14default_configENS1_22reduce_config_selectorIiEEZNS1_11reduce_implILb1ES3_N6thrust23THRUST_200600_302600_NS11hip_rocprim35transform_pair_of_input_iterators_tIiPlSB_NS8_12not_equal_toIlEEEEPiiNS8_4plusIiEEEE10hipError_tPvRmT1_T2_T3_mT4_P12ihipStream_tbEUlT_E1_NS1_11comp_targetILNS1_3genE8ELNS1_11target_archE1030ELNS1_3gpuE2ELNS1_3repE0EEENS1_30default_config_static_selectorELNS0_4arch9wavefront6targetE1EEEvSL_.private_seg_size, 0
	.set _ZN7rocprim17ROCPRIM_400000_NS6detail17trampoline_kernelINS0_14default_configENS1_22reduce_config_selectorIiEEZNS1_11reduce_implILb1ES3_N6thrust23THRUST_200600_302600_NS11hip_rocprim35transform_pair_of_input_iterators_tIiPlSB_NS8_12not_equal_toIlEEEEPiiNS8_4plusIiEEEE10hipError_tPvRmT1_T2_T3_mT4_P12ihipStream_tbEUlT_E1_NS1_11comp_targetILNS1_3genE8ELNS1_11target_archE1030ELNS1_3gpuE2ELNS1_3repE0EEENS1_30default_config_static_selectorELNS0_4arch9wavefront6targetE1EEEvSL_.uses_vcc, 0
	.set _ZN7rocprim17ROCPRIM_400000_NS6detail17trampoline_kernelINS0_14default_configENS1_22reduce_config_selectorIiEEZNS1_11reduce_implILb1ES3_N6thrust23THRUST_200600_302600_NS11hip_rocprim35transform_pair_of_input_iterators_tIiPlSB_NS8_12not_equal_toIlEEEEPiiNS8_4plusIiEEEE10hipError_tPvRmT1_T2_T3_mT4_P12ihipStream_tbEUlT_E1_NS1_11comp_targetILNS1_3genE8ELNS1_11target_archE1030ELNS1_3gpuE2ELNS1_3repE0EEENS1_30default_config_static_selectorELNS0_4arch9wavefront6targetE1EEEvSL_.uses_flat_scratch, 0
	.set _ZN7rocprim17ROCPRIM_400000_NS6detail17trampoline_kernelINS0_14default_configENS1_22reduce_config_selectorIiEEZNS1_11reduce_implILb1ES3_N6thrust23THRUST_200600_302600_NS11hip_rocprim35transform_pair_of_input_iterators_tIiPlSB_NS8_12not_equal_toIlEEEEPiiNS8_4plusIiEEEE10hipError_tPvRmT1_T2_T3_mT4_P12ihipStream_tbEUlT_E1_NS1_11comp_targetILNS1_3genE8ELNS1_11target_archE1030ELNS1_3gpuE2ELNS1_3repE0EEENS1_30default_config_static_selectorELNS0_4arch9wavefront6targetE1EEEvSL_.has_dyn_sized_stack, 0
	.set _ZN7rocprim17ROCPRIM_400000_NS6detail17trampoline_kernelINS0_14default_configENS1_22reduce_config_selectorIiEEZNS1_11reduce_implILb1ES3_N6thrust23THRUST_200600_302600_NS11hip_rocprim35transform_pair_of_input_iterators_tIiPlSB_NS8_12not_equal_toIlEEEEPiiNS8_4plusIiEEEE10hipError_tPvRmT1_T2_T3_mT4_P12ihipStream_tbEUlT_E1_NS1_11comp_targetILNS1_3genE8ELNS1_11target_archE1030ELNS1_3gpuE2ELNS1_3repE0EEENS1_30default_config_static_selectorELNS0_4arch9wavefront6targetE1EEEvSL_.has_recursion, 0
	.set _ZN7rocprim17ROCPRIM_400000_NS6detail17trampoline_kernelINS0_14default_configENS1_22reduce_config_selectorIiEEZNS1_11reduce_implILb1ES3_N6thrust23THRUST_200600_302600_NS11hip_rocprim35transform_pair_of_input_iterators_tIiPlSB_NS8_12not_equal_toIlEEEEPiiNS8_4plusIiEEEE10hipError_tPvRmT1_T2_T3_mT4_P12ihipStream_tbEUlT_E1_NS1_11comp_targetILNS1_3genE8ELNS1_11target_archE1030ELNS1_3gpuE2ELNS1_3repE0EEENS1_30default_config_static_selectorELNS0_4arch9wavefront6targetE1EEEvSL_.has_indirect_call, 0
	.section	.AMDGPU.csdata,"",@progbits
; Kernel info:
; codeLenInByte = 0
; TotalNumSgprs: 4
; NumVgprs: 0
; ScratchSize: 0
; MemoryBound: 0
; FloatMode: 240
; IeeeMode: 1
; LDSByteSize: 0 bytes/workgroup (compile time only)
; SGPRBlocks: 0
; VGPRBlocks: 0
; NumSGPRsForWavesPerEU: 4
; NumVGPRsForWavesPerEU: 1
; Occupancy: 10
; WaveLimiterHint : 0
; COMPUTE_PGM_RSRC2:SCRATCH_EN: 0
; COMPUTE_PGM_RSRC2:USER_SGPR: 6
; COMPUTE_PGM_RSRC2:TRAP_HANDLER: 0
; COMPUTE_PGM_RSRC2:TGID_X_EN: 1
; COMPUTE_PGM_RSRC2:TGID_Y_EN: 0
; COMPUTE_PGM_RSRC2:TGID_Z_EN: 0
; COMPUTE_PGM_RSRC2:TIDIG_COMP_CNT: 0
	.section	.text._ZN7rocprim17ROCPRIM_400000_NS6detail17trampoline_kernelINS0_14default_configENS1_29reduce_by_key_config_selectorIllN6thrust23THRUST_200600_302600_NS4plusIlEEEEZZNS1_33reduce_by_key_impl_wrapped_configILNS1_25lookback_scan_determinismE0ES3_S9_PlNS6_17constant_iteratorIiNS6_11use_defaultESE_EENS6_10device_ptrIlEESH_PmS8_NS6_8equal_toIlEEEE10hipError_tPvRmT2_T3_mT4_T5_T6_T7_T8_P12ihipStream_tbENKUlT_T0_E_clISt17integral_constantIbLb0EES12_EEDaSX_SY_EUlSX_E_NS1_11comp_targetILNS1_3genE0ELNS1_11target_archE4294967295ELNS1_3gpuE0ELNS1_3repE0EEENS1_30default_config_static_selectorELNS0_4arch9wavefront6targetE1EEEvT1_,"axG",@progbits,_ZN7rocprim17ROCPRIM_400000_NS6detail17trampoline_kernelINS0_14default_configENS1_29reduce_by_key_config_selectorIllN6thrust23THRUST_200600_302600_NS4plusIlEEEEZZNS1_33reduce_by_key_impl_wrapped_configILNS1_25lookback_scan_determinismE0ES3_S9_PlNS6_17constant_iteratorIiNS6_11use_defaultESE_EENS6_10device_ptrIlEESH_PmS8_NS6_8equal_toIlEEEE10hipError_tPvRmT2_T3_mT4_T5_T6_T7_T8_P12ihipStream_tbENKUlT_T0_E_clISt17integral_constantIbLb0EES12_EEDaSX_SY_EUlSX_E_NS1_11comp_targetILNS1_3genE0ELNS1_11target_archE4294967295ELNS1_3gpuE0ELNS1_3repE0EEENS1_30default_config_static_selectorELNS0_4arch9wavefront6targetE1EEEvT1_,comdat
	.protected	_ZN7rocprim17ROCPRIM_400000_NS6detail17trampoline_kernelINS0_14default_configENS1_29reduce_by_key_config_selectorIllN6thrust23THRUST_200600_302600_NS4plusIlEEEEZZNS1_33reduce_by_key_impl_wrapped_configILNS1_25lookback_scan_determinismE0ES3_S9_PlNS6_17constant_iteratorIiNS6_11use_defaultESE_EENS6_10device_ptrIlEESH_PmS8_NS6_8equal_toIlEEEE10hipError_tPvRmT2_T3_mT4_T5_T6_T7_T8_P12ihipStream_tbENKUlT_T0_E_clISt17integral_constantIbLb0EES12_EEDaSX_SY_EUlSX_E_NS1_11comp_targetILNS1_3genE0ELNS1_11target_archE4294967295ELNS1_3gpuE0ELNS1_3repE0EEENS1_30default_config_static_selectorELNS0_4arch9wavefront6targetE1EEEvT1_ ; -- Begin function _ZN7rocprim17ROCPRIM_400000_NS6detail17trampoline_kernelINS0_14default_configENS1_29reduce_by_key_config_selectorIllN6thrust23THRUST_200600_302600_NS4plusIlEEEEZZNS1_33reduce_by_key_impl_wrapped_configILNS1_25lookback_scan_determinismE0ES3_S9_PlNS6_17constant_iteratorIiNS6_11use_defaultESE_EENS6_10device_ptrIlEESH_PmS8_NS6_8equal_toIlEEEE10hipError_tPvRmT2_T3_mT4_T5_T6_T7_T8_P12ihipStream_tbENKUlT_T0_E_clISt17integral_constantIbLb0EES12_EEDaSX_SY_EUlSX_E_NS1_11comp_targetILNS1_3genE0ELNS1_11target_archE4294967295ELNS1_3gpuE0ELNS1_3repE0EEENS1_30default_config_static_selectorELNS0_4arch9wavefront6targetE1EEEvT1_
	.globl	_ZN7rocprim17ROCPRIM_400000_NS6detail17trampoline_kernelINS0_14default_configENS1_29reduce_by_key_config_selectorIllN6thrust23THRUST_200600_302600_NS4plusIlEEEEZZNS1_33reduce_by_key_impl_wrapped_configILNS1_25lookback_scan_determinismE0ES3_S9_PlNS6_17constant_iteratorIiNS6_11use_defaultESE_EENS6_10device_ptrIlEESH_PmS8_NS6_8equal_toIlEEEE10hipError_tPvRmT2_T3_mT4_T5_T6_T7_T8_P12ihipStream_tbENKUlT_T0_E_clISt17integral_constantIbLb0EES12_EEDaSX_SY_EUlSX_E_NS1_11comp_targetILNS1_3genE0ELNS1_11target_archE4294967295ELNS1_3gpuE0ELNS1_3repE0EEENS1_30default_config_static_selectorELNS0_4arch9wavefront6targetE1EEEvT1_
	.p2align	8
	.type	_ZN7rocprim17ROCPRIM_400000_NS6detail17trampoline_kernelINS0_14default_configENS1_29reduce_by_key_config_selectorIllN6thrust23THRUST_200600_302600_NS4plusIlEEEEZZNS1_33reduce_by_key_impl_wrapped_configILNS1_25lookback_scan_determinismE0ES3_S9_PlNS6_17constant_iteratorIiNS6_11use_defaultESE_EENS6_10device_ptrIlEESH_PmS8_NS6_8equal_toIlEEEE10hipError_tPvRmT2_T3_mT4_T5_T6_T7_T8_P12ihipStream_tbENKUlT_T0_E_clISt17integral_constantIbLb0EES12_EEDaSX_SY_EUlSX_E_NS1_11comp_targetILNS1_3genE0ELNS1_11target_archE4294967295ELNS1_3gpuE0ELNS1_3repE0EEENS1_30default_config_static_selectorELNS0_4arch9wavefront6targetE1EEEvT1_,@function
_ZN7rocprim17ROCPRIM_400000_NS6detail17trampoline_kernelINS0_14default_configENS1_29reduce_by_key_config_selectorIllN6thrust23THRUST_200600_302600_NS4plusIlEEEEZZNS1_33reduce_by_key_impl_wrapped_configILNS1_25lookback_scan_determinismE0ES3_S9_PlNS6_17constant_iteratorIiNS6_11use_defaultESE_EENS6_10device_ptrIlEESH_PmS8_NS6_8equal_toIlEEEE10hipError_tPvRmT2_T3_mT4_T5_T6_T7_T8_P12ihipStream_tbENKUlT_T0_E_clISt17integral_constantIbLb0EES12_EEDaSX_SY_EUlSX_E_NS1_11comp_targetILNS1_3genE0ELNS1_11target_archE4294967295ELNS1_3gpuE0ELNS1_3repE0EEENS1_30default_config_static_selectorELNS0_4arch9wavefront6targetE1EEEvT1_: ; @_ZN7rocprim17ROCPRIM_400000_NS6detail17trampoline_kernelINS0_14default_configENS1_29reduce_by_key_config_selectorIllN6thrust23THRUST_200600_302600_NS4plusIlEEEEZZNS1_33reduce_by_key_impl_wrapped_configILNS1_25lookback_scan_determinismE0ES3_S9_PlNS6_17constant_iteratorIiNS6_11use_defaultESE_EENS6_10device_ptrIlEESH_PmS8_NS6_8equal_toIlEEEE10hipError_tPvRmT2_T3_mT4_T5_T6_T7_T8_P12ihipStream_tbENKUlT_T0_E_clISt17integral_constantIbLb0EES12_EEDaSX_SY_EUlSX_E_NS1_11comp_targetILNS1_3genE0ELNS1_11target_archE4294967295ELNS1_3gpuE0ELNS1_3repE0EEENS1_30default_config_static_selectorELNS0_4arch9wavefront6targetE1EEEvT1_
; %bb.0:
	.section	.rodata,"a",@progbits
	.p2align	6, 0x0
	.amdhsa_kernel _ZN7rocprim17ROCPRIM_400000_NS6detail17trampoline_kernelINS0_14default_configENS1_29reduce_by_key_config_selectorIllN6thrust23THRUST_200600_302600_NS4plusIlEEEEZZNS1_33reduce_by_key_impl_wrapped_configILNS1_25lookback_scan_determinismE0ES3_S9_PlNS6_17constant_iteratorIiNS6_11use_defaultESE_EENS6_10device_ptrIlEESH_PmS8_NS6_8equal_toIlEEEE10hipError_tPvRmT2_T3_mT4_T5_T6_T7_T8_P12ihipStream_tbENKUlT_T0_E_clISt17integral_constantIbLb0EES12_EEDaSX_SY_EUlSX_E_NS1_11comp_targetILNS1_3genE0ELNS1_11target_archE4294967295ELNS1_3gpuE0ELNS1_3repE0EEENS1_30default_config_static_selectorELNS0_4arch9wavefront6targetE1EEEvT1_
		.amdhsa_group_segment_fixed_size 0
		.amdhsa_private_segment_fixed_size 0
		.amdhsa_kernarg_size 144
		.amdhsa_user_sgpr_count 6
		.amdhsa_user_sgpr_private_segment_buffer 1
		.amdhsa_user_sgpr_dispatch_ptr 0
		.amdhsa_user_sgpr_queue_ptr 0
		.amdhsa_user_sgpr_kernarg_segment_ptr 1
		.amdhsa_user_sgpr_dispatch_id 0
		.amdhsa_user_sgpr_flat_scratch_init 0
		.amdhsa_user_sgpr_private_segment_size 0
		.amdhsa_uses_dynamic_stack 0
		.amdhsa_system_sgpr_private_segment_wavefront_offset 0
		.amdhsa_system_sgpr_workgroup_id_x 1
		.amdhsa_system_sgpr_workgroup_id_y 0
		.amdhsa_system_sgpr_workgroup_id_z 0
		.amdhsa_system_sgpr_workgroup_info 0
		.amdhsa_system_vgpr_workitem_id 0
		.amdhsa_next_free_vgpr 1
		.amdhsa_next_free_sgpr 0
		.amdhsa_reserve_vcc 0
		.amdhsa_reserve_flat_scratch 0
		.amdhsa_float_round_mode_32 0
		.amdhsa_float_round_mode_16_64 0
		.amdhsa_float_denorm_mode_32 3
		.amdhsa_float_denorm_mode_16_64 3
		.amdhsa_dx10_clamp 1
		.amdhsa_ieee_mode 1
		.amdhsa_fp16_overflow 0
		.amdhsa_exception_fp_ieee_invalid_op 0
		.amdhsa_exception_fp_denorm_src 0
		.amdhsa_exception_fp_ieee_div_zero 0
		.amdhsa_exception_fp_ieee_overflow 0
		.amdhsa_exception_fp_ieee_underflow 0
		.amdhsa_exception_fp_ieee_inexact 0
		.amdhsa_exception_int_div_zero 0
	.end_amdhsa_kernel
	.section	.text._ZN7rocprim17ROCPRIM_400000_NS6detail17trampoline_kernelINS0_14default_configENS1_29reduce_by_key_config_selectorIllN6thrust23THRUST_200600_302600_NS4plusIlEEEEZZNS1_33reduce_by_key_impl_wrapped_configILNS1_25lookback_scan_determinismE0ES3_S9_PlNS6_17constant_iteratorIiNS6_11use_defaultESE_EENS6_10device_ptrIlEESH_PmS8_NS6_8equal_toIlEEEE10hipError_tPvRmT2_T3_mT4_T5_T6_T7_T8_P12ihipStream_tbENKUlT_T0_E_clISt17integral_constantIbLb0EES12_EEDaSX_SY_EUlSX_E_NS1_11comp_targetILNS1_3genE0ELNS1_11target_archE4294967295ELNS1_3gpuE0ELNS1_3repE0EEENS1_30default_config_static_selectorELNS0_4arch9wavefront6targetE1EEEvT1_,"axG",@progbits,_ZN7rocprim17ROCPRIM_400000_NS6detail17trampoline_kernelINS0_14default_configENS1_29reduce_by_key_config_selectorIllN6thrust23THRUST_200600_302600_NS4plusIlEEEEZZNS1_33reduce_by_key_impl_wrapped_configILNS1_25lookback_scan_determinismE0ES3_S9_PlNS6_17constant_iteratorIiNS6_11use_defaultESE_EENS6_10device_ptrIlEESH_PmS8_NS6_8equal_toIlEEEE10hipError_tPvRmT2_T3_mT4_T5_T6_T7_T8_P12ihipStream_tbENKUlT_T0_E_clISt17integral_constantIbLb0EES12_EEDaSX_SY_EUlSX_E_NS1_11comp_targetILNS1_3genE0ELNS1_11target_archE4294967295ELNS1_3gpuE0ELNS1_3repE0EEENS1_30default_config_static_selectorELNS0_4arch9wavefront6targetE1EEEvT1_,comdat
.Lfunc_end1204:
	.size	_ZN7rocprim17ROCPRIM_400000_NS6detail17trampoline_kernelINS0_14default_configENS1_29reduce_by_key_config_selectorIllN6thrust23THRUST_200600_302600_NS4plusIlEEEEZZNS1_33reduce_by_key_impl_wrapped_configILNS1_25lookback_scan_determinismE0ES3_S9_PlNS6_17constant_iteratorIiNS6_11use_defaultESE_EENS6_10device_ptrIlEESH_PmS8_NS6_8equal_toIlEEEE10hipError_tPvRmT2_T3_mT4_T5_T6_T7_T8_P12ihipStream_tbENKUlT_T0_E_clISt17integral_constantIbLb0EES12_EEDaSX_SY_EUlSX_E_NS1_11comp_targetILNS1_3genE0ELNS1_11target_archE4294967295ELNS1_3gpuE0ELNS1_3repE0EEENS1_30default_config_static_selectorELNS0_4arch9wavefront6targetE1EEEvT1_, .Lfunc_end1204-_ZN7rocprim17ROCPRIM_400000_NS6detail17trampoline_kernelINS0_14default_configENS1_29reduce_by_key_config_selectorIllN6thrust23THRUST_200600_302600_NS4plusIlEEEEZZNS1_33reduce_by_key_impl_wrapped_configILNS1_25lookback_scan_determinismE0ES3_S9_PlNS6_17constant_iteratorIiNS6_11use_defaultESE_EENS6_10device_ptrIlEESH_PmS8_NS6_8equal_toIlEEEE10hipError_tPvRmT2_T3_mT4_T5_T6_T7_T8_P12ihipStream_tbENKUlT_T0_E_clISt17integral_constantIbLb0EES12_EEDaSX_SY_EUlSX_E_NS1_11comp_targetILNS1_3genE0ELNS1_11target_archE4294967295ELNS1_3gpuE0ELNS1_3repE0EEENS1_30default_config_static_selectorELNS0_4arch9wavefront6targetE1EEEvT1_
                                        ; -- End function
	.set _ZN7rocprim17ROCPRIM_400000_NS6detail17trampoline_kernelINS0_14default_configENS1_29reduce_by_key_config_selectorIllN6thrust23THRUST_200600_302600_NS4plusIlEEEEZZNS1_33reduce_by_key_impl_wrapped_configILNS1_25lookback_scan_determinismE0ES3_S9_PlNS6_17constant_iteratorIiNS6_11use_defaultESE_EENS6_10device_ptrIlEESH_PmS8_NS6_8equal_toIlEEEE10hipError_tPvRmT2_T3_mT4_T5_T6_T7_T8_P12ihipStream_tbENKUlT_T0_E_clISt17integral_constantIbLb0EES12_EEDaSX_SY_EUlSX_E_NS1_11comp_targetILNS1_3genE0ELNS1_11target_archE4294967295ELNS1_3gpuE0ELNS1_3repE0EEENS1_30default_config_static_selectorELNS0_4arch9wavefront6targetE1EEEvT1_.num_vgpr, 0
	.set _ZN7rocprim17ROCPRIM_400000_NS6detail17trampoline_kernelINS0_14default_configENS1_29reduce_by_key_config_selectorIllN6thrust23THRUST_200600_302600_NS4plusIlEEEEZZNS1_33reduce_by_key_impl_wrapped_configILNS1_25lookback_scan_determinismE0ES3_S9_PlNS6_17constant_iteratorIiNS6_11use_defaultESE_EENS6_10device_ptrIlEESH_PmS8_NS6_8equal_toIlEEEE10hipError_tPvRmT2_T3_mT4_T5_T6_T7_T8_P12ihipStream_tbENKUlT_T0_E_clISt17integral_constantIbLb0EES12_EEDaSX_SY_EUlSX_E_NS1_11comp_targetILNS1_3genE0ELNS1_11target_archE4294967295ELNS1_3gpuE0ELNS1_3repE0EEENS1_30default_config_static_selectorELNS0_4arch9wavefront6targetE1EEEvT1_.num_agpr, 0
	.set _ZN7rocprim17ROCPRIM_400000_NS6detail17trampoline_kernelINS0_14default_configENS1_29reduce_by_key_config_selectorIllN6thrust23THRUST_200600_302600_NS4plusIlEEEEZZNS1_33reduce_by_key_impl_wrapped_configILNS1_25lookback_scan_determinismE0ES3_S9_PlNS6_17constant_iteratorIiNS6_11use_defaultESE_EENS6_10device_ptrIlEESH_PmS8_NS6_8equal_toIlEEEE10hipError_tPvRmT2_T3_mT4_T5_T6_T7_T8_P12ihipStream_tbENKUlT_T0_E_clISt17integral_constantIbLb0EES12_EEDaSX_SY_EUlSX_E_NS1_11comp_targetILNS1_3genE0ELNS1_11target_archE4294967295ELNS1_3gpuE0ELNS1_3repE0EEENS1_30default_config_static_selectorELNS0_4arch9wavefront6targetE1EEEvT1_.numbered_sgpr, 0
	.set _ZN7rocprim17ROCPRIM_400000_NS6detail17trampoline_kernelINS0_14default_configENS1_29reduce_by_key_config_selectorIllN6thrust23THRUST_200600_302600_NS4plusIlEEEEZZNS1_33reduce_by_key_impl_wrapped_configILNS1_25lookback_scan_determinismE0ES3_S9_PlNS6_17constant_iteratorIiNS6_11use_defaultESE_EENS6_10device_ptrIlEESH_PmS8_NS6_8equal_toIlEEEE10hipError_tPvRmT2_T3_mT4_T5_T6_T7_T8_P12ihipStream_tbENKUlT_T0_E_clISt17integral_constantIbLb0EES12_EEDaSX_SY_EUlSX_E_NS1_11comp_targetILNS1_3genE0ELNS1_11target_archE4294967295ELNS1_3gpuE0ELNS1_3repE0EEENS1_30default_config_static_selectorELNS0_4arch9wavefront6targetE1EEEvT1_.num_named_barrier, 0
	.set _ZN7rocprim17ROCPRIM_400000_NS6detail17trampoline_kernelINS0_14default_configENS1_29reduce_by_key_config_selectorIllN6thrust23THRUST_200600_302600_NS4plusIlEEEEZZNS1_33reduce_by_key_impl_wrapped_configILNS1_25lookback_scan_determinismE0ES3_S9_PlNS6_17constant_iteratorIiNS6_11use_defaultESE_EENS6_10device_ptrIlEESH_PmS8_NS6_8equal_toIlEEEE10hipError_tPvRmT2_T3_mT4_T5_T6_T7_T8_P12ihipStream_tbENKUlT_T0_E_clISt17integral_constantIbLb0EES12_EEDaSX_SY_EUlSX_E_NS1_11comp_targetILNS1_3genE0ELNS1_11target_archE4294967295ELNS1_3gpuE0ELNS1_3repE0EEENS1_30default_config_static_selectorELNS0_4arch9wavefront6targetE1EEEvT1_.private_seg_size, 0
	.set _ZN7rocprim17ROCPRIM_400000_NS6detail17trampoline_kernelINS0_14default_configENS1_29reduce_by_key_config_selectorIllN6thrust23THRUST_200600_302600_NS4plusIlEEEEZZNS1_33reduce_by_key_impl_wrapped_configILNS1_25lookback_scan_determinismE0ES3_S9_PlNS6_17constant_iteratorIiNS6_11use_defaultESE_EENS6_10device_ptrIlEESH_PmS8_NS6_8equal_toIlEEEE10hipError_tPvRmT2_T3_mT4_T5_T6_T7_T8_P12ihipStream_tbENKUlT_T0_E_clISt17integral_constantIbLb0EES12_EEDaSX_SY_EUlSX_E_NS1_11comp_targetILNS1_3genE0ELNS1_11target_archE4294967295ELNS1_3gpuE0ELNS1_3repE0EEENS1_30default_config_static_selectorELNS0_4arch9wavefront6targetE1EEEvT1_.uses_vcc, 0
	.set _ZN7rocprim17ROCPRIM_400000_NS6detail17trampoline_kernelINS0_14default_configENS1_29reduce_by_key_config_selectorIllN6thrust23THRUST_200600_302600_NS4plusIlEEEEZZNS1_33reduce_by_key_impl_wrapped_configILNS1_25lookback_scan_determinismE0ES3_S9_PlNS6_17constant_iteratorIiNS6_11use_defaultESE_EENS6_10device_ptrIlEESH_PmS8_NS6_8equal_toIlEEEE10hipError_tPvRmT2_T3_mT4_T5_T6_T7_T8_P12ihipStream_tbENKUlT_T0_E_clISt17integral_constantIbLb0EES12_EEDaSX_SY_EUlSX_E_NS1_11comp_targetILNS1_3genE0ELNS1_11target_archE4294967295ELNS1_3gpuE0ELNS1_3repE0EEENS1_30default_config_static_selectorELNS0_4arch9wavefront6targetE1EEEvT1_.uses_flat_scratch, 0
	.set _ZN7rocprim17ROCPRIM_400000_NS6detail17trampoline_kernelINS0_14default_configENS1_29reduce_by_key_config_selectorIllN6thrust23THRUST_200600_302600_NS4plusIlEEEEZZNS1_33reduce_by_key_impl_wrapped_configILNS1_25lookback_scan_determinismE0ES3_S9_PlNS6_17constant_iteratorIiNS6_11use_defaultESE_EENS6_10device_ptrIlEESH_PmS8_NS6_8equal_toIlEEEE10hipError_tPvRmT2_T3_mT4_T5_T6_T7_T8_P12ihipStream_tbENKUlT_T0_E_clISt17integral_constantIbLb0EES12_EEDaSX_SY_EUlSX_E_NS1_11comp_targetILNS1_3genE0ELNS1_11target_archE4294967295ELNS1_3gpuE0ELNS1_3repE0EEENS1_30default_config_static_selectorELNS0_4arch9wavefront6targetE1EEEvT1_.has_dyn_sized_stack, 0
	.set _ZN7rocprim17ROCPRIM_400000_NS6detail17trampoline_kernelINS0_14default_configENS1_29reduce_by_key_config_selectorIllN6thrust23THRUST_200600_302600_NS4plusIlEEEEZZNS1_33reduce_by_key_impl_wrapped_configILNS1_25lookback_scan_determinismE0ES3_S9_PlNS6_17constant_iteratorIiNS6_11use_defaultESE_EENS6_10device_ptrIlEESH_PmS8_NS6_8equal_toIlEEEE10hipError_tPvRmT2_T3_mT4_T5_T6_T7_T8_P12ihipStream_tbENKUlT_T0_E_clISt17integral_constantIbLb0EES12_EEDaSX_SY_EUlSX_E_NS1_11comp_targetILNS1_3genE0ELNS1_11target_archE4294967295ELNS1_3gpuE0ELNS1_3repE0EEENS1_30default_config_static_selectorELNS0_4arch9wavefront6targetE1EEEvT1_.has_recursion, 0
	.set _ZN7rocprim17ROCPRIM_400000_NS6detail17trampoline_kernelINS0_14default_configENS1_29reduce_by_key_config_selectorIllN6thrust23THRUST_200600_302600_NS4plusIlEEEEZZNS1_33reduce_by_key_impl_wrapped_configILNS1_25lookback_scan_determinismE0ES3_S9_PlNS6_17constant_iteratorIiNS6_11use_defaultESE_EENS6_10device_ptrIlEESH_PmS8_NS6_8equal_toIlEEEE10hipError_tPvRmT2_T3_mT4_T5_T6_T7_T8_P12ihipStream_tbENKUlT_T0_E_clISt17integral_constantIbLb0EES12_EEDaSX_SY_EUlSX_E_NS1_11comp_targetILNS1_3genE0ELNS1_11target_archE4294967295ELNS1_3gpuE0ELNS1_3repE0EEENS1_30default_config_static_selectorELNS0_4arch9wavefront6targetE1EEEvT1_.has_indirect_call, 0
	.section	.AMDGPU.csdata,"",@progbits
; Kernel info:
; codeLenInByte = 0
; TotalNumSgprs: 4
; NumVgprs: 0
; ScratchSize: 0
; MemoryBound: 0
; FloatMode: 240
; IeeeMode: 1
; LDSByteSize: 0 bytes/workgroup (compile time only)
; SGPRBlocks: 0
; VGPRBlocks: 0
; NumSGPRsForWavesPerEU: 4
; NumVGPRsForWavesPerEU: 1
; Occupancy: 10
; WaveLimiterHint : 0
; COMPUTE_PGM_RSRC2:SCRATCH_EN: 0
; COMPUTE_PGM_RSRC2:USER_SGPR: 6
; COMPUTE_PGM_RSRC2:TRAP_HANDLER: 0
; COMPUTE_PGM_RSRC2:TGID_X_EN: 1
; COMPUTE_PGM_RSRC2:TGID_Y_EN: 0
; COMPUTE_PGM_RSRC2:TGID_Z_EN: 0
; COMPUTE_PGM_RSRC2:TIDIG_COMP_CNT: 0
	.section	.text._ZN7rocprim17ROCPRIM_400000_NS6detail17trampoline_kernelINS0_14default_configENS1_29reduce_by_key_config_selectorIllN6thrust23THRUST_200600_302600_NS4plusIlEEEEZZNS1_33reduce_by_key_impl_wrapped_configILNS1_25lookback_scan_determinismE0ES3_S9_PlNS6_17constant_iteratorIiNS6_11use_defaultESE_EENS6_10device_ptrIlEESH_PmS8_NS6_8equal_toIlEEEE10hipError_tPvRmT2_T3_mT4_T5_T6_T7_T8_P12ihipStream_tbENKUlT_T0_E_clISt17integral_constantIbLb0EES12_EEDaSX_SY_EUlSX_E_NS1_11comp_targetILNS1_3genE5ELNS1_11target_archE942ELNS1_3gpuE9ELNS1_3repE0EEENS1_30default_config_static_selectorELNS0_4arch9wavefront6targetE1EEEvT1_,"axG",@progbits,_ZN7rocprim17ROCPRIM_400000_NS6detail17trampoline_kernelINS0_14default_configENS1_29reduce_by_key_config_selectorIllN6thrust23THRUST_200600_302600_NS4plusIlEEEEZZNS1_33reduce_by_key_impl_wrapped_configILNS1_25lookback_scan_determinismE0ES3_S9_PlNS6_17constant_iteratorIiNS6_11use_defaultESE_EENS6_10device_ptrIlEESH_PmS8_NS6_8equal_toIlEEEE10hipError_tPvRmT2_T3_mT4_T5_T6_T7_T8_P12ihipStream_tbENKUlT_T0_E_clISt17integral_constantIbLb0EES12_EEDaSX_SY_EUlSX_E_NS1_11comp_targetILNS1_3genE5ELNS1_11target_archE942ELNS1_3gpuE9ELNS1_3repE0EEENS1_30default_config_static_selectorELNS0_4arch9wavefront6targetE1EEEvT1_,comdat
	.protected	_ZN7rocprim17ROCPRIM_400000_NS6detail17trampoline_kernelINS0_14default_configENS1_29reduce_by_key_config_selectorIllN6thrust23THRUST_200600_302600_NS4plusIlEEEEZZNS1_33reduce_by_key_impl_wrapped_configILNS1_25lookback_scan_determinismE0ES3_S9_PlNS6_17constant_iteratorIiNS6_11use_defaultESE_EENS6_10device_ptrIlEESH_PmS8_NS6_8equal_toIlEEEE10hipError_tPvRmT2_T3_mT4_T5_T6_T7_T8_P12ihipStream_tbENKUlT_T0_E_clISt17integral_constantIbLb0EES12_EEDaSX_SY_EUlSX_E_NS1_11comp_targetILNS1_3genE5ELNS1_11target_archE942ELNS1_3gpuE9ELNS1_3repE0EEENS1_30default_config_static_selectorELNS0_4arch9wavefront6targetE1EEEvT1_ ; -- Begin function _ZN7rocprim17ROCPRIM_400000_NS6detail17trampoline_kernelINS0_14default_configENS1_29reduce_by_key_config_selectorIllN6thrust23THRUST_200600_302600_NS4plusIlEEEEZZNS1_33reduce_by_key_impl_wrapped_configILNS1_25lookback_scan_determinismE0ES3_S9_PlNS6_17constant_iteratorIiNS6_11use_defaultESE_EENS6_10device_ptrIlEESH_PmS8_NS6_8equal_toIlEEEE10hipError_tPvRmT2_T3_mT4_T5_T6_T7_T8_P12ihipStream_tbENKUlT_T0_E_clISt17integral_constantIbLb0EES12_EEDaSX_SY_EUlSX_E_NS1_11comp_targetILNS1_3genE5ELNS1_11target_archE942ELNS1_3gpuE9ELNS1_3repE0EEENS1_30default_config_static_selectorELNS0_4arch9wavefront6targetE1EEEvT1_
	.globl	_ZN7rocprim17ROCPRIM_400000_NS6detail17trampoline_kernelINS0_14default_configENS1_29reduce_by_key_config_selectorIllN6thrust23THRUST_200600_302600_NS4plusIlEEEEZZNS1_33reduce_by_key_impl_wrapped_configILNS1_25lookback_scan_determinismE0ES3_S9_PlNS6_17constant_iteratorIiNS6_11use_defaultESE_EENS6_10device_ptrIlEESH_PmS8_NS6_8equal_toIlEEEE10hipError_tPvRmT2_T3_mT4_T5_T6_T7_T8_P12ihipStream_tbENKUlT_T0_E_clISt17integral_constantIbLb0EES12_EEDaSX_SY_EUlSX_E_NS1_11comp_targetILNS1_3genE5ELNS1_11target_archE942ELNS1_3gpuE9ELNS1_3repE0EEENS1_30default_config_static_selectorELNS0_4arch9wavefront6targetE1EEEvT1_
	.p2align	8
	.type	_ZN7rocprim17ROCPRIM_400000_NS6detail17trampoline_kernelINS0_14default_configENS1_29reduce_by_key_config_selectorIllN6thrust23THRUST_200600_302600_NS4plusIlEEEEZZNS1_33reduce_by_key_impl_wrapped_configILNS1_25lookback_scan_determinismE0ES3_S9_PlNS6_17constant_iteratorIiNS6_11use_defaultESE_EENS6_10device_ptrIlEESH_PmS8_NS6_8equal_toIlEEEE10hipError_tPvRmT2_T3_mT4_T5_T6_T7_T8_P12ihipStream_tbENKUlT_T0_E_clISt17integral_constantIbLb0EES12_EEDaSX_SY_EUlSX_E_NS1_11comp_targetILNS1_3genE5ELNS1_11target_archE942ELNS1_3gpuE9ELNS1_3repE0EEENS1_30default_config_static_selectorELNS0_4arch9wavefront6targetE1EEEvT1_,@function
_ZN7rocprim17ROCPRIM_400000_NS6detail17trampoline_kernelINS0_14default_configENS1_29reduce_by_key_config_selectorIllN6thrust23THRUST_200600_302600_NS4plusIlEEEEZZNS1_33reduce_by_key_impl_wrapped_configILNS1_25lookback_scan_determinismE0ES3_S9_PlNS6_17constant_iteratorIiNS6_11use_defaultESE_EENS6_10device_ptrIlEESH_PmS8_NS6_8equal_toIlEEEE10hipError_tPvRmT2_T3_mT4_T5_T6_T7_T8_P12ihipStream_tbENKUlT_T0_E_clISt17integral_constantIbLb0EES12_EEDaSX_SY_EUlSX_E_NS1_11comp_targetILNS1_3genE5ELNS1_11target_archE942ELNS1_3gpuE9ELNS1_3repE0EEENS1_30default_config_static_selectorELNS0_4arch9wavefront6targetE1EEEvT1_: ; @_ZN7rocprim17ROCPRIM_400000_NS6detail17trampoline_kernelINS0_14default_configENS1_29reduce_by_key_config_selectorIllN6thrust23THRUST_200600_302600_NS4plusIlEEEEZZNS1_33reduce_by_key_impl_wrapped_configILNS1_25lookback_scan_determinismE0ES3_S9_PlNS6_17constant_iteratorIiNS6_11use_defaultESE_EENS6_10device_ptrIlEESH_PmS8_NS6_8equal_toIlEEEE10hipError_tPvRmT2_T3_mT4_T5_T6_T7_T8_P12ihipStream_tbENKUlT_T0_E_clISt17integral_constantIbLb0EES12_EEDaSX_SY_EUlSX_E_NS1_11comp_targetILNS1_3genE5ELNS1_11target_archE942ELNS1_3gpuE9ELNS1_3repE0EEENS1_30default_config_static_selectorELNS0_4arch9wavefront6targetE1EEEvT1_
; %bb.0:
	.section	.rodata,"a",@progbits
	.p2align	6, 0x0
	.amdhsa_kernel _ZN7rocprim17ROCPRIM_400000_NS6detail17trampoline_kernelINS0_14default_configENS1_29reduce_by_key_config_selectorIllN6thrust23THRUST_200600_302600_NS4plusIlEEEEZZNS1_33reduce_by_key_impl_wrapped_configILNS1_25lookback_scan_determinismE0ES3_S9_PlNS6_17constant_iteratorIiNS6_11use_defaultESE_EENS6_10device_ptrIlEESH_PmS8_NS6_8equal_toIlEEEE10hipError_tPvRmT2_T3_mT4_T5_T6_T7_T8_P12ihipStream_tbENKUlT_T0_E_clISt17integral_constantIbLb0EES12_EEDaSX_SY_EUlSX_E_NS1_11comp_targetILNS1_3genE5ELNS1_11target_archE942ELNS1_3gpuE9ELNS1_3repE0EEENS1_30default_config_static_selectorELNS0_4arch9wavefront6targetE1EEEvT1_
		.amdhsa_group_segment_fixed_size 0
		.amdhsa_private_segment_fixed_size 0
		.amdhsa_kernarg_size 144
		.amdhsa_user_sgpr_count 6
		.amdhsa_user_sgpr_private_segment_buffer 1
		.amdhsa_user_sgpr_dispatch_ptr 0
		.amdhsa_user_sgpr_queue_ptr 0
		.amdhsa_user_sgpr_kernarg_segment_ptr 1
		.amdhsa_user_sgpr_dispatch_id 0
		.amdhsa_user_sgpr_flat_scratch_init 0
		.amdhsa_user_sgpr_private_segment_size 0
		.amdhsa_uses_dynamic_stack 0
		.amdhsa_system_sgpr_private_segment_wavefront_offset 0
		.amdhsa_system_sgpr_workgroup_id_x 1
		.amdhsa_system_sgpr_workgroup_id_y 0
		.amdhsa_system_sgpr_workgroup_id_z 0
		.amdhsa_system_sgpr_workgroup_info 0
		.amdhsa_system_vgpr_workitem_id 0
		.amdhsa_next_free_vgpr 1
		.amdhsa_next_free_sgpr 0
		.amdhsa_reserve_vcc 0
		.amdhsa_reserve_flat_scratch 0
		.amdhsa_float_round_mode_32 0
		.amdhsa_float_round_mode_16_64 0
		.amdhsa_float_denorm_mode_32 3
		.amdhsa_float_denorm_mode_16_64 3
		.amdhsa_dx10_clamp 1
		.amdhsa_ieee_mode 1
		.amdhsa_fp16_overflow 0
		.amdhsa_exception_fp_ieee_invalid_op 0
		.amdhsa_exception_fp_denorm_src 0
		.amdhsa_exception_fp_ieee_div_zero 0
		.amdhsa_exception_fp_ieee_overflow 0
		.amdhsa_exception_fp_ieee_underflow 0
		.amdhsa_exception_fp_ieee_inexact 0
		.amdhsa_exception_int_div_zero 0
	.end_amdhsa_kernel
	.section	.text._ZN7rocprim17ROCPRIM_400000_NS6detail17trampoline_kernelINS0_14default_configENS1_29reduce_by_key_config_selectorIllN6thrust23THRUST_200600_302600_NS4plusIlEEEEZZNS1_33reduce_by_key_impl_wrapped_configILNS1_25lookback_scan_determinismE0ES3_S9_PlNS6_17constant_iteratorIiNS6_11use_defaultESE_EENS6_10device_ptrIlEESH_PmS8_NS6_8equal_toIlEEEE10hipError_tPvRmT2_T3_mT4_T5_T6_T7_T8_P12ihipStream_tbENKUlT_T0_E_clISt17integral_constantIbLb0EES12_EEDaSX_SY_EUlSX_E_NS1_11comp_targetILNS1_3genE5ELNS1_11target_archE942ELNS1_3gpuE9ELNS1_3repE0EEENS1_30default_config_static_selectorELNS0_4arch9wavefront6targetE1EEEvT1_,"axG",@progbits,_ZN7rocprim17ROCPRIM_400000_NS6detail17trampoline_kernelINS0_14default_configENS1_29reduce_by_key_config_selectorIllN6thrust23THRUST_200600_302600_NS4plusIlEEEEZZNS1_33reduce_by_key_impl_wrapped_configILNS1_25lookback_scan_determinismE0ES3_S9_PlNS6_17constant_iteratorIiNS6_11use_defaultESE_EENS6_10device_ptrIlEESH_PmS8_NS6_8equal_toIlEEEE10hipError_tPvRmT2_T3_mT4_T5_T6_T7_T8_P12ihipStream_tbENKUlT_T0_E_clISt17integral_constantIbLb0EES12_EEDaSX_SY_EUlSX_E_NS1_11comp_targetILNS1_3genE5ELNS1_11target_archE942ELNS1_3gpuE9ELNS1_3repE0EEENS1_30default_config_static_selectorELNS0_4arch9wavefront6targetE1EEEvT1_,comdat
.Lfunc_end1205:
	.size	_ZN7rocprim17ROCPRIM_400000_NS6detail17trampoline_kernelINS0_14default_configENS1_29reduce_by_key_config_selectorIllN6thrust23THRUST_200600_302600_NS4plusIlEEEEZZNS1_33reduce_by_key_impl_wrapped_configILNS1_25lookback_scan_determinismE0ES3_S9_PlNS6_17constant_iteratorIiNS6_11use_defaultESE_EENS6_10device_ptrIlEESH_PmS8_NS6_8equal_toIlEEEE10hipError_tPvRmT2_T3_mT4_T5_T6_T7_T8_P12ihipStream_tbENKUlT_T0_E_clISt17integral_constantIbLb0EES12_EEDaSX_SY_EUlSX_E_NS1_11comp_targetILNS1_3genE5ELNS1_11target_archE942ELNS1_3gpuE9ELNS1_3repE0EEENS1_30default_config_static_selectorELNS0_4arch9wavefront6targetE1EEEvT1_, .Lfunc_end1205-_ZN7rocprim17ROCPRIM_400000_NS6detail17trampoline_kernelINS0_14default_configENS1_29reduce_by_key_config_selectorIllN6thrust23THRUST_200600_302600_NS4plusIlEEEEZZNS1_33reduce_by_key_impl_wrapped_configILNS1_25lookback_scan_determinismE0ES3_S9_PlNS6_17constant_iteratorIiNS6_11use_defaultESE_EENS6_10device_ptrIlEESH_PmS8_NS6_8equal_toIlEEEE10hipError_tPvRmT2_T3_mT4_T5_T6_T7_T8_P12ihipStream_tbENKUlT_T0_E_clISt17integral_constantIbLb0EES12_EEDaSX_SY_EUlSX_E_NS1_11comp_targetILNS1_3genE5ELNS1_11target_archE942ELNS1_3gpuE9ELNS1_3repE0EEENS1_30default_config_static_selectorELNS0_4arch9wavefront6targetE1EEEvT1_
                                        ; -- End function
	.set _ZN7rocprim17ROCPRIM_400000_NS6detail17trampoline_kernelINS0_14default_configENS1_29reduce_by_key_config_selectorIllN6thrust23THRUST_200600_302600_NS4plusIlEEEEZZNS1_33reduce_by_key_impl_wrapped_configILNS1_25lookback_scan_determinismE0ES3_S9_PlNS6_17constant_iteratorIiNS6_11use_defaultESE_EENS6_10device_ptrIlEESH_PmS8_NS6_8equal_toIlEEEE10hipError_tPvRmT2_T3_mT4_T5_T6_T7_T8_P12ihipStream_tbENKUlT_T0_E_clISt17integral_constantIbLb0EES12_EEDaSX_SY_EUlSX_E_NS1_11comp_targetILNS1_3genE5ELNS1_11target_archE942ELNS1_3gpuE9ELNS1_3repE0EEENS1_30default_config_static_selectorELNS0_4arch9wavefront6targetE1EEEvT1_.num_vgpr, 0
	.set _ZN7rocprim17ROCPRIM_400000_NS6detail17trampoline_kernelINS0_14default_configENS1_29reduce_by_key_config_selectorIllN6thrust23THRUST_200600_302600_NS4plusIlEEEEZZNS1_33reduce_by_key_impl_wrapped_configILNS1_25lookback_scan_determinismE0ES3_S9_PlNS6_17constant_iteratorIiNS6_11use_defaultESE_EENS6_10device_ptrIlEESH_PmS8_NS6_8equal_toIlEEEE10hipError_tPvRmT2_T3_mT4_T5_T6_T7_T8_P12ihipStream_tbENKUlT_T0_E_clISt17integral_constantIbLb0EES12_EEDaSX_SY_EUlSX_E_NS1_11comp_targetILNS1_3genE5ELNS1_11target_archE942ELNS1_3gpuE9ELNS1_3repE0EEENS1_30default_config_static_selectorELNS0_4arch9wavefront6targetE1EEEvT1_.num_agpr, 0
	.set _ZN7rocprim17ROCPRIM_400000_NS6detail17trampoline_kernelINS0_14default_configENS1_29reduce_by_key_config_selectorIllN6thrust23THRUST_200600_302600_NS4plusIlEEEEZZNS1_33reduce_by_key_impl_wrapped_configILNS1_25lookback_scan_determinismE0ES3_S9_PlNS6_17constant_iteratorIiNS6_11use_defaultESE_EENS6_10device_ptrIlEESH_PmS8_NS6_8equal_toIlEEEE10hipError_tPvRmT2_T3_mT4_T5_T6_T7_T8_P12ihipStream_tbENKUlT_T0_E_clISt17integral_constantIbLb0EES12_EEDaSX_SY_EUlSX_E_NS1_11comp_targetILNS1_3genE5ELNS1_11target_archE942ELNS1_3gpuE9ELNS1_3repE0EEENS1_30default_config_static_selectorELNS0_4arch9wavefront6targetE1EEEvT1_.numbered_sgpr, 0
	.set _ZN7rocprim17ROCPRIM_400000_NS6detail17trampoline_kernelINS0_14default_configENS1_29reduce_by_key_config_selectorIllN6thrust23THRUST_200600_302600_NS4plusIlEEEEZZNS1_33reduce_by_key_impl_wrapped_configILNS1_25lookback_scan_determinismE0ES3_S9_PlNS6_17constant_iteratorIiNS6_11use_defaultESE_EENS6_10device_ptrIlEESH_PmS8_NS6_8equal_toIlEEEE10hipError_tPvRmT2_T3_mT4_T5_T6_T7_T8_P12ihipStream_tbENKUlT_T0_E_clISt17integral_constantIbLb0EES12_EEDaSX_SY_EUlSX_E_NS1_11comp_targetILNS1_3genE5ELNS1_11target_archE942ELNS1_3gpuE9ELNS1_3repE0EEENS1_30default_config_static_selectorELNS0_4arch9wavefront6targetE1EEEvT1_.num_named_barrier, 0
	.set _ZN7rocprim17ROCPRIM_400000_NS6detail17trampoline_kernelINS0_14default_configENS1_29reduce_by_key_config_selectorIllN6thrust23THRUST_200600_302600_NS4plusIlEEEEZZNS1_33reduce_by_key_impl_wrapped_configILNS1_25lookback_scan_determinismE0ES3_S9_PlNS6_17constant_iteratorIiNS6_11use_defaultESE_EENS6_10device_ptrIlEESH_PmS8_NS6_8equal_toIlEEEE10hipError_tPvRmT2_T3_mT4_T5_T6_T7_T8_P12ihipStream_tbENKUlT_T0_E_clISt17integral_constantIbLb0EES12_EEDaSX_SY_EUlSX_E_NS1_11comp_targetILNS1_3genE5ELNS1_11target_archE942ELNS1_3gpuE9ELNS1_3repE0EEENS1_30default_config_static_selectorELNS0_4arch9wavefront6targetE1EEEvT1_.private_seg_size, 0
	.set _ZN7rocprim17ROCPRIM_400000_NS6detail17trampoline_kernelINS0_14default_configENS1_29reduce_by_key_config_selectorIllN6thrust23THRUST_200600_302600_NS4plusIlEEEEZZNS1_33reduce_by_key_impl_wrapped_configILNS1_25lookback_scan_determinismE0ES3_S9_PlNS6_17constant_iteratorIiNS6_11use_defaultESE_EENS6_10device_ptrIlEESH_PmS8_NS6_8equal_toIlEEEE10hipError_tPvRmT2_T3_mT4_T5_T6_T7_T8_P12ihipStream_tbENKUlT_T0_E_clISt17integral_constantIbLb0EES12_EEDaSX_SY_EUlSX_E_NS1_11comp_targetILNS1_3genE5ELNS1_11target_archE942ELNS1_3gpuE9ELNS1_3repE0EEENS1_30default_config_static_selectorELNS0_4arch9wavefront6targetE1EEEvT1_.uses_vcc, 0
	.set _ZN7rocprim17ROCPRIM_400000_NS6detail17trampoline_kernelINS0_14default_configENS1_29reduce_by_key_config_selectorIllN6thrust23THRUST_200600_302600_NS4plusIlEEEEZZNS1_33reduce_by_key_impl_wrapped_configILNS1_25lookback_scan_determinismE0ES3_S9_PlNS6_17constant_iteratorIiNS6_11use_defaultESE_EENS6_10device_ptrIlEESH_PmS8_NS6_8equal_toIlEEEE10hipError_tPvRmT2_T3_mT4_T5_T6_T7_T8_P12ihipStream_tbENKUlT_T0_E_clISt17integral_constantIbLb0EES12_EEDaSX_SY_EUlSX_E_NS1_11comp_targetILNS1_3genE5ELNS1_11target_archE942ELNS1_3gpuE9ELNS1_3repE0EEENS1_30default_config_static_selectorELNS0_4arch9wavefront6targetE1EEEvT1_.uses_flat_scratch, 0
	.set _ZN7rocprim17ROCPRIM_400000_NS6detail17trampoline_kernelINS0_14default_configENS1_29reduce_by_key_config_selectorIllN6thrust23THRUST_200600_302600_NS4plusIlEEEEZZNS1_33reduce_by_key_impl_wrapped_configILNS1_25lookback_scan_determinismE0ES3_S9_PlNS6_17constant_iteratorIiNS6_11use_defaultESE_EENS6_10device_ptrIlEESH_PmS8_NS6_8equal_toIlEEEE10hipError_tPvRmT2_T3_mT4_T5_T6_T7_T8_P12ihipStream_tbENKUlT_T0_E_clISt17integral_constantIbLb0EES12_EEDaSX_SY_EUlSX_E_NS1_11comp_targetILNS1_3genE5ELNS1_11target_archE942ELNS1_3gpuE9ELNS1_3repE0EEENS1_30default_config_static_selectorELNS0_4arch9wavefront6targetE1EEEvT1_.has_dyn_sized_stack, 0
	.set _ZN7rocprim17ROCPRIM_400000_NS6detail17trampoline_kernelINS0_14default_configENS1_29reduce_by_key_config_selectorIllN6thrust23THRUST_200600_302600_NS4plusIlEEEEZZNS1_33reduce_by_key_impl_wrapped_configILNS1_25lookback_scan_determinismE0ES3_S9_PlNS6_17constant_iteratorIiNS6_11use_defaultESE_EENS6_10device_ptrIlEESH_PmS8_NS6_8equal_toIlEEEE10hipError_tPvRmT2_T3_mT4_T5_T6_T7_T8_P12ihipStream_tbENKUlT_T0_E_clISt17integral_constantIbLb0EES12_EEDaSX_SY_EUlSX_E_NS1_11comp_targetILNS1_3genE5ELNS1_11target_archE942ELNS1_3gpuE9ELNS1_3repE0EEENS1_30default_config_static_selectorELNS0_4arch9wavefront6targetE1EEEvT1_.has_recursion, 0
	.set _ZN7rocprim17ROCPRIM_400000_NS6detail17trampoline_kernelINS0_14default_configENS1_29reduce_by_key_config_selectorIllN6thrust23THRUST_200600_302600_NS4plusIlEEEEZZNS1_33reduce_by_key_impl_wrapped_configILNS1_25lookback_scan_determinismE0ES3_S9_PlNS6_17constant_iteratorIiNS6_11use_defaultESE_EENS6_10device_ptrIlEESH_PmS8_NS6_8equal_toIlEEEE10hipError_tPvRmT2_T3_mT4_T5_T6_T7_T8_P12ihipStream_tbENKUlT_T0_E_clISt17integral_constantIbLb0EES12_EEDaSX_SY_EUlSX_E_NS1_11comp_targetILNS1_3genE5ELNS1_11target_archE942ELNS1_3gpuE9ELNS1_3repE0EEENS1_30default_config_static_selectorELNS0_4arch9wavefront6targetE1EEEvT1_.has_indirect_call, 0
	.section	.AMDGPU.csdata,"",@progbits
; Kernel info:
; codeLenInByte = 0
; TotalNumSgprs: 4
; NumVgprs: 0
; ScratchSize: 0
; MemoryBound: 0
; FloatMode: 240
; IeeeMode: 1
; LDSByteSize: 0 bytes/workgroup (compile time only)
; SGPRBlocks: 0
; VGPRBlocks: 0
; NumSGPRsForWavesPerEU: 4
; NumVGPRsForWavesPerEU: 1
; Occupancy: 10
; WaveLimiterHint : 0
; COMPUTE_PGM_RSRC2:SCRATCH_EN: 0
; COMPUTE_PGM_RSRC2:USER_SGPR: 6
; COMPUTE_PGM_RSRC2:TRAP_HANDLER: 0
; COMPUTE_PGM_RSRC2:TGID_X_EN: 1
; COMPUTE_PGM_RSRC2:TGID_Y_EN: 0
; COMPUTE_PGM_RSRC2:TGID_Z_EN: 0
; COMPUTE_PGM_RSRC2:TIDIG_COMP_CNT: 0
	.section	.text._ZN7rocprim17ROCPRIM_400000_NS6detail17trampoline_kernelINS0_14default_configENS1_29reduce_by_key_config_selectorIllN6thrust23THRUST_200600_302600_NS4plusIlEEEEZZNS1_33reduce_by_key_impl_wrapped_configILNS1_25lookback_scan_determinismE0ES3_S9_PlNS6_17constant_iteratorIiNS6_11use_defaultESE_EENS6_10device_ptrIlEESH_PmS8_NS6_8equal_toIlEEEE10hipError_tPvRmT2_T3_mT4_T5_T6_T7_T8_P12ihipStream_tbENKUlT_T0_E_clISt17integral_constantIbLb0EES12_EEDaSX_SY_EUlSX_E_NS1_11comp_targetILNS1_3genE4ELNS1_11target_archE910ELNS1_3gpuE8ELNS1_3repE0EEENS1_30default_config_static_selectorELNS0_4arch9wavefront6targetE1EEEvT1_,"axG",@progbits,_ZN7rocprim17ROCPRIM_400000_NS6detail17trampoline_kernelINS0_14default_configENS1_29reduce_by_key_config_selectorIllN6thrust23THRUST_200600_302600_NS4plusIlEEEEZZNS1_33reduce_by_key_impl_wrapped_configILNS1_25lookback_scan_determinismE0ES3_S9_PlNS6_17constant_iteratorIiNS6_11use_defaultESE_EENS6_10device_ptrIlEESH_PmS8_NS6_8equal_toIlEEEE10hipError_tPvRmT2_T3_mT4_T5_T6_T7_T8_P12ihipStream_tbENKUlT_T0_E_clISt17integral_constantIbLb0EES12_EEDaSX_SY_EUlSX_E_NS1_11comp_targetILNS1_3genE4ELNS1_11target_archE910ELNS1_3gpuE8ELNS1_3repE0EEENS1_30default_config_static_selectorELNS0_4arch9wavefront6targetE1EEEvT1_,comdat
	.protected	_ZN7rocprim17ROCPRIM_400000_NS6detail17trampoline_kernelINS0_14default_configENS1_29reduce_by_key_config_selectorIllN6thrust23THRUST_200600_302600_NS4plusIlEEEEZZNS1_33reduce_by_key_impl_wrapped_configILNS1_25lookback_scan_determinismE0ES3_S9_PlNS6_17constant_iteratorIiNS6_11use_defaultESE_EENS6_10device_ptrIlEESH_PmS8_NS6_8equal_toIlEEEE10hipError_tPvRmT2_T3_mT4_T5_T6_T7_T8_P12ihipStream_tbENKUlT_T0_E_clISt17integral_constantIbLb0EES12_EEDaSX_SY_EUlSX_E_NS1_11comp_targetILNS1_3genE4ELNS1_11target_archE910ELNS1_3gpuE8ELNS1_3repE0EEENS1_30default_config_static_selectorELNS0_4arch9wavefront6targetE1EEEvT1_ ; -- Begin function _ZN7rocprim17ROCPRIM_400000_NS6detail17trampoline_kernelINS0_14default_configENS1_29reduce_by_key_config_selectorIllN6thrust23THRUST_200600_302600_NS4plusIlEEEEZZNS1_33reduce_by_key_impl_wrapped_configILNS1_25lookback_scan_determinismE0ES3_S9_PlNS6_17constant_iteratorIiNS6_11use_defaultESE_EENS6_10device_ptrIlEESH_PmS8_NS6_8equal_toIlEEEE10hipError_tPvRmT2_T3_mT4_T5_T6_T7_T8_P12ihipStream_tbENKUlT_T0_E_clISt17integral_constantIbLb0EES12_EEDaSX_SY_EUlSX_E_NS1_11comp_targetILNS1_3genE4ELNS1_11target_archE910ELNS1_3gpuE8ELNS1_3repE0EEENS1_30default_config_static_selectorELNS0_4arch9wavefront6targetE1EEEvT1_
	.globl	_ZN7rocprim17ROCPRIM_400000_NS6detail17trampoline_kernelINS0_14default_configENS1_29reduce_by_key_config_selectorIllN6thrust23THRUST_200600_302600_NS4plusIlEEEEZZNS1_33reduce_by_key_impl_wrapped_configILNS1_25lookback_scan_determinismE0ES3_S9_PlNS6_17constant_iteratorIiNS6_11use_defaultESE_EENS6_10device_ptrIlEESH_PmS8_NS6_8equal_toIlEEEE10hipError_tPvRmT2_T3_mT4_T5_T6_T7_T8_P12ihipStream_tbENKUlT_T0_E_clISt17integral_constantIbLb0EES12_EEDaSX_SY_EUlSX_E_NS1_11comp_targetILNS1_3genE4ELNS1_11target_archE910ELNS1_3gpuE8ELNS1_3repE0EEENS1_30default_config_static_selectorELNS0_4arch9wavefront6targetE1EEEvT1_
	.p2align	8
	.type	_ZN7rocprim17ROCPRIM_400000_NS6detail17trampoline_kernelINS0_14default_configENS1_29reduce_by_key_config_selectorIllN6thrust23THRUST_200600_302600_NS4plusIlEEEEZZNS1_33reduce_by_key_impl_wrapped_configILNS1_25lookback_scan_determinismE0ES3_S9_PlNS6_17constant_iteratorIiNS6_11use_defaultESE_EENS6_10device_ptrIlEESH_PmS8_NS6_8equal_toIlEEEE10hipError_tPvRmT2_T3_mT4_T5_T6_T7_T8_P12ihipStream_tbENKUlT_T0_E_clISt17integral_constantIbLb0EES12_EEDaSX_SY_EUlSX_E_NS1_11comp_targetILNS1_3genE4ELNS1_11target_archE910ELNS1_3gpuE8ELNS1_3repE0EEENS1_30default_config_static_selectorELNS0_4arch9wavefront6targetE1EEEvT1_,@function
_ZN7rocprim17ROCPRIM_400000_NS6detail17trampoline_kernelINS0_14default_configENS1_29reduce_by_key_config_selectorIllN6thrust23THRUST_200600_302600_NS4plusIlEEEEZZNS1_33reduce_by_key_impl_wrapped_configILNS1_25lookback_scan_determinismE0ES3_S9_PlNS6_17constant_iteratorIiNS6_11use_defaultESE_EENS6_10device_ptrIlEESH_PmS8_NS6_8equal_toIlEEEE10hipError_tPvRmT2_T3_mT4_T5_T6_T7_T8_P12ihipStream_tbENKUlT_T0_E_clISt17integral_constantIbLb0EES12_EEDaSX_SY_EUlSX_E_NS1_11comp_targetILNS1_3genE4ELNS1_11target_archE910ELNS1_3gpuE8ELNS1_3repE0EEENS1_30default_config_static_selectorELNS0_4arch9wavefront6targetE1EEEvT1_: ; @_ZN7rocprim17ROCPRIM_400000_NS6detail17trampoline_kernelINS0_14default_configENS1_29reduce_by_key_config_selectorIllN6thrust23THRUST_200600_302600_NS4plusIlEEEEZZNS1_33reduce_by_key_impl_wrapped_configILNS1_25lookback_scan_determinismE0ES3_S9_PlNS6_17constant_iteratorIiNS6_11use_defaultESE_EENS6_10device_ptrIlEESH_PmS8_NS6_8equal_toIlEEEE10hipError_tPvRmT2_T3_mT4_T5_T6_T7_T8_P12ihipStream_tbENKUlT_T0_E_clISt17integral_constantIbLb0EES12_EEDaSX_SY_EUlSX_E_NS1_11comp_targetILNS1_3genE4ELNS1_11target_archE910ELNS1_3gpuE8ELNS1_3repE0EEENS1_30default_config_static_selectorELNS0_4arch9wavefront6targetE1EEEvT1_
; %bb.0:
	.section	.rodata,"a",@progbits
	.p2align	6, 0x0
	.amdhsa_kernel _ZN7rocprim17ROCPRIM_400000_NS6detail17trampoline_kernelINS0_14default_configENS1_29reduce_by_key_config_selectorIllN6thrust23THRUST_200600_302600_NS4plusIlEEEEZZNS1_33reduce_by_key_impl_wrapped_configILNS1_25lookback_scan_determinismE0ES3_S9_PlNS6_17constant_iteratorIiNS6_11use_defaultESE_EENS6_10device_ptrIlEESH_PmS8_NS6_8equal_toIlEEEE10hipError_tPvRmT2_T3_mT4_T5_T6_T7_T8_P12ihipStream_tbENKUlT_T0_E_clISt17integral_constantIbLb0EES12_EEDaSX_SY_EUlSX_E_NS1_11comp_targetILNS1_3genE4ELNS1_11target_archE910ELNS1_3gpuE8ELNS1_3repE0EEENS1_30default_config_static_selectorELNS0_4arch9wavefront6targetE1EEEvT1_
		.amdhsa_group_segment_fixed_size 0
		.amdhsa_private_segment_fixed_size 0
		.amdhsa_kernarg_size 144
		.amdhsa_user_sgpr_count 6
		.amdhsa_user_sgpr_private_segment_buffer 1
		.amdhsa_user_sgpr_dispatch_ptr 0
		.amdhsa_user_sgpr_queue_ptr 0
		.amdhsa_user_sgpr_kernarg_segment_ptr 1
		.amdhsa_user_sgpr_dispatch_id 0
		.amdhsa_user_sgpr_flat_scratch_init 0
		.amdhsa_user_sgpr_private_segment_size 0
		.amdhsa_uses_dynamic_stack 0
		.amdhsa_system_sgpr_private_segment_wavefront_offset 0
		.amdhsa_system_sgpr_workgroup_id_x 1
		.amdhsa_system_sgpr_workgroup_id_y 0
		.amdhsa_system_sgpr_workgroup_id_z 0
		.amdhsa_system_sgpr_workgroup_info 0
		.amdhsa_system_vgpr_workitem_id 0
		.amdhsa_next_free_vgpr 1
		.amdhsa_next_free_sgpr 0
		.amdhsa_reserve_vcc 0
		.amdhsa_reserve_flat_scratch 0
		.amdhsa_float_round_mode_32 0
		.amdhsa_float_round_mode_16_64 0
		.amdhsa_float_denorm_mode_32 3
		.amdhsa_float_denorm_mode_16_64 3
		.amdhsa_dx10_clamp 1
		.amdhsa_ieee_mode 1
		.amdhsa_fp16_overflow 0
		.amdhsa_exception_fp_ieee_invalid_op 0
		.amdhsa_exception_fp_denorm_src 0
		.amdhsa_exception_fp_ieee_div_zero 0
		.amdhsa_exception_fp_ieee_overflow 0
		.amdhsa_exception_fp_ieee_underflow 0
		.amdhsa_exception_fp_ieee_inexact 0
		.amdhsa_exception_int_div_zero 0
	.end_amdhsa_kernel
	.section	.text._ZN7rocprim17ROCPRIM_400000_NS6detail17trampoline_kernelINS0_14default_configENS1_29reduce_by_key_config_selectorIllN6thrust23THRUST_200600_302600_NS4plusIlEEEEZZNS1_33reduce_by_key_impl_wrapped_configILNS1_25lookback_scan_determinismE0ES3_S9_PlNS6_17constant_iteratorIiNS6_11use_defaultESE_EENS6_10device_ptrIlEESH_PmS8_NS6_8equal_toIlEEEE10hipError_tPvRmT2_T3_mT4_T5_T6_T7_T8_P12ihipStream_tbENKUlT_T0_E_clISt17integral_constantIbLb0EES12_EEDaSX_SY_EUlSX_E_NS1_11comp_targetILNS1_3genE4ELNS1_11target_archE910ELNS1_3gpuE8ELNS1_3repE0EEENS1_30default_config_static_selectorELNS0_4arch9wavefront6targetE1EEEvT1_,"axG",@progbits,_ZN7rocprim17ROCPRIM_400000_NS6detail17trampoline_kernelINS0_14default_configENS1_29reduce_by_key_config_selectorIllN6thrust23THRUST_200600_302600_NS4plusIlEEEEZZNS1_33reduce_by_key_impl_wrapped_configILNS1_25lookback_scan_determinismE0ES3_S9_PlNS6_17constant_iteratorIiNS6_11use_defaultESE_EENS6_10device_ptrIlEESH_PmS8_NS6_8equal_toIlEEEE10hipError_tPvRmT2_T3_mT4_T5_T6_T7_T8_P12ihipStream_tbENKUlT_T0_E_clISt17integral_constantIbLb0EES12_EEDaSX_SY_EUlSX_E_NS1_11comp_targetILNS1_3genE4ELNS1_11target_archE910ELNS1_3gpuE8ELNS1_3repE0EEENS1_30default_config_static_selectorELNS0_4arch9wavefront6targetE1EEEvT1_,comdat
.Lfunc_end1206:
	.size	_ZN7rocprim17ROCPRIM_400000_NS6detail17trampoline_kernelINS0_14default_configENS1_29reduce_by_key_config_selectorIllN6thrust23THRUST_200600_302600_NS4plusIlEEEEZZNS1_33reduce_by_key_impl_wrapped_configILNS1_25lookback_scan_determinismE0ES3_S9_PlNS6_17constant_iteratorIiNS6_11use_defaultESE_EENS6_10device_ptrIlEESH_PmS8_NS6_8equal_toIlEEEE10hipError_tPvRmT2_T3_mT4_T5_T6_T7_T8_P12ihipStream_tbENKUlT_T0_E_clISt17integral_constantIbLb0EES12_EEDaSX_SY_EUlSX_E_NS1_11comp_targetILNS1_3genE4ELNS1_11target_archE910ELNS1_3gpuE8ELNS1_3repE0EEENS1_30default_config_static_selectorELNS0_4arch9wavefront6targetE1EEEvT1_, .Lfunc_end1206-_ZN7rocprim17ROCPRIM_400000_NS6detail17trampoline_kernelINS0_14default_configENS1_29reduce_by_key_config_selectorIllN6thrust23THRUST_200600_302600_NS4plusIlEEEEZZNS1_33reduce_by_key_impl_wrapped_configILNS1_25lookback_scan_determinismE0ES3_S9_PlNS6_17constant_iteratorIiNS6_11use_defaultESE_EENS6_10device_ptrIlEESH_PmS8_NS6_8equal_toIlEEEE10hipError_tPvRmT2_T3_mT4_T5_T6_T7_T8_P12ihipStream_tbENKUlT_T0_E_clISt17integral_constantIbLb0EES12_EEDaSX_SY_EUlSX_E_NS1_11comp_targetILNS1_3genE4ELNS1_11target_archE910ELNS1_3gpuE8ELNS1_3repE0EEENS1_30default_config_static_selectorELNS0_4arch9wavefront6targetE1EEEvT1_
                                        ; -- End function
	.set _ZN7rocprim17ROCPRIM_400000_NS6detail17trampoline_kernelINS0_14default_configENS1_29reduce_by_key_config_selectorIllN6thrust23THRUST_200600_302600_NS4plusIlEEEEZZNS1_33reduce_by_key_impl_wrapped_configILNS1_25lookback_scan_determinismE0ES3_S9_PlNS6_17constant_iteratorIiNS6_11use_defaultESE_EENS6_10device_ptrIlEESH_PmS8_NS6_8equal_toIlEEEE10hipError_tPvRmT2_T3_mT4_T5_T6_T7_T8_P12ihipStream_tbENKUlT_T0_E_clISt17integral_constantIbLb0EES12_EEDaSX_SY_EUlSX_E_NS1_11comp_targetILNS1_3genE4ELNS1_11target_archE910ELNS1_3gpuE8ELNS1_3repE0EEENS1_30default_config_static_selectorELNS0_4arch9wavefront6targetE1EEEvT1_.num_vgpr, 0
	.set _ZN7rocprim17ROCPRIM_400000_NS6detail17trampoline_kernelINS0_14default_configENS1_29reduce_by_key_config_selectorIllN6thrust23THRUST_200600_302600_NS4plusIlEEEEZZNS1_33reduce_by_key_impl_wrapped_configILNS1_25lookback_scan_determinismE0ES3_S9_PlNS6_17constant_iteratorIiNS6_11use_defaultESE_EENS6_10device_ptrIlEESH_PmS8_NS6_8equal_toIlEEEE10hipError_tPvRmT2_T3_mT4_T5_T6_T7_T8_P12ihipStream_tbENKUlT_T0_E_clISt17integral_constantIbLb0EES12_EEDaSX_SY_EUlSX_E_NS1_11comp_targetILNS1_3genE4ELNS1_11target_archE910ELNS1_3gpuE8ELNS1_3repE0EEENS1_30default_config_static_selectorELNS0_4arch9wavefront6targetE1EEEvT1_.num_agpr, 0
	.set _ZN7rocprim17ROCPRIM_400000_NS6detail17trampoline_kernelINS0_14default_configENS1_29reduce_by_key_config_selectorIllN6thrust23THRUST_200600_302600_NS4plusIlEEEEZZNS1_33reduce_by_key_impl_wrapped_configILNS1_25lookback_scan_determinismE0ES3_S9_PlNS6_17constant_iteratorIiNS6_11use_defaultESE_EENS6_10device_ptrIlEESH_PmS8_NS6_8equal_toIlEEEE10hipError_tPvRmT2_T3_mT4_T5_T6_T7_T8_P12ihipStream_tbENKUlT_T0_E_clISt17integral_constantIbLb0EES12_EEDaSX_SY_EUlSX_E_NS1_11comp_targetILNS1_3genE4ELNS1_11target_archE910ELNS1_3gpuE8ELNS1_3repE0EEENS1_30default_config_static_selectorELNS0_4arch9wavefront6targetE1EEEvT1_.numbered_sgpr, 0
	.set _ZN7rocprim17ROCPRIM_400000_NS6detail17trampoline_kernelINS0_14default_configENS1_29reduce_by_key_config_selectorIllN6thrust23THRUST_200600_302600_NS4plusIlEEEEZZNS1_33reduce_by_key_impl_wrapped_configILNS1_25lookback_scan_determinismE0ES3_S9_PlNS6_17constant_iteratorIiNS6_11use_defaultESE_EENS6_10device_ptrIlEESH_PmS8_NS6_8equal_toIlEEEE10hipError_tPvRmT2_T3_mT4_T5_T6_T7_T8_P12ihipStream_tbENKUlT_T0_E_clISt17integral_constantIbLb0EES12_EEDaSX_SY_EUlSX_E_NS1_11comp_targetILNS1_3genE4ELNS1_11target_archE910ELNS1_3gpuE8ELNS1_3repE0EEENS1_30default_config_static_selectorELNS0_4arch9wavefront6targetE1EEEvT1_.num_named_barrier, 0
	.set _ZN7rocprim17ROCPRIM_400000_NS6detail17trampoline_kernelINS0_14default_configENS1_29reduce_by_key_config_selectorIllN6thrust23THRUST_200600_302600_NS4plusIlEEEEZZNS1_33reduce_by_key_impl_wrapped_configILNS1_25lookback_scan_determinismE0ES3_S9_PlNS6_17constant_iteratorIiNS6_11use_defaultESE_EENS6_10device_ptrIlEESH_PmS8_NS6_8equal_toIlEEEE10hipError_tPvRmT2_T3_mT4_T5_T6_T7_T8_P12ihipStream_tbENKUlT_T0_E_clISt17integral_constantIbLb0EES12_EEDaSX_SY_EUlSX_E_NS1_11comp_targetILNS1_3genE4ELNS1_11target_archE910ELNS1_3gpuE8ELNS1_3repE0EEENS1_30default_config_static_selectorELNS0_4arch9wavefront6targetE1EEEvT1_.private_seg_size, 0
	.set _ZN7rocprim17ROCPRIM_400000_NS6detail17trampoline_kernelINS0_14default_configENS1_29reduce_by_key_config_selectorIllN6thrust23THRUST_200600_302600_NS4plusIlEEEEZZNS1_33reduce_by_key_impl_wrapped_configILNS1_25lookback_scan_determinismE0ES3_S9_PlNS6_17constant_iteratorIiNS6_11use_defaultESE_EENS6_10device_ptrIlEESH_PmS8_NS6_8equal_toIlEEEE10hipError_tPvRmT2_T3_mT4_T5_T6_T7_T8_P12ihipStream_tbENKUlT_T0_E_clISt17integral_constantIbLb0EES12_EEDaSX_SY_EUlSX_E_NS1_11comp_targetILNS1_3genE4ELNS1_11target_archE910ELNS1_3gpuE8ELNS1_3repE0EEENS1_30default_config_static_selectorELNS0_4arch9wavefront6targetE1EEEvT1_.uses_vcc, 0
	.set _ZN7rocprim17ROCPRIM_400000_NS6detail17trampoline_kernelINS0_14default_configENS1_29reduce_by_key_config_selectorIllN6thrust23THRUST_200600_302600_NS4plusIlEEEEZZNS1_33reduce_by_key_impl_wrapped_configILNS1_25lookback_scan_determinismE0ES3_S9_PlNS6_17constant_iteratorIiNS6_11use_defaultESE_EENS6_10device_ptrIlEESH_PmS8_NS6_8equal_toIlEEEE10hipError_tPvRmT2_T3_mT4_T5_T6_T7_T8_P12ihipStream_tbENKUlT_T0_E_clISt17integral_constantIbLb0EES12_EEDaSX_SY_EUlSX_E_NS1_11comp_targetILNS1_3genE4ELNS1_11target_archE910ELNS1_3gpuE8ELNS1_3repE0EEENS1_30default_config_static_selectorELNS0_4arch9wavefront6targetE1EEEvT1_.uses_flat_scratch, 0
	.set _ZN7rocprim17ROCPRIM_400000_NS6detail17trampoline_kernelINS0_14default_configENS1_29reduce_by_key_config_selectorIllN6thrust23THRUST_200600_302600_NS4plusIlEEEEZZNS1_33reduce_by_key_impl_wrapped_configILNS1_25lookback_scan_determinismE0ES3_S9_PlNS6_17constant_iteratorIiNS6_11use_defaultESE_EENS6_10device_ptrIlEESH_PmS8_NS6_8equal_toIlEEEE10hipError_tPvRmT2_T3_mT4_T5_T6_T7_T8_P12ihipStream_tbENKUlT_T0_E_clISt17integral_constantIbLb0EES12_EEDaSX_SY_EUlSX_E_NS1_11comp_targetILNS1_3genE4ELNS1_11target_archE910ELNS1_3gpuE8ELNS1_3repE0EEENS1_30default_config_static_selectorELNS0_4arch9wavefront6targetE1EEEvT1_.has_dyn_sized_stack, 0
	.set _ZN7rocprim17ROCPRIM_400000_NS6detail17trampoline_kernelINS0_14default_configENS1_29reduce_by_key_config_selectorIllN6thrust23THRUST_200600_302600_NS4plusIlEEEEZZNS1_33reduce_by_key_impl_wrapped_configILNS1_25lookback_scan_determinismE0ES3_S9_PlNS6_17constant_iteratorIiNS6_11use_defaultESE_EENS6_10device_ptrIlEESH_PmS8_NS6_8equal_toIlEEEE10hipError_tPvRmT2_T3_mT4_T5_T6_T7_T8_P12ihipStream_tbENKUlT_T0_E_clISt17integral_constantIbLb0EES12_EEDaSX_SY_EUlSX_E_NS1_11comp_targetILNS1_3genE4ELNS1_11target_archE910ELNS1_3gpuE8ELNS1_3repE0EEENS1_30default_config_static_selectorELNS0_4arch9wavefront6targetE1EEEvT1_.has_recursion, 0
	.set _ZN7rocprim17ROCPRIM_400000_NS6detail17trampoline_kernelINS0_14default_configENS1_29reduce_by_key_config_selectorIllN6thrust23THRUST_200600_302600_NS4plusIlEEEEZZNS1_33reduce_by_key_impl_wrapped_configILNS1_25lookback_scan_determinismE0ES3_S9_PlNS6_17constant_iteratorIiNS6_11use_defaultESE_EENS6_10device_ptrIlEESH_PmS8_NS6_8equal_toIlEEEE10hipError_tPvRmT2_T3_mT4_T5_T6_T7_T8_P12ihipStream_tbENKUlT_T0_E_clISt17integral_constantIbLb0EES12_EEDaSX_SY_EUlSX_E_NS1_11comp_targetILNS1_3genE4ELNS1_11target_archE910ELNS1_3gpuE8ELNS1_3repE0EEENS1_30default_config_static_selectorELNS0_4arch9wavefront6targetE1EEEvT1_.has_indirect_call, 0
	.section	.AMDGPU.csdata,"",@progbits
; Kernel info:
; codeLenInByte = 0
; TotalNumSgprs: 4
; NumVgprs: 0
; ScratchSize: 0
; MemoryBound: 0
; FloatMode: 240
; IeeeMode: 1
; LDSByteSize: 0 bytes/workgroup (compile time only)
; SGPRBlocks: 0
; VGPRBlocks: 0
; NumSGPRsForWavesPerEU: 4
; NumVGPRsForWavesPerEU: 1
; Occupancy: 10
; WaveLimiterHint : 0
; COMPUTE_PGM_RSRC2:SCRATCH_EN: 0
; COMPUTE_PGM_RSRC2:USER_SGPR: 6
; COMPUTE_PGM_RSRC2:TRAP_HANDLER: 0
; COMPUTE_PGM_RSRC2:TGID_X_EN: 1
; COMPUTE_PGM_RSRC2:TGID_Y_EN: 0
; COMPUTE_PGM_RSRC2:TGID_Z_EN: 0
; COMPUTE_PGM_RSRC2:TIDIG_COMP_CNT: 0
	.section	.text._ZN7rocprim17ROCPRIM_400000_NS6detail17trampoline_kernelINS0_14default_configENS1_29reduce_by_key_config_selectorIllN6thrust23THRUST_200600_302600_NS4plusIlEEEEZZNS1_33reduce_by_key_impl_wrapped_configILNS1_25lookback_scan_determinismE0ES3_S9_PlNS6_17constant_iteratorIiNS6_11use_defaultESE_EENS6_10device_ptrIlEESH_PmS8_NS6_8equal_toIlEEEE10hipError_tPvRmT2_T3_mT4_T5_T6_T7_T8_P12ihipStream_tbENKUlT_T0_E_clISt17integral_constantIbLb0EES12_EEDaSX_SY_EUlSX_E_NS1_11comp_targetILNS1_3genE3ELNS1_11target_archE908ELNS1_3gpuE7ELNS1_3repE0EEENS1_30default_config_static_selectorELNS0_4arch9wavefront6targetE1EEEvT1_,"axG",@progbits,_ZN7rocprim17ROCPRIM_400000_NS6detail17trampoline_kernelINS0_14default_configENS1_29reduce_by_key_config_selectorIllN6thrust23THRUST_200600_302600_NS4plusIlEEEEZZNS1_33reduce_by_key_impl_wrapped_configILNS1_25lookback_scan_determinismE0ES3_S9_PlNS6_17constant_iteratorIiNS6_11use_defaultESE_EENS6_10device_ptrIlEESH_PmS8_NS6_8equal_toIlEEEE10hipError_tPvRmT2_T3_mT4_T5_T6_T7_T8_P12ihipStream_tbENKUlT_T0_E_clISt17integral_constantIbLb0EES12_EEDaSX_SY_EUlSX_E_NS1_11comp_targetILNS1_3genE3ELNS1_11target_archE908ELNS1_3gpuE7ELNS1_3repE0EEENS1_30default_config_static_selectorELNS0_4arch9wavefront6targetE1EEEvT1_,comdat
	.protected	_ZN7rocprim17ROCPRIM_400000_NS6detail17trampoline_kernelINS0_14default_configENS1_29reduce_by_key_config_selectorIllN6thrust23THRUST_200600_302600_NS4plusIlEEEEZZNS1_33reduce_by_key_impl_wrapped_configILNS1_25lookback_scan_determinismE0ES3_S9_PlNS6_17constant_iteratorIiNS6_11use_defaultESE_EENS6_10device_ptrIlEESH_PmS8_NS6_8equal_toIlEEEE10hipError_tPvRmT2_T3_mT4_T5_T6_T7_T8_P12ihipStream_tbENKUlT_T0_E_clISt17integral_constantIbLb0EES12_EEDaSX_SY_EUlSX_E_NS1_11comp_targetILNS1_3genE3ELNS1_11target_archE908ELNS1_3gpuE7ELNS1_3repE0EEENS1_30default_config_static_selectorELNS0_4arch9wavefront6targetE1EEEvT1_ ; -- Begin function _ZN7rocprim17ROCPRIM_400000_NS6detail17trampoline_kernelINS0_14default_configENS1_29reduce_by_key_config_selectorIllN6thrust23THRUST_200600_302600_NS4plusIlEEEEZZNS1_33reduce_by_key_impl_wrapped_configILNS1_25lookback_scan_determinismE0ES3_S9_PlNS6_17constant_iteratorIiNS6_11use_defaultESE_EENS6_10device_ptrIlEESH_PmS8_NS6_8equal_toIlEEEE10hipError_tPvRmT2_T3_mT4_T5_T6_T7_T8_P12ihipStream_tbENKUlT_T0_E_clISt17integral_constantIbLb0EES12_EEDaSX_SY_EUlSX_E_NS1_11comp_targetILNS1_3genE3ELNS1_11target_archE908ELNS1_3gpuE7ELNS1_3repE0EEENS1_30default_config_static_selectorELNS0_4arch9wavefront6targetE1EEEvT1_
	.globl	_ZN7rocprim17ROCPRIM_400000_NS6detail17trampoline_kernelINS0_14default_configENS1_29reduce_by_key_config_selectorIllN6thrust23THRUST_200600_302600_NS4plusIlEEEEZZNS1_33reduce_by_key_impl_wrapped_configILNS1_25lookback_scan_determinismE0ES3_S9_PlNS6_17constant_iteratorIiNS6_11use_defaultESE_EENS6_10device_ptrIlEESH_PmS8_NS6_8equal_toIlEEEE10hipError_tPvRmT2_T3_mT4_T5_T6_T7_T8_P12ihipStream_tbENKUlT_T0_E_clISt17integral_constantIbLb0EES12_EEDaSX_SY_EUlSX_E_NS1_11comp_targetILNS1_3genE3ELNS1_11target_archE908ELNS1_3gpuE7ELNS1_3repE0EEENS1_30default_config_static_selectorELNS0_4arch9wavefront6targetE1EEEvT1_
	.p2align	8
	.type	_ZN7rocprim17ROCPRIM_400000_NS6detail17trampoline_kernelINS0_14default_configENS1_29reduce_by_key_config_selectorIllN6thrust23THRUST_200600_302600_NS4plusIlEEEEZZNS1_33reduce_by_key_impl_wrapped_configILNS1_25lookback_scan_determinismE0ES3_S9_PlNS6_17constant_iteratorIiNS6_11use_defaultESE_EENS6_10device_ptrIlEESH_PmS8_NS6_8equal_toIlEEEE10hipError_tPvRmT2_T3_mT4_T5_T6_T7_T8_P12ihipStream_tbENKUlT_T0_E_clISt17integral_constantIbLb0EES12_EEDaSX_SY_EUlSX_E_NS1_11comp_targetILNS1_3genE3ELNS1_11target_archE908ELNS1_3gpuE7ELNS1_3repE0EEENS1_30default_config_static_selectorELNS0_4arch9wavefront6targetE1EEEvT1_,@function
_ZN7rocprim17ROCPRIM_400000_NS6detail17trampoline_kernelINS0_14default_configENS1_29reduce_by_key_config_selectorIllN6thrust23THRUST_200600_302600_NS4plusIlEEEEZZNS1_33reduce_by_key_impl_wrapped_configILNS1_25lookback_scan_determinismE0ES3_S9_PlNS6_17constant_iteratorIiNS6_11use_defaultESE_EENS6_10device_ptrIlEESH_PmS8_NS6_8equal_toIlEEEE10hipError_tPvRmT2_T3_mT4_T5_T6_T7_T8_P12ihipStream_tbENKUlT_T0_E_clISt17integral_constantIbLb0EES12_EEDaSX_SY_EUlSX_E_NS1_11comp_targetILNS1_3genE3ELNS1_11target_archE908ELNS1_3gpuE7ELNS1_3repE0EEENS1_30default_config_static_selectorELNS0_4arch9wavefront6targetE1EEEvT1_: ; @_ZN7rocprim17ROCPRIM_400000_NS6detail17trampoline_kernelINS0_14default_configENS1_29reduce_by_key_config_selectorIllN6thrust23THRUST_200600_302600_NS4plusIlEEEEZZNS1_33reduce_by_key_impl_wrapped_configILNS1_25lookback_scan_determinismE0ES3_S9_PlNS6_17constant_iteratorIiNS6_11use_defaultESE_EENS6_10device_ptrIlEESH_PmS8_NS6_8equal_toIlEEEE10hipError_tPvRmT2_T3_mT4_T5_T6_T7_T8_P12ihipStream_tbENKUlT_T0_E_clISt17integral_constantIbLb0EES12_EEDaSX_SY_EUlSX_E_NS1_11comp_targetILNS1_3genE3ELNS1_11target_archE908ELNS1_3gpuE7ELNS1_3repE0EEENS1_30default_config_static_selectorELNS0_4arch9wavefront6targetE1EEEvT1_
; %bb.0:
	.section	.rodata,"a",@progbits
	.p2align	6, 0x0
	.amdhsa_kernel _ZN7rocprim17ROCPRIM_400000_NS6detail17trampoline_kernelINS0_14default_configENS1_29reduce_by_key_config_selectorIllN6thrust23THRUST_200600_302600_NS4plusIlEEEEZZNS1_33reduce_by_key_impl_wrapped_configILNS1_25lookback_scan_determinismE0ES3_S9_PlNS6_17constant_iteratorIiNS6_11use_defaultESE_EENS6_10device_ptrIlEESH_PmS8_NS6_8equal_toIlEEEE10hipError_tPvRmT2_T3_mT4_T5_T6_T7_T8_P12ihipStream_tbENKUlT_T0_E_clISt17integral_constantIbLb0EES12_EEDaSX_SY_EUlSX_E_NS1_11comp_targetILNS1_3genE3ELNS1_11target_archE908ELNS1_3gpuE7ELNS1_3repE0EEENS1_30default_config_static_selectorELNS0_4arch9wavefront6targetE1EEEvT1_
		.amdhsa_group_segment_fixed_size 0
		.amdhsa_private_segment_fixed_size 0
		.amdhsa_kernarg_size 144
		.amdhsa_user_sgpr_count 6
		.amdhsa_user_sgpr_private_segment_buffer 1
		.amdhsa_user_sgpr_dispatch_ptr 0
		.amdhsa_user_sgpr_queue_ptr 0
		.amdhsa_user_sgpr_kernarg_segment_ptr 1
		.amdhsa_user_sgpr_dispatch_id 0
		.amdhsa_user_sgpr_flat_scratch_init 0
		.amdhsa_user_sgpr_private_segment_size 0
		.amdhsa_uses_dynamic_stack 0
		.amdhsa_system_sgpr_private_segment_wavefront_offset 0
		.amdhsa_system_sgpr_workgroup_id_x 1
		.amdhsa_system_sgpr_workgroup_id_y 0
		.amdhsa_system_sgpr_workgroup_id_z 0
		.amdhsa_system_sgpr_workgroup_info 0
		.amdhsa_system_vgpr_workitem_id 0
		.amdhsa_next_free_vgpr 1
		.amdhsa_next_free_sgpr 0
		.amdhsa_reserve_vcc 0
		.amdhsa_reserve_flat_scratch 0
		.amdhsa_float_round_mode_32 0
		.amdhsa_float_round_mode_16_64 0
		.amdhsa_float_denorm_mode_32 3
		.amdhsa_float_denorm_mode_16_64 3
		.amdhsa_dx10_clamp 1
		.amdhsa_ieee_mode 1
		.amdhsa_fp16_overflow 0
		.amdhsa_exception_fp_ieee_invalid_op 0
		.amdhsa_exception_fp_denorm_src 0
		.amdhsa_exception_fp_ieee_div_zero 0
		.amdhsa_exception_fp_ieee_overflow 0
		.amdhsa_exception_fp_ieee_underflow 0
		.amdhsa_exception_fp_ieee_inexact 0
		.amdhsa_exception_int_div_zero 0
	.end_amdhsa_kernel
	.section	.text._ZN7rocprim17ROCPRIM_400000_NS6detail17trampoline_kernelINS0_14default_configENS1_29reduce_by_key_config_selectorIllN6thrust23THRUST_200600_302600_NS4plusIlEEEEZZNS1_33reduce_by_key_impl_wrapped_configILNS1_25lookback_scan_determinismE0ES3_S9_PlNS6_17constant_iteratorIiNS6_11use_defaultESE_EENS6_10device_ptrIlEESH_PmS8_NS6_8equal_toIlEEEE10hipError_tPvRmT2_T3_mT4_T5_T6_T7_T8_P12ihipStream_tbENKUlT_T0_E_clISt17integral_constantIbLb0EES12_EEDaSX_SY_EUlSX_E_NS1_11comp_targetILNS1_3genE3ELNS1_11target_archE908ELNS1_3gpuE7ELNS1_3repE0EEENS1_30default_config_static_selectorELNS0_4arch9wavefront6targetE1EEEvT1_,"axG",@progbits,_ZN7rocprim17ROCPRIM_400000_NS6detail17trampoline_kernelINS0_14default_configENS1_29reduce_by_key_config_selectorIllN6thrust23THRUST_200600_302600_NS4plusIlEEEEZZNS1_33reduce_by_key_impl_wrapped_configILNS1_25lookback_scan_determinismE0ES3_S9_PlNS6_17constant_iteratorIiNS6_11use_defaultESE_EENS6_10device_ptrIlEESH_PmS8_NS6_8equal_toIlEEEE10hipError_tPvRmT2_T3_mT4_T5_T6_T7_T8_P12ihipStream_tbENKUlT_T0_E_clISt17integral_constantIbLb0EES12_EEDaSX_SY_EUlSX_E_NS1_11comp_targetILNS1_3genE3ELNS1_11target_archE908ELNS1_3gpuE7ELNS1_3repE0EEENS1_30default_config_static_selectorELNS0_4arch9wavefront6targetE1EEEvT1_,comdat
.Lfunc_end1207:
	.size	_ZN7rocprim17ROCPRIM_400000_NS6detail17trampoline_kernelINS0_14default_configENS1_29reduce_by_key_config_selectorIllN6thrust23THRUST_200600_302600_NS4plusIlEEEEZZNS1_33reduce_by_key_impl_wrapped_configILNS1_25lookback_scan_determinismE0ES3_S9_PlNS6_17constant_iteratorIiNS6_11use_defaultESE_EENS6_10device_ptrIlEESH_PmS8_NS6_8equal_toIlEEEE10hipError_tPvRmT2_T3_mT4_T5_T6_T7_T8_P12ihipStream_tbENKUlT_T0_E_clISt17integral_constantIbLb0EES12_EEDaSX_SY_EUlSX_E_NS1_11comp_targetILNS1_3genE3ELNS1_11target_archE908ELNS1_3gpuE7ELNS1_3repE0EEENS1_30default_config_static_selectorELNS0_4arch9wavefront6targetE1EEEvT1_, .Lfunc_end1207-_ZN7rocprim17ROCPRIM_400000_NS6detail17trampoline_kernelINS0_14default_configENS1_29reduce_by_key_config_selectorIllN6thrust23THRUST_200600_302600_NS4plusIlEEEEZZNS1_33reduce_by_key_impl_wrapped_configILNS1_25lookback_scan_determinismE0ES3_S9_PlNS6_17constant_iteratorIiNS6_11use_defaultESE_EENS6_10device_ptrIlEESH_PmS8_NS6_8equal_toIlEEEE10hipError_tPvRmT2_T3_mT4_T5_T6_T7_T8_P12ihipStream_tbENKUlT_T0_E_clISt17integral_constantIbLb0EES12_EEDaSX_SY_EUlSX_E_NS1_11comp_targetILNS1_3genE3ELNS1_11target_archE908ELNS1_3gpuE7ELNS1_3repE0EEENS1_30default_config_static_selectorELNS0_4arch9wavefront6targetE1EEEvT1_
                                        ; -- End function
	.set _ZN7rocprim17ROCPRIM_400000_NS6detail17trampoline_kernelINS0_14default_configENS1_29reduce_by_key_config_selectorIllN6thrust23THRUST_200600_302600_NS4plusIlEEEEZZNS1_33reduce_by_key_impl_wrapped_configILNS1_25lookback_scan_determinismE0ES3_S9_PlNS6_17constant_iteratorIiNS6_11use_defaultESE_EENS6_10device_ptrIlEESH_PmS8_NS6_8equal_toIlEEEE10hipError_tPvRmT2_T3_mT4_T5_T6_T7_T8_P12ihipStream_tbENKUlT_T0_E_clISt17integral_constantIbLb0EES12_EEDaSX_SY_EUlSX_E_NS1_11comp_targetILNS1_3genE3ELNS1_11target_archE908ELNS1_3gpuE7ELNS1_3repE0EEENS1_30default_config_static_selectorELNS0_4arch9wavefront6targetE1EEEvT1_.num_vgpr, 0
	.set _ZN7rocprim17ROCPRIM_400000_NS6detail17trampoline_kernelINS0_14default_configENS1_29reduce_by_key_config_selectorIllN6thrust23THRUST_200600_302600_NS4plusIlEEEEZZNS1_33reduce_by_key_impl_wrapped_configILNS1_25lookback_scan_determinismE0ES3_S9_PlNS6_17constant_iteratorIiNS6_11use_defaultESE_EENS6_10device_ptrIlEESH_PmS8_NS6_8equal_toIlEEEE10hipError_tPvRmT2_T3_mT4_T5_T6_T7_T8_P12ihipStream_tbENKUlT_T0_E_clISt17integral_constantIbLb0EES12_EEDaSX_SY_EUlSX_E_NS1_11comp_targetILNS1_3genE3ELNS1_11target_archE908ELNS1_3gpuE7ELNS1_3repE0EEENS1_30default_config_static_selectorELNS0_4arch9wavefront6targetE1EEEvT1_.num_agpr, 0
	.set _ZN7rocprim17ROCPRIM_400000_NS6detail17trampoline_kernelINS0_14default_configENS1_29reduce_by_key_config_selectorIllN6thrust23THRUST_200600_302600_NS4plusIlEEEEZZNS1_33reduce_by_key_impl_wrapped_configILNS1_25lookback_scan_determinismE0ES3_S9_PlNS6_17constant_iteratorIiNS6_11use_defaultESE_EENS6_10device_ptrIlEESH_PmS8_NS6_8equal_toIlEEEE10hipError_tPvRmT2_T3_mT4_T5_T6_T7_T8_P12ihipStream_tbENKUlT_T0_E_clISt17integral_constantIbLb0EES12_EEDaSX_SY_EUlSX_E_NS1_11comp_targetILNS1_3genE3ELNS1_11target_archE908ELNS1_3gpuE7ELNS1_3repE0EEENS1_30default_config_static_selectorELNS0_4arch9wavefront6targetE1EEEvT1_.numbered_sgpr, 0
	.set _ZN7rocprim17ROCPRIM_400000_NS6detail17trampoline_kernelINS0_14default_configENS1_29reduce_by_key_config_selectorIllN6thrust23THRUST_200600_302600_NS4plusIlEEEEZZNS1_33reduce_by_key_impl_wrapped_configILNS1_25lookback_scan_determinismE0ES3_S9_PlNS6_17constant_iteratorIiNS6_11use_defaultESE_EENS6_10device_ptrIlEESH_PmS8_NS6_8equal_toIlEEEE10hipError_tPvRmT2_T3_mT4_T5_T6_T7_T8_P12ihipStream_tbENKUlT_T0_E_clISt17integral_constantIbLb0EES12_EEDaSX_SY_EUlSX_E_NS1_11comp_targetILNS1_3genE3ELNS1_11target_archE908ELNS1_3gpuE7ELNS1_3repE0EEENS1_30default_config_static_selectorELNS0_4arch9wavefront6targetE1EEEvT1_.num_named_barrier, 0
	.set _ZN7rocprim17ROCPRIM_400000_NS6detail17trampoline_kernelINS0_14default_configENS1_29reduce_by_key_config_selectorIllN6thrust23THRUST_200600_302600_NS4plusIlEEEEZZNS1_33reduce_by_key_impl_wrapped_configILNS1_25lookback_scan_determinismE0ES3_S9_PlNS6_17constant_iteratorIiNS6_11use_defaultESE_EENS6_10device_ptrIlEESH_PmS8_NS6_8equal_toIlEEEE10hipError_tPvRmT2_T3_mT4_T5_T6_T7_T8_P12ihipStream_tbENKUlT_T0_E_clISt17integral_constantIbLb0EES12_EEDaSX_SY_EUlSX_E_NS1_11comp_targetILNS1_3genE3ELNS1_11target_archE908ELNS1_3gpuE7ELNS1_3repE0EEENS1_30default_config_static_selectorELNS0_4arch9wavefront6targetE1EEEvT1_.private_seg_size, 0
	.set _ZN7rocprim17ROCPRIM_400000_NS6detail17trampoline_kernelINS0_14default_configENS1_29reduce_by_key_config_selectorIllN6thrust23THRUST_200600_302600_NS4plusIlEEEEZZNS1_33reduce_by_key_impl_wrapped_configILNS1_25lookback_scan_determinismE0ES3_S9_PlNS6_17constant_iteratorIiNS6_11use_defaultESE_EENS6_10device_ptrIlEESH_PmS8_NS6_8equal_toIlEEEE10hipError_tPvRmT2_T3_mT4_T5_T6_T7_T8_P12ihipStream_tbENKUlT_T0_E_clISt17integral_constantIbLb0EES12_EEDaSX_SY_EUlSX_E_NS1_11comp_targetILNS1_3genE3ELNS1_11target_archE908ELNS1_3gpuE7ELNS1_3repE0EEENS1_30default_config_static_selectorELNS0_4arch9wavefront6targetE1EEEvT1_.uses_vcc, 0
	.set _ZN7rocprim17ROCPRIM_400000_NS6detail17trampoline_kernelINS0_14default_configENS1_29reduce_by_key_config_selectorIllN6thrust23THRUST_200600_302600_NS4plusIlEEEEZZNS1_33reduce_by_key_impl_wrapped_configILNS1_25lookback_scan_determinismE0ES3_S9_PlNS6_17constant_iteratorIiNS6_11use_defaultESE_EENS6_10device_ptrIlEESH_PmS8_NS6_8equal_toIlEEEE10hipError_tPvRmT2_T3_mT4_T5_T6_T7_T8_P12ihipStream_tbENKUlT_T0_E_clISt17integral_constantIbLb0EES12_EEDaSX_SY_EUlSX_E_NS1_11comp_targetILNS1_3genE3ELNS1_11target_archE908ELNS1_3gpuE7ELNS1_3repE0EEENS1_30default_config_static_selectorELNS0_4arch9wavefront6targetE1EEEvT1_.uses_flat_scratch, 0
	.set _ZN7rocprim17ROCPRIM_400000_NS6detail17trampoline_kernelINS0_14default_configENS1_29reduce_by_key_config_selectorIllN6thrust23THRUST_200600_302600_NS4plusIlEEEEZZNS1_33reduce_by_key_impl_wrapped_configILNS1_25lookback_scan_determinismE0ES3_S9_PlNS6_17constant_iteratorIiNS6_11use_defaultESE_EENS6_10device_ptrIlEESH_PmS8_NS6_8equal_toIlEEEE10hipError_tPvRmT2_T3_mT4_T5_T6_T7_T8_P12ihipStream_tbENKUlT_T0_E_clISt17integral_constantIbLb0EES12_EEDaSX_SY_EUlSX_E_NS1_11comp_targetILNS1_3genE3ELNS1_11target_archE908ELNS1_3gpuE7ELNS1_3repE0EEENS1_30default_config_static_selectorELNS0_4arch9wavefront6targetE1EEEvT1_.has_dyn_sized_stack, 0
	.set _ZN7rocprim17ROCPRIM_400000_NS6detail17trampoline_kernelINS0_14default_configENS1_29reduce_by_key_config_selectorIllN6thrust23THRUST_200600_302600_NS4plusIlEEEEZZNS1_33reduce_by_key_impl_wrapped_configILNS1_25lookback_scan_determinismE0ES3_S9_PlNS6_17constant_iteratorIiNS6_11use_defaultESE_EENS6_10device_ptrIlEESH_PmS8_NS6_8equal_toIlEEEE10hipError_tPvRmT2_T3_mT4_T5_T6_T7_T8_P12ihipStream_tbENKUlT_T0_E_clISt17integral_constantIbLb0EES12_EEDaSX_SY_EUlSX_E_NS1_11comp_targetILNS1_3genE3ELNS1_11target_archE908ELNS1_3gpuE7ELNS1_3repE0EEENS1_30default_config_static_selectorELNS0_4arch9wavefront6targetE1EEEvT1_.has_recursion, 0
	.set _ZN7rocprim17ROCPRIM_400000_NS6detail17trampoline_kernelINS0_14default_configENS1_29reduce_by_key_config_selectorIllN6thrust23THRUST_200600_302600_NS4plusIlEEEEZZNS1_33reduce_by_key_impl_wrapped_configILNS1_25lookback_scan_determinismE0ES3_S9_PlNS6_17constant_iteratorIiNS6_11use_defaultESE_EENS6_10device_ptrIlEESH_PmS8_NS6_8equal_toIlEEEE10hipError_tPvRmT2_T3_mT4_T5_T6_T7_T8_P12ihipStream_tbENKUlT_T0_E_clISt17integral_constantIbLb0EES12_EEDaSX_SY_EUlSX_E_NS1_11comp_targetILNS1_3genE3ELNS1_11target_archE908ELNS1_3gpuE7ELNS1_3repE0EEENS1_30default_config_static_selectorELNS0_4arch9wavefront6targetE1EEEvT1_.has_indirect_call, 0
	.section	.AMDGPU.csdata,"",@progbits
; Kernel info:
; codeLenInByte = 0
; TotalNumSgprs: 4
; NumVgprs: 0
; ScratchSize: 0
; MemoryBound: 0
; FloatMode: 240
; IeeeMode: 1
; LDSByteSize: 0 bytes/workgroup (compile time only)
; SGPRBlocks: 0
; VGPRBlocks: 0
; NumSGPRsForWavesPerEU: 4
; NumVGPRsForWavesPerEU: 1
; Occupancy: 10
; WaveLimiterHint : 0
; COMPUTE_PGM_RSRC2:SCRATCH_EN: 0
; COMPUTE_PGM_RSRC2:USER_SGPR: 6
; COMPUTE_PGM_RSRC2:TRAP_HANDLER: 0
; COMPUTE_PGM_RSRC2:TGID_X_EN: 1
; COMPUTE_PGM_RSRC2:TGID_Y_EN: 0
; COMPUTE_PGM_RSRC2:TGID_Z_EN: 0
; COMPUTE_PGM_RSRC2:TIDIG_COMP_CNT: 0
	.section	.text._ZN7rocprim17ROCPRIM_400000_NS6detail17trampoline_kernelINS0_14default_configENS1_29reduce_by_key_config_selectorIllN6thrust23THRUST_200600_302600_NS4plusIlEEEEZZNS1_33reduce_by_key_impl_wrapped_configILNS1_25lookback_scan_determinismE0ES3_S9_PlNS6_17constant_iteratorIiNS6_11use_defaultESE_EENS6_10device_ptrIlEESH_PmS8_NS6_8equal_toIlEEEE10hipError_tPvRmT2_T3_mT4_T5_T6_T7_T8_P12ihipStream_tbENKUlT_T0_E_clISt17integral_constantIbLb0EES12_EEDaSX_SY_EUlSX_E_NS1_11comp_targetILNS1_3genE2ELNS1_11target_archE906ELNS1_3gpuE6ELNS1_3repE0EEENS1_30default_config_static_selectorELNS0_4arch9wavefront6targetE1EEEvT1_,"axG",@progbits,_ZN7rocprim17ROCPRIM_400000_NS6detail17trampoline_kernelINS0_14default_configENS1_29reduce_by_key_config_selectorIllN6thrust23THRUST_200600_302600_NS4plusIlEEEEZZNS1_33reduce_by_key_impl_wrapped_configILNS1_25lookback_scan_determinismE0ES3_S9_PlNS6_17constant_iteratorIiNS6_11use_defaultESE_EENS6_10device_ptrIlEESH_PmS8_NS6_8equal_toIlEEEE10hipError_tPvRmT2_T3_mT4_T5_T6_T7_T8_P12ihipStream_tbENKUlT_T0_E_clISt17integral_constantIbLb0EES12_EEDaSX_SY_EUlSX_E_NS1_11comp_targetILNS1_3genE2ELNS1_11target_archE906ELNS1_3gpuE6ELNS1_3repE0EEENS1_30default_config_static_selectorELNS0_4arch9wavefront6targetE1EEEvT1_,comdat
	.protected	_ZN7rocprim17ROCPRIM_400000_NS6detail17trampoline_kernelINS0_14default_configENS1_29reduce_by_key_config_selectorIllN6thrust23THRUST_200600_302600_NS4plusIlEEEEZZNS1_33reduce_by_key_impl_wrapped_configILNS1_25lookback_scan_determinismE0ES3_S9_PlNS6_17constant_iteratorIiNS6_11use_defaultESE_EENS6_10device_ptrIlEESH_PmS8_NS6_8equal_toIlEEEE10hipError_tPvRmT2_T3_mT4_T5_T6_T7_T8_P12ihipStream_tbENKUlT_T0_E_clISt17integral_constantIbLb0EES12_EEDaSX_SY_EUlSX_E_NS1_11comp_targetILNS1_3genE2ELNS1_11target_archE906ELNS1_3gpuE6ELNS1_3repE0EEENS1_30default_config_static_selectorELNS0_4arch9wavefront6targetE1EEEvT1_ ; -- Begin function _ZN7rocprim17ROCPRIM_400000_NS6detail17trampoline_kernelINS0_14default_configENS1_29reduce_by_key_config_selectorIllN6thrust23THRUST_200600_302600_NS4plusIlEEEEZZNS1_33reduce_by_key_impl_wrapped_configILNS1_25lookback_scan_determinismE0ES3_S9_PlNS6_17constant_iteratorIiNS6_11use_defaultESE_EENS6_10device_ptrIlEESH_PmS8_NS6_8equal_toIlEEEE10hipError_tPvRmT2_T3_mT4_T5_T6_T7_T8_P12ihipStream_tbENKUlT_T0_E_clISt17integral_constantIbLb0EES12_EEDaSX_SY_EUlSX_E_NS1_11comp_targetILNS1_3genE2ELNS1_11target_archE906ELNS1_3gpuE6ELNS1_3repE0EEENS1_30default_config_static_selectorELNS0_4arch9wavefront6targetE1EEEvT1_
	.globl	_ZN7rocprim17ROCPRIM_400000_NS6detail17trampoline_kernelINS0_14default_configENS1_29reduce_by_key_config_selectorIllN6thrust23THRUST_200600_302600_NS4plusIlEEEEZZNS1_33reduce_by_key_impl_wrapped_configILNS1_25lookback_scan_determinismE0ES3_S9_PlNS6_17constant_iteratorIiNS6_11use_defaultESE_EENS6_10device_ptrIlEESH_PmS8_NS6_8equal_toIlEEEE10hipError_tPvRmT2_T3_mT4_T5_T6_T7_T8_P12ihipStream_tbENKUlT_T0_E_clISt17integral_constantIbLb0EES12_EEDaSX_SY_EUlSX_E_NS1_11comp_targetILNS1_3genE2ELNS1_11target_archE906ELNS1_3gpuE6ELNS1_3repE0EEENS1_30default_config_static_selectorELNS0_4arch9wavefront6targetE1EEEvT1_
	.p2align	8
	.type	_ZN7rocprim17ROCPRIM_400000_NS6detail17trampoline_kernelINS0_14default_configENS1_29reduce_by_key_config_selectorIllN6thrust23THRUST_200600_302600_NS4plusIlEEEEZZNS1_33reduce_by_key_impl_wrapped_configILNS1_25lookback_scan_determinismE0ES3_S9_PlNS6_17constant_iteratorIiNS6_11use_defaultESE_EENS6_10device_ptrIlEESH_PmS8_NS6_8equal_toIlEEEE10hipError_tPvRmT2_T3_mT4_T5_T6_T7_T8_P12ihipStream_tbENKUlT_T0_E_clISt17integral_constantIbLb0EES12_EEDaSX_SY_EUlSX_E_NS1_11comp_targetILNS1_3genE2ELNS1_11target_archE906ELNS1_3gpuE6ELNS1_3repE0EEENS1_30default_config_static_selectorELNS0_4arch9wavefront6targetE1EEEvT1_,@function
_ZN7rocprim17ROCPRIM_400000_NS6detail17trampoline_kernelINS0_14default_configENS1_29reduce_by_key_config_selectorIllN6thrust23THRUST_200600_302600_NS4plusIlEEEEZZNS1_33reduce_by_key_impl_wrapped_configILNS1_25lookback_scan_determinismE0ES3_S9_PlNS6_17constant_iteratorIiNS6_11use_defaultESE_EENS6_10device_ptrIlEESH_PmS8_NS6_8equal_toIlEEEE10hipError_tPvRmT2_T3_mT4_T5_T6_T7_T8_P12ihipStream_tbENKUlT_T0_E_clISt17integral_constantIbLb0EES12_EEDaSX_SY_EUlSX_E_NS1_11comp_targetILNS1_3genE2ELNS1_11target_archE906ELNS1_3gpuE6ELNS1_3repE0EEENS1_30default_config_static_selectorELNS0_4arch9wavefront6targetE1EEEvT1_: ; @_ZN7rocprim17ROCPRIM_400000_NS6detail17trampoline_kernelINS0_14default_configENS1_29reduce_by_key_config_selectorIllN6thrust23THRUST_200600_302600_NS4plusIlEEEEZZNS1_33reduce_by_key_impl_wrapped_configILNS1_25lookback_scan_determinismE0ES3_S9_PlNS6_17constant_iteratorIiNS6_11use_defaultESE_EENS6_10device_ptrIlEESH_PmS8_NS6_8equal_toIlEEEE10hipError_tPvRmT2_T3_mT4_T5_T6_T7_T8_P12ihipStream_tbENKUlT_T0_E_clISt17integral_constantIbLb0EES12_EEDaSX_SY_EUlSX_E_NS1_11comp_targetILNS1_3genE2ELNS1_11target_archE906ELNS1_3gpuE6ELNS1_3repE0EEENS1_30default_config_static_selectorELNS0_4arch9wavefront6targetE1EEEvT1_
; %bb.0:
	s_load_dwordx16 s[40:55], s[4:5], 0x40
	s_load_dwordx4 s[8:11], s[4:5], 0x0
	s_load_dword s12, s[4:5], 0x18
	s_load_dwordx4 s[56:59], s[4:5], 0x20
	s_load_dwordx2 s[38:39], s[4:5], 0x30
	s_add_u32 s0, s0, s7
	s_waitcnt lgkmcnt(0)
	s_mul_i32 s7, s48, s47
	s_mul_hi_u32 s13, s48, s46
	s_addc_u32 s1, s1, 0
	s_add_i32 s7, s13, s7
	s_mul_i32 s13, s49, s46
	s_add_i32 s7, s7, s13
	s_lshl_b64 s[10:11], s[10:11], 3
	s_add_u32 s10, s8, s10
	s_addc_u32 s11, s9, s11
	s_mul_i32 s8, s6, 0xf00
	s_mov_b32 s9, 0
	s_lshl_b64 s[8:9], s[8:9], 3
	s_add_u32 s62, s10, s8
	s_mul_i32 s13, s48, s46
	s_addc_u32 s63, s11, s9
	s_add_u32 s8, s13, s6
	s_addc_u32 s9, s7, 0
	s_add_u32 s16, s50, -1
	s_addc_u32 s17, s51, -1
	s_cmp_eq_u64 s[8:9], s[16:17]
	s_cselect_b64 s[48:49], -1, 0
	s_cmp_lg_u64 s[8:9], s[16:17]
	s_mov_b64 s[14:15], -1
	s_cselect_b64 s[10:11], -1, 0
	s_mul_i32 s33, s16, 0xfffff100
	s_and_b64 vcc, exec, s[48:49]
	s_cbranch_vccnz .LBB1208_2
; %bb.1:
	v_lshlrev_b32_e32 v35, 3, v0
	v_mov_b32_e32 v1, s63
	v_add_co_u32_e32 v29, vcc, s62, v35
	v_addc_co_u32_e32 v30, vcc, 0, v1, vcc
	v_add_co_u32_e32 v1, vcc, 0x1000, v29
	v_addc_co_u32_e32 v2, vcc, 0, v30, vcc
	global_load_dwordx2 v[3:4], v35, s[62:63]
	global_load_dwordx2 v[5:6], v35, s[62:63] offset:2048
	global_load_dwordx2 v[7:8], v[1:2], off
	global_load_dwordx2 v[9:10], v[1:2], off offset:2048
	v_add_co_u32_e32 v1, vcc, 0x2000, v29
	v_addc_co_u32_e32 v2, vcc, 0, v30, vcc
	v_add_co_u32_e32 v11, vcc, 0x3000, v29
	v_addc_co_u32_e32 v12, vcc, 0, v30, vcc
	global_load_dwordx2 v[13:14], v[1:2], off
	global_load_dwordx2 v[15:16], v[1:2], off offset:2048
	global_load_dwordx2 v[17:18], v[11:12], off
	global_load_dwordx2 v[19:20], v[11:12], off offset:2048
	v_add_co_u32_e32 v1, vcc, 0x4000, v29
	v_addc_co_u32_e32 v2, vcc, 0, v30, vcc
	v_add_co_u32_e32 v11, vcc, 0x5000, v29
	v_addc_co_u32_e32 v12, vcc, 0, v30, vcc
	global_load_dwordx2 v[21:22], v[1:2], off
	global_load_dwordx2 v[23:24], v[1:2], off offset:2048
	;; [unrolled: 8-line block ×3, first 2 shown]
	global_load_dwordx2 v[33:34], v[11:12], off
	s_movk_i32 s7, 0x70
	v_mad_u32_u24 v53, v0, s7, v35
	s_ashr_i32 s13, s12, 31
	v_mov_b32_e32 v1, s12
	v_mov_b32_e32 v2, s13
	s_waitcnt vmcnt(13)
	ds_write2st64_b64 v35, v[3:4], v[5:6] offset1:4
	s_waitcnt vmcnt(11)
	ds_write2st64_b64 v35, v[7:8], v[9:10] offset0:8 offset1:12
	s_waitcnt vmcnt(9)
	ds_write2st64_b64 v35, v[13:14], v[15:16] offset0:16 offset1:20
	;; [unrolled: 2-line block ×6, first 2 shown]
	s_waitcnt vmcnt(0)
	ds_write_b64 v35, v[33:34] offset:28672
	s_waitcnt lgkmcnt(0)
	s_barrier
	ds_read2_b64 v[29:32], v53 offset1:1
	ds_read2_b64 v[25:28], v53 offset0:2 offset1:3
	ds_read2_b64 v[21:24], v53 offset0:4 offset1:5
	;; [unrolled: 1-line block ×6, first 2 shown]
	ds_read_b64 v[57:58], v53 offset:112
	s_waitcnt lgkmcnt(0)
	s_barrier
	ds_write2st64_b64 v35, v[1:2], v[1:2] offset1:4
	ds_write2st64_b64 v35, v[1:2], v[1:2] offset0:8 offset1:12
	ds_write2st64_b64 v35, v[1:2], v[1:2] offset0:16 offset1:20
	;; [unrolled: 1-line block ×6, first 2 shown]
	ds_write_b64 v35, v[1:2] offset:28672
	s_waitcnt lgkmcnt(0)
	s_barrier
	s_load_dwordx2 s[60:61], s[4:5], 0x80
	s_add_i32 s33, s33, s52
	s_cbranch_execz .LBB1208_3
	s_branch .LBB1208_34
.LBB1208_2:
                                        ; implicit-def: $vgpr29_vgpr30
                                        ; implicit-def: $vgpr25_vgpr26
                                        ; implicit-def: $vgpr21_vgpr22
                                        ; implicit-def: $vgpr17_vgpr18
                                        ; implicit-def: $vgpr13_vgpr14
                                        ; implicit-def: $vgpr9_vgpr10
                                        ; implicit-def: $vgpr5_vgpr6
                                        ; implicit-def: $vgpr57_vgpr58
                                        ; implicit-def: $vgpr53
	s_load_dwordx2 s[60:61], s[4:5], 0x80
	s_andn2_b64 vcc, exec, s[14:15]
	s_add_i32 s33, s33, s52
	s_cbranch_vccnz .LBB1208_34
.LBB1208_3:
	v_cmp_gt_u32_e32 vcc, s33, v0
                                        ; implicit-def: $vgpr1_vgpr2
	s_and_saveexec_b64 s[4:5], vcc
	s_cbranch_execz .LBB1208_5
; %bb.4:
	v_lshlrev_b32_e32 v1, 3, v0
	global_load_dwordx2 v[1:2], v1, s[62:63]
.LBB1208_5:
	s_or_b64 exec, exec, s[4:5]
	v_or_b32_e32 v3, 0x100, v0
	v_cmp_gt_u32_e32 vcc, s33, v3
                                        ; implicit-def: $vgpr3_vgpr4
	s_and_saveexec_b64 s[4:5], vcc
	s_cbranch_execz .LBB1208_7
; %bb.6:
	v_lshlrev_b32_e32 v3, 3, v0
	global_load_dwordx2 v[3:4], v3, s[62:63] offset:2048
.LBB1208_7:
	s_or_b64 exec, exec, s[4:5]
	v_or_b32_e32 v7, 0x200, v0
	v_cmp_gt_u32_e32 vcc, s33, v7
                                        ; implicit-def: $vgpr5_vgpr6
	s_and_saveexec_b64 s[4:5], vcc
	s_cbranch_execz .LBB1208_9
; %bb.8:
	v_lshlrev_b32_e32 v5, 3, v7
	global_load_dwordx2 v[5:6], v5, s[62:63]
.LBB1208_9:
	s_or_b64 exec, exec, s[4:5]
	v_or_b32_e32 v9, 0x300, v0
	v_cmp_gt_u32_e32 vcc, s33, v9
                                        ; implicit-def: $vgpr7_vgpr8
	s_and_saveexec_b64 s[4:5], vcc
	s_cbranch_execz .LBB1208_11
; %bb.10:
	v_lshlrev_b32_e32 v7, 3, v9
	global_load_dwordx2 v[7:8], v7, s[62:63]
.LBB1208_11:
	s_or_b64 exec, exec, s[4:5]
	v_or_b32_e32 v11, 0x400, v0
	v_cmp_gt_u32_e32 vcc, s33, v11
                                        ; implicit-def: $vgpr9_vgpr10
	s_and_saveexec_b64 s[4:5], vcc
	s_cbranch_execz .LBB1208_13
; %bb.12:
	v_lshlrev_b32_e32 v9, 3, v11
	global_load_dwordx2 v[9:10], v9, s[62:63]
.LBB1208_13:
	s_or_b64 exec, exec, s[4:5]
	v_or_b32_e32 v13, 0x500, v0
	v_cmp_gt_u32_e32 vcc, s33, v13
                                        ; implicit-def: $vgpr11_vgpr12
	s_and_saveexec_b64 s[4:5], vcc
	s_cbranch_execz .LBB1208_15
; %bb.14:
	v_lshlrev_b32_e32 v11, 3, v13
	global_load_dwordx2 v[11:12], v11, s[62:63]
.LBB1208_15:
	s_or_b64 exec, exec, s[4:5]
	v_or_b32_e32 v15, 0x600, v0
	v_cmp_gt_u32_e32 vcc, s33, v15
                                        ; implicit-def: $vgpr13_vgpr14
	s_and_saveexec_b64 s[4:5], vcc
	s_cbranch_execz .LBB1208_17
; %bb.16:
	v_lshlrev_b32_e32 v13, 3, v15
	global_load_dwordx2 v[13:14], v13, s[62:63]
.LBB1208_17:
	s_or_b64 exec, exec, s[4:5]
	v_or_b32_e32 v17, 0x700, v0
	v_cmp_gt_u32_e32 vcc, s33, v17
                                        ; implicit-def: $vgpr15_vgpr16
	s_and_saveexec_b64 s[4:5], vcc
	s_cbranch_execz .LBB1208_19
; %bb.18:
	v_lshlrev_b32_e32 v15, 3, v17
	global_load_dwordx2 v[15:16], v15, s[62:63]
.LBB1208_19:
	s_or_b64 exec, exec, s[4:5]
	v_or_b32_e32 v19, 0x800, v0
	v_cmp_gt_u32_e32 vcc, s33, v19
                                        ; implicit-def: $vgpr17_vgpr18
	s_and_saveexec_b64 s[4:5], vcc
	s_cbranch_execz .LBB1208_21
; %bb.20:
	v_lshlrev_b32_e32 v17, 3, v19
	global_load_dwordx2 v[17:18], v17, s[62:63]
.LBB1208_21:
	s_or_b64 exec, exec, s[4:5]
	v_or_b32_e32 v21, 0x900, v0
	v_cmp_gt_u32_e32 vcc, s33, v21
                                        ; implicit-def: $vgpr19_vgpr20
	s_and_saveexec_b64 s[4:5], vcc
	s_cbranch_execz .LBB1208_23
; %bb.22:
	v_lshlrev_b32_e32 v19, 3, v21
	global_load_dwordx2 v[19:20], v19, s[62:63]
.LBB1208_23:
	s_or_b64 exec, exec, s[4:5]
	v_or_b32_e32 v23, 0xa00, v0
	v_cmp_gt_u32_e32 vcc, s33, v23
                                        ; implicit-def: $vgpr21_vgpr22
	s_and_saveexec_b64 s[4:5], vcc
	s_cbranch_execz .LBB1208_25
; %bb.24:
	v_lshlrev_b32_e32 v21, 3, v23
	global_load_dwordx2 v[21:22], v21, s[62:63]
.LBB1208_25:
	s_or_b64 exec, exec, s[4:5]
	v_or_b32_e32 v25, 0xb00, v0
	v_cmp_gt_u32_e32 vcc, s33, v25
                                        ; implicit-def: $vgpr23_vgpr24
	s_and_saveexec_b64 s[4:5], vcc
	s_cbranch_execz .LBB1208_27
; %bb.26:
	v_lshlrev_b32_e32 v23, 3, v25
	global_load_dwordx2 v[23:24], v23, s[62:63]
.LBB1208_27:
	s_or_b64 exec, exec, s[4:5]
	v_or_b32_e32 v27, 0xc00, v0
	v_cmp_gt_u32_e32 vcc, s33, v27
                                        ; implicit-def: $vgpr25_vgpr26
	s_and_saveexec_b64 s[4:5], vcc
	s_cbranch_execz .LBB1208_29
; %bb.28:
	v_lshlrev_b32_e32 v25, 3, v27
	global_load_dwordx2 v[25:26], v25, s[62:63]
.LBB1208_29:
	s_or_b64 exec, exec, s[4:5]
	v_or_b32_e32 v29, 0xd00, v0
	v_cmp_gt_u32_e32 vcc, s33, v29
                                        ; implicit-def: $vgpr27_vgpr28
	s_and_saveexec_b64 s[4:5], vcc
	s_cbranch_execz .LBB1208_31
; %bb.30:
	v_lshlrev_b32_e32 v27, 3, v29
	global_load_dwordx2 v[27:28], v27, s[62:63]
.LBB1208_31:
	s_or_b64 exec, exec, s[4:5]
	v_or_b32_e32 v31, 0xe00, v0
	v_cmp_gt_u32_e32 vcc, s33, v31
                                        ; implicit-def: $vgpr29_vgpr30
	s_and_saveexec_b64 s[4:5], vcc
	s_cbranch_execz .LBB1208_33
; %bb.32:
	v_lshlrev_b32_e32 v29, 3, v31
	global_load_dwordx2 v[29:30], v29, s[62:63]
.LBB1208_33:
	s_or_b64 exec, exec, s[4:5]
	v_lshlrev_b32_e32 v33, 3, v0
	s_movk_i32 s4, 0x70
	v_mad_u32_u24 v53, v0, s4, v33
	s_waitcnt vmcnt(0)
	ds_write2st64_b64 v33, v[1:2], v[3:4] offset1:4
	ds_write2st64_b64 v33, v[5:6], v[7:8] offset0:8 offset1:12
	ds_write2st64_b64 v33, v[9:10], v[11:12] offset0:16 offset1:20
	;; [unrolled: 1-line block ×6, first 2 shown]
	ds_write_b64 v33, v[29:30] offset:28672
	s_waitcnt lgkmcnt(0)
	s_barrier
	ds_read2_b64 v[29:32], v53 offset1:1
	ds_read2_b64 v[25:28], v53 offset0:2 offset1:3
	ds_read2_b64 v[21:24], v53 offset0:4 offset1:5
	;; [unrolled: 1-line block ×6, first 2 shown]
	ds_read_b64 v[57:58], v53 offset:112
	s_ashr_i32 s13, s12, 31
	v_mov_b32_e32 v1, s12
	v_mov_b32_e32 v2, s13
	s_waitcnt lgkmcnt(0)
	s_barrier
	ds_write2st64_b64 v33, v[1:2], v[1:2] offset1:4
	ds_write2st64_b64 v33, v[1:2], v[1:2] offset0:8 offset1:12
	ds_write2st64_b64 v33, v[1:2], v[1:2] offset0:16 offset1:20
	ds_write2st64_b64 v33, v[1:2], v[1:2] offset0:24 offset1:28
	ds_write2st64_b64 v33, v[1:2], v[1:2] offset0:32 offset1:36
	ds_write2st64_b64 v33, v[1:2], v[1:2] offset0:40 offset1:44
	ds_write2st64_b64 v33, v[1:2], v[1:2] offset0:48 offset1:52
	ds_write_b64 v33, v[1:2] offset:28672
	s_waitcnt lgkmcnt(0)
	s_barrier
.LBB1208_34:
	s_waitcnt lgkmcnt(0)
	ds_read_b64 v[64:65], v53 offset:112
	ds_read2_b64 v[1:4], v53 offset0:12 offset1:13
	ds_read2_b64 v[33:36], v53 offset0:10 offset1:11
	;; [unrolled: 1-line block ×6, first 2 shown]
	ds_read2_b64 v[53:56], v53 offset1:1
	s_cmp_eq_u64 s[8:9], 0
	s_cselect_b64 s[50:51], -1, 0
	s_cmp_lg_u64 s[8:9], 0
	s_mov_b64 s[64:65], 0
	s_cselect_b64 s[4:5], -1, 0
	s_and_b64 vcc, exec, s[10:11]
	s_waitcnt lgkmcnt(0)
	s_barrier
	s_cbranch_vccz .LBB1208_39
; %bb.35:
	s_and_b64 vcc, exec, s[4:5]
	s_cbranch_vccz .LBB1208_40
; %bb.36:
	v_cmp_ne_u64_e32 vcc, v[7:8], v[57:58]
	s_add_u32 s10, s62, -8
	v_cndmask_b32_e64 v59, 0, 1, vcc
	v_cmp_ne_u64_e32 vcc, v[5:6], v[7:8]
	buffer_store_dword v59, off, s[0:3], 0 offset:56
	v_cndmask_b32_e64 v59, 0, 1, vcc
	v_cmp_ne_u64_e32 vcc, v[11:12], v[5:6]
	buffer_store_dword v59, off, s[0:3], 0 offset:52
	;; [unrolled: 3-line block ×10, first 2 shown]
	v_cndmask_b32_e64 v59, 0, 1, vcc
	v_cmp_ne_u64_e32 vcc, v[25:26], v[27:28]
	s_addc_u32 s11, s63, -1
	s_load_dwordx2 s[10:11], s[10:11], 0x0
	buffer_store_dword v59, off, s[0:3], 0 offset:16
	v_cndmask_b32_e64 v59, 0, 1, vcc
	v_cmp_ne_u64_e32 vcc, v[31:32], v[25:26]
	buffer_store_dword v59, off, s[0:3], 0 offset:12
	v_cndmask_b32_e64 v59, 0, 1, vcc
	v_cmp_ne_u64_e32 vcc, v[29:30], v[31:32]
	buffer_store_dword v59, off, s[0:3], 0 offset:8
	v_cndmask_b32_e64 v59, 0, 1, vcc
	buffer_store_dword v59, off, s[0:3], 0 offset:4
	s_waitcnt lgkmcnt(0)
	v_mov_b32_e32 v60, s11
	v_lshlrev_b32_e32 v61, 3, v0
	v_cmp_ne_u32_e32 vcc, 0, v0
	v_mov_b32_e32 v59, s10
	ds_write_b64 v61, v[57:58]
	s_waitcnt vmcnt(0) lgkmcnt(0)
	s_barrier
	s_and_saveexec_b64 s[10:11], vcc
; %bb.37:
	v_add_u32_e32 v59, -8, v61
	ds_read_b64 v[59:60], v59
; %bb.38:
	s_or_b64 exec, exec, s[10:11]
	s_waitcnt lgkmcnt(0)
	v_cmp_ne_u64_e64 s[10:11], v[59:60], v[29:30]
	s_mov_b64 s[64:65], -1
	s_branch .LBB1208_44
.LBB1208_39:
                                        ; implicit-def: $sgpr10_sgpr11
	s_cbranch_execnz .LBB1208_45
	s_branch .LBB1208_53
.LBB1208_40:
                                        ; implicit-def: $sgpr10_sgpr11
	s_cbranch_execz .LBB1208_44
; %bb.41:
	v_cmp_ne_u64_e32 vcc, v[7:8], v[57:58]
	v_lshlrev_b32_e32 v59, 3, v0
	v_cndmask_b32_e64 v60, 0, 1, vcc
	v_cmp_ne_u64_e32 vcc, v[5:6], v[7:8]
	buffer_store_dword v60, off, s[0:3], 0 offset:56
	v_cndmask_b32_e64 v60, 0, 1, vcc
	v_cmp_ne_u64_e32 vcc, v[11:12], v[5:6]
	buffer_store_dword v60, off, s[0:3], 0 offset:52
	;; [unrolled: 3-line block ×13, first 2 shown]
	v_cndmask_b32_e64 v60, 0, 1, vcc
	buffer_store_dword v60, off, s[0:3], 0 offset:4
	v_mov_b32_e32 v60, 1
	v_cmp_ne_u32_e32 vcc, 0, v0
	ds_write_b64 v59, v[57:58]
	s_waitcnt vmcnt(0) lgkmcnt(0)
	s_barrier
	buffer_store_dword v60, off, s[0:3], 0
                                        ; implicit-def: $sgpr10_sgpr11
	s_and_saveexec_b64 s[12:13], vcc
	s_xor_b64 s[12:13], exec, s[12:13]
	s_cbranch_execz .LBB1208_43
; %bb.42:
	v_add_u32_e32 v59, -8, v59
	ds_read_b64 v[59:60], v59
	s_or_b64 s[64:65], s[64:65], exec
	s_waitcnt lgkmcnt(0)
	v_cmp_ne_u64_e64 s[10:11], v[59:60], v[29:30]
.LBB1208_43:
	s_or_b64 exec, exec, s[12:13]
.LBB1208_44:
	s_branch .LBB1208_53
.LBB1208_45:
	s_mul_i32 s7, s9, 0xfffff100
	s_mul_hi_u32 s9, s8, 0xfffff100
	s_sub_i32 s9, s9, s8
	s_add_i32 s9, s9, s7
	s_mul_i32 s7, s8, 0xfffff100
	s_add_u32 s52, s7, s52
	s_addc_u32 s53, s9, s53
	s_and_b64 vcc, exec, s[4:5]
	v_cmp_ne_u64_e64 s[34:35], v[7:8], v[57:58]
	v_cmp_ne_u64_e64 s[30:31], v[5:6], v[7:8]
	v_cmp_ne_u64_e64 s[28:29], v[11:12], v[5:6]
	v_cmp_ne_u64_e64 s[26:27], v[9:10], v[11:12]
	v_cmp_ne_u64_e64 s[24:25], v[15:16], v[9:10]
	v_cmp_ne_u64_e64 s[22:23], v[13:14], v[15:16]
	v_cmp_ne_u64_e64 s[20:21], v[19:20], v[13:14]
	v_cmp_ne_u64_e64 s[18:19], v[17:18], v[19:20]
	v_cmp_ne_u64_e64 s[16:17], v[23:24], v[17:18]
	v_cmp_ne_u64_e64 s[14:15], v[21:22], v[23:24]
	v_cmp_ne_u64_e64 s[12:13], v[27:28], v[21:22]
	v_cmp_ne_u64_e64 s[10:11], v[25:26], v[27:28]
	v_cmp_ne_u64_e64 s[36:37], v[31:32], v[25:26]
	v_cmp_ne_u64_e64 s[4:5], v[29:30], v[31:32]
	v_mad_u32_u24 v59, v0, 15, 14
	v_mad_u32_u24 v88, v0, 15, 13
	;; [unrolled: 1-line block ×14, first 2 shown]
	v_cmp_ne_u32_e64 s[8:9], 0, v0
	s_cbranch_vccz .LBB1208_49
; %bb.46:
	v_mov_b32_e32 v60, 0
	global_load_dwordx2 v[90:91], v60, s[62:63] offset:-8
	v_cmp_gt_u64_e32 vcc, s[52:53], v[59:60]
	v_mov_b32_e32 v89, v60
	s_and_b64 s[34:35], vcc, s[34:35]
	v_cmp_gt_u64_e32 vcc, s[52:53], v[88:89]
	v_mov_b32_e32 v87, v60
	s_and_b64 s[30:31], vcc, s[30:31]
	;; [unrolled: 3-line block ×6, first 2 shown]
	v_cmp_gt_u64_e32 vcc, s[52:53], v[78:79]
	v_mov_b32_e32 v77, v60
	v_cndmask_b32_e64 v62, 0, 1, s[34:35]
	s_and_b64 s[20:21], vcc, s[20:21]
	v_cmp_gt_u64_e32 vcc, s[52:53], v[76:77]
	buffer_store_dword v62, off, s[0:3], 0 offset:56
	v_cndmask_b32_e64 v62, 0, 1, s[30:31]
	v_mov_b32_e32 v75, v60
	buffer_store_dword v62, off, s[0:3], 0 offset:52
	v_cndmask_b32_e64 v62, 0, 1, s[28:29]
	s_and_b64 s[18:19], vcc, s[18:19]
	v_cmp_gt_u64_e32 vcc, s[52:53], v[74:75]
	buffer_store_dword v62, off, s[0:3], 0 offset:48
	v_cndmask_b32_e64 v62, 0, 1, s[26:27]
	v_mov_b32_e32 v73, v60
	buffer_store_dword v62, off, s[0:3], 0 offset:44
	;; [unrolled: 7-line block ×4, first 2 shown]
	v_cndmask_b32_e64 v62, 0, 1, s[16:17]
	s_and_b64 s[12:13], vcc, s[12:13]
	v_cmp_gt_u64_e32 vcc, s[52:53], v[68:69]
	buffer_store_dword v62, off, s[0:3], 0 offset:24
	v_cndmask_b32_e64 v62, 0, 1, s[14:15]
	buffer_store_dword v62, off, s[0:3], 0 offset:20
	v_cndmask_b32_e64 v62, 0, 1, s[12:13]
	s_and_b64 s[10:11], vcc, s[10:11]
	v_mov_b32_e32 v67, v60
	buffer_store_dword v62, off, s[0:3], 0 offset:16
	v_cndmask_b32_e64 v62, 0, 1, s[10:11]
	v_cmp_gt_u64_e32 vcc, s[52:53], v[66:67]
	buffer_store_dword v62, off, s[0:3], 0 offset:12
	v_mov_b32_e32 v62, v60
	s_and_b64 s[10:11], vcc, s[36:37]
	v_cmp_gt_u64_e32 vcc, s[52:53], v[61:62]
	v_lshlrev_b32_e32 v63, 3, v0
	s_and_b64 s[4:5], vcc, s[4:5]
	v_mul_u32_u24_e32 v92, 15, v0
	v_cndmask_b32_e64 v67, 0, 1, s[10:11]
	v_cndmask_b32_e64 v62, 0, 1, s[4:5]
	ds_write_b64 v63, v[57:58]
	buffer_store_dword v67, off, s[0:3], 0 offset:8
	buffer_store_dword v62, off, s[0:3], 0 offset:4
	s_waitcnt vmcnt(0) lgkmcnt(0)
	s_barrier
	s_and_saveexec_b64 s[4:5], s[8:9]
; %bb.47:
	v_add_u32_e32 v62, -8, v63
	ds_read_b64 v[90:91], v62
; %bb.48:
	s_or_b64 exec, exec, s[4:5]
	v_mov_b32_e32 v93, v60
	s_waitcnt lgkmcnt(0)
	v_cmp_ne_u64_e32 vcc, v[90:91], v[29:30]
	v_cmp_gt_u64_e64 s[4:5], s[52:53], v[92:93]
	s_mov_b64 s[64:65], -1
	s_and_b64 s[10:11], s[4:5], vcc
	s_branch .LBB1208_53
.LBB1208_49:
                                        ; implicit-def: $sgpr10_sgpr11
	s_cbranch_execz .LBB1208_53
; %bb.50:
	v_mov_b32_e32 v60, 0
	v_cmp_gt_u64_e32 vcc, s[52:53], v[59:60]
	v_cmp_ne_u64_e64 s[4:5], v[7:8], v[57:58]
	v_mov_b32_e32 v89, v60
	s_and_b64 s[4:5], vcc, s[4:5]
	v_cndmask_b32_e64 v59, 0, 1, s[4:5]
	v_cmp_gt_u64_e32 vcc, s[52:53], v[88:89]
	v_cmp_ne_u64_e64 s[4:5], v[5:6], v[7:8]
	v_mov_b32_e32 v87, v60
	s_and_b64 s[4:5], vcc, s[4:5]
	buffer_store_dword v59, off, s[0:3], 0 offset:56
	v_cndmask_b32_e64 v59, 0, 1, s[4:5]
	v_cmp_gt_u64_e32 vcc, s[52:53], v[86:87]
	v_cmp_ne_u64_e64 s[4:5], v[11:12], v[5:6]
	v_mov_b32_e32 v85, v60
	s_and_b64 s[4:5], vcc, s[4:5]
	buffer_store_dword v59, off, s[0:3], 0 offset:52
	;; [unrolled: 6-line block ×12, first 2 shown]
	v_cndmask_b32_e64 v59, 0, 1, s[4:5]
	v_cmp_gt_u64_e32 vcc, s[52:53], v[61:62]
	v_cmp_ne_u64_e64 s[4:5], v[29:30], v[31:32]
	v_lshlrev_b32_e32 v63, 3, v0
	s_and_b64 s[4:5], vcc, s[4:5]
	buffer_store_dword v59, off, s[0:3], 0 offset:8
	v_mov_b32_e32 v59, 1
	v_cndmask_b32_e64 v61, 0, 1, s[4:5]
	v_cmp_ne_u32_e32 vcc, 0, v0
	ds_write_b64 v63, v[57:58]
	buffer_store_dword v61, off, s[0:3], 0 offset:4
	s_waitcnt vmcnt(0) lgkmcnt(0)
	s_barrier
	buffer_store_dword v59, off, s[0:3], 0
                                        ; implicit-def: $sgpr10_sgpr11
	s_and_saveexec_b64 s[8:9], vcc
	s_cbranch_execz .LBB1208_52
; %bb.51:
	v_add_u32_e32 v59, -8, v63
	ds_read_b64 v[61:62], v59
	v_mul_u32_u24_e32 v59, 15, v0
	v_cmp_gt_u64_e32 vcc, s[52:53], v[59:60]
	s_or_b64 s[64:65], s[64:65], exec
	s_waitcnt lgkmcnt(0)
	v_cmp_ne_u64_e64 s[4:5], v[61:62], v[29:30]
	s_and_b64 s[10:11], vcc, s[4:5]
.LBB1208_52:
	s_or_b64 exec, exec, s[8:9]
.LBB1208_53:
	v_mov_b32_e32 v98, 1
	s_and_saveexec_b64 s[4:5], s[64:65]
	s_cbranch_execz .LBB1208_55
; %bb.54:
	v_cndmask_b32_e64 v98, 0, 1, s[10:11]
	buffer_store_dword v98, off, s[0:3], 0
.LBB1208_55:
	s_or_b64 exec, exec, s[4:5]
	buffer_load_dword v111, off, s[0:3], 0 offset:4
	buffer_load_dword v110, off, s[0:3], 0 offset:8
	;; [unrolled: 1-line block ×14, first 2 shown]
	s_cmp_eq_u64 s[46:47], 0
	s_cselect_b64 s[46:47], -1, 0
	s_cmp_lg_u32 s6, 0
	v_mbcnt_lo_u32_b32 v113, -1, 0
	s_waitcnt vmcnt(13)
	v_cmp_eq_u32_e64 s[28:29], 0, v111
	s_waitcnt vmcnt(12)
	v_add3_u32 v59, v111, v98, v110
	v_cmp_eq_u32_e64 s[26:27], 0, v110
	s_waitcnt vmcnt(11)
	v_cmp_eq_u32_e64 s[24:25], 0, v109
	s_waitcnt vmcnt(10)
	;; [unrolled: 2-line block ×12, first 2 shown]
	v_cmp_eq_u32_e32 vcc, 0, v112
	v_add3_u32 v114, v59, v109, v99
	s_cbranch_scc0 .LBB1208_117
; %bb.56:
	v_cndmask_b32_e64 v60, 0, v53, s[28:29]
	v_cndmask_b32_e64 v59, 0, v54, s[28:29]
	v_add_co_u32_e64 v60, s[30:31], v60, v55
	v_addc_co_u32_e64 v59, s[30:31], v59, v56, s[30:31]
	v_cndmask_b32_e64 v60, 0, v60, s[26:27]
	v_cndmask_b32_e64 v59, 0, v59, s[26:27]
	v_add_co_u32_e64 v60, s[30:31], v60, v49
	v_addc_co_u32_e64 v59, s[30:31], v59, v50, s[30:31]
	;; [unrolled: 4-line block ×11, first 2 shown]
	v_cndmask_b32_e64 v60, 0, v60, s[34:35]
	v_add3_u32 v61, v114, v100, v101
	v_cndmask_b32_e64 v59, 0, v59, s[34:35]
	v_add_co_u32_e64 v60, s[30:31], v60, v1
	v_add3_u32 v61, v61, v102, v103
	v_addc_co_u32_e64 v59, s[30:31], v59, v2, s[30:31]
	v_cndmask_b32_e64 v60, 0, v60, s[4:5]
	v_add3_u32 v61, v61, v104, v105
	v_cndmask_b32_e64 v59, 0, v59, s[4:5]
	v_add_co_u32_e64 v60, s[30:31], v60, v3
	v_add3_u32 v61, v61, v106, v107
	v_addc_co_u32_e64 v59, s[30:31], v59, v4, s[30:31]
	v_cndmask_b32_e32 v60, 0, v60, vcc
	v_add3_u32 v66, v61, v108, v112
	v_cndmask_b32_e32 v59, 0, v59, vcc
	v_add_co_u32_e32 v61, vcc, v60, v64
	v_mbcnt_hi_u32_b32 v71, -1, v113
	v_addc_co_u32_e32 v62, vcc, v59, v65, vcc
	v_and_b32_e32 v59, 15, v71
	v_mov_b32_dpp v63, v66 row_shr:1 row_mask:0xf bank_mask:0xf
	v_mov_b32_dpp v60, v61 row_shr:1 row_mask:0xf bank_mask:0xf
	;; [unrolled: 1-line block ×3, first 2 shown]
	v_cmp_ne_u32_e32 vcc, 0, v59
	s_and_saveexec_b64 s[30:31], vcc
; %bb.57:
	v_cmp_eq_u32_e32 vcc, 0, v66
	v_cndmask_b32_e32 v60, 0, v60, vcc
	v_add_u32_e32 v63, v63, v66
	v_cndmask_b32_e32 v66, 0, v67, vcc
	v_add_co_u32_e32 v61, vcc, v60, v61
	v_addc_co_u32_e32 v62, vcc, v66, v62, vcc
	v_mov_b32_e32 v66, v63
; %bb.58:
	s_or_b64 exec, exec, s[30:31]
	s_nop 0
	v_mov_b32_dpp v63, v66 row_shr:2 row_mask:0xf bank_mask:0xf
	v_mov_b32_dpp v60, v61 row_shr:2 row_mask:0xf bank_mask:0xf
	v_mov_b32_dpp v67, v62 row_shr:2 row_mask:0xf bank_mask:0xf
	v_cmp_lt_u32_e32 vcc, 1, v59
	s_and_saveexec_b64 s[30:31], vcc
; %bb.59:
	v_cmp_eq_u32_e32 vcc, 0, v66
	v_cndmask_b32_e32 v60, 0, v60, vcc
	v_add_u32_e32 v63, v63, v66
	v_cndmask_b32_e32 v66, 0, v67, vcc
	v_add_co_u32_e32 v61, vcc, v60, v61
	v_addc_co_u32_e32 v62, vcc, v66, v62, vcc
	v_mov_b32_e32 v66, v63
; %bb.60:
	s_or_b64 exec, exec, s[30:31]
	s_nop 0
	v_mov_b32_dpp v63, v66 row_shr:4 row_mask:0xf bank_mask:0xf
	v_mov_b32_dpp v60, v61 row_shr:4 row_mask:0xf bank_mask:0xf
	v_mov_b32_dpp v67, v62 row_shr:4 row_mask:0xf bank_mask:0xf
	v_cmp_lt_u32_e32 vcc, 3, v59
	;; [unrolled: 16-line block ×3, first 2 shown]
	s_and_saveexec_b64 s[30:31], vcc
; %bb.63:
	v_cmp_eq_u32_e32 vcc, 0, v66
	v_cndmask_b32_e32 v60, 0, v60, vcc
	v_add_u32_e32 v59, v63, v66
	v_cndmask_b32_e32 v63, 0, v67, vcc
	v_add_co_u32_e32 v61, vcc, v60, v61
	v_addc_co_u32_e32 v62, vcc, v63, v62, vcc
	v_mov_b32_e32 v66, v59
; %bb.64:
	s_or_b64 exec, exec, s[30:31]
	v_and_b32_e32 v67, 16, v71
	v_mov_b32_dpp v60, v66 row_bcast:15 row_mask:0xf bank_mask:0xf
	v_mov_b32_dpp v59, v61 row_bcast:15 row_mask:0xf bank_mask:0xf
	v_mov_b32_dpp v63, v62 row_bcast:15 row_mask:0xf bank_mask:0xf
	v_cmp_ne_u32_e32 vcc, 0, v67
	s_and_saveexec_b64 s[30:31], vcc
; %bb.65:
	v_cmp_eq_u32_e32 vcc, 0, v66
	v_cndmask_b32_e32 v59, 0, v59, vcc
	v_add_u32_e32 v60, v60, v66
	v_cndmask_b32_e32 v63, 0, v63, vcc
	v_add_co_u32_e32 v61, vcc, v59, v61
	v_addc_co_u32_e32 v62, vcc, v63, v62, vcc
	v_mov_b32_e32 v66, v60
; %bb.66:
	s_or_b64 exec, exec, s[30:31]
	s_nop 0
	v_mov_b32_dpp v60, v66 row_bcast:31 row_mask:0xf bank_mask:0xf
	v_mov_b32_dpp v59, v61 row_bcast:31 row_mask:0xf bank_mask:0xf
	;; [unrolled: 1-line block ×3, first 2 shown]
	v_cmp_lt_u32_e32 vcc, 31, v71
	s_and_saveexec_b64 s[30:31], vcc
; %bb.67:
	v_cmp_eq_u32_e32 vcc, 0, v66
	v_cndmask_b32_e32 v59, 0, v59, vcc
	v_add_u32_e32 v60, v60, v66
	v_cndmask_b32_e32 v63, 0, v63, vcc
	v_add_co_u32_e32 v61, vcc, v59, v61
	v_addc_co_u32_e32 v62, vcc, v63, v62, vcc
	v_mov_b32_e32 v66, v60
; %bb.68:
	s_or_b64 exec, exec, s[30:31]
	v_lshrrev_b32_e32 v59, 6, v0
	v_or_b32_e32 v60, 63, v0
	v_cmp_eq_u32_e32 vcc, v0, v60
	v_lshlrev_b32_e32 v67, 4, v59
	s_and_saveexec_b64 s[30:31], vcc
	s_cbranch_execz .LBB1208_70
; %bb.69:
	ds_write_b32 v67, v66 offset:4128
	ds_write_b64 v67, v[61:62] offset:4136
.LBB1208_70:
	s_or_b64 exec, exec, s[30:31]
	v_cmp_gt_u32_e32 vcc, 4, v0
	s_waitcnt lgkmcnt(0)
	s_barrier
	s_and_saveexec_b64 s[30:31], vcc
	s_cbranch_execz .LBB1208_76
; %bb.71:
	v_lshlrev_b32_e32 v63, 4, v0
	ds_read_b32 v68, v63 offset:4128
	ds_read_b64 v[59:60], v63 offset:4136
	v_and_b32_e32 v69, 3, v71
	v_cmp_ne_u32_e32 vcc, 0, v69
	s_waitcnt lgkmcnt(1)
	v_mov_b32_dpp v72, v68 row_shr:1 row_mask:0xf bank_mask:0xf
	s_waitcnt lgkmcnt(0)
	v_mov_b32_dpp v70, v59 row_shr:1 row_mask:0xf bank_mask:0xf
	v_mov_b32_dpp v73, v60 row_shr:1 row_mask:0xf bank_mask:0xf
	s_and_saveexec_b64 s[36:37], vcc
; %bb.72:
	v_cmp_eq_u32_e32 vcc, 0, v68
	v_cndmask_b32_e32 v70, 0, v70, vcc
	v_add_u32_e32 v72, v72, v68
	v_cndmask_b32_e32 v68, 0, v73, vcc
	v_add_co_u32_e32 v59, vcc, v70, v59
	v_addc_co_u32_e32 v60, vcc, v68, v60, vcc
	v_mov_b32_e32 v68, v72
; %bb.73:
	s_or_b64 exec, exec, s[36:37]
	s_nop 0
	v_mov_b32_dpp v72, v68 row_shr:2 row_mask:0xf bank_mask:0xf
	v_mov_b32_dpp v70, v59 row_shr:2 row_mask:0xf bank_mask:0xf
	v_mov_b32_dpp v73, v60 row_shr:2 row_mask:0xf bank_mask:0xf
	v_cmp_lt_u32_e32 vcc, 1, v69
	s_and_saveexec_b64 s[36:37], vcc
; %bb.74:
	v_cmp_eq_u32_e32 vcc, 0, v68
	v_cndmask_b32_e32 v70, 0, v70, vcc
	v_add_u32_e32 v69, v72, v68
	v_cndmask_b32_e32 v68, 0, v73, vcc
	v_add_co_u32_e32 v59, vcc, v70, v59
	v_addc_co_u32_e32 v60, vcc, v68, v60, vcc
	v_mov_b32_e32 v68, v69
; %bb.75:
	s_or_b64 exec, exec, s[36:37]
	ds_write_b32 v63, v68 offset:4128
	ds_write_b64 v63, v[59:60] offset:4136
.LBB1208_76:
	s_or_b64 exec, exec, s[30:31]
	v_mov_b32_e32 v59, 0
	v_cmp_gt_u32_e32 vcc, 64, v0
	v_cmp_lt_u32_e64 s[30:31], 63, v0
	v_mov_b32_e32 v60, 0
	v_mov_b32_e32 v63, 0
	s_waitcnt lgkmcnt(0)
	s_barrier
	s_and_saveexec_b64 s[36:37], s[30:31]
	s_cbranch_execz .LBB1208_78
; %bb.77:
	ds_read_b32 v63, v67 offset:4112
	ds_read_b64 v[59:60], v67 offset:4120
	v_cmp_eq_u32_e64 s[30:31], 0, v66
	s_waitcnt lgkmcnt(1)
	v_add_u32_e32 v67, v63, v66
	s_waitcnt lgkmcnt(0)
	v_cndmask_b32_e64 v68, 0, v59, s[30:31]
	v_cndmask_b32_e64 v66, 0, v60, s[30:31]
	v_add_co_u32_e64 v61, s[30:31], v68, v61
	v_addc_co_u32_e64 v62, s[30:31], v66, v62, s[30:31]
	v_mov_b32_e32 v66, v67
.LBB1208_78:
	s_or_b64 exec, exec, s[36:37]
	v_subrev_co_u32_e64 v67, s[30:31], 1, v71
	v_and_b32_e32 v68, 64, v71
	v_cmp_lt_i32_e64 s[36:37], v67, v68
	v_cndmask_b32_e64 v67, v67, v71, s[36:37]
	v_lshlrev_b32_e32 v67, 2, v67
	ds_bpermute_b32 v74, v67, v66
	ds_bpermute_b32 v75, v67, v61
	;; [unrolled: 1-line block ×3, first 2 shown]
	s_and_saveexec_b64 s[52:53], vcc
	s_cbranch_execz .LBB1208_122
; %bb.79:
	v_mov_b32_e32 v68, 0
	ds_read_b32 v77, v68 offset:4176
	ds_read_b64 v[61:62], v68 offset:4184
	s_and_saveexec_b64 s[36:37], s[30:31]
	s_cbranch_execz .LBB1208_81
; %bb.80:
	s_add_i32 s62, s6, 64
	s_mov_b32 s63, 0
	s_lshl_b64 s[64:65], s[62:63], 4
	s_add_u32 s64, s40, s64
	s_addc_u32 s65, s41, s65
	v_mov_b32_e32 v66, 1
	v_mov_b32_e32 v67, s62
	s_waitcnt lgkmcnt(1)
	global_store_dword v68, v77, s[64:65]
	s_waitcnt lgkmcnt(0)
	global_store_dwordx2 v68, v[61:62], s[64:65] offset:8
	s_waitcnt vmcnt(0)
	buffer_wbinvl1_vol
	global_store_byte v67, v66, s[44:45]
.LBB1208_81:
	s_or_b64 exec, exec, s[36:37]
	v_xad_u32 v66, v71, -1, s6
	v_add_u32_e32 v67, 64, v66
	global_load_ubyte v78, v67, s[44:45] glc
	s_waitcnt vmcnt(0)
	v_cmp_eq_u16_e32 vcc, 0, v78
	s_and_saveexec_b64 s[36:37], vcc
	s_cbranch_execz .LBB1208_85
; %bb.82:
	v_mov_b32_e32 v70, s45
	v_add_co_u32_e32 v69, vcc, s44, v67
	v_addc_co_u32_e32 v70, vcc, 0, v70, vcc
	s_mov_b64 s[62:63], 0
.LBB1208_83:                            ; =>This Inner Loop Header: Depth=1
	global_load_ubyte v78, v[69:70], off glc
	s_waitcnt vmcnt(0)
	v_cmp_ne_u16_e32 vcc, 0, v78
	s_or_b64 s[62:63], vcc, s[62:63]
	s_andn2_b64 exec, exec, s[62:63]
	s_cbranch_execnz .LBB1208_83
; %bb.84:
	s_or_b64 exec, exec, s[62:63]
.LBB1208_85:
	s_or_b64 exec, exec, s[36:37]
	v_mov_b32_e32 v69, s43
	v_mov_b32_e32 v70, s41
	v_cmp_eq_u16_e32 vcc, 1, v78
	v_cndmask_b32_e32 v69, v69, v70, vcc
	v_mov_b32_e32 v70, s42
	v_mov_b32_e32 v72, s40
	v_lshlrev_b64 v[67:68], 4, v[67:68]
	v_cndmask_b32_e32 v70, v70, v72, vcc
	v_add_co_u32_e32 v67, vcc, v70, v67
	v_addc_co_u32_e32 v68, vcc, v69, v68, vcc
	s_waitcnt lgkmcnt(0)
	buffer_wbinvl1_vol
	global_load_dword v93, v[67:68], off
	global_load_dwordx2 v[72:73], v[67:68], off offset:8
	v_and_b32_e32 v79, 63, v71
	v_lshlrev_b64 v[68:69], v71, -1
	v_cmp_ne_u32_e64 s[36:37], 63, v79
	v_cmp_eq_u16_e32 vcc, 2, v78
	v_addc_co_u32_e64 v67, s[36:37], 0, v71, s[36:37]
	v_and_b32_e32 v70, vcc_hi, v69
	v_lshlrev_b32_e32 v80, 2, v67
	v_or_b32_e32 v67, 0x80000000, v70
	v_and_b32_e32 v83, vcc_lo, v68
	v_ffbl_b32_e32 v67, v67
	v_add_u32_e32 v67, 32, v67
	v_ffbl_b32_e32 v83, v83
	v_min_u32_e32 v67, v83, v67
	v_cmp_lt_u32_e32 vcc, v79, v67
	s_waitcnt vmcnt(1)
	ds_bpermute_b32 v81, v80, v93
	s_waitcnt vmcnt(0)
	ds_bpermute_b32 v70, v80, v72
	ds_bpermute_b32 v82, v80, v73
	s_and_saveexec_b64 s[36:37], vcc
	s_cbranch_execz .LBB1208_87
; %bb.86:
	v_cmp_eq_u32_e32 vcc, 0, v93
	s_waitcnt lgkmcnt(1)
	v_cndmask_b32_e32 v70, 0, v70, vcc
	v_add_u32_e32 v81, v81, v93
	s_waitcnt lgkmcnt(0)
	v_cndmask_b32_e32 v82, 0, v82, vcc
	v_add_co_u32_e32 v72, vcc, v70, v72
	v_addc_co_u32_e32 v73, vcc, v82, v73, vcc
	v_mov_b32_e32 v93, v81
.LBB1208_87:
	s_or_b64 exec, exec, s[36:37]
	v_cmp_gt_u32_e32 vcc, 62, v79
	s_waitcnt lgkmcnt(1)
	v_cndmask_b32_e64 v70, 0, 2, vcc
	v_add_lshl_u32 v81, v70, v71, 2
	ds_bpermute_b32 v83, v81, v93
	ds_bpermute_b32 v70, v81, v72
	ds_bpermute_b32 v84, v81, v73
	s_waitcnt lgkmcnt(3)
	v_add_u32_e32 v82, 2, v79
	v_cmp_le_u32_e32 vcc, v82, v67
	s_and_saveexec_b64 s[36:37], vcc
	s_cbranch_execz .LBB1208_89
; %bb.88:
	v_cmp_eq_u32_e32 vcc, 0, v93
	s_waitcnt lgkmcnt(1)
	v_cndmask_b32_e32 v70, 0, v70, vcc
	v_add_u32_e32 v83, v83, v93
	s_waitcnt lgkmcnt(0)
	v_cndmask_b32_e32 v84, 0, v84, vcc
	v_add_co_u32_e32 v72, vcc, v70, v72
	v_addc_co_u32_e32 v73, vcc, v84, v73, vcc
	v_mov_b32_e32 v93, v83
.LBB1208_89:
	s_or_b64 exec, exec, s[36:37]
	v_cmp_gt_u32_e32 vcc, 60, v79
	s_waitcnt lgkmcnt(1)
	v_cndmask_b32_e64 v70, 0, 4, vcc
	v_add_lshl_u32 v83, v70, v71, 2
	ds_bpermute_b32 v85, v83, v93
	ds_bpermute_b32 v70, v83, v72
	ds_bpermute_b32 v86, v83, v73
	s_waitcnt lgkmcnt(3)
	v_add_u32_e32 v84, 4, v79
	v_cmp_le_u32_e32 vcc, v84, v67
	;; [unrolled: 24-line block ×4, first 2 shown]
	s_and_saveexec_b64 s[36:37], vcc
	s_cbranch_execz .LBB1208_95
; %bb.94:
	v_cmp_eq_u32_e32 vcc, 0, v93
	s_waitcnt lgkmcnt(1)
	v_cndmask_b32_e32 v70, 0, v70, vcc
	v_add_u32_e32 v89, v89, v93
	s_waitcnt lgkmcnt(0)
	v_cndmask_b32_e32 v90, 0, v90, vcc
	v_add_co_u32_e32 v72, vcc, v70, v72
	v_addc_co_u32_e32 v73, vcc, v90, v73, vcc
	v_mov_b32_e32 v93, v89
.LBB1208_95:
	s_or_b64 exec, exec, s[36:37]
	s_waitcnt lgkmcnt(1)
	v_mov_b32_e32 v70, 0x80
	s_waitcnt lgkmcnt(0)
	v_lshl_or_b32 v90, v71, 2, v70
	ds_bpermute_b32 v71, v90, v93
	ds_bpermute_b32 v70, v90, v72
	;; [unrolled: 1-line block ×3, first 2 shown]
	v_add_u32_e32 v91, 32, v79
	v_cmp_le_u32_e32 vcc, v91, v67
	s_and_saveexec_b64 s[36:37], vcc
	s_cbranch_execz .LBB1208_97
; %bb.96:
	v_cmp_eq_u32_e32 vcc, 0, v93
	s_waitcnt lgkmcnt(1)
	v_cndmask_b32_e32 v70, 0, v70, vcc
	v_add_u32_e32 v67, v71, v93
	s_waitcnt lgkmcnt(0)
	v_cndmask_b32_e32 v71, 0, v89, vcc
	v_add_co_u32_e32 v72, vcc, v70, v72
	v_addc_co_u32_e32 v73, vcc, v71, v73, vcc
	v_mov_b32_e32 v93, v67
.LBB1208_97:
	s_or_b64 exec, exec, s[36:37]
	v_mov_b32_e32 v67, 0
	v_mov_b32_e32 v92, 2
	s_branch .LBB1208_100
.LBB1208_98:                            ;   in Loop: Header=BB1208_100 Depth=1
	s_or_b64 exec, exec, s[36:37]
	v_cmp_eq_u32_e32 vcc, 0, v89
	v_cndmask_b32_e32 v72, 0, v72, vcc
	v_cndmask_b32_e32 v73, 0, v73, vcc
	v_add_co_u32_e32 v72, vcc, v72, v70
	v_subrev_u32_e32 v66, 64, v66
	v_add_u32_e32 v93, v94, v89
	v_addc_co_u32_e32 v73, vcc, v73, v71, vcc
	s_mov_b64 s[36:37], 0
.LBB1208_99:                            ;   in Loop: Header=BB1208_100 Depth=1
	s_and_b64 vcc, exec, s[36:37]
	s_cbranch_vccnz .LBB1208_118
.LBB1208_100:                           ; =>This Loop Header: Depth=1
                                        ;     Child Loop BB1208_103 Depth 2
	s_waitcnt lgkmcnt(1)
	v_mov_b32_e32 v70, v72
	v_cmp_ne_u16_sdwa s[36:37], v78, v92 src0_sel:BYTE_0 src1_sel:DWORD
	v_mov_b32_e32 v71, v73
	s_waitcnt lgkmcnt(0)
	v_mov_b32_e32 v89, v93
	s_cmp_lg_u64 s[36:37], exec
	s_mov_b64 s[36:37], -1
                                        ; implicit-def: $vgpr72_vgpr73
                                        ; implicit-def: $vgpr93
                                        ; implicit-def: $vgpr78
	s_cbranch_scc1 .LBB1208_99
; %bb.101:                              ;   in Loop: Header=BB1208_100 Depth=1
	global_load_ubyte v78, v66, s[44:45] glc
	s_waitcnt vmcnt(0)
	v_cmp_eq_u16_e32 vcc, 0, v78
	s_and_saveexec_b64 s[36:37], vcc
	s_cbranch_execz .LBB1208_105
; %bb.102:                              ;   in Loop: Header=BB1208_100 Depth=1
	v_mov_b32_e32 v73, s45
	v_add_co_u32_e32 v72, vcc, s44, v66
	v_addc_co_u32_e32 v73, vcc, 0, v73, vcc
	s_mov_b64 s[62:63], 0
.LBB1208_103:                           ;   Parent Loop BB1208_100 Depth=1
                                        ; =>  This Inner Loop Header: Depth=2
	global_load_ubyte v78, v[72:73], off glc
	s_waitcnt vmcnt(0)
	v_cmp_ne_u16_e32 vcc, 0, v78
	s_or_b64 s[62:63], vcc, s[62:63]
	s_andn2_b64 exec, exec, s[62:63]
	s_cbranch_execnz .LBB1208_103
; %bb.104:                              ;   in Loop: Header=BB1208_100 Depth=1
	s_or_b64 exec, exec, s[62:63]
.LBB1208_105:                           ;   in Loop: Header=BB1208_100 Depth=1
	s_or_b64 exec, exec, s[36:37]
	v_mov_b32_e32 v72, s43
	v_mov_b32_e32 v73, s41
	v_cmp_eq_u16_e32 vcc, 1, v78
	v_cndmask_b32_e32 v93, v72, v73, vcc
	v_mov_b32_e32 v72, s42
	v_mov_b32_e32 v73, s40
	v_cndmask_b32_e32 v94, v72, v73, vcc
	v_lshlrev_b64 v[72:73], 4, v[66:67]
	buffer_wbinvl1_vol
	v_add_co_u32_e32 v72, vcc, v94, v72
	v_addc_co_u32_e32 v73, vcc, v93, v73, vcc
	global_load_dword v94, v[72:73], off
	s_nop 0
	global_load_dwordx2 v[72:73], v[72:73], off offset:8
	v_cmp_eq_u16_e32 vcc, 2, v78
	v_and_b32_e32 v93, vcc_hi, v69
	v_or_b32_e32 v93, 0x80000000, v93
	v_and_b32_e32 v115, vcc_lo, v68
	v_ffbl_b32_e32 v93, v93
	v_add_u32_e32 v93, 32, v93
	v_ffbl_b32_e32 v115, v115
	v_min_u32_e32 v93, v115, v93
	v_cmp_lt_u32_e32 vcc, v79, v93
	s_waitcnt vmcnt(1)
	ds_bpermute_b32 v96, v80, v94
	s_waitcnt vmcnt(0)
	ds_bpermute_b32 v95, v80, v72
	ds_bpermute_b32 v97, v80, v73
	s_and_saveexec_b64 s[36:37], vcc
	s_cbranch_execz .LBB1208_107
; %bb.106:                              ;   in Loop: Header=BB1208_100 Depth=1
	v_cmp_eq_u32_e32 vcc, 0, v94
	s_waitcnt lgkmcnt(1)
	v_cndmask_b32_e32 v95, 0, v95, vcc
	v_add_u32_e32 v96, v96, v94
	s_waitcnt lgkmcnt(0)
	v_cndmask_b32_e32 v94, 0, v97, vcc
	v_add_co_u32_e32 v72, vcc, v95, v72
	v_addc_co_u32_e32 v73, vcc, v94, v73, vcc
	v_mov_b32_e32 v94, v96
.LBB1208_107:                           ;   in Loop: Header=BB1208_100 Depth=1
	s_or_b64 exec, exec, s[36:37]
	s_waitcnt lgkmcnt(2)
	ds_bpermute_b32 v96, v81, v94
	s_waitcnt lgkmcnt(2)
	ds_bpermute_b32 v95, v81, v72
	s_waitcnt lgkmcnt(2)
	ds_bpermute_b32 v97, v81, v73
	v_cmp_le_u32_e32 vcc, v82, v93
	s_and_saveexec_b64 s[36:37], vcc
	s_cbranch_execz .LBB1208_109
; %bb.108:                              ;   in Loop: Header=BB1208_100 Depth=1
	v_cmp_eq_u32_e32 vcc, 0, v94
	s_waitcnt lgkmcnt(1)
	v_cndmask_b32_e32 v95, 0, v95, vcc
	v_add_u32_e32 v96, v96, v94
	s_waitcnt lgkmcnt(0)
	v_cndmask_b32_e32 v94, 0, v97, vcc
	v_add_co_u32_e32 v72, vcc, v95, v72
	v_addc_co_u32_e32 v73, vcc, v94, v73, vcc
	v_mov_b32_e32 v94, v96
.LBB1208_109:                           ;   in Loop: Header=BB1208_100 Depth=1
	s_or_b64 exec, exec, s[36:37]
	s_waitcnt lgkmcnt(2)
	ds_bpermute_b32 v96, v83, v94
	s_waitcnt lgkmcnt(2)
	ds_bpermute_b32 v95, v83, v72
	s_waitcnt lgkmcnt(2)
	ds_bpermute_b32 v97, v83, v73
	v_cmp_le_u32_e32 vcc, v84, v93
	;; [unrolled: 21-line block ×5, first 2 shown]
	s_and_saveexec_b64 s[36:37], vcc
	s_cbranch_execz .LBB1208_98
; %bb.116:                              ;   in Loop: Header=BB1208_100 Depth=1
	v_cmp_eq_u32_e32 vcc, 0, v94
	s_waitcnt lgkmcnt(1)
	v_cndmask_b32_e32 v95, 0, v95, vcc
	v_add_u32_e32 v93, v96, v94
	s_waitcnt lgkmcnt(0)
	v_cndmask_b32_e32 v94, 0, v97, vcc
	v_add_co_u32_e32 v72, vcc, v95, v72
	v_addc_co_u32_e32 v73, vcc, v94, v73, vcc
	v_mov_b32_e32 v94, v93
	s_branch .LBB1208_98
.LBB1208_117:
                                        ; implicit-def: $vgpr59
                                        ; implicit-def: $vgpr61_vgpr62
                                        ; implicit-def: $vgpr63
                                        ; implicit-def: $vgpr90_vgpr91
                                        ; implicit-def: $vgpr66_vgpr67
                                        ; implicit-def: $vgpr68_vgpr69
                                        ; implicit-def: $vgpr70_vgpr71
                                        ; implicit-def: $vgpr72_vgpr73
                                        ; implicit-def: $vgpr74_vgpr75
                                        ; implicit-def: $vgpr76_vgpr77
                                        ; implicit-def: $vgpr78_vgpr79
                                        ; implicit-def: $vgpr80_vgpr81
                                        ; implicit-def: $vgpr82_vgpr83
                                        ; implicit-def: $vgpr84_vgpr85
                                        ; implicit-def: $vgpr86_vgpr87
                                        ; implicit-def: $vgpr88_vgpr89
                                        ; implicit-def: $vgpr92_vgpr93
                                        ; implicit-def: $vgpr94_vgpr95
                                        ; implicit-def: $vgpr60
	s_cbranch_execnz .LBB1208_123
	s_branch .LBB1208_150
.LBB1208_118:
	s_and_saveexec_b64 s[36:37], s[30:31]
	s_cbranch_execz .LBB1208_120
; %bb.119:
	s_mov_b32 s7, 0
	v_cmp_eq_u32_e32 vcc, 0, v77
	s_add_i32 s6, s6, 64
	v_cndmask_b32_e32 v66, 0, v70, vcc
	s_lshl_b64 s[40:41], s[6:7], 4
	v_cndmask_b32_e32 v67, 0, v71, vcc
	v_add_co_u32_e32 v66, vcc, v66, v61
	s_add_u32 s40, s42, s40
	v_add_u32_e32 v68, v89, v77
	v_addc_co_u32_e32 v67, vcc, v67, v62, vcc
	s_addc_u32 s41, s43, s41
	v_mov_b32_e32 v69, 0
	global_store_dword v69, v68, s[40:41]
	global_store_dwordx2 v69, v[66:67], s[40:41] offset:8
	v_mov_b32_e32 v66, 2
	v_mov_b32_e32 v67, s6
	s_waitcnt vmcnt(0) lgkmcnt(0)
	buffer_wbinvl1_vol
	global_store_byte v67, v66, s[44:45]
	ds_write_b32 v69, v77 offset:4096
	ds_write_b64 v69, v[61:62] offset:4104
	ds_write_b32 v69, v89 offset:4112
	ds_write_b64 v69, v[70:71] offset:4120
.LBB1208_120:
	s_or_b64 exec, exec, s[36:37]
	v_cmp_eq_u32_e32 vcc, 0, v0
	s_and_b64 exec, exec, vcc
	s_cbranch_execz .LBB1208_122
; %bb.121:
	v_mov_b32_e32 v61, 0
	ds_write_b32 v61, v89 offset:4176
	ds_write_b64 v61, v[70:71] offset:4184
.LBB1208_122:
	s_or_b64 exec, exec, s[52:53]
	v_mov_b32_e32 v92, 0
	s_waitcnt vmcnt(0) lgkmcnt(0)
	s_barrier
	ds_read_b32 v66, v92 offset:4176
	ds_read_b64 v[61:62], v92 offset:4184
	v_cndmask_b32_e64 v63, v74, v63, s[30:31]
	v_cmp_eq_u32_e32 vcc, 0, v63
	v_cndmask_b32_e64 v59, v75, v59, s[30:31]
	v_cndmask_b32_e64 v60, v76, v60, s[30:31]
	s_waitcnt lgkmcnt(0)
	v_cndmask_b32_e32 v68, 0, v61, vcc
	v_cndmask_b32_e32 v67, 0, v62, vcc
	v_add_co_u32_e32 v59, vcc, v68, v59
	v_addc_co_u32_e32 v67, vcc, v67, v60, vcc
	v_cmp_eq_u32_e32 vcc, 0, v0
	v_cndmask_b32_e64 v60, v63, 0, vcc
	v_cndmask_b32_e32 v91, v67, v62, vcc
	v_cndmask_b32_e32 v90, v59, v61, vcc
	v_cmp_eq_u32_e32 vcc, 0, v98
	v_cndmask_b32_e32 v61, 0, v90, vcc
	v_add_u32_e32 v60, v66, v60
	v_cndmask_b32_e32 v59, 0, v91, vcc
	v_add_co_u32_e32 v66, vcc, v61, v53
	v_addc_co_u32_e32 v67, vcc, v59, v54, vcc
	v_cndmask_b32_e64 v61, 0, v66, s[28:29]
	v_cndmask_b32_e64 v59, 0, v67, s[28:29]
	v_add_co_u32_e32 v68, vcc, v61, v55
	v_addc_co_u32_e32 v69, vcc, v59, v56, vcc
	v_cndmask_b32_e64 v61, 0, v68, s[26:27]
	v_cndmask_b32_e64 v59, 0, v69, s[26:27]
	;; [unrolled: 4-line block ×11, first 2 shown]
	v_add_co_u32_e32 v88, vcc, v61, v35
	v_addc_co_u32_e32 v89, vcc, v59, v36, vcc
	s_barrier
	ds_read_b32 v59, v92 offset:4096
	ds_read_b64 v[61:62], v92 offset:4104
	ds_read_b32 v63, v92 offset:4112
	ds_read_b64 v[96:97], v92 offset:4120
	v_cndmask_b32_e64 v94, 0, v88, s[34:35]
	v_cndmask_b32_e64 v93, 0, v89, s[34:35]
	v_add_co_u32_e32 v92, vcc, v94, v1
	v_addc_co_u32_e32 v93, vcc, v93, v2, vcc
	s_waitcnt lgkmcnt(3)
	v_cmp_eq_u32_e32 vcc, 0, v59
	s_waitcnt lgkmcnt(0)
	v_cndmask_b32_e32 v96, 0, v96, vcc
	v_cndmask_b32_e32 v97, 0, v97, vcc
	v_add_co_u32_e32 v61, vcc, v96, v61
	v_cndmask_b32_e64 v95, 0, v93, s[4:5]
	v_cndmask_b32_e64 v94, 0, v92, s[4:5]
	v_addc_co_u32_e32 v62, vcc, v97, v62, vcc
	s_branch .LBB1208_150
.LBB1208_123:
	s_cmp_eq_u64 s[60:61], 0
	s_cselect_b64 s[4:5], -1, 0
	s_or_b64 s[4:5], s[46:47], s[4:5]
	v_mov_b32_e32 v97, v54
	s_and_b64 vcc, exec, s[4:5]
	v_mov_b32_e32 v96, v53
	s_cbranch_vccnz .LBB1208_125
; %bb.124:
	v_mov_b32_e32 v59, 0
	global_load_dwordx2 v[96:97], v59, s[60:61]
.LBB1208_125:
	v_cmp_eq_u32_e64 s[26:27], 0, v111
	v_cndmask_b32_e64 v60, 0, v53, s[26:27]
	v_cndmask_b32_e64 v59, 0, v54, s[26:27]
	v_add_co_u32_e32 v60, vcc, v60, v55
	v_cmp_eq_u32_e64 s[24:25], 0, v110
	v_addc_co_u32_e32 v59, vcc, v59, v56, vcc
	v_cndmask_b32_e64 v60, 0, v60, s[24:25]
	v_cndmask_b32_e64 v59, 0, v59, s[24:25]
	v_add_co_u32_e32 v60, vcc, v60, v49
	v_cmp_eq_u32_e64 s[22:23], 0, v109
	v_addc_co_u32_e32 v59, vcc, v59, v50, vcc
	;; [unrolled: 5-line block ×11, first 2 shown]
	v_cndmask_b32_e64 v60, 0, v60, s[6:7]
	v_cndmask_b32_e64 v59, 0, v59, s[6:7]
	v_add_co_u32_e32 v60, vcc, v60, v1
	v_addc_co_u32_e32 v59, vcc, v59, v2, vcc
	v_cmp_eq_u32_e32 vcc, 0, v108
	v_add3_u32 v61, v114, v100, v101
	v_cndmask_b32_e32 v60, 0, v60, vcc
	v_add3_u32 v61, v61, v102, v103
	v_cndmask_b32_e32 v59, 0, v59, vcc
	v_add_co_u32_e64 v60, s[28:29], v60, v3
	v_add3_u32 v61, v61, v104, v105
	v_addc_co_u32_e64 v59, s[28:29], v59, v4, s[28:29]
	v_add3_u32 v61, v61, v106, v107
	v_cmp_eq_u32_e64 s[28:29], 0, v112
	v_add3_u32 v66, v61, v108, v112
	v_cndmask_b32_e64 v61, 0, v59, s[28:29]
	v_cndmask_b32_e64 v59, 0, v60, s[28:29]
	v_add_co_u32_e64 v59, s[28:29], v59, v64
	v_mbcnt_hi_u32_b32 v63, -1, v113
	v_addc_co_u32_e64 v60, s[28:29], v61, v65, s[28:29]
	v_and_b32_e32 v61, 15, v63
	v_mov_b32_dpp v64, v66 row_shr:1 row_mask:0xf bank_mask:0xf
	v_mov_b32_dpp v62, v59 row_shr:1 row_mask:0xf bank_mask:0xf
	;; [unrolled: 1-line block ×3, first 2 shown]
	v_cmp_ne_u32_e64 s[28:29], 0, v61
	s_and_saveexec_b64 s[30:31], s[28:29]
; %bb.126:
	v_cmp_eq_u32_e64 s[28:29], 0, v66
	v_cndmask_b32_e64 v62, 0, v62, s[28:29]
	v_add_u32_e32 v64, v64, v66
	v_cndmask_b32_e64 v65, 0, v65, s[28:29]
	v_add_co_u32_e64 v59, s[28:29], v62, v59
	v_addc_co_u32_e64 v60, s[28:29], v65, v60, s[28:29]
	v_mov_b32_e32 v66, v64
; %bb.127:
	s_or_b64 exec, exec, s[30:31]
	s_nop 0
	v_mov_b32_dpp v64, v66 row_shr:2 row_mask:0xf bank_mask:0xf
	v_mov_b32_dpp v62, v59 row_shr:2 row_mask:0xf bank_mask:0xf
	v_mov_b32_dpp v65, v60 row_shr:2 row_mask:0xf bank_mask:0xf
	v_cmp_lt_u32_e64 s[28:29], 1, v61
	s_and_saveexec_b64 s[30:31], s[28:29]
; %bb.128:
	v_cmp_eq_u32_e64 s[28:29], 0, v66
	v_cndmask_b32_e64 v62, 0, v62, s[28:29]
	v_add_u32_e32 v64, v64, v66
	v_cndmask_b32_e64 v65, 0, v65, s[28:29]
	v_add_co_u32_e64 v59, s[28:29], v62, v59
	v_addc_co_u32_e64 v60, s[28:29], v65, v60, s[28:29]
	v_mov_b32_e32 v66, v64
; %bb.129:
	s_or_b64 exec, exec, s[30:31]
	s_nop 0
	v_mov_b32_dpp v64, v66 row_shr:4 row_mask:0xf bank_mask:0xf
	v_mov_b32_dpp v62, v59 row_shr:4 row_mask:0xf bank_mask:0xf
	v_mov_b32_dpp v65, v60 row_shr:4 row_mask:0xf bank_mask:0xf
	v_cmp_lt_u32_e64 s[28:29], 3, v61
	;; [unrolled: 16-line block ×3, first 2 shown]
	s_and_saveexec_b64 s[30:31], s[28:29]
; %bb.132:
	v_cmp_eq_u32_e64 s[28:29], 0, v66
	v_cndmask_b32_e64 v62, 0, v62, s[28:29]
	v_add_u32_e32 v61, v64, v66
	v_cndmask_b32_e64 v64, 0, v65, s[28:29]
	v_add_co_u32_e64 v59, s[28:29], v62, v59
	v_addc_co_u32_e64 v60, s[28:29], v64, v60, s[28:29]
	v_mov_b32_e32 v66, v61
; %bb.133:
	s_or_b64 exec, exec, s[30:31]
	v_and_b32_e32 v65, 16, v63
	v_mov_b32_dpp v62, v66 row_bcast:15 row_mask:0xf bank_mask:0xf
	v_mov_b32_dpp v61, v59 row_bcast:15 row_mask:0xf bank_mask:0xf
	;; [unrolled: 1-line block ×3, first 2 shown]
	v_cmp_ne_u32_e64 s[28:29], 0, v65
	s_and_saveexec_b64 s[30:31], s[28:29]
; %bb.134:
	v_cmp_eq_u32_e64 s[28:29], 0, v66
	v_cndmask_b32_e64 v61, 0, v61, s[28:29]
	v_add_u32_e32 v62, v62, v66
	v_cndmask_b32_e64 v64, 0, v64, s[28:29]
	v_add_co_u32_e64 v59, s[28:29], v61, v59
	v_addc_co_u32_e64 v60, s[28:29], v64, v60, s[28:29]
	v_mov_b32_e32 v66, v62
; %bb.135:
	s_or_b64 exec, exec, s[30:31]
	s_nop 0
	v_mov_b32_dpp v62, v66 row_bcast:31 row_mask:0xf bank_mask:0xf
	v_mov_b32_dpp v61, v59 row_bcast:31 row_mask:0xf bank_mask:0xf
	;; [unrolled: 1-line block ×3, first 2 shown]
	v_cmp_lt_u32_e64 s[28:29], 31, v63
	s_and_saveexec_b64 s[30:31], s[28:29]
; %bb.136:
	v_cmp_eq_u32_e64 s[28:29], 0, v66
	v_cndmask_b32_e64 v61, 0, v61, s[28:29]
	v_add_u32_e32 v62, v62, v66
	v_cndmask_b32_e64 v64, 0, v64, s[28:29]
	v_add_co_u32_e64 v59, s[28:29], v61, v59
	v_addc_co_u32_e64 v60, s[28:29], v64, v60, s[28:29]
	v_mov_b32_e32 v66, v62
; %bb.137:
	s_or_b64 exec, exec, s[30:31]
	v_lshrrev_b32_e32 v61, 6, v0
	v_or_b32_e32 v62, 63, v0
	v_cmp_eq_u32_e64 s[28:29], v0, v62
	v_lshlrev_b32_e32 v65, 4, v61
	s_and_saveexec_b64 s[30:31], s[28:29]
	s_cbranch_execz .LBB1208_139
; %bb.138:
	ds_write_b32 v65, v66 offset:4128
	ds_write_b64 v65, v[59:60] offset:4136
.LBB1208_139:
	s_or_b64 exec, exec, s[30:31]
	v_cmp_gt_u32_e64 s[28:29], 4, v0
	s_waitcnt vmcnt(0) lgkmcnt(0)
	s_barrier
	s_and_saveexec_b64 s[30:31], s[28:29]
	s_cbranch_execz .LBB1208_145
; %bb.140:
	v_lshlrev_b32_e32 v64, 4, v0
	ds_read_b32 v67, v64 offset:4128
	ds_read_b64 v[61:62], v64 offset:4136
	v_and_b32_e32 v68, 3, v63
	v_cmp_ne_u32_e64 s[28:29], 0, v68
	s_waitcnt lgkmcnt(1)
	v_mov_b32_dpp v70, v67 row_shr:1 row_mask:0xf bank_mask:0xf
	s_waitcnt lgkmcnt(0)
	v_mov_b32_dpp v69, v61 row_shr:1 row_mask:0xf bank_mask:0xf
	v_mov_b32_dpp v71, v62 row_shr:1 row_mask:0xf bank_mask:0xf
	s_and_saveexec_b64 s[34:35], s[28:29]
; %bb.141:
	v_cmp_eq_u32_e64 s[28:29], 0, v67
	v_cndmask_b32_e64 v69, 0, v69, s[28:29]
	v_add_u32_e32 v70, v70, v67
	v_cndmask_b32_e64 v67, 0, v71, s[28:29]
	v_add_co_u32_e64 v61, s[28:29], v69, v61
	v_addc_co_u32_e64 v62, s[28:29], v67, v62, s[28:29]
	v_mov_b32_e32 v67, v70
; %bb.142:
	s_or_b64 exec, exec, s[34:35]
	s_nop 0
	v_mov_b32_dpp v70, v67 row_shr:2 row_mask:0xf bank_mask:0xf
	v_mov_b32_dpp v69, v61 row_shr:2 row_mask:0xf bank_mask:0xf
	v_mov_b32_dpp v71, v62 row_shr:2 row_mask:0xf bank_mask:0xf
	v_cmp_lt_u32_e64 s[28:29], 1, v68
	s_and_saveexec_b64 s[34:35], s[28:29]
; %bb.143:
	v_cmp_eq_u32_e64 s[28:29], 0, v67
	v_cndmask_b32_e64 v69, 0, v69, s[28:29]
	v_add_u32_e32 v68, v70, v67
	v_cndmask_b32_e64 v67, 0, v71, s[28:29]
	v_add_co_u32_e64 v61, s[28:29], v69, v61
	v_addc_co_u32_e64 v62, s[28:29], v67, v62, s[28:29]
	v_mov_b32_e32 v67, v68
; %bb.144:
	s_or_b64 exec, exec, s[34:35]
	ds_write_b32 v64, v67 offset:4128
	ds_write_b64 v64, v[61:62] offset:4136
.LBB1208_145:
	s_or_b64 exec, exec, s[30:31]
	v_mov_b32_e32 v61, v96
	v_cmp_lt_u32_e64 s[28:29], 63, v0
	v_mov_b32_e32 v64, 0
	v_mov_b32_e32 v67, 0
	;; [unrolled: 1-line block ×3, first 2 shown]
	s_waitcnt lgkmcnt(0)
	s_barrier
	s_and_saveexec_b64 s[30:31], s[28:29]
	s_cbranch_execz .LBB1208_147
; %bb.146:
	ds_read_b32 v67, v65 offset:4112
	ds_read_b64 v[61:62], v65 offset:4120
	s_waitcnt lgkmcnt(1)
	v_cmp_eq_u32_e64 s[28:29], 0, v67
	v_cndmask_b32_e64 v68, 0, v96, s[28:29]
	v_cndmask_b32_e64 v65, 0, v97, s[28:29]
	s_waitcnt lgkmcnt(0)
	v_add_co_u32_e64 v61, s[28:29], v68, v61
	v_addc_co_u32_e64 v62, s[28:29], v65, v62, s[28:29]
.LBB1208_147:
	s_or_b64 exec, exec, s[30:31]
	v_cmp_eq_u32_e64 s[28:29], 0, v66
	v_cndmask_b32_e64 v68, 0, v61, s[28:29]
	v_add_u32_e32 v65, v67, v66
	v_cndmask_b32_e64 v66, 0, v62, s[28:29]
	v_add_co_u32_e64 v59, s[28:29], v68, v59
	v_addc_co_u32_e64 v60, s[28:29], v66, v60, s[28:29]
	v_subrev_co_u32_e64 v66, s[28:29], 1, v63
	v_and_b32_e32 v68, 64, v63
	v_cmp_lt_i32_e64 s[30:31], v66, v68
	v_cndmask_b32_e64 v63, v66, v63, s[30:31]
	v_lshlrev_b32_e32 v63, 2, v63
	ds_bpermute_b32 v65, v63, v65
	ds_bpermute_b32 v66, v63, v60
	;; [unrolled: 1-line block ×3, first 2 shown]
	v_cmp_eq_u32_e64 s[30:31], 0, v98
	s_waitcnt lgkmcnt(2)
	v_cndmask_b32_e64 v60, v65, v67, s[28:29]
	s_waitcnt lgkmcnt(1)
	v_cndmask_b32_e64 v91, v66, v62, s[28:29]
	;; [unrolled: 2-line block ×3, first 2 shown]
	v_cmp_eq_u32_e64 s[28:29], 0, v0
	v_cndmask_b32_e64 v59, v90, v96, s[28:29]
	v_cndmask_b32_e64 v61, v91, v97, s[28:29]
	;; [unrolled: 1-line block ×4, first 2 shown]
	v_add_co_u32_e64 v66, s[30:31], v59, v53
	v_addc_co_u32_e64 v67, s[30:31], v61, v54, s[30:31]
	v_cndmask_b32_e64 v54, 0, v66, s[26:27]
	v_cndmask_b32_e64 v53, 0, v67, s[26:27]
	v_add_co_u32_e64 v68, s[26:27], v54, v55
	v_addc_co_u32_e64 v69, s[26:27], v53, v56, s[26:27]
	v_cndmask_b32_e64 v54, 0, v68, s[24:25]
	v_cndmask_b32_e64 v53, 0, v69, s[24:25]
	;; [unrolled: 4-line block ×11, first 2 shown]
	v_add_co_u32_e64 v88, s[4:5], v34, v35
	v_addc_co_u32_e64 v89, s[4:5], v33, v36, s[4:5]
	v_cndmask_b32_e64 v34, 0, v88, s[6:7]
	ds_read_b32 v59, v64 offset:4176
	v_cndmask_b32_e64 v33, 0, v89, s[6:7]
	v_add_co_u32_e64 v92, s[4:5], v34, v1
	v_addc_co_u32_e64 v93, s[4:5], v33, v2, s[4:5]
	ds_read_b64 v[1:2], v64 offset:4184
	v_cndmask_b32_e32 v95, 0, v93, vcc
	v_cndmask_b32_e32 v94, 0, v92, vcc
	s_waitcnt lgkmcnt(1)
	v_cmp_eq_u32_e32 vcc, 0, v59
	v_cndmask_b32_e32 v34, 0, v96, vcc
	v_cndmask_b32_e32 v33, 0, v97, vcc
	s_waitcnt lgkmcnt(0)
	v_add_co_u32_e32 v61, vcc, v34, v1
	v_addc_co_u32_e32 v62, vcc, v33, v2, vcc
	s_and_saveexec_b64 s[4:5], s[28:29]
	s_cbranch_execz .LBB1208_149
; %bb.148:
	v_mov_b32_e32 v90, v96
	v_mov_b32_e32 v60, 0
	;; [unrolled: 1-line block ×4, first 2 shown]
	global_store_dword v60, v59, s[42:43] offset:1024
	global_store_dwordx2 v60, v[61:62], s[42:43] offset:1032
	s_waitcnt vmcnt(0)
	buffer_wbinvl1_vol
	global_store_byte v60, v1, s[44:45] offset:64
.LBB1208_149:
	s_or_b64 exec, exec, s[4:5]
	v_mov_b32_e32 v63, 0
.LBB1208_150:
	s_cmp_eq_u64 s[54:55], 0
	s_cselect_b64 s[4:5], -1, 0
	s_or_b64 s[4:5], s[46:47], s[4:5]
	v_mov_b32_e32 v1, 0
	s_and_b64 vcc, exec, s[4:5]
	v_mov_b32_e32 v2, 0
	s_waitcnt vmcnt(0)
	s_barrier
	s_cbranch_vccnz .LBB1208_152
; %bb.151:
	v_mov_b32_e32 v1, 0
	global_load_dwordx2 v[1:2], v1, s[54:55]
.LBB1208_152:
	s_nop 0
	buffer_load_dword v53, off, s[0:3], 0
	buffer_load_dword v54, off, s[0:3], 0 offset:4
	buffer_load_dword v55, off, s[0:3], 0 offset:8
	;; [unrolled: 1-line block ×13, first 2 shown]
	v_add_u32_e32 v50, v60, v98
	buffer_load_dword v98, off, s[0:3], 0 offset:56
	s_waitcnt vmcnt(15)
	v_lshlrev_b64 v[35:36], 3, v[1:2]
	v_mov_b32_e32 v64, 0
	v_mov_b32_e32 v37, s57
	v_lshlrev_b64 v[33:34], 3, v[63:64]
	v_add_co_u32_e32 v38, vcc, s56, v35
	v_addc_co_u32_e32 v37, vcc, v37, v36, vcc
	v_add_co_u32_e32 v51, vcc, v38, v33
	v_addc_co_u32_e32 v52, vcc, v37, v34, vcc
	v_add_u32_e32 v49, v50, v111
	v_add_u32_e32 v48, v49, v110
	;; [unrolled: 1-line block ×11, first 2 shown]
	s_movk_i32 s36, 0x100
	v_add_u32_e32 v38, v39, v107
	v_add_u32_e32 v37, v38, v108
	s_mov_b64 s[40:41], -1
	s_waitcnt vmcnt(14)
	v_cmp_eq_u32_e32 vcc, 0, v53
	v_cmp_ne_u32_e64 s[34:35], 0, v53
	v_cndmask_b32_e64 v53, 1, 2, vcc
	s_waitcnt vmcnt(13)
	v_cmp_eq_u32_e32 vcc, 0, v54
	v_cmp_ne_u32_e64 s[30:31], 0, v54
	v_cndmask_b32_e64 v54, 1, 2, vcc
	;; [unrolled: 4-line block ×3, first 2 shown]
	s_waitcnt vmcnt(11)
	v_cmp_eq_u32_e32 vcc, 0, v56
	v_and_b32_e32 v53, v54, v53
	v_cmp_ne_u32_e64 s[26:27], 0, v56
	v_cndmask_b32_e64 v56, 1, 2, vcc
	s_waitcnt vmcnt(10)
	v_cmp_eq_u32_e32 vcc, 0, v65
	v_and_b32_e32 v53, v53, v55
	v_cndmask_b32_e64 v64, 1, 2, vcc
	s_waitcnt vmcnt(9)
	v_cmp_eq_u32_e32 vcc, 0, v96
	v_and_b32_e32 v53, v53, v56
	v_cmp_ne_u32_e64 s[24:25], 0, v65
	v_cndmask_b32_e64 v65, 1, 2, vcc
	s_waitcnt vmcnt(8)
	v_cmp_eq_u32_e32 vcc, 0, v97
	v_and_b32_e32 v53, v53, v64
	v_cmp_ne_u32_e64 s[22:23], 0, v96
	;; [unrolled: 5-line block ×3, first 2 shown]
	v_cndmask_b32_e64 v97, 1, 2, vcc
	s_waitcnt vmcnt(6)
	v_cmp_eq_u32_e32 vcc, 0, v113
	v_and_b32_e32 v53, v53, v96
	v_cndmask_b32_e64 v99, 1, 2, vcc
	s_waitcnt vmcnt(5)
	v_cmp_eq_u32_e32 vcc, 0, v114
	v_and_b32_e32 v53, v53, v97
	;; [unrolled: 4-line block ×5, first 2 shown]
	v_cndmask_b32_e64 v103, 1, 2, vcc
	v_and_b32_e32 v53, v53, v102
	s_waitcnt vmcnt(1)
	v_cmp_eq_u32_e32 vcc, 0, v118
	v_and_b32_e32 v53, v53, v103
	v_cndmask_b32_e64 v54, 1, 2, vcc
	s_waitcnt vmcnt(0)
	v_cmp_eq_u32_e32 vcc, 0, v98
	v_and_b32_e32 v53, v53, v54
	v_cndmask_b32_e64 v54, 1, 2, vcc
	v_and_b32_e32 v53, v53, v54
	v_cmp_gt_u32_e32 vcc, s36, v59
	v_cmp_ne_u32_e64 s[18:19], 0, v112
	v_cmp_ne_u32_e64 s[16:17], 0, v113
	;; [unrolled: 1-line block ×8, first 2 shown]
	v_cmp_gt_i16_e64 s[36:37], 2, v53
	s_cbranch_vccz .LBB1208_159
; %bb.153:
	s_and_saveexec_b64 s[40:41], s[36:37]
	s_cbranch_execz .LBB1208_158
; %bb.154:
	v_cmp_ne_u16_e32 vcc, 1, v53
	s_mov_b64 s[42:43], 0
	s_and_saveexec_b64 s[36:37], vcc
	s_xor_b64 s[36:37], exec, s[36:37]
	s_cbranch_execnz .LBB1208_194
; %bb.155:
	s_andn2_saveexec_b64 s[36:37], s[36:37]
	s_cbranch_execnz .LBB1208_210
.LBB1208_156:
	s_or_b64 exec, exec, s[36:37]
	s_and_b64 exec, exec, s[42:43]
	s_cbranch_execz .LBB1208_158
.LBB1208_157:
	v_sub_u32_e32 v54, v37, v63
	v_mov_b32_e32 v55, 0
	v_lshlrev_b64 v[54:55], 3, v[54:55]
	v_add_co_u32_e32 v54, vcc, v51, v54
	v_addc_co_u32_e32 v55, vcc, v52, v55, vcc
	global_store_dwordx2 v[54:55], v[57:58], off
.LBB1208_158:
	s_or_b64 exec, exec, s[40:41]
	s_mov_b64 s[40:41], 0
.LBB1208_159:
	s_and_b64 vcc, exec, s[40:41]
	s_cbranch_vccz .LBB1208_169
; %bb.160:
	v_cmp_gt_i16_e32 vcc, 2, v53
	s_and_saveexec_b64 s[36:37], vcc
	s_cbranch_execz .LBB1208_165
; %bb.161:
	v_cmp_ne_u16_e32 vcc, 1, v53
	s_mov_b64 s[42:43], 0
	s_and_saveexec_b64 s[40:41], vcc
	s_xor_b64 s[40:41], exec, s[40:41]
	s_cbranch_execnz .LBB1208_211
; %bb.162:
	s_andn2_saveexec_b64 s[4:5], s[40:41]
	s_cbranch_execnz .LBB1208_227
.LBB1208_163:
	s_or_b64 exec, exec, s[4:5]
	s_and_b64 exec, exec, s[42:43]
.LBB1208_164:
	v_sub_u32_e32 v5, v37, v63
	v_lshlrev_b32_e32 v5, 3, v5
	ds_write_b64 v5, v[57:58]
.LBB1208_165:
	s_or_b64 exec, exec, s[36:37]
	v_cmp_lt_u32_e32 vcc, v0, v59
	s_waitcnt vmcnt(0) lgkmcnt(0)
	s_barrier
	s_and_saveexec_b64 s[6:7], vcc
	s_cbranch_execz .LBB1208_168
; %bb.166:
	v_lshlrev_b32_e32 v7, 3, v0
	s_mov_b64 s[8:9], 0
	v_mov_b32_e32 v6, 0
	v_mov_b32_e32 v5, v0
.LBB1208_167:                           ; =>This Inner Loop Header: Depth=1
	ds_read_b64 v[10:11], v7
	v_lshlrev_b64 v[8:9], 3, v[5:6]
	v_add_u32_e32 v5, 0x100, v5
	v_cmp_ge_u32_e32 vcc, v5, v59
	v_add_co_u32_e64 v8, s[4:5], v51, v8
	v_add_u32_e32 v7, 0x800, v7
	v_addc_co_u32_e64 v9, s[4:5], v52, v9, s[4:5]
	s_or_b64 s[8:9], vcc, s[8:9]
	s_waitcnt lgkmcnt(0)
	global_store_dwordx2 v[8:9], v[10:11], off
	s_andn2_b64 exec, exec, s[8:9]
	s_cbranch_execnz .LBB1208_167
.LBB1208_168:
	s_or_b64 exec, exec, s[6:7]
.LBB1208_169:
	v_cmp_eq_u32_e32 vcc, 0, v0
	s_and_b64 s[6:7], vcc, s[50:51]
	s_waitcnt vmcnt(0)
	s_barrier
	s_and_saveexec_b64 s[4:5], s[6:7]
	s_cbranch_execz .LBB1208_171
; %bb.170:
	v_mov_b32_e32 v5, 0
	buffer_store_dword v5, off, s[0:3], 0
.LBB1208_171:
	s_or_b64 exec, exec, s[4:5]
	s_mul_hi_u32 s4, s33, 0x88888889
	s_lshr_b32 s4, s4, 3
	v_cmp_eq_u32_e32 vcc, s4, v0
	s_and_b64 s[6:7], s[48:49], vcc
	s_and_saveexec_b64 s[4:5], s[6:7]
	s_cbranch_execz .LBB1208_173
; %bb.172:
	s_lshl_b32 s6, s33, 2
	v_mov_b32_e32 v5, s6
	s_movk_i32 s6, 0xffc4
	v_mad_i32_i24 v5, v0, s6, v5
	v_mov_b32_e32 v6, 1
	buffer_store_dword v6, v5, s[0:3], 0 offen
.LBB1208_173:
	s_or_b64 exec, exec, s[4:5]
	buffer_load_dword v11, off, s[0:3], 0
	buffer_load_dword v12, off, s[0:3], 0 offset:4
	buffer_load_dword v13, off, s[0:3], 0 offset:8
	;; [unrolled: 1-line block ×14, first 2 shown]
	v_add_co_u32_e32 v3, vcc, v94, v3
	v_addc_co_u32_e32 v4, vcc, v95, v4, vcc
	v_mov_b32_e32 v6, s59
	v_add_co_u32_e32 v8, vcc, s58, v35
	v_cndmask_b32_e64 v5, 0, 1, s[50:51]
	v_addc_co_u32_e32 v6, vcc, v6, v36, vcc
	v_sub_u32_e32 v7, v59, v5
	v_lshlrev_b32_e32 v9, 3, v5
	v_add_u32_e32 v10, v63, v5
	v_add_co_u32_e32 v5, vcc, v8, v33
	v_addc_co_u32_e32 v6, vcc, v6, v34, vcc
	v_add_co_u32_e32 v8, vcc, v5, v9
	v_addc_co_u32_e32 v9, vcc, 0, v6, vcc
	v_add_co_u32_e32 v8, vcc, -8, v8
	v_addc_co_u32_e32 v9, vcc, -1, v9, vcc
	s_cmpk_lg_i32 s33, 0xf00
	s_cselect_b64 s[4:5], -1, 0
	s_and_b64 s[4:5], s[48:49], s[4:5]
	v_cndmask_b32_e64 v26, 0, 1, s[4:5]
	v_add_u32_e32 v7, v7, v26
	s_movk_i32 s36, 0x100
	s_mov_b64 s[40:41], -1
	s_waitcnt vmcnt(14)
	v_cmp_eq_u32_e32 vcc, 0, v11
	v_cmp_ne_u32_e64 s[34:35], 0, v11
	v_cndmask_b32_e64 v11, 1, 2, vcc
	s_waitcnt vmcnt(13)
	v_cmp_eq_u32_e32 vcc, 0, v12
	v_cmp_ne_u32_e64 s[30:31], 0, v12
	v_cndmask_b32_e64 v12, 1, 2, vcc
	;; [unrolled: 4-line block ×3, first 2 shown]
	s_waitcnt vmcnt(11)
	v_cmp_eq_u32_e32 vcc, 0, v14
	v_and_b32_e32 v11, v12, v11
	v_cmp_ne_u32_e64 s[26:27], 0, v14
	v_cndmask_b32_e64 v14, 1, 2, vcc
	s_waitcnt vmcnt(10)
	v_cmp_eq_u32_e32 vcc, 0, v15
	v_and_b32_e32 v11, v11, v13
	v_cmp_ne_u32_e64 s[24:25], 0, v15
	v_cndmask_b32_e64 v15, 1, 2, vcc
	;; [unrolled: 5-line block ×9, first 2 shown]
	v_and_b32_e32 v11, v11, v21
	s_waitcnt vmcnt(2)
	v_cmp_eq_u32_e32 vcc, 0, v23
	v_and_b32_e32 v11, v11, v22
	v_cndmask_b32_e64 v12, 1, 2, vcc
	s_waitcnt vmcnt(1)
	v_cmp_eq_u32_e32 vcc, 0, v24
	v_and_b32_e32 v11, v11, v12
	v_cndmask_b32_e64 v12, 1, 2, vcc
	;; [unrolled: 4-line block ×3, first 2 shown]
	v_and_b32_e32 v11, v11, v12
	v_cmp_gt_u32_e32 vcc, s36, v7
	v_cmp_ne_u32_e64 s[10:11], 0, v23
	v_cmp_ne_u32_e64 s[6:7], 0, v24
	;; [unrolled: 1-line block ×3, first 2 shown]
	v_cmp_gt_i16_e64 s[36:37], 2, v11
	s_cbranch_vccz .LBB1208_180
; %bb.174:
	s_and_saveexec_b64 s[40:41], s[36:37]
	s_cbranch_execz .LBB1208_179
; %bb.175:
	v_cmp_ne_u16_e32 vcc, 1, v11
	s_mov_b64 s[42:43], 0
	s_and_saveexec_b64 s[36:37], vcc
	s_xor_b64 s[36:37], exec, s[36:37]
	s_cbranch_execnz .LBB1208_228
; %bb.176:
	s_andn2_saveexec_b64 s[36:37], s[36:37]
	s_cbranch_execnz .LBB1208_244
.LBB1208_177:
	s_or_b64 exec, exec, s[36:37]
	s_and_b64 exec, exec, s[42:43]
	s_cbranch_execz .LBB1208_179
.LBB1208_178:
	v_sub_u32_e32 v12, v37, v10
	v_mov_b32_e32 v13, 0
	v_lshlrev_b64 v[12:13], 3, v[12:13]
	v_add_co_u32_e32 v12, vcc, v8, v12
	v_addc_co_u32_e32 v13, vcc, v9, v13, vcc
	global_store_dwordx2 v[12:13], v[3:4], off
.LBB1208_179:
	s_or_b64 exec, exec, s[40:41]
	s_mov_b64 s[40:41], 0
.LBB1208_180:
	s_and_b64 vcc, exec, s[40:41]
	s_cbranch_vccz .LBB1208_190
; %bb.181:
	v_cmp_gt_i16_e32 vcc, 2, v11
	s_and_saveexec_b64 s[36:37], vcc
	s_cbranch_execz .LBB1208_186
; %bb.182:
	v_cmp_ne_u16_e32 vcc, 1, v11
	s_mov_b64 s[42:43], 0
	s_and_saveexec_b64 s[40:41], vcc
	s_xor_b64 s[40:41], exec, s[40:41]
	s_cbranch_execnz .LBB1208_245
; %bb.183:
	s_andn2_saveexec_b64 s[4:5], s[40:41]
	s_cbranch_execnz .LBB1208_261
.LBB1208_184:
	s_or_b64 exec, exec, s[4:5]
	s_and_b64 exec, exec, s[42:43]
.LBB1208_185:
	v_sub_u32_e32 v10, v37, v10
	v_lshlrev_b32_e32 v10, 3, v10
	ds_write_b64 v10, v[3:4]
.LBB1208_186:
	s_or_b64 exec, exec, s[36:37]
	v_cmp_lt_u32_e32 vcc, v0, v7
	s_waitcnt vmcnt(0) lgkmcnt(0)
	s_barrier
	s_and_saveexec_b64 s[6:7], vcc
	s_cbranch_execz .LBB1208_189
; %bb.187:
	v_lshlrev_b32_e32 v10, 3, v0
	s_mov_b64 s[8:9], 0
	v_mov_b32_e32 v4, 0
	v_mov_b32_e32 v3, v0
.LBB1208_188:                           ; =>This Inner Loop Header: Depth=1
	ds_read_b64 v[13:14], v10
	v_lshlrev_b64 v[11:12], 3, v[3:4]
	v_add_u32_e32 v3, 0x100, v3
	v_cmp_ge_u32_e32 vcc, v3, v7
	v_add_co_u32_e64 v11, s[4:5], v8, v11
	v_add_u32_e32 v10, 0x800, v10
	v_addc_co_u32_e64 v12, s[4:5], v9, v12, s[4:5]
	s_or_b64 s[8:9], vcc, s[8:9]
	s_waitcnt lgkmcnt(0)
	global_store_dwordx2 v[11:12], v[13:14], off
	s_andn2_b64 exec, exec, s[8:9]
	s_cbranch_execnz .LBB1208_188
.LBB1208_189:
	s_or_b64 exec, exec, s[6:7]
.LBB1208_190:
	s_movk_i32 s4, 0xff
	v_cmp_eq_u32_e32 vcc, s4, v0
	s_and_b64 s[4:5], vcc, s[48:49]
	s_and_saveexec_b64 s[6:7], s[4:5]
	s_cbranch_execz .LBB1208_193
; %bb.191:
	v_add_co_u32_e32 v0, vcc, v59, v63
	v_addc_co_u32_e64 v3, s[4:5], 0, 0, vcc
	v_add_co_u32_e32 v0, vcc, v0, v1
	v_mov_b32_e32 v60, 0
	v_addc_co_u32_e32 v1, vcc, v3, v2, vcc
	s_cmpk_lg_i32 s33, 0xf00
	global_store_dwordx2 v60, v[0:1], s[38:39]
	s_cbranch_scc1 .LBB1208_193
; %bb.192:
	v_lshlrev_b64 v[0:1], 3, v[59:60]
	v_add_co_u32_e32 v0, vcc, v5, v0
	v_addc_co_u32_e32 v1, vcc, v6, v1, vcc
	global_store_dwordx2 v[0:1], v[61:62], off offset:-8
.LBB1208_193:
	s_endpgm
.LBB1208_194:
	s_and_saveexec_b64 s[42:43], s[34:35]
	s_cbranch_execnz .LBB1208_262
; %bb.195:
	s_or_b64 exec, exec, s[42:43]
	s_and_saveexec_b64 s[42:43], s[30:31]
	s_cbranch_execnz .LBB1208_263
.LBB1208_196:
	s_or_b64 exec, exec, s[42:43]
	s_and_saveexec_b64 s[42:43], s[28:29]
	s_cbranch_execnz .LBB1208_264
.LBB1208_197:
	s_or_b64 exec, exec, s[42:43]
	s_and_saveexec_b64 s[42:43], s[26:27]
	s_cbranch_execnz .LBB1208_265
.LBB1208_198:
	s_or_b64 exec, exec, s[42:43]
	s_and_saveexec_b64 s[42:43], s[24:25]
	s_cbranch_execnz .LBB1208_266
.LBB1208_199:
	s_or_b64 exec, exec, s[42:43]
	s_and_saveexec_b64 s[42:43], s[22:23]
	s_cbranch_execnz .LBB1208_267
.LBB1208_200:
	s_or_b64 exec, exec, s[42:43]
	s_and_saveexec_b64 s[42:43], s[20:21]
	s_cbranch_execnz .LBB1208_268
.LBB1208_201:
	s_or_b64 exec, exec, s[42:43]
	s_and_saveexec_b64 s[42:43], s[18:19]
	s_cbranch_execnz .LBB1208_269
.LBB1208_202:
	s_or_b64 exec, exec, s[42:43]
	s_and_saveexec_b64 s[42:43], s[16:17]
	s_cbranch_execnz .LBB1208_270
.LBB1208_203:
	s_or_b64 exec, exec, s[42:43]
	s_and_saveexec_b64 s[42:43], s[14:15]
	s_cbranch_execnz .LBB1208_271
.LBB1208_204:
	s_or_b64 exec, exec, s[42:43]
	s_and_saveexec_b64 s[42:43], s[12:13]
	s_cbranch_execnz .LBB1208_272
.LBB1208_205:
	s_or_b64 exec, exec, s[42:43]
	s_and_saveexec_b64 s[42:43], s[10:11]
	s_cbranch_execnz .LBB1208_273
.LBB1208_206:
	s_or_b64 exec, exec, s[42:43]
	s_and_saveexec_b64 s[42:43], s[8:9]
	s_cbranch_execnz .LBB1208_274
.LBB1208_207:
	s_or_b64 exec, exec, s[42:43]
	s_and_saveexec_b64 s[42:43], s[4:5]
	s_cbranch_execz .LBB1208_209
.LBB1208_208:
	v_sub_u32_e32 v54, v38, v63
	v_mov_b32_e32 v55, 0
	v_lshlrev_b64 v[54:55], 3, v[54:55]
	v_add_co_u32_e32 v54, vcc, v51, v54
	v_addc_co_u32_e32 v55, vcc, v52, v55, vcc
	global_store_dwordx2 v[54:55], v[7:8], off
.LBB1208_209:
	s_or_b64 exec, exec, s[42:43]
	s_and_b64 s[42:43], s[6:7], exec
	s_andn2_saveexec_b64 s[36:37], s[36:37]
	s_cbranch_execz .LBB1208_156
.LBB1208_210:
	v_sub_u32_e32 v54, v60, v63
	v_mov_b32_e32 v55, 0
	v_lshlrev_b64 v[64:65], 3, v[54:55]
	v_sub_u32_e32 v54, v50, v63
	v_add_co_u32_e32 v64, vcc, v51, v64
	v_addc_co_u32_e32 v65, vcc, v52, v65, vcc
	global_store_dwordx2 v[64:65], v[29:30], off
	v_lshlrev_b64 v[64:65], 3, v[54:55]
	v_sub_u32_e32 v54, v49, v63
	v_add_co_u32_e32 v64, vcc, v51, v64
	v_addc_co_u32_e32 v65, vcc, v52, v65, vcc
	global_store_dwordx2 v[64:65], v[31:32], off
	v_lshlrev_b64 v[64:65], 3, v[54:55]
	v_sub_u32_e32 v54, v48, v63
	v_add_co_u32_e32 v64, vcc, v51, v64
	v_addc_co_u32_e32 v65, vcc, v52, v65, vcc
	global_store_dwordx2 v[64:65], v[25:26], off
	v_lshlrev_b64 v[64:65], 3, v[54:55]
	v_sub_u32_e32 v54, v47, v63
	v_add_co_u32_e32 v64, vcc, v51, v64
	v_addc_co_u32_e32 v65, vcc, v52, v65, vcc
	global_store_dwordx2 v[64:65], v[27:28], off
	v_lshlrev_b64 v[64:65], 3, v[54:55]
	v_sub_u32_e32 v54, v46, v63
	v_add_co_u32_e32 v64, vcc, v51, v64
	v_addc_co_u32_e32 v65, vcc, v52, v65, vcc
	global_store_dwordx2 v[64:65], v[21:22], off
	v_lshlrev_b64 v[64:65], 3, v[54:55]
	v_sub_u32_e32 v54, v45, v63
	v_add_co_u32_e32 v64, vcc, v51, v64
	v_addc_co_u32_e32 v65, vcc, v52, v65, vcc
	global_store_dwordx2 v[64:65], v[23:24], off
	v_lshlrev_b64 v[64:65], 3, v[54:55]
	v_sub_u32_e32 v54, v44, v63
	v_add_co_u32_e32 v64, vcc, v51, v64
	v_addc_co_u32_e32 v65, vcc, v52, v65, vcc
	global_store_dwordx2 v[64:65], v[17:18], off
	v_lshlrev_b64 v[64:65], 3, v[54:55]
	v_sub_u32_e32 v54, v43, v63
	v_add_co_u32_e32 v64, vcc, v51, v64
	v_addc_co_u32_e32 v65, vcc, v52, v65, vcc
	global_store_dwordx2 v[64:65], v[19:20], off
	v_lshlrev_b64 v[64:65], 3, v[54:55]
	v_sub_u32_e32 v54, v42, v63
	v_add_co_u32_e32 v64, vcc, v51, v64
	v_addc_co_u32_e32 v65, vcc, v52, v65, vcc
	global_store_dwordx2 v[64:65], v[13:14], off
	v_lshlrev_b64 v[64:65], 3, v[54:55]
	v_sub_u32_e32 v54, v41, v63
	v_add_co_u32_e32 v64, vcc, v51, v64
	v_addc_co_u32_e32 v65, vcc, v52, v65, vcc
	global_store_dwordx2 v[64:65], v[15:16], off
	v_lshlrev_b64 v[64:65], 3, v[54:55]
	v_sub_u32_e32 v54, v40, v63
	v_add_co_u32_e32 v64, vcc, v51, v64
	v_addc_co_u32_e32 v65, vcc, v52, v65, vcc
	global_store_dwordx2 v[64:65], v[9:10], off
	v_lshlrev_b64 v[64:65], 3, v[54:55]
	v_sub_u32_e32 v54, v39, v63
	v_add_co_u32_e32 v64, vcc, v51, v64
	v_addc_co_u32_e32 v65, vcc, v52, v65, vcc
	global_store_dwordx2 v[64:65], v[11:12], off
	v_lshlrev_b64 v[64:65], 3, v[54:55]
	v_sub_u32_e32 v54, v38, v63
	v_add_co_u32_e32 v64, vcc, v51, v64
	v_lshlrev_b64 v[54:55], 3, v[54:55]
	v_addc_co_u32_e32 v65, vcc, v52, v65, vcc
	v_add_co_u32_e32 v54, vcc, v51, v54
	v_addc_co_u32_e32 v55, vcc, v52, v55, vcc
	s_or_b64 s[42:43], s[42:43], exec
	global_store_dwordx2 v[64:65], v[5:6], off
	global_store_dwordx2 v[54:55], v[7:8], off
	s_or_b64 exec, exec, s[36:37]
	s_and_b64 exec, exec, s[42:43]
	s_cbranch_execnz .LBB1208_157
	s_branch .LBB1208_158
.LBB1208_211:
	s_and_saveexec_b64 s[42:43], s[34:35]
	s_cbranch_execnz .LBB1208_275
; %bb.212:
	s_or_b64 exec, exec, s[42:43]
	s_and_saveexec_b64 s[34:35], s[30:31]
	s_cbranch_execnz .LBB1208_276
.LBB1208_213:
	s_or_b64 exec, exec, s[34:35]
	s_and_saveexec_b64 s[30:31], s[28:29]
	s_cbranch_execnz .LBB1208_277
.LBB1208_214:
	s_or_b64 exec, exec, s[30:31]
	s_and_saveexec_b64 s[28:29], s[26:27]
	s_cbranch_execnz .LBB1208_278
.LBB1208_215:
	s_or_b64 exec, exec, s[28:29]
	s_and_saveexec_b64 s[26:27], s[24:25]
	s_cbranch_execnz .LBB1208_279
.LBB1208_216:
	s_or_b64 exec, exec, s[26:27]
	s_and_saveexec_b64 s[24:25], s[22:23]
	s_cbranch_execnz .LBB1208_280
.LBB1208_217:
	s_or_b64 exec, exec, s[24:25]
	s_and_saveexec_b64 s[22:23], s[20:21]
	s_cbranch_execnz .LBB1208_281
.LBB1208_218:
	s_or_b64 exec, exec, s[22:23]
	s_and_saveexec_b64 s[20:21], s[18:19]
	s_cbranch_execnz .LBB1208_282
.LBB1208_219:
	s_or_b64 exec, exec, s[20:21]
	s_and_saveexec_b64 s[18:19], s[16:17]
	s_cbranch_execnz .LBB1208_283
.LBB1208_220:
	s_or_b64 exec, exec, s[18:19]
	s_and_saveexec_b64 s[16:17], s[14:15]
	s_cbranch_execnz .LBB1208_284
.LBB1208_221:
	s_or_b64 exec, exec, s[16:17]
	s_and_saveexec_b64 s[14:15], s[12:13]
	s_cbranch_execnz .LBB1208_285
.LBB1208_222:
	s_or_b64 exec, exec, s[14:15]
	s_and_saveexec_b64 s[12:13], s[10:11]
	s_cbranch_execnz .LBB1208_286
.LBB1208_223:
	s_or_b64 exec, exec, s[12:13]
	s_and_saveexec_b64 s[10:11], s[8:9]
	s_cbranch_execnz .LBB1208_287
.LBB1208_224:
	s_or_b64 exec, exec, s[10:11]
	s_and_saveexec_b64 s[8:9], s[4:5]
.LBB1208_225:
	v_sub_u32_e32 v5, v38, v63
	v_lshlrev_b32_e32 v5, 3, v5
	ds_write_b64 v5, v[7:8]
.LBB1208_226:
	s_or_b64 exec, exec, s[8:9]
	s_and_b64 s[42:43], s[6:7], exec
                                        ; implicit-def: $vgpr29_vgpr30
                                        ; implicit-def: $vgpr25_vgpr26
                                        ; implicit-def: $vgpr21_vgpr22
                                        ; implicit-def: $vgpr17_vgpr18
                                        ; implicit-def: $vgpr13_vgpr14
                                        ; implicit-def: $vgpr9_vgpr10
                                        ; implicit-def: $vgpr5_vgpr6
	s_andn2_saveexec_b64 s[4:5], s[40:41]
	s_cbranch_execz .LBB1208_163
.LBB1208_227:
	v_sub_u32_e32 v53, v60, v63
	v_lshlrev_b32_e32 v53, 3, v53
	ds_write_b64 v53, v[29:30]
	v_sub_u32_e32 v29, v50, v63
	v_lshlrev_b32_e32 v29, 3, v29
	ds_write_b64 v29, v[31:32]
	v_sub_u32_e32 v29, v49, v63
	v_lshlrev_b32_e32 v29, 3, v29
	ds_write_b64 v29, v[25:26]
	v_sub_u32_e32 v25, v48, v63
	v_lshlrev_b32_e32 v25, 3, v25
	ds_write_b64 v25, v[27:28]
	v_sub_u32_e32 v25, v47, v63
	v_lshlrev_b32_e32 v25, 3, v25
	ds_write_b64 v25, v[21:22]
	v_sub_u32_e32 v21, v46, v63
	v_lshlrev_b32_e32 v21, 3, v21
	ds_write_b64 v21, v[23:24]
	v_sub_u32_e32 v21, v45, v63
	v_lshlrev_b32_e32 v21, 3, v21
	ds_write_b64 v21, v[17:18]
	v_sub_u32_e32 v17, v44, v63
	v_lshlrev_b32_e32 v17, 3, v17
	ds_write_b64 v17, v[19:20]
	v_sub_u32_e32 v17, v43, v63
	v_lshlrev_b32_e32 v17, 3, v17
	ds_write_b64 v17, v[13:14]
	v_sub_u32_e32 v13, v42, v63
	v_lshlrev_b32_e32 v13, 3, v13
	ds_write_b64 v13, v[15:16]
	v_sub_u32_e32 v13, v41, v63
	v_lshlrev_b32_e32 v13, 3, v13
	ds_write_b64 v13, v[9:10]
	v_sub_u32_e32 v9, v40, v63
	v_lshlrev_b32_e32 v9, 3, v9
	ds_write_b64 v9, v[11:12]
	v_sub_u32_e32 v9, v39, v63
	v_lshlrev_b32_e32 v9, 3, v9
	ds_write_b64 v9, v[5:6]
	v_sub_u32_e32 v5, v38, v63
	v_lshlrev_b32_e32 v5, 3, v5
	s_or_b64 s[42:43], s[42:43], exec
	ds_write_b64 v5, v[7:8]
	s_or_b64 exec, exec, s[4:5]
	s_and_b64 exec, exec, s[42:43]
	s_cbranch_execnz .LBB1208_164
	s_branch .LBB1208_165
.LBB1208_228:
	s_and_saveexec_b64 s[42:43], s[34:35]
	s_cbranch_execnz .LBB1208_288
; %bb.229:
	s_or_b64 exec, exec, s[42:43]
	s_and_saveexec_b64 s[42:43], s[30:31]
	s_cbranch_execnz .LBB1208_289
.LBB1208_230:
	s_or_b64 exec, exec, s[42:43]
	s_and_saveexec_b64 s[42:43], s[28:29]
	s_cbranch_execnz .LBB1208_290
.LBB1208_231:
	s_or_b64 exec, exec, s[42:43]
	s_and_saveexec_b64 s[42:43], s[26:27]
	s_cbranch_execnz .LBB1208_291
.LBB1208_232:
	s_or_b64 exec, exec, s[42:43]
	s_and_saveexec_b64 s[42:43], s[24:25]
	s_cbranch_execnz .LBB1208_292
.LBB1208_233:
	s_or_b64 exec, exec, s[42:43]
	s_and_saveexec_b64 s[42:43], s[22:23]
	s_cbranch_execnz .LBB1208_293
.LBB1208_234:
	s_or_b64 exec, exec, s[42:43]
	s_and_saveexec_b64 s[42:43], s[20:21]
	s_cbranch_execnz .LBB1208_294
.LBB1208_235:
	s_or_b64 exec, exec, s[42:43]
	s_and_saveexec_b64 s[42:43], s[18:19]
	s_cbranch_execnz .LBB1208_295
.LBB1208_236:
	s_or_b64 exec, exec, s[42:43]
	s_and_saveexec_b64 s[42:43], s[16:17]
	s_cbranch_execnz .LBB1208_296
.LBB1208_237:
	s_or_b64 exec, exec, s[42:43]
	s_and_saveexec_b64 s[42:43], s[14:15]
	s_cbranch_execnz .LBB1208_297
.LBB1208_238:
	s_or_b64 exec, exec, s[42:43]
	s_and_saveexec_b64 s[42:43], s[12:13]
	s_cbranch_execnz .LBB1208_298
.LBB1208_239:
	s_or_b64 exec, exec, s[42:43]
	s_and_saveexec_b64 s[42:43], s[8:9]
	s_cbranch_execnz .LBB1208_299
.LBB1208_240:
	s_or_b64 exec, exec, s[42:43]
	s_and_saveexec_b64 s[42:43], s[10:11]
	s_cbranch_execnz .LBB1208_300
.LBB1208_241:
	s_or_b64 exec, exec, s[42:43]
	s_and_saveexec_b64 s[42:43], s[6:7]
	s_cbranch_execz .LBB1208_243
.LBB1208_242:
	v_sub_u32_e32 v12, v38, v10
	v_mov_b32_e32 v13, 0
	v_lshlrev_b64 v[12:13], 3, v[12:13]
	v_add_co_u32_e32 v12, vcc, v8, v12
	v_addc_co_u32_e32 v13, vcc, v9, v13, vcc
	global_store_dwordx2 v[12:13], v[92:93], off
.LBB1208_243:
	s_or_b64 exec, exec, s[42:43]
	s_and_b64 s[42:43], s[4:5], exec
	s_andn2_saveexec_b64 s[36:37], s[36:37]
	s_cbranch_execz .LBB1208_177
.LBB1208_244:
	v_sub_u32_e32 v12, v60, v10
	v_mov_b32_e32 v13, 0
	v_lshlrev_b64 v[14:15], 3, v[12:13]
	v_sub_u32_e32 v12, v50, v10
	v_add_co_u32_e32 v14, vcc, v8, v14
	v_addc_co_u32_e32 v15, vcc, v9, v15, vcc
	global_store_dwordx2 v[14:15], v[90:91], off
	v_lshlrev_b64 v[14:15], 3, v[12:13]
	v_sub_u32_e32 v12, v49, v10
	v_add_co_u32_e32 v14, vcc, v8, v14
	v_addc_co_u32_e32 v15, vcc, v9, v15, vcc
	global_store_dwordx2 v[14:15], v[66:67], off
	;; [unrolled: 5-line block ×12, first 2 shown]
	v_lshlrev_b64 v[14:15], 3, v[12:13]
	v_sub_u32_e32 v12, v38, v10
	v_add_co_u32_e32 v14, vcc, v8, v14
	v_lshlrev_b64 v[12:13], 3, v[12:13]
	v_addc_co_u32_e32 v15, vcc, v9, v15, vcc
	v_add_co_u32_e32 v12, vcc, v8, v12
	v_addc_co_u32_e32 v13, vcc, v9, v13, vcc
	s_or_b64 s[42:43], s[42:43], exec
	global_store_dwordx2 v[14:15], v[88:89], off
	global_store_dwordx2 v[12:13], v[92:93], off
	s_or_b64 exec, exec, s[36:37]
	s_and_b64 exec, exec, s[42:43]
	s_cbranch_execnz .LBB1208_178
	s_branch .LBB1208_179
.LBB1208_245:
	s_and_saveexec_b64 s[42:43], s[34:35]
	s_cbranch_execnz .LBB1208_301
; %bb.246:
	s_or_b64 exec, exec, s[42:43]
	s_and_saveexec_b64 s[34:35], s[30:31]
	s_cbranch_execnz .LBB1208_302
.LBB1208_247:
	s_or_b64 exec, exec, s[34:35]
	s_and_saveexec_b64 s[30:31], s[28:29]
	s_cbranch_execnz .LBB1208_303
.LBB1208_248:
	s_or_b64 exec, exec, s[30:31]
	s_and_saveexec_b64 s[28:29], s[26:27]
	s_cbranch_execnz .LBB1208_304
.LBB1208_249:
	s_or_b64 exec, exec, s[28:29]
	s_and_saveexec_b64 s[26:27], s[24:25]
	s_cbranch_execnz .LBB1208_305
.LBB1208_250:
	s_or_b64 exec, exec, s[26:27]
	s_and_saveexec_b64 s[24:25], s[22:23]
	s_cbranch_execnz .LBB1208_306
.LBB1208_251:
	s_or_b64 exec, exec, s[24:25]
	s_and_saveexec_b64 s[22:23], s[20:21]
	s_cbranch_execnz .LBB1208_307
.LBB1208_252:
	s_or_b64 exec, exec, s[22:23]
	s_and_saveexec_b64 s[20:21], s[18:19]
	s_cbranch_execnz .LBB1208_308
.LBB1208_253:
	s_or_b64 exec, exec, s[20:21]
	s_and_saveexec_b64 s[18:19], s[16:17]
	s_cbranch_execnz .LBB1208_309
.LBB1208_254:
	s_or_b64 exec, exec, s[18:19]
	s_and_saveexec_b64 s[16:17], s[14:15]
	s_cbranch_execnz .LBB1208_310
.LBB1208_255:
	s_or_b64 exec, exec, s[16:17]
	s_and_saveexec_b64 s[14:15], s[12:13]
	s_cbranch_execnz .LBB1208_311
.LBB1208_256:
	s_or_b64 exec, exec, s[14:15]
	s_and_saveexec_b64 s[12:13], s[8:9]
	s_cbranch_execnz .LBB1208_312
.LBB1208_257:
	s_or_b64 exec, exec, s[12:13]
	s_and_saveexec_b64 s[8:9], s[10:11]
	s_cbranch_execnz .LBB1208_313
.LBB1208_258:
	s_or_b64 exec, exec, s[8:9]
	s_and_saveexec_b64 s[8:9], s[6:7]
.LBB1208_259:
	v_sub_u32_e32 v11, v38, v10
	v_lshlrev_b32_e32 v11, 3, v11
	ds_write_b64 v11, v[92:93]
.LBB1208_260:
	s_or_b64 exec, exec, s[8:9]
	s_and_b64 s[42:43], s[4:5], exec
                                        ; implicit-def: $vgpr90_vgpr91
                                        ; implicit-def: $vgpr66_vgpr67
                                        ; implicit-def: $vgpr68_vgpr69
                                        ; implicit-def: $vgpr70_vgpr71
                                        ; implicit-def: $vgpr72_vgpr73
                                        ; implicit-def: $vgpr74_vgpr75
                                        ; implicit-def: $vgpr76_vgpr77
                                        ; implicit-def: $vgpr78_vgpr79
                                        ; implicit-def: $vgpr80_vgpr81
                                        ; implicit-def: $vgpr82_vgpr83
                                        ; implicit-def: $vgpr84_vgpr85
                                        ; implicit-def: $vgpr86_vgpr87
                                        ; implicit-def: $vgpr88_vgpr89
                                        ; implicit-def: $vgpr92_vgpr93
                                        ; implicit-def: $vgpr60
                                        ; implicit-def: $vgpr50
                                        ; implicit-def: $vgpr49
                                        ; implicit-def: $vgpr48
                                        ; implicit-def: $vgpr47
                                        ; implicit-def: $vgpr46
                                        ; implicit-def: $vgpr45
                                        ; implicit-def: $vgpr44
                                        ; implicit-def: $vgpr43
                                        ; implicit-def: $vgpr42
                                        ; implicit-def: $vgpr41
                                        ; implicit-def: $vgpr40
                                        ; implicit-def: $vgpr39
                                        ; implicit-def: $vgpr38
	s_andn2_saveexec_b64 s[4:5], s[40:41]
	s_cbranch_execz .LBB1208_184
.LBB1208_261:
	v_sub_u32_e32 v11, v60, v10
	v_lshlrev_b32_e32 v11, 3, v11
	ds_write_b64 v11, v[90:91]
	v_sub_u32_e32 v11, v50, v10
	v_lshlrev_b32_e32 v11, 3, v11
	ds_write_b64 v11, v[66:67]
	;; [unrolled: 3-line block ×13, first 2 shown]
	v_sub_u32_e32 v11, v38, v10
	v_lshlrev_b32_e32 v11, 3, v11
	s_or_b64 s[42:43], s[42:43], exec
	ds_write_b64 v11, v[92:93]
	s_or_b64 exec, exec, s[4:5]
	s_and_b64 exec, exec, s[42:43]
	s_cbranch_execnz .LBB1208_185
	s_branch .LBB1208_186
.LBB1208_262:
	v_sub_u32_e32 v54, v60, v63
	v_mov_b32_e32 v55, 0
	v_lshlrev_b64 v[54:55], 3, v[54:55]
	v_add_co_u32_e32 v54, vcc, v51, v54
	v_addc_co_u32_e32 v55, vcc, v52, v55, vcc
	global_store_dwordx2 v[54:55], v[29:30], off
	s_or_b64 exec, exec, s[42:43]
	s_and_saveexec_b64 s[42:43], s[30:31]
	s_cbranch_execz .LBB1208_196
.LBB1208_263:
	v_sub_u32_e32 v54, v50, v63
	v_mov_b32_e32 v55, 0
	v_lshlrev_b64 v[54:55], 3, v[54:55]
	v_add_co_u32_e32 v54, vcc, v51, v54
	v_addc_co_u32_e32 v55, vcc, v52, v55, vcc
	global_store_dwordx2 v[54:55], v[31:32], off
	s_or_b64 exec, exec, s[42:43]
	s_and_saveexec_b64 s[42:43], s[28:29]
	s_cbranch_execz .LBB1208_197
.LBB1208_264:
	v_sub_u32_e32 v54, v49, v63
	v_mov_b32_e32 v55, 0
	v_lshlrev_b64 v[54:55], 3, v[54:55]
	v_add_co_u32_e32 v54, vcc, v51, v54
	v_addc_co_u32_e32 v55, vcc, v52, v55, vcc
	global_store_dwordx2 v[54:55], v[25:26], off
	s_or_b64 exec, exec, s[42:43]
	s_and_saveexec_b64 s[42:43], s[26:27]
	s_cbranch_execz .LBB1208_198
.LBB1208_265:
	v_sub_u32_e32 v54, v48, v63
	v_mov_b32_e32 v55, 0
	v_lshlrev_b64 v[54:55], 3, v[54:55]
	v_add_co_u32_e32 v54, vcc, v51, v54
	v_addc_co_u32_e32 v55, vcc, v52, v55, vcc
	global_store_dwordx2 v[54:55], v[27:28], off
	s_or_b64 exec, exec, s[42:43]
	s_and_saveexec_b64 s[42:43], s[24:25]
	s_cbranch_execz .LBB1208_199
.LBB1208_266:
	v_sub_u32_e32 v54, v47, v63
	v_mov_b32_e32 v55, 0
	v_lshlrev_b64 v[54:55], 3, v[54:55]
	v_add_co_u32_e32 v54, vcc, v51, v54
	v_addc_co_u32_e32 v55, vcc, v52, v55, vcc
	global_store_dwordx2 v[54:55], v[21:22], off
	s_or_b64 exec, exec, s[42:43]
	s_and_saveexec_b64 s[42:43], s[22:23]
	s_cbranch_execz .LBB1208_200
.LBB1208_267:
	v_sub_u32_e32 v54, v46, v63
	v_mov_b32_e32 v55, 0
	v_lshlrev_b64 v[54:55], 3, v[54:55]
	v_add_co_u32_e32 v54, vcc, v51, v54
	v_addc_co_u32_e32 v55, vcc, v52, v55, vcc
	global_store_dwordx2 v[54:55], v[23:24], off
	s_or_b64 exec, exec, s[42:43]
	s_and_saveexec_b64 s[42:43], s[20:21]
	s_cbranch_execz .LBB1208_201
.LBB1208_268:
	v_sub_u32_e32 v54, v45, v63
	v_mov_b32_e32 v55, 0
	v_lshlrev_b64 v[54:55], 3, v[54:55]
	v_add_co_u32_e32 v54, vcc, v51, v54
	v_addc_co_u32_e32 v55, vcc, v52, v55, vcc
	global_store_dwordx2 v[54:55], v[17:18], off
	s_or_b64 exec, exec, s[42:43]
	s_and_saveexec_b64 s[42:43], s[18:19]
	s_cbranch_execz .LBB1208_202
.LBB1208_269:
	v_sub_u32_e32 v54, v44, v63
	v_mov_b32_e32 v55, 0
	v_lshlrev_b64 v[54:55], 3, v[54:55]
	v_add_co_u32_e32 v54, vcc, v51, v54
	v_addc_co_u32_e32 v55, vcc, v52, v55, vcc
	global_store_dwordx2 v[54:55], v[19:20], off
	s_or_b64 exec, exec, s[42:43]
	s_and_saveexec_b64 s[42:43], s[16:17]
	s_cbranch_execz .LBB1208_203
.LBB1208_270:
	v_sub_u32_e32 v54, v43, v63
	v_mov_b32_e32 v55, 0
	v_lshlrev_b64 v[54:55], 3, v[54:55]
	v_add_co_u32_e32 v54, vcc, v51, v54
	v_addc_co_u32_e32 v55, vcc, v52, v55, vcc
	global_store_dwordx2 v[54:55], v[13:14], off
	s_or_b64 exec, exec, s[42:43]
	s_and_saveexec_b64 s[42:43], s[14:15]
	s_cbranch_execz .LBB1208_204
.LBB1208_271:
	v_sub_u32_e32 v54, v42, v63
	v_mov_b32_e32 v55, 0
	v_lshlrev_b64 v[54:55], 3, v[54:55]
	v_add_co_u32_e32 v54, vcc, v51, v54
	v_addc_co_u32_e32 v55, vcc, v52, v55, vcc
	global_store_dwordx2 v[54:55], v[15:16], off
	s_or_b64 exec, exec, s[42:43]
	s_and_saveexec_b64 s[42:43], s[12:13]
	s_cbranch_execz .LBB1208_205
.LBB1208_272:
	v_sub_u32_e32 v54, v41, v63
	v_mov_b32_e32 v55, 0
	v_lshlrev_b64 v[54:55], 3, v[54:55]
	v_add_co_u32_e32 v54, vcc, v51, v54
	v_addc_co_u32_e32 v55, vcc, v52, v55, vcc
	global_store_dwordx2 v[54:55], v[9:10], off
	s_or_b64 exec, exec, s[42:43]
	s_and_saveexec_b64 s[42:43], s[10:11]
	s_cbranch_execz .LBB1208_206
.LBB1208_273:
	v_sub_u32_e32 v54, v40, v63
	v_mov_b32_e32 v55, 0
	v_lshlrev_b64 v[54:55], 3, v[54:55]
	v_add_co_u32_e32 v54, vcc, v51, v54
	v_addc_co_u32_e32 v55, vcc, v52, v55, vcc
	global_store_dwordx2 v[54:55], v[11:12], off
	s_or_b64 exec, exec, s[42:43]
	s_and_saveexec_b64 s[42:43], s[8:9]
	s_cbranch_execz .LBB1208_207
.LBB1208_274:
	v_sub_u32_e32 v54, v39, v63
	v_mov_b32_e32 v55, 0
	v_lshlrev_b64 v[54:55], 3, v[54:55]
	v_add_co_u32_e32 v54, vcc, v51, v54
	v_addc_co_u32_e32 v55, vcc, v52, v55, vcc
	global_store_dwordx2 v[54:55], v[5:6], off
	s_or_b64 exec, exec, s[42:43]
	s_and_saveexec_b64 s[42:43], s[4:5]
	s_cbranch_execnz .LBB1208_208
	s_branch .LBB1208_209
.LBB1208_275:
	v_sub_u32_e32 v53, v60, v63
	v_lshlrev_b32_e32 v53, 3, v53
	ds_write_b64 v53, v[29:30]
	s_or_b64 exec, exec, s[42:43]
	s_and_saveexec_b64 s[34:35], s[30:31]
	s_cbranch_execz .LBB1208_213
.LBB1208_276:
	v_sub_u32_e32 v29, v50, v63
	v_lshlrev_b32_e32 v29, 3, v29
	ds_write_b64 v29, v[31:32]
	s_or_b64 exec, exec, s[34:35]
	s_and_saveexec_b64 s[30:31], s[28:29]
	s_cbranch_execz .LBB1208_214
.LBB1208_277:
	v_sub_u32_e32 v29, v49, v63
	v_lshlrev_b32_e32 v29, 3, v29
	ds_write_b64 v29, v[25:26]
	s_or_b64 exec, exec, s[30:31]
	s_and_saveexec_b64 s[28:29], s[26:27]
	s_cbranch_execz .LBB1208_215
.LBB1208_278:
	v_sub_u32_e32 v25, v48, v63
	v_lshlrev_b32_e32 v25, 3, v25
	ds_write_b64 v25, v[27:28]
	s_or_b64 exec, exec, s[28:29]
	s_and_saveexec_b64 s[26:27], s[24:25]
	s_cbranch_execz .LBB1208_216
.LBB1208_279:
	v_sub_u32_e32 v25, v47, v63
	v_lshlrev_b32_e32 v25, 3, v25
	ds_write_b64 v25, v[21:22]
	s_or_b64 exec, exec, s[26:27]
	s_and_saveexec_b64 s[24:25], s[22:23]
	s_cbranch_execz .LBB1208_217
.LBB1208_280:
	v_sub_u32_e32 v21, v46, v63
	v_lshlrev_b32_e32 v21, 3, v21
	ds_write_b64 v21, v[23:24]
	s_or_b64 exec, exec, s[24:25]
	s_and_saveexec_b64 s[22:23], s[20:21]
	s_cbranch_execz .LBB1208_218
.LBB1208_281:
	v_sub_u32_e32 v21, v45, v63
	v_lshlrev_b32_e32 v21, 3, v21
	ds_write_b64 v21, v[17:18]
	s_or_b64 exec, exec, s[22:23]
	s_and_saveexec_b64 s[20:21], s[18:19]
	s_cbranch_execz .LBB1208_219
.LBB1208_282:
	v_sub_u32_e32 v17, v44, v63
	v_lshlrev_b32_e32 v17, 3, v17
	ds_write_b64 v17, v[19:20]
	s_or_b64 exec, exec, s[20:21]
	s_and_saveexec_b64 s[18:19], s[16:17]
	s_cbranch_execz .LBB1208_220
.LBB1208_283:
	v_sub_u32_e32 v17, v43, v63
	v_lshlrev_b32_e32 v17, 3, v17
	ds_write_b64 v17, v[13:14]
	s_or_b64 exec, exec, s[18:19]
	s_and_saveexec_b64 s[16:17], s[14:15]
	s_cbranch_execz .LBB1208_221
.LBB1208_284:
	v_sub_u32_e32 v13, v42, v63
	v_lshlrev_b32_e32 v13, 3, v13
	ds_write_b64 v13, v[15:16]
	s_or_b64 exec, exec, s[16:17]
	s_and_saveexec_b64 s[14:15], s[12:13]
	s_cbranch_execz .LBB1208_222
.LBB1208_285:
	v_sub_u32_e32 v13, v41, v63
	v_lshlrev_b32_e32 v13, 3, v13
	ds_write_b64 v13, v[9:10]
	s_or_b64 exec, exec, s[14:15]
	s_and_saveexec_b64 s[12:13], s[10:11]
	s_cbranch_execz .LBB1208_223
.LBB1208_286:
	v_sub_u32_e32 v9, v40, v63
	v_lshlrev_b32_e32 v9, 3, v9
	ds_write_b64 v9, v[11:12]
	s_or_b64 exec, exec, s[12:13]
	s_and_saveexec_b64 s[10:11], s[8:9]
	s_cbranch_execz .LBB1208_224
.LBB1208_287:
	v_sub_u32_e32 v9, v39, v63
	v_lshlrev_b32_e32 v9, 3, v9
	ds_write_b64 v9, v[5:6]
	s_or_b64 exec, exec, s[10:11]
	s_and_saveexec_b64 s[8:9], s[4:5]
	s_cbranch_execnz .LBB1208_225
	s_branch .LBB1208_226
.LBB1208_288:
	v_sub_u32_e32 v12, v60, v10
	v_mov_b32_e32 v13, 0
	v_lshlrev_b64 v[12:13], 3, v[12:13]
	v_add_co_u32_e32 v12, vcc, v8, v12
	v_addc_co_u32_e32 v13, vcc, v9, v13, vcc
	global_store_dwordx2 v[12:13], v[90:91], off
	s_or_b64 exec, exec, s[42:43]
	s_and_saveexec_b64 s[42:43], s[30:31]
	s_cbranch_execz .LBB1208_230
.LBB1208_289:
	v_sub_u32_e32 v12, v50, v10
	v_mov_b32_e32 v13, 0
	v_lshlrev_b64 v[12:13], 3, v[12:13]
	v_add_co_u32_e32 v12, vcc, v8, v12
	v_addc_co_u32_e32 v13, vcc, v9, v13, vcc
	global_store_dwordx2 v[12:13], v[66:67], off
	s_or_b64 exec, exec, s[42:43]
	s_and_saveexec_b64 s[42:43], s[28:29]
	s_cbranch_execz .LBB1208_231
.LBB1208_290:
	v_sub_u32_e32 v12, v49, v10
	v_mov_b32_e32 v13, 0
	v_lshlrev_b64 v[12:13], 3, v[12:13]
	v_add_co_u32_e32 v12, vcc, v8, v12
	v_addc_co_u32_e32 v13, vcc, v9, v13, vcc
	global_store_dwordx2 v[12:13], v[68:69], off
	s_or_b64 exec, exec, s[42:43]
	s_and_saveexec_b64 s[42:43], s[26:27]
	s_cbranch_execz .LBB1208_232
.LBB1208_291:
	v_sub_u32_e32 v12, v48, v10
	v_mov_b32_e32 v13, 0
	v_lshlrev_b64 v[12:13], 3, v[12:13]
	v_add_co_u32_e32 v12, vcc, v8, v12
	v_addc_co_u32_e32 v13, vcc, v9, v13, vcc
	global_store_dwordx2 v[12:13], v[70:71], off
	s_or_b64 exec, exec, s[42:43]
	s_and_saveexec_b64 s[42:43], s[24:25]
	s_cbranch_execz .LBB1208_233
.LBB1208_292:
	v_sub_u32_e32 v12, v47, v10
	v_mov_b32_e32 v13, 0
	v_lshlrev_b64 v[12:13], 3, v[12:13]
	v_add_co_u32_e32 v12, vcc, v8, v12
	v_addc_co_u32_e32 v13, vcc, v9, v13, vcc
	global_store_dwordx2 v[12:13], v[72:73], off
	s_or_b64 exec, exec, s[42:43]
	s_and_saveexec_b64 s[42:43], s[22:23]
	s_cbranch_execz .LBB1208_234
.LBB1208_293:
	v_sub_u32_e32 v12, v46, v10
	v_mov_b32_e32 v13, 0
	v_lshlrev_b64 v[12:13], 3, v[12:13]
	v_add_co_u32_e32 v12, vcc, v8, v12
	v_addc_co_u32_e32 v13, vcc, v9, v13, vcc
	global_store_dwordx2 v[12:13], v[74:75], off
	s_or_b64 exec, exec, s[42:43]
	s_and_saveexec_b64 s[42:43], s[20:21]
	s_cbranch_execz .LBB1208_235
.LBB1208_294:
	v_sub_u32_e32 v12, v45, v10
	v_mov_b32_e32 v13, 0
	v_lshlrev_b64 v[12:13], 3, v[12:13]
	v_add_co_u32_e32 v12, vcc, v8, v12
	v_addc_co_u32_e32 v13, vcc, v9, v13, vcc
	global_store_dwordx2 v[12:13], v[76:77], off
	s_or_b64 exec, exec, s[42:43]
	s_and_saveexec_b64 s[42:43], s[18:19]
	s_cbranch_execz .LBB1208_236
.LBB1208_295:
	v_sub_u32_e32 v12, v44, v10
	v_mov_b32_e32 v13, 0
	v_lshlrev_b64 v[12:13], 3, v[12:13]
	v_add_co_u32_e32 v12, vcc, v8, v12
	v_addc_co_u32_e32 v13, vcc, v9, v13, vcc
	global_store_dwordx2 v[12:13], v[78:79], off
	s_or_b64 exec, exec, s[42:43]
	s_and_saveexec_b64 s[42:43], s[16:17]
	s_cbranch_execz .LBB1208_237
.LBB1208_296:
	v_sub_u32_e32 v12, v43, v10
	v_mov_b32_e32 v13, 0
	v_lshlrev_b64 v[12:13], 3, v[12:13]
	v_add_co_u32_e32 v12, vcc, v8, v12
	v_addc_co_u32_e32 v13, vcc, v9, v13, vcc
	global_store_dwordx2 v[12:13], v[80:81], off
	s_or_b64 exec, exec, s[42:43]
	s_and_saveexec_b64 s[42:43], s[14:15]
	s_cbranch_execz .LBB1208_238
.LBB1208_297:
	v_sub_u32_e32 v12, v42, v10
	v_mov_b32_e32 v13, 0
	v_lshlrev_b64 v[12:13], 3, v[12:13]
	v_add_co_u32_e32 v12, vcc, v8, v12
	v_addc_co_u32_e32 v13, vcc, v9, v13, vcc
	global_store_dwordx2 v[12:13], v[82:83], off
	s_or_b64 exec, exec, s[42:43]
	s_and_saveexec_b64 s[42:43], s[12:13]
	s_cbranch_execz .LBB1208_239
.LBB1208_298:
	v_sub_u32_e32 v12, v41, v10
	v_mov_b32_e32 v13, 0
	v_lshlrev_b64 v[12:13], 3, v[12:13]
	v_add_co_u32_e32 v12, vcc, v8, v12
	v_addc_co_u32_e32 v13, vcc, v9, v13, vcc
	global_store_dwordx2 v[12:13], v[84:85], off
	s_or_b64 exec, exec, s[42:43]
	s_and_saveexec_b64 s[42:43], s[8:9]
	s_cbranch_execz .LBB1208_240
.LBB1208_299:
	v_sub_u32_e32 v12, v40, v10
	v_mov_b32_e32 v13, 0
	v_lshlrev_b64 v[12:13], 3, v[12:13]
	v_add_co_u32_e32 v12, vcc, v8, v12
	v_addc_co_u32_e32 v13, vcc, v9, v13, vcc
	global_store_dwordx2 v[12:13], v[86:87], off
	s_or_b64 exec, exec, s[42:43]
	s_and_saveexec_b64 s[42:43], s[10:11]
	s_cbranch_execz .LBB1208_241
.LBB1208_300:
	v_sub_u32_e32 v12, v39, v10
	v_mov_b32_e32 v13, 0
	v_lshlrev_b64 v[12:13], 3, v[12:13]
	v_add_co_u32_e32 v12, vcc, v8, v12
	v_addc_co_u32_e32 v13, vcc, v9, v13, vcc
	global_store_dwordx2 v[12:13], v[88:89], off
	s_or_b64 exec, exec, s[42:43]
	s_and_saveexec_b64 s[42:43], s[6:7]
	s_cbranch_execnz .LBB1208_242
	s_branch .LBB1208_243
.LBB1208_301:
	v_sub_u32_e32 v11, v60, v10
	v_lshlrev_b32_e32 v11, 3, v11
	ds_write_b64 v11, v[90:91]
	s_or_b64 exec, exec, s[42:43]
	s_and_saveexec_b64 s[34:35], s[30:31]
	s_cbranch_execz .LBB1208_247
.LBB1208_302:
	v_sub_u32_e32 v11, v50, v10
	v_lshlrev_b32_e32 v11, 3, v11
	ds_write_b64 v11, v[66:67]
	s_or_b64 exec, exec, s[34:35]
	s_and_saveexec_b64 s[30:31], s[28:29]
	s_cbranch_execz .LBB1208_248
.LBB1208_303:
	v_sub_u32_e32 v11, v49, v10
	v_lshlrev_b32_e32 v11, 3, v11
	ds_write_b64 v11, v[68:69]
	s_or_b64 exec, exec, s[30:31]
	s_and_saveexec_b64 s[28:29], s[26:27]
	s_cbranch_execz .LBB1208_249
.LBB1208_304:
	v_sub_u32_e32 v11, v48, v10
	v_lshlrev_b32_e32 v11, 3, v11
	ds_write_b64 v11, v[70:71]
	s_or_b64 exec, exec, s[28:29]
	s_and_saveexec_b64 s[26:27], s[24:25]
	s_cbranch_execz .LBB1208_250
.LBB1208_305:
	v_sub_u32_e32 v11, v47, v10
	v_lshlrev_b32_e32 v11, 3, v11
	ds_write_b64 v11, v[72:73]
	s_or_b64 exec, exec, s[26:27]
	s_and_saveexec_b64 s[24:25], s[22:23]
	s_cbranch_execz .LBB1208_251
.LBB1208_306:
	v_sub_u32_e32 v11, v46, v10
	v_lshlrev_b32_e32 v11, 3, v11
	ds_write_b64 v11, v[74:75]
	s_or_b64 exec, exec, s[24:25]
	s_and_saveexec_b64 s[22:23], s[20:21]
	s_cbranch_execz .LBB1208_252
.LBB1208_307:
	v_sub_u32_e32 v11, v45, v10
	v_lshlrev_b32_e32 v11, 3, v11
	ds_write_b64 v11, v[76:77]
	s_or_b64 exec, exec, s[22:23]
	s_and_saveexec_b64 s[20:21], s[18:19]
	s_cbranch_execz .LBB1208_253
.LBB1208_308:
	v_sub_u32_e32 v11, v44, v10
	v_lshlrev_b32_e32 v11, 3, v11
	ds_write_b64 v11, v[78:79]
	s_or_b64 exec, exec, s[20:21]
	s_and_saveexec_b64 s[18:19], s[16:17]
	s_cbranch_execz .LBB1208_254
.LBB1208_309:
	v_sub_u32_e32 v11, v43, v10
	v_lshlrev_b32_e32 v11, 3, v11
	ds_write_b64 v11, v[80:81]
	s_or_b64 exec, exec, s[18:19]
	s_and_saveexec_b64 s[16:17], s[14:15]
	s_cbranch_execz .LBB1208_255
.LBB1208_310:
	v_sub_u32_e32 v11, v42, v10
	v_lshlrev_b32_e32 v11, 3, v11
	ds_write_b64 v11, v[82:83]
	s_or_b64 exec, exec, s[16:17]
	s_and_saveexec_b64 s[14:15], s[12:13]
	s_cbranch_execz .LBB1208_256
.LBB1208_311:
	v_sub_u32_e32 v11, v41, v10
	v_lshlrev_b32_e32 v11, 3, v11
	ds_write_b64 v11, v[84:85]
	s_or_b64 exec, exec, s[14:15]
	s_and_saveexec_b64 s[12:13], s[8:9]
	s_cbranch_execz .LBB1208_257
.LBB1208_312:
	v_sub_u32_e32 v11, v40, v10
	v_lshlrev_b32_e32 v11, 3, v11
	ds_write_b64 v11, v[86:87]
	s_or_b64 exec, exec, s[12:13]
	s_and_saveexec_b64 s[8:9], s[10:11]
	s_cbranch_execz .LBB1208_258
.LBB1208_313:
	v_sub_u32_e32 v11, v39, v10
	v_lshlrev_b32_e32 v11, 3, v11
	ds_write_b64 v11, v[88:89]
	s_or_b64 exec, exec, s[8:9]
	s_and_saveexec_b64 s[8:9], s[6:7]
	s_cbranch_execnz .LBB1208_259
	s_branch .LBB1208_260
	.section	.rodata,"a",@progbits
	.p2align	6, 0x0
	.amdhsa_kernel _ZN7rocprim17ROCPRIM_400000_NS6detail17trampoline_kernelINS0_14default_configENS1_29reduce_by_key_config_selectorIllN6thrust23THRUST_200600_302600_NS4plusIlEEEEZZNS1_33reduce_by_key_impl_wrapped_configILNS1_25lookback_scan_determinismE0ES3_S9_PlNS6_17constant_iteratorIiNS6_11use_defaultESE_EENS6_10device_ptrIlEESH_PmS8_NS6_8equal_toIlEEEE10hipError_tPvRmT2_T3_mT4_T5_T6_T7_T8_P12ihipStream_tbENKUlT_T0_E_clISt17integral_constantIbLb0EES12_EEDaSX_SY_EUlSX_E_NS1_11comp_targetILNS1_3genE2ELNS1_11target_archE906ELNS1_3gpuE6ELNS1_3repE0EEENS1_30default_config_static_selectorELNS0_4arch9wavefront6targetE1EEEvT1_
		.amdhsa_group_segment_fixed_size 30720
		.amdhsa_private_segment_fixed_size 64
		.amdhsa_kernarg_size 144
		.amdhsa_user_sgpr_count 6
		.amdhsa_user_sgpr_private_segment_buffer 1
		.amdhsa_user_sgpr_dispatch_ptr 0
		.amdhsa_user_sgpr_queue_ptr 0
		.amdhsa_user_sgpr_kernarg_segment_ptr 1
		.amdhsa_user_sgpr_dispatch_id 0
		.amdhsa_user_sgpr_flat_scratch_init 0
		.amdhsa_user_sgpr_private_segment_size 0
		.amdhsa_uses_dynamic_stack 0
		.amdhsa_system_sgpr_private_segment_wavefront_offset 1
		.amdhsa_system_sgpr_workgroup_id_x 1
		.amdhsa_system_sgpr_workgroup_id_y 0
		.amdhsa_system_sgpr_workgroup_id_z 0
		.amdhsa_system_sgpr_workgroup_info 0
		.amdhsa_system_vgpr_workitem_id 0
		.amdhsa_next_free_vgpr 119
		.amdhsa_next_free_sgpr 98
		.amdhsa_reserve_vcc 1
		.amdhsa_reserve_flat_scratch 0
		.amdhsa_float_round_mode_32 0
		.amdhsa_float_round_mode_16_64 0
		.amdhsa_float_denorm_mode_32 3
		.amdhsa_float_denorm_mode_16_64 3
		.amdhsa_dx10_clamp 1
		.amdhsa_ieee_mode 1
		.amdhsa_fp16_overflow 0
		.amdhsa_exception_fp_ieee_invalid_op 0
		.amdhsa_exception_fp_denorm_src 0
		.amdhsa_exception_fp_ieee_div_zero 0
		.amdhsa_exception_fp_ieee_overflow 0
		.amdhsa_exception_fp_ieee_underflow 0
		.amdhsa_exception_fp_ieee_inexact 0
		.amdhsa_exception_int_div_zero 0
	.end_amdhsa_kernel
	.section	.text._ZN7rocprim17ROCPRIM_400000_NS6detail17trampoline_kernelINS0_14default_configENS1_29reduce_by_key_config_selectorIllN6thrust23THRUST_200600_302600_NS4plusIlEEEEZZNS1_33reduce_by_key_impl_wrapped_configILNS1_25lookback_scan_determinismE0ES3_S9_PlNS6_17constant_iteratorIiNS6_11use_defaultESE_EENS6_10device_ptrIlEESH_PmS8_NS6_8equal_toIlEEEE10hipError_tPvRmT2_T3_mT4_T5_T6_T7_T8_P12ihipStream_tbENKUlT_T0_E_clISt17integral_constantIbLb0EES12_EEDaSX_SY_EUlSX_E_NS1_11comp_targetILNS1_3genE2ELNS1_11target_archE906ELNS1_3gpuE6ELNS1_3repE0EEENS1_30default_config_static_selectorELNS0_4arch9wavefront6targetE1EEEvT1_,"axG",@progbits,_ZN7rocprim17ROCPRIM_400000_NS6detail17trampoline_kernelINS0_14default_configENS1_29reduce_by_key_config_selectorIllN6thrust23THRUST_200600_302600_NS4plusIlEEEEZZNS1_33reduce_by_key_impl_wrapped_configILNS1_25lookback_scan_determinismE0ES3_S9_PlNS6_17constant_iteratorIiNS6_11use_defaultESE_EENS6_10device_ptrIlEESH_PmS8_NS6_8equal_toIlEEEE10hipError_tPvRmT2_T3_mT4_T5_T6_T7_T8_P12ihipStream_tbENKUlT_T0_E_clISt17integral_constantIbLb0EES12_EEDaSX_SY_EUlSX_E_NS1_11comp_targetILNS1_3genE2ELNS1_11target_archE906ELNS1_3gpuE6ELNS1_3repE0EEENS1_30default_config_static_selectorELNS0_4arch9wavefront6targetE1EEEvT1_,comdat
.Lfunc_end1208:
	.size	_ZN7rocprim17ROCPRIM_400000_NS6detail17trampoline_kernelINS0_14default_configENS1_29reduce_by_key_config_selectorIllN6thrust23THRUST_200600_302600_NS4plusIlEEEEZZNS1_33reduce_by_key_impl_wrapped_configILNS1_25lookback_scan_determinismE0ES3_S9_PlNS6_17constant_iteratorIiNS6_11use_defaultESE_EENS6_10device_ptrIlEESH_PmS8_NS6_8equal_toIlEEEE10hipError_tPvRmT2_T3_mT4_T5_T6_T7_T8_P12ihipStream_tbENKUlT_T0_E_clISt17integral_constantIbLb0EES12_EEDaSX_SY_EUlSX_E_NS1_11comp_targetILNS1_3genE2ELNS1_11target_archE906ELNS1_3gpuE6ELNS1_3repE0EEENS1_30default_config_static_selectorELNS0_4arch9wavefront6targetE1EEEvT1_, .Lfunc_end1208-_ZN7rocprim17ROCPRIM_400000_NS6detail17trampoline_kernelINS0_14default_configENS1_29reduce_by_key_config_selectorIllN6thrust23THRUST_200600_302600_NS4plusIlEEEEZZNS1_33reduce_by_key_impl_wrapped_configILNS1_25lookback_scan_determinismE0ES3_S9_PlNS6_17constant_iteratorIiNS6_11use_defaultESE_EENS6_10device_ptrIlEESH_PmS8_NS6_8equal_toIlEEEE10hipError_tPvRmT2_T3_mT4_T5_T6_T7_T8_P12ihipStream_tbENKUlT_T0_E_clISt17integral_constantIbLb0EES12_EEDaSX_SY_EUlSX_E_NS1_11comp_targetILNS1_3genE2ELNS1_11target_archE906ELNS1_3gpuE6ELNS1_3repE0EEENS1_30default_config_static_selectorELNS0_4arch9wavefront6targetE1EEEvT1_
                                        ; -- End function
	.set _ZN7rocprim17ROCPRIM_400000_NS6detail17trampoline_kernelINS0_14default_configENS1_29reduce_by_key_config_selectorIllN6thrust23THRUST_200600_302600_NS4plusIlEEEEZZNS1_33reduce_by_key_impl_wrapped_configILNS1_25lookback_scan_determinismE0ES3_S9_PlNS6_17constant_iteratorIiNS6_11use_defaultESE_EENS6_10device_ptrIlEESH_PmS8_NS6_8equal_toIlEEEE10hipError_tPvRmT2_T3_mT4_T5_T6_T7_T8_P12ihipStream_tbENKUlT_T0_E_clISt17integral_constantIbLb0EES12_EEDaSX_SY_EUlSX_E_NS1_11comp_targetILNS1_3genE2ELNS1_11target_archE906ELNS1_3gpuE6ELNS1_3repE0EEENS1_30default_config_static_selectorELNS0_4arch9wavefront6targetE1EEEvT1_.num_vgpr, 119
	.set _ZN7rocprim17ROCPRIM_400000_NS6detail17trampoline_kernelINS0_14default_configENS1_29reduce_by_key_config_selectorIllN6thrust23THRUST_200600_302600_NS4plusIlEEEEZZNS1_33reduce_by_key_impl_wrapped_configILNS1_25lookback_scan_determinismE0ES3_S9_PlNS6_17constant_iteratorIiNS6_11use_defaultESE_EENS6_10device_ptrIlEESH_PmS8_NS6_8equal_toIlEEEE10hipError_tPvRmT2_T3_mT4_T5_T6_T7_T8_P12ihipStream_tbENKUlT_T0_E_clISt17integral_constantIbLb0EES12_EEDaSX_SY_EUlSX_E_NS1_11comp_targetILNS1_3genE2ELNS1_11target_archE906ELNS1_3gpuE6ELNS1_3repE0EEENS1_30default_config_static_selectorELNS0_4arch9wavefront6targetE1EEEvT1_.num_agpr, 0
	.set _ZN7rocprim17ROCPRIM_400000_NS6detail17trampoline_kernelINS0_14default_configENS1_29reduce_by_key_config_selectorIllN6thrust23THRUST_200600_302600_NS4plusIlEEEEZZNS1_33reduce_by_key_impl_wrapped_configILNS1_25lookback_scan_determinismE0ES3_S9_PlNS6_17constant_iteratorIiNS6_11use_defaultESE_EENS6_10device_ptrIlEESH_PmS8_NS6_8equal_toIlEEEE10hipError_tPvRmT2_T3_mT4_T5_T6_T7_T8_P12ihipStream_tbENKUlT_T0_E_clISt17integral_constantIbLb0EES12_EEDaSX_SY_EUlSX_E_NS1_11comp_targetILNS1_3genE2ELNS1_11target_archE906ELNS1_3gpuE6ELNS1_3repE0EEENS1_30default_config_static_selectorELNS0_4arch9wavefront6targetE1EEEvT1_.numbered_sgpr, 66
	.set _ZN7rocprim17ROCPRIM_400000_NS6detail17trampoline_kernelINS0_14default_configENS1_29reduce_by_key_config_selectorIllN6thrust23THRUST_200600_302600_NS4plusIlEEEEZZNS1_33reduce_by_key_impl_wrapped_configILNS1_25lookback_scan_determinismE0ES3_S9_PlNS6_17constant_iteratorIiNS6_11use_defaultESE_EENS6_10device_ptrIlEESH_PmS8_NS6_8equal_toIlEEEE10hipError_tPvRmT2_T3_mT4_T5_T6_T7_T8_P12ihipStream_tbENKUlT_T0_E_clISt17integral_constantIbLb0EES12_EEDaSX_SY_EUlSX_E_NS1_11comp_targetILNS1_3genE2ELNS1_11target_archE906ELNS1_3gpuE6ELNS1_3repE0EEENS1_30default_config_static_selectorELNS0_4arch9wavefront6targetE1EEEvT1_.num_named_barrier, 0
	.set _ZN7rocprim17ROCPRIM_400000_NS6detail17trampoline_kernelINS0_14default_configENS1_29reduce_by_key_config_selectorIllN6thrust23THRUST_200600_302600_NS4plusIlEEEEZZNS1_33reduce_by_key_impl_wrapped_configILNS1_25lookback_scan_determinismE0ES3_S9_PlNS6_17constant_iteratorIiNS6_11use_defaultESE_EENS6_10device_ptrIlEESH_PmS8_NS6_8equal_toIlEEEE10hipError_tPvRmT2_T3_mT4_T5_T6_T7_T8_P12ihipStream_tbENKUlT_T0_E_clISt17integral_constantIbLb0EES12_EEDaSX_SY_EUlSX_E_NS1_11comp_targetILNS1_3genE2ELNS1_11target_archE906ELNS1_3gpuE6ELNS1_3repE0EEENS1_30default_config_static_selectorELNS0_4arch9wavefront6targetE1EEEvT1_.private_seg_size, 64
	.set _ZN7rocprim17ROCPRIM_400000_NS6detail17trampoline_kernelINS0_14default_configENS1_29reduce_by_key_config_selectorIllN6thrust23THRUST_200600_302600_NS4plusIlEEEEZZNS1_33reduce_by_key_impl_wrapped_configILNS1_25lookback_scan_determinismE0ES3_S9_PlNS6_17constant_iteratorIiNS6_11use_defaultESE_EENS6_10device_ptrIlEESH_PmS8_NS6_8equal_toIlEEEE10hipError_tPvRmT2_T3_mT4_T5_T6_T7_T8_P12ihipStream_tbENKUlT_T0_E_clISt17integral_constantIbLb0EES12_EEDaSX_SY_EUlSX_E_NS1_11comp_targetILNS1_3genE2ELNS1_11target_archE906ELNS1_3gpuE6ELNS1_3repE0EEENS1_30default_config_static_selectorELNS0_4arch9wavefront6targetE1EEEvT1_.uses_vcc, 1
	.set _ZN7rocprim17ROCPRIM_400000_NS6detail17trampoline_kernelINS0_14default_configENS1_29reduce_by_key_config_selectorIllN6thrust23THRUST_200600_302600_NS4plusIlEEEEZZNS1_33reduce_by_key_impl_wrapped_configILNS1_25lookback_scan_determinismE0ES3_S9_PlNS6_17constant_iteratorIiNS6_11use_defaultESE_EENS6_10device_ptrIlEESH_PmS8_NS6_8equal_toIlEEEE10hipError_tPvRmT2_T3_mT4_T5_T6_T7_T8_P12ihipStream_tbENKUlT_T0_E_clISt17integral_constantIbLb0EES12_EEDaSX_SY_EUlSX_E_NS1_11comp_targetILNS1_3genE2ELNS1_11target_archE906ELNS1_3gpuE6ELNS1_3repE0EEENS1_30default_config_static_selectorELNS0_4arch9wavefront6targetE1EEEvT1_.uses_flat_scratch, 0
	.set _ZN7rocprim17ROCPRIM_400000_NS6detail17trampoline_kernelINS0_14default_configENS1_29reduce_by_key_config_selectorIllN6thrust23THRUST_200600_302600_NS4plusIlEEEEZZNS1_33reduce_by_key_impl_wrapped_configILNS1_25lookback_scan_determinismE0ES3_S9_PlNS6_17constant_iteratorIiNS6_11use_defaultESE_EENS6_10device_ptrIlEESH_PmS8_NS6_8equal_toIlEEEE10hipError_tPvRmT2_T3_mT4_T5_T6_T7_T8_P12ihipStream_tbENKUlT_T0_E_clISt17integral_constantIbLb0EES12_EEDaSX_SY_EUlSX_E_NS1_11comp_targetILNS1_3genE2ELNS1_11target_archE906ELNS1_3gpuE6ELNS1_3repE0EEENS1_30default_config_static_selectorELNS0_4arch9wavefront6targetE1EEEvT1_.has_dyn_sized_stack, 0
	.set _ZN7rocprim17ROCPRIM_400000_NS6detail17trampoline_kernelINS0_14default_configENS1_29reduce_by_key_config_selectorIllN6thrust23THRUST_200600_302600_NS4plusIlEEEEZZNS1_33reduce_by_key_impl_wrapped_configILNS1_25lookback_scan_determinismE0ES3_S9_PlNS6_17constant_iteratorIiNS6_11use_defaultESE_EENS6_10device_ptrIlEESH_PmS8_NS6_8equal_toIlEEEE10hipError_tPvRmT2_T3_mT4_T5_T6_T7_T8_P12ihipStream_tbENKUlT_T0_E_clISt17integral_constantIbLb0EES12_EEDaSX_SY_EUlSX_E_NS1_11comp_targetILNS1_3genE2ELNS1_11target_archE906ELNS1_3gpuE6ELNS1_3repE0EEENS1_30default_config_static_selectorELNS0_4arch9wavefront6targetE1EEEvT1_.has_recursion, 0
	.set _ZN7rocprim17ROCPRIM_400000_NS6detail17trampoline_kernelINS0_14default_configENS1_29reduce_by_key_config_selectorIllN6thrust23THRUST_200600_302600_NS4plusIlEEEEZZNS1_33reduce_by_key_impl_wrapped_configILNS1_25lookback_scan_determinismE0ES3_S9_PlNS6_17constant_iteratorIiNS6_11use_defaultESE_EENS6_10device_ptrIlEESH_PmS8_NS6_8equal_toIlEEEE10hipError_tPvRmT2_T3_mT4_T5_T6_T7_T8_P12ihipStream_tbENKUlT_T0_E_clISt17integral_constantIbLb0EES12_EEDaSX_SY_EUlSX_E_NS1_11comp_targetILNS1_3genE2ELNS1_11target_archE906ELNS1_3gpuE6ELNS1_3repE0EEENS1_30default_config_static_selectorELNS0_4arch9wavefront6targetE1EEEvT1_.has_indirect_call, 0
	.section	.AMDGPU.csdata,"",@progbits
; Kernel info:
; codeLenInByte = 16116
; TotalNumSgprs: 70
; NumVgprs: 119
; ScratchSize: 64
; MemoryBound: 0
; FloatMode: 240
; IeeeMode: 1
; LDSByteSize: 30720 bytes/workgroup (compile time only)
; SGPRBlocks: 12
; VGPRBlocks: 29
; NumSGPRsForWavesPerEU: 102
; NumVGPRsForWavesPerEU: 119
; Occupancy: 2
; WaveLimiterHint : 1
; COMPUTE_PGM_RSRC2:SCRATCH_EN: 1
; COMPUTE_PGM_RSRC2:USER_SGPR: 6
; COMPUTE_PGM_RSRC2:TRAP_HANDLER: 0
; COMPUTE_PGM_RSRC2:TGID_X_EN: 1
; COMPUTE_PGM_RSRC2:TGID_Y_EN: 0
; COMPUTE_PGM_RSRC2:TGID_Z_EN: 0
; COMPUTE_PGM_RSRC2:TIDIG_COMP_CNT: 0
	.section	.text._ZN7rocprim17ROCPRIM_400000_NS6detail17trampoline_kernelINS0_14default_configENS1_29reduce_by_key_config_selectorIllN6thrust23THRUST_200600_302600_NS4plusIlEEEEZZNS1_33reduce_by_key_impl_wrapped_configILNS1_25lookback_scan_determinismE0ES3_S9_PlNS6_17constant_iteratorIiNS6_11use_defaultESE_EENS6_10device_ptrIlEESH_PmS8_NS6_8equal_toIlEEEE10hipError_tPvRmT2_T3_mT4_T5_T6_T7_T8_P12ihipStream_tbENKUlT_T0_E_clISt17integral_constantIbLb0EES12_EEDaSX_SY_EUlSX_E_NS1_11comp_targetILNS1_3genE10ELNS1_11target_archE1201ELNS1_3gpuE5ELNS1_3repE0EEENS1_30default_config_static_selectorELNS0_4arch9wavefront6targetE1EEEvT1_,"axG",@progbits,_ZN7rocprim17ROCPRIM_400000_NS6detail17trampoline_kernelINS0_14default_configENS1_29reduce_by_key_config_selectorIllN6thrust23THRUST_200600_302600_NS4plusIlEEEEZZNS1_33reduce_by_key_impl_wrapped_configILNS1_25lookback_scan_determinismE0ES3_S9_PlNS6_17constant_iteratorIiNS6_11use_defaultESE_EENS6_10device_ptrIlEESH_PmS8_NS6_8equal_toIlEEEE10hipError_tPvRmT2_T3_mT4_T5_T6_T7_T8_P12ihipStream_tbENKUlT_T0_E_clISt17integral_constantIbLb0EES12_EEDaSX_SY_EUlSX_E_NS1_11comp_targetILNS1_3genE10ELNS1_11target_archE1201ELNS1_3gpuE5ELNS1_3repE0EEENS1_30default_config_static_selectorELNS0_4arch9wavefront6targetE1EEEvT1_,comdat
	.protected	_ZN7rocprim17ROCPRIM_400000_NS6detail17trampoline_kernelINS0_14default_configENS1_29reduce_by_key_config_selectorIllN6thrust23THRUST_200600_302600_NS4plusIlEEEEZZNS1_33reduce_by_key_impl_wrapped_configILNS1_25lookback_scan_determinismE0ES3_S9_PlNS6_17constant_iteratorIiNS6_11use_defaultESE_EENS6_10device_ptrIlEESH_PmS8_NS6_8equal_toIlEEEE10hipError_tPvRmT2_T3_mT4_T5_T6_T7_T8_P12ihipStream_tbENKUlT_T0_E_clISt17integral_constantIbLb0EES12_EEDaSX_SY_EUlSX_E_NS1_11comp_targetILNS1_3genE10ELNS1_11target_archE1201ELNS1_3gpuE5ELNS1_3repE0EEENS1_30default_config_static_selectorELNS0_4arch9wavefront6targetE1EEEvT1_ ; -- Begin function _ZN7rocprim17ROCPRIM_400000_NS6detail17trampoline_kernelINS0_14default_configENS1_29reduce_by_key_config_selectorIllN6thrust23THRUST_200600_302600_NS4plusIlEEEEZZNS1_33reduce_by_key_impl_wrapped_configILNS1_25lookback_scan_determinismE0ES3_S9_PlNS6_17constant_iteratorIiNS6_11use_defaultESE_EENS6_10device_ptrIlEESH_PmS8_NS6_8equal_toIlEEEE10hipError_tPvRmT2_T3_mT4_T5_T6_T7_T8_P12ihipStream_tbENKUlT_T0_E_clISt17integral_constantIbLb0EES12_EEDaSX_SY_EUlSX_E_NS1_11comp_targetILNS1_3genE10ELNS1_11target_archE1201ELNS1_3gpuE5ELNS1_3repE0EEENS1_30default_config_static_selectorELNS0_4arch9wavefront6targetE1EEEvT1_
	.globl	_ZN7rocprim17ROCPRIM_400000_NS6detail17trampoline_kernelINS0_14default_configENS1_29reduce_by_key_config_selectorIllN6thrust23THRUST_200600_302600_NS4plusIlEEEEZZNS1_33reduce_by_key_impl_wrapped_configILNS1_25lookback_scan_determinismE0ES3_S9_PlNS6_17constant_iteratorIiNS6_11use_defaultESE_EENS6_10device_ptrIlEESH_PmS8_NS6_8equal_toIlEEEE10hipError_tPvRmT2_T3_mT4_T5_T6_T7_T8_P12ihipStream_tbENKUlT_T0_E_clISt17integral_constantIbLb0EES12_EEDaSX_SY_EUlSX_E_NS1_11comp_targetILNS1_3genE10ELNS1_11target_archE1201ELNS1_3gpuE5ELNS1_3repE0EEENS1_30default_config_static_selectorELNS0_4arch9wavefront6targetE1EEEvT1_
	.p2align	8
	.type	_ZN7rocprim17ROCPRIM_400000_NS6detail17trampoline_kernelINS0_14default_configENS1_29reduce_by_key_config_selectorIllN6thrust23THRUST_200600_302600_NS4plusIlEEEEZZNS1_33reduce_by_key_impl_wrapped_configILNS1_25lookback_scan_determinismE0ES3_S9_PlNS6_17constant_iteratorIiNS6_11use_defaultESE_EENS6_10device_ptrIlEESH_PmS8_NS6_8equal_toIlEEEE10hipError_tPvRmT2_T3_mT4_T5_T6_T7_T8_P12ihipStream_tbENKUlT_T0_E_clISt17integral_constantIbLb0EES12_EEDaSX_SY_EUlSX_E_NS1_11comp_targetILNS1_3genE10ELNS1_11target_archE1201ELNS1_3gpuE5ELNS1_3repE0EEENS1_30default_config_static_selectorELNS0_4arch9wavefront6targetE1EEEvT1_,@function
_ZN7rocprim17ROCPRIM_400000_NS6detail17trampoline_kernelINS0_14default_configENS1_29reduce_by_key_config_selectorIllN6thrust23THRUST_200600_302600_NS4plusIlEEEEZZNS1_33reduce_by_key_impl_wrapped_configILNS1_25lookback_scan_determinismE0ES3_S9_PlNS6_17constant_iteratorIiNS6_11use_defaultESE_EENS6_10device_ptrIlEESH_PmS8_NS6_8equal_toIlEEEE10hipError_tPvRmT2_T3_mT4_T5_T6_T7_T8_P12ihipStream_tbENKUlT_T0_E_clISt17integral_constantIbLb0EES12_EEDaSX_SY_EUlSX_E_NS1_11comp_targetILNS1_3genE10ELNS1_11target_archE1201ELNS1_3gpuE5ELNS1_3repE0EEENS1_30default_config_static_selectorELNS0_4arch9wavefront6targetE1EEEvT1_: ; @_ZN7rocprim17ROCPRIM_400000_NS6detail17trampoline_kernelINS0_14default_configENS1_29reduce_by_key_config_selectorIllN6thrust23THRUST_200600_302600_NS4plusIlEEEEZZNS1_33reduce_by_key_impl_wrapped_configILNS1_25lookback_scan_determinismE0ES3_S9_PlNS6_17constant_iteratorIiNS6_11use_defaultESE_EENS6_10device_ptrIlEESH_PmS8_NS6_8equal_toIlEEEE10hipError_tPvRmT2_T3_mT4_T5_T6_T7_T8_P12ihipStream_tbENKUlT_T0_E_clISt17integral_constantIbLb0EES12_EEDaSX_SY_EUlSX_E_NS1_11comp_targetILNS1_3genE10ELNS1_11target_archE1201ELNS1_3gpuE5ELNS1_3repE0EEENS1_30default_config_static_selectorELNS0_4arch9wavefront6targetE1EEEvT1_
; %bb.0:
	.section	.rodata,"a",@progbits
	.p2align	6, 0x0
	.amdhsa_kernel _ZN7rocprim17ROCPRIM_400000_NS6detail17trampoline_kernelINS0_14default_configENS1_29reduce_by_key_config_selectorIllN6thrust23THRUST_200600_302600_NS4plusIlEEEEZZNS1_33reduce_by_key_impl_wrapped_configILNS1_25lookback_scan_determinismE0ES3_S9_PlNS6_17constant_iteratorIiNS6_11use_defaultESE_EENS6_10device_ptrIlEESH_PmS8_NS6_8equal_toIlEEEE10hipError_tPvRmT2_T3_mT4_T5_T6_T7_T8_P12ihipStream_tbENKUlT_T0_E_clISt17integral_constantIbLb0EES12_EEDaSX_SY_EUlSX_E_NS1_11comp_targetILNS1_3genE10ELNS1_11target_archE1201ELNS1_3gpuE5ELNS1_3repE0EEENS1_30default_config_static_selectorELNS0_4arch9wavefront6targetE1EEEvT1_
		.amdhsa_group_segment_fixed_size 0
		.amdhsa_private_segment_fixed_size 0
		.amdhsa_kernarg_size 144
		.amdhsa_user_sgpr_count 6
		.amdhsa_user_sgpr_private_segment_buffer 1
		.amdhsa_user_sgpr_dispatch_ptr 0
		.amdhsa_user_sgpr_queue_ptr 0
		.amdhsa_user_sgpr_kernarg_segment_ptr 1
		.amdhsa_user_sgpr_dispatch_id 0
		.amdhsa_user_sgpr_flat_scratch_init 0
		.amdhsa_user_sgpr_private_segment_size 0
		.amdhsa_uses_dynamic_stack 0
		.amdhsa_system_sgpr_private_segment_wavefront_offset 0
		.amdhsa_system_sgpr_workgroup_id_x 1
		.amdhsa_system_sgpr_workgroup_id_y 0
		.amdhsa_system_sgpr_workgroup_id_z 0
		.amdhsa_system_sgpr_workgroup_info 0
		.amdhsa_system_vgpr_workitem_id 0
		.amdhsa_next_free_vgpr 1
		.amdhsa_next_free_sgpr 0
		.amdhsa_reserve_vcc 0
		.amdhsa_reserve_flat_scratch 0
		.amdhsa_float_round_mode_32 0
		.amdhsa_float_round_mode_16_64 0
		.amdhsa_float_denorm_mode_32 3
		.amdhsa_float_denorm_mode_16_64 3
		.amdhsa_dx10_clamp 1
		.amdhsa_ieee_mode 1
		.amdhsa_fp16_overflow 0
		.amdhsa_exception_fp_ieee_invalid_op 0
		.amdhsa_exception_fp_denorm_src 0
		.amdhsa_exception_fp_ieee_div_zero 0
		.amdhsa_exception_fp_ieee_overflow 0
		.amdhsa_exception_fp_ieee_underflow 0
		.amdhsa_exception_fp_ieee_inexact 0
		.amdhsa_exception_int_div_zero 0
	.end_amdhsa_kernel
	.section	.text._ZN7rocprim17ROCPRIM_400000_NS6detail17trampoline_kernelINS0_14default_configENS1_29reduce_by_key_config_selectorIllN6thrust23THRUST_200600_302600_NS4plusIlEEEEZZNS1_33reduce_by_key_impl_wrapped_configILNS1_25lookback_scan_determinismE0ES3_S9_PlNS6_17constant_iteratorIiNS6_11use_defaultESE_EENS6_10device_ptrIlEESH_PmS8_NS6_8equal_toIlEEEE10hipError_tPvRmT2_T3_mT4_T5_T6_T7_T8_P12ihipStream_tbENKUlT_T0_E_clISt17integral_constantIbLb0EES12_EEDaSX_SY_EUlSX_E_NS1_11comp_targetILNS1_3genE10ELNS1_11target_archE1201ELNS1_3gpuE5ELNS1_3repE0EEENS1_30default_config_static_selectorELNS0_4arch9wavefront6targetE1EEEvT1_,"axG",@progbits,_ZN7rocprim17ROCPRIM_400000_NS6detail17trampoline_kernelINS0_14default_configENS1_29reduce_by_key_config_selectorIllN6thrust23THRUST_200600_302600_NS4plusIlEEEEZZNS1_33reduce_by_key_impl_wrapped_configILNS1_25lookback_scan_determinismE0ES3_S9_PlNS6_17constant_iteratorIiNS6_11use_defaultESE_EENS6_10device_ptrIlEESH_PmS8_NS6_8equal_toIlEEEE10hipError_tPvRmT2_T3_mT4_T5_T6_T7_T8_P12ihipStream_tbENKUlT_T0_E_clISt17integral_constantIbLb0EES12_EEDaSX_SY_EUlSX_E_NS1_11comp_targetILNS1_3genE10ELNS1_11target_archE1201ELNS1_3gpuE5ELNS1_3repE0EEENS1_30default_config_static_selectorELNS0_4arch9wavefront6targetE1EEEvT1_,comdat
.Lfunc_end1209:
	.size	_ZN7rocprim17ROCPRIM_400000_NS6detail17trampoline_kernelINS0_14default_configENS1_29reduce_by_key_config_selectorIllN6thrust23THRUST_200600_302600_NS4plusIlEEEEZZNS1_33reduce_by_key_impl_wrapped_configILNS1_25lookback_scan_determinismE0ES3_S9_PlNS6_17constant_iteratorIiNS6_11use_defaultESE_EENS6_10device_ptrIlEESH_PmS8_NS6_8equal_toIlEEEE10hipError_tPvRmT2_T3_mT4_T5_T6_T7_T8_P12ihipStream_tbENKUlT_T0_E_clISt17integral_constantIbLb0EES12_EEDaSX_SY_EUlSX_E_NS1_11comp_targetILNS1_3genE10ELNS1_11target_archE1201ELNS1_3gpuE5ELNS1_3repE0EEENS1_30default_config_static_selectorELNS0_4arch9wavefront6targetE1EEEvT1_, .Lfunc_end1209-_ZN7rocprim17ROCPRIM_400000_NS6detail17trampoline_kernelINS0_14default_configENS1_29reduce_by_key_config_selectorIllN6thrust23THRUST_200600_302600_NS4plusIlEEEEZZNS1_33reduce_by_key_impl_wrapped_configILNS1_25lookback_scan_determinismE0ES3_S9_PlNS6_17constant_iteratorIiNS6_11use_defaultESE_EENS6_10device_ptrIlEESH_PmS8_NS6_8equal_toIlEEEE10hipError_tPvRmT2_T3_mT4_T5_T6_T7_T8_P12ihipStream_tbENKUlT_T0_E_clISt17integral_constantIbLb0EES12_EEDaSX_SY_EUlSX_E_NS1_11comp_targetILNS1_3genE10ELNS1_11target_archE1201ELNS1_3gpuE5ELNS1_3repE0EEENS1_30default_config_static_selectorELNS0_4arch9wavefront6targetE1EEEvT1_
                                        ; -- End function
	.set _ZN7rocprim17ROCPRIM_400000_NS6detail17trampoline_kernelINS0_14default_configENS1_29reduce_by_key_config_selectorIllN6thrust23THRUST_200600_302600_NS4plusIlEEEEZZNS1_33reduce_by_key_impl_wrapped_configILNS1_25lookback_scan_determinismE0ES3_S9_PlNS6_17constant_iteratorIiNS6_11use_defaultESE_EENS6_10device_ptrIlEESH_PmS8_NS6_8equal_toIlEEEE10hipError_tPvRmT2_T3_mT4_T5_T6_T7_T8_P12ihipStream_tbENKUlT_T0_E_clISt17integral_constantIbLb0EES12_EEDaSX_SY_EUlSX_E_NS1_11comp_targetILNS1_3genE10ELNS1_11target_archE1201ELNS1_3gpuE5ELNS1_3repE0EEENS1_30default_config_static_selectorELNS0_4arch9wavefront6targetE1EEEvT1_.num_vgpr, 0
	.set _ZN7rocprim17ROCPRIM_400000_NS6detail17trampoline_kernelINS0_14default_configENS1_29reduce_by_key_config_selectorIllN6thrust23THRUST_200600_302600_NS4plusIlEEEEZZNS1_33reduce_by_key_impl_wrapped_configILNS1_25lookback_scan_determinismE0ES3_S9_PlNS6_17constant_iteratorIiNS6_11use_defaultESE_EENS6_10device_ptrIlEESH_PmS8_NS6_8equal_toIlEEEE10hipError_tPvRmT2_T3_mT4_T5_T6_T7_T8_P12ihipStream_tbENKUlT_T0_E_clISt17integral_constantIbLb0EES12_EEDaSX_SY_EUlSX_E_NS1_11comp_targetILNS1_3genE10ELNS1_11target_archE1201ELNS1_3gpuE5ELNS1_3repE0EEENS1_30default_config_static_selectorELNS0_4arch9wavefront6targetE1EEEvT1_.num_agpr, 0
	.set _ZN7rocprim17ROCPRIM_400000_NS6detail17trampoline_kernelINS0_14default_configENS1_29reduce_by_key_config_selectorIllN6thrust23THRUST_200600_302600_NS4plusIlEEEEZZNS1_33reduce_by_key_impl_wrapped_configILNS1_25lookback_scan_determinismE0ES3_S9_PlNS6_17constant_iteratorIiNS6_11use_defaultESE_EENS6_10device_ptrIlEESH_PmS8_NS6_8equal_toIlEEEE10hipError_tPvRmT2_T3_mT4_T5_T6_T7_T8_P12ihipStream_tbENKUlT_T0_E_clISt17integral_constantIbLb0EES12_EEDaSX_SY_EUlSX_E_NS1_11comp_targetILNS1_3genE10ELNS1_11target_archE1201ELNS1_3gpuE5ELNS1_3repE0EEENS1_30default_config_static_selectorELNS0_4arch9wavefront6targetE1EEEvT1_.numbered_sgpr, 0
	.set _ZN7rocprim17ROCPRIM_400000_NS6detail17trampoline_kernelINS0_14default_configENS1_29reduce_by_key_config_selectorIllN6thrust23THRUST_200600_302600_NS4plusIlEEEEZZNS1_33reduce_by_key_impl_wrapped_configILNS1_25lookback_scan_determinismE0ES3_S9_PlNS6_17constant_iteratorIiNS6_11use_defaultESE_EENS6_10device_ptrIlEESH_PmS8_NS6_8equal_toIlEEEE10hipError_tPvRmT2_T3_mT4_T5_T6_T7_T8_P12ihipStream_tbENKUlT_T0_E_clISt17integral_constantIbLb0EES12_EEDaSX_SY_EUlSX_E_NS1_11comp_targetILNS1_3genE10ELNS1_11target_archE1201ELNS1_3gpuE5ELNS1_3repE0EEENS1_30default_config_static_selectorELNS0_4arch9wavefront6targetE1EEEvT1_.num_named_barrier, 0
	.set _ZN7rocprim17ROCPRIM_400000_NS6detail17trampoline_kernelINS0_14default_configENS1_29reduce_by_key_config_selectorIllN6thrust23THRUST_200600_302600_NS4plusIlEEEEZZNS1_33reduce_by_key_impl_wrapped_configILNS1_25lookback_scan_determinismE0ES3_S9_PlNS6_17constant_iteratorIiNS6_11use_defaultESE_EENS6_10device_ptrIlEESH_PmS8_NS6_8equal_toIlEEEE10hipError_tPvRmT2_T3_mT4_T5_T6_T7_T8_P12ihipStream_tbENKUlT_T0_E_clISt17integral_constantIbLb0EES12_EEDaSX_SY_EUlSX_E_NS1_11comp_targetILNS1_3genE10ELNS1_11target_archE1201ELNS1_3gpuE5ELNS1_3repE0EEENS1_30default_config_static_selectorELNS0_4arch9wavefront6targetE1EEEvT1_.private_seg_size, 0
	.set _ZN7rocprim17ROCPRIM_400000_NS6detail17trampoline_kernelINS0_14default_configENS1_29reduce_by_key_config_selectorIllN6thrust23THRUST_200600_302600_NS4plusIlEEEEZZNS1_33reduce_by_key_impl_wrapped_configILNS1_25lookback_scan_determinismE0ES3_S9_PlNS6_17constant_iteratorIiNS6_11use_defaultESE_EENS6_10device_ptrIlEESH_PmS8_NS6_8equal_toIlEEEE10hipError_tPvRmT2_T3_mT4_T5_T6_T7_T8_P12ihipStream_tbENKUlT_T0_E_clISt17integral_constantIbLb0EES12_EEDaSX_SY_EUlSX_E_NS1_11comp_targetILNS1_3genE10ELNS1_11target_archE1201ELNS1_3gpuE5ELNS1_3repE0EEENS1_30default_config_static_selectorELNS0_4arch9wavefront6targetE1EEEvT1_.uses_vcc, 0
	.set _ZN7rocprim17ROCPRIM_400000_NS6detail17trampoline_kernelINS0_14default_configENS1_29reduce_by_key_config_selectorIllN6thrust23THRUST_200600_302600_NS4plusIlEEEEZZNS1_33reduce_by_key_impl_wrapped_configILNS1_25lookback_scan_determinismE0ES3_S9_PlNS6_17constant_iteratorIiNS6_11use_defaultESE_EENS6_10device_ptrIlEESH_PmS8_NS6_8equal_toIlEEEE10hipError_tPvRmT2_T3_mT4_T5_T6_T7_T8_P12ihipStream_tbENKUlT_T0_E_clISt17integral_constantIbLb0EES12_EEDaSX_SY_EUlSX_E_NS1_11comp_targetILNS1_3genE10ELNS1_11target_archE1201ELNS1_3gpuE5ELNS1_3repE0EEENS1_30default_config_static_selectorELNS0_4arch9wavefront6targetE1EEEvT1_.uses_flat_scratch, 0
	.set _ZN7rocprim17ROCPRIM_400000_NS6detail17trampoline_kernelINS0_14default_configENS1_29reduce_by_key_config_selectorIllN6thrust23THRUST_200600_302600_NS4plusIlEEEEZZNS1_33reduce_by_key_impl_wrapped_configILNS1_25lookback_scan_determinismE0ES3_S9_PlNS6_17constant_iteratorIiNS6_11use_defaultESE_EENS6_10device_ptrIlEESH_PmS8_NS6_8equal_toIlEEEE10hipError_tPvRmT2_T3_mT4_T5_T6_T7_T8_P12ihipStream_tbENKUlT_T0_E_clISt17integral_constantIbLb0EES12_EEDaSX_SY_EUlSX_E_NS1_11comp_targetILNS1_3genE10ELNS1_11target_archE1201ELNS1_3gpuE5ELNS1_3repE0EEENS1_30default_config_static_selectorELNS0_4arch9wavefront6targetE1EEEvT1_.has_dyn_sized_stack, 0
	.set _ZN7rocprim17ROCPRIM_400000_NS6detail17trampoline_kernelINS0_14default_configENS1_29reduce_by_key_config_selectorIllN6thrust23THRUST_200600_302600_NS4plusIlEEEEZZNS1_33reduce_by_key_impl_wrapped_configILNS1_25lookback_scan_determinismE0ES3_S9_PlNS6_17constant_iteratorIiNS6_11use_defaultESE_EENS6_10device_ptrIlEESH_PmS8_NS6_8equal_toIlEEEE10hipError_tPvRmT2_T3_mT4_T5_T6_T7_T8_P12ihipStream_tbENKUlT_T0_E_clISt17integral_constantIbLb0EES12_EEDaSX_SY_EUlSX_E_NS1_11comp_targetILNS1_3genE10ELNS1_11target_archE1201ELNS1_3gpuE5ELNS1_3repE0EEENS1_30default_config_static_selectorELNS0_4arch9wavefront6targetE1EEEvT1_.has_recursion, 0
	.set _ZN7rocprim17ROCPRIM_400000_NS6detail17trampoline_kernelINS0_14default_configENS1_29reduce_by_key_config_selectorIllN6thrust23THRUST_200600_302600_NS4plusIlEEEEZZNS1_33reduce_by_key_impl_wrapped_configILNS1_25lookback_scan_determinismE0ES3_S9_PlNS6_17constant_iteratorIiNS6_11use_defaultESE_EENS6_10device_ptrIlEESH_PmS8_NS6_8equal_toIlEEEE10hipError_tPvRmT2_T3_mT4_T5_T6_T7_T8_P12ihipStream_tbENKUlT_T0_E_clISt17integral_constantIbLb0EES12_EEDaSX_SY_EUlSX_E_NS1_11comp_targetILNS1_3genE10ELNS1_11target_archE1201ELNS1_3gpuE5ELNS1_3repE0EEENS1_30default_config_static_selectorELNS0_4arch9wavefront6targetE1EEEvT1_.has_indirect_call, 0
	.section	.AMDGPU.csdata,"",@progbits
; Kernel info:
; codeLenInByte = 0
; TotalNumSgprs: 4
; NumVgprs: 0
; ScratchSize: 0
; MemoryBound: 0
; FloatMode: 240
; IeeeMode: 1
; LDSByteSize: 0 bytes/workgroup (compile time only)
; SGPRBlocks: 0
; VGPRBlocks: 0
; NumSGPRsForWavesPerEU: 4
; NumVGPRsForWavesPerEU: 1
; Occupancy: 10
; WaveLimiterHint : 0
; COMPUTE_PGM_RSRC2:SCRATCH_EN: 0
; COMPUTE_PGM_RSRC2:USER_SGPR: 6
; COMPUTE_PGM_RSRC2:TRAP_HANDLER: 0
; COMPUTE_PGM_RSRC2:TGID_X_EN: 1
; COMPUTE_PGM_RSRC2:TGID_Y_EN: 0
; COMPUTE_PGM_RSRC2:TGID_Z_EN: 0
; COMPUTE_PGM_RSRC2:TIDIG_COMP_CNT: 0
	.section	.text._ZN7rocprim17ROCPRIM_400000_NS6detail17trampoline_kernelINS0_14default_configENS1_29reduce_by_key_config_selectorIllN6thrust23THRUST_200600_302600_NS4plusIlEEEEZZNS1_33reduce_by_key_impl_wrapped_configILNS1_25lookback_scan_determinismE0ES3_S9_PlNS6_17constant_iteratorIiNS6_11use_defaultESE_EENS6_10device_ptrIlEESH_PmS8_NS6_8equal_toIlEEEE10hipError_tPvRmT2_T3_mT4_T5_T6_T7_T8_P12ihipStream_tbENKUlT_T0_E_clISt17integral_constantIbLb0EES12_EEDaSX_SY_EUlSX_E_NS1_11comp_targetILNS1_3genE10ELNS1_11target_archE1200ELNS1_3gpuE4ELNS1_3repE0EEENS1_30default_config_static_selectorELNS0_4arch9wavefront6targetE1EEEvT1_,"axG",@progbits,_ZN7rocprim17ROCPRIM_400000_NS6detail17trampoline_kernelINS0_14default_configENS1_29reduce_by_key_config_selectorIllN6thrust23THRUST_200600_302600_NS4plusIlEEEEZZNS1_33reduce_by_key_impl_wrapped_configILNS1_25lookback_scan_determinismE0ES3_S9_PlNS6_17constant_iteratorIiNS6_11use_defaultESE_EENS6_10device_ptrIlEESH_PmS8_NS6_8equal_toIlEEEE10hipError_tPvRmT2_T3_mT4_T5_T6_T7_T8_P12ihipStream_tbENKUlT_T0_E_clISt17integral_constantIbLb0EES12_EEDaSX_SY_EUlSX_E_NS1_11comp_targetILNS1_3genE10ELNS1_11target_archE1200ELNS1_3gpuE4ELNS1_3repE0EEENS1_30default_config_static_selectorELNS0_4arch9wavefront6targetE1EEEvT1_,comdat
	.protected	_ZN7rocprim17ROCPRIM_400000_NS6detail17trampoline_kernelINS0_14default_configENS1_29reduce_by_key_config_selectorIllN6thrust23THRUST_200600_302600_NS4plusIlEEEEZZNS1_33reduce_by_key_impl_wrapped_configILNS1_25lookback_scan_determinismE0ES3_S9_PlNS6_17constant_iteratorIiNS6_11use_defaultESE_EENS6_10device_ptrIlEESH_PmS8_NS6_8equal_toIlEEEE10hipError_tPvRmT2_T3_mT4_T5_T6_T7_T8_P12ihipStream_tbENKUlT_T0_E_clISt17integral_constantIbLb0EES12_EEDaSX_SY_EUlSX_E_NS1_11comp_targetILNS1_3genE10ELNS1_11target_archE1200ELNS1_3gpuE4ELNS1_3repE0EEENS1_30default_config_static_selectorELNS0_4arch9wavefront6targetE1EEEvT1_ ; -- Begin function _ZN7rocprim17ROCPRIM_400000_NS6detail17trampoline_kernelINS0_14default_configENS1_29reduce_by_key_config_selectorIllN6thrust23THRUST_200600_302600_NS4plusIlEEEEZZNS1_33reduce_by_key_impl_wrapped_configILNS1_25lookback_scan_determinismE0ES3_S9_PlNS6_17constant_iteratorIiNS6_11use_defaultESE_EENS6_10device_ptrIlEESH_PmS8_NS6_8equal_toIlEEEE10hipError_tPvRmT2_T3_mT4_T5_T6_T7_T8_P12ihipStream_tbENKUlT_T0_E_clISt17integral_constantIbLb0EES12_EEDaSX_SY_EUlSX_E_NS1_11comp_targetILNS1_3genE10ELNS1_11target_archE1200ELNS1_3gpuE4ELNS1_3repE0EEENS1_30default_config_static_selectorELNS0_4arch9wavefront6targetE1EEEvT1_
	.globl	_ZN7rocprim17ROCPRIM_400000_NS6detail17trampoline_kernelINS0_14default_configENS1_29reduce_by_key_config_selectorIllN6thrust23THRUST_200600_302600_NS4plusIlEEEEZZNS1_33reduce_by_key_impl_wrapped_configILNS1_25lookback_scan_determinismE0ES3_S9_PlNS6_17constant_iteratorIiNS6_11use_defaultESE_EENS6_10device_ptrIlEESH_PmS8_NS6_8equal_toIlEEEE10hipError_tPvRmT2_T3_mT4_T5_T6_T7_T8_P12ihipStream_tbENKUlT_T0_E_clISt17integral_constantIbLb0EES12_EEDaSX_SY_EUlSX_E_NS1_11comp_targetILNS1_3genE10ELNS1_11target_archE1200ELNS1_3gpuE4ELNS1_3repE0EEENS1_30default_config_static_selectorELNS0_4arch9wavefront6targetE1EEEvT1_
	.p2align	8
	.type	_ZN7rocprim17ROCPRIM_400000_NS6detail17trampoline_kernelINS0_14default_configENS1_29reduce_by_key_config_selectorIllN6thrust23THRUST_200600_302600_NS4plusIlEEEEZZNS1_33reduce_by_key_impl_wrapped_configILNS1_25lookback_scan_determinismE0ES3_S9_PlNS6_17constant_iteratorIiNS6_11use_defaultESE_EENS6_10device_ptrIlEESH_PmS8_NS6_8equal_toIlEEEE10hipError_tPvRmT2_T3_mT4_T5_T6_T7_T8_P12ihipStream_tbENKUlT_T0_E_clISt17integral_constantIbLb0EES12_EEDaSX_SY_EUlSX_E_NS1_11comp_targetILNS1_3genE10ELNS1_11target_archE1200ELNS1_3gpuE4ELNS1_3repE0EEENS1_30default_config_static_selectorELNS0_4arch9wavefront6targetE1EEEvT1_,@function
_ZN7rocprim17ROCPRIM_400000_NS6detail17trampoline_kernelINS0_14default_configENS1_29reduce_by_key_config_selectorIllN6thrust23THRUST_200600_302600_NS4plusIlEEEEZZNS1_33reduce_by_key_impl_wrapped_configILNS1_25lookback_scan_determinismE0ES3_S9_PlNS6_17constant_iteratorIiNS6_11use_defaultESE_EENS6_10device_ptrIlEESH_PmS8_NS6_8equal_toIlEEEE10hipError_tPvRmT2_T3_mT4_T5_T6_T7_T8_P12ihipStream_tbENKUlT_T0_E_clISt17integral_constantIbLb0EES12_EEDaSX_SY_EUlSX_E_NS1_11comp_targetILNS1_3genE10ELNS1_11target_archE1200ELNS1_3gpuE4ELNS1_3repE0EEENS1_30default_config_static_selectorELNS0_4arch9wavefront6targetE1EEEvT1_: ; @_ZN7rocprim17ROCPRIM_400000_NS6detail17trampoline_kernelINS0_14default_configENS1_29reduce_by_key_config_selectorIllN6thrust23THRUST_200600_302600_NS4plusIlEEEEZZNS1_33reduce_by_key_impl_wrapped_configILNS1_25lookback_scan_determinismE0ES3_S9_PlNS6_17constant_iteratorIiNS6_11use_defaultESE_EENS6_10device_ptrIlEESH_PmS8_NS6_8equal_toIlEEEE10hipError_tPvRmT2_T3_mT4_T5_T6_T7_T8_P12ihipStream_tbENKUlT_T0_E_clISt17integral_constantIbLb0EES12_EEDaSX_SY_EUlSX_E_NS1_11comp_targetILNS1_3genE10ELNS1_11target_archE1200ELNS1_3gpuE4ELNS1_3repE0EEENS1_30default_config_static_selectorELNS0_4arch9wavefront6targetE1EEEvT1_
; %bb.0:
	.section	.rodata,"a",@progbits
	.p2align	6, 0x0
	.amdhsa_kernel _ZN7rocprim17ROCPRIM_400000_NS6detail17trampoline_kernelINS0_14default_configENS1_29reduce_by_key_config_selectorIllN6thrust23THRUST_200600_302600_NS4plusIlEEEEZZNS1_33reduce_by_key_impl_wrapped_configILNS1_25lookback_scan_determinismE0ES3_S9_PlNS6_17constant_iteratorIiNS6_11use_defaultESE_EENS6_10device_ptrIlEESH_PmS8_NS6_8equal_toIlEEEE10hipError_tPvRmT2_T3_mT4_T5_T6_T7_T8_P12ihipStream_tbENKUlT_T0_E_clISt17integral_constantIbLb0EES12_EEDaSX_SY_EUlSX_E_NS1_11comp_targetILNS1_3genE10ELNS1_11target_archE1200ELNS1_3gpuE4ELNS1_3repE0EEENS1_30default_config_static_selectorELNS0_4arch9wavefront6targetE1EEEvT1_
		.amdhsa_group_segment_fixed_size 0
		.amdhsa_private_segment_fixed_size 0
		.amdhsa_kernarg_size 144
		.amdhsa_user_sgpr_count 6
		.amdhsa_user_sgpr_private_segment_buffer 1
		.amdhsa_user_sgpr_dispatch_ptr 0
		.amdhsa_user_sgpr_queue_ptr 0
		.amdhsa_user_sgpr_kernarg_segment_ptr 1
		.amdhsa_user_sgpr_dispatch_id 0
		.amdhsa_user_sgpr_flat_scratch_init 0
		.amdhsa_user_sgpr_private_segment_size 0
		.amdhsa_uses_dynamic_stack 0
		.amdhsa_system_sgpr_private_segment_wavefront_offset 0
		.amdhsa_system_sgpr_workgroup_id_x 1
		.amdhsa_system_sgpr_workgroup_id_y 0
		.amdhsa_system_sgpr_workgroup_id_z 0
		.amdhsa_system_sgpr_workgroup_info 0
		.amdhsa_system_vgpr_workitem_id 0
		.amdhsa_next_free_vgpr 1
		.amdhsa_next_free_sgpr 0
		.amdhsa_reserve_vcc 0
		.amdhsa_reserve_flat_scratch 0
		.amdhsa_float_round_mode_32 0
		.amdhsa_float_round_mode_16_64 0
		.amdhsa_float_denorm_mode_32 3
		.amdhsa_float_denorm_mode_16_64 3
		.amdhsa_dx10_clamp 1
		.amdhsa_ieee_mode 1
		.amdhsa_fp16_overflow 0
		.amdhsa_exception_fp_ieee_invalid_op 0
		.amdhsa_exception_fp_denorm_src 0
		.amdhsa_exception_fp_ieee_div_zero 0
		.amdhsa_exception_fp_ieee_overflow 0
		.amdhsa_exception_fp_ieee_underflow 0
		.amdhsa_exception_fp_ieee_inexact 0
		.amdhsa_exception_int_div_zero 0
	.end_amdhsa_kernel
	.section	.text._ZN7rocprim17ROCPRIM_400000_NS6detail17trampoline_kernelINS0_14default_configENS1_29reduce_by_key_config_selectorIllN6thrust23THRUST_200600_302600_NS4plusIlEEEEZZNS1_33reduce_by_key_impl_wrapped_configILNS1_25lookback_scan_determinismE0ES3_S9_PlNS6_17constant_iteratorIiNS6_11use_defaultESE_EENS6_10device_ptrIlEESH_PmS8_NS6_8equal_toIlEEEE10hipError_tPvRmT2_T3_mT4_T5_T6_T7_T8_P12ihipStream_tbENKUlT_T0_E_clISt17integral_constantIbLb0EES12_EEDaSX_SY_EUlSX_E_NS1_11comp_targetILNS1_3genE10ELNS1_11target_archE1200ELNS1_3gpuE4ELNS1_3repE0EEENS1_30default_config_static_selectorELNS0_4arch9wavefront6targetE1EEEvT1_,"axG",@progbits,_ZN7rocprim17ROCPRIM_400000_NS6detail17trampoline_kernelINS0_14default_configENS1_29reduce_by_key_config_selectorIllN6thrust23THRUST_200600_302600_NS4plusIlEEEEZZNS1_33reduce_by_key_impl_wrapped_configILNS1_25lookback_scan_determinismE0ES3_S9_PlNS6_17constant_iteratorIiNS6_11use_defaultESE_EENS6_10device_ptrIlEESH_PmS8_NS6_8equal_toIlEEEE10hipError_tPvRmT2_T3_mT4_T5_T6_T7_T8_P12ihipStream_tbENKUlT_T0_E_clISt17integral_constantIbLb0EES12_EEDaSX_SY_EUlSX_E_NS1_11comp_targetILNS1_3genE10ELNS1_11target_archE1200ELNS1_3gpuE4ELNS1_3repE0EEENS1_30default_config_static_selectorELNS0_4arch9wavefront6targetE1EEEvT1_,comdat
.Lfunc_end1210:
	.size	_ZN7rocprim17ROCPRIM_400000_NS6detail17trampoline_kernelINS0_14default_configENS1_29reduce_by_key_config_selectorIllN6thrust23THRUST_200600_302600_NS4plusIlEEEEZZNS1_33reduce_by_key_impl_wrapped_configILNS1_25lookback_scan_determinismE0ES3_S9_PlNS6_17constant_iteratorIiNS6_11use_defaultESE_EENS6_10device_ptrIlEESH_PmS8_NS6_8equal_toIlEEEE10hipError_tPvRmT2_T3_mT4_T5_T6_T7_T8_P12ihipStream_tbENKUlT_T0_E_clISt17integral_constantIbLb0EES12_EEDaSX_SY_EUlSX_E_NS1_11comp_targetILNS1_3genE10ELNS1_11target_archE1200ELNS1_3gpuE4ELNS1_3repE0EEENS1_30default_config_static_selectorELNS0_4arch9wavefront6targetE1EEEvT1_, .Lfunc_end1210-_ZN7rocprim17ROCPRIM_400000_NS6detail17trampoline_kernelINS0_14default_configENS1_29reduce_by_key_config_selectorIllN6thrust23THRUST_200600_302600_NS4plusIlEEEEZZNS1_33reduce_by_key_impl_wrapped_configILNS1_25lookback_scan_determinismE0ES3_S9_PlNS6_17constant_iteratorIiNS6_11use_defaultESE_EENS6_10device_ptrIlEESH_PmS8_NS6_8equal_toIlEEEE10hipError_tPvRmT2_T3_mT4_T5_T6_T7_T8_P12ihipStream_tbENKUlT_T0_E_clISt17integral_constantIbLb0EES12_EEDaSX_SY_EUlSX_E_NS1_11comp_targetILNS1_3genE10ELNS1_11target_archE1200ELNS1_3gpuE4ELNS1_3repE0EEENS1_30default_config_static_selectorELNS0_4arch9wavefront6targetE1EEEvT1_
                                        ; -- End function
	.set _ZN7rocprim17ROCPRIM_400000_NS6detail17trampoline_kernelINS0_14default_configENS1_29reduce_by_key_config_selectorIllN6thrust23THRUST_200600_302600_NS4plusIlEEEEZZNS1_33reduce_by_key_impl_wrapped_configILNS1_25lookback_scan_determinismE0ES3_S9_PlNS6_17constant_iteratorIiNS6_11use_defaultESE_EENS6_10device_ptrIlEESH_PmS8_NS6_8equal_toIlEEEE10hipError_tPvRmT2_T3_mT4_T5_T6_T7_T8_P12ihipStream_tbENKUlT_T0_E_clISt17integral_constantIbLb0EES12_EEDaSX_SY_EUlSX_E_NS1_11comp_targetILNS1_3genE10ELNS1_11target_archE1200ELNS1_3gpuE4ELNS1_3repE0EEENS1_30default_config_static_selectorELNS0_4arch9wavefront6targetE1EEEvT1_.num_vgpr, 0
	.set _ZN7rocprim17ROCPRIM_400000_NS6detail17trampoline_kernelINS0_14default_configENS1_29reduce_by_key_config_selectorIllN6thrust23THRUST_200600_302600_NS4plusIlEEEEZZNS1_33reduce_by_key_impl_wrapped_configILNS1_25lookback_scan_determinismE0ES3_S9_PlNS6_17constant_iteratorIiNS6_11use_defaultESE_EENS6_10device_ptrIlEESH_PmS8_NS6_8equal_toIlEEEE10hipError_tPvRmT2_T3_mT4_T5_T6_T7_T8_P12ihipStream_tbENKUlT_T0_E_clISt17integral_constantIbLb0EES12_EEDaSX_SY_EUlSX_E_NS1_11comp_targetILNS1_3genE10ELNS1_11target_archE1200ELNS1_3gpuE4ELNS1_3repE0EEENS1_30default_config_static_selectorELNS0_4arch9wavefront6targetE1EEEvT1_.num_agpr, 0
	.set _ZN7rocprim17ROCPRIM_400000_NS6detail17trampoline_kernelINS0_14default_configENS1_29reduce_by_key_config_selectorIllN6thrust23THRUST_200600_302600_NS4plusIlEEEEZZNS1_33reduce_by_key_impl_wrapped_configILNS1_25lookback_scan_determinismE0ES3_S9_PlNS6_17constant_iteratorIiNS6_11use_defaultESE_EENS6_10device_ptrIlEESH_PmS8_NS6_8equal_toIlEEEE10hipError_tPvRmT2_T3_mT4_T5_T6_T7_T8_P12ihipStream_tbENKUlT_T0_E_clISt17integral_constantIbLb0EES12_EEDaSX_SY_EUlSX_E_NS1_11comp_targetILNS1_3genE10ELNS1_11target_archE1200ELNS1_3gpuE4ELNS1_3repE0EEENS1_30default_config_static_selectorELNS0_4arch9wavefront6targetE1EEEvT1_.numbered_sgpr, 0
	.set _ZN7rocprim17ROCPRIM_400000_NS6detail17trampoline_kernelINS0_14default_configENS1_29reduce_by_key_config_selectorIllN6thrust23THRUST_200600_302600_NS4plusIlEEEEZZNS1_33reduce_by_key_impl_wrapped_configILNS1_25lookback_scan_determinismE0ES3_S9_PlNS6_17constant_iteratorIiNS6_11use_defaultESE_EENS6_10device_ptrIlEESH_PmS8_NS6_8equal_toIlEEEE10hipError_tPvRmT2_T3_mT4_T5_T6_T7_T8_P12ihipStream_tbENKUlT_T0_E_clISt17integral_constantIbLb0EES12_EEDaSX_SY_EUlSX_E_NS1_11comp_targetILNS1_3genE10ELNS1_11target_archE1200ELNS1_3gpuE4ELNS1_3repE0EEENS1_30default_config_static_selectorELNS0_4arch9wavefront6targetE1EEEvT1_.num_named_barrier, 0
	.set _ZN7rocprim17ROCPRIM_400000_NS6detail17trampoline_kernelINS0_14default_configENS1_29reduce_by_key_config_selectorIllN6thrust23THRUST_200600_302600_NS4plusIlEEEEZZNS1_33reduce_by_key_impl_wrapped_configILNS1_25lookback_scan_determinismE0ES3_S9_PlNS6_17constant_iteratorIiNS6_11use_defaultESE_EENS6_10device_ptrIlEESH_PmS8_NS6_8equal_toIlEEEE10hipError_tPvRmT2_T3_mT4_T5_T6_T7_T8_P12ihipStream_tbENKUlT_T0_E_clISt17integral_constantIbLb0EES12_EEDaSX_SY_EUlSX_E_NS1_11comp_targetILNS1_3genE10ELNS1_11target_archE1200ELNS1_3gpuE4ELNS1_3repE0EEENS1_30default_config_static_selectorELNS0_4arch9wavefront6targetE1EEEvT1_.private_seg_size, 0
	.set _ZN7rocprim17ROCPRIM_400000_NS6detail17trampoline_kernelINS0_14default_configENS1_29reduce_by_key_config_selectorIllN6thrust23THRUST_200600_302600_NS4plusIlEEEEZZNS1_33reduce_by_key_impl_wrapped_configILNS1_25lookback_scan_determinismE0ES3_S9_PlNS6_17constant_iteratorIiNS6_11use_defaultESE_EENS6_10device_ptrIlEESH_PmS8_NS6_8equal_toIlEEEE10hipError_tPvRmT2_T3_mT4_T5_T6_T7_T8_P12ihipStream_tbENKUlT_T0_E_clISt17integral_constantIbLb0EES12_EEDaSX_SY_EUlSX_E_NS1_11comp_targetILNS1_3genE10ELNS1_11target_archE1200ELNS1_3gpuE4ELNS1_3repE0EEENS1_30default_config_static_selectorELNS0_4arch9wavefront6targetE1EEEvT1_.uses_vcc, 0
	.set _ZN7rocprim17ROCPRIM_400000_NS6detail17trampoline_kernelINS0_14default_configENS1_29reduce_by_key_config_selectorIllN6thrust23THRUST_200600_302600_NS4plusIlEEEEZZNS1_33reduce_by_key_impl_wrapped_configILNS1_25lookback_scan_determinismE0ES3_S9_PlNS6_17constant_iteratorIiNS6_11use_defaultESE_EENS6_10device_ptrIlEESH_PmS8_NS6_8equal_toIlEEEE10hipError_tPvRmT2_T3_mT4_T5_T6_T7_T8_P12ihipStream_tbENKUlT_T0_E_clISt17integral_constantIbLb0EES12_EEDaSX_SY_EUlSX_E_NS1_11comp_targetILNS1_3genE10ELNS1_11target_archE1200ELNS1_3gpuE4ELNS1_3repE0EEENS1_30default_config_static_selectorELNS0_4arch9wavefront6targetE1EEEvT1_.uses_flat_scratch, 0
	.set _ZN7rocprim17ROCPRIM_400000_NS6detail17trampoline_kernelINS0_14default_configENS1_29reduce_by_key_config_selectorIllN6thrust23THRUST_200600_302600_NS4plusIlEEEEZZNS1_33reduce_by_key_impl_wrapped_configILNS1_25lookback_scan_determinismE0ES3_S9_PlNS6_17constant_iteratorIiNS6_11use_defaultESE_EENS6_10device_ptrIlEESH_PmS8_NS6_8equal_toIlEEEE10hipError_tPvRmT2_T3_mT4_T5_T6_T7_T8_P12ihipStream_tbENKUlT_T0_E_clISt17integral_constantIbLb0EES12_EEDaSX_SY_EUlSX_E_NS1_11comp_targetILNS1_3genE10ELNS1_11target_archE1200ELNS1_3gpuE4ELNS1_3repE0EEENS1_30default_config_static_selectorELNS0_4arch9wavefront6targetE1EEEvT1_.has_dyn_sized_stack, 0
	.set _ZN7rocprim17ROCPRIM_400000_NS6detail17trampoline_kernelINS0_14default_configENS1_29reduce_by_key_config_selectorIllN6thrust23THRUST_200600_302600_NS4plusIlEEEEZZNS1_33reduce_by_key_impl_wrapped_configILNS1_25lookback_scan_determinismE0ES3_S9_PlNS6_17constant_iteratorIiNS6_11use_defaultESE_EENS6_10device_ptrIlEESH_PmS8_NS6_8equal_toIlEEEE10hipError_tPvRmT2_T3_mT4_T5_T6_T7_T8_P12ihipStream_tbENKUlT_T0_E_clISt17integral_constantIbLb0EES12_EEDaSX_SY_EUlSX_E_NS1_11comp_targetILNS1_3genE10ELNS1_11target_archE1200ELNS1_3gpuE4ELNS1_3repE0EEENS1_30default_config_static_selectorELNS0_4arch9wavefront6targetE1EEEvT1_.has_recursion, 0
	.set _ZN7rocprim17ROCPRIM_400000_NS6detail17trampoline_kernelINS0_14default_configENS1_29reduce_by_key_config_selectorIllN6thrust23THRUST_200600_302600_NS4plusIlEEEEZZNS1_33reduce_by_key_impl_wrapped_configILNS1_25lookback_scan_determinismE0ES3_S9_PlNS6_17constant_iteratorIiNS6_11use_defaultESE_EENS6_10device_ptrIlEESH_PmS8_NS6_8equal_toIlEEEE10hipError_tPvRmT2_T3_mT4_T5_T6_T7_T8_P12ihipStream_tbENKUlT_T0_E_clISt17integral_constantIbLb0EES12_EEDaSX_SY_EUlSX_E_NS1_11comp_targetILNS1_3genE10ELNS1_11target_archE1200ELNS1_3gpuE4ELNS1_3repE0EEENS1_30default_config_static_selectorELNS0_4arch9wavefront6targetE1EEEvT1_.has_indirect_call, 0
	.section	.AMDGPU.csdata,"",@progbits
; Kernel info:
; codeLenInByte = 0
; TotalNumSgprs: 4
; NumVgprs: 0
; ScratchSize: 0
; MemoryBound: 0
; FloatMode: 240
; IeeeMode: 1
; LDSByteSize: 0 bytes/workgroup (compile time only)
; SGPRBlocks: 0
; VGPRBlocks: 0
; NumSGPRsForWavesPerEU: 4
; NumVGPRsForWavesPerEU: 1
; Occupancy: 10
; WaveLimiterHint : 0
; COMPUTE_PGM_RSRC2:SCRATCH_EN: 0
; COMPUTE_PGM_RSRC2:USER_SGPR: 6
; COMPUTE_PGM_RSRC2:TRAP_HANDLER: 0
; COMPUTE_PGM_RSRC2:TGID_X_EN: 1
; COMPUTE_PGM_RSRC2:TGID_Y_EN: 0
; COMPUTE_PGM_RSRC2:TGID_Z_EN: 0
; COMPUTE_PGM_RSRC2:TIDIG_COMP_CNT: 0
	.section	.text._ZN7rocprim17ROCPRIM_400000_NS6detail17trampoline_kernelINS0_14default_configENS1_29reduce_by_key_config_selectorIllN6thrust23THRUST_200600_302600_NS4plusIlEEEEZZNS1_33reduce_by_key_impl_wrapped_configILNS1_25lookback_scan_determinismE0ES3_S9_PlNS6_17constant_iteratorIiNS6_11use_defaultESE_EENS6_10device_ptrIlEESH_PmS8_NS6_8equal_toIlEEEE10hipError_tPvRmT2_T3_mT4_T5_T6_T7_T8_P12ihipStream_tbENKUlT_T0_E_clISt17integral_constantIbLb0EES12_EEDaSX_SY_EUlSX_E_NS1_11comp_targetILNS1_3genE9ELNS1_11target_archE1100ELNS1_3gpuE3ELNS1_3repE0EEENS1_30default_config_static_selectorELNS0_4arch9wavefront6targetE1EEEvT1_,"axG",@progbits,_ZN7rocprim17ROCPRIM_400000_NS6detail17trampoline_kernelINS0_14default_configENS1_29reduce_by_key_config_selectorIllN6thrust23THRUST_200600_302600_NS4plusIlEEEEZZNS1_33reduce_by_key_impl_wrapped_configILNS1_25lookback_scan_determinismE0ES3_S9_PlNS6_17constant_iteratorIiNS6_11use_defaultESE_EENS6_10device_ptrIlEESH_PmS8_NS6_8equal_toIlEEEE10hipError_tPvRmT2_T3_mT4_T5_T6_T7_T8_P12ihipStream_tbENKUlT_T0_E_clISt17integral_constantIbLb0EES12_EEDaSX_SY_EUlSX_E_NS1_11comp_targetILNS1_3genE9ELNS1_11target_archE1100ELNS1_3gpuE3ELNS1_3repE0EEENS1_30default_config_static_selectorELNS0_4arch9wavefront6targetE1EEEvT1_,comdat
	.protected	_ZN7rocprim17ROCPRIM_400000_NS6detail17trampoline_kernelINS0_14default_configENS1_29reduce_by_key_config_selectorIllN6thrust23THRUST_200600_302600_NS4plusIlEEEEZZNS1_33reduce_by_key_impl_wrapped_configILNS1_25lookback_scan_determinismE0ES3_S9_PlNS6_17constant_iteratorIiNS6_11use_defaultESE_EENS6_10device_ptrIlEESH_PmS8_NS6_8equal_toIlEEEE10hipError_tPvRmT2_T3_mT4_T5_T6_T7_T8_P12ihipStream_tbENKUlT_T0_E_clISt17integral_constantIbLb0EES12_EEDaSX_SY_EUlSX_E_NS1_11comp_targetILNS1_3genE9ELNS1_11target_archE1100ELNS1_3gpuE3ELNS1_3repE0EEENS1_30default_config_static_selectorELNS0_4arch9wavefront6targetE1EEEvT1_ ; -- Begin function _ZN7rocprim17ROCPRIM_400000_NS6detail17trampoline_kernelINS0_14default_configENS1_29reduce_by_key_config_selectorIllN6thrust23THRUST_200600_302600_NS4plusIlEEEEZZNS1_33reduce_by_key_impl_wrapped_configILNS1_25lookback_scan_determinismE0ES3_S9_PlNS6_17constant_iteratorIiNS6_11use_defaultESE_EENS6_10device_ptrIlEESH_PmS8_NS6_8equal_toIlEEEE10hipError_tPvRmT2_T3_mT4_T5_T6_T7_T8_P12ihipStream_tbENKUlT_T0_E_clISt17integral_constantIbLb0EES12_EEDaSX_SY_EUlSX_E_NS1_11comp_targetILNS1_3genE9ELNS1_11target_archE1100ELNS1_3gpuE3ELNS1_3repE0EEENS1_30default_config_static_selectorELNS0_4arch9wavefront6targetE1EEEvT1_
	.globl	_ZN7rocprim17ROCPRIM_400000_NS6detail17trampoline_kernelINS0_14default_configENS1_29reduce_by_key_config_selectorIllN6thrust23THRUST_200600_302600_NS4plusIlEEEEZZNS1_33reduce_by_key_impl_wrapped_configILNS1_25lookback_scan_determinismE0ES3_S9_PlNS6_17constant_iteratorIiNS6_11use_defaultESE_EENS6_10device_ptrIlEESH_PmS8_NS6_8equal_toIlEEEE10hipError_tPvRmT2_T3_mT4_T5_T6_T7_T8_P12ihipStream_tbENKUlT_T0_E_clISt17integral_constantIbLb0EES12_EEDaSX_SY_EUlSX_E_NS1_11comp_targetILNS1_3genE9ELNS1_11target_archE1100ELNS1_3gpuE3ELNS1_3repE0EEENS1_30default_config_static_selectorELNS0_4arch9wavefront6targetE1EEEvT1_
	.p2align	8
	.type	_ZN7rocprim17ROCPRIM_400000_NS6detail17trampoline_kernelINS0_14default_configENS1_29reduce_by_key_config_selectorIllN6thrust23THRUST_200600_302600_NS4plusIlEEEEZZNS1_33reduce_by_key_impl_wrapped_configILNS1_25lookback_scan_determinismE0ES3_S9_PlNS6_17constant_iteratorIiNS6_11use_defaultESE_EENS6_10device_ptrIlEESH_PmS8_NS6_8equal_toIlEEEE10hipError_tPvRmT2_T3_mT4_T5_T6_T7_T8_P12ihipStream_tbENKUlT_T0_E_clISt17integral_constantIbLb0EES12_EEDaSX_SY_EUlSX_E_NS1_11comp_targetILNS1_3genE9ELNS1_11target_archE1100ELNS1_3gpuE3ELNS1_3repE0EEENS1_30default_config_static_selectorELNS0_4arch9wavefront6targetE1EEEvT1_,@function
_ZN7rocprim17ROCPRIM_400000_NS6detail17trampoline_kernelINS0_14default_configENS1_29reduce_by_key_config_selectorIllN6thrust23THRUST_200600_302600_NS4plusIlEEEEZZNS1_33reduce_by_key_impl_wrapped_configILNS1_25lookback_scan_determinismE0ES3_S9_PlNS6_17constant_iteratorIiNS6_11use_defaultESE_EENS6_10device_ptrIlEESH_PmS8_NS6_8equal_toIlEEEE10hipError_tPvRmT2_T3_mT4_T5_T6_T7_T8_P12ihipStream_tbENKUlT_T0_E_clISt17integral_constantIbLb0EES12_EEDaSX_SY_EUlSX_E_NS1_11comp_targetILNS1_3genE9ELNS1_11target_archE1100ELNS1_3gpuE3ELNS1_3repE0EEENS1_30default_config_static_selectorELNS0_4arch9wavefront6targetE1EEEvT1_: ; @_ZN7rocprim17ROCPRIM_400000_NS6detail17trampoline_kernelINS0_14default_configENS1_29reduce_by_key_config_selectorIllN6thrust23THRUST_200600_302600_NS4plusIlEEEEZZNS1_33reduce_by_key_impl_wrapped_configILNS1_25lookback_scan_determinismE0ES3_S9_PlNS6_17constant_iteratorIiNS6_11use_defaultESE_EENS6_10device_ptrIlEESH_PmS8_NS6_8equal_toIlEEEE10hipError_tPvRmT2_T3_mT4_T5_T6_T7_T8_P12ihipStream_tbENKUlT_T0_E_clISt17integral_constantIbLb0EES12_EEDaSX_SY_EUlSX_E_NS1_11comp_targetILNS1_3genE9ELNS1_11target_archE1100ELNS1_3gpuE3ELNS1_3repE0EEENS1_30default_config_static_selectorELNS0_4arch9wavefront6targetE1EEEvT1_
; %bb.0:
	.section	.rodata,"a",@progbits
	.p2align	6, 0x0
	.amdhsa_kernel _ZN7rocprim17ROCPRIM_400000_NS6detail17trampoline_kernelINS0_14default_configENS1_29reduce_by_key_config_selectorIllN6thrust23THRUST_200600_302600_NS4plusIlEEEEZZNS1_33reduce_by_key_impl_wrapped_configILNS1_25lookback_scan_determinismE0ES3_S9_PlNS6_17constant_iteratorIiNS6_11use_defaultESE_EENS6_10device_ptrIlEESH_PmS8_NS6_8equal_toIlEEEE10hipError_tPvRmT2_T3_mT4_T5_T6_T7_T8_P12ihipStream_tbENKUlT_T0_E_clISt17integral_constantIbLb0EES12_EEDaSX_SY_EUlSX_E_NS1_11comp_targetILNS1_3genE9ELNS1_11target_archE1100ELNS1_3gpuE3ELNS1_3repE0EEENS1_30default_config_static_selectorELNS0_4arch9wavefront6targetE1EEEvT1_
		.amdhsa_group_segment_fixed_size 0
		.amdhsa_private_segment_fixed_size 0
		.amdhsa_kernarg_size 144
		.amdhsa_user_sgpr_count 6
		.amdhsa_user_sgpr_private_segment_buffer 1
		.amdhsa_user_sgpr_dispatch_ptr 0
		.amdhsa_user_sgpr_queue_ptr 0
		.amdhsa_user_sgpr_kernarg_segment_ptr 1
		.amdhsa_user_sgpr_dispatch_id 0
		.amdhsa_user_sgpr_flat_scratch_init 0
		.amdhsa_user_sgpr_private_segment_size 0
		.amdhsa_uses_dynamic_stack 0
		.amdhsa_system_sgpr_private_segment_wavefront_offset 0
		.amdhsa_system_sgpr_workgroup_id_x 1
		.amdhsa_system_sgpr_workgroup_id_y 0
		.amdhsa_system_sgpr_workgroup_id_z 0
		.amdhsa_system_sgpr_workgroup_info 0
		.amdhsa_system_vgpr_workitem_id 0
		.amdhsa_next_free_vgpr 1
		.amdhsa_next_free_sgpr 0
		.amdhsa_reserve_vcc 0
		.amdhsa_reserve_flat_scratch 0
		.amdhsa_float_round_mode_32 0
		.amdhsa_float_round_mode_16_64 0
		.amdhsa_float_denorm_mode_32 3
		.amdhsa_float_denorm_mode_16_64 3
		.amdhsa_dx10_clamp 1
		.amdhsa_ieee_mode 1
		.amdhsa_fp16_overflow 0
		.amdhsa_exception_fp_ieee_invalid_op 0
		.amdhsa_exception_fp_denorm_src 0
		.amdhsa_exception_fp_ieee_div_zero 0
		.amdhsa_exception_fp_ieee_overflow 0
		.amdhsa_exception_fp_ieee_underflow 0
		.amdhsa_exception_fp_ieee_inexact 0
		.amdhsa_exception_int_div_zero 0
	.end_amdhsa_kernel
	.section	.text._ZN7rocprim17ROCPRIM_400000_NS6detail17trampoline_kernelINS0_14default_configENS1_29reduce_by_key_config_selectorIllN6thrust23THRUST_200600_302600_NS4plusIlEEEEZZNS1_33reduce_by_key_impl_wrapped_configILNS1_25lookback_scan_determinismE0ES3_S9_PlNS6_17constant_iteratorIiNS6_11use_defaultESE_EENS6_10device_ptrIlEESH_PmS8_NS6_8equal_toIlEEEE10hipError_tPvRmT2_T3_mT4_T5_T6_T7_T8_P12ihipStream_tbENKUlT_T0_E_clISt17integral_constantIbLb0EES12_EEDaSX_SY_EUlSX_E_NS1_11comp_targetILNS1_3genE9ELNS1_11target_archE1100ELNS1_3gpuE3ELNS1_3repE0EEENS1_30default_config_static_selectorELNS0_4arch9wavefront6targetE1EEEvT1_,"axG",@progbits,_ZN7rocprim17ROCPRIM_400000_NS6detail17trampoline_kernelINS0_14default_configENS1_29reduce_by_key_config_selectorIllN6thrust23THRUST_200600_302600_NS4plusIlEEEEZZNS1_33reduce_by_key_impl_wrapped_configILNS1_25lookback_scan_determinismE0ES3_S9_PlNS6_17constant_iteratorIiNS6_11use_defaultESE_EENS6_10device_ptrIlEESH_PmS8_NS6_8equal_toIlEEEE10hipError_tPvRmT2_T3_mT4_T5_T6_T7_T8_P12ihipStream_tbENKUlT_T0_E_clISt17integral_constantIbLb0EES12_EEDaSX_SY_EUlSX_E_NS1_11comp_targetILNS1_3genE9ELNS1_11target_archE1100ELNS1_3gpuE3ELNS1_3repE0EEENS1_30default_config_static_selectorELNS0_4arch9wavefront6targetE1EEEvT1_,comdat
.Lfunc_end1211:
	.size	_ZN7rocprim17ROCPRIM_400000_NS6detail17trampoline_kernelINS0_14default_configENS1_29reduce_by_key_config_selectorIllN6thrust23THRUST_200600_302600_NS4plusIlEEEEZZNS1_33reduce_by_key_impl_wrapped_configILNS1_25lookback_scan_determinismE0ES3_S9_PlNS6_17constant_iteratorIiNS6_11use_defaultESE_EENS6_10device_ptrIlEESH_PmS8_NS6_8equal_toIlEEEE10hipError_tPvRmT2_T3_mT4_T5_T6_T7_T8_P12ihipStream_tbENKUlT_T0_E_clISt17integral_constantIbLb0EES12_EEDaSX_SY_EUlSX_E_NS1_11comp_targetILNS1_3genE9ELNS1_11target_archE1100ELNS1_3gpuE3ELNS1_3repE0EEENS1_30default_config_static_selectorELNS0_4arch9wavefront6targetE1EEEvT1_, .Lfunc_end1211-_ZN7rocprim17ROCPRIM_400000_NS6detail17trampoline_kernelINS0_14default_configENS1_29reduce_by_key_config_selectorIllN6thrust23THRUST_200600_302600_NS4plusIlEEEEZZNS1_33reduce_by_key_impl_wrapped_configILNS1_25lookback_scan_determinismE0ES3_S9_PlNS6_17constant_iteratorIiNS6_11use_defaultESE_EENS6_10device_ptrIlEESH_PmS8_NS6_8equal_toIlEEEE10hipError_tPvRmT2_T3_mT4_T5_T6_T7_T8_P12ihipStream_tbENKUlT_T0_E_clISt17integral_constantIbLb0EES12_EEDaSX_SY_EUlSX_E_NS1_11comp_targetILNS1_3genE9ELNS1_11target_archE1100ELNS1_3gpuE3ELNS1_3repE0EEENS1_30default_config_static_selectorELNS0_4arch9wavefront6targetE1EEEvT1_
                                        ; -- End function
	.set _ZN7rocprim17ROCPRIM_400000_NS6detail17trampoline_kernelINS0_14default_configENS1_29reduce_by_key_config_selectorIllN6thrust23THRUST_200600_302600_NS4plusIlEEEEZZNS1_33reduce_by_key_impl_wrapped_configILNS1_25lookback_scan_determinismE0ES3_S9_PlNS6_17constant_iteratorIiNS6_11use_defaultESE_EENS6_10device_ptrIlEESH_PmS8_NS6_8equal_toIlEEEE10hipError_tPvRmT2_T3_mT4_T5_T6_T7_T8_P12ihipStream_tbENKUlT_T0_E_clISt17integral_constantIbLb0EES12_EEDaSX_SY_EUlSX_E_NS1_11comp_targetILNS1_3genE9ELNS1_11target_archE1100ELNS1_3gpuE3ELNS1_3repE0EEENS1_30default_config_static_selectorELNS0_4arch9wavefront6targetE1EEEvT1_.num_vgpr, 0
	.set _ZN7rocprim17ROCPRIM_400000_NS6detail17trampoline_kernelINS0_14default_configENS1_29reduce_by_key_config_selectorIllN6thrust23THRUST_200600_302600_NS4plusIlEEEEZZNS1_33reduce_by_key_impl_wrapped_configILNS1_25lookback_scan_determinismE0ES3_S9_PlNS6_17constant_iteratorIiNS6_11use_defaultESE_EENS6_10device_ptrIlEESH_PmS8_NS6_8equal_toIlEEEE10hipError_tPvRmT2_T3_mT4_T5_T6_T7_T8_P12ihipStream_tbENKUlT_T0_E_clISt17integral_constantIbLb0EES12_EEDaSX_SY_EUlSX_E_NS1_11comp_targetILNS1_3genE9ELNS1_11target_archE1100ELNS1_3gpuE3ELNS1_3repE0EEENS1_30default_config_static_selectorELNS0_4arch9wavefront6targetE1EEEvT1_.num_agpr, 0
	.set _ZN7rocprim17ROCPRIM_400000_NS6detail17trampoline_kernelINS0_14default_configENS1_29reduce_by_key_config_selectorIllN6thrust23THRUST_200600_302600_NS4plusIlEEEEZZNS1_33reduce_by_key_impl_wrapped_configILNS1_25lookback_scan_determinismE0ES3_S9_PlNS6_17constant_iteratorIiNS6_11use_defaultESE_EENS6_10device_ptrIlEESH_PmS8_NS6_8equal_toIlEEEE10hipError_tPvRmT2_T3_mT4_T5_T6_T7_T8_P12ihipStream_tbENKUlT_T0_E_clISt17integral_constantIbLb0EES12_EEDaSX_SY_EUlSX_E_NS1_11comp_targetILNS1_3genE9ELNS1_11target_archE1100ELNS1_3gpuE3ELNS1_3repE0EEENS1_30default_config_static_selectorELNS0_4arch9wavefront6targetE1EEEvT1_.numbered_sgpr, 0
	.set _ZN7rocprim17ROCPRIM_400000_NS6detail17trampoline_kernelINS0_14default_configENS1_29reduce_by_key_config_selectorIllN6thrust23THRUST_200600_302600_NS4plusIlEEEEZZNS1_33reduce_by_key_impl_wrapped_configILNS1_25lookback_scan_determinismE0ES3_S9_PlNS6_17constant_iteratorIiNS6_11use_defaultESE_EENS6_10device_ptrIlEESH_PmS8_NS6_8equal_toIlEEEE10hipError_tPvRmT2_T3_mT4_T5_T6_T7_T8_P12ihipStream_tbENKUlT_T0_E_clISt17integral_constantIbLb0EES12_EEDaSX_SY_EUlSX_E_NS1_11comp_targetILNS1_3genE9ELNS1_11target_archE1100ELNS1_3gpuE3ELNS1_3repE0EEENS1_30default_config_static_selectorELNS0_4arch9wavefront6targetE1EEEvT1_.num_named_barrier, 0
	.set _ZN7rocprim17ROCPRIM_400000_NS6detail17trampoline_kernelINS0_14default_configENS1_29reduce_by_key_config_selectorIllN6thrust23THRUST_200600_302600_NS4plusIlEEEEZZNS1_33reduce_by_key_impl_wrapped_configILNS1_25lookback_scan_determinismE0ES3_S9_PlNS6_17constant_iteratorIiNS6_11use_defaultESE_EENS6_10device_ptrIlEESH_PmS8_NS6_8equal_toIlEEEE10hipError_tPvRmT2_T3_mT4_T5_T6_T7_T8_P12ihipStream_tbENKUlT_T0_E_clISt17integral_constantIbLb0EES12_EEDaSX_SY_EUlSX_E_NS1_11comp_targetILNS1_3genE9ELNS1_11target_archE1100ELNS1_3gpuE3ELNS1_3repE0EEENS1_30default_config_static_selectorELNS0_4arch9wavefront6targetE1EEEvT1_.private_seg_size, 0
	.set _ZN7rocprim17ROCPRIM_400000_NS6detail17trampoline_kernelINS0_14default_configENS1_29reduce_by_key_config_selectorIllN6thrust23THRUST_200600_302600_NS4plusIlEEEEZZNS1_33reduce_by_key_impl_wrapped_configILNS1_25lookback_scan_determinismE0ES3_S9_PlNS6_17constant_iteratorIiNS6_11use_defaultESE_EENS6_10device_ptrIlEESH_PmS8_NS6_8equal_toIlEEEE10hipError_tPvRmT2_T3_mT4_T5_T6_T7_T8_P12ihipStream_tbENKUlT_T0_E_clISt17integral_constantIbLb0EES12_EEDaSX_SY_EUlSX_E_NS1_11comp_targetILNS1_3genE9ELNS1_11target_archE1100ELNS1_3gpuE3ELNS1_3repE0EEENS1_30default_config_static_selectorELNS0_4arch9wavefront6targetE1EEEvT1_.uses_vcc, 0
	.set _ZN7rocprim17ROCPRIM_400000_NS6detail17trampoline_kernelINS0_14default_configENS1_29reduce_by_key_config_selectorIllN6thrust23THRUST_200600_302600_NS4plusIlEEEEZZNS1_33reduce_by_key_impl_wrapped_configILNS1_25lookback_scan_determinismE0ES3_S9_PlNS6_17constant_iteratorIiNS6_11use_defaultESE_EENS6_10device_ptrIlEESH_PmS8_NS6_8equal_toIlEEEE10hipError_tPvRmT2_T3_mT4_T5_T6_T7_T8_P12ihipStream_tbENKUlT_T0_E_clISt17integral_constantIbLb0EES12_EEDaSX_SY_EUlSX_E_NS1_11comp_targetILNS1_3genE9ELNS1_11target_archE1100ELNS1_3gpuE3ELNS1_3repE0EEENS1_30default_config_static_selectorELNS0_4arch9wavefront6targetE1EEEvT1_.uses_flat_scratch, 0
	.set _ZN7rocprim17ROCPRIM_400000_NS6detail17trampoline_kernelINS0_14default_configENS1_29reduce_by_key_config_selectorIllN6thrust23THRUST_200600_302600_NS4plusIlEEEEZZNS1_33reduce_by_key_impl_wrapped_configILNS1_25lookback_scan_determinismE0ES3_S9_PlNS6_17constant_iteratorIiNS6_11use_defaultESE_EENS6_10device_ptrIlEESH_PmS8_NS6_8equal_toIlEEEE10hipError_tPvRmT2_T3_mT4_T5_T6_T7_T8_P12ihipStream_tbENKUlT_T0_E_clISt17integral_constantIbLb0EES12_EEDaSX_SY_EUlSX_E_NS1_11comp_targetILNS1_3genE9ELNS1_11target_archE1100ELNS1_3gpuE3ELNS1_3repE0EEENS1_30default_config_static_selectorELNS0_4arch9wavefront6targetE1EEEvT1_.has_dyn_sized_stack, 0
	.set _ZN7rocprim17ROCPRIM_400000_NS6detail17trampoline_kernelINS0_14default_configENS1_29reduce_by_key_config_selectorIllN6thrust23THRUST_200600_302600_NS4plusIlEEEEZZNS1_33reduce_by_key_impl_wrapped_configILNS1_25lookback_scan_determinismE0ES3_S9_PlNS6_17constant_iteratorIiNS6_11use_defaultESE_EENS6_10device_ptrIlEESH_PmS8_NS6_8equal_toIlEEEE10hipError_tPvRmT2_T3_mT4_T5_T6_T7_T8_P12ihipStream_tbENKUlT_T0_E_clISt17integral_constantIbLb0EES12_EEDaSX_SY_EUlSX_E_NS1_11comp_targetILNS1_3genE9ELNS1_11target_archE1100ELNS1_3gpuE3ELNS1_3repE0EEENS1_30default_config_static_selectorELNS0_4arch9wavefront6targetE1EEEvT1_.has_recursion, 0
	.set _ZN7rocprim17ROCPRIM_400000_NS6detail17trampoline_kernelINS0_14default_configENS1_29reduce_by_key_config_selectorIllN6thrust23THRUST_200600_302600_NS4plusIlEEEEZZNS1_33reduce_by_key_impl_wrapped_configILNS1_25lookback_scan_determinismE0ES3_S9_PlNS6_17constant_iteratorIiNS6_11use_defaultESE_EENS6_10device_ptrIlEESH_PmS8_NS6_8equal_toIlEEEE10hipError_tPvRmT2_T3_mT4_T5_T6_T7_T8_P12ihipStream_tbENKUlT_T0_E_clISt17integral_constantIbLb0EES12_EEDaSX_SY_EUlSX_E_NS1_11comp_targetILNS1_3genE9ELNS1_11target_archE1100ELNS1_3gpuE3ELNS1_3repE0EEENS1_30default_config_static_selectorELNS0_4arch9wavefront6targetE1EEEvT1_.has_indirect_call, 0
	.section	.AMDGPU.csdata,"",@progbits
; Kernel info:
; codeLenInByte = 0
; TotalNumSgprs: 4
; NumVgprs: 0
; ScratchSize: 0
; MemoryBound: 0
; FloatMode: 240
; IeeeMode: 1
; LDSByteSize: 0 bytes/workgroup (compile time only)
; SGPRBlocks: 0
; VGPRBlocks: 0
; NumSGPRsForWavesPerEU: 4
; NumVGPRsForWavesPerEU: 1
; Occupancy: 10
; WaveLimiterHint : 0
; COMPUTE_PGM_RSRC2:SCRATCH_EN: 0
; COMPUTE_PGM_RSRC2:USER_SGPR: 6
; COMPUTE_PGM_RSRC2:TRAP_HANDLER: 0
; COMPUTE_PGM_RSRC2:TGID_X_EN: 1
; COMPUTE_PGM_RSRC2:TGID_Y_EN: 0
; COMPUTE_PGM_RSRC2:TGID_Z_EN: 0
; COMPUTE_PGM_RSRC2:TIDIG_COMP_CNT: 0
	.section	.text._ZN7rocprim17ROCPRIM_400000_NS6detail17trampoline_kernelINS0_14default_configENS1_29reduce_by_key_config_selectorIllN6thrust23THRUST_200600_302600_NS4plusIlEEEEZZNS1_33reduce_by_key_impl_wrapped_configILNS1_25lookback_scan_determinismE0ES3_S9_PlNS6_17constant_iteratorIiNS6_11use_defaultESE_EENS6_10device_ptrIlEESH_PmS8_NS6_8equal_toIlEEEE10hipError_tPvRmT2_T3_mT4_T5_T6_T7_T8_P12ihipStream_tbENKUlT_T0_E_clISt17integral_constantIbLb0EES12_EEDaSX_SY_EUlSX_E_NS1_11comp_targetILNS1_3genE8ELNS1_11target_archE1030ELNS1_3gpuE2ELNS1_3repE0EEENS1_30default_config_static_selectorELNS0_4arch9wavefront6targetE1EEEvT1_,"axG",@progbits,_ZN7rocprim17ROCPRIM_400000_NS6detail17trampoline_kernelINS0_14default_configENS1_29reduce_by_key_config_selectorIllN6thrust23THRUST_200600_302600_NS4plusIlEEEEZZNS1_33reduce_by_key_impl_wrapped_configILNS1_25lookback_scan_determinismE0ES3_S9_PlNS6_17constant_iteratorIiNS6_11use_defaultESE_EENS6_10device_ptrIlEESH_PmS8_NS6_8equal_toIlEEEE10hipError_tPvRmT2_T3_mT4_T5_T6_T7_T8_P12ihipStream_tbENKUlT_T0_E_clISt17integral_constantIbLb0EES12_EEDaSX_SY_EUlSX_E_NS1_11comp_targetILNS1_3genE8ELNS1_11target_archE1030ELNS1_3gpuE2ELNS1_3repE0EEENS1_30default_config_static_selectorELNS0_4arch9wavefront6targetE1EEEvT1_,comdat
	.protected	_ZN7rocprim17ROCPRIM_400000_NS6detail17trampoline_kernelINS0_14default_configENS1_29reduce_by_key_config_selectorIllN6thrust23THRUST_200600_302600_NS4plusIlEEEEZZNS1_33reduce_by_key_impl_wrapped_configILNS1_25lookback_scan_determinismE0ES3_S9_PlNS6_17constant_iteratorIiNS6_11use_defaultESE_EENS6_10device_ptrIlEESH_PmS8_NS6_8equal_toIlEEEE10hipError_tPvRmT2_T3_mT4_T5_T6_T7_T8_P12ihipStream_tbENKUlT_T0_E_clISt17integral_constantIbLb0EES12_EEDaSX_SY_EUlSX_E_NS1_11comp_targetILNS1_3genE8ELNS1_11target_archE1030ELNS1_3gpuE2ELNS1_3repE0EEENS1_30default_config_static_selectorELNS0_4arch9wavefront6targetE1EEEvT1_ ; -- Begin function _ZN7rocprim17ROCPRIM_400000_NS6detail17trampoline_kernelINS0_14default_configENS1_29reduce_by_key_config_selectorIllN6thrust23THRUST_200600_302600_NS4plusIlEEEEZZNS1_33reduce_by_key_impl_wrapped_configILNS1_25lookback_scan_determinismE0ES3_S9_PlNS6_17constant_iteratorIiNS6_11use_defaultESE_EENS6_10device_ptrIlEESH_PmS8_NS6_8equal_toIlEEEE10hipError_tPvRmT2_T3_mT4_T5_T6_T7_T8_P12ihipStream_tbENKUlT_T0_E_clISt17integral_constantIbLb0EES12_EEDaSX_SY_EUlSX_E_NS1_11comp_targetILNS1_3genE8ELNS1_11target_archE1030ELNS1_3gpuE2ELNS1_3repE0EEENS1_30default_config_static_selectorELNS0_4arch9wavefront6targetE1EEEvT1_
	.globl	_ZN7rocprim17ROCPRIM_400000_NS6detail17trampoline_kernelINS0_14default_configENS1_29reduce_by_key_config_selectorIllN6thrust23THRUST_200600_302600_NS4plusIlEEEEZZNS1_33reduce_by_key_impl_wrapped_configILNS1_25lookback_scan_determinismE0ES3_S9_PlNS6_17constant_iteratorIiNS6_11use_defaultESE_EENS6_10device_ptrIlEESH_PmS8_NS6_8equal_toIlEEEE10hipError_tPvRmT2_T3_mT4_T5_T6_T7_T8_P12ihipStream_tbENKUlT_T0_E_clISt17integral_constantIbLb0EES12_EEDaSX_SY_EUlSX_E_NS1_11comp_targetILNS1_3genE8ELNS1_11target_archE1030ELNS1_3gpuE2ELNS1_3repE0EEENS1_30default_config_static_selectorELNS0_4arch9wavefront6targetE1EEEvT1_
	.p2align	8
	.type	_ZN7rocprim17ROCPRIM_400000_NS6detail17trampoline_kernelINS0_14default_configENS1_29reduce_by_key_config_selectorIllN6thrust23THRUST_200600_302600_NS4plusIlEEEEZZNS1_33reduce_by_key_impl_wrapped_configILNS1_25lookback_scan_determinismE0ES3_S9_PlNS6_17constant_iteratorIiNS6_11use_defaultESE_EENS6_10device_ptrIlEESH_PmS8_NS6_8equal_toIlEEEE10hipError_tPvRmT2_T3_mT4_T5_T6_T7_T8_P12ihipStream_tbENKUlT_T0_E_clISt17integral_constantIbLb0EES12_EEDaSX_SY_EUlSX_E_NS1_11comp_targetILNS1_3genE8ELNS1_11target_archE1030ELNS1_3gpuE2ELNS1_3repE0EEENS1_30default_config_static_selectorELNS0_4arch9wavefront6targetE1EEEvT1_,@function
_ZN7rocprim17ROCPRIM_400000_NS6detail17trampoline_kernelINS0_14default_configENS1_29reduce_by_key_config_selectorIllN6thrust23THRUST_200600_302600_NS4plusIlEEEEZZNS1_33reduce_by_key_impl_wrapped_configILNS1_25lookback_scan_determinismE0ES3_S9_PlNS6_17constant_iteratorIiNS6_11use_defaultESE_EENS6_10device_ptrIlEESH_PmS8_NS6_8equal_toIlEEEE10hipError_tPvRmT2_T3_mT4_T5_T6_T7_T8_P12ihipStream_tbENKUlT_T0_E_clISt17integral_constantIbLb0EES12_EEDaSX_SY_EUlSX_E_NS1_11comp_targetILNS1_3genE8ELNS1_11target_archE1030ELNS1_3gpuE2ELNS1_3repE0EEENS1_30default_config_static_selectorELNS0_4arch9wavefront6targetE1EEEvT1_: ; @_ZN7rocprim17ROCPRIM_400000_NS6detail17trampoline_kernelINS0_14default_configENS1_29reduce_by_key_config_selectorIllN6thrust23THRUST_200600_302600_NS4plusIlEEEEZZNS1_33reduce_by_key_impl_wrapped_configILNS1_25lookback_scan_determinismE0ES3_S9_PlNS6_17constant_iteratorIiNS6_11use_defaultESE_EENS6_10device_ptrIlEESH_PmS8_NS6_8equal_toIlEEEE10hipError_tPvRmT2_T3_mT4_T5_T6_T7_T8_P12ihipStream_tbENKUlT_T0_E_clISt17integral_constantIbLb0EES12_EEDaSX_SY_EUlSX_E_NS1_11comp_targetILNS1_3genE8ELNS1_11target_archE1030ELNS1_3gpuE2ELNS1_3repE0EEENS1_30default_config_static_selectorELNS0_4arch9wavefront6targetE1EEEvT1_
; %bb.0:
	.section	.rodata,"a",@progbits
	.p2align	6, 0x0
	.amdhsa_kernel _ZN7rocprim17ROCPRIM_400000_NS6detail17trampoline_kernelINS0_14default_configENS1_29reduce_by_key_config_selectorIllN6thrust23THRUST_200600_302600_NS4plusIlEEEEZZNS1_33reduce_by_key_impl_wrapped_configILNS1_25lookback_scan_determinismE0ES3_S9_PlNS6_17constant_iteratorIiNS6_11use_defaultESE_EENS6_10device_ptrIlEESH_PmS8_NS6_8equal_toIlEEEE10hipError_tPvRmT2_T3_mT4_T5_T6_T7_T8_P12ihipStream_tbENKUlT_T0_E_clISt17integral_constantIbLb0EES12_EEDaSX_SY_EUlSX_E_NS1_11comp_targetILNS1_3genE8ELNS1_11target_archE1030ELNS1_3gpuE2ELNS1_3repE0EEENS1_30default_config_static_selectorELNS0_4arch9wavefront6targetE1EEEvT1_
		.amdhsa_group_segment_fixed_size 0
		.amdhsa_private_segment_fixed_size 0
		.amdhsa_kernarg_size 144
		.amdhsa_user_sgpr_count 6
		.amdhsa_user_sgpr_private_segment_buffer 1
		.amdhsa_user_sgpr_dispatch_ptr 0
		.amdhsa_user_sgpr_queue_ptr 0
		.amdhsa_user_sgpr_kernarg_segment_ptr 1
		.amdhsa_user_sgpr_dispatch_id 0
		.amdhsa_user_sgpr_flat_scratch_init 0
		.amdhsa_user_sgpr_private_segment_size 0
		.amdhsa_uses_dynamic_stack 0
		.amdhsa_system_sgpr_private_segment_wavefront_offset 0
		.amdhsa_system_sgpr_workgroup_id_x 1
		.amdhsa_system_sgpr_workgroup_id_y 0
		.amdhsa_system_sgpr_workgroup_id_z 0
		.amdhsa_system_sgpr_workgroup_info 0
		.amdhsa_system_vgpr_workitem_id 0
		.amdhsa_next_free_vgpr 1
		.amdhsa_next_free_sgpr 0
		.amdhsa_reserve_vcc 0
		.amdhsa_reserve_flat_scratch 0
		.amdhsa_float_round_mode_32 0
		.amdhsa_float_round_mode_16_64 0
		.amdhsa_float_denorm_mode_32 3
		.amdhsa_float_denorm_mode_16_64 3
		.amdhsa_dx10_clamp 1
		.amdhsa_ieee_mode 1
		.amdhsa_fp16_overflow 0
		.amdhsa_exception_fp_ieee_invalid_op 0
		.amdhsa_exception_fp_denorm_src 0
		.amdhsa_exception_fp_ieee_div_zero 0
		.amdhsa_exception_fp_ieee_overflow 0
		.amdhsa_exception_fp_ieee_underflow 0
		.amdhsa_exception_fp_ieee_inexact 0
		.amdhsa_exception_int_div_zero 0
	.end_amdhsa_kernel
	.section	.text._ZN7rocprim17ROCPRIM_400000_NS6detail17trampoline_kernelINS0_14default_configENS1_29reduce_by_key_config_selectorIllN6thrust23THRUST_200600_302600_NS4plusIlEEEEZZNS1_33reduce_by_key_impl_wrapped_configILNS1_25lookback_scan_determinismE0ES3_S9_PlNS6_17constant_iteratorIiNS6_11use_defaultESE_EENS6_10device_ptrIlEESH_PmS8_NS6_8equal_toIlEEEE10hipError_tPvRmT2_T3_mT4_T5_T6_T7_T8_P12ihipStream_tbENKUlT_T0_E_clISt17integral_constantIbLb0EES12_EEDaSX_SY_EUlSX_E_NS1_11comp_targetILNS1_3genE8ELNS1_11target_archE1030ELNS1_3gpuE2ELNS1_3repE0EEENS1_30default_config_static_selectorELNS0_4arch9wavefront6targetE1EEEvT1_,"axG",@progbits,_ZN7rocprim17ROCPRIM_400000_NS6detail17trampoline_kernelINS0_14default_configENS1_29reduce_by_key_config_selectorIllN6thrust23THRUST_200600_302600_NS4plusIlEEEEZZNS1_33reduce_by_key_impl_wrapped_configILNS1_25lookback_scan_determinismE0ES3_S9_PlNS6_17constant_iteratorIiNS6_11use_defaultESE_EENS6_10device_ptrIlEESH_PmS8_NS6_8equal_toIlEEEE10hipError_tPvRmT2_T3_mT4_T5_T6_T7_T8_P12ihipStream_tbENKUlT_T0_E_clISt17integral_constantIbLb0EES12_EEDaSX_SY_EUlSX_E_NS1_11comp_targetILNS1_3genE8ELNS1_11target_archE1030ELNS1_3gpuE2ELNS1_3repE0EEENS1_30default_config_static_selectorELNS0_4arch9wavefront6targetE1EEEvT1_,comdat
.Lfunc_end1212:
	.size	_ZN7rocprim17ROCPRIM_400000_NS6detail17trampoline_kernelINS0_14default_configENS1_29reduce_by_key_config_selectorIllN6thrust23THRUST_200600_302600_NS4plusIlEEEEZZNS1_33reduce_by_key_impl_wrapped_configILNS1_25lookback_scan_determinismE0ES3_S9_PlNS6_17constant_iteratorIiNS6_11use_defaultESE_EENS6_10device_ptrIlEESH_PmS8_NS6_8equal_toIlEEEE10hipError_tPvRmT2_T3_mT4_T5_T6_T7_T8_P12ihipStream_tbENKUlT_T0_E_clISt17integral_constantIbLb0EES12_EEDaSX_SY_EUlSX_E_NS1_11comp_targetILNS1_3genE8ELNS1_11target_archE1030ELNS1_3gpuE2ELNS1_3repE0EEENS1_30default_config_static_selectorELNS0_4arch9wavefront6targetE1EEEvT1_, .Lfunc_end1212-_ZN7rocprim17ROCPRIM_400000_NS6detail17trampoline_kernelINS0_14default_configENS1_29reduce_by_key_config_selectorIllN6thrust23THRUST_200600_302600_NS4plusIlEEEEZZNS1_33reduce_by_key_impl_wrapped_configILNS1_25lookback_scan_determinismE0ES3_S9_PlNS6_17constant_iteratorIiNS6_11use_defaultESE_EENS6_10device_ptrIlEESH_PmS8_NS6_8equal_toIlEEEE10hipError_tPvRmT2_T3_mT4_T5_T6_T7_T8_P12ihipStream_tbENKUlT_T0_E_clISt17integral_constantIbLb0EES12_EEDaSX_SY_EUlSX_E_NS1_11comp_targetILNS1_3genE8ELNS1_11target_archE1030ELNS1_3gpuE2ELNS1_3repE0EEENS1_30default_config_static_selectorELNS0_4arch9wavefront6targetE1EEEvT1_
                                        ; -- End function
	.set _ZN7rocprim17ROCPRIM_400000_NS6detail17trampoline_kernelINS0_14default_configENS1_29reduce_by_key_config_selectorIllN6thrust23THRUST_200600_302600_NS4plusIlEEEEZZNS1_33reduce_by_key_impl_wrapped_configILNS1_25lookback_scan_determinismE0ES3_S9_PlNS6_17constant_iteratorIiNS6_11use_defaultESE_EENS6_10device_ptrIlEESH_PmS8_NS6_8equal_toIlEEEE10hipError_tPvRmT2_T3_mT4_T5_T6_T7_T8_P12ihipStream_tbENKUlT_T0_E_clISt17integral_constantIbLb0EES12_EEDaSX_SY_EUlSX_E_NS1_11comp_targetILNS1_3genE8ELNS1_11target_archE1030ELNS1_3gpuE2ELNS1_3repE0EEENS1_30default_config_static_selectorELNS0_4arch9wavefront6targetE1EEEvT1_.num_vgpr, 0
	.set _ZN7rocprim17ROCPRIM_400000_NS6detail17trampoline_kernelINS0_14default_configENS1_29reduce_by_key_config_selectorIllN6thrust23THRUST_200600_302600_NS4plusIlEEEEZZNS1_33reduce_by_key_impl_wrapped_configILNS1_25lookback_scan_determinismE0ES3_S9_PlNS6_17constant_iteratorIiNS6_11use_defaultESE_EENS6_10device_ptrIlEESH_PmS8_NS6_8equal_toIlEEEE10hipError_tPvRmT2_T3_mT4_T5_T6_T7_T8_P12ihipStream_tbENKUlT_T0_E_clISt17integral_constantIbLb0EES12_EEDaSX_SY_EUlSX_E_NS1_11comp_targetILNS1_3genE8ELNS1_11target_archE1030ELNS1_3gpuE2ELNS1_3repE0EEENS1_30default_config_static_selectorELNS0_4arch9wavefront6targetE1EEEvT1_.num_agpr, 0
	.set _ZN7rocprim17ROCPRIM_400000_NS6detail17trampoline_kernelINS0_14default_configENS1_29reduce_by_key_config_selectorIllN6thrust23THRUST_200600_302600_NS4plusIlEEEEZZNS1_33reduce_by_key_impl_wrapped_configILNS1_25lookback_scan_determinismE0ES3_S9_PlNS6_17constant_iteratorIiNS6_11use_defaultESE_EENS6_10device_ptrIlEESH_PmS8_NS6_8equal_toIlEEEE10hipError_tPvRmT2_T3_mT4_T5_T6_T7_T8_P12ihipStream_tbENKUlT_T0_E_clISt17integral_constantIbLb0EES12_EEDaSX_SY_EUlSX_E_NS1_11comp_targetILNS1_3genE8ELNS1_11target_archE1030ELNS1_3gpuE2ELNS1_3repE0EEENS1_30default_config_static_selectorELNS0_4arch9wavefront6targetE1EEEvT1_.numbered_sgpr, 0
	.set _ZN7rocprim17ROCPRIM_400000_NS6detail17trampoline_kernelINS0_14default_configENS1_29reduce_by_key_config_selectorIllN6thrust23THRUST_200600_302600_NS4plusIlEEEEZZNS1_33reduce_by_key_impl_wrapped_configILNS1_25lookback_scan_determinismE0ES3_S9_PlNS6_17constant_iteratorIiNS6_11use_defaultESE_EENS6_10device_ptrIlEESH_PmS8_NS6_8equal_toIlEEEE10hipError_tPvRmT2_T3_mT4_T5_T6_T7_T8_P12ihipStream_tbENKUlT_T0_E_clISt17integral_constantIbLb0EES12_EEDaSX_SY_EUlSX_E_NS1_11comp_targetILNS1_3genE8ELNS1_11target_archE1030ELNS1_3gpuE2ELNS1_3repE0EEENS1_30default_config_static_selectorELNS0_4arch9wavefront6targetE1EEEvT1_.num_named_barrier, 0
	.set _ZN7rocprim17ROCPRIM_400000_NS6detail17trampoline_kernelINS0_14default_configENS1_29reduce_by_key_config_selectorIllN6thrust23THRUST_200600_302600_NS4plusIlEEEEZZNS1_33reduce_by_key_impl_wrapped_configILNS1_25lookback_scan_determinismE0ES3_S9_PlNS6_17constant_iteratorIiNS6_11use_defaultESE_EENS6_10device_ptrIlEESH_PmS8_NS6_8equal_toIlEEEE10hipError_tPvRmT2_T3_mT4_T5_T6_T7_T8_P12ihipStream_tbENKUlT_T0_E_clISt17integral_constantIbLb0EES12_EEDaSX_SY_EUlSX_E_NS1_11comp_targetILNS1_3genE8ELNS1_11target_archE1030ELNS1_3gpuE2ELNS1_3repE0EEENS1_30default_config_static_selectorELNS0_4arch9wavefront6targetE1EEEvT1_.private_seg_size, 0
	.set _ZN7rocprim17ROCPRIM_400000_NS6detail17trampoline_kernelINS0_14default_configENS1_29reduce_by_key_config_selectorIllN6thrust23THRUST_200600_302600_NS4plusIlEEEEZZNS1_33reduce_by_key_impl_wrapped_configILNS1_25lookback_scan_determinismE0ES3_S9_PlNS6_17constant_iteratorIiNS6_11use_defaultESE_EENS6_10device_ptrIlEESH_PmS8_NS6_8equal_toIlEEEE10hipError_tPvRmT2_T3_mT4_T5_T6_T7_T8_P12ihipStream_tbENKUlT_T0_E_clISt17integral_constantIbLb0EES12_EEDaSX_SY_EUlSX_E_NS1_11comp_targetILNS1_3genE8ELNS1_11target_archE1030ELNS1_3gpuE2ELNS1_3repE0EEENS1_30default_config_static_selectorELNS0_4arch9wavefront6targetE1EEEvT1_.uses_vcc, 0
	.set _ZN7rocprim17ROCPRIM_400000_NS6detail17trampoline_kernelINS0_14default_configENS1_29reduce_by_key_config_selectorIllN6thrust23THRUST_200600_302600_NS4plusIlEEEEZZNS1_33reduce_by_key_impl_wrapped_configILNS1_25lookback_scan_determinismE0ES3_S9_PlNS6_17constant_iteratorIiNS6_11use_defaultESE_EENS6_10device_ptrIlEESH_PmS8_NS6_8equal_toIlEEEE10hipError_tPvRmT2_T3_mT4_T5_T6_T7_T8_P12ihipStream_tbENKUlT_T0_E_clISt17integral_constantIbLb0EES12_EEDaSX_SY_EUlSX_E_NS1_11comp_targetILNS1_3genE8ELNS1_11target_archE1030ELNS1_3gpuE2ELNS1_3repE0EEENS1_30default_config_static_selectorELNS0_4arch9wavefront6targetE1EEEvT1_.uses_flat_scratch, 0
	.set _ZN7rocprim17ROCPRIM_400000_NS6detail17trampoline_kernelINS0_14default_configENS1_29reduce_by_key_config_selectorIllN6thrust23THRUST_200600_302600_NS4plusIlEEEEZZNS1_33reduce_by_key_impl_wrapped_configILNS1_25lookback_scan_determinismE0ES3_S9_PlNS6_17constant_iteratorIiNS6_11use_defaultESE_EENS6_10device_ptrIlEESH_PmS8_NS6_8equal_toIlEEEE10hipError_tPvRmT2_T3_mT4_T5_T6_T7_T8_P12ihipStream_tbENKUlT_T0_E_clISt17integral_constantIbLb0EES12_EEDaSX_SY_EUlSX_E_NS1_11comp_targetILNS1_3genE8ELNS1_11target_archE1030ELNS1_3gpuE2ELNS1_3repE0EEENS1_30default_config_static_selectorELNS0_4arch9wavefront6targetE1EEEvT1_.has_dyn_sized_stack, 0
	.set _ZN7rocprim17ROCPRIM_400000_NS6detail17trampoline_kernelINS0_14default_configENS1_29reduce_by_key_config_selectorIllN6thrust23THRUST_200600_302600_NS4plusIlEEEEZZNS1_33reduce_by_key_impl_wrapped_configILNS1_25lookback_scan_determinismE0ES3_S9_PlNS6_17constant_iteratorIiNS6_11use_defaultESE_EENS6_10device_ptrIlEESH_PmS8_NS6_8equal_toIlEEEE10hipError_tPvRmT2_T3_mT4_T5_T6_T7_T8_P12ihipStream_tbENKUlT_T0_E_clISt17integral_constantIbLb0EES12_EEDaSX_SY_EUlSX_E_NS1_11comp_targetILNS1_3genE8ELNS1_11target_archE1030ELNS1_3gpuE2ELNS1_3repE0EEENS1_30default_config_static_selectorELNS0_4arch9wavefront6targetE1EEEvT1_.has_recursion, 0
	.set _ZN7rocprim17ROCPRIM_400000_NS6detail17trampoline_kernelINS0_14default_configENS1_29reduce_by_key_config_selectorIllN6thrust23THRUST_200600_302600_NS4plusIlEEEEZZNS1_33reduce_by_key_impl_wrapped_configILNS1_25lookback_scan_determinismE0ES3_S9_PlNS6_17constant_iteratorIiNS6_11use_defaultESE_EENS6_10device_ptrIlEESH_PmS8_NS6_8equal_toIlEEEE10hipError_tPvRmT2_T3_mT4_T5_T6_T7_T8_P12ihipStream_tbENKUlT_T0_E_clISt17integral_constantIbLb0EES12_EEDaSX_SY_EUlSX_E_NS1_11comp_targetILNS1_3genE8ELNS1_11target_archE1030ELNS1_3gpuE2ELNS1_3repE0EEENS1_30default_config_static_selectorELNS0_4arch9wavefront6targetE1EEEvT1_.has_indirect_call, 0
	.section	.AMDGPU.csdata,"",@progbits
; Kernel info:
; codeLenInByte = 0
; TotalNumSgprs: 4
; NumVgprs: 0
; ScratchSize: 0
; MemoryBound: 0
; FloatMode: 240
; IeeeMode: 1
; LDSByteSize: 0 bytes/workgroup (compile time only)
; SGPRBlocks: 0
; VGPRBlocks: 0
; NumSGPRsForWavesPerEU: 4
; NumVGPRsForWavesPerEU: 1
; Occupancy: 10
; WaveLimiterHint : 0
; COMPUTE_PGM_RSRC2:SCRATCH_EN: 0
; COMPUTE_PGM_RSRC2:USER_SGPR: 6
; COMPUTE_PGM_RSRC2:TRAP_HANDLER: 0
; COMPUTE_PGM_RSRC2:TGID_X_EN: 1
; COMPUTE_PGM_RSRC2:TGID_Y_EN: 0
; COMPUTE_PGM_RSRC2:TGID_Z_EN: 0
; COMPUTE_PGM_RSRC2:TIDIG_COMP_CNT: 0
	.section	.text._ZN7rocprim17ROCPRIM_400000_NS6detail17trampoline_kernelINS0_14default_configENS1_29reduce_by_key_config_selectorIllN6thrust23THRUST_200600_302600_NS4plusIlEEEEZZNS1_33reduce_by_key_impl_wrapped_configILNS1_25lookback_scan_determinismE0ES3_S9_PlNS6_17constant_iteratorIiNS6_11use_defaultESE_EENS6_10device_ptrIlEESH_PmS8_NS6_8equal_toIlEEEE10hipError_tPvRmT2_T3_mT4_T5_T6_T7_T8_P12ihipStream_tbENKUlT_T0_E_clISt17integral_constantIbLb1EES12_EEDaSX_SY_EUlSX_E_NS1_11comp_targetILNS1_3genE0ELNS1_11target_archE4294967295ELNS1_3gpuE0ELNS1_3repE0EEENS1_30default_config_static_selectorELNS0_4arch9wavefront6targetE1EEEvT1_,"axG",@progbits,_ZN7rocprim17ROCPRIM_400000_NS6detail17trampoline_kernelINS0_14default_configENS1_29reduce_by_key_config_selectorIllN6thrust23THRUST_200600_302600_NS4plusIlEEEEZZNS1_33reduce_by_key_impl_wrapped_configILNS1_25lookback_scan_determinismE0ES3_S9_PlNS6_17constant_iteratorIiNS6_11use_defaultESE_EENS6_10device_ptrIlEESH_PmS8_NS6_8equal_toIlEEEE10hipError_tPvRmT2_T3_mT4_T5_T6_T7_T8_P12ihipStream_tbENKUlT_T0_E_clISt17integral_constantIbLb1EES12_EEDaSX_SY_EUlSX_E_NS1_11comp_targetILNS1_3genE0ELNS1_11target_archE4294967295ELNS1_3gpuE0ELNS1_3repE0EEENS1_30default_config_static_selectorELNS0_4arch9wavefront6targetE1EEEvT1_,comdat
	.protected	_ZN7rocprim17ROCPRIM_400000_NS6detail17trampoline_kernelINS0_14default_configENS1_29reduce_by_key_config_selectorIllN6thrust23THRUST_200600_302600_NS4plusIlEEEEZZNS1_33reduce_by_key_impl_wrapped_configILNS1_25lookback_scan_determinismE0ES3_S9_PlNS6_17constant_iteratorIiNS6_11use_defaultESE_EENS6_10device_ptrIlEESH_PmS8_NS6_8equal_toIlEEEE10hipError_tPvRmT2_T3_mT4_T5_T6_T7_T8_P12ihipStream_tbENKUlT_T0_E_clISt17integral_constantIbLb1EES12_EEDaSX_SY_EUlSX_E_NS1_11comp_targetILNS1_3genE0ELNS1_11target_archE4294967295ELNS1_3gpuE0ELNS1_3repE0EEENS1_30default_config_static_selectorELNS0_4arch9wavefront6targetE1EEEvT1_ ; -- Begin function _ZN7rocprim17ROCPRIM_400000_NS6detail17trampoline_kernelINS0_14default_configENS1_29reduce_by_key_config_selectorIllN6thrust23THRUST_200600_302600_NS4plusIlEEEEZZNS1_33reduce_by_key_impl_wrapped_configILNS1_25lookback_scan_determinismE0ES3_S9_PlNS6_17constant_iteratorIiNS6_11use_defaultESE_EENS6_10device_ptrIlEESH_PmS8_NS6_8equal_toIlEEEE10hipError_tPvRmT2_T3_mT4_T5_T6_T7_T8_P12ihipStream_tbENKUlT_T0_E_clISt17integral_constantIbLb1EES12_EEDaSX_SY_EUlSX_E_NS1_11comp_targetILNS1_3genE0ELNS1_11target_archE4294967295ELNS1_3gpuE0ELNS1_3repE0EEENS1_30default_config_static_selectorELNS0_4arch9wavefront6targetE1EEEvT1_
	.globl	_ZN7rocprim17ROCPRIM_400000_NS6detail17trampoline_kernelINS0_14default_configENS1_29reduce_by_key_config_selectorIllN6thrust23THRUST_200600_302600_NS4plusIlEEEEZZNS1_33reduce_by_key_impl_wrapped_configILNS1_25lookback_scan_determinismE0ES3_S9_PlNS6_17constant_iteratorIiNS6_11use_defaultESE_EENS6_10device_ptrIlEESH_PmS8_NS6_8equal_toIlEEEE10hipError_tPvRmT2_T3_mT4_T5_T6_T7_T8_P12ihipStream_tbENKUlT_T0_E_clISt17integral_constantIbLb1EES12_EEDaSX_SY_EUlSX_E_NS1_11comp_targetILNS1_3genE0ELNS1_11target_archE4294967295ELNS1_3gpuE0ELNS1_3repE0EEENS1_30default_config_static_selectorELNS0_4arch9wavefront6targetE1EEEvT1_
	.p2align	8
	.type	_ZN7rocprim17ROCPRIM_400000_NS6detail17trampoline_kernelINS0_14default_configENS1_29reduce_by_key_config_selectorIllN6thrust23THRUST_200600_302600_NS4plusIlEEEEZZNS1_33reduce_by_key_impl_wrapped_configILNS1_25lookback_scan_determinismE0ES3_S9_PlNS6_17constant_iteratorIiNS6_11use_defaultESE_EENS6_10device_ptrIlEESH_PmS8_NS6_8equal_toIlEEEE10hipError_tPvRmT2_T3_mT4_T5_T6_T7_T8_P12ihipStream_tbENKUlT_T0_E_clISt17integral_constantIbLb1EES12_EEDaSX_SY_EUlSX_E_NS1_11comp_targetILNS1_3genE0ELNS1_11target_archE4294967295ELNS1_3gpuE0ELNS1_3repE0EEENS1_30default_config_static_selectorELNS0_4arch9wavefront6targetE1EEEvT1_,@function
_ZN7rocprim17ROCPRIM_400000_NS6detail17trampoline_kernelINS0_14default_configENS1_29reduce_by_key_config_selectorIllN6thrust23THRUST_200600_302600_NS4plusIlEEEEZZNS1_33reduce_by_key_impl_wrapped_configILNS1_25lookback_scan_determinismE0ES3_S9_PlNS6_17constant_iteratorIiNS6_11use_defaultESE_EENS6_10device_ptrIlEESH_PmS8_NS6_8equal_toIlEEEE10hipError_tPvRmT2_T3_mT4_T5_T6_T7_T8_P12ihipStream_tbENKUlT_T0_E_clISt17integral_constantIbLb1EES12_EEDaSX_SY_EUlSX_E_NS1_11comp_targetILNS1_3genE0ELNS1_11target_archE4294967295ELNS1_3gpuE0ELNS1_3repE0EEENS1_30default_config_static_selectorELNS0_4arch9wavefront6targetE1EEEvT1_: ; @_ZN7rocprim17ROCPRIM_400000_NS6detail17trampoline_kernelINS0_14default_configENS1_29reduce_by_key_config_selectorIllN6thrust23THRUST_200600_302600_NS4plusIlEEEEZZNS1_33reduce_by_key_impl_wrapped_configILNS1_25lookback_scan_determinismE0ES3_S9_PlNS6_17constant_iteratorIiNS6_11use_defaultESE_EENS6_10device_ptrIlEESH_PmS8_NS6_8equal_toIlEEEE10hipError_tPvRmT2_T3_mT4_T5_T6_T7_T8_P12ihipStream_tbENKUlT_T0_E_clISt17integral_constantIbLb1EES12_EEDaSX_SY_EUlSX_E_NS1_11comp_targetILNS1_3genE0ELNS1_11target_archE4294967295ELNS1_3gpuE0ELNS1_3repE0EEENS1_30default_config_static_selectorELNS0_4arch9wavefront6targetE1EEEvT1_
; %bb.0:
	.section	.rodata,"a",@progbits
	.p2align	6, 0x0
	.amdhsa_kernel _ZN7rocprim17ROCPRIM_400000_NS6detail17trampoline_kernelINS0_14default_configENS1_29reduce_by_key_config_selectorIllN6thrust23THRUST_200600_302600_NS4plusIlEEEEZZNS1_33reduce_by_key_impl_wrapped_configILNS1_25lookback_scan_determinismE0ES3_S9_PlNS6_17constant_iteratorIiNS6_11use_defaultESE_EENS6_10device_ptrIlEESH_PmS8_NS6_8equal_toIlEEEE10hipError_tPvRmT2_T3_mT4_T5_T6_T7_T8_P12ihipStream_tbENKUlT_T0_E_clISt17integral_constantIbLb1EES12_EEDaSX_SY_EUlSX_E_NS1_11comp_targetILNS1_3genE0ELNS1_11target_archE4294967295ELNS1_3gpuE0ELNS1_3repE0EEENS1_30default_config_static_selectorELNS0_4arch9wavefront6targetE1EEEvT1_
		.amdhsa_group_segment_fixed_size 0
		.amdhsa_private_segment_fixed_size 0
		.amdhsa_kernarg_size 144
		.amdhsa_user_sgpr_count 6
		.amdhsa_user_sgpr_private_segment_buffer 1
		.amdhsa_user_sgpr_dispatch_ptr 0
		.amdhsa_user_sgpr_queue_ptr 0
		.amdhsa_user_sgpr_kernarg_segment_ptr 1
		.amdhsa_user_sgpr_dispatch_id 0
		.amdhsa_user_sgpr_flat_scratch_init 0
		.amdhsa_user_sgpr_private_segment_size 0
		.amdhsa_uses_dynamic_stack 0
		.amdhsa_system_sgpr_private_segment_wavefront_offset 0
		.amdhsa_system_sgpr_workgroup_id_x 1
		.amdhsa_system_sgpr_workgroup_id_y 0
		.amdhsa_system_sgpr_workgroup_id_z 0
		.amdhsa_system_sgpr_workgroup_info 0
		.amdhsa_system_vgpr_workitem_id 0
		.amdhsa_next_free_vgpr 1
		.amdhsa_next_free_sgpr 0
		.amdhsa_reserve_vcc 0
		.amdhsa_reserve_flat_scratch 0
		.amdhsa_float_round_mode_32 0
		.amdhsa_float_round_mode_16_64 0
		.amdhsa_float_denorm_mode_32 3
		.amdhsa_float_denorm_mode_16_64 3
		.amdhsa_dx10_clamp 1
		.amdhsa_ieee_mode 1
		.amdhsa_fp16_overflow 0
		.amdhsa_exception_fp_ieee_invalid_op 0
		.amdhsa_exception_fp_denorm_src 0
		.amdhsa_exception_fp_ieee_div_zero 0
		.amdhsa_exception_fp_ieee_overflow 0
		.amdhsa_exception_fp_ieee_underflow 0
		.amdhsa_exception_fp_ieee_inexact 0
		.amdhsa_exception_int_div_zero 0
	.end_amdhsa_kernel
	.section	.text._ZN7rocprim17ROCPRIM_400000_NS6detail17trampoline_kernelINS0_14default_configENS1_29reduce_by_key_config_selectorIllN6thrust23THRUST_200600_302600_NS4plusIlEEEEZZNS1_33reduce_by_key_impl_wrapped_configILNS1_25lookback_scan_determinismE0ES3_S9_PlNS6_17constant_iteratorIiNS6_11use_defaultESE_EENS6_10device_ptrIlEESH_PmS8_NS6_8equal_toIlEEEE10hipError_tPvRmT2_T3_mT4_T5_T6_T7_T8_P12ihipStream_tbENKUlT_T0_E_clISt17integral_constantIbLb1EES12_EEDaSX_SY_EUlSX_E_NS1_11comp_targetILNS1_3genE0ELNS1_11target_archE4294967295ELNS1_3gpuE0ELNS1_3repE0EEENS1_30default_config_static_selectorELNS0_4arch9wavefront6targetE1EEEvT1_,"axG",@progbits,_ZN7rocprim17ROCPRIM_400000_NS6detail17trampoline_kernelINS0_14default_configENS1_29reduce_by_key_config_selectorIllN6thrust23THRUST_200600_302600_NS4plusIlEEEEZZNS1_33reduce_by_key_impl_wrapped_configILNS1_25lookback_scan_determinismE0ES3_S9_PlNS6_17constant_iteratorIiNS6_11use_defaultESE_EENS6_10device_ptrIlEESH_PmS8_NS6_8equal_toIlEEEE10hipError_tPvRmT2_T3_mT4_T5_T6_T7_T8_P12ihipStream_tbENKUlT_T0_E_clISt17integral_constantIbLb1EES12_EEDaSX_SY_EUlSX_E_NS1_11comp_targetILNS1_3genE0ELNS1_11target_archE4294967295ELNS1_3gpuE0ELNS1_3repE0EEENS1_30default_config_static_selectorELNS0_4arch9wavefront6targetE1EEEvT1_,comdat
.Lfunc_end1213:
	.size	_ZN7rocprim17ROCPRIM_400000_NS6detail17trampoline_kernelINS0_14default_configENS1_29reduce_by_key_config_selectorIllN6thrust23THRUST_200600_302600_NS4plusIlEEEEZZNS1_33reduce_by_key_impl_wrapped_configILNS1_25lookback_scan_determinismE0ES3_S9_PlNS6_17constant_iteratorIiNS6_11use_defaultESE_EENS6_10device_ptrIlEESH_PmS8_NS6_8equal_toIlEEEE10hipError_tPvRmT2_T3_mT4_T5_T6_T7_T8_P12ihipStream_tbENKUlT_T0_E_clISt17integral_constantIbLb1EES12_EEDaSX_SY_EUlSX_E_NS1_11comp_targetILNS1_3genE0ELNS1_11target_archE4294967295ELNS1_3gpuE0ELNS1_3repE0EEENS1_30default_config_static_selectorELNS0_4arch9wavefront6targetE1EEEvT1_, .Lfunc_end1213-_ZN7rocprim17ROCPRIM_400000_NS6detail17trampoline_kernelINS0_14default_configENS1_29reduce_by_key_config_selectorIllN6thrust23THRUST_200600_302600_NS4plusIlEEEEZZNS1_33reduce_by_key_impl_wrapped_configILNS1_25lookback_scan_determinismE0ES3_S9_PlNS6_17constant_iteratorIiNS6_11use_defaultESE_EENS6_10device_ptrIlEESH_PmS8_NS6_8equal_toIlEEEE10hipError_tPvRmT2_T3_mT4_T5_T6_T7_T8_P12ihipStream_tbENKUlT_T0_E_clISt17integral_constantIbLb1EES12_EEDaSX_SY_EUlSX_E_NS1_11comp_targetILNS1_3genE0ELNS1_11target_archE4294967295ELNS1_3gpuE0ELNS1_3repE0EEENS1_30default_config_static_selectorELNS0_4arch9wavefront6targetE1EEEvT1_
                                        ; -- End function
	.set _ZN7rocprim17ROCPRIM_400000_NS6detail17trampoline_kernelINS0_14default_configENS1_29reduce_by_key_config_selectorIllN6thrust23THRUST_200600_302600_NS4plusIlEEEEZZNS1_33reduce_by_key_impl_wrapped_configILNS1_25lookback_scan_determinismE0ES3_S9_PlNS6_17constant_iteratorIiNS6_11use_defaultESE_EENS6_10device_ptrIlEESH_PmS8_NS6_8equal_toIlEEEE10hipError_tPvRmT2_T3_mT4_T5_T6_T7_T8_P12ihipStream_tbENKUlT_T0_E_clISt17integral_constantIbLb1EES12_EEDaSX_SY_EUlSX_E_NS1_11comp_targetILNS1_3genE0ELNS1_11target_archE4294967295ELNS1_3gpuE0ELNS1_3repE0EEENS1_30default_config_static_selectorELNS0_4arch9wavefront6targetE1EEEvT1_.num_vgpr, 0
	.set _ZN7rocprim17ROCPRIM_400000_NS6detail17trampoline_kernelINS0_14default_configENS1_29reduce_by_key_config_selectorIllN6thrust23THRUST_200600_302600_NS4plusIlEEEEZZNS1_33reduce_by_key_impl_wrapped_configILNS1_25lookback_scan_determinismE0ES3_S9_PlNS6_17constant_iteratorIiNS6_11use_defaultESE_EENS6_10device_ptrIlEESH_PmS8_NS6_8equal_toIlEEEE10hipError_tPvRmT2_T3_mT4_T5_T6_T7_T8_P12ihipStream_tbENKUlT_T0_E_clISt17integral_constantIbLb1EES12_EEDaSX_SY_EUlSX_E_NS1_11comp_targetILNS1_3genE0ELNS1_11target_archE4294967295ELNS1_3gpuE0ELNS1_3repE0EEENS1_30default_config_static_selectorELNS0_4arch9wavefront6targetE1EEEvT1_.num_agpr, 0
	.set _ZN7rocprim17ROCPRIM_400000_NS6detail17trampoline_kernelINS0_14default_configENS1_29reduce_by_key_config_selectorIllN6thrust23THRUST_200600_302600_NS4plusIlEEEEZZNS1_33reduce_by_key_impl_wrapped_configILNS1_25lookback_scan_determinismE0ES3_S9_PlNS6_17constant_iteratorIiNS6_11use_defaultESE_EENS6_10device_ptrIlEESH_PmS8_NS6_8equal_toIlEEEE10hipError_tPvRmT2_T3_mT4_T5_T6_T7_T8_P12ihipStream_tbENKUlT_T0_E_clISt17integral_constantIbLb1EES12_EEDaSX_SY_EUlSX_E_NS1_11comp_targetILNS1_3genE0ELNS1_11target_archE4294967295ELNS1_3gpuE0ELNS1_3repE0EEENS1_30default_config_static_selectorELNS0_4arch9wavefront6targetE1EEEvT1_.numbered_sgpr, 0
	.set _ZN7rocprim17ROCPRIM_400000_NS6detail17trampoline_kernelINS0_14default_configENS1_29reduce_by_key_config_selectorIllN6thrust23THRUST_200600_302600_NS4plusIlEEEEZZNS1_33reduce_by_key_impl_wrapped_configILNS1_25lookback_scan_determinismE0ES3_S9_PlNS6_17constant_iteratorIiNS6_11use_defaultESE_EENS6_10device_ptrIlEESH_PmS8_NS6_8equal_toIlEEEE10hipError_tPvRmT2_T3_mT4_T5_T6_T7_T8_P12ihipStream_tbENKUlT_T0_E_clISt17integral_constantIbLb1EES12_EEDaSX_SY_EUlSX_E_NS1_11comp_targetILNS1_3genE0ELNS1_11target_archE4294967295ELNS1_3gpuE0ELNS1_3repE0EEENS1_30default_config_static_selectorELNS0_4arch9wavefront6targetE1EEEvT1_.num_named_barrier, 0
	.set _ZN7rocprim17ROCPRIM_400000_NS6detail17trampoline_kernelINS0_14default_configENS1_29reduce_by_key_config_selectorIllN6thrust23THRUST_200600_302600_NS4plusIlEEEEZZNS1_33reduce_by_key_impl_wrapped_configILNS1_25lookback_scan_determinismE0ES3_S9_PlNS6_17constant_iteratorIiNS6_11use_defaultESE_EENS6_10device_ptrIlEESH_PmS8_NS6_8equal_toIlEEEE10hipError_tPvRmT2_T3_mT4_T5_T6_T7_T8_P12ihipStream_tbENKUlT_T0_E_clISt17integral_constantIbLb1EES12_EEDaSX_SY_EUlSX_E_NS1_11comp_targetILNS1_3genE0ELNS1_11target_archE4294967295ELNS1_3gpuE0ELNS1_3repE0EEENS1_30default_config_static_selectorELNS0_4arch9wavefront6targetE1EEEvT1_.private_seg_size, 0
	.set _ZN7rocprim17ROCPRIM_400000_NS6detail17trampoline_kernelINS0_14default_configENS1_29reduce_by_key_config_selectorIllN6thrust23THRUST_200600_302600_NS4plusIlEEEEZZNS1_33reduce_by_key_impl_wrapped_configILNS1_25lookback_scan_determinismE0ES3_S9_PlNS6_17constant_iteratorIiNS6_11use_defaultESE_EENS6_10device_ptrIlEESH_PmS8_NS6_8equal_toIlEEEE10hipError_tPvRmT2_T3_mT4_T5_T6_T7_T8_P12ihipStream_tbENKUlT_T0_E_clISt17integral_constantIbLb1EES12_EEDaSX_SY_EUlSX_E_NS1_11comp_targetILNS1_3genE0ELNS1_11target_archE4294967295ELNS1_3gpuE0ELNS1_3repE0EEENS1_30default_config_static_selectorELNS0_4arch9wavefront6targetE1EEEvT1_.uses_vcc, 0
	.set _ZN7rocprim17ROCPRIM_400000_NS6detail17trampoline_kernelINS0_14default_configENS1_29reduce_by_key_config_selectorIllN6thrust23THRUST_200600_302600_NS4plusIlEEEEZZNS1_33reduce_by_key_impl_wrapped_configILNS1_25lookback_scan_determinismE0ES3_S9_PlNS6_17constant_iteratorIiNS6_11use_defaultESE_EENS6_10device_ptrIlEESH_PmS8_NS6_8equal_toIlEEEE10hipError_tPvRmT2_T3_mT4_T5_T6_T7_T8_P12ihipStream_tbENKUlT_T0_E_clISt17integral_constantIbLb1EES12_EEDaSX_SY_EUlSX_E_NS1_11comp_targetILNS1_3genE0ELNS1_11target_archE4294967295ELNS1_3gpuE0ELNS1_3repE0EEENS1_30default_config_static_selectorELNS0_4arch9wavefront6targetE1EEEvT1_.uses_flat_scratch, 0
	.set _ZN7rocprim17ROCPRIM_400000_NS6detail17trampoline_kernelINS0_14default_configENS1_29reduce_by_key_config_selectorIllN6thrust23THRUST_200600_302600_NS4plusIlEEEEZZNS1_33reduce_by_key_impl_wrapped_configILNS1_25lookback_scan_determinismE0ES3_S9_PlNS6_17constant_iteratorIiNS6_11use_defaultESE_EENS6_10device_ptrIlEESH_PmS8_NS6_8equal_toIlEEEE10hipError_tPvRmT2_T3_mT4_T5_T6_T7_T8_P12ihipStream_tbENKUlT_T0_E_clISt17integral_constantIbLb1EES12_EEDaSX_SY_EUlSX_E_NS1_11comp_targetILNS1_3genE0ELNS1_11target_archE4294967295ELNS1_3gpuE0ELNS1_3repE0EEENS1_30default_config_static_selectorELNS0_4arch9wavefront6targetE1EEEvT1_.has_dyn_sized_stack, 0
	.set _ZN7rocprim17ROCPRIM_400000_NS6detail17trampoline_kernelINS0_14default_configENS1_29reduce_by_key_config_selectorIllN6thrust23THRUST_200600_302600_NS4plusIlEEEEZZNS1_33reduce_by_key_impl_wrapped_configILNS1_25lookback_scan_determinismE0ES3_S9_PlNS6_17constant_iteratorIiNS6_11use_defaultESE_EENS6_10device_ptrIlEESH_PmS8_NS6_8equal_toIlEEEE10hipError_tPvRmT2_T3_mT4_T5_T6_T7_T8_P12ihipStream_tbENKUlT_T0_E_clISt17integral_constantIbLb1EES12_EEDaSX_SY_EUlSX_E_NS1_11comp_targetILNS1_3genE0ELNS1_11target_archE4294967295ELNS1_3gpuE0ELNS1_3repE0EEENS1_30default_config_static_selectorELNS0_4arch9wavefront6targetE1EEEvT1_.has_recursion, 0
	.set _ZN7rocprim17ROCPRIM_400000_NS6detail17trampoline_kernelINS0_14default_configENS1_29reduce_by_key_config_selectorIllN6thrust23THRUST_200600_302600_NS4plusIlEEEEZZNS1_33reduce_by_key_impl_wrapped_configILNS1_25lookback_scan_determinismE0ES3_S9_PlNS6_17constant_iteratorIiNS6_11use_defaultESE_EENS6_10device_ptrIlEESH_PmS8_NS6_8equal_toIlEEEE10hipError_tPvRmT2_T3_mT4_T5_T6_T7_T8_P12ihipStream_tbENKUlT_T0_E_clISt17integral_constantIbLb1EES12_EEDaSX_SY_EUlSX_E_NS1_11comp_targetILNS1_3genE0ELNS1_11target_archE4294967295ELNS1_3gpuE0ELNS1_3repE0EEENS1_30default_config_static_selectorELNS0_4arch9wavefront6targetE1EEEvT1_.has_indirect_call, 0
	.section	.AMDGPU.csdata,"",@progbits
; Kernel info:
; codeLenInByte = 0
; TotalNumSgprs: 4
; NumVgprs: 0
; ScratchSize: 0
; MemoryBound: 0
; FloatMode: 240
; IeeeMode: 1
; LDSByteSize: 0 bytes/workgroup (compile time only)
; SGPRBlocks: 0
; VGPRBlocks: 0
; NumSGPRsForWavesPerEU: 4
; NumVGPRsForWavesPerEU: 1
; Occupancy: 10
; WaveLimiterHint : 0
; COMPUTE_PGM_RSRC2:SCRATCH_EN: 0
; COMPUTE_PGM_RSRC2:USER_SGPR: 6
; COMPUTE_PGM_RSRC2:TRAP_HANDLER: 0
; COMPUTE_PGM_RSRC2:TGID_X_EN: 1
; COMPUTE_PGM_RSRC2:TGID_Y_EN: 0
; COMPUTE_PGM_RSRC2:TGID_Z_EN: 0
; COMPUTE_PGM_RSRC2:TIDIG_COMP_CNT: 0
	.section	.text._ZN7rocprim17ROCPRIM_400000_NS6detail17trampoline_kernelINS0_14default_configENS1_29reduce_by_key_config_selectorIllN6thrust23THRUST_200600_302600_NS4plusIlEEEEZZNS1_33reduce_by_key_impl_wrapped_configILNS1_25lookback_scan_determinismE0ES3_S9_PlNS6_17constant_iteratorIiNS6_11use_defaultESE_EENS6_10device_ptrIlEESH_PmS8_NS6_8equal_toIlEEEE10hipError_tPvRmT2_T3_mT4_T5_T6_T7_T8_P12ihipStream_tbENKUlT_T0_E_clISt17integral_constantIbLb1EES12_EEDaSX_SY_EUlSX_E_NS1_11comp_targetILNS1_3genE5ELNS1_11target_archE942ELNS1_3gpuE9ELNS1_3repE0EEENS1_30default_config_static_selectorELNS0_4arch9wavefront6targetE1EEEvT1_,"axG",@progbits,_ZN7rocprim17ROCPRIM_400000_NS6detail17trampoline_kernelINS0_14default_configENS1_29reduce_by_key_config_selectorIllN6thrust23THRUST_200600_302600_NS4plusIlEEEEZZNS1_33reduce_by_key_impl_wrapped_configILNS1_25lookback_scan_determinismE0ES3_S9_PlNS6_17constant_iteratorIiNS6_11use_defaultESE_EENS6_10device_ptrIlEESH_PmS8_NS6_8equal_toIlEEEE10hipError_tPvRmT2_T3_mT4_T5_T6_T7_T8_P12ihipStream_tbENKUlT_T0_E_clISt17integral_constantIbLb1EES12_EEDaSX_SY_EUlSX_E_NS1_11comp_targetILNS1_3genE5ELNS1_11target_archE942ELNS1_3gpuE9ELNS1_3repE0EEENS1_30default_config_static_selectorELNS0_4arch9wavefront6targetE1EEEvT1_,comdat
	.protected	_ZN7rocprim17ROCPRIM_400000_NS6detail17trampoline_kernelINS0_14default_configENS1_29reduce_by_key_config_selectorIllN6thrust23THRUST_200600_302600_NS4plusIlEEEEZZNS1_33reduce_by_key_impl_wrapped_configILNS1_25lookback_scan_determinismE0ES3_S9_PlNS6_17constant_iteratorIiNS6_11use_defaultESE_EENS6_10device_ptrIlEESH_PmS8_NS6_8equal_toIlEEEE10hipError_tPvRmT2_T3_mT4_T5_T6_T7_T8_P12ihipStream_tbENKUlT_T0_E_clISt17integral_constantIbLb1EES12_EEDaSX_SY_EUlSX_E_NS1_11comp_targetILNS1_3genE5ELNS1_11target_archE942ELNS1_3gpuE9ELNS1_3repE0EEENS1_30default_config_static_selectorELNS0_4arch9wavefront6targetE1EEEvT1_ ; -- Begin function _ZN7rocprim17ROCPRIM_400000_NS6detail17trampoline_kernelINS0_14default_configENS1_29reduce_by_key_config_selectorIllN6thrust23THRUST_200600_302600_NS4plusIlEEEEZZNS1_33reduce_by_key_impl_wrapped_configILNS1_25lookback_scan_determinismE0ES3_S9_PlNS6_17constant_iteratorIiNS6_11use_defaultESE_EENS6_10device_ptrIlEESH_PmS8_NS6_8equal_toIlEEEE10hipError_tPvRmT2_T3_mT4_T5_T6_T7_T8_P12ihipStream_tbENKUlT_T0_E_clISt17integral_constantIbLb1EES12_EEDaSX_SY_EUlSX_E_NS1_11comp_targetILNS1_3genE5ELNS1_11target_archE942ELNS1_3gpuE9ELNS1_3repE0EEENS1_30default_config_static_selectorELNS0_4arch9wavefront6targetE1EEEvT1_
	.globl	_ZN7rocprim17ROCPRIM_400000_NS6detail17trampoline_kernelINS0_14default_configENS1_29reduce_by_key_config_selectorIllN6thrust23THRUST_200600_302600_NS4plusIlEEEEZZNS1_33reduce_by_key_impl_wrapped_configILNS1_25lookback_scan_determinismE0ES3_S9_PlNS6_17constant_iteratorIiNS6_11use_defaultESE_EENS6_10device_ptrIlEESH_PmS8_NS6_8equal_toIlEEEE10hipError_tPvRmT2_T3_mT4_T5_T6_T7_T8_P12ihipStream_tbENKUlT_T0_E_clISt17integral_constantIbLb1EES12_EEDaSX_SY_EUlSX_E_NS1_11comp_targetILNS1_3genE5ELNS1_11target_archE942ELNS1_3gpuE9ELNS1_3repE0EEENS1_30default_config_static_selectorELNS0_4arch9wavefront6targetE1EEEvT1_
	.p2align	8
	.type	_ZN7rocprim17ROCPRIM_400000_NS6detail17trampoline_kernelINS0_14default_configENS1_29reduce_by_key_config_selectorIllN6thrust23THRUST_200600_302600_NS4plusIlEEEEZZNS1_33reduce_by_key_impl_wrapped_configILNS1_25lookback_scan_determinismE0ES3_S9_PlNS6_17constant_iteratorIiNS6_11use_defaultESE_EENS6_10device_ptrIlEESH_PmS8_NS6_8equal_toIlEEEE10hipError_tPvRmT2_T3_mT4_T5_T6_T7_T8_P12ihipStream_tbENKUlT_T0_E_clISt17integral_constantIbLb1EES12_EEDaSX_SY_EUlSX_E_NS1_11comp_targetILNS1_3genE5ELNS1_11target_archE942ELNS1_3gpuE9ELNS1_3repE0EEENS1_30default_config_static_selectorELNS0_4arch9wavefront6targetE1EEEvT1_,@function
_ZN7rocprim17ROCPRIM_400000_NS6detail17trampoline_kernelINS0_14default_configENS1_29reduce_by_key_config_selectorIllN6thrust23THRUST_200600_302600_NS4plusIlEEEEZZNS1_33reduce_by_key_impl_wrapped_configILNS1_25lookback_scan_determinismE0ES3_S9_PlNS6_17constant_iteratorIiNS6_11use_defaultESE_EENS6_10device_ptrIlEESH_PmS8_NS6_8equal_toIlEEEE10hipError_tPvRmT2_T3_mT4_T5_T6_T7_T8_P12ihipStream_tbENKUlT_T0_E_clISt17integral_constantIbLb1EES12_EEDaSX_SY_EUlSX_E_NS1_11comp_targetILNS1_3genE5ELNS1_11target_archE942ELNS1_3gpuE9ELNS1_3repE0EEENS1_30default_config_static_selectorELNS0_4arch9wavefront6targetE1EEEvT1_: ; @_ZN7rocprim17ROCPRIM_400000_NS6detail17trampoline_kernelINS0_14default_configENS1_29reduce_by_key_config_selectorIllN6thrust23THRUST_200600_302600_NS4plusIlEEEEZZNS1_33reduce_by_key_impl_wrapped_configILNS1_25lookback_scan_determinismE0ES3_S9_PlNS6_17constant_iteratorIiNS6_11use_defaultESE_EENS6_10device_ptrIlEESH_PmS8_NS6_8equal_toIlEEEE10hipError_tPvRmT2_T3_mT4_T5_T6_T7_T8_P12ihipStream_tbENKUlT_T0_E_clISt17integral_constantIbLb1EES12_EEDaSX_SY_EUlSX_E_NS1_11comp_targetILNS1_3genE5ELNS1_11target_archE942ELNS1_3gpuE9ELNS1_3repE0EEENS1_30default_config_static_selectorELNS0_4arch9wavefront6targetE1EEEvT1_
; %bb.0:
	.section	.rodata,"a",@progbits
	.p2align	6, 0x0
	.amdhsa_kernel _ZN7rocprim17ROCPRIM_400000_NS6detail17trampoline_kernelINS0_14default_configENS1_29reduce_by_key_config_selectorIllN6thrust23THRUST_200600_302600_NS4plusIlEEEEZZNS1_33reduce_by_key_impl_wrapped_configILNS1_25lookback_scan_determinismE0ES3_S9_PlNS6_17constant_iteratorIiNS6_11use_defaultESE_EENS6_10device_ptrIlEESH_PmS8_NS6_8equal_toIlEEEE10hipError_tPvRmT2_T3_mT4_T5_T6_T7_T8_P12ihipStream_tbENKUlT_T0_E_clISt17integral_constantIbLb1EES12_EEDaSX_SY_EUlSX_E_NS1_11comp_targetILNS1_3genE5ELNS1_11target_archE942ELNS1_3gpuE9ELNS1_3repE0EEENS1_30default_config_static_selectorELNS0_4arch9wavefront6targetE1EEEvT1_
		.amdhsa_group_segment_fixed_size 0
		.amdhsa_private_segment_fixed_size 0
		.amdhsa_kernarg_size 144
		.amdhsa_user_sgpr_count 6
		.amdhsa_user_sgpr_private_segment_buffer 1
		.amdhsa_user_sgpr_dispatch_ptr 0
		.amdhsa_user_sgpr_queue_ptr 0
		.amdhsa_user_sgpr_kernarg_segment_ptr 1
		.amdhsa_user_sgpr_dispatch_id 0
		.amdhsa_user_sgpr_flat_scratch_init 0
		.amdhsa_user_sgpr_private_segment_size 0
		.amdhsa_uses_dynamic_stack 0
		.amdhsa_system_sgpr_private_segment_wavefront_offset 0
		.amdhsa_system_sgpr_workgroup_id_x 1
		.amdhsa_system_sgpr_workgroup_id_y 0
		.amdhsa_system_sgpr_workgroup_id_z 0
		.amdhsa_system_sgpr_workgroup_info 0
		.amdhsa_system_vgpr_workitem_id 0
		.amdhsa_next_free_vgpr 1
		.amdhsa_next_free_sgpr 0
		.amdhsa_reserve_vcc 0
		.amdhsa_reserve_flat_scratch 0
		.amdhsa_float_round_mode_32 0
		.amdhsa_float_round_mode_16_64 0
		.amdhsa_float_denorm_mode_32 3
		.amdhsa_float_denorm_mode_16_64 3
		.amdhsa_dx10_clamp 1
		.amdhsa_ieee_mode 1
		.amdhsa_fp16_overflow 0
		.amdhsa_exception_fp_ieee_invalid_op 0
		.amdhsa_exception_fp_denorm_src 0
		.amdhsa_exception_fp_ieee_div_zero 0
		.amdhsa_exception_fp_ieee_overflow 0
		.amdhsa_exception_fp_ieee_underflow 0
		.amdhsa_exception_fp_ieee_inexact 0
		.amdhsa_exception_int_div_zero 0
	.end_amdhsa_kernel
	.section	.text._ZN7rocprim17ROCPRIM_400000_NS6detail17trampoline_kernelINS0_14default_configENS1_29reduce_by_key_config_selectorIllN6thrust23THRUST_200600_302600_NS4plusIlEEEEZZNS1_33reduce_by_key_impl_wrapped_configILNS1_25lookback_scan_determinismE0ES3_S9_PlNS6_17constant_iteratorIiNS6_11use_defaultESE_EENS6_10device_ptrIlEESH_PmS8_NS6_8equal_toIlEEEE10hipError_tPvRmT2_T3_mT4_T5_T6_T7_T8_P12ihipStream_tbENKUlT_T0_E_clISt17integral_constantIbLb1EES12_EEDaSX_SY_EUlSX_E_NS1_11comp_targetILNS1_3genE5ELNS1_11target_archE942ELNS1_3gpuE9ELNS1_3repE0EEENS1_30default_config_static_selectorELNS0_4arch9wavefront6targetE1EEEvT1_,"axG",@progbits,_ZN7rocprim17ROCPRIM_400000_NS6detail17trampoline_kernelINS0_14default_configENS1_29reduce_by_key_config_selectorIllN6thrust23THRUST_200600_302600_NS4plusIlEEEEZZNS1_33reduce_by_key_impl_wrapped_configILNS1_25lookback_scan_determinismE0ES3_S9_PlNS6_17constant_iteratorIiNS6_11use_defaultESE_EENS6_10device_ptrIlEESH_PmS8_NS6_8equal_toIlEEEE10hipError_tPvRmT2_T3_mT4_T5_T6_T7_T8_P12ihipStream_tbENKUlT_T0_E_clISt17integral_constantIbLb1EES12_EEDaSX_SY_EUlSX_E_NS1_11comp_targetILNS1_3genE5ELNS1_11target_archE942ELNS1_3gpuE9ELNS1_3repE0EEENS1_30default_config_static_selectorELNS0_4arch9wavefront6targetE1EEEvT1_,comdat
.Lfunc_end1214:
	.size	_ZN7rocprim17ROCPRIM_400000_NS6detail17trampoline_kernelINS0_14default_configENS1_29reduce_by_key_config_selectorIllN6thrust23THRUST_200600_302600_NS4plusIlEEEEZZNS1_33reduce_by_key_impl_wrapped_configILNS1_25lookback_scan_determinismE0ES3_S9_PlNS6_17constant_iteratorIiNS6_11use_defaultESE_EENS6_10device_ptrIlEESH_PmS8_NS6_8equal_toIlEEEE10hipError_tPvRmT2_T3_mT4_T5_T6_T7_T8_P12ihipStream_tbENKUlT_T0_E_clISt17integral_constantIbLb1EES12_EEDaSX_SY_EUlSX_E_NS1_11comp_targetILNS1_3genE5ELNS1_11target_archE942ELNS1_3gpuE9ELNS1_3repE0EEENS1_30default_config_static_selectorELNS0_4arch9wavefront6targetE1EEEvT1_, .Lfunc_end1214-_ZN7rocprim17ROCPRIM_400000_NS6detail17trampoline_kernelINS0_14default_configENS1_29reduce_by_key_config_selectorIllN6thrust23THRUST_200600_302600_NS4plusIlEEEEZZNS1_33reduce_by_key_impl_wrapped_configILNS1_25lookback_scan_determinismE0ES3_S9_PlNS6_17constant_iteratorIiNS6_11use_defaultESE_EENS6_10device_ptrIlEESH_PmS8_NS6_8equal_toIlEEEE10hipError_tPvRmT2_T3_mT4_T5_T6_T7_T8_P12ihipStream_tbENKUlT_T0_E_clISt17integral_constantIbLb1EES12_EEDaSX_SY_EUlSX_E_NS1_11comp_targetILNS1_3genE5ELNS1_11target_archE942ELNS1_3gpuE9ELNS1_3repE0EEENS1_30default_config_static_selectorELNS0_4arch9wavefront6targetE1EEEvT1_
                                        ; -- End function
	.set _ZN7rocprim17ROCPRIM_400000_NS6detail17trampoline_kernelINS0_14default_configENS1_29reduce_by_key_config_selectorIllN6thrust23THRUST_200600_302600_NS4plusIlEEEEZZNS1_33reduce_by_key_impl_wrapped_configILNS1_25lookback_scan_determinismE0ES3_S9_PlNS6_17constant_iteratorIiNS6_11use_defaultESE_EENS6_10device_ptrIlEESH_PmS8_NS6_8equal_toIlEEEE10hipError_tPvRmT2_T3_mT4_T5_T6_T7_T8_P12ihipStream_tbENKUlT_T0_E_clISt17integral_constantIbLb1EES12_EEDaSX_SY_EUlSX_E_NS1_11comp_targetILNS1_3genE5ELNS1_11target_archE942ELNS1_3gpuE9ELNS1_3repE0EEENS1_30default_config_static_selectorELNS0_4arch9wavefront6targetE1EEEvT1_.num_vgpr, 0
	.set _ZN7rocprim17ROCPRIM_400000_NS6detail17trampoline_kernelINS0_14default_configENS1_29reduce_by_key_config_selectorIllN6thrust23THRUST_200600_302600_NS4plusIlEEEEZZNS1_33reduce_by_key_impl_wrapped_configILNS1_25lookback_scan_determinismE0ES3_S9_PlNS6_17constant_iteratorIiNS6_11use_defaultESE_EENS6_10device_ptrIlEESH_PmS8_NS6_8equal_toIlEEEE10hipError_tPvRmT2_T3_mT4_T5_T6_T7_T8_P12ihipStream_tbENKUlT_T0_E_clISt17integral_constantIbLb1EES12_EEDaSX_SY_EUlSX_E_NS1_11comp_targetILNS1_3genE5ELNS1_11target_archE942ELNS1_3gpuE9ELNS1_3repE0EEENS1_30default_config_static_selectorELNS0_4arch9wavefront6targetE1EEEvT1_.num_agpr, 0
	.set _ZN7rocprim17ROCPRIM_400000_NS6detail17trampoline_kernelINS0_14default_configENS1_29reduce_by_key_config_selectorIllN6thrust23THRUST_200600_302600_NS4plusIlEEEEZZNS1_33reduce_by_key_impl_wrapped_configILNS1_25lookback_scan_determinismE0ES3_S9_PlNS6_17constant_iteratorIiNS6_11use_defaultESE_EENS6_10device_ptrIlEESH_PmS8_NS6_8equal_toIlEEEE10hipError_tPvRmT2_T3_mT4_T5_T6_T7_T8_P12ihipStream_tbENKUlT_T0_E_clISt17integral_constantIbLb1EES12_EEDaSX_SY_EUlSX_E_NS1_11comp_targetILNS1_3genE5ELNS1_11target_archE942ELNS1_3gpuE9ELNS1_3repE0EEENS1_30default_config_static_selectorELNS0_4arch9wavefront6targetE1EEEvT1_.numbered_sgpr, 0
	.set _ZN7rocprim17ROCPRIM_400000_NS6detail17trampoline_kernelINS0_14default_configENS1_29reduce_by_key_config_selectorIllN6thrust23THRUST_200600_302600_NS4plusIlEEEEZZNS1_33reduce_by_key_impl_wrapped_configILNS1_25lookback_scan_determinismE0ES3_S9_PlNS6_17constant_iteratorIiNS6_11use_defaultESE_EENS6_10device_ptrIlEESH_PmS8_NS6_8equal_toIlEEEE10hipError_tPvRmT2_T3_mT4_T5_T6_T7_T8_P12ihipStream_tbENKUlT_T0_E_clISt17integral_constantIbLb1EES12_EEDaSX_SY_EUlSX_E_NS1_11comp_targetILNS1_3genE5ELNS1_11target_archE942ELNS1_3gpuE9ELNS1_3repE0EEENS1_30default_config_static_selectorELNS0_4arch9wavefront6targetE1EEEvT1_.num_named_barrier, 0
	.set _ZN7rocprim17ROCPRIM_400000_NS6detail17trampoline_kernelINS0_14default_configENS1_29reduce_by_key_config_selectorIllN6thrust23THRUST_200600_302600_NS4plusIlEEEEZZNS1_33reduce_by_key_impl_wrapped_configILNS1_25lookback_scan_determinismE0ES3_S9_PlNS6_17constant_iteratorIiNS6_11use_defaultESE_EENS6_10device_ptrIlEESH_PmS8_NS6_8equal_toIlEEEE10hipError_tPvRmT2_T3_mT4_T5_T6_T7_T8_P12ihipStream_tbENKUlT_T0_E_clISt17integral_constantIbLb1EES12_EEDaSX_SY_EUlSX_E_NS1_11comp_targetILNS1_3genE5ELNS1_11target_archE942ELNS1_3gpuE9ELNS1_3repE0EEENS1_30default_config_static_selectorELNS0_4arch9wavefront6targetE1EEEvT1_.private_seg_size, 0
	.set _ZN7rocprim17ROCPRIM_400000_NS6detail17trampoline_kernelINS0_14default_configENS1_29reduce_by_key_config_selectorIllN6thrust23THRUST_200600_302600_NS4plusIlEEEEZZNS1_33reduce_by_key_impl_wrapped_configILNS1_25lookback_scan_determinismE0ES3_S9_PlNS6_17constant_iteratorIiNS6_11use_defaultESE_EENS6_10device_ptrIlEESH_PmS8_NS6_8equal_toIlEEEE10hipError_tPvRmT2_T3_mT4_T5_T6_T7_T8_P12ihipStream_tbENKUlT_T0_E_clISt17integral_constantIbLb1EES12_EEDaSX_SY_EUlSX_E_NS1_11comp_targetILNS1_3genE5ELNS1_11target_archE942ELNS1_3gpuE9ELNS1_3repE0EEENS1_30default_config_static_selectorELNS0_4arch9wavefront6targetE1EEEvT1_.uses_vcc, 0
	.set _ZN7rocprim17ROCPRIM_400000_NS6detail17trampoline_kernelINS0_14default_configENS1_29reduce_by_key_config_selectorIllN6thrust23THRUST_200600_302600_NS4plusIlEEEEZZNS1_33reduce_by_key_impl_wrapped_configILNS1_25lookback_scan_determinismE0ES3_S9_PlNS6_17constant_iteratorIiNS6_11use_defaultESE_EENS6_10device_ptrIlEESH_PmS8_NS6_8equal_toIlEEEE10hipError_tPvRmT2_T3_mT4_T5_T6_T7_T8_P12ihipStream_tbENKUlT_T0_E_clISt17integral_constantIbLb1EES12_EEDaSX_SY_EUlSX_E_NS1_11comp_targetILNS1_3genE5ELNS1_11target_archE942ELNS1_3gpuE9ELNS1_3repE0EEENS1_30default_config_static_selectorELNS0_4arch9wavefront6targetE1EEEvT1_.uses_flat_scratch, 0
	.set _ZN7rocprim17ROCPRIM_400000_NS6detail17trampoline_kernelINS0_14default_configENS1_29reduce_by_key_config_selectorIllN6thrust23THRUST_200600_302600_NS4plusIlEEEEZZNS1_33reduce_by_key_impl_wrapped_configILNS1_25lookback_scan_determinismE0ES3_S9_PlNS6_17constant_iteratorIiNS6_11use_defaultESE_EENS6_10device_ptrIlEESH_PmS8_NS6_8equal_toIlEEEE10hipError_tPvRmT2_T3_mT4_T5_T6_T7_T8_P12ihipStream_tbENKUlT_T0_E_clISt17integral_constantIbLb1EES12_EEDaSX_SY_EUlSX_E_NS1_11comp_targetILNS1_3genE5ELNS1_11target_archE942ELNS1_3gpuE9ELNS1_3repE0EEENS1_30default_config_static_selectorELNS0_4arch9wavefront6targetE1EEEvT1_.has_dyn_sized_stack, 0
	.set _ZN7rocprim17ROCPRIM_400000_NS6detail17trampoline_kernelINS0_14default_configENS1_29reduce_by_key_config_selectorIllN6thrust23THRUST_200600_302600_NS4plusIlEEEEZZNS1_33reduce_by_key_impl_wrapped_configILNS1_25lookback_scan_determinismE0ES3_S9_PlNS6_17constant_iteratorIiNS6_11use_defaultESE_EENS6_10device_ptrIlEESH_PmS8_NS6_8equal_toIlEEEE10hipError_tPvRmT2_T3_mT4_T5_T6_T7_T8_P12ihipStream_tbENKUlT_T0_E_clISt17integral_constantIbLb1EES12_EEDaSX_SY_EUlSX_E_NS1_11comp_targetILNS1_3genE5ELNS1_11target_archE942ELNS1_3gpuE9ELNS1_3repE0EEENS1_30default_config_static_selectorELNS0_4arch9wavefront6targetE1EEEvT1_.has_recursion, 0
	.set _ZN7rocprim17ROCPRIM_400000_NS6detail17trampoline_kernelINS0_14default_configENS1_29reduce_by_key_config_selectorIllN6thrust23THRUST_200600_302600_NS4plusIlEEEEZZNS1_33reduce_by_key_impl_wrapped_configILNS1_25lookback_scan_determinismE0ES3_S9_PlNS6_17constant_iteratorIiNS6_11use_defaultESE_EENS6_10device_ptrIlEESH_PmS8_NS6_8equal_toIlEEEE10hipError_tPvRmT2_T3_mT4_T5_T6_T7_T8_P12ihipStream_tbENKUlT_T0_E_clISt17integral_constantIbLb1EES12_EEDaSX_SY_EUlSX_E_NS1_11comp_targetILNS1_3genE5ELNS1_11target_archE942ELNS1_3gpuE9ELNS1_3repE0EEENS1_30default_config_static_selectorELNS0_4arch9wavefront6targetE1EEEvT1_.has_indirect_call, 0
	.section	.AMDGPU.csdata,"",@progbits
; Kernel info:
; codeLenInByte = 0
; TotalNumSgprs: 4
; NumVgprs: 0
; ScratchSize: 0
; MemoryBound: 0
; FloatMode: 240
; IeeeMode: 1
; LDSByteSize: 0 bytes/workgroup (compile time only)
; SGPRBlocks: 0
; VGPRBlocks: 0
; NumSGPRsForWavesPerEU: 4
; NumVGPRsForWavesPerEU: 1
; Occupancy: 10
; WaveLimiterHint : 0
; COMPUTE_PGM_RSRC2:SCRATCH_EN: 0
; COMPUTE_PGM_RSRC2:USER_SGPR: 6
; COMPUTE_PGM_RSRC2:TRAP_HANDLER: 0
; COMPUTE_PGM_RSRC2:TGID_X_EN: 1
; COMPUTE_PGM_RSRC2:TGID_Y_EN: 0
; COMPUTE_PGM_RSRC2:TGID_Z_EN: 0
; COMPUTE_PGM_RSRC2:TIDIG_COMP_CNT: 0
	.section	.text._ZN7rocprim17ROCPRIM_400000_NS6detail17trampoline_kernelINS0_14default_configENS1_29reduce_by_key_config_selectorIllN6thrust23THRUST_200600_302600_NS4plusIlEEEEZZNS1_33reduce_by_key_impl_wrapped_configILNS1_25lookback_scan_determinismE0ES3_S9_PlNS6_17constant_iteratorIiNS6_11use_defaultESE_EENS6_10device_ptrIlEESH_PmS8_NS6_8equal_toIlEEEE10hipError_tPvRmT2_T3_mT4_T5_T6_T7_T8_P12ihipStream_tbENKUlT_T0_E_clISt17integral_constantIbLb1EES12_EEDaSX_SY_EUlSX_E_NS1_11comp_targetILNS1_3genE4ELNS1_11target_archE910ELNS1_3gpuE8ELNS1_3repE0EEENS1_30default_config_static_selectorELNS0_4arch9wavefront6targetE1EEEvT1_,"axG",@progbits,_ZN7rocprim17ROCPRIM_400000_NS6detail17trampoline_kernelINS0_14default_configENS1_29reduce_by_key_config_selectorIllN6thrust23THRUST_200600_302600_NS4plusIlEEEEZZNS1_33reduce_by_key_impl_wrapped_configILNS1_25lookback_scan_determinismE0ES3_S9_PlNS6_17constant_iteratorIiNS6_11use_defaultESE_EENS6_10device_ptrIlEESH_PmS8_NS6_8equal_toIlEEEE10hipError_tPvRmT2_T3_mT4_T5_T6_T7_T8_P12ihipStream_tbENKUlT_T0_E_clISt17integral_constantIbLb1EES12_EEDaSX_SY_EUlSX_E_NS1_11comp_targetILNS1_3genE4ELNS1_11target_archE910ELNS1_3gpuE8ELNS1_3repE0EEENS1_30default_config_static_selectorELNS0_4arch9wavefront6targetE1EEEvT1_,comdat
	.protected	_ZN7rocprim17ROCPRIM_400000_NS6detail17trampoline_kernelINS0_14default_configENS1_29reduce_by_key_config_selectorIllN6thrust23THRUST_200600_302600_NS4plusIlEEEEZZNS1_33reduce_by_key_impl_wrapped_configILNS1_25lookback_scan_determinismE0ES3_S9_PlNS6_17constant_iteratorIiNS6_11use_defaultESE_EENS6_10device_ptrIlEESH_PmS8_NS6_8equal_toIlEEEE10hipError_tPvRmT2_T3_mT4_T5_T6_T7_T8_P12ihipStream_tbENKUlT_T0_E_clISt17integral_constantIbLb1EES12_EEDaSX_SY_EUlSX_E_NS1_11comp_targetILNS1_3genE4ELNS1_11target_archE910ELNS1_3gpuE8ELNS1_3repE0EEENS1_30default_config_static_selectorELNS0_4arch9wavefront6targetE1EEEvT1_ ; -- Begin function _ZN7rocprim17ROCPRIM_400000_NS6detail17trampoline_kernelINS0_14default_configENS1_29reduce_by_key_config_selectorIllN6thrust23THRUST_200600_302600_NS4plusIlEEEEZZNS1_33reduce_by_key_impl_wrapped_configILNS1_25lookback_scan_determinismE0ES3_S9_PlNS6_17constant_iteratorIiNS6_11use_defaultESE_EENS6_10device_ptrIlEESH_PmS8_NS6_8equal_toIlEEEE10hipError_tPvRmT2_T3_mT4_T5_T6_T7_T8_P12ihipStream_tbENKUlT_T0_E_clISt17integral_constantIbLb1EES12_EEDaSX_SY_EUlSX_E_NS1_11comp_targetILNS1_3genE4ELNS1_11target_archE910ELNS1_3gpuE8ELNS1_3repE0EEENS1_30default_config_static_selectorELNS0_4arch9wavefront6targetE1EEEvT1_
	.globl	_ZN7rocprim17ROCPRIM_400000_NS6detail17trampoline_kernelINS0_14default_configENS1_29reduce_by_key_config_selectorIllN6thrust23THRUST_200600_302600_NS4plusIlEEEEZZNS1_33reduce_by_key_impl_wrapped_configILNS1_25lookback_scan_determinismE0ES3_S9_PlNS6_17constant_iteratorIiNS6_11use_defaultESE_EENS6_10device_ptrIlEESH_PmS8_NS6_8equal_toIlEEEE10hipError_tPvRmT2_T3_mT4_T5_T6_T7_T8_P12ihipStream_tbENKUlT_T0_E_clISt17integral_constantIbLb1EES12_EEDaSX_SY_EUlSX_E_NS1_11comp_targetILNS1_3genE4ELNS1_11target_archE910ELNS1_3gpuE8ELNS1_3repE0EEENS1_30default_config_static_selectorELNS0_4arch9wavefront6targetE1EEEvT1_
	.p2align	8
	.type	_ZN7rocprim17ROCPRIM_400000_NS6detail17trampoline_kernelINS0_14default_configENS1_29reduce_by_key_config_selectorIllN6thrust23THRUST_200600_302600_NS4plusIlEEEEZZNS1_33reduce_by_key_impl_wrapped_configILNS1_25lookback_scan_determinismE0ES3_S9_PlNS6_17constant_iteratorIiNS6_11use_defaultESE_EENS6_10device_ptrIlEESH_PmS8_NS6_8equal_toIlEEEE10hipError_tPvRmT2_T3_mT4_T5_T6_T7_T8_P12ihipStream_tbENKUlT_T0_E_clISt17integral_constantIbLb1EES12_EEDaSX_SY_EUlSX_E_NS1_11comp_targetILNS1_3genE4ELNS1_11target_archE910ELNS1_3gpuE8ELNS1_3repE0EEENS1_30default_config_static_selectorELNS0_4arch9wavefront6targetE1EEEvT1_,@function
_ZN7rocprim17ROCPRIM_400000_NS6detail17trampoline_kernelINS0_14default_configENS1_29reduce_by_key_config_selectorIllN6thrust23THRUST_200600_302600_NS4plusIlEEEEZZNS1_33reduce_by_key_impl_wrapped_configILNS1_25lookback_scan_determinismE0ES3_S9_PlNS6_17constant_iteratorIiNS6_11use_defaultESE_EENS6_10device_ptrIlEESH_PmS8_NS6_8equal_toIlEEEE10hipError_tPvRmT2_T3_mT4_T5_T6_T7_T8_P12ihipStream_tbENKUlT_T0_E_clISt17integral_constantIbLb1EES12_EEDaSX_SY_EUlSX_E_NS1_11comp_targetILNS1_3genE4ELNS1_11target_archE910ELNS1_3gpuE8ELNS1_3repE0EEENS1_30default_config_static_selectorELNS0_4arch9wavefront6targetE1EEEvT1_: ; @_ZN7rocprim17ROCPRIM_400000_NS6detail17trampoline_kernelINS0_14default_configENS1_29reduce_by_key_config_selectorIllN6thrust23THRUST_200600_302600_NS4plusIlEEEEZZNS1_33reduce_by_key_impl_wrapped_configILNS1_25lookback_scan_determinismE0ES3_S9_PlNS6_17constant_iteratorIiNS6_11use_defaultESE_EENS6_10device_ptrIlEESH_PmS8_NS6_8equal_toIlEEEE10hipError_tPvRmT2_T3_mT4_T5_T6_T7_T8_P12ihipStream_tbENKUlT_T0_E_clISt17integral_constantIbLb1EES12_EEDaSX_SY_EUlSX_E_NS1_11comp_targetILNS1_3genE4ELNS1_11target_archE910ELNS1_3gpuE8ELNS1_3repE0EEENS1_30default_config_static_selectorELNS0_4arch9wavefront6targetE1EEEvT1_
; %bb.0:
	.section	.rodata,"a",@progbits
	.p2align	6, 0x0
	.amdhsa_kernel _ZN7rocprim17ROCPRIM_400000_NS6detail17trampoline_kernelINS0_14default_configENS1_29reduce_by_key_config_selectorIllN6thrust23THRUST_200600_302600_NS4plusIlEEEEZZNS1_33reduce_by_key_impl_wrapped_configILNS1_25lookback_scan_determinismE0ES3_S9_PlNS6_17constant_iteratorIiNS6_11use_defaultESE_EENS6_10device_ptrIlEESH_PmS8_NS6_8equal_toIlEEEE10hipError_tPvRmT2_T3_mT4_T5_T6_T7_T8_P12ihipStream_tbENKUlT_T0_E_clISt17integral_constantIbLb1EES12_EEDaSX_SY_EUlSX_E_NS1_11comp_targetILNS1_3genE4ELNS1_11target_archE910ELNS1_3gpuE8ELNS1_3repE0EEENS1_30default_config_static_selectorELNS0_4arch9wavefront6targetE1EEEvT1_
		.amdhsa_group_segment_fixed_size 0
		.amdhsa_private_segment_fixed_size 0
		.amdhsa_kernarg_size 144
		.amdhsa_user_sgpr_count 6
		.amdhsa_user_sgpr_private_segment_buffer 1
		.amdhsa_user_sgpr_dispatch_ptr 0
		.amdhsa_user_sgpr_queue_ptr 0
		.amdhsa_user_sgpr_kernarg_segment_ptr 1
		.amdhsa_user_sgpr_dispatch_id 0
		.amdhsa_user_sgpr_flat_scratch_init 0
		.amdhsa_user_sgpr_private_segment_size 0
		.amdhsa_uses_dynamic_stack 0
		.amdhsa_system_sgpr_private_segment_wavefront_offset 0
		.amdhsa_system_sgpr_workgroup_id_x 1
		.amdhsa_system_sgpr_workgroup_id_y 0
		.amdhsa_system_sgpr_workgroup_id_z 0
		.amdhsa_system_sgpr_workgroup_info 0
		.amdhsa_system_vgpr_workitem_id 0
		.amdhsa_next_free_vgpr 1
		.amdhsa_next_free_sgpr 0
		.amdhsa_reserve_vcc 0
		.amdhsa_reserve_flat_scratch 0
		.amdhsa_float_round_mode_32 0
		.amdhsa_float_round_mode_16_64 0
		.amdhsa_float_denorm_mode_32 3
		.amdhsa_float_denorm_mode_16_64 3
		.amdhsa_dx10_clamp 1
		.amdhsa_ieee_mode 1
		.amdhsa_fp16_overflow 0
		.amdhsa_exception_fp_ieee_invalid_op 0
		.amdhsa_exception_fp_denorm_src 0
		.amdhsa_exception_fp_ieee_div_zero 0
		.amdhsa_exception_fp_ieee_overflow 0
		.amdhsa_exception_fp_ieee_underflow 0
		.amdhsa_exception_fp_ieee_inexact 0
		.amdhsa_exception_int_div_zero 0
	.end_amdhsa_kernel
	.section	.text._ZN7rocprim17ROCPRIM_400000_NS6detail17trampoline_kernelINS0_14default_configENS1_29reduce_by_key_config_selectorIllN6thrust23THRUST_200600_302600_NS4plusIlEEEEZZNS1_33reduce_by_key_impl_wrapped_configILNS1_25lookback_scan_determinismE0ES3_S9_PlNS6_17constant_iteratorIiNS6_11use_defaultESE_EENS6_10device_ptrIlEESH_PmS8_NS6_8equal_toIlEEEE10hipError_tPvRmT2_T3_mT4_T5_T6_T7_T8_P12ihipStream_tbENKUlT_T0_E_clISt17integral_constantIbLb1EES12_EEDaSX_SY_EUlSX_E_NS1_11comp_targetILNS1_3genE4ELNS1_11target_archE910ELNS1_3gpuE8ELNS1_3repE0EEENS1_30default_config_static_selectorELNS0_4arch9wavefront6targetE1EEEvT1_,"axG",@progbits,_ZN7rocprim17ROCPRIM_400000_NS6detail17trampoline_kernelINS0_14default_configENS1_29reduce_by_key_config_selectorIllN6thrust23THRUST_200600_302600_NS4plusIlEEEEZZNS1_33reduce_by_key_impl_wrapped_configILNS1_25lookback_scan_determinismE0ES3_S9_PlNS6_17constant_iteratorIiNS6_11use_defaultESE_EENS6_10device_ptrIlEESH_PmS8_NS6_8equal_toIlEEEE10hipError_tPvRmT2_T3_mT4_T5_T6_T7_T8_P12ihipStream_tbENKUlT_T0_E_clISt17integral_constantIbLb1EES12_EEDaSX_SY_EUlSX_E_NS1_11comp_targetILNS1_3genE4ELNS1_11target_archE910ELNS1_3gpuE8ELNS1_3repE0EEENS1_30default_config_static_selectorELNS0_4arch9wavefront6targetE1EEEvT1_,comdat
.Lfunc_end1215:
	.size	_ZN7rocprim17ROCPRIM_400000_NS6detail17trampoline_kernelINS0_14default_configENS1_29reduce_by_key_config_selectorIllN6thrust23THRUST_200600_302600_NS4plusIlEEEEZZNS1_33reduce_by_key_impl_wrapped_configILNS1_25lookback_scan_determinismE0ES3_S9_PlNS6_17constant_iteratorIiNS6_11use_defaultESE_EENS6_10device_ptrIlEESH_PmS8_NS6_8equal_toIlEEEE10hipError_tPvRmT2_T3_mT4_T5_T6_T7_T8_P12ihipStream_tbENKUlT_T0_E_clISt17integral_constantIbLb1EES12_EEDaSX_SY_EUlSX_E_NS1_11comp_targetILNS1_3genE4ELNS1_11target_archE910ELNS1_3gpuE8ELNS1_3repE0EEENS1_30default_config_static_selectorELNS0_4arch9wavefront6targetE1EEEvT1_, .Lfunc_end1215-_ZN7rocprim17ROCPRIM_400000_NS6detail17trampoline_kernelINS0_14default_configENS1_29reduce_by_key_config_selectorIllN6thrust23THRUST_200600_302600_NS4plusIlEEEEZZNS1_33reduce_by_key_impl_wrapped_configILNS1_25lookback_scan_determinismE0ES3_S9_PlNS6_17constant_iteratorIiNS6_11use_defaultESE_EENS6_10device_ptrIlEESH_PmS8_NS6_8equal_toIlEEEE10hipError_tPvRmT2_T3_mT4_T5_T6_T7_T8_P12ihipStream_tbENKUlT_T0_E_clISt17integral_constantIbLb1EES12_EEDaSX_SY_EUlSX_E_NS1_11comp_targetILNS1_3genE4ELNS1_11target_archE910ELNS1_3gpuE8ELNS1_3repE0EEENS1_30default_config_static_selectorELNS0_4arch9wavefront6targetE1EEEvT1_
                                        ; -- End function
	.set _ZN7rocprim17ROCPRIM_400000_NS6detail17trampoline_kernelINS0_14default_configENS1_29reduce_by_key_config_selectorIllN6thrust23THRUST_200600_302600_NS4plusIlEEEEZZNS1_33reduce_by_key_impl_wrapped_configILNS1_25lookback_scan_determinismE0ES3_S9_PlNS6_17constant_iteratorIiNS6_11use_defaultESE_EENS6_10device_ptrIlEESH_PmS8_NS6_8equal_toIlEEEE10hipError_tPvRmT2_T3_mT4_T5_T6_T7_T8_P12ihipStream_tbENKUlT_T0_E_clISt17integral_constantIbLb1EES12_EEDaSX_SY_EUlSX_E_NS1_11comp_targetILNS1_3genE4ELNS1_11target_archE910ELNS1_3gpuE8ELNS1_3repE0EEENS1_30default_config_static_selectorELNS0_4arch9wavefront6targetE1EEEvT1_.num_vgpr, 0
	.set _ZN7rocprim17ROCPRIM_400000_NS6detail17trampoline_kernelINS0_14default_configENS1_29reduce_by_key_config_selectorIllN6thrust23THRUST_200600_302600_NS4plusIlEEEEZZNS1_33reduce_by_key_impl_wrapped_configILNS1_25lookback_scan_determinismE0ES3_S9_PlNS6_17constant_iteratorIiNS6_11use_defaultESE_EENS6_10device_ptrIlEESH_PmS8_NS6_8equal_toIlEEEE10hipError_tPvRmT2_T3_mT4_T5_T6_T7_T8_P12ihipStream_tbENKUlT_T0_E_clISt17integral_constantIbLb1EES12_EEDaSX_SY_EUlSX_E_NS1_11comp_targetILNS1_3genE4ELNS1_11target_archE910ELNS1_3gpuE8ELNS1_3repE0EEENS1_30default_config_static_selectorELNS0_4arch9wavefront6targetE1EEEvT1_.num_agpr, 0
	.set _ZN7rocprim17ROCPRIM_400000_NS6detail17trampoline_kernelINS0_14default_configENS1_29reduce_by_key_config_selectorIllN6thrust23THRUST_200600_302600_NS4plusIlEEEEZZNS1_33reduce_by_key_impl_wrapped_configILNS1_25lookback_scan_determinismE0ES3_S9_PlNS6_17constant_iteratorIiNS6_11use_defaultESE_EENS6_10device_ptrIlEESH_PmS8_NS6_8equal_toIlEEEE10hipError_tPvRmT2_T3_mT4_T5_T6_T7_T8_P12ihipStream_tbENKUlT_T0_E_clISt17integral_constantIbLb1EES12_EEDaSX_SY_EUlSX_E_NS1_11comp_targetILNS1_3genE4ELNS1_11target_archE910ELNS1_3gpuE8ELNS1_3repE0EEENS1_30default_config_static_selectorELNS0_4arch9wavefront6targetE1EEEvT1_.numbered_sgpr, 0
	.set _ZN7rocprim17ROCPRIM_400000_NS6detail17trampoline_kernelINS0_14default_configENS1_29reduce_by_key_config_selectorIllN6thrust23THRUST_200600_302600_NS4plusIlEEEEZZNS1_33reduce_by_key_impl_wrapped_configILNS1_25lookback_scan_determinismE0ES3_S9_PlNS6_17constant_iteratorIiNS6_11use_defaultESE_EENS6_10device_ptrIlEESH_PmS8_NS6_8equal_toIlEEEE10hipError_tPvRmT2_T3_mT4_T5_T6_T7_T8_P12ihipStream_tbENKUlT_T0_E_clISt17integral_constantIbLb1EES12_EEDaSX_SY_EUlSX_E_NS1_11comp_targetILNS1_3genE4ELNS1_11target_archE910ELNS1_3gpuE8ELNS1_3repE0EEENS1_30default_config_static_selectorELNS0_4arch9wavefront6targetE1EEEvT1_.num_named_barrier, 0
	.set _ZN7rocprim17ROCPRIM_400000_NS6detail17trampoline_kernelINS0_14default_configENS1_29reduce_by_key_config_selectorIllN6thrust23THRUST_200600_302600_NS4plusIlEEEEZZNS1_33reduce_by_key_impl_wrapped_configILNS1_25lookback_scan_determinismE0ES3_S9_PlNS6_17constant_iteratorIiNS6_11use_defaultESE_EENS6_10device_ptrIlEESH_PmS8_NS6_8equal_toIlEEEE10hipError_tPvRmT2_T3_mT4_T5_T6_T7_T8_P12ihipStream_tbENKUlT_T0_E_clISt17integral_constantIbLb1EES12_EEDaSX_SY_EUlSX_E_NS1_11comp_targetILNS1_3genE4ELNS1_11target_archE910ELNS1_3gpuE8ELNS1_3repE0EEENS1_30default_config_static_selectorELNS0_4arch9wavefront6targetE1EEEvT1_.private_seg_size, 0
	.set _ZN7rocprim17ROCPRIM_400000_NS6detail17trampoline_kernelINS0_14default_configENS1_29reduce_by_key_config_selectorIllN6thrust23THRUST_200600_302600_NS4plusIlEEEEZZNS1_33reduce_by_key_impl_wrapped_configILNS1_25lookback_scan_determinismE0ES3_S9_PlNS6_17constant_iteratorIiNS6_11use_defaultESE_EENS6_10device_ptrIlEESH_PmS8_NS6_8equal_toIlEEEE10hipError_tPvRmT2_T3_mT4_T5_T6_T7_T8_P12ihipStream_tbENKUlT_T0_E_clISt17integral_constantIbLb1EES12_EEDaSX_SY_EUlSX_E_NS1_11comp_targetILNS1_3genE4ELNS1_11target_archE910ELNS1_3gpuE8ELNS1_3repE0EEENS1_30default_config_static_selectorELNS0_4arch9wavefront6targetE1EEEvT1_.uses_vcc, 0
	.set _ZN7rocprim17ROCPRIM_400000_NS6detail17trampoline_kernelINS0_14default_configENS1_29reduce_by_key_config_selectorIllN6thrust23THRUST_200600_302600_NS4plusIlEEEEZZNS1_33reduce_by_key_impl_wrapped_configILNS1_25lookback_scan_determinismE0ES3_S9_PlNS6_17constant_iteratorIiNS6_11use_defaultESE_EENS6_10device_ptrIlEESH_PmS8_NS6_8equal_toIlEEEE10hipError_tPvRmT2_T3_mT4_T5_T6_T7_T8_P12ihipStream_tbENKUlT_T0_E_clISt17integral_constantIbLb1EES12_EEDaSX_SY_EUlSX_E_NS1_11comp_targetILNS1_3genE4ELNS1_11target_archE910ELNS1_3gpuE8ELNS1_3repE0EEENS1_30default_config_static_selectorELNS0_4arch9wavefront6targetE1EEEvT1_.uses_flat_scratch, 0
	.set _ZN7rocprim17ROCPRIM_400000_NS6detail17trampoline_kernelINS0_14default_configENS1_29reduce_by_key_config_selectorIllN6thrust23THRUST_200600_302600_NS4plusIlEEEEZZNS1_33reduce_by_key_impl_wrapped_configILNS1_25lookback_scan_determinismE0ES3_S9_PlNS6_17constant_iteratorIiNS6_11use_defaultESE_EENS6_10device_ptrIlEESH_PmS8_NS6_8equal_toIlEEEE10hipError_tPvRmT2_T3_mT4_T5_T6_T7_T8_P12ihipStream_tbENKUlT_T0_E_clISt17integral_constantIbLb1EES12_EEDaSX_SY_EUlSX_E_NS1_11comp_targetILNS1_3genE4ELNS1_11target_archE910ELNS1_3gpuE8ELNS1_3repE0EEENS1_30default_config_static_selectorELNS0_4arch9wavefront6targetE1EEEvT1_.has_dyn_sized_stack, 0
	.set _ZN7rocprim17ROCPRIM_400000_NS6detail17trampoline_kernelINS0_14default_configENS1_29reduce_by_key_config_selectorIllN6thrust23THRUST_200600_302600_NS4plusIlEEEEZZNS1_33reduce_by_key_impl_wrapped_configILNS1_25lookback_scan_determinismE0ES3_S9_PlNS6_17constant_iteratorIiNS6_11use_defaultESE_EENS6_10device_ptrIlEESH_PmS8_NS6_8equal_toIlEEEE10hipError_tPvRmT2_T3_mT4_T5_T6_T7_T8_P12ihipStream_tbENKUlT_T0_E_clISt17integral_constantIbLb1EES12_EEDaSX_SY_EUlSX_E_NS1_11comp_targetILNS1_3genE4ELNS1_11target_archE910ELNS1_3gpuE8ELNS1_3repE0EEENS1_30default_config_static_selectorELNS0_4arch9wavefront6targetE1EEEvT1_.has_recursion, 0
	.set _ZN7rocprim17ROCPRIM_400000_NS6detail17trampoline_kernelINS0_14default_configENS1_29reduce_by_key_config_selectorIllN6thrust23THRUST_200600_302600_NS4plusIlEEEEZZNS1_33reduce_by_key_impl_wrapped_configILNS1_25lookback_scan_determinismE0ES3_S9_PlNS6_17constant_iteratorIiNS6_11use_defaultESE_EENS6_10device_ptrIlEESH_PmS8_NS6_8equal_toIlEEEE10hipError_tPvRmT2_T3_mT4_T5_T6_T7_T8_P12ihipStream_tbENKUlT_T0_E_clISt17integral_constantIbLb1EES12_EEDaSX_SY_EUlSX_E_NS1_11comp_targetILNS1_3genE4ELNS1_11target_archE910ELNS1_3gpuE8ELNS1_3repE0EEENS1_30default_config_static_selectorELNS0_4arch9wavefront6targetE1EEEvT1_.has_indirect_call, 0
	.section	.AMDGPU.csdata,"",@progbits
; Kernel info:
; codeLenInByte = 0
; TotalNumSgprs: 4
; NumVgprs: 0
; ScratchSize: 0
; MemoryBound: 0
; FloatMode: 240
; IeeeMode: 1
; LDSByteSize: 0 bytes/workgroup (compile time only)
; SGPRBlocks: 0
; VGPRBlocks: 0
; NumSGPRsForWavesPerEU: 4
; NumVGPRsForWavesPerEU: 1
; Occupancy: 10
; WaveLimiterHint : 0
; COMPUTE_PGM_RSRC2:SCRATCH_EN: 0
; COMPUTE_PGM_RSRC2:USER_SGPR: 6
; COMPUTE_PGM_RSRC2:TRAP_HANDLER: 0
; COMPUTE_PGM_RSRC2:TGID_X_EN: 1
; COMPUTE_PGM_RSRC2:TGID_Y_EN: 0
; COMPUTE_PGM_RSRC2:TGID_Z_EN: 0
; COMPUTE_PGM_RSRC2:TIDIG_COMP_CNT: 0
	.section	.text._ZN7rocprim17ROCPRIM_400000_NS6detail17trampoline_kernelINS0_14default_configENS1_29reduce_by_key_config_selectorIllN6thrust23THRUST_200600_302600_NS4plusIlEEEEZZNS1_33reduce_by_key_impl_wrapped_configILNS1_25lookback_scan_determinismE0ES3_S9_PlNS6_17constant_iteratorIiNS6_11use_defaultESE_EENS6_10device_ptrIlEESH_PmS8_NS6_8equal_toIlEEEE10hipError_tPvRmT2_T3_mT4_T5_T6_T7_T8_P12ihipStream_tbENKUlT_T0_E_clISt17integral_constantIbLb1EES12_EEDaSX_SY_EUlSX_E_NS1_11comp_targetILNS1_3genE3ELNS1_11target_archE908ELNS1_3gpuE7ELNS1_3repE0EEENS1_30default_config_static_selectorELNS0_4arch9wavefront6targetE1EEEvT1_,"axG",@progbits,_ZN7rocprim17ROCPRIM_400000_NS6detail17trampoline_kernelINS0_14default_configENS1_29reduce_by_key_config_selectorIllN6thrust23THRUST_200600_302600_NS4plusIlEEEEZZNS1_33reduce_by_key_impl_wrapped_configILNS1_25lookback_scan_determinismE0ES3_S9_PlNS6_17constant_iteratorIiNS6_11use_defaultESE_EENS6_10device_ptrIlEESH_PmS8_NS6_8equal_toIlEEEE10hipError_tPvRmT2_T3_mT4_T5_T6_T7_T8_P12ihipStream_tbENKUlT_T0_E_clISt17integral_constantIbLb1EES12_EEDaSX_SY_EUlSX_E_NS1_11comp_targetILNS1_3genE3ELNS1_11target_archE908ELNS1_3gpuE7ELNS1_3repE0EEENS1_30default_config_static_selectorELNS0_4arch9wavefront6targetE1EEEvT1_,comdat
	.protected	_ZN7rocprim17ROCPRIM_400000_NS6detail17trampoline_kernelINS0_14default_configENS1_29reduce_by_key_config_selectorIllN6thrust23THRUST_200600_302600_NS4plusIlEEEEZZNS1_33reduce_by_key_impl_wrapped_configILNS1_25lookback_scan_determinismE0ES3_S9_PlNS6_17constant_iteratorIiNS6_11use_defaultESE_EENS6_10device_ptrIlEESH_PmS8_NS6_8equal_toIlEEEE10hipError_tPvRmT2_T3_mT4_T5_T6_T7_T8_P12ihipStream_tbENKUlT_T0_E_clISt17integral_constantIbLb1EES12_EEDaSX_SY_EUlSX_E_NS1_11comp_targetILNS1_3genE3ELNS1_11target_archE908ELNS1_3gpuE7ELNS1_3repE0EEENS1_30default_config_static_selectorELNS0_4arch9wavefront6targetE1EEEvT1_ ; -- Begin function _ZN7rocprim17ROCPRIM_400000_NS6detail17trampoline_kernelINS0_14default_configENS1_29reduce_by_key_config_selectorIllN6thrust23THRUST_200600_302600_NS4plusIlEEEEZZNS1_33reduce_by_key_impl_wrapped_configILNS1_25lookback_scan_determinismE0ES3_S9_PlNS6_17constant_iteratorIiNS6_11use_defaultESE_EENS6_10device_ptrIlEESH_PmS8_NS6_8equal_toIlEEEE10hipError_tPvRmT2_T3_mT4_T5_T6_T7_T8_P12ihipStream_tbENKUlT_T0_E_clISt17integral_constantIbLb1EES12_EEDaSX_SY_EUlSX_E_NS1_11comp_targetILNS1_3genE3ELNS1_11target_archE908ELNS1_3gpuE7ELNS1_3repE0EEENS1_30default_config_static_selectorELNS0_4arch9wavefront6targetE1EEEvT1_
	.globl	_ZN7rocprim17ROCPRIM_400000_NS6detail17trampoline_kernelINS0_14default_configENS1_29reduce_by_key_config_selectorIllN6thrust23THRUST_200600_302600_NS4plusIlEEEEZZNS1_33reduce_by_key_impl_wrapped_configILNS1_25lookback_scan_determinismE0ES3_S9_PlNS6_17constant_iteratorIiNS6_11use_defaultESE_EENS6_10device_ptrIlEESH_PmS8_NS6_8equal_toIlEEEE10hipError_tPvRmT2_T3_mT4_T5_T6_T7_T8_P12ihipStream_tbENKUlT_T0_E_clISt17integral_constantIbLb1EES12_EEDaSX_SY_EUlSX_E_NS1_11comp_targetILNS1_3genE3ELNS1_11target_archE908ELNS1_3gpuE7ELNS1_3repE0EEENS1_30default_config_static_selectorELNS0_4arch9wavefront6targetE1EEEvT1_
	.p2align	8
	.type	_ZN7rocprim17ROCPRIM_400000_NS6detail17trampoline_kernelINS0_14default_configENS1_29reduce_by_key_config_selectorIllN6thrust23THRUST_200600_302600_NS4plusIlEEEEZZNS1_33reduce_by_key_impl_wrapped_configILNS1_25lookback_scan_determinismE0ES3_S9_PlNS6_17constant_iteratorIiNS6_11use_defaultESE_EENS6_10device_ptrIlEESH_PmS8_NS6_8equal_toIlEEEE10hipError_tPvRmT2_T3_mT4_T5_T6_T7_T8_P12ihipStream_tbENKUlT_T0_E_clISt17integral_constantIbLb1EES12_EEDaSX_SY_EUlSX_E_NS1_11comp_targetILNS1_3genE3ELNS1_11target_archE908ELNS1_3gpuE7ELNS1_3repE0EEENS1_30default_config_static_selectorELNS0_4arch9wavefront6targetE1EEEvT1_,@function
_ZN7rocprim17ROCPRIM_400000_NS6detail17trampoline_kernelINS0_14default_configENS1_29reduce_by_key_config_selectorIllN6thrust23THRUST_200600_302600_NS4plusIlEEEEZZNS1_33reduce_by_key_impl_wrapped_configILNS1_25lookback_scan_determinismE0ES3_S9_PlNS6_17constant_iteratorIiNS6_11use_defaultESE_EENS6_10device_ptrIlEESH_PmS8_NS6_8equal_toIlEEEE10hipError_tPvRmT2_T3_mT4_T5_T6_T7_T8_P12ihipStream_tbENKUlT_T0_E_clISt17integral_constantIbLb1EES12_EEDaSX_SY_EUlSX_E_NS1_11comp_targetILNS1_3genE3ELNS1_11target_archE908ELNS1_3gpuE7ELNS1_3repE0EEENS1_30default_config_static_selectorELNS0_4arch9wavefront6targetE1EEEvT1_: ; @_ZN7rocprim17ROCPRIM_400000_NS6detail17trampoline_kernelINS0_14default_configENS1_29reduce_by_key_config_selectorIllN6thrust23THRUST_200600_302600_NS4plusIlEEEEZZNS1_33reduce_by_key_impl_wrapped_configILNS1_25lookback_scan_determinismE0ES3_S9_PlNS6_17constant_iteratorIiNS6_11use_defaultESE_EENS6_10device_ptrIlEESH_PmS8_NS6_8equal_toIlEEEE10hipError_tPvRmT2_T3_mT4_T5_T6_T7_T8_P12ihipStream_tbENKUlT_T0_E_clISt17integral_constantIbLb1EES12_EEDaSX_SY_EUlSX_E_NS1_11comp_targetILNS1_3genE3ELNS1_11target_archE908ELNS1_3gpuE7ELNS1_3repE0EEENS1_30default_config_static_selectorELNS0_4arch9wavefront6targetE1EEEvT1_
; %bb.0:
	.section	.rodata,"a",@progbits
	.p2align	6, 0x0
	.amdhsa_kernel _ZN7rocprim17ROCPRIM_400000_NS6detail17trampoline_kernelINS0_14default_configENS1_29reduce_by_key_config_selectorIllN6thrust23THRUST_200600_302600_NS4plusIlEEEEZZNS1_33reduce_by_key_impl_wrapped_configILNS1_25lookback_scan_determinismE0ES3_S9_PlNS6_17constant_iteratorIiNS6_11use_defaultESE_EENS6_10device_ptrIlEESH_PmS8_NS6_8equal_toIlEEEE10hipError_tPvRmT2_T3_mT4_T5_T6_T7_T8_P12ihipStream_tbENKUlT_T0_E_clISt17integral_constantIbLb1EES12_EEDaSX_SY_EUlSX_E_NS1_11comp_targetILNS1_3genE3ELNS1_11target_archE908ELNS1_3gpuE7ELNS1_3repE0EEENS1_30default_config_static_selectorELNS0_4arch9wavefront6targetE1EEEvT1_
		.amdhsa_group_segment_fixed_size 0
		.amdhsa_private_segment_fixed_size 0
		.amdhsa_kernarg_size 144
		.amdhsa_user_sgpr_count 6
		.amdhsa_user_sgpr_private_segment_buffer 1
		.amdhsa_user_sgpr_dispatch_ptr 0
		.amdhsa_user_sgpr_queue_ptr 0
		.amdhsa_user_sgpr_kernarg_segment_ptr 1
		.amdhsa_user_sgpr_dispatch_id 0
		.amdhsa_user_sgpr_flat_scratch_init 0
		.amdhsa_user_sgpr_private_segment_size 0
		.amdhsa_uses_dynamic_stack 0
		.amdhsa_system_sgpr_private_segment_wavefront_offset 0
		.amdhsa_system_sgpr_workgroup_id_x 1
		.amdhsa_system_sgpr_workgroup_id_y 0
		.amdhsa_system_sgpr_workgroup_id_z 0
		.amdhsa_system_sgpr_workgroup_info 0
		.amdhsa_system_vgpr_workitem_id 0
		.amdhsa_next_free_vgpr 1
		.amdhsa_next_free_sgpr 0
		.amdhsa_reserve_vcc 0
		.amdhsa_reserve_flat_scratch 0
		.amdhsa_float_round_mode_32 0
		.amdhsa_float_round_mode_16_64 0
		.amdhsa_float_denorm_mode_32 3
		.amdhsa_float_denorm_mode_16_64 3
		.amdhsa_dx10_clamp 1
		.amdhsa_ieee_mode 1
		.amdhsa_fp16_overflow 0
		.amdhsa_exception_fp_ieee_invalid_op 0
		.amdhsa_exception_fp_denorm_src 0
		.amdhsa_exception_fp_ieee_div_zero 0
		.amdhsa_exception_fp_ieee_overflow 0
		.amdhsa_exception_fp_ieee_underflow 0
		.amdhsa_exception_fp_ieee_inexact 0
		.amdhsa_exception_int_div_zero 0
	.end_amdhsa_kernel
	.section	.text._ZN7rocprim17ROCPRIM_400000_NS6detail17trampoline_kernelINS0_14default_configENS1_29reduce_by_key_config_selectorIllN6thrust23THRUST_200600_302600_NS4plusIlEEEEZZNS1_33reduce_by_key_impl_wrapped_configILNS1_25lookback_scan_determinismE0ES3_S9_PlNS6_17constant_iteratorIiNS6_11use_defaultESE_EENS6_10device_ptrIlEESH_PmS8_NS6_8equal_toIlEEEE10hipError_tPvRmT2_T3_mT4_T5_T6_T7_T8_P12ihipStream_tbENKUlT_T0_E_clISt17integral_constantIbLb1EES12_EEDaSX_SY_EUlSX_E_NS1_11comp_targetILNS1_3genE3ELNS1_11target_archE908ELNS1_3gpuE7ELNS1_3repE0EEENS1_30default_config_static_selectorELNS0_4arch9wavefront6targetE1EEEvT1_,"axG",@progbits,_ZN7rocprim17ROCPRIM_400000_NS6detail17trampoline_kernelINS0_14default_configENS1_29reduce_by_key_config_selectorIllN6thrust23THRUST_200600_302600_NS4plusIlEEEEZZNS1_33reduce_by_key_impl_wrapped_configILNS1_25lookback_scan_determinismE0ES3_S9_PlNS6_17constant_iteratorIiNS6_11use_defaultESE_EENS6_10device_ptrIlEESH_PmS8_NS6_8equal_toIlEEEE10hipError_tPvRmT2_T3_mT4_T5_T6_T7_T8_P12ihipStream_tbENKUlT_T0_E_clISt17integral_constantIbLb1EES12_EEDaSX_SY_EUlSX_E_NS1_11comp_targetILNS1_3genE3ELNS1_11target_archE908ELNS1_3gpuE7ELNS1_3repE0EEENS1_30default_config_static_selectorELNS0_4arch9wavefront6targetE1EEEvT1_,comdat
.Lfunc_end1216:
	.size	_ZN7rocprim17ROCPRIM_400000_NS6detail17trampoline_kernelINS0_14default_configENS1_29reduce_by_key_config_selectorIllN6thrust23THRUST_200600_302600_NS4plusIlEEEEZZNS1_33reduce_by_key_impl_wrapped_configILNS1_25lookback_scan_determinismE0ES3_S9_PlNS6_17constant_iteratorIiNS6_11use_defaultESE_EENS6_10device_ptrIlEESH_PmS8_NS6_8equal_toIlEEEE10hipError_tPvRmT2_T3_mT4_T5_T6_T7_T8_P12ihipStream_tbENKUlT_T0_E_clISt17integral_constantIbLb1EES12_EEDaSX_SY_EUlSX_E_NS1_11comp_targetILNS1_3genE3ELNS1_11target_archE908ELNS1_3gpuE7ELNS1_3repE0EEENS1_30default_config_static_selectorELNS0_4arch9wavefront6targetE1EEEvT1_, .Lfunc_end1216-_ZN7rocprim17ROCPRIM_400000_NS6detail17trampoline_kernelINS0_14default_configENS1_29reduce_by_key_config_selectorIllN6thrust23THRUST_200600_302600_NS4plusIlEEEEZZNS1_33reduce_by_key_impl_wrapped_configILNS1_25lookback_scan_determinismE0ES3_S9_PlNS6_17constant_iteratorIiNS6_11use_defaultESE_EENS6_10device_ptrIlEESH_PmS8_NS6_8equal_toIlEEEE10hipError_tPvRmT2_T3_mT4_T5_T6_T7_T8_P12ihipStream_tbENKUlT_T0_E_clISt17integral_constantIbLb1EES12_EEDaSX_SY_EUlSX_E_NS1_11comp_targetILNS1_3genE3ELNS1_11target_archE908ELNS1_3gpuE7ELNS1_3repE0EEENS1_30default_config_static_selectorELNS0_4arch9wavefront6targetE1EEEvT1_
                                        ; -- End function
	.set _ZN7rocprim17ROCPRIM_400000_NS6detail17trampoline_kernelINS0_14default_configENS1_29reduce_by_key_config_selectorIllN6thrust23THRUST_200600_302600_NS4plusIlEEEEZZNS1_33reduce_by_key_impl_wrapped_configILNS1_25lookback_scan_determinismE0ES3_S9_PlNS6_17constant_iteratorIiNS6_11use_defaultESE_EENS6_10device_ptrIlEESH_PmS8_NS6_8equal_toIlEEEE10hipError_tPvRmT2_T3_mT4_T5_T6_T7_T8_P12ihipStream_tbENKUlT_T0_E_clISt17integral_constantIbLb1EES12_EEDaSX_SY_EUlSX_E_NS1_11comp_targetILNS1_3genE3ELNS1_11target_archE908ELNS1_3gpuE7ELNS1_3repE0EEENS1_30default_config_static_selectorELNS0_4arch9wavefront6targetE1EEEvT1_.num_vgpr, 0
	.set _ZN7rocprim17ROCPRIM_400000_NS6detail17trampoline_kernelINS0_14default_configENS1_29reduce_by_key_config_selectorIllN6thrust23THRUST_200600_302600_NS4plusIlEEEEZZNS1_33reduce_by_key_impl_wrapped_configILNS1_25lookback_scan_determinismE0ES3_S9_PlNS6_17constant_iteratorIiNS6_11use_defaultESE_EENS6_10device_ptrIlEESH_PmS8_NS6_8equal_toIlEEEE10hipError_tPvRmT2_T3_mT4_T5_T6_T7_T8_P12ihipStream_tbENKUlT_T0_E_clISt17integral_constantIbLb1EES12_EEDaSX_SY_EUlSX_E_NS1_11comp_targetILNS1_3genE3ELNS1_11target_archE908ELNS1_3gpuE7ELNS1_3repE0EEENS1_30default_config_static_selectorELNS0_4arch9wavefront6targetE1EEEvT1_.num_agpr, 0
	.set _ZN7rocprim17ROCPRIM_400000_NS6detail17trampoline_kernelINS0_14default_configENS1_29reduce_by_key_config_selectorIllN6thrust23THRUST_200600_302600_NS4plusIlEEEEZZNS1_33reduce_by_key_impl_wrapped_configILNS1_25lookback_scan_determinismE0ES3_S9_PlNS6_17constant_iteratorIiNS6_11use_defaultESE_EENS6_10device_ptrIlEESH_PmS8_NS6_8equal_toIlEEEE10hipError_tPvRmT2_T3_mT4_T5_T6_T7_T8_P12ihipStream_tbENKUlT_T0_E_clISt17integral_constantIbLb1EES12_EEDaSX_SY_EUlSX_E_NS1_11comp_targetILNS1_3genE3ELNS1_11target_archE908ELNS1_3gpuE7ELNS1_3repE0EEENS1_30default_config_static_selectorELNS0_4arch9wavefront6targetE1EEEvT1_.numbered_sgpr, 0
	.set _ZN7rocprim17ROCPRIM_400000_NS6detail17trampoline_kernelINS0_14default_configENS1_29reduce_by_key_config_selectorIllN6thrust23THRUST_200600_302600_NS4plusIlEEEEZZNS1_33reduce_by_key_impl_wrapped_configILNS1_25lookback_scan_determinismE0ES3_S9_PlNS6_17constant_iteratorIiNS6_11use_defaultESE_EENS6_10device_ptrIlEESH_PmS8_NS6_8equal_toIlEEEE10hipError_tPvRmT2_T3_mT4_T5_T6_T7_T8_P12ihipStream_tbENKUlT_T0_E_clISt17integral_constantIbLb1EES12_EEDaSX_SY_EUlSX_E_NS1_11comp_targetILNS1_3genE3ELNS1_11target_archE908ELNS1_3gpuE7ELNS1_3repE0EEENS1_30default_config_static_selectorELNS0_4arch9wavefront6targetE1EEEvT1_.num_named_barrier, 0
	.set _ZN7rocprim17ROCPRIM_400000_NS6detail17trampoline_kernelINS0_14default_configENS1_29reduce_by_key_config_selectorIllN6thrust23THRUST_200600_302600_NS4plusIlEEEEZZNS1_33reduce_by_key_impl_wrapped_configILNS1_25lookback_scan_determinismE0ES3_S9_PlNS6_17constant_iteratorIiNS6_11use_defaultESE_EENS6_10device_ptrIlEESH_PmS8_NS6_8equal_toIlEEEE10hipError_tPvRmT2_T3_mT4_T5_T6_T7_T8_P12ihipStream_tbENKUlT_T0_E_clISt17integral_constantIbLb1EES12_EEDaSX_SY_EUlSX_E_NS1_11comp_targetILNS1_3genE3ELNS1_11target_archE908ELNS1_3gpuE7ELNS1_3repE0EEENS1_30default_config_static_selectorELNS0_4arch9wavefront6targetE1EEEvT1_.private_seg_size, 0
	.set _ZN7rocprim17ROCPRIM_400000_NS6detail17trampoline_kernelINS0_14default_configENS1_29reduce_by_key_config_selectorIllN6thrust23THRUST_200600_302600_NS4plusIlEEEEZZNS1_33reduce_by_key_impl_wrapped_configILNS1_25lookback_scan_determinismE0ES3_S9_PlNS6_17constant_iteratorIiNS6_11use_defaultESE_EENS6_10device_ptrIlEESH_PmS8_NS6_8equal_toIlEEEE10hipError_tPvRmT2_T3_mT4_T5_T6_T7_T8_P12ihipStream_tbENKUlT_T0_E_clISt17integral_constantIbLb1EES12_EEDaSX_SY_EUlSX_E_NS1_11comp_targetILNS1_3genE3ELNS1_11target_archE908ELNS1_3gpuE7ELNS1_3repE0EEENS1_30default_config_static_selectorELNS0_4arch9wavefront6targetE1EEEvT1_.uses_vcc, 0
	.set _ZN7rocprim17ROCPRIM_400000_NS6detail17trampoline_kernelINS0_14default_configENS1_29reduce_by_key_config_selectorIllN6thrust23THRUST_200600_302600_NS4plusIlEEEEZZNS1_33reduce_by_key_impl_wrapped_configILNS1_25lookback_scan_determinismE0ES3_S9_PlNS6_17constant_iteratorIiNS6_11use_defaultESE_EENS6_10device_ptrIlEESH_PmS8_NS6_8equal_toIlEEEE10hipError_tPvRmT2_T3_mT4_T5_T6_T7_T8_P12ihipStream_tbENKUlT_T0_E_clISt17integral_constantIbLb1EES12_EEDaSX_SY_EUlSX_E_NS1_11comp_targetILNS1_3genE3ELNS1_11target_archE908ELNS1_3gpuE7ELNS1_3repE0EEENS1_30default_config_static_selectorELNS0_4arch9wavefront6targetE1EEEvT1_.uses_flat_scratch, 0
	.set _ZN7rocprim17ROCPRIM_400000_NS6detail17trampoline_kernelINS0_14default_configENS1_29reduce_by_key_config_selectorIllN6thrust23THRUST_200600_302600_NS4plusIlEEEEZZNS1_33reduce_by_key_impl_wrapped_configILNS1_25lookback_scan_determinismE0ES3_S9_PlNS6_17constant_iteratorIiNS6_11use_defaultESE_EENS6_10device_ptrIlEESH_PmS8_NS6_8equal_toIlEEEE10hipError_tPvRmT2_T3_mT4_T5_T6_T7_T8_P12ihipStream_tbENKUlT_T0_E_clISt17integral_constantIbLb1EES12_EEDaSX_SY_EUlSX_E_NS1_11comp_targetILNS1_3genE3ELNS1_11target_archE908ELNS1_3gpuE7ELNS1_3repE0EEENS1_30default_config_static_selectorELNS0_4arch9wavefront6targetE1EEEvT1_.has_dyn_sized_stack, 0
	.set _ZN7rocprim17ROCPRIM_400000_NS6detail17trampoline_kernelINS0_14default_configENS1_29reduce_by_key_config_selectorIllN6thrust23THRUST_200600_302600_NS4plusIlEEEEZZNS1_33reduce_by_key_impl_wrapped_configILNS1_25lookback_scan_determinismE0ES3_S9_PlNS6_17constant_iteratorIiNS6_11use_defaultESE_EENS6_10device_ptrIlEESH_PmS8_NS6_8equal_toIlEEEE10hipError_tPvRmT2_T3_mT4_T5_T6_T7_T8_P12ihipStream_tbENKUlT_T0_E_clISt17integral_constantIbLb1EES12_EEDaSX_SY_EUlSX_E_NS1_11comp_targetILNS1_3genE3ELNS1_11target_archE908ELNS1_3gpuE7ELNS1_3repE0EEENS1_30default_config_static_selectorELNS0_4arch9wavefront6targetE1EEEvT1_.has_recursion, 0
	.set _ZN7rocprim17ROCPRIM_400000_NS6detail17trampoline_kernelINS0_14default_configENS1_29reduce_by_key_config_selectorIllN6thrust23THRUST_200600_302600_NS4plusIlEEEEZZNS1_33reduce_by_key_impl_wrapped_configILNS1_25lookback_scan_determinismE0ES3_S9_PlNS6_17constant_iteratorIiNS6_11use_defaultESE_EENS6_10device_ptrIlEESH_PmS8_NS6_8equal_toIlEEEE10hipError_tPvRmT2_T3_mT4_T5_T6_T7_T8_P12ihipStream_tbENKUlT_T0_E_clISt17integral_constantIbLb1EES12_EEDaSX_SY_EUlSX_E_NS1_11comp_targetILNS1_3genE3ELNS1_11target_archE908ELNS1_3gpuE7ELNS1_3repE0EEENS1_30default_config_static_selectorELNS0_4arch9wavefront6targetE1EEEvT1_.has_indirect_call, 0
	.section	.AMDGPU.csdata,"",@progbits
; Kernel info:
; codeLenInByte = 0
; TotalNumSgprs: 4
; NumVgprs: 0
; ScratchSize: 0
; MemoryBound: 0
; FloatMode: 240
; IeeeMode: 1
; LDSByteSize: 0 bytes/workgroup (compile time only)
; SGPRBlocks: 0
; VGPRBlocks: 0
; NumSGPRsForWavesPerEU: 4
; NumVGPRsForWavesPerEU: 1
; Occupancy: 10
; WaveLimiterHint : 0
; COMPUTE_PGM_RSRC2:SCRATCH_EN: 0
; COMPUTE_PGM_RSRC2:USER_SGPR: 6
; COMPUTE_PGM_RSRC2:TRAP_HANDLER: 0
; COMPUTE_PGM_RSRC2:TGID_X_EN: 1
; COMPUTE_PGM_RSRC2:TGID_Y_EN: 0
; COMPUTE_PGM_RSRC2:TGID_Z_EN: 0
; COMPUTE_PGM_RSRC2:TIDIG_COMP_CNT: 0
	.section	.text._ZN7rocprim17ROCPRIM_400000_NS6detail17trampoline_kernelINS0_14default_configENS1_29reduce_by_key_config_selectorIllN6thrust23THRUST_200600_302600_NS4plusIlEEEEZZNS1_33reduce_by_key_impl_wrapped_configILNS1_25lookback_scan_determinismE0ES3_S9_PlNS6_17constant_iteratorIiNS6_11use_defaultESE_EENS6_10device_ptrIlEESH_PmS8_NS6_8equal_toIlEEEE10hipError_tPvRmT2_T3_mT4_T5_T6_T7_T8_P12ihipStream_tbENKUlT_T0_E_clISt17integral_constantIbLb1EES12_EEDaSX_SY_EUlSX_E_NS1_11comp_targetILNS1_3genE2ELNS1_11target_archE906ELNS1_3gpuE6ELNS1_3repE0EEENS1_30default_config_static_selectorELNS0_4arch9wavefront6targetE1EEEvT1_,"axG",@progbits,_ZN7rocprim17ROCPRIM_400000_NS6detail17trampoline_kernelINS0_14default_configENS1_29reduce_by_key_config_selectorIllN6thrust23THRUST_200600_302600_NS4plusIlEEEEZZNS1_33reduce_by_key_impl_wrapped_configILNS1_25lookback_scan_determinismE0ES3_S9_PlNS6_17constant_iteratorIiNS6_11use_defaultESE_EENS6_10device_ptrIlEESH_PmS8_NS6_8equal_toIlEEEE10hipError_tPvRmT2_T3_mT4_T5_T6_T7_T8_P12ihipStream_tbENKUlT_T0_E_clISt17integral_constantIbLb1EES12_EEDaSX_SY_EUlSX_E_NS1_11comp_targetILNS1_3genE2ELNS1_11target_archE906ELNS1_3gpuE6ELNS1_3repE0EEENS1_30default_config_static_selectorELNS0_4arch9wavefront6targetE1EEEvT1_,comdat
	.protected	_ZN7rocprim17ROCPRIM_400000_NS6detail17trampoline_kernelINS0_14default_configENS1_29reduce_by_key_config_selectorIllN6thrust23THRUST_200600_302600_NS4plusIlEEEEZZNS1_33reduce_by_key_impl_wrapped_configILNS1_25lookback_scan_determinismE0ES3_S9_PlNS6_17constant_iteratorIiNS6_11use_defaultESE_EENS6_10device_ptrIlEESH_PmS8_NS6_8equal_toIlEEEE10hipError_tPvRmT2_T3_mT4_T5_T6_T7_T8_P12ihipStream_tbENKUlT_T0_E_clISt17integral_constantIbLb1EES12_EEDaSX_SY_EUlSX_E_NS1_11comp_targetILNS1_3genE2ELNS1_11target_archE906ELNS1_3gpuE6ELNS1_3repE0EEENS1_30default_config_static_selectorELNS0_4arch9wavefront6targetE1EEEvT1_ ; -- Begin function _ZN7rocprim17ROCPRIM_400000_NS6detail17trampoline_kernelINS0_14default_configENS1_29reduce_by_key_config_selectorIllN6thrust23THRUST_200600_302600_NS4plusIlEEEEZZNS1_33reduce_by_key_impl_wrapped_configILNS1_25lookback_scan_determinismE0ES3_S9_PlNS6_17constant_iteratorIiNS6_11use_defaultESE_EENS6_10device_ptrIlEESH_PmS8_NS6_8equal_toIlEEEE10hipError_tPvRmT2_T3_mT4_T5_T6_T7_T8_P12ihipStream_tbENKUlT_T0_E_clISt17integral_constantIbLb1EES12_EEDaSX_SY_EUlSX_E_NS1_11comp_targetILNS1_3genE2ELNS1_11target_archE906ELNS1_3gpuE6ELNS1_3repE0EEENS1_30default_config_static_selectorELNS0_4arch9wavefront6targetE1EEEvT1_
	.globl	_ZN7rocprim17ROCPRIM_400000_NS6detail17trampoline_kernelINS0_14default_configENS1_29reduce_by_key_config_selectorIllN6thrust23THRUST_200600_302600_NS4plusIlEEEEZZNS1_33reduce_by_key_impl_wrapped_configILNS1_25lookback_scan_determinismE0ES3_S9_PlNS6_17constant_iteratorIiNS6_11use_defaultESE_EENS6_10device_ptrIlEESH_PmS8_NS6_8equal_toIlEEEE10hipError_tPvRmT2_T3_mT4_T5_T6_T7_T8_P12ihipStream_tbENKUlT_T0_E_clISt17integral_constantIbLb1EES12_EEDaSX_SY_EUlSX_E_NS1_11comp_targetILNS1_3genE2ELNS1_11target_archE906ELNS1_3gpuE6ELNS1_3repE0EEENS1_30default_config_static_selectorELNS0_4arch9wavefront6targetE1EEEvT1_
	.p2align	8
	.type	_ZN7rocprim17ROCPRIM_400000_NS6detail17trampoline_kernelINS0_14default_configENS1_29reduce_by_key_config_selectorIllN6thrust23THRUST_200600_302600_NS4plusIlEEEEZZNS1_33reduce_by_key_impl_wrapped_configILNS1_25lookback_scan_determinismE0ES3_S9_PlNS6_17constant_iteratorIiNS6_11use_defaultESE_EENS6_10device_ptrIlEESH_PmS8_NS6_8equal_toIlEEEE10hipError_tPvRmT2_T3_mT4_T5_T6_T7_T8_P12ihipStream_tbENKUlT_T0_E_clISt17integral_constantIbLb1EES12_EEDaSX_SY_EUlSX_E_NS1_11comp_targetILNS1_3genE2ELNS1_11target_archE906ELNS1_3gpuE6ELNS1_3repE0EEENS1_30default_config_static_selectorELNS0_4arch9wavefront6targetE1EEEvT1_,@function
_ZN7rocprim17ROCPRIM_400000_NS6detail17trampoline_kernelINS0_14default_configENS1_29reduce_by_key_config_selectorIllN6thrust23THRUST_200600_302600_NS4plusIlEEEEZZNS1_33reduce_by_key_impl_wrapped_configILNS1_25lookback_scan_determinismE0ES3_S9_PlNS6_17constant_iteratorIiNS6_11use_defaultESE_EENS6_10device_ptrIlEESH_PmS8_NS6_8equal_toIlEEEE10hipError_tPvRmT2_T3_mT4_T5_T6_T7_T8_P12ihipStream_tbENKUlT_T0_E_clISt17integral_constantIbLb1EES12_EEDaSX_SY_EUlSX_E_NS1_11comp_targetILNS1_3genE2ELNS1_11target_archE906ELNS1_3gpuE6ELNS1_3repE0EEENS1_30default_config_static_selectorELNS0_4arch9wavefront6targetE1EEEvT1_: ; @_ZN7rocprim17ROCPRIM_400000_NS6detail17trampoline_kernelINS0_14default_configENS1_29reduce_by_key_config_selectorIllN6thrust23THRUST_200600_302600_NS4plusIlEEEEZZNS1_33reduce_by_key_impl_wrapped_configILNS1_25lookback_scan_determinismE0ES3_S9_PlNS6_17constant_iteratorIiNS6_11use_defaultESE_EENS6_10device_ptrIlEESH_PmS8_NS6_8equal_toIlEEEE10hipError_tPvRmT2_T3_mT4_T5_T6_T7_T8_P12ihipStream_tbENKUlT_T0_E_clISt17integral_constantIbLb1EES12_EEDaSX_SY_EUlSX_E_NS1_11comp_targetILNS1_3genE2ELNS1_11target_archE906ELNS1_3gpuE6ELNS1_3repE0EEENS1_30default_config_static_selectorELNS0_4arch9wavefront6targetE1EEEvT1_
; %bb.0:
	s_endpgm
	.section	.rodata,"a",@progbits
	.p2align	6, 0x0
	.amdhsa_kernel _ZN7rocprim17ROCPRIM_400000_NS6detail17trampoline_kernelINS0_14default_configENS1_29reduce_by_key_config_selectorIllN6thrust23THRUST_200600_302600_NS4plusIlEEEEZZNS1_33reduce_by_key_impl_wrapped_configILNS1_25lookback_scan_determinismE0ES3_S9_PlNS6_17constant_iteratorIiNS6_11use_defaultESE_EENS6_10device_ptrIlEESH_PmS8_NS6_8equal_toIlEEEE10hipError_tPvRmT2_T3_mT4_T5_T6_T7_T8_P12ihipStream_tbENKUlT_T0_E_clISt17integral_constantIbLb1EES12_EEDaSX_SY_EUlSX_E_NS1_11comp_targetILNS1_3genE2ELNS1_11target_archE906ELNS1_3gpuE6ELNS1_3repE0EEENS1_30default_config_static_selectorELNS0_4arch9wavefront6targetE1EEEvT1_
		.amdhsa_group_segment_fixed_size 0
		.amdhsa_private_segment_fixed_size 0
		.amdhsa_kernarg_size 144
		.amdhsa_user_sgpr_count 6
		.amdhsa_user_sgpr_private_segment_buffer 1
		.amdhsa_user_sgpr_dispatch_ptr 0
		.amdhsa_user_sgpr_queue_ptr 0
		.amdhsa_user_sgpr_kernarg_segment_ptr 1
		.amdhsa_user_sgpr_dispatch_id 0
		.amdhsa_user_sgpr_flat_scratch_init 0
		.amdhsa_user_sgpr_private_segment_size 0
		.amdhsa_uses_dynamic_stack 0
		.amdhsa_system_sgpr_private_segment_wavefront_offset 0
		.amdhsa_system_sgpr_workgroup_id_x 1
		.amdhsa_system_sgpr_workgroup_id_y 0
		.amdhsa_system_sgpr_workgroup_id_z 0
		.amdhsa_system_sgpr_workgroup_info 0
		.amdhsa_system_vgpr_workitem_id 0
		.amdhsa_next_free_vgpr 1
		.amdhsa_next_free_sgpr 0
		.amdhsa_reserve_vcc 0
		.amdhsa_reserve_flat_scratch 0
		.amdhsa_float_round_mode_32 0
		.amdhsa_float_round_mode_16_64 0
		.amdhsa_float_denorm_mode_32 3
		.amdhsa_float_denorm_mode_16_64 3
		.amdhsa_dx10_clamp 1
		.amdhsa_ieee_mode 1
		.amdhsa_fp16_overflow 0
		.amdhsa_exception_fp_ieee_invalid_op 0
		.amdhsa_exception_fp_denorm_src 0
		.amdhsa_exception_fp_ieee_div_zero 0
		.amdhsa_exception_fp_ieee_overflow 0
		.amdhsa_exception_fp_ieee_underflow 0
		.amdhsa_exception_fp_ieee_inexact 0
		.amdhsa_exception_int_div_zero 0
	.end_amdhsa_kernel
	.section	.text._ZN7rocprim17ROCPRIM_400000_NS6detail17trampoline_kernelINS0_14default_configENS1_29reduce_by_key_config_selectorIllN6thrust23THRUST_200600_302600_NS4plusIlEEEEZZNS1_33reduce_by_key_impl_wrapped_configILNS1_25lookback_scan_determinismE0ES3_S9_PlNS6_17constant_iteratorIiNS6_11use_defaultESE_EENS6_10device_ptrIlEESH_PmS8_NS6_8equal_toIlEEEE10hipError_tPvRmT2_T3_mT4_T5_T6_T7_T8_P12ihipStream_tbENKUlT_T0_E_clISt17integral_constantIbLb1EES12_EEDaSX_SY_EUlSX_E_NS1_11comp_targetILNS1_3genE2ELNS1_11target_archE906ELNS1_3gpuE6ELNS1_3repE0EEENS1_30default_config_static_selectorELNS0_4arch9wavefront6targetE1EEEvT1_,"axG",@progbits,_ZN7rocprim17ROCPRIM_400000_NS6detail17trampoline_kernelINS0_14default_configENS1_29reduce_by_key_config_selectorIllN6thrust23THRUST_200600_302600_NS4plusIlEEEEZZNS1_33reduce_by_key_impl_wrapped_configILNS1_25lookback_scan_determinismE0ES3_S9_PlNS6_17constant_iteratorIiNS6_11use_defaultESE_EENS6_10device_ptrIlEESH_PmS8_NS6_8equal_toIlEEEE10hipError_tPvRmT2_T3_mT4_T5_T6_T7_T8_P12ihipStream_tbENKUlT_T0_E_clISt17integral_constantIbLb1EES12_EEDaSX_SY_EUlSX_E_NS1_11comp_targetILNS1_3genE2ELNS1_11target_archE906ELNS1_3gpuE6ELNS1_3repE0EEENS1_30default_config_static_selectorELNS0_4arch9wavefront6targetE1EEEvT1_,comdat
.Lfunc_end1217:
	.size	_ZN7rocprim17ROCPRIM_400000_NS6detail17trampoline_kernelINS0_14default_configENS1_29reduce_by_key_config_selectorIllN6thrust23THRUST_200600_302600_NS4plusIlEEEEZZNS1_33reduce_by_key_impl_wrapped_configILNS1_25lookback_scan_determinismE0ES3_S9_PlNS6_17constant_iteratorIiNS6_11use_defaultESE_EENS6_10device_ptrIlEESH_PmS8_NS6_8equal_toIlEEEE10hipError_tPvRmT2_T3_mT4_T5_T6_T7_T8_P12ihipStream_tbENKUlT_T0_E_clISt17integral_constantIbLb1EES12_EEDaSX_SY_EUlSX_E_NS1_11comp_targetILNS1_3genE2ELNS1_11target_archE906ELNS1_3gpuE6ELNS1_3repE0EEENS1_30default_config_static_selectorELNS0_4arch9wavefront6targetE1EEEvT1_, .Lfunc_end1217-_ZN7rocprim17ROCPRIM_400000_NS6detail17trampoline_kernelINS0_14default_configENS1_29reduce_by_key_config_selectorIllN6thrust23THRUST_200600_302600_NS4plusIlEEEEZZNS1_33reduce_by_key_impl_wrapped_configILNS1_25lookback_scan_determinismE0ES3_S9_PlNS6_17constant_iteratorIiNS6_11use_defaultESE_EENS6_10device_ptrIlEESH_PmS8_NS6_8equal_toIlEEEE10hipError_tPvRmT2_T3_mT4_T5_T6_T7_T8_P12ihipStream_tbENKUlT_T0_E_clISt17integral_constantIbLb1EES12_EEDaSX_SY_EUlSX_E_NS1_11comp_targetILNS1_3genE2ELNS1_11target_archE906ELNS1_3gpuE6ELNS1_3repE0EEENS1_30default_config_static_selectorELNS0_4arch9wavefront6targetE1EEEvT1_
                                        ; -- End function
	.set _ZN7rocprim17ROCPRIM_400000_NS6detail17trampoline_kernelINS0_14default_configENS1_29reduce_by_key_config_selectorIllN6thrust23THRUST_200600_302600_NS4plusIlEEEEZZNS1_33reduce_by_key_impl_wrapped_configILNS1_25lookback_scan_determinismE0ES3_S9_PlNS6_17constant_iteratorIiNS6_11use_defaultESE_EENS6_10device_ptrIlEESH_PmS8_NS6_8equal_toIlEEEE10hipError_tPvRmT2_T3_mT4_T5_T6_T7_T8_P12ihipStream_tbENKUlT_T0_E_clISt17integral_constantIbLb1EES12_EEDaSX_SY_EUlSX_E_NS1_11comp_targetILNS1_3genE2ELNS1_11target_archE906ELNS1_3gpuE6ELNS1_3repE0EEENS1_30default_config_static_selectorELNS0_4arch9wavefront6targetE1EEEvT1_.num_vgpr, 0
	.set _ZN7rocprim17ROCPRIM_400000_NS6detail17trampoline_kernelINS0_14default_configENS1_29reduce_by_key_config_selectorIllN6thrust23THRUST_200600_302600_NS4plusIlEEEEZZNS1_33reduce_by_key_impl_wrapped_configILNS1_25lookback_scan_determinismE0ES3_S9_PlNS6_17constant_iteratorIiNS6_11use_defaultESE_EENS6_10device_ptrIlEESH_PmS8_NS6_8equal_toIlEEEE10hipError_tPvRmT2_T3_mT4_T5_T6_T7_T8_P12ihipStream_tbENKUlT_T0_E_clISt17integral_constantIbLb1EES12_EEDaSX_SY_EUlSX_E_NS1_11comp_targetILNS1_3genE2ELNS1_11target_archE906ELNS1_3gpuE6ELNS1_3repE0EEENS1_30default_config_static_selectorELNS0_4arch9wavefront6targetE1EEEvT1_.num_agpr, 0
	.set _ZN7rocprim17ROCPRIM_400000_NS6detail17trampoline_kernelINS0_14default_configENS1_29reduce_by_key_config_selectorIllN6thrust23THRUST_200600_302600_NS4plusIlEEEEZZNS1_33reduce_by_key_impl_wrapped_configILNS1_25lookback_scan_determinismE0ES3_S9_PlNS6_17constant_iteratorIiNS6_11use_defaultESE_EENS6_10device_ptrIlEESH_PmS8_NS6_8equal_toIlEEEE10hipError_tPvRmT2_T3_mT4_T5_T6_T7_T8_P12ihipStream_tbENKUlT_T0_E_clISt17integral_constantIbLb1EES12_EEDaSX_SY_EUlSX_E_NS1_11comp_targetILNS1_3genE2ELNS1_11target_archE906ELNS1_3gpuE6ELNS1_3repE0EEENS1_30default_config_static_selectorELNS0_4arch9wavefront6targetE1EEEvT1_.numbered_sgpr, 0
	.set _ZN7rocprim17ROCPRIM_400000_NS6detail17trampoline_kernelINS0_14default_configENS1_29reduce_by_key_config_selectorIllN6thrust23THRUST_200600_302600_NS4plusIlEEEEZZNS1_33reduce_by_key_impl_wrapped_configILNS1_25lookback_scan_determinismE0ES3_S9_PlNS6_17constant_iteratorIiNS6_11use_defaultESE_EENS6_10device_ptrIlEESH_PmS8_NS6_8equal_toIlEEEE10hipError_tPvRmT2_T3_mT4_T5_T6_T7_T8_P12ihipStream_tbENKUlT_T0_E_clISt17integral_constantIbLb1EES12_EEDaSX_SY_EUlSX_E_NS1_11comp_targetILNS1_3genE2ELNS1_11target_archE906ELNS1_3gpuE6ELNS1_3repE0EEENS1_30default_config_static_selectorELNS0_4arch9wavefront6targetE1EEEvT1_.num_named_barrier, 0
	.set _ZN7rocprim17ROCPRIM_400000_NS6detail17trampoline_kernelINS0_14default_configENS1_29reduce_by_key_config_selectorIllN6thrust23THRUST_200600_302600_NS4plusIlEEEEZZNS1_33reduce_by_key_impl_wrapped_configILNS1_25lookback_scan_determinismE0ES3_S9_PlNS6_17constant_iteratorIiNS6_11use_defaultESE_EENS6_10device_ptrIlEESH_PmS8_NS6_8equal_toIlEEEE10hipError_tPvRmT2_T3_mT4_T5_T6_T7_T8_P12ihipStream_tbENKUlT_T0_E_clISt17integral_constantIbLb1EES12_EEDaSX_SY_EUlSX_E_NS1_11comp_targetILNS1_3genE2ELNS1_11target_archE906ELNS1_3gpuE6ELNS1_3repE0EEENS1_30default_config_static_selectorELNS0_4arch9wavefront6targetE1EEEvT1_.private_seg_size, 0
	.set _ZN7rocprim17ROCPRIM_400000_NS6detail17trampoline_kernelINS0_14default_configENS1_29reduce_by_key_config_selectorIllN6thrust23THRUST_200600_302600_NS4plusIlEEEEZZNS1_33reduce_by_key_impl_wrapped_configILNS1_25lookback_scan_determinismE0ES3_S9_PlNS6_17constant_iteratorIiNS6_11use_defaultESE_EENS6_10device_ptrIlEESH_PmS8_NS6_8equal_toIlEEEE10hipError_tPvRmT2_T3_mT4_T5_T6_T7_T8_P12ihipStream_tbENKUlT_T0_E_clISt17integral_constantIbLb1EES12_EEDaSX_SY_EUlSX_E_NS1_11comp_targetILNS1_3genE2ELNS1_11target_archE906ELNS1_3gpuE6ELNS1_3repE0EEENS1_30default_config_static_selectorELNS0_4arch9wavefront6targetE1EEEvT1_.uses_vcc, 0
	.set _ZN7rocprim17ROCPRIM_400000_NS6detail17trampoline_kernelINS0_14default_configENS1_29reduce_by_key_config_selectorIllN6thrust23THRUST_200600_302600_NS4plusIlEEEEZZNS1_33reduce_by_key_impl_wrapped_configILNS1_25lookback_scan_determinismE0ES3_S9_PlNS6_17constant_iteratorIiNS6_11use_defaultESE_EENS6_10device_ptrIlEESH_PmS8_NS6_8equal_toIlEEEE10hipError_tPvRmT2_T3_mT4_T5_T6_T7_T8_P12ihipStream_tbENKUlT_T0_E_clISt17integral_constantIbLb1EES12_EEDaSX_SY_EUlSX_E_NS1_11comp_targetILNS1_3genE2ELNS1_11target_archE906ELNS1_3gpuE6ELNS1_3repE0EEENS1_30default_config_static_selectorELNS0_4arch9wavefront6targetE1EEEvT1_.uses_flat_scratch, 0
	.set _ZN7rocprim17ROCPRIM_400000_NS6detail17trampoline_kernelINS0_14default_configENS1_29reduce_by_key_config_selectorIllN6thrust23THRUST_200600_302600_NS4plusIlEEEEZZNS1_33reduce_by_key_impl_wrapped_configILNS1_25lookback_scan_determinismE0ES3_S9_PlNS6_17constant_iteratorIiNS6_11use_defaultESE_EENS6_10device_ptrIlEESH_PmS8_NS6_8equal_toIlEEEE10hipError_tPvRmT2_T3_mT4_T5_T6_T7_T8_P12ihipStream_tbENKUlT_T0_E_clISt17integral_constantIbLb1EES12_EEDaSX_SY_EUlSX_E_NS1_11comp_targetILNS1_3genE2ELNS1_11target_archE906ELNS1_3gpuE6ELNS1_3repE0EEENS1_30default_config_static_selectorELNS0_4arch9wavefront6targetE1EEEvT1_.has_dyn_sized_stack, 0
	.set _ZN7rocprim17ROCPRIM_400000_NS6detail17trampoline_kernelINS0_14default_configENS1_29reduce_by_key_config_selectorIllN6thrust23THRUST_200600_302600_NS4plusIlEEEEZZNS1_33reduce_by_key_impl_wrapped_configILNS1_25lookback_scan_determinismE0ES3_S9_PlNS6_17constant_iteratorIiNS6_11use_defaultESE_EENS6_10device_ptrIlEESH_PmS8_NS6_8equal_toIlEEEE10hipError_tPvRmT2_T3_mT4_T5_T6_T7_T8_P12ihipStream_tbENKUlT_T0_E_clISt17integral_constantIbLb1EES12_EEDaSX_SY_EUlSX_E_NS1_11comp_targetILNS1_3genE2ELNS1_11target_archE906ELNS1_3gpuE6ELNS1_3repE0EEENS1_30default_config_static_selectorELNS0_4arch9wavefront6targetE1EEEvT1_.has_recursion, 0
	.set _ZN7rocprim17ROCPRIM_400000_NS6detail17trampoline_kernelINS0_14default_configENS1_29reduce_by_key_config_selectorIllN6thrust23THRUST_200600_302600_NS4plusIlEEEEZZNS1_33reduce_by_key_impl_wrapped_configILNS1_25lookback_scan_determinismE0ES3_S9_PlNS6_17constant_iteratorIiNS6_11use_defaultESE_EENS6_10device_ptrIlEESH_PmS8_NS6_8equal_toIlEEEE10hipError_tPvRmT2_T3_mT4_T5_T6_T7_T8_P12ihipStream_tbENKUlT_T0_E_clISt17integral_constantIbLb1EES12_EEDaSX_SY_EUlSX_E_NS1_11comp_targetILNS1_3genE2ELNS1_11target_archE906ELNS1_3gpuE6ELNS1_3repE0EEENS1_30default_config_static_selectorELNS0_4arch9wavefront6targetE1EEEvT1_.has_indirect_call, 0
	.section	.AMDGPU.csdata,"",@progbits
; Kernel info:
; codeLenInByte = 4
; TotalNumSgprs: 4
; NumVgprs: 0
; ScratchSize: 0
; MemoryBound: 0
; FloatMode: 240
; IeeeMode: 1
; LDSByteSize: 0 bytes/workgroup (compile time only)
; SGPRBlocks: 0
; VGPRBlocks: 0
; NumSGPRsForWavesPerEU: 4
; NumVGPRsForWavesPerEU: 1
; Occupancy: 10
; WaveLimiterHint : 0
; COMPUTE_PGM_RSRC2:SCRATCH_EN: 0
; COMPUTE_PGM_RSRC2:USER_SGPR: 6
; COMPUTE_PGM_RSRC2:TRAP_HANDLER: 0
; COMPUTE_PGM_RSRC2:TGID_X_EN: 1
; COMPUTE_PGM_RSRC2:TGID_Y_EN: 0
; COMPUTE_PGM_RSRC2:TGID_Z_EN: 0
; COMPUTE_PGM_RSRC2:TIDIG_COMP_CNT: 0
	.section	.text._ZN7rocprim17ROCPRIM_400000_NS6detail17trampoline_kernelINS0_14default_configENS1_29reduce_by_key_config_selectorIllN6thrust23THRUST_200600_302600_NS4plusIlEEEEZZNS1_33reduce_by_key_impl_wrapped_configILNS1_25lookback_scan_determinismE0ES3_S9_PlNS6_17constant_iteratorIiNS6_11use_defaultESE_EENS6_10device_ptrIlEESH_PmS8_NS6_8equal_toIlEEEE10hipError_tPvRmT2_T3_mT4_T5_T6_T7_T8_P12ihipStream_tbENKUlT_T0_E_clISt17integral_constantIbLb1EES12_EEDaSX_SY_EUlSX_E_NS1_11comp_targetILNS1_3genE10ELNS1_11target_archE1201ELNS1_3gpuE5ELNS1_3repE0EEENS1_30default_config_static_selectorELNS0_4arch9wavefront6targetE1EEEvT1_,"axG",@progbits,_ZN7rocprim17ROCPRIM_400000_NS6detail17trampoline_kernelINS0_14default_configENS1_29reduce_by_key_config_selectorIllN6thrust23THRUST_200600_302600_NS4plusIlEEEEZZNS1_33reduce_by_key_impl_wrapped_configILNS1_25lookback_scan_determinismE0ES3_S9_PlNS6_17constant_iteratorIiNS6_11use_defaultESE_EENS6_10device_ptrIlEESH_PmS8_NS6_8equal_toIlEEEE10hipError_tPvRmT2_T3_mT4_T5_T6_T7_T8_P12ihipStream_tbENKUlT_T0_E_clISt17integral_constantIbLb1EES12_EEDaSX_SY_EUlSX_E_NS1_11comp_targetILNS1_3genE10ELNS1_11target_archE1201ELNS1_3gpuE5ELNS1_3repE0EEENS1_30default_config_static_selectorELNS0_4arch9wavefront6targetE1EEEvT1_,comdat
	.protected	_ZN7rocprim17ROCPRIM_400000_NS6detail17trampoline_kernelINS0_14default_configENS1_29reduce_by_key_config_selectorIllN6thrust23THRUST_200600_302600_NS4plusIlEEEEZZNS1_33reduce_by_key_impl_wrapped_configILNS1_25lookback_scan_determinismE0ES3_S9_PlNS6_17constant_iteratorIiNS6_11use_defaultESE_EENS6_10device_ptrIlEESH_PmS8_NS6_8equal_toIlEEEE10hipError_tPvRmT2_T3_mT4_T5_T6_T7_T8_P12ihipStream_tbENKUlT_T0_E_clISt17integral_constantIbLb1EES12_EEDaSX_SY_EUlSX_E_NS1_11comp_targetILNS1_3genE10ELNS1_11target_archE1201ELNS1_3gpuE5ELNS1_3repE0EEENS1_30default_config_static_selectorELNS0_4arch9wavefront6targetE1EEEvT1_ ; -- Begin function _ZN7rocprim17ROCPRIM_400000_NS6detail17trampoline_kernelINS0_14default_configENS1_29reduce_by_key_config_selectorIllN6thrust23THRUST_200600_302600_NS4plusIlEEEEZZNS1_33reduce_by_key_impl_wrapped_configILNS1_25lookback_scan_determinismE0ES3_S9_PlNS6_17constant_iteratorIiNS6_11use_defaultESE_EENS6_10device_ptrIlEESH_PmS8_NS6_8equal_toIlEEEE10hipError_tPvRmT2_T3_mT4_T5_T6_T7_T8_P12ihipStream_tbENKUlT_T0_E_clISt17integral_constantIbLb1EES12_EEDaSX_SY_EUlSX_E_NS1_11comp_targetILNS1_3genE10ELNS1_11target_archE1201ELNS1_3gpuE5ELNS1_3repE0EEENS1_30default_config_static_selectorELNS0_4arch9wavefront6targetE1EEEvT1_
	.globl	_ZN7rocprim17ROCPRIM_400000_NS6detail17trampoline_kernelINS0_14default_configENS1_29reduce_by_key_config_selectorIllN6thrust23THRUST_200600_302600_NS4plusIlEEEEZZNS1_33reduce_by_key_impl_wrapped_configILNS1_25lookback_scan_determinismE0ES3_S9_PlNS6_17constant_iteratorIiNS6_11use_defaultESE_EENS6_10device_ptrIlEESH_PmS8_NS6_8equal_toIlEEEE10hipError_tPvRmT2_T3_mT4_T5_T6_T7_T8_P12ihipStream_tbENKUlT_T0_E_clISt17integral_constantIbLb1EES12_EEDaSX_SY_EUlSX_E_NS1_11comp_targetILNS1_3genE10ELNS1_11target_archE1201ELNS1_3gpuE5ELNS1_3repE0EEENS1_30default_config_static_selectorELNS0_4arch9wavefront6targetE1EEEvT1_
	.p2align	8
	.type	_ZN7rocprim17ROCPRIM_400000_NS6detail17trampoline_kernelINS0_14default_configENS1_29reduce_by_key_config_selectorIllN6thrust23THRUST_200600_302600_NS4plusIlEEEEZZNS1_33reduce_by_key_impl_wrapped_configILNS1_25lookback_scan_determinismE0ES3_S9_PlNS6_17constant_iteratorIiNS6_11use_defaultESE_EENS6_10device_ptrIlEESH_PmS8_NS6_8equal_toIlEEEE10hipError_tPvRmT2_T3_mT4_T5_T6_T7_T8_P12ihipStream_tbENKUlT_T0_E_clISt17integral_constantIbLb1EES12_EEDaSX_SY_EUlSX_E_NS1_11comp_targetILNS1_3genE10ELNS1_11target_archE1201ELNS1_3gpuE5ELNS1_3repE0EEENS1_30default_config_static_selectorELNS0_4arch9wavefront6targetE1EEEvT1_,@function
_ZN7rocprim17ROCPRIM_400000_NS6detail17trampoline_kernelINS0_14default_configENS1_29reduce_by_key_config_selectorIllN6thrust23THRUST_200600_302600_NS4plusIlEEEEZZNS1_33reduce_by_key_impl_wrapped_configILNS1_25lookback_scan_determinismE0ES3_S9_PlNS6_17constant_iteratorIiNS6_11use_defaultESE_EENS6_10device_ptrIlEESH_PmS8_NS6_8equal_toIlEEEE10hipError_tPvRmT2_T3_mT4_T5_T6_T7_T8_P12ihipStream_tbENKUlT_T0_E_clISt17integral_constantIbLb1EES12_EEDaSX_SY_EUlSX_E_NS1_11comp_targetILNS1_3genE10ELNS1_11target_archE1201ELNS1_3gpuE5ELNS1_3repE0EEENS1_30default_config_static_selectorELNS0_4arch9wavefront6targetE1EEEvT1_: ; @_ZN7rocprim17ROCPRIM_400000_NS6detail17trampoline_kernelINS0_14default_configENS1_29reduce_by_key_config_selectorIllN6thrust23THRUST_200600_302600_NS4plusIlEEEEZZNS1_33reduce_by_key_impl_wrapped_configILNS1_25lookback_scan_determinismE0ES3_S9_PlNS6_17constant_iteratorIiNS6_11use_defaultESE_EENS6_10device_ptrIlEESH_PmS8_NS6_8equal_toIlEEEE10hipError_tPvRmT2_T3_mT4_T5_T6_T7_T8_P12ihipStream_tbENKUlT_T0_E_clISt17integral_constantIbLb1EES12_EEDaSX_SY_EUlSX_E_NS1_11comp_targetILNS1_3genE10ELNS1_11target_archE1201ELNS1_3gpuE5ELNS1_3repE0EEENS1_30default_config_static_selectorELNS0_4arch9wavefront6targetE1EEEvT1_
; %bb.0:
	.section	.rodata,"a",@progbits
	.p2align	6, 0x0
	.amdhsa_kernel _ZN7rocprim17ROCPRIM_400000_NS6detail17trampoline_kernelINS0_14default_configENS1_29reduce_by_key_config_selectorIllN6thrust23THRUST_200600_302600_NS4plusIlEEEEZZNS1_33reduce_by_key_impl_wrapped_configILNS1_25lookback_scan_determinismE0ES3_S9_PlNS6_17constant_iteratorIiNS6_11use_defaultESE_EENS6_10device_ptrIlEESH_PmS8_NS6_8equal_toIlEEEE10hipError_tPvRmT2_T3_mT4_T5_T6_T7_T8_P12ihipStream_tbENKUlT_T0_E_clISt17integral_constantIbLb1EES12_EEDaSX_SY_EUlSX_E_NS1_11comp_targetILNS1_3genE10ELNS1_11target_archE1201ELNS1_3gpuE5ELNS1_3repE0EEENS1_30default_config_static_selectorELNS0_4arch9wavefront6targetE1EEEvT1_
		.amdhsa_group_segment_fixed_size 0
		.amdhsa_private_segment_fixed_size 0
		.amdhsa_kernarg_size 144
		.amdhsa_user_sgpr_count 6
		.amdhsa_user_sgpr_private_segment_buffer 1
		.amdhsa_user_sgpr_dispatch_ptr 0
		.amdhsa_user_sgpr_queue_ptr 0
		.amdhsa_user_sgpr_kernarg_segment_ptr 1
		.amdhsa_user_sgpr_dispatch_id 0
		.amdhsa_user_sgpr_flat_scratch_init 0
		.amdhsa_user_sgpr_private_segment_size 0
		.amdhsa_uses_dynamic_stack 0
		.amdhsa_system_sgpr_private_segment_wavefront_offset 0
		.amdhsa_system_sgpr_workgroup_id_x 1
		.amdhsa_system_sgpr_workgroup_id_y 0
		.amdhsa_system_sgpr_workgroup_id_z 0
		.amdhsa_system_sgpr_workgroup_info 0
		.amdhsa_system_vgpr_workitem_id 0
		.amdhsa_next_free_vgpr 1
		.amdhsa_next_free_sgpr 0
		.amdhsa_reserve_vcc 0
		.amdhsa_reserve_flat_scratch 0
		.amdhsa_float_round_mode_32 0
		.amdhsa_float_round_mode_16_64 0
		.amdhsa_float_denorm_mode_32 3
		.amdhsa_float_denorm_mode_16_64 3
		.amdhsa_dx10_clamp 1
		.amdhsa_ieee_mode 1
		.amdhsa_fp16_overflow 0
		.amdhsa_exception_fp_ieee_invalid_op 0
		.amdhsa_exception_fp_denorm_src 0
		.amdhsa_exception_fp_ieee_div_zero 0
		.amdhsa_exception_fp_ieee_overflow 0
		.amdhsa_exception_fp_ieee_underflow 0
		.amdhsa_exception_fp_ieee_inexact 0
		.amdhsa_exception_int_div_zero 0
	.end_amdhsa_kernel
	.section	.text._ZN7rocprim17ROCPRIM_400000_NS6detail17trampoline_kernelINS0_14default_configENS1_29reduce_by_key_config_selectorIllN6thrust23THRUST_200600_302600_NS4plusIlEEEEZZNS1_33reduce_by_key_impl_wrapped_configILNS1_25lookback_scan_determinismE0ES3_S9_PlNS6_17constant_iteratorIiNS6_11use_defaultESE_EENS6_10device_ptrIlEESH_PmS8_NS6_8equal_toIlEEEE10hipError_tPvRmT2_T3_mT4_T5_T6_T7_T8_P12ihipStream_tbENKUlT_T0_E_clISt17integral_constantIbLb1EES12_EEDaSX_SY_EUlSX_E_NS1_11comp_targetILNS1_3genE10ELNS1_11target_archE1201ELNS1_3gpuE5ELNS1_3repE0EEENS1_30default_config_static_selectorELNS0_4arch9wavefront6targetE1EEEvT1_,"axG",@progbits,_ZN7rocprim17ROCPRIM_400000_NS6detail17trampoline_kernelINS0_14default_configENS1_29reduce_by_key_config_selectorIllN6thrust23THRUST_200600_302600_NS4plusIlEEEEZZNS1_33reduce_by_key_impl_wrapped_configILNS1_25lookback_scan_determinismE0ES3_S9_PlNS6_17constant_iteratorIiNS6_11use_defaultESE_EENS6_10device_ptrIlEESH_PmS8_NS6_8equal_toIlEEEE10hipError_tPvRmT2_T3_mT4_T5_T6_T7_T8_P12ihipStream_tbENKUlT_T0_E_clISt17integral_constantIbLb1EES12_EEDaSX_SY_EUlSX_E_NS1_11comp_targetILNS1_3genE10ELNS1_11target_archE1201ELNS1_3gpuE5ELNS1_3repE0EEENS1_30default_config_static_selectorELNS0_4arch9wavefront6targetE1EEEvT1_,comdat
.Lfunc_end1218:
	.size	_ZN7rocprim17ROCPRIM_400000_NS6detail17trampoline_kernelINS0_14default_configENS1_29reduce_by_key_config_selectorIllN6thrust23THRUST_200600_302600_NS4plusIlEEEEZZNS1_33reduce_by_key_impl_wrapped_configILNS1_25lookback_scan_determinismE0ES3_S9_PlNS6_17constant_iteratorIiNS6_11use_defaultESE_EENS6_10device_ptrIlEESH_PmS8_NS6_8equal_toIlEEEE10hipError_tPvRmT2_T3_mT4_T5_T6_T7_T8_P12ihipStream_tbENKUlT_T0_E_clISt17integral_constantIbLb1EES12_EEDaSX_SY_EUlSX_E_NS1_11comp_targetILNS1_3genE10ELNS1_11target_archE1201ELNS1_3gpuE5ELNS1_3repE0EEENS1_30default_config_static_selectorELNS0_4arch9wavefront6targetE1EEEvT1_, .Lfunc_end1218-_ZN7rocprim17ROCPRIM_400000_NS6detail17trampoline_kernelINS0_14default_configENS1_29reduce_by_key_config_selectorIllN6thrust23THRUST_200600_302600_NS4plusIlEEEEZZNS1_33reduce_by_key_impl_wrapped_configILNS1_25lookback_scan_determinismE0ES3_S9_PlNS6_17constant_iteratorIiNS6_11use_defaultESE_EENS6_10device_ptrIlEESH_PmS8_NS6_8equal_toIlEEEE10hipError_tPvRmT2_T3_mT4_T5_T6_T7_T8_P12ihipStream_tbENKUlT_T0_E_clISt17integral_constantIbLb1EES12_EEDaSX_SY_EUlSX_E_NS1_11comp_targetILNS1_3genE10ELNS1_11target_archE1201ELNS1_3gpuE5ELNS1_3repE0EEENS1_30default_config_static_selectorELNS0_4arch9wavefront6targetE1EEEvT1_
                                        ; -- End function
	.set _ZN7rocprim17ROCPRIM_400000_NS6detail17trampoline_kernelINS0_14default_configENS1_29reduce_by_key_config_selectorIllN6thrust23THRUST_200600_302600_NS4plusIlEEEEZZNS1_33reduce_by_key_impl_wrapped_configILNS1_25lookback_scan_determinismE0ES3_S9_PlNS6_17constant_iteratorIiNS6_11use_defaultESE_EENS6_10device_ptrIlEESH_PmS8_NS6_8equal_toIlEEEE10hipError_tPvRmT2_T3_mT4_T5_T6_T7_T8_P12ihipStream_tbENKUlT_T0_E_clISt17integral_constantIbLb1EES12_EEDaSX_SY_EUlSX_E_NS1_11comp_targetILNS1_3genE10ELNS1_11target_archE1201ELNS1_3gpuE5ELNS1_3repE0EEENS1_30default_config_static_selectorELNS0_4arch9wavefront6targetE1EEEvT1_.num_vgpr, 0
	.set _ZN7rocprim17ROCPRIM_400000_NS6detail17trampoline_kernelINS0_14default_configENS1_29reduce_by_key_config_selectorIllN6thrust23THRUST_200600_302600_NS4plusIlEEEEZZNS1_33reduce_by_key_impl_wrapped_configILNS1_25lookback_scan_determinismE0ES3_S9_PlNS6_17constant_iteratorIiNS6_11use_defaultESE_EENS6_10device_ptrIlEESH_PmS8_NS6_8equal_toIlEEEE10hipError_tPvRmT2_T3_mT4_T5_T6_T7_T8_P12ihipStream_tbENKUlT_T0_E_clISt17integral_constantIbLb1EES12_EEDaSX_SY_EUlSX_E_NS1_11comp_targetILNS1_3genE10ELNS1_11target_archE1201ELNS1_3gpuE5ELNS1_3repE0EEENS1_30default_config_static_selectorELNS0_4arch9wavefront6targetE1EEEvT1_.num_agpr, 0
	.set _ZN7rocprim17ROCPRIM_400000_NS6detail17trampoline_kernelINS0_14default_configENS1_29reduce_by_key_config_selectorIllN6thrust23THRUST_200600_302600_NS4plusIlEEEEZZNS1_33reduce_by_key_impl_wrapped_configILNS1_25lookback_scan_determinismE0ES3_S9_PlNS6_17constant_iteratorIiNS6_11use_defaultESE_EENS6_10device_ptrIlEESH_PmS8_NS6_8equal_toIlEEEE10hipError_tPvRmT2_T3_mT4_T5_T6_T7_T8_P12ihipStream_tbENKUlT_T0_E_clISt17integral_constantIbLb1EES12_EEDaSX_SY_EUlSX_E_NS1_11comp_targetILNS1_3genE10ELNS1_11target_archE1201ELNS1_3gpuE5ELNS1_3repE0EEENS1_30default_config_static_selectorELNS0_4arch9wavefront6targetE1EEEvT1_.numbered_sgpr, 0
	.set _ZN7rocprim17ROCPRIM_400000_NS6detail17trampoline_kernelINS0_14default_configENS1_29reduce_by_key_config_selectorIllN6thrust23THRUST_200600_302600_NS4plusIlEEEEZZNS1_33reduce_by_key_impl_wrapped_configILNS1_25lookback_scan_determinismE0ES3_S9_PlNS6_17constant_iteratorIiNS6_11use_defaultESE_EENS6_10device_ptrIlEESH_PmS8_NS6_8equal_toIlEEEE10hipError_tPvRmT2_T3_mT4_T5_T6_T7_T8_P12ihipStream_tbENKUlT_T0_E_clISt17integral_constantIbLb1EES12_EEDaSX_SY_EUlSX_E_NS1_11comp_targetILNS1_3genE10ELNS1_11target_archE1201ELNS1_3gpuE5ELNS1_3repE0EEENS1_30default_config_static_selectorELNS0_4arch9wavefront6targetE1EEEvT1_.num_named_barrier, 0
	.set _ZN7rocprim17ROCPRIM_400000_NS6detail17trampoline_kernelINS0_14default_configENS1_29reduce_by_key_config_selectorIllN6thrust23THRUST_200600_302600_NS4plusIlEEEEZZNS1_33reduce_by_key_impl_wrapped_configILNS1_25lookback_scan_determinismE0ES3_S9_PlNS6_17constant_iteratorIiNS6_11use_defaultESE_EENS6_10device_ptrIlEESH_PmS8_NS6_8equal_toIlEEEE10hipError_tPvRmT2_T3_mT4_T5_T6_T7_T8_P12ihipStream_tbENKUlT_T0_E_clISt17integral_constantIbLb1EES12_EEDaSX_SY_EUlSX_E_NS1_11comp_targetILNS1_3genE10ELNS1_11target_archE1201ELNS1_3gpuE5ELNS1_3repE0EEENS1_30default_config_static_selectorELNS0_4arch9wavefront6targetE1EEEvT1_.private_seg_size, 0
	.set _ZN7rocprim17ROCPRIM_400000_NS6detail17trampoline_kernelINS0_14default_configENS1_29reduce_by_key_config_selectorIllN6thrust23THRUST_200600_302600_NS4plusIlEEEEZZNS1_33reduce_by_key_impl_wrapped_configILNS1_25lookback_scan_determinismE0ES3_S9_PlNS6_17constant_iteratorIiNS6_11use_defaultESE_EENS6_10device_ptrIlEESH_PmS8_NS6_8equal_toIlEEEE10hipError_tPvRmT2_T3_mT4_T5_T6_T7_T8_P12ihipStream_tbENKUlT_T0_E_clISt17integral_constantIbLb1EES12_EEDaSX_SY_EUlSX_E_NS1_11comp_targetILNS1_3genE10ELNS1_11target_archE1201ELNS1_3gpuE5ELNS1_3repE0EEENS1_30default_config_static_selectorELNS0_4arch9wavefront6targetE1EEEvT1_.uses_vcc, 0
	.set _ZN7rocprim17ROCPRIM_400000_NS6detail17trampoline_kernelINS0_14default_configENS1_29reduce_by_key_config_selectorIllN6thrust23THRUST_200600_302600_NS4plusIlEEEEZZNS1_33reduce_by_key_impl_wrapped_configILNS1_25lookback_scan_determinismE0ES3_S9_PlNS6_17constant_iteratorIiNS6_11use_defaultESE_EENS6_10device_ptrIlEESH_PmS8_NS6_8equal_toIlEEEE10hipError_tPvRmT2_T3_mT4_T5_T6_T7_T8_P12ihipStream_tbENKUlT_T0_E_clISt17integral_constantIbLb1EES12_EEDaSX_SY_EUlSX_E_NS1_11comp_targetILNS1_3genE10ELNS1_11target_archE1201ELNS1_3gpuE5ELNS1_3repE0EEENS1_30default_config_static_selectorELNS0_4arch9wavefront6targetE1EEEvT1_.uses_flat_scratch, 0
	.set _ZN7rocprim17ROCPRIM_400000_NS6detail17trampoline_kernelINS0_14default_configENS1_29reduce_by_key_config_selectorIllN6thrust23THRUST_200600_302600_NS4plusIlEEEEZZNS1_33reduce_by_key_impl_wrapped_configILNS1_25lookback_scan_determinismE0ES3_S9_PlNS6_17constant_iteratorIiNS6_11use_defaultESE_EENS6_10device_ptrIlEESH_PmS8_NS6_8equal_toIlEEEE10hipError_tPvRmT2_T3_mT4_T5_T6_T7_T8_P12ihipStream_tbENKUlT_T0_E_clISt17integral_constantIbLb1EES12_EEDaSX_SY_EUlSX_E_NS1_11comp_targetILNS1_3genE10ELNS1_11target_archE1201ELNS1_3gpuE5ELNS1_3repE0EEENS1_30default_config_static_selectorELNS0_4arch9wavefront6targetE1EEEvT1_.has_dyn_sized_stack, 0
	.set _ZN7rocprim17ROCPRIM_400000_NS6detail17trampoline_kernelINS0_14default_configENS1_29reduce_by_key_config_selectorIllN6thrust23THRUST_200600_302600_NS4plusIlEEEEZZNS1_33reduce_by_key_impl_wrapped_configILNS1_25lookback_scan_determinismE0ES3_S9_PlNS6_17constant_iteratorIiNS6_11use_defaultESE_EENS6_10device_ptrIlEESH_PmS8_NS6_8equal_toIlEEEE10hipError_tPvRmT2_T3_mT4_T5_T6_T7_T8_P12ihipStream_tbENKUlT_T0_E_clISt17integral_constantIbLb1EES12_EEDaSX_SY_EUlSX_E_NS1_11comp_targetILNS1_3genE10ELNS1_11target_archE1201ELNS1_3gpuE5ELNS1_3repE0EEENS1_30default_config_static_selectorELNS0_4arch9wavefront6targetE1EEEvT1_.has_recursion, 0
	.set _ZN7rocprim17ROCPRIM_400000_NS6detail17trampoline_kernelINS0_14default_configENS1_29reduce_by_key_config_selectorIllN6thrust23THRUST_200600_302600_NS4plusIlEEEEZZNS1_33reduce_by_key_impl_wrapped_configILNS1_25lookback_scan_determinismE0ES3_S9_PlNS6_17constant_iteratorIiNS6_11use_defaultESE_EENS6_10device_ptrIlEESH_PmS8_NS6_8equal_toIlEEEE10hipError_tPvRmT2_T3_mT4_T5_T6_T7_T8_P12ihipStream_tbENKUlT_T0_E_clISt17integral_constantIbLb1EES12_EEDaSX_SY_EUlSX_E_NS1_11comp_targetILNS1_3genE10ELNS1_11target_archE1201ELNS1_3gpuE5ELNS1_3repE0EEENS1_30default_config_static_selectorELNS0_4arch9wavefront6targetE1EEEvT1_.has_indirect_call, 0
	.section	.AMDGPU.csdata,"",@progbits
; Kernel info:
; codeLenInByte = 0
; TotalNumSgprs: 4
; NumVgprs: 0
; ScratchSize: 0
; MemoryBound: 0
; FloatMode: 240
; IeeeMode: 1
; LDSByteSize: 0 bytes/workgroup (compile time only)
; SGPRBlocks: 0
; VGPRBlocks: 0
; NumSGPRsForWavesPerEU: 4
; NumVGPRsForWavesPerEU: 1
; Occupancy: 10
; WaveLimiterHint : 0
; COMPUTE_PGM_RSRC2:SCRATCH_EN: 0
; COMPUTE_PGM_RSRC2:USER_SGPR: 6
; COMPUTE_PGM_RSRC2:TRAP_HANDLER: 0
; COMPUTE_PGM_RSRC2:TGID_X_EN: 1
; COMPUTE_PGM_RSRC2:TGID_Y_EN: 0
; COMPUTE_PGM_RSRC2:TGID_Z_EN: 0
; COMPUTE_PGM_RSRC2:TIDIG_COMP_CNT: 0
	.section	.text._ZN7rocprim17ROCPRIM_400000_NS6detail17trampoline_kernelINS0_14default_configENS1_29reduce_by_key_config_selectorIllN6thrust23THRUST_200600_302600_NS4plusIlEEEEZZNS1_33reduce_by_key_impl_wrapped_configILNS1_25lookback_scan_determinismE0ES3_S9_PlNS6_17constant_iteratorIiNS6_11use_defaultESE_EENS6_10device_ptrIlEESH_PmS8_NS6_8equal_toIlEEEE10hipError_tPvRmT2_T3_mT4_T5_T6_T7_T8_P12ihipStream_tbENKUlT_T0_E_clISt17integral_constantIbLb1EES12_EEDaSX_SY_EUlSX_E_NS1_11comp_targetILNS1_3genE10ELNS1_11target_archE1200ELNS1_3gpuE4ELNS1_3repE0EEENS1_30default_config_static_selectorELNS0_4arch9wavefront6targetE1EEEvT1_,"axG",@progbits,_ZN7rocprim17ROCPRIM_400000_NS6detail17trampoline_kernelINS0_14default_configENS1_29reduce_by_key_config_selectorIllN6thrust23THRUST_200600_302600_NS4plusIlEEEEZZNS1_33reduce_by_key_impl_wrapped_configILNS1_25lookback_scan_determinismE0ES3_S9_PlNS6_17constant_iteratorIiNS6_11use_defaultESE_EENS6_10device_ptrIlEESH_PmS8_NS6_8equal_toIlEEEE10hipError_tPvRmT2_T3_mT4_T5_T6_T7_T8_P12ihipStream_tbENKUlT_T0_E_clISt17integral_constantIbLb1EES12_EEDaSX_SY_EUlSX_E_NS1_11comp_targetILNS1_3genE10ELNS1_11target_archE1200ELNS1_3gpuE4ELNS1_3repE0EEENS1_30default_config_static_selectorELNS0_4arch9wavefront6targetE1EEEvT1_,comdat
	.protected	_ZN7rocprim17ROCPRIM_400000_NS6detail17trampoline_kernelINS0_14default_configENS1_29reduce_by_key_config_selectorIllN6thrust23THRUST_200600_302600_NS4plusIlEEEEZZNS1_33reduce_by_key_impl_wrapped_configILNS1_25lookback_scan_determinismE0ES3_S9_PlNS6_17constant_iteratorIiNS6_11use_defaultESE_EENS6_10device_ptrIlEESH_PmS8_NS6_8equal_toIlEEEE10hipError_tPvRmT2_T3_mT4_T5_T6_T7_T8_P12ihipStream_tbENKUlT_T0_E_clISt17integral_constantIbLb1EES12_EEDaSX_SY_EUlSX_E_NS1_11comp_targetILNS1_3genE10ELNS1_11target_archE1200ELNS1_3gpuE4ELNS1_3repE0EEENS1_30default_config_static_selectorELNS0_4arch9wavefront6targetE1EEEvT1_ ; -- Begin function _ZN7rocprim17ROCPRIM_400000_NS6detail17trampoline_kernelINS0_14default_configENS1_29reduce_by_key_config_selectorIllN6thrust23THRUST_200600_302600_NS4plusIlEEEEZZNS1_33reduce_by_key_impl_wrapped_configILNS1_25lookback_scan_determinismE0ES3_S9_PlNS6_17constant_iteratorIiNS6_11use_defaultESE_EENS6_10device_ptrIlEESH_PmS8_NS6_8equal_toIlEEEE10hipError_tPvRmT2_T3_mT4_T5_T6_T7_T8_P12ihipStream_tbENKUlT_T0_E_clISt17integral_constantIbLb1EES12_EEDaSX_SY_EUlSX_E_NS1_11comp_targetILNS1_3genE10ELNS1_11target_archE1200ELNS1_3gpuE4ELNS1_3repE0EEENS1_30default_config_static_selectorELNS0_4arch9wavefront6targetE1EEEvT1_
	.globl	_ZN7rocprim17ROCPRIM_400000_NS6detail17trampoline_kernelINS0_14default_configENS1_29reduce_by_key_config_selectorIllN6thrust23THRUST_200600_302600_NS4plusIlEEEEZZNS1_33reduce_by_key_impl_wrapped_configILNS1_25lookback_scan_determinismE0ES3_S9_PlNS6_17constant_iteratorIiNS6_11use_defaultESE_EENS6_10device_ptrIlEESH_PmS8_NS6_8equal_toIlEEEE10hipError_tPvRmT2_T3_mT4_T5_T6_T7_T8_P12ihipStream_tbENKUlT_T0_E_clISt17integral_constantIbLb1EES12_EEDaSX_SY_EUlSX_E_NS1_11comp_targetILNS1_3genE10ELNS1_11target_archE1200ELNS1_3gpuE4ELNS1_3repE0EEENS1_30default_config_static_selectorELNS0_4arch9wavefront6targetE1EEEvT1_
	.p2align	8
	.type	_ZN7rocprim17ROCPRIM_400000_NS6detail17trampoline_kernelINS0_14default_configENS1_29reduce_by_key_config_selectorIllN6thrust23THRUST_200600_302600_NS4plusIlEEEEZZNS1_33reduce_by_key_impl_wrapped_configILNS1_25lookback_scan_determinismE0ES3_S9_PlNS6_17constant_iteratorIiNS6_11use_defaultESE_EENS6_10device_ptrIlEESH_PmS8_NS6_8equal_toIlEEEE10hipError_tPvRmT2_T3_mT4_T5_T6_T7_T8_P12ihipStream_tbENKUlT_T0_E_clISt17integral_constantIbLb1EES12_EEDaSX_SY_EUlSX_E_NS1_11comp_targetILNS1_3genE10ELNS1_11target_archE1200ELNS1_3gpuE4ELNS1_3repE0EEENS1_30default_config_static_selectorELNS0_4arch9wavefront6targetE1EEEvT1_,@function
_ZN7rocprim17ROCPRIM_400000_NS6detail17trampoline_kernelINS0_14default_configENS1_29reduce_by_key_config_selectorIllN6thrust23THRUST_200600_302600_NS4plusIlEEEEZZNS1_33reduce_by_key_impl_wrapped_configILNS1_25lookback_scan_determinismE0ES3_S9_PlNS6_17constant_iteratorIiNS6_11use_defaultESE_EENS6_10device_ptrIlEESH_PmS8_NS6_8equal_toIlEEEE10hipError_tPvRmT2_T3_mT4_T5_T6_T7_T8_P12ihipStream_tbENKUlT_T0_E_clISt17integral_constantIbLb1EES12_EEDaSX_SY_EUlSX_E_NS1_11comp_targetILNS1_3genE10ELNS1_11target_archE1200ELNS1_3gpuE4ELNS1_3repE0EEENS1_30default_config_static_selectorELNS0_4arch9wavefront6targetE1EEEvT1_: ; @_ZN7rocprim17ROCPRIM_400000_NS6detail17trampoline_kernelINS0_14default_configENS1_29reduce_by_key_config_selectorIllN6thrust23THRUST_200600_302600_NS4plusIlEEEEZZNS1_33reduce_by_key_impl_wrapped_configILNS1_25lookback_scan_determinismE0ES3_S9_PlNS6_17constant_iteratorIiNS6_11use_defaultESE_EENS6_10device_ptrIlEESH_PmS8_NS6_8equal_toIlEEEE10hipError_tPvRmT2_T3_mT4_T5_T6_T7_T8_P12ihipStream_tbENKUlT_T0_E_clISt17integral_constantIbLb1EES12_EEDaSX_SY_EUlSX_E_NS1_11comp_targetILNS1_3genE10ELNS1_11target_archE1200ELNS1_3gpuE4ELNS1_3repE0EEENS1_30default_config_static_selectorELNS0_4arch9wavefront6targetE1EEEvT1_
; %bb.0:
	.section	.rodata,"a",@progbits
	.p2align	6, 0x0
	.amdhsa_kernel _ZN7rocprim17ROCPRIM_400000_NS6detail17trampoline_kernelINS0_14default_configENS1_29reduce_by_key_config_selectorIllN6thrust23THRUST_200600_302600_NS4plusIlEEEEZZNS1_33reduce_by_key_impl_wrapped_configILNS1_25lookback_scan_determinismE0ES3_S9_PlNS6_17constant_iteratorIiNS6_11use_defaultESE_EENS6_10device_ptrIlEESH_PmS8_NS6_8equal_toIlEEEE10hipError_tPvRmT2_T3_mT4_T5_T6_T7_T8_P12ihipStream_tbENKUlT_T0_E_clISt17integral_constantIbLb1EES12_EEDaSX_SY_EUlSX_E_NS1_11comp_targetILNS1_3genE10ELNS1_11target_archE1200ELNS1_3gpuE4ELNS1_3repE0EEENS1_30default_config_static_selectorELNS0_4arch9wavefront6targetE1EEEvT1_
		.amdhsa_group_segment_fixed_size 0
		.amdhsa_private_segment_fixed_size 0
		.amdhsa_kernarg_size 144
		.amdhsa_user_sgpr_count 6
		.amdhsa_user_sgpr_private_segment_buffer 1
		.amdhsa_user_sgpr_dispatch_ptr 0
		.amdhsa_user_sgpr_queue_ptr 0
		.amdhsa_user_sgpr_kernarg_segment_ptr 1
		.amdhsa_user_sgpr_dispatch_id 0
		.amdhsa_user_sgpr_flat_scratch_init 0
		.amdhsa_user_sgpr_private_segment_size 0
		.amdhsa_uses_dynamic_stack 0
		.amdhsa_system_sgpr_private_segment_wavefront_offset 0
		.amdhsa_system_sgpr_workgroup_id_x 1
		.amdhsa_system_sgpr_workgroup_id_y 0
		.amdhsa_system_sgpr_workgroup_id_z 0
		.amdhsa_system_sgpr_workgroup_info 0
		.amdhsa_system_vgpr_workitem_id 0
		.amdhsa_next_free_vgpr 1
		.amdhsa_next_free_sgpr 0
		.amdhsa_reserve_vcc 0
		.amdhsa_reserve_flat_scratch 0
		.amdhsa_float_round_mode_32 0
		.amdhsa_float_round_mode_16_64 0
		.amdhsa_float_denorm_mode_32 3
		.amdhsa_float_denorm_mode_16_64 3
		.amdhsa_dx10_clamp 1
		.amdhsa_ieee_mode 1
		.amdhsa_fp16_overflow 0
		.amdhsa_exception_fp_ieee_invalid_op 0
		.amdhsa_exception_fp_denorm_src 0
		.amdhsa_exception_fp_ieee_div_zero 0
		.amdhsa_exception_fp_ieee_overflow 0
		.amdhsa_exception_fp_ieee_underflow 0
		.amdhsa_exception_fp_ieee_inexact 0
		.amdhsa_exception_int_div_zero 0
	.end_amdhsa_kernel
	.section	.text._ZN7rocprim17ROCPRIM_400000_NS6detail17trampoline_kernelINS0_14default_configENS1_29reduce_by_key_config_selectorIllN6thrust23THRUST_200600_302600_NS4plusIlEEEEZZNS1_33reduce_by_key_impl_wrapped_configILNS1_25lookback_scan_determinismE0ES3_S9_PlNS6_17constant_iteratorIiNS6_11use_defaultESE_EENS6_10device_ptrIlEESH_PmS8_NS6_8equal_toIlEEEE10hipError_tPvRmT2_T3_mT4_T5_T6_T7_T8_P12ihipStream_tbENKUlT_T0_E_clISt17integral_constantIbLb1EES12_EEDaSX_SY_EUlSX_E_NS1_11comp_targetILNS1_3genE10ELNS1_11target_archE1200ELNS1_3gpuE4ELNS1_3repE0EEENS1_30default_config_static_selectorELNS0_4arch9wavefront6targetE1EEEvT1_,"axG",@progbits,_ZN7rocprim17ROCPRIM_400000_NS6detail17trampoline_kernelINS0_14default_configENS1_29reduce_by_key_config_selectorIllN6thrust23THRUST_200600_302600_NS4plusIlEEEEZZNS1_33reduce_by_key_impl_wrapped_configILNS1_25lookback_scan_determinismE0ES3_S9_PlNS6_17constant_iteratorIiNS6_11use_defaultESE_EENS6_10device_ptrIlEESH_PmS8_NS6_8equal_toIlEEEE10hipError_tPvRmT2_T3_mT4_T5_T6_T7_T8_P12ihipStream_tbENKUlT_T0_E_clISt17integral_constantIbLb1EES12_EEDaSX_SY_EUlSX_E_NS1_11comp_targetILNS1_3genE10ELNS1_11target_archE1200ELNS1_3gpuE4ELNS1_3repE0EEENS1_30default_config_static_selectorELNS0_4arch9wavefront6targetE1EEEvT1_,comdat
.Lfunc_end1219:
	.size	_ZN7rocprim17ROCPRIM_400000_NS6detail17trampoline_kernelINS0_14default_configENS1_29reduce_by_key_config_selectorIllN6thrust23THRUST_200600_302600_NS4plusIlEEEEZZNS1_33reduce_by_key_impl_wrapped_configILNS1_25lookback_scan_determinismE0ES3_S9_PlNS6_17constant_iteratorIiNS6_11use_defaultESE_EENS6_10device_ptrIlEESH_PmS8_NS6_8equal_toIlEEEE10hipError_tPvRmT2_T3_mT4_T5_T6_T7_T8_P12ihipStream_tbENKUlT_T0_E_clISt17integral_constantIbLb1EES12_EEDaSX_SY_EUlSX_E_NS1_11comp_targetILNS1_3genE10ELNS1_11target_archE1200ELNS1_3gpuE4ELNS1_3repE0EEENS1_30default_config_static_selectorELNS0_4arch9wavefront6targetE1EEEvT1_, .Lfunc_end1219-_ZN7rocprim17ROCPRIM_400000_NS6detail17trampoline_kernelINS0_14default_configENS1_29reduce_by_key_config_selectorIllN6thrust23THRUST_200600_302600_NS4plusIlEEEEZZNS1_33reduce_by_key_impl_wrapped_configILNS1_25lookback_scan_determinismE0ES3_S9_PlNS6_17constant_iteratorIiNS6_11use_defaultESE_EENS6_10device_ptrIlEESH_PmS8_NS6_8equal_toIlEEEE10hipError_tPvRmT2_T3_mT4_T5_T6_T7_T8_P12ihipStream_tbENKUlT_T0_E_clISt17integral_constantIbLb1EES12_EEDaSX_SY_EUlSX_E_NS1_11comp_targetILNS1_3genE10ELNS1_11target_archE1200ELNS1_3gpuE4ELNS1_3repE0EEENS1_30default_config_static_selectorELNS0_4arch9wavefront6targetE1EEEvT1_
                                        ; -- End function
	.set _ZN7rocprim17ROCPRIM_400000_NS6detail17trampoline_kernelINS0_14default_configENS1_29reduce_by_key_config_selectorIllN6thrust23THRUST_200600_302600_NS4plusIlEEEEZZNS1_33reduce_by_key_impl_wrapped_configILNS1_25lookback_scan_determinismE0ES3_S9_PlNS6_17constant_iteratorIiNS6_11use_defaultESE_EENS6_10device_ptrIlEESH_PmS8_NS6_8equal_toIlEEEE10hipError_tPvRmT2_T3_mT4_T5_T6_T7_T8_P12ihipStream_tbENKUlT_T0_E_clISt17integral_constantIbLb1EES12_EEDaSX_SY_EUlSX_E_NS1_11comp_targetILNS1_3genE10ELNS1_11target_archE1200ELNS1_3gpuE4ELNS1_3repE0EEENS1_30default_config_static_selectorELNS0_4arch9wavefront6targetE1EEEvT1_.num_vgpr, 0
	.set _ZN7rocprim17ROCPRIM_400000_NS6detail17trampoline_kernelINS0_14default_configENS1_29reduce_by_key_config_selectorIllN6thrust23THRUST_200600_302600_NS4plusIlEEEEZZNS1_33reduce_by_key_impl_wrapped_configILNS1_25lookback_scan_determinismE0ES3_S9_PlNS6_17constant_iteratorIiNS6_11use_defaultESE_EENS6_10device_ptrIlEESH_PmS8_NS6_8equal_toIlEEEE10hipError_tPvRmT2_T3_mT4_T5_T6_T7_T8_P12ihipStream_tbENKUlT_T0_E_clISt17integral_constantIbLb1EES12_EEDaSX_SY_EUlSX_E_NS1_11comp_targetILNS1_3genE10ELNS1_11target_archE1200ELNS1_3gpuE4ELNS1_3repE0EEENS1_30default_config_static_selectorELNS0_4arch9wavefront6targetE1EEEvT1_.num_agpr, 0
	.set _ZN7rocprim17ROCPRIM_400000_NS6detail17trampoline_kernelINS0_14default_configENS1_29reduce_by_key_config_selectorIllN6thrust23THRUST_200600_302600_NS4plusIlEEEEZZNS1_33reduce_by_key_impl_wrapped_configILNS1_25lookback_scan_determinismE0ES3_S9_PlNS6_17constant_iteratorIiNS6_11use_defaultESE_EENS6_10device_ptrIlEESH_PmS8_NS6_8equal_toIlEEEE10hipError_tPvRmT2_T3_mT4_T5_T6_T7_T8_P12ihipStream_tbENKUlT_T0_E_clISt17integral_constantIbLb1EES12_EEDaSX_SY_EUlSX_E_NS1_11comp_targetILNS1_3genE10ELNS1_11target_archE1200ELNS1_3gpuE4ELNS1_3repE0EEENS1_30default_config_static_selectorELNS0_4arch9wavefront6targetE1EEEvT1_.numbered_sgpr, 0
	.set _ZN7rocprim17ROCPRIM_400000_NS6detail17trampoline_kernelINS0_14default_configENS1_29reduce_by_key_config_selectorIllN6thrust23THRUST_200600_302600_NS4plusIlEEEEZZNS1_33reduce_by_key_impl_wrapped_configILNS1_25lookback_scan_determinismE0ES3_S9_PlNS6_17constant_iteratorIiNS6_11use_defaultESE_EENS6_10device_ptrIlEESH_PmS8_NS6_8equal_toIlEEEE10hipError_tPvRmT2_T3_mT4_T5_T6_T7_T8_P12ihipStream_tbENKUlT_T0_E_clISt17integral_constantIbLb1EES12_EEDaSX_SY_EUlSX_E_NS1_11comp_targetILNS1_3genE10ELNS1_11target_archE1200ELNS1_3gpuE4ELNS1_3repE0EEENS1_30default_config_static_selectorELNS0_4arch9wavefront6targetE1EEEvT1_.num_named_barrier, 0
	.set _ZN7rocprim17ROCPRIM_400000_NS6detail17trampoline_kernelINS0_14default_configENS1_29reduce_by_key_config_selectorIllN6thrust23THRUST_200600_302600_NS4plusIlEEEEZZNS1_33reduce_by_key_impl_wrapped_configILNS1_25lookback_scan_determinismE0ES3_S9_PlNS6_17constant_iteratorIiNS6_11use_defaultESE_EENS6_10device_ptrIlEESH_PmS8_NS6_8equal_toIlEEEE10hipError_tPvRmT2_T3_mT4_T5_T6_T7_T8_P12ihipStream_tbENKUlT_T0_E_clISt17integral_constantIbLb1EES12_EEDaSX_SY_EUlSX_E_NS1_11comp_targetILNS1_3genE10ELNS1_11target_archE1200ELNS1_3gpuE4ELNS1_3repE0EEENS1_30default_config_static_selectorELNS0_4arch9wavefront6targetE1EEEvT1_.private_seg_size, 0
	.set _ZN7rocprim17ROCPRIM_400000_NS6detail17trampoline_kernelINS0_14default_configENS1_29reduce_by_key_config_selectorIllN6thrust23THRUST_200600_302600_NS4plusIlEEEEZZNS1_33reduce_by_key_impl_wrapped_configILNS1_25lookback_scan_determinismE0ES3_S9_PlNS6_17constant_iteratorIiNS6_11use_defaultESE_EENS6_10device_ptrIlEESH_PmS8_NS6_8equal_toIlEEEE10hipError_tPvRmT2_T3_mT4_T5_T6_T7_T8_P12ihipStream_tbENKUlT_T0_E_clISt17integral_constantIbLb1EES12_EEDaSX_SY_EUlSX_E_NS1_11comp_targetILNS1_3genE10ELNS1_11target_archE1200ELNS1_3gpuE4ELNS1_3repE0EEENS1_30default_config_static_selectorELNS0_4arch9wavefront6targetE1EEEvT1_.uses_vcc, 0
	.set _ZN7rocprim17ROCPRIM_400000_NS6detail17trampoline_kernelINS0_14default_configENS1_29reduce_by_key_config_selectorIllN6thrust23THRUST_200600_302600_NS4plusIlEEEEZZNS1_33reduce_by_key_impl_wrapped_configILNS1_25lookback_scan_determinismE0ES3_S9_PlNS6_17constant_iteratorIiNS6_11use_defaultESE_EENS6_10device_ptrIlEESH_PmS8_NS6_8equal_toIlEEEE10hipError_tPvRmT2_T3_mT4_T5_T6_T7_T8_P12ihipStream_tbENKUlT_T0_E_clISt17integral_constantIbLb1EES12_EEDaSX_SY_EUlSX_E_NS1_11comp_targetILNS1_3genE10ELNS1_11target_archE1200ELNS1_3gpuE4ELNS1_3repE0EEENS1_30default_config_static_selectorELNS0_4arch9wavefront6targetE1EEEvT1_.uses_flat_scratch, 0
	.set _ZN7rocprim17ROCPRIM_400000_NS6detail17trampoline_kernelINS0_14default_configENS1_29reduce_by_key_config_selectorIllN6thrust23THRUST_200600_302600_NS4plusIlEEEEZZNS1_33reduce_by_key_impl_wrapped_configILNS1_25lookback_scan_determinismE0ES3_S9_PlNS6_17constant_iteratorIiNS6_11use_defaultESE_EENS6_10device_ptrIlEESH_PmS8_NS6_8equal_toIlEEEE10hipError_tPvRmT2_T3_mT4_T5_T6_T7_T8_P12ihipStream_tbENKUlT_T0_E_clISt17integral_constantIbLb1EES12_EEDaSX_SY_EUlSX_E_NS1_11comp_targetILNS1_3genE10ELNS1_11target_archE1200ELNS1_3gpuE4ELNS1_3repE0EEENS1_30default_config_static_selectorELNS0_4arch9wavefront6targetE1EEEvT1_.has_dyn_sized_stack, 0
	.set _ZN7rocprim17ROCPRIM_400000_NS6detail17trampoline_kernelINS0_14default_configENS1_29reduce_by_key_config_selectorIllN6thrust23THRUST_200600_302600_NS4plusIlEEEEZZNS1_33reduce_by_key_impl_wrapped_configILNS1_25lookback_scan_determinismE0ES3_S9_PlNS6_17constant_iteratorIiNS6_11use_defaultESE_EENS6_10device_ptrIlEESH_PmS8_NS6_8equal_toIlEEEE10hipError_tPvRmT2_T3_mT4_T5_T6_T7_T8_P12ihipStream_tbENKUlT_T0_E_clISt17integral_constantIbLb1EES12_EEDaSX_SY_EUlSX_E_NS1_11comp_targetILNS1_3genE10ELNS1_11target_archE1200ELNS1_3gpuE4ELNS1_3repE0EEENS1_30default_config_static_selectorELNS0_4arch9wavefront6targetE1EEEvT1_.has_recursion, 0
	.set _ZN7rocprim17ROCPRIM_400000_NS6detail17trampoline_kernelINS0_14default_configENS1_29reduce_by_key_config_selectorIllN6thrust23THRUST_200600_302600_NS4plusIlEEEEZZNS1_33reduce_by_key_impl_wrapped_configILNS1_25lookback_scan_determinismE0ES3_S9_PlNS6_17constant_iteratorIiNS6_11use_defaultESE_EENS6_10device_ptrIlEESH_PmS8_NS6_8equal_toIlEEEE10hipError_tPvRmT2_T3_mT4_T5_T6_T7_T8_P12ihipStream_tbENKUlT_T0_E_clISt17integral_constantIbLb1EES12_EEDaSX_SY_EUlSX_E_NS1_11comp_targetILNS1_3genE10ELNS1_11target_archE1200ELNS1_3gpuE4ELNS1_3repE0EEENS1_30default_config_static_selectorELNS0_4arch9wavefront6targetE1EEEvT1_.has_indirect_call, 0
	.section	.AMDGPU.csdata,"",@progbits
; Kernel info:
; codeLenInByte = 0
; TotalNumSgprs: 4
; NumVgprs: 0
; ScratchSize: 0
; MemoryBound: 0
; FloatMode: 240
; IeeeMode: 1
; LDSByteSize: 0 bytes/workgroup (compile time only)
; SGPRBlocks: 0
; VGPRBlocks: 0
; NumSGPRsForWavesPerEU: 4
; NumVGPRsForWavesPerEU: 1
; Occupancy: 10
; WaveLimiterHint : 0
; COMPUTE_PGM_RSRC2:SCRATCH_EN: 0
; COMPUTE_PGM_RSRC2:USER_SGPR: 6
; COMPUTE_PGM_RSRC2:TRAP_HANDLER: 0
; COMPUTE_PGM_RSRC2:TGID_X_EN: 1
; COMPUTE_PGM_RSRC2:TGID_Y_EN: 0
; COMPUTE_PGM_RSRC2:TGID_Z_EN: 0
; COMPUTE_PGM_RSRC2:TIDIG_COMP_CNT: 0
	.section	.text._ZN7rocprim17ROCPRIM_400000_NS6detail17trampoline_kernelINS0_14default_configENS1_29reduce_by_key_config_selectorIllN6thrust23THRUST_200600_302600_NS4plusIlEEEEZZNS1_33reduce_by_key_impl_wrapped_configILNS1_25lookback_scan_determinismE0ES3_S9_PlNS6_17constant_iteratorIiNS6_11use_defaultESE_EENS6_10device_ptrIlEESH_PmS8_NS6_8equal_toIlEEEE10hipError_tPvRmT2_T3_mT4_T5_T6_T7_T8_P12ihipStream_tbENKUlT_T0_E_clISt17integral_constantIbLb1EES12_EEDaSX_SY_EUlSX_E_NS1_11comp_targetILNS1_3genE9ELNS1_11target_archE1100ELNS1_3gpuE3ELNS1_3repE0EEENS1_30default_config_static_selectorELNS0_4arch9wavefront6targetE1EEEvT1_,"axG",@progbits,_ZN7rocprim17ROCPRIM_400000_NS6detail17trampoline_kernelINS0_14default_configENS1_29reduce_by_key_config_selectorIllN6thrust23THRUST_200600_302600_NS4plusIlEEEEZZNS1_33reduce_by_key_impl_wrapped_configILNS1_25lookback_scan_determinismE0ES3_S9_PlNS6_17constant_iteratorIiNS6_11use_defaultESE_EENS6_10device_ptrIlEESH_PmS8_NS6_8equal_toIlEEEE10hipError_tPvRmT2_T3_mT4_T5_T6_T7_T8_P12ihipStream_tbENKUlT_T0_E_clISt17integral_constantIbLb1EES12_EEDaSX_SY_EUlSX_E_NS1_11comp_targetILNS1_3genE9ELNS1_11target_archE1100ELNS1_3gpuE3ELNS1_3repE0EEENS1_30default_config_static_selectorELNS0_4arch9wavefront6targetE1EEEvT1_,comdat
	.protected	_ZN7rocprim17ROCPRIM_400000_NS6detail17trampoline_kernelINS0_14default_configENS1_29reduce_by_key_config_selectorIllN6thrust23THRUST_200600_302600_NS4plusIlEEEEZZNS1_33reduce_by_key_impl_wrapped_configILNS1_25lookback_scan_determinismE0ES3_S9_PlNS6_17constant_iteratorIiNS6_11use_defaultESE_EENS6_10device_ptrIlEESH_PmS8_NS6_8equal_toIlEEEE10hipError_tPvRmT2_T3_mT4_T5_T6_T7_T8_P12ihipStream_tbENKUlT_T0_E_clISt17integral_constantIbLb1EES12_EEDaSX_SY_EUlSX_E_NS1_11comp_targetILNS1_3genE9ELNS1_11target_archE1100ELNS1_3gpuE3ELNS1_3repE0EEENS1_30default_config_static_selectorELNS0_4arch9wavefront6targetE1EEEvT1_ ; -- Begin function _ZN7rocprim17ROCPRIM_400000_NS6detail17trampoline_kernelINS0_14default_configENS1_29reduce_by_key_config_selectorIllN6thrust23THRUST_200600_302600_NS4plusIlEEEEZZNS1_33reduce_by_key_impl_wrapped_configILNS1_25lookback_scan_determinismE0ES3_S9_PlNS6_17constant_iteratorIiNS6_11use_defaultESE_EENS6_10device_ptrIlEESH_PmS8_NS6_8equal_toIlEEEE10hipError_tPvRmT2_T3_mT4_T5_T6_T7_T8_P12ihipStream_tbENKUlT_T0_E_clISt17integral_constantIbLb1EES12_EEDaSX_SY_EUlSX_E_NS1_11comp_targetILNS1_3genE9ELNS1_11target_archE1100ELNS1_3gpuE3ELNS1_3repE0EEENS1_30default_config_static_selectorELNS0_4arch9wavefront6targetE1EEEvT1_
	.globl	_ZN7rocprim17ROCPRIM_400000_NS6detail17trampoline_kernelINS0_14default_configENS1_29reduce_by_key_config_selectorIllN6thrust23THRUST_200600_302600_NS4plusIlEEEEZZNS1_33reduce_by_key_impl_wrapped_configILNS1_25lookback_scan_determinismE0ES3_S9_PlNS6_17constant_iteratorIiNS6_11use_defaultESE_EENS6_10device_ptrIlEESH_PmS8_NS6_8equal_toIlEEEE10hipError_tPvRmT2_T3_mT4_T5_T6_T7_T8_P12ihipStream_tbENKUlT_T0_E_clISt17integral_constantIbLb1EES12_EEDaSX_SY_EUlSX_E_NS1_11comp_targetILNS1_3genE9ELNS1_11target_archE1100ELNS1_3gpuE3ELNS1_3repE0EEENS1_30default_config_static_selectorELNS0_4arch9wavefront6targetE1EEEvT1_
	.p2align	8
	.type	_ZN7rocprim17ROCPRIM_400000_NS6detail17trampoline_kernelINS0_14default_configENS1_29reduce_by_key_config_selectorIllN6thrust23THRUST_200600_302600_NS4plusIlEEEEZZNS1_33reduce_by_key_impl_wrapped_configILNS1_25lookback_scan_determinismE0ES3_S9_PlNS6_17constant_iteratorIiNS6_11use_defaultESE_EENS6_10device_ptrIlEESH_PmS8_NS6_8equal_toIlEEEE10hipError_tPvRmT2_T3_mT4_T5_T6_T7_T8_P12ihipStream_tbENKUlT_T0_E_clISt17integral_constantIbLb1EES12_EEDaSX_SY_EUlSX_E_NS1_11comp_targetILNS1_3genE9ELNS1_11target_archE1100ELNS1_3gpuE3ELNS1_3repE0EEENS1_30default_config_static_selectorELNS0_4arch9wavefront6targetE1EEEvT1_,@function
_ZN7rocprim17ROCPRIM_400000_NS6detail17trampoline_kernelINS0_14default_configENS1_29reduce_by_key_config_selectorIllN6thrust23THRUST_200600_302600_NS4plusIlEEEEZZNS1_33reduce_by_key_impl_wrapped_configILNS1_25lookback_scan_determinismE0ES3_S9_PlNS6_17constant_iteratorIiNS6_11use_defaultESE_EENS6_10device_ptrIlEESH_PmS8_NS6_8equal_toIlEEEE10hipError_tPvRmT2_T3_mT4_T5_T6_T7_T8_P12ihipStream_tbENKUlT_T0_E_clISt17integral_constantIbLb1EES12_EEDaSX_SY_EUlSX_E_NS1_11comp_targetILNS1_3genE9ELNS1_11target_archE1100ELNS1_3gpuE3ELNS1_3repE0EEENS1_30default_config_static_selectorELNS0_4arch9wavefront6targetE1EEEvT1_: ; @_ZN7rocprim17ROCPRIM_400000_NS6detail17trampoline_kernelINS0_14default_configENS1_29reduce_by_key_config_selectorIllN6thrust23THRUST_200600_302600_NS4plusIlEEEEZZNS1_33reduce_by_key_impl_wrapped_configILNS1_25lookback_scan_determinismE0ES3_S9_PlNS6_17constant_iteratorIiNS6_11use_defaultESE_EENS6_10device_ptrIlEESH_PmS8_NS6_8equal_toIlEEEE10hipError_tPvRmT2_T3_mT4_T5_T6_T7_T8_P12ihipStream_tbENKUlT_T0_E_clISt17integral_constantIbLb1EES12_EEDaSX_SY_EUlSX_E_NS1_11comp_targetILNS1_3genE9ELNS1_11target_archE1100ELNS1_3gpuE3ELNS1_3repE0EEENS1_30default_config_static_selectorELNS0_4arch9wavefront6targetE1EEEvT1_
; %bb.0:
	.section	.rodata,"a",@progbits
	.p2align	6, 0x0
	.amdhsa_kernel _ZN7rocprim17ROCPRIM_400000_NS6detail17trampoline_kernelINS0_14default_configENS1_29reduce_by_key_config_selectorIllN6thrust23THRUST_200600_302600_NS4plusIlEEEEZZNS1_33reduce_by_key_impl_wrapped_configILNS1_25lookback_scan_determinismE0ES3_S9_PlNS6_17constant_iteratorIiNS6_11use_defaultESE_EENS6_10device_ptrIlEESH_PmS8_NS6_8equal_toIlEEEE10hipError_tPvRmT2_T3_mT4_T5_T6_T7_T8_P12ihipStream_tbENKUlT_T0_E_clISt17integral_constantIbLb1EES12_EEDaSX_SY_EUlSX_E_NS1_11comp_targetILNS1_3genE9ELNS1_11target_archE1100ELNS1_3gpuE3ELNS1_3repE0EEENS1_30default_config_static_selectorELNS0_4arch9wavefront6targetE1EEEvT1_
		.amdhsa_group_segment_fixed_size 0
		.amdhsa_private_segment_fixed_size 0
		.amdhsa_kernarg_size 144
		.amdhsa_user_sgpr_count 6
		.amdhsa_user_sgpr_private_segment_buffer 1
		.amdhsa_user_sgpr_dispatch_ptr 0
		.amdhsa_user_sgpr_queue_ptr 0
		.amdhsa_user_sgpr_kernarg_segment_ptr 1
		.amdhsa_user_sgpr_dispatch_id 0
		.amdhsa_user_sgpr_flat_scratch_init 0
		.amdhsa_user_sgpr_private_segment_size 0
		.amdhsa_uses_dynamic_stack 0
		.amdhsa_system_sgpr_private_segment_wavefront_offset 0
		.amdhsa_system_sgpr_workgroup_id_x 1
		.amdhsa_system_sgpr_workgroup_id_y 0
		.amdhsa_system_sgpr_workgroup_id_z 0
		.amdhsa_system_sgpr_workgroup_info 0
		.amdhsa_system_vgpr_workitem_id 0
		.amdhsa_next_free_vgpr 1
		.amdhsa_next_free_sgpr 0
		.amdhsa_reserve_vcc 0
		.amdhsa_reserve_flat_scratch 0
		.amdhsa_float_round_mode_32 0
		.amdhsa_float_round_mode_16_64 0
		.amdhsa_float_denorm_mode_32 3
		.amdhsa_float_denorm_mode_16_64 3
		.amdhsa_dx10_clamp 1
		.amdhsa_ieee_mode 1
		.amdhsa_fp16_overflow 0
		.amdhsa_exception_fp_ieee_invalid_op 0
		.amdhsa_exception_fp_denorm_src 0
		.amdhsa_exception_fp_ieee_div_zero 0
		.amdhsa_exception_fp_ieee_overflow 0
		.amdhsa_exception_fp_ieee_underflow 0
		.amdhsa_exception_fp_ieee_inexact 0
		.amdhsa_exception_int_div_zero 0
	.end_amdhsa_kernel
	.section	.text._ZN7rocprim17ROCPRIM_400000_NS6detail17trampoline_kernelINS0_14default_configENS1_29reduce_by_key_config_selectorIllN6thrust23THRUST_200600_302600_NS4plusIlEEEEZZNS1_33reduce_by_key_impl_wrapped_configILNS1_25lookback_scan_determinismE0ES3_S9_PlNS6_17constant_iteratorIiNS6_11use_defaultESE_EENS6_10device_ptrIlEESH_PmS8_NS6_8equal_toIlEEEE10hipError_tPvRmT2_T3_mT4_T5_T6_T7_T8_P12ihipStream_tbENKUlT_T0_E_clISt17integral_constantIbLb1EES12_EEDaSX_SY_EUlSX_E_NS1_11comp_targetILNS1_3genE9ELNS1_11target_archE1100ELNS1_3gpuE3ELNS1_3repE0EEENS1_30default_config_static_selectorELNS0_4arch9wavefront6targetE1EEEvT1_,"axG",@progbits,_ZN7rocprim17ROCPRIM_400000_NS6detail17trampoline_kernelINS0_14default_configENS1_29reduce_by_key_config_selectorIllN6thrust23THRUST_200600_302600_NS4plusIlEEEEZZNS1_33reduce_by_key_impl_wrapped_configILNS1_25lookback_scan_determinismE0ES3_S9_PlNS6_17constant_iteratorIiNS6_11use_defaultESE_EENS6_10device_ptrIlEESH_PmS8_NS6_8equal_toIlEEEE10hipError_tPvRmT2_T3_mT4_T5_T6_T7_T8_P12ihipStream_tbENKUlT_T0_E_clISt17integral_constantIbLb1EES12_EEDaSX_SY_EUlSX_E_NS1_11comp_targetILNS1_3genE9ELNS1_11target_archE1100ELNS1_3gpuE3ELNS1_3repE0EEENS1_30default_config_static_selectorELNS0_4arch9wavefront6targetE1EEEvT1_,comdat
.Lfunc_end1220:
	.size	_ZN7rocprim17ROCPRIM_400000_NS6detail17trampoline_kernelINS0_14default_configENS1_29reduce_by_key_config_selectorIllN6thrust23THRUST_200600_302600_NS4plusIlEEEEZZNS1_33reduce_by_key_impl_wrapped_configILNS1_25lookback_scan_determinismE0ES3_S9_PlNS6_17constant_iteratorIiNS6_11use_defaultESE_EENS6_10device_ptrIlEESH_PmS8_NS6_8equal_toIlEEEE10hipError_tPvRmT2_T3_mT4_T5_T6_T7_T8_P12ihipStream_tbENKUlT_T0_E_clISt17integral_constantIbLb1EES12_EEDaSX_SY_EUlSX_E_NS1_11comp_targetILNS1_3genE9ELNS1_11target_archE1100ELNS1_3gpuE3ELNS1_3repE0EEENS1_30default_config_static_selectorELNS0_4arch9wavefront6targetE1EEEvT1_, .Lfunc_end1220-_ZN7rocprim17ROCPRIM_400000_NS6detail17trampoline_kernelINS0_14default_configENS1_29reduce_by_key_config_selectorIllN6thrust23THRUST_200600_302600_NS4plusIlEEEEZZNS1_33reduce_by_key_impl_wrapped_configILNS1_25lookback_scan_determinismE0ES3_S9_PlNS6_17constant_iteratorIiNS6_11use_defaultESE_EENS6_10device_ptrIlEESH_PmS8_NS6_8equal_toIlEEEE10hipError_tPvRmT2_T3_mT4_T5_T6_T7_T8_P12ihipStream_tbENKUlT_T0_E_clISt17integral_constantIbLb1EES12_EEDaSX_SY_EUlSX_E_NS1_11comp_targetILNS1_3genE9ELNS1_11target_archE1100ELNS1_3gpuE3ELNS1_3repE0EEENS1_30default_config_static_selectorELNS0_4arch9wavefront6targetE1EEEvT1_
                                        ; -- End function
	.set _ZN7rocprim17ROCPRIM_400000_NS6detail17trampoline_kernelINS0_14default_configENS1_29reduce_by_key_config_selectorIllN6thrust23THRUST_200600_302600_NS4plusIlEEEEZZNS1_33reduce_by_key_impl_wrapped_configILNS1_25lookback_scan_determinismE0ES3_S9_PlNS6_17constant_iteratorIiNS6_11use_defaultESE_EENS6_10device_ptrIlEESH_PmS8_NS6_8equal_toIlEEEE10hipError_tPvRmT2_T3_mT4_T5_T6_T7_T8_P12ihipStream_tbENKUlT_T0_E_clISt17integral_constantIbLb1EES12_EEDaSX_SY_EUlSX_E_NS1_11comp_targetILNS1_3genE9ELNS1_11target_archE1100ELNS1_3gpuE3ELNS1_3repE0EEENS1_30default_config_static_selectorELNS0_4arch9wavefront6targetE1EEEvT1_.num_vgpr, 0
	.set _ZN7rocprim17ROCPRIM_400000_NS6detail17trampoline_kernelINS0_14default_configENS1_29reduce_by_key_config_selectorIllN6thrust23THRUST_200600_302600_NS4plusIlEEEEZZNS1_33reduce_by_key_impl_wrapped_configILNS1_25lookback_scan_determinismE0ES3_S9_PlNS6_17constant_iteratorIiNS6_11use_defaultESE_EENS6_10device_ptrIlEESH_PmS8_NS6_8equal_toIlEEEE10hipError_tPvRmT2_T3_mT4_T5_T6_T7_T8_P12ihipStream_tbENKUlT_T0_E_clISt17integral_constantIbLb1EES12_EEDaSX_SY_EUlSX_E_NS1_11comp_targetILNS1_3genE9ELNS1_11target_archE1100ELNS1_3gpuE3ELNS1_3repE0EEENS1_30default_config_static_selectorELNS0_4arch9wavefront6targetE1EEEvT1_.num_agpr, 0
	.set _ZN7rocprim17ROCPRIM_400000_NS6detail17trampoline_kernelINS0_14default_configENS1_29reduce_by_key_config_selectorIllN6thrust23THRUST_200600_302600_NS4plusIlEEEEZZNS1_33reduce_by_key_impl_wrapped_configILNS1_25lookback_scan_determinismE0ES3_S9_PlNS6_17constant_iteratorIiNS6_11use_defaultESE_EENS6_10device_ptrIlEESH_PmS8_NS6_8equal_toIlEEEE10hipError_tPvRmT2_T3_mT4_T5_T6_T7_T8_P12ihipStream_tbENKUlT_T0_E_clISt17integral_constantIbLb1EES12_EEDaSX_SY_EUlSX_E_NS1_11comp_targetILNS1_3genE9ELNS1_11target_archE1100ELNS1_3gpuE3ELNS1_3repE0EEENS1_30default_config_static_selectorELNS0_4arch9wavefront6targetE1EEEvT1_.numbered_sgpr, 0
	.set _ZN7rocprim17ROCPRIM_400000_NS6detail17trampoline_kernelINS0_14default_configENS1_29reduce_by_key_config_selectorIllN6thrust23THRUST_200600_302600_NS4plusIlEEEEZZNS1_33reduce_by_key_impl_wrapped_configILNS1_25lookback_scan_determinismE0ES3_S9_PlNS6_17constant_iteratorIiNS6_11use_defaultESE_EENS6_10device_ptrIlEESH_PmS8_NS6_8equal_toIlEEEE10hipError_tPvRmT2_T3_mT4_T5_T6_T7_T8_P12ihipStream_tbENKUlT_T0_E_clISt17integral_constantIbLb1EES12_EEDaSX_SY_EUlSX_E_NS1_11comp_targetILNS1_3genE9ELNS1_11target_archE1100ELNS1_3gpuE3ELNS1_3repE0EEENS1_30default_config_static_selectorELNS0_4arch9wavefront6targetE1EEEvT1_.num_named_barrier, 0
	.set _ZN7rocprim17ROCPRIM_400000_NS6detail17trampoline_kernelINS0_14default_configENS1_29reduce_by_key_config_selectorIllN6thrust23THRUST_200600_302600_NS4plusIlEEEEZZNS1_33reduce_by_key_impl_wrapped_configILNS1_25lookback_scan_determinismE0ES3_S9_PlNS6_17constant_iteratorIiNS6_11use_defaultESE_EENS6_10device_ptrIlEESH_PmS8_NS6_8equal_toIlEEEE10hipError_tPvRmT2_T3_mT4_T5_T6_T7_T8_P12ihipStream_tbENKUlT_T0_E_clISt17integral_constantIbLb1EES12_EEDaSX_SY_EUlSX_E_NS1_11comp_targetILNS1_3genE9ELNS1_11target_archE1100ELNS1_3gpuE3ELNS1_3repE0EEENS1_30default_config_static_selectorELNS0_4arch9wavefront6targetE1EEEvT1_.private_seg_size, 0
	.set _ZN7rocprim17ROCPRIM_400000_NS6detail17trampoline_kernelINS0_14default_configENS1_29reduce_by_key_config_selectorIllN6thrust23THRUST_200600_302600_NS4plusIlEEEEZZNS1_33reduce_by_key_impl_wrapped_configILNS1_25lookback_scan_determinismE0ES3_S9_PlNS6_17constant_iteratorIiNS6_11use_defaultESE_EENS6_10device_ptrIlEESH_PmS8_NS6_8equal_toIlEEEE10hipError_tPvRmT2_T3_mT4_T5_T6_T7_T8_P12ihipStream_tbENKUlT_T0_E_clISt17integral_constantIbLb1EES12_EEDaSX_SY_EUlSX_E_NS1_11comp_targetILNS1_3genE9ELNS1_11target_archE1100ELNS1_3gpuE3ELNS1_3repE0EEENS1_30default_config_static_selectorELNS0_4arch9wavefront6targetE1EEEvT1_.uses_vcc, 0
	.set _ZN7rocprim17ROCPRIM_400000_NS6detail17trampoline_kernelINS0_14default_configENS1_29reduce_by_key_config_selectorIllN6thrust23THRUST_200600_302600_NS4plusIlEEEEZZNS1_33reduce_by_key_impl_wrapped_configILNS1_25lookback_scan_determinismE0ES3_S9_PlNS6_17constant_iteratorIiNS6_11use_defaultESE_EENS6_10device_ptrIlEESH_PmS8_NS6_8equal_toIlEEEE10hipError_tPvRmT2_T3_mT4_T5_T6_T7_T8_P12ihipStream_tbENKUlT_T0_E_clISt17integral_constantIbLb1EES12_EEDaSX_SY_EUlSX_E_NS1_11comp_targetILNS1_3genE9ELNS1_11target_archE1100ELNS1_3gpuE3ELNS1_3repE0EEENS1_30default_config_static_selectorELNS0_4arch9wavefront6targetE1EEEvT1_.uses_flat_scratch, 0
	.set _ZN7rocprim17ROCPRIM_400000_NS6detail17trampoline_kernelINS0_14default_configENS1_29reduce_by_key_config_selectorIllN6thrust23THRUST_200600_302600_NS4plusIlEEEEZZNS1_33reduce_by_key_impl_wrapped_configILNS1_25lookback_scan_determinismE0ES3_S9_PlNS6_17constant_iteratorIiNS6_11use_defaultESE_EENS6_10device_ptrIlEESH_PmS8_NS6_8equal_toIlEEEE10hipError_tPvRmT2_T3_mT4_T5_T6_T7_T8_P12ihipStream_tbENKUlT_T0_E_clISt17integral_constantIbLb1EES12_EEDaSX_SY_EUlSX_E_NS1_11comp_targetILNS1_3genE9ELNS1_11target_archE1100ELNS1_3gpuE3ELNS1_3repE0EEENS1_30default_config_static_selectorELNS0_4arch9wavefront6targetE1EEEvT1_.has_dyn_sized_stack, 0
	.set _ZN7rocprim17ROCPRIM_400000_NS6detail17trampoline_kernelINS0_14default_configENS1_29reduce_by_key_config_selectorIllN6thrust23THRUST_200600_302600_NS4plusIlEEEEZZNS1_33reduce_by_key_impl_wrapped_configILNS1_25lookback_scan_determinismE0ES3_S9_PlNS6_17constant_iteratorIiNS6_11use_defaultESE_EENS6_10device_ptrIlEESH_PmS8_NS6_8equal_toIlEEEE10hipError_tPvRmT2_T3_mT4_T5_T6_T7_T8_P12ihipStream_tbENKUlT_T0_E_clISt17integral_constantIbLb1EES12_EEDaSX_SY_EUlSX_E_NS1_11comp_targetILNS1_3genE9ELNS1_11target_archE1100ELNS1_3gpuE3ELNS1_3repE0EEENS1_30default_config_static_selectorELNS0_4arch9wavefront6targetE1EEEvT1_.has_recursion, 0
	.set _ZN7rocprim17ROCPRIM_400000_NS6detail17trampoline_kernelINS0_14default_configENS1_29reduce_by_key_config_selectorIllN6thrust23THRUST_200600_302600_NS4plusIlEEEEZZNS1_33reduce_by_key_impl_wrapped_configILNS1_25lookback_scan_determinismE0ES3_S9_PlNS6_17constant_iteratorIiNS6_11use_defaultESE_EENS6_10device_ptrIlEESH_PmS8_NS6_8equal_toIlEEEE10hipError_tPvRmT2_T3_mT4_T5_T6_T7_T8_P12ihipStream_tbENKUlT_T0_E_clISt17integral_constantIbLb1EES12_EEDaSX_SY_EUlSX_E_NS1_11comp_targetILNS1_3genE9ELNS1_11target_archE1100ELNS1_3gpuE3ELNS1_3repE0EEENS1_30default_config_static_selectorELNS0_4arch9wavefront6targetE1EEEvT1_.has_indirect_call, 0
	.section	.AMDGPU.csdata,"",@progbits
; Kernel info:
; codeLenInByte = 0
; TotalNumSgprs: 4
; NumVgprs: 0
; ScratchSize: 0
; MemoryBound: 0
; FloatMode: 240
; IeeeMode: 1
; LDSByteSize: 0 bytes/workgroup (compile time only)
; SGPRBlocks: 0
; VGPRBlocks: 0
; NumSGPRsForWavesPerEU: 4
; NumVGPRsForWavesPerEU: 1
; Occupancy: 10
; WaveLimiterHint : 0
; COMPUTE_PGM_RSRC2:SCRATCH_EN: 0
; COMPUTE_PGM_RSRC2:USER_SGPR: 6
; COMPUTE_PGM_RSRC2:TRAP_HANDLER: 0
; COMPUTE_PGM_RSRC2:TGID_X_EN: 1
; COMPUTE_PGM_RSRC2:TGID_Y_EN: 0
; COMPUTE_PGM_RSRC2:TGID_Z_EN: 0
; COMPUTE_PGM_RSRC2:TIDIG_COMP_CNT: 0
	.section	.text._ZN7rocprim17ROCPRIM_400000_NS6detail17trampoline_kernelINS0_14default_configENS1_29reduce_by_key_config_selectorIllN6thrust23THRUST_200600_302600_NS4plusIlEEEEZZNS1_33reduce_by_key_impl_wrapped_configILNS1_25lookback_scan_determinismE0ES3_S9_PlNS6_17constant_iteratorIiNS6_11use_defaultESE_EENS6_10device_ptrIlEESH_PmS8_NS6_8equal_toIlEEEE10hipError_tPvRmT2_T3_mT4_T5_T6_T7_T8_P12ihipStream_tbENKUlT_T0_E_clISt17integral_constantIbLb1EES12_EEDaSX_SY_EUlSX_E_NS1_11comp_targetILNS1_3genE8ELNS1_11target_archE1030ELNS1_3gpuE2ELNS1_3repE0EEENS1_30default_config_static_selectorELNS0_4arch9wavefront6targetE1EEEvT1_,"axG",@progbits,_ZN7rocprim17ROCPRIM_400000_NS6detail17trampoline_kernelINS0_14default_configENS1_29reduce_by_key_config_selectorIllN6thrust23THRUST_200600_302600_NS4plusIlEEEEZZNS1_33reduce_by_key_impl_wrapped_configILNS1_25lookback_scan_determinismE0ES3_S9_PlNS6_17constant_iteratorIiNS6_11use_defaultESE_EENS6_10device_ptrIlEESH_PmS8_NS6_8equal_toIlEEEE10hipError_tPvRmT2_T3_mT4_T5_T6_T7_T8_P12ihipStream_tbENKUlT_T0_E_clISt17integral_constantIbLb1EES12_EEDaSX_SY_EUlSX_E_NS1_11comp_targetILNS1_3genE8ELNS1_11target_archE1030ELNS1_3gpuE2ELNS1_3repE0EEENS1_30default_config_static_selectorELNS0_4arch9wavefront6targetE1EEEvT1_,comdat
	.protected	_ZN7rocprim17ROCPRIM_400000_NS6detail17trampoline_kernelINS0_14default_configENS1_29reduce_by_key_config_selectorIllN6thrust23THRUST_200600_302600_NS4plusIlEEEEZZNS1_33reduce_by_key_impl_wrapped_configILNS1_25lookback_scan_determinismE0ES3_S9_PlNS6_17constant_iteratorIiNS6_11use_defaultESE_EENS6_10device_ptrIlEESH_PmS8_NS6_8equal_toIlEEEE10hipError_tPvRmT2_T3_mT4_T5_T6_T7_T8_P12ihipStream_tbENKUlT_T0_E_clISt17integral_constantIbLb1EES12_EEDaSX_SY_EUlSX_E_NS1_11comp_targetILNS1_3genE8ELNS1_11target_archE1030ELNS1_3gpuE2ELNS1_3repE0EEENS1_30default_config_static_selectorELNS0_4arch9wavefront6targetE1EEEvT1_ ; -- Begin function _ZN7rocprim17ROCPRIM_400000_NS6detail17trampoline_kernelINS0_14default_configENS1_29reduce_by_key_config_selectorIllN6thrust23THRUST_200600_302600_NS4plusIlEEEEZZNS1_33reduce_by_key_impl_wrapped_configILNS1_25lookback_scan_determinismE0ES3_S9_PlNS6_17constant_iteratorIiNS6_11use_defaultESE_EENS6_10device_ptrIlEESH_PmS8_NS6_8equal_toIlEEEE10hipError_tPvRmT2_T3_mT4_T5_T6_T7_T8_P12ihipStream_tbENKUlT_T0_E_clISt17integral_constantIbLb1EES12_EEDaSX_SY_EUlSX_E_NS1_11comp_targetILNS1_3genE8ELNS1_11target_archE1030ELNS1_3gpuE2ELNS1_3repE0EEENS1_30default_config_static_selectorELNS0_4arch9wavefront6targetE1EEEvT1_
	.globl	_ZN7rocprim17ROCPRIM_400000_NS6detail17trampoline_kernelINS0_14default_configENS1_29reduce_by_key_config_selectorIllN6thrust23THRUST_200600_302600_NS4plusIlEEEEZZNS1_33reduce_by_key_impl_wrapped_configILNS1_25lookback_scan_determinismE0ES3_S9_PlNS6_17constant_iteratorIiNS6_11use_defaultESE_EENS6_10device_ptrIlEESH_PmS8_NS6_8equal_toIlEEEE10hipError_tPvRmT2_T3_mT4_T5_T6_T7_T8_P12ihipStream_tbENKUlT_T0_E_clISt17integral_constantIbLb1EES12_EEDaSX_SY_EUlSX_E_NS1_11comp_targetILNS1_3genE8ELNS1_11target_archE1030ELNS1_3gpuE2ELNS1_3repE0EEENS1_30default_config_static_selectorELNS0_4arch9wavefront6targetE1EEEvT1_
	.p2align	8
	.type	_ZN7rocprim17ROCPRIM_400000_NS6detail17trampoline_kernelINS0_14default_configENS1_29reduce_by_key_config_selectorIllN6thrust23THRUST_200600_302600_NS4plusIlEEEEZZNS1_33reduce_by_key_impl_wrapped_configILNS1_25lookback_scan_determinismE0ES3_S9_PlNS6_17constant_iteratorIiNS6_11use_defaultESE_EENS6_10device_ptrIlEESH_PmS8_NS6_8equal_toIlEEEE10hipError_tPvRmT2_T3_mT4_T5_T6_T7_T8_P12ihipStream_tbENKUlT_T0_E_clISt17integral_constantIbLb1EES12_EEDaSX_SY_EUlSX_E_NS1_11comp_targetILNS1_3genE8ELNS1_11target_archE1030ELNS1_3gpuE2ELNS1_3repE0EEENS1_30default_config_static_selectorELNS0_4arch9wavefront6targetE1EEEvT1_,@function
_ZN7rocprim17ROCPRIM_400000_NS6detail17trampoline_kernelINS0_14default_configENS1_29reduce_by_key_config_selectorIllN6thrust23THRUST_200600_302600_NS4plusIlEEEEZZNS1_33reduce_by_key_impl_wrapped_configILNS1_25lookback_scan_determinismE0ES3_S9_PlNS6_17constant_iteratorIiNS6_11use_defaultESE_EENS6_10device_ptrIlEESH_PmS8_NS6_8equal_toIlEEEE10hipError_tPvRmT2_T3_mT4_T5_T6_T7_T8_P12ihipStream_tbENKUlT_T0_E_clISt17integral_constantIbLb1EES12_EEDaSX_SY_EUlSX_E_NS1_11comp_targetILNS1_3genE8ELNS1_11target_archE1030ELNS1_3gpuE2ELNS1_3repE0EEENS1_30default_config_static_selectorELNS0_4arch9wavefront6targetE1EEEvT1_: ; @_ZN7rocprim17ROCPRIM_400000_NS6detail17trampoline_kernelINS0_14default_configENS1_29reduce_by_key_config_selectorIllN6thrust23THRUST_200600_302600_NS4plusIlEEEEZZNS1_33reduce_by_key_impl_wrapped_configILNS1_25lookback_scan_determinismE0ES3_S9_PlNS6_17constant_iteratorIiNS6_11use_defaultESE_EENS6_10device_ptrIlEESH_PmS8_NS6_8equal_toIlEEEE10hipError_tPvRmT2_T3_mT4_T5_T6_T7_T8_P12ihipStream_tbENKUlT_T0_E_clISt17integral_constantIbLb1EES12_EEDaSX_SY_EUlSX_E_NS1_11comp_targetILNS1_3genE8ELNS1_11target_archE1030ELNS1_3gpuE2ELNS1_3repE0EEENS1_30default_config_static_selectorELNS0_4arch9wavefront6targetE1EEEvT1_
; %bb.0:
	.section	.rodata,"a",@progbits
	.p2align	6, 0x0
	.amdhsa_kernel _ZN7rocprim17ROCPRIM_400000_NS6detail17trampoline_kernelINS0_14default_configENS1_29reduce_by_key_config_selectorIllN6thrust23THRUST_200600_302600_NS4plusIlEEEEZZNS1_33reduce_by_key_impl_wrapped_configILNS1_25lookback_scan_determinismE0ES3_S9_PlNS6_17constant_iteratorIiNS6_11use_defaultESE_EENS6_10device_ptrIlEESH_PmS8_NS6_8equal_toIlEEEE10hipError_tPvRmT2_T3_mT4_T5_T6_T7_T8_P12ihipStream_tbENKUlT_T0_E_clISt17integral_constantIbLb1EES12_EEDaSX_SY_EUlSX_E_NS1_11comp_targetILNS1_3genE8ELNS1_11target_archE1030ELNS1_3gpuE2ELNS1_3repE0EEENS1_30default_config_static_selectorELNS0_4arch9wavefront6targetE1EEEvT1_
		.amdhsa_group_segment_fixed_size 0
		.amdhsa_private_segment_fixed_size 0
		.amdhsa_kernarg_size 144
		.amdhsa_user_sgpr_count 6
		.amdhsa_user_sgpr_private_segment_buffer 1
		.amdhsa_user_sgpr_dispatch_ptr 0
		.amdhsa_user_sgpr_queue_ptr 0
		.amdhsa_user_sgpr_kernarg_segment_ptr 1
		.amdhsa_user_sgpr_dispatch_id 0
		.amdhsa_user_sgpr_flat_scratch_init 0
		.amdhsa_user_sgpr_private_segment_size 0
		.amdhsa_uses_dynamic_stack 0
		.amdhsa_system_sgpr_private_segment_wavefront_offset 0
		.amdhsa_system_sgpr_workgroup_id_x 1
		.amdhsa_system_sgpr_workgroup_id_y 0
		.amdhsa_system_sgpr_workgroup_id_z 0
		.amdhsa_system_sgpr_workgroup_info 0
		.amdhsa_system_vgpr_workitem_id 0
		.amdhsa_next_free_vgpr 1
		.amdhsa_next_free_sgpr 0
		.amdhsa_reserve_vcc 0
		.amdhsa_reserve_flat_scratch 0
		.amdhsa_float_round_mode_32 0
		.amdhsa_float_round_mode_16_64 0
		.amdhsa_float_denorm_mode_32 3
		.amdhsa_float_denorm_mode_16_64 3
		.amdhsa_dx10_clamp 1
		.amdhsa_ieee_mode 1
		.amdhsa_fp16_overflow 0
		.amdhsa_exception_fp_ieee_invalid_op 0
		.amdhsa_exception_fp_denorm_src 0
		.amdhsa_exception_fp_ieee_div_zero 0
		.amdhsa_exception_fp_ieee_overflow 0
		.amdhsa_exception_fp_ieee_underflow 0
		.amdhsa_exception_fp_ieee_inexact 0
		.amdhsa_exception_int_div_zero 0
	.end_amdhsa_kernel
	.section	.text._ZN7rocprim17ROCPRIM_400000_NS6detail17trampoline_kernelINS0_14default_configENS1_29reduce_by_key_config_selectorIllN6thrust23THRUST_200600_302600_NS4plusIlEEEEZZNS1_33reduce_by_key_impl_wrapped_configILNS1_25lookback_scan_determinismE0ES3_S9_PlNS6_17constant_iteratorIiNS6_11use_defaultESE_EENS6_10device_ptrIlEESH_PmS8_NS6_8equal_toIlEEEE10hipError_tPvRmT2_T3_mT4_T5_T6_T7_T8_P12ihipStream_tbENKUlT_T0_E_clISt17integral_constantIbLb1EES12_EEDaSX_SY_EUlSX_E_NS1_11comp_targetILNS1_3genE8ELNS1_11target_archE1030ELNS1_3gpuE2ELNS1_3repE0EEENS1_30default_config_static_selectorELNS0_4arch9wavefront6targetE1EEEvT1_,"axG",@progbits,_ZN7rocprim17ROCPRIM_400000_NS6detail17trampoline_kernelINS0_14default_configENS1_29reduce_by_key_config_selectorIllN6thrust23THRUST_200600_302600_NS4plusIlEEEEZZNS1_33reduce_by_key_impl_wrapped_configILNS1_25lookback_scan_determinismE0ES3_S9_PlNS6_17constant_iteratorIiNS6_11use_defaultESE_EENS6_10device_ptrIlEESH_PmS8_NS6_8equal_toIlEEEE10hipError_tPvRmT2_T3_mT4_T5_T6_T7_T8_P12ihipStream_tbENKUlT_T0_E_clISt17integral_constantIbLb1EES12_EEDaSX_SY_EUlSX_E_NS1_11comp_targetILNS1_3genE8ELNS1_11target_archE1030ELNS1_3gpuE2ELNS1_3repE0EEENS1_30default_config_static_selectorELNS0_4arch9wavefront6targetE1EEEvT1_,comdat
.Lfunc_end1221:
	.size	_ZN7rocprim17ROCPRIM_400000_NS6detail17trampoline_kernelINS0_14default_configENS1_29reduce_by_key_config_selectorIllN6thrust23THRUST_200600_302600_NS4plusIlEEEEZZNS1_33reduce_by_key_impl_wrapped_configILNS1_25lookback_scan_determinismE0ES3_S9_PlNS6_17constant_iteratorIiNS6_11use_defaultESE_EENS6_10device_ptrIlEESH_PmS8_NS6_8equal_toIlEEEE10hipError_tPvRmT2_T3_mT4_T5_T6_T7_T8_P12ihipStream_tbENKUlT_T0_E_clISt17integral_constantIbLb1EES12_EEDaSX_SY_EUlSX_E_NS1_11comp_targetILNS1_3genE8ELNS1_11target_archE1030ELNS1_3gpuE2ELNS1_3repE0EEENS1_30default_config_static_selectorELNS0_4arch9wavefront6targetE1EEEvT1_, .Lfunc_end1221-_ZN7rocprim17ROCPRIM_400000_NS6detail17trampoline_kernelINS0_14default_configENS1_29reduce_by_key_config_selectorIllN6thrust23THRUST_200600_302600_NS4plusIlEEEEZZNS1_33reduce_by_key_impl_wrapped_configILNS1_25lookback_scan_determinismE0ES3_S9_PlNS6_17constant_iteratorIiNS6_11use_defaultESE_EENS6_10device_ptrIlEESH_PmS8_NS6_8equal_toIlEEEE10hipError_tPvRmT2_T3_mT4_T5_T6_T7_T8_P12ihipStream_tbENKUlT_T0_E_clISt17integral_constantIbLb1EES12_EEDaSX_SY_EUlSX_E_NS1_11comp_targetILNS1_3genE8ELNS1_11target_archE1030ELNS1_3gpuE2ELNS1_3repE0EEENS1_30default_config_static_selectorELNS0_4arch9wavefront6targetE1EEEvT1_
                                        ; -- End function
	.set _ZN7rocprim17ROCPRIM_400000_NS6detail17trampoline_kernelINS0_14default_configENS1_29reduce_by_key_config_selectorIllN6thrust23THRUST_200600_302600_NS4plusIlEEEEZZNS1_33reduce_by_key_impl_wrapped_configILNS1_25lookback_scan_determinismE0ES3_S9_PlNS6_17constant_iteratorIiNS6_11use_defaultESE_EENS6_10device_ptrIlEESH_PmS8_NS6_8equal_toIlEEEE10hipError_tPvRmT2_T3_mT4_T5_T6_T7_T8_P12ihipStream_tbENKUlT_T0_E_clISt17integral_constantIbLb1EES12_EEDaSX_SY_EUlSX_E_NS1_11comp_targetILNS1_3genE8ELNS1_11target_archE1030ELNS1_3gpuE2ELNS1_3repE0EEENS1_30default_config_static_selectorELNS0_4arch9wavefront6targetE1EEEvT1_.num_vgpr, 0
	.set _ZN7rocprim17ROCPRIM_400000_NS6detail17trampoline_kernelINS0_14default_configENS1_29reduce_by_key_config_selectorIllN6thrust23THRUST_200600_302600_NS4plusIlEEEEZZNS1_33reduce_by_key_impl_wrapped_configILNS1_25lookback_scan_determinismE0ES3_S9_PlNS6_17constant_iteratorIiNS6_11use_defaultESE_EENS6_10device_ptrIlEESH_PmS8_NS6_8equal_toIlEEEE10hipError_tPvRmT2_T3_mT4_T5_T6_T7_T8_P12ihipStream_tbENKUlT_T0_E_clISt17integral_constantIbLb1EES12_EEDaSX_SY_EUlSX_E_NS1_11comp_targetILNS1_3genE8ELNS1_11target_archE1030ELNS1_3gpuE2ELNS1_3repE0EEENS1_30default_config_static_selectorELNS0_4arch9wavefront6targetE1EEEvT1_.num_agpr, 0
	.set _ZN7rocprim17ROCPRIM_400000_NS6detail17trampoline_kernelINS0_14default_configENS1_29reduce_by_key_config_selectorIllN6thrust23THRUST_200600_302600_NS4plusIlEEEEZZNS1_33reduce_by_key_impl_wrapped_configILNS1_25lookback_scan_determinismE0ES3_S9_PlNS6_17constant_iteratorIiNS6_11use_defaultESE_EENS6_10device_ptrIlEESH_PmS8_NS6_8equal_toIlEEEE10hipError_tPvRmT2_T3_mT4_T5_T6_T7_T8_P12ihipStream_tbENKUlT_T0_E_clISt17integral_constantIbLb1EES12_EEDaSX_SY_EUlSX_E_NS1_11comp_targetILNS1_3genE8ELNS1_11target_archE1030ELNS1_3gpuE2ELNS1_3repE0EEENS1_30default_config_static_selectorELNS0_4arch9wavefront6targetE1EEEvT1_.numbered_sgpr, 0
	.set _ZN7rocprim17ROCPRIM_400000_NS6detail17trampoline_kernelINS0_14default_configENS1_29reduce_by_key_config_selectorIllN6thrust23THRUST_200600_302600_NS4plusIlEEEEZZNS1_33reduce_by_key_impl_wrapped_configILNS1_25lookback_scan_determinismE0ES3_S9_PlNS6_17constant_iteratorIiNS6_11use_defaultESE_EENS6_10device_ptrIlEESH_PmS8_NS6_8equal_toIlEEEE10hipError_tPvRmT2_T3_mT4_T5_T6_T7_T8_P12ihipStream_tbENKUlT_T0_E_clISt17integral_constantIbLb1EES12_EEDaSX_SY_EUlSX_E_NS1_11comp_targetILNS1_3genE8ELNS1_11target_archE1030ELNS1_3gpuE2ELNS1_3repE0EEENS1_30default_config_static_selectorELNS0_4arch9wavefront6targetE1EEEvT1_.num_named_barrier, 0
	.set _ZN7rocprim17ROCPRIM_400000_NS6detail17trampoline_kernelINS0_14default_configENS1_29reduce_by_key_config_selectorIllN6thrust23THRUST_200600_302600_NS4plusIlEEEEZZNS1_33reduce_by_key_impl_wrapped_configILNS1_25lookback_scan_determinismE0ES3_S9_PlNS6_17constant_iteratorIiNS6_11use_defaultESE_EENS6_10device_ptrIlEESH_PmS8_NS6_8equal_toIlEEEE10hipError_tPvRmT2_T3_mT4_T5_T6_T7_T8_P12ihipStream_tbENKUlT_T0_E_clISt17integral_constantIbLb1EES12_EEDaSX_SY_EUlSX_E_NS1_11comp_targetILNS1_3genE8ELNS1_11target_archE1030ELNS1_3gpuE2ELNS1_3repE0EEENS1_30default_config_static_selectorELNS0_4arch9wavefront6targetE1EEEvT1_.private_seg_size, 0
	.set _ZN7rocprim17ROCPRIM_400000_NS6detail17trampoline_kernelINS0_14default_configENS1_29reduce_by_key_config_selectorIllN6thrust23THRUST_200600_302600_NS4plusIlEEEEZZNS1_33reduce_by_key_impl_wrapped_configILNS1_25lookback_scan_determinismE0ES3_S9_PlNS6_17constant_iteratorIiNS6_11use_defaultESE_EENS6_10device_ptrIlEESH_PmS8_NS6_8equal_toIlEEEE10hipError_tPvRmT2_T3_mT4_T5_T6_T7_T8_P12ihipStream_tbENKUlT_T0_E_clISt17integral_constantIbLb1EES12_EEDaSX_SY_EUlSX_E_NS1_11comp_targetILNS1_3genE8ELNS1_11target_archE1030ELNS1_3gpuE2ELNS1_3repE0EEENS1_30default_config_static_selectorELNS0_4arch9wavefront6targetE1EEEvT1_.uses_vcc, 0
	.set _ZN7rocprim17ROCPRIM_400000_NS6detail17trampoline_kernelINS0_14default_configENS1_29reduce_by_key_config_selectorIllN6thrust23THRUST_200600_302600_NS4plusIlEEEEZZNS1_33reduce_by_key_impl_wrapped_configILNS1_25lookback_scan_determinismE0ES3_S9_PlNS6_17constant_iteratorIiNS6_11use_defaultESE_EENS6_10device_ptrIlEESH_PmS8_NS6_8equal_toIlEEEE10hipError_tPvRmT2_T3_mT4_T5_T6_T7_T8_P12ihipStream_tbENKUlT_T0_E_clISt17integral_constantIbLb1EES12_EEDaSX_SY_EUlSX_E_NS1_11comp_targetILNS1_3genE8ELNS1_11target_archE1030ELNS1_3gpuE2ELNS1_3repE0EEENS1_30default_config_static_selectorELNS0_4arch9wavefront6targetE1EEEvT1_.uses_flat_scratch, 0
	.set _ZN7rocprim17ROCPRIM_400000_NS6detail17trampoline_kernelINS0_14default_configENS1_29reduce_by_key_config_selectorIllN6thrust23THRUST_200600_302600_NS4plusIlEEEEZZNS1_33reduce_by_key_impl_wrapped_configILNS1_25lookback_scan_determinismE0ES3_S9_PlNS6_17constant_iteratorIiNS6_11use_defaultESE_EENS6_10device_ptrIlEESH_PmS8_NS6_8equal_toIlEEEE10hipError_tPvRmT2_T3_mT4_T5_T6_T7_T8_P12ihipStream_tbENKUlT_T0_E_clISt17integral_constantIbLb1EES12_EEDaSX_SY_EUlSX_E_NS1_11comp_targetILNS1_3genE8ELNS1_11target_archE1030ELNS1_3gpuE2ELNS1_3repE0EEENS1_30default_config_static_selectorELNS0_4arch9wavefront6targetE1EEEvT1_.has_dyn_sized_stack, 0
	.set _ZN7rocprim17ROCPRIM_400000_NS6detail17trampoline_kernelINS0_14default_configENS1_29reduce_by_key_config_selectorIllN6thrust23THRUST_200600_302600_NS4plusIlEEEEZZNS1_33reduce_by_key_impl_wrapped_configILNS1_25lookback_scan_determinismE0ES3_S9_PlNS6_17constant_iteratorIiNS6_11use_defaultESE_EENS6_10device_ptrIlEESH_PmS8_NS6_8equal_toIlEEEE10hipError_tPvRmT2_T3_mT4_T5_T6_T7_T8_P12ihipStream_tbENKUlT_T0_E_clISt17integral_constantIbLb1EES12_EEDaSX_SY_EUlSX_E_NS1_11comp_targetILNS1_3genE8ELNS1_11target_archE1030ELNS1_3gpuE2ELNS1_3repE0EEENS1_30default_config_static_selectorELNS0_4arch9wavefront6targetE1EEEvT1_.has_recursion, 0
	.set _ZN7rocprim17ROCPRIM_400000_NS6detail17trampoline_kernelINS0_14default_configENS1_29reduce_by_key_config_selectorIllN6thrust23THRUST_200600_302600_NS4plusIlEEEEZZNS1_33reduce_by_key_impl_wrapped_configILNS1_25lookback_scan_determinismE0ES3_S9_PlNS6_17constant_iteratorIiNS6_11use_defaultESE_EENS6_10device_ptrIlEESH_PmS8_NS6_8equal_toIlEEEE10hipError_tPvRmT2_T3_mT4_T5_T6_T7_T8_P12ihipStream_tbENKUlT_T0_E_clISt17integral_constantIbLb1EES12_EEDaSX_SY_EUlSX_E_NS1_11comp_targetILNS1_3genE8ELNS1_11target_archE1030ELNS1_3gpuE2ELNS1_3repE0EEENS1_30default_config_static_selectorELNS0_4arch9wavefront6targetE1EEEvT1_.has_indirect_call, 0
	.section	.AMDGPU.csdata,"",@progbits
; Kernel info:
; codeLenInByte = 0
; TotalNumSgprs: 4
; NumVgprs: 0
; ScratchSize: 0
; MemoryBound: 0
; FloatMode: 240
; IeeeMode: 1
; LDSByteSize: 0 bytes/workgroup (compile time only)
; SGPRBlocks: 0
; VGPRBlocks: 0
; NumSGPRsForWavesPerEU: 4
; NumVGPRsForWavesPerEU: 1
; Occupancy: 10
; WaveLimiterHint : 0
; COMPUTE_PGM_RSRC2:SCRATCH_EN: 0
; COMPUTE_PGM_RSRC2:USER_SGPR: 6
; COMPUTE_PGM_RSRC2:TRAP_HANDLER: 0
; COMPUTE_PGM_RSRC2:TGID_X_EN: 1
; COMPUTE_PGM_RSRC2:TGID_Y_EN: 0
; COMPUTE_PGM_RSRC2:TGID_Z_EN: 0
; COMPUTE_PGM_RSRC2:TIDIG_COMP_CNT: 0
	.section	.text._ZN7rocprim17ROCPRIM_400000_NS6detail17trampoline_kernelINS0_14default_configENS1_29reduce_by_key_config_selectorIllN6thrust23THRUST_200600_302600_NS4plusIlEEEEZZNS1_33reduce_by_key_impl_wrapped_configILNS1_25lookback_scan_determinismE0ES3_S9_PlNS6_17constant_iteratorIiNS6_11use_defaultESE_EENS6_10device_ptrIlEESH_PmS8_NS6_8equal_toIlEEEE10hipError_tPvRmT2_T3_mT4_T5_T6_T7_T8_P12ihipStream_tbENKUlT_T0_E_clISt17integral_constantIbLb1EES11_IbLb0EEEEDaSX_SY_EUlSX_E_NS1_11comp_targetILNS1_3genE0ELNS1_11target_archE4294967295ELNS1_3gpuE0ELNS1_3repE0EEENS1_30default_config_static_selectorELNS0_4arch9wavefront6targetE1EEEvT1_,"axG",@progbits,_ZN7rocprim17ROCPRIM_400000_NS6detail17trampoline_kernelINS0_14default_configENS1_29reduce_by_key_config_selectorIllN6thrust23THRUST_200600_302600_NS4plusIlEEEEZZNS1_33reduce_by_key_impl_wrapped_configILNS1_25lookback_scan_determinismE0ES3_S9_PlNS6_17constant_iteratorIiNS6_11use_defaultESE_EENS6_10device_ptrIlEESH_PmS8_NS6_8equal_toIlEEEE10hipError_tPvRmT2_T3_mT4_T5_T6_T7_T8_P12ihipStream_tbENKUlT_T0_E_clISt17integral_constantIbLb1EES11_IbLb0EEEEDaSX_SY_EUlSX_E_NS1_11comp_targetILNS1_3genE0ELNS1_11target_archE4294967295ELNS1_3gpuE0ELNS1_3repE0EEENS1_30default_config_static_selectorELNS0_4arch9wavefront6targetE1EEEvT1_,comdat
	.protected	_ZN7rocprim17ROCPRIM_400000_NS6detail17trampoline_kernelINS0_14default_configENS1_29reduce_by_key_config_selectorIllN6thrust23THRUST_200600_302600_NS4plusIlEEEEZZNS1_33reduce_by_key_impl_wrapped_configILNS1_25lookback_scan_determinismE0ES3_S9_PlNS6_17constant_iteratorIiNS6_11use_defaultESE_EENS6_10device_ptrIlEESH_PmS8_NS6_8equal_toIlEEEE10hipError_tPvRmT2_T3_mT4_T5_T6_T7_T8_P12ihipStream_tbENKUlT_T0_E_clISt17integral_constantIbLb1EES11_IbLb0EEEEDaSX_SY_EUlSX_E_NS1_11comp_targetILNS1_3genE0ELNS1_11target_archE4294967295ELNS1_3gpuE0ELNS1_3repE0EEENS1_30default_config_static_selectorELNS0_4arch9wavefront6targetE1EEEvT1_ ; -- Begin function _ZN7rocprim17ROCPRIM_400000_NS6detail17trampoline_kernelINS0_14default_configENS1_29reduce_by_key_config_selectorIllN6thrust23THRUST_200600_302600_NS4plusIlEEEEZZNS1_33reduce_by_key_impl_wrapped_configILNS1_25lookback_scan_determinismE0ES3_S9_PlNS6_17constant_iteratorIiNS6_11use_defaultESE_EENS6_10device_ptrIlEESH_PmS8_NS6_8equal_toIlEEEE10hipError_tPvRmT2_T3_mT4_T5_T6_T7_T8_P12ihipStream_tbENKUlT_T0_E_clISt17integral_constantIbLb1EES11_IbLb0EEEEDaSX_SY_EUlSX_E_NS1_11comp_targetILNS1_3genE0ELNS1_11target_archE4294967295ELNS1_3gpuE0ELNS1_3repE0EEENS1_30default_config_static_selectorELNS0_4arch9wavefront6targetE1EEEvT1_
	.globl	_ZN7rocprim17ROCPRIM_400000_NS6detail17trampoline_kernelINS0_14default_configENS1_29reduce_by_key_config_selectorIllN6thrust23THRUST_200600_302600_NS4plusIlEEEEZZNS1_33reduce_by_key_impl_wrapped_configILNS1_25lookback_scan_determinismE0ES3_S9_PlNS6_17constant_iteratorIiNS6_11use_defaultESE_EENS6_10device_ptrIlEESH_PmS8_NS6_8equal_toIlEEEE10hipError_tPvRmT2_T3_mT4_T5_T6_T7_T8_P12ihipStream_tbENKUlT_T0_E_clISt17integral_constantIbLb1EES11_IbLb0EEEEDaSX_SY_EUlSX_E_NS1_11comp_targetILNS1_3genE0ELNS1_11target_archE4294967295ELNS1_3gpuE0ELNS1_3repE0EEENS1_30default_config_static_selectorELNS0_4arch9wavefront6targetE1EEEvT1_
	.p2align	8
	.type	_ZN7rocprim17ROCPRIM_400000_NS6detail17trampoline_kernelINS0_14default_configENS1_29reduce_by_key_config_selectorIllN6thrust23THRUST_200600_302600_NS4plusIlEEEEZZNS1_33reduce_by_key_impl_wrapped_configILNS1_25lookback_scan_determinismE0ES3_S9_PlNS6_17constant_iteratorIiNS6_11use_defaultESE_EENS6_10device_ptrIlEESH_PmS8_NS6_8equal_toIlEEEE10hipError_tPvRmT2_T3_mT4_T5_T6_T7_T8_P12ihipStream_tbENKUlT_T0_E_clISt17integral_constantIbLb1EES11_IbLb0EEEEDaSX_SY_EUlSX_E_NS1_11comp_targetILNS1_3genE0ELNS1_11target_archE4294967295ELNS1_3gpuE0ELNS1_3repE0EEENS1_30default_config_static_selectorELNS0_4arch9wavefront6targetE1EEEvT1_,@function
_ZN7rocprim17ROCPRIM_400000_NS6detail17trampoline_kernelINS0_14default_configENS1_29reduce_by_key_config_selectorIllN6thrust23THRUST_200600_302600_NS4plusIlEEEEZZNS1_33reduce_by_key_impl_wrapped_configILNS1_25lookback_scan_determinismE0ES3_S9_PlNS6_17constant_iteratorIiNS6_11use_defaultESE_EENS6_10device_ptrIlEESH_PmS8_NS6_8equal_toIlEEEE10hipError_tPvRmT2_T3_mT4_T5_T6_T7_T8_P12ihipStream_tbENKUlT_T0_E_clISt17integral_constantIbLb1EES11_IbLb0EEEEDaSX_SY_EUlSX_E_NS1_11comp_targetILNS1_3genE0ELNS1_11target_archE4294967295ELNS1_3gpuE0ELNS1_3repE0EEENS1_30default_config_static_selectorELNS0_4arch9wavefront6targetE1EEEvT1_: ; @_ZN7rocprim17ROCPRIM_400000_NS6detail17trampoline_kernelINS0_14default_configENS1_29reduce_by_key_config_selectorIllN6thrust23THRUST_200600_302600_NS4plusIlEEEEZZNS1_33reduce_by_key_impl_wrapped_configILNS1_25lookback_scan_determinismE0ES3_S9_PlNS6_17constant_iteratorIiNS6_11use_defaultESE_EENS6_10device_ptrIlEESH_PmS8_NS6_8equal_toIlEEEE10hipError_tPvRmT2_T3_mT4_T5_T6_T7_T8_P12ihipStream_tbENKUlT_T0_E_clISt17integral_constantIbLb1EES11_IbLb0EEEEDaSX_SY_EUlSX_E_NS1_11comp_targetILNS1_3genE0ELNS1_11target_archE4294967295ELNS1_3gpuE0ELNS1_3repE0EEENS1_30default_config_static_selectorELNS0_4arch9wavefront6targetE1EEEvT1_
; %bb.0:
	.section	.rodata,"a",@progbits
	.p2align	6, 0x0
	.amdhsa_kernel _ZN7rocprim17ROCPRIM_400000_NS6detail17trampoline_kernelINS0_14default_configENS1_29reduce_by_key_config_selectorIllN6thrust23THRUST_200600_302600_NS4plusIlEEEEZZNS1_33reduce_by_key_impl_wrapped_configILNS1_25lookback_scan_determinismE0ES3_S9_PlNS6_17constant_iteratorIiNS6_11use_defaultESE_EENS6_10device_ptrIlEESH_PmS8_NS6_8equal_toIlEEEE10hipError_tPvRmT2_T3_mT4_T5_T6_T7_T8_P12ihipStream_tbENKUlT_T0_E_clISt17integral_constantIbLb1EES11_IbLb0EEEEDaSX_SY_EUlSX_E_NS1_11comp_targetILNS1_3genE0ELNS1_11target_archE4294967295ELNS1_3gpuE0ELNS1_3repE0EEENS1_30default_config_static_selectorELNS0_4arch9wavefront6targetE1EEEvT1_
		.amdhsa_group_segment_fixed_size 0
		.amdhsa_private_segment_fixed_size 0
		.amdhsa_kernarg_size 144
		.amdhsa_user_sgpr_count 6
		.amdhsa_user_sgpr_private_segment_buffer 1
		.amdhsa_user_sgpr_dispatch_ptr 0
		.amdhsa_user_sgpr_queue_ptr 0
		.amdhsa_user_sgpr_kernarg_segment_ptr 1
		.amdhsa_user_sgpr_dispatch_id 0
		.amdhsa_user_sgpr_flat_scratch_init 0
		.amdhsa_user_sgpr_private_segment_size 0
		.amdhsa_uses_dynamic_stack 0
		.amdhsa_system_sgpr_private_segment_wavefront_offset 0
		.amdhsa_system_sgpr_workgroup_id_x 1
		.amdhsa_system_sgpr_workgroup_id_y 0
		.amdhsa_system_sgpr_workgroup_id_z 0
		.amdhsa_system_sgpr_workgroup_info 0
		.amdhsa_system_vgpr_workitem_id 0
		.amdhsa_next_free_vgpr 1
		.amdhsa_next_free_sgpr 0
		.amdhsa_reserve_vcc 0
		.amdhsa_reserve_flat_scratch 0
		.amdhsa_float_round_mode_32 0
		.amdhsa_float_round_mode_16_64 0
		.amdhsa_float_denorm_mode_32 3
		.amdhsa_float_denorm_mode_16_64 3
		.amdhsa_dx10_clamp 1
		.amdhsa_ieee_mode 1
		.amdhsa_fp16_overflow 0
		.amdhsa_exception_fp_ieee_invalid_op 0
		.amdhsa_exception_fp_denorm_src 0
		.amdhsa_exception_fp_ieee_div_zero 0
		.amdhsa_exception_fp_ieee_overflow 0
		.amdhsa_exception_fp_ieee_underflow 0
		.amdhsa_exception_fp_ieee_inexact 0
		.amdhsa_exception_int_div_zero 0
	.end_amdhsa_kernel
	.section	.text._ZN7rocprim17ROCPRIM_400000_NS6detail17trampoline_kernelINS0_14default_configENS1_29reduce_by_key_config_selectorIllN6thrust23THRUST_200600_302600_NS4plusIlEEEEZZNS1_33reduce_by_key_impl_wrapped_configILNS1_25lookback_scan_determinismE0ES3_S9_PlNS6_17constant_iteratorIiNS6_11use_defaultESE_EENS6_10device_ptrIlEESH_PmS8_NS6_8equal_toIlEEEE10hipError_tPvRmT2_T3_mT4_T5_T6_T7_T8_P12ihipStream_tbENKUlT_T0_E_clISt17integral_constantIbLb1EES11_IbLb0EEEEDaSX_SY_EUlSX_E_NS1_11comp_targetILNS1_3genE0ELNS1_11target_archE4294967295ELNS1_3gpuE0ELNS1_3repE0EEENS1_30default_config_static_selectorELNS0_4arch9wavefront6targetE1EEEvT1_,"axG",@progbits,_ZN7rocprim17ROCPRIM_400000_NS6detail17trampoline_kernelINS0_14default_configENS1_29reduce_by_key_config_selectorIllN6thrust23THRUST_200600_302600_NS4plusIlEEEEZZNS1_33reduce_by_key_impl_wrapped_configILNS1_25lookback_scan_determinismE0ES3_S9_PlNS6_17constant_iteratorIiNS6_11use_defaultESE_EENS6_10device_ptrIlEESH_PmS8_NS6_8equal_toIlEEEE10hipError_tPvRmT2_T3_mT4_T5_T6_T7_T8_P12ihipStream_tbENKUlT_T0_E_clISt17integral_constantIbLb1EES11_IbLb0EEEEDaSX_SY_EUlSX_E_NS1_11comp_targetILNS1_3genE0ELNS1_11target_archE4294967295ELNS1_3gpuE0ELNS1_3repE0EEENS1_30default_config_static_selectorELNS0_4arch9wavefront6targetE1EEEvT1_,comdat
.Lfunc_end1222:
	.size	_ZN7rocprim17ROCPRIM_400000_NS6detail17trampoline_kernelINS0_14default_configENS1_29reduce_by_key_config_selectorIllN6thrust23THRUST_200600_302600_NS4plusIlEEEEZZNS1_33reduce_by_key_impl_wrapped_configILNS1_25lookback_scan_determinismE0ES3_S9_PlNS6_17constant_iteratorIiNS6_11use_defaultESE_EENS6_10device_ptrIlEESH_PmS8_NS6_8equal_toIlEEEE10hipError_tPvRmT2_T3_mT4_T5_T6_T7_T8_P12ihipStream_tbENKUlT_T0_E_clISt17integral_constantIbLb1EES11_IbLb0EEEEDaSX_SY_EUlSX_E_NS1_11comp_targetILNS1_3genE0ELNS1_11target_archE4294967295ELNS1_3gpuE0ELNS1_3repE0EEENS1_30default_config_static_selectorELNS0_4arch9wavefront6targetE1EEEvT1_, .Lfunc_end1222-_ZN7rocprim17ROCPRIM_400000_NS6detail17trampoline_kernelINS0_14default_configENS1_29reduce_by_key_config_selectorIllN6thrust23THRUST_200600_302600_NS4plusIlEEEEZZNS1_33reduce_by_key_impl_wrapped_configILNS1_25lookback_scan_determinismE0ES3_S9_PlNS6_17constant_iteratorIiNS6_11use_defaultESE_EENS6_10device_ptrIlEESH_PmS8_NS6_8equal_toIlEEEE10hipError_tPvRmT2_T3_mT4_T5_T6_T7_T8_P12ihipStream_tbENKUlT_T0_E_clISt17integral_constantIbLb1EES11_IbLb0EEEEDaSX_SY_EUlSX_E_NS1_11comp_targetILNS1_3genE0ELNS1_11target_archE4294967295ELNS1_3gpuE0ELNS1_3repE0EEENS1_30default_config_static_selectorELNS0_4arch9wavefront6targetE1EEEvT1_
                                        ; -- End function
	.set _ZN7rocprim17ROCPRIM_400000_NS6detail17trampoline_kernelINS0_14default_configENS1_29reduce_by_key_config_selectorIllN6thrust23THRUST_200600_302600_NS4plusIlEEEEZZNS1_33reduce_by_key_impl_wrapped_configILNS1_25lookback_scan_determinismE0ES3_S9_PlNS6_17constant_iteratorIiNS6_11use_defaultESE_EENS6_10device_ptrIlEESH_PmS8_NS6_8equal_toIlEEEE10hipError_tPvRmT2_T3_mT4_T5_T6_T7_T8_P12ihipStream_tbENKUlT_T0_E_clISt17integral_constantIbLb1EES11_IbLb0EEEEDaSX_SY_EUlSX_E_NS1_11comp_targetILNS1_3genE0ELNS1_11target_archE4294967295ELNS1_3gpuE0ELNS1_3repE0EEENS1_30default_config_static_selectorELNS0_4arch9wavefront6targetE1EEEvT1_.num_vgpr, 0
	.set _ZN7rocprim17ROCPRIM_400000_NS6detail17trampoline_kernelINS0_14default_configENS1_29reduce_by_key_config_selectorIllN6thrust23THRUST_200600_302600_NS4plusIlEEEEZZNS1_33reduce_by_key_impl_wrapped_configILNS1_25lookback_scan_determinismE0ES3_S9_PlNS6_17constant_iteratorIiNS6_11use_defaultESE_EENS6_10device_ptrIlEESH_PmS8_NS6_8equal_toIlEEEE10hipError_tPvRmT2_T3_mT4_T5_T6_T7_T8_P12ihipStream_tbENKUlT_T0_E_clISt17integral_constantIbLb1EES11_IbLb0EEEEDaSX_SY_EUlSX_E_NS1_11comp_targetILNS1_3genE0ELNS1_11target_archE4294967295ELNS1_3gpuE0ELNS1_3repE0EEENS1_30default_config_static_selectorELNS0_4arch9wavefront6targetE1EEEvT1_.num_agpr, 0
	.set _ZN7rocprim17ROCPRIM_400000_NS6detail17trampoline_kernelINS0_14default_configENS1_29reduce_by_key_config_selectorIllN6thrust23THRUST_200600_302600_NS4plusIlEEEEZZNS1_33reduce_by_key_impl_wrapped_configILNS1_25lookback_scan_determinismE0ES3_S9_PlNS6_17constant_iteratorIiNS6_11use_defaultESE_EENS6_10device_ptrIlEESH_PmS8_NS6_8equal_toIlEEEE10hipError_tPvRmT2_T3_mT4_T5_T6_T7_T8_P12ihipStream_tbENKUlT_T0_E_clISt17integral_constantIbLb1EES11_IbLb0EEEEDaSX_SY_EUlSX_E_NS1_11comp_targetILNS1_3genE0ELNS1_11target_archE4294967295ELNS1_3gpuE0ELNS1_3repE0EEENS1_30default_config_static_selectorELNS0_4arch9wavefront6targetE1EEEvT1_.numbered_sgpr, 0
	.set _ZN7rocprim17ROCPRIM_400000_NS6detail17trampoline_kernelINS0_14default_configENS1_29reduce_by_key_config_selectorIllN6thrust23THRUST_200600_302600_NS4plusIlEEEEZZNS1_33reduce_by_key_impl_wrapped_configILNS1_25lookback_scan_determinismE0ES3_S9_PlNS6_17constant_iteratorIiNS6_11use_defaultESE_EENS6_10device_ptrIlEESH_PmS8_NS6_8equal_toIlEEEE10hipError_tPvRmT2_T3_mT4_T5_T6_T7_T8_P12ihipStream_tbENKUlT_T0_E_clISt17integral_constantIbLb1EES11_IbLb0EEEEDaSX_SY_EUlSX_E_NS1_11comp_targetILNS1_3genE0ELNS1_11target_archE4294967295ELNS1_3gpuE0ELNS1_3repE0EEENS1_30default_config_static_selectorELNS0_4arch9wavefront6targetE1EEEvT1_.num_named_barrier, 0
	.set _ZN7rocprim17ROCPRIM_400000_NS6detail17trampoline_kernelINS0_14default_configENS1_29reduce_by_key_config_selectorIllN6thrust23THRUST_200600_302600_NS4plusIlEEEEZZNS1_33reduce_by_key_impl_wrapped_configILNS1_25lookback_scan_determinismE0ES3_S9_PlNS6_17constant_iteratorIiNS6_11use_defaultESE_EENS6_10device_ptrIlEESH_PmS8_NS6_8equal_toIlEEEE10hipError_tPvRmT2_T3_mT4_T5_T6_T7_T8_P12ihipStream_tbENKUlT_T0_E_clISt17integral_constantIbLb1EES11_IbLb0EEEEDaSX_SY_EUlSX_E_NS1_11comp_targetILNS1_3genE0ELNS1_11target_archE4294967295ELNS1_3gpuE0ELNS1_3repE0EEENS1_30default_config_static_selectorELNS0_4arch9wavefront6targetE1EEEvT1_.private_seg_size, 0
	.set _ZN7rocprim17ROCPRIM_400000_NS6detail17trampoline_kernelINS0_14default_configENS1_29reduce_by_key_config_selectorIllN6thrust23THRUST_200600_302600_NS4plusIlEEEEZZNS1_33reduce_by_key_impl_wrapped_configILNS1_25lookback_scan_determinismE0ES3_S9_PlNS6_17constant_iteratorIiNS6_11use_defaultESE_EENS6_10device_ptrIlEESH_PmS8_NS6_8equal_toIlEEEE10hipError_tPvRmT2_T3_mT4_T5_T6_T7_T8_P12ihipStream_tbENKUlT_T0_E_clISt17integral_constantIbLb1EES11_IbLb0EEEEDaSX_SY_EUlSX_E_NS1_11comp_targetILNS1_3genE0ELNS1_11target_archE4294967295ELNS1_3gpuE0ELNS1_3repE0EEENS1_30default_config_static_selectorELNS0_4arch9wavefront6targetE1EEEvT1_.uses_vcc, 0
	.set _ZN7rocprim17ROCPRIM_400000_NS6detail17trampoline_kernelINS0_14default_configENS1_29reduce_by_key_config_selectorIllN6thrust23THRUST_200600_302600_NS4plusIlEEEEZZNS1_33reduce_by_key_impl_wrapped_configILNS1_25lookback_scan_determinismE0ES3_S9_PlNS6_17constant_iteratorIiNS6_11use_defaultESE_EENS6_10device_ptrIlEESH_PmS8_NS6_8equal_toIlEEEE10hipError_tPvRmT2_T3_mT4_T5_T6_T7_T8_P12ihipStream_tbENKUlT_T0_E_clISt17integral_constantIbLb1EES11_IbLb0EEEEDaSX_SY_EUlSX_E_NS1_11comp_targetILNS1_3genE0ELNS1_11target_archE4294967295ELNS1_3gpuE0ELNS1_3repE0EEENS1_30default_config_static_selectorELNS0_4arch9wavefront6targetE1EEEvT1_.uses_flat_scratch, 0
	.set _ZN7rocprim17ROCPRIM_400000_NS6detail17trampoline_kernelINS0_14default_configENS1_29reduce_by_key_config_selectorIllN6thrust23THRUST_200600_302600_NS4plusIlEEEEZZNS1_33reduce_by_key_impl_wrapped_configILNS1_25lookback_scan_determinismE0ES3_S9_PlNS6_17constant_iteratorIiNS6_11use_defaultESE_EENS6_10device_ptrIlEESH_PmS8_NS6_8equal_toIlEEEE10hipError_tPvRmT2_T3_mT4_T5_T6_T7_T8_P12ihipStream_tbENKUlT_T0_E_clISt17integral_constantIbLb1EES11_IbLb0EEEEDaSX_SY_EUlSX_E_NS1_11comp_targetILNS1_3genE0ELNS1_11target_archE4294967295ELNS1_3gpuE0ELNS1_3repE0EEENS1_30default_config_static_selectorELNS0_4arch9wavefront6targetE1EEEvT1_.has_dyn_sized_stack, 0
	.set _ZN7rocprim17ROCPRIM_400000_NS6detail17trampoline_kernelINS0_14default_configENS1_29reduce_by_key_config_selectorIllN6thrust23THRUST_200600_302600_NS4plusIlEEEEZZNS1_33reduce_by_key_impl_wrapped_configILNS1_25lookback_scan_determinismE0ES3_S9_PlNS6_17constant_iteratorIiNS6_11use_defaultESE_EENS6_10device_ptrIlEESH_PmS8_NS6_8equal_toIlEEEE10hipError_tPvRmT2_T3_mT4_T5_T6_T7_T8_P12ihipStream_tbENKUlT_T0_E_clISt17integral_constantIbLb1EES11_IbLb0EEEEDaSX_SY_EUlSX_E_NS1_11comp_targetILNS1_3genE0ELNS1_11target_archE4294967295ELNS1_3gpuE0ELNS1_3repE0EEENS1_30default_config_static_selectorELNS0_4arch9wavefront6targetE1EEEvT1_.has_recursion, 0
	.set _ZN7rocprim17ROCPRIM_400000_NS6detail17trampoline_kernelINS0_14default_configENS1_29reduce_by_key_config_selectorIllN6thrust23THRUST_200600_302600_NS4plusIlEEEEZZNS1_33reduce_by_key_impl_wrapped_configILNS1_25lookback_scan_determinismE0ES3_S9_PlNS6_17constant_iteratorIiNS6_11use_defaultESE_EENS6_10device_ptrIlEESH_PmS8_NS6_8equal_toIlEEEE10hipError_tPvRmT2_T3_mT4_T5_T6_T7_T8_P12ihipStream_tbENKUlT_T0_E_clISt17integral_constantIbLb1EES11_IbLb0EEEEDaSX_SY_EUlSX_E_NS1_11comp_targetILNS1_3genE0ELNS1_11target_archE4294967295ELNS1_3gpuE0ELNS1_3repE0EEENS1_30default_config_static_selectorELNS0_4arch9wavefront6targetE1EEEvT1_.has_indirect_call, 0
	.section	.AMDGPU.csdata,"",@progbits
; Kernel info:
; codeLenInByte = 0
; TotalNumSgprs: 4
; NumVgprs: 0
; ScratchSize: 0
; MemoryBound: 0
; FloatMode: 240
; IeeeMode: 1
; LDSByteSize: 0 bytes/workgroup (compile time only)
; SGPRBlocks: 0
; VGPRBlocks: 0
; NumSGPRsForWavesPerEU: 4
; NumVGPRsForWavesPerEU: 1
; Occupancy: 10
; WaveLimiterHint : 0
; COMPUTE_PGM_RSRC2:SCRATCH_EN: 0
; COMPUTE_PGM_RSRC2:USER_SGPR: 6
; COMPUTE_PGM_RSRC2:TRAP_HANDLER: 0
; COMPUTE_PGM_RSRC2:TGID_X_EN: 1
; COMPUTE_PGM_RSRC2:TGID_Y_EN: 0
; COMPUTE_PGM_RSRC2:TGID_Z_EN: 0
; COMPUTE_PGM_RSRC2:TIDIG_COMP_CNT: 0
	.section	.text._ZN7rocprim17ROCPRIM_400000_NS6detail17trampoline_kernelINS0_14default_configENS1_29reduce_by_key_config_selectorIllN6thrust23THRUST_200600_302600_NS4plusIlEEEEZZNS1_33reduce_by_key_impl_wrapped_configILNS1_25lookback_scan_determinismE0ES3_S9_PlNS6_17constant_iteratorIiNS6_11use_defaultESE_EENS6_10device_ptrIlEESH_PmS8_NS6_8equal_toIlEEEE10hipError_tPvRmT2_T3_mT4_T5_T6_T7_T8_P12ihipStream_tbENKUlT_T0_E_clISt17integral_constantIbLb1EES11_IbLb0EEEEDaSX_SY_EUlSX_E_NS1_11comp_targetILNS1_3genE5ELNS1_11target_archE942ELNS1_3gpuE9ELNS1_3repE0EEENS1_30default_config_static_selectorELNS0_4arch9wavefront6targetE1EEEvT1_,"axG",@progbits,_ZN7rocprim17ROCPRIM_400000_NS6detail17trampoline_kernelINS0_14default_configENS1_29reduce_by_key_config_selectorIllN6thrust23THRUST_200600_302600_NS4plusIlEEEEZZNS1_33reduce_by_key_impl_wrapped_configILNS1_25lookback_scan_determinismE0ES3_S9_PlNS6_17constant_iteratorIiNS6_11use_defaultESE_EENS6_10device_ptrIlEESH_PmS8_NS6_8equal_toIlEEEE10hipError_tPvRmT2_T3_mT4_T5_T6_T7_T8_P12ihipStream_tbENKUlT_T0_E_clISt17integral_constantIbLb1EES11_IbLb0EEEEDaSX_SY_EUlSX_E_NS1_11comp_targetILNS1_3genE5ELNS1_11target_archE942ELNS1_3gpuE9ELNS1_3repE0EEENS1_30default_config_static_selectorELNS0_4arch9wavefront6targetE1EEEvT1_,comdat
	.protected	_ZN7rocprim17ROCPRIM_400000_NS6detail17trampoline_kernelINS0_14default_configENS1_29reduce_by_key_config_selectorIllN6thrust23THRUST_200600_302600_NS4plusIlEEEEZZNS1_33reduce_by_key_impl_wrapped_configILNS1_25lookback_scan_determinismE0ES3_S9_PlNS6_17constant_iteratorIiNS6_11use_defaultESE_EENS6_10device_ptrIlEESH_PmS8_NS6_8equal_toIlEEEE10hipError_tPvRmT2_T3_mT4_T5_T6_T7_T8_P12ihipStream_tbENKUlT_T0_E_clISt17integral_constantIbLb1EES11_IbLb0EEEEDaSX_SY_EUlSX_E_NS1_11comp_targetILNS1_3genE5ELNS1_11target_archE942ELNS1_3gpuE9ELNS1_3repE0EEENS1_30default_config_static_selectorELNS0_4arch9wavefront6targetE1EEEvT1_ ; -- Begin function _ZN7rocprim17ROCPRIM_400000_NS6detail17trampoline_kernelINS0_14default_configENS1_29reduce_by_key_config_selectorIllN6thrust23THRUST_200600_302600_NS4plusIlEEEEZZNS1_33reduce_by_key_impl_wrapped_configILNS1_25lookback_scan_determinismE0ES3_S9_PlNS6_17constant_iteratorIiNS6_11use_defaultESE_EENS6_10device_ptrIlEESH_PmS8_NS6_8equal_toIlEEEE10hipError_tPvRmT2_T3_mT4_T5_T6_T7_T8_P12ihipStream_tbENKUlT_T0_E_clISt17integral_constantIbLb1EES11_IbLb0EEEEDaSX_SY_EUlSX_E_NS1_11comp_targetILNS1_3genE5ELNS1_11target_archE942ELNS1_3gpuE9ELNS1_3repE0EEENS1_30default_config_static_selectorELNS0_4arch9wavefront6targetE1EEEvT1_
	.globl	_ZN7rocprim17ROCPRIM_400000_NS6detail17trampoline_kernelINS0_14default_configENS1_29reduce_by_key_config_selectorIllN6thrust23THRUST_200600_302600_NS4plusIlEEEEZZNS1_33reduce_by_key_impl_wrapped_configILNS1_25lookback_scan_determinismE0ES3_S9_PlNS6_17constant_iteratorIiNS6_11use_defaultESE_EENS6_10device_ptrIlEESH_PmS8_NS6_8equal_toIlEEEE10hipError_tPvRmT2_T3_mT4_T5_T6_T7_T8_P12ihipStream_tbENKUlT_T0_E_clISt17integral_constantIbLb1EES11_IbLb0EEEEDaSX_SY_EUlSX_E_NS1_11comp_targetILNS1_3genE5ELNS1_11target_archE942ELNS1_3gpuE9ELNS1_3repE0EEENS1_30default_config_static_selectorELNS0_4arch9wavefront6targetE1EEEvT1_
	.p2align	8
	.type	_ZN7rocprim17ROCPRIM_400000_NS6detail17trampoline_kernelINS0_14default_configENS1_29reduce_by_key_config_selectorIllN6thrust23THRUST_200600_302600_NS4plusIlEEEEZZNS1_33reduce_by_key_impl_wrapped_configILNS1_25lookback_scan_determinismE0ES3_S9_PlNS6_17constant_iteratorIiNS6_11use_defaultESE_EENS6_10device_ptrIlEESH_PmS8_NS6_8equal_toIlEEEE10hipError_tPvRmT2_T3_mT4_T5_T6_T7_T8_P12ihipStream_tbENKUlT_T0_E_clISt17integral_constantIbLb1EES11_IbLb0EEEEDaSX_SY_EUlSX_E_NS1_11comp_targetILNS1_3genE5ELNS1_11target_archE942ELNS1_3gpuE9ELNS1_3repE0EEENS1_30default_config_static_selectorELNS0_4arch9wavefront6targetE1EEEvT1_,@function
_ZN7rocprim17ROCPRIM_400000_NS6detail17trampoline_kernelINS0_14default_configENS1_29reduce_by_key_config_selectorIllN6thrust23THRUST_200600_302600_NS4plusIlEEEEZZNS1_33reduce_by_key_impl_wrapped_configILNS1_25lookback_scan_determinismE0ES3_S9_PlNS6_17constant_iteratorIiNS6_11use_defaultESE_EENS6_10device_ptrIlEESH_PmS8_NS6_8equal_toIlEEEE10hipError_tPvRmT2_T3_mT4_T5_T6_T7_T8_P12ihipStream_tbENKUlT_T0_E_clISt17integral_constantIbLb1EES11_IbLb0EEEEDaSX_SY_EUlSX_E_NS1_11comp_targetILNS1_3genE5ELNS1_11target_archE942ELNS1_3gpuE9ELNS1_3repE0EEENS1_30default_config_static_selectorELNS0_4arch9wavefront6targetE1EEEvT1_: ; @_ZN7rocprim17ROCPRIM_400000_NS6detail17trampoline_kernelINS0_14default_configENS1_29reduce_by_key_config_selectorIllN6thrust23THRUST_200600_302600_NS4plusIlEEEEZZNS1_33reduce_by_key_impl_wrapped_configILNS1_25lookback_scan_determinismE0ES3_S9_PlNS6_17constant_iteratorIiNS6_11use_defaultESE_EENS6_10device_ptrIlEESH_PmS8_NS6_8equal_toIlEEEE10hipError_tPvRmT2_T3_mT4_T5_T6_T7_T8_P12ihipStream_tbENKUlT_T0_E_clISt17integral_constantIbLb1EES11_IbLb0EEEEDaSX_SY_EUlSX_E_NS1_11comp_targetILNS1_3genE5ELNS1_11target_archE942ELNS1_3gpuE9ELNS1_3repE0EEENS1_30default_config_static_selectorELNS0_4arch9wavefront6targetE1EEEvT1_
; %bb.0:
	.section	.rodata,"a",@progbits
	.p2align	6, 0x0
	.amdhsa_kernel _ZN7rocprim17ROCPRIM_400000_NS6detail17trampoline_kernelINS0_14default_configENS1_29reduce_by_key_config_selectorIllN6thrust23THRUST_200600_302600_NS4plusIlEEEEZZNS1_33reduce_by_key_impl_wrapped_configILNS1_25lookback_scan_determinismE0ES3_S9_PlNS6_17constant_iteratorIiNS6_11use_defaultESE_EENS6_10device_ptrIlEESH_PmS8_NS6_8equal_toIlEEEE10hipError_tPvRmT2_T3_mT4_T5_T6_T7_T8_P12ihipStream_tbENKUlT_T0_E_clISt17integral_constantIbLb1EES11_IbLb0EEEEDaSX_SY_EUlSX_E_NS1_11comp_targetILNS1_3genE5ELNS1_11target_archE942ELNS1_3gpuE9ELNS1_3repE0EEENS1_30default_config_static_selectorELNS0_4arch9wavefront6targetE1EEEvT1_
		.amdhsa_group_segment_fixed_size 0
		.amdhsa_private_segment_fixed_size 0
		.amdhsa_kernarg_size 144
		.amdhsa_user_sgpr_count 6
		.amdhsa_user_sgpr_private_segment_buffer 1
		.amdhsa_user_sgpr_dispatch_ptr 0
		.amdhsa_user_sgpr_queue_ptr 0
		.amdhsa_user_sgpr_kernarg_segment_ptr 1
		.amdhsa_user_sgpr_dispatch_id 0
		.amdhsa_user_sgpr_flat_scratch_init 0
		.amdhsa_user_sgpr_private_segment_size 0
		.amdhsa_uses_dynamic_stack 0
		.amdhsa_system_sgpr_private_segment_wavefront_offset 0
		.amdhsa_system_sgpr_workgroup_id_x 1
		.amdhsa_system_sgpr_workgroup_id_y 0
		.amdhsa_system_sgpr_workgroup_id_z 0
		.amdhsa_system_sgpr_workgroup_info 0
		.amdhsa_system_vgpr_workitem_id 0
		.amdhsa_next_free_vgpr 1
		.amdhsa_next_free_sgpr 0
		.amdhsa_reserve_vcc 0
		.amdhsa_reserve_flat_scratch 0
		.amdhsa_float_round_mode_32 0
		.amdhsa_float_round_mode_16_64 0
		.amdhsa_float_denorm_mode_32 3
		.amdhsa_float_denorm_mode_16_64 3
		.amdhsa_dx10_clamp 1
		.amdhsa_ieee_mode 1
		.amdhsa_fp16_overflow 0
		.amdhsa_exception_fp_ieee_invalid_op 0
		.amdhsa_exception_fp_denorm_src 0
		.amdhsa_exception_fp_ieee_div_zero 0
		.amdhsa_exception_fp_ieee_overflow 0
		.amdhsa_exception_fp_ieee_underflow 0
		.amdhsa_exception_fp_ieee_inexact 0
		.amdhsa_exception_int_div_zero 0
	.end_amdhsa_kernel
	.section	.text._ZN7rocprim17ROCPRIM_400000_NS6detail17trampoline_kernelINS0_14default_configENS1_29reduce_by_key_config_selectorIllN6thrust23THRUST_200600_302600_NS4plusIlEEEEZZNS1_33reduce_by_key_impl_wrapped_configILNS1_25lookback_scan_determinismE0ES3_S9_PlNS6_17constant_iteratorIiNS6_11use_defaultESE_EENS6_10device_ptrIlEESH_PmS8_NS6_8equal_toIlEEEE10hipError_tPvRmT2_T3_mT4_T5_T6_T7_T8_P12ihipStream_tbENKUlT_T0_E_clISt17integral_constantIbLb1EES11_IbLb0EEEEDaSX_SY_EUlSX_E_NS1_11comp_targetILNS1_3genE5ELNS1_11target_archE942ELNS1_3gpuE9ELNS1_3repE0EEENS1_30default_config_static_selectorELNS0_4arch9wavefront6targetE1EEEvT1_,"axG",@progbits,_ZN7rocprim17ROCPRIM_400000_NS6detail17trampoline_kernelINS0_14default_configENS1_29reduce_by_key_config_selectorIllN6thrust23THRUST_200600_302600_NS4plusIlEEEEZZNS1_33reduce_by_key_impl_wrapped_configILNS1_25lookback_scan_determinismE0ES3_S9_PlNS6_17constant_iteratorIiNS6_11use_defaultESE_EENS6_10device_ptrIlEESH_PmS8_NS6_8equal_toIlEEEE10hipError_tPvRmT2_T3_mT4_T5_T6_T7_T8_P12ihipStream_tbENKUlT_T0_E_clISt17integral_constantIbLb1EES11_IbLb0EEEEDaSX_SY_EUlSX_E_NS1_11comp_targetILNS1_3genE5ELNS1_11target_archE942ELNS1_3gpuE9ELNS1_3repE0EEENS1_30default_config_static_selectorELNS0_4arch9wavefront6targetE1EEEvT1_,comdat
.Lfunc_end1223:
	.size	_ZN7rocprim17ROCPRIM_400000_NS6detail17trampoline_kernelINS0_14default_configENS1_29reduce_by_key_config_selectorIllN6thrust23THRUST_200600_302600_NS4plusIlEEEEZZNS1_33reduce_by_key_impl_wrapped_configILNS1_25lookback_scan_determinismE0ES3_S9_PlNS6_17constant_iteratorIiNS6_11use_defaultESE_EENS6_10device_ptrIlEESH_PmS8_NS6_8equal_toIlEEEE10hipError_tPvRmT2_T3_mT4_T5_T6_T7_T8_P12ihipStream_tbENKUlT_T0_E_clISt17integral_constantIbLb1EES11_IbLb0EEEEDaSX_SY_EUlSX_E_NS1_11comp_targetILNS1_3genE5ELNS1_11target_archE942ELNS1_3gpuE9ELNS1_3repE0EEENS1_30default_config_static_selectorELNS0_4arch9wavefront6targetE1EEEvT1_, .Lfunc_end1223-_ZN7rocprim17ROCPRIM_400000_NS6detail17trampoline_kernelINS0_14default_configENS1_29reduce_by_key_config_selectorIllN6thrust23THRUST_200600_302600_NS4plusIlEEEEZZNS1_33reduce_by_key_impl_wrapped_configILNS1_25lookback_scan_determinismE0ES3_S9_PlNS6_17constant_iteratorIiNS6_11use_defaultESE_EENS6_10device_ptrIlEESH_PmS8_NS6_8equal_toIlEEEE10hipError_tPvRmT2_T3_mT4_T5_T6_T7_T8_P12ihipStream_tbENKUlT_T0_E_clISt17integral_constantIbLb1EES11_IbLb0EEEEDaSX_SY_EUlSX_E_NS1_11comp_targetILNS1_3genE5ELNS1_11target_archE942ELNS1_3gpuE9ELNS1_3repE0EEENS1_30default_config_static_selectorELNS0_4arch9wavefront6targetE1EEEvT1_
                                        ; -- End function
	.set _ZN7rocprim17ROCPRIM_400000_NS6detail17trampoline_kernelINS0_14default_configENS1_29reduce_by_key_config_selectorIllN6thrust23THRUST_200600_302600_NS4plusIlEEEEZZNS1_33reduce_by_key_impl_wrapped_configILNS1_25lookback_scan_determinismE0ES3_S9_PlNS6_17constant_iteratorIiNS6_11use_defaultESE_EENS6_10device_ptrIlEESH_PmS8_NS6_8equal_toIlEEEE10hipError_tPvRmT2_T3_mT4_T5_T6_T7_T8_P12ihipStream_tbENKUlT_T0_E_clISt17integral_constantIbLb1EES11_IbLb0EEEEDaSX_SY_EUlSX_E_NS1_11comp_targetILNS1_3genE5ELNS1_11target_archE942ELNS1_3gpuE9ELNS1_3repE0EEENS1_30default_config_static_selectorELNS0_4arch9wavefront6targetE1EEEvT1_.num_vgpr, 0
	.set _ZN7rocprim17ROCPRIM_400000_NS6detail17trampoline_kernelINS0_14default_configENS1_29reduce_by_key_config_selectorIllN6thrust23THRUST_200600_302600_NS4plusIlEEEEZZNS1_33reduce_by_key_impl_wrapped_configILNS1_25lookback_scan_determinismE0ES3_S9_PlNS6_17constant_iteratorIiNS6_11use_defaultESE_EENS6_10device_ptrIlEESH_PmS8_NS6_8equal_toIlEEEE10hipError_tPvRmT2_T3_mT4_T5_T6_T7_T8_P12ihipStream_tbENKUlT_T0_E_clISt17integral_constantIbLb1EES11_IbLb0EEEEDaSX_SY_EUlSX_E_NS1_11comp_targetILNS1_3genE5ELNS1_11target_archE942ELNS1_3gpuE9ELNS1_3repE0EEENS1_30default_config_static_selectorELNS0_4arch9wavefront6targetE1EEEvT1_.num_agpr, 0
	.set _ZN7rocprim17ROCPRIM_400000_NS6detail17trampoline_kernelINS0_14default_configENS1_29reduce_by_key_config_selectorIllN6thrust23THRUST_200600_302600_NS4plusIlEEEEZZNS1_33reduce_by_key_impl_wrapped_configILNS1_25lookback_scan_determinismE0ES3_S9_PlNS6_17constant_iteratorIiNS6_11use_defaultESE_EENS6_10device_ptrIlEESH_PmS8_NS6_8equal_toIlEEEE10hipError_tPvRmT2_T3_mT4_T5_T6_T7_T8_P12ihipStream_tbENKUlT_T0_E_clISt17integral_constantIbLb1EES11_IbLb0EEEEDaSX_SY_EUlSX_E_NS1_11comp_targetILNS1_3genE5ELNS1_11target_archE942ELNS1_3gpuE9ELNS1_3repE0EEENS1_30default_config_static_selectorELNS0_4arch9wavefront6targetE1EEEvT1_.numbered_sgpr, 0
	.set _ZN7rocprim17ROCPRIM_400000_NS6detail17trampoline_kernelINS0_14default_configENS1_29reduce_by_key_config_selectorIllN6thrust23THRUST_200600_302600_NS4plusIlEEEEZZNS1_33reduce_by_key_impl_wrapped_configILNS1_25lookback_scan_determinismE0ES3_S9_PlNS6_17constant_iteratorIiNS6_11use_defaultESE_EENS6_10device_ptrIlEESH_PmS8_NS6_8equal_toIlEEEE10hipError_tPvRmT2_T3_mT4_T5_T6_T7_T8_P12ihipStream_tbENKUlT_T0_E_clISt17integral_constantIbLb1EES11_IbLb0EEEEDaSX_SY_EUlSX_E_NS1_11comp_targetILNS1_3genE5ELNS1_11target_archE942ELNS1_3gpuE9ELNS1_3repE0EEENS1_30default_config_static_selectorELNS0_4arch9wavefront6targetE1EEEvT1_.num_named_barrier, 0
	.set _ZN7rocprim17ROCPRIM_400000_NS6detail17trampoline_kernelINS0_14default_configENS1_29reduce_by_key_config_selectorIllN6thrust23THRUST_200600_302600_NS4plusIlEEEEZZNS1_33reduce_by_key_impl_wrapped_configILNS1_25lookback_scan_determinismE0ES3_S9_PlNS6_17constant_iteratorIiNS6_11use_defaultESE_EENS6_10device_ptrIlEESH_PmS8_NS6_8equal_toIlEEEE10hipError_tPvRmT2_T3_mT4_T5_T6_T7_T8_P12ihipStream_tbENKUlT_T0_E_clISt17integral_constantIbLb1EES11_IbLb0EEEEDaSX_SY_EUlSX_E_NS1_11comp_targetILNS1_3genE5ELNS1_11target_archE942ELNS1_3gpuE9ELNS1_3repE0EEENS1_30default_config_static_selectorELNS0_4arch9wavefront6targetE1EEEvT1_.private_seg_size, 0
	.set _ZN7rocprim17ROCPRIM_400000_NS6detail17trampoline_kernelINS0_14default_configENS1_29reduce_by_key_config_selectorIllN6thrust23THRUST_200600_302600_NS4plusIlEEEEZZNS1_33reduce_by_key_impl_wrapped_configILNS1_25lookback_scan_determinismE0ES3_S9_PlNS6_17constant_iteratorIiNS6_11use_defaultESE_EENS6_10device_ptrIlEESH_PmS8_NS6_8equal_toIlEEEE10hipError_tPvRmT2_T3_mT4_T5_T6_T7_T8_P12ihipStream_tbENKUlT_T0_E_clISt17integral_constantIbLb1EES11_IbLb0EEEEDaSX_SY_EUlSX_E_NS1_11comp_targetILNS1_3genE5ELNS1_11target_archE942ELNS1_3gpuE9ELNS1_3repE0EEENS1_30default_config_static_selectorELNS0_4arch9wavefront6targetE1EEEvT1_.uses_vcc, 0
	.set _ZN7rocprim17ROCPRIM_400000_NS6detail17trampoline_kernelINS0_14default_configENS1_29reduce_by_key_config_selectorIllN6thrust23THRUST_200600_302600_NS4plusIlEEEEZZNS1_33reduce_by_key_impl_wrapped_configILNS1_25lookback_scan_determinismE0ES3_S9_PlNS6_17constant_iteratorIiNS6_11use_defaultESE_EENS6_10device_ptrIlEESH_PmS8_NS6_8equal_toIlEEEE10hipError_tPvRmT2_T3_mT4_T5_T6_T7_T8_P12ihipStream_tbENKUlT_T0_E_clISt17integral_constantIbLb1EES11_IbLb0EEEEDaSX_SY_EUlSX_E_NS1_11comp_targetILNS1_3genE5ELNS1_11target_archE942ELNS1_3gpuE9ELNS1_3repE0EEENS1_30default_config_static_selectorELNS0_4arch9wavefront6targetE1EEEvT1_.uses_flat_scratch, 0
	.set _ZN7rocprim17ROCPRIM_400000_NS6detail17trampoline_kernelINS0_14default_configENS1_29reduce_by_key_config_selectorIllN6thrust23THRUST_200600_302600_NS4plusIlEEEEZZNS1_33reduce_by_key_impl_wrapped_configILNS1_25lookback_scan_determinismE0ES3_S9_PlNS6_17constant_iteratorIiNS6_11use_defaultESE_EENS6_10device_ptrIlEESH_PmS8_NS6_8equal_toIlEEEE10hipError_tPvRmT2_T3_mT4_T5_T6_T7_T8_P12ihipStream_tbENKUlT_T0_E_clISt17integral_constantIbLb1EES11_IbLb0EEEEDaSX_SY_EUlSX_E_NS1_11comp_targetILNS1_3genE5ELNS1_11target_archE942ELNS1_3gpuE9ELNS1_3repE0EEENS1_30default_config_static_selectorELNS0_4arch9wavefront6targetE1EEEvT1_.has_dyn_sized_stack, 0
	.set _ZN7rocprim17ROCPRIM_400000_NS6detail17trampoline_kernelINS0_14default_configENS1_29reduce_by_key_config_selectorIllN6thrust23THRUST_200600_302600_NS4plusIlEEEEZZNS1_33reduce_by_key_impl_wrapped_configILNS1_25lookback_scan_determinismE0ES3_S9_PlNS6_17constant_iteratorIiNS6_11use_defaultESE_EENS6_10device_ptrIlEESH_PmS8_NS6_8equal_toIlEEEE10hipError_tPvRmT2_T3_mT4_T5_T6_T7_T8_P12ihipStream_tbENKUlT_T0_E_clISt17integral_constantIbLb1EES11_IbLb0EEEEDaSX_SY_EUlSX_E_NS1_11comp_targetILNS1_3genE5ELNS1_11target_archE942ELNS1_3gpuE9ELNS1_3repE0EEENS1_30default_config_static_selectorELNS0_4arch9wavefront6targetE1EEEvT1_.has_recursion, 0
	.set _ZN7rocprim17ROCPRIM_400000_NS6detail17trampoline_kernelINS0_14default_configENS1_29reduce_by_key_config_selectorIllN6thrust23THRUST_200600_302600_NS4plusIlEEEEZZNS1_33reduce_by_key_impl_wrapped_configILNS1_25lookback_scan_determinismE0ES3_S9_PlNS6_17constant_iteratorIiNS6_11use_defaultESE_EENS6_10device_ptrIlEESH_PmS8_NS6_8equal_toIlEEEE10hipError_tPvRmT2_T3_mT4_T5_T6_T7_T8_P12ihipStream_tbENKUlT_T0_E_clISt17integral_constantIbLb1EES11_IbLb0EEEEDaSX_SY_EUlSX_E_NS1_11comp_targetILNS1_3genE5ELNS1_11target_archE942ELNS1_3gpuE9ELNS1_3repE0EEENS1_30default_config_static_selectorELNS0_4arch9wavefront6targetE1EEEvT1_.has_indirect_call, 0
	.section	.AMDGPU.csdata,"",@progbits
; Kernel info:
; codeLenInByte = 0
; TotalNumSgprs: 4
; NumVgprs: 0
; ScratchSize: 0
; MemoryBound: 0
; FloatMode: 240
; IeeeMode: 1
; LDSByteSize: 0 bytes/workgroup (compile time only)
; SGPRBlocks: 0
; VGPRBlocks: 0
; NumSGPRsForWavesPerEU: 4
; NumVGPRsForWavesPerEU: 1
; Occupancy: 10
; WaveLimiterHint : 0
; COMPUTE_PGM_RSRC2:SCRATCH_EN: 0
; COMPUTE_PGM_RSRC2:USER_SGPR: 6
; COMPUTE_PGM_RSRC2:TRAP_HANDLER: 0
; COMPUTE_PGM_RSRC2:TGID_X_EN: 1
; COMPUTE_PGM_RSRC2:TGID_Y_EN: 0
; COMPUTE_PGM_RSRC2:TGID_Z_EN: 0
; COMPUTE_PGM_RSRC2:TIDIG_COMP_CNT: 0
	.section	.text._ZN7rocprim17ROCPRIM_400000_NS6detail17trampoline_kernelINS0_14default_configENS1_29reduce_by_key_config_selectorIllN6thrust23THRUST_200600_302600_NS4plusIlEEEEZZNS1_33reduce_by_key_impl_wrapped_configILNS1_25lookback_scan_determinismE0ES3_S9_PlNS6_17constant_iteratorIiNS6_11use_defaultESE_EENS6_10device_ptrIlEESH_PmS8_NS6_8equal_toIlEEEE10hipError_tPvRmT2_T3_mT4_T5_T6_T7_T8_P12ihipStream_tbENKUlT_T0_E_clISt17integral_constantIbLb1EES11_IbLb0EEEEDaSX_SY_EUlSX_E_NS1_11comp_targetILNS1_3genE4ELNS1_11target_archE910ELNS1_3gpuE8ELNS1_3repE0EEENS1_30default_config_static_selectorELNS0_4arch9wavefront6targetE1EEEvT1_,"axG",@progbits,_ZN7rocprim17ROCPRIM_400000_NS6detail17trampoline_kernelINS0_14default_configENS1_29reduce_by_key_config_selectorIllN6thrust23THRUST_200600_302600_NS4plusIlEEEEZZNS1_33reduce_by_key_impl_wrapped_configILNS1_25lookback_scan_determinismE0ES3_S9_PlNS6_17constant_iteratorIiNS6_11use_defaultESE_EENS6_10device_ptrIlEESH_PmS8_NS6_8equal_toIlEEEE10hipError_tPvRmT2_T3_mT4_T5_T6_T7_T8_P12ihipStream_tbENKUlT_T0_E_clISt17integral_constantIbLb1EES11_IbLb0EEEEDaSX_SY_EUlSX_E_NS1_11comp_targetILNS1_3genE4ELNS1_11target_archE910ELNS1_3gpuE8ELNS1_3repE0EEENS1_30default_config_static_selectorELNS0_4arch9wavefront6targetE1EEEvT1_,comdat
	.protected	_ZN7rocprim17ROCPRIM_400000_NS6detail17trampoline_kernelINS0_14default_configENS1_29reduce_by_key_config_selectorIllN6thrust23THRUST_200600_302600_NS4plusIlEEEEZZNS1_33reduce_by_key_impl_wrapped_configILNS1_25lookback_scan_determinismE0ES3_S9_PlNS6_17constant_iteratorIiNS6_11use_defaultESE_EENS6_10device_ptrIlEESH_PmS8_NS6_8equal_toIlEEEE10hipError_tPvRmT2_T3_mT4_T5_T6_T7_T8_P12ihipStream_tbENKUlT_T0_E_clISt17integral_constantIbLb1EES11_IbLb0EEEEDaSX_SY_EUlSX_E_NS1_11comp_targetILNS1_3genE4ELNS1_11target_archE910ELNS1_3gpuE8ELNS1_3repE0EEENS1_30default_config_static_selectorELNS0_4arch9wavefront6targetE1EEEvT1_ ; -- Begin function _ZN7rocprim17ROCPRIM_400000_NS6detail17trampoline_kernelINS0_14default_configENS1_29reduce_by_key_config_selectorIllN6thrust23THRUST_200600_302600_NS4plusIlEEEEZZNS1_33reduce_by_key_impl_wrapped_configILNS1_25lookback_scan_determinismE0ES3_S9_PlNS6_17constant_iteratorIiNS6_11use_defaultESE_EENS6_10device_ptrIlEESH_PmS8_NS6_8equal_toIlEEEE10hipError_tPvRmT2_T3_mT4_T5_T6_T7_T8_P12ihipStream_tbENKUlT_T0_E_clISt17integral_constantIbLb1EES11_IbLb0EEEEDaSX_SY_EUlSX_E_NS1_11comp_targetILNS1_3genE4ELNS1_11target_archE910ELNS1_3gpuE8ELNS1_3repE0EEENS1_30default_config_static_selectorELNS0_4arch9wavefront6targetE1EEEvT1_
	.globl	_ZN7rocprim17ROCPRIM_400000_NS6detail17trampoline_kernelINS0_14default_configENS1_29reduce_by_key_config_selectorIllN6thrust23THRUST_200600_302600_NS4plusIlEEEEZZNS1_33reduce_by_key_impl_wrapped_configILNS1_25lookback_scan_determinismE0ES3_S9_PlNS6_17constant_iteratorIiNS6_11use_defaultESE_EENS6_10device_ptrIlEESH_PmS8_NS6_8equal_toIlEEEE10hipError_tPvRmT2_T3_mT4_T5_T6_T7_T8_P12ihipStream_tbENKUlT_T0_E_clISt17integral_constantIbLb1EES11_IbLb0EEEEDaSX_SY_EUlSX_E_NS1_11comp_targetILNS1_3genE4ELNS1_11target_archE910ELNS1_3gpuE8ELNS1_3repE0EEENS1_30default_config_static_selectorELNS0_4arch9wavefront6targetE1EEEvT1_
	.p2align	8
	.type	_ZN7rocprim17ROCPRIM_400000_NS6detail17trampoline_kernelINS0_14default_configENS1_29reduce_by_key_config_selectorIllN6thrust23THRUST_200600_302600_NS4plusIlEEEEZZNS1_33reduce_by_key_impl_wrapped_configILNS1_25lookback_scan_determinismE0ES3_S9_PlNS6_17constant_iteratorIiNS6_11use_defaultESE_EENS6_10device_ptrIlEESH_PmS8_NS6_8equal_toIlEEEE10hipError_tPvRmT2_T3_mT4_T5_T6_T7_T8_P12ihipStream_tbENKUlT_T0_E_clISt17integral_constantIbLb1EES11_IbLb0EEEEDaSX_SY_EUlSX_E_NS1_11comp_targetILNS1_3genE4ELNS1_11target_archE910ELNS1_3gpuE8ELNS1_3repE0EEENS1_30default_config_static_selectorELNS0_4arch9wavefront6targetE1EEEvT1_,@function
_ZN7rocprim17ROCPRIM_400000_NS6detail17trampoline_kernelINS0_14default_configENS1_29reduce_by_key_config_selectorIllN6thrust23THRUST_200600_302600_NS4plusIlEEEEZZNS1_33reduce_by_key_impl_wrapped_configILNS1_25lookback_scan_determinismE0ES3_S9_PlNS6_17constant_iteratorIiNS6_11use_defaultESE_EENS6_10device_ptrIlEESH_PmS8_NS6_8equal_toIlEEEE10hipError_tPvRmT2_T3_mT4_T5_T6_T7_T8_P12ihipStream_tbENKUlT_T0_E_clISt17integral_constantIbLb1EES11_IbLb0EEEEDaSX_SY_EUlSX_E_NS1_11comp_targetILNS1_3genE4ELNS1_11target_archE910ELNS1_3gpuE8ELNS1_3repE0EEENS1_30default_config_static_selectorELNS0_4arch9wavefront6targetE1EEEvT1_: ; @_ZN7rocprim17ROCPRIM_400000_NS6detail17trampoline_kernelINS0_14default_configENS1_29reduce_by_key_config_selectorIllN6thrust23THRUST_200600_302600_NS4plusIlEEEEZZNS1_33reduce_by_key_impl_wrapped_configILNS1_25lookback_scan_determinismE0ES3_S9_PlNS6_17constant_iteratorIiNS6_11use_defaultESE_EENS6_10device_ptrIlEESH_PmS8_NS6_8equal_toIlEEEE10hipError_tPvRmT2_T3_mT4_T5_T6_T7_T8_P12ihipStream_tbENKUlT_T0_E_clISt17integral_constantIbLb1EES11_IbLb0EEEEDaSX_SY_EUlSX_E_NS1_11comp_targetILNS1_3genE4ELNS1_11target_archE910ELNS1_3gpuE8ELNS1_3repE0EEENS1_30default_config_static_selectorELNS0_4arch9wavefront6targetE1EEEvT1_
; %bb.0:
	.section	.rodata,"a",@progbits
	.p2align	6, 0x0
	.amdhsa_kernel _ZN7rocprim17ROCPRIM_400000_NS6detail17trampoline_kernelINS0_14default_configENS1_29reduce_by_key_config_selectorIllN6thrust23THRUST_200600_302600_NS4plusIlEEEEZZNS1_33reduce_by_key_impl_wrapped_configILNS1_25lookback_scan_determinismE0ES3_S9_PlNS6_17constant_iteratorIiNS6_11use_defaultESE_EENS6_10device_ptrIlEESH_PmS8_NS6_8equal_toIlEEEE10hipError_tPvRmT2_T3_mT4_T5_T6_T7_T8_P12ihipStream_tbENKUlT_T0_E_clISt17integral_constantIbLb1EES11_IbLb0EEEEDaSX_SY_EUlSX_E_NS1_11comp_targetILNS1_3genE4ELNS1_11target_archE910ELNS1_3gpuE8ELNS1_3repE0EEENS1_30default_config_static_selectorELNS0_4arch9wavefront6targetE1EEEvT1_
		.amdhsa_group_segment_fixed_size 0
		.amdhsa_private_segment_fixed_size 0
		.amdhsa_kernarg_size 144
		.amdhsa_user_sgpr_count 6
		.amdhsa_user_sgpr_private_segment_buffer 1
		.amdhsa_user_sgpr_dispatch_ptr 0
		.amdhsa_user_sgpr_queue_ptr 0
		.amdhsa_user_sgpr_kernarg_segment_ptr 1
		.amdhsa_user_sgpr_dispatch_id 0
		.amdhsa_user_sgpr_flat_scratch_init 0
		.amdhsa_user_sgpr_private_segment_size 0
		.amdhsa_uses_dynamic_stack 0
		.amdhsa_system_sgpr_private_segment_wavefront_offset 0
		.amdhsa_system_sgpr_workgroup_id_x 1
		.amdhsa_system_sgpr_workgroup_id_y 0
		.amdhsa_system_sgpr_workgroup_id_z 0
		.amdhsa_system_sgpr_workgroup_info 0
		.amdhsa_system_vgpr_workitem_id 0
		.amdhsa_next_free_vgpr 1
		.amdhsa_next_free_sgpr 0
		.amdhsa_reserve_vcc 0
		.amdhsa_reserve_flat_scratch 0
		.amdhsa_float_round_mode_32 0
		.amdhsa_float_round_mode_16_64 0
		.amdhsa_float_denorm_mode_32 3
		.amdhsa_float_denorm_mode_16_64 3
		.amdhsa_dx10_clamp 1
		.amdhsa_ieee_mode 1
		.amdhsa_fp16_overflow 0
		.amdhsa_exception_fp_ieee_invalid_op 0
		.amdhsa_exception_fp_denorm_src 0
		.amdhsa_exception_fp_ieee_div_zero 0
		.amdhsa_exception_fp_ieee_overflow 0
		.amdhsa_exception_fp_ieee_underflow 0
		.amdhsa_exception_fp_ieee_inexact 0
		.amdhsa_exception_int_div_zero 0
	.end_amdhsa_kernel
	.section	.text._ZN7rocprim17ROCPRIM_400000_NS6detail17trampoline_kernelINS0_14default_configENS1_29reduce_by_key_config_selectorIllN6thrust23THRUST_200600_302600_NS4plusIlEEEEZZNS1_33reduce_by_key_impl_wrapped_configILNS1_25lookback_scan_determinismE0ES3_S9_PlNS6_17constant_iteratorIiNS6_11use_defaultESE_EENS6_10device_ptrIlEESH_PmS8_NS6_8equal_toIlEEEE10hipError_tPvRmT2_T3_mT4_T5_T6_T7_T8_P12ihipStream_tbENKUlT_T0_E_clISt17integral_constantIbLb1EES11_IbLb0EEEEDaSX_SY_EUlSX_E_NS1_11comp_targetILNS1_3genE4ELNS1_11target_archE910ELNS1_3gpuE8ELNS1_3repE0EEENS1_30default_config_static_selectorELNS0_4arch9wavefront6targetE1EEEvT1_,"axG",@progbits,_ZN7rocprim17ROCPRIM_400000_NS6detail17trampoline_kernelINS0_14default_configENS1_29reduce_by_key_config_selectorIllN6thrust23THRUST_200600_302600_NS4plusIlEEEEZZNS1_33reduce_by_key_impl_wrapped_configILNS1_25lookback_scan_determinismE0ES3_S9_PlNS6_17constant_iteratorIiNS6_11use_defaultESE_EENS6_10device_ptrIlEESH_PmS8_NS6_8equal_toIlEEEE10hipError_tPvRmT2_T3_mT4_T5_T6_T7_T8_P12ihipStream_tbENKUlT_T0_E_clISt17integral_constantIbLb1EES11_IbLb0EEEEDaSX_SY_EUlSX_E_NS1_11comp_targetILNS1_3genE4ELNS1_11target_archE910ELNS1_3gpuE8ELNS1_3repE0EEENS1_30default_config_static_selectorELNS0_4arch9wavefront6targetE1EEEvT1_,comdat
.Lfunc_end1224:
	.size	_ZN7rocprim17ROCPRIM_400000_NS6detail17trampoline_kernelINS0_14default_configENS1_29reduce_by_key_config_selectorIllN6thrust23THRUST_200600_302600_NS4plusIlEEEEZZNS1_33reduce_by_key_impl_wrapped_configILNS1_25lookback_scan_determinismE0ES3_S9_PlNS6_17constant_iteratorIiNS6_11use_defaultESE_EENS6_10device_ptrIlEESH_PmS8_NS6_8equal_toIlEEEE10hipError_tPvRmT2_T3_mT4_T5_T6_T7_T8_P12ihipStream_tbENKUlT_T0_E_clISt17integral_constantIbLb1EES11_IbLb0EEEEDaSX_SY_EUlSX_E_NS1_11comp_targetILNS1_3genE4ELNS1_11target_archE910ELNS1_3gpuE8ELNS1_3repE0EEENS1_30default_config_static_selectorELNS0_4arch9wavefront6targetE1EEEvT1_, .Lfunc_end1224-_ZN7rocprim17ROCPRIM_400000_NS6detail17trampoline_kernelINS0_14default_configENS1_29reduce_by_key_config_selectorIllN6thrust23THRUST_200600_302600_NS4plusIlEEEEZZNS1_33reduce_by_key_impl_wrapped_configILNS1_25lookback_scan_determinismE0ES3_S9_PlNS6_17constant_iteratorIiNS6_11use_defaultESE_EENS6_10device_ptrIlEESH_PmS8_NS6_8equal_toIlEEEE10hipError_tPvRmT2_T3_mT4_T5_T6_T7_T8_P12ihipStream_tbENKUlT_T0_E_clISt17integral_constantIbLb1EES11_IbLb0EEEEDaSX_SY_EUlSX_E_NS1_11comp_targetILNS1_3genE4ELNS1_11target_archE910ELNS1_3gpuE8ELNS1_3repE0EEENS1_30default_config_static_selectorELNS0_4arch9wavefront6targetE1EEEvT1_
                                        ; -- End function
	.set _ZN7rocprim17ROCPRIM_400000_NS6detail17trampoline_kernelINS0_14default_configENS1_29reduce_by_key_config_selectorIllN6thrust23THRUST_200600_302600_NS4plusIlEEEEZZNS1_33reduce_by_key_impl_wrapped_configILNS1_25lookback_scan_determinismE0ES3_S9_PlNS6_17constant_iteratorIiNS6_11use_defaultESE_EENS6_10device_ptrIlEESH_PmS8_NS6_8equal_toIlEEEE10hipError_tPvRmT2_T3_mT4_T5_T6_T7_T8_P12ihipStream_tbENKUlT_T0_E_clISt17integral_constantIbLb1EES11_IbLb0EEEEDaSX_SY_EUlSX_E_NS1_11comp_targetILNS1_3genE4ELNS1_11target_archE910ELNS1_3gpuE8ELNS1_3repE0EEENS1_30default_config_static_selectorELNS0_4arch9wavefront6targetE1EEEvT1_.num_vgpr, 0
	.set _ZN7rocprim17ROCPRIM_400000_NS6detail17trampoline_kernelINS0_14default_configENS1_29reduce_by_key_config_selectorIllN6thrust23THRUST_200600_302600_NS4plusIlEEEEZZNS1_33reduce_by_key_impl_wrapped_configILNS1_25lookback_scan_determinismE0ES3_S9_PlNS6_17constant_iteratorIiNS6_11use_defaultESE_EENS6_10device_ptrIlEESH_PmS8_NS6_8equal_toIlEEEE10hipError_tPvRmT2_T3_mT4_T5_T6_T7_T8_P12ihipStream_tbENKUlT_T0_E_clISt17integral_constantIbLb1EES11_IbLb0EEEEDaSX_SY_EUlSX_E_NS1_11comp_targetILNS1_3genE4ELNS1_11target_archE910ELNS1_3gpuE8ELNS1_3repE0EEENS1_30default_config_static_selectorELNS0_4arch9wavefront6targetE1EEEvT1_.num_agpr, 0
	.set _ZN7rocprim17ROCPRIM_400000_NS6detail17trampoline_kernelINS0_14default_configENS1_29reduce_by_key_config_selectorIllN6thrust23THRUST_200600_302600_NS4plusIlEEEEZZNS1_33reduce_by_key_impl_wrapped_configILNS1_25lookback_scan_determinismE0ES3_S9_PlNS6_17constant_iteratorIiNS6_11use_defaultESE_EENS6_10device_ptrIlEESH_PmS8_NS6_8equal_toIlEEEE10hipError_tPvRmT2_T3_mT4_T5_T6_T7_T8_P12ihipStream_tbENKUlT_T0_E_clISt17integral_constantIbLb1EES11_IbLb0EEEEDaSX_SY_EUlSX_E_NS1_11comp_targetILNS1_3genE4ELNS1_11target_archE910ELNS1_3gpuE8ELNS1_3repE0EEENS1_30default_config_static_selectorELNS0_4arch9wavefront6targetE1EEEvT1_.numbered_sgpr, 0
	.set _ZN7rocprim17ROCPRIM_400000_NS6detail17trampoline_kernelINS0_14default_configENS1_29reduce_by_key_config_selectorIllN6thrust23THRUST_200600_302600_NS4plusIlEEEEZZNS1_33reduce_by_key_impl_wrapped_configILNS1_25lookback_scan_determinismE0ES3_S9_PlNS6_17constant_iteratorIiNS6_11use_defaultESE_EENS6_10device_ptrIlEESH_PmS8_NS6_8equal_toIlEEEE10hipError_tPvRmT2_T3_mT4_T5_T6_T7_T8_P12ihipStream_tbENKUlT_T0_E_clISt17integral_constantIbLb1EES11_IbLb0EEEEDaSX_SY_EUlSX_E_NS1_11comp_targetILNS1_3genE4ELNS1_11target_archE910ELNS1_3gpuE8ELNS1_3repE0EEENS1_30default_config_static_selectorELNS0_4arch9wavefront6targetE1EEEvT1_.num_named_barrier, 0
	.set _ZN7rocprim17ROCPRIM_400000_NS6detail17trampoline_kernelINS0_14default_configENS1_29reduce_by_key_config_selectorIllN6thrust23THRUST_200600_302600_NS4plusIlEEEEZZNS1_33reduce_by_key_impl_wrapped_configILNS1_25lookback_scan_determinismE0ES3_S9_PlNS6_17constant_iteratorIiNS6_11use_defaultESE_EENS6_10device_ptrIlEESH_PmS8_NS6_8equal_toIlEEEE10hipError_tPvRmT2_T3_mT4_T5_T6_T7_T8_P12ihipStream_tbENKUlT_T0_E_clISt17integral_constantIbLb1EES11_IbLb0EEEEDaSX_SY_EUlSX_E_NS1_11comp_targetILNS1_3genE4ELNS1_11target_archE910ELNS1_3gpuE8ELNS1_3repE0EEENS1_30default_config_static_selectorELNS0_4arch9wavefront6targetE1EEEvT1_.private_seg_size, 0
	.set _ZN7rocprim17ROCPRIM_400000_NS6detail17trampoline_kernelINS0_14default_configENS1_29reduce_by_key_config_selectorIllN6thrust23THRUST_200600_302600_NS4plusIlEEEEZZNS1_33reduce_by_key_impl_wrapped_configILNS1_25lookback_scan_determinismE0ES3_S9_PlNS6_17constant_iteratorIiNS6_11use_defaultESE_EENS6_10device_ptrIlEESH_PmS8_NS6_8equal_toIlEEEE10hipError_tPvRmT2_T3_mT4_T5_T6_T7_T8_P12ihipStream_tbENKUlT_T0_E_clISt17integral_constantIbLb1EES11_IbLb0EEEEDaSX_SY_EUlSX_E_NS1_11comp_targetILNS1_3genE4ELNS1_11target_archE910ELNS1_3gpuE8ELNS1_3repE0EEENS1_30default_config_static_selectorELNS0_4arch9wavefront6targetE1EEEvT1_.uses_vcc, 0
	.set _ZN7rocprim17ROCPRIM_400000_NS6detail17trampoline_kernelINS0_14default_configENS1_29reduce_by_key_config_selectorIllN6thrust23THRUST_200600_302600_NS4plusIlEEEEZZNS1_33reduce_by_key_impl_wrapped_configILNS1_25lookback_scan_determinismE0ES3_S9_PlNS6_17constant_iteratorIiNS6_11use_defaultESE_EENS6_10device_ptrIlEESH_PmS8_NS6_8equal_toIlEEEE10hipError_tPvRmT2_T3_mT4_T5_T6_T7_T8_P12ihipStream_tbENKUlT_T0_E_clISt17integral_constantIbLb1EES11_IbLb0EEEEDaSX_SY_EUlSX_E_NS1_11comp_targetILNS1_3genE4ELNS1_11target_archE910ELNS1_3gpuE8ELNS1_3repE0EEENS1_30default_config_static_selectorELNS0_4arch9wavefront6targetE1EEEvT1_.uses_flat_scratch, 0
	.set _ZN7rocprim17ROCPRIM_400000_NS6detail17trampoline_kernelINS0_14default_configENS1_29reduce_by_key_config_selectorIllN6thrust23THRUST_200600_302600_NS4plusIlEEEEZZNS1_33reduce_by_key_impl_wrapped_configILNS1_25lookback_scan_determinismE0ES3_S9_PlNS6_17constant_iteratorIiNS6_11use_defaultESE_EENS6_10device_ptrIlEESH_PmS8_NS6_8equal_toIlEEEE10hipError_tPvRmT2_T3_mT4_T5_T6_T7_T8_P12ihipStream_tbENKUlT_T0_E_clISt17integral_constantIbLb1EES11_IbLb0EEEEDaSX_SY_EUlSX_E_NS1_11comp_targetILNS1_3genE4ELNS1_11target_archE910ELNS1_3gpuE8ELNS1_3repE0EEENS1_30default_config_static_selectorELNS0_4arch9wavefront6targetE1EEEvT1_.has_dyn_sized_stack, 0
	.set _ZN7rocprim17ROCPRIM_400000_NS6detail17trampoline_kernelINS0_14default_configENS1_29reduce_by_key_config_selectorIllN6thrust23THRUST_200600_302600_NS4plusIlEEEEZZNS1_33reduce_by_key_impl_wrapped_configILNS1_25lookback_scan_determinismE0ES3_S9_PlNS6_17constant_iteratorIiNS6_11use_defaultESE_EENS6_10device_ptrIlEESH_PmS8_NS6_8equal_toIlEEEE10hipError_tPvRmT2_T3_mT4_T5_T6_T7_T8_P12ihipStream_tbENKUlT_T0_E_clISt17integral_constantIbLb1EES11_IbLb0EEEEDaSX_SY_EUlSX_E_NS1_11comp_targetILNS1_3genE4ELNS1_11target_archE910ELNS1_3gpuE8ELNS1_3repE0EEENS1_30default_config_static_selectorELNS0_4arch9wavefront6targetE1EEEvT1_.has_recursion, 0
	.set _ZN7rocprim17ROCPRIM_400000_NS6detail17trampoline_kernelINS0_14default_configENS1_29reduce_by_key_config_selectorIllN6thrust23THRUST_200600_302600_NS4plusIlEEEEZZNS1_33reduce_by_key_impl_wrapped_configILNS1_25lookback_scan_determinismE0ES3_S9_PlNS6_17constant_iteratorIiNS6_11use_defaultESE_EENS6_10device_ptrIlEESH_PmS8_NS6_8equal_toIlEEEE10hipError_tPvRmT2_T3_mT4_T5_T6_T7_T8_P12ihipStream_tbENKUlT_T0_E_clISt17integral_constantIbLb1EES11_IbLb0EEEEDaSX_SY_EUlSX_E_NS1_11comp_targetILNS1_3genE4ELNS1_11target_archE910ELNS1_3gpuE8ELNS1_3repE0EEENS1_30default_config_static_selectorELNS0_4arch9wavefront6targetE1EEEvT1_.has_indirect_call, 0
	.section	.AMDGPU.csdata,"",@progbits
; Kernel info:
; codeLenInByte = 0
; TotalNumSgprs: 4
; NumVgprs: 0
; ScratchSize: 0
; MemoryBound: 0
; FloatMode: 240
; IeeeMode: 1
; LDSByteSize: 0 bytes/workgroup (compile time only)
; SGPRBlocks: 0
; VGPRBlocks: 0
; NumSGPRsForWavesPerEU: 4
; NumVGPRsForWavesPerEU: 1
; Occupancy: 10
; WaveLimiterHint : 0
; COMPUTE_PGM_RSRC2:SCRATCH_EN: 0
; COMPUTE_PGM_RSRC2:USER_SGPR: 6
; COMPUTE_PGM_RSRC2:TRAP_HANDLER: 0
; COMPUTE_PGM_RSRC2:TGID_X_EN: 1
; COMPUTE_PGM_RSRC2:TGID_Y_EN: 0
; COMPUTE_PGM_RSRC2:TGID_Z_EN: 0
; COMPUTE_PGM_RSRC2:TIDIG_COMP_CNT: 0
	.section	.text._ZN7rocprim17ROCPRIM_400000_NS6detail17trampoline_kernelINS0_14default_configENS1_29reduce_by_key_config_selectorIllN6thrust23THRUST_200600_302600_NS4plusIlEEEEZZNS1_33reduce_by_key_impl_wrapped_configILNS1_25lookback_scan_determinismE0ES3_S9_PlNS6_17constant_iteratorIiNS6_11use_defaultESE_EENS6_10device_ptrIlEESH_PmS8_NS6_8equal_toIlEEEE10hipError_tPvRmT2_T3_mT4_T5_T6_T7_T8_P12ihipStream_tbENKUlT_T0_E_clISt17integral_constantIbLb1EES11_IbLb0EEEEDaSX_SY_EUlSX_E_NS1_11comp_targetILNS1_3genE3ELNS1_11target_archE908ELNS1_3gpuE7ELNS1_3repE0EEENS1_30default_config_static_selectorELNS0_4arch9wavefront6targetE1EEEvT1_,"axG",@progbits,_ZN7rocprim17ROCPRIM_400000_NS6detail17trampoline_kernelINS0_14default_configENS1_29reduce_by_key_config_selectorIllN6thrust23THRUST_200600_302600_NS4plusIlEEEEZZNS1_33reduce_by_key_impl_wrapped_configILNS1_25lookback_scan_determinismE0ES3_S9_PlNS6_17constant_iteratorIiNS6_11use_defaultESE_EENS6_10device_ptrIlEESH_PmS8_NS6_8equal_toIlEEEE10hipError_tPvRmT2_T3_mT4_T5_T6_T7_T8_P12ihipStream_tbENKUlT_T0_E_clISt17integral_constantIbLb1EES11_IbLb0EEEEDaSX_SY_EUlSX_E_NS1_11comp_targetILNS1_3genE3ELNS1_11target_archE908ELNS1_3gpuE7ELNS1_3repE0EEENS1_30default_config_static_selectorELNS0_4arch9wavefront6targetE1EEEvT1_,comdat
	.protected	_ZN7rocprim17ROCPRIM_400000_NS6detail17trampoline_kernelINS0_14default_configENS1_29reduce_by_key_config_selectorIllN6thrust23THRUST_200600_302600_NS4plusIlEEEEZZNS1_33reduce_by_key_impl_wrapped_configILNS1_25lookback_scan_determinismE0ES3_S9_PlNS6_17constant_iteratorIiNS6_11use_defaultESE_EENS6_10device_ptrIlEESH_PmS8_NS6_8equal_toIlEEEE10hipError_tPvRmT2_T3_mT4_T5_T6_T7_T8_P12ihipStream_tbENKUlT_T0_E_clISt17integral_constantIbLb1EES11_IbLb0EEEEDaSX_SY_EUlSX_E_NS1_11comp_targetILNS1_3genE3ELNS1_11target_archE908ELNS1_3gpuE7ELNS1_3repE0EEENS1_30default_config_static_selectorELNS0_4arch9wavefront6targetE1EEEvT1_ ; -- Begin function _ZN7rocprim17ROCPRIM_400000_NS6detail17trampoline_kernelINS0_14default_configENS1_29reduce_by_key_config_selectorIllN6thrust23THRUST_200600_302600_NS4plusIlEEEEZZNS1_33reduce_by_key_impl_wrapped_configILNS1_25lookback_scan_determinismE0ES3_S9_PlNS6_17constant_iteratorIiNS6_11use_defaultESE_EENS6_10device_ptrIlEESH_PmS8_NS6_8equal_toIlEEEE10hipError_tPvRmT2_T3_mT4_T5_T6_T7_T8_P12ihipStream_tbENKUlT_T0_E_clISt17integral_constantIbLb1EES11_IbLb0EEEEDaSX_SY_EUlSX_E_NS1_11comp_targetILNS1_3genE3ELNS1_11target_archE908ELNS1_3gpuE7ELNS1_3repE0EEENS1_30default_config_static_selectorELNS0_4arch9wavefront6targetE1EEEvT1_
	.globl	_ZN7rocprim17ROCPRIM_400000_NS6detail17trampoline_kernelINS0_14default_configENS1_29reduce_by_key_config_selectorIllN6thrust23THRUST_200600_302600_NS4plusIlEEEEZZNS1_33reduce_by_key_impl_wrapped_configILNS1_25lookback_scan_determinismE0ES3_S9_PlNS6_17constant_iteratorIiNS6_11use_defaultESE_EENS6_10device_ptrIlEESH_PmS8_NS6_8equal_toIlEEEE10hipError_tPvRmT2_T3_mT4_T5_T6_T7_T8_P12ihipStream_tbENKUlT_T0_E_clISt17integral_constantIbLb1EES11_IbLb0EEEEDaSX_SY_EUlSX_E_NS1_11comp_targetILNS1_3genE3ELNS1_11target_archE908ELNS1_3gpuE7ELNS1_3repE0EEENS1_30default_config_static_selectorELNS0_4arch9wavefront6targetE1EEEvT1_
	.p2align	8
	.type	_ZN7rocprim17ROCPRIM_400000_NS6detail17trampoline_kernelINS0_14default_configENS1_29reduce_by_key_config_selectorIllN6thrust23THRUST_200600_302600_NS4plusIlEEEEZZNS1_33reduce_by_key_impl_wrapped_configILNS1_25lookback_scan_determinismE0ES3_S9_PlNS6_17constant_iteratorIiNS6_11use_defaultESE_EENS6_10device_ptrIlEESH_PmS8_NS6_8equal_toIlEEEE10hipError_tPvRmT2_T3_mT4_T5_T6_T7_T8_P12ihipStream_tbENKUlT_T0_E_clISt17integral_constantIbLb1EES11_IbLb0EEEEDaSX_SY_EUlSX_E_NS1_11comp_targetILNS1_3genE3ELNS1_11target_archE908ELNS1_3gpuE7ELNS1_3repE0EEENS1_30default_config_static_selectorELNS0_4arch9wavefront6targetE1EEEvT1_,@function
_ZN7rocprim17ROCPRIM_400000_NS6detail17trampoline_kernelINS0_14default_configENS1_29reduce_by_key_config_selectorIllN6thrust23THRUST_200600_302600_NS4plusIlEEEEZZNS1_33reduce_by_key_impl_wrapped_configILNS1_25lookback_scan_determinismE0ES3_S9_PlNS6_17constant_iteratorIiNS6_11use_defaultESE_EENS6_10device_ptrIlEESH_PmS8_NS6_8equal_toIlEEEE10hipError_tPvRmT2_T3_mT4_T5_T6_T7_T8_P12ihipStream_tbENKUlT_T0_E_clISt17integral_constantIbLb1EES11_IbLb0EEEEDaSX_SY_EUlSX_E_NS1_11comp_targetILNS1_3genE3ELNS1_11target_archE908ELNS1_3gpuE7ELNS1_3repE0EEENS1_30default_config_static_selectorELNS0_4arch9wavefront6targetE1EEEvT1_: ; @_ZN7rocprim17ROCPRIM_400000_NS6detail17trampoline_kernelINS0_14default_configENS1_29reduce_by_key_config_selectorIllN6thrust23THRUST_200600_302600_NS4plusIlEEEEZZNS1_33reduce_by_key_impl_wrapped_configILNS1_25lookback_scan_determinismE0ES3_S9_PlNS6_17constant_iteratorIiNS6_11use_defaultESE_EENS6_10device_ptrIlEESH_PmS8_NS6_8equal_toIlEEEE10hipError_tPvRmT2_T3_mT4_T5_T6_T7_T8_P12ihipStream_tbENKUlT_T0_E_clISt17integral_constantIbLb1EES11_IbLb0EEEEDaSX_SY_EUlSX_E_NS1_11comp_targetILNS1_3genE3ELNS1_11target_archE908ELNS1_3gpuE7ELNS1_3repE0EEENS1_30default_config_static_selectorELNS0_4arch9wavefront6targetE1EEEvT1_
; %bb.0:
	.section	.rodata,"a",@progbits
	.p2align	6, 0x0
	.amdhsa_kernel _ZN7rocprim17ROCPRIM_400000_NS6detail17trampoline_kernelINS0_14default_configENS1_29reduce_by_key_config_selectorIllN6thrust23THRUST_200600_302600_NS4plusIlEEEEZZNS1_33reduce_by_key_impl_wrapped_configILNS1_25lookback_scan_determinismE0ES3_S9_PlNS6_17constant_iteratorIiNS6_11use_defaultESE_EENS6_10device_ptrIlEESH_PmS8_NS6_8equal_toIlEEEE10hipError_tPvRmT2_T3_mT4_T5_T6_T7_T8_P12ihipStream_tbENKUlT_T0_E_clISt17integral_constantIbLb1EES11_IbLb0EEEEDaSX_SY_EUlSX_E_NS1_11comp_targetILNS1_3genE3ELNS1_11target_archE908ELNS1_3gpuE7ELNS1_3repE0EEENS1_30default_config_static_selectorELNS0_4arch9wavefront6targetE1EEEvT1_
		.amdhsa_group_segment_fixed_size 0
		.amdhsa_private_segment_fixed_size 0
		.amdhsa_kernarg_size 144
		.amdhsa_user_sgpr_count 6
		.amdhsa_user_sgpr_private_segment_buffer 1
		.amdhsa_user_sgpr_dispatch_ptr 0
		.amdhsa_user_sgpr_queue_ptr 0
		.amdhsa_user_sgpr_kernarg_segment_ptr 1
		.amdhsa_user_sgpr_dispatch_id 0
		.amdhsa_user_sgpr_flat_scratch_init 0
		.amdhsa_user_sgpr_private_segment_size 0
		.amdhsa_uses_dynamic_stack 0
		.amdhsa_system_sgpr_private_segment_wavefront_offset 0
		.amdhsa_system_sgpr_workgroup_id_x 1
		.amdhsa_system_sgpr_workgroup_id_y 0
		.amdhsa_system_sgpr_workgroup_id_z 0
		.amdhsa_system_sgpr_workgroup_info 0
		.amdhsa_system_vgpr_workitem_id 0
		.amdhsa_next_free_vgpr 1
		.amdhsa_next_free_sgpr 0
		.amdhsa_reserve_vcc 0
		.amdhsa_reserve_flat_scratch 0
		.amdhsa_float_round_mode_32 0
		.amdhsa_float_round_mode_16_64 0
		.amdhsa_float_denorm_mode_32 3
		.amdhsa_float_denorm_mode_16_64 3
		.amdhsa_dx10_clamp 1
		.amdhsa_ieee_mode 1
		.amdhsa_fp16_overflow 0
		.amdhsa_exception_fp_ieee_invalid_op 0
		.amdhsa_exception_fp_denorm_src 0
		.amdhsa_exception_fp_ieee_div_zero 0
		.amdhsa_exception_fp_ieee_overflow 0
		.amdhsa_exception_fp_ieee_underflow 0
		.amdhsa_exception_fp_ieee_inexact 0
		.amdhsa_exception_int_div_zero 0
	.end_amdhsa_kernel
	.section	.text._ZN7rocprim17ROCPRIM_400000_NS6detail17trampoline_kernelINS0_14default_configENS1_29reduce_by_key_config_selectorIllN6thrust23THRUST_200600_302600_NS4plusIlEEEEZZNS1_33reduce_by_key_impl_wrapped_configILNS1_25lookback_scan_determinismE0ES3_S9_PlNS6_17constant_iteratorIiNS6_11use_defaultESE_EENS6_10device_ptrIlEESH_PmS8_NS6_8equal_toIlEEEE10hipError_tPvRmT2_T3_mT4_T5_T6_T7_T8_P12ihipStream_tbENKUlT_T0_E_clISt17integral_constantIbLb1EES11_IbLb0EEEEDaSX_SY_EUlSX_E_NS1_11comp_targetILNS1_3genE3ELNS1_11target_archE908ELNS1_3gpuE7ELNS1_3repE0EEENS1_30default_config_static_selectorELNS0_4arch9wavefront6targetE1EEEvT1_,"axG",@progbits,_ZN7rocprim17ROCPRIM_400000_NS6detail17trampoline_kernelINS0_14default_configENS1_29reduce_by_key_config_selectorIllN6thrust23THRUST_200600_302600_NS4plusIlEEEEZZNS1_33reduce_by_key_impl_wrapped_configILNS1_25lookback_scan_determinismE0ES3_S9_PlNS6_17constant_iteratorIiNS6_11use_defaultESE_EENS6_10device_ptrIlEESH_PmS8_NS6_8equal_toIlEEEE10hipError_tPvRmT2_T3_mT4_T5_T6_T7_T8_P12ihipStream_tbENKUlT_T0_E_clISt17integral_constantIbLb1EES11_IbLb0EEEEDaSX_SY_EUlSX_E_NS1_11comp_targetILNS1_3genE3ELNS1_11target_archE908ELNS1_3gpuE7ELNS1_3repE0EEENS1_30default_config_static_selectorELNS0_4arch9wavefront6targetE1EEEvT1_,comdat
.Lfunc_end1225:
	.size	_ZN7rocprim17ROCPRIM_400000_NS6detail17trampoline_kernelINS0_14default_configENS1_29reduce_by_key_config_selectorIllN6thrust23THRUST_200600_302600_NS4plusIlEEEEZZNS1_33reduce_by_key_impl_wrapped_configILNS1_25lookback_scan_determinismE0ES3_S9_PlNS6_17constant_iteratorIiNS6_11use_defaultESE_EENS6_10device_ptrIlEESH_PmS8_NS6_8equal_toIlEEEE10hipError_tPvRmT2_T3_mT4_T5_T6_T7_T8_P12ihipStream_tbENKUlT_T0_E_clISt17integral_constantIbLb1EES11_IbLb0EEEEDaSX_SY_EUlSX_E_NS1_11comp_targetILNS1_3genE3ELNS1_11target_archE908ELNS1_3gpuE7ELNS1_3repE0EEENS1_30default_config_static_selectorELNS0_4arch9wavefront6targetE1EEEvT1_, .Lfunc_end1225-_ZN7rocprim17ROCPRIM_400000_NS6detail17trampoline_kernelINS0_14default_configENS1_29reduce_by_key_config_selectorIllN6thrust23THRUST_200600_302600_NS4plusIlEEEEZZNS1_33reduce_by_key_impl_wrapped_configILNS1_25lookback_scan_determinismE0ES3_S9_PlNS6_17constant_iteratorIiNS6_11use_defaultESE_EENS6_10device_ptrIlEESH_PmS8_NS6_8equal_toIlEEEE10hipError_tPvRmT2_T3_mT4_T5_T6_T7_T8_P12ihipStream_tbENKUlT_T0_E_clISt17integral_constantIbLb1EES11_IbLb0EEEEDaSX_SY_EUlSX_E_NS1_11comp_targetILNS1_3genE3ELNS1_11target_archE908ELNS1_3gpuE7ELNS1_3repE0EEENS1_30default_config_static_selectorELNS0_4arch9wavefront6targetE1EEEvT1_
                                        ; -- End function
	.set _ZN7rocprim17ROCPRIM_400000_NS6detail17trampoline_kernelINS0_14default_configENS1_29reduce_by_key_config_selectorIllN6thrust23THRUST_200600_302600_NS4plusIlEEEEZZNS1_33reduce_by_key_impl_wrapped_configILNS1_25lookback_scan_determinismE0ES3_S9_PlNS6_17constant_iteratorIiNS6_11use_defaultESE_EENS6_10device_ptrIlEESH_PmS8_NS6_8equal_toIlEEEE10hipError_tPvRmT2_T3_mT4_T5_T6_T7_T8_P12ihipStream_tbENKUlT_T0_E_clISt17integral_constantIbLb1EES11_IbLb0EEEEDaSX_SY_EUlSX_E_NS1_11comp_targetILNS1_3genE3ELNS1_11target_archE908ELNS1_3gpuE7ELNS1_3repE0EEENS1_30default_config_static_selectorELNS0_4arch9wavefront6targetE1EEEvT1_.num_vgpr, 0
	.set _ZN7rocprim17ROCPRIM_400000_NS6detail17trampoline_kernelINS0_14default_configENS1_29reduce_by_key_config_selectorIllN6thrust23THRUST_200600_302600_NS4plusIlEEEEZZNS1_33reduce_by_key_impl_wrapped_configILNS1_25lookback_scan_determinismE0ES3_S9_PlNS6_17constant_iteratorIiNS6_11use_defaultESE_EENS6_10device_ptrIlEESH_PmS8_NS6_8equal_toIlEEEE10hipError_tPvRmT2_T3_mT4_T5_T6_T7_T8_P12ihipStream_tbENKUlT_T0_E_clISt17integral_constantIbLb1EES11_IbLb0EEEEDaSX_SY_EUlSX_E_NS1_11comp_targetILNS1_3genE3ELNS1_11target_archE908ELNS1_3gpuE7ELNS1_3repE0EEENS1_30default_config_static_selectorELNS0_4arch9wavefront6targetE1EEEvT1_.num_agpr, 0
	.set _ZN7rocprim17ROCPRIM_400000_NS6detail17trampoline_kernelINS0_14default_configENS1_29reduce_by_key_config_selectorIllN6thrust23THRUST_200600_302600_NS4plusIlEEEEZZNS1_33reduce_by_key_impl_wrapped_configILNS1_25lookback_scan_determinismE0ES3_S9_PlNS6_17constant_iteratorIiNS6_11use_defaultESE_EENS6_10device_ptrIlEESH_PmS8_NS6_8equal_toIlEEEE10hipError_tPvRmT2_T3_mT4_T5_T6_T7_T8_P12ihipStream_tbENKUlT_T0_E_clISt17integral_constantIbLb1EES11_IbLb0EEEEDaSX_SY_EUlSX_E_NS1_11comp_targetILNS1_3genE3ELNS1_11target_archE908ELNS1_3gpuE7ELNS1_3repE0EEENS1_30default_config_static_selectorELNS0_4arch9wavefront6targetE1EEEvT1_.numbered_sgpr, 0
	.set _ZN7rocprim17ROCPRIM_400000_NS6detail17trampoline_kernelINS0_14default_configENS1_29reduce_by_key_config_selectorIllN6thrust23THRUST_200600_302600_NS4plusIlEEEEZZNS1_33reduce_by_key_impl_wrapped_configILNS1_25lookback_scan_determinismE0ES3_S9_PlNS6_17constant_iteratorIiNS6_11use_defaultESE_EENS6_10device_ptrIlEESH_PmS8_NS6_8equal_toIlEEEE10hipError_tPvRmT2_T3_mT4_T5_T6_T7_T8_P12ihipStream_tbENKUlT_T0_E_clISt17integral_constantIbLb1EES11_IbLb0EEEEDaSX_SY_EUlSX_E_NS1_11comp_targetILNS1_3genE3ELNS1_11target_archE908ELNS1_3gpuE7ELNS1_3repE0EEENS1_30default_config_static_selectorELNS0_4arch9wavefront6targetE1EEEvT1_.num_named_barrier, 0
	.set _ZN7rocprim17ROCPRIM_400000_NS6detail17trampoline_kernelINS0_14default_configENS1_29reduce_by_key_config_selectorIllN6thrust23THRUST_200600_302600_NS4plusIlEEEEZZNS1_33reduce_by_key_impl_wrapped_configILNS1_25lookback_scan_determinismE0ES3_S9_PlNS6_17constant_iteratorIiNS6_11use_defaultESE_EENS6_10device_ptrIlEESH_PmS8_NS6_8equal_toIlEEEE10hipError_tPvRmT2_T3_mT4_T5_T6_T7_T8_P12ihipStream_tbENKUlT_T0_E_clISt17integral_constantIbLb1EES11_IbLb0EEEEDaSX_SY_EUlSX_E_NS1_11comp_targetILNS1_3genE3ELNS1_11target_archE908ELNS1_3gpuE7ELNS1_3repE0EEENS1_30default_config_static_selectorELNS0_4arch9wavefront6targetE1EEEvT1_.private_seg_size, 0
	.set _ZN7rocprim17ROCPRIM_400000_NS6detail17trampoline_kernelINS0_14default_configENS1_29reduce_by_key_config_selectorIllN6thrust23THRUST_200600_302600_NS4plusIlEEEEZZNS1_33reduce_by_key_impl_wrapped_configILNS1_25lookback_scan_determinismE0ES3_S9_PlNS6_17constant_iteratorIiNS6_11use_defaultESE_EENS6_10device_ptrIlEESH_PmS8_NS6_8equal_toIlEEEE10hipError_tPvRmT2_T3_mT4_T5_T6_T7_T8_P12ihipStream_tbENKUlT_T0_E_clISt17integral_constantIbLb1EES11_IbLb0EEEEDaSX_SY_EUlSX_E_NS1_11comp_targetILNS1_3genE3ELNS1_11target_archE908ELNS1_3gpuE7ELNS1_3repE0EEENS1_30default_config_static_selectorELNS0_4arch9wavefront6targetE1EEEvT1_.uses_vcc, 0
	.set _ZN7rocprim17ROCPRIM_400000_NS6detail17trampoline_kernelINS0_14default_configENS1_29reduce_by_key_config_selectorIllN6thrust23THRUST_200600_302600_NS4plusIlEEEEZZNS1_33reduce_by_key_impl_wrapped_configILNS1_25lookback_scan_determinismE0ES3_S9_PlNS6_17constant_iteratorIiNS6_11use_defaultESE_EENS6_10device_ptrIlEESH_PmS8_NS6_8equal_toIlEEEE10hipError_tPvRmT2_T3_mT4_T5_T6_T7_T8_P12ihipStream_tbENKUlT_T0_E_clISt17integral_constantIbLb1EES11_IbLb0EEEEDaSX_SY_EUlSX_E_NS1_11comp_targetILNS1_3genE3ELNS1_11target_archE908ELNS1_3gpuE7ELNS1_3repE0EEENS1_30default_config_static_selectorELNS0_4arch9wavefront6targetE1EEEvT1_.uses_flat_scratch, 0
	.set _ZN7rocprim17ROCPRIM_400000_NS6detail17trampoline_kernelINS0_14default_configENS1_29reduce_by_key_config_selectorIllN6thrust23THRUST_200600_302600_NS4plusIlEEEEZZNS1_33reduce_by_key_impl_wrapped_configILNS1_25lookback_scan_determinismE0ES3_S9_PlNS6_17constant_iteratorIiNS6_11use_defaultESE_EENS6_10device_ptrIlEESH_PmS8_NS6_8equal_toIlEEEE10hipError_tPvRmT2_T3_mT4_T5_T6_T7_T8_P12ihipStream_tbENKUlT_T0_E_clISt17integral_constantIbLb1EES11_IbLb0EEEEDaSX_SY_EUlSX_E_NS1_11comp_targetILNS1_3genE3ELNS1_11target_archE908ELNS1_3gpuE7ELNS1_3repE0EEENS1_30default_config_static_selectorELNS0_4arch9wavefront6targetE1EEEvT1_.has_dyn_sized_stack, 0
	.set _ZN7rocprim17ROCPRIM_400000_NS6detail17trampoline_kernelINS0_14default_configENS1_29reduce_by_key_config_selectorIllN6thrust23THRUST_200600_302600_NS4plusIlEEEEZZNS1_33reduce_by_key_impl_wrapped_configILNS1_25lookback_scan_determinismE0ES3_S9_PlNS6_17constant_iteratorIiNS6_11use_defaultESE_EENS6_10device_ptrIlEESH_PmS8_NS6_8equal_toIlEEEE10hipError_tPvRmT2_T3_mT4_T5_T6_T7_T8_P12ihipStream_tbENKUlT_T0_E_clISt17integral_constantIbLb1EES11_IbLb0EEEEDaSX_SY_EUlSX_E_NS1_11comp_targetILNS1_3genE3ELNS1_11target_archE908ELNS1_3gpuE7ELNS1_3repE0EEENS1_30default_config_static_selectorELNS0_4arch9wavefront6targetE1EEEvT1_.has_recursion, 0
	.set _ZN7rocprim17ROCPRIM_400000_NS6detail17trampoline_kernelINS0_14default_configENS1_29reduce_by_key_config_selectorIllN6thrust23THRUST_200600_302600_NS4plusIlEEEEZZNS1_33reduce_by_key_impl_wrapped_configILNS1_25lookback_scan_determinismE0ES3_S9_PlNS6_17constant_iteratorIiNS6_11use_defaultESE_EENS6_10device_ptrIlEESH_PmS8_NS6_8equal_toIlEEEE10hipError_tPvRmT2_T3_mT4_T5_T6_T7_T8_P12ihipStream_tbENKUlT_T0_E_clISt17integral_constantIbLb1EES11_IbLb0EEEEDaSX_SY_EUlSX_E_NS1_11comp_targetILNS1_3genE3ELNS1_11target_archE908ELNS1_3gpuE7ELNS1_3repE0EEENS1_30default_config_static_selectorELNS0_4arch9wavefront6targetE1EEEvT1_.has_indirect_call, 0
	.section	.AMDGPU.csdata,"",@progbits
; Kernel info:
; codeLenInByte = 0
; TotalNumSgprs: 4
; NumVgprs: 0
; ScratchSize: 0
; MemoryBound: 0
; FloatMode: 240
; IeeeMode: 1
; LDSByteSize: 0 bytes/workgroup (compile time only)
; SGPRBlocks: 0
; VGPRBlocks: 0
; NumSGPRsForWavesPerEU: 4
; NumVGPRsForWavesPerEU: 1
; Occupancy: 10
; WaveLimiterHint : 0
; COMPUTE_PGM_RSRC2:SCRATCH_EN: 0
; COMPUTE_PGM_RSRC2:USER_SGPR: 6
; COMPUTE_PGM_RSRC2:TRAP_HANDLER: 0
; COMPUTE_PGM_RSRC2:TGID_X_EN: 1
; COMPUTE_PGM_RSRC2:TGID_Y_EN: 0
; COMPUTE_PGM_RSRC2:TGID_Z_EN: 0
; COMPUTE_PGM_RSRC2:TIDIG_COMP_CNT: 0
	.section	.text._ZN7rocprim17ROCPRIM_400000_NS6detail17trampoline_kernelINS0_14default_configENS1_29reduce_by_key_config_selectorIllN6thrust23THRUST_200600_302600_NS4plusIlEEEEZZNS1_33reduce_by_key_impl_wrapped_configILNS1_25lookback_scan_determinismE0ES3_S9_PlNS6_17constant_iteratorIiNS6_11use_defaultESE_EENS6_10device_ptrIlEESH_PmS8_NS6_8equal_toIlEEEE10hipError_tPvRmT2_T3_mT4_T5_T6_T7_T8_P12ihipStream_tbENKUlT_T0_E_clISt17integral_constantIbLb1EES11_IbLb0EEEEDaSX_SY_EUlSX_E_NS1_11comp_targetILNS1_3genE2ELNS1_11target_archE906ELNS1_3gpuE6ELNS1_3repE0EEENS1_30default_config_static_selectorELNS0_4arch9wavefront6targetE1EEEvT1_,"axG",@progbits,_ZN7rocprim17ROCPRIM_400000_NS6detail17trampoline_kernelINS0_14default_configENS1_29reduce_by_key_config_selectorIllN6thrust23THRUST_200600_302600_NS4plusIlEEEEZZNS1_33reduce_by_key_impl_wrapped_configILNS1_25lookback_scan_determinismE0ES3_S9_PlNS6_17constant_iteratorIiNS6_11use_defaultESE_EENS6_10device_ptrIlEESH_PmS8_NS6_8equal_toIlEEEE10hipError_tPvRmT2_T3_mT4_T5_T6_T7_T8_P12ihipStream_tbENKUlT_T0_E_clISt17integral_constantIbLb1EES11_IbLb0EEEEDaSX_SY_EUlSX_E_NS1_11comp_targetILNS1_3genE2ELNS1_11target_archE906ELNS1_3gpuE6ELNS1_3repE0EEENS1_30default_config_static_selectorELNS0_4arch9wavefront6targetE1EEEvT1_,comdat
	.protected	_ZN7rocprim17ROCPRIM_400000_NS6detail17trampoline_kernelINS0_14default_configENS1_29reduce_by_key_config_selectorIllN6thrust23THRUST_200600_302600_NS4plusIlEEEEZZNS1_33reduce_by_key_impl_wrapped_configILNS1_25lookback_scan_determinismE0ES3_S9_PlNS6_17constant_iteratorIiNS6_11use_defaultESE_EENS6_10device_ptrIlEESH_PmS8_NS6_8equal_toIlEEEE10hipError_tPvRmT2_T3_mT4_T5_T6_T7_T8_P12ihipStream_tbENKUlT_T0_E_clISt17integral_constantIbLb1EES11_IbLb0EEEEDaSX_SY_EUlSX_E_NS1_11comp_targetILNS1_3genE2ELNS1_11target_archE906ELNS1_3gpuE6ELNS1_3repE0EEENS1_30default_config_static_selectorELNS0_4arch9wavefront6targetE1EEEvT1_ ; -- Begin function _ZN7rocprim17ROCPRIM_400000_NS6detail17trampoline_kernelINS0_14default_configENS1_29reduce_by_key_config_selectorIllN6thrust23THRUST_200600_302600_NS4plusIlEEEEZZNS1_33reduce_by_key_impl_wrapped_configILNS1_25lookback_scan_determinismE0ES3_S9_PlNS6_17constant_iteratorIiNS6_11use_defaultESE_EENS6_10device_ptrIlEESH_PmS8_NS6_8equal_toIlEEEE10hipError_tPvRmT2_T3_mT4_T5_T6_T7_T8_P12ihipStream_tbENKUlT_T0_E_clISt17integral_constantIbLb1EES11_IbLb0EEEEDaSX_SY_EUlSX_E_NS1_11comp_targetILNS1_3genE2ELNS1_11target_archE906ELNS1_3gpuE6ELNS1_3repE0EEENS1_30default_config_static_selectorELNS0_4arch9wavefront6targetE1EEEvT1_
	.globl	_ZN7rocprim17ROCPRIM_400000_NS6detail17trampoline_kernelINS0_14default_configENS1_29reduce_by_key_config_selectorIllN6thrust23THRUST_200600_302600_NS4plusIlEEEEZZNS1_33reduce_by_key_impl_wrapped_configILNS1_25lookback_scan_determinismE0ES3_S9_PlNS6_17constant_iteratorIiNS6_11use_defaultESE_EENS6_10device_ptrIlEESH_PmS8_NS6_8equal_toIlEEEE10hipError_tPvRmT2_T3_mT4_T5_T6_T7_T8_P12ihipStream_tbENKUlT_T0_E_clISt17integral_constantIbLb1EES11_IbLb0EEEEDaSX_SY_EUlSX_E_NS1_11comp_targetILNS1_3genE2ELNS1_11target_archE906ELNS1_3gpuE6ELNS1_3repE0EEENS1_30default_config_static_selectorELNS0_4arch9wavefront6targetE1EEEvT1_
	.p2align	8
	.type	_ZN7rocprim17ROCPRIM_400000_NS6detail17trampoline_kernelINS0_14default_configENS1_29reduce_by_key_config_selectorIllN6thrust23THRUST_200600_302600_NS4plusIlEEEEZZNS1_33reduce_by_key_impl_wrapped_configILNS1_25lookback_scan_determinismE0ES3_S9_PlNS6_17constant_iteratorIiNS6_11use_defaultESE_EENS6_10device_ptrIlEESH_PmS8_NS6_8equal_toIlEEEE10hipError_tPvRmT2_T3_mT4_T5_T6_T7_T8_P12ihipStream_tbENKUlT_T0_E_clISt17integral_constantIbLb1EES11_IbLb0EEEEDaSX_SY_EUlSX_E_NS1_11comp_targetILNS1_3genE2ELNS1_11target_archE906ELNS1_3gpuE6ELNS1_3repE0EEENS1_30default_config_static_selectorELNS0_4arch9wavefront6targetE1EEEvT1_,@function
_ZN7rocprim17ROCPRIM_400000_NS6detail17trampoline_kernelINS0_14default_configENS1_29reduce_by_key_config_selectorIllN6thrust23THRUST_200600_302600_NS4plusIlEEEEZZNS1_33reduce_by_key_impl_wrapped_configILNS1_25lookback_scan_determinismE0ES3_S9_PlNS6_17constant_iteratorIiNS6_11use_defaultESE_EENS6_10device_ptrIlEESH_PmS8_NS6_8equal_toIlEEEE10hipError_tPvRmT2_T3_mT4_T5_T6_T7_T8_P12ihipStream_tbENKUlT_T0_E_clISt17integral_constantIbLb1EES11_IbLb0EEEEDaSX_SY_EUlSX_E_NS1_11comp_targetILNS1_3genE2ELNS1_11target_archE906ELNS1_3gpuE6ELNS1_3repE0EEENS1_30default_config_static_selectorELNS0_4arch9wavefront6targetE1EEEvT1_: ; @_ZN7rocprim17ROCPRIM_400000_NS6detail17trampoline_kernelINS0_14default_configENS1_29reduce_by_key_config_selectorIllN6thrust23THRUST_200600_302600_NS4plusIlEEEEZZNS1_33reduce_by_key_impl_wrapped_configILNS1_25lookback_scan_determinismE0ES3_S9_PlNS6_17constant_iteratorIiNS6_11use_defaultESE_EENS6_10device_ptrIlEESH_PmS8_NS6_8equal_toIlEEEE10hipError_tPvRmT2_T3_mT4_T5_T6_T7_T8_P12ihipStream_tbENKUlT_T0_E_clISt17integral_constantIbLb1EES11_IbLb0EEEEDaSX_SY_EUlSX_E_NS1_11comp_targetILNS1_3genE2ELNS1_11target_archE906ELNS1_3gpuE6ELNS1_3repE0EEENS1_30default_config_static_selectorELNS0_4arch9wavefront6targetE1EEEvT1_
; %bb.0:
	s_endpgm
	.section	.rodata,"a",@progbits
	.p2align	6, 0x0
	.amdhsa_kernel _ZN7rocprim17ROCPRIM_400000_NS6detail17trampoline_kernelINS0_14default_configENS1_29reduce_by_key_config_selectorIllN6thrust23THRUST_200600_302600_NS4plusIlEEEEZZNS1_33reduce_by_key_impl_wrapped_configILNS1_25lookback_scan_determinismE0ES3_S9_PlNS6_17constant_iteratorIiNS6_11use_defaultESE_EENS6_10device_ptrIlEESH_PmS8_NS6_8equal_toIlEEEE10hipError_tPvRmT2_T3_mT4_T5_T6_T7_T8_P12ihipStream_tbENKUlT_T0_E_clISt17integral_constantIbLb1EES11_IbLb0EEEEDaSX_SY_EUlSX_E_NS1_11comp_targetILNS1_3genE2ELNS1_11target_archE906ELNS1_3gpuE6ELNS1_3repE0EEENS1_30default_config_static_selectorELNS0_4arch9wavefront6targetE1EEEvT1_
		.amdhsa_group_segment_fixed_size 0
		.amdhsa_private_segment_fixed_size 0
		.amdhsa_kernarg_size 144
		.amdhsa_user_sgpr_count 6
		.amdhsa_user_sgpr_private_segment_buffer 1
		.amdhsa_user_sgpr_dispatch_ptr 0
		.amdhsa_user_sgpr_queue_ptr 0
		.amdhsa_user_sgpr_kernarg_segment_ptr 1
		.amdhsa_user_sgpr_dispatch_id 0
		.amdhsa_user_sgpr_flat_scratch_init 0
		.amdhsa_user_sgpr_private_segment_size 0
		.amdhsa_uses_dynamic_stack 0
		.amdhsa_system_sgpr_private_segment_wavefront_offset 0
		.amdhsa_system_sgpr_workgroup_id_x 1
		.amdhsa_system_sgpr_workgroup_id_y 0
		.amdhsa_system_sgpr_workgroup_id_z 0
		.amdhsa_system_sgpr_workgroup_info 0
		.amdhsa_system_vgpr_workitem_id 0
		.amdhsa_next_free_vgpr 1
		.amdhsa_next_free_sgpr 0
		.amdhsa_reserve_vcc 0
		.amdhsa_reserve_flat_scratch 0
		.amdhsa_float_round_mode_32 0
		.amdhsa_float_round_mode_16_64 0
		.amdhsa_float_denorm_mode_32 3
		.amdhsa_float_denorm_mode_16_64 3
		.amdhsa_dx10_clamp 1
		.amdhsa_ieee_mode 1
		.amdhsa_fp16_overflow 0
		.amdhsa_exception_fp_ieee_invalid_op 0
		.amdhsa_exception_fp_denorm_src 0
		.amdhsa_exception_fp_ieee_div_zero 0
		.amdhsa_exception_fp_ieee_overflow 0
		.amdhsa_exception_fp_ieee_underflow 0
		.amdhsa_exception_fp_ieee_inexact 0
		.amdhsa_exception_int_div_zero 0
	.end_amdhsa_kernel
	.section	.text._ZN7rocprim17ROCPRIM_400000_NS6detail17trampoline_kernelINS0_14default_configENS1_29reduce_by_key_config_selectorIllN6thrust23THRUST_200600_302600_NS4plusIlEEEEZZNS1_33reduce_by_key_impl_wrapped_configILNS1_25lookback_scan_determinismE0ES3_S9_PlNS6_17constant_iteratorIiNS6_11use_defaultESE_EENS6_10device_ptrIlEESH_PmS8_NS6_8equal_toIlEEEE10hipError_tPvRmT2_T3_mT4_T5_T6_T7_T8_P12ihipStream_tbENKUlT_T0_E_clISt17integral_constantIbLb1EES11_IbLb0EEEEDaSX_SY_EUlSX_E_NS1_11comp_targetILNS1_3genE2ELNS1_11target_archE906ELNS1_3gpuE6ELNS1_3repE0EEENS1_30default_config_static_selectorELNS0_4arch9wavefront6targetE1EEEvT1_,"axG",@progbits,_ZN7rocprim17ROCPRIM_400000_NS6detail17trampoline_kernelINS0_14default_configENS1_29reduce_by_key_config_selectorIllN6thrust23THRUST_200600_302600_NS4plusIlEEEEZZNS1_33reduce_by_key_impl_wrapped_configILNS1_25lookback_scan_determinismE0ES3_S9_PlNS6_17constant_iteratorIiNS6_11use_defaultESE_EENS6_10device_ptrIlEESH_PmS8_NS6_8equal_toIlEEEE10hipError_tPvRmT2_T3_mT4_T5_T6_T7_T8_P12ihipStream_tbENKUlT_T0_E_clISt17integral_constantIbLb1EES11_IbLb0EEEEDaSX_SY_EUlSX_E_NS1_11comp_targetILNS1_3genE2ELNS1_11target_archE906ELNS1_3gpuE6ELNS1_3repE0EEENS1_30default_config_static_selectorELNS0_4arch9wavefront6targetE1EEEvT1_,comdat
.Lfunc_end1226:
	.size	_ZN7rocprim17ROCPRIM_400000_NS6detail17trampoline_kernelINS0_14default_configENS1_29reduce_by_key_config_selectorIllN6thrust23THRUST_200600_302600_NS4plusIlEEEEZZNS1_33reduce_by_key_impl_wrapped_configILNS1_25lookback_scan_determinismE0ES3_S9_PlNS6_17constant_iteratorIiNS6_11use_defaultESE_EENS6_10device_ptrIlEESH_PmS8_NS6_8equal_toIlEEEE10hipError_tPvRmT2_T3_mT4_T5_T6_T7_T8_P12ihipStream_tbENKUlT_T0_E_clISt17integral_constantIbLb1EES11_IbLb0EEEEDaSX_SY_EUlSX_E_NS1_11comp_targetILNS1_3genE2ELNS1_11target_archE906ELNS1_3gpuE6ELNS1_3repE0EEENS1_30default_config_static_selectorELNS0_4arch9wavefront6targetE1EEEvT1_, .Lfunc_end1226-_ZN7rocprim17ROCPRIM_400000_NS6detail17trampoline_kernelINS0_14default_configENS1_29reduce_by_key_config_selectorIllN6thrust23THRUST_200600_302600_NS4plusIlEEEEZZNS1_33reduce_by_key_impl_wrapped_configILNS1_25lookback_scan_determinismE0ES3_S9_PlNS6_17constant_iteratorIiNS6_11use_defaultESE_EENS6_10device_ptrIlEESH_PmS8_NS6_8equal_toIlEEEE10hipError_tPvRmT2_T3_mT4_T5_T6_T7_T8_P12ihipStream_tbENKUlT_T0_E_clISt17integral_constantIbLb1EES11_IbLb0EEEEDaSX_SY_EUlSX_E_NS1_11comp_targetILNS1_3genE2ELNS1_11target_archE906ELNS1_3gpuE6ELNS1_3repE0EEENS1_30default_config_static_selectorELNS0_4arch9wavefront6targetE1EEEvT1_
                                        ; -- End function
	.set _ZN7rocprim17ROCPRIM_400000_NS6detail17trampoline_kernelINS0_14default_configENS1_29reduce_by_key_config_selectorIllN6thrust23THRUST_200600_302600_NS4plusIlEEEEZZNS1_33reduce_by_key_impl_wrapped_configILNS1_25lookback_scan_determinismE0ES3_S9_PlNS6_17constant_iteratorIiNS6_11use_defaultESE_EENS6_10device_ptrIlEESH_PmS8_NS6_8equal_toIlEEEE10hipError_tPvRmT2_T3_mT4_T5_T6_T7_T8_P12ihipStream_tbENKUlT_T0_E_clISt17integral_constantIbLb1EES11_IbLb0EEEEDaSX_SY_EUlSX_E_NS1_11comp_targetILNS1_3genE2ELNS1_11target_archE906ELNS1_3gpuE6ELNS1_3repE0EEENS1_30default_config_static_selectorELNS0_4arch9wavefront6targetE1EEEvT1_.num_vgpr, 0
	.set _ZN7rocprim17ROCPRIM_400000_NS6detail17trampoline_kernelINS0_14default_configENS1_29reduce_by_key_config_selectorIllN6thrust23THRUST_200600_302600_NS4plusIlEEEEZZNS1_33reduce_by_key_impl_wrapped_configILNS1_25lookback_scan_determinismE0ES3_S9_PlNS6_17constant_iteratorIiNS6_11use_defaultESE_EENS6_10device_ptrIlEESH_PmS8_NS6_8equal_toIlEEEE10hipError_tPvRmT2_T3_mT4_T5_T6_T7_T8_P12ihipStream_tbENKUlT_T0_E_clISt17integral_constantIbLb1EES11_IbLb0EEEEDaSX_SY_EUlSX_E_NS1_11comp_targetILNS1_3genE2ELNS1_11target_archE906ELNS1_3gpuE6ELNS1_3repE0EEENS1_30default_config_static_selectorELNS0_4arch9wavefront6targetE1EEEvT1_.num_agpr, 0
	.set _ZN7rocprim17ROCPRIM_400000_NS6detail17trampoline_kernelINS0_14default_configENS1_29reduce_by_key_config_selectorIllN6thrust23THRUST_200600_302600_NS4plusIlEEEEZZNS1_33reduce_by_key_impl_wrapped_configILNS1_25lookback_scan_determinismE0ES3_S9_PlNS6_17constant_iteratorIiNS6_11use_defaultESE_EENS6_10device_ptrIlEESH_PmS8_NS6_8equal_toIlEEEE10hipError_tPvRmT2_T3_mT4_T5_T6_T7_T8_P12ihipStream_tbENKUlT_T0_E_clISt17integral_constantIbLb1EES11_IbLb0EEEEDaSX_SY_EUlSX_E_NS1_11comp_targetILNS1_3genE2ELNS1_11target_archE906ELNS1_3gpuE6ELNS1_3repE0EEENS1_30default_config_static_selectorELNS0_4arch9wavefront6targetE1EEEvT1_.numbered_sgpr, 0
	.set _ZN7rocprim17ROCPRIM_400000_NS6detail17trampoline_kernelINS0_14default_configENS1_29reduce_by_key_config_selectorIllN6thrust23THRUST_200600_302600_NS4plusIlEEEEZZNS1_33reduce_by_key_impl_wrapped_configILNS1_25lookback_scan_determinismE0ES3_S9_PlNS6_17constant_iteratorIiNS6_11use_defaultESE_EENS6_10device_ptrIlEESH_PmS8_NS6_8equal_toIlEEEE10hipError_tPvRmT2_T3_mT4_T5_T6_T7_T8_P12ihipStream_tbENKUlT_T0_E_clISt17integral_constantIbLb1EES11_IbLb0EEEEDaSX_SY_EUlSX_E_NS1_11comp_targetILNS1_3genE2ELNS1_11target_archE906ELNS1_3gpuE6ELNS1_3repE0EEENS1_30default_config_static_selectorELNS0_4arch9wavefront6targetE1EEEvT1_.num_named_barrier, 0
	.set _ZN7rocprim17ROCPRIM_400000_NS6detail17trampoline_kernelINS0_14default_configENS1_29reduce_by_key_config_selectorIllN6thrust23THRUST_200600_302600_NS4plusIlEEEEZZNS1_33reduce_by_key_impl_wrapped_configILNS1_25lookback_scan_determinismE0ES3_S9_PlNS6_17constant_iteratorIiNS6_11use_defaultESE_EENS6_10device_ptrIlEESH_PmS8_NS6_8equal_toIlEEEE10hipError_tPvRmT2_T3_mT4_T5_T6_T7_T8_P12ihipStream_tbENKUlT_T0_E_clISt17integral_constantIbLb1EES11_IbLb0EEEEDaSX_SY_EUlSX_E_NS1_11comp_targetILNS1_3genE2ELNS1_11target_archE906ELNS1_3gpuE6ELNS1_3repE0EEENS1_30default_config_static_selectorELNS0_4arch9wavefront6targetE1EEEvT1_.private_seg_size, 0
	.set _ZN7rocprim17ROCPRIM_400000_NS6detail17trampoline_kernelINS0_14default_configENS1_29reduce_by_key_config_selectorIllN6thrust23THRUST_200600_302600_NS4plusIlEEEEZZNS1_33reduce_by_key_impl_wrapped_configILNS1_25lookback_scan_determinismE0ES3_S9_PlNS6_17constant_iteratorIiNS6_11use_defaultESE_EENS6_10device_ptrIlEESH_PmS8_NS6_8equal_toIlEEEE10hipError_tPvRmT2_T3_mT4_T5_T6_T7_T8_P12ihipStream_tbENKUlT_T0_E_clISt17integral_constantIbLb1EES11_IbLb0EEEEDaSX_SY_EUlSX_E_NS1_11comp_targetILNS1_3genE2ELNS1_11target_archE906ELNS1_3gpuE6ELNS1_3repE0EEENS1_30default_config_static_selectorELNS0_4arch9wavefront6targetE1EEEvT1_.uses_vcc, 0
	.set _ZN7rocprim17ROCPRIM_400000_NS6detail17trampoline_kernelINS0_14default_configENS1_29reduce_by_key_config_selectorIllN6thrust23THRUST_200600_302600_NS4plusIlEEEEZZNS1_33reduce_by_key_impl_wrapped_configILNS1_25lookback_scan_determinismE0ES3_S9_PlNS6_17constant_iteratorIiNS6_11use_defaultESE_EENS6_10device_ptrIlEESH_PmS8_NS6_8equal_toIlEEEE10hipError_tPvRmT2_T3_mT4_T5_T6_T7_T8_P12ihipStream_tbENKUlT_T0_E_clISt17integral_constantIbLb1EES11_IbLb0EEEEDaSX_SY_EUlSX_E_NS1_11comp_targetILNS1_3genE2ELNS1_11target_archE906ELNS1_3gpuE6ELNS1_3repE0EEENS1_30default_config_static_selectorELNS0_4arch9wavefront6targetE1EEEvT1_.uses_flat_scratch, 0
	.set _ZN7rocprim17ROCPRIM_400000_NS6detail17trampoline_kernelINS0_14default_configENS1_29reduce_by_key_config_selectorIllN6thrust23THRUST_200600_302600_NS4plusIlEEEEZZNS1_33reduce_by_key_impl_wrapped_configILNS1_25lookback_scan_determinismE0ES3_S9_PlNS6_17constant_iteratorIiNS6_11use_defaultESE_EENS6_10device_ptrIlEESH_PmS8_NS6_8equal_toIlEEEE10hipError_tPvRmT2_T3_mT4_T5_T6_T7_T8_P12ihipStream_tbENKUlT_T0_E_clISt17integral_constantIbLb1EES11_IbLb0EEEEDaSX_SY_EUlSX_E_NS1_11comp_targetILNS1_3genE2ELNS1_11target_archE906ELNS1_3gpuE6ELNS1_3repE0EEENS1_30default_config_static_selectorELNS0_4arch9wavefront6targetE1EEEvT1_.has_dyn_sized_stack, 0
	.set _ZN7rocprim17ROCPRIM_400000_NS6detail17trampoline_kernelINS0_14default_configENS1_29reduce_by_key_config_selectorIllN6thrust23THRUST_200600_302600_NS4plusIlEEEEZZNS1_33reduce_by_key_impl_wrapped_configILNS1_25lookback_scan_determinismE0ES3_S9_PlNS6_17constant_iteratorIiNS6_11use_defaultESE_EENS6_10device_ptrIlEESH_PmS8_NS6_8equal_toIlEEEE10hipError_tPvRmT2_T3_mT4_T5_T6_T7_T8_P12ihipStream_tbENKUlT_T0_E_clISt17integral_constantIbLb1EES11_IbLb0EEEEDaSX_SY_EUlSX_E_NS1_11comp_targetILNS1_3genE2ELNS1_11target_archE906ELNS1_3gpuE6ELNS1_3repE0EEENS1_30default_config_static_selectorELNS0_4arch9wavefront6targetE1EEEvT1_.has_recursion, 0
	.set _ZN7rocprim17ROCPRIM_400000_NS6detail17trampoline_kernelINS0_14default_configENS1_29reduce_by_key_config_selectorIllN6thrust23THRUST_200600_302600_NS4plusIlEEEEZZNS1_33reduce_by_key_impl_wrapped_configILNS1_25lookback_scan_determinismE0ES3_S9_PlNS6_17constant_iteratorIiNS6_11use_defaultESE_EENS6_10device_ptrIlEESH_PmS8_NS6_8equal_toIlEEEE10hipError_tPvRmT2_T3_mT4_T5_T6_T7_T8_P12ihipStream_tbENKUlT_T0_E_clISt17integral_constantIbLb1EES11_IbLb0EEEEDaSX_SY_EUlSX_E_NS1_11comp_targetILNS1_3genE2ELNS1_11target_archE906ELNS1_3gpuE6ELNS1_3repE0EEENS1_30default_config_static_selectorELNS0_4arch9wavefront6targetE1EEEvT1_.has_indirect_call, 0
	.section	.AMDGPU.csdata,"",@progbits
; Kernel info:
; codeLenInByte = 4
; TotalNumSgprs: 4
; NumVgprs: 0
; ScratchSize: 0
; MemoryBound: 0
; FloatMode: 240
; IeeeMode: 1
; LDSByteSize: 0 bytes/workgroup (compile time only)
; SGPRBlocks: 0
; VGPRBlocks: 0
; NumSGPRsForWavesPerEU: 4
; NumVGPRsForWavesPerEU: 1
; Occupancy: 10
; WaveLimiterHint : 0
; COMPUTE_PGM_RSRC2:SCRATCH_EN: 0
; COMPUTE_PGM_RSRC2:USER_SGPR: 6
; COMPUTE_PGM_RSRC2:TRAP_HANDLER: 0
; COMPUTE_PGM_RSRC2:TGID_X_EN: 1
; COMPUTE_PGM_RSRC2:TGID_Y_EN: 0
; COMPUTE_PGM_RSRC2:TGID_Z_EN: 0
; COMPUTE_PGM_RSRC2:TIDIG_COMP_CNT: 0
	.section	.text._ZN7rocprim17ROCPRIM_400000_NS6detail17trampoline_kernelINS0_14default_configENS1_29reduce_by_key_config_selectorIllN6thrust23THRUST_200600_302600_NS4plusIlEEEEZZNS1_33reduce_by_key_impl_wrapped_configILNS1_25lookback_scan_determinismE0ES3_S9_PlNS6_17constant_iteratorIiNS6_11use_defaultESE_EENS6_10device_ptrIlEESH_PmS8_NS6_8equal_toIlEEEE10hipError_tPvRmT2_T3_mT4_T5_T6_T7_T8_P12ihipStream_tbENKUlT_T0_E_clISt17integral_constantIbLb1EES11_IbLb0EEEEDaSX_SY_EUlSX_E_NS1_11comp_targetILNS1_3genE10ELNS1_11target_archE1201ELNS1_3gpuE5ELNS1_3repE0EEENS1_30default_config_static_selectorELNS0_4arch9wavefront6targetE1EEEvT1_,"axG",@progbits,_ZN7rocprim17ROCPRIM_400000_NS6detail17trampoline_kernelINS0_14default_configENS1_29reduce_by_key_config_selectorIllN6thrust23THRUST_200600_302600_NS4plusIlEEEEZZNS1_33reduce_by_key_impl_wrapped_configILNS1_25lookback_scan_determinismE0ES3_S9_PlNS6_17constant_iteratorIiNS6_11use_defaultESE_EENS6_10device_ptrIlEESH_PmS8_NS6_8equal_toIlEEEE10hipError_tPvRmT2_T3_mT4_T5_T6_T7_T8_P12ihipStream_tbENKUlT_T0_E_clISt17integral_constantIbLb1EES11_IbLb0EEEEDaSX_SY_EUlSX_E_NS1_11comp_targetILNS1_3genE10ELNS1_11target_archE1201ELNS1_3gpuE5ELNS1_3repE0EEENS1_30default_config_static_selectorELNS0_4arch9wavefront6targetE1EEEvT1_,comdat
	.protected	_ZN7rocprim17ROCPRIM_400000_NS6detail17trampoline_kernelINS0_14default_configENS1_29reduce_by_key_config_selectorIllN6thrust23THRUST_200600_302600_NS4plusIlEEEEZZNS1_33reduce_by_key_impl_wrapped_configILNS1_25lookback_scan_determinismE0ES3_S9_PlNS6_17constant_iteratorIiNS6_11use_defaultESE_EENS6_10device_ptrIlEESH_PmS8_NS6_8equal_toIlEEEE10hipError_tPvRmT2_T3_mT4_T5_T6_T7_T8_P12ihipStream_tbENKUlT_T0_E_clISt17integral_constantIbLb1EES11_IbLb0EEEEDaSX_SY_EUlSX_E_NS1_11comp_targetILNS1_3genE10ELNS1_11target_archE1201ELNS1_3gpuE5ELNS1_3repE0EEENS1_30default_config_static_selectorELNS0_4arch9wavefront6targetE1EEEvT1_ ; -- Begin function _ZN7rocprim17ROCPRIM_400000_NS6detail17trampoline_kernelINS0_14default_configENS1_29reduce_by_key_config_selectorIllN6thrust23THRUST_200600_302600_NS4plusIlEEEEZZNS1_33reduce_by_key_impl_wrapped_configILNS1_25lookback_scan_determinismE0ES3_S9_PlNS6_17constant_iteratorIiNS6_11use_defaultESE_EENS6_10device_ptrIlEESH_PmS8_NS6_8equal_toIlEEEE10hipError_tPvRmT2_T3_mT4_T5_T6_T7_T8_P12ihipStream_tbENKUlT_T0_E_clISt17integral_constantIbLb1EES11_IbLb0EEEEDaSX_SY_EUlSX_E_NS1_11comp_targetILNS1_3genE10ELNS1_11target_archE1201ELNS1_3gpuE5ELNS1_3repE0EEENS1_30default_config_static_selectorELNS0_4arch9wavefront6targetE1EEEvT1_
	.globl	_ZN7rocprim17ROCPRIM_400000_NS6detail17trampoline_kernelINS0_14default_configENS1_29reduce_by_key_config_selectorIllN6thrust23THRUST_200600_302600_NS4plusIlEEEEZZNS1_33reduce_by_key_impl_wrapped_configILNS1_25lookback_scan_determinismE0ES3_S9_PlNS6_17constant_iteratorIiNS6_11use_defaultESE_EENS6_10device_ptrIlEESH_PmS8_NS6_8equal_toIlEEEE10hipError_tPvRmT2_T3_mT4_T5_T6_T7_T8_P12ihipStream_tbENKUlT_T0_E_clISt17integral_constantIbLb1EES11_IbLb0EEEEDaSX_SY_EUlSX_E_NS1_11comp_targetILNS1_3genE10ELNS1_11target_archE1201ELNS1_3gpuE5ELNS1_3repE0EEENS1_30default_config_static_selectorELNS0_4arch9wavefront6targetE1EEEvT1_
	.p2align	8
	.type	_ZN7rocprim17ROCPRIM_400000_NS6detail17trampoline_kernelINS0_14default_configENS1_29reduce_by_key_config_selectorIllN6thrust23THRUST_200600_302600_NS4plusIlEEEEZZNS1_33reduce_by_key_impl_wrapped_configILNS1_25lookback_scan_determinismE0ES3_S9_PlNS6_17constant_iteratorIiNS6_11use_defaultESE_EENS6_10device_ptrIlEESH_PmS8_NS6_8equal_toIlEEEE10hipError_tPvRmT2_T3_mT4_T5_T6_T7_T8_P12ihipStream_tbENKUlT_T0_E_clISt17integral_constantIbLb1EES11_IbLb0EEEEDaSX_SY_EUlSX_E_NS1_11comp_targetILNS1_3genE10ELNS1_11target_archE1201ELNS1_3gpuE5ELNS1_3repE0EEENS1_30default_config_static_selectorELNS0_4arch9wavefront6targetE1EEEvT1_,@function
_ZN7rocprim17ROCPRIM_400000_NS6detail17trampoline_kernelINS0_14default_configENS1_29reduce_by_key_config_selectorIllN6thrust23THRUST_200600_302600_NS4plusIlEEEEZZNS1_33reduce_by_key_impl_wrapped_configILNS1_25lookback_scan_determinismE0ES3_S9_PlNS6_17constant_iteratorIiNS6_11use_defaultESE_EENS6_10device_ptrIlEESH_PmS8_NS6_8equal_toIlEEEE10hipError_tPvRmT2_T3_mT4_T5_T6_T7_T8_P12ihipStream_tbENKUlT_T0_E_clISt17integral_constantIbLb1EES11_IbLb0EEEEDaSX_SY_EUlSX_E_NS1_11comp_targetILNS1_3genE10ELNS1_11target_archE1201ELNS1_3gpuE5ELNS1_3repE0EEENS1_30default_config_static_selectorELNS0_4arch9wavefront6targetE1EEEvT1_: ; @_ZN7rocprim17ROCPRIM_400000_NS6detail17trampoline_kernelINS0_14default_configENS1_29reduce_by_key_config_selectorIllN6thrust23THRUST_200600_302600_NS4plusIlEEEEZZNS1_33reduce_by_key_impl_wrapped_configILNS1_25lookback_scan_determinismE0ES3_S9_PlNS6_17constant_iteratorIiNS6_11use_defaultESE_EENS6_10device_ptrIlEESH_PmS8_NS6_8equal_toIlEEEE10hipError_tPvRmT2_T3_mT4_T5_T6_T7_T8_P12ihipStream_tbENKUlT_T0_E_clISt17integral_constantIbLb1EES11_IbLb0EEEEDaSX_SY_EUlSX_E_NS1_11comp_targetILNS1_3genE10ELNS1_11target_archE1201ELNS1_3gpuE5ELNS1_3repE0EEENS1_30default_config_static_selectorELNS0_4arch9wavefront6targetE1EEEvT1_
; %bb.0:
	.section	.rodata,"a",@progbits
	.p2align	6, 0x0
	.amdhsa_kernel _ZN7rocprim17ROCPRIM_400000_NS6detail17trampoline_kernelINS0_14default_configENS1_29reduce_by_key_config_selectorIllN6thrust23THRUST_200600_302600_NS4plusIlEEEEZZNS1_33reduce_by_key_impl_wrapped_configILNS1_25lookback_scan_determinismE0ES3_S9_PlNS6_17constant_iteratorIiNS6_11use_defaultESE_EENS6_10device_ptrIlEESH_PmS8_NS6_8equal_toIlEEEE10hipError_tPvRmT2_T3_mT4_T5_T6_T7_T8_P12ihipStream_tbENKUlT_T0_E_clISt17integral_constantIbLb1EES11_IbLb0EEEEDaSX_SY_EUlSX_E_NS1_11comp_targetILNS1_3genE10ELNS1_11target_archE1201ELNS1_3gpuE5ELNS1_3repE0EEENS1_30default_config_static_selectorELNS0_4arch9wavefront6targetE1EEEvT1_
		.amdhsa_group_segment_fixed_size 0
		.amdhsa_private_segment_fixed_size 0
		.amdhsa_kernarg_size 144
		.amdhsa_user_sgpr_count 6
		.amdhsa_user_sgpr_private_segment_buffer 1
		.amdhsa_user_sgpr_dispatch_ptr 0
		.amdhsa_user_sgpr_queue_ptr 0
		.amdhsa_user_sgpr_kernarg_segment_ptr 1
		.amdhsa_user_sgpr_dispatch_id 0
		.amdhsa_user_sgpr_flat_scratch_init 0
		.amdhsa_user_sgpr_private_segment_size 0
		.amdhsa_uses_dynamic_stack 0
		.amdhsa_system_sgpr_private_segment_wavefront_offset 0
		.amdhsa_system_sgpr_workgroup_id_x 1
		.amdhsa_system_sgpr_workgroup_id_y 0
		.amdhsa_system_sgpr_workgroup_id_z 0
		.amdhsa_system_sgpr_workgroup_info 0
		.amdhsa_system_vgpr_workitem_id 0
		.amdhsa_next_free_vgpr 1
		.amdhsa_next_free_sgpr 0
		.amdhsa_reserve_vcc 0
		.amdhsa_reserve_flat_scratch 0
		.amdhsa_float_round_mode_32 0
		.amdhsa_float_round_mode_16_64 0
		.amdhsa_float_denorm_mode_32 3
		.amdhsa_float_denorm_mode_16_64 3
		.amdhsa_dx10_clamp 1
		.amdhsa_ieee_mode 1
		.amdhsa_fp16_overflow 0
		.amdhsa_exception_fp_ieee_invalid_op 0
		.amdhsa_exception_fp_denorm_src 0
		.amdhsa_exception_fp_ieee_div_zero 0
		.amdhsa_exception_fp_ieee_overflow 0
		.amdhsa_exception_fp_ieee_underflow 0
		.amdhsa_exception_fp_ieee_inexact 0
		.amdhsa_exception_int_div_zero 0
	.end_amdhsa_kernel
	.section	.text._ZN7rocprim17ROCPRIM_400000_NS6detail17trampoline_kernelINS0_14default_configENS1_29reduce_by_key_config_selectorIllN6thrust23THRUST_200600_302600_NS4plusIlEEEEZZNS1_33reduce_by_key_impl_wrapped_configILNS1_25lookback_scan_determinismE0ES3_S9_PlNS6_17constant_iteratorIiNS6_11use_defaultESE_EENS6_10device_ptrIlEESH_PmS8_NS6_8equal_toIlEEEE10hipError_tPvRmT2_T3_mT4_T5_T6_T7_T8_P12ihipStream_tbENKUlT_T0_E_clISt17integral_constantIbLb1EES11_IbLb0EEEEDaSX_SY_EUlSX_E_NS1_11comp_targetILNS1_3genE10ELNS1_11target_archE1201ELNS1_3gpuE5ELNS1_3repE0EEENS1_30default_config_static_selectorELNS0_4arch9wavefront6targetE1EEEvT1_,"axG",@progbits,_ZN7rocprim17ROCPRIM_400000_NS6detail17trampoline_kernelINS0_14default_configENS1_29reduce_by_key_config_selectorIllN6thrust23THRUST_200600_302600_NS4plusIlEEEEZZNS1_33reduce_by_key_impl_wrapped_configILNS1_25lookback_scan_determinismE0ES3_S9_PlNS6_17constant_iteratorIiNS6_11use_defaultESE_EENS6_10device_ptrIlEESH_PmS8_NS6_8equal_toIlEEEE10hipError_tPvRmT2_T3_mT4_T5_T6_T7_T8_P12ihipStream_tbENKUlT_T0_E_clISt17integral_constantIbLb1EES11_IbLb0EEEEDaSX_SY_EUlSX_E_NS1_11comp_targetILNS1_3genE10ELNS1_11target_archE1201ELNS1_3gpuE5ELNS1_3repE0EEENS1_30default_config_static_selectorELNS0_4arch9wavefront6targetE1EEEvT1_,comdat
.Lfunc_end1227:
	.size	_ZN7rocprim17ROCPRIM_400000_NS6detail17trampoline_kernelINS0_14default_configENS1_29reduce_by_key_config_selectorIllN6thrust23THRUST_200600_302600_NS4plusIlEEEEZZNS1_33reduce_by_key_impl_wrapped_configILNS1_25lookback_scan_determinismE0ES3_S9_PlNS6_17constant_iteratorIiNS6_11use_defaultESE_EENS6_10device_ptrIlEESH_PmS8_NS6_8equal_toIlEEEE10hipError_tPvRmT2_T3_mT4_T5_T6_T7_T8_P12ihipStream_tbENKUlT_T0_E_clISt17integral_constantIbLb1EES11_IbLb0EEEEDaSX_SY_EUlSX_E_NS1_11comp_targetILNS1_3genE10ELNS1_11target_archE1201ELNS1_3gpuE5ELNS1_3repE0EEENS1_30default_config_static_selectorELNS0_4arch9wavefront6targetE1EEEvT1_, .Lfunc_end1227-_ZN7rocprim17ROCPRIM_400000_NS6detail17trampoline_kernelINS0_14default_configENS1_29reduce_by_key_config_selectorIllN6thrust23THRUST_200600_302600_NS4plusIlEEEEZZNS1_33reduce_by_key_impl_wrapped_configILNS1_25lookback_scan_determinismE0ES3_S9_PlNS6_17constant_iteratorIiNS6_11use_defaultESE_EENS6_10device_ptrIlEESH_PmS8_NS6_8equal_toIlEEEE10hipError_tPvRmT2_T3_mT4_T5_T6_T7_T8_P12ihipStream_tbENKUlT_T0_E_clISt17integral_constantIbLb1EES11_IbLb0EEEEDaSX_SY_EUlSX_E_NS1_11comp_targetILNS1_3genE10ELNS1_11target_archE1201ELNS1_3gpuE5ELNS1_3repE0EEENS1_30default_config_static_selectorELNS0_4arch9wavefront6targetE1EEEvT1_
                                        ; -- End function
	.set _ZN7rocprim17ROCPRIM_400000_NS6detail17trampoline_kernelINS0_14default_configENS1_29reduce_by_key_config_selectorIllN6thrust23THRUST_200600_302600_NS4plusIlEEEEZZNS1_33reduce_by_key_impl_wrapped_configILNS1_25lookback_scan_determinismE0ES3_S9_PlNS6_17constant_iteratorIiNS6_11use_defaultESE_EENS6_10device_ptrIlEESH_PmS8_NS6_8equal_toIlEEEE10hipError_tPvRmT2_T3_mT4_T5_T6_T7_T8_P12ihipStream_tbENKUlT_T0_E_clISt17integral_constantIbLb1EES11_IbLb0EEEEDaSX_SY_EUlSX_E_NS1_11comp_targetILNS1_3genE10ELNS1_11target_archE1201ELNS1_3gpuE5ELNS1_3repE0EEENS1_30default_config_static_selectorELNS0_4arch9wavefront6targetE1EEEvT1_.num_vgpr, 0
	.set _ZN7rocprim17ROCPRIM_400000_NS6detail17trampoline_kernelINS0_14default_configENS1_29reduce_by_key_config_selectorIllN6thrust23THRUST_200600_302600_NS4plusIlEEEEZZNS1_33reduce_by_key_impl_wrapped_configILNS1_25lookback_scan_determinismE0ES3_S9_PlNS6_17constant_iteratorIiNS6_11use_defaultESE_EENS6_10device_ptrIlEESH_PmS8_NS6_8equal_toIlEEEE10hipError_tPvRmT2_T3_mT4_T5_T6_T7_T8_P12ihipStream_tbENKUlT_T0_E_clISt17integral_constantIbLb1EES11_IbLb0EEEEDaSX_SY_EUlSX_E_NS1_11comp_targetILNS1_3genE10ELNS1_11target_archE1201ELNS1_3gpuE5ELNS1_3repE0EEENS1_30default_config_static_selectorELNS0_4arch9wavefront6targetE1EEEvT1_.num_agpr, 0
	.set _ZN7rocprim17ROCPRIM_400000_NS6detail17trampoline_kernelINS0_14default_configENS1_29reduce_by_key_config_selectorIllN6thrust23THRUST_200600_302600_NS4plusIlEEEEZZNS1_33reduce_by_key_impl_wrapped_configILNS1_25lookback_scan_determinismE0ES3_S9_PlNS6_17constant_iteratorIiNS6_11use_defaultESE_EENS6_10device_ptrIlEESH_PmS8_NS6_8equal_toIlEEEE10hipError_tPvRmT2_T3_mT4_T5_T6_T7_T8_P12ihipStream_tbENKUlT_T0_E_clISt17integral_constantIbLb1EES11_IbLb0EEEEDaSX_SY_EUlSX_E_NS1_11comp_targetILNS1_3genE10ELNS1_11target_archE1201ELNS1_3gpuE5ELNS1_3repE0EEENS1_30default_config_static_selectorELNS0_4arch9wavefront6targetE1EEEvT1_.numbered_sgpr, 0
	.set _ZN7rocprim17ROCPRIM_400000_NS6detail17trampoline_kernelINS0_14default_configENS1_29reduce_by_key_config_selectorIllN6thrust23THRUST_200600_302600_NS4plusIlEEEEZZNS1_33reduce_by_key_impl_wrapped_configILNS1_25lookback_scan_determinismE0ES3_S9_PlNS6_17constant_iteratorIiNS6_11use_defaultESE_EENS6_10device_ptrIlEESH_PmS8_NS6_8equal_toIlEEEE10hipError_tPvRmT2_T3_mT4_T5_T6_T7_T8_P12ihipStream_tbENKUlT_T0_E_clISt17integral_constantIbLb1EES11_IbLb0EEEEDaSX_SY_EUlSX_E_NS1_11comp_targetILNS1_3genE10ELNS1_11target_archE1201ELNS1_3gpuE5ELNS1_3repE0EEENS1_30default_config_static_selectorELNS0_4arch9wavefront6targetE1EEEvT1_.num_named_barrier, 0
	.set _ZN7rocprim17ROCPRIM_400000_NS6detail17trampoline_kernelINS0_14default_configENS1_29reduce_by_key_config_selectorIllN6thrust23THRUST_200600_302600_NS4plusIlEEEEZZNS1_33reduce_by_key_impl_wrapped_configILNS1_25lookback_scan_determinismE0ES3_S9_PlNS6_17constant_iteratorIiNS6_11use_defaultESE_EENS6_10device_ptrIlEESH_PmS8_NS6_8equal_toIlEEEE10hipError_tPvRmT2_T3_mT4_T5_T6_T7_T8_P12ihipStream_tbENKUlT_T0_E_clISt17integral_constantIbLb1EES11_IbLb0EEEEDaSX_SY_EUlSX_E_NS1_11comp_targetILNS1_3genE10ELNS1_11target_archE1201ELNS1_3gpuE5ELNS1_3repE0EEENS1_30default_config_static_selectorELNS0_4arch9wavefront6targetE1EEEvT1_.private_seg_size, 0
	.set _ZN7rocprim17ROCPRIM_400000_NS6detail17trampoline_kernelINS0_14default_configENS1_29reduce_by_key_config_selectorIllN6thrust23THRUST_200600_302600_NS4plusIlEEEEZZNS1_33reduce_by_key_impl_wrapped_configILNS1_25lookback_scan_determinismE0ES3_S9_PlNS6_17constant_iteratorIiNS6_11use_defaultESE_EENS6_10device_ptrIlEESH_PmS8_NS6_8equal_toIlEEEE10hipError_tPvRmT2_T3_mT4_T5_T6_T7_T8_P12ihipStream_tbENKUlT_T0_E_clISt17integral_constantIbLb1EES11_IbLb0EEEEDaSX_SY_EUlSX_E_NS1_11comp_targetILNS1_3genE10ELNS1_11target_archE1201ELNS1_3gpuE5ELNS1_3repE0EEENS1_30default_config_static_selectorELNS0_4arch9wavefront6targetE1EEEvT1_.uses_vcc, 0
	.set _ZN7rocprim17ROCPRIM_400000_NS6detail17trampoline_kernelINS0_14default_configENS1_29reduce_by_key_config_selectorIllN6thrust23THRUST_200600_302600_NS4plusIlEEEEZZNS1_33reduce_by_key_impl_wrapped_configILNS1_25lookback_scan_determinismE0ES3_S9_PlNS6_17constant_iteratorIiNS6_11use_defaultESE_EENS6_10device_ptrIlEESH_PmS8_NS6_8equal_toIlEEEE10hipError_tPvRmT2_T3_mT4_T5_T6_T7_T8_P12ihipStream_tbENKUlT_T0_E_clISt17integral_constantIbLb1EES11_IbLb0EEEEDaSX_SY_EUlSX_E_NS1_11comp_targetILNS1_3genE10ELNS1_11target_archE1201ELNS1_3gpuE5ELNS1_3repE0EEENS1_30default_config_static_selectorELNS0_4arch9wavefront6targetE1EEEvT1_.uses_flat_scratch, 0
	.set _ZN7rocprim17ROCPRIM_400000_NS6detail17trampoline_kernelINS0_14default_configENS1_29reduce_by_key_config_selectorIllN6thrust23THRUST_200600_302600_NS4plusIlEEEEZZNS1_33reduce_by_key_impl_wrapped_configILNS1_25lookback_scan_determinismE0ES3_S9_PlNS6_17constant_iteratorIiNS6_11use_defaultESE_EENS6_10device_ptrIlEESH_PmS8_NS6_8equal_toIlEEEE10hipError_tPvRmT2_T3_mT4_T5_T6_T7_T8_P12ihipStream_tbENKUlT_T0_E_clISt17integral_constantIbLb1EES11_IbLb0EEEEDaSX_SY_EUlSX_E_NS1_11comp_targetILNS1_3genE10ELNS1_11target_archE1201ELNS1_3gpuE5ELNS1_3repE0EEENS1_30default_config_static_selectorELNS0_4arch9wavefront6targetE1EEEvT1_.has_dyn_sized_stack, 0
	.set _ZN7rocprim17ROCPRIM_400000_NS6detail17trampoline_kernelINS0_14default_configENS1_29reduce_by_key_config_selectorIllN6thrust23THRUST_200600_302600_NS4plusIlEEEEZZNS1_33reduce_by_key_impl_wrapped_configILNS1_25lookback_scan_determinismE0ES3_S9_PlNS6_17constant_iteratorIiNS6_11use_defaultESE_EENS6_10device_ptrIlEESH_PmS8_NS6_8equal_toIlEEEE10hipError_tPvRmT2_T3_mT4_T5_T6_T7_T8_P12ihipStream_tbENKUlT_T0_E_clISt17integral_constantIbLb1EES11_IbLb0EEEEDaSX_SY_EUlSX_E_NS1_11comp_targetILNS1_3genE10ELNS1_11target_archE1201ELNS1_3gpuE5ELNS1_3repE0EEENS1_30default_config_static_selectorELNS0_4arch9wavefront6targetE1EEEvT1_.has_recursion, 0
	.set _ZN7rocprim17ROCPRIM_400000_NS6detail17trampoline_kernelINS0_14default_configENS1_29reduce_by_key_config_selectorIllN6thrust23THRUST_200600_302600_NS4plusIlEEEEZZNS1_33reduce_by_key_impl_wrapped_configILNS1_25lookback_scan_determinismE0ES3_S9_PlNS6_17constant_iteratorIiNS6_11use_defaultESE_EENS6_10device_ptrIlEESH_PmS8_NS6_8equal_toIlEEEE10hipError_tPvRmT2_T3_mT4_T5_T6_T7_T8_P12ihipStream_tbENKUlT_T0_E_clISt17integral_constantIbLb1EES11_IbLb0EEEEDaSX_SY_EUlSX_E_NS1_11comp_targetILNS1_3genE10ELNS1_11target_archE1201ELNS1_3gpuE5ELNS1_3repE0EEENS1_30default_config_static_selectorELNS0_4arch9wavefront6targetE1EEEvT1_.has_indirect_call, 0
	.section	.AMDGPU.csdata,"",@progbits
; Kernel info:
; codeLenInByte = 0
; TotalNumSgprs: 4
; NumVgprs: 0
; ScratchSize: 0
; MemoryBound: 0
; FloatMode: 240
; IeeeMode: 1
; LDSByteSize: 0 bytes/workgroup (compile time only)
; SGPRBlocks: 0
; VGPRBlocks: 0
; NumSGPRsForWavesPerEU: 4
; NumVGPRsForWavesPerEU: 1
; Occupancy: 10
; WaveLimiterHint : 0
; COMPUTE_PGM_RSRC2:SCRATCH_EN: 0
; COMPUTE_PGM_RSRC2:USER_SGPR: 6
; COMPUTE_PGM_RSRC2:TRAP_HANDLER: 0
; COMPUTE_PGM_RSRC2:TGID_X_EN: 1
; COMPUTE_PGM_RSRC2:TGID_Y_EN: 0
; COMPUTE_PGM_RSRC2:TGID_Z_EN: 0
; COMPUTE_PGM_RSRC2:TIDIG_COMP_CNT: 0
	.section	.text._ZN7rocprim17ROCPRIM_400000_NS6detail17trampoline_kernelINS0_14default_configENS1_29reduce_by_key_config_selectorIllN6thrust23THRUST_200600_302600_NS4plusIlEEEEZZNS1_33reduce_by_key_impl_wrapped_configILNS1_25lookback_scan_determinismE0ES3_S9_PlNS6_17constant_iteratorIiNS6_11use_defaultESE_EENS6_10device_ptrIlEESH_PmS8_NS6_8equal_toIlEEEE10hipError_tPvRmT2_T3_mT4_T5_T6_T7_T8_P12ihipStream_tbENKUlT_T0_E_clISt17integral_constantIbLb1EES11_IbLb0EEEEDaSX_SY_EUlSX_E_NS1_11comp_targetILNS1_3genE10ELNS1_11target_archE1200ELNS1_3gpuE4ELNS1_3repE0EEENS1_30default_config_static_selectorELNS0_4arch9wavefront6targetE1EEEvT1_,"axG",@progbits,_ZN7rocprim17ROCPRIM_400000_NS6detail17trampoline_kernelINS0_14default_configENS1_29reduce_by_key_config_selectorIllN6thrust23THRUST_200600_302600_NS4plusIlEEEEZZNS1_33reduce_by_key_impl_wrapped_configILNS1_25lookback_scan_determinismE0ES3_S9_PlNS6_17constant_iteratorIiNS6_11use_defaultESE_EENS6_10device_ptrIlEESH_PmS8_NS6_8equal_toIlEEEE10hipError_tPvRmT2_T3_mT4_T5_T6_T7_T8_P12ihipStream_tbENKUlT_T0_E_clISt17integral_constantIbLb1EES11_IbLb0EEEEDaSX_SY_EUlSX_E_NS1_11comp_targetILNS1_3genE10ELNS1_11target_archE1200ELNS1_3gpuE4ELNS1_3repE0EEENS1_30default_config_static_selectorELNS0_4arch9wavefront6targetE1EEEvT1_,comdat
	.protected	_ZN7rocprim17ROCPRIM_400000_NS6detail17trampoline_kernelINS0_14default_configENS1_29reduce_by_key_config_selectorIllN6thrust23THRUST_200600_302600_NS4plusIlEEEEZZNS1_33reduce_by_key_impl_wrapped_configILNS1_25lookback_scan_determinismE0ES3_S9_PlNS6_17constant_iteratorIiNS6_11use_defaultESE_EENS6_10device_ptrIlEESH_PmS8_NS6_8equal_toIlEEEE10hipError_tPvRmT2_T3_mT4_T5_T6_T7_T8_P12ihipStream_tbENKUlT_T0_E_clISt17integral_constantIbLb1EES11_IbLb0EEEEDaSX_SY_EUlSX_E_NS1_11comp_targetILNS1_3genE10ELNS1_11target_archE1200ELNS1_3gpuE4ELNS1_3repE0EEENS1_30default_config_static_selectorELNS0_4arch9wavefront6targetE1EEEvT1_ ; -- Begin function _ZN7rocprim17ROCPRIM_400000_NS6detail17trampoline_kernelINS0_14default_configENS1_29reduce_by_key_config_selectorIllN6thrust23THRUST_200600_302600_NS4plusIlEEEEZZNS1_33reduce_by_key_impl_wrapped_configILNS1_25lookback_scan_determinismE0ES3_S9_PlNS6_17constant_iteratorIiNS6_11use_defaultESE_EENS6_10device_ptrIlEESH_PmS8_NS6_8equal_toIlEEEE10hipError_tPvRmT2_T3_mT4_T5_T6_T7_T8_P12ihipStream_tbENKUlT_T0_E_clISt17integral_constantIbLb1EES11_IbLb0EEEEDaSX_SY_EUlSX_E_NS1_11comp_targetILNS1_3genE10ELNS1_11target_archE1200ELNS1_3gpuE4ELNS1_3repE0EEENS1_30default_config_static_selectorELNS0_4arch9wavefront6targetE1EEEvT1_
	.globl	_ZN7rocprim17ROCPRIM_400000_NS6detail17trampoline_kernelINS0_14default_configENS1_29reduce_by_key_config_selectorIllN6thrust23THRUST_200600_302600_NS4plusIlEEEEZZNS1_33reduce_by_key_impl_wrapped_configILNS1_25lookback_scan_determinismE0ES3_S9_PlNS6_17constant_iteratorIiNS6_11use_defaultESE_EENS6_10device_ptrIlEESH_PmS8_NS6_8equal_toIlEEEE10hipError_tPvRmT2_T3_mT4_T5_T6_T7_T8_P12ihipStream_tbENKUlT_T0_E_clISt17integral_constantIbLb1EES11_IbLb0EEEEDaSX_SY_EUlSX_E_NS1_11comp_targetILNS1_3genE10ELNS1_11target_archE1200ELNS1_3gpuE4ELNS1_3repE0EEENS1_30default_config_static_selectorELNS0_4arch9wavefront6targetE1EEEvT1_
	.p2align	8
	.type	_ZN7rocprim17ROCPRIM_400000_NS6detail17trampoline_kernelINS0_14default_configENS1_29reduce_by_key_config_selectorIllN6thrust23THRUST_200600_302600_NS4plusIlEEEEZZNS1_33reduce_by_key_impl_wrapped_configILNS1_25lookback_scan_determinismE0ES3_S9_PlNS6_17constant_iteratorIiNS6_11use_defaultESE_EENS6_10device_ptrIlEESH_PmS8_NS6_8equal_toIlEEEE10hipError_tPvRmT2_T3_mT4_T5_T6_T7_T8_P12ihipStream_tbENKUlT_T0_E_clISt17integral_constantIbLb1EES11_IbLb0EEEEDaSX_SY_EUlSX_E_NS1_11comp_targetILNS1_3genE10ELNS1_11target_archE1200ELNS1_3gpuE4ELNS1_3repE0EEENS1_30default_config_static_selectorELNS0_4arch9wavefront6targetE1EEEvT1_,@function
_ZN7rocprim17ROCPRIM_400000_NS6detail17trampoline_kernelINS0_14default_configENS1_29reduce_by_key_config_selectorIllN6thrust23THRUST_200600_302600_NS4plusIlEEEEZZNS1_33reduce_by_key_impl_wrapped_configILNS1_25lookback_scan_determinismE0ES3_S9_PlNS6_17constant_iteratorIiNS6_11use_defaultESE_EENS6_10device_ptrIlEESH_PmS8_NS6_8equal_toIlEEEE10hipError_tPvRmT2_T3_mT4_T5_T6_T7_T8_P12ihipStream_tbENKUlT_T0_E_clISt17integral_constantIbLb1EES11_IbLb0EEEEDaSX_SY_EUlSX_E_NS1_11comp_targetILNS1_3genE10ELNS1_11target_archE1200ELNS1_3gpuE4ELNS1_3repE0EEENS1_30default_config_static_selectorELNS0_4arch9wavefront6targetE1EEEvT1_: ; @_ZN7rocprim17ROCPRIM_400000_NS6detail17trampoline_kernelINS0_14default_configENS1_29reduce_by_key_config_selectorIllN6thrust23THRUST_200600_302600_NS4plusIlEEEEZZNS1_33reduce_by_key_impl_wrapped_configILNS1_25lookback_scan_determinismE0ES3_S9_PlNS6_17constant_iteratorIiNS6_11use_defaultESE_EENS6_10device_ptrIlEESH_PmS8_NS6_8equal_toIlEEEE10hipError_tPvRmT2_T3_mT4_T5_T6_T7_T8_P12ihipStream_tbENKUlT_T0_E_clISt17integral_constantIbLb1EES11_IbLb0EEEEDaSX_SY_EUlSX_E_NS1_11comp_targetILNS1_3genE10ELNS1_11target_archE1200ELNS1_3gpuE4ELNS1_3repE0EEENS1_30default_config_static_selectorELNS0_4arch9wavefront6targetE1EEEvT1_
; %bb.0:
	.section	.rodata,"a",@progbits
	.p2align	6, 0x0
	.amdhsa_kernel _ZN7rocprim17ROCPRIM_400000_NS6detail17trampoline_kernelINS0_14default_configENS1_29reduce_by_key_config_selectorIllN6thrust23THRUST_200600_302600_NS4plusIlEEEEZZNS1_33reduce_by_key_impl_wrapped_configILNS1_25lookback_scan_determinismE0ES3_S9_PlNS6_17constant_iteratorIiNS6_11use_defaultESE_EENS6_10device_ptrIlEESH_PmS8_NS6_8equal_toIlEEEE10hipError_tPvRmT2_T3_mT4_T5_T6_T7_T8_P12ihipStream_tbENKUlT_T0_E_clISt17integral_constantIbLb1EES11_IbLb0EEEEDaSX_SY_EUlSX_E_NS1_11comp_targetILNS1_3genE10ELNS1_11target_archE1200ELNS1_3gpuE4ELNS1_3repE0EEENS1_30default_config_static_selectorELNS0_4arch9wavefront6targetE1EEEvT1_
		.amdhsa_group_segment_fixed_size 0
		.amdhsa_private_segment_fixed_size 0
		.amdhsa_kernarg_size 144
		.amdhsa_user_sgpr_count 6
		.amdhsa_user_sgpr_private_segment_buffer 1
		.amdhsa_user_sgpr_dispatch_ptr 0
		.amdhsa_user_sgpr_queue_ptr 0
		.amdhsa_user_sgpr_kernarg_segment_ptr 1
		.amdhsa_user_sgpr_dispatch_id 0
		.amdhsa_user_sgpr_flat_scratch_init 0
		.amdhsa_user_sgpr_private_segment_size 0
		.amdhsa_uses_dynamic_stack 0
		.amdhsa_system_sgpr_private_segment_wavefront_offset 0
		.amdhsa_system_sgpr_workgroup_id_x 1
		.amdhsa_system_sgpr_workgroup_id_y 0
		.amdhsa_system_sgpr_workgroup_id_z 0
		.amdhsa_system_sgpr_workgroup_info 0
		.amdhsa_system_vgpr_workitem_id 0
		.amdhsa_next_free_vgpr 1
		.amdhsa_next_free_sgpr 0
		.amdhsa_reserve_vcc 0
		.amdhsa_reserve_flat_scratch 0
		.amdhsa_float_round_mode_32 0
		.amdhsa_float_round_mode_16_64 0
		.amdhsa_float_denorm_mode_32 3
		.amdhsa_float_denorm_mode_16_64 3
		.amdhsa_dx10_clamp 1
		.amdhsa_ieee_mode 1
		.amdhsa_fp16_overflow 0
		.amdhsa_exception_fp_ieee_invalid_op 0
		.amdhsa_exception_fp_denorm_src 0
		.amdhsa_exception_fp_ieee_div_zero 0
		.amdhsa_exception_fp_ieee_overflow 0
		.amdhsa_exception_fp_ieee_underflow 0
		.amdhsa_exception_fp_ieee_inexact 0
		.amdhsa_exception_int_div_zero 0
	.end_amdhsa_kernel
	.section	.text._ZN7rocprim17ROCPRIM_400000_NS6detail17trampoline_kernelINS0_14default_configENS1_29reduce_by_key_config_selectorIllN6thrust23THRUST_200600_302600_NS4plusIlEEEEZZNS1_33reduce_by_key_impl_wrapped_configILNS1_25lookback_scan_determinismE0ES3_S9_PlNS6_17constant_iteratorIiNS6_11use_defaultESE_EENS6_10device_ptrIlEESH_PmS8_NS6_8equal_toIlEEEE10hipError_tPvRmT2_T3_mT4_T5_T6_T7_T8_P12ihipStream_tbENKUlT_T0_E_clISt17integral_constantIbLb1EES11_IbLb0EEEEDaSX_SY_EUlSX_E_NS1_11comp_targetILNS1_3genE10ELNS1_11target_archE1200ELNS1_3gpuE4ELNS1_3repE0EEENS1_30default_config_static_selectorELNS0_4arch9wavefront6targetE1EEEvT1_,"axG",@progbits,_ZN7rocprim17ROCPRIM_400000_NS6detail17trampoline_kernelINS0_14default_configENS1_29reduce_by_key_config_selectorIllN6thrust23THRUST_200600_302600_NS4plusIlEEEEZZNS1_33reduce_by_key_impl_wrapped_configILNS1_25lookback_scan_determinismE0ES3_S9_PlNS6_17constant_iteratorIiNS6_11use_defaultESE_EENS6_10device_ptrIlEESH_PmS8_NS6_8equal_toIlEEEE10hipError_tPvRmT2_T3_mT4_T5_T6_T7_T8_P12ihipStream_tbENKUlT_T0_E_clISt17integral_constantIbLb1EES11_IbLb0EEEEDaSX_SY_EUlSX_E_NS1_11comp_targetILNS1_3genE10ELNS1_11target_archE1200ELNS1_3gpuE4ELNS1_3repE0EEENS1_30default_config_static_selectorELNS0_4arch9wavefront6targetE1EEEvT1_,comdat
.Lfunc_end1228:
	.size	_ZN7rocprim17ROCPRIM_400000_NS6detail17trampoline_kernelINS0_14default_configENS1_29reduce_by_key_config_selectorIllN6thrust23THRUST_200600_302600_NS4plusIlEEEEZZNS1_33reduce_by_key_impl_wrapped_configILNS1_25lookback_scan_determinismE0ES3_S9_PlNS6_17constant_iteratorIiNS6_11use_defaultESE_EENS6_10device_ptrIlEESH_PmS8_NS6_8equal_toIlEEEE10hipError_tPvRmT2_T3_mT4_T5_T6_T7_T8_P12ihipStream_tbENKUlT_T0_E_clISt17integral_constantIbLb1EES11_IbLb0EEEEDaSX_SY_EUlSX_E_NS1_11comp_targetILNS1_3genE10ELNS1_11target_archE1200ELNS1_3gpuE4ELNS1_3repE0EEENS1_30default_config_static_selectorELNS0_4arch9wavefront6targetE1EEEvT1_, .Lfunc_end1228-_ZN7rocprim17ROCPRIM_400000_NS6detail17trampoline_kernelINS0_14default_configENS1_29reduce_by_key_config_selectorIllN6thrust23THRUST_200600_302600_NS4plusIlEEEEZZNS1_33reduce_by_key_impl_wrapped_configILNS1_25lookback_scan_determinismE0ES3_S9_PlNS6_17constant_iteratorIiNS6_11use_defaultESE_EENS6_10device_ptrIlEESH_PmS8_NS6_8equal_toIlEEEE10hipError_tPvRmT2_T3_mT4_T5_T6_T7_T8_P12ihipStream_tbENKUlT_T0_E_clISt17integral_constantIbLb1EES11_IbLb0EEEEDaSX_SY_EUlSX_E_NS1_11comp_targetILNS1_3genE10ELNS1_11target_archE1200ELNS1_3gpuE4ELNS1_3repE0EEENS1_30default_config_static_selectorELNS0_4arch9wavefront6targetE1EEEvT1_
                                        ; -- End function
	.set _ZN7rocprim17ROCPRIM_400000_NS6detail17trampoline_kernelINS0_14default_configENS1_29reduce_by_key_config_selectorIllN6thrust23THRUST_200600_302600_NS4plusIlEEEEZZNS1_33reduce_by_key_impl_wrapped_configILNS1_25lookback_scan_determinismE0ES3_S9_PlNS6_17constant_iteratorIiNS6_11use_defaultESE_EENS6_10device_ptrIlEESH_PmS8_NS6_8equal_toIlEEEE10hipError_tPvRmT2_T3_mT4_T5_T6_T7_T8_P12ihipStream_tbENKUlT_T0_E_clISt17integral_constantIbLb1EES11_IbLb0EEEEDaSX_SY_EUlSX_E_NS1_11comp_targetILNS1_3genE10ELNS1_11target_archE1200ELNS1_3gpuE4ELNS1_3repE0EEENS1_30default_config_static_selectorELNS0_4arch9wavefront6targetE1EEEvT1_.num_vgpr, 0
	.set _ZN7rocprim17ROCPRIM_400000_NS6detail17trampoline_kernelINS0_14default_configENS1_29reduce_by_key_config_selectorIllN6thrust23THRUST_200600_302600_NS4plusIlEEEEZZNS1_33reduce_by_key_impl_wrapped_configILNS1_25lookback_scan_determinismE0ES3_S9_PlNS6_17constant_iteratorIiNS6_11use_defaultESE_EENS6_10device_ptrIlEESH_PmS8_NS6_8equal_toIlEEEE10hipError_tPvRmT2_T3_mT4_T5_T6_T7_T8_P12ihipStream_tbENKUlT_T0_E_clISt17integral_constantIbLb1EES11_IbLb0EEEEDaSX_SY_EUlSX_E_NS1_11comp_targetILNS1_3genE10ELNS1_11target_archE1200ELNS1_3gpuE4ELNS1_3repE0EEENS1_30default_config_static_selectorELNS0_4arch9wavefront6targetE1EEEvT1_.num_agpr, 0
	.set _ZN7rocprim17ROCPRIM_400000_NS6detail17trampoline_kernelINS0_14default_configENS1_29reduce_by_key_config_selectorIllN6thrust23THRUST_200600_302600_NS4plusIlEEEEZZNS1_33reduce_by_key_impl_wrapped_configILNS1_25lookback_scan_determinismE0ES3_S9_PlNS6_17constant_iteratorIiNS6_11use_defaultESE_EENS6_10device_ptrIlEESH_PmS8_NS6_8equal_toIlEEEE10hipError_tPvRmT2_T3_mT4_T5_T6_T7_T8_P12ihipStream_tbENKUlT_T0_E_clISt17integral_constantIbLb1EES11_IbLb0EEEEDaSX_SY_EUlSX_E_NS1_11comp_targetILNS1_3genE10ELNS1_11target_archE1200ELNS1_3gpuE4ELNS1_3repE0EEENS1_30default_config_static_selectorELNS0_4arch9wavefront6targetE1EEEvT1_.numbered_sgpr, 0
	.set _ZN7rocprim17ROCPRIM_400000_NS6detail17trampoline_kernelINS0_14default_configENS1_29reduce_by_key_config_selectorIllN6thrust23THRUST_200600_302600_NS4plusIlEEEEZZNS1_33reduce_by_key_impl_wrapped_configILNS1_25lookback_scan_determinismE0ES3_S9_PlNS6_17constant_iteratorIiNS6_11use_defaultESE_EENS6_10device_ptrIlEESH_PmS8_NS6_8equal_toIlEEEE10hipError_tPvRmT2_T3_mT4_T5_T6_T7_T8_P12ihipStream_tbENKUlT_T0_E_clISt17integral_constantIbLb1EES11_IbLb0EEEEDaSX_SY_EUlSX_E_NS1_11comp_targetILNS1_3genE10ELNS1_11target_archE1200ELNS1_3gpuE4ELNS1_3repE0EEENS1_30default_config_static_selectorELNS0_4arch9wavefront6targetE1EEEvT1_.num_named_barrier, 0
	.set _ZN7rocprim17ROCPRIM_400000_NS6detail17trampoline_kernelINS0_14default_configENS1_29reduce_by_key_config_selectorIllN6thrust23THRUST_200600_302600_NS4plusIlEEEEZZNS1_33reduce_by_key_impl_wrapped_configILNS1_25lookback_scan_determinismE0ES3_S9_PlNS6_17constant_iteratorIiNS6_11use_defaultESE_EENS6_10device_ptrIlEESH_PmS8_NS6_8equal_toIlEEEE10hipError_tPvRmT2_T3_mT4_T5_T6_T7_T8_P12ihipStream_tbENKUlT_T0_E_clISt17integral_constantIbLb1EES11_IbLb0EEEEDaSX_SY_EUlSX_E_NS1_11comp_targetILNS1_3genE10ELNS1_11target_archE1200ELNS1_3gpuE4ELNS1_3repE0EEENS1_30default_config_static_selectorELNS0_4arch9wavefront6targetE1EEEvT1_.private_seg_size, 0
	.set _ZN7rocprim17ROCPRIM_400000_NS6detail17trampoline_kernelINS0_14default_configENS1_29reduce_by_key_config_selectorIllN6thrust23THRUST_200600_302600_NS4plusIlEEEEZZNS1_33reduce_by_key_impl_wrapped_configILNS1_25lookback_scan_determinismE0ES3_S9_PlNS6_17constant_iteratorIiNS6_11use_defaultESE_EENS6_10device_ptrIlEESH_PmS8_NS6_8equal_toIlEEEE10hipError_tPvRmT2_T3_mT4_T5_T6_T7_T8_P12ihipStream_tbENKUlT_T0_E_clISt17integral_constantIbLb1EES11_IbLb0EEEEDaSX_SY_EUlSX_E_NS1_11comp_targetILNS1_3genE10ELNS1_11target_archE1200ELNS1_3gpuE4ELNS1_3repE0EEENS1_30default_config_static_selectorELNS0_4arch9wavefront6targetE1EEEvT1_.uses_vcc, 0
	.set _ZN7rocprim17ROCPRIM_400000_NS6detail17trampoline_kernelINS0_14default_configENS1_29reduce_by_key_config_selectorIllN6thrust23THRUST_200600_302600_NS4plusIlEEEEZZNS1_33reduce_by_key_impl_wrapped_configILNS1_25lookback_scan_determinismE0ES3_S9_PlNS6_17constant_iteratorIiNS6_11use_defaultESE_EENS6_10device_ptrIlEESH_PmS8_NS6_8equal_toIlEEEE10hipError_tPvRmT2_T3_mT4_T5_T6_T7_T8_P12ihipStream_tbENKUlT_T0_E_clISt17integral_constantIbLb1EES11_IbLb0EEEEDaSX_SY_EUlSX_E_NS1_11comp_targetILNS1_3genE10ELNS1_11target_archE1200ELNS1_3gpuE4ELNS1_3repE0EEENS1_30default_config_static_selectorELNS0_4arch9wavefront6targetE1EEEvT1_.uses_flat_scratch, 0
	.set _ZN7rocprim17ROCPRIM_400000_NS6detail17trampoline_kernelINS0_14default_configENS1_29reduce_by_key_config_selectorIllN6thrust23THRUST_200600_302600_NS4plusIlEEEEZZNS1_33reduce_by_key_impl_wrapped_configILNS1_25lookback_scan_determinismE0ES3_S9_PlNS6_17constant_iteratorIiNS6_11use_defaultESE_EENS6_10device_ptrIlEESH_PmS8_NS6_8equal_toIlEEEE10hipError_tPvRmT2_T3_mT4_T5_T6_T7_T8_P12ihipStream_tbENKUlT_T0_E_clISt17integral_constantIbLb1EES11_IbLb0EEEEDaSX_SY_EUlSX_E_NS1_11comp_targetILNS1_3genE10ELNS1_11target_archE1200ELNS1_3gpuE4ELNS1_3repE0EEENS1_30default_config_static_selectorELNS0_4arch9wavefront6targetE1EEEvT1_.has_dyn_sized_stack, 0
	.set _ZN7rocprim17ROCPRIM_400000_NS6detail17trampoline_kernelINS0_14default_configENS1_29reduce_by_key_config_selectorIllN6thrust23THRUST_200600_302600_NS4plusIlEEEEZZNS1_33reduce_by_key_impl_wrapped_configILNS1_25lookback_scan_determinismE0ES3_S9_PlNS6_17constant_iteratorIiNS6_11use_defaultESE_EENS6_10device_ptrIlEESH_PmS8_NS6_8equal_toIlEEEE10hipError_tPvRmT2_T3_mT4_T5_T6_T7_T8_P12ihipStream_tbENKUlT_T0_E_clISt17integral_constantIbLb1EES11_IbLb0EEEEDaSX_SY_EUlSX_E_NS1_11comp_targetILNS1_3genE10ELNS1_11target_archE1200ELNS1_3gpuE4ELNS1_3repE0EEENS1_30default_config_static_selectorELNS0_4arch9wavefront6targetE1EEEvT1_.has_recursion, 0
	.set _ZN7rocprim17ROCPRIM_400000_NS6detail17trampoline_kernelINS0_14default_configENS1_29reduce_by_key_config_selectorIllN6thrust23THRUST_200600_302600_NS4plusIlEEEEZZNS1_33reduce_by_key_impl_wrapped_configILNS1_25lookback_scan_determinismE0ES3_S9_PlNS6_17constant_iteratorIiNS6_11use_defaultESE_EENS6_10device_ptrIlEESH_PmS8_NS6_8equal_toIlEEEE10hipError_tPvRmT2_T3_mT4_T5_T6_T7_T8_P12ihipStream_tbENKUlT_T0_E_clISt17integral_constantIbLb1EES11_IbLb0EEEEDaSX_SY_EUlSX_E_NS1_11comp_targetILNS1_3genE10ELNS1_11target_archE1200ELNS1_3gpuE4ELNS1_3repE0EEENS1_30default_config_static_selectorELNS0_4arch9wavefront6targetE1EEEvT1_.has_indirect_call, 0
	.section	.AMDGPU.csdata,"",@progbits
; Kernel info:
; codeLenInByte = 0
; TotalNumSgprs: 4
; NumVgprs: 0
; ScratchSize: 0
; MemoryBound: 0
; FloatMode: 240
; IeeeMode: 1
; LDSByteSize: 0 bytes/workgroup (compile time only)
; SGPRBlocks: 0
; VGPRBlocks: 0
; NumSGPRsForWavesPerEU: 4
; NumVGPRsForWavesPerEU: 1
; Occupancy: 10
; WaveLimiterHint : 0
; COMPUTE_PGM_RSRC2:SCRATCH_EN: 0
; COMPUTE_PGM_RSRC2:USER_SGPR: 6
; COMPUTE_PGM_RSRC2:TRAP_HANDLER: 0
; COMPUTE_PGM_RSRC2:TGID_X_EN: 1
; COMPUTE_PGM_RSRC2:TGID_Y_EN: 0
; COMPUTE_PGM_RSRC2:TGID_Z_EN: 0
; COMPUTE_PGM_RSRC2:TIDIG_COMP_CNT: 0
	.section	.text._ZN7rocprim17ROCPRIM_400000_NS6detail17trampoline_kernelINS0_14default_configENS1_29reduce_by_key_config_selectorIllN6thrust23THRUST_200600_302600_NS4plusIlEEEEZZNS1_33reduce_by_key_impl_wrapped_configILNS1_25lookback_scan_determinismE0ES3_S9_PlNS6_17constant_iteratorIiNS6_11use_defaultESE_EENS6_10device_ptrIlEESH_PmS8_NS6_8equal_toIlEEEE10hipError_tPvRmT2_T3_mT4_T5_T6_T7_T8_P12ihipStream_tbENKUlT_T0_E_clISt17integral_constantIbLb1EES11_IbLb0EEEEDaSX_SY_EUlSX_E_NS1_11comp_targetILNS1_3genE9ELNS1_11target_archE1100ELNS1_3gpuE3ELNS1_3repE0EEENS1_30default_config_static_selectorELNS0_4arch9wavefront6targetE1EEEvT1_,"axG",@progbits,_ZN7rocprim17ROCPRIM_400000_NS6detail17trampoline_kernelINS0_14default_configENS1_29reduce_by_key_config_selectorIllN6thrust23THRUST_200600_302600_NS4plusIlEEEEZZNS1_33reduce_by_key_impl_wrapped_configILNS1_25lookback_scan_determinismE0ES3_S9_PlNS6_17constant_iteratorIiNS6_11use_defaultESE_EENS6_10device_ptrIlEESH_PmS8_NS6_8equal_toIlEEEE10hipError_tPvRmT2_T3_mT4_T5_T6_T7_T8_P12ihipStream_tbENKUlT_T0_E_clISt17integral_constantIbLb1EES11_IbLb0EEEEDaSX_SY_EUlSX_E_NS1_11comp_targetILNS1_3genE9ELNS1_11target_archE1100ELNS1_3gpuE3ELNS1_3repE0EEENS1_30default_config_static_selectorELNS0_4arch9wavefront6targetE1EEEvT1_,comdat
	.protected	_ZN7rocprim17ROCPRIM_400000_NS6detail17trampoline_kernelINS0_14default_configENS1_29reduce_by_key_config_selectorIllN6thrust23THRUST_200600_302600_NS4plusIlEEEEZZNS1_33reduce_by_key_impl_wrapped_configILNS1_25lookback_scan_determinismE0ES3_S9_PlNS6_17constant_iteratorIiNS6_11use_defaultESE_EENS6_10device_ptrIlEESH_PmS8_NS6_8equal_toIlEEEE10hipError_tPvRmT2_T3_mT4_T5_T6_T7_T8_P12ihipStream_tbENKUlT_T0_E_clISt17integral_constantIbLb1EES11_IbLb0EEEEDaSX_SY_EUlSX_E_NS1_11comp_targetILNS1_3genE9ELNS1_11target_archE1100ELNS1_3gpuE3ELNS1_3repE0EEENS1_30default_config_static_selectorELNS0_4arch9wavefront6targetE1EEEvT1_ ; -- Begin function _ZN7rocprim17ROCPRIM_400000_NS6detail17trampoline_kernelINS0_14default_configENS1_29reduce_by_key_config_selectorIllN6thrust23THRUST_200600_302600_NS4plusIlEEEEZZNS1_33reduce_by_key_impl_wrapped_configILNS1_25lookback_scan_determinismE0ES3_S9_PlNS6_17constant_iteratorIiNS6_11use_defaultESE_EENS6_10device_ptrIlEESH_PmS8_NS6_8equal_toIlEEEE10hipError_tPvRmT2_T3_mT4_T5_T6_T7_T8_P12ihipStream_tbENKUlT_T0_E_clISt17integral_constantIbLb1EES11_IbLb0EEEEDaSX_SY_EUlSX_E_NS1_11comp_targetILNS1_3genE9ELNS1_11target_archE1100ELNS1_3gpuE3ELNS1_3repE0EEENS1_30default_config_static_selectorELNS0_4arch9wavefront6targetE1EEEvT1_
	.globl	_ZN7rocprim17ROCPRIM_400000_NS6detail17trampoline_kernelINS0_14default_configENS1_29reduce_by_key_config_selectorIllN6thrust23THRUST_200600_302600_NS4plusIlEEEEZZNS1_33reduce_by_key_impl_wrapped_configILNS1_25lookback_scan_determinismE0ES3_S9_PlNS6_17constant_iteratorIiNS6_11use_defaultESE_EENS6_10device_ptrIlEESH_PmS8_NS6_8equal_toIlEEEE10hipError_tPvRmT2_T3_mT4_T5_T6_T7_T8_P12ihipStream_tbENKUlT_T0_E_clISt17integral_constantIbLb1EES11_IbLb0EEEEDaSX_SY_EUlSX_E_NS1_11comp_targetILNS1_3genE9ELNS1_11target_archE1100ELNS1_3gpuE3ELNS1_3repE0EEENS1_30default_config_static_selectorELNS0_4arch9wavefront6targetE1EEEvT1_
	.p2align	8
	.type	_ZN7rocprim17ROCPRIM_400000_NS6detail17trampoline_kernelINS0_14default_configENS1_29reduce_by_key_config_selectorIllN6thrust23THRUST_200600_302600_NS4plusIlEEEEZZNS1_33reduce_by_key_impl_wrapped_configILNS1_25lookback_scan_determinismE0ES3_S9_PlNS6_17constant_iteratorIiNS6_11use_defaultESE_EENS6_10device_ptrIlEESH_PmS8_NS6_8equal_toIlEEEE10hipError_tPvRmT2_T3_mT4_T5_T6_T7_T8_P12ihipStream_tbENKUlT_T0_E_clISt17integral_constantIbLb1EES11_IbLb0EEEEDaSX_SY_EUlSX_E_NS1_11comp_targetILNS1_3genE9ELNS1_11target_archE1100ELNS1_3gpuE3ELNS1_3repE0EEENS1_30default_config_static_selectorELNS0_4arch9wavefront6targetE1EEEvT1_,@function
_ZN7rocprim17ROCPRIM_400000_NS6detail17trampoline_kernelINS0_14default_configENS1_29reduce_by_key_config_selectorIllN6thrust23THRUST_200600_302600_NS4plusIlEEEEZZNS1_33reduce_by_key_impl_wrapped_configILNS1_25lookback_scan_determinismE0ES3_S9_PlNS6_17constant_iteratorIiNS6_11use_defaultESE_EENS6_10device_ptrIlEESH_PmS8_NS6_8equal_toIlEEEE10hipError_tPvRmT2_T3_mT4_T5_T6_T7_T8_P12ihipStream_tbENKUlT_T0_E_clISt17integral_constantIbLb1EES11_IbLb0EEEEDaSX_SY_EUlSX_E_NS1_11comp_targetILNS1_3genE9ELNS1_11target_archE1100ELNS1_3gpuE3ELNS1_3repE0EEENS1_30default_config_static_selectorELNS0_4arch9wavefront6targetE1EEEvT1_: ; @_ZN7rocprim17ROCPRIM_400000_NS6detail17trampoline_kernelINS0_14default_configENS1_29reduce_by_key_config_selectorIllN6thrust23THRUST_200600_302600_NS4plusIlEEEEZZNS1_33reduce_by_key_impl_wrapped_configILNS1_25lookback_scan_determinismE0ES3_S9_PlNS6_17constant_iteratorIiNS6_11use_defaultESE_EENS6_10device_ptrIlEESH_PmS8_NS6_8equal_toIlEEEE10hipError_tPvRmT2_T3_mT4_T5_T6_T7_T8_P12ihipStream_tbENKUlT_T0_E_clISt17integral_constantIbLb1EES11_IbLb0EEEEDaSX_SY_EUlSX_E_NS1_11comp_targetILNS1_3genE9ELNS1_11target_archE1100ELNS1_3gpuE3ELNS1_3repE0EEENS1_30default_config_static_selectorELNS0_4arch9wavefront6targetE1EEEvT1_
; %bb.0:
	.section	.rodata,"a",@progbits
	.p2align	6, 0x0
	.amdhsa_kernel _ZN7rocprim17ROCPRIM_400000_NS6detail17trampoline_kernelINS0_14default_configENS1_29reduce_by_key_config_selectorIllN6thrust23THRUST_200600_302600_NS4plusIlEEEEZZNS1_33reduce_by_key_impl_wrapped_configILNS1_25lookback_scan_determinismE0ES3_S9_PlNS6_17constant_iteratorIiNS6_11use_defaultESE_EENS6_10device_ptrIlEESH_PmS8_NS6_8equal_toIlEEEE10hipError_tPvRmT2_T3_mT4_T5_T6_T7_T8_P12ihipStream_tbENKUlT_T0_E_clISt17integral_constantIbLb1EES11_IbLb0EEEEDaSX_SY_EUlSX_E_NS1_11comp_targetILNS1_3genE9ELNS1_11target_archE1100ELNS1_3gpuE3ELNS1_3repE0EEENS1_30default_config_static_selectorELNS0_4arch9wavefront6targetE1EEEvT1_
		.amdhsa_group_segment_fixed_size 0
		.amdhsa_private_segment_fixed_size 0
		.amdhsa_kernarg_size 144
		.amdhsa_user_sgpr_count 6
		.amdhsa_user_sgpr_private_segment_buffer 1
		.amdhsa_user_sgpr_dispatch_ptr 0
		.amdhsa_user_sgpr_queue_ptr 0
		.amdhsa_user_sgpr_kernarg_segment_ptr 1
		.amdhsa_user_sgpr_dispatch_id 0
		.amdhsa_user_sgpr_flat_scratch_init 0
		.amdhsa_user_sgpr_private_segment_size 0
		.amdhsa_uses_dynamic_stack 0
		.amdhsa_system_sgpr_private_segment_wavefront_offset 0
		.amdhsa_system_sgpr_workgroup_id_x 1
		.amdhsa_system_sgpr_workgroup_id_y 0
		.amdhsa_system_sgpr_workgroup_id_z 0
		.amdhsa_system_sgpr_workgroup_info 0
		.amdhsa_system_vgpr_workitem_id 0
		.amdhsa_next_free_vgpr 1
		.amdhsa_next_free_sgpr 0
		.amdhsa_reserve_vcc 0
		.amdhsa_reserve_flat_scratch 0
		.amdhsa_float_round_mode_32 0
		.amdhsa_float_round_mode_16_64 0
		.amdhsa_float_denorm_mode_32 3
		.amdhsa_float_denorm_mode_16_64 3
		.amdhsa_dx10_clamp 1
		.amdhsa_ieee_mode 1
		.amdhsa_fp16_overflow 0
		.amdhsa_exception_fp_ieee_invalid_op 0
		.amdhsa_exception_fp_denorm_src 0
		.amdhsa_exception_fp_ieee_div_zero 0
		.amdhsa_exception_fp_ieee_overflow 0
		.amdhsa_exception_fp_ieee_underflow 0
		.amdhsa_exception_fp_ieee_inexact 0
		.amdhsa_exception_int_div_zero 0
	.end_amdhsa_kernel
	.section	.text._ZN7rocprim17ROCPRIM_400000_NS6detail17trampoline_kernelINS0_14default_configENS1_29reduce_by_key_config_selectorIllN6thrust23THRUST_200600_302600_NS4plusIlEEEEZZNS1_33reduce_by_key_impl_wrapped_configILNS1_25lookback_scan_determinismE0ES3_S9_PlNS6_17constant_iteratorIiNS6_11use_defaultESE_EENS6_10device_ptrIlEESH_PmS8_NS6_8equal_toIlEEEE10hipError_tPvRmT2_T3_mT4_T5_T6_T7_T8_P12ihipStream_tbENKUlT_T0_E_clISt17integral_constantIbLb1EES11_IbLb0EEEEDaSX_SY_EUlSX_E_NS1_11comp_targetILNS1_3genE9ELNS1_11target_archE1100ELNS1_3gpuE3ELNS1_3repE0EEENS1_30default_config_static_selectorELNS0_4arch9wavefront6targetE1EEEvT1_,"axG",@progbits,_ZN7rocprim17ROCPRIM_400000_NS6detail17trampoline_kernelINS0_14default_configENS1_29reduce_by_key_config_selectorIllN6thrust23THRUST_200600_302600_NS4plusIlEEEEZZNS1_33reduce_by_key_impl_wrapped_configILNS1_25lookback_scan_determinismE0ES3_S9_PlNS6_17constant_iteratorIiNS6_11use_defaultESE_EENS6_10device_ptrIlEESH_PmS8_NS6_8equal_toIlEEEE10hipError_tPvRmT2_T3_mT4_T5_T6_T7_T8_P12ihipStream_tbENKUlT_T0_E_clISt17integral_constantIbLb1EES11_IbLb0EEEEDaSX_SY_EUlSX_E_NS1_11comp_targetILNS1_3genE9ELNS1_11target_archE1100ELNS1_3gpuE3ELNS1_3repE0EEENS1_30default_config_static_selectorELNS0_4arch9wavefront6targetE1EEEvT1_,comdat
.Lfunc_end1229:
	.size	_ZN7rocprim17ROCPRIM_400000_NS6detail17trampoline_kernelINS0_14default_configENS1_29reduce_by_key_config_selectorIllN6thrust23THRUST_200600_302600_NS4plusIlEEEEZZNS1_33reduce_by_key_impl_wrapped_configILNS1_25lookback_scan_determinismE0ES3_S9_PlNS6_17constant_iteratorIiNS6_11use_defaultESE_EENS6_10device_ptrIlEESH_PmS8_NS6_8equal_toIlEEEE10hipError_tPvRmT2_T3_mT4_T5_T6_T7_T8_P12ihipStream_tbENKUlT_T0_E_clISt17integral_constantIbLb1EES11_IbLb0EEEEDaSX_SY_EUlSX_E_NS1_11comp_targetILNS1_3genE9ELNS1_11target_archE1100ELNS1_3gpuE3ELNS1_3repE0EEENS1_30default_config_static_selectorELNS0_4arch9wavefront6targetE1EEEvT1_, .Lfunc_end1229-_ZN7rocprim17ROCPRIM_400000_NS6detail17trampoline_kernelINS0_14default_configENS1_29reduce_by_key_config_selectorIllN6thrust23THRUST_200600_302600_NS4plusIlEEEEZZNS1_33reduce_by_key_impl_wrapped_configILNS1_25lookback_scan_determinismE0ES3_S9_PlNS6_17constant_iteratorIiNS6_11use_defaultESE_EENS6_10device_ptrIlEESH_PmS8_NS6_8equal_toIlEEEE10hipError_tPvRmT2_T3_mT4_T5_T6_T7_T8_P12ihipStream_tbENKUlT_T0_E_clISt17integral_constantIbLb1EES11_IbLb0EEEEDaSX_SY_EUlSX_E_NS1_11comp_targetILNS1_3genE9ELNS1_11target_archE1100ELNS1_3gpuE3ELNS1_3repE0EEENS1_30default_config_static_selectorELNS0_4arch9wavefront6targetE1EEEvT1_
                                        ; -- End function
	.set _ZN7rocprim17ROCPRIM_400000_NS6detail17trampoline_kernelINS0_14default_configENS1_29reduce_by_key_config_selectorIllN6thrust23THRUST_200600_302600_NS4plusIlEEEEZZNS1_33reduce_by_key_impl_wrapped_configILNS1_25lookback_scan_determinismE0ES3_S9_PlNS6_17constant_iteratorIiNS6_11use_defaultESE_EENS6_10device_ptrIlEESH_PmS8_NS6_8equal_toIlEEEE10hipError_tPvRmT2_T3_mT4_T5_T6_T7_T8_P12ihipStream_tbENKUlT_T0_E_clISt17integral_constantIbLb1EES11_IbLb0EEEEDaSX_SY_EUlSX_E_NS1_11comp_targetILNS1_3genE9ELNS1_11target_archE1100ELNS1_3gpuE3ELNS1_3repE0EEENS1_30default_config_static_selectorELNS0_4arch9wavefront6targetE1EEEvT1_.num_vgpr, 0
	.set _ZN7rocprim17ROCPRIM_400000_NS6detail17trampoline_kernelINS0_14default_configENS1_29reduce_by_key_config_selectorIllN6thrust23THRUST_200600_302600_NS4plusIlEEEEZZNS1_33reduce_by_key_impl_wrapped_configILNS1_25lookback_scan_determinismE0ES3_S9_PlNS6_17constant_iteratorIiNS6_11use_defaultESE_EENS6_10device_ptrIlEESH_PmS8_NS6_8equal_toIlEEEE10hipError_tPvRmT2_T3_mT4_T5_T6_T7_T8_P12ihipStream_tbENKUlT_T0_E_clISt17integral_constantIbLb1EES11_IbLb0EEEEDaSX_SY_EUlSX_E_NS1_11comp_targetILNS1_3genE9ELNS1_11target_archE1100ELNS1_3gpuE3ELNS1_3repE0EEENS1_30default_config_static_selectorELNS0_4arch9wavefront6targetE1EEEvT1_.num_agpr, 0
	.set _ZN7rocprim17ROCPRIM_400000_NS6detail17trampoline_kernelINS0_14default_configENS1_29reduce_by_key_config_selectorIllN6thrust23THRUST_200600_302600_NS4plusIlEEEEZZNS1_33reduce_by_key_impl_wrapped_configILNS1_25lookback_scan_determinismE0ES3_S9_PlNS6_17constant_iteratorIiNS6_11use_defaultESE_EENS6_10device_ptrIlEESH_PmS8_NS6_8equal_toIlEEEE10hipError_tPvRmT2_T3_mT4_T5_T6_T7_T8_P12ihipStream_tbENKUlT_T0_E_clISt17integral_constantIbLb1EES11_IbLb0EEEEDaSX_SY_EUlSX_E_NS1_11comp_targetILNS1_3genE9ELNS1_11target_archE1100ELNS1_3gpuE3ELNS1_3repE0EEENS1_30default_config_static_selectorELNS0_4arch9wavefront6targetE1EEEvT1_.numbered_sgpr, 0
	.set _ZN7rocprim17ROCPRIM_400000_NS6detail17trampoline_kernelINS0_14default_configENS1_29reduce_by_key_config_selectorIllN6thrust23THRUST_200600_302600_NS4plusIlEEEEZZNS1_33reduce_by_key_impl_wrapped_configILNS1_25lookback_scan_determinismE0ES3_S9_PlNS6_17constant_iteratorIiNS6_11use_defaultESE_EENS6_10device_ptrIlEESH_PmS8_NS6_8equal_toIlEEEE10hipError_tPvRmT2_T3_mT4_T5_T6_T7_T8_P12ihipStream_tbENKUlT_T0_E_clISt17integral_constantIbLb1EES11_IbLb0EEEEDaSX_SY_EUlSX_E_NS1_11comp_targetILNS1_3genE9ELNS1_11target_archE1100ELNS1_3gpuE3ELNS1_3repE0EEENS1_30default_config_static_selectorELNS0_4arch9wavefront6targetE1EEEvT1_.num_named_barrier, 0
	.set _ZN7rocprim17ROCPRIM_400000_NS6detail17trampoline_kernelINS0_14default_configENS1_29reduce_by_key_config_selectorIllN6thrust23THRUST_200600_302600_NS4plusIlEEEEZZNS1_33reduce_by_key_impl_wrapped_configILNS1_25lookback_scan_determinismE0ES3_S9_PlNS6_17constant_iteratorIiNS6_11use_defaultESE_EENS6_10device_ptrIlEESH_PmS8_NS6_8equal_toIlEEEE10hipError_tPvRmT2_T3_mT4_T5_T6_T7_T8_P12ihipStream_tbENKUlT_T0_E_clISt17integral_constantIbLb1EES11_IbLb0EEEEDaSX_SY_EUlSX_E_NS1_11comp_targetILNS1_3genE9ELNS1_11target_archE1100ELNS1_3gpuE3ELNS1_3repE0EEENS1_30default_config_static_selectorELNS0_4arch9wavefront6targetE1EEEvT1_.private_seg_size, 0
	.set _ZN7rocprim17ROCPRIM_400000_NS6detail17trampoline_kernelINS0_14default_configENS1_29reduce_by_key_config_selectorIllN6thrust23THRUST_200600_302600_NS4plusIlEEEEZZNS1_33reduce_by_key_impl_wrapped_configILNS1_25lookback_scan_determinismE0ES3_S9_PlNS6_17constant_iteratorIiNS6_11use_defaultESE_EENS6_10device_ptrIlEESH_PmS8_NS6_8equal_toIlEEEE10hipError_tPvRmT2_T3_mT4_T5_T6_T7_T8_P12ihipStream_tbENKUlT_T0_E_clISt17integral_constantIbLb1EES11_IbLb0EEEEDaSX_SY_EUlSX_E_NS1_11comp_targetILNS1_3genE9ELNS1_11target_archE1100ELNS1_3gpuE3ELNS1_3repE0EEENS1_30default_config_static_selectorELNS0_4arch9wavefront6targetE1EEEvT1_.uses_vcc, 0
	.set _ZN7rocprim17ROCPRIM_400000_NS6detail17trampoline_kernelINS0_14default_configENS1_29reduce_by_key_config_selectorIllN6thrust23THRUST_200600_302600_NS4plusIlEEEEZZNS1_33reduce_by_key_impl_wrapped_configILNS1_25lookback_scan_determinismE0ES3_S9_PlNS6_17constant_iteratorIiNS6_11use_defaultESE_EENS6_10device_ptrIlEESH_PmS8_NS6_8equal_toIlEEEE10hipError_tPvRmT2_T3_mT4_T5_T6_T7_T8_P12ihipStream_tbENKUlT_T0_E_clISt17integral_constantIbLb1EES11_IbLb0EEEEDaSX_SY_EUlSX_E_NS1_11comp_targetILNS1_3genE9ELNS1_11target_archE1100ELNS1_3gpuE3ELNS1_3repE0EEENS1_30default_config_static_selectorELNS0_4arch9wavefront6targetE1EEEvT1_.uses_flat_scratch, 0
	.set _ZN7rocprim17ROCPRIM_400000_NS6detail17trampoline_kernelINS0_14default_configENS1_29reduce_by_key_config_selectorIllN6thrust23THRUST_200600_302600_NS4plusIlEEEEZZNS1_33reduce_by_key_impl_wrapped_configILNS1_25lookback_scan_determinismE0ES3_S9_PlNS6_17constant_iteratorIiNS6_11use_defaultESE_EENS6_10device_ptrIlEESH_PmS8_NS6_8equal_toIlEEEE10hipError_tPvRmT2_T3_mT4_T5_T6_T7_T8_P12ihipStream_tbENKUlT_T0_E_clISt17integral_constantIbLb1EES11_IbLb0EEEEDaSX_SY_EUlSX_E_NS1_11comp_targetILNS1_3genE9ELNS1_11target_archE1100ELNS1_3gpuE3ELNS1_3repE0EEENS1_30default_config_static_selectorELNS0_4arch9wavefront6targetE1EEEvT1_.has_dyn_sized_stack, 0
	.set _ZN7rocprim17ROCPRIM_400000_NS6detail17trampoline_kernelINS0_14default_configENS1_29reduce_by_key_config_selectorIllN6thrust23THRUST_200600_302600_NS4plusIlEEEEZZNS1_33reduce_by_key_impl_wrapped_configILNS1_25lookback_scan_determinismE0ES3_S9_PlNS6_17constant_iteratorIiNS6_11use_defaultESE_EENS6_10device_ptrIlEESH_PmS8_NS6_8equal_toIlEEEE10hipError_tPvRmT2_T3_mT4_T5_T6_T7_T8_P12ihipStream_tbENKUlT_T0_E_clISt17integral_constantIbLb1EES11_IbLb0EEEEDaSX_SY_EUlSX_E_NS1_11comp_targetILNS1_3genE9ELNS1_11target_archE1100ELNS1_3gpuE3ELNS1_3repE0EEENS1_30default_config_static_selectorELNS0_4arch9wavefront6targetE1EEEvT1_.has_recursion, 0
	.set _ZN7rocprim17ROCPRIM_400000_NS6detail17trampoline_kernelINS0_14default_configENS1_29reduce_by_key_config_selectorIllN6thrust23THRUST_200600_302600_NS4plusIlEEEEZZNS1_33reduce_by_key_impl_wrapped_configILNS1_25lookback_scan_determinismE0ES3_S9_PlNS6_17constant_iteratorIiNS6_11use_defaultESE_EENS6_10device_ptrIlEESH_PmS8_NS6_8equal_toIlEEEE10hipError_tPvRmT2_T3_mT4_T5_T6_T7_T8_P12ihipStream_tbENKUlT_T0_E_clISt17integral_constantIbLb1EES11_IbLb0EEEEDaSX_SY_EUlSX_E_NS1_11comp_targetILNS1_3genE9ELNS1_11target_archE1100ELNS1_3gpuE3ELNS1_3repE0EEENS1_30default_config_static_selectorELNS0_4arch9wavefront6targetE1EEEvT1_.has_indirect_call, 0
	.section	.AMDGPU.csdata,"",@progbits
; Kernel info:
; codeLenInByte = 0
; TotalNumSgprs: 4
; NumVgprs: 0
; ScratchSize: 0
; MemoryBound: 0
; FloatMode: 240
; IeeeMode: 1
; LDSByteSize: 0 bytes/workgroup (compile time only)
; SGPRBlocks: 0
; VGPRBlocks: 0
; NumSGPRsForWavesPerEU: 4
; NumVGPRsForWavesPerEU: 1
; Occupancy: 10
; WaveLimiterHint : 0
; COMPUTE_PGM_RSRC2:SCRATCH_EN: 0
; COMPUTE_PGM_RSRC2:USER_SGPR: 6
; COMPUTE_PGM_RSRC2:TRAP_HANDLER: 0
; COMPUTE_PGM_RSRC2:TGID_X_EN: 1
; COMPUTE_PGM_RSRC2:TGID_Y_EN: 0
; COMPUTE_PGM_RSRC2:TGID_Z_EN: 0
; COMPUTE_PGM_RSRC2:TIDIG_COMP_CNT: 0
	.section	.text._ZN7rocprim17ROCPRIM_400000_NS6detail17trampoline_kernelINS0_14default_configENS1_29reduce_by_key_config_selectorIllN6thrust23THRUST_200600_302600_NS4plusIlEEEEZZNS1_33reduce_by_key_impl_wrapped_configILNS1_25lookback_scan_determinismE0ES3_S9_PlNS6_17constant_iteratorIiNS6_11use_defaultESE_EENS6_10device_ptrIlEESH_PmS8_NS6_8equal_toIlEEEE10hipError_tPvRmT2_T3_mT4_T5_T6_T7_T8_P12ihipStream_tbENKUlT_T0_E_clISt17integral_constantIbLb1EES11_IbLb0EEEEDaSX_SY_EUlSX_E_NS1_11comp_targetILNS1_3genE8ELNS1_11target_archE1030ELNS1_3gpuE2ELNS1_3repE0EEENS1_30default_config_static_selectorELNS0_4arch9wavefront6targetE1EEEvT1_,"axG",@progbits,_ZN7rocprim17ROCPRIM_400000_NS6detail17trampoline_kernelINS0_14default_configENS1_29reduce_by_key_config_selectorIllN6thrust23THRUST_200600_302600_NS4plusIlEEEEZZNS1_33reduce_by_key_impl_wrapped_configILNS1_25lookback_scan_determinismE0ES3_S9_PlNS6_17constant_iteratorIiNS6_11use_defaultESE_EENS6_10device_ptrIlEESH_PmS8_NS6_8equal_toIlEEEE10hipError_tPvRmT2_T3_mT4_T5_T6_T7_T8_P12ihipStream_tbENKUlT_T0_E_clISt17integral_constantIbLb1EES11_IbLb0EEEEDaSX_SY_EUlSX_E_NS1_11comp_targetILNS1_3genE8ELNS1_11target_archE1030ELNS1_3gpuE2ELNS1_3repE0EEENS1_30default_config_static_selectorELNS0_4arch9wavefront6targetE1EEEvT1_,comdat
	.protected	_ZN7rocprim17ROCPRIM_400000_NS6detail17trampoline_kernelINS0_14default_configENS1_29reduce_by_key_config_selectorIllN6thrust23THRUST_200600_302600_NS4plusIlEEEEZZNS1_33reduce_by_key_impl_wrapped_configILNS1_25lookback_scan_determinismE0ES3_S9_PlNS6_17constant_iteratorIiNS6_11use_defaultESE_EENS6_10device_ptrIlEESH_PmS8_NS6_8equal_toIlEEEE10hipError_tPvRmT2_T3_mT4_T5_T6_T7_T8_P12ihipStream_tbENKUlT_T0_E_clISt17integral_constantIbLb1EES11_IbLb0EEEEDaSX_SY_EUlSX_E_NS1_11comp_targetILNS1_3genE8ELNS1_11target_archE1030ELNS1_3gpuE2ELNS1_3repE0EEENS1_30default_config_static_selectorELNS0_4arch9wavefront6targetE1EEEvT1_ ; -- Begin function _ZN7rocprim17ROCPRIM_400000_NS6detail17trampoline_kernelINS0_14default_configENS1_29reduce_by_key_config_selectorIllN6thrust23THRUST_200600_302600_NS4plusIlEEEEZZNS1_33reduce_by_key_impl_wrapped_configILNS1_25lookback_scan_determinismE0ES3_S9_PlNS6_17constant_iteratorIiNS6_11use_defaultESE_EENS6_10device_ptrIlEESH_PmS8_NS6_8equal_toIlEEEE10hipError_tPvRmT2_T3_mT4_T5_T6_T7_T8_P12ihipStream_tbENKUlT_T0_E_clISt17integral_constantIbLb1EES11_IbLb0EEEEDaSX_SY_EUlSX_E_NS1_11comp_targetILNS1_3genE8ELNS1_11target_archE1030ELNS1_3gpuE2ELNS1_3repE0EEENS1_30default_config_static_selectorELNS0_4arch9wavefront6targetE1EEEvT1_
	.globl	_ZN7rocprim17ROCPRIM_400000_NS6detail17trampoline_kernelINS0_14default_configENS1_29reduce_by_key_config_selectorIllN6thrust23THRUST_200600_302600_NS4plusIlEEEEZZNS1_33reduce_by_key_impl_wrapped_configILNS1_25lookback_scan_determinismE0ES3_S9_PlNS6_17constant_iteratorIiNS6_11use_defaultESE_EENS6_10device_ptrIlEESH_PmS8_NS6_8equal_toIlEEEE10hipError_tPvRmT2_T3_mT4_T5_T6_T7_T8_P12ihipStream_tbENKUlT_T0_E_clISt17integral_constantIbLb1EES11_IbLb0EEEEDaSX_SY_EUlSX_E_NS1_11comp_targetILNS1_3genE8ELNS1_11target_archE1030ELNS1_3gpuE2ELNS1_3repE0EEENS1_30default_config_static_selectorELNS0_4arch9wavefront6targetE1EEEvT1_
	.p2align	8
	.type	_ZN7rocprim17ROCPRIM_400000_NS6detail17trampoline_kernelINS0_14default_configENS1_29reduce_by_key_config_selectorIllN6thrust23THRUST_200600_302600_NS4plusIlEEEEZZNS1_33reduce_by_key_impl_wrapped_configILNS1_25lookback_scan_determinismE0ES3_S9_PlNS6_17constant_iteratorIiNS6_11use_defaultESE_EENS6_10device_ptrIlEESH_PmS8_NS6_8equal_toIlEEEE10hipError_tPvRmT2_T3_mT4_T5_T6_T7_T8_P12ihipStream_tbENKUlT_T0_E_clISt17integral_constantIbLb1EES11_IbLb0EEEEDaSX_SY_EUlSX_E_NS1_11comp_targetILNS1_3genE8ELNS1_11target_archE1030ELNS1_3gpuE2ELNS1_3repE0EEENS1_30default_config_static_selectorELNS0_4arch9wavefront6targetE1EEEvT1_,@function
_ZN7rocprim17ROCPRIM_400000_NS6detail17trampoline_kernelINS0_14default_configENS1_29reduce_by_key_config_selectorIllN6thrust23THRUST_200600_302600_NS4plusIlEEEEZZNS1_33reduce_by_key_impl_wrapped_configILNS1_25lookback_scan_determinismE0ES3_S9_PlNS6_17constant_iteratorIiNS6_11use_defaultESE_EENS6_10device_ptrIlEESH_PmS8_NS6_8equal_toIlEEEE10hipError_tPvRmT2_T3_mT4_T5_T6_T7_T8_P12ihipStream_tbENKUlT_T0_E_clISt17integral_constantIbLb1EES11_IbLb0EEEEDaSX_SY_EUlSX_E_NS1_11comp_targetILNS1_3genE8ELNS1_11target_archE1030ELNS1_3gpuE2ELNS1_3repE0EEENS1_30default_config_static_selectorELNS0_4arch9wavefront6targetE1EEEvT1_: ; @_ZN7rocprim17ROCPRIM_400000_NS6detail17trampoline_kernelINS0_14default_configENS1_29reduce_by_key_config_selectorIllN6thrust23THRUST_200600_302600_NS4plusIlEEEEZZNS1_33reduce_by_key_impl_wrapped_configILNS1_25lookback_scan_determinismE0ES3_S9_PlNS6_17constant_iteratorIiNS6_11use_defaultESE_EENS6_10device_ptrIlEESH_PmS8_NS6_8equal_toIlEEEE10hipError_tPvRmT2_T3_mT4_T5_T6_T7_T8_P12ihipStream_tbENKUlT_T0_E_clISt17integral_constantIbLb1EES11_IbLb0EEEEDaSX_SY_EUlSX_E_NS1_11comp_targetILNS1_3genE8ELNS1_11target_archE1030ELNS1_3gpuE2ELNS1_3repE0EEENS1_30default_config_static_selectorELNS0_4arch9wavefront6targetE1EEEvT1_
; %bb.0:
	.section	.rodata,"a",@progbits
	.p2align	6, 0x0
	.amdhsa_kernel _ZN7rocprim17ROCPRIM_400000_NS6detail17trampoline_kernelINS0_14default_configENS1_29reduce_by_key_config_selectorIllN6thrust23THRUST_200600_302600_NS4plusIlEEEEZZNS1_33reduce_by_key_impl_wrapped_configILNS1_25lookback_scan_determinismE0ES3_S9_PlNS6_17constant_iteratorIiNS6_11use_defaultESE_EENS6_10device_ptrIlEESH_PmS8_NS6_8equal_toIlEEEE10hipError_tPvRmT2_T3_mT4_T5_T6_T7_T8_P12ihipStream_tbENKUlT_T0_E_clISt17integral_constantIbLb1EES11_IbLb0EEEEDaSX_SY_EUlSX_E_NS1_11comp_targetILNS1_3genE8ELNS1_11target_archE1030ELNS1_3gpuE2ELNS1_3repE0EEENS1_30default_config_static_selectorELNS0_4arch9wavefront6targetE1EEEvT1_
		.amdhsa_group_segment_fixed_size 0
		.amdhsa_private_segment_fixed_size 0
		.amdhsa_kernarg_size 144
		.amdhsa_user_sgpr_count 6
		.amdhsa_user_sgpr_private_segment_buffer 1
		.amdhsa_user_sgpr_dispatch_ptr 0
		.amdhsa_user_sgpr_queue_ptr 0
		.amdhsa_user_sgpr_kernarg_segment_ptr 1
		.amdhsa_user_sgpr_dispatch_id 0
		.amdhsa_user_sgpr_flat_scratch_init 0
		.amdhsa_user_sgpr_private_segment_size 0
		.amdhsa_uses_dynamic_stack 0
		.amdhsa_system_sgpr_private_segment_wavefront_offset 0
		.amdhsa_system_sgpr_workgroup_id_x 1
		.amdhsa_system_sgpr_workgroup_id_y 0
		.amdhsa_system_sgpr_workgroup_id_z 0
		.amdhsa_system_sgpr_workgroup_info 0
		.amdhsa_system_vgpr_workitem_id 0
		.amdhsa_next_free_vgpr 1
		.amdhsa_next_free_sgpr 0
		.amdhsa_reserve_vcc 0
		.amdhsa_reserve_flat_scratch 0
		.amdhsa_float_round_mode_32 0
		.amdhsa_float_round_mode_16_64 0
		.amdhsa_float_denorm_mode_32 3
		.amdhsa_float_denorm_mode_16_64 3
		.amdhsa_dx10_clamp 1
		.amdhsa_ieee_mode 1
		.amdhsa_fp16_overflow 0
		.amdhsa_exception_fp_ieee_invalid_op 0
		.amdhsa_exception_fp_denorm_src 0
		.amdhsa_exception_fp_ieee_div_zero 0
		.amdhsa_exception_fp_ieee_overflow 0
		.amdhsa_exception_fp_ieee_underflow 0
		.amdhsa_exception_fp_ieee_inexact 0
		.amdhsa_exception_int_div_zero 0
	.end_amdhsa_kernel
	.section	.text._ZN7rocprim17ROCPRIM_400000_NS6detail17trampoline_kernelINS0_14default_configENS1_29reduce_by_key_config_selectorIllN6thrust23THRUST_200600_302600_NS4plusIlEEEEZZNS1_33reduce_by_key_impl_wrapped_configILNS1_25lookback_scan_determinismE0ES3_S9_PlNS6_17constant_iteratorIiNS6_11use_defaultESE_EENS6_10device_ptrIlEESH_PmS8_NS6_8equal_toIlEEEE10hipError_tPvRmT2_T3_mT4_T5_T6_T7_T8_P12ihipStream_tbENKUlT_T0_E_clISt17integral_constantIbLb1EES11_IbLb0EEEEDaSX_SY_EUlSX_E_NS1_11comp_targetILNS1_3genE8ELNS1_11target_archE1030ELNS1_3gpuE2ELNS1_3repE0EEENS1_30default_config_static_selectorELNS0_4arch9wavefront6targetE1EEEvT1_,"axG",@progbits,_ZN7rocprim17ROCPRIM_400000_NS6detail17trampoline_kernelINS0_14default_configENS1_29reduce_by_key_config_selectorIllN6thrust23THRUST_200600_302600_NS4plusIlEEEEZZNS1_33reduce_by_key_impl_wrapped_configILNS1_25lookback_scan_determinismE0ES3_S9_PlNS6_17constant_iteratorIiNS6_11use_defaultESE_EENS6_10device_ptrIlEESH_PmS8_NS6_8equal_toIlEEEE10hipError_tPvRmT2_T3_mT4_T5_T6_T7_T8_P12ihipStream_tbENKUlT_T0_E_clISt17integral_constantIbLb1EES11_IbLb0EEEEDaSX_SY_EUlSX_E_NS1_11comp_targetILNS1_3genE8ELNS1_11target_archE1030ELNS1_3gpuE2ELNS1_3repE0EEENS1_30default_config_static_selectorELNS0_4arch9wavefront6targetE1EEEvT1_,comdat
.Lfunc_end1230:
	.size	_ZN7rocprim17ROCPRIM_400000_NS6detail17trampoline_kernelINS0_14default_configENS1_29reduce_by_key_config_selectorIllN6thrust23THRUST_200600_302600_NS4plusIlEEEEZZNS1_33reduce_by_key_impl_wrapped_configILNS1_25lookback_scan_determinismE0ES3_S9_PlNS6_17constant_iteratorIiNS6_11use_defaultESE_EENS6_10device_ptrIlEESH_PmS8_NS6_8equal_toIlEEEE10hipError_tPvRmT2_T3_mT4_T5_T6_T7_T8_P12ihipStream_tbENKUlT_T0_E_clISt17integral_constantIbLb1EES11_IbLb0EEEEDaSX_SY_EUlSX_E_NS1_11comp_targetILNS1_3genE8ELNS1_11target_archE1030ELNS1_3gpuE2ELNS1_3repE0EEENS1_30default_config_static_selectorELNS0_4arch9wavefront6targetE1EEEvT1_, .Lfunc_end1230-_ZN7rocprim17ROCPRIM_400000_NS6detail17trampoline_kernelINS0_14default_configENS1_29reduce_by_key_config_selectorIllN6thrust23THRUST_200600_302600_NS4plusIlEEEEZZNS1_33reduce_by_key_impl_wrapped_configILNS1_25lookback_scan_determinismE0ES3_S9_PlNS6_17constant_iteratorIiNS6_11use_defaultESE_EENS6_10device_ptrIlEESH_PmS8_NS6_8equal_toIlEEEE10hipError_tPvRmT2_T3_mT4_T5_T6_T7_T8_P12ihipStream_tbENKUlT_T0_E_clISt17integral_constantIbLb1EES11_IbLb0EEEEDaSX_SY_EUlSX_E_NS1_11comp_targetILNS1_3genE8ELNS1_11target_archE1030ELNS1_3gpuE2ELNS1_3repE0EEENS1_30default_config_static_selectorELNS0_4arch9wavefront6targetE1EEEvT1_
                                        ; -- End function
	.set _ZN7rocprim17ROCPRIM_400000_NS6detail17trampoline_kernelINS0_14default_configENS1_29reduce_by_key_config_selectorIllN6thrust23THRUST_200600_302600_NS4plusIlEEEEZZNS1_33reduce_by_key_impl_wrapped_configILNS1_25lookback_scan_determinismE0ES3_S9_PlNS6_17constant_iteratorIiNS6_11use_defaultESE_EENS6_10device_ptrIlEESH_PmS8_NS6_8equal_toIlEEEE10hipError_tPvRmT2_T3_mT4_T5_T6_T7_T8_P12ihipStream_tbENKUlT_T0_E_clISt17integral_constantIbLb1EES11_IbLb0EEEEDaSX_SY_EUlSX_E_NS1_11comp_targetILNS1_3genE8ELNS1_11target_archE1030ELNS1_3gpuE2ELNS1_3repE0EEENS1_30default_config_static_selectorELNS0_4arch9wavefront6targetE1EEEvT1_.num_vgpr, 0
	.set _ZN7rocprim17ROCPRIM_400000_NS6detail17trampoline_kernelINS0_14default_configENS1_29reduce_by_key_config_selectorIllN6thrust23THRUST_200600_302600_NS4plusIlEEEEZZNS1_33reduce_by_key_impl_wrapped_configILNS1_25lookback_scan_determinismE0ES3_S9_PlNS6_17constant_iteratorIiNS6_11use_defaultESE_EENS6_10device_ptrIlEESH_PmS8_NS6_8equal_toIlEEEE10hipError_tPvRmT2_T3_mT4_T5_T6_T7_T8_P12ihipStream_tbENKUlT_T0_E_clISt17integral_constantIbLb1EES11_IbLb0EEEEDaSX_SY_EUlSX_E_NS1_11comp_targetILNS1_3genE8ELNS1_11target_archE1030ELNS1_3gpuE2ELNS1_3repE0EEENS1_30default_config_static_selectorELNS0_4arch9wavefront6targetE1EEEvT1_.num_agpr, 0
	.set _ZN7rocprim17ROCPRIM_400000_NS6detail17trampoline_kernelINS0_14default_configENS1_29reduce_by_key_config_selectorIllN6thrust23THRUST_200600_302600_NS4plusIlEEEEZZNS1_33reduce_by_key_impl_wrapped_configILNS1_25lookback_scan_determinismE0ES3_S9_PlNS6_17constant_iteratorIiNS6_11use_defaultESE_EENS6_10device_ptrIlEESH_PmS8_NS6_8equal_toIlEEEE10hipError_tPvRmT2_T3_mT4_T5_T6_T7_T8_P12ihipStream_tbENKUlT_T0_E_clISt17integral_constantIbLb1EES11_IbLb0EEEEDaSX_SY_EUlSX_E_NS1_11comp_targetILNS1_3genE8ELNS1_11target_archE1030ELNS1_3gpuE2ELNS1_3repE0EEENS1_30default_config_static_selectorELNS0_4arch9wavefront6targetE1EEEvT1_.numbered_sgpr, 0
	.set _ZN7rocprim17ROCPRIM_400000_NS6detail17trampoline_kernelINS0_14default_configENS1_29reduce_by_key_config_selectorIllN6thrust23THRUST_200600_302600_NS4plusIlEEEEZZNS1_33reduce_by_key_impl_wrapped_configILNS1_25lookback_scan_determinismE0ES3_S9_PlNS6_17constant_iteratorIiNS6_11use_defaultESE_EENS6_10device_ptrIlEESH_PmS8_NS6_8equal_toIlEEEE10hipError_tPvRmT2_T3_mT4_T5_T6_T7_T8_P12ihipStream_tbENKUlT_T0_E_clISt17integral_constantIbLb1EES11_IbLb0EEEEDaSX_SY_EUlSX_E_NS1_11comp_targetILNS1_3genE8ELNS1_11target_archE1030ELNS1_3gpuE2ELNS1_3repE0EEENS1_30default_config_static_selectorELNS0_4arch9wavefront6targetE1EEEvT1_.num_named_barrier, 0
	.set _ZN7rocprim17ROCPRIM_400000_NS6detail17trampoline_kernelINS0_14default_configENS1_29reduce_by_key_config_selectorIllN6thrust23THRUST_200600_302600_NS4plusIlEEEEZZNS1_33reduce_by_key_impl_wrapped_configILNS1_25lookback_scan_determinismE0ES3_S9_PlNS6_17constant_iteratorIiNS6_11use_defaultESE_EENS6_10device_ptrIlEESH_PmS8_NS6_8equal_toIlEEEE10hipError_tPvRmT2_T3_mT4_T5_T6_T7_T8_P12ihipStream_tbENKUlT_T0_E_clISt17integral_constantIbLb1EES11_IbLb0EEEEDaSX_SY_EUlSX_E_NS1_11comp_targetILNS1_3genE8ELNS1_11target_archE1030ELNS1_3gpuE2ELNS1_3repE0EEENS1_30default_config_static_selectorELNS0_4arch9wavefront6targetE1EEEvT1_.private_seg_size, 0
	.set _ZN7rocprim17ROCPRIM_400000_NS6detail17trampoline_kernelINS0_14default_configENS1_29reduce_by_key_config_selectorIllN6thrust23THRUST_200600_302600_NS4plusIlEEEEZZNS1_33reduce_by_key_impl_wrapped_configILNS1_25lookback_scan_determinismE0ES3_S9_PlNS6_17constant_iteratorIiNS6_11use_defaultESE_EENS6_10device_ptrIlEESH_PmS8_NS6_8equal_toIlEEEE10hipError_tPvRmT2_T3_mT4_T5_T6_T7_T8_P12ihipStream_tbENKUlT_T0_E_clISt17integral_constantIbLb1EES11_IbLb0EEEEDaSX_SY_EUlSX_E_NS1_11comp_targetILNS1_3genE8ELNS1_11target_archE1030ELNS1_3gpuE2ELNS1_3repE0EEENS1_30default_config_static_selectorELNS0_4arch9wavefront6targetE1EEEvT1_.uses_vcc, 0
	.set _ZN7rocprim17ROCPRIM_400000_NS6detail17trampoline_kernelINS0_14default_configENS1_29reduce_by_key_config_selectorIllN6thrust23THRUST_200600_302600_NS4plusIlEEEEZZNS1_33reduce_by_key_impl_wrapped_configILNS1_25lookback_scan_determinismE0ES3_S9_PlNS6_17constant_iteratorIiNS6_11use_defaultESE_EENS6_10device_ptrIlEESH_PmS8_NS6_8equal_toIlEEEE10hipError_tPvRmT2_T3_mT4_T5_T6_T7_T8_P12ihipStream_tbENKUlT_T0_E_clISt17integral_constantIbLb1EES11_IbLb0EEEEDaSX_SY_EUlSX_E_NS1_11comp_targetILNS1_3genE8ELNS1_11target_archE1030ELNS1_3gpuE2ELNS1_3repE0EEENS1_30default_config_static_selectorELNS0_4arch9wavefront6targetE1EEEvT1_.uses_flat_scratch, 0
	.set _ZN7rocprim17ROCPRIM_400000_NS6detail17trampoline_kernelINS0_14default_configENS1_29reduce_by_key_config_selectorIllN6thrust23THRUST_200600_302600_NS4plusIlEEEEZZNS1_33reduce_by_key_impl_wrapped_configILNS1_25lookback_scan_determinismE0ES3_S9_PlNS6_17constant_iteratorIiNS6_11use_defaultESE_EENS6_10device_ptrIlEESH_PmS8_NS6_8equal_toIlEEEE10hipError_tPvRmT2_T3_mT4_T5_T6_T7_T8_P12ihipStream_tbENKUlT_T0_E_clISt17integral_constantIbLb1EES11_IbLb0EEEEDaSX_SY_EUlSX_E_NS1_11comp_targetILNS1_3genE8ELNS1_11target_archE1030ELNS1_3gpuE2ELNS1_3repE0EEENS1_30default_config_static_selectorELNS0_4arch9wavefront6targetE1EEEvT1_.has_dyn_sized_stack, 0
	.set _ZN7rocprim17ROCPRIM_400000_NS6detail17trampoline_kernelINS0_14default_configENS1_29reduce_by_key_config_selectorIllN6thrust23THRUST_200600_302600_NS4plusIlEEEEZZNS1_33reduce_by_key_impl_wrapped_configILNS1_25lookback_scan_determinismE0ES3_S9_PlNS6_17constant_iteratorIiNS6_11use_defaultESE_EENS6_10device_ptrIlEESH_PmS8_NS6_8equal_toIlEEEE10hipError_tPvRmT2_T3_mT4_T5_T6_T7_T8_P12ihipStream_tbENKUlT_T0_E_clISt17integral_constantIbLb1EES11_IbLb0EEEEDaSX_SY_EUlSX_E_NS1_11comp_targetILNS1_3genE8ELNS1_11target_archE1030ELNS1_3gpuE2ELNS1_3repE0EEENS1_30default_config_static_selectorELNS0_4arch9wavefront6targetE1EEEvT1_.has_recursion, 0
	.set _ZN7rocprim17ROCPRIM_400000_NS6detail17trampoline_kernelINS0_14default_configENS1_29reduce_by_key_config_selectorIllN6thrust23THRUST_200600_302600_NS4plusIlEEEEZZNS1_33reduce_by_key_impl_wrapped_configILNS1_25lookback_scan_determinismE0ES3_S9_PlNS6_17constant_iteratorIiNS6_11use_defaultESE_EENS6_10device_ptrIlEESH_PmS8_NS6_8equal_toIlEEEE10hipError_tPvRmT2_T3_mT4_T5_T6_T7_T8_P12ihipStream_tbENKUlT_T0_E_clISt17integral_constantIbLb1EES11_IbLb0EEEEDaSX_SY_EUlSX_E_NS1_11comp_targetILNS1_3genE8ELNS1_11target_archE1030ELNS1_3gpuE2ELNS1_3repE0EEENS1_30default_config_static_selectorELNS0_4arch9wavefront6targetE1EEEvT1_.has_indirect_call, 0
	.section	.AMDGPU.csdata,"",@progbits
; Kernel info:
; codeLenInByte = 0
; TotalNumSgprs: 4
; NumVgprs: 0
; ScratchSize: 0
; MemoryBound: 0
; FloatMode: 240
; IeeeMode: 1
; LDSByteSize: 0 bytes/workgroup (compile time only)
; SGPRBlocks: 0
; VGPRBlocks: 0
; NumSGPRsForWavesPerEU: 4
; NumVGPRsForWavesPerEU: 1
; Occupancy: 10
; WaveLimiterHint : 0
; COMPUTE_PGM_RSRC2:SCRATCH_EN: 0
; COMPUTE_PGM_RSRC2:USER_SGPR: 6
; COMPUTE_PGM_RSRC2:TRAP_HANDLER: 0
; COMPUTE_PGM_RSRC2:TGID_X_EN: 1
; COMPUTE_PGM_RSRC2:TGID_Y_EN: 0
; COMPUTE_PGM_RSRC2:TGID_Z_EN: 0
; COMPUTE_PGM_RSRC2:TIDIG_COMP_CNT: 0
	.section	.text._ZN7rocprim17ROCPRIM_400000_NS6detail17trampoline_kernelINS0_14default_configENS1_29reduce_by_key_config_selectorIllN6thrust23THRUST_200600_302600_NS4plusIlEEEEZZNS1_33reduce_by_key_impl_wrapped_configILNS1_25lookback_scan_determinismE0ES3_S9_PlNS6_17constant_iteratorIiNS6_11use_defaultESE_EENS6_10device_ptrIlEESH_PmS8_NS6_8equal_toIlEEEE10hipError_tPvRmT2_T3_mT4_T5_T6_T7_T8_P12ihipStream_tbENKUlT_T0_E_clISt17integral_constantIbLb0EES11_IbLb1EEEEDaSX_SY_EUlSX_E_NS1_11comp_targetILNS1_3genE0ELNS1_11target_archE4294967295ELNS1_3gpuE0ELNS1_3repE0EEENS1_30default_config_static_selectorELNS0_4arch9wavefront6targetE1EEEvT1_,"axG",@progbits,_ZN7rocprim17ROCPRIM_400000_NS6detail17trampoline_kernelINS0_14default_configENS1_29reduce_by_key_config_selectorIllN6thrust23THRUST_200600_302600_NS4plusIlEEEEZZNS1_33reduce_by_key_impl_wrapped_configILNS1_25lookback_scan_determinismE0ES3_S9_PlNS6_17constant_iteratorIiNS6_11use_defaultESE_EENS6_10device_ptrIlEESH_PmS8_NS6_8equal_toIlEEEE10hipError_tPvRmT2_T3_mT4_T5_T6_T7_T8_P12ihipStream_tbENKUlT_T0_E_clISt17integral_constantIbLb0EES11_IbLb1EEEEDaSX_SY_EUlSX_E_NS1_11comp_targetILNS1_3genE0ELNS1_11target_archE4294967295ELNS1_3gpuE0ELNS1_3repE0EEENS1_30default_config_static_selectorELNS0_4arch9wavefront6targetE1EEEvT1_,comdat
	.protected	_ZN7rocprim17ROCPRIM_400000_NS6detail17trampoline_kernelINS0_14default_configENS1_29reduce_by_key_config_selectorIllN6thrust23THRUST_200600_302600_NS4plusIlEEEEZZNS1_33reduce_by_key_impl_wrapped_configILNS1_25lookback_scan_determinismE0ES3_S9_PlNS6_17constant_iteratorIiNS6_11use_defaultESE_EENS6_10device_ptrIlEESH_PmS8_NS6_8equal_toIlEEEE10hipError_tPvRmT2_T3_mT4_T5_T6_T7_T8_P12ihipStream_tbENKUlT_T0_E_clISt17integral_constantIbLb0EES11_IbLb1EEEEDaSX_SY_EUlSX_E_NS1_11comp_targetILNS1_3genE0ELNS1_11target_archE4294967295ELNS1_3gpuE0ELNS1_3repE0EEENS1_30default_config_static_selectorELNS0_4arch9wavefront6targetE1EEEvT1_ ; -- Begin function _ZN7rocprim17ROCPRIM_400000_NS6detail17trampoline_kernelINS0_14default_configENS1_29reduce_by_key_config_selectorIllN6thrust23THRUST_200600_302600_NS4plusIlEEEEZZNS1_33reduce_by_key_impl_wrapped_configILNS1_25lookback_scan_determinismE0ES3_S9_PlNS6_17constant_iteratorIiNS6_11use_defaultESE_EENS6_10device_ptrIlEESH_PmS8_NS6_8equal_toIlEEEE10hipError_tPvRmT2_T3_mT4_T5_T6_T7_T8_P12ihipStream_tbENKUlT_T0_E_clISt17integral_constantIbLb0EES11_IbLb1EEEEDaSX_SY_EUlSX_E_NS1_11comp_targetILNS1_3genE0ELNS1_11target_archE4294967295ELNS1_3gpuE0ELNS1_3repE0EEENS1_30default_config_static_selectorELNS0_4arch9wavefront6targetE1EEEvT1_
	.globl	_ZN7rocprim17ROCPRIM_400000_NS6detail17trampoline_kernelINS0_14default_configENS1_29reduce_by_key_config_selectorIllN6thrust23THRUST_200600_302600_NS4plusIlEEEEZZNS1_33reduce_by_key_impl_wrapped_configILNS1_25lookback_scan_determinismE0ES3_S9_PlNS6_17constant_iteratorIiNS6_11use_defaultESE_EENS6_10device_ptrIlEESH_PmS8_NS6_8equal_toIlEEEE10hipError_tPvRmT2_T3_mT4_T5_T6_T7_T8_P12ihipStream_tbENKUlT_T0_E_clISt17integral_constantIbLb0EES11_IbLb1EEEEDaSX_SY_EUlSX_E_NS1_11comp_targetILNS1_3genE0ELNS1_11target_archE4294967295ELNS1_3gpuE0ELNS1_3repE0EEENS1_30default_config_static_selectorELNS0_4arch9wavefront6targetE1EEEvT1_
	.p2align	8
	.type	_ZN7rocprim17ROCPRIM_400000_NS6detail17trampoline_kernelINS0_14default_configENS1_29reduce_by_key_config_selectorIllN6thrust23THRUST_200600_302600_NS4plusIlEEEEZZNS1_33reduce_by_key_impl_wrapped_configILNS1_25lookback_scan_determinismE0ES3_S9_PlNS6_17constant_iteratorIiNS6_11use_defaultESE_EENS6_10device_ptrIlEESH_PmS8_NS6_8equal_toIlEEEE10hipError_tPvRmT2_T3_mT4_T5_T6_T7_T8_P12ihipStream_tbENKUlT_T0_E_clISt17integral_constantIbLb0EES11_IbLb1EEEEDaSX_SY_EUlSX_E_NS1_11comp_targetILNS1_3genE0ELNS1_11target_archE4294967295ELNS1_3gpuE0ELNS1_3repE0EEENS1_30default_config_static_selectorELNS0_4arch9wavefront6targetE1EEEvT1_,@function
_ZN7rocprim17ROCPRIM_400000_NS6detail17trampoline_kernelINS0_14default_configENS1_29reduce_by_key_config_selectorIllN6thrust23THRUST_200600_302600_NS4plusIlEEEEZZNS1_33reduce_by_key_impl_wrapped_configILNS1_25lookback_scan_determinismE0ES3_S9_PlNS6_17constant_iteratorIiNS6_11use_defaultESE_EENS6_10device_ptrIlEESH_PmS8_NS6_8equal_toIlEEEE10hipError_tPvRmT2_T3_mT4_T5_T6_T7_T8_P12ihipStream_tbENKUlT_T0_E_clISt17integral_constantIbLb0EES11_IbLb1EEEEDaSX_SY_EUlSX_E_NS1_11comp_targetILNS1_3genE0ELNS1_11target_archE4294967295ELNS1_3gpuE0ELNS1_3repE0EEENS1_30default_config_static_selectorELNS0_4arch9wavefront6targetE1EEEvT1_: ; @_ZN7rocprim17ROCPRIM_400000_NS6detail17trampoline_kernelINS0_14default_configENS1_29reduce_by_key_config_selectorIllN6thrust23THRUST_200600_302600_NS4plusIlEEEEZZNS1_33reduce_by_key_impl_wrapped_configILNS1_25lookback_scan_determinismE0ES3_S9_PlNS6_17constant_iteratorIiNS6_11use_defaultESE_EENS6_10device_ptrIlEESH_PmS8_NS6_8equal_toIlEEEE10hipError_tPvRmT2_T3_mT4_T5_T6_T7_T8_P12ihipStream_tbENKUlT_T0_E_clISt17integral_constantIbLb0EES11_IbLb1EEEEDaSX_SY_EUlSX_E_NS1_11comp_targetILNS1_3genE0ELNS1_11target_archE4294967295ELNS1_3gpuE0ELNS1_3repE0EEENS1_30default_config_static_selectorELNS0_4arch9wavefront6targetE1EEEvT1_
; %bb.0:
	.section	.rodata,"a",@progbits
	.p2align	6, 0x0
	.amdhsa_kernel _ZN7rocprim17ROCPRIM_400000_NS6detail17trampoline_kernelINS0_14default_configENS1_29reduce_by_key_config_selectorIllN6thrust23THRUST_200600_302600_NS4plusIlEEEEZZNS1_33reduce_by_key_impl_wrapped_configILNS1_25lookback_scan_determinismE0ES3_S9_PlNS6_17constant_iteratorIiNS6_11use_defaultESE_EENS6_10device_ptrIlEESH_PmS8_NS6_8equal_toIlEEEE10hipError_tPvRmT2_T3_mT4_T5_T6_T7_T8_P12ihipStream_tbENKUlT_T0_E_clISt17integral_constantIbLb0EES11_IbLb1EEEEDaSX_SY_EUlSX_E_NS1_11comp_targetILNS1_3genE0ELNS1_11target_archE4294967295ELNS1_3gpuE0ELNS1_3repE0EEENS1_30default_config_static_selectorELNS0_4arch9wavefront6targetE1EEEvT1_
		.amdhsa_group_segment_fixed_size 0
		.amdhsa_private_segment_fixed_size 0
		.amdhsa_kernarg_size 144
		.amdhsa_user_sgpr_count 6
		.amdhsa_user_sgpr_private_segment_buffer 1
		.amdhsa_user_sgpr_dispatch_ptr 0
		.amdhsa_user_sgpr_queue_ptr 0
		.amdhsa_user_sgpr_kernarg_segment_ptr 1
		.amdhsa_user_sgpr_dispatch_id 0
		.amdhsa_user_sgpr_flat_scratch_init 0
		.amdhsa_user_sgpr_private_segment_size 0
		.amdhsa_uses_dynamic_stack 0
		.amdhsa_system_sgpr_private_segment_wavefront_offset 0
		.amdhsa_system_sgpr_workgroup_id_x 1
		.amdhsa_system_sgpr_workgroup_id_y 0
		.amdhsa_system_sgpr_workgroup_id_z 0
		.amdhsa_system_sgpr_workgroup_info 0
		.amdhsa_system_vgpr_workitem_id 0
		.amdhsa_next_free_vgpr 1
		.amdhsa_next_free_sgpr 0
		.amdhsa_reserve_vcc 0
		.amdhsa_reserve_flat_scratch 0
		.amdhsa_float_round_mode_32 0
		.amdhsa_float_round_mode_16_64 0
		.amdhsa_float_denorm_mode_32 3
		.amdhsa_float_denorm_mode_16_64 3
		.amdhsa_dx10_clamp 1
		.amdhsa_ieee_mode 1
		.amdhsa_fp16_overflow 0
		.amdhsa_exception_fp_ieee_invalid_op 0
		.amdhsa_exception_fp_denorm_src 0
		.amdhsa_exception_fp_ieee_div_zero 0
		.amdhsa_exception_fp_ieee_overflow 0
		.amdhsa_exception_fp_ieee_underflow 0
		.amdhsa_exception_fp_ieee_inexact 0
		.amdhsa_exception_int_div_zero 0
	.end_amdhsa_kernel
	.section	.text._ZN7rocprim17ROCPRIM_400000_NS6detail17trampoline_kernelINS0_14default_configENS1_29reduce_by_key_config_selectorIllN6thrust23THRUST_200600_302600_NS4plusIlEEEEZZNS1_33reduce_by_key_impl_wrapped_configILNS1_25lookback_scan_determinismE0ES3_S9_PlNS6_17constant_iteratorIiNS6_11use_defaultESE_EENS6_10device_ptrIlEESH_PmS8_NS6_8equal_toIlEEEE10hipError_tPvRmT2_T3_mT4_T5_T6_T7_T8_P12ihipStream_tbENKUlT_T0_E_clISt17integral_constantIbLb0EES11_IbLb1EEEEDaSX_SY_EUlSX_E_NS1_11comp_targetILNS1_3genE0ELNS1_11target_archE4294967295ELNS1_3gpuE0ELNS1_3repE0EEENS1_30default_config_static_selectorELNS0_4arch9wavefront6targetE1EEEvT1_,"axG",@progbits,_ZN7rocprim17ROCPRIM_400000_NS6detail17trampoline_kernelINS0_14default_configENS1_29reduce_by_key_config_selectorIllN6thrust23THRUST_200600_302600_NS4plusIlEEEEZZNS1_33reduce_by_key_impl_wrapped_configILNS1_25lookback_scan_determinismE0ES3_S9_PlNS6_17constant_iteratorIiNS6_11use_defaultESE_EENS6_10device_ptrIlEESH_PmS8_NS6_8equal_toIlEEEE10hipError_tPvRmT2_T3_mT4_T5_T6_T7_T8_P12ihipStream_tbENKUlT_T0_E_clISt17integral_constantIbLb0EES11_IbLb1EEEEDaSX_SY_EUlSX_E_NS1_11comp_targetILNS1_3genE0ELNS1_11target_archE4294967295ELNS1_3gpuE0ELNS1_3repE0EEENS1_30default_config_static_selectorELNS0_4arch9wavefront6targetE1EEEvT1_,comdat
.Lfunc_end1231:
	.size	_ZN7rocprim17ROCPRIM_400000_NS6detail17trampoline_kernelINS0_14default_configENS1_29reduce_by_key_config_selectorIllN6thrust23THRUST_200600_302600_NS4plusIlEEEEZZNS1_33reduce_by_key_impl_wrapped_configILNS1_25lookback_scan_determinismE0ES3_S9_PlNS6_17constant_iteratorIiNS6_11use_defaultESE_EENS6_10device_ptrIlEESH_PmS8_NS6_8equal_toIlEEEE10hipError_tPvRmT2_T3_mT4_T5_T6_T7_T8_P12ihipStream_tbENKUlT_T0_E_clISt17integral_constantIbLb0EES11_IbLb1EEEEDaSX_SY_EUlSX_E_NS1_11comp_targetILNS1_3genE0ELNS1_11target_archE4294967295ELNS1_3gpuE0ELNS1_3repE0EEENS1_30default_config_static_selectorELNS0_4arch9wavefront6targetE1EEEvT1_, .Lfunc_end1231-_ZN7rocprim17ROCPRIM_400000_NS6detail17trampoline_kernelINS0_14default_configENS1_29reduce_by_key_config_selectorIllN6thrust23THRUST_200600_302600_NS4plusIlEEEEZZNS1_33reduce_by_key_impl_wrapped_configILNS1_25lookback_scan_determinismE0ES3_S9_PlNS6_17constant_iteratorIiNS6_11use_defaultESE_EENS6_10device_ptrIlEESH_PmS8_NS6_8equal_toIlEEEE10hipError_tPvRmT2_T3_mT4_T5_T6_T7_T8_P12ihipStream_tbENKUlT_T0_E_clISt17integral_constantIbLb0EES11_IbLb1EEEEDaSX_SY_EUlSX_E_NS1_11comp_targetILNS1_3genE0ELNS1_11target_archE4294967295ELNS1_3gpuE0ELNS1_3repE0EEENS1_30default_config_static_selectorELNS0_4arch9wavefront6targetE1EEEvT1_
                                        ; -- End function
	.set _ZN7rocprim17ROCPRIM_400000_NS6detail17trampoline_kernelINS0_14default_configENS1_29reduce_by_key_config_selectorIllN6thrust23THRUST_200600_302600_NS4plusIlEEEEZZNS1_33reduce_by_key_impl_wrapped_configILNS1_25lookback_scan_determinismE0ES3_S9_PlNS6_17constant_iteratorIiNS6_11use_defaultESE_EENS6_10device_ptrIlEESH_PmS8_NS6_8equal_toIlEEEE10hipError_tPvRmT2_T3_mT4_T5_T6_T7_T8_P12ihipStream_tbENKUlT_T0_E_clISt17integral_constantIbLb0EES11_IbLb1EEEEDaSX_SY_EUlSX_E_NS1_11comp_targetILNS1_3genE0ELNS1_11target_archE4294967295ELNS1_3gpuE0ELNS1_3repE0EEENS1_30default_config_static_selectorELNS0_4arch9wavefront6targetE1EEEvT1_.num_vgpr, 0
	.set _ZN7rocprim17ROCPRIM_400000_NS6detail17trampoline_kernelINS0_14default_configENS1_29reduce_by_key_config_selectorIllN6thrust23THRUST_200600_302600_NS4plusIlEEEEZZNS1_33reduce_by_key_impl_wrapped_configILNS1_25lookback_scan_determinismE0ES3_S9_PlNS6_17constant_iteratorIiNS6_11use_defaultESE_EENS6_10device_ptrIlEESH_PmS8_NS6_8equal_toIlEEEE10hipError_tPvRmT2_T3_mT4_T5_T6_T7_T8_P12ihipStream_tbENKUlT_T0_E_clISt17integral_constantIbLb0EES11_IbLb1EEEEDaSX_SY_EUlSX_E_NS1_11comp_targetILNS1_3genE0ELNS1_11target_archE4294967295ELNS1_3gpuE0ELNS1_3repE0EEENS1_30default_config_static_selectorELNS0_4arch9wavefront6targetE1EEEvT1_.num_agpr, 0
	.set _ZN7rocprim17ROCPRIM_400000_NS6detail17trampoline_kernelINS0_14default_configENS1_29reduce_by_key_config_selectorIllN6thrust23THRUST_200600_302600_NS4plusIlEEEEZZNS1_33reduce_by_key_impl_wrapped_configILNS1_25lookback_scan_determinismE0ES3_S9_PlNS6_17constant_iteratorIiNS6_11use_defaultESE_EENS6_10device_ptrIlEESH_PmS8_NS6_8equal_toIlEEEE10hipError_tPvRmT2_T3_mT4_T5_T6_T7_T8_P12ihipStream_tbENKUlT_T0_E_clISt17integral_constantIbLb0EES11_IbLb1EEEEDaSX_SY_EUlSX_E_NS1_11comp_targetILNS1_3genE0ELNS1_11target_archE4294967295ELNS1_3gpuE0ELNS1_3repE0EEENS1_30default_config_static_selectorELNS0_4arch9wavefront6targetE1EEEvT1_.numbered_sgpr, 0
	.set _ZN7rocprim17ROCPRIM_400000_NS6detail17trampoline_kernelINS0_14default_configENS1_29reduce_by_key_config_selectorIllN6thrust23THRUST_200600_302600_NS4plusIlEEEEZZNS1_33reduce_by_key_impl_wrapped_configILNS1_25lookback_scan_determinismE0ES3_S9_PlNS6_17constant_iteratorIiNS6_11use_defaultESE_EENS6_10device_ptrIlEESH_PmS8_NS6_8equal_toIlEEEE10hipError_tPvRmT2_T3_mT4_T5_T6_T7_T8_P12ihipStream_tbENKUlT_T0_E_clISt17integral_constantIbLb0EES11_IbLb1EEEEDaSX_SY_EUlSX_E_NS1_11comp_targetILNS1_3genE0ELNS1_11target_archE4294967295ELNS1_3gpuE0ELNS1_3repE0EEENS1_30default_config_static_selectorELNS0_4arch9wavefront6targetE1EEEvT1_.num_named_barrier, 0
	.set _ZN7rocprim17ROCPRIM_400000_NS6detail17trampoline_kernelINS0_14default_configENS1_29reduce_by_key_config_selectorIllN6thrust23THRUST_200600_302600_NS4plusIlEEEEZZNS1_33reduce_by_key_impl_wrapped_configILNS1_25lookback_scan_determinismE0ES3_S9_PlNS6_17constant_iteratorIiNS6_11use_defaultESE_EENS6_10device_ptrIlEESH_PmS8_NS6_8equal_toIlEEEE10hipError_tPvRmT2_T3_mT4_T5_T6_T7_T8_P12ihipStream_tbENKUlT_T0_E_clISt17integral_constantIbLb0EES11_IbLb1EEEEDaSX_SY_EUlSX_E_NS1_11comp_targetILNS1_3genE0ELNS1_11target_archE4294967295ELNS1_3gpuE0ELNS1_3repE0EEENS1_30default_config_static_selectorELNS0_4arch9wavefront6targetE1EEEvT1_.private_seg_size, 0
	.set _ZN7rocprim17ROCPRIM_400000_NS6detail17trampoline_kernelINS0_14default_configENS1_29reduce_by_key_config_selectorIllN6thrust23THRUST_200600_302600_NS4plusIlEEEEZZNS1_33reduce_by_key_impl_wrapped_configILNS1_25lookback_scan_determinismE0ES3_S9_PlNS6_17constant_iteratorIiNS6_11use_defaultESE_EENS6_10device_ptrIlEESH_PmS8_NS6_8equal_toIlEEEE10hipError_tPvRmT2_T3_mT4_T5_T6_T7_T8_P12ihipStream_tbENKUlT_T0_E_clISt17integral_constantIbLb0EES11_IbLb1EEEEDaSX_SY_EUlSX_E_NS1_11comp_targetILNS1_3genE0ELNS1_11target_archE4294967295ELNS1_3gpuE0ELNS1_3repE0EEENS1_30default_config_static_selectorELNS0_4arch9wavefront6targetE1EEEvT1_.uses_vcc, 0
	.set _ZN7rocprim17ROCPRIM_400000_NS6detail17trampoline_kernelINS0_14default_configENS1_29reduce_by_key_config_selectorIllN6thrust23THRUST_200600_302600_NS4plusIlEEEEZZNS1_33reduce_by_key_impl_wrapped_configILNS1_25lookback_scan_determinismE0ES3_S9_PlNS6_17constant_iteratorIiNS6_11use_defaultESE_EENS6_10device_ptrIlEESH_PmS8_NS6_8equal_toIlEEEE10hipError_tPvRmT2_T3_mT4_T5_T6_T7_T8_P12ihipStream_tbENKUlT_T0_E_clISt17integral_constantIbLb0EES11_IbLb1EEEEDaSX_SY_EUlSX_E_NS1_11comp_targetILNS1_3genE0ELNS1_11target_archE4294967295ELNS1_3gpuE0ELNS1_3repE0EEENS1_30default_config_static_selectorELNS0_4arch9wavefront6targetE1EEEvT1_.uses_flat_scratch, 0
	.set _ZN7rocprim17ROCPRIM_400000_NS6detail17trampoline_kernelINS0_14default_configENS1_29reduce_by_key_config_selectorIllN6thrust23THRUST_200600_302600_NS4plusIlEEEEZZNS1_33reduce_by_key_impl_wrapped_configILNS1_25lookback_scan_determinismE0ES3_S9_PlNS6_17constant_iteratorIiNS6_11use_defaultESE_EENS6_10device_ptrIlEESH_PmS8_NS6_8equal_toIlEEEE10hipError_tPvRmT2_T3_mT4_T5_T6_T7_T8_P12ihipStream_tbENKUlT_T0_E_clISt17integral_constantIbLb0EES11_IbLb1EEEEDaSX_SY_EUlSX_E_NS1_11comp_targetILNS1_3genE0ELNS1_11target_archE4294967295ELNS1_3gpuE0ELNS1_3repE0EEENS1_30default_config_static_selectorELNS0_4arch9wavefront6targetE1EEEvT1_.has_dyn_sized_stack, 0
	.set _ZN7rocprim17ROCPRIM_400000_NS6detail17trampoline_kernelINS0_14default_configENS1_29reduce_by_key_config_selectorIllN6thrust23THRUST_200600_302600_NS4plusIlEEEEZZNS1_33reduce_by_key_impl_wrapped_configILNS1_25lookback_scan_determinismE0ES3_S9_PlNS6_17constant_iteratorIiNS6_11use_defaultESE_EENS6_10device_ptrIlEESH_PmS8_NS6_8equal_toIlEEEE10hipError_tPvRmT2_T3_mT4_T5_T6_T7_T8_P12ihipStream_tbENKUlT_T0_E_clISt17integral_constantIbLb0EES11_IbLb1EEEEDaSX_SY_EUlSX_E_NS1_11comp_targetILNS1_3genE0ELNS1_11target_archE4294967295ELNS1_3gpuE0ELNS1_3repE0EEENS1_30default_config_static_selectorELNS0_4arch9wavefront6targetE1EEEvT1_.has_recursion, 0
	.set _ZN7rocprim17ROCPRIM_400000_NS6detail17trampoline_kernelINS0_14default_configENS1_29reduce_by_key_config_selectorIllN6thrust23THRUST_200600_302600_NS4plusIlEEEEZZNS1_33reduce_by_key_impl_wrapped_configILNS1_25lookback_scan_determinismE0ES3_S9_PlNS6_17constant_iteratorIiNS6_11use_defaultESE_EENS6_10device_ptrIlEESH_PmS8_NS6_8equal_toIlEEEE10hipError_tPvRmT2_T3_mT4_T5_T6_T7_T8_P12ihipStream_tbENKUlT_T0_E_clISt17integral_constantIbLb0EES11_IbLb1EEEEDaSX_SY_EUlSX_E_NS1_11comp_targetILNS1_3genE0ELNS1_11target_archE4294967295ELNS1_3gpuE0ELNS1_3repE0EEENS1_30default_config_static_selectorELNS0_4arch9wavefront6targetE1EEEvT1_.has_indirect_call, 0
	.section	.AMDGPU.csdata,"",@progbits
; Kernel info:
; codeLenInByte = 0
; TotalNumSgprs: 4
; NumVgprs: 0
; ScratchSize: 0
; MemoryBound: 0
; FloatMode: 240
; IeeeMode: 1
; LDSByteSize: 0 bytes/workgroup (compile time only)
; SGPRBlocks: 0
; VGPRBlocks: 0
; NumSGPRsForWavesPerEU: 4
; NumVGPRsForWavesPerEU: 1
; Occupancy: 10
; WaveLimiterHint : 0
; COMPUTE_PGM_RSRC2:SCRATCH_EN: 0
; COMPUTE_PGM_RSRC2:USER_SGPR: 6
; COMPUTE_PGM_RSRC2:TRAP_HANDLER: 0
; COMPUTE_PGM_RSRC2:TGID_X_EN: 1
; COMPUTE_PGM_RSRC2:TGID_Y_EN: 0
; COMPUTE_PGM_RSRC2:TGID_Z_EN: 0
; COMPUTE_PGM_RSRC2:TIDIG_COMP_CNT: 0
	.section	.text._ZN7rocprim17ROCPRIM_400000_NS6detail17trampoline_kernelINS0_14default_configENS1_29reduce_by_key_config_selectorIllN6thrust23THRUST_200600_302600_NS4plusIlEEEEZZNS1_33reduce_by_key_impl_wrapped_configILNS1_25lookback_scan_determinismE0ES3_S9_PlNS6_17constant_iteratorIiNS6_11use_defaultESE_EENS6_10device_ptrIlEESH_PmS8_NS6_8equal_toIlEEEE10hipError_tPvRmT2_T3_mT4_T5_T6_T7_T8_P12ihipStream_tbENKUlT_T0_E_clISt17integral_constantIbLb0EES11_IbLb1EEEEDaSX_SY_EUlSX_E_NS1_11comp_targetILNS1_3genE5ELNS1_11target_archE942ELNS1_3gpuE9ELNS1_3repE0EEENS1_30default_config_static_selectorELNS0_4arch9wavefront6targetE1EEEvT1_,"axG",@progbits,_ZN7rocprim17ROCPRIM_400000_NS6detail17trampoline_kernelINS0_14default_configENS1_29reduce_by_key_config_selectorIllN6thrust23THRUST_200600_302600_NS4plusIlEEEEZZNS1_33reduce_by_key_impl_wrapped_configILNS1_25lookback_scan_determinismE0ES3_S9_PlNS6_17constant_iteratorIiNS6_11use_defaultESE_EENS6_10device_ptrIlEESH_PmS8_NS6_8equal_toIlEEEE10hipError_tPvRmT2_T3_mT4_T5_T6_T7_T8_P12ihipStream_tbENKUlT_T0_E_clISt17integral_constantIbLb0EES11_IbLb1EEEEDaSX_SY_EUlSX_E_NS1_11comp_targetILNS1_3genE5ELNS1_11target_archE942ELNS1_3gpuE9ELNS1_3repE0EEENS1_30default_config_static_selectorELNS0_4arch9wavefront6targetE1EEEvT1_,comdat
	.protected	_ZN7rocprim17ROCPRIM_400000_NS6detail17trampoline_kernelINS0_14default_configENS1_29reduce_by_key_config_selectorIllN6thrust23THRUST_200600_302600_NS4plusIlEEEEZZNS1_33reduce_by_key_impl_wrapped_configILNS1_25lookback_scan_determinismE0ES3_S9_PlNS6_17constant_iteratorIiNS6_11use_defaultESE_EENS6_10device_ptrIlEESH_PmS8_NS6_8equal_toIlEEEE10hipError_tPvRmT2_T3_mT4_T5_T6_T7_T8_P12ihipStream_tbENKUlT_T0_E_clISt17integral_constantIbLb0EES11_IbLb1EEEEDaSX_SY_EUlSX_E_NS1_11comp_targetILNS1_3genE5ELNS1_11target_archE942ELNS1_3gpuE9ELNS1_3repE0EEENS1_30default_config_static_selectorELNS0_4arch9wavefront6targetE1EEEvT1_ ; -- Begin function _ZN7rocprim17ROCPRIM_400000_NS6detail17trampoline_kernelINS0_14default_configENS1_29reduce_by_key_config_selectorIllN6thrust23THRUST_200600_302600_NS4plusIlEEEEZZNS1_33reduce_by_key_impl_wrapped_configILNS1_25lookback_scan_determinismE0ES3_S9_PlNS6_17constant_iteratorIiNS6_11use_defaultESE_EENS6_10device_ptrIlEESH_PmS8_NS6_8equal_toIlEEEE10hipError_tPvRmT2_T3_mT4_T5_T6_T7_T8_P12ihipStream_tbENKUlT_T0_E_clISt17integral_constantIbLb0EES11_IbLb1EEEEDaSX_SY_EUlSX_E_NS1_11comp_targetILNS1_3genE5ELNS1_11target_archE942ELNS1_3gpuE9ELNS1_3repE0EEENS1_30default_config_static_selectorELNS0_4arch9wavefront6targetE1EEEvT1_
	.globl	_ZN7rocprim17ROCPRIM_400000_NS6detail17trampoline_kernelINS0_14default_configENS1_29reduce_by_key_config_selectorIllN6thrust23THRUST_200600_302600_NS4plusIlEEEEZZNS1_33reduce_by_key_impl_wrapped_configILNS1_25lookback_scan_determinismE0ES3_S9_PlNS6_17constant_iteratorIiNS6_11use_defaultESE_EENS6_10device_ptrIlEESH_PmS8_NS6_8equal_toIlEEEE10hipError_tPvRmT2_T3_mT4_T5_T6_T7_T8_P12ihipStream_tbENKUlT_T0_E_clISt17integral_constantIbLb0EES11_IbLb1EEEEDaSX_SY_EUlSX_E_NS1_11comp_targetILNS1_3genE5ELNS1_11target_archE942ELNS1_3gpuE9ELNS1_3repE0EEENS1_30default_config_static_selectorELNS0_4arch9wavefront6targetE1EEEvT1_
	.p2align	8
	.type	_ZN7rocprim17ROCPRIM_400000_NS6detail17trampoline_kernelINS0_14default_configENS1_29reduce_by_key_config_selectorIllN6thrust23THRUST_200600_302600_NS4plusIlEEEEZZNS1_33reduce_by_key_impl_wrapped_configILNS1_25lookback_scan_determinismE0ES3_S9_PlNS6_17constant_iteratorIiNS6_11use_defaultESE_EENS6_10device_ptrIlEESH_PmS8_NS6_8equal_toIlEEEE10hipError_tPvRmT2_T3_mT4_T5_T6_T7_T8_P12ihipStream_tbENKUlT_T0_E_clISt17integral_constantIbLb0EES11_IbLb1EEEEDaSX_SY_EUlSX_E_NS1_11comp_targetILNS1_3genE5ELNS1_11target_archE942ELNS1_3gpuE9ELNS1_3repE0EEENS1_30default_config_static_selectorELNS0_4arch9wavefront6targetE1EEEvT1_,@function
_ZN7rocprim17ROCPRIM_400000_NS6detail17trampoline_kernelINS0_14default_configENS1_29reduce_by_key_config_selectorIllN6thrust23THRUST_200600_302600_NS4plusIlEEEEZZNS1_33reduce_by_key_impl_wrapped_configILNS1_25lookback_scan_determinismE0ES3_S9_PlNS6_17constant_iteratorIiNS6_11use_defaultESE_EENS6_10device_ptrIlEESH_PmS8_NS6_8equal_toIlEEEE10hipError_tPvRmT2_T3_mT4_T5_T6_T7_T8_P12ihipStream_tbENKUlT_T0_E_clISt17integral_constantIbLb0EES11_IbLb1EEEEDaSX_SY_EUlSX_E_NS1_11comp_targetILNS1_3genE5ELNS1_11target_archE942ELNS1_3gpuE9ELNS1_3repE0EEENS1_30default_config_static_selectorELNS0_4arch9wavefront6targetE1EEEvT1_: ; @_ZN7rocprim17ROCPRIM_400000_NS6detail17trampoline_kernelINS0_14default_configENS1_29reduce_by_key_config_selectorIllN6thrust23THRUST_200600_302600_NS4plusIlEEEEZZNS1_33reduce_by_key_impl_wrapped_configILNS1_25lookback_scan_determinismE0ES3_S9_PlNS6_17constant_iteratorIiNS6_11use_defaultESE_EENS6_10device_ptrIlEESH_PmS8_NS6_8equal_toIlEEEE10hipError_tPvRmT2_T3_mT4_T5_T6_T7_T8_P12ihipStream_tbENKUlT_T0_E_clISt17integral_constantIbLb0EES11_IbLb1EEEEDaSX_SY_EUlSX_E_NS1_11comp_targetILNS1_3genE5ELNS1_11target_archE942ELNS1_3gpuE9ELNS1_3repE0EEENS1_30default_config_static_selectorELNS0_4arch9wavefront6targetE1EEEvT1_
; %bb.0:
	.section	.rodata,"a",@progbits
	.p2align	6, 0x0
	.amdhsa_kernel _ZN7rocprim17ROCPRIM_400000_NS6detail17trampoline_kernelINS0_14default_configENS1_29reduce_by_key_config_selectorIllN6thrust23THRUST_200600_302600_NS4plusIlEEEEZZNS1_33reduce_by_key_impl_wrapped_configILNS1_25lookback_scan_determinismE0ES3_S9_PlNS6_17constant_iteratorIiNS6_11use_defaultESE_EENS6_10device_ptrIlEESH_PmS8_NS6_8equal_toIlEEEE10hipError_tPvRmT2_T3_mT4_T5_T6_T7_T8_P12ihipStream_tbENKUlT_T0_E_clISt17integral_constantIbLb0EES11_IbLb1EEEEDaSX_SY_EUlSX_E_NS1_11comp_targetILNS1_3genE5ELNS1_11target_archE942ELNS1_3gpuE9ELNS1_3repE0EEENS1_30default_config_static_selectorELNS0_4arch9wavefront6targetE1EEEvT1_
		.amdhsa_group_segment_fixed_size 0
		.amdhsa_private_segment_fixed_size 0
		.amdhsa_kernarg_size 144
		.amdhsa_user_sgpr_count 6
		.amdhsa_user_sgpr_private_segment_buffer 1
		.amdhsa_user_sgpr_dispatch_ptr 0
		.amdhsa_user_sgpr_queue_ptr 0
		.amdhsa_user_sgpr_kernarg_segment_ptr 1
		.amdhsa_user_sgpr_dispatch_id 0
		.amdhsa_user_sgpr_flat_scratch_init 0
		.amdhsa_user_sgpr_private_segment_size 0
		.amdhsa_uses_dynamic_stack 0
		.amdhsa_system_sgpr_private_segment_wavefront_offset 0
		.amdhsa_system_sgpr_workgroup_id_x 1
		.amdhsa_system_sgpr_workgroup_id_y 0
		.amdhsa_system_sgpr_workgroup_id_z 0
		.amdhsa_system_sgpr_workgroup_info 0
		.amdhsa_system_vgpr_workitem_id 0
		.amdhsa_next_free_vgpr 1
		.amdhsa_next_free_sgpr 0
		.amdhsa_reserve_vcc 0
		.amdhsa_reserve_flat_scratch 0
		.amdhsa_float_round_mode_32 0
		.amdhsa_float_round_mode_16_64 0
		.amdhsa_float_denorm_mode_32 3
		.amdhsa_float_denorm_mode_16_64 3
		.amdhsa_dx10_clamp 1
		.amdhsa_ieee_mode 1
		.amdhsa_fp16_overflow 0
		.amdhsa_exception_fp_ieee_invalid_op 0
		.amdhsa_exception_fp_denorm_src 0
		.amdhsa_exception_fp_ieee_div_zero 0
		.amdhsa_exception_fp_ieee_overflow 0
		.amdhsa_exception_fp_ieee_underflow 0
		.amdhsa_exception_fp_ieee_inexact 0
		.amdhsa_exception_int_div_zero 0
	.end_amdhsa_kernel
	.section	.text._ZN7rocprim17ROCPRIM_400000_NS6detail17trampoline_kernelINS0_14default_configENS1_29reduce_by_key_config_selectorIllN6thrust23THRUST_200600_302600_NS4plusIlEEEEZZNS1_33reduce_by_key_impl_wrapped_configILNS1_25lookback_scan_determinismE0ES3_S9_PlNS6_17constant_iteratorIiNS6_11use_defaultESE_EENS6_10device_ptrIlEESH_PmS8_NS6_8equal_toIlEEEE10hipError_tPvRmT2_T3_mT4_T5_T6_T7_T8_P12ihipStream_tbENKUlT_T0_E_clISt17integral_constantIbLb0EES11_IbLb1EEEEDaSX_SY_EUlSX_E_NS1_11comp_targetILNS1_3genE5ELNS1_11target_archE942ELNS1_3gpuE9ELNS1_3repE0EEENS1_30default_config_static_selectorELNS0_4arch9wavefront6targetE1EEEvT1_,"axG",@progbits,_ZN7rocprim17ROCPRIM_400000_NS6detail17trampoline_kernelINS0_14default_configENS1_29reduce_by_key_config_selectorIllN6thrust23THRUST_200600_302600_NS4plusIlEEEEZZNS1_33reduce_by_key_impl_wrapped_configILNS1_25lookback_scan_determinismE0ES3_S9_PlNS6_17constant_iteratorIiNS6_11use_defaultESE_EENS6_10device_ptrIlEESH_PmS8_NS6_8equal_toIlEEEE10hipError_tPvRmT2_T3_mT4_T5_T6_T7_T8_P12ihipStream_tbENKUlT_T0_E_clISt17integral_constantIbLb0EES11_IbLb1EEEEDaSX_SY_EUlSX_E_NS1_11comp_targetILNS1_3genE5ELNS1_11target_archE942ELNS1_3gpuE9ELNS1_3repE0EEENS1_30default_config_static_selectorELNS0_4arch9wavefront6targetE1EEEvT1_,comdat
.Lfunc_end1232:
	.size	_ZN7rocprim17ROCPRIM_400000_NS6detail17trampoline_kernelINS0_14default_configENS1_29reduce_by_key_config_selectorIllN6thrust23THRUST_200600_302600_NS4plusIlEEEEZZNS1_33reduce_by_key_impl_wrapped_configILNS1_25lookback_scan_determinismE0ES3_S9_PlNS6_17constant_iteratorIiNS6_11use_defaultESE_EENS6_10device_ptrIlEESH_PmS8_NS6_8equal_toIlEEEE10hipError_tPvRmT2_T3_mT4_T5_T6_T7_T8_P12ihipStream_tbENKUlT_T0_E_clISt17integral_constantIbLb0EES11_IbLb1EEEEDaSX_SY_EUlSX_E_NS1_11comp_targetILNS1_3genE5ELNS1_11target_archE942ELNS1_3gpuE9ELNS1_3repE0EEENS1_30default_config_static_selectorELNS0_4arch9wavefront6targetE1EEEvT1_, .Lfunc_end1232-_ZN7rocprim17ROCPRIM_400000_NS6detail17trampoline_kernelINS0_14default_configENS1_29reduce_by_key_config_selectorIllN6thrust23THRUST_200600_302600_NS4plusIlEEEEZZNS1_33reduce_by_key_impl_wrapped_configILNS1_25lookback_scan_determinismE0ES3_S9_PlNS6_17constant_iteratorIiNS6_11use_defaultESE_EENS6_10device_ptrIlEESH_PmS8_NS6_8equal_toIlEEEE10hipError_tPvRmT2_T3_mT4_T5_T6_T7_T8_P12ihipStream_tbENKUlT_T0_E_clISt17integral_constantIbLb0EES11_IbLb1EEEEDaSX_SY_EUlSX_E_NS1_11comp_targetILNS1_3genE5ELNS1_11target_archE942ELNS1_3gpuE9ELNS1_3repE0EEENS1_30default_config_static_selectorELNS0_4arch9wavefront6targetE1EEEvT1_
                                        ; -- End function
	.set _ZN7rocprim17ROCPRIM_400000_NS6detail17trampoline_kernelINS0_14default_configENS1_29reduce_by_key_config_selectorIllN6thrust23THRUST_200600_302600_NS4plusIlEEEEZZNS1_33reduce_by_key_impl_wrapped_configILNS1_25lookback_scan_determinismE0ES3_S9_PlNS6_17constant_iteratorIiNS6_11use_defaultESE_EENS6_10device_ptrIlEESH_PmS8_NS6_8equal_toIlEEEE10hipError_tPvRmT2_T3_mT4_T5_T6_T7_T8_P12ihipStream_tbENKUlT_T0_E_clISt17integral_constantIbLb0EES11_IbLb1EEEEDaSX_SY_EUlSX_E_NS1_11comp_targetILNS1_3genE5ELNS1_11target_archE942ELNS1_3gpuE9ELNS1_3repE0EEENS1_30default_config_static_selectorELNS0_4arch9wavefront6targetE1EEEvT1_.num_vgpr, 0
	.set _ZN7rocprim17ROCPRIM_400000_NS6detail17trampoline_kernelINS0_14default_configENS1_29reduce_by_key_config_selectorIllN6thrust23THRUST_200600_302600_NS4plusIlEEEEZZNS1_33reduce_by_key_impl_wrapped_configILNS1_25lookback_scan_determinismE0ES3_S9_PlNS6_17constant_iteratorIiNS6_11use_defaultESE_EENS6_10device_ptrIlEESH_PmS8_NS6_8equal_toIlEEEE10hipError_tPvRmT2_T3_mT4_T5_T6_T7_T8_P12ihipStream_tbENKUlT_T0_E_clISt17integral_constantIbLb0EES11_IbLb1EEEEDaSX_SY_EUlSX_E_NS1_11comp_targetILNS1_3genE5ELNS1_11target_archE942ELNS1_3gpuE9ELNS1_3repE0EEENS1_30default_config_static_selectorELNS0_4arch9wavefront6targetE1EEEvT1_.num_agpr, 0
	.set _ZN7rocprim17ROCPRIM_400000_NS6detail17trampoline_kernelINS0_14default_configENS1_29reduce_by_key_config_selectorIllN6thrust23THRUST_200600_302600_NS4plusIlEEEEZZNS1_33reduce_by_key_impl_wrapped_configILNS1_25lookback_scan_determinismE0ES3_S9_PlNS6_17constant_iteratorIiNS6_11use_defaultESE_EENS6_10device_ptrIlEESH_PmS8_NS6_8equal_toIlEEEE10hipError_tPvRmT2_T3_mT4_T5_T6_T7_T8_P12ihipStream_tbENKUlT_T0_E_clISt17integral_constantIbLb0EES11_IbLb1EEEEDaSX_SY_EUlSX_E_NS1_11comp_targetILNS1_3genE5ELNS1_11target_archE942ELNS1_3gpuE9ELNS1_3repE0EEENS1_30default_config_static_selectorELNS0_4arch9wavefront6targetE1EEEvT1_.numbered_sgpr, 0
	.set _ZN7rocprim17ROCPRIM_400000_NS6detail17trampoline_kernelINS0_14default_configENS1_29reduce_by_key_config_selectorIllN6thrust23THRUST_200600_302600_NS4plusIlEEEEZZNS1_33reduce_by_key_impl_wrapped_configILNS1_25lookback_scan_determinismE0ES3_S9_PlNS6_17constant_iteratorIiNS6_11use_defaultESE_EENS6_10device_ptrIlEESH_PmS8_NS6_8equal_toIlEEEE10hipError_tPvRmT2_T3_mT4_T5_T6_T7_T8_P12ihipStream_tbENKUlT_T0_E_clISt17integral_constantIbLb0EES11_IbLb1EEEEDaSX_SY_EUlSX_E_NS1_11comp_targetILNS1_3genE5ELNS1_11target_archE942ELNS1_3gpuE9ELNS1_3repE0EEENS1_30default_config_static_selectorELNS0_4arch9wavefront6targetE1EEEvT1_.num_named_barrier, 0
	.set _ZN7rocprim17ROCPRIM_400000_NS6detail17trampoline_kernelINS0_14default_configENS1_29reduce_by_key_config_selectorIllN6thrust23THRUST_200600_302600_NS4plusIlEEEEZZNS1_33reduce_by_key_impl_wrapped_configILNS1_25lookback_scan_determinismE0ES3_S9_PlNS6_17constant_iteratorIiNS6_11use_defaultESE_EENS6_10device_ptrIlEESH_PmS8_NS6_8equal_toIlEEEE10hipError_tPvRmT2_T3_mT4_T5_T6_T7_T8_P12ihipStream_tbENKUlT_T0_E_clISt17integral_constantIbLb0EES11_IbLb1EEEEDaSX_SY_EUlSX_E_NS1_11comp_targetILNS1_3genE5ELNS1_11target_archE942ELNS1_3gpuE9ELNS1_3repE0EEENS1_30default_config_static_selectorELNS0_4arch9wavefront6targetE1EEEvT1_.private_seg_size, 0
	.set _ZN7rocprim17ROCPRIM_400000_NS6detail17trampoline_kernelINS0_14default_configENS1_29reduce_by_key_config_selectorIllN6thrust23THRUST_200600_302600_NS4plusIlEEEEZZNS1_33reduce_by_key_impl_wrapped_configILNS1_25lookback_scan_determinismE0ES3_S9_PlNS6_17constant_iteratorIiNS6_11use_defaultESE_EENS6_10device_ptrIlEESH_PmS8_NS6_8equal_toIlEEEE10hipError_tPvRmT2_T3_mT4_T5_T6_T7_T8_P12ihipStream_tbENKUlT_T0_E_clISt17integral_constantIbLb0EES11_IbLb1EEEEDaSX_SY_EUlSX_E_NS1_11comp_targetILNS1_3genE5ELNS1_11target_archE942ELNS1_3gpuE9ELNS1_3repE0EEENS1_30default_config_static_selectorELNS0_4arch9wavefront6targetE1EEEvT1_.uses_vcc, 0
	.set _ZN7rocprim17ROCPRIM_400000_NS6detail17trampoline_kernelINS0_14default_configENS1_29reduce_by_key_config_selectorIllN6thrust23THRUST_200600_302600_NS4plusIlEEEEZZNS1_33reduce_by_key_impl_wrapped_configILNS1_25lookback_scan_determinismE0ES3_S9_PlNS6_17constant_iteratorIiNS6_11use_defaultESE_EENS6_10device_ptrIlEESH_PmS8_NS6_8equal_toIlEEEE10hipError_tPvRmT2_T3_mT4_T5_T6_T7_T8_P12ihipStream_tbENKUlT_T0_E_clISt17integral_constantIbLb0EES11_IbLb1EEEEDaSX_SY_EUlSX_E_NS1_11comp_targetILNS1_3genE5ELNS1_11target_archE942ELNS1_3gpuE9ELNS1_3repE0EEENS1_30default_config_static_selectorELNS0_4arch9wavefront6targetE1EEEvT1_.uses_flat_scratch, 0
	.set _ZN7rocprim17ROCPRIM_400000_NS6detail17trampoline_kernelINS0_14default_configENS1_29reduce_by_key_config_selectorIllN6thrust23THRUST_200600_302600_NS4plusIlEEEEZZNS1_33reduce_by_key_impl_wrapped_configILNS1_25lookback_scan_determinismE0ES3_S9_PlNS6_17constant_iteratorIiNS6_11use_defaultESE_EENS6_10device_ptrIlEESH_PmS8_NS6_8equal_toIlEEEE10hipError_tPvRmT2_T3_mT4_T5_T6_T7_T8_P12ihipStream_tbENKUlT_T0_E_clISt17integral_constantIbLb0EES11_IbLb1EEEEDaSX_SY_EUlSX_E_NS1_11comp_targetILNS1_3genE5ELNS1_11target_archE942ELNS1_3gpuE9ELNS1_3repE0EEENS1_30default_config_static_selectorELNS0_4arch9wavefront6targetE1EEEvT1_.has_dyn_sized_stack, 0
	.set _ZN7rocprim17ROCPRIM_400000_NS6detail17trampoline_kernelINS0_14default_configENS1_29reduce_by_key_config_selectorIllN6thrust23THRUST_200600_302600_NS4plusIlEEEEZZNS1_33reduce_by_key_impl_wrapped_configILNS1_25lookback_scan_determinismE0ES3_S9_PlNS6_17constant_iteratorIiNS6_11use_defaultESE_EENS6_10device_ptrIlEESH_PmS8_NS6_8equal_toIlEEEE10hipError_tPvRmT2_T3_mT4_T5_T6_T7_T8_P12ihipStream_tbENKUlT_T0_E_clISt17integral_constantIbLb0EES11_IbLb1EEEEDaSX_SY_EUlSX_E_NS1_11comp_targetILNS1_3genE5ELNS1_11target_archE942ELNS1_3gpuE9ELNS1_3repE0EEENS1_30default_config_static_selectorELNS0_4arch9wavefront6targetE1EEEvT1_.has_recursion, 0
	.set _ZN7rocprim17ROCPRIM_400000_NS6detail17trampoline_kernelINS0_14default_configENS1_29reduce_by_key_config_selectorIllN6thrust23THRUST_200600_302600_NS4plusIlEEEEZZNS1_33reduce_by_key_impl_wrapped_configILNS1_25lookback_scan_determinismE0ES3_S9_PlNS6_17constant_iteratorIiNS6_11use_defaultESE_EENS6_10device_ptrIlEESH_PmS8_NS6_8equal_toIlEEEE10hipError_tPvRmT2_T3_mT4_T5_T6_T7_T8_P12ihipStream_tbENKUlT_T0_E_clISt17integral_constantIbLb0EES11_IbLb1EEEEDaSX_SY_EUlSX_E_NS1_11comp_targetILNS1_3genE5ELNS1_11target_archE942ELNS1_3gpuE9ELNS1_3repE0EEENS1_30default_config_static_selectorELNS0_4arch9wavefront6targetE1EEEvT1_.has_indirect_call, 0
	.section	.AMDGPU.csdata,"",@progbits
; Kernel info:
; codeLenInByte = 0
; TotalNumSgprs: 4
; NumVgprs: 0
; ScratchSize: 0
; MemoryBound: 0
; FloatMode: 240
; IeeeMode: 1
; LDSByteSize: 0 bytes/workgroup (compile time only)
; SGPRBlocks: 0
; VGPRBlocks: 0
; NumSGPRsForWavesPerEU: 4
; NumVGPRsForWavesPerEU: 1
; Occupancy: 10
; WaveLimiterHint : 0
; COMPUTE_PGM_RSRC2:SCRATCH_EN: 0
; COMPUTE_PGM_RSRC2:USER_SGPR: 6
; COMPUTE_PGM_RSRC2:TRAP_HANDLER: 0
; COMPUTE_PGM_RSRC2:TGID_X_EN: 1
; COMPUTE_PGM_RSRC2:TGID_Y_EN: 0
; COMPUTE_PGM_RSRC2:TGID_Z_EN: 0
; COMPUTE_PGM_RSRC2:TIDIG_COMP_CNT: 0
	.section	.text._ZN7rocprim17ROCPRIM_400000_NS6detail17trampoline_kernelINS0_14default_configENS1_29reduce_by_key_config_selectorIllN6thrust23THRUST_200600_302600_NS4plusIlEEEEZZNS1_33reduce_by_key_impl_wrapped_configILNS1_25lookback_scan_determinismE0ES3_S9_PlNS6_17constant_iteratorIiNS6_11use_defaultESE_EENS6_10device_ptrIlEESH_PmS8_NS6_8equal_toIlEEEE10hipError_tPvRmT2_T3_mT4_T5_T6_T7_T8_P12ihipStream_tbENKUlT_T0_E_clISt17integral_constantIbLb0EES11_IbLb1EEEEDaSX_SY_EUlSX_E_NS1_11comp_targetILNS1_3genE4ELNS1_11target_archE910ELNS1_3gpuE8ELNS1_3repE0EEENS1_30default_config_static_selectorELNS0_4arch9wavefront6targetE1EEEvT1_,"axG",@progbits,_ZN7rocprim17ROCPRIM_400000_NS6detail17trampoline_kernelINS0_14default_configENS1_29reduce_by_key_config_selectorIllN6thrust23THRUST_200600_302600_NS4plusIlEEEEZZNS1_33reduce_by_key_impl_wrapped_configILNS1_25lookback_scan_determinismE0ES3_S9_PlNS6_17constant_iteratorIiNS6_11use_defaultESE_EENS6_10device_ptrIlEESH_PmS8_NS6_8equal_toIlEEEE10hipError_tPvRmT2_T3_mT4_T5_T6_T7_T8_P12ihipStream_tbENKUlT_T0_E_clISt17integral_constantIbLb0EES11_IbLb1EEEEDaSX_SY_EUlSX_E_NS1_11comp_targetILNS1_3genE4ELNS1_11target_archE910ELNS1_3gpuE8ELNS1_3repE0EEENS1_30default_config_static_selectorELNS0_4arch9wavefront6targetE1EEEvT1_,comdat
	.protected	_ZN7rocprim17ROCPRIM_400000_NS6detail17trampoline_kernelINS0_14default_configENS1_29reduce_by_key_config_selectorIllN6thrust23THRUST_200600_302600_NS4plusIlEEEEZZNS1_33reduce_by_key_impl_wrapped_configILNS1_25lookback_scan_determinismE0ES3_S9_PlNS6_17constant_iteratorIiNS6_11use_defaultESE_EENS6_10device_ptrIlEESH_PmS8_NS6_8equal_toIlEEEE10hipError_tPvRmT2_T3_mT4_T5_T6_T7_T8_P12ihipStream_tbENKUlT_T0_E_clISt17integral_constantIbLb0EES11_IbLb1EEEEDaSX_SY_EUlSX_E_NS1_11comp_targetILNS1_3genE4ELNS1_11target_archE910ELNS1_3gpuE8ELNS1_3repE0EEENS1_30default_config_static_selectorELNS0_4arch9wavefront6targetE1EEEvT1_ ; -- Begin function _ZN7rocprim17ROCPRIM_400000_NS6detail17trampoline_kernelINS0_14default_configENS1_29reduce_by_key_config_selectorIllN6thrust23THRUST_200600_302600_NS4plusIlEEEEZZNS1_33reduce_by_key_impl_wrapped_configILNS1_25lookback_scan_determinismE0ES3_S9_PlNS6_17constant_iteratorIiNS6_11use_defaultESE_EENS6_10device_ptrIlEESH_PmS8_NS6_8equal_toIlEEEE10hipError_tPvRmT2_T3_mT4_T5_T6_T7_T8_P12ihipStream_tbENKUlT_T0_E_clISt17integral_constantIbLb0EES11_IbLb1EEEEDaSX_SY_EUlSX_E_NS1_11comp_targetILNS1_3genE4ELNS1_11target_archE910ELNS1_3gpuE8ELNS1_3repE0EEENS1_30default_config_static_selectorELNS0_4arch9wavefront6targetE1EEEvT1_
	.globl	_ZN7rocprim17ROCPRIM_400000_NS6detail17trampoline_kernelINS0_14default_configENS1_29reduce_by_key_config_selectorIllN6thrust23THRUST_200600_302600_NS4plusIlEEEEZZNS1_33reduce_by_key_impl_wrapped_configILNS1_25lookback_scan_determinismE0ES3_S9_PlNS6_17constant_iteratorIiNS6_11use_defaultESE_EENS6_10device_ptrIlEESH_PmS8_NS6_8equal_toIlEEEE10hipError_tPvRmT2_T3_mT4_T5_T6_T7_T8_P12ihipStream_tbENKUlT_T0_E_clISt17integral_constantIbLb0EES11_IbLb1EEEEDaSX_SY_EUlSX_E_NS1_11comp_targetILNS1_3genE4ELNS1_11target_archE910ELNS1_3gpuE8ELNS1_3repE0EEENS1_30default_config_static_selectorELNS0_4arch9wavefront6targetE1EEEvT1_
	.p2align	8
	.type	_ZN7rocprim17ROCPRIM_400000_NS6detail17trampoline_kernelINS0_14default_configENS1_29reduce_by_key_config_selectorIllN6thrust23THRUST_200600_302600_NS4plusIlEEEEZZNS1_33reduce_by_key_impl_wrapped_configILNS1_25lookback_scan_determinismE0ES3_S9_PlNS6_17constant_iteratorIiNS6_11use_defaultESE_EENS6_10device_ptrIlEESH_PmS8_NS6_8equal_toIlEEEE10hipError_tPvRmT2_T3_mT4_T5_T6_T7_T8_P12ihipStream_tbENKUlT_T0_E_clISt17integral_constantIbLb0EES11_IbLb1EEEEDaSX_SY_EUlSX_E_NS1_11comp_targetILNS1_3genE4ELNS1_11target_archE910ELNS1_3gpuE8ELNS1_3repE0EEENS1_30default_config_static_selectorELNS0_4arch9wavefront6targetE1EEEvT1_,@function
_ZN7rocprim17ROCPRIM_400000_NS6detail17trampoline_kernelINS0_14default_configENS1_29reduce_by_key_config_selectorIllN6thrust23THRUST_200600_302600_NS4plusIlEEEEZZNS1_33reduce_by_key_impl_wrapped_configILNS1_25lookback_scan_determinismE0ES3_S9_PlNS6_17constant_iteratorIiNS6_11use_defaultESE_EENS6_10device_ptrIlEESH_PmS8_NS6_8equal_toIlEEEE10hipError_tPvRmT2_T3_mT4_T5_T6_T7_T8_P12ihipStream_tbENKUlT_T0_E_clISt17integral_constantIbLb0EES11_IbLb1EEEEDaSX_SY_EUlSX_E_NS1_11comp_targetILNS1_3genE4ELNS1_11target_archE910ELNS1_3gpuE8ELNS1_3repE0EEENS1_30default_config_static_selectorELNS0_4arch9wavefront6targetE1EEEvT1_: ; @_ZN7rocprim17ROCPRIM_400000_NS6detail17trampoline_kernelINS0_14default_configENS1_29reduce_by_key_config_selectorIllN6thrust23THRUST_200600_302600_NS4plusIlEEEEZZNS1_33reduce_by_key_impl_wrapped_configILNS1_25lookback_scan_determinismE0ES3_S9_PlNS6_17constant_iteratorIiNS6_11use_defaultESE_EENS6_10device_ptrIlEESH_PmS8_NS6_8equal_toIlEEEE10hipError_tPvRmT2_T3_mT4_T5_T6_T7_T8_P12ihipStream_tbENKUlT_T0_E_clISt17integral_constantIbLb0EES11_IbLb1EEEEDaSX_SY_EUlSX_E_NS1_11comp_targetILNS1_3genE4ELNS1_11target_archE910ELNS1_3gpuE8ELNS1_3repE0EEENS1_30default_config_static_selectorELNS0_4arch9wavefront6targetE1EEEvT1_
; %bb.0:
	.section	.rodata,"a",@progbits
	.p2align	6, 0x0
	.amdhsa_kernel _ZN7rocprim17ROCPRIM_400000_NS6detail17trampoline_kernelINS0_14default_configENS1_29reduce_by_key_config_selectorIllN6thrust23THRUST_200600_302600_NS4plusIlEEEEZZNS1_33reduce_by_key_impl_wrapped_configILNS1_25lookback_scan_determinismE0ES3_S9_PlNS6_17constant_iteratorIiNS6_11use_defaultESE_EENS6_10device_ptrIlEESH_PmS8_NS6_8equal_toIlEEEE10hipError_tPvRmT2_T3_mT4_T5_T6_T7_T8_P12ihipStream_tbENKUlT_T0_E_clISt17integral_constantIbLb0EES11_IbLb1EEEEDaSX_SY_EUlSX_E_NS1_11comp_targetILNS1_3genE4ELNS1_11target_archE910ELNS1_3gpuE8ELNS1_3repE0EEENS1_30default_config_static_selectorELNS0_4arch9wavefront6targetE1EEEvT1_
		.amdhsa_group_segment_fixed_size 0
		.amdhsa_private_segment_fixed_size 0
		.amdhsa_kernarg_size 144
		.amdhsa_user_sgpr_count 6
		.amdhsa_user_sgpr_private_segment_buffer 1
		.amdhsa_user_sgpr_dispatch_ptr 0
		.amdhsa_user_sgpr_queue_ptr 0
		.amdhsa_user_sgpr_kernarg_segment_ptr 1
		.amdhsa_user_sgpr_dispatch_id 0
		.amdhsa_user_sgpr_flat_scratch_init 0
		.amdhsa_user_sgpr_private_segment_size 0
		.amdhsa_uses_dynamic_stack 0
		.amdhsa_system_sgpr_private_segment_wavefront_offset 0
		.amdhsa_system_sgpr_workgroup_id_x 1
		.amdhsa_system_sgpr_workgroup_id_y 0
		.amdhsa_system_sgpr_workgroup_id_z 0
		.amdhsa_system_sgpr_workgroup_info 0
		.amdhsa_system_vgpr_workitem_id 0
		.amdhsa_next_free_vgpr 1
		.amdhsa_next_free_sgpr 0
		.amdhsa_reserve_vcc 0
		.amdhsa_reserve_flat_scratch 0
		.amdhsa_float_round_mode_32 0
		.amdhsa_float_round_mode_16_64 0
		.amdhsa_float_denorm_mode_32 3
		.amdhsa_float_denorm_mode_16_64 3
		.amdhsa_dx10_clamp 1
		.amdhsa_ieee_mode 1
		.amdhsa_fp16_overflow 0
		.amdhsa_exception_fp_ieee_invalid_op 0
		.amdhsa_exception_fp_denorm_src 0
		.amdhsa_exception_fp_ieee_div_zero 0
		.amdhsa_exception_fp_ieee_overflow 0
		.amdhsa_exception_fp_ieee_underflow 0
		.amdhsa_exception_fp_ieee_inexact 0
		.amdhsa_exception_int_div_zero 0
	.end_amdhsa_kernel
	.section	.text._ZN7rocprim17ROCPRIM_400000_NS6detail17trampoline_kernelINS0_14default_configENS1_29reduce_by_key_config_selectorIllN6thrust23THRUST_200600_302600_NS4plusIlEEEEZZNS1_33reduce_by_key_impl_wrapped_configILNS1_25lookback_scan_determinismE0ES3_S9_PlNS6_17constant_iteratorIiNS6_11use_defaultESE_EENS6_10device_ptrIlEESH_PmS8_NS6_8equal_toIlEEEE10hipError_tPvRmT2_T3_mT4_T5_T6_T7_T8_P12ihipStream_tbENKUlT_T0_E_clISt17integral_constantIbLb0EES11_IbLb1EEEEDaSX_SY_EUlSX_E_NS1_11comp_targetILNS1_3genE4ELNS1_11target_archE910ELNS1_3gpuE8ELNS1_3repE0EEENS1_30default_config_static_selectorELNS0_4arch9wavefront6targetE1EEEvT1_,"axG",@progbits,_ZN7rocprim17ROCPRIM_400000_NS6detail17trampoline_kernelINS0_14default_configENS1_29reduce_by_key_config_selectorIllN6thrust23THRUST_200600_302600_NS4plusIlEEEEZZNS1_33reduce_by_key_impl_wrapped_configILNS1_25lookback_scan_determinismE0ES3_S9_PlNS6_17constant_iteratorIiNS6_11use_defaultESE_EENS6_10device_ptrIlEESH_PmS8_NS6_8equal_toIlEEEE10hipError_tPvRmT2_T3_mT4_T5_T6_T7_T8_P12ihipStream_tbENKUlT_T0_E_clISt17integral_constantIbLb0EES11_IbLb1EEEEDaSX_SY_EUlSX_E_NS1_11comp_targetILNS1_3genE4ELNS1_11target_archE910ELNS1_3gpuE8ELNS1_3repE0EEENS1_30default_config_static_selectorELNS0_4arch9wavefront6targetE1EEEvT1_,comdat
.Lfunc_end1233:
	.size	_ZN7rocprim17ROCPRIM_400000_NS6detail17trampoline_kernelINS0_14default_configENS1_29reduce_by_key_config_selectorIllN6thrust23THRUST_200600_302600_NS4plusIlEEEEZZNS1_33reduce_by_key_impl_wrapped_configILNS1_25lookback_scan_determinismE0ES3_S9_PlNS6_17constant_iteratorIiNS6_11use_defaultESE_EENS6_10device_ptrIlEESH_PmS8_NS6_8equal_toIlEEEE10hipError_tPvRmT2_T3_mT4_T5_T6_T7_T8_P12ihipStream_tbENKUlT_T0_E_clISt17integral_constantIbLb0EES11_IbLb1EEEEDaSX_SY_EUlSX_E_NS1_11comp_targetILNS1_3genE4ELNS1_11target_archE910ELNS1_3gpuE8ELNS1_3repE0EEENS1_30default_config_static_selectorELNS0_4arch9wavefront6targetE1EEEvT1_, .Lfunc_end1233-_ZN7rocprim17ROCPRIM_400000_NS6detail17trampoline_kernelINS0_14default_configENS1_29reduce_by_key_config_selectorIllN6thrust23THRUST_200600_302600_NS4plusIlEEEEZZNS1_33reduce_by_key_impl_wrapped_configILNS1_25lookback_scan_determinismE0ES3_S9_PlNS6_17constant_iteratorIiNS6_11use_defaultESE_EENS6_10device_ptrIlEESH_PmS8_NS6_8equal_toIlEEEE10hipError_tPvRmT2_T3_mT4_T5_T6_T7_T8_P12ihipStream_tbENKUlT_T0_E_clISt17integral_constantIbLb0EES11_IbLb1EEEEDaSX_SY_EUlSX_E_NS1_11comp_targetILNS1_3genE4ELNS1_11target_archE910ELNS1_3gpuE8ELNS1_3repE0EEENS1_30default_config_static_selectorELNS0_4arch9wavefront6targetE1EEEvT1_
                                        ; -- End function
	.set _ZN7rocprim17ROCPRIM_400000_NS6detail17trampoline_kernelINS0_14default_configENS1_29reduce_by_key_config_selectorIllN6thrust23THRUST_200600_302600_NS4plusIlEEEEZZNS1_33reduce_by_key_impl_wrapped_configILNS1_25lookback_scan_determinismE0ES3_S9_PlNS6_17constant_iteratorIiNS6_11use_defaultESE_EENS6_10device_ptrIlEESH_PmS8_NS6_8equal_toIlEEEE10hipError_tPvRmT2_T3_mT4_T5_T6_T7_T8_P12ihipStream_tbENKUlT_T0_E_clISt17integral_constantIbLb0EES11_IbLb1EEEEDaSX_SY_EUlSX_E_NS1_11comp_targetILNS1_3genE4ELNS1_11target_archE910ELNS1_3gpuE8ELNS1_3repE0EEENS1_30default_config_static_selectorELNS0_4arch9wavefront6targetE1EEEvT1_.num_vgpr, 0
	.set _ZN7rocprim17ROCPRIM_400000_NS6detail17trampoline_kernelINS0_14default_configENS1_29reduce_by_key_config_selectorIllN6thrust23THRUST_200600_302600_NS4plusIlEEEEZZNS1_33reduce_by_key_impl_wrapped_configILNS1_25lookback_scan_determinismE0ES3_S9_PlNS6_17constant_iteratorIiNS6_11use_defaultESE_EENS6_10device_ptrIlEESH_PmS8_NS6_8equal_toIlEEEE10hipError_tPvRmT2_T3_mT4_T5_T6_T7_T8_P12ihipStream_tbENKUlT_T0_E_clISt17integral_constantIbLb0EES11_IbLb1EEEEDaSX_SY_EUlSX_E_NS1_11comp_targetILNS1_3genE4ELNS1_11target_archE910ELNS1_3gpuE8ELNS1_3repE0EEENS1_30default_config_static_selectorELNS0_4arch9wavefront6targetE1EEEvT1_.num_agpr, 0
	.set _ZN7rocprim17ROCPRIM_400000_NS6detail17trampoline_kernelINS0_14default_configENS1_29reduce_by_key_config_selectorIllN6thrust23THRUST_200600_302600_NS4plusIlEEEEZZNS1_33reduce_by_key_impl_wrapped_configILNS1_25lookback_scan_determinismE0ES3_S9_PlNS6_17constant_iteratorIiNS6_11use_defaultESE_EENS6_10device_ptrIlEESH_PmS8_NS6_8equal_toIlEEEE10hipError_tPvRmT2_T3_mT4_T5_T6_T7_T8_P12ihipStream_tbENKUlT_T0_E_clISt17integral_constantIbLb0EES11_IbLb1EEEEDaSX_SY_EUlSX_E_NS1_11comp_targetILNS1_3genE4ELNS1_11target_archE910ELNS1_3gpuE8ELNS1_3repE0EEENS1_30default_config_static_selectorELNS0_4arch9wavefront6targetE1EEEvT1_.numbered_sgpr, 0
	.set _ZN7rocprim17ROCPRIM_400000_NS6detail17trampoline_kernelINS0_14default_configENS1_29reduce_by_key_config_selectorIllN6thrust23THRUST_200600_302600_NS4plusIlEEEEZZNS1_33reduce_by_key_impl_wrapped_configILNS1_25lookback_scan_determinismE0ES3_S9_PlNS6_17constant_iteratorIiNS6_11use_defaultESE_EENS6_10device_ptrIlEESH_PmS8_NS6_8equal_toIlEEEE10hipError_tPvRmT2_T3_mT4_T5_T6_T7_T8_P12ihipStream_tbENKUlT_T0_E_clISt17integral_constantIbLb0EES11_IbLb1EEEEDaSX_SY_EUlSX_E_NS1_11comp_targetILNS1_3genE4ELNS1_11target_archE910ELNS1_3gpuE8ELNS1_3repE0EEENS1_30default_config_static_selectorELNS0_4arch9wavefront6targetE1EEEvT1_.num_named_barrier, 0
	.set _ZN7rocprim17ROCPRIM_400000_NS6detail17trampoline_kernelINS0_14default_configENS1_29reduce_by_key_config_selectorIllN6thrust23THRUST_200600_302600_NS4plusIlEEEEZZNS1_33reduce_by_key_impl_wrapped_configILNS1_25lookback_scan_determinismE0ES3_S9_PlNS6_17constant_iteratorIiNS6_11use_defaultESE_EENS6_10device_ptrIlEESH_PmS8_NS6_8equal_toIlEEEE10hipError_tPvRmT2_T3_mT4_T5_T6_T7_T8_P12ihipStream_tbENKUlT_T0_E_clISt17integral_constantIbLb0EES11_IbLb1EEEEDaSX_SY_EUlSX_E_NS1_11comp_targetILNS1_3genE4ELNS1_11target_archE910ELNS1_3gpuE8ELNS1_3repE0EEENS1_30default_config_static_selectorELNS0_4arch9wavefront6targetE1EEEvT1_.private_seg_size, 0
	.set _ZN7rocprim17ROCPRIM_400000_NS6detail17trampoline_kernelINS0_14default_configENS1_29reduce_by_key_config_selectorIllN6thrust23THRUST_200600_302600_NS4plusIlEEEEZZNS1_33reduce_by_key_impl_wrapped_configILNS1_25lookback_scan_determinismE0ES3_S9_PlNS6_17constant_iteratorIiNS6_11use_defaultESE_EENS6_10device_ptrIlEESH_PmS8_NS6_8equal_toIlEEEE10hipError_tPvRmT2_T3_mT4_T5_T6_T7_T8_P12ihipStream_tbENKUlT_T0_E_clISt17integral_constantIbLb0EES11_IbLb1EEEEDaSX_SY_EUlSX_E_NS1_11comp_targetILNS1_3genE4ELNS1_11target_archE910ELNS1_3gpuE8ELNS1_3repE0EEENS1_30default_config_static_selectorELNS0_4arch9wavefront6targetE1EEEvT1_.uses_vcc, 0
	.set _ZN7rocprim17ROCPRIM_400000_NS6detail17trampoline_kernelINS0_14default_configENS1_29reduce_by_key_config_selectorIllN6thrust23THRUST_200600_302600_NS4plusIlEEEEZZNS1_33reduce_by_key_impl_wrapped_configILNS1_25lookback_scan_determinismE0ES3_S9_PlNS6_17constant_iteratorIiNS6_11use_defaultESE_EENS6_10device_ptrIlEESH_PmS8_NS6_8equal_toIlEEEE10hipError_tPvRmT2_T3_mT4_T5_T6_T7_T8_P12ihipStream_tbENKUlT_T0_E_clISt17integral_constantIbLb0EES11_IbLb1EEEEDaSX_SY_EUlSX_E_NS1_11comp_targetILNS1_3genE4ELNS1_11target_archE910ELNS1_3gpuE8ELNS1_3repE0EEENS1_30default_config_static_selectorELNS0_4arch9wavefront6targetE1EEEvT1_.uses_flat_scratch, 0
	.set _ZN7rocprim17ROCPRIM_400000_NS6detail17trampoline_kernelINS0_14default_configENS1_29reduce_by_key_config_selectorIllN6thrust23THRUST_200600_302600_NS4plusIlEEEEZZNS1_33reduce_by_key_impl_wrapped_configILNS1_25lookback_scan_determinismE0ES3_S9_PlNS6_17constant_iteratorIiNS6_11use_defaultESE_EENS6_10device_ptrIlEESH_PmS8_NS6_8equal_toIlEEEE10hipError_tPvRmT2_T3_mT4_T5_T6_T7_T8_P12ihipStream_tbENKUlT_T0_E_clISt17integral_constantIbLb0EES11_IbLb1EEEEDaSX_SY_EUlSX_E_NS1_11comp_targetILNS1_3genE4ELNS1_11target_archE910ELNS1_3gpuE8ELNS1_3repE0EEENS1_30default_config_static_selectorELNS0_4arch9wavefront6targetE1EEEvT1_.has_dyn_sized_stack, 0
	.set _ZN7rocprim17ROCPRIM_400000_NS6detail17trampoline_kernelINS0_14default_configENS1_29reduce_by_key_config_selectorIllN6thrust23THRUST_200600_302600_NS4plusIlEEEEZZNS1_33reduce_by_key_impl_wrapped_configILNS1_25lookback_scan_determinismE0ES3_S9_PlNS6_17constant_iteratorIiNS6_11use_defaultESE_EENS6_10device_ptrIlEESH_PmS8_NS6_8equal_toIlEEEE10hipError_tPvRmT2_T3_mT4_T5_T6_T7_T8_P12ihipStream_tbENKUlT_T0_E_clISt17integral_constantIbLb0EES11_IbLb1EEEEDaSX_SY_EUlSX_E_NS1_11comp_targetILNS1_3genE4ELNS1_11target_archE910ELNS1_3gpuE8ELNS1_3repE0EEENS1_30default_config_static_selectorELNS0_4arch9wavefront6targetE1EEEvT1_.has_recursion, 0
	.set _ZN7rocprim17ROCPRIM_400000_NS6detail17trampoline_kernelINS0_14default_configENS1_29reduce_by_key_config_selectorIllN6thrust23THRUST_200600_302600_NS4plusIlEEEEZZNS1_33reduce_by_key_impl_wrapped_configILNS1_25lookback_scan_determinismE0ES3_S9_PlNS6_17constant_iteratorIiNS6_11use_defaultESE_EENS6_10device_ptrIlEESH_PmS8_NS6_8equal_toIlEEEE10hipError_tPvRmT2_T3_mT4_T5_T6_T7_T8_P12ihipStream_tbENKUlT_T0_E_clISt17integral_constantIbLb0EES11_IbLb1EEEEDaSX_SY_EUlSX_E_NS1_11comp_targetILNS1_3genE4ELNS1_11target_archE910ELNS1_3gpuE8ELNS1_3repE0EEENS1_30default_config_static_selectorELNS0_4arch9wavefront6targetE1EEEvT1_.has_indirect_call, 0
	.section	.AMDGPU.csdata,"",@progbits
; Kernel info:
; codeLenInByte = 0
; TotalNumSgprs: 4
; NumVgprs: 0
; ScratchSize: 0
; MemoryBound: 0
; FloatMode: 240
; IeeeMode: 1
; LDSByteSize: 0 bytes/workgroup (compile time only)
; SGPRBlocks: 0
; VGPRBlocks: 0
; NumSGPRsForWavesPerEU: 4
; NumVGPRsForWavesPerEU: 1
; Occupancy: 10
; WaveLimiterHint : 0
; COMPUTE_PGM_RSRC2:SCRATCH_EN: 0
; COMPUTE_PGM_RSRC2:USER_SGPR: 6
; COMPUTE_PGM_RSRC2:TRAP_HANDLER: 0
; COMPUTE_PGM_RSRC2:TGID_X_EN: 1
; COMPUTE_PGM_RSRC2:TGID_Y_EN: 0
; COMPUTE_PGM_RSRC2:TGID_Z_EN: 0
; COMPUTE_PGM_RSRC2:TIDIG_COMP_CNT: 0
	.section	.text._ZN7rocprim17ROCPRIM_400000_NS6detail17trampoline_kernelINS0_14default_configENS1_29reduce_by_key_config_selectorIllN6thrust23THRUST_200600_302600_NS4plusIlEEEEZZNS1_33reduce_by_key_impl_wrapped_configILNS1_25lookback_scan_determinismE0ES3_S9_PlNS6_17constant_iteratorIiNS6_11use_defaultESE_EENS6_10device_ptrIlEESH_PmS8_NS6_8equal_toIlEEEE10hipError_tPvRmT2_T3_mT4_T5_T6_T7_T8_P12ihipStream_tbENKUlT_T0_E_clISt17integral_constantIbLb0EES11_IbLb1EEEEDaSX_SY_EUlSX_E_NS1_11comp_targetILNS1_3genE3ELNS1_11target_archE908ELNS1_3gpuE7ELNS1_3repE0EEENS1_30default_config_static_selectorELNS0_4arch9wavefront6targetE1EEEvT1_,"axG",@progbits,_ZN7rocprim17ROCPRIM_400000_NS6detail17trampoline_kernelINS0_14default_configENS1_29reduce_by_key_config_selectorIllN6thrust23THRUST_200600_302600_NS4plusIlEEEEZZNS1_33reduce_by_key_impl_wrapped_configILNS1_25lookback_scan_determinismE0ES3_S9_PlNS6_17constant_iteratorIiNS6_11use_defaultESE_EENS6_10device_ptrIlEESH_PmS8_NS6_8equal_toIlEEEE10hipError_tPvRmT2_T3_mT4_T5_T6_T7_T8_P12ihipStream_tbENKUlT_T0_E_clISt17integral_constantIbLb0EES11_IbLb1EEEEDaSX_SY_EUlSX_E_NS1_11comp_targetILNS1_3genE3ELNS1_11target_archE908ELNS1_3gpuE7ELNS1_3repE0EEENS1_30default_config_static_selectorELNS0_4arch9wavefront6targetE1EEEvT1_,comdat
	.protected	_ZN7rocprim17ROCPRIM_400000_NS6detail17trampoline_kernelINS0_14default_configENS1_29reduce_by_key_config_selectorIllN6thrust23THRUST_200600_302600_NS4plusIlEEEEZZNS1_33reduce_by_key_impl_wrapped_configILNS1_25lookback_scan_determinismE0ES3_S9_PlNS6_17constant_iteratorIiNS6_11use_defaultESE_EENS6_10device_ptrIlEESH_PmS8_NS6_8equal_toIlEEEE10hipError_tPvRmT2_T3_mT4_T5_T6_T7_T8_P12ihipStream_tbENKUlT_T0_E_clISt17integral_constantIbLb0EES11_IbLb1EEEEDaSX_SY_EUlSX_E_NS1_11comp_targetILNS1_3genE3ELNS1_11target_archE908ELNS1_3gpuE7ELNS1_3repE0EEENS1_30default_config_static_selectorELNS0_4arch9wavefront6targetE1EEEvT1_ ; -- Begin function _ZN7rocprim17ROCPRIM_400000_NS6detail17trampoline_kernelINS0_14default_configENS1_29reduce_by_key_config_selectorIllN6thrust23THRUST_200600_302600_NS4plusIlEEEEZZNS1_33reduce_by_key_impl_wrapped_configILNS1_25lookback_scan_determinismE0ES3_S9_PlNS6_17constant_iteratorIiNS6_11use_defaultESE_EENS6_10device_ptrIlEESH_PmS8_NS6_8equal_toIlEEEE10hipError_tPvRmT2_T3_mT4_T5_T6_T7_T8_P12ihipStream_tbENKUlT_T0_E_clISt17integral_constantIbLb0EES11_IbLb1EEEEDaSX_SY_EUlSX_E_NS1_11comp_targetILNS1_3genE3ELNS1_11target_archE908ELNS1_3gpuE7ELNS1_3repE0EEENS1_30default_config_static_selectorELNS0_4arch9wavefront6targetE1EEEvT1_
	.globl	_ZN7rocprim17ROCPRIM_400000_NS6detail17trampoline_kernelINS0_14default_configENS1_29reduce_by_key_config_selectorIllN6thrust23THRUST_200600_302600_NS4plusIlEEEEZZNS1_33reduce_by_key_impl_wrapped_configILNS1_25lookback_scan_determinismE0ES3_S9_PlNS6_17constant_iteratorIiNS6_11use_defaultESE_EENS6_10device_ptrIlEESH_PmS8_NS6_8equal_toIlEEEE10hipError_tPvRmT2_T3_mT4_T5_T6_T7_T8_P12ihipStream_tbENKUlT_T0_E_clISt17integral_constantIbLb0EES11_IbLb1EEEEDaSX_SY_EUlSX_E_NS1_11comp_targetILNS1_3genE3ELNS1_11target_archE908ELNS1_3gpuE7ELNS1_3repE0EEENS1_30default_config_static_selectorELNS0_4arch9wavefront6targetE1EEEvT1_
	.p2align	8
	.type	_ZN7rocprim17ROCPRIM_400000_NS6detail17trampoline_kernelINS0_14default_configENS1_29reduce_by_key_config_selectorIllN6thrust23THRUST_200600_302600_NS4plusIlEEEEZZNS1_33reduce_by_key_impl_wrapped_configILNS1_25lookback_scan_determinismE0ES3_S9_PlNS6_17constant_iteratorIiNS6_11use_defaultESE_EENS6_10device_ptrIlEESH_PmS8_NS6_8equal_toIlEEEE10hipError_tPvRmT2_T3_mT4_T5_T6_T7_T8_P12ihipStream_tbENKUlT_T0_E_clISt17integral_constantIbLb0EES11_IbLb1EEEEDaSX_SY_EUlSX_E_NS1_11comp_targetILNS1_3genE3ELNS1_11target_archE908ELNS1_3gpuE7ELNS1_3repE0EEENS1_30default_config_static_selectorELNS0_4arch9wavefront6targetE1EEEvT1_,@function
_ZN7rocprim17ROCPRIM_400000_NS6detail17trampoline_kernelINS0_14default_configENS1_29reduce_by_key_config_selectorIllN6thrust23THRUST_200600_302600_NS4plusIlEEEEZZNS1_33reduce_by_key_impl_wrapped_configILNS1_25lookback_scan_determinismE0ES3_S9_PlNS6_17constant_iteratorIiNS6_11use_defaultESE_EENS6_10device_ptrIlEESH_PmS8_NS6_8equal_toIlEEEE10hipError_tPvRmT2_T3_mT4_T5_T6_T7_T8_P12ihipStream_tbENKUlT_T0_E_clISt17integral_constantIbLb0EES11_IbLb1EEEEDaSX_SY_EUlSX_E_NS1_11comp_targetILNS1_3genE3ELNS1_11target_archE908ELNS1_3gpuE7ELNS1_3repE0EEENS1_30default_config_static_selectorELNS0_4arch9wavefront6targetE1EEEvT1_: ; @_ZN7rocprim17ROCPRIM_400000_NS6detail17trampoline_kernelINS0_14default_configENS1_29reduce_by_key_config_selectorIllN6thrust23THRUST_200600_302600_NS4plusIlEEEEZZNS1_33reduce_by_key_impl_wrapped_configILNS1_25lookback_scan_determinismE0ES3_S9_PlNS6_17constant_iteratorIiNS6_11use_defaultESE_EENS6_10device_ptrIlEESH_PmS8_NS6_8equal_toIlEEEE10hipError_tPvRmT2_T3_mT4_T5_T6_T7_T8_P12ihipStream_tbENKUlT_T0_E_clISt17integral_constantIbLb0EES11_IbLb1EEEEDaSX_SY_EUlSX_E_NS1_11comp_targetILNS1_3genE3ELNS1_11target_archE908ELNS1_3gpuE7ELNS1_3repE0EEENS1_30default_config_static_selectorELNS0_4arch9wavefront6targetE1EEEvT1_
; %bb.0:
	.section	.rodata,"a",@progbits
	.p2align	6, 0x0
	.amdhsa_kernel _ZN7rocprim17ROCPRIM_400000_NS6detail17trampoline_kernelINS0_14default_configENS1_29reduce_by_key_config_selectorIllN6thrust23THRUST_200600_302600_NS4plusIlEEEEZZNS1_33reduce_by_key_impl_wrapped_configILNS1_25lookback_scan_determinismE0ES3_S9_PlNS6_17constant_iteratorIiNS6_11use_defaultESE_EENS6_10device_ptrIlEESH_PmS8_NS6_8equal_toIlEEEE10hipError_tPvRmT2_T3_mT4_T5_T6_T7_T8_P12ihipStream_tbENKUlT_T0_E_clISt17integral_constantIbLb0EES11_IbLb1EEEEDaSX_SY_EUlSX_E_NS1_11comp_targetILNS1_3genE3ELNS1_11target_archE908ELNS1_3gpuE7ELNS1_3repE0EEENS1_30default_config_static_selectorELNS0_4arch9wavefront6targetE1EEEvT1_
		.amdhsa_group_segment_fixed_size 0
		.amdhsa_private_segment_fixed_size 0
		.amdhsa_kernarg_size 144
		.amdhsa_user_sgpr_count 6
		.amdhsa_user_sgpr_private_segment_buffer 1
		.amdhsa_user_sgpr_dispatch_ptr 0
		.amdhsa_user_sgpr_queue_ptr 0
		.amdhsa_user_sgpr_kernarg_segment_ptr 1
		.amdhsa_user_sgpr_dispatch_id 0
		.amdhsa_user_sgpr_flat_scratch_init 0
		.amdhsa_user_sgpr_private_segment_size 0
		.amdhsa_uses_dynamic_stack 0
		.amdhsa_system_sgpr_private_segment_wavefront_offset 0
		.amdhsa_system_sgpr_workgroup_id_x 1
		.amdhsa_system_sgpr_workgroup_id_y 0
		.amdhsa_system_sgpr_workgroup_id_z 0
		.amdhsa_system_sgpr_workgroup_info 0
		.amdhsa_system_vgpr_workitem_id 0
		.amdhsa_next_free_vgpr 1
		.amdhsa_next_free_sgpr 0
		.amdhsa_reserve_vcc 0
		.amdhsa_reserve_flat_scratch 0
		.amdhsa_float_round_mode_32 0
		.amdhsa_float_round_mode_16_64 0
		.amdhsa_float_denorm_mode_32 3
		.amdhsa_float_denorm_mode_16_64 3
		.amdhsa_dx10_clamp 1
		.amdhsa_ieee_mode 1
		.amdhsa_fp16_overflow 0
		.amdhsa_exception_fp_ieee_invalid_op 0
		.amdhsa_exception_fp_denorm_src 0
		.amdhsa_exception_fp_ieee_div_zero 0
		.amdhsa_exception_fp_ieee_overflow 0
		.amdhsa_exception_fp_ieee_underflow 0
		.amdhsa_exception_fp_ieee_inexact 0
		.amdhsa_exception_int_div_zero 0
	.end_amdhsa_kernel
	.section	.text._ZN7rocprim17ROCPRIM_400000_NS6detail17trampoline_kernelINS0_14default_configENS1_29reduce_by_key_config_selectorIllN6thrust23THRUST_200600_302600_NS4plusIlEEEEZZNS1_33reduce_by_key_impl_wrapped_configILNS1_25lookback_scan_determinismE0ES3_S9_PlNS6_17constant_iteratorIiNS6_11use_defaultESE_EENS6_10device_ptrIlEESH_PmS8_NS6_8equal_toIlEEEE10hipError_tPvRmT2_T3_mT4_T5_T6_T7_T8_P12ihipStream_tbENKUlT_T0_E_clISt17integral_constantIbLb0EES11_IbLb1EEEEDaSX_SY_EUlSX_E_NS1_11comp_targetILNS1_3genE3ELNS1_11target_archE908ELNS1_3gpuE7ELNS1_3repE0EEENS1_30default_config_static_selectorELNS0_4arch9wavefront6targetE1EEEvT1_,"axG",@progbits,_ZN7rocprim17ROCPRIM_400000_NS6detail17trampoline_kernelINS0_14default_configENS1_29reduce_by_key_config_selectorIllN6thrust23THRUST_200600_302600_NS4plusIlEEEEZZNS1_33reduce_by_key_impl_wrapped_configILNS1_25lookback_scan_determinismE0ES3_S9_PlNS6_17constant_iteratorIiNS6_11use_defaultESE_EENS6_10device_ptrIlEESH_PmS8_NS6_8equal_toIlEEEE10hipError_tPvRmT2_T3_mT4_T5_T6_T7_T8_P12ihipStream_tbENKUlT_T0_E_clISt17integral_constantIbLb0EES11_IbLb1EEEEDaSX_SY_EUlSX_E_NS1_11comp_targetILNS1_3genE3ELNS1_11target_archE908ELNS1_3gpuE7ELNS1_3repE0EEENS1_30default_config_static_selectorELNS0_4arch9wavefront6targetE1EEEvT1_,comdat
.Lfunc_end1234:
	.size	_ZN7rocprim17ROCPRIM_400000_NS6detail17trampoline_kernelINS0_14default_configENS1_29reduce_by_key_config_selectorIllN6thrust23THRUST_200600_302600_NS4plusIlEEEEZZNS1_33reduce_by_key_impl_wrapped_configILNS1_25lookback_scan_determinismE0ES3_S9_PlNS6_17constant_iteratorIiNS6_11use_defaultESE_EENS6_10device_ptrIlEESH_PmS8_NS6_8equal_toIlEEEE10hipError_tPvRmT2_T3_mT4_T5_T6_T7_T8_P12ihipStream_tbENKUlT_T0_E_clISt17integral_constantIbLb0EES11_IbLb1EEEEDaSX_SY_EUlSX_E_NS1_11comp_targetILNS1_3genE3ELNS1_11target_archE908ELNS1_3gpuE7ELNS1_3repE0EEENS1_30default_config_static_selectorELNS0_4arch9wavefront6targetE1EEEvT1_, .Lfunc_end1234-_ZN7rocprim17ROCPRIM_400000_NS6detail17trampoline_kernelINS0_14default_configENS1_29reduce_by_key_config_selectorIllN6thrust23THRUST_200600_302600_NS4plusIlEEEEZZNS1_33reduce_by_key_impl_wrapped_configILNS1_25lookback_scan_determinismE0ES3_S9_PlNS6_17constant_iteratorIiNS6_11use_defaultESE_EENS6_10device_ptrIlEESH_PmS8_NS6_8equal_toIlEEEE10hipError_tPvRmT2_T3_mT4_T5_T6_T7_T8_P12ihipStream_tbENKUlT_T0_E_clISt17integral_constantIbLb0EES11_IbLb1EEEEDaSX_SY_EUlSX_E_NS1_11comp_targetILNS1_3genE3ELNS1_11target_archE908ELNS1_3gpuE7ELNS1_3repE0EEENS1_30default_config_static_selectorELNS0_4arch9wavefront6targetE1EEEvT1_
                                        ; -- End function
	.set _ZN7rocprim17ROCPRIM_400000_NS6detail17trampoline_kernelINS0_14default_configENS1_29reduce_by_key_config_selectorIllN6thrust23THRUST_200600_302600_NS4plusIlEEEEZZNS1_33reduce_by_key_impl_wrapped_configILNS1_25lookback_scan_determinismE0ES3_S9_PlNS6_17constant_iteratorIiNS6_11use_defaultESE_EENS6_10device_ptrIlEESH_PmS8_NS6_8equal_toIlEEEE10hipError_tPvRmT2_T3_mT4_T5_T6_T7_T8_P12ihipStream_tbENKUlT_T0_E_clISt17integral_constantIbLb0EES11_IbLb1EEEEDaSX_SY_EUlSX_E_NS1_11comp_targetILNS1_3genE3ELNS1_11target_archE908ELNS1_3gpuE7ELNS1_3repE0EEENS1_30default_config_static_selectorELNS0_4arch9wavefront6targetE1EEEvT1_.num_vgpr, 0
	.set _ZN7rocprim17ROCPRIM_400000_NS6detail17trampoline_kernelINS0_14default_configENS1_29reduce_by_key_config_selectorIllN6thrust23THRUST_200600_302600_NS4plusIlEEEEZZNS1_33reduce_by_key_impl_wrapped_configILNS1_25lookback_scan_determinismE0ES3_S9_PlNS6_17constant_iteratorIiNS6_11use_defaultESE_EENS6_10device_ptrIlEESH_PmS8_NS6_8equal_toIlEEEE10hipError_tPvRmT2_T3_mT4_T5_T6_T7_T8_P12ihipStream_tbENKUlT_T0_E_clISt17integral_constantIbLb0EES11_IbLb1EEEEDaSX_SY_EUlSX_E_NS1_11comp_targetILNS1_3genE3ELNS1_11target_archE908ELNS1_3gpuE7ELNS1_3repE0EEENS1_30default_config_static_selectorELNS0_4arch9wavefront6targetE1EEEvT1_.num_agpr, 0
	.set _ZN7rocprim17ROCPRIM_400000_NS6detail17trampoline_kernelINS0_14default_configENS1_29reduce_by_key_config_selectorIllN6thrust23THRUST_200600_302600_NS4plusIlEEEEZZNS1_33reduce_by_key_impl_wrapped_configILNS1_25lookback_scan_determinismE0ES3_S9_PlNS6_17constant_iteratorIiNS6_11use_defaultESE_EENS6_10device_ptrIlEESH_PmS8_NS6_8equal_toIlEEEE10hipError_tPvRmT2_T3_mT4_T5_T6_T7_T8_P12ihipStream_tbENKUlT_T0_E_clISt17integral_constantIbLb0EES11_IbLb1EEEEDaSX_SY_EUlSX_E_NS1_11comp_targetILNS1_3genE3ELNS1_11target_archE908ELNS1_3gpuE7ELNS1_3repE0EEENS1_30default_config_static_selectorELNS0_4arch9wavefront6targetE1EEEvT1_.numbered_sgpr, 0
	.set _ZN7rocprim17ROCPRIM_400000_NS6detail17trampoline_kernelINS0_14default_configENS1_29reduce_by_key_config_selectorIllN6thrust23THRUST_200600_302600_NS4plusIlEEEEZZNS1_33reduce_by_key_impl_wrapped_configILNS1_25lookback_scan_determinismE0ES3_S9_PlNS6_17constant_iteratorIiNS6_11use_defaultESE_EENS6_10device_ptrIlEESH_PmS8_NS6_8equal_toIlEEEE10hipError_tPvRmT2_T3_mT4_T5_T6_T7_T8_P12ihipStream_tbENKUlT_T0_E_clISt17integral_constantIbLb0EES11_IbLb1EEEEDaSX_SY_EUlSX_E_NS1_11comp_targetILNS1_3genE3ELNS1_11target_archE908ELNS1_3gpuE7ELNS1_3repE0EEENS1_30default_config_static_selectorELNS0_4arch9wavefront6targetE1EEEvT1_.num_named_barrier, 0
	.set _ZN7rocprim17ROCPRIM_400000_NS6detail17trampoline_kernelINS0_14default_configENS1_29reduce_by_key_config_selectorIllN6thrust23THRUST_200600_302600_NS4plusIlEEEEZZNS1_33reduce_by_key_impl_wrapped_configILNS1_25lookback_scan_determinismE0ES3_S9_PlNS6_17constant_iteratorIiNS6_11use_defaultESE_EENS6_10device_ptrIlEESH_PmS8_NS6_8equal_toIlEEEE10hipError_tPvRmT2_T3_mT4_T5_T6_T7_T8_P12ihipStream_tbENKUlT_T0_E_clISt17integral_constantIbLb0EES11_IbLb1EEEEDaSX_SY_EUlSX_E_NS1_11comp_targetILNS1_3genE3ELNS1_11target_archE908ELNS1_3gpuE7ELNS1_3repE0EEENS1_30default_config_static_selectorELNS0_4arch9wavefront6targetE1EEEvT1_.private_seg_size, 0
	.set _ZN7rocprim17ROCPRIM_400000_NS6detail17trampoline_kernelINS0_14default_configENS1_29reduce_by_key_config_selectorIllN6thrust23THRUST_200600_302600_NS4plusIlEEEEZZNS1_33reduce_by_key_impl_wrapped_configILNS1_25lookback_scan_determinismE0ES3_S9_PlNS6_17constant_iteratorIiNS6_11use_defaultESE_EENS6_10device_ptrIlEESH_PmS8_NS6_8equal_toIlEEEE10hipError_tPvRmT2_T3_mT4_T5_T6_T7_T8_P12ihipStream_tbENKUlT_T0_E_clISt17integral_constantIbLb0EES11_IbLb1EEEEDaSX_SY_EUlSX_E_NS1_11comp_targetILNS1_3genE3ELNS1_11target_archE908ELNS1_3gpuE7ELNS1_3repE0EEENS1_30default_config_static_selectorELNS0_4arch9wavefront6targetE1EEEvT1_.uses_vcc, 0
	.set _ZN7rocprim17ROCPRIM_400000_NS6detail17trampoline_kernelINS0_14default_configENS1_29reduce_by_key_config_selectorIllN6thrust23THRUST_200600_302600_NS4plusIlEEEEZZNS1_33reduce_by_key_impl_wrapped_configILNS1_25lookback_scan_determinismE0ES3_S9_PlNS6_17constant_iteratorIiNS6_11use_defaultESE_EENS6_10device_ptrIlEESH_PmS8_NS6_8equal_toIlEEEE10hipError_tPvRmT2_T3_mT4_T5_T6_T7_T8_P12ihipStream_tbENKUlT_T0_E_clISt17integral_constantIbLb0EES11_IbLb1EEEEDaSX_SY_EUlSX_E_NS1_11comp_targetILNS1_3genE3ELNS1_11target_archE908ELNS1_3gpuE7ELNS1_3repE0EEENS1_30default_config_static_selectorELNS0_4arch9wavefront6targetE1EEEvT1_.uses_flat_scratch, 0
	.set _ZN7rocprim17ROCPRIM_400000_NS6detail17trampoline_kernelINS0_14default_configENS1_29reduce_by_key_config_selectorIllN6thrust23THRUST_200600_302600_NS4plusIlEEEEZZNS1_33reduce_by_key_impl_wrapped_configILNS1_25lookback_scan_determinismE0ES3_S9_PlNS6_17constant_iteratorIiNS6_11use_defaultESE_EENS6_10device_ptrIlEESH_PmS8_NS6_8equal_toIlEEEE10hipError_tPvRmT2_T3_mT4_T5_T6_T7_T8_P12ihipStream_tbENKUlT_T0_E_clISt17integral_constantIbLb0EES11_IbLb1EEEEDaSX_SY_EUlSX_E_NS1_11comp_targetILNS1_3genE3ELNS1_11target_archE908ELNS1_3gpuE7ELNS1_3repE0EEENS1_30default_config_static_selectorELNS0_4arch9wavefront6targetE1EEEvT1_.has_dyn_sized_stack, 0
	.set _ZN7rocprim17ROCPRIM_400000_NS6detail17trampoline_kernelINS0_14default_configENS1_29reduce_by_key_config_selectorIllN6thrust23THRUST_200600_302600_NS4plusIlEEEEZZNS1_33reduce_by_key_impl_wrapped_configILNS1_25lookback_scan_determinismE0ES3_S9_PlNS6_17constant_iteratorIiNS6_11use_defaultESE_EENS6_10device_ptrIlEESH_PmS8_NS6_8equal_toIlEEEE10hipError_tPvRmT2_T3_mT4_T5_T6_T7_T8_P12ihipStream_tbENKUlT_T0_E_clISt17integral_constantIbLb0EES11_IbLb1EEEEDaSX_SY_EUlSX_E_NS1_11comp_targetILNS1_3genE3ELNS1_11target_archE908ELNS1_3gpuE7ELNS1_3repE0EEENS1_30default_config_static_selectorELNS0_4arch9wavefront6targetE1EEEvT1_.has_recursion, 0
	.set _ZN7rocprim17ROCPRIM_400000_NS6detail17trampoline_kernelINS0_14default_configENS1_29reduce_by_key_config_selectorIllN6thrust23THRUST_200600_302600_NS4plusIlEEEEZZNS1_33reduce_by_key_impl_wrapped_configILNS1_25lookback_scan_determinismE0ES3_S9_PlNS6_17constant_iteratorIiNS6_11use_defaultESE_EENS6_10device_ptrIlEESH_PmS8_NS6_8equal_toIlEEEE10hipError_tPvRmT2_T3_mT4_T5_T6_T7_T8_P12ihipStream_tbENKUlT_T0_E_clISt17integral_constantIbLb0EES11_IbLb1EEEEDaSX_SY_EUlSX_E_NS1_11comp_targetILNS1_3genE3ELNS1_11target_archE908ELNS1_3gpuE7ELNS1_3repE0EEENS1_30default_config_static_selectorELNS0_4arch9wavefront6targetE1EEEvT1_.has_indirect_call, 0
	.section	.AMDGPU.csdata,"",@progbits
; Kernel info:
; codeLenInByte = 0
; TotalNumSgprs: 4
; NumVgprs: 0
; ScratchSize: 0
; MemoryBound: 0
; FloatMode: 240
; IeeeMode: 1
; LDSByteSize: 0 bytes/workgroup (compile time only)
; SGPRBlocks: 0
; VGPRBlocks: 0
; NumSGPRsForWavesPerEU: 4
; NumVGPRsForWavesPerEU: 1
; Occupancy: 10
; WaveLimiterHint : 0
; COMPUTE_PGM_RSRC2:SCRATCH_EN: 0
; COMPUTE_PGM_RSRC2:USER_SGPR: 6
; COMPUTE_PGM_RSRC2:TRAP_HANDLER: 0
; COMPUTE_PGM_RSRC2:TGID_X_EN: 1
; COMPUTE_PGM_RSRC2:TGID_Y_EN: 0
; COMPUTE_PGM_RSRC2:TGID_Z_EN: 0
; COMPUTE_PGM_RSRC2:TIDIG_COMP_CNT: 0
	.section	.text._ZN7rocprim17ROCPRIM_400000_NS6detail17trampoline_kernelINS0_14default_configENS1_29reduce_by_key_config_selectorIllN6thrust23THRUST_200600_302600_NS4plusIlEEEEZZNS1_33reduce_by_key_impl_wrapped_configILNS1_25lookback_scan_determinismE0ES3_S9_PlNS6_17constant_iteratorIiNS6_11use_defaultESE_EENS6_10device_ptrIlEESH_PmS8_NS6_8equal_toIlEEEE10hipError_tPvRmT2_T3_mT4_T5_T6_T7_T8_P12ihipStream_tbENKUlT_T0_E_clISt17integral_constantIbLb0EES11_IbLb1EEEEDaSX_SY_EUlSX_E_NS1_11comp_targetILNS1_3genE2ELNS1_11target_archE906ELNS1_3gpuE6ELNS1_3repE0EEENS1_30default_config_static_selectorELNS0_4arch9wavefront6targetE1EEEvT1_,"axG",@progbits,_ZN7rocprim17ROCPRIM_400000_NS6detail17trampoline_kernelINS0_14default_configENS1_29reduce_by_key_config_selectorIllN6thrust23THRUST_200600_302600_NS4plusIlEEEEZZNS1_33reduce_by_key_impl_wrapped_configILNS1_25lookback_scan_determinismE0ES3_S9_PlNS6_17constant_iteratorIiNS6_11use_defaultESE_EENS6_10device_ptrIlEESH_PmS8_NS6_8equal_toIlEEEE10hipError_tPvRmT2_T3_mT4_T5_T6_T7_T8_P12ihipStream_tbENKUlT_T0_E_clISt17integral_constantIbLb0EES11_IbLb1EEEEDaSX_SY_EUlSX_E_NS1_11comp_targetILNS1_3genE2ELNS1_11target_archE906ELNS1_3gpuE6ELNS1_3repE0EEENS1_30default_config_static_selectorELNS0_4arch9wavefront6targetE1EEEvT1_,comdat
	.protected	_ZN7rocprim17ROCPRIM_400000_NS6detail17trampoline_kernelINS0_14default_configENS1_29reduce_by_key_config_selectorIllN6thrust23THRUST_200600_302600_NS4plusIlEEEEZZNS1_33reduce_by_key_impl_wrapped_configILNS1_25lookback_scan_determinismE0ES3_S9_PlNS6_17constant_iteratorIiNS6_11use_defaultESE_EENS6_10device_ptrIlEESH_PmS8_NS6_8equal_toIlEEEE10hipError_tPvRmT2_T3_mT4_T5_T6_T7_T8_P12ihipStream_tbENKUlT_T0_E_clISt17integral_constantIbLb0EES11_IbLb1EEEEDaSX_SY_EUlSX_E_NS1_11comp_targetILNS1_3genE2ELNS1_11target_archE906ELNS1_3gpuE6ELNS1_3repE0EEENS1_30default_config_static_selectorELNS0_4arch9wavefront6targetE1EEEvT1_ ; -- Begin function _ZN7rocprim17ROCPRIM_400000_NS6detail17trampoline_kernelINS0_14default_configENS1_29reduce_by_key_config_selectorIllN6thrust23THRUST_200600_302600_NS4plusIlEEEEZZNS1_33reduce_by_key_impl_wrapped_configILNS1_25lookback_scan_determinismE0ES3_S9_PlNS6_17constant_iteratorIiNS6_11use_defaultESE_EENS6_10device_ptrIlEESH_PmS8_NS6_8equal_toIlEEEE10hipError_tPvRmT2_T3_mT4_T5_T6_T7_T8_P12ihipStream_tbENKUlT_T0_E_clISt17integral_constantIbLb0EES11_IbLb1EEEEDaSX_SY_EUlSX_E_NS1_11comp_targetILNS1_3genE2ELNS1_11target_archE906ELNS1_3gpuE6ELNS1_3repE0EEENS1_30default_config_static_selectorELNS0_4arch9wavefront6targetE1EEEvT1_
	.globl	_ZN7rocprim17ROCPRIM_400000_NS6detail17trampoline_kernelINS0_14default_configENS1_29reduce_by_key_config_selectorIllN6thrust23THRUST_200600_302600_NS4plusIlEEEEZZNS1_33reduce_by_key_impl_wrapped_configILNS1_25lookback_scan_determinismE0ES3_S9_PlNS6_17constant_iteratorIiNS6_11use_defaultESE_EENS6_10device_ptrIlEESH_PmS8_NS6_8equal_toIlEEEE10hipError_tPvRmT2_T3_mT4_T5_T6_T7_T8_P12ihipStream_tbENKUlT_T0_E_clISt17integral_constantIbLb0EES11_IbLb1EEEEDaSX_SY_EUlSX_E_NS1_11comp_targetILNS1_3genE2ELNS1_11target_archE906ELNS1_3gpuE6ELNS1_3repE0EEENS1_30default_config_static_selectorELNS0_4arch9wavefront6targetE1EEEvT1_
	.p2align	8
	.type	_ZN7rocprim17ROCPRIM_400000_NS6detail17trampoline_kernelINS0_14default_configENS1_29reduce_by_key_config_selectorIllN6thrust23THRUST_200600_302600_NS4plusIlEEEEZZNS1_33reduce_by_key_impl_wrapped_configILNS1_25lookback_scan_determinismE0ES3_S9_PlNS6_17constant_iteratorIiNS6_11use_defaultESE_EENS6_10device_ptrIlEESH_PmS8_NS6_8equal_toIlEEEE10hipError_tPvRmT2_T3_mT4_T5_T6_T7_T8_P12ihipStream_tbENKUlT_T0_E_clISt17integral_constantIbLb0EES11_IbLb1EEEEDaSX_SY_EUlSX_E_NS1_11comp_targetILNS1_3genE2ELNS1_11target_archE906ELNS1_3gpuE6ELNS1_3repE0EEENS1_30default_config_static_selectorELNS0_4arch9wavefront6targetE1EEEvT1_,@function
_ZN7rocprim17ROCPRIM_400000_NS6detail17trampoline_kernelINS0_14default_configENS1_29reduce_by_key_config_selectorIllN6thrust23THRUST_200600_302600_NS4plusIlEEEEZZNS1_33reduce_by_key_impl_wrapped_configILNS1_25lookback_scan_determinismE0ES3_S9_PlNS6_17constant_iteratorIiNS6_11use_defaultESE_EENS6_10device_ptrIlEESH_PmS8_NS6_8equal_toIlEEEE10hipError_tPvRmT2_T3_mT4_T5_T6_T7_T8_P12ihipStream_tbENKUlT_T0_E_clISt17integral_constantIbLb0EES11_IbLb1EEEEDaSX_SY_EUlSX_E_NS1_11comp_targetILNS1_3genE2ELNS1_11target_archE906ELNS1_3gpuE6ELNS1_3repE0EEENS1_30default_config_static_selectorELNS0_4arch9wavefront6targetE1EEEvT1_: ; @_ZN7rocprim17ROCPRIM_400000_NS6detail17trampoline_kernelINS0_14default_configENS1_29reduce_by_key_config_selectorIllN6thrust23THRUST_200600_302600_NS4plusIlEEEEZZNS1_33reduce_by_key_impl_wrapped_configILNS1_25lookback_scan_determinismE0ES3_S9_PlNS6_17constant_iteratorIiNS6_11use_defaultESE_EENS6_10device_ptrIlEESH_PmS8_NS6_8equal_toIlEEEE10hipError_tPvRmT2_T3_mT4_T5_T6_T7_T8_P12ihipStream_tbENKUlT_T0_E_clISt17integral_constantIbLb0EES11_IbLb1EEEEDaSX_SY_EUlSX_E_NS1_11comp_targetILNS1_3genE2ELNS1_11target_archE906ELNS1_3gpuE6ELNS1_3repE0EEENS1_30default_config_static_selectorELNS0_4arch9wavefront6targetE1EEEvT1_
; %bb.0:
	s_load_dwordx4 s[56:59], s[4:5], 0x20
	s_load_dwordx2 s[60:61], s[4:5], 0x30
	s_load_dwordx2 s[36:37], s[4:5], 0x80
	s_add_u32 s0, s0, s7
	s_addc_u32 s1, s1, 0
	v_cmp_ne_u32_e64 s[6:7], 0, v0
	v_cmp_eq_u32_e64 s[38:39], 0, v0
	s_and_saveexec_b64 s[8:9], s[38:39]
	s_cbranch_execz .LBB1235_4
; %bb.1:
	s_mov_b64 s[12:13], exec
	v_mbcnt_lo_u32_b32 v1, s12, 0
	v_mbcnt_hi_u32_b32 v1, s13, v1
	v_cmp_eq_u32_e32 vcc, 0, v1
                                        ; implicit-def: $vgpr2
	s_and_saveexec_b64 s[10:11], vcc
	s_cbranch_execz .LBB1235_3
; %bb.2:
	s_load_dwordx2 s[14:15], s[4:5], 0x88
	s_bcnt1_i32_b64 s12, s[12:13]
	v_mov_b32_e32 v2, 0
	v_mov_b32_e32 v3, s12
	s_waitcnt lgkmcnt(0)
	global_atomic_add v2, v2, v3, s[14:15] glc
.LBB1235_3:
	s_or_b64 exec, exec, s[10:11]
	s_waitcnt vmcnt(0)
	v_readfirstlane_b32 s10, v2
	v_add_u32_e32 v1, s10, v1
	v_mov_b32_e32 v2, 0
	ds_write_b32 v2, v1
.LBB1235_4:
	s_or_b64 exec, exec, s[8:9]
	s_load_dwordx4 s[8:11], s[4:5], 0x0
	s_load_dword s12, s[4:5], 0x18
	s_load_dwordx16 s[40:55], s[4:5], 0x40
	v_mov_b32_e32 v2, 0
	s_waitcnt lgkmcnt(0)
	s_barrier
	ds_read_b32 v1, v2
	s_mul_i32 s4, s48, s47
	s_mul_hi_u32 s5, s48, s46
	s_add_i32 s4, s5, s4
	s_mul_i32 s5, s49, s46
	s_add_i32 s13, s4, s5
	s_lshl_b64 s[4:5], s[10:11], 3
	s_add_u32 s4, s8, s4
	s_movk_i32 s8, 0xf00
	s_waitcnt lgkmcnt(0)
	v_readfirstlane_b32 s64, v1
	v_mul_lo_u32 v1, v1, s8
	s_mul_i32 s14, s48, s46
	s_addc_u32 s5, s9, s5
	v_mov_b32_e32 v3, s5
	v_lshlrev_b64 v[1:2], 3, v[1:2]
	s_mov_b64 s[10:11], -1
	v_add_co_u32_e32 v59, vcc, s4, v1
	s_add_u32 s4, s14, s64
	s_addc_u32 s5, s13, 0
	s_add_u32 s14, s50, -1
	s_addc_u32 s15, s51, -1
	s_cmp_eq_u64 s[4:5], s[14:15]
	v_addc_co_u32_e32 v60, vcc, v3, v2, vcc
	s_cselect_b64 s[48:49], -1, 0
	s_cmp_lg_u64 s[4:5], s[14:15]
	s_cselect_b64 s[8:9], -1, 0
	s_mul_i32 s33, s14, 0xfffff100
	s_and_b64 vcc, exec, s[48:49]
	s_barrier
	s_cbranch_vccnz .LBB1235_6
; %bb.5:
	v_lshlrev_b32_e32 v35, 3, v0
	v_add_co_u32_e32 v29, vcc, v59, v35
	v_addc_co_u32_e32 v30, vcc, 0, v60, vcc
	v_add_co_u32_e32 v1, vcc, 0x1000, v29
	v_readfirstlane_b32 s10, v59
	v_readfirstlane_b32 s11, v60
	v_addc_co_u32_e32 v2, vcc, 0, v30, vcc
	s_nop 3
	global_load_dwordx2 v[3:4], v35, s[10:11]
	global_load_dwordx2 v[5:6], v35, s[10:11] offset:2048
	global_load_dwordx2 v[7:8], v[1:2], off
	global_load_dwordx2 v[9:10], v[1:2], off offset:2048
	v_add_co_u32_e32 v1, vcc, 0x2000, v29
	v_addc_co_u32_e32 v2, vcc, 0, v30, vcc
	v_add_co_u32_e32 v11, vcc, 0x3000, v29
	v_addc_co_u32_e32 v12, vcc, 0, v30, vcc
	global_load_dwordx2 v[13:14], v[1:2], off
	global_load_dwordx2 v[15:16], v[1:2], off offset:2048
	global_load_dwordx2 v[17:18], v[11:12], off
	global_load_dwordx2 v[19:20], v[11:12], off offset:2048
	v_add_co_u32_e32 v1, vcc, 0x4000, v29
	v_addc_co_u32_e32 v2, vcc, 0, v30, vcc
	v_add_co_u32_e32 v11, vcc, 0x5000, v29
	v_addc_co_u32_e32 v12, vcc, 0, v30, vcc
	global_load_dwordx2 v[21:22], v[1:2], off
	global_load_dwordx2 v[23:24], v[1:2], off offset:2048
	;; [unrolled: 8-line block ×3, first 2 shown]
	global_load_dwordx2 v[33:34], v[11:12], off
	s_movk_i32 s10, 0x70
	v_mad_u32_u24 v53, v0, s10, v35
	s_ashr_i32 s13, s12, 31
	v_mov_b32_e32 v1, s12
	v_mov_b32_e32 v2, s13
	s_waitcnt vmcnt(13)
	ds_write2st64_b64 v35, v[3:4], v[5:6] offset1:4
	s_waitcnt vmcnt(11)
	ds_write2st64_b64 v35, v[7:8], v[9:10] offset0:8 offset1:12
	s_waitcnt vmcnt(9)
	ds_write2st64_b64 v35, v[13:14], v[15:16] offset0:16 offset1:20
	;; [unrolled: 2-line block ×6, first 2 shown]
	s_waitcnt vmcnt(0)
	ds_write_b64 v35, v[33:34] offset:28672
	s_waitcnt lgkmcnt(0)
	s_barrier
	ds_read2_b64 v[29:32], v53 offset1:1
	ds_read2_b64 v[25:28], v53 offset0:2 offset1:3
	ds_read2_b64 v[21:24], v53 offset0:4 offset1:5
	;; [unrolled: 1-line block ×6, first 2 shown]
	ds_read_b64 v[57:58], v53 offset:112
	s_waitcnt lgkmcnt(0)
	s_barrier
	ds_write2st64_b64 v35, v[1:2], v[1:2] offset1:4
	ds_write2st64_b64 v35, v[1:2], v[1:2] offset0:8 offset1:12
	ds_write2st64_b64 v35, v[1:2], v[1:2] offset0:16 offset1:20
	;; [unrolled: 1-line block ×6, first 2 shown]
	ds_write_b64 v35, v[1:2] offset:28672
	s_waitcnt lgkmcnt(0)
	s_barrier
	s_add_i32 s33, s33, s52
	s_cbranch_execz .LBB1235_7
	s_branch .LBB1235_38
.LBB1235_6:
                                        ; implicit-def: $vgpr29_vgpr30
                                        ; implicit-def: $vgpr25_vgpr26
                                        ; implicit-def: $vgpr21_vgpr22
                                        ; implicit-def: $vgpr17_vgpr18
                                        ; implicit-def: $vgpr13_vgpr14
                                        ; implicit-def: $vgpr9_vgpr10
                                        ; implicit-def: $vgpr5_vgpr6
                                        ; implicit-def: $vgpr57_vgpr58
                                        ; implicit-def: $vgpr53
	s_andn2_b64 vcc, exec, s[10:11]
	s_add_i32 s33, s33, s52
	s_cbranch_vccnz .LBB1235_38
.LBB1235_7:
	v_cmp_gt_u32_e32 vcc, s33, v0
                                        ; implicit-def: $vgpr1_vgpr2
	s_and_saveexec_b64 s[10:11], vcc
	s_cbranch_execz .LBB1235_9
; %bb.8:
	v_lshlrev_b32_e32 v1, 3, v0
	v_readfirstlane_b32 s14, v59
	v_readfirstlane_b32 s15, v60
	s_nop 4
	global_load_dwordx2 v[1:2], v1, s[14:15]
.LBB1235_9:
	s_or_b64 exec, exec, s[10:11]
	v_or_b32_e32 v3, 0x100, v0
	v_cmp_gt_u32_e32 vcc, s33, v3
                                        ; implicit-def: $vgpr3_vgpr4
	s_and_saveexec_b64 s[10:11], vcc
	s_cbranch_execz .LBB1235_11
; %bb.10:
	v_lshlrev_b32_e32 v3, 3, v0
	v_readfirstlane_b32 s14, v59
	v_readfirstlane_b32 s15, v60
	s_nop 4
	global_load_dwordx2 v[3:4], v3, s[14:15] offset:2048
.LBB1235_11:
	s_or_b64 exec, exec, s[10:11]
	v_or_b32_e32 v7, 0x200, v0
	v_cmp_gt_u32_e32 vcc, s33, v7
                                        ; implicit-def: $vgpr5_vgpr6
	s_and_saveexec_b64 s[10:11], vcc
	s_cbranch_execz .LBB1235_13
; %bb.12:
	v_lshlrev_b32_e32 v5, 3, v7
	v_readfirstlane_b32 s14, v59
	v_readfirstlane_b32 s15, v60
	s_nop 4
	global_load_dwordx2 v[5:6], v5, s[14:15]
.LBB1235_13:
	s_or_b64 exec, exec, s[10:11]
	v_or_b32_e32 v9, 0x300, v0
	v_cmp_gt_u32_e32 vcc, s33, v9
                                        ; implicit-def: $vgpr7_vgpr8
	s_and_saveexec_b64 s[10:11], vcc
	s_cbranch_execz .LBB1235_15
; %bb.14:
	v_lshlrev_b32_e32 v7, 3, v9
	v_readfirstlane_b32 s14, v59
	v_readfirstlane_b32 s15, v60
	s_nop 4
	global_load_dwordx2 v[7:8], v7, s[14:15]
.LBB1235_15:
	s_or_b64 exec, exec, s[10:11]
	v_or_b32_e32 v11, 0x400, v0
	v_cmp_gt_u32_e32 vcc, s33, v11
                                        ; implicit-def: $vgpr9_vgpr10
	s_and_saveexec_b64 s[10:11], vcc
	s_cbranch_execz .LBB1235_17
; %bb.16:
	v_lshlrev_b32_e32 v9, 3, v11
	v_readfirstlane_b32 s14, v59
	v_readfirstlane_b32 s15, v60
	s_nop 4
	global_load_dwordx2 v[9:10], v9, s[14:15]
.LBB1235_17:
	s_or_b64 exec, exec, s[10:11]
	v_or_b32_e32 v13, 0x500, v0
	v_cmp_gt_u32_e32 vcc, s33, v13
                                        ; implicit-def: $vgpr11_vgpr12
	s_and_saveexec_b64 s[10:11], vcc
	s_cbranch_execz .LBB1235_19
; %bb.18:
	v_lshlrev_b32_e32 v11, 3, v13
	v_readfirstlane_b32 s14, v59
	v_readfirstlane_b32 s15, v60
	s_nop 4
	global_load_dwordx2 v[11:12], v11, s[14:15]
.LBB1235_19:
	s_or_b64 exec, exec, s[10:11]
	v_or_b32_e32 v15, 0x600, v0
	v_cmp_gt_u32_e32 vcc, s33, v15
                                        ; implicit-def: $vgpr13_vgpr14
	s_and_saveexec_b64 s[10:11], vcc
	s_cbranch_execz .LBB1235_21
; %bb.20:
	v_lshlrev_b32_e32 v13, 3, v15
	v_readfirstlane_b32 s14, v59
	v_readfirstlane_b32 s15, v60
	s_nop 4
	global_load_dwordx2 v[13:14], v13, s[14:15]
.LBB1235_21:
	s_or_b64 exec, exec, s[10:11]
	v_or_b32_e32 v17, 0x700, v0
	v_cmp_gt_u32_e32 vcc, s33, v17
                                        ; implicit-def: $vgpr15_vgpr16
	s_and_saveexec_b64 s[10:11], vcc
	s_cbranch_execz .LBB1235_23
; %bb.22:
	v_lshlrev_b32_e32 v15, 3, v17
	v_readfirstlane_b32 s14, v59
	v_readfirstlane_b32 s15, v60
	s_nop 4
	global_load_dwordx2 v[15:16], v15, s[14:15]
.LBB1235_23:
	s_or_b64 exec, exec, s[10:11]
	v_or_b32_e32 v19, 0x800, v0
	v_cmp_gt_u32_e32 vcc, s33, v19
                                        ; implicit-def: $vgpr17_vgpr18
	s_and_saveexec_b64 s[10:11], vcc
	s_cbranch_execz .LBB1235_25
; %bb.24:
	v_lshlrev_b32_e32 v17, 3, v19
	v_readfirstlane_b32 s14, v59
	v_readfirstlane_b32 s15, v60
	s_nop 4
	global_load_dwordx2 v[17:18], v17, s[14:15]
.LBB1235_25:
	s_or_b64 exec, exec, s[10:11]
	v_or_b32_e32 v21, 0x900, v0
	v_cmp_gt_u32_e32 vcc, s33, v21
                                        ; implicit-def: $vgpr19_vgpr20
	s_and_saveexec_b64 s[10:11], vcc
	s_cbranch_execz .LBB1235_27
; %bb.26:
	v_lshlrev_b32_e32 v19, 3, v21
	v_readfirstlane_b32 s14, v59
	v_readfirstlane_b32 s15, v60
	s_nop 4
	global_load_dwordx2 v[19:20], v19, s[14:15]
.LBB1235_27:
	s_or_b64 exec, exec, s[10:11]
	v_or_b32_e32 v23, 0xa00, v0
	v_cmp_gt_u32_e32 vcc, s33, v23
                                        ; implicit-def: $vgpr21_vgpr22
	s_and_saveexec_b64 s[10:11], vcc
	s_cbranch_execz .LBB1235_29
; %bb.28:
	v_lshlrev_b32_e32 v21, 3, v23
	v_readfirstlane_b32 s14, v59
	v_readfirstlane_b32 s15, v60
	s_nop 4
	global_load_dwordx2 v[21:22], v21, s[14:15]
.LBB1235_29:
	s_or_b64 exec, exec, s[10:11]
	v_or_b32_e32 v25, 0xb00, v0
	v_cmp_gt_u32_e32 vcc, s33, v25
                                        ; implicit-def: $vgpr23_vgpr24
	s_and_saveexec_b64 s[10:11], vcc
	s_cbranch_execz .LBB1235_31
; %bb.30:
	v_lshlrev_b32_e32 v23, 3, v25
	v_readfirstlane_b32 s14, v59
	v_readfirstlane_b32 s15, v60
	s_nop 4
	global_load_dwordx2 v[23:24], v23, s[14:15]
.LBB1235_31:
	s_or_b64 exec, exec, s[10:11]
	v_or_b32_e32 v27, 0xc00, v0
	v_cmp_gt_u32_e32 vcc, s33, v27
                                        ; implicit-def: $vgpr25_vgpr26
	s_and_saveexec_b64 s[10:11], vcc
	s_cbranch_execz .LBB1235_33
; %bb.32:
	v_lshlrev_b32_e32 v25, 3, v27
	v_readfirstlane_b32 s14, v59
	v_readfirstlane_b32 s15, v60
	s_nop 4
	global_load_dwordx2 v[25:26], v25, s[14:15]
.LBB1235_33:
	s_or_b64 exec, exec, s[10:11]
	v_or_b32_e32 v29, 0xd00, v0
	v_cmp_gt_u32_e32 vcc, s33, v29
                                        ; implicit-def: $vgpr27_vgpr28
	s_and_saveexec_b64 s[10:11], vcc
	s_cbranch_execz .LBB1235_35
; %bb.34:
	v_lshlrev_b32_e32 v27, 3, v29
	v_readfirstlane_b32 s14, v59
	v_readfirstlane_b32 s15, v60
	s_nop 4
	global_load_dwordx2 v[27:28], v27, s[14:15]
.LBB1235_35:
	s_or_b64 exec, exec, s[10:11]
	v_or_b32_e32 v31, 0xe00, v0
	v_cmp_gt_u32_e32 vcc, s33, v31
                                        ; implicit-def: $vgpr29_vgpr30
	s_and_saveexec_b64 s[10:11], vcc
	s_cbranch_execz .LBB1235_37
; %bb.36:
	v_lshlrev_b32_e32 v29, 3, v31
	v_readfirstlane_b32 s14, v59
	v_readfirstlane_b32 s15, v60
	s_nop 4
	global_load_dwordx2 v[29:30], v29, s[14:15]
.LBB1235_37:
	s_or_b64 exec, exec, s[10:11]
	v_lshlrev_b32_e32 v33, 3, v0
	s_movk_i32 s10, 0x70
	v_mad_u32_u24 v53, v0, s10, v33
	s_waitcnt vmcnt(0)
	ds_write2st64_b64 v33, v[1:2], v[3:4] offset1:4
	ds_write2st64_b64 v33, v[5:6], v[7:8] offset0:8 offset1:12
	ds_write2st64_b64 v33, v[9:10], v[11:12] offset0:16 offset1:20
	;; [unrolled: 1-line block ×6, first 2 shown]
	ds_write_b64 v33, v[29:30] offset:28672
	s_waitcnt lgkmcnt(0)
	s_barrier
	ds_read2_b64 v[29:32], v53 offset1:1
	ds_read2_b64 v[25:28], v53 offset0:2 offset1:3
	ds_read2_b64 v[21:24], v53 offset0:4 offset1:5
	;; [unrolled: 1-line block ×6, first 2 shown]
	ds_read_b64 v[57:58], v53 offset:112
	s_ashr_i32 s13, s12, 31
	v_mov_b32_e32 v1, s12
	v_mov_b32_e32 v2, s13
	s_waitcnt lgkmcnt(0)
	s_barrier
	ds_write2st64_b64 v33, v[1:2], v[1:2] offset1:4
	ds_write2st64_b64 v33, v[1:2], v[1:2] offset0:8 offset1:12
	ds_write2st64_b64 v33, v[1:2], v[1:2] offset0:16 offset1:20
	;; [unrolled: 1-line block ×6, first 2 shown]
	ds_write_b64 v33, v[1:2] offset:28672
	s_waitcnt lgkmcnt(0)
	s_barrier
.LBB1235_38:
	ds_read_b64 v[64:65], v53 offset:112
	ds_read2_b64 v[1:4], v53 offset0:12 offset1:13
	ds_read2_b64 v[33:36], v53 offset0:10 offset1:11
	;; [unrolled: 1-line block ×6, first 2 shown]
	ds_read2_b64 v[53:56], v53 offset1:1
	s_cmp_eq_u64 s[4:5], 0
	s_cselect_b64 s[50:51], -1, 0
	s_cmp_lg_u64 s[4:5], 0
	s_mov_b64 s[62:63], 0
	s_cselect_b64 s[10:11], -1, 0
	s_and_b64 vcc, exec, s[8:9]
	s_waitcnt lgkmcnt(0)
	s_barrier
	s_cbranch_vccz .LBB1235_43
; %bb.39:
	s_and_b64 vcc, exec, s[10:11]
	s_cbranch_vccz .LBB1235_44
; %bb.40:
	global_load_dwordx2 v[61:62], v[59:60], off offset:-8
	v_cmp_ne_u64_e32 vcc, v[7:8], v[57:58]
	v_lshlrev_b32_e32 v63, 3, v0
	v_cndmask_b32_e64 v66, 0, 1, vcc
	v_cmp_ne_u64_e32 vcc, v[5:6], v[7:8]
	buffer_store_dword v66, off, s[0:3], 0 offset:56
	v_cndmask_b32_e64 v66, 0, 1, vcc
	v_cmp_ne_u64_e32 vcc, v[11:12], v[5:6]
	buffer_store_dword v66, off, s[0:3], 0 offset:52
	;; [unrolled: 3-line block ×13, first 2 shown]
	v_cndmask_b32_e64 v66, 0, 1, vcc
	ds_write_b64 v63, v[57:58]
	buffer_store_dword v66, off, s[0:3], 0 offset:4
	s_waitcnt vmcnt(0) lgkmcnt(0)
	s_barrier
	s_and_saveexec_b64 s[8:9], s[6:7]
; %bb.41:
	v_add_u32_e32 v61, -8, v63
	ds_read_b64 v[61:62], v61
; %bb.42:
	s_or_b64 exec, exec, s[8:9]
	s_waitcnt lgkmcnt(0)
	v_cmp_ne_u64_e64 s[8:9], v[61:62], v[29:30]
	s_mov_b64 s[62:63], -1
	s_branch .LBB1235_48
.LBB1235_43:
                                        ; implicit-def: $sgpr8_sgpr9
	s_cbranch_execnz .LBB1235_49
	s_branch .LBB1235_57
.LBB1235_44:
                                        ; implicit-def: $sgpr8_sgpr9
	s_cbranch_execz .LBB1235_48
; %bb.45:
	v_cmp_ne_u64_e32 vcc, v[7:8], v[57:58]
	v_lshlrev_b32_e32 v61, 3, v0
	v_cndmask_b32_e64 v62, 0, 1, vcc
	v_cmp_ne_u64_e32 vcc, v[5:6], v[7:8]
	buffer_store_dword v62, off, s[0:3], 0 offset:56
	v_cndmask_b32_e64 v62, 0, 1, vcc
	v_cmp_ne_u64_e32 vcc, v[11:12], v[5:6]
	buffer_store_dword v62, off, s[0:3], 0 offset:52
	;; [unrolled: 3-line block ×13, first 2 shown]
	v_cndmask_b32_e64 v62, 0, 1, vcc
	buffer_store_dword v62, off, s[0:3], 0 offset:4
	v_mov_b32_e32 v62, 1
	ds_write_b64 v61, v[57:58]
	s_waitcnt vmcnt(0) lgkmcnt(0)
	s_barrier
	buffer_store_dword v62, off, s[0:3], 0
                                        ; implicit-def: $sgpr8_sgpr9
	s_and_saveexec_b64 s[12:13], s[6:7]
	s_xor_b64 s[12:13], exec, s[12:13]
	s_cbranch_execz .LBB1235_47
; %bb.46:
	v_add_u32_e32 v61, -8, v61
	ds_read_b64 v[61:62], v61
	s_or_b64 s[62:63], s[62:63], exec
	s_waitcnt lgkmcnt(0)
	v_cmp_ne_u64_e64 s[8:9], v[61:62], v[29:30]
.LBB1235_47:
	s_or_b64 exec, exec, s[12:13]
.LBB1235_48:
	s_branch .LBB1235_57
.LBB1235_49:
	s_mul_hi_u32 s8, s4, 0xfffff100
	s_mulk_i32 s5, 0xf100
	s_sub_i32 s8, s8, s4
	s_add_i32 s8, s8, s5
	s_mulk_i32 s4, 0xf100
	s_add_u32 s52, s4, s52
	s_addc_u32 s53, s8, s53
	s_and_b64 vcc, exec, s[10:11]
	v_cmp_ne_u64_e64 s[4:5], v[7:8], v[57:58]
	v_cmp_ne_u64_e64 s[34:35], v[5:6], v[7:8]
	;; [unrolled: 1-line block ×14, first 2 shown]
	v_mad_u32_u24 v61, v0, 15, 14
	v_mad_u32_u24 v90, v0, 15, 13
	;; [unrolled: 1-line block ×14, first 2 shown]
	s_cbranch_vccz .LBB1235_53
; %bb.50:
	global_load_dwordx2 v[59:60], v[59:60], off offset:-8
	v_mov_b32_e32 v62, 0
	v_cmp_gt_u64_e32 vcc, s[52:53], v[61:62]
	v_mov_b32_e32 v91, v62
	s_and_b64 s[4:5], vcc, s[4:5]
	v_cmp_gt_u64_e32 vcc, s[52:53], v[90:91]
	v_mov_b32_e32 v89, v62
	v_cndmask_b32_e64 v67, 0, 1, s[4:5]
	s_and_b64 s[4:5], vcc, s[34:35]
	v_cmp_gt_u64_e32 vcc, s[52:53], v[88:89]
	v_mov_b32_e32 v87, v62
	buffer_store_dword v67, off, s[0:3], 0 offset:56
	v_cndmask_b32_e64 v67, 0, 1, s[4:5]
	s_and_b64 s[4:5], vcc, s[30:31]
	v_cmp_gt_u64_e32 vcc, s[52:53], v[86:87]
	v_mov_b32_e32 v85, v62
	buffer_store_dword v67, off, s[0:3], 0 offset:52
	;; [unrolled: 5-line block ×9, first 2 shown]
	v_cndmask_b32_e64 v67, 0, 1, s[4:5]
	s_and_b64 s[4:5], vcc, s[14:15]
	v_cmp_gt_u64_e32 vcc, s[52:53], v[70:71]
	buffer_store_dword v67, off, s[0:3], 0 offset:20
	v_cndmask_b32_e64 v67, 0, 1, s[4:5]
	s_and_b64 s[4:5], vcc, s[12:13]
	v_mov_b32_e32 v69, v62
	buffer_store_dword v67, off, s[0:3], 0 offset:16
	v_cndmask_b32_e64 v67, 0, 1, s[4:5]
	v_cmp_gt_u64_e32 vcc, s[52:53], v[68:69]
	buffer_store_dword v67, off, s[0:3], 0 offset:12
	v_mov_b32_e32 v67, v62
	s_and_b64 s[4:5], vcc, s[10:11]
	v_cmp_gt_u64_e32 vcc, s[52:53], v[66:67]
	v_cndmask_b32_e64 v69, 0, 1, s[4:5]
	s_and_b64 s[4:5], vcc, s[8:9]
	v_lshlrev_b32_e32 v63, 3, v0
	v_mul_u32_u24_e32 v92, 15, v0
	v_cndmask_b32_e64 v67, 0, 1, s[4:5]
	ds_write_b64 v63, v[57:58]
	buffer_store_dword v69, off, s[0:3], 0 offset:8
	buffer_store_dword v67, off, s[0:3], 0 offset:4
	s_waitcnt vmcnt(0) lgkmcnt(0)
	s_barrier
	s_and_saveexec_b64 s[4:5], s[6:7]
; %bb.51:
	v_add_u32_e32 v59, -8, v63
	ds_read_b64 v[59:60], v59
; %bb.52:
	s_or_b64 exec, exec, s[4:5]
	v_mov_b32_e32 v93, v62
	s_waitcnt lgkmcnt(0)
	v_cmp_ne_u64_e32 vcc, v[59:60], v[29:30]
	v_cmp_gt_u64_e64 s[4:5], s[52:53], v[92:93]
	s_mov_b64 s[62:63], -1
	s_and_b64 s[8:9], s[4:5], vcc
	s_branch .LBB1235_57
.LBB1235_53:
                                        ; implicit-def: $sgpr8_sgpr9
	s_cbranch_execz .LBB1235_57
; %bb.54:
	v_mov_b32_e32 v62, 0
	v_cmp_gt_u64_e32 vcc, s[52:53], v[61:62]
	v_cmp_ne_u64_e64 s[4:5], v[7:8], v[57:58]
	v_mov_b32_e32 v91, v62
	s_and_b64 s[4:5], vcc, s[4:5]
	v_cndmask_b32_e64 v60, 0, 1, s[4:5]
	v_cmp_gt_u64_e32 vcc, s[52:53], v[90:91]
	v_cmp_ne_u64_e64 s[4:5], v[5:6], v[7:8]
	v_mov_b32_e32 v89, v62
	s_and_b64 s[4:5], vcc, s[4:5]
	buffer_store_dword v60, off, s[0:3], 0 offset:56
	v_cndmask_b32_e64 v60, 0, 1, s[4:5]
	v_cmp_gt_u64_e32 vcc, s[52:53], v[88:89]
	v_cmp_ne_u64_e64 s[4:5], v[11:12], v[5:6]
	v_mov_b32_e32 v87, v62
	s_and_b64 s[4:5], vcc, s[4:5]
	buffer_store_dword v60, off, s[0:3], 0 offset:52
	;; [unrolled: 6-line block ×12, first 2 shown]
	v_cndmask_b32_e64 v60, 0, 1, s[4:5]
	v_cmp_gt_u64_e32 vcc, s[52:53], v[66:67]
	v_cmp_ne_u64_e64 s[4:5], v[29:30], v[31:32]
	v_lshlrev_b32_e32 v59, 3, v0
	s_and_b64 s[4:5], vcc, s[4:5]
	buffer_store_dword v60, off, s[0:3], 0 offset:8
	v_mov_b32_e32 v60, 1
	v_cndmask_b32_e64 v61, 0, 1, s[4:5]
	ds_write_b64 v59, v[57:58]
	buffer_store_dword v61, off, s[0:3], 0 offset:4
	s_waitcnt vmcnt(0) lgkmcnt(0)
	s_barrier
	buffer_store_dword v60, off, s[0:3], 0
                                        ; implicit-def: $sgpr8_sgpr9
	s_and_saveexec_b64 s[10:11], s[6:7]
	s_cbranch_execz .LBB1235_56
; %bb.55:
	v_add_u32_e32 v59, -8, v59
	ds_read_b64 v[59:60], v59
	v_mul_u32_u24_e32 v61, 15, v0
	v_cmp_gt_u64_e32 vcc, s[52:53], v[61:62]
	s_or_b64 s[62:63], s[62:63], exec
	s_waitcnt lgkmcnt(0)
	v_cmp_ne_u64_e64 s[4:5], v[59:60], v[29:30]
	s_and_b64 s[8:9], vcc, s[4:5]
.LBB1235_56:
	s_or_b64 exec, exec, s[10:11]
.LBB1235_57:
	v_mov_b32_e32 v98, 1
	s_and_saveexec_b64 s[4:5], s[62:63]
	s_cbranch_execz .LBB1235_59
; %bb.58:
	v_cndmask_b32_e64 v98, 0, 1, s[8:9]
	buffer_store_dword v98, off, s[0:3], 0
.LBB1235_59:
	s_or_b64 exec, exec, s[4:5]
	buffer_load_dword v111, off, s[0:3], 0 offset:4
	buffer_load_dword v110, off, s[0:3], 0 offset:8
	;; [unrolled: 1-line block ×14, first 2 shown]
	s_cmp_eq_u64 s[46:47], 0
	s_cselect_b64 s[46:47], -1, 0
	s_cmp_lg_u32 s64, 0
	v_mbcnt_lo_u32_b32 v113, -1, 0
	s_waitcnt vmcnt(13)
	v_cmp_eq_u32_e64 s[30:31], 0, v111
	s_waitcnt vmcnt(12)
	v_add3_u32 v59, v111, v98, v110
	v_cmp_eq_u32_e64 s[28:29], 0, v110
	s_waitcnt vmcnt(11)
	v_cmp_eq_u32_e64 s[26:27], 0, v109
	s_waitcnt vmcnt(10)
	;; [unrolled: 2-line block ×12, first 2 shown]
	v_cmp_eq_u32_e32 vcc, 0, v112
	v_add3_u32 v114, v59, v109, v99
	s_cbranch_scc0 .LBB1235_121
; %bb.60:
	v_cndmask_b32_e64 v60, 0, v53, s[30:31]
	v_cndmask_b32_e64 v59, 0, v54, s[30:31]
	v_add_co_u32_e64 v60, s[4:5], v60, v55
	v_addc_co_u32_e64 v59, s[4:5], v59, v56, s[4:5]
	v_cndmask_b32_e64 v60, 0, v60, s[28:29]
	v_cndmask_b32_e64 v59, 0, v59, s[28:29]
	v_add_co_u32_e64 v60, s[4:5], v60, v49
	v_addc_co_u32_e64 v59, s[4:5], v59, v50, s[4:5]
	;; [unrolled: 4-line block ×11, first 2 shown]
	v_cndmask_b32_e64 v60, 0, v60, s[8:9]
	v_add3_u32 v61, v114, v100, v101
	v_cndmask_b32_e64 v59, 0, v59, s[8:9]
	v_add_co_u32_e64 v60, s[4:5], v60, v1
	v_add3_u32 v61, v61, v102, v103
	v_addc_co_u32_e64 v59, s[4:5], v59, v2, s[4:5]
	v_cndmask_b32_e64 v60, 0, v60, s[6:7]
	v_add3_u32 v61, v61, v104, v105
	v_cndmask_b32_e64 v59, 0, v59, s[6:7]
	v_add_co_u32_e64 v60, s[4:5], v60, v3
	v_add3_u32 v61, v61, v106, v107
	v_addc_co_u32_e64 v59, s[4:5], v59, v4, s[4:5]
	v_cndmask_b32_e32 v60, 0, v60, vcc
	v_add3_u32 v66, v61, v108, v112
	v_cndmask_b32_e32 v59, 0, v59, vcc
	v_add_co_u32_e32 v61, vcc, v60, v64
	v_mbcnt_hi_u32_b32 v71, -1, v113
	v_addc_co_u32_e32 v62, vcc, v59, v65, vcc
	v_and_b32_e32 v59, 15, v71
	v_mov_b32_dpp v63, v66 row_shr:1 row_mask:0xf bank_mask:0xf
	v_mov_b32_dpp v60, v61 row_shr:1 row_mask:0xf bank_mask:0xf
	;; [unrolled: 1-line block ×3, first 2 shown]
	v_cmp_ne_u32_e32 vcc, 0, v59
	s_and_saveexec_b64 s[4:5], vcc
; %bb.61:
	v_cmp_eq_u32_e32 vcc, 0, v66
	v_cndmask_b32_e32 v60, 0, v60, vcc
	v_add_u32_e32 v63, v63, v66
	v_cndmask_b32_e32 v66, 0, v67, vcc
	v_add_co_u32_e32 v61, vcc, v60, v61
	v_addc_co_u32_e32 v62, vcc, v66, v62, vcc
	v_mov_b32_e32 v66, v63
; %bb.62:
	s_or_b64 exec, exec, s[4:5]
	s_nop 0
	v_mov_b32_dpp v63, v66 row_shr:2 row_mask:0xf bank_mask:0xf
	v_mov_b32_dpp v60, v61 row_shr:2 row_mask:0xf bank_mask:0xf
	v_mov_b32_dpp v67, v62 row_shr:2 row_mask:0xf bank_mask:0xf
	v_cmp_lt_u32_e32 vcc, 1, v59
	s_and_saveexec_b64 s[4:5], vcc
; %bb.63:
	v_cmp_eq_u32_e32 vcc, 0, v66
	v_cndmask_b32_e32 v60, 0, v60, vcc
	v_add_u32_e32 v63, v63, v66
	v_cndmask_b32_e32 v66, 0, v67, vcc
	v_add_co_u32_e32 v61, vcc, v60, v61
	v_addc_co_u32_e32 v62, vcc, v66, v62, vcc
	v_mov_b32_e32 v66, v63
; %bb.64:
	s_or_b64 exec, exec, s[4:5]
	s_nop 0
	v_mov_b32_dpp v63, v66 row_shr:4 row_mask:0xf bank_mask:0xf
	v_mov_b32_dpp v60, v61 row_shr:4 row_mask:0xf bank_mask:0xf
	v_mov_b32_dpp v67, v62 row_shr:4 row_mask:0xf bank_mask:0xf
	v_cmp_lt_u32_e32 vcc, 3, v59
	;; [unrolled: 16-line block ×3, first 2 shown]
	s_and_saveexec_b64 s[4:5], vcc
; %bb.67:
	v_cmp_eq_u32_e32 vcc, 0, v66
	v_cndmask_b32_e32 v60, 0, v60, vcc
	v_add_u32_e32 v59, v63, v66
	v_cndmask_b32_e32 v63, 0, v67, vcc
	v_add_co_u32_e32 v61, vcc, v60, v61
	v_addc_co_u32_e32 v62, vcc, v63, v62, vcc
	v_mov_b32_e32 v66, v59
; %bb.68:
	s_or_b64 exec, exec, s[4:5]
	v_and_b32_e32 v67, 16, v71
	v_mov_b32_dpp v60, v66 row_bcast:15 row_mask:0xf bank_mask:0xf
	v_mov_b32_dpp v59, v61 row_bcast:15 row_mask:0xf bank_mask:0xf
	;; [unrolled: 1-line block ×3, first 2 shown]
	v_cmp_ne_u32_e32 vcc, 0, v67
	s_and_saveexec_b64 s[4:5], vcc
; %bb.69:
	v_cmp_eq_u32_e32 vcc, 0, v66
	v_cndmask_b32_e32 v59, 0, v59, vcc
	v_add_u32_e32 v60, v60, v66
	v_cndmask_b32_e32 v63, 0, v63, vcc
	v_add_co_u32_e32 v61, vcc, v59, v61
	v_addc_co_u32_e32 v62, vcc, v63, v62, vcc
	v_mov_b32_e32 v66, v60
; %bb.70:
	s_or_b64 exec, exec, s[4:5]
	s_nop 0
	v_mov_b32_dpp v60, v66 row_bcast:31 row_mask:0xf bank_mask:0xf
	v_mov_b32_dpp v59, v61 row_bcast:31 row_mask:0xf bank_mask:0xf
	;; [unrolled: 1-line block ×3, first 2 shown]
	v_cmp_lt_u32_e32 vcc, 31, v71
	s_and_saveexec_b64 s[4:5], vcc
; %bb.71:
	v_cmp_eq_u32_e32 vcc, 0, v66
	v_cndmask_b32_e32 v59, 0, v59, vcc
	v_add_u32_e32 v60, v60, v66
	v_cndmask_b32_e32 v63, 0, v63, vcc
	v_add_co_u32_e32 v61, vcc, v59, v61
	v_addc_co_u32_e32 v62, vcc, v63, v62, vcc
	v_mov_b32_e32 v66, v60
; %bb.72:
	s_or_b64 exec, exec, s[4:5]
	v_lshrrev_b32_e32 v59, 6, v0
	v_or_b32_e32 v60, 63, v0
	v_cmp_eq_u32_e32 vcc, v0, v60
	v_lshlrev_b32_e32 v67, 4, v59
	s_and_saveexec_b64 s[4:5], vcc
	s_cbranch_execz .LBB1235_74
; %bb.73:
	ds_write_b32 v67, v66 offset:4128
	ds_write_b64 v67, v[61:62] offset:4136
.LBB1235_74:
	s_or_b64 exec, exec, s[4:5]
	v_cmp_gt_u32_e32 vcc, 4, v0
	s_waitcnt lgkmcnt(0)
	s_barrier
	s_and_saveexec_b64 s[4:5], vcc
	s_cbranch_execz .LBB1235_80
; %bb.75:
	v_lshlrev_b32_e32 v63, 4, v0
	ds_read_b32 v68, v63 offset:4128
	ds_read_b64 v[59:60], v63 offset:4136
	v_and_b32_e32 v69, 3, v71
	v_cmp_ne_u32_e32 vcc, 0, v69
	s_waitcnt lgkmcnt(1)
	v_mov_b32_dpp v72, v68 row_shr:1 row_mask:0xf bank_mask:0xf
	s_waitcnt lgkmcnt(0)
	v_mov_b32_dpp v70, v59 row_shr:1 row_mask:0xf bank_mask:0xf
	v_mov_b32_dpp v73, v60 row_shr:1 row_mask:0xf bank_mask:0xf
	s_and_saveexec_b64 s[34:35], vcc
; %bb.76:
	v_cmp_eq_u32_e32 vcc, 0, v68
	v_cndmask_b32_e32 v70, 0, v70, vcc
	v_add_u32_e32 v72, v72, v68
	v_cndmask_b32_e32 v68, 0, v73, vcc
	v_add_co_u32_e32 v59, vcc, v70, v59
	v_addc_co_u32_e32 v60, vcc, v68, v60, vcc
	v_mov_b32_e32 v68, v72
; %bb.77:
	s_or_b64 exec, exec, s[34:35]
	s_nop 0
	v_mov_b32_dpp v72, v68 row_shr:2 row_mask:0xf bank_mask:0xf
	v_mov_b32_dpp v70, v59 row_shr:2 row_mask:0xf bank_mask:0xf
	v_mov_b32_dpp v73, v60 row_shr:2 row_mask:0xf bank_mask:0xf
	v_cmp_lt_u32_e32 vcc, 1, v69
	s_and_saveexec_b64 s[34:35], vcc
; %bb.78:
	v_cmp_eq_u32_e32 vcc, 0, v68
	v_cndmask_b32_e32 v70, 0, v70, vcc
	v_add_u32_e32 v69, v72, v68
	v_cndmask_b32_e32 v68, 0, v73, vcc
	v_add_co_u32_e32 v59, vcc, v70, v59
	v_addc_co_u32_e32 v60, vcc, v68, v60, vcc
	v_mov_b32_e32 v68, v69
; %bb.79:
	s_or_b64 exec, exec, s[34:35]
	ds_write_b32 v63, v68 offset:4128
	ds_write_b64 v63, v[59:60] offset:4136
.LBB1235_80:
	s_or_b64 exec, exec, s[4:5]
	v_mov_b32_e32 v59, 0
	v_cmp_gt_u32_e32 vcc, 64, v0
	v_cmp_lt_u32_e64 s[4:5], 63, v0
	v_mov_b32_e32 v60, 0
	v_mov_b32_e32 v63, 0
	s_waitcnt lgkmcnt(0)
	s_barrier
	s_and_saveexec_b64 s[34:35], s[4:5]
	s_cbranch_execz .LBB1235_82
; %bb.81:
	ds_read_b32 v63, v67 offset:4112
	ds_read_b64 v[59:60], v67 offset:4120
	v_cmp_eq_u32_e64 s[4:5], 0, v66
	s_waitcnt lgkmcnt(1)
	v_add_u32_e32 v67, v63, v66
	s_waitcnt lgkmcnt(0)
	v_cndmask_b32_e64 v68, 0, v59, s[4:5]
	v_cndmask_b32_e64 v66, 0, v60, s[4:5]
	v_add_co_u32_e64 v61, s[4:5], v68, v61
	v_addc_co_u32_e64 v62, s[4:5], v66, v62, s[4:5]
	v_mov_b32_e32 v66, v67
.LBB1235_82:
	s_or_b64 exec, exec, s[34:35]
	v_subrev_co_u32_e64 v67, s[34:35], 1, v71
	v_and_b32_e32 v68, 64, v71
	v_cmp_lt_i32_e64 s[4:5], v67, v68
	v_cndmask_b32_e64 v67, v67, v71, s[4:5]
	v_lshlrev_b32_e32 v67, 2, v67
	ds_bpermute_b32 v74, v67, v66
	ds_bpermute_b32 v75, v67, v61
	ds_bpermute_b32 v76, v67, v62
	s_and_saveexec_b64 s[52:53], vcc
	s_cbranch_execz .LBB1235_126
; %bb.83:
	v_mov_b32_e32 v68, 0
	ds_read_b32 v77, v68 offset:4176
	ds_read_b64 v[61:62], v68 offset:4184
	s_and_saveexec_b64 s[4:5], s[34:35]
	s_cbranch_execz .LBB1235_85
; %bb.84:
	s_add_i32 s62, s64, 64
	s_mov_b32 s63, 0
	s_lshl_b64 s[66:67], s[62:63], 4
	s_add_u32 s66, s40, s66
	s_addc_u32 s67, s41, s67
	v_mov_b32_e32 v66, 1
	v_mov_b32_e32 v67, s62
	s_waitcnt lgkmcnt(1)
	global_store_dword v68, v77, s[66:67]
	s_waitcnt lgkmcnt(0)
	global_store_dwordx2 v68, v[61:62], s[66:67] offset:8
	s_waitcnt vmcnt(0)
	buffer_wbinvl1_vol
	global_store_byte v67, v66, s[44:45]
.LBB1235_85:
	s_or_b64 exec, exec, s[4:5]
	v_xad_u32 v66, v71, -1, s64
	v_add_u32_e32 v67, 64, v66
	global_load_ubyte v78, v67, s[44:45] glc
	s_waitcnt vmcnt(0)
	v_cmp_eq_u16_e32 vcc, 0, v78
	s_and_saveexec_b64 s[4:5], vcc
	s_cbranch_execz .LBB1235_89
; %bb.86:
	v_mov_b32_e32 v70, s45
	v_add_co_u32_e32 v69, vcc, s44, v67
	v_addc_co_u32_e32 v70, vcc, 0, v70, vcc
	s_mov_b64 s[62:63], 0
.LBB1235_87:                            ; =>This Inner Loop Header: Depth=1
	global_load_ubyte v78, v[69:70], off glc
	s_waitcnt vmcnt(0)
	v_cmp_ne_u16_e32 vcc, 0, v78
	s_or_b64 s[62:63], vcc, s[62:63]
	s_andn2_b64 exec, exec, s[62:63]
	s_cbranch_execnz .LBB1235_87
; %bb.88:
	s_or_b64 exec, exec, s[62:63]
.LBB1235_89:
	s_or_b64 exec, exec, s[4:5]
	v_mov_b32_e32 v69, s43
	v_mov_b32_e32 v70, s41
	v_cmp_eq_u16_e32 vcc, 1, v78
	v_cndmask_b32_e32 v69, v69, v70, vcc
	v_mov_b32_e32 v70, s42
	v_mov_b32_e32 v72, s40
	v_lshlrev_b64 v[67:68], 4, v[67:68]
	v_cndmask_b32_e32 v70, v70, v72, vcc
	v_add_co_u32_e32 v67, vcc, v70, v67
	v_addc_co_u32_e32 v68, vcc, v69, v68, vcc
	s_waitcnt lgkmcnt(0)
	buffer_wbinvl1_vol
	global_load_dword v93, v[67:68], off
	global_load_dwordx2 v[72:73], v[67:68], off offset:8
	v_and_b32_e32 v79, 63, v71
	v_lshlrev_b64 v[68:69], v71, -1
	v_cmp_ne_u32_e64 s[4:5], 63, v79
	v_cmp_eq_u16_e32 vcc, 2, v78
	v_addc_co_u32_e64 v67, s[4:5], 0, v71, s[4:5]
	v_and_b32_e32 v70, vcc_hi, v69
	v_lshlrev_b32_e32 v80, 2, v67
	v_or_b32_e32 v67, 0x80000000, v70
	v_and_b32_e32 v83, vcc_lo, v68
	v_ffbl_b32_e32 v67, v67
	v_add_u32_e32 v67, 32, v67
	v_ffbl_b32_e32 v83, v83
	v_min_u32_e32 v67, v83, v67
	v_cmp_lt_u32_e32 vcc, v79, v67
	s_waitcnt vmcnt(1)
	ds_bpermute_b32 v81, v80, v93
	s_waitcnt vmcnt(0)
	ds_bpermute_b32 v70, v80, v72
	ds_bpermute_b32 v82, v80, v73
	s_and_saveexec_b64 s[4:5], vcc
	s_cbranch_execz .LBB1235_91
; %bb.90:
	v_cmp_eq_u32_e32 vcc, 0, v93
	s_waitcnt lgkmcnt(1)
	v_cndmask_b32_e32 v70, 0, v70, vcc
	v_add_u32_e32 v81, v81, v93
	s_waitcnt lgkmcnt(0)
	v_cndmask_b32_e32 v82, 0, v82, vcc
	v_add_co_u32_e32 v72, vcc, v70, v72
	v_addc_co_u32_e32 v73, vcc, v82, v73, vcc
	v_mov_b32_e32 v93, v81
.LBB1235_91:
	s_or_b64 exec, exec, s[4:5]
	v_cmp_gt_u32_e32 vcc, 62, v79
	s_waitcnt lgkmcnt(1)
	v_cndmask_b32_e64 v70, 0, 2, vcc
	v_add_lshl_u32 v81, v70, v71, 2
	ds_bpermute_b32 v83, v81, v93
	ds_bpermute_b32 v70, v81, v72
	ds_bpermute_b32 v84, v81, v73
	s_waitcnt lgkmcnt(3)
	v_add_u32_e32 v82, 2, v79
	v_cmp_le_u32_e32 vcc, v82, v67
	s_and_saveexec_b64 s[4:5], vcc
	s_cbranch_execz .LBB1235_93
; %bb.92:
	v_cmp_eq_u32_e32 vcc, 0, v93
	s_waitcnt lgkmcnt(1)
	v_cndmask_b32_e32 v70, 0, v70, vcc
	v_add_u32_e32 v83, v83, v93
	s_waitcnt lgkmcnt(0)
	v_cndmask_b32_e32 v84, 0, v84, vcc
	v_add_co_u32_e32 v72, vcc, v70, v72
	v_addc_co_u32_e32 v73, vcc, v84, v73, vcc
	v_mov_b32_e32 v93, v83
.LBB1235_93:
	s_or_b64 exec, exec, s[4:5]
	v_cmp_gt_u32_e32 vcc, 60, v79
	s_waitcnt lgkmcnt(1)
	v_cndmask_b32_e64 v70, 0, 4, vcc
	v_add_lshl_u32 v83, v70, v71, 2
	ds_bpermute_b32 v85, v83, v93
	ds_bpermute_b32 v70, v83, v72
	ds_bpermute_b32 v86, v83, v73
	s_waitcnt lgkmcnt(3)
	v_add_u32_e32 v84, 4, v79
	v_cmp_le_u32_e32 vcc, v84, v67
	;; [unrolled: 24-line block ×4, first 2 shown]
	s_and_saveexec_b64 s[4:5], vcc
	s_cbranch_execz .LBB1235_99
; %bb.98:
	v_cmp_eq_u32_e32 vcc, 0, v93
	s_waitcnt lgkmcnt(1)
	v_cndmask_b32_e32 v70, 0, v70, vcc
	v_add_u32_e32 v89, v89, v93
	s_waitcnt lgkmcnt(0)
	v_cndmask_b32_e32 v90, 0, v90, vcc
	v_add_co_u32_e32 v72, vcc, v70, v72
	v_addc_co_u32_e32 v73, vcc, v90, v73, vcc
	v_mov_b32_e32 v93, v89
.LBB1235_99:
	s_or_b64 exec, exec, s[4:5]
	s_waitcnt lgkmcnt(1)
	v_mov_b32_e32 v70, 0x80
	s_waitcnt lgkmcnt(0)
	v_lshl_or_b32 v90, v71, 2, v70
	ds_bpermute_b32 v71, v90, v93
	ds_bpermute_b32 v70, v90, v72
	ds_bpermute_b32 v89, v90, v73
	v_add_u32_e32 v91, 32, v79
	v_cmp_le_u32_e32 vcc, v91, v67
	s_and_saveexec_b64 s[4:5], vcc
	s_cbranch_execz .LBB1235_101
; %bb.100:
	v_cmp_eq_u32_e32 vcc, 0, v93
	s_waitcnt lgkmcnt(1)
	v_cndmask_b32_e32 v70, 0, v70, vcc
	v_add_u32_e32 v67, v71, v93
	s_waitcnt lgkmcnt(0)
	v_cndmask_b32_e32 v71, 0, v89, vcc
	v_add_co_u32_e32 v72, vcc, v70, v72
	v_addc_co_u32_e32 v73, vcc, v71, v73, vcc
	v_mov_b32_e32 v93, v67
.LBB1235_101:
	s_or_b64 exec, exec, s[4:5]
	v_mov_b32_e32 v67, 0
	v_mov_b32_e32 v92, 2
	s_branch .LBB1235_104
.LBB1235_102:                           ;   in Loop: Header=BB1235_104 Depth=1
	s_or_b64 exec, exec, s[4:5]
	v_cmp_eq_u32_e32 vcc, 0, v89
	v_cndmask_b32_e32 v72, 0, v72, vcc
	v_cndmask_b32_e32 v73, 0, v73, vcc
	v_add_co_u32_e32 v72, vcc, v72, v70
	v_subrev_u32_e32 v66, 64, v66
	v_add_u32_e32 v93, v94, v89
	v_addc_co_u32_e32 v73, vcc, v73, v71, vcc
	s_mov_b64 s[4:5], 0
.LBB1235_103:                           ;   in Loop: Header=BB1235_104 Depth=1
	s_and_b64 vcc, exec, s[4:5]
	s_cbranch_vccnz .LBB1235_122
.LBB1235_104:                           ; =>This Loop Header: Depth=1
                                        ;     Child Loop BB1235_107 Depth 2
	s_waitcnt lgkmcnt(1)
	v_mov_b32_e32 v70, v72
	v_cmp_ne_u16_sdwa s[4:5], v78, v92 src0_sel:BYTE_0 src1_sel:DWORD
	v_mov_b32_e32 v71, v73
	s_waitcnt lgkmcnt(0)
	v_mov_b32_e32 v89, v93
	s_cmp_lg_u64 s[4:5], exec
	s_mov_b64 s[4:5], -1
                                        ; implicit-def: $vgpr72_vgpr73
                                        ; implicit-def: $vgpr93
                                        ; implicit-def: $vgpr78
	s_cbranch_scc1 .LBB1235_103
; %bb.105:                              ;   in Loop: Header=BB1235_104 Depth=1
	global_load_ubyte v78, v66, s[44:45] glc
	s_waitcnt vmcnt(0)
	v_cmp_eq_u16_e32 vcc, 0, v78
	s_and_saveexec_b64 s[4:5], vcc
	s_cbranch_execz .LBB1235_109
; %bb.106:                              ;   in Loop: Header=BB1235_104 Depth=1
	v_mov_b32_e32 v73, s45
	v_add_co_u32_e32 v72, vcc, s44, v66
	v_addc_co_u32_e32 v73, vcc, 0, v73, vcc
	s_mov_b64 s[62:63], 0
.LBB1235_107:                           ;   Parent Loop BB1235_104 Depth=1
                                        ; =>  This Inner Loop Header: Depth=2
	global_load_ubyte v78, v[72:73], off glc
	s_waitcnt vmcnt(0)
	v_cmp_ne_u16_e32 vcc, 0, v78
	s_or_b64 s[62:63], vcc, s[62:63]
	s_andn2_b64 exec, exec, s[62:63]
	s_cbranch_execnz .LBB1235_107
; %bb.108:                              ;   in Loop: Header=BB1235_104 Depth=1
	s_or_b64 exec, exec, s[62:63]
.LBB1235_109:                           ;   in Loop: Header=BB1235_104 Depth=1
	s_or_b64 exec, exec, s[4:5]
	v_mov_b32_e32 v72, s43
	v_mov_b32_e32 v73, s41
	v_cmp_eq_u16_e32 vcc, 1, v78
	v_cndmask_b32_e32 v93, v72, v73, vcc
	v_mov_b32_e32 v72, s42
	v_mov_b32_e32 v73, s40
	v_cndmask_b32_e32 v94, v72, v73, vcc
	v_lshlrev_b64 v[72:73], 4, v[66:67]
	buffer_wbinvl1_vol
	v_add_co_u32_e32 v72, vcc, v94, v72
	v_addc_co_u32_e32 v73, vcc, v93, v73, vcc
	global_load_dword v94, v[72:73], off
	s_nop 0
	global_load_dwordx2 v[72:73], v[72:73], off offset:8
	v_cmp_eq_u16_e32 vcc, 2, v78
	v_and_b32_e32 v93, vcc_hi, v69
	v_or_b32_e32 v93, 0x80000000, v93
	v_and_b32_e32 v115, vcc_lo, v68
	v_ffbl_b32_e32 v93, v93
	v_add_u32_e32 v93, 32, v93
	v_ffbl_b32_e32 v115, v115
	v_min_u32_e32 v93, v115, v93
	v_cmp_lt_u32_e32 vcc, v79, v93
	s_waitcnt vmcnt(1)
	ds_bpermute_b32 v96, v80, v94
	s_waitcnt vmcnt(0)
	ds_bpermute_b32 v95, v80, v72
	ds_bpermute_b32 v97, v80, v73
	s_and_saveexec_b64 s[4:5], vcc
	s_cbranch_execz .LBB1235_111
; %bb.110:                              ;   in Loop: Header=BB1235_104 Depth=1
	v_cmp_eq_u32_e32 vcc, 0, v94
	s_waitcnt lgkmcnt(1)
	v_cndmask_b32_e32 v95, 0, v95, vcc
	v_add_u32_e32 v96, v96, v94
	s_waitcnt lgkmcnt(0)
	v_cndmask_b32_e32 v94, 0, v97, vcc
	v_add_co_u32_e32 v72, vcc, v95, v72
	v_addc_co_u32_e32 v73, vcc, v94, v73, vcc
	v_mov_b32_e32 v94, v96
.LBB1235_111:                           ;   in Loop: Header=BB1235_104 Depth=1
	s_or_b64 exec, exec, s[4:5]
	s_waitcnt lgkmcnt(2)
	ds_bpermute_b32 v96, v81, v94
	s_waitcnt lgkmcnt(2)
	ds_bpermute_b32 v95, v81, v72
	s_waitcnt lgkmcnt(2)
	ds_bpermute_b32 v97, v81, v73
	v_cmp_le_u32_e32 vcc, v82, v93
	s_and_saveexec_b64 s[4:5], vcc
	s_cbranch_execz .LBB1235_113
; %bb.112:                              ;   in Loop: Header=BB1235_104 Depth=1
	v_cmp_eq_u32_e32 vcc, 0, v94
	s_waitcnt lgkmcnt(1)
	v_cndmask_b32_e32 v95, 0, v95, vcc
	v_add_u32_e32 v96, v96, v94
	s_waitcnt lgkmcnt(0)
	v_cndmask_b32_e32 v94, 0, v97, vcc
	v_add_co_u32_e32 v72, vcc, v95, v72
	v_addc_co_u32_e32 v73, vcc, v94, v73, vcc
	v_mov_b32_e32 v94, v96
.LBB1235_113:                           ;   in Loop: Header=BB1235_104 Depth=1
	s_or_b64 exec, exec, s[4:5]
	s_waitcnt lgkmcnt(2)
	ds_bpermute_b32 v96, v83, v94
	s_waitcnt lgkmcnt(2)
	ds_bpermute_b32 v95, v83, v72
	s_waitcnt lgkmcnt(2)
	ds_bpermute_b32 v97, v83, v73
	v_cmp_le_u32_e32 vcc, v84, v93
	;; [unrolled: 21-line block ×5, first 2 shown]
	s_and_saveexec_b64 s[4:5], vcc
	s_cbranch_execz .LBB1235_102
; %bb.120:                              ;   in Loop: Header=BB1235_104 Depth=1
	v_cmp_eq_u32_e32 vcc, 0, v94
	s_waitcnt lgkmcnt(1)
	v_cndmask_b32_e32 v95, 0, v95, vcc
	v_add_u32_e32 v93, v96, v94
	s_waitcnt lgkmcnt(0)
	v_cndmask_b32_e32 v94, 0, v97, vcc
	v_add_co_u32_e32 v72, vcc, v95, v72
	v_addc_co_u32_e32 v73, vcc, v94, v73, vcc
	v_mov_b32_e32 v94, v93
	s_branch .LBB1235_102
.LBB1235_121:
                                        ; implicit-def: $vgpr59
                                        ; implicit-def: $vgpr61_vgpr62
                                        ; implicit-def: $vgpr63
                                        ; implicit-def: $vgpr90_vgpr91
                                        ; implicit-def: $vgpr66_vgpr67
                                        ; implicit-def: $vgpr68_vgpr69
                                        ; implicit-def: $vgpr70_vgpr71
                                        ; implicit-def: $vgpr72_vgpr73
                                        ; implicit-def: $vgpr74_vgpr75
                                        ; implicit-def: $vgpr76_vgpr77
                                        ; implicit-def: $vgpr78_vgpr79
                                        ; implicit-def: $vgpr80_vgpr81
                                        ; implicit-def: $vgpr82_vgpr83
                                        ; implicit-def: $vgpr84_vgpr85
                                        ; implicit-def: $vgpr86_vgpr87
                                        ; implicit-def: $vgpr88_vgpr89
                                        ; implicit-def: $vgpr92_vgpr93
                                        ; implicit-def: $vgpr94_vgpr95
                                        ; implicit-def: $vgpr60
	s_cbranch_execnz .LBB1235_127
	s_branch .LBB1235_154
.LBB1235_122:
	s_and_saveexec_b64 s[4:5], s[34:35]
	s_cbranch_execz .LBB1235_124
; %bb.123:
	s_mov_b32 s41, 0
	v_cmp_eq_u32_e32 vcc, 0, v77
	s_add_i32 s40, s64, 64
	v_cndmask_b32_e32 v66, 0, v70, vcc
	s_lshl_b64 s[62:63], s[40:41], 4
	v_cndmask_b32_e32 v67, 0, v71, vcc
	v_add_co_u32_e32 v66, vcc, v66, v61
	s_add_u32 s62, s42, s62
	v_add_u32_e32 v68, v89, v77
	v_addc_co_u32_e32 v67, vcc, v67, v62, vcc
	s_addc_u32 s63, s43, s63
	v_mov_b32_e32 v69, 0
	global_store_dword v69, v68, s[62:63]
	global_store_dwordx2 v69, v[66:67], s[62:63] offset:8
	v_mov_b32_e32 v66, 2
	v_mov_b32_e32 v67, s40
	s_waitcnt vmcnt(0) lgkmcnt(0)
	buffer_wbinvl1_vol
	global_store_byte v67, v66, s[44:45]
	ds_write_b32 v69, v77 offset:4096
	ds_write_b64 v69, v[61:62] offset:4104
	ds_write_b32 v69, v89 offset:4112
	ds_write_b64 v69, v[70:71] offset:4120
.LBB1235_124:
	s_or_b64 exec, exec, s[4:5]
	s_and_b64 exec, exec, s[38:39]
	s_cbranch_execz .LBB1235_126
; %bb.125:
	v_mov_b32_e32 v61, 0
	ds_write_b32 v61, v89 offset:4176
	ds_write_b64 v61, v[70:71] offset:4184
.LBB1235_126:
	s_or_b64 exec, exec, s[52:53]
	v_mov_b32_e32 v92, 0
	s_waitcnt vmcnt(0) lgkmcnt(0)
	s_barrier
	ds_read_b32 v66, v92 offset:4176
	ds_read_b64 v[61:62], v92 offset:4184
	v_cndmask_b32_e64 v63, v74, v63, s[34:35]
	v_cmp_eq_u32_e32 vcc, 0, v63
	v_cndmask_b32_e64 v59, v75, v59, s[34:35]
	v_cndmask_b32_e64 v60, v76, v60, s[34:35]
	s_waitcnt lgkmcnt(0)
	v_cndmask_b32_e32 v68, 0, v61, vcc
	v_cndmask_b32_e32 v67, 0, v62, vcc
	v_add_co_u32_e32 v59, vcc, v68, v59
	v_addc_co_u32_e32 v67, vcc, v67, v60, vcc
	v_cndmask_b32_e64 v90, v59, v61, s[38:39]
	v_cmp_eq_u32_e32 vcc, 0, v98
	v_cndmask_b32_e64 v60, v63, 0, s[38:39]
	v_cndmask_b32_e64 v91, v67, v62, s[38:39]
	v_cndmask_b32_e32 v61, 0, v90, vcc
	v_add_u32_e32 v60, v66, v60
	v_cndmask_b32_e32 v59, 0, v91, vcc
	v_add_co_u32_e32 v66, vcc, v61, v53
	v_addc_co_u32_e32 v67, vcc, v59, v54, vcc
	v_cndmask_b32_e64 v61, 0, v66, s[30:31]
	v_cndmask_b32_e64 v59, 0, v67, s[30:31]
	v_add_co_u32_e32 v68, vcc, v61, v55
	v_addc_co_u32_e32 v69, vcc, v59, v56, vcc
	v_cndmask_b32_e64 v61, 0, v68, s[28:29]
	v_cndmask_b32_e64 v59, 0, v69, s[28:29]
	;; [unrolled: 4-line block ×11, first 2 shown]
	v_add_co_u32_e32 v88, vcc, v61, v35
	v_addc_co_u32_e32 v89, vcc, v59, v36, vcc
	s_barrier
	ds_read_b32 v59, v92 offset:4096
	ds_read_b64 v[61:62], v92 offset:4104
	ds_read_b32 v63, v92 offset:4112
	ds_read_b64 v[96:97], v92 offset:4120
	v_cndmask_b32_e64 v94, 0, v88, s[8:9]
	v_cndmask_b32_e64 v93, 0, v89, s[8:9]
	v_add_co_u32_e32 v92, vcc, v94, v1
	v_addc_co_u32_e32 v93, vcc, v93, v2, vcc
	s_waitcnt lgkmcnt(3)
	v_cmp_eq_u32_e32 vcc, 0, v59
	s_waitcnt lgkmcnt(0)
	v_cndmask_b32_e32 v96, 0, v96, vcc
	v_cndmask_b32_e32 v97, 0, v97, vcc
	v_add_co_u32_e32 v61, vcc, v96, v61
	v_cndmask_b32_e64 v95, 0, v93, s[6:7]
	v_cndmask_b32_e64 v94, 0, v92, s[6:7]
	v_addc_co_u32_e32 v62, vcc, v97, v62, vcc
	s_branch .LBB1235_154
.LBB1235_127:
	s_cmp_eq_u64 s[36:37], 0
	s_cselect_b64 s[4:5], -1, 0
	s_or_b64 s[4:5], s[46:47], s[4:5]
	v_mov_b32_e32 v97, v54
	s_and_b64 vcc, exec, s[4:5]
	v_mov_b32_e32 v96, v53
	s_cbranch_vccnz .LBB1235_129
; %bb.128:
	v_mov_b32_e32 v59, 0
	global_load_dwordx2 v[96:97], v59, s[36:37]
.LBB1235_129:
	v_cmp_eq_u32_e64 s[28:29], 0, v111
	v_cndmask_b32_e64 v60, 0, v53, s[28:29]
	v_cndmask_b32_e64 v59, 0, v54, s[28:29]
	v_add_co_u32_e32 v60, vcc, v60, v55
	v_cmp_eq_u32_e64 s[26:27], 0, v110
	v_addc_co_u32_e32 v59, vcc, v59, v56, vcc
	v_cndmask_b32_e64 v60, 0, v60, s[26:27]
	v_cndmask_b32_e64 v59, 0, v59, s[26:27]
	v_add_co_u32_e32 v60, vcc, v60, v49
	v_cmp_eq_u32_e64 s[24:25], 0, v109
	v_addc_co_u32_e32 v59, vcc, v59, v50, vcc
	;; [unrolled: 5-line block ×11, first 2 shown]
	v_cndmask_b32_e64 v60, 0, v60, s[8:9]
	v_cndmask_b32_e64 v59, 0, v59, s[8:9]
	v_add_co_u32_e32 v60, vcc, v60, v1
	v_addc_co_u32_e32 v59, vcc, v59, v2, vcc
	v_cmp_eq_u32_e32 vcc, 0, v108
	v_add3_u32 v61, v114, v100, v101
	v_cndmask_b32_e32 v60, 0, v60, vcc
	v_add3_u32 v61, v61, v102, v103
	v_cndmask_b32_e32 v59, 0, v59, vcc
	v_add_co_u32_e64 v60, s[4:5], v60, v3
	v_add3_u32 v61, v61, v104, v105
	v_addc_co_u32_e64 v59, s[4:5], v59, v4, s[4:5]
	v_add3_u32 v61, v61, v106, v107
	v_cmp_eq_u32_e64 s[4:5], 0, v112
	v_add3_u32 v66, v61, v108, v112
	v_cndmask_b32_e64 v61, 0, v59, s[4:5]
	v_cndmask_b32_e64 v59, 0, v60, s[4:5]
	v_add_co_u32_e64 v59, s[4:5], v59, v64
	v_mbcnt_hi_u32_b32 v63, -1, v113
	v_addc_co_u32_e64 v60, s[4:5], v61, v65, s[4:5]
	v_and_b32_e32 v61, 15, v63
	v_mov_b32_dpp v64, v66 row_shr:1 row_mask:0xf bank_mask:0xf
	v_mov_b32_dpp v62, v59 row_shr:1 row_mask:0xf bank_mask:0xf
	;; [unrolled: 1-line block ×3, first 2 shown]
	v_cmp_ne_u32_e64 s[4:5], 0, v61
	s_and_saveexec_b64 s[30:31], s[4:5]
; %bb.130:
	v_cmp_eq_u32_e64 s[4:5], 0, v66
	v_cndmask_b32_e64 v62, 0, v62, s[4:5]
	v_add_u32_e32 v64, v64, v66
	v_cndmask_b32_e64 v65, 0, v65, s[4:5]
	v_add_co_u32_e64 v59, s[4:5], v62, v59
	v_addc_co_u32_e64 v60, s[4:5], v65, v60, s[4:5]
	v_mov_b32_e32 v66, v64
; %bb.131:
	s_or_b64 exec, exec, s[30:31]
	s_nop 0
	v_mov_b32_dpp v64, v66 row_shr:2 row_mask:0xf bank_mask:0xf
	v_mov_b32_dpp v62, v59 row_shr:2 row_mask:0xf bank_mask:0xf
	v_mov_b32_dpp v65, v60 row_shr:2 row_mask:0xf bank_mask:0xf
	v_cmp_lt_u32_e64 s[4:5], 1, v61
	s_and_saveexec_b64 s[30:31], s[4:5]
; %bb.132:
	v_cmp_eq_u32_e64 s[4:5], 0, v66
	v_cndmask_b32_e64 v62, 0, v62, s[4:5]
	v_add_u32_e32 v64, v64, v66
	v_cndmask_b32_e64 v65, 0, v65, s[4:5]
	v_add_co_u32_e64 v59, s[4:5], v62, v59
	v_addc_co_u32_e64 v60, s[4:5], v65, v60, s[4:5]
	v_mov_b32_e32 v66, v64
; %bb.133:
	s_or_b64 exec, exec, s[30:31]
	s_nop 0
	v_mov_b32_dpp v64, v66 row_shr:4 row_mask:0xf bank_mask:0xf
	v_mov_b32_dpp v62, v59 row_shr:4 row_mask:0xf bank_mask:0xf
	v_mov_b32_dpp v65, v60 row_shr:4 row_mask:0xf bank_mask:0xf
	v_cmp_lt_u32_e64 s[4:5], 3, v61
	;; [unrolled: 16-line block ×3, first 2 shown]
	s_and_saveexec_b64 s[30:31], s[4:5]
; %bb.136:
	v_cmp_eq_u32_e64 s[4:5], 0, v66
	v_cndmask_b32_e64 v62, 0, v62, s[4:5]
	v_add_u32_e32 v61, v64, v66
	v_cndmask_b32_e64 v64, 0, v65, s[4:5]
	v_add_co_u32_e64 v59, s[4:5], v62, v59
	v_addc_co_u32_e64 v60, s[4:5], v64, v60, s[4:5]
	v_mov_b32_e32 v66, v61
; %bb.137:
	s_or_b64 exec, exec, s[30:31]
	v_and_b32_e32 v65, 16, v63
	v_mov_b32_dpp v62, v66 row_bcast:15 row_mask:0xf bank_mask:0xf
	v_mov_b32_dpp v61, v59 row_bcast:15 row_mask:0xf bank_mask:0xf
	;; [unrolled: 1-line block ×3, first 2 shown]
	v_cmp_ne_u32_e64 s[4:5], 0, v65
	s_and_saveexec_b64 s[30:31], s[4:5]
; %bb.138:
	v_cmp_eq_u32_e64 s[4:5], 0, v66
	v_cndmask_b32_e64 v61, 0, v61, s[4:5]
	v_add_u32_e32 v62, v62, v66
	v_cndmask_b32_e64 v64, 0, v64, s[4:5]
	v_add_co_u32_e64 v59, s[4:5], v61, v59
	v_addc_co_u32_e64 v60, s[4:5], v64, v60, s[4:5]
	v_mov_b32_e32 v66, v62
; %bb.139:
	s_or_b64 exec, exec, s[30:31]
	s_nop 0
	v_mov_b32_dpp v62, v66 row_bcast:31 row_mask:0xf bank_mask:0xf
	v_mov_b32_dpp v61, v59 row_bcast:31 row_mask:0xf bank_mask:0xf
	;; [unrolled: 1-line block ×3, first 2 shown]
	v_cmp_lt_u32_e64 s[4:5], 31, v63
	s_and_saveexec_b64 s[30:31], s[4:5]
; %bb.140:
	v_cmp_eq_u32_e64 s[4:5], 0, v66
	v_cndmask_b32_e64 v61, 0, v61, s[4:5]
	v_add_u32_e32 v62, v62, v66
	v_cndmask_b32_e64 v64, 0, v64, s[4:5]
	v_add_co_u32_e64 v59, s[4:5], v61, v59
	v_addc_co_u32_e64 v60, s[4:5], v64, v60, s[4:5]
	v_mov_b32_e32 v66, v62
; %bb.141:
	s_or_b64 exec, exec, s[30:31]
	v_lshrrev_b32_e32 v61, 6, v0
	v_or_b32_e32 v62, 63, v0
	v_cmp_eq_u32_e64 s[4:5], v0, v62
	v_lshlrev_b32_e32 v65, 4, v61
	s_and_saveexec_b64 s[30:31], s[4:5]
	s_cbranch_execz .LBB1235_143
; %bb.142:
	ds_write_b32 v65, v66 offset:4128
	ds_write_b64 v65, v[59:60] offset:4136
.LBB1235_143:
	s_or_b64 exec, exec, s[30:31]
	v_cmp_gt_u32_e64 s[4:5], 4, v0
	s_waitcnt vmcnt(0) lgkmcnt(0)
	s_barrier
	s_and_saveexec_b64 s[30:31], s[4:5]
	s_cbranch_execz .LBB1235_149
; %bb.144:
	v_lshlrev_b32_e32 v64, 4, v0
	ds_read_b32 v67, v64 offset:4128
	ds_read_b64 v[61:62], v64 offset:4136
	v_and_b32_e32 v68, 3, v63
	v_cmp_ne_u32_e64 s[4:5], 0, v68
	s_waitcnt lgkmcnt(1)
	v_mov_b32_dpp v70, v67 row_shr:1 row_mask:0xf bank_mask:0xf
	s_waitcnt lgkmcnt(0)
	v_mov_b32_dpp v69, v61 row_shr:1 row_mask:0xf bank_mask:0xf
	v_mov_b32_dpp v71, v62 row_shr:1 row_mask:0xf bank_mask:0xf
	s_and_saveexec_b64 s[34:35], s[4:5]
; %bb.145:
	v_cmp_eq_u32_e64 s[4:5], 0, v67
	v_cndmask_b32_e64 v69, 0, v69, s[4:5]
	v_add_u32_e32 v70, v70, v67
	v_cndmask_b32_e64 v67, 0, v71, s[4:5]
	v_add_co_u32_e64 v61, s[4:5], v69, v61
	v_addc_co_u32_e64 v62, s[4:5], v67, v62, s[4:5]
	v_mov_b32_e32 v67, v70
; %bb.146:
	s_or_b64 exec, exec, s[34:35]
	s_nop 0
	v_mov_b32_dpp v70, v67 row_shr:2 row_mask:0xf bank_mask:0xf
	v_mov_b32_dpp v69, v61 row_shr:2 row_mask:0xf bank_mask:0xf
	;; [unrolled: 1-line block ×3, first 2 shown]
	v_cmp_lt_u32_e64 s[4:5], 1, v68
	s_and_saveexec_b64 s[34:35], s[4:5]
; %bb.147:
	v_cmp_eq_u32_e64 s[4:5], 0, v67
	v_cndmask_b32_e64 v69, 0, v69, s[4:5]
	v_add_u32_e32 v68, v70, v67
	v_cndmask_b32_e64 v67, 0, v71, s[4:5]
	v_add_co_u32_e64 v61, s[4:5], v69, v61
	v_addc_co_u32_e64 v62, s[4:5], v67, v62, s[4:5]
	v_mov_b32_e32 v67, v68
; %bb.148:
	s_or_b64 exec, exec, s[34:35]
	ds_write_b32 v64, v67 offset:4128
	ds_write_b64 v64, v[61:62] offset:4136
.LBB1235_149:
	s_or_b64 exec, exec, s[30:31]
	v_mov_b32_e32 v61, v96
	v_cmp_lt_u32_e64 s[4:5], 63, v0
	v_mov_b32_e32 v64, 0
	v_mov_b32_e32 v67, 0
	;; [unrolled: 1-line block ×3, first 2 shown]
	s_waitcnt lgkmcnt(0)
	s_barrier
	s_and_saveexec_b64 s[30:31], s[4:5]
	s_cbranch_execz .LBB1235_151
; %bb.150:
	ds_read_b32 v67, v65 offset:4112
	ds_read_b64 v[61:62], v65 offset:4120
	s_waitcnt lgkmcnt(1)
	v_cmp_eq_u32_e64 s[4:5], 0, v67
	v_cndmask_b32_e64 v68, 0, v96, s[4:5]
	v_cndmask_b32_e64 v65, 0, v97, s[4:5]
	s_waitcnt lgkmcnt(0)
	v_add_co_u32_e64 v61, s[4:5], v68, v61
	v_addc_co_u32_e64 v62, s[4:5], v65, v62, s[4:5]
.LBB1235_151:
	s_or_b64 exec, exec, s[30:31]
	v_cmp_eq_u32_e64 s[4:5], 0, v66
	v_cndmask_b32_e64 v68, 0, v61, s[4:5]
	v_add_u32_e32 v65, v67, v66
	v_cndmask_b32_e64 v66, 0, v62, s[4:5]
	v_add_co_u32_e64 v59, s[4:5], v68, v59
	v_addc_co_u32_e64 v60, s[4:5], v66, v60, s[4:5]
	v_subrev_co_u32_e64 v66, s[4:5], 1, v63
	v_and_b32_e32 v68, 64, v63
	v_cmp_lt_i32_e64 s[30:31], v66, v68
	v_cndmask_b32_e64 v63, v66, v63, s[30:31]
	v_lshlrev_b32_e32 v63, 2, v63
	ds_bpermute_b32 v59, v63, v59
	ds_bpermute_b32 v65, v63, v65
	;; [unrolled: 1-line block ×3, first 2 shown]
	s_waitcnt lgkmcnt(2)
	v_cndmask_b32_e64 v90, v59, v61, s[4:5]
	s_waitcnt lgkmcnt(1)
	v_cndmask_b32_e64 v60, v65, v67, s[4:5]
	;; [unrolled: 2-line block ×3, first 2 shown]
	v_cndmask_b32_e64 v59, v90, v96, s[38:39]
	v_cmp_eq_u32_e64 s[4:5], 0, v98
	v_cndmask_b32_e64 v61, v91, v97, s[38:39]
	v_cndmask_b32_e64 v59, 0, v59, s[4:5]
	;; [unrolled: 1-line block ×3, first 2 shown]
	v_add_co_u32_e64 v66, s[4:5], v59, v53
	v_addc_co_u32_e64 v67, s[4:5], v61, v54, s[4:5]
	v_cndmask_b32_e64 v54, 0, v66, s[28:29]
	v_cndmask_b32_e64 v53, 0, v67, s[28:29]
	v_add_co_u32_e64 v68, s[4:5], v54, v55
	v_addc_co_u32_e64 v69, s[4:5], v53, v56, s[4:5]
	v_cndmask_b32_e64 v54, 0, v68, s[26:27]
	v_cndmask_b32_e64 v53, 0, v69, s[26:27]
	;; [unrolled: 4-line block ×11, first 2 shown]
	v_add_co_u32_e64 v88, s[4:5], v34, v35
	v_addc_co_u32_e64 v89, s[4:5], v33, v36, s[4:5]
	v_cndmask_b32_e64 v34, 0, v88, s[8:9]
	ds_read_b32 v59, v64 offset:4176
	v_cndmask_b32_e64 v33, 0, v89, s[8:9]
	v_add_co_u32_e64 v92, s[4:5], v34, v1
	v_addc_co_u32_e64 v93, s[4:5], v33, v2, s[4:5]
	ds_read_b64 v[1:2], v64 offset:4184
	v_cndmask_b32_e32 v95, 0, v93, vcc
	v_cndmask_b32_e32 v94, 0, v92, vcc
	s_waitcnt lgkmcnt(1)
	v_cmp_eq_u32_e32 vcc, 0, v59
	v_cndmask_b32_e32 v34, 0, v96, vcc
	v_cndmask_b32_e32 v33, 0, v97, vcc
	s_waitcnt lgkmcnt(0)
	v_add_co_u32_e32 v61, vcc, v34, v1
	v_addc_co_u32_e32 v62, vcc, v33, v2, vcc
	s_and_saveexec_b64 s[4:5], s[38:39]
	s_cbranch_execz .LBB1235_153
; %bb.152:
	v_mov_b32_e32 v90, v96
	v_mov_b32_e32 v60, 0
	;; [unrolled: 1-line block ×4, first 2 shown]
	global_store_dword v60, v59, s[42:43] offset:1024
	global_store_dwordx2 v60, v[61:62], s[42:43] offset:1032
	s_waitcnt vmcnt(0)
	buffer_wbinvl1_vol
	global_store_byte v60, v1, s[44:45] offset:64
.LBB1235_153:
	s_or_b64 exec, exec, s[4:5]
	v_mov_b32_e32 v63, 0
.LBB1235_154:
	s_cmp_eq_u64 s[54:55], 0
	s_cselect_b64 s[4:5], -1, 0
	s_or_b64 s[4:5], s[46:47], s[4:5]
	v_mov_b32_e32 v1, 0
	s_and_b64 vcc, exec, s[4:5]
	v_mov_b32_e32 v2, 0
	s_waitcnt vmcnt(0)
	s_barrier
	s_cbranch_vccnz .LBB1235_156
; %bb.155:
	v_mov_b32_e32 v1, 0
	global_load_dwordx2 v[1:2], v1, s[54:55]
.LBB1235_156:
	s_nop 0
	buffer_load_dword v53, off, s[0:3], 0
	buffer_load_dword v54, off, s[0:3], 0 offset:4
	buffer_load_dword v55, off, s[0:3], 0 offset:8
	;; [unrolled: 1-line block ×13, first 2 shown]
	v_add_u32_e32 v50, v60, v98
	buffer_load_dword v98, off, s[0:3], 0 offset:56
	s_waitcnt vmcnt(15)
	v_lshlrev_b64 v[35:36], 3, v[1:2]
	v_mov_b32_e32 v64, 0
	v_mov_b32_e32 v37, s57
	v_lshlrev_b64 v[33:34], 3, v[63:64]
	v_add_co_u32_e32 v38, vcc, s56, v35
	v_addc_co_u32_e32 v37, vcc, v37, v36, vcc
	v_add_co_u32_e32 v51, vcc, v38, v33
	v_addc_co_u32_e32 v52, vcc, v37, v34, vcc
	v_add_u32_e32 v49, v50, v111
	v_add_u32_e32 v48, v49, v110
	;; [unrolled: 1-line block ×11, first 2 shown]
	s_movk_i32 s4, 0x100
	v_add_u32_e32 v38, v39, v107
	v_add_u32_e32 v37, v38, v108
	s_mov_b64 s[40:41], -1
	s_waitcnt vmcnt(14)
	v_cmp_eq_u32_e32 vcc, 0, v53
	v_cmp_ne_u32_e64 s[36:37], 0, v53
	v_cndmask_b32_e64 v53, 1, 2, vcc
	s_waitcnt vmcnt(13)
	v_cmp_eq_u32_e32 vcc, 0, v54
	v_cmp_ne_u32_e64 s[34:35], 0, v54
	v_cndmask_b32_e64 v54, 1, 2, vcc
	;; [unrolled: 4-line block ×3, first 2 shown]
	s_waitcnt vmcnt(11)
	v_cmp_eq_u32_e32 vcc, 0, v56
	v_and_b32_e32 v53, v54, v53
	v_cmp_ne_u32_e64 s[28:29], 0, v56
	v_cndmask_b32_e64 v56, 1, 2, vcc
	s_waitcnt vmcnt(10)
	v_cmp_eq_u32_e32 vcc, 0, v65
	v_and_b32_e32 v53, v53, v55
	v_cndmask_b32_e64 v64, 1, 2, vcc
	s_waitcnt vmcnt(9)
	v_cmp_eq_u32_e32 vcc, 0, v96
	v_and_b32_e32 v53, v53, v56
	v_cmp_ne_u32_e64 s[26:27], 0, v65
	v_cndmask_b32_e64 v65, 1, 2, vcc
	s_waitcnt vmcnt(8)
	v_cmp_eq_u32_e32 vcc, 0, v97
	v_and_b32_e32 v53, v53, v64
	v_cmp_ne_u32_e64 s[24:25], 0, v96
	;; [unrolled: 5-line block ×3, first 2 shown]
	v_cndmask_b32_e64 v97, 1, 2, vcc
	s_waitcnt vmcnt(6)
	v_cmp_eq_u32_e32 vcc, 0, v113
	v_and_b32_e32 v53, v53, v96
	v_cndmask_b32_e64 v99, 1, 2, vcc
	s_waitcnt vmcnt(5)
	v_cmp_eq_u32_e32 vcc, 0, v114
	v_and_b32_e32 v53, v53, v97
	;; [unrolled: 4-line block ×5, first 2 shown]
	v_cndmask_b32_e64 v103, 1, 2, vcc
	v_and_b32_e32 v53, v53, v102
	s_waitcnt vmcnt(1)
	v_cmp_eq_u32_e32 vcc, 0, v118
	v_and_b32_e32 v53, v53, v103
	v_cndmask_b32_e64 v54, 1, 2, vcc
	s_waitcnt vmcnt(0)
	v_cmp_eq_u32_e32 vcc, 0, v98
	v_and_b32_e32 v53, v53, v54
	v_cndmask_b32_e64 v54, 1, 2, vcc
	v_and_b32_e32 v53, v53, v54
	v_cmp_gt_u32_e32 vcc, s4, v59
	v_cmp_ne_u32_e64 s[20:21], 0, v112
	v_cmp_ne_u32_e64 s[18:19], 0, v113
	;; [unrolled: 1-line block ×8, first 2 shown]
	v_cmp_gt_i16_e64 s[4:5], 2, v53
	s_cbranch_vccz .LBB1235_163
; %bb.157:
	s_and_saveexec_b64 s[40:41], s[4:5]
	s_cbranch_execz .LBB1235_162
; %bb.158:
	v_cmp_ne_u16_e32 vcc, 1, v53
	s_mov_b64 s[42:43], 0
	s_and_saveexec_b64 s[4:5], vcc
	s_xor_b64 s[4:5], exec, s[4:5]
	s_cbranch_execnz .LBB1235_198
; %bb.159:
	s_andn2_saveexec_b64 s[4:5], s[4:5]
	s_cbranch_execnz .LBB1235_214
.LBB1235_160:
	s_or_b64 exec, exec, s[4:5]
	s_and_b64 exec, exec, s[42:43]
	s_cbranch_execz .LBB1235_162
.LBB1235_161:
	v_sub_u32_e32 v54, v37, v63
	v_mov_b32_e32 v55, 0
	v_lshlrev_b64 v[54:55], 3, v[54:55]
	v_add_co_u32_e32 v54, vcc, v51, v54
	v_addc_co_u32_e32 v55, vcc, v52, v55, vcc
	global_store_dwordx2 v[54:55], v[57:58], off
.LBB1235_162:
	s_or_b64 exec, exec, s[40:41]
	s_mov_b64 s[40:41], 0
.LBB1235_163:
	s_and_b64 vcc, exec, s[40:41]
	s_cbranch_vccz .LBB1235_173
; %bb.164:
	v_cmp_gt_i16_e32 vcc, 2, v53
	s_and_saveexec_b64 s[4:5], vcc
	s_cbranch_execz .LBB1235_169
; %bb.165:
	v_cmp_ne_u16_e32 vcc, 1, v53
	s_mov_b64 s[42:43], 0
	s_and_saveexec_b64 s[40:41], vcc
	s_xor_b64 s[40:41], exec, s[40:41]
	s_cbranch_execnz .LBB1235_215
; %bb.166:
	s_andn2_saveexec_b64 s[6:7], s[40:41]
	s_cbranch_execnz .LBB1235_231
.LBB1235_167:
	s_or_b64 exec, exec, s[6:7]
	s_and_b64 exec, exec, s[42:43]
.LBB1235_168:
	v_sub_u32_e32 v5, v37, v63
	v_lshlrev_b32_e32 v5, 3, v5
	ds_write_b64 v5, v[57:58]
.LBB1235_169:
	s_or_b64 exec, exec, s[4:5]
	v_cmp_lt_u32_e32 vcc, v0, v59
	s_waitcnt vmcnt(0) lgkmcnt(0)
	s_barrier
	s_and_saveexec_b64 s[6:7], vcc
	s_cbranch_execz .LBB1235_172
; %bb.170:
	v_lshlrev_b32_e32 v7, 3, v0
	s_mov_b64 s[8:9], 0
	v_mov_b32_e32 v6, 0
	v_mov_b32_e32 v5, v0
.LBB1235_171:                           ; =>This Inner Loop Header: Depth=1
	ds_read_b64 v[10:11], v7
	v_lshlrev_b64 v[8:9], 3, v[5:6]
	v_add_u32_e32 v5, 0x100, v5
	v_cmp_ge_u32_e32 vcc, v5, v59
	v_add_co_u32_e64 v8, s[4:5], v51, v8
	v_add_u32_e32 v7, 0x800, v7
	v_addc_co_u32_e64 v9, s[4:5], v52, v9, s[4:5]
	s_or_b64 s[8:9], vcc, s[8:9]
	s_waitcnt lgkmcnt(0)
	global_store_dwordx2 v[8:9], v[10:11], off
	s_andn2_b64 exec, exec, s[8:9]
	s_cbranch_execnz .LBB1235_171
.LBB1235_172:
	s_or_b64 exec, exec, s[6:7]
.LBB1235_173:
	s_and_b64 s[6:7], s[38:39], s[50:51]
	s_waitcnt vmcnt(0)
	s_barrier
	s_and_saveexec_b64 s[4:5], s[6:7]
	s_cbranch_execz .LBB1235_175
; %bb.174:
	v_mov_b32_e32 v5, 0
	buffer_store_dword v5, off, s[0:3], 0
.LBB1235_175:
	s_or_b64 exec, exec, s[4:5]
	s_mul_hi_u32 s4, s33, 0x88888889
	s_lshr_b32 s4, s4, 3
	v_cmp_eq_u32_e32 vcc, s4, v0
	s_and_b64 s[6:7], vcc, s[48:49]
	s_and_saveexec_b64 s[4:5], s[6:7]
	s_cbranch_execz .LBB1235_177
; %bb.176:
	s_lshl_b32 s6, s33, 2
	v_mov_b32_e32 v5, s6
	s_movk_i32 s6, 0xffc4
	v_mad_i32_i24 v5, v0, s6, v5
	v_mov_b32_e32 v6, 1
	buffer_store_dword v6, v5, s[0:3], 0 offen
.LBB1235_177:
	s_or_b64 exec, exec, s[4:5]
	buffer_load_dword v11, off, s[0:3], 0
	buffer_load_dword v12, off, s[0:3], 0 offset:4
	buffer_load_dword v13, off, s[0:3], 0 offset:8
	;; [unrolled: 1-line block ×14, first 2 shown]
	v_add_co_u32_e32 v3, vcc, v94, v3
	v_addc_co_u32_e32 v4, vcc, v95, v4, vcc
	v_mov_b32_e32 v6, s59
	v_add_co_u32_e32 v8, vcc, s58, v35
	v_cndmask_b32_e64 v5, 0, 1, s[50:51]
	v_addc_co_u32_e32 v6, vcc, v6, v36, vcc
	v_sub_u32_e32 v7, v59, v5
	v_lshlrev_b32_e32 v9, 3, v5
	v_add_u32_e32 v10, v63, v5
	v_add_co_u32_e32 v5, vcc, v8, v33
	v_addc_co_u32_e32 v6, vcc, v6, v34, vcc
	v_add_co_u32_e32 v8, vcc, v5, v9
	v_addc_co_u32_e32 v9, vcc, 0, v6, vcc
	v_add_co_u32_e32 v8, vcc, -8, v8
	v_addc_co_u32_e32 v9, vcc, -1, v9, vcc
	s_cmpk_lg_i32 s33, 0xf00
	s_cselect_b64 s[4:5], -1, 0
	s_and_b64 s[4:5], s[4:5], s[48:49]
	v_cndmask_b32_e64 v26, 0, 1, s[4:5]
	v_add_u32_e32 v7, v7, v26
	s_movk_i32 s36, 0x100
	s_mov_b64 s[38:39], -1
	s_waitcnt vmcnt(14)
	v_cmp_eq_u32_e32 vcc, 0, v11
	v_cmp_ne_u32_e64 s[34:35], 0, v11
	v_cndmask_b32_e64 v11, 1, 2, vcc
	s_waitcnt vmcnt(13)
	v_cmp_eq_u32_e32 vcc, 0, v12
	v_cmp_ne_u32_e64 s[30:31], 0, v12
	v_cndmask_b32_e64 v12, 1, 2, vcc
	;; [unrolled: 4-line block ×3, first 2 shown]
	s_waitcnt vmcnt(11)
	v_cmp_eq_u32_e32 vcc, 0, v14
	v_and_b32_e32 v11, v12, v11
	v_cmp_ne_u32_e64 s[26:27], 0, v14
	v_cndmask_b32_e64 v14, 1, 2, vcc
	s_waitcnt vmcnt(10)
	v_cmp_eq_u32_e32 vcc, 0, v15
	v_and_b32_e32 v11, v11, v13
	v_cmp_ne_u32_e64 s[24:25], 0, v15
	v_cndmask_b32_e64 v15, 1, 2, vcc
	s_waitcnt vmcnt(9)
	v_cmp_eq_u32_e32 vcc, 0, v16
	v_and_b32_e32 v11, v11, v14
	v_cmp_ne_u32_e64 s[22:23], 0, v16
	v_cndmask_b32_e64 v16, 1, 2, vcc
	s_waitcnt vmcnt(8)
	v_cmp_eq_u32_e32 vcc, 0, v17
	v_and_b32_e32 v11, v11, v15
	v_cmp_ne_u32_e64 s[20:21], 0, v17
	v_cndmask_b32_e64 v17, 1, 2, vcc
	s_waitcnt vmcnt(7)
	v_cmp_eq_u32_e32 vcc, 0, v18
	v_and_b32_e32 v11, v11, v16
	v_cmp_ne_u32_e64 s[18:19], 0, v18
	v_cndmask_b32_e64 v18, 1, 2, vcc
	s_waitcnt vmcnt(6)
	v_cmp_eq_u32_e32 vcc, 0, v19
	v_and_b32_e32 v11, v11, v17
	v_cmp_ne_u32_e64 s[16:17], 0, v19
	v_cndmask_b32_e64 v19, 1, 2, vcc
	s_waitcnt vmcnt(5)
	v_cmp_eq_u32_e32 vcc, 0, v20
	v_and_b32_e32 v11, v11, v18
	v_cmp_ne_u32_e64 s[14:15], 0, v20
	v_cndmask_b32_e64 v20, 1, 2, vcc
	s_waitcnt vmcnt(4)
	v_cmp_eq_u32_e32 vcc, 0, v21
	v_and_b32_e32 v11, v11, v19
	v_cmp_ne_u32_e64 s[12:13], 0, v21
	v_cndmask_b32_e64 v21, 1, 2, vcc
	s_waitcnt vmcnt(3)
	v_cmp_eq_u32_e32 vcc, 0, v22
	v_and_b32_e32 v11, v11, v20
	v_cmp_ne_u32_e64 s[8:9], 0, v22
	v_cndmask_b32_e64 v22, 1, 2, vcc
	v_and_b32_e32 v11, v11, v21
	s_waitcnt vmcnt(2)
	v_cmp_eq_u32_e32 vcc, 0, v23
	v_and_b32_e32 v11, v11, v22
	v_cndmask_b32_e64 v12, 1, 2, vcc
	s_waitcnt vmcnt(1)
	v_cmp_eq_u32_e32 vcc, 0, v24
	v_and_b32_e32 v11, v11, v12
	v_cndmask_b32_e64 v12, 1, 2, vcc
	;; [unrolled: 4-line block ×3, first 2 shown]
	v_and_b32_e32 v11, v11, v12
	v_cmp_gt_u32_e32 vcc, s36, v7
	v_cmp_ne_u32_e64 s[10:11], 0, v23
	v_cmp_ne_u32_e64 s[6:7], 0, v24
	;; [unrolled: 1-line block ×3, first 2 shown]
	v_cmp_gt_i16_e64 s[36:37], 2, v11
	s_cbranch_vccz .LBB1235_184
; %bb.178:
	s_and_saveexec_b64 s[38:39], s[36:37]
	s_cbranch_execz .LBB1235_183
; %bb.179:
	v_cmp_ne_u16_e32 vcc, 1, v11
	s_mov_b64 s[40:41], 0
	s_and_saveexec_b64 s[36:37], vcc
	s_xor_b64 s[36:37], exec, s[36:37]
	s_cbranch_execnz .LBB1235_232
; %bb.180:
	s_andn2_saveexec_b64 s[36:37], s[36:37]
	s_cbranch_execnz .LBB1235_248
.LBB1235_181:
	s_or_b64 exec, exec, s[36:37]
	s_and_b64 exec, exec, s[40:41]
	s_cbranch_execz .LBB1235_183
.LBB1235_182:
	v_sub_u32_e32 v12, v37, v10
	v_mov_b32_e32 v13, 0
	v_lshlrev_b64 v[12:13], 3, v[12:13]
	v_add_co_u32_e32 v12, vcc, v8, v12
	v_addc_co_u32_e32 v13, vcc, v9, v13, vcc
	global_store_dwordx2 v[12:13], v[3:4], off
.LBB1235_183:
	s_or_b64 exec, exec, s[38:39]
	s_mov_b64 s[38:39], 0
.LBB1235_184:
	s_and_b64 vcc, exec, s[38:39]
	s_cbranch_vccz .LBB1235_194
; %bb.185:
	v_cmp_gt_i16_e32 vcc, 2, v11
	s_and_saveexec_b64 s[36:37], vcc
	s_cbranch_execz .LBB1235_190
; %bb.186:
	v_cmp_ne_u16_e32 vcc, 1, v11
	s_mov_b64 s[40:41], 0
	s_and_saveexec_b64 s[38:39], vcc
	s_xor_b64 s[38:39], exec, s[38:39]
	s_cbranch_execnz .LBB1235_249
; %bb.187:
	s_andn2_saveexec_b64 s[4:5], s[38:39]
	s_cbranch_execnz .LBB1235_265
.LBB1235_188:
	s_or_b64 exec, exec, s[4:5]
	s_and_b64 exec, exec, s[40:41]
.LBB1235_189:
	v_sub_u32_e32 v10, v37, v10
	v_lshlrev_b32_e32 v10, 3, v10
	ds_write_b64 v10, v[3:4]
.LBB1235_190:
	s_or_b64 exec, exec, s[36:37]
	v_cmp_lt_u32_e32 vcc, v0, v7
	s_waitcnt vmcnt(0) lgkmcnt(0)
	s_barrier
	s_and_saveexec_b64 s[6:7], vcc
	s_cbranch_execz .LBB1235_193
; %bb.191:
	v_lshlrev_b32_e32 v10, 3, v0
	s_mov_b64 s[8:9], 0
	v_mov_b32_e32 v4, 0
	v_mov_b32_e32 v3, v0
.LBB1235_192:                           ; =>This Inner Loop Header: Depth=1
	ds_read_b64 v[13:14], v10
	v_lshlrev_b64 v[11:12], 3, v[3:4]
	v_add_u32_e32 v3, 0x100, v3
	v_cmp_ge_u32_e32 vcc, v3, v7
	v_add_co_u32_e64 v11, s[4:5], v8, v11
	v_add_u32_e32 v10, 0x800, v10
	v_addc_co_u32_e64 v12, s[4:5], v9, v12, s[4:5]
	s_or_b64 s[8:9], vcc, s[8:9]
	s_waitcnt lgkmcnt(0)
	global_store_dwordx2 v[11:12], v[13:14], off
	s_andn2_b64 exec, exec, s[8:9]
	s_cbranch_execnz .LBB1235_192
.LBB1235_193:
	s_or_b64 exec, exec, s[6:7]
.LBB1235_194:
	s_movk_i32 s4, 0xff
	v_cmp_eq_u32_e32 vcc, s4, v0
	s_and_b64 s[4:5], vcc, s[48:49]
	s_and_saveexec_b64 s[6:7], s[4:5]
	s_cbranch_execz .LBB1235_197
; %bb.195:
	v_add_co_u32_e32 v0, vcc, v59, v63
	v_addc_co_u32_e64 v3, s[4:5], 0, 0, vcc
	v_add_co_u32_e32 v0, vcc, v0, v1
	v_mov_b32_e32 v60, 0
	v_addc_co_u32_e32 v1, vcc, v3, v2, vcc
	s_cmpk_lg_i32 s33, 0xf00
	global_store_dwordx2 v60, v[0:1], s[60:61]
	s_cbranch_scc1 .LBB1235_197
; %bb.196:
	v_lshlrev_b64 v[0:1], 3, v[59:60]
	v_add_co_u32_e32 v0, vcc, v5, v0
	v_addc_co_u32_e32 v1, vcc, v6, v1, vcc
	global_store_dwordx2 v[0:1], v[61:62], off offset:-8
.LBB1235_197:
	s_endpgm
.LBB1235_198:
	s_and_saveexec_b64 s[42:43], s[36:37]
	s_cbranch_execnz .LBB1235_266
; %bb.199:
	s_or_b64 exec, exec, s[42:43]
	s_and_saveexec_b64 s[42:43], s[34:35]
	s_cbranch_execnz .LBB1235_267
.LBB1235_200:
	s_or_b64 exec, exec, s[42:43]
	s_and_saveexec_b64 s[42:43], s[30:31]
	s_cbranch_execnz .LBB1235_268
.LBB1235_201:
	s_or_b64 exec, exec, s[42:43]
	s_and_saveexec_b64 s[42:43], s[28:29]
	s_cbranch_execnz .LBB1235_269
.LBB1235_202:
	s_or_b64 exec, exec, s[42:43]
	s_and_saveexec_b64 s[42:43], s[26:27]
	s_cbranch_execnz .LBB1235_270
.LBB1235_203:
	s_or_b64 exec, exec, s[42:43]
	s_and_saveexec_b64 s[42:43], s[24:25]
	s_cbranch_execnz .LBB1235_271
.LBB1235_204:
	s_or_b64 exec, exec, s[42:43]
	s_and_saveexec_b64 s[42:43], s[22:23]
	s_cbranch_execnz .LBB1235_272
.LBB1235_205:
	s_or_b64 exec, exec, s[42:43]
	s_and_saveexec_b64 s[42:43], s[20:21]
	s_cbranch_execnz .LBB1235_273
.LBB1235_206:
	s_or_b64 exec, exec, s[42:43]
	s_and_saveexec_b64 s[42:43], s[18:19]
	s_cbranch_execnz .LBB1235_274
.LBB1235_207:
	s_or_b64 exec, exec, s[42:43]
	s_and_saveexec_b64 s[42:43], s[16:17]
	s_cbranch_execnz .LBB1235_275
.LBB1235_208:
	s_or_b64 exec, exec, s[42:43]
	s_and_saveexec_b64 s[42:43], s[14:15]
	s_cbranch_execnz .LBB1235_276
.LBB1235_209:
	s_or_b64 exec, exec, s[42:43]
	s_and_saveexec_b64 s[42:43], s[12:13]
	s_cbranch_execnz .LBB1235_277
.LBB1235_210:
	s_or_b64 exec, exec, s[42:43]
	s_and_saveexec_b64 s[42:43], s[10:11]
	s_cbranch_execnz .LBB1235_278
.LBB1235_211:
	s_or_b64 exec, exec, s[42:43]
	s_and_saveexec_b64 s[42:43], s[6:7]
	s_cbranch_execz .LBB1235_213
.LBB1235_212:
	v_sub_u32_e32 v54, v38, v63
	v_mov_b32_e32 v55, 0
	v_lshlrev_b64 v[54:55], 3, v[54:55]
	v_add_co_u32_e32 v54, vcc, v51, v54
	v_addc_co_u32_e32 v55, vcc, v52, v55, vcc
	global_store_dwordx2 v[54:55], v[7:8], off
.LBB1235_213:
	s_or_b64 exec, exec, s[42:43]
	s_and_b64 s[42:43], s[8:9], exec
	s_andn2_saveexec_b64 s[4:5], s[4:5]
	s_cbranch_execz .LBB1235_160
.LBB1235_214:
	v_sub_u32_e32 v54, v60, v63
	v_mov_b32_e32 v55, 0
	v_lshlrev_b64 v[64:65], 3, v[54:55]
	v_sub_u32_e32 v54, v50, v63
	v_add_co_u32_e32 v64, vcc, v51, v64
	v_addc_co_u32_e32 v65, vcc, v52, v65, vcc
	global_store_dwordx2 v[64:65], v[29:30], off
	v_lshlrev_b64 v[64:65], 3, v[54:55]
	v_sub_u32_e32 v54, v49, v63
	v_add_co_u32_e32 v64, vcc, v51, v64
	v_addc_co_u32_e32 v65, vcc, v52, v65, vcc
	global_store_dwordx2 v[64:65], v[31:32], off
	;; [unrolled: 5-line block ×12, first 2 shown]
	v_lshlrev_b64 v[64:65], 3, v[54:55]
	v_sub_u32_e32 v54, v38, v63
	v_add_co_u32_e32 v64, vcc, v51, v64
	v_lshlrev_b64 v[54:55], 3, v[54:55]
	v_addc_co_u32_e32 v65, vcc, v52, v65, vcc
	v_add_co_u32_e32 v54, vcc, v51, v54
	v_addc_co_u32_e32 v55, vcc, v52, v55, vcc
	s_or_b64 s[42:43], s[42:43], exec
	global_store_dwordx2 v[64:65], v[5:6], off
	global_store_dwordx2 v[54:55], v[7:8], off
	s_or_b64 exec, exec, s[4:5]
	s_and_b64 exec, exec, s[42:43]
	s_cbranch_execnz .LBB1235_161
	s_branch .LBB1235_162
.LBB1235_215:
	s_and_saveexec_b64 s[42:43], s[36:37]
	s_cbranch_execnz .LBB1235_279
; %bb.216:
	s_or_b64 exec, exec, s[42:43]
	s_and_saveexec_b64 s[36:37], s[34:35]
	s_cbranch_execnz .LBB1235_280
.LBB1235_217:
	s_or_b64 exec, exec, s[36:37]
	s_and_saveexec_b64 s[34:35], s[30:31]
	s_cbranch_execnz .LBB1235_281
.LBB1235_218:
	s_or_b64 exec, exec, s[34:35]
	s_and_saveexec_b64 s[30:31], s[28:29]
	s_cbranch_execnz .LBB1235_282
.LBB1235_219:
	s_or_b64 exec, exec, s[30:31]
	s_and_saveexec_b64 s[28:29], s[26:27]
	s_cbranch_execnz .LBB1235_283
.LBB1235_220:
	s_or_b64 exec, exec, s[28:29]
	s_and_saveexec_b64 s[26:27], s[24:25]
	s_cbranch_execnz .LBB1235_284
.LBB1235_221:
	s_or_b64 exec, exec, s[26:27]
	s_and_saveexec_b64 s[24:25], s[22:23]
	s_cbranch_execnz .LBB1235_285
.LBB1235_222:
	s_or_b64 exec, exec, s[24:25]
	s_and_saveexec_b64 s[22:23], s[20:21]
	s_cbranch_execnz .LBB1235_286
.LBB1235_223:
	s_or_b64 exec, exec, s[22:23]
	s_and_saveexec_b64 s[20:21], s[18:19]
	s_cbranch_execnz .LBB1235_287
.LBB1235_224:
	s_or_b64 exec, exec, s[20:21]
	s_and_saveexec_b64 s[18:19], s[16:17]
	s_cbranch_execnz .LBB1235_288
.LBB1235_225:
	s_or_b64 exec, exec, s[18:19]
	s_and_saveexec_b64 s[16:17], s[14:15]
	s_cbranch_execnz .LBB1235_289
.LBB1235_226:
	s_or_b64 exec, exec, s[16:17]
	s_and_saveexec_b64 s[14:15], s[12:13]
	s_cbranch_execnz .LBB1235_290
.LBB1235_227:
	s_or_b64 exec, exec, s[14:15]
	s_and_saveexec_b64 s[12:13], s[10:11]
	s_cbranch_execnz .LBB1235_291
.LBB1235_228:
	s_or_b64 exec, exec, s[12:13]
	s_and_saveexec_b64 s[10:11], s[6:7]
.LBB1235_229:
	v_sub_u32_e32 v5, v38, v63
	v_lshlrev_b32_e32 v5, 3, v5
	ds_write_b64 v5, v[7:8]
.LBB1235_230:
	s_or_b64 exec, exec, s[10:11]
	s_and_b64 s[42:43], s[8:9], exec
                                        ; implicit-def: $vgpr29_vgpr30
                                        ; implicit-def: $vgpr25_vgpr26
                                        ; implicit-def: $vgpr21_vgpr22
                                        ; implicit-def: $vgpr17_vgpr18
                                        ; implicit-def: $vgpr13_vgpr14
                                        ; implicit-def: $vgpr9_vgpr10
                                        ; implicit-def: $vgpr5_vgpr6
	s_andn2_saveexec_b64 s[6:7], s[40:41]
	s_cbranch_execz .LBB1235_167
.LBB1235_231:
	v_sub_u32_e32 v53, v60, v63
	v_lshlrev_b32_e32 v53, 3, v53
	ds_write_b64 v53, v[29:30]
	v_sub_u32_e32 v29, v50, v63
	v_lshlrev_b32_e32 v29, 3, v29
	ds_write_b64 v29, v[31:32]
	;; [unrolled: 3-line block ×13, first 2 shown]
	v_sub_u32_e32 v5, v38, v63
	v_lshlrev_b32_e32 v5, 3, v5
	s_or_b64 s[42:43], s[42:43], exec
	ds_write_b64 v5, v[7:8]
	s_or_b64 exec, exec, s[6:7]
	s_and_b64 exec, exec, s[42:43]
	s_cbranch_execnz .LBB1235_168
	s_branch .LBB1235_169
.LBB1235_232:
	s_and_saveexec_b64 s[40:41], s[34:35]
	s_cbranch_execnz .LBB1235_292
; %bb.233:
	s_or_b64 exec, exec, s[40:41]
	s_and_saveexec_b64 s[40:41], s[30:31]
	s_cbranch_execnz .LBB1235_293
.LBB1235_234:
	s_or_b64 exec, exec, s[40:41]
	s_and_saveexec_b64 s[40:41], s[28:29]
	s_cbranch_execnz .LBB1235_294
.LBB1235_235:
	s_or_b64 exec, exec, s[40:41]
	s_and_saveexec_b64 s[40:41], s[26:27]
	s_cbranch_execnz .LBB1235_295
.LBB1235_236:
	s_or_b64 exec, exec, s[40:41]
	s_and_saveexec_b64 s[40:41], s[24:25]
	s_cbranch_execnz .LBB1235_296
.LBB1235_237:
	s_or_b64 exec, exec, s[40:41]
	s_and_saveexec_b64 s[40:41], s[22:23]
	s_cbranch_execnz .LBB1235_297
.LBB1235_238:
	s_or_b64 exec, exec, s[40:41]
	s_and_saveexec_b64 s[40:41], s[20:21]
	s_cbranch_execnz .LBB1235_298
.LBB1235_239:
	s_or_b64 exec, exec, s[40:41]
	s_and_saveexec_b64 s[40:41], s[18:19]
	s_cbranch_execnz .LBB1235_299
.LBB1235_240:
	s_or_b64 exec, exec, s[40:41]
	s_and_saveexec_b64 s[40:41], s[16:17]
	s_cbranch_execnz .LBB1235_300
.LBB1235_241:
	s_or_b64 exec, exec, s[40:41]
	s_and_saveexec_b64 s[40:41], s[14:15]
	s_cbranch_execnz .LBB1235_301
.LBB1235_242:
	s_or_b64 exec, exec, s[40:41]
	s_and_saveexec_b64 s[40:41], s[12:13]
	s_cbranch_execnz .LBB1235_302
.LBB1235_243:
	s_or_b64 exec, exec, s[40:41]
	s_and_saveexec_b64 s[40:41], s[8:9]
	s_cbranch_execnz .LBB1235_303
.LBB1235_244:
	s_or_b64 exec, exec, s[40:41]
	s_and_saveexec_b64 s[40:41], s[10:11]
	s_cbranch_execnz .LBB1235_304
.LBB1235_245:
	s_or_b64 exec, exec, s[40:41]
	s_and_saveexec_b64 s[40:41], s[6:7]
	s_cbranch_execz .LBB1235_247
.LBB1235_246:
	v_sub_u32_e32 v12, v38, v10
	v_mov_b32_e32 v13, 0
	v_lshlrev_b64 v[12:13], 3, v[12:13]
	v_add_co_u32_e32 v12, vcc, v8, v12
	v_addc_co_u32_e32 v13, vcc, v9, v13, vcc
	global_store_dwordx2 v[12:13], v[92:93], off
.LBB1235_247:
	s_or_b64 exec, exec, s[40:41]
	s_and_b64 s[40:41], s[4:5], exec
	s_andn2_saveexec_b64 s[36:37], s[36:37]
	s_cbranch_execz .LBB1235_181
.LBB1235_248:
	v_sub_u32_e32 v12, v60, v10
	v_mov_b32_e32 v13, 0
	v_lshlrev_b64 v[14:15], 3, v[12:13]
	v_sub_u32_e32 v12, v50, v10
	v_add_co_u32_e32 v14, vcc, v8, v14
	v_addc_co_u32_e32 v15, vcc, v9, v15, vcc
	global_store_dwordx2 v[14:15], v[90:91], off
	v_lshlrev_b64 v[14:15], 3, v[12:13]
	v_sub_u32_e32 v12, v49, v10
	v_add_co_u32_e32 v14, vcc, v8, v14
	v_addc_co_u32_e32 v15, vcc, v9, v15, vcc
	global_store_dwordx2 v[14:15], v[66:67], off
	;; [unrolled: 5-line block ×12, first 2 shown]
	v_lshlrev_b64 v[14:15], 3, v[12:13]
	v_sub_u32_e32 v12, v38, v10
	v_add_co_u32_e32 v14, vcc, v8, v14
	v_lshlrev_b64 v[12:13], 3, v[12:13]
	v_addc_co_u32_e32 v15, vcc, v9, v15, vcc
	v_add_co_u32_e32 v12, vcc, v8, v12
	v_addc_co_u32_e32 v13, vcc, v9, v13, vcc
	s_or_b64 s[40:41], s[40:41], exec
	global_store_dwordx2 v[14:15], v[88:89], off
	global_store_dwordx2 v[12:13], v[92:93], off
	s_or_b64 exec, exec, s[36:37]
	s_and_b64 exec, exec, s[40:41]
	s_cbranch_execnz .LBB1235_182
	s_branch .LBB1235_183
.LBB1235_249:
	s_and_saveexec_b64 s[40:41], s[34:35]
	s_cbranch_execnz .LBB1235_305
; %bb.250:
	s_or_b64 exec, exec, s[40:41]
	s_and_saveexec_b64 s[34:35], s[30:31]
	s_cbranch_execnz .LBB1235_306
.LBB1235_251:
	s_or_b64 exec, exec, s[34:35]
	s_and_saveexec_b64 s[30:31], s[28:29]
	s_cbranch_execnz .LBB1235_307
.LBB1235_252:
	s_or_b64 exec, exec, s[30:31]
	s_and_saveexec_b64 s[28:29], s[26:27]
	s_cbranch_execnz .LBB1235_308
.LBB1235_253:
	s_or_b64 exec, exec, s[28:29]
	s_and_saveexec_b64 s[26:27], s[24:25]
	s_cbranch_execnz .LBB1235_309
.LBB1235_254:
	s_or_b64 exec, exec, s[26:27]
	s_and_saveexec_b64 s[24:25], s[22:23]
	s_cbranch_execnz .LBB1235_310
.LBB1235_255:
	s_or_b64 exec, exec, s[24:25]
	s_and_saveexec_b64 s[22:23], s[20:21]
	s_cbranch_execnz .LBB1235_311
.LBB1235_256:
	s_or_b64 exec, exec, s[22:23]
	s_and_saveexec_b64 s[20:21], s[18:19]
	s_cbranch_execnz .LBB1235_312
.LBB1235_257:
	s_or_b64 exec, exec, s[20:21]
	s_and_saveexec_b64 s[18:19], s[16:17]
	s_cbranch_execnz .LBB1235_313
.LBB1235_258:
	s_or_b64 exec, exec, s[18:19]
	s_and_saveexec_b64 s[16:17], s[14:15]
	s_cbranch_execnz .LBB1235_314
.LBB1235_259:
	s_or_b64 exec, exec, s[16:17]
	s_and_saveexec_b64 s[14:15], s[12:13]
	s_cbranch_execnz .LBB1235_315
.LBB1235_260:
	s_or_b64 exec, exec, s[14:15]
	s_and_saveexec_b64 s[12:13], s[8:9]
	s_cbranch_execnz .LBB1235_316
.LBB1235_261:
	s_or_b64 exec, exec, s[12:13]
	s_and_saveexec_b64 s[8:9], s[10:11]
	s_cbranch_execnz .LBB1235_317
.LBB1235_262:
	s_or_b64 exec, exec, s[8:9]
	s_and_saveexec_b64 s[8:9], s[6:7]
.LBB1235_263:
	v_sub_u32_e32 v11, v38, v10
	v_lshlrev_b32_e32 v11, 3, v11
	ds_write_b64 v11, v[92:93]
.LBB1235_264:
	s_or_b64 exec, exec, s[8:9]
	s_and_b64 s[40:41], s[4:5], exec
                                        ; implicit-def: $vgpr90_vgpr91
                                        ; implicit-def: $vgpr66_vgpr67
                                        ; implicit-def: $vgpr68_vgpr69
                                        ; implicit-def: $vgpr70_vgpr71
                                        ; implicit-def: $vgpr72_vgpr73
                                        ; implicit-def: $vgpr74_vgpr75
                                        ; implicit-def: $vgpr76_vgpr77
                                        ; implicit-def: $vgpr78_vgpr79
                                        ; implicit-def: $vgpr80_vgpr81
                                        ; implicit-def: $vgpr82_vgpr83
                                        ; implicit-def: $vgpr84_vgpr85
                                        ; implicit-def: $vgpr86_vgpr87
                                        ; implicit-def: $vgpr88_vgpr89
                                        ; implicit-def: $vgpr92_vgpr93
                                        ; implicit-def: $vgpr60
                                        ; implicit-def: $vgpr50
                                        ; implicit-def: $vgpr49
                                        ; implicit-def: $vgpr48
                                        ; implicit-def: $vgpr47
                                        ; implicit-def: $vgpr46
                                        ; implicit-def: $vgpr45
                                        ; implicit-def: $vgpr44
                                        ; implicit-def: $vgpr43
                                        ; implicit-def: $vgpr42
                                        ; implicit-def: $vgpr41
                                        ; implicit-def: $vgpr40
                                        ; implicit-def: $vgpr39
                                        ; implicit-def: $vgpr38
	s_andn2_saveexec_b64 s[4:5], s[38:39]
	s_cbranch_execz .LBB1235_188
.LBB1235_265:
	v_sub_u32_e32 v11, v60, v10
	v_lshlrev_b32_e32 v11, 3, v11
	ds_write_b64 v11, v[90:91]
	v_sub_u32_e32 v11, v50, v10
	v_lshlrev_b32_e32 v11, 3, v11
	ds_write_b64 v11, v[66:67]
	;; [unrolled: 3-line block ×13, first 2 shown]
	v_sub_u32_e32 v11, v38, v10
	v_lshlrev_b32_e32 v11, 3, v11
	s_or_b64 s[40:41], s[40:41], exec
	ds_write_b64 v11, v[92:93]
	s_or_b64 exec, exec, s[4:5]
	s_and_b64 exec, exec, s[40:41]
	s_cbranch_execnz .LBB1235_189
	s_branch .LBB1235_190
.LBB1235_266:
	v_sub_u32_e32 v54, v60, v63
	v_mov_b32_e32 v55, 0
	v_lshlrev_b64 v[54:55], 3, v[54:55]
	v_add_co_u32_e32 v54, vcc, v51, v54
	v_addc_co_u32_e32 v55, vcc, v52, v55, vcc
	global_store_dwordx2 v[54:55], v[29:30], off
	s_or_b64 exec, exec, s[42:43]
	s_and_saveexec_b64 s[42:43], s[34:35]
	s_cbranch_execz .LBB1235_200
.LBB1235_267:
	v_sub_u32_e32 v54, v50, v63
	v_mov_b32_e32 v55, 0
	v_lshlrev_b64 v[54:55], 3, v[54:55]
	v_add_co_u32_e32 v54, vcc, v51, v54
	v_addc_co_u32_e32 v55, vcc, v52, v55, vcc
	global_store_dwordx2 v[54:55], v[31:32], off
	s_or_b64 exec, exec, s[42:43]
	s_and_saveexec_b64 s[42:43], s[30:31]
	s_cbranch_execz .LBB1235_201
.LBB1235_268:
	v_sub_u32_e32 v54, v49, v63
	v_mov_b32_e32 v55, 0
	v_lshlrev_b64 v[54:55], 3, v[54:55]
	v_add_co_u32_e32 v54, vcc, v51, v54
	v_addc_co_u32_e32 v55, vcc, v52, v55, vcc
	global_store_dwordx2 v[54:55], v[25:26], off
	s_or_b64 exec, exec, s[42:43]
	s_and_saveexec_b64 s[42:43], s[28:29]
	s_cbranch_execz .LBB1235_202
.LBB1235_269:
	v_sub_u32_e32 v54, v48, v63
	v_mov_b32_e32 v55, 0
	v_lshlrev_b64 v[54:55], 3, v[54:55]
	v_add_co_u32_e32 v54, vcc, v51, v54
	v_addc_co_u32_e32 v55, vcc, v52, v55, vcc
	global_store_dwordx2 v[54:55], v[27:28], off
	s_or_b64 exec, exec, s[42:43]
	s_and_saveexec_b64 s[42:43], s[26:27]
	s_cbranch_execz .LBB1235_203
.LBB1235_270:
	v_sub_u32_e32 v54, v47, v63
	v_mov_b32_e32 v55, 0
	v_lshlrev_b64 v[54:55], 3, v[54:55]
	v_add_co_u32_e32 v54, vcc, v51, v54
	v_addc_co_u32_e32 v55, vcc, v52, v55, vcc
	global_store_dwordx2 v[54:55], v[21:22], off
	s_or_b64 exec, exec, s[42:43]
	s_and_saveexec_b64 s[42:43], s[24:25]
	s_cbranch_execz .LBB1235_204
.LBB1235_271:
	v_sub_u32_e32 v54, v46, v63
	v_mov_b32_e32 v55, 0
	v_lshlrev_b64 v[54:55], 3, v[54:55]
	v_add_co_u32_e32 v54, vcc, v51, v54
	v_addc_co_u32_e32 v55, vcc, v52, v55, vcc
	global_store_dwordx2 v[54:55], v[23:24], off
	s_or_b64 exec, exec, s[42:43]
	s_and_saveexec_b64 s[42:43], s[22:23]
	s_cbranch_execz .LBB1235_205
.LBB1235_272:
	v_sub_u32_e32 v54, v45, v63
	v_mov_b32_e32 v55, 0
	v_lshlrev_b64 v[54:55], 3, v[54:55]
	v_add_co_u32_e32 v54, vcc, v51, v54
	v_addc_co_u32_e32 v55, vcc, v52, v55, vcc
	global_store_dwordx2 v[54:55], v[17:18], off
	s_or_b64 exec, exec, s[42:43]
	s_and_saveexec_b64 s[42:43], s[20:21]
	s_cbranch_execz .LBB1235_206
.LBB1235_273:
	v_sub_u32_e32 v54, v44, v63
	v_mov_b32_e32 v55, 0
	v_lshlrev_b64 v[54:55], 3, v[54:55]
	v_add_co_u32_e32 v54, vcc, v51, v54
	v_addc_co_u32_e32 v55, vcc, v52, v55, vcc
	global_store_dwordx2 v[54:55], v[19:20], off
	s_or_b64 exec, exec, s[42:43]
	s_and_saveexec_b64 s[42:43], s[18:19]
	s_cbranch_execz .LBB1235_207
.LBB1235_274:
	v_sub_u32_e32 v54, v43, v63
	v_mov_b32_e32 v55, 0
	v_lshlrev_b64 v[54:55], 3, v[54:55]
	v_add_co_u32_e32 v54, vcc, v51, v54
	v_addc_co_u32_e32 v55, vcc, v52, v55, vcc
	global_store_dwordx2 v[54:55], v[13:14], off
	s_or_b64 exec, exec, s[42:43]
	s_and_saveexec_b64 s[42:43], s[16:17]
	s_cbranch_execz .LBB1235_208
.LBB1235_275:
	v_sub_u32_e32 v54, v42, v63
	v_mov_b32_e32 v55, 0
	v_lshlrev_b64 v[54:55], 3, v[54:55]
	v_add_co_u32_e32 v54, vcc, v51, v54
	v_addc_co_u32_e32 v55, vcc, v52, v55, vcc
	global_store_dwordx2 v[54:55], v[15:16], off
	s_or_b64 exec, exec, s[42:43]
	s_and_saveexec_b64 s[42:43], s[14:15]
	s_cbranch_execz .LBB1235_209
.LBB1235_276:
	v_sub_u32_e32 v54, v41, v63
	v_mov_b32_e32 v55, 0
	v_lshlrev_b64 v[54:55], 3, v[54:55]
	v_add_co_u32_e32 v54, vcc, v51, v54
	v_addc_co_u32_e32 v55, vcc, v52, v55, vcc
	global_store_dwordx2 v[54:55], v[9:10], off
	s_or_b64 exec, exec, s[42:43]
	s_and_saveexec_b64 s[42:43], s[12:13]
	s_cbranch_execz .LBB1235_210
.LBB1235_277:
	v_sub_u32_e32 v54, v40, v63
	v_mov_b32_e32 v55, 0
	v_lshlrev_b64 v[54:55], 3, v[54:55]
	v_add_co_u32_e32 v54, vcc, v51, v54
	v_addc_co_u32_e32 v55, vcc, v52, v55, vcc
	global_store_dwordx2 v[54:55], v[11:12], off
	s_or_b64 exec, exec, s[42:43]
	s_and_saveexec_b64 s[42:43], s[10:11]
	s_cbranch_execz .LBB1235_211
.LBB1235_278:
	v_sub_u32_e32 v54, v39, v63
	v_mov_b32_e32 v55, 0
	v_lshlrev_b64 v[54:55], 3, v[54:55]
	v_add_co_u32_e32 v54, vcc, v51, v54
	v_addc_co_u32_e32 v55, vcc, v52, v55, vcc
	global_store_dwordx2 v[54:55], v[5:6], off
	s_or_b64 exec, exec, s[42:43]
	s_and_saveexec_b64 s[42:43], s[6:7]
	s_cbranch_execnz .LBB1235_212
	s_branch .LBB1235_213
.LBB1235_279:
	v_sub_u32_e32 v53, v60, v63
	v_lshlrev_b32_e32 v53, 3, v53
	ds_write_b64 v53, v[29:30]
	s_or_b64 exec, exec, s[42:43]
	s_and_saveexec_b64 s[36:37], s[34:35]
	s_cbranch_execz .LBB1235_217
.LBB1235_280:
	v_sub_u32_e32 v29, v50, v63
	v_lshlrev_b32_e32 v29, 3, v29
	ds_write_b64 v29, v[31:32]
	s_or_b64 exec, exec, s[36:37]
	s_and_saveexec_b64 s[34:35], s[30:31]
	s_cbranch_execz .LBB1235_218
.LBB1235_281:
	v_sub_u32_e32 v29, v49, v63
	v_lshlrev_b32_e32 v29, 3, v29
	ds_write_b64 v29, v[25:26]
	s_or_b64 exec, exec, s[34:35]
	s_and_saveexec_b64 s[30:31], s[28:29]
	s_cbranch_execz .LBB1235_219
.LBB1235_282:
	v_sub_u32_e32 v25, v48, v63
	v_lshlrev_b32_e32 v25, 3, v25
	ds_write_b64 v25, v[27:28]
	s_or_b64 exec, exec, s[30:31]
	s_and_saveexec_b64 s[28:29], s[26:27]
	s_cbranch_execz .LBB1235_220
.LBB1235_283:
	v_sub_u32_e32 v25, v47, v63
	v_lshlrev_b32_e32 v25, 3, v25
	ds_write_b64 v25, v[21:22]
	s_or_b64 exec, exec, s[28:29]
	s_and_saveexec_b64 s[26:27], s[24:25]
	s_cbranch_execz .LBB1235_221
.LBB1235_284:
	v_sub_u32_e32 v21, v46, v63
	v_lshlrev_b32_e32 v21, 3, v21
	ds_write_b64 v21, v[23:24]
	s_or_b64 exec, exec, s[26:27]
	s_and_saveexec_b64 s[24:25], s[22:23]
	s_cbranch_execz .LBB1235_222
.LBB1235_285:
	v_sub_u32_e32 v21, v45, v63
	v_lshlrev_b32_e32 v21, 3, v21
	ds_write_b64 v21, v[17:18]
	s_or_b64 exec, exec, s[24:25]
	s_and_saveexec_b64 s[22:23], s[20:21]
	s_cbranch_execz .LBB1235_223
.LBB1235_286:
	v_sub_u32_e32 v17, v44, v63
	v_lshlrev_b32_e32 v17, 3, v17
	ds_write_b64 v17, v[19:20]
	s_or_b64 exec, exec, s[22:23]
	s_and_saveexec_b64 s[20:21], s[18:19]
	s_cbranch_execz .LBB1235_224
.LBB1235_287:
	v_sub_u32_e32 v17, v43, v63
	v_lshlrev_b32_e32 v17, 3, v17
	ds_write_b64 v17, v[13:14]
	s_or_b64 exec, exec, s[20:21]
	s_and_saveexec_b64 s[18:19], s[16:17]
	s_cbranch_execz .LBB1235_225
.LBB1235_288:
	v_sub_u32_e32 v13, v42, v63
	v_lshlrev_b32_e32 v13, 3, v13
	ds_write_b64 v13, v[15:16]
	s_or_b64 exec, exec, s[18:19]
	s_and_saveexec_b64 s[16:17], s[14:15]
	s_cbranch_execz .LBB1235_226
.LBB1235_289:
	v_sub_u32_e32 v13, v41, v63
	v_lshlrev_b32_e32 v13, 3, v13
	ds_write_b64 v13, v[9:10]
	s_or_b64 exec, exec, s[16:17]
	s_and_saveexec_b64 s[14:15], s[12:13]
	s_cbranch_execz .LBB1235_227
.LBB1235_290:
	v_sub_u32_e32 v9, v40, v63
	v_lshlrev_b32_e32 v9, 3, v9
	ds_write_b64 v9, v[11:12]
	s_or_b64 exec, exec, s[14:15]
	s_and_saveexec_b64 s[12:13], s[10:11]
	s_cbranch_execz .LBB1235_228
.LBB1235_291:
	v_sub_u32_e32 v9, v39, v63
	v_lshlrev_b32_e32 v9, 3, v9
	ds_write_b64 v9, v[5:6]
	s_or_b64 exec, exec, s[12:13]
	s_and_saveexec_b64 s[10:11], s[6:7]
	s_cbranch_execnz .LBB1235_229
	s_branch .LBB1235_230
.LBB1235_292:
	v_sub_u32_e32 v12, v60, v10
	v_mov_b32_e32 v13, 0
	v_lshlrev_b64 v[12:13], 3, v[12:13]
	v_add_co_u32_e32 v12, vcc, v8, v12
	v_addc_co_u32_e32 v13, vcc, v9, v13, vcc
	global_store_dwordx2 v[12:13], v[90:91], off
	s_or_b64 exec, exec, s[40:41]
	s_and_saveexec_b64 s[40:41], s[30:31]
	s_cbranch_execz .LBB1235_234
.LBB1235_293:
	v_sub_u32_e32 v12, v50, v10
	v_mov_b32_e32 v13, 0
	v_lshlrev_b64 v[12:13], 3, v[12:13]
	v_add_co_u32_e32 v12, vcc, v8, v12
	v_addc_co_u32_e32 v13, vcc, v9, v13, vcc
	global_store_dwordx2 v[12:13], v[66:67], off
	s_or_b64 exec, exec, s[40:41]
	s_and_saveexec_b64 s[40:41], s[28:29]
	s_cbranch_execz .LBB1235_235
.LBB1235_294:
	v_sub_u32_e32 v12, v49, v10
	v_mov_b32_e32 v13, 0
	v_lshlrev_b64 v[12:13], 3, v[12:13]
	v_add_co_u32_e32 v12, vcc, v8, v12
	v_addc_co_u32_e32 v13, vcc, v9, v13, vcc
	global_store_dwordx2 v[12:13], v[68:69], off
	s_or_b64 exec, exec, s[40:41]
	s_and_saveexec_b64 s[40:41], s[26:27]
	s_cbranch_execz .LBB1235_236
.LBB1235_295:
	v_sub_u32_e32 v12, v48, v10
	v_mov_b32_e32 v13, 0
	v_lshlrev_b64 v[12:13], 3, v[12:13]
	v_add_co_u32_e32 v12, vcc, v8, v12
	v_addc_co_u32_e32 v13, vcc, v9, v13, vcc
	global_store_dwordx2 v[12:13], v[70:71], off
	s_or_b64 exec, exec, s[40:41]
	s_and_saveexec_b64 s[40:41], s[24:25]
	s_cbranch_execz .LBB1235_237
.LBB1235_296:
	v_sub_u32_e32 v12, v47, v10
	v_mov_b32_e32 v13, 0
	v_lshlrev_b64 v[12:13], 3, v[12:13]
	v_add_co_u32_e32 v12, vcc, v8, v12
	v_addc_co_u32_e32 v13, vcc, v9, v13, vcc
	global_store_dwordx2 v[12:13], v[72:73], off
	s_or_b64 exec, exec, s[40:41]
	s_and_saveexec_b64 s[40:41], s[22:23]
	s_cbranch_execz .LBB1235_238
.LBB1235_297:
	v_sub_u32_e32 v12, v46, v10
	v_mov_b32_e32 v13, 0
	v_lshlrev_b64 v[12:13], 3, v[12:13]
	v_add_co_u32_e32 v12, vcc, v8, v12
	v_addc_co_u32_e32 v13, vcc, v9, v13, vcc
	global_store_dwordx2 v[12:13], v[74:75], off
	s_or_b64 exec, exec, s[40:41]
	s_and_saveexec_b64 s[40:41], s[20:21]
	s_cbranch_execz .LBB1235_239
.LBB1235_298:
	v_sub_u32_e32 v12, v45, v10
	v_mov_b32_e32 v13, 0
	v_lshlrev_b64 v[12:13], 3, v[12:13]
	v_add_co_u32_e32 v12, vcc, v8, v12
	v_addc_co_u32_e32 v13, vcc, v9, v13, vcc
	global_store_dwordx2 v[12:13], v[76:77], off
	s_or_b64 exec, exec, s[40:41]
	s_and_saveexec_b64 s[40:41], s[18:19]
	s_cbranch_execz .LBB1235_240
.LBB1235_299:
	v_sub_u32_e32 v12, v44, v10
	v_mov_b32_e32 v13, 0
	v_lshlrev_b64 v[12:13], 3, v[12:13]
	v_add_co_u32_e32 v12, vcc, v8, v12
	v_addc_co_u32_e32 v13, vcc, v9, v13, vcc
	global_store_dwordx2 v[12:13], v[78:79], off
	s_or_b64 exec, exec, s[40:41]
	s_and_saveexec_b64 s[40:41], s[16:17]
	s_cbranch_execz .LBB1235_241
.LBB1235_300:
	v_sub_u32_e32 v12, v43, v10
	v_mov_b32_e32 v13, 0
	v_lshlrev_b64 v[12:13], 3, v[12:13]
	v_add_co_u32_e32 v12, vcc, v8, v12
	v_addc_co_u32_e32 v13, vcc, v9, v13, vcc
	global_store_dwordx2 v[12:13], v[80:81], off
	s_or_b64 exec, exec, s[40:41]
	s_and_saveexec_b64 s[40:41], s[14:15]
	s_cbranch_execz .LBB1235_242
.LBB1235_301:
	v_sub_u32_e32 v12, v42, v10
	v_mov_b32_e32 v13, 0
	v_lshlrev_b64 v[12:13], 3, v[12:13]
	v_add_co_u32_e32 v12, vcc, v8, v12
	v_addc_co_u32_e32 v13, vcc, v9, v13, vcc
	global_store_dwordx2 v[12:13], v[82:83], off
	s_or_b64 exec, exec, s[40:41]
	s_and_saveexec_b64 s[40:41], s[12:13]
	s_cbranch_execz .LBB1235_243
.LBB1235_302:
	v_sub_u32_e32 v12, v41, v10
	v_mov_b32_e32 v13, 0
	v_lshlrev_b64 v[12:13], 3, v[12:13]
	v_add_co_u32_e32 v12, vcc, v8, v12
	v_addc_co_u32_e32 v13, vcc, v9, v13, vcc
	global_store_dwordx2 v[12:13], v[84:85], off
	s_or_b64 exec, exec, s[40:41]
	s_and_saveexec_b64 s[40:41], s[8:9]
	s_cbranch_execz .LBB1235_244
.LBB1235_303:
	v_sub_u32_e32 v12, v40, v10
	v_mov_b32_e32 v13, 0
	v_lshlrev_b64 v[12:13], 3, v[12:13]
	v_add_co_u32_e32 v12, vcc, v8, v12
	v_addc_co_u32_e32 v13, vcc, v9, v13, vcc
	global_store_dwordx2 v[12:13], v[86:87], off
	s_or_b64 exec, exec, s[40:41]
	s_and_saveexec_b64 s[40:41], s[10:11]
	s_cbranch_execz .LBB1235_245
.LBB1235_304:
	v_sub_u32_e32 v12, v39, v10
	v_mov_b32_e32 v13, 0
	v_lshlrev_b64 v[12:13], 3, v[12:13]
	v_add_co_u32_e32 v12, vcc, v8, v12
	v_addc_co_u32_e32 v13, vcc, v9, v13, vcc
	global_store_dwordx2 v[12:13], v[88:89], off
	s_or_b64 exec, exec, s[40:41]
	s_and_saveexec_b64 s[40:41], s[6:7]
	s_cbranch_execnz .LBB1235_246
	s_branch .LBB1235_247
.LBB1235_305:
	v_sub_u32_e32 v11, v60, v10
	v_lshlrev_b32_e32 v11, 3, v11
	ds_write_b64 v11, v[90:91]
	s_or_b64 exec, exec, s[40:41]
	s_and_saveexec_b64 s[34:35], s[30:31]
	s_cbranch_execz .LBB1235_251
.LBB1235_306:
	v_sub_u32_e32 v11, v50, v10
	v_lshlrev_b32_e32 v11, 3, v11
	ds_write_b64 v11, v[66:67]
	s_or_b64 exec, exec, s[34:35]
	s_and_saveexec_b64 s[30:31], s[28:29]
	s_cbranch_execz .LBB1235_252
.LBB1235_307:
	v_sub_u32_e32 v11, v49, v10
	v_lshlrev_b32_e32 v11, 3, v11
	ds_write_b64 v11, v[68:69]
	s_or_b64 exec, exec, s[30:31]
	s_and_saveexec_b64 s[28:29], s[26:27]
	s_cbranch_execz .LBB1235_253
.LBB1235_308:
	v_sub_u32_e32 v11, v48, v10
	v_lshlrev_b32_e32 v11, 3, v11
	ds_write_b64 v11, v[70:71]
	s_or_b64 exec, exec, s[28:29]
	s_and_saveexec_b64 s[26:27], s[24:25]
	s_cbranch_execz .LBB1235_254
.LBB1235_309:
	v_sub_u32_e32 v11, v47, v10
	v_lshlrev_b32_e32 v11, 3, v11
	ds_write_b64 v11, v[72:73]
	s_or_b64 exec, exec, s[26:27]
	s_and_saveexec_b64 s[24:25], s[22:23]
	s_cbranch_execz .LBB1235_255
.LBB1235_310:
	v_sub_u32_e32 v11, v46, v10
	v_lshlrev_b32_e32 v11, 3, v11
	ds_write_b64 v11, v[74:75]
	s_or_b64 exec, exec, s[24:25]
	s_and_saveexec_b64 s[22:23], s[20:21]
	s_cbranch_execz .LBB1235_256
.LBB1235_311:
	v_sub_u32_e32 v11, v45, v10
	v_lshlrev_b32_e32 v11, 3, v11
	ds_write_b64 v11, v[76:77]
	s_or_b64 exec, exec, s[22:23]
	s_and_saveexec_b64 s[20:21], s[18:19]
	s_cbranch_execz .LBB1235_257
.LBB1235_312:
	v_sub_u32_e32 v11, v44, v10
	v_lshlrev_b32_e32 v11, 3, v11
	ds_write_b64 v11, v[78:79]
	s_or_b64 exec, exec, s[20:21]
	s_and_saveexec_b64 s[18:19], s[16:17]
	s_cbranch_execz .LBB1235_258
.LBB1235_313:
	v_sub_u32_e32 v11, v43, v10
	v_lshlrev_b32_e32 v11, 3, v11
	ds_write_b64 v11, v[80:81]
	s_or_b64 exec, exec, s[18:19]
	s_and_saveexec_b64 s[16:17], s[14:15]
	s_cbranch_execz .LBB1235_259
.LBB1235_314:
	v_sub_u32_e32 v11, v42, v10
	v_lshlrev_b32_e32 v11, 3, v11
	ds_write_b64 v11, v[82:83]
	s_or_b64 exec, exec, s[16:17]
	s_and_saveexec_b64 s[14:15], s[12:13]
	s_cbranch_execz .LBB1235_260
.LBB1235_315:
	v_sub_u32_e32 v11, v41, v10
	v_lshlrev_b32_e32 v11, 3, v11
	ds_write_b64 v11, v[84:85]
	s_or_b64 exec, exec, s[14:15]
	s_and_saveexec_b64 s[12:13], s[8:9]
	s_cbranch_execz .LBB1235_261
.LBB1235_316:
	v_sub_u32_e32 v11, v40, v10
	v_lshlrev_b32_e32 v11, 3, v11
	ds_write_b64 v11, v[86:87]
	s_or_b64 exec, exec, s[12:13]
	s_and_saveexec_b64 s[8:9], s[10:11]
	s_cbranch_execz .LBB1235_262
.LBB1235_317:
	v_sub_u32_e32 v11, v39, v10
	v_lshlrev_b32_e32 v11, 3, v11
	ds_write_b64 v11, v[88:89]
	s_or_b64 exec, exec, s[8:9]
	s_and_saveexec_b64 s[8:9], s[6:7]
	s_cbranch_execnz .LBB1235_263
	s_branch .LBB1235_264
	.section	.rodata,"a",@progbits
	.p2align	6, 0x0
	.amdhsa_kernel _ZN7rocprim17ROCPRIM_400000_NS6detail17trampoline_kernelINS0_14default_configENS1_29reduce_by_key_config_selectorIllN6thrust23THRUST_200600_302600_NS4plusIlEEEEZZNS1_33reduce_by_key_impl_wrapped_configILNS1_25lookback_scan_determinismE0ES3_S9_PlNS6_17constant_iteratorIiNS6_11use_defaultESE_EENS6_10device_ptrIlEESH_PmS8_NS6_8equal_toIlEEEE10hipError_tPvRmT2_T3_mT4_T5_T6_T7_T8_P12ihipStream_tbENKUlT_T0_E_clISt17integral_constantIbLb0EES11_IbLb1EEEEDaSX_SY_EUlSX_E_NS1_11comp_targetILNS1_3genE2ELNS1_11target_archE906ELNS1_3gpuE6ELNS1_3repE0EEENS1_30default_config_static_selectorELNS0_4arch9wavefront6targetE1EEEvT1_
		.amdhsa_group_segment_fixed_size 30720
		.amdhsa_private_segment_fixed_size 64
		.amdhsa_kernarg_size 144
		.amdhsa_user_sgpr_count 6
		.amdhsa_user_sgpr_private_segment_buffer 1
		.amdhsa_user_sgpr_dispatch_ptr 0
		.amdhsa_user_sgpr_queue_ptr 0
		.amdhsa_user_sgpr_kernarg_segment_ptr 1
		.amdhsa_user_sgpr_dispatch_id 0
		.amdhsa_user_sgpr_flat_scratch_init 0
		.amdhsa_user_sgpr_private_segment_size 0
		.amdhsa_uses_dynamic_stack 0
		.amdhsa_system_sgpr_private_segment_wavefront_offset 1
		.amdhsa_system_sgpr_workgroup_id_x 1
		.amdhsa_system_sgpr_workgroup_id_y 0
		.amdhsa_system_sgpr_workgroup_id_z 0
		.amdhsa_system_sgpr_workgroup_info 0
		.amdhsa_system_vgpr_workitem_id 0
		.amdhsa_next_free_vgpr 119
		.amdhsa_next_free_sgpr 98
		.amdhsa_reserve_vcc 1
		.amdhsa_reserve_flat_scratch 0
		.amdhsa_float_round_mode_32 0
		.amdhsa_float_round_mode_16_64 0
		.amdhsa_float_denorm_mode_32 3
		.amdhsa_float_denorm_mode_16_64 3
		.amdhsa_dx10_clamp 1
		.amdhsa_ieee_mode 1
		.amdhsa_fp16_overflow 0
		.amdhsa_exception_fp_ieee_invalid_op 0
		.amdhsa_exception_fp_denorm_src 0
		.amdhsa_exception_fp_ieee_div_zero 0
		.amdhsa_exception_fp_ieee_overflow 0
		.amdhsa_exception_fp_ieee_underflow 0
		.amdhsa_exception_fp_ieee_inexact 0
		.amdhsa_exception_int_div_zero 0
	.end_amdhsa_kernel
	.section	.text._ZN7rocprim17ROCPRIM_400000_NS6detail17trampoline_kernelINS0_14default_configENS1_29reduce_by_key_config_selectorIllN6thrust23THRUST_200600_302600_NS4plusIlEEEEZZNS1_33reduce_by_key_impl_wrapped_configILNS1_25lookback_scan_determinismE0ES3_S9_PlNS6_17constant_iteratorIiNS6_11use_defaultESE_EENS6_10device_ptrIlEESH_PmS8_NS6_8equal_toIlEEEE10hipError_tPvRmT2_T3_mT4_T5_T6_T7_T8_P12ihipStream_tbENKUlT_T0_E_clISt17integral_constantIbLb0EES11_IbLb1EEEEDaSX_SY_EUlSX_E_NS1_11comp_targetILNS1_3genE2ELNS1_11target_archE906ELNS1_3gpuE6ELNS1_3repE0EEENS1_30default_config_static_selectorELNS0_4arch9wavefront6targetE1EEEvT1_,"axG",@progbits,_ZN7rocprim17ROCPRIM_400000_NS6detail17trampoline_kernelINS0_14default_configENS1_29reduce_by_key_config_selectorIllN6thrust23THRUST_200600_302600_NS4plusIlEEEEZZNS1_33reduce_by_key_impl_wrapped_configILNS1_25lookback_scan_determinismE0ES3_S9_PlNS6_17constant_iteratorIiNS6_11use_defaultESE_EENS6_10device_ptrIlEESH_PmS8_NS6_8equal_toIlEEEE10hipError_tPvRmT2_T3_mT4_T5_T6_T7_T8_P12ihipStream_tbENKUlT_T0_E_clISt17integral_constantIbLb0EES11_IbLb1EEEEDaSX_SY_EUlSX_E_NS1_11comp_targetILNS1_3genE2ELNS1_11target_archE906ELNS1_3gpuE6ELNS1_3repE0EEENS1_30default_config_static_selectorELNS0_4arch9wavefront6targetE1EEEvT1_,comdat
.Lfunc_end1235:
	.size	_ZN7rocprim17ROCPRIM_400000_NS6detail17trampoline_kernelINS0_14default_configENS1_29reduce_by_key_config_selectorIllN6thrust23THRUST_200600_302600_NS4plusIlEEEEZZNS1_33reduce_by_key_impl_wrapped_configILNS1_25lookback_scan_determinismE0ES3_S9_PlNS6_17constant_iteratorIiNS6_11use_defaultESE_EENS6_10device_ptrIlEESH_PmS8_NS6_8equal_toIlEEEE10hipError_tPvRmT2_T3_mT4_T5_T6_T7_T8_P12ihipStream_tbENKUlT_T0_E_clISt17integral_constantIbLb0EES11_IbLb1EEEEDaSX_SY_EUlSX_E_NS1_11comp_targetILNS1_3genE2ELNS1_11target_archE906ELNS1_3gpuE6ELNS1_3repE0EEENS1_30default_config_static_selectorELNS0_4arch9wavefront6targetE1EEEvT1_, .Lfunc_end1235-_ZN7rocprim17ROCPRIM_400000_NS6detail17trampoline_kernelINS0_14default_configENS1_29reduce_by_key_config_selectorIllN6thrust23THRUST_200600_302600_NS4plusIlEEEEZZNS1_33reduce_by_key_impl_wrapped_configILNS1_25lookback_scan_determinismE0ES3_S9_PlNS6_17constant_iteratorIiNS6_11use_defaultESE_EENS6_10device_ptrIlEESH_PmS8_NS6_8equal_toIlEEEE10hipError_tPvRmT2_T3_mT4_T5_T6_T7_T8_P12ihipStream_tbENKUlT_T0_E_clISt17integral_constantIbLb0EES11_IbLb1EEEEDaSX_SY_EUlSX_E_NS1_11comp_targetILNS1_3genE2ELNS1_11target_archE906ELNS1_3gpuE6ELNS1_3repE0EEENS1_30default_config_static_selectorELNS0_4arch9wavefront6targetE1EEEvT1_
                                        ; -- End function
	.set _ZN7rocprim17ROCPRIM_400000_NS6detail17trampoline_kernelINS0_14default_configENS1_29reduce_by_key_config_selectorIllN6thrust23THRUST_200600_302600_NS4plusIlEEEEZZNS1_33reduce_by_key_impl_wrapped_configILNS1_25lookback_scan_determinismE0ES3_S9_PlNS6_17constant_iteratorIiNS6_11use_defaultESE_EENS6_10device_ptrIlEESH_PmS8_NS6_8equal_toIlEEEE10hipError_tPvRmT2_T3_mT4_T5_T6_T7_T8_P12ihipStream_tbENKUlT_T0_E_clISt17integral_constantIbLb0EES11_IbLb1EEEEDaSX_SY_EUlSX_E_NS1_11comp_targetILNS1_3genE2ELNS1_11target_archE906ELNS1_3gpuE6ELNS1_3repE0EEENS1_30default_config_static_selectorELNS0_4arch9wavefront6targetE1EEEvT1_.num_vgpr, 119
	.set _ZN7rocprim17ROCPRIM_400000_NS6detail17trampoline_kernelINS0_14default_configENS1_29reduce_by_key_config_selectorIllN6thrust23THRUST_200600_302600_NS4plusIlEEEEZZNS1_33reduce_by_key_impl_wrapped_configILNS1_25lookback_scan_determinismE0ES3_S9_PlNS6_17constant_iteratorIiNS6_11use_defaultESE_EENS6_10device_ptrIlEESH_PmS8_NS6_8equal_toIlEEEE10hipError_tPvRmT2_T3_mT4_T5_T6_T7_T8_P12ihipStream_tbENKUlT_T0_E_clISt17integral_constantIbLb0EES11_IbLb1EEEEDaSX_SY_EUlSX_E_NS1_11comp_targetILNS1_3genE2ELNS1_11target_archE906ELNS1_3gpuE6ELNS1_3repE0EEENS1_30default_config_static_selectorELNS0_4arch9wavefront6targetE1EEEvT1_.num_agpr, 0
	.set _ZN7rocprim17ROCPRIM_400000_NS6detail17trampoline_kernelINS0_14default_configENS1_29reduce_by_key_config_selectorIllN6thrust23THRUST_200600_302600_NS4plusIlEEEEZZNS1_33reduce_by_key_impl_wrapped_configILNS1_25lookback_scan_determinismE0ES3_S9_PlNS6_17constant_iteratorIiNS6_11use_defaultESE_EENS6_10device_ptrIlEESH_PmS8_NS6_8equal_toIlEEEE10hipError_tPvRmT2_T3_mT4_T5_T6_T7_T8_P12ihipStream_tbENKUlT_T0_E_clISt17integral_constantIbLb0EES11_IbLb1EEEEDaSX_SY_EUlSX_E_NS1_11comp_targetILNS1_3genE2ELNS1_11target_archE906ELNS1_3gpuE6ELNS1_3repE0EEENS1_30default_config_static_selectorELNS0_4arch9wavefront6targetE1EEEvT1_.numbered_sgpr, 68
	.set _ZN7rocprim17ROCPRIM_400000_NS6detail17trampoline_kernelINS0_14default_configENS1_29reduce_by_key_config_selectorIllN6thrust23THRUST_200600_302600_NS4plusIlEEEEZZNS1_33reduce_by_key_impl_wrapped_configILNS1_25lookback_scan_determinismE0ES3_S9_PlNS6_17constant_iteratorIiNS6_11use_defaultESE_EENS6_10device_ptrIlEESH_PmS8_NS6_8equal_toIlEEEE10hipError_tPvRmT2_T3_mT4_T5_T6_T7_T8_P12ihipStream_tbENKUlT_T0_E_clISt17integral_constantIbLb0EES11_IbLb1EEEEDaSX_SY_EUlSX_E_NS1_11comp_targetILNS1_3genE2ELNS1_11target_archE906ELNS1_3gpuE6ELNS1_3repE0EEENS1_30default_config_static_selectorELNS0_4arch9wavefront6targetE1EEEvT1_.num_named_barrier, 0
	.set _ZN7rocprim17ROCPRIM_400000_NS6detail17trampoline_kernelINS0_14default_configENS1_29reduce_by_key_config_selectorIllN6thrust23THRUST_200600_302600_NS4plusIlEEEEZZNS1_33reduce_by_key_impl_wrapped_configILNS1_25lookback_scan_determinismE0ES3_S9_PlNS6_17constant_iteratorIiNS6_11use_defaultESE_EENS6_10device_ptrIlEESH_PmS8_NS6_8equal_toIlEEEE10hipError_tPvRmT2_T3_mT4_T5_T6_T7_T8_P12ihipStream_tbENKUlT_T0_E_clISt17integral_constantIbLb0EES11_IbLb1EEEEDaSX_SY_EUlSX_E_NS1_11comp_targetILNS1_3genE2ELNS1_11target_archE906ELNS1_3gpuE6ELNS1_3repE0EEENS1_30default_config_static_selectorELNS0_4arch9wavefront6targetE1EEEvT1_.private_seg_size, 64
	.set _ZN7rocprim17ROCPRIM_400000_NS6detail17trampoline_kernelINS0_14default_configENS1_29reduce_by_key_config_selectorIllN6thrust23THRUST_200600_302600_NS4plusIlEEEEZZNS1_33reduce_by_key_impl_wrapped_configILNS1_25lookback_scan_determinismE0ES3_S9_PlNS6_17constant_iteratorIiNS6_11use_defaultESE_EENS6_10device_ptrIlEESH_PmS8_NS6_8equal_toIlEEEE10hipError_tPvRmT2_T3_mT4_T5_T6_T7_T8_P12ihipStream_tbENKUlT_T0_E_clISt17integral_constantIbLb0EES11_IbLb1EEEEDaSX_SY_EUlSX_E_NS1_11comp_targetILNS1_3genE2ELNS1_11target_archE906ELNS1_3gpuE6ELNS1_3repE0EEENS1_30default_config_static_selectorELNS0_4arch9wavefront6targetE1EEEvT1_.uses_vcc, 1
	.set _ZN7rocprim17ROCPRIM_400000_NS6detail17trampoline_kernelINS0_14default_configENS1_29reduce_by_key_config_selectorIllN6thrust23THRUST_200600_302600_NS4plusIlEEEEZZNS1_33reduce_by_key_impl_wrapped_configILNS1_25lookback_scan_determinismE0ES3_S9_PlNS6_17constant_iteratorIiNS6_11use_defaultESE_EENS6_10device_ptrIlEESH_PmS8_NS6_8equal_toIlEEEE10hipError_tPvRmT2_T3_mT4_T5_T6_T7_T8_P12ihipStream_tbENKUlT_T0_E_clISt17integral_constantIbLb0EES11_IbLb1EEEEDaSX_SY_EUlSX_E_NS1_11comp_targetILNS1_3genE2ELNS1_11target_archE906ELNS1_3gpuE6ELNS1_3repE0EEENS1_30default_config_static_selectorELNS0_4arch9wavefront6targetE1EEEvT1_.uses_flat_scratch, 0
	.set _ZN7rocprim17ROCPRIM_400000_NS6detail17trampoline_kernelINS0_14default_configENS1_29reduce_by_key_config_selectorIllN6thrust23THRUST_200600_302600_NS4plusIlEEEEZZNS1_33reduce_by_key_impl_wrapped_configILNS1_25lookback_scan_determinismE0ES3_S9_PlNS6_17constant_iteratorIiNS6_11use_defaultESE_EENS6_10device_ptrIlEESH_PmS8_NS6_8equal_toIlEEEE10hipError_tPvRmT2_T3_mT4_T5_T6_T7_T8_P12ihipStream_tbENKUlT_T0_E_clISt17integral_constantIbLb0EES11_IbLb1EEEEDaSX_SY_EUlSX_E_NS1_11comp_targetILNS1_3genE2ELNS1_11target_archE906ELNS1_3gpuE6ELNS1_3repE0EEENS1_30default_config_static_selectorELNS0_4arch9wavefront6targetE1EEEvT1_.has_dyn_sized_stack, 0
	.set _ZN7rocprim17ROCPRIM_400000_NS6detail17trampoline_kernelINS0_14default_configENS1_29reduce_by_key_config_selectorIllN6thrust23THRUST_200600_302600_NS4plusIlEEEEZZNS1_33reduce_by_key_impl_wrapped_configILNS1_25lookback_scan_determinismE0ES3_S9_PlNS6_17constant_iteratorIiNS6_11use_defaultESE_EENS6_10device_ptrIlEESH_PmS8_NS6_8equal_toIlEEEE10hipError_tPvRmT2_T3_mT4_T5_T6_T7_T8_P12ihipStream_tbENKUlT_T0_E_clISt17integral_constantIbLb0EES11_IbLb1EEEEDaSX_SY_EUlSX_E_NS1_11comp_targetILNS1_3genE2ELNS1_11target_archE906ELNS1_3gpuE6ELNS1_3repE0EEENS1_30default_config_static_selectorELNS0_4arch9wavefront6targetE1EEEvT1_.has_recursion, 0
	.set _ZN7rocprim17ROCPRIM_400000_NS6detail17trampoline_kernelINS0_14default_configENS1_29reduce_by_key_config_selectorIllN6thrust23THRUST_200600_302600_NS4plusIlEEEEZZNS1_33reduce_by_key_impl_wrapped_configILNS1_25lookback_scan_determinismE0ES3_S9_PlNS6_17constant_iteratorIiNS6_11use_defaultESE_EENS6_10device_ptrIlEESH_PmS8_NS6_8equal_toIlEEEE10hipError_tPvRmT2_T3_mT4_T5_T6_T7_T8_P12ihipStream_tbENKUlT_T0_E_clISt17integral_constantIbLb0EES11_IbLb1EEEEDaSX_SY_EUlSX_E_NS1_11comp_targetILNS1_3genE2ELNS1_11target_archE906ELNS1_3gpuE6ELNS1_3repE0EEENS1_30default_config_static_selectorELNS0_4arch9wavefront6targetE1EEEvT1_.has_indirect_call, 0
	.section	.AMDGPU.csdata,"",@progbits
; Kernel info:
; codeLenInByte = 16388
; TotalNumSgprs: 72
; NumVgprs: 119
; ScratchSize: 64
; MemoryBound: 0
; FloatMode: 240
; IeeeMode: 1
; LDSByteSize: 30720 bytes/workgroup (compile time only)
; SGPRBlocks: 12
; VGPRBlocks: 29
; NumSGPRsForWavesPerEU: 102
; NumVGPRsForWavesPerEU: 119
; Occupancy: 2
; WaveLimiterHint : 1
; COMPUTE_PGM_RSRC2:SCRATCH_EN: 1
; COMPUTE_PGM_RSRC2:USER_SGPR: 6
; COMPUTE_PGM_RSRC2:TRAP_HANDLER: 0
; COMPUTE_PGM_RSRC2:TGID_X_EN: 1
; COMPUTE_PGM_RSRC2:TGID_Y_EN: 0
; COMPUTE_PGM_RSRC2:TGID_Z_EN: 0
; COMPUTE_PGM_RSRC2:TIDIG_COMP_CNT: 0
	.section	.text._ZN7rocprim17ROCPRIM_400000_NS6detail17trampoline_kernelINS0_14default_configENS1_29reduce_by_key_config_selectorIllN6thrust23THRUST_200600_302600_NS4plusIlEEEEZZNS1_33reduce_by_key_impl_wrapped_configILNS1_25lookback_scan_determinismE0ES3_S9_PlNS6_17constant_iteratorIiNS6_11use_defaultESE_EENS6_10device_ptrIlEESH_PmS8_NS6_8equal_toIlEEEE10hipError_tPvRmT2_T3_mT4_T5_T6_T7_T8_P12ihipStream_tbENKUlT_T0_E_clISt17integral_constantIbLb0EES11_IbLb1EEEEDaSX_SY_EUlSX_E_NS1_11comp_targetILNS1_3genE10ELNS1_11target_archE1201ELNS1_3gpuE5ELNS1_3repE0EEENS1_30default_config_static_selectorELNS0_4arch9wavefront6targetE1EEEvT1_,"axG",@progbits,_ZN7rocprim17ROCPRIM_400000_NS6detail17trampoline_kernelINS0_14default_configENS1_29reduce_by_key_config_selectorIllN6thrust23THRUST_200600_302600_NS4plusIlEEEEZZNS1_33reduce_by_key_impl_wrapped_configILNS1_25lookback_scan_determinismE0ES3_S9_PlNS6_17constant_iteratorIiNS6_11use_defaultESE_EENS6_10device_ptrIlEESH_PmS8_NS6_8equal_toIlEEEE10hipError_tPvRmT2_T3_mT4_T5_T6_T7_T8_P12ihipStream_tbENKUlT_T0_E_clISt17integral_constantIbLb0EES11_IbLb1EEEEDaSX_SY_EUlSX_E_NS1_11comp_targetILNS1_3genE10ELNS1_11target_archE1201ELNS1_3gpuE5ELNS1_3repE0EEENS1_30default_config_static_selectorELNS0_4arch9wavefront6targetE1EEEvT1_,comdat
	.protected	_ZN7rocprim17ROCPRIM_400000_NS6detail17trampoline_kernelINS0_14default_configENS1_29reduce_by_key_config_selectorIllN6thrust23THRUST_200600_302600_NS4plusIlEEEEZZNS1_33reduce_by_key_impl_wrapped_configILNS1_25lookback_scan_determinismE0ES3_S9_PlNS6_17constant_iteratorIiNS6_11use_defaultESE_EENS6_10device_ptrIlEESH_PmS8_NS6_8equal_toIlEEEE10hipError_tPvRmT2_T3_mT4_T5_T6_T7_T8_P12ihipStream_tbENKUlT_T0_E_clISt17integral_constantIbLb0EES11_IbLb1EEEEDaSX_SY_EUlSX_E_NS1_11comp_targetILNS1_3genE10ELNS1_11target_archE1201ELNS1_3gpuE5ELNS1_3repE0EEENS1_30default_config_static_selectorELNS0_4arch9wavefront6targetE1EEEvT1_ ; -- Begin function _ZN7rocprim17ROCPRIM_400000_NS6detail17trampoline_kernelINS0_14default_configENS1_29reduce_by_key_config_selectorIllN6thrust23THRUST_200600_302600_NS4plusIlEEEEZZNS1_33reduce_by_key_impl_wrapped_configILNS1_25lookback_scan_determinismE0ES3_S9_PlNS6_17constant_iteratorIiNS6_11use_defaultESE_EENS6_10device_ptrIlEESH_PmS8_NS6_8equal_toIlEEEE10hipError_tPvRmT2_T3_mT4_T5_T6_T7_T8_P12ihipStream_tbENKUlT_T0_E_clISt17integral_constantIbLb0EES11_IbLb1EEEEDaSX_SY_EUlSX_E_NS1_11comp_targetILNS1_3genE10ELNS1_11target_archE1201ELNS1_3gpuE5ELNS1_3repE0EEENS1_30default_config_static_selectorELNS0_4arch9wavefront6targetE1EEEvT1_
	.globl	_ZN7rocprim17ROCPRIM_400000_NS6detail17trampoline_kernelINS0_14default_configENS1_29reduce_by_key_config_selectorIllN6thrust23THRUST_200600_302600_NS4plusIlEEEEZZNS1_33reduce_by_key_impl_wrapped_configILNS1_25lookback_scan_determinismE0ES3_S9_PlNS6_17constant_iteratorIiNS6_11use_defaultESE_EENS6_10device_ptrIlEESH_PmS8_NS6_8equal_toIlEEEE10hipError_tPvRmT2_T3_mT4_T5_T6_T7_T8_P12ihipStream_tbENKUlT_T0_E_clISt17integral_constantIbLb0EES11_IbLb1EEEEDaSX_SY_EUlSX_E_NS1_11comp_targetILNS1_3genE10ELNS1_11target_archE1201ELNS1_3gpuE5ELNS1_3repE0EEENS1_30default_config_static_selectorELNS0_4arch9wavefront6targetE1EEEvT1_
	.p2align	8
	.type	_ZN7rocprim17ROCPRIM_400000_NS6detail17trampoline_kernelINS0_14default_configENS1_29reduce_by_key_config_selectorIllN6thrust23THRUST_200600_302600_NS4plusIlEEEEZZNS1_33reduce_by_key_impl_wrapped_configILNS1_25lookback_scan_determinismE0ES3_S9_PlNS6_17constant_iteratorIiNS6_11use_defaultESE_EENS6_10device_ptrIlEESH_PmS8_NS6_8equal_toIlEEEE10hipError_tPvRmT2_T3_mT4_T5_T6_T7_T8_P12ihipStream_tbENKUlT_T0_E_clISt17integral_constantIbLb0EES11_IbLb1EEEEDaSX_SY_EUlSX_E_NS1_11comp_targetILNS1_3genE10ELNS1_11target_archE1201ELNS1_3gpuE5ELNS1_3repE0EEENS1_30default_config_static_selectorELNS0_4arch9wavefront6targetE1EEEvT1_,@function
_ZN7rocprim17ROCPRIM_400000_NS6detail17trampoline_kernelINS0_14default_configENS1_29reduce_by_key_config_selectorIllN6thrust23THRUST_200600_302600_NS4plusIlEEEEZZNS1_33reduce_by_key_impl_wrapped_configILNS1_25lookback_scan_determinismE0ES3_S9_PlNS6_17constant_iteratorIiNS6_11use_defaultESE_EENS6_10device_ptrIlEESH_PmS8_NS6_8equal_toIlEEEE10hipError_tPvRmT2_T3_mT4_T5_T6_T7_T8_P12ihipStream_tbENKUlT_T0_E_clISt17integral_constantIbLb0EES11_IbLb1EEEEDaSX_SY_EUlSX_E_NS1_11comp_targetILNS1_3genE10ELNS1_11target_archE1201ELNS1_3gpuE5ELNS1_3repE0EEENS1_30default_config_static_selectorELNS0_4arch9wavefront6targetE1EEEvT1_: ; @_ZN7rocprim17ROCPRIM_400000_NS6detail17trampoline_kernelINS0_14default_configENS1_29reduce_by_key_config_selectorIllN6thrust23THRUST_200600_302600_NS4plusIlEEEEZZNS1_33reduce_by_key_impl_wrapped_configILNS1_25lookback_scan_determinismE0ES3_S9_PlNS6_17constant_iteratorIiNS6_11use_defaultESE_EENS6_10device_ptrIlEESH_PmS8_NS6_8equal_toIlEEEE10hipError_tPvRmT2_T3_mT4_T5_T6_T7_T8_P12ihipStream_tbENKUlT_T0_E_clISt17integral_constantIbLb0EES11_IbLb1EEEEDaSX_SY_EUlSX_E_NS1_11comp_targetILNS1_3genE10ELNS1_11target_archE1201ELNS1_3gpuE5ELNS1_3repE0EEENS1_30default_config_static_selectorELNS0_4arch9wavefront6targetE1EEEvT1_
; %bb.0:
	.section	.rodata,"a",@progbits
	.p2align	6, 0x0
	.amdhsa_kernel _ZN7rocprim17ROCPRIM_400000_NS6detail17trampoline_kernelINS0_14default_configENS1_29reduce_by_key_config_selectorIllN6thrust23THRUST_200600_302600_NS4plusIlEEEEZZNS1_33reduce_by_key_impl_wrapped_configILNS1_25lookback_scan_determinismE0ES3_S9_PlNS6_17constant_iteratorIiNS6_11use_defaultESE_EENS6_10device_ptrIlEESH_PmS8_NS6_8equal_toIlEEEE10hipError_tPvRmT2_T3_mT4_T5_T6_T7_T8_P12ihipStream_tbENKUlT_T0_E_clISt17integral_constantIbLb0EES11_IbLb1EEEEDaSX_SY_EUlSX_E_NS1_11comp_targetILNS1_3genE10ELNS1_11target_archE1201ELNS1_3gpuE5ELNS1_3repE0EEENS1_30default_config_static_selectorELNS0_4arch9wavefront6targetE1EEEvT1_
		.amdhsa_group_segment_fixed_size 0
		.amdhsa_private_segment_fixed_size 0
		.amdhsa_kernarg_size 144
		.amdhsa_user_sgpr_count 6
		.amdhsa_user_sgpr_private_segment_buffer 1
		.amdhsa_user_sgpr_dispatch_ptr 0
		.amdhsa_user_sgpr_queue_ptr 0
		.amdhsa_user_sgpr_kernarg_segment_ptr 1
		.amdhsa_user_sgpr_dispatch_id 0
		.amdhsa_user_sgpr_flat_scratch_init 0
		.amdhsa_user_sgpr_private_segment_size 0
		.amdhsa_uses_dynamic_stack 0
		.amdhsa_system_sgpr_private_segment_wavefront_offset 0
		.amdhsa_system_sgpr_workgroup_id_x 1
		.amdhsa_system_sgpr_workgroup_id_y 0
		.amdhsa_system_sgpr_workgroup_id_z 0
		.amdhsa_system_sgpr_workgroup_info 0
		.amdhsa_system_vgpr_workitem_id 0
		.amdhsa_next_free_vgpr 1
		.amdhsa_next_free_sgpr 0
		.amdhsa_reserve_vcc 0
		.amdhsa_reserve_flat_scratch 0
		.amdhsa_float_round_mode_32 0
		.amdhsa_float_round_mode_16_64 0
		.amdhsa_float_denorm_mode_32 3
		.amdhsa_float_denorm_mode_16_64 3
		.amdhsa_dx10_clamp 1
		.amdhsa_ieee_mode 1
		.amdhsa_fp16_overflow 0
		.amdhsa_exception_fp_ieee_invalid_op 0
		.amdhsa_exception_fp_denorm_src 0
		.amdhsa_exception_fp_ieee_div_zero 0
		.amdhsa_exception_fp_ieee_overflow 0
		.amdhsa_exception_fp_ieee_underflow 0
		.amdhsa_exception_fp_ieee_inexact 0
		.amdhsa_exception_int_div_zero 0
	.end_amdhsa_kernel
	.section	.text._ZN7rocprim17ROCPRIM_400000_NS6detail17trampoline_kernelINS0_14default_configENS1_29reduce_by_key_config_selectorIllN6thrust23THRUST_200600_302600_NS4plusIlEEEEZZNS1_33reduce_by_key_impl_wrapped_configILNS1_25lookback_scan_determinismE0ES3_S9_PlNS6_17constant_iteratorIiNS6_11use_defaultESE_EENS6_10device_ptrIlEESH_PmS8_NS6_8equal_toIlEEEE10hipError_tPvRmT2_T3_mT4_T5_T6_T7_T8_P12ihipStream_tbENKUlT_T0_E_clISt17integral_constantIbLb0EES11_IbLb1EEEEDaSX_SY_EUlSX_E_NS1_11comp_targetILNS1_3genE10ELNS1_11target_archE1201ELNS1_3gpuE5ELNS1_3repE0EEENS1_30default_config_static_selectorELNS0_4arch9wavefront6targetE1EEEvT1_,"axG",@progbits,_ZN7rocprim17ROCPRIM_400000_NS6detail17trampoline_kernelINS0_14default_configENS1_29reduce_by_key_config_selectorIllN6thrust23THRUST_200600_302600_NS4plusIlEEEEZZNS1_33reduce_by_key_impl_wrapped_configILNS1_25lookback_scan_determinismE0ES3_S9_PlNS6_17constant_iteratorIiNS6_11use_defaultESE_EENS6_10device_ptrIlEESH_PmS8_NS6_8equal_toIlEEEE10hipError_tPvRmT2_T3_mT4_T5_T6_T7_T8_P12ihipStream_tbENKUlT_T0_E_clISt17integral_constantIbLb0EES11_IbLb1EEEEDaSX_SY_EUlSX_E_NS1_11comp_targetILNS1_3genE10ELNS1_11target_archE1201ELNS1_3gpuE5ELNS1_3repE0EEENS1_30default_config_static_selectorELNS0_4arch9wavefront6targetE1EEEvT1_,comdat
.Lfunc_end1236:
	.size	_ZN7rocprim17ROCPRIM_400000_NS6detail17trampoline_kernelINS0_14default_configENS1_29reduce_by_key_config_selectorIllN6thrust23THRUST_200600_302600_NS4plusIlEEEEZZNS1_33reduce_by_key_impl_wrapped_configILNS1_25lookback_scan_determinismE0ES3_S9_PlNS6_17constant_iteratorIiNS6_11use_defaultESE_EENS6_10device_ptrIlEESH_PmS8_NS6_8equal_toIlEEEE10hipError_tPvRmT2_T3_mT4_T5_T6_T7_T8_P12ihipStream_tbENKUlT_T0_E_clISt17integral_constantIbLb0EES11_IbLb1EEEEDaSX_SY_EUlSX_E_NS1_11comp_targetILNS1_3genE10ELNS1_11target_archE1201ELNS1_3gpuE5ELNS1_3repE0EEENS1_30default_config_static_selectorELNS0_4arch9wavefront6targetE1EEEvT1_, .Lfunc_end1236-_ZN7rocprim17ROCPRIM_400000_NS6detail17trampoline_kernelINS0_14default_configENS1_29reduce_by_key_config_selectorIllN6thrust23THRUST_200600_302600_NS4plusIlEEEEZZNS1_33reduce_by_key_impl_wrapped_configILNS1_25lookback_scan_determinismE0ES3_S9_PlNS6_17constant_iteratorIiNS6_11use_defaultESE_EENS6_10device_ptrIlEESH_PmS8_NS6_8equal_toIlEEEE10hipError_tPvRmT2_T3_mT4_T5_T6_T7_T8_P12ihipStream_tbENKUlT_T0_E_clISt17integral_constantIbLb0EES11_IbLb1EEEEDaSX_SY_EUlSX_E_NS1_11comp_targetILNS1_3genE10ELNS1_11target_archE1201ELNS1_3gpuE5ELNS1_3repE0EEENS1_30default_config_static_selectorELNS0_4arch9wavefront6targetE1EEEvT1_
                                        ; -- End function
	.set _ZN7rocprim17ROCPRIM_400000_NS6detail17trampoline_kernelINS0_14default_configENS1_29reduce_by_key_config_selectorIllN6thrust23THRUST_200600_302600_NS4plusIlEEEEZZNS1_33reduce_by_key_impl_wrapped_configILNS1_25lookback_scan_determinismE0ES3_S9_PlNS6_17constant_iteratorIiNS6_11use_defaultESE_EENS6_10device_ptrIlEESH_PmS8_NS6_8equal_toIlEEEE10hipError_tPvRmT2_T3_mT4_T5_T6_T7_T8_P12ihipStream_tbENKUlT_T0_E_clISt17integral_constantIbLb0EES11_IbLb1EEEEDaSX_SY_EUlSX_E_NS1_11comp_targetILNS1_3genE10ELNS1_11target_archE1201ELNS1_3gpuE5ELNS1_3repE0EEENS1_30default_config_static_selectorELNS0_4arch9wavefront6targetE1EEEvT1_.num_vgpr, 0
	.set _ZN7rocprim17ROCPRIM_400000_NS6detail17trampoline_kernelINS0_14default_configENS1_29reduce_by_key_config_selectorIllN6thrust23THRUST_200600_302600_NS4plusIlEEEEZZNS1_33reduce_by_key_impl_wrapped_configILNS1_25lookback_scan_determinismE0ES3_S9_PlNS6_17constant_iteratorIiNS6_11use_defaultESE_EENS6_10device_ptrIlEESH_PmS8_NS6_8equal_toIlEEEE10hipError_tPvRmT2_T3_mT4_T5_T6_T7_T8_P12ihipStream_tbENKUlT_T0_E_clISt17integral_constantIbLb0EES11_IbLb1EEEEDaSX_SY_EUlSX_E_NS1_11comp_targetILNS1_3genE10ELNS1_11target_archE1201ELNS1_3gpuE5ELNS1_3repE0EEENS1_30default_config_static_selectorELNS0_4arch9wavefront6targetE1EEEvT1_.num_agpr, 0
	.set _ZN7rocprim17ROCPRIM_400000_NS6detail17trampoline_kernelINS0_14default_configENS1_29reduce_by_key_config_selectorIllN6thrust23THRUST_200600_302600_NS4plusIlEEEEZZNS1_33reduce_by_key_impl_wrapped_configILNS1_25lookback_scan_determinismE0ES3_S9_PlNS6_17constant_iteratorIiNS6_11use_defaultESE_EENS6_10device_ptrIlEESH_PmS8_NS6_8equal_toIlEEEE10hipError_tPvRmT2_T3_mT4_T5_T6_T7_T8_P12ihipStream_tbENKUlT_T0_E_clISt17integral_constantIbLb0EES11_IbLb1EEEEDaSX_SY_EUlSX_E_NS1_11comp_targetILNS1_3genE10ELNS1_11target_archE1201ELNS1_3gpuE5ELNS1_3repE0EEENS1_30default_config_static_selectorELNS0_4arch9wavefront6targetE1EEEvT1_.numbered_sgpr, 0
	.set _ZN7rocprim17ROCPRIM_400000_NS6detail17trampoline_kernelINS0_14default_configENS1_29reduce_by_key_config_selectorIllN6thrust23THRUST_200600_302600_NS4plusIlEEEEZZNS1_33reduce_by_key_impl_wrapped_configILNS1_25lookback_scan_determinismE0ES3_S9_PlNS6_17constant_iteratorIiNS6_11use_defaultESE_EENS6_10device_ptrIlEESH_PmS8_NS6_8equal_toIlEEEE10hipError_tPvRmT2_T3_mT4_T5_T6_T7_T8_P12ihipStream_tbENKUlT_T0_E_clISt17integral_constantIbLb0EES11_IbLb1EEEEDaSX_SY_EUlSX_E_NS1_11comp_targetILNS1_3genE10ELNS1_11target_archE1201ELNS1_3gpuE5ELNS1_3repE0EEENS1_30default_config_static_selectorELNS0_4arch9wavefront6targetE1EEEvT1_.num_named_barrier, 0
	.set _ZN7rocprim17ROCPRIM_400000_NS6detail17trampoline_kernelINS0_14default_configENS1_29reduce_by_key_config_selectorIllN6thrust23THRUST_200600_302600_NS4plusIlEEEEZZNS1_33reduce_by_key_impl_wrapped_configILNS1_25lookback_scan_determinismE0ES3_S9_PlNS6_17constant_iteratorIiNS6_11use_defaultESE_EENS6_10device_ptrIlEESH_PmS8_NS6_8equal_toIlEEEE10hipError_tPvRmT2_T3_mT4_T5_T6_T7_T8_P12ihipStream_tbENKUlT_T0_E_clISt17integral_constantIbLb0EES11_IbLb1EEEEDaSX_SY_EUlSX_E_NS1_11comp_targetILNS1_3genE10ELNS1_11target_archE1201ELNS1_3gpuE5ELNS1_3repE0EEENS1_30default_config_static_selectorELNS0_4arch9wavefront6targetE1EEEvT1_.private_seg_size, 0
	.set _ZN7rocprim17ROCPRIM_400000_NS6detail17trampoline_kernelINS0_14default_configENS1_29reduce_by_key_config_selectorIllN6thrust23THRUST_200600_302600_NS4plusIlEEEEZZNS1_33reduce_by_key_impl_wrapped_configILNS1_25lookback_scan_determinismE0ES3_S9_PlNS6_17constant_iteratorIiNS6_11use_defaultESE_EENS6_10device_ptrIlEESH_PmS8_NS6_8equal_toIlEEEE10hipError_tPvRmT2_T3_mT4_T5_T6_T7_T8_P12ihipStream_tbENKUlT_T0_E_clISt17integral_constantIbLb0EES11_IbLb1EEEEDaSX_SY_EUlSX_E_NS1_11comp_targetILNS1_3genE10ELNS1_11target_archE1201ELNS1_3gpuE5ELNS1_3repE0EEENS1_30default_config_static_selectorELNS0_4arch9wavefront6targetE1EEEvT1_.uses_vcc, 0
	.set _ZN7rocprim17ROCPRIM_400000_NS6detail17trampoline_kernelINS0_14default_configENS1_29reduce_by_key_config_selectorIllN6thrust23THRUST_200600_302600_NS4plusIlEEEEZZNS1_33reduce_by_key_impl_wrapped_configILNS1_25lookback_scan_determinismE0ES3_S9_PlNS6_17constant_iteratorIiNS6_11use_defaultESE_EENS6_10device_ptrIlEESH_PmS8_NS6_8equal_toIlEEEE10hipError_tPvRmT2_T3_mT4_T5_T6_T7_T8_P12ihipStream_tbENKUlT_T0_E_clISt17integral_constantIbLb0EES11_IbLb1EEEEDaSX_SY_EUlSX_E_NS1_11comp_targetILNS1_3genE10ELNS1_11target_archE1201ELNS1_3gpuE5ELNS1_3repE0EEENS1_30default_config_static_selectorELNS0_4arch9wavefront6targetE1EEEvT1_.uses_flat_scratch, 0
	.set _ZN7rocprim17ROCPRIM_400000_NS6detail17trampoline_kernelINS0_14default_configENS1_29reduce_by_key_config_selectorIllN6thrust23THRUST_200600_302600_NS4plusIlEEEEZZNS1_33reduce_by_key_impl_wrapped_configILNS1_25lookback_scan_determinismE0ES3_S9_PlNS6_17constant_iteratorIiNS6_11use_defaultESE_EENS6_10device_ptrIlEESH_PmS8_NS6_8equal_toIlEEEE10hipError_tPvRmT2_T3_mT4_T5_T6_T7_T8_P12ihipStream_tbENKUlT_T0_E_clISt17integral_constantIbLb0EES11_IbLb1EEEEDaSX_SY_EUlSX_E_NS1_11comp_targetILNS1_3genE10ELNS1_11target_archE1201ELNS1_3gpuE5ELNS1_3repE0EEENS1_30default_config_static_selectorELNS0_4arch9wavefront6targetE1EEEvT1_.has_dyn_sized_stack, 0
	.set _ZN7rocprim17ROCPRIM_400000_NS6detail17trampoline_kernelINS0_14default_configENS1_29reduce_by_key_config_selectorIllN6thrust23THRUST_200600_302600_NS4plusIlEEEEZZNS1_33reduce_by_key_impl_wrapped_configILNS1_25lookback_scan_determinismE0ES3_S9_PlNS6_17constant_iteratorIiNS6_11use_defaultESE_EENS6_10device_ptrIlEESH_PmS8_NS6_8equal_toIlEEEE10hipError_tPvRmT2_T3_mT4_T5_T6_T7_T8_P12ihipStream_tbENKUlT_T0_E_clISt17integral_constantIbLb0EES11_IbLb1EEEEDaSX_SY_EUlSX_E_NS1_11comp_targetILNS1_3genE10ELNS1_11target_archE1201ELNS1_3gpuE5ELNS1_3repE0EEENS1_30default_config_static_selectorELNS0_4arch9wavefront6targetE1EEEvT1_.has_recursion, 0
	.set _ZN7rocprim17ROCPRIM_400000_NS6detail17trampoline_kernelINS0_14default_configENS1_29reduce_by_key_config_selectorIllN6thrust23THRUST_200600_302600_NS4plusIlEEEEZZNS1_33reduce_by_key_impl_wrapped_configILNS1_25lookback_scan_determinismE0ES3_S9_PlNS6_17constant_iteratorIiNS6_11use_defaultESE_EENS6_10device_ptrIlEESH_PmS8_NS6_8equal_toIlEEEE10hipError_tPvRmT2_T3_mT4_T5_T6_T7_T8_P12ihipStream_tbENKUlT_T0_E_clISt17integral_constantIbLb0EES11_IbLb1EEEEDaSX_SY_EUlSX_E_NS1_11comp_targetILNS1_3genE10ELNS1_11target_archE1201ELNS1_3gpuE5ELNS1_3repE0EEENS1_30default_config_static_selectorELNS0_4arch9wavefront6targetE1EEEvT1_.has_indirect_call, 0
	.section	.AMDGPU.csdata,"",@progbits
; Kernel info:
; codeLenInByte = 0
; TotalNumSgprs: 4
; NumVgprs: 0
; ScratchSize: 0
; MemoryBound: 0
; FloatMode: 240
; IeeeMode: 1
; LDSByteSize: 0 bytes/workgroup (compile time only)
; SGPRBlocks: 0
; VGPRBlocks: 0
; NumSGPRsForWavesPerEU: 4
; NumVGPRsForWavesPerEU: 1
; Occupancy: 10
; WaveLimiterHint : 0
; COMPUTE_PGM_RSRC2:SCRATCH_EN: 0
; COMPUTE_PGM_RSRC2:USER_SGPR: 6
; COMPUTE_PGM_RSRC2:TRAP_HANDLER: 0
; COMPUTE_PGM_RSRC2:TGID_X_EN: 1
; COMPUTE_PGM_RSRC2:TGID_Y_EN: 0
; COMPUTE_PGM_RSRC2:TGID_Z_EN: 0
; COMPUTE_PGM_RSRC2:TIDIG_COMP_CNT: 0
	.section	.text._ZN7rocprim17ROCPRIM_400000_NS6detail17trampoline_kernelINS0_14default_configENS1_29reduce_by_key_config_selectorIllN6thrust23THRUST_200600_302600_NS4plusIlEEEEZZNS1_33reduce_by_key_impl_wrapped_configILNS1_25lookback_scan_determinismE0ES3_S9_PlNS6_17constant_iteratorIiNS6_11use_defaultESE_EENS6_10device_ptrIlEESH_PmS8_NS6_8equal_toIlEEEE10hipError_tPvRmT2_T3_mT4_T5_T6_T7_T8_P12ihipStream_tbENKUlT_T0_E_clISt17integral_constantIbLb0EES11_IbLb1EEEEDaSX_SY_EUlSX_E_NS1_11comp_targetILNS1_3genE10ELNS1_11target_archE1200ELNS1_3gpuE4ELNS1_3repE0EEENS1_30default_config_static_selectorELNS0_4arch9wavefront6targetE1EEEvT1_,"axG",@progbits,_ZN7rocprim17ROCPRIM_400000_NS6detail17trampoline_kernelINS0_14default_configENS1_29reduce_by_key_config_selectorIllN6thrust23THRUST_200600_302600_NS4plusIlEEEEZZNS1_33reduce_by_key_impl_wrapped_configILNS1_25lookback_scan_determinismE0ES3_S9_PlNS6_17constant_iteratorIiNS6_11use_defaultESE_EENS6_10device_ptrIlEESH_PmS8_NS6_8equal_toIlEEEE10hipError_tPvRmT2_T3_mT4_T5_T6_T7_T8_P12ihipStream_tbENKUlT_T0_E_clISt17integral_constantIbLb0EES11_IbLb1EEEEDaSX_SY_EUlSX_E_NS1_11comp_targetILNS1_3genE10ELNS1_11target_archE1200ELNS1_3gpuE4ELNS1_3repE0EEENS1_30default_config_static_selectorELNS0_4arch9wavefront6targetE1EEEvT1_,comdat
	.protected	_ZN7rocprim17ROCPRIM_400000_NS6detail17trampoline_kernelINS0_14default_configENS1_29reduce_by_key_config_selectorIllN6thrust23THRUST_200600_302600_NS4plusIlEEEEZZNS1_33reduce_by_key_impl_wrapped_configILNS1_25lookback_scan_determinismE0ES3_S9_PlNS6_17constant_iteratorIiNS6_11use_defaultESE_EENS6_10device_ptrIlEESH_PmS8_NS6_8equal_toIlEEEE10hipError_tPvRmT2_T3_mT4_T5_T6_T7_T8_P12ihipStream_tbENKUlT_T0_E_clISt17integral_constantIbLb0EES11_IbLb1EEEEDaSX_SY_EUlSX_E_NS1_11comp_targetILNS1_3genE10ELNS1_11target_archE1200ELNS1_3gpuE4ELNS1_3repE0EEENS1_30default_config_static_selectorELNS0_4arch9wavefront6targetE1EEEvT1_ ; -- Begin function _ZN7rocprim17ROCPRIM_400000_NS6detail17trampoline_kernelINS0_14default_configENS1_29reduce_by_key_config_selectorIllN6thrust23THRUST_200600_302600_NS4plusIlEEEEZZNS1_33reduce_by_key_impl_wrapped_configILNS1_25lookback_scan_determinismE0ES3_S9_PlNS6_17constant_iteratorIiNS6_11use_defaultESE_EENS6_10device_ptrIlEESH_PmS8_NS6_8equal_toIlEEEE10hipError_tPvRmT2_T3_mT4_T5_T6_T7_T8_P12ihipStream_tbENKUlT_T0_E_clISt17integral_constantIbLb0EES11_IbLb1EEEEDaSX_SY_EUlSX_E_NS1_11comp_targetILNS1_3genE10ELNS1_11target_archE1200ELNS1_3gpuE4ELNS1_3repE0EEENS1_30default_config_static_selectorELNS0_4arch9wavefront6targetE1EEEvT1_
	.globl	_ZN7rocprim17ROCPRIM_400000_NS6detail17trampoline_kernelINS0_14default_configENS1_29reduce_by_key_config_selectorIllN6thrust23THRUST_200600_302600_NS4plusIlEEEEZZNS1_33reduce_by_key_impl_wrapped_configILNS1_25lookback_scan_determinismE0ES3_S9_PlNS6_17constant_iteratorIiNS6_11use_defaultESE_EENS6_10device_ptrIlEESH_PmS8_NS6_8equal_toIlEEEE10hipError_tPvRmT2_T3_mT4_T5_T6_T7_T8_P12ihipStream_tbENKUlT_T0_E_clISt17integral_constantIbLb0EES11_IbLb1EEEEDaSX_SY_EUlSX_E_NS1_11comp_targetILNS1_3genE10ELNS1_11target_archE1200ELNS1_3gpuE4ELNS1_3repE0EEENS1_30default_config_static_selectorELNS0_4arch9wavefront6targetE1EEEvT1_
	.p2align	8
	.type	_ZN7rocprim17ROCPRIM_400000_NS6detail17trampoline_kernelINS0_14default_configENS1_29reduce_by_key_config_selectorIllN6thrust23THRUST_200600_302600_NS4plusIlEEEEZZNS1_33reduce_by_key_impl_wrapped_configILNS1_25lookback_scan_determinismE0ES3_S9_PlNS6_17constant_iteratorIiNS6_11use_defaultESE_EENS6_10device_ptrIlEESH_PmS8_NS6_8equal_toIlEEEE10hipError_tPvRmT2_T3_mT4_T5_T6_T7_T8_P12ihipStream_tbENKUlT_T0_E_clISt17integral_constantIbLb0EES11_IbLb1EEEEDaSX_SY_EUlSX_E_NS1_11comp_targetILNS1_3genE10ELNS1_11target_archE1200ELNS1_3gpuE4ELNS1_3repE0EEENS1_30default_config_static_selectorELNS0_4arch9wavefront6targetE1EEEvT1_,@function
_ZN7rocprim17ROCPRIM_400000_NS6detail17trampoline_kernelINS0_14default_configENS1_29reduce_by_key_config_selectorIllN6thrust23THRUST_200600_302600_NS4plusIlEEEEZZNS1_33reduce_by_key_impl_wrapped_configILNS1_25lookback_scan_determinismE0ES3_S9_PlNS6_17constant_iteratorIiNS6_11use_defaultESE_EENS6_10device_ptrIlEESH_PmS8_NS6_8equal_toIlEEEE10hipError_tPvRmT2_T3_mT4_T5_T6_T7_T8_P12ihipStream_tbENKUlT_T0_E_clISt17integral_constantIbLb0EES11_IbLb1EEEEDaSX_SY_EUlSX_E_NS1_11comp_targetILNS1_3genE10ELNS1_11target_archE1200ELNS1_3gpuE4ELNS1_3repE0EEENS1_30default_config_static_selectorELNS0_4arch9wavefront6targetE1EEEvT1_: ; @_ZN7rocprim17ROCPRIM_400000_NS6detail17trampoline_kernelINS0_14default_configENS1_29reduce_by_key_config_selectorIllN6thrust23THRUST_200600_302600_NS4plusIlEEEEZZNS1_33reduce_by_key_impl_wrapped_configILNS1_25lookback_scan_determinismE0ES3_S9_PlNS6_17constant_iteratorIiNS6_11use_defaultESE_EENS6_10device_ptrIlEESH_PmS8_NS6_8equal_toIlEEEE10hipError_tPvRmT2_T3_mT4_T5_T6_T7_T8_P12ihipStream_tbENKUlT_T0_E_clISt17integral_constantIbLb0EES11_IbLb1EEEEDaSX_SY_EUlSX_E_NS1_11comp_targetILNS1_3genE10ELNS1_11target_archE1200ELNS1_3gpuE4ELNS1_3repE0EEENS1_30default_config_static_selectorELNS0_4arch9wavefront6targetE1EEEvT1_
; %bb.0:
	.section	.rodata,"a",@progbits
	.p2align	6, 0x0
	.amdhsa_kernel _ZN7rocprim17ROCPRIM_400000_NS6detail17trampoline_kernelINS0_14default_configENS1_29reduce_by_key_config_selectorIllN6thrust23THRUST_200600_302600_NS4plusIlEEEEZZNS1_33reduce_by_key_impl_wrapped_configILNS1_25lookback_scan_determinismE0ES3_S9_PlNS6_17constant_iteratorIiNS6_11use_defaultESE_EENS6_10device_ptrIlEESH_PmS8_NS6_8equal_toIlEEEE10hipError_tPvRmT2_T3_mT4_T5_T6_T7_T8_P12ihipStream_tbENKUlT_T0_E_clISt17integral_constantIbLb0EES11_IbLb1EEEEDaSX_SY_EUlSX_E_NS1_11comp_targetILNS1_3genE10ELNS1_11target_archE1200ELNS1_3gpuE4ELNS1_3repE0EEENS1_30default_config_static_selectorELNS0_4arch9wavefront6targetE1EEEvT1_
		.amdhsa_group_segment_fixed_size 0
		.amdhsa_private_segment_fixed_size 0
		.amdhsa_kernarg_size 144
		.amdhsa_user_sgpr_count 6
		.amdhsa_user_sgpr_private_segment_buffer 1
		.amdhsa_user_sgpr_dispatch_ptr 0
		.amdhsa_user_sgpr_queue_ptr 0
		.amdhsa_user_sgpr_kernarg_segment_ptr 1
		.amdhsa_user_sgpr_dispatch_id 0
		.amdhsa_user_sgpr_flat_scratch_init 0
		.amdhsa_user_sgpr_private_segment_size 0
		.amdhsa_uses_dynamic_stack 0
		.amdhsa_system_sgpr_private_segment_wavefront_offset 0
		.amdhsa_system_sgpr_workgroup_id_x 1
		.amdhsa_system_sgpr_workgroup_id_y 0
		.amdhsa_system_sgpr_workgroup_id_z 0
		.amdhsa_system_sgpr_workgroup_info 0
		.amdhsa_system_vgpr_workitem_id 0
		.amdhsa_next_free_vgpr 1
		.amdhsa_next_free_sgpr 0
		.amdhsa_reserve_vcc 0
		.amdhsa_reserve_flat_scratch 0
		.amdhsa_float_round_mode_32 0
		.amdhsa_float_round_mode_16_64 0
		.amdhsa_float_denorm_mode_32 3
		.amdhsa_float_denorm_mode_16_64 3
		.amdhsa_dx10_clamp 1
		.amdhsa_ieee_mode 1
		.amdhsa_fp16_overflow 0
		.amdhsa_exception_fp_ieee_invalid_op 0
		.amdhsa_exception_fp_denorm_src 0
		.amdhsa_exception_fp_ieee_div_zero 0
		.amdhsa_exception_fp_ieee_overflow 0
		.amdhsa_exception_fp_ieee_underflow 0
		.amdhsa_exception_fp_ieee_inexact 0
		.amdhsa_exception_int_div_zero 0
	.end_amdhsa_kernel
	.section	.text._ZN7rocprim17ROCPRIM_400000_NS6detail17trampoline_kernelINS0_14default_configENS1_29reduce_by_key_config_selectorIllN6thrust23THRUST_200600_302600_NS4plusIlEEEEZZNS1_33reduce_by_key_impl_wrapped_configILNS1_25lookback_scan_determinismE0ES3_S9_PlNS6_17constant_iteratorIiNS6_11use_defaultESE_EENS6_10device_ptrIlEESH_PmS8_NS6_8equal_toIlEEEE10hipError_tPvRmT2_T3_mT4_T5_T6_T7_T8_P12ihipStream_tbENKUlT_T0_E_clISt17integral_constantIbLb0EES11_IbLb1EEEEDaSX_SY_EUlSX_E_NS1_11comp_targetILNS1_3genE10ELNS1_11target_archE1200ELNS1_3gpuE4ELNS1_3repE0EEENS1_30default_config_static_selectorELNS0_4arch9wavefront6targetE1EEEvT1_,"axG",@progbits,_ZN7rocprim17ROCPRIM_400000_NS6detail17trampoline_kernelINS0_14default_configENS1_29reduce_by_key_config_selectorIllN6thrust23THRUST_200600_302600_NS4plusIlEEEEZZNS1_33reduce_by_key_impl_wrapped_configILNS1_25lookback_scan_determinismE0ES3_S9_PlNS6_17constant_iteratorIiNS6_11use_defaultESE_EENS6_10device_ptrIlEESH_PmS8_NS6_8equal_toIlEEEE10hipError_tPvRmT2_T3_mT4_T5_T6_T7_T8_P12ihipStream_tbENKUlT_T0_E_clISt17integral_constantIbLb0EES11_IbLb1EEEEDaSX_SY_EUlSX_E_NS1_11comp_targetILNS1_3genE10ELNS1_11target_archE1200ELNS1_3gpuE4ELNS1_3repE0EEENS1_30default_config_static_selectorELNS0_4arch9wavefront6targetE1EEEvT1_,comdat
.Lfunc_end1237:
	.size	_ZN7rocprim17ROCPRIM_400000_NS6detail17trampoline_kernelINS0_14default_configENS1_29reduce_by_key_config_selectorIllN6thrust23THRUST_200600_302600_NS4plusIlEEEEZZNS1_33reduce_by_key_impl_wrapped_configILNS1_25lookback_scan_determinismE0ES3_S9_PlNS6_17constant_iteratorIiNS6_11use_defaultESE_EENS6_10device_ptrIlEESH_PmS8_NS6_8equal_toIlEEEE10hipError_tPvRmT2_T3_mT4_T5_T6_T7_T8_P12ihipStream_tbENKUlT_T0_E_clISt17integral_constantIbLb0EES11_IbLb1EEEEDaSX_SY_EUlSX_E_NS1_11comp_targetILNS1_3genE10ELNS1_11target_archE1200ELNS1_3gpuE4ELNS1_3repE0EEENS1_30default_config_static_selectorELNS0_4arch9wavefront6targetE1EEEvT1_, .Lfunc_end1237-_ZN7rocprim17ROCPRIM_400000_NS6detail17trampoline_kernelINS0_14default_configENS1_29reduce_by_key_config_selectorIllN6thrust23THRUST_200600_302600_NS4plusIlEEEEZZNS1_33reduce_by_key_impl_wrapped_configILNS1_25lookback_scan_determinismE0ES3_S9_PlNS6_17constant_iteratorIiNS6_11use_defaultESE_EENS6_10device_ptrIlEESH_PmS8_NS6_8equal_toIlEEEE10hipError_tPvRmT2_T3_mT4_T5_T6_T7_T8_P12ihipStream_tbENKUlT_T0_E_clISt17integral_constantIbLb0EES11_IbLb1EEEEDaSX_SY_EUlSX_E_NS1_11comp_targetILNS1_3genE10ELNS1_11target_archE1200ELNS1_3gpuE4ELNS1_3repE0EEENS1_30default_config_static_selectorELNS0_4arch9wavefront6targetE1EEEvT1_
                                        ; -- End function
	.set _ZN7rocprim17ROCPRIM_400000_NS6detail17trampoline_kernelINS0_14default_configENS1_29reduce_by_key_config_selectorIllN6thrust23THRUST_200600_302600_NS4plusIlEEEEZZNS1_33reduce_by_key_impl_wrapped_configILNS1_25lookback_scan_determinismE0ES3_S9_PlNS6_17constant_iteratorIiNS6_11use_defaultESE_EENS6_10device_ptrIlEESH_PmS8_NS6_8equal_toIlEEEE10hipError_tPvRmT2_T3_mT4_T5_T6_T7_T8_P12ihipStream_tbENKUlT_T0_E_clISt17integral_constantIbLb0EES11_IbLb1EEEEDaSX_SY_EUlSX_E_NS1_11comp_targetILNS1_3genE10ELNS1_11target_archE1200ELNS1_3gpuE4ELNS1_3repE0EEENS1_30default_config_static_selectorELNS0_4arch9wavefront6targetE1EEEvT1_.num_vgpr, 0
	.set _ZN7rocprim17ROCPRIM_400000_NS6detail17trampoline_kernelINS0_14default_configENS1_29reduce_by_key_config_selectorIllN6thrust23THRUST_200600_302600_NS4plusIlEEEEZZNS1_33reduce_by_key_impl_wrapped_configILNS1_25lookback_scan_determinismE0ES3_S9_PlNS6_17constant_iteratorIiNS6_11use_defaultESE_EENS6_10device_ptrIlEESH_PmS8_NS6_8equal_toIlEEEE10hipError_tPvRmT2_T3_mT4_T5_T6_T7_T8_P12ihipStream_tbENKUlT_T0_E_clISt17integral_constantIbLb0EES11_IbLb1EEEEDaSX_SY_EUlSX_E_NS1_11comp_targetILNS1_3genE10ELNS1_11target_archE1200ELNS1_3gpuE4ELNS1_3repE0EEENS1_30default_config_static_selectorELNS0_4arch9wavefront6targetE1EEEvT1_.num_agpr, 0
	.set _ZN7rocprim17ROCPRIM_400000_NS6detail17trampoline_kernelINS0_14default_configENS1_29reduce_by_key_config_selectorIllN6thrust23THRUST_200600_302600_NS4plusIlEEEEZZNS1_33reduce_by_key_impl_wrapped_configILNS1_25lookback_scan_determinismE0ES3_S9_PlNS6_17constant_iteratorIiNS6_11use_defaultESE_EENS6_10device_ptrIlEESH_PmS8_NS6_8equal_toIlEEEE10hipError_tPvRmT2_T3_mT4_T5_T6_T7_T8_P12ihipStream_tbENKUlT_T0_E_clISt17integral_constantIbLb0EES11_IbLb1EEEEDaSX_SY_EUlSX_E_NS1_11comp_targetILNS1_3genE10ELNS1_11target_archE1200ELNS1_3gpuE4ELNS1_3repE0EEENS1_30default_config_static_selectorELNS0_4arch9wavefront6targetE1EEEvT1_.numbered_sgpr, 0
	.set _ZN7rocprim17ROCPRIM_400000_NS6detail17trampoline_kernelINS0_14default_configENS1_29reduce_by_key_config_selectorIllN6thrust23THRUST_200600_302600_NS4plusIlEEEEZZNS1_33reduce_by_key_impl_wrapped_configILNS1_25lookback_scan_determinismE0ES3_S9_PlNS6_17constant_iteratorIiNS6_11use_defaultESE_EENS6_10device_ptrIlEESH_PmS8_NS6_8equal_toIlEEEE10hipError_tPvRmT2_T3_mT4_T5_T6_T7_T8_P12ihipStream_tbENKUlT_T0_E_clISt17integral_constantIbLb0EES11_IbLb1EEEEDaSX_SY_EUlSX_E_NS1_11comp_targetILNS1_3genE10ELNS1_11target_archE1200ELNS1_3gpuE4ELNS1_3repE0EEENS1_30default_config_static_selectorELNS0_4arch9wavefront6targetE1EEEvT1_.num_named_barrier, 0
	.set _ZN7rocprim17ROCPRIM_400000_NS6detail17trampoline_kernelINS0_14default_configENS1_29reduce_by_key_config_selectorIllN6thrust23THRUST_200600_302600_NS4plusIlEEEEZZNS1_33reduce_by_key_impl_wrapped_configILNS1_25lookback_scan_determinismE0ES3_S9_PlNS6_17constant_iteratorIiNS6_11use_defaultESE_EENS6_10device_ptrIlEESH_PmS8_NS6_8equal_toIlEEEE10hipError_tPvRmT2_T3_mT4_T5_T6_T7_T8_P12ihipStream_tbENKUlT_T0_E_clISt17integral_constantIbLb0EES11_IbLb1EEEEDaSX_SY_EUlSX_E_NS1_11comp_targetILNS1_3genE10ELNS1_11target_archE1200ELNS1_3gpuE4ELNS1_3repE0EEENS1_30default_config_static_selectorELNS0_4arch9wavefront6targetE1EEEvT1_.private_seg_size, 0
	.set _ZN7rocprim17ROCPRIM_400000_NS6detail17trampoline_kernelINS0_14default_configENS1_29reduce_by_key_config_selectorIllN6thrust23THRUST_200600_302600_NS4plusIlEEEEZZNS1_33reduce_by_key_impl_wrapped_configILNS1_25lookback_scan_determinismE0ES3_S9_PlNS6_17constant_iteratorIiNS6_11use_defaultESE_EENS6_10device_ptrIlEESH_PmS8_NS6_8equal_toIlEEEE10hipError_tPvRmT2_T3_mT4_T5_T6_T7_T8_P12ihipStream_tbENKUlT_T0_E_clISt17integral_constantIbLb0EES11_IbLb1EEEEDaSX_SY_EUlSX_E_NS1_11comp_targetILNS1_3genE10ELNS1_11target_archE1200ELNS1_3gpuE4ELNS1_3repE0EEENS1_30default_config_static_selectorELNS0_4arch9wavefront6targetE1EEEvT1_.uses_vcc, 0
	.set _ZN7rocprim17ROCPRIM_400000_NS6detail17trampoline_kernelINS0_14default_configENS1_29reduce_by_key_config_selectorIllN6thrust23THRUST_200600_302600_NS4plusIlEEEEZZNS1_33reduce_by_key_impl_wrapped_configILNS1_25lookback_scan_determinismE0ES3_S9_PlNS6_17constant_iteratorIiNS6_11use_defaultESE_EENS6_10device_ptrIlEESH_PmS8_NS6_8equal_toIlEEEE10hipError_tPvRmT2_T3_mT4_T5_T6_T7_T8_P12ihipStream_tbENKUlT_T0_E_clISt17integral_constantIbLb0EES11_IbLb1EEEEDaSX_SY_EUlSX_E_NS1_11comp_targetILNS1_3genE10ELNS1_11target_archE1200ELNS1_3gpuE4ELNS1_3repE0EEENS1_30default_config_static_selectorELNS0_4arch9wavefront6targetE1EEEvT1_.uses_flat_scratch, 0
	.set _ZN7rocprim17ROCPRIM_400000_NS6detail17trampoline_kernelINS0_14default_configENS1_29reduce_by_key_config_selectorIllN6thrust23THRUST_200600_302600_NS4plusIlEEEEZZNS1_33reduce_by_key_impl_wrapped_configILNS1_25lookback_scan_determinismE0ES3_S9_PlNS6_17constant_iteratorIiNS6_11use_defaultESE_EENS6_10device_ptrIlEESH_PmS8_NS6_8equal_toIlEEEE10hipError_tPvRmT2_T3_mT4_T5_T6_T7_T8_P12ihipStream_tbENKUlT_T0_E_clISt17integral_constantIbLb0EES11_IbLb1EEEEDaSX_SY_EUlSX_E_NS1_11comp_targetILNS1_3genE10ELNS1_11target_archE1200ELNS1_3gpuE4ELNS1_3repE0EEENS1_30default_config_static_selectorELNS0_4arch9wavefront6targetE1EEEvT1_.has_dyn_sized_stack, 0
	.set _ZN7rocprim17ROCPRIM_400000_NS6detail17trampoline_kernelINS0_14default_configENS1_29reduce_by_key_config_selectorIllN6thrust23THRUST_200600_302600_NS4plusIlEEEEZZNS1_33reduce_by_key_impl_wrapped_configILNS1_25lookback_scan_determinismE0ES3_S9_PlNS6_17constant_iteratorIiNS6_11use_defaultESE_EENS6_10device_ptrIlEESH_PmS8_NS6_8equal_toIlEEEE10hipError_tPvRmT2_T3_mT4_T5_T6_T7_T8_P12ihipStream_tbENKUlT_T0_E_clISt17integral_constantIbLb0EES11_IbLb1EEEEDaSX_SY_EUlSX_E_NS1_11comp_targetILNS1_3genE10ELNS1_11target_archE1200ELNS1_3gpuE4ELNS1_3repE0EEENS1_30default_config_static_selectorELNS0_4arch9wavefront6targetE1EEEvT1_.has_recursion, 0
	.set _ZN7rocprim17ROCPRIM_400000_NS6detail17trampoline_kernelINS0_14default_configENS1_29reduce_by_key_config_selectorIllN6thrust23THRUST_200600_302600_NS4plusIlEEEEZZNS1_33reduce_by_key_impl_wrapped_configILNS1_25lookback_scan_determinismE0ES3_S9_PlNS6_17constant_iteratorIiNS6_11use_defaultESE_EENS6_10device_ptrIlEESH_PmS8_NS6_8equal_toIlEEEE10hipError_tPvRmT2_T3_mT4_T5_T6_T7_T8_P12ihipStream_tbENKUlT_T0_E_clISt17integral_constantIbLb0EES11_IbLb1EEEEDaSX_SY_EUlSX_E_NS1_11comp_targetILNS1_3genE10ELNS1_11target_archE1200ELNS1_3gpuE4ELNS1_3repE0EEENS1_30default_config_static_selectorELNS0_4arch9wavefront6targetE1EEEvT1_.has_indirect_call, 0
	.section	.AMDGPU.csdata,"",@progbits
; Kernel info:
; codeLenInByte = 0
; TotalNumSgprs: 4
; NumVgprs: 0
; ScratchSize: 0
; MemoryBound: 0
; FloatMode: 240
; IeeeMode: 1
; LDSByteSize: 0 bytes/workgroup (compile time only)
; SGPRBlocks: 0
; VGPRBlocks: 0
; NumSGPRsForWavesPerEU: 4
; NumVGPRsForWavesPerEU: 1
; Occupancy: 10
; WaveLimiterHint : 0
; COMPUTE_PGM_RSRC2:SCRATCH_EN: 0
; COMPUTE_PGM_RSRC2:USER_SGPR: 6
; COMPUTE_PGM_RSRC2:TRAP_HANDLER: 0
; COMPUTE_PGM_RSRC2:TGID_X_EN: 1
; COMPUTE_PGM_RSRC2:TGID_Y_EN: 0
; COMPUTE_PGM_RSRC2:TGID_Z_EN: 0
; COMPUTE_PGM_RSRC2:TIDIG_COMP_CNT: 0
	.section	.text._ZN7rocprim17ROCPRIM_400000_NS6detail17trampoline_kernelINS0_14default_configENS1_29reduce_by_key_config_selectorIllN6thrust23THRUST_200600_302600_NS4plusIlEEEEZZNS1_33reduce_by_key_impl_wrapped_configILNS1_25lookback_scan_determinismE0ES3_S9_PlNS6_17constant_iteratorIiNS6_11use_defaultESE_EENS6_10device_ptrIlEESH_PmS8_NS6_8equal_toIlEEEE10hipError_tPvRmT2_T3_mT4_T5_T6_T7_T8_P12ihipStream_tbENKUlT_T0_E_clISt17integral_constantIbLb0EES11_IbLb1EEEEDaSX_SY_EUlSX_E_NS1_11comp_targetILNS1_3genE9ELNS1_11target_archE1100ELNS1_3gpuE3ELNS1_3repE0EEENS1_30default_config_static_selectorELNS0_4arch9wavefront6targetE1EEEvT1_,"axG",@progbits,_ZN7rocprim17ROCPRIM_400000_NS6detail17trampoline_kernelINS0_14default_configENS1_29reduce_by_key_config_selectorIllN6thrust23THRUST_200600_302600_NS4plusIlEEEEZZNS1_33reduce_by_key_impl_wrapped_configILNS1_25lookback_scan_determinismE0ES3_S9_PlNS6_17constant_iteratorIiNS6_11use_defaultESE_EENS6_10device_ptrIlEESH_PmS8_NS6_8equal_toIlEEEE10hipError_tPvRmT2_T3_mT4_T5_T6_T7_T8_P12ihipStream_tbENKUlT_T0_E_clISt17integral_constantIbLb0EES11_IbLb1EEEEDaSX_SY_EUlSX_E_NS1_11comp_targetILNS1_3genE9ELNS1_11target_archE1100ELNS1_3gpuE3ELNS1_3repE0EEENS1_30default_config_static_selectorELNS0_4arch9wavefront6targetE1EEEvT1_,comdat
	.protected	_ZN7rocprim17ROCPRIM_400000_NS6detail17trampoline_kernelINS0_14default_configENS1_29reduce_by_key_config_selectorIllN6thrust23THRUST_200600_302600_NS4plusIlEEEEZZNS1_33reduce_by_key_impl_wrapped_configILNS1_25lookback_scan_determinismE0ES3_S9_PlNS6_17constant_iteratorIiNS6_11use_defaultESE_EENS6_10device_ptrIlEESH_PmS8_NS6_8equal_toIlEEEE10hipError_tPvRmT2_T3_mT4_T5_T6_T7_T8_P12ihipStream_tbENKUlT_T0_E_clISt17integral_constantIbLb0EES11_IbLb1EEEEDaSX_SY_EUlSX_E_NS1_11comp_targetILNS1_3genE9ELNS1_11target_archE1100ELNS1_3gpuE3ELNS1_3repE0EEENS1_30default_config_static_selectorELNS0_4arch9wavefront6targetE1EEEvT1_ ; -- Begin function _ZN7rocprim17ROCPRIM_400000_NS6detail17trampoline_kernelINS0_14default_configENS1_29reduce_by_key_config_selectorIllN6thrust23THRUST_200600_302600_NS4plusIlEEEEZZNS1_33reduce_by_key_impl_wrapped_configILNS1_25lookback_scan_determinismE0ES3_S9_PlNS6_17constant_iteratorIiNS6_11use_defaultESE_EENS6_10device_ptrIlEESH_PmS8_NS6_8equal_toIlEEEE10hipError_tPvRmT2_T3_mT4_T5_T6_T7_T8_P12ihipStream_tbENKUlT_T0_E_clISt17integral_constantIbLb0EES11_IbLb1EEEEDaSX_SY_EUlSX_E_NS1_11comp_targetILNS1_3genE9ELNS1_11target_archE1100ELNS1_3gpuE3ELNS1_3repE0EEENS1_30default_config_static_selectorELNS0_4arch9wavefront6targetE1EEEvT1_
	.globl	_ZN7rocprim17ROCPRIM_400000_NS6detail17trampoline_kernelINS0_14default_configENS1_29reduce_by_key_config_selectorIllN6thrust23THRUST_200600_302600_NS4plusIlEEEEZZNS1_33reduce_by_key_impl_wrapped_configILNS1_25lookback_scan_determinismE0ES3_S9_PlNS6_17constant_iteratorIiNS6_11use_defaultESE_EENS6_10device_ptrIlEESH_PmS8_NS6_8equal_toIlEEEE10hipError_tPvRmT2_T3_mT4_T5_T6_T7_T8_P12ihipStream_tbENKUlT_T0_E_clISt17integral_constantIbLb0EES11_IbLb1EEEEDaSX_SY_EUlSX_E_NS1_11comp_targetILNS1_3genE9ELNS1_11target_archE1100ELNS1_3gpuE3ELNS1_3repE0EEENS1_30default_config_static_selectorELNS0_4arch9wavefront6targetE1EEEvT1_
	.p2align	8
	.type	_ZN7rocprim17ROCPRIM_400000_NS6detail17trampoline_kernelINS0_14default_configENS1_29reduce_by_key_config_selectorIllN6thrust23THRUST_200600_302600_NS4plusIlEEEEZZNS1_33reduce_by_key_impl_wrapped_configILNS1_25lookback_scan_determinismE0ES3_S9_PlNS6_17constant_iteratorIiNS6_11use_defaultESE_EENS6_10device_ptrIlEESH_PmS8_NS6_8equal_toIlEEEE10hipError_tPvRmT2_T3_mT4_T5_T6_T7_T8_P12ihipStream_tbENKUlT_T0_E_clISt17integral_constantIbLb0EES11_IbLb1EEEEDaSX_SY_EUlSX_E_NS1_11comp_targetILNS1_3genE9ELNS1_11target_archE1100ELNS1_3gpuE3ELNS1_3repE0EEENS1_30default_config_static_selectorELNS0_4arch9wavefront6targetE1EEEvT1_,@function
_ZN7rocprim17ROCPRIM_400000_NS6detail17trampoline_kernelINS0_14default_configENS1_29reduce_by_key_config_selectorIllN6thrust23THRUST_200600_302600_NS4plusIlEEEEZZNS1_33reduce_by_key_impl_wrapped_configILNS1_25lookback_scan_determinismE0ES3_S9_PlNS6_17constant_iteratorIiNS6_11use_defaultESE_EENS6_10device_ptrIlEESH_PmS8_NS6_8equal_toIlEEEE10hipError_tPvRmT2_T3_mT4_T5_T6_T7_T8_P12ihipStream_tbENKUlT_T0_E_clISt17integral_constantIbLb0EES11_IbLb1EEEEDaSX_SY_EUlSX_E_NS1_11comp_targetILNS1_3genE9ELNS1_11target_archE1100ELNS1_3gpuE3ELNS1_3repE0EEENS1_30default_config_static_selectorELNS0_4arch9wavefront6targetE1EEEvT1_: ; @_ZN7rocprim17ROCPRIM_400000_NS6detail17trampoline_kernelINS0_14default_configENS1_29reduce_by_key_config_selectorIllN6thrust23THRUST_200600_302600_NS4plusIlEEEEZZNS1_33reduce_by_key_impl_wrapped_configILNS1_25lookback_scan_determinismE0ES3_S9_PlNS6_17constant_iteratorIiNS6_11use_defaultESE_EENS6_10device_ptrIlEESH_PmS8_NS6_8equal_toIlEEEE10hipError_tPvRmT2_T3_mT4_T5_T6_T7_T8_P12ihipStream_tbENKUlT_T0_E_clISt17integral_constantIbLb0EES11_IbLb1EEEEDaSX_SY_EUlSX_E_NS1_11comp_targetILNS1_3genE9ELNS1_11target_archE1100ELNS1_3gpuE3ELNS1_3repE0EEENS1_30default_config_static_selectorELNS0_4arch9wavefront6targetE1EEEvT1_
; %bb.0:
	.section	.rodata,"a",@progbits
	.p2align	6, 0x0
	.amdhsa_kernel _ZN7rocprim17ROCPRIM_400000_NS6detail17trampoline_kernelINS0_14default_configENS1_29reduce_by_key_config_selectorIllN6thrust23THRUST_200600_302600_NS4plusIlEEEEZZNS1_33reduce_by_key_impl_wrapped_configILNS1_25lookback_scan_determinismE0ES3_S9_PlNS6_17constant_iteratorIiNS6_11use_defaultESE_EENS6_10device_ptrIlEESH_PmS8_NS6_8equal_toIlEEEE10hipError_tPvRmT2_T3_mT4_T5_T6_T7_T8_P12ihipStream_tbENKUlT_T0_E_clISt17integral_constantIbLb0EES11_IbLb1EEEEDaSX_SY_EUlSX_E_NS1_11comp_targetILNS1_3genE9ELNS1_11target_archE1100ELNS1_3gpuE3ELNS1_3repE0EEENS1_30default_config_static_selectorELNS0_4arch9wavefront6targetE1EEEvT1_
		.amdhsa_group_segment_fixed_size 0
		.amdhsa_private_segment_fixed_size 0
		.amdhsa_kernarg_size 144
		.amdhsa_user_sgpr_count 6
		.amdhsa_user_sgpr_private_segment_buffer 1
		.amdhsa_user_sgpr_dispatch_ptr 0
		.amdhsa_user_sgpr_queue_ptr 0
		.amdhsa_user_sgpr_kernarg_segment_ptr 1
		.amdhsa_user_sgpr_dispatch_id 0
		.amdhsa_user_sgpr_flat_scratch_init 0
		.amdhsa_user_sgpr_private_segment_size 0
		.amdhsa_uses_dynamic_stack 0
		.amdhsa_system_sgpr_private_segment_wavefront_offset 0
		.amdhsa_system_sgpr_workgroup_id_x 1
		.amdhsa_system_sgpr_workgroup_id_y 0
		.amdhsa_system_sgpr_workgroup_id_z 0
		.amdhsa_system_sgpr_workgroup_info 0
		.amdhsa_system_vgpr_workitem_id 0
		.amdhsa_next_free_vgpr 1
		.amdhsa_next_free_sgpr 0
		.amdhsa_reserve_vcc 0
		.amdhsa_reserve_flat_scratch 0
		.amdhsa_float_round_mode_32 0
		.amdhsa_float_round_mode_16_64 0
		.amdhsa_float_denorm_mode_32 3
		.amdhsa_float_denorm_mode_16_64 3
		.amdhsa_dx10_clamp 1
		.amdhsa_ieee_mode 1
		.amdhsa_fp16_overflow 0
		.amdhsa_exception_fp_ieee_invalid_op 0
		.amdhsa_exception_fp_denorm_src 0
		.amdhsa_exception_fp_ieee_div_zero 0
		.amdhsa_exception_fp_ieee_overflow 0
		.amdhsa_exception_fp_ieee_underflow 0
		.amdhsa_exception_fp_ieee_inexact 0
		.amdhsa_exception_int_div_zero 0
	.end_amdhsa_kernel
	.section	.text._ZN7rocprim17ROCPRIM_400000_NS6detail17trampoline_kernelINS0_14default_configENS1_29reduce_by_key_config_selectorIllN6thrust23THRUST_200600_302600_NS4plusIlEEEEZZNS1_33reduce_by_key_impl_wrapped_configILNS1_25lookback_scan_determinismE0ES3_S9_PlNS6_17constant_iteratorIiNS6_11use_defaultESE_EENS6_10device_ptrIlEESH_PmS8_NS6_8equal_toIlEEEE10hipError_tPvRmT2_T3_mT4_T5_T6_T7_T8_P12ihipStream_tbENKUlT_T0_E_clISt17integral_constantIbLb0EES11_IbLb1EEEEDaSX_SY_EUlSX_E_NS1_11comp_targetILNS1_3genE9ELNS1_11target_archE1100ELNS1_3gpuE3ELNS1_3repE0EEENS1_30default_config_static_selectorELNS0_4arch9wavefront6targetE1EEEvT1_,"axG",@progbits,_ZN7rocprim17ROCPRIM_400000_NS6detail17trampoline_kernelINS0_14default_configENS1_29reduce_by_key_config_selectorIllN6thrust23THRUST_200600_302600_NS4plusIlEEEEZZNS1_33reduce_by_key_impl_wrapped_configILNS1_25lookback_scan_determinismE0ES3_S9_PlNS6_17constant_iteratorIiNS6_11use_defaultESE_EENS6_10device_ptrIlEESH_PmS8_NS6_8equal_toIlEEEE10hipError_tPvRmT2_T3_mT4_T5_T6_T7_T8_P12ihipStream_tbENKUlT_T0_E_clISt17integral_constantIbLb0EES11_IbLb1EEEEDaSX_SY_EUlSX_E_NS1_11comp_targetILNS1_3genE9ELNS1_11target_archE1100ELNS1_3gpuE3ELNS1_3repE0EEENS1_30default_config_static_selectorELNS0_4arch9wavefront6targetE1EEEvT1_,comdat
.Lfunc_end1238:
	.size	_ZN7rocprim17ROCPRIM_400000_NS6detail17trampoline_kernelINS0_14default_configENS1_29reduce_by_key_config_selectorIllN6thrust23THRUST_200600_302600_NS4plusIlEEEEZZNS1_33reduce_by_key_impl_wrapped_configILNS1_25lookback_scan_determinismE0ES3_S9_PlNS6_17constant_iteratorIiNS6_11use_defaultESE_EENS6_10device_ptrIlEESH_PmS8_NS6_8equal_toIlEEEE10hipError_tPvRmT2_T3_mT4_T5_T6_T7_T8_P12ihipStream_tbENKUlT_T0_E_clISt17integral_constantIbLb0EES11_IbLb1EEEEDaSX_SY_EUlSX_E_NS1_11comp_targetILNS1_3genE9ELNS1_11target_archE1100ELNS1_3gpuE3ELNS1_3repE0EEENS1_30default_config_static_selectorELNS0_4arch9wavefront6targetE1EEEvT1_, .Lfunc_end1238-_ZN7rocprim17ROCPRIM_400000_NS6detail17trampoline_kernelINS0_14default_configENS1_29reduce_by_key_config_selectorIllN6thrust23THRUST_200600_302600_NS4plusIlEEEEZZNS1_33reduce_by_key_impl_wrapped_configILNS1_25lookback_scan_determinismE0ES3_S9_PlNS6_17constant_iteratorIiNS6_11use_defaultESE_EENS6_10device_ptrIlEESH_PmS8_NS6_8equal_toIlEEEE10hipError_tPvRmT2_T3_mT4_T5_T6_T7_T8_P12ihipStream_tbENKUlT_T0_E_clISt17integral_constantIbLb0EES11_IbLb1EEEEDaSX_SY_EUlSX_E_NS1_11comp_targetILNS1_3genE9ELNS1_11target_archE1100ELNS1_3gpuE3ELNS1_3repE0EEENS1_30default_config_static_selectorELNS0_4arch9wavefront6targetE1EEEvT1_
                                        ; -- End function
	.set _ZN7rocprim17ROCPRIM_400000_NS6detail17trampoline_kernelINS0_14default_configENS1_29reduce_by_key_config_selectorIllN6thrust23THRUST_200600_302600_NS4plusIlEEEEZZNS1_33reduce_by_key_impl_wrapped_configILNS1_25lookback_scan_determinismE0ES3_S9_PlNS6_17constant_iteratorIiNS6_11use_defaultESE_EENS6_10device_ptrIlEESH_PmS8_NS6_8equal_toIlEEEE10hipError_tPvRmT2_T3_mT4_T5_T6_T7_T8_P12ihipStream_tbENKUlT_T0_E_clISt17integral_constantIbLb0EES11_IbLb1EEEEDaSX_SY_EUlSX_E_NS1_11comp_targetILNS1_3genE9ELNS1_11target_archE1100ELNS1_3gpuE3ELNS1_3repE0EEENS1_30default_config_static_selectorELNS0_4arch9wavefront6targetE1EEEvT1_.num_vgpr, 0
	.set _ZN7rocprim17ROCPRIM_400000_NS6detail17trampoline_kernelINS0_14default_configENS1_29reduce_by_key_config_selectorIllN6thrust23THRUST_200600_302600_NS4plusIlEEEEZZNS1_33reduce_by_key_impl_wrapped_configILNS1_25lookback_scan_determinismE0ES3_S9_PlNS6_17constant_iteratorIiNS6_11use_defaultESE_EENS6_10device_ptrIlEESH_PmS8_NS6_8equal_toIlEEEE10hipError_tPvRmT2_T3_mT4_T5_T6_T7_T8_P12ihipStream_tbENKUlT_T0_E_clISt17integral_constantIbLb0EES11_IbLb1EEEEDaSX_SY_EUlSX_E_NS1_11comp_targetILNS1_3genE9ELNS1_11target_archE1100ELNS1_3gpuE3ELNS1_3repE0EEENS1_30default_config_static_selectorELNS0_4arch9wavefront6targetE1EEEvT1_.num_agpr, 0
	.set _ZN7rocprim17ROCPRIM_400000_NS6detail17trampoline_kernelINS0_14default_configENS1_29reduce_by_key_config_selectorIllN6thrust23THRUST_200600_302600_NS4plusIlEEEEZZNS1_33reduce_by_key_impl_wrapped_configILNS1_25lookback_scan_determinismE0ES3_S9_PlNS6_17constant_iteratorIiNS6_11use_defaultESE_EENS6_10device_ptrIlEESH_PmS8_NS6_8equal_toIlEEEE10hipError_tPvRmT2_T3_mT4_T5_T6_T7_T8_P12ihipStream_tbENKUlT_T0_E_clISt17integral_constantIbLb0EES11_IbLb1EEEEDaSX_SY_EUlSX_E_NS1_11comp_targetILNS1_3genE9ELNS1_11target_archE1100ELNS1_3gpuE3ELNS1_3repE0EEENS1_30default_config_static_selectorELNS0_4arch9wavefront6targetE1EEEvT1_.numbered_sgpr, 0
	.set _ZN7rocprim17ROCPRIM_400000_NS6detail17trampoline_kernelINS0_14default_configENS1_29reduce_by_key_config_selectorIllN6thrust23THRUST_200600_302600_NS4plusIlEEEEZZNS1_33reduce_by_key_impl_wrapped_configILNS1_25lookback_scan_determinismE0ES3_S9_PlNS6_17constant_iteratorIiNS6_11use_defaultESE_EENS6_10device_ptrIlEESH_PmS8_NS6_8equal_toIlEEEE10hipError_tPvRmT2_T3_mT4_T5_T6_T7_T8_P12ihipStream_tbENKUlT_T0_E_clISt17integral_constantIbLb0EES11_IbLb1EEEEDaSX_SY_EUlSX_E_NS1_11comp_targetILNS1_3genE9ELNS1_11target_archE1100ELNS1_3gpuE3ELNS1_3repE0EEENS1_30default_config_static_selectorELNS0_4arch9wavefront6targetE1EEEvT1_.num_named_barrier, 0
	.set _ZN7rocprim17ROCPRIM_400000_NS6detail17trampoline_kernelINS0_14default_configENS1_29reduce_by_key_config_selectorIllN6thrust23THRUST_200600_302600_NS4plusIlEEEEZZNS1_33reduce_by_key_impl_wrapped_configILNS1_25lookback_scan_determinismE0ES3_S9_PlNS6_17constant_iteratorIiNS6_11use_defaultESE_EENS6_10device_ptrIlEESH_PmS8_NS6_8equal_toIlEEEE10hipError_tPvRmT2_T3_mT4_T5_T6_T7_T8_P12ihipStream_tbENKUlT_T0_E_clISt17integral_constantIbLb0EES11_IbLb1EEEEDaSX_SY_EUlSX_E_NS1_11comp_targetILNS1_3genE9ELNS1_11target_archE1100ELNS1_3gpuE3ELNS1_3repE0EEENS1_30default_config_static_selectorELNS0_4arch9wavefront6targetE1EEEvT1_.private_seg_size, 0
	.set _ZN7rocprim17ROCPRIM_400000_NS6detail17trampoline_kernelINS0_14default_configENS1_29reduce_by_key_config_selectorIllN6thrust23THRUST_200600_302600_NS4plusIlEEEEZZNS1_33reduce_by_key_impl_wrapped_configILNS1_25lookback_scan_determinismE0ES3_S9_PlNS6_17constant_iteratorIiNS6_11use_defaultESE_EENS6_10device_ptrIlEESH_PmS8_NS6_8equal_toIlEEEE10hipError_tPvRmT2_T3_mT4_T5_T6_T7_T8_P12ihipStream_tbENKUlT_T0_E_clISt17integral_constantIbLb0EES11_IbLb1EEEEDaSX_SY_EUlSX_E_NS1_11comp_targetILNS1_3genE9ELNS1_11target_archE1100ELNS1_3gpuE3ELNS1_3repE0EEENS1_30default_config_static_selectorELNS0_4arch9wavefront6targetE1EEEvT1_.uses_vcc, 0
	.set _ZN7rocprim17ROCPRIM_400000_NS6detail17trampoline_kernelINS0_14default_configENS1_29reduce_by_key_config_selectorIllN6thrust23THRUST_200600_302600_NS4plusIlEEEEZZNS1_33reduce_by_key_impl_wrapped_configILNS1_25lookback_scan_determinismE0ES3_S9_PlNS6_17constant_iteratorIiNS6_11use_defaultESE_EENS6_10device_ptrIlEESH_PmS8_NS6_8equal_toIlEEEE10hipError_tPvRmT2_T3_mT4_T5_T6_T7_T8_P12ihipStream_tbENKUlT_T0_E_clISt17integral_constantIbLb0EES11_IbLb1EEEEDaSX_SY_EUlSX_E_NS1_11comp_targetILNS1_3genE9ELNS1_11target_archE1100ELNS1_3gpuE3ELNS1_3repE0EEENS1_30default_config_static_selectorELNS0_4arch9wavefront6targetE1EEEvT1_.uses_flat_scratch, 0
	.set _ZN7rocprim17ROCPRIM_400000_NS6detail17trampoline_kernelINS0_14default_configENS1_29reduce_by_key_config_selectorIllN6thrust23THRUST_200600_302600_NS4plusIlEEEEZZNS1_33reduce_by_key_impl_wrapped_configILNS1_25lookback_scan_determinismE0ES3_S9_PlNS6_17constant_iteratorIiNS6_11use_defaultESE_EENS6_10device_ptrIlEESH_PmS8_NS6_8equal_toIlEEEE10hipError_tPvRmT2_T3_mT4_T5_T6_T7_T8_P12ihipStream_tbENKUlT_T0_E_clISt17integral_constantIbLb0EES11_IbLb1EEEEDaSX_SY_EUlSX_E_NS1_11comp_targetILNS1_3genE9ELNS1_11target_archE1100ELNS1_3gpuE3ELNS1_3repE0EEENS1_30default_config_static_selectorELNS0_4arch9wavefront6targetE1EEEvT1_.has_dyn_sized_stack, 0
	.set _ZN7rocprim17ROCPRIM_400000_NS6detail17trampoline_kernelINS0_14default_configENS1_29reduce_by_key_config_selectorIllN6thrust23THRUST_200600_302600_NS4plusIlEEEEZZNS1_33reduce_by_key_impl_wrapped_configILNS1_25lookback_scan_determinismE0ES3_S9_PlNS6_17constant_iteratorIiNS6_11use_defaultESE_EENS6_10device_ptrIlEESH_PmS8_NS6_8equal_toIlEEEE10hipError_tPvRmT2_T3_mT4_T5_T6_T7_T8_P12ihipStream_tbENKUlT_T0_E_clISt17integral_constantIbLb0EES11_IbLb1EEEEDaSX_SY_EUlSX_E_NS1_11comp_targetILNS1_3genE9ELNS1_11target_archE1100ELNS1_3gpuE3ELNS1_3repE0EEENS1_30default_config_static_selectorELNS0_4arch9wavefront6targetE1EEEvT1_.has_recursion, 0
	.set _ZN7rocprim17ROCPRIM_400000_NS6detail17trampoline_kernelINS0_14default_configENS1_29reduce_by_key_config_selectorIllN6thrust23THRUST_200600_302600_NS4plusIlEEEEZZNS1_33reduce_by_key_impl_wrapped_configILNS1_25lookback_scan_determinismE0ES3_S9_PlNS6_17constant_iteratorIiNS6_11use_defaultESE_EENS6_10device_ptrIlEESH_PmS8_NS6_8equal_toIlEEEE10hipError_tPvRmT2_T3_mT4_T5_T6_T7_T8_P12ihipStream_tbENKUlT_T0_E_clISt17integral_constantIbLb0EES11_IbLb1EEEEDaSX_SY_EUlSX_E_NS1_11comp_targetILNS1_3genE9ELNS1_11target_archE1100ELNS1_3gpuE3ELNS1_3repE0EEENS1_30default_config_static_selectorELNS0_4arch9wavefront6targetE1EEEvT1_.has_indirect_call, 0
	.section	.AMDGPU.csdata,"",@progbits
; Kernel info:
; codeLenInByte = 0
; TotalNumSgprs: 4
; NumVgprs: 0
; ScratchSize: 0
; MemoryBound: 0
; FloatMode: 240
; IeeeMode: 1
; LDSByteSize: 0 bytes/workgroup (compile time only)
; SGPRBlocks: 0
; VGPRBlocks: 0
; NumSGPRsForWavesPerEU: 4
; NumVGPRsForWavesPerEU: 1
; Occupancy: 10
; WaveLimiterHint : 0
; COMPUTE_PGM_RSRC2:SCRATCH_EN: 0
; COMPUTE_PGM_RSRC2:USER_SGPR: 6
; COMPUTE_PGM_RSRC2:TRAP_HANDLER: 0
; COMPUTE_PGM_RSRC2:TGID_X_EN: 1
; COMPUTE_PGM_RSRC2:TGID_Y_EN: 0
; COMPUTE_PGM_RSRC2:TGID_Z_EN: 0
; COMPUTE_PGM_RSRC2:TIDIG_COMP_CNT: 0
	.section	.text._ZN7rocprim17ROCPRIM_400000_NS6detail17trampoline_kernelINS0_14default_configENS1_29reduce_by_key_config_selectorIllN6thrust23THRUST_200600_302600_NS4plusIlEEEEZZNS1_33reduce_by_key_impl_wrapped_configILNS1_25lookback_scan_determinismE0ES3_S9_PlNS6_17constant_iteratorIiNS6_11use_defaultESE_EENS6_10device_ptrIlEESH_PmS8_NS6_8equal_toIlEEEE10hipError_tPvRmT2_T3_mT4_T5_T6_T7_T8_P12ihipStream_tbENKUlT_T0_E_clISt17integral_constantIbLb0EES11_IbLb1EEEEDaSX_SY_EUlSX_E_NS1_11comp_targetILNS1_3genE8ELNS1_11target_archE1030ELNS1_3gpuE2ELNS1_3repE0EEENS1_30default_config_static_selectorELNS0_4arch9wavefront6targetE1EEEvT1_,"axG",@progbits,_ZN7rocprim17ROCPRIM_400000_NS6detail17trampoline_kernelINS0_14default_configENS1_29reduce_by_key_config_selectorIllN6thrust23THRUST_200600_302600_NS4plusIlEEEEZZNS1_33reduce_by_key_impl_wrapped_configILNS1_25lookback_scan_determinismE0ES3_S9_PlNS6_17constant_iteratorIiNS6_11use_defaultESE_EENS6_10device_ptrIlEESH_PmS8_NS6_8equal_toIlEEEE10hipError_tPvRmT2_T3_mT4_T5_T6_T7_T8_P12ihipStream_tbENKUlT_T0_E_clISt17integral_constantIbLb0EES11_IbLb1EEEEDaSX_SY_EUlSX_E_NS1_11comp_targetILNS1_3genE8ELNS1_11target_archE1030ELNS1_3gpuE2ELNS1_3repE0EEENS1_30default_config_static_selectorELNS0_4arch9wavefront6targetE1EEEvT1_,comdat
	.protected	_ZN7rocprim17ROCPRIM_400000_NS6detail17trampoline_kernelINS0_14default_configENS1_29reduce_by_key_config_selectorIllN6thrust23THRUST_200600_302600_NS4plusIlEEEEZZNS1_33reduce_by_key_impl_wrapped_configILNS1_25lookback_scan_determinismE0ES3_S9_PlNS6_17constant_iteratorIiNS6_11use_defaultESE_EENS6_10device_ptrIlEESH_PmS8_NS6_8equal_toIlEEEE10hipError_tPvRmT2_T3_mT4_T5_T6_T7_T8_P12ihipStream_tbENKUlT_T0_E_clISt17integral_constantIbLb0EES11_IbLb1EEEEDaSX_SY_EUlSX_E_NS1_11comp_targetILNS1_3genE8ELNS1_11target_archE1030ELNS1_3gpuE2ELNS1_3repE0EEENS1_30default_config_static_selectorELNS0_4arch9wavefront6targetE1EEEvT1_ ; -- Begin function _ZN7rocprim17ROCPRIM_400000_NS6detail17trampoline_kernelINS0_14default_configENS1_29reduce_by_key_config_selectorIllN6thrust23THRUST_200600_302600_NS4plusIlEEEEZZNS1_33reduce_by_key_impl_wrapped_configILNS1_25lookback_scan_determinismE0ES3_S9_PlNS6_17constant_iteratorIiNS6_11use_defaultESE_EENS6_10device_ptrIlEESH_PmS8_NS6_8equal_toIlEEEE10hipError_tPvRmT2_T3_mT4_T5_T6_T7_T8_P12ihipStream_tbENKUlT_T0_E_clISt17integral_constantIbLb0EES11_IbLb1EEEEDaSX_SY_EUlSX_E_NS1_11comp_targetILNS1_3genE8ELNS1_11target_archE1030ELNS1_3gpuE2ELNS1_3repE0EEENS1_30default_config_static_selectorELNS0_4arch9wavefront6targetE1EEEvT1_
	.globl	_ZN7rocprim17ROCPRIM_400000_NS6detail17trampoline_kernelINS0_14default_configENS1_29reduce_by_key_config_selectorIllN6thrust23THRUST_200600_302600_NS4plusIlEEEEZZNS1_33reduce_by_key_impl_wrapped_configILNS1_25lookback_scan_determinismE0ES3_S9_PlNS6_17constant_iteratorIiNS6_11use_defaultESE_EENS6_10device_ptrIlEESH_PmS8_NS6_8equal_toIlEEEE10hipError_tPvRmT2_T3_mT4_T5_T6_T7_T8_P12ihipStream_tbENKUlT_T0_E_clISt17integral_constantIbLb0EES11_IbLb1EEEEDaSX_SY_EUlSX_E_NS1_11comp_targetILNS1_3genE8ELNS1_11target_archE1030ELNS1_3gpuE2ELNS1_3repE0EEENS1_30default_config_static_selectorELNS0_4arch9wavefront6targetE1EEEvT1_
	.p2align	8
	.type	_ZN7rocprim17ROCPRIM_400000_NS6detail17trampoline_kernelINS0_14default_configENS1_29reduce_by_key_config_selectorIllN6thrust23THRUST_200600_302600_NS4plusIlEEEEZZNS1_33reduce_by_key_impl_wrapped_configILNS1_25lookback_scan_determinismE0ES3_S9_PlNS6_17constant_iteratorIiNS6_11use_defaultESE_EENS6_10device_ptrIlEESH_PmS8_NS6_8equal_toIlEEEE10hipError_tPvRmT2_T3_mT4_T5_T6_T7_T8_P12ihipStream_tbENKUlT_T0_E_clISt17integral_constantIbLb0EES11_IbLb1EEEEDaSX_SY_EUlSX_E_NS1_11comp_targetILNS1_3genE8ELNS1_11target_archE1030ELNS1_3gpuE2ELNS1_3repE0EEENS1_30default_config_static_selectorELNS0_4arch9wavefront6targetE1EEEvT1_,@function
_ZN7rocprim17ROCPRIM_400000_NS6detail17trampoline_kernelINS0_14default_configENS1_29reduce_by_key_config_selectorIllN6thrust23THRUST_200600_302600_NS4plusIlEEEEZZNS1_33reduce_by_key_impl_wrapped_configILNS1_25lookback_scan_determinismE0ES3_S9_PlNS6_17constant_iteratorIiNS6_11use_defaultESE_EENS6_10device_ptrIlEESH_PmS8_NS6_8equal_toIlEEEE10hipError_tPvRmT2_T3_mT4_T5_T6_T7_T8_P12ihipStream_tbENKUlT_T0_E_clISt17integral_constantIbLb0EES11_IbLb1EEEEDaSX_SY_EUlSX_E_NS1_11comp_targetILNS1_3genE8ELNS1_11target_archE1030ELNS1_3gpuE2ELNS1_3repE0EEENS1_30default_config_static_selectorELNS0_4arch9wavefront6targetE1EEEvT1_: ; @_ZN7rocprim17ROCPRIM_400000_NS6detail17trampoline_kernelINS0_14default_configENS1_29reduce_by_key_config_selectorIllN6thrust23THRUST_200600_302600_NS4plusIlEEEEZZNS1_33reduce_by_key_impl_wrapped_configILNS1_25lookback_scan_determinismE0ES3_S9_PlNS6_17constant_iteratorIiNS6_11use_defaultESE_EENS6_10device_ptrIlEESH_PmS8_NS6_8equal_toIlEEEE10hipError_tPvRmT2_T3_mT4_T5_T6_T7_T8_P12ihipStream_tbENKUlT_T0_E_clISt17integral_constantIbLb0EES11_IbLb1EEEEDaSX_SY_EUlSX_E_NS1_11comp_targetILNS1_3genE8ELNS1_11target_archE1030ELNS1_3gpuE2ELNS1_3repE0EEENS1_30default_config_static_selectorELNS0_4arch9wavefront6targetE1EEEvT1_
; %bb.0:
	.section	.rodata,"a",@progbits
	.p2align	6, 0x0
	.amdhsa_kernel _ZN7rocprim17ROCPRIM_400000_NS6detail17trampoline_kernelINS0_14default_configENS1_29reduce_by_key_config_selectorIllN6thrust23THRUST_200600_302600_NS4plusIlEEEEZZNS1_33reduce_by_key_impl_wrapped_configILNS1_25lookback_scan_determinismE0ES3_S9_PlNS6_17constant_iteratorIiNS6_11use_defaultESE_EENS6_10device_ptrIlEESH_PmS8_NS6_8equal_toIlEEEE10hipError_tPvRmT2_T3_mT4_T5_T6_T7_T8_P12ihipStream_tbENKUlT_T0_E_clISt17integral_constantIbLb0EES11_IbLb1EEEEDaSX_SY_EUlSX_E_NS1_11comp_targetILNS1_3genE8ELNS1_11target_archE1030ELNS1_3gpuE2ELNS1_3repE0EEENS1_30default_config_static_selectorELNS0_4arch9wavefront6targetE1EEEvT1_
		.amdhsa_group_segment_fixed_size 0
		.amdhsa_private_segment_fixed_size 0
		.amdhsa_kernarg_size 144
		.amdhsa_user_sgpr_count 6
		.amdhsa_user_sgpr_private_segment_buffer 1
		.amdhsa_user_sgpr_dispatch_ptr 0
		.amdhsa_user_sgpr_queue_ptr 0
		.amdhsa_user_sgpr_kernarg_segment_ptr 1
		.amdhsa_user_sgpr_dispatch_id 0
		.amdhsa_user_sgpr_flat_scratch_init 0
		.amdhsa_user_sgpr_private_segment_size 0
		.amdhsa_uses_dynamic_stack 0
		.amdhsa_system_sgpr_private_segment_wavefront_offset 0
		.amdhsa_system_sgpr_workgroup_id_x 1
		.amdhsa_system_sgpr_workgroup_id_y 0
		.amdhsa_system_sgpr_workgroup_id_z 0
		.amdhsa_system_sgpr_workgroup_info 0
		.amdhsa_system_vgpr_workitem_id 0
		.amdhsa_next_free_vgpr 1
		.amdhsa_next_free_sgpr 0
		.amdhsa_reserve_vcc 0
		.amdhsa_reserve_flat_scratch 0
		.amdhsa_float_round_mode_32 0
		.amdhsa_float_round_mode_16_64 0
		.amdhsa_float_denorm_mode_32 3
		.amdhsa_float_denorm_mode_16_64 3
		.amdhsa_dx10_clamp 1
		.amdhsa_ieee_mode 1
		.amdhsa_fp16_overflow 0
		.amdhsa_exception_fp_ieee_invalid_op 0
		.amdhsa_exception_fp_denorm_src 0
		.amdhsa_exception_fp_ieee_div_zero 0
		.amdhsa_exception_fp_ieee_overflow 0
		.amdhsa_exception_fp_ieee_underflow 0
		.amdhsa_exception_fp_ieee_inexact 0
		.amdhsa_exception_int_div_zero 0
	.end_amdhsa_kernel
	.section	.text._ZN7rocprim17ROCPRIM_400000_NS6detail17trampoline_kernelINS0_14default_configENS1_29reduce_by_key_config_selectorIllN6thrust23THRUST_200600_302600_NS4plusIlEEEEZZNS1_33reduce_by_key_impl_wrapped_configILNS1_25lookback_scan_determinismE0ES3_S9_PlNS6_17constant_iteratorIiNS6_11use_defaultESE_EENS6_10device_ptrIlEESH_PmS8_NS6_8equal_toIlEEEE10hipError_tPvRmT2_T3_mT4_T5_T6_T7_T8_P12ihipStream_tbENKUlT_T0_E_clISt17integral_constantIbLb0EES11_IbLb1EEEEDaSX_SY_EUlSX_E_NS1_11comp_targetILNS1_3genE8ELNS1_11target_archE1030ELNS1_3gpuE2ELNS1_3repE0EEENS1_30default_config_static_selectorELNS0_4arch9wavefront6targetE1EEEvT1_,"axG",@progbits,_ZN7rocprim17ROCPRIM_400000_NS6detail17trampoline_kernelINS0_14default_configENS1_29reduce_by_key_config_selectorIllN6thrust23THRUST_200600_302600_NS4plusIlEEEEZZNS1_33reduce_by_key_impl_wrapped_configILNS1_25lookback_scan_determinismE0ES3_S9_PlNS6_17constant_iteratorIiNS6_11use_defaultESE_EENS6_10device_ptrIlEESH_PmS8_NS6_8equal_toIlEEEE10hipError_tPvRmT2_T3_mT4_T5_T6_T7_T8_P12ihipStream_tbENKUlT_T0_E_clISt17integral_constantIbLb0EES11_IbLb1EEEEDaSX_SY_EUlSX_E_NS1_11comp_targetILNS1_3genE8ELNS1_11target_archE1030ELNS1_3gpuE2ELNS1_3repE0EEENS1_30default_config_static_selectorELNS0_4arch9wavefront6targetE1EEEvT1_,comdat
.Lfunc_end1239:
	.size	_ZN7rocprim17ROCPRIM_400000_NS6detail17trampoline_kernelINS0_14default_configENS1_29reduce_by_key_config_selectorIllN6thrust23THRUST_200600_302600_NS4plusIlEEEEZZNS1_33reduce_by_key_impl_wrapped_configILNS1_25lookback_scan_determinismE0ES3_S9_PlNS6_17constant_iteratorIiNS6_11use_defaultESE_EENS6_10device_ptrIlEESH_PmS8_NS6_8equal_toIlEEEE10hipError_tPvRmT2_T3_mT4_T5_T6_T7_T8_P12ihipStream_tbENKUlT_T0_E_clISt17integral_constantIbLb0EES11_IbLb1EEEEDaSX_SY_EUlSX_E_NS1_11comp_targetILNS1_3genE8ELNS1_11target_archE1030ELNS1_3gpuE2ELNS1_3repE0EEENS1_30default_config_static_selectorELNS0_4arch9wavefront6targetE1EEEvT1_, .Lfunc_end1239-_ZN7rocprim17ROCPRIM_400000_NS6detail17trampoline_kernelINS0_14default_configENS1_29reduce_by_key_config_selectorIllN6thrust23THRUST_200600_302600_NS4plusIlEEEEZZNS1_33reduce_by_key_impl_wrapped_configILNS1_25lookback_scan_determinismE0ES3_S9_PlNS6_17constant_iteratorIiNS6_11use_defaultESE_EENS6_10device_ptrIlEESH_PmS8_NS6_8equal_toIlEEEE10hipError_tPvRmT2_T3_mT4_T5_T6_T7_T8_P12ihipStream_tbENKUlT_T0_E_clISt17integral_constantIbLb0EES11_IbLb1EEEEDaSX_SY_EUlSX_E_NS1_11comp_targetILNS1_3genE8ELNS1_11target_archE1030ELNS1_3gpuE2ELNS1_3repE0EEENS1_30default_config_static_selectorELNS0_4arch9wavefront6targetE1EEEvT1_
                                        ; -- End function
	.set _ZN7rocprim17ROCPRIM_400000_NS6detail17trampoline_kernelINS0_14default_configENS1_29reduce_by_key_config_selectorIllN6thrust23THRUST_200600_302600_NS4plusIlEEEEZZNS1_33reduce_by_key_impl_wrapped_configILNS1_25lookback_scan_determinismE0ES3_S9_PlNS6_17constant_iteratorIiNS6_11use_defaultESE_EENS6_10device_ptrIlEESH_PmS8_NS6_8equal_toIlEEEE10hipError_tPvRmT2_T3_mT4_T5_T6_T7_T8_P12ihipStream_tbENKUlT_T0_E_clISt17integral_constantIbLb0EES11_IbLb1EEEEDaSX_SY_EUlSX_E_NS1_11comp_targetILNS1_3genE8ELNS1_11target_archE1030ELNS1_3gpuE2ELNS1_3repE0EEENS1_30default_config_static_selectorELNS0_4arch9wavefront6targetE1EEEvT1_.num_vgpr, 0
	.set _ZN7rocprim17ROCPRIM_400000_NS6detail17trampoline_kernelINS0_14default_configENS1_29reduce_by_key_config_selectorIllN6thrust23THRUST_200600_302600_NS4plusIlEEEEZZNS1_33reduce_by_key_impl_wrapped_configILNS1_25lookback_scan_determinismE0ES3_S9_PlNS6_17constant_iteratorIiNS6_11use_defaultESE_EENS6_10device_ptrIlEESH_PmS8_NS6_8equal_toIlEEEE10hipError_tPvRmT2_T3_mT4_T5_T6_T7_T8_P12ihipStream_tbENKUlT_T0_E_clISt17integral_constantIbLb0EES11_IbLb1EEEEDaSX_SY_EUlSX_E_NS1_11comp_targetILNS1_3genE8ELNS1_11target_archE1030ELNS1_3gpuE2ELNS1_3repE0EEENS1_30default_config_static_selectorELNS0_4arch9wavefront6targetE1EEEvT1_.num_agpr, 0
	.set _ZN7rocprim17ROCPRIM_400000_NS6detail17trampoline_kernelINS0_14default_configENS1_29reduce_by_key_config_selectorIllN6thrust23THRUST_200600_302600_NS4plusIlEEEEZZNS1_33reduce_by_key_impl_wrapped_configILNS1_25lookback_scan_determinismE0ES3_S9_PlNS6_17constant_iteratorIiNS6_11use_defaultESE_EENS6_10device_ptrIlEESH_PmS8_NS6_8equal_toIlEEEE10hipError_tPvRmT2_T3_mT4_T5_T6_T7_T8_P12ihipStream_tbENKUlT_T0_E_clISt17integral_constantIbLb0EES11_IbLb1EEEEDaSX_SY_EUlSX_E_NS1_11comp_targetILNS1_3genE8ELNS1_11target_archE1030ELNS1_3gpuE2ELNS1_3repE0EEENS1_30default_config_static_selectorELNS0_4arch9wavefront6targetE1EEEvT1_.numbered_sgpr, 0
	.set _ZN7rocprim17ROCPRIM_400000_NS6detail17trampoline_kernelINS0_14default_configENS1_29reduce_by_key_config_selectorIllN6thrust23THRUST_200600_302600_NS4plusIlEEEEZZNS1_33reduce_by_key_impl_wrapped_configILNS1_25lookback_scan_determinismE0ES3_S9_PlNS6_17constant_iteratorIiNS6_11use_defaultESE_EENS6_10device_ptrIlEESH_PmS8_NS6_8equal_toIlEEEE10hipError_tPvRmT2_T3_mT4_T5_T6_T7_T8_P12ihipStream_tbENKUlT_T0_E_clISt17integral_constantIbLb0EES11_IbLb1EEEEDaSX_SY_EUlSX_E_NS1_11comp_targetILNS1_3genE8ELNS1_11target_archE1030ELNS1_3gpuE2ELNS1_3repE0EEENS1_30default_config_static_selectorELNS0_4arch9wavefront6targetE1EEEvT1_.num_named_barrier, 0
	.set _ZN7rocprim17ROCPRIM_400000_NS6detail17trampoline_kernelINS0_14default_configENS1_29reduce_by_key_config_selectorIllN6thrust23THRUST_200600_302600_NS4plusIlEEEEZZNS1_33reduce_by_key_impl_wrapped_configILNS1_25lookback_scan_determinismE0ES3_S9_PlNS6_17constant_iteratorIiNS6_11use_defaultESE_EENS6_10device_ptrIlEESH_PmS8_NS6_8equal_toIlEEEE10hipError_tPvRmT2_T3_mT4_T5_T6_T7_T8_P12ihipStream_tbENKUlT_T0_E_clISt17integral_constantIbLb0EES11_IbLb1EEEEDaSX_SY_EUlSX_E_NS1_11comp_targetILNS1_3genE8ELNS1_11target_archE1030ELNS1_3gpuE2ELNS1_3repE0EEENS1_30default_config_static_selectorELNS0_4arch9wavefront6targetE1EEEvT1_.private_seg_size, 0
	.set _ZN7rocprim17ROCPRIM_400000_NS6detail17trampoline_kernelINS0_14default_configENS1_29reduce_by_key_config_selectorIllN6thrust23THRUST_200600_302600_NS4plusIlEEEEZZNS1_33reduce_by_key_impl_wrapped_configILNS1_25lookback_scan_determinismE0ES3_S9_PlNS6_17constant_iteratorIiNS6_11use_defaultESE_EENS6_10device_ptrIlEESH_PmS8_NS6_8equal_toIlEEEE10hipError_tPvRmT2_T3_mT4_T5_T6_T7_T8_P12ihipStream_tbENKUlT_T0_E_clISt17integral_constantIbLb0EES11_IbLb1EEEEDaSX_SY_EUlSX_E_NS1_11comp_targetILNS1_3genE8ELNS1_11target_archE1030ELNS1_3gpuE2ELNS1_3repE0EEENS1_30default_config_static_selectorELNS0_4arch9wavefront6targetE1EEEvT1_.uses_vcc, 0
	.set _ZN7rocprim17ROCPRIM_400000_NS6detail17trampoline_kernelINS0_14default_configENS1_29reduce_by_key_config_selectorIllN6thrust23THRUST_200600_302600_NS4plusIlEEEEZZNS1_33reduce_by_key_impl_wrapped_configILNS1_25lookback_scan_determinismE0ES3_S9_PlNS6_17constant_iteratorIiNS6_11use_defaultESE_EENS6_10device_ptrIlEESH_PmS8_NS6_8equal_toIlEEEE10hipError_tPvRmT2_T3_mT4_T5_T6_T7_T8_P12ihipStream_tbENKUlT_T0_E_clISt17integral_constantIbLb0EES11_IbLb1EEEEDaSX_SY_EUlSX_E_NS1_11comp_targetILNS1_3genE8ELNS1_11target_archE1030ELNS1_3gpuE2ELNS1_3repE0EEENS1_30default_config_static_selectorELNS0_4arch9wavefront6targetE1EEEvT1_.uses_flat_scratch, 0
	.set _ZN7rocprim17ROCPRIM_400000_NS6detail17trampoline_kernelINS0_14default_configENS1_29reduce_by_key_config_selectorIllN6thrust23THRUST_200600_302600_NS4plusIlEEEEZZNS1_33reduce_by_key_impl_wrapped_configILNS1_25lookback_scan_determinismE0ES3_S9_PlNS6_17constant_iteratorIiNS6_11use_defaultESE_EENS6_10device_ptrIlEESH_PmS8_NS6_8equal_toIlEEEE10hipError_tPvRmT2_T3_mT4_T5_T6_T7_T8_P12ihipStream_tbENKUlT_T0_E_clISt17integral_constantIbLb0EES11_IbLb1EEEEDaSX_SY_EUlSX_E_NS1_11comp_targetILNS1_3genE8ELNS1_11target_archE1030ELNS1_3gpuE2ELNS1_3repE0EEENS1_30default_config_static_selectorELNS0_4arch9wavefront6targetE1EEEvT1_.has_dyn_sized_stack, 0
	.set _ZN7rocprim17ROCPRIM_400000_NS6detail17trampoline_kernelINS0_14default_configENS1_29reduce_by_key_config_selectorIllN6thrust23THRUST_200600_302600_NS4plusIlEEEEZZNS1_33reduce_by_key_impl_wrapped_configILNS1_25lookback_scan_determinismE0ES3_S9_PlNS6_17constant_iteratorIiNS6_11use_defaultESE_EENS6_10device_ptrIlEESH_PmS8_NS6_8equal_toIlEEEE10hipError_tPvRmT2_T3_mT4_T5_T6_T7_T8_P12ihipStream_tbENKUlT_T0_E_clISt17integral_constantIbLb0EES11_IbLb1EEEEDaSX_SY_EUlSX_E_NS1_11comp_targetILNS1_3genE8ELNS1_11target_archE1030ELNS1_3gpuE2ELNS1_3repE0EEENS1_30default_config_static_selectorELNS0_4arch9wavefront6targetE1EEEvT1_.has_recursion, 0
	.set _ZN7rocprim17ROCPRIM_400000_NS6detail17trampoline_kernelINS0_14default_configENS1_29reduce_by_key_config_selectorIllN6thrust23THRUST_200600_302600_NS4plusIlEEEEZZNS1_33reduce_by_key_impl_wrapped_configILNS1_25lookback_scan_determinismE0ES3_S9_PlNS6_17constant_iteratorIiNS6_11use_defaultESE_EENS6_10device_ptrIlEESH_PmS8_NS6_8equal_toIlEEEE10hipError_tPvRmT2_T3_mT4_T5_T6_T7_T8_P12ihipStream_tbENKUlT_T0_E_clISt17integral_constantIbLb0EES11_IbLb1EEEEDaSX_SY_EUlSX_E_NS1_11comp_targetILNS1_3genE8ELNS1_11target_archE1030ELNS1_3gpuE2ELNS1_3repE0EEENS1_30default_config_static_selectorELNS0_4arch9wavefront6targetE1EEEvT1_.has_indirect_call, 0
	.section	.AMDGPU.csdata,"",@progbits
; Kernel info:
; codeLenInByte = 0
; TotalNumSgprs: 4
; NumVgprs: 0
; ScratchSize: 0
; MemoryBound: 0
; FloatMode: 240
; IeeeMode: 1
; LDSByteSize: 0 bytes/workgroup (compile time only)
; SGPRBlocks: 0
; VGPRBlocks: 0
; NumSGPRsForWavesPerEU: 4
; NumVGPRsForWavesPerEU: 1
; Occupancy: 10
; WaveLimiterHint : 0
; COMPUTE_PGM_RSRC2:SCRATCH_EN: 0
; COMPUTE_PGM_RSRC2:USER_SGPR: 6
; COMPUTE_PGM_RSRC2:TRAP_HANDLER: 0
; COMPUTE_PGM_RSRC2:TGID_X_EN: 1
; COMPUTE_PGM_RSRC2:TGID_Y_EN: 0
; COMPUTE_PGM_RSRC2:TGID_Z_EN: 0
; COMPUTE_PGM_RSRC2:TIDIG_COMP_CNT: 0
	.section	.text._ZN7rocprim17ROCPRIM_400000_NS6detail17trampoline_kernelINS0_14default_configENS1_22reduce_config_selectorIN6thrust23THRUST_200600_302600_NS5tupleIblNS6_9null_typeES8_S8_S8_S8_S8_S8_S8_EEEEZNS1_11reduce_implILb1ES3_NS6_12zip_iteratorINS7_INS6_11hip_rocprim26transform_input_iterator_tIbPlNS6_6detail10functional5actorINSH_9compositeIJNSH_27transparent_binary_operatorINS6_8equal_toIvEEEENSI_INSH_8argumentILj0EEEEENSH_5valueIlEEEEEEEEENSD_19counting_iterator_tIlEES8_S8_S8_S8_S8_S8_S8_S8_EEEEPS9_S9_NSD_9__find_if7functorIS9_EEEE10hipError_tPvRmT1_T2_T3_mT4_P12ihipStream_tbEUlT_E0_NS1_11comp_targetILNS1_3genE0ELNS1_11target_archE4294967295ELNS1_3gpuE0ELNS1_3repE0EEENS1_30default_config_static_selectorELNS0_4arch9wavefront6targetE1EEEvS17_,"axG",@progbits,_ZN7rocprim17ROCPRIM_400000_NS6detail17trampoline_kernelINS0_14default_configENS1_22reduce_config_selectorIN6thrust23THRUST_200600_302600_NS5tupleIblNS6_9null_typeES8_S8_S8_S8_S8_S8_S8_EEEEZNS1_11reduce_implILb1ES3_NS6_12zip_iteratorINS7_INS6_11hip_rocprim26transform_input_iterator_tIbPlNS6_6detail10functional5actorINSH_9compositeIJNSH_27transparent_binary_operatorINS6_8equal_toIvEEEENSI_INSH_8argumentILj0EEEEENSH_5valueIlEEEEEEEEENSD_19counting_iterator_tIlEES8_S8_S8_S8_S8_S8_S8_S8_EEEEPS9_S9_NSD_9__find_if7functorIS9_EEEE10hipError_tPvRmT1_T2_T3_mT4_P12ihipStream_tbEUlT_E0_NS1_11comp_targetILNS1_3genE0ELNS1_11target_archE4294967295ELNS1_3gpuE0ELNS1_3repE0EEENS1_30default_config_static_selectorELNS0_4arch9wavefront6targetE1EEEvS17_,comdat
	.protected	_ZN7rocprim17ROCPRIM_400000_NS6detail17trampoline_kernelINS0_14default_configENS1_22reduce_config_selectorIN6thrust23THRUST_200600_302600_NS5tupleIblNS6_9null_typeES8_S8_S8_S8_S8_S8_S8_EEEEZNS1_11reduce_implILb1ES3_NS6_12zip_iteratorINS7_INS6_11hip_rocprim26transform_input_iterator_tIbPlNS6_6detail10functional5actorINSH_9compositeIJNSH_27transparent_binary_operatorINS6_8equal_toIvEEEENSI_INSH_8argumentILj0EEEEENSH_5valueIlEEEEEEEEENSD_19counting_iterator_tIlEES8_S8_S8_S8_S8_S8_S8_S8_EEEEPS9_S9_NSD_9__find_if7functorIS9_EEEE10hipError_tPvRmT1_T2_T3_mT4_P12ihipStream_tbEUlT_E0_NS1_11comp_targetILNS1_3genE0ELNS1_11target_archE4294967295ELNS1_3gpuE0ELNS1_3repE0EEENS1_30default_config_static_selectorELNS0_4arch9wavefront6targetE1EEEvS17_ ; -- Begin function _ZN7rocprim17ROCPRIM_400000_NS6detail17trampoline_kernelINS0_14default_configENS1_22reduce_config_selectorIN6thrust23THRUST_200600_302600_NS5tupleIblNS6_9null_typeES8_S8_S8_S8_S8_S8_S8_EEEEZNS1_11reduce_implILb1ES3_NS6_12zip_iteratorINS7_INS6_11hip_rocprim26transform_input_iterator_tIbPlNS6_6detail10functional5actorINSH_9compositeIJNSH_27transparent_binary_operatorINS6_8equal_toIvEEEENSI_INSH_8argumentILj0EEEEENSH_5valueIlEEEEEEEEENSD_19counting_iterator_tIlEES8_S8_S8_S8_S8_S8_S8_S8_EEEEPS9_S9_NSD_9__find_if7functorIS9_EEEE10hipError_tPvRmT1_T2_T3_mT4_P12ihipStream_tbEUlT_E0_NS1_11comp_targetILNS1_3genE0ELNS1_11target_archE4294967295ELNS1_3gpuE0ELNS1_3repE0EEENS1_30default_config_static_selectorELNS0_4arch9wavefront6targetE1EEEvS17_
	.globl	_ZN7rocprim17ROCPRIM_400000_NS6detail17trampoline_kernelINS0_14default_configENS1_22reduce_config_selectorIN6thrust23THRUST_200600_302600_NS5tupleIblNS6_9null_typeES8_S8_S8_S8_S8_S8_S8_EEEEZNS1_11reduce_implILb1ES3_NS6_12zip_iteratorINS7_INS6_11hip_rocprim26transform_input_iterator_tIbPlNS6_6detail10functional5actorINSH_9compositeIJNSH_27transparent_binary_operatorINS6_8equal_toIvEEEENSI_INSH_8argumentILj0EEEEENSH_5valueIlEEEEEEEEENSD_19counting_iterator_tIlEES8_S8_S8_S8_S8_S8_S8_S8_EEEEPS9_S9_NSD_9__find_if7functorIS9_EEEE10hipError_tPvRmT1_T2_T3_mT4_P12ihipStream_tbEUlT_E0_NS1_11comp_targetILNS1_3genE0ELNS1_11target_archE4294967295ELNS1_3gpuE0ELNS1_3repE0EEENS1_30default_config_static_selectorELNS0_4arch9wavefront6targetE1EEEvS17_
	.p2align	8
	.type	_ZN7rocprim17ROCPRIM_400000_NS6detail17trampoline_kernelINS0_14default_configENS1_22reduce_config_selectorIN6thrust23THRUST_200600_302600_NS5tupleIblNS6_9null_typeES8_S8_S8_S8_S8_S8_S8_EEEEZNS1_11reduce_implILb1ES3_NS6_12zip_iteratorINS7_INS6_11hip_rocprim26transform_input_iterator_tIbPlNS6_6detail10functional5actorINSH_9compositeIJNSH_27transparent_binary_operatorINS6_8equal_toIvEEEENSI_INSH_8argumentILj0EEEEENSH_5valueIlEEEEEEEEENSD_19counting_iterator_tIlEES8_S8_S8_S8_S8_S8_S8_S8_EEEEPS9_S9_NSD_9__find_if7functorIS9_EEEE10hipError_tPvRmT1_T2_T3_mT4_P12ihipStream_tbEUlT_E0_NS1_11comp_targetILNS1_3genE0ELNS1_11target_archE4294967295ELNS1_3gpuE0ELNS1_3repE0EEENS1_30default_config_static_selectorELNS0_4arch9wavefront6targetE1EEEvS17_,@function
_ZN7rocprim17ROCPRIM_400000_NS6detail17trampoline_kernelINS0_14default_configENS1_22reduce_config_selectorIN6thrust23THRUST_200600_302600_NS5tupleIblNS6_9null_typeES8_S8_S8_S8_S8_S8_S8_EEEEZNS1_11reduce_implILb1ES3_NS6_12zip_iteratorINS7_INS6_11hip_rocprim26transform_input_iterator_tIbPlNS6_6detail10functional5actorINSH_9compositeIJNSH_27transparent_binary_operatorINS6_8equal_toIvEEEENSI_INSH_8argumentILj0EEEEENSH_5valueIlEEEEEEEEENSD_19counting_iterator_tIlEES8_S8_S8_S8_S8_S8_S8_S8_EEEEPS9_S9_NSD_9__find_if7functorIS9_EEEE10hipError_tPvRmT1_T2_T3_mT4_P12ihipStream_tbEUlT_E0_NS1_11comp_targetILNS1_3genE0ELNS1_11target_archE4294967295ELNS1_3gpuE0ELNS1_3repE0EEENS1_30default_config_static_selectorELNS0_4arch9wavefront6targetE1EEEvS17_: ; @_ZN7rocprim17ROCPRIM_400000_NS6detail17trampoline_kernelINS0_14default_configENS1_22reduce_config_selectorIN6thrust23THRUST_200600_302600_NS5tupleIblNS6_9null_typeES8_S8_S8_S8_S8_S8_S8_EEEEZNS1_11reduce_implILb1ES3_NS6_12zip_iteratorINS7_INS6_11hip_rocprim26transform_input_iterator_tIbPlNS6_6detail10functional5actorINSH_9compositeIJNSH_27transparent_binary_operatorINS6_8equal_toIvEEEENSI_INSH_8argumentILj0EEEEENSH_5valueIlEEEEEEEEENSD_19counting_iterator_tIlEES8_S8_S8_S8_S8_S8_S8_S8_EEEEPS9_S9_NSD_9__find_if7functorIS9_EEEE10hipError_tPvRmT1_T2_T3_mT4_P12ihipStream_tbEUlT_E0_NS1_11comp_targetILNS1_3genE0ELNS1_11target_archE4294967295ELNS1_3gpuE0ELNS1_3repE0EEENS1_30default_config_static_selectorELNS0_4arch9wavefront6targetE1EEEvS17_
; %bb.0:
	.section	.rodata,"a",@progbits
	.p2align	6, 0x0
	.amdhsa_kernel _ZN7rocprim17ROCPRIM_400000_NS6detail17trampoline_kernelINS0_14default_configENS1_22reduce_config_selectorIN6thrust23THRUST_200600_302600_NS5tupleIblNS6_9null_typeES8_S8_S8_S8_S8_S8_S8_EEEEZNS1_11reduce_implILb1ES3_NS6_12zip_iteratorINS7_INS6_11hip_rocprim26transform_input_iterator_tIbPlNS6_6detail10functional5actorINSH_9compositeIJNSH_27transparent_binary_operatorINS6_8equal_toIvEEEENSI_INSH_8argumentILj0EEEEENSH_5valueIlEEEEEEEEENSD_19counting_iterator_tIlEES8_S8_S8_S8_S8_S8_S8_S8_EEEEPS9_S9_NSD_9__find_if7functorIS9_EEEE10hipError_tPvRmT1_T2_T3_mT4_P12ihipStream_tbEUlT_E0_NS1_11comp_targetILNS1_3genE0ELNS1_11target_archE4294967295ELNS1_3gpuE0ELNS1_3repE0EEENS1_30default_config_static_selectorELNS0_4arch9wavefront6targetE1EEEvS17_
		.amdhsa_group_segment_fixed_size 0
		.amdhsa_private_segment_fixed_size 0
		.amdhsa_kernarg_size 96
		.amdhsa_user_sgpr_count 6
		.amdhsa_user_sgpr_private_segment_buffer 1
		.amdhsa_user_sgpr_dispatch_ptr 0
		.amdhsa_user_sgpr_queue_ptr 0
		.amdhsa_user_sgpr_kernarg_segment_ptr 1
		.amdhsa_user_sgpr_dispatch_id 0
		.amdhsa_user_sgpr_flat_scratch_init 0
		.amdhsa_user_sgpr_private_segment_size 0
		.amdhsa_uses_dynamic_stack 0
		.amdhsa_system_sgpr_private_segment_wavefront_offset 0
		.amdhsa_system_sgpr_workgroup_id_x 1
		.amdhsa_system_sgpr_workgroup_id_y 0
		.amdhsa_system_sgpr_workgroup_id_z 0
		.amdhsa_system_sgpr_workgroup_info 0
		.amdhsa_system_vgpr_workitem_id 0
		.amdhsa_next_free_vgpr 1
		.amdhsa_next_free_sgpr 0
		.amdhsa_reserve_vcc 0
		.amdhsa_reserve_flat_scratch 0
		.amdhsa_float_round_mode_32 0
		.amdhsa_float_round_mode_16_64 0
		.amdhsa_float_denorm_mode_32 3
		.amdhsa_float_denorm_mode_16_64 3
		.amdhsa_dx10_clamp 1
		.amdhsa_ieee_mode 1
		.amdhsa_fp16_overflow 0
		.amdhsa_exception_fp_ieee_invalid_op 0
		.amdhsa_exception_fp_denorm_src 0
		.amdhsa_exception_fp_ieee_div_zero 0
		.amdhsa_exception_fp_ieee_overflow 0
		.amdhsa_exception_fp_ieee_underflow 0
		.amdhsa_exception_fp_ieee_inexact 0
		.amdhsa_exception_int_div_zero 0
	.end_amdhsa_kernel
	.section	.text._ZN7rocprim17ROCPRIM_400000_NS6detail17trampoline_kernelINS0_14default_configENS1_22reduce_config_selectorIN6thrust23THRUST_200600_302600_NS5tupleIblNS6_9null_typeES8_S8_S8_S8_S8_S8_S8_EEEEZNS1_11reduce_implILb1ES3_NS6_12zip_iteratorINS7_INS6_11hip_rocprim26transform_input_iterator_tIbPlNS6_6detail10functional5actorINSH_9compositeIJNSH_27transparent_binary_operatorINS6_8equal_toIvEEEENSI_INSH_8argumentILj0EEEEENSH_5valueIlEEEEEEEEENSD_19counting_iterator_tIlEES8_S8_S8_S8_S8_S8_S8_S8_EEEEPS9_S9_NSD_9__find_if7functorIS9_EEEE10hipError_tPvRmT1_T2_T3_mT4_P12ihipStream_tbEUlT_E0_NS1_11comp_targetILNS1_3genE0ELNS1_11target_archE4294967295ELNS1_3gpuE0ELNS1_3repE0EEENS1_30default_config_static_selectorELNS0_4arch9wavefront6targetE1EEEvS17_,"axG",@progbits,_ZN7rocprim17ROCPRIM_400000_NS6detail17trampoline_kernelINS0_14default_configENS1_22reduce_config_selectorIN6thrust23THRUST_200600_302600_NS5tupleIblNS6_9null_typeES8_S8_S8_S8_S8_S8_S8_EEEEZNS1_11reduce_implILb1ES3_NS6_12zip_iteratorINS7_INS6_11hip_rocprim26transform_input_iterator_tIbPlNS6_6detail10functional5actorINSH_9compositeIJNSH_27transparent_binary_operatorINS6_8equal_toIvEEEENSI_INSH_8argumentILj0EEEEENSH_5valueIlEEEEEEEEENSD_19counting_iterator_tIlEES8_S8_S8_S8_S8_S8_S8_S8_EEEEPS9_S9_NSD_9__find_if7functorIS9_EEEE10hipError_tPvRmT1_T2_T3_mT4_P12ihipStream_tbEUlT_E0_NS1_11comp_targetILNS1_3genE0ELNS1_11target_archE4294967295ELNS1_3gpuE0ELNS1_3repE0EEENS1_30default_config_static_selectorELNS0_4arch9wavefront6targetE1EEEvS17_,comdat
.Lfunc_end1240:
	.size	_ZN7rocprim17ROCPRIM_400000_NS6detail17trampoline_kernelINS0_14default_configENS1_22reduce_config_selectorIN6thrust23THRUST_200600_302600_NS5tupleIblNS6_9null_typeES8_S8_S8_S8_S8_S8_S8_EEEEZNS1_11reduce_implILb1ES3_NS6_12zip_iteratorINS7_INS6_11hip_rocprim26transform_input_iterator_tIbPlNS6_6detail10functional5actorINSH_9compositeIJNSH_27transparent_binary_operatorINS6_8equal_toIvEEEENSI_INSH_8argumentILj0EEEEENSH_5valueIlEEEEEEEEENSD_19counting_iterator_tIlEES8_S8_S8_S8_S8_S8_S8_S8_EEEEPS9_S9_NSD_9__find_if7functorIS9_EEEE10hipError_tPvRmT1_T2_T3_mT4_P12ihipStream_tbEUlT_E0_NS1_11comp_targetILNS1_3genE0ELNS1_11target_archE4294967295ELNS1_3gpuE0ELNS1_3repE0EEENS1_30default_config_static_selectorELNS0_4arch9wavefront6targetE1EEEvS17_, .Lfunc_end1240-_ZN7rocprim17ROCPRIM_400000_NS6detail17trampoline_kernelINS0_14default_configENS1_22reduce_config_selectorIN6thrust23THRUST_200600_302600_NS5tupleIblNS6_9null_typeES8_S8_S8_S8_S8_S8_S8_EEEEZNS1_11reduce_implILb1ES3_NS6_12zip_iteratorINS7_INS6_11hip_rocprim26transform_input_iterator_tIbPlNS6_6detail10functional5actorINSH_9compositeIJNSH_27transparent_binary_operatorINS6_8equal_toIvEEEENSI_INSH_8argumentILj0EEEEENSH_5valueIlEEEEEEEEENSD_19counting_iterator_tIlEES8_S8_S8_S8_S8_S8_S8_S8_EEEEPS9_S9_NSD_9__find_if7functorIS9_EEEE10hipError_tPvRmT1_T2_T3_mT4_P12ihipStream_tbEUlT_E0_NS1_11comp_targetILNS1_3genE0ELNS1_11target_archE4294967295ELNS1_3gpuE0ELNS1_3repE0EEENS1_30default_config_static_selectorELNS0_4arch9wavefront6targetE1EEEvS17_
                                        ; -- End function
	.set _ZN7rocprim17ROCPRIM_400000_NS6detail17trampoline_kernelINS0_14default_configENS1_22reduce_config_selectorIN6thrust23THRUST_200600_302600_NS5tupleIblNS6_9null_typeES8_S8_S8_S8_S8_S8_S8_EEEEZNS1_11reduce_implILb1ES3_NS6_12zip_iteratorINS7_INS6_11hip_rocprim26transform_input_iterator_tIbPlNS6_6detail10functional5actorINSH_9compositeIJNSH_27transparent_binary_operatorINS6_8equal_toIvEEEENSI_INSH_8argumentILj0EEEEENSH_5valueIlEEEEEEEEENSD_19counting_iterator_tIlEES8_S8_S8_S8_S8_S8_S8_S8_EEEEPS9_S9_NSD_9__find_if7functorIS9_EEEE10hipError_tPvRmT1_T2_T3_mT4_P12ihipStream_tbEUlT_E0_NS1_11comp_targetILNS1_3genE0ELNS1_11target_archE4294967295ELNS1_3gpuE0ELNS1_3repE0EEENS1_30default_config_static_selectorELNS0_4arch9wavefront6targetE1EEEvS17_.num_vgpr, 0
	.set _ZN7rocprim17ROCPRIM_400000_NS6detail17trampoline_kernelINS0_14default_configENS1_22reduce_config_selectorIN6thrust23THRUST_200600_302600_NS5tupleIblNS6_9null_typeES8_S8_S8_S8_S8_S8_S8_EEEEZNS1_11reduce_implILb1ES3_NS6_12zip_iteratorINS7_INS6_11hip_rocprim26transform_input_iterator_tIbPlNS6_6detail10functional5actorINSH_9compositeIJNSH_27transparent_binary_operatorINS6_8equal_toIvEEEENSI_INSH_8argumentILj0EEEEENSH_5valueIlEEEEEEEEENSD_19counting_iterator_tIlEES8_S8_S8_S8_S8_S8_S8_S8_EEEEPS9_S9_NSD_9__find_if7functorIS9_EEEE10hipError_tPvRmT1_T2_T3_mT4_P12ihipStream_tbEUlT_E0_NS1_11comp_targetILNS1_3genE0ELNS1_11target_archE4294967295ELNS1_3gpuE0ELNS1_3repE0EEENS1_30default_config_static_selectorELNS0_4arch9wavefront6targetE1EEEvS17_.num_agpr, 0
	.set _ZN7rocprim17ROCPRIM_400000_NS6detail17trampoline_kernelINS0_14default_configENS1_22reduce_config_selectorIN6thrust23THRUST_200600_302600_NS5tupleIblNS6_9null_typeES8_S8_S8_S8_S8_S8_S8_EEEEZNS1_11reduce_implILb1ES3_NS6_12zip_iteratorINS7_INS6_11hip_rocprim26transform_input_iterator_tIbPlNS6_6detail10functional5actorINSH_9compositeIJNSH_27transparent_binary_operatorINS6_8equal_toIvEEEENSI_INSH_8argumentILj0EEEEENSH_5valueIlEEEEEEEEENSD_19counting_iterator_tIlEES8_S8_S8_S8_S8_S8_S8_S8_EEEEPS9_S9_NSD_9__find_if7functorIS9_EEEE10hipError_tPvRmT1_T2_T3_mT4_P12ihipStream_tbEUlT_E0_NS1_11comp_targetILNS1_3genE0ELNS1_11target_archE4294967295ELNS1_3gpuE0ELNS1_3repE0EEENS1_30default_config_static_selectorELNS0_4arch9wavefront6targetE1EEEvS17_.numbered_sgpr, 0
	.set _ZN7rocprim17ROCPRIM_400000_NS6detail17trampoline_kernelINS0_14default_configENS1_22reduce_config_selectorIN6thrust23THRUST_200600_302600_NS5tupleIblNS6_9null_typeES8_S8_S8_S8_S8_S8_S8_EEEEZNS1_11reduce_implILb1ES3_NS6_12zip_iteratorINS7_INS6_11hip_rocprim26transform_input_iterator_tIbPlNS6_6detail10functional5actorINSH_9compositeIJNSH_27transparent_binary_operatorINS6_8equal_toIvEEEENSI_INSH_8argumentILj0EEEEENSH_5valueIlEEEEEEEEENSD_19counting_iterator_tIlEES8_S8_S8_S8_S8_S8_S8_S8_EEEEPS9_S9_NSD_9__find_if7functorIS9_EEEE10hipError_tPvRmT1_T2_T3_mT4_P12ihipStream_tbEUlT_E0_NS1_11comp_targetILNS1_3genE0ELNS1_11target_archE4294967295ELNS1_3gpuE0ELNS1_3repE0EEENS1_30default_config_static_selectorELNS0_4arch9wavefront6targetE1EEEvS17_.num_named_barrier, 0
	.set _ZN7rocprim17ROCPRIM_400000_NS6detail17trampoline_kernelINS0_14default_configENS1_22reduce_config_selectorIN6thrust23THRUST_200600_302600_NS5tupleIblNS6_9null_typeES8_S8_S8_S8_S8_S8_S8_EEEEZNS1_11reduce_implILb1ES3_NS6_12zip_iteratorINS7_INS6_11hip_rocprim26transform_input_iterator_tIbPlNS6_6detail10functional5actorINSH_9compositeIJNSH_27transparent_binary_operatorINS6_8equal_toIvEEEENSI_INSH_8argumentILj0EEEEENSH_5valueIlEEEEEEEEENSD_19counting_iterator_tIlEES8_S8_S8_S8_S8_S8_S8_S8_EEEEPS9_S9_NSD_9__find_if7functorIS9_EEEE10hipError_tPvRmT1_T2_T3_mT4_P12ihipStream_tbEUlT_E0_NS1_11comp_targetILNS1_3genE0ELNS1_11target_archE4294967295ELNS1_3gpuE0ELNS1_3repE0EEENS1_30default_config_static_selectorELNS0_4arch9wavefront6targetE1EEEvS17_.private_seg_size, 0
	.set _ZN7rocprim17ROCPRIM_400000_NS6detail17trampoline_kernelINS0_14default_configENS1_22reduce_config_selectorIN6thrust23THRUST_200600_302600_NS5tupleIblNS6_9null_typeES8_S8_S8_S8_S8_S8_S8_EEEEZNS1_11reduce_implILb1ES3_NS6_12zip_iteratorINS7_INS6_11hip_rocprim26transform_input_iterator_tIbPlNS6_6detail10functional5actorINSH_9compositeIJNSH_27transparent_binary_operatorINS6_8equal_toIvEEEENSI_INSH_8argumentILj0EEEEENSH_5valueIlEEEEEEEEENSD_19counting_iterator_tIlEES8_S8_S8_S8_S8_S8_S8_S8_EEEEPS9_S9_NSD_9__find_if7functorIS9_EEEE10hipError_tPvRmT1_T2_T3_mT4_P12ihipStream_tbEUlT_E0_NS1_11comp_targetILNS1_3genE0ELNS1_11target_archE4294967295ELNS1_3gpuE0ELNS1_3repE0EEENS1_30default_config_static_selectorELNS0_4arch9wavefront6targetE1EEEvS17_.uses_vcc, 0
	.set _ZN7rocprim17ROCPRIM_400000_NS6detail17trampoline_kernelINS0_14default_configENS1_22reduce_config_selectorIN6thrust23THRUST_200600_302600_NS5tupleIblNS6_9null_typeES8_S8_S8_S8_S8_S8_S8_EEEEZNS1_11reduce_implILb1ES3_NS6_12zip_iteratorINS7_INS6_11hip_rocprim26transform_input_iterator_tIbPlNS6_6detail10functional5actorINSH_9compositeIJNSH_27transparent_binary_operatorINS6_8equal_toIvEEEENSI_INSH_8argumentILj0EEEEENSH_5valueIlEEEEEEEEENSD_19counting_iterator_tIlEES8_S8_S8_S8_S8_S8_S8_S8_EEEEPS9_S9_NSD_9__find_if7functorIS9_EEEE10hipError_tPvRmT1_T2_T3_mT4_P12ihipStream_tbEUlT_E0_NS1_11comp_targetILNS1_3genE0ELNS1_11target_archE4294967295ELNS1_3gpuE0ELNS1_3repE0EEENS1_30default_config_static_selectorELNS0_4arch9wavefront6targetE1EEEvS17_.uses_flat_scratch, 0
	.set _ZN7rocprim17ROCPRIM_400000_NS6detail17trampoline_kernelINS0_14default_configENS1_22reduce_config_selectorIN6thrust23THRUST_200600_302600_NS5tupleIblNS6_9null_typeES8_S8_S8_S8_S8_S8_S8_EEEEZNS1_11reduce_implILb1ES3_NS6_12zip_iteratorINS7_INS6_11hip_rocprim26transform_input_iterator_tIbPlNS6_6detail10functional5actorINSH_9compositeIJNSH_27transparent_binary_operatorINS6_8equal_toIvEEEENSI_INSH_8argumentILj0EEEEENSH_5valueIlEEEEEEEEENSD_19counting_iterator_tIlEES8_S8_S8_S8_S8_S8_S8_S8_EEEEPS9_S9_NSD_9__find_if7functorIS9_EEEE10hipError_tPvRmT1_T2_T3_mT4_P12ihipStream_tbEUlT_E0_NS1_11comp_targetILNS1_3genE0ELNS1_11target_archE4294967295ELNS1_3gpuE0ELNS1_3repE0EEENS1_30default_config_static_selectorELNS0_4arch9wavefront6targetE1EEEvS17_.has_dyn_sized_stack, 0
	.set _ZN7rocprim17ROCPRIM_400000_NS6detail17trampoline_kernelINS0_14default_configENS1_22reduce_config_selectorIN6thrust23THRUST_200600_302600_NS5tupleIblNS6_9null_typeES8_S8_S8_S8_S8_S8_S8_EEEEZNS1_11reduce_implILb1ES3_NS6_12zip_iteratorINS7_INS6_11hip_rocprim26transform_input_iterator_tIbPlNS6_6detail10functional5actorINSH_9compositeIJNSH_27transparent_binary_operatorINS6_8equal_toIvEEEENSI_INSH_8argumentILj0EEEEENSH_5valueIlEEEEEEEEENSD_19counting_iterator_tIlEES8_S8_S8_S8_S8_S8_S8_S8_EEEEPS9_S9_NSD_9__find_if7functorIS9_EEEE10hipError_tPvRmT1_T2_T3_mT4_P12ihipStream_tbEUlT_E0_NS1_11comp_targetILNS1_3genE0ELNS1_11target_archE4294967295ELNS1_3gpuE0ELNS1_3repE0EEENS1_30default_config_static_selectorELNS0_4arch9wavefront6targetE1EEEvS17_.has_recursion, 0
	.set _ZN7rocprim17ROCPRIM_400000_NS6detail17trampoline_kernelINS0_14default_configENS1_22reduce_config_selectorIN6thrust23THRUST_200600_302600_NS5tupleIblNS6_9null_typeES8_S8_S8_S8_S8_S8_S8_EEEEZNS1_11reduce_implILb1ES3_NS6_12zip_iteratorINS7_INS6_11hip_rocprim26transform_input_iterator_tIbPlNS6_6detail10functional5actorINSH_9compositeIJNSH_27transparent_binary_operatorINS6_8equal_toIvEEEENSI_INSH_8argumentILj0EEEEENSH_5valueIlEEEEEEEEENSD_19counting_iterator_tIlEES8_S8_S8_S8_S8_S8_S8_S8_EEEEPS9_S9_NSD_9__find_if7functorIS9_EEEE10hipError_tPvRmT1_T2_T3_mT4_P12ihipStream_tbEUlT_E0_NS1_11comp_targetILNS1_3genE0ELNS1_11target_archE4294967295ELNS1_3gpuE0ELNS1_3repE0EEENS1_30default_config_static_selectorELNS0_4arch9wavefront6targetE1EEEvS17_.has_indirect_call, 0
	.section	.AMDGPU.csdata,"",@progbits
; Kernel info:
; codeLenInByte = 0
; TotalNumSgprs: 4
; NumVgprs: 0
; ScratchSize: 0
; MemoryBound: 0
; FloatMode: 240
; IeeeMode: 1
; LDSByteSize: 0 bytes/workgroup (compile time only)
; SGPRBlocks: 0
; VGPRBlocks: 0
; NumSGPRsForWavesPerEU: 4
; NumVGPRsForWavesPerEU: 1
; Occupancy: 10
; WaveLimiterHint : 0
; COMPUTE_PGM_RSRC2:SCRATCH_EN: 0
; COMPUTE_PGM_RSRC2:USER_SGPR: 6
; COMPUTE_PGM_RSRC2:TRAP_HANDLER: 0
; COMPUTE_PGM_RSRC2:TGID_X_EN: 1
; COMPUTE_PGM_RSRC2:TGID_Y_EN: 0
; COMPUTE_PGM_RSRC2:TGID_Z_EN: 0
; COMPUTE_PGM_RSRC2:TIDIG_COMP_CNT: 0
	.section	.text._ZN7rocprim17ROCPRIM_400000_NS6detail17trampoline_kernelINS0_14default_configENS1_22reduce_config_selectorIN6thrust23THRUST_200600_302600_NS5tupleIblNS6_9null_typeES8_S8_S8_S8_S8_S8_S8_EEEEZNS1_11reduce_implILb1ES3_NS6_12zip_iteratorINS7_INS6_11hip_rocprim26transform_input_iterator_tIbPlNS6_6detail10functional5actorINSH_9compositeIJNSH_27transparent_binary_operatorINS6_8equal_toIvEEEENSI_INSH_8argumentILj0EEEEENSH_5valueIlEEEEEEEEENSD_19counting_iterator_tIlEES8_S8_S8_S8_S8_S8_S8_S8_EEEEPS9_S9_NSD_9__find_if7functorIS9_EEEE10hipError_tPvRmT1_T2_T3_mT4_P12ihipStream_tbEUlT_E0_NS1_11comp_targetILNS1_3genE5ELNS1_11target_archE942ELNS1_3gpuE9ELNS1_3repE0EEENS1_30default_config_static_selectorELNS0_4arch9wavefront6targetE1EEEvS17_,"axG",@progbits,_ZN7rocprim17ROCPRIM_400000_NS6detail17trampoline_kernelINS0_14default_configENS1_22reduce_config_selectorIN6thrust23THRUST_200600_302600_NS5tupleIblNS6_9null_typeES8_S8_S8_S8_S8_S8_S8_EEEEZNS1_11reduce_implILb1ES3_NS6_12zip_iteratorINS7_INS6_11hip_rocprim26transform_input_iterator_tIbPlNS6_6detail10functional5actorINSH_9compositeIJNSH_27transparent_binary_operatorINS6_8equal_toIvEEEENSI_INSH_8argumentILj0EEEEENSH_5valueIlEEEEEEEEENSD_19counting_iterator_tIlEES8_S8_S8_S8_S8_S8_S8_S8_EEEEPS9_S9_NSD_9__find_if7functorIS9_EEEE10hipError_tPvRmT1_T2_T3_mT4_P12ihipStream_tbEUlT_E0_NS1_11comp_targetILNS1_3genE5ELNS1_11target_archE942ELNS1_3gpuE9ELNS1_3repE0EEENS1_30default_config_static_selectorELNS0_4arch9wavefront6targetE1EEEvS17_,comdat
	.protected	_ZN7rocprim17ROCPRIM_400000_NS6detail17trampoline_kernelINS0_14default_configENS1_22reduce_config_selectorIN6thrust23THRUST_200600_302600_NS5tupleIblNS6_9null_typeES8_S8_S8_S8_S8_S8_S8_EEEEZNS1_11reduce_implILb1ES3_NS6_12zip_iteratorINS7_INS6_11hip_rocprim26transform_input_iterator_tIbPlNS6_6detail10functional5actorINSH_9compositeIJNSH_27transparent_binary_operatorINS6_8equal_toIvEEEENSI_INSH_8argumentILj0EEEEENSH_5valueIlEEEEEEEEENSD_19counting_iterator_tIlEES8_S8_S8_S8_S8_S8_S8_S8_EEEEPS9_S9_NSD_9__find_if7functorIS9_EEEE10hipError_tPvRmT1_T2_T3_mT4_P12ihipStream_tbEUlT_E0_NS1_11comp_targetILNS1_3genE5ELNS1_11target_archE942ELNS1_3gpuE9ELNS1_3repE0EEENS1_30default_config_static_selectorELNS0_4arch9wavefront6targetE1EEEvS17_ ; -- Begin function _ZN7rocprim17ROCPRIM_400000_NS6detail17trampoline_kernelINS0_14default_configENS1_22reduce_config_selectorIN6thrust23THRUST_200600_302600_NS5tupleIblNS6_9null_typeES8_S8_S8_S8_S8_S8_S8_EEEEZNS1_11reduce_implILb1ES3_NS6_12zip_iteratorINS7_INS6_11hip_rocprim26transform_input_iterator_tIbPlNS6_6detail10functional5actorINSH_9compositeIJNSH_27transparent_binary_operatorINS6_8equal_toIvEEEENSI_INSH_8argumentILj0EEEEENSH_5valueIlEEEEEEEEENSD_19counting_iterator_tIlEES8_S8_S8_S8_S8_S8_S8_S8_EEEEPS9_S9_NSD_9__find_if7functorIS9_EEEE10hipError_tPvRmT1_T2_T3_mT4_P12ihipStream_tbEUlT_E0_NS1_11comp_targetILNS1_3genE5ELNS1_11target_archE942ELNS1_3gpuE9ELNS1_3repE0EEENS1_30default_config_static_selectorELNS0_4arch9wavefront6targetE1EEEvS17_
	.globl	_ZN7rocprim17ROCPRIM_400000_NS6detail17trampoline_kernelINS0_14default_configENS1_22reduce_config_selectorIN6thrust23THRUST_200600_302600_NS5tupleIblNS6_9null_typeES8_S8_S8_S8_S8_S8_S8_EEEEZNS1_11reduce_implILb1ES3_NS6_12zip_iteratorINS7_INS6_11hip_rocprim26transform_input_iterator_tIbPlNS6_6detail10functional5actorINSH_9compositeIJNSH_27transparent_binary_operatorINS6_8equal_toIvEEEENSI_INSH_8argumentILj0EEEEENSH_5valueIlEEEEEEEEENSD_19counting_iterator_tIlEES8_S8_S8_S8_S8_S8_S8_S8_EEEEPS9_S9_NSD_9__find_if7functorIS9_EEEE10hipError_tPvRmT1_T2_T3_mT4_P12ihipStream_tbEUlT_E0_NS1_11comp_targetILNS1_3genE5ELNS1_11target_archE942ELNS1_3gpuE9ELNS1_3repE0EEENS1_30default_config_static_selectorELNS0_4arch9wavefront6targetE1EEEvS17_
	.p2align	8
	.type	_ZN7rocprim17ROCPRIM_400000_NS6detail17trampoline_kernelINS0_14default_configENS1_22reduce_config_selectorIN6thrust23THRUST_200600_302600_NS5tupleIblNS6_9null_typeES8_S8_S8_S8_S8_S8_S8_EEEEZNS1_11reduce_implILb1ES3_NS6_12zip_iteratorINS7_INS6_11hip_rocprim26transform_input_iterator_tIbPlNS6_6detail10functional5actorINSH_9compositeIJNSH_27transparent_binary_operatorINS6_8equal_toIvEEEENSI_INSH_8argumentILj0EEEEENSH_5valueIlEEEEEEEEENSD_19counting_iterator_tIlEES8_S8_S8_S8_S8_S8_S8_S8_EEEEPS9_S9_NSD_9__find_if7functorIS9_EEEE10hipError_tPvRmT1_T2_T3_mT4_P12ihipStream_tbEUlT_E0_NS1_11comp_targetILNS1_3genE5ELNS1_11target_archE942ELNS1_3gpuE9ELNS1_3repE0EEENS1_30default_config_static_selectorELNS0_4arch9wavefront6targetE1EEEvS17_,@function
_ZN7rocprim17ROCPRIM_400000_NS6detail17trampoline_kernelINS0_14default_configENS1_22reduce_config_selectorIN6thrust23THRUST_200600_302600_NS5tupleIblNS6_9null_typeES8_S8_S8_S8_S8_S8_S8_EEEEZNS1_11reduce_implILb1ES3_NS6_12zip_iteratorINS7_INS6_11hip_rocprim26transform_input_iterator_tIbPlNS6_6detail10functional5actorINSH_9compositeIJNSH_27transparent_binary_operatorINS6_8equal_toIvEEEENSI_INSH_8argumentILj0EEEEENSH_5valueIlEEEEEEEEENSD_19counting_iterator_tIlEES8_S8_S8_S8_S8_S8_S8_S8_EEEEPS9_S9_NSD_9__find_if7functorIS9_EEEE10hipError_tPvRmT1_T2_T3_mT4_P12ihipStream_tbEUlT_E0_NS1_11comp_targetILNS1_3genE5ELNS1_11target_archE942ELNS1_3gpuE9ELNS1_3repE0EEENS1_30default_config_static_selectorELNS0_4arch9wavefront6targetE1EEEvS17_: ; @_ZN7rocprim17ROCPRIM_400000_NS6detail17trampoline_kernelINS0_14default_configENS1_22reduce_config_selectorIN6thrust23THRUST_200600_302600_NS5tupleIblNS6_9null_typeES8_S8_S8_S8_S8_S8_S8_EEEEZNS1_11reduce_implILb1ES3_NS6_12zip_iteratorINS7_INS6_11hip_rocprim26transform_input_iterator_tIbPlNS6_6detail10functional5actorINSH_9compositeIJNSH_27transparent_binary_operatorINS6_8equal_toIvEEEENSI_INSH_8argumentILj0EEEEENSH_5valueIlEEEEEEEEENSD_19counting_iterator_tIlEES8_S8_S8_S8_S8_S8_S8_S8_EEEEPS9_S9_NSD_9__find_if7functorIS9_EEEE10hipError_tPvRmT1_T2_T3_mT4_P12ihipStream_tbEUlT_E0_NS1_11comp_targetILNS1_3genE5ELNS1_11target_archE942ELNS1_3gpuE9ELNS1_3repE0EEENS1_30default_config_static_selectorELNS0_4arch9wavefront6targetE1EEEvS17_
; %bb.0:
	.section	.rodata,"a",@progbits
	.p2align	6, 0x0
	.amdhsa_kernel _ZN7rocprim17ROCPRIM_400000_NS6detail17trampoline_kernelINS0_14default_configENS1_22reduce_config_selectorIN6thrust23THRUST_200600_302600_NS5tupleIblNS6_9null_typeES8_S8_S8_S8_S8_S8_S8_EEEEZNS1_11reduce_implILb1ES3_NS6_12zip_iteratorINS7_INS6_11hip_rocprim26transform_input_iterator_tIbPlNS6_6detail10functional5actorINSH_9compositeIJNSH_27transparent_binary_operatorINS6_8equal_toIvEEEENSI_INSH_8argumentILj0EEEEENSH_5valueIlEEEEEEEEENSD_19counting_iterator_tIlEES8_S8_S8_S8_S8_S8_S8_S8_EEEEPS9_S9_NSD_9__find_if7functorIS9_EEEE10hipError_tPvRmT1_T2_T3_mT4_P12ihipStream_tbEUlT_E0_NS1_11comp_targetILNS1_3genE5ELNS1_11target_archE942ELNS1_3gpuE9ELNS1_3repE0EEENS1_30default_config_static_selectorELNS0_4arch9wavefront6targetE1EEEvS17_
		.amdhsa_group_segment_fixed_size 0
		.amdhsa_private_segment_fixed_size 0
		.amdhsa_kernarg_size 96
		.amdhsa_user_sgpr_count 6
		.amdhsa_user_sgpr_private_segment_buffer 1
		.amdhsa_user_sgpr_dispatch_ptr 0
		.amdhsa_user_sgpr_queue_ptr 0
		.amdhsa_user_sgpr_kernarg_segment_ptr 1
		.amdhsa_user_sgpr_dispatch_id 0
		.amdhsa_user_sgpr_flat_scratch_init 0
		.amdhsa_user_sgpr_private_segment_size 0
		.amdhsa_uses_dynamic_stack 0
		.amdhsa_system_sgpr_private_segment_wavefront_offset 0
		.amdhsa_system_sgpr_workgroup_id_x 1
		.amdhsa_system_sgpr_workgroup_id_y 0
		.amdhsa_system_sgpr_workgroup_id_z 0
		.amdhsa_system_sgpr_workgroup_info 0
		.amdhsa_system_vgpr_workitem_id 0
		.amdhsa_next_free_vgpr 1
		.amdhsa_next_free_sgpr 0
		.amdhsa_reserve_vcc 0
		.amdhsa_reserve_flat_scratch 0
		.amdhsa_float_round_mode_32 0
		.amdhsa_float_round_mode_16_64 0
		.amdhsa_float_denorm_mode_32 3
		.amdhsa_float_denorm_mode_16_64 3
		.amdhsa_dx10_clamp 1
		.amdhsa_ieee_mode 1
		.amdhsa_fp16_overflow 0
		.amdhsa_exception_fp_ieee_invalid_op 0
		.amdhsa_exception_fp_denorm_src 0
		.amdhsa_exception_fp_ieee_div_zero 0
		.amdhsa_exception_fp_ieee_overflow 0
		.amdhsa_exception_fp_ieee_underflow 0
		.amdhsa_exception_fp_ieee_inexact 0
		.amdhsa_exception_int_div_zero 0
	.end_amdhsa_kernel
	.section	.text._ZN7rocprim17ROCPRIM_400000_NS6detail17trampoline_kernelINS0_14default_configENS1_22reduce_config_selectorIN6thrust23THRUST_200600_302600_NS5tupleIblNS6_9null_typeES8_S8_S8_S8_S8_S8_S8_EEEEZNS1_11reduce_implILb1ES3_NS6_12zip_iteratorINS7_INS6_11hip_rocprim26transform_input_iterator_tIbPlNS6_6detail10functional5actorINSH_9compositeIJNSH_27transparent_binary_operatorINS6_8equal_toIvEEEENSI_INSH_8argumentILj0EEEEENSH_5valueIlEEEEEEEEENSD_19counting_iterator_tIlEES8_S8_S8_S8_S8_S8_S8_S8_EEEEPS9_S9_NSD_9__find_if7functorIS9_EEEE10hipError_tPvRmT1_T2_T3_mT4_P12ihipStream_tbEUlT_E0_NS1_11comp_targetILNS1_3genE5ELNS1_11target_archE942ELNS1_3gpuE9ELNS1_3repE0EEENS1_30default_config_static_selectorELNS0_4arch9wavefront6targetE1EEEvS17_,"axG",@progbits,_ZN7rocprim17ROCPRIM_400000_NS6detail17trampoline_kernelINS0_14default_configENS1_22reduce_config_selectorIN6thrust23THRUST_200600_302600_NS5tupleIblNS6_9null_typeES8_S8_S8_S8_S8_S8_S8_EEEEZNS1_11reduce_implILb1ES3_NS6_12zip_iteratorINS7_INS6_11hip_rocprim26transform_input_iterator_tIbPlNS6_6detail10functional5actorINSH_9compositeIJNSH_27transparent_binary_operatorINS6_8equal_toIvEEEENSI_INSH_8argumentILj0EEEEENSH_5valueIlEEEEEEEEENSD_19counting_iterator_tIlEES8_S8_S8_S8_S8_S8_S8_S8_EEEEPS9_S9_NSD_9__find_if7functorIS9_EEEE10hipError_tPvRmT1_T2_T3_mT4_P12ihipStream_tbEUlT_E0_NS1_11comp_targetILNS1_3genE5ELNS1_11target_archE942ELNS1_3gpuE9ELNS1_3repE0EEENS1_30default_config_static_selectorELNS0_4arch9wavefront6targetE1EEEvS17_,comdat
.Lfunc_end1241:
	.size	_ZN7rocprim17ROCPRIM_400000_NS6detail17trampoline_kernelINS0_14default_configENS1_22reduce_config_selectorIN6thrust23THRUST_200600_302600_NS5tupleIblNS6_9null_typeES8_S8_S8_S8_S8_S8_S8_EEEEZNS1_11reduce_implILb1ES3_NS6_12zip_iteratorINS7_INS6_11hip_rocprim26transform_input_iterator_tIbPlNS6_6detail10functional5actorINSH_9compositeIJNSH_27transparent_binary_operatorINS6_8equal_toIvEEEENSI_INSH_8argumentILj0EEEEENSH_5valueIlEEEEEEEEENSD_19counting_iterator_tIlEES8_S8_S8_S8_S8_S8_S8_S8_EEEEPS9_S9_NSD_9__find_if7functorIS9_EEEE10hipError_tPvRmT1_T2_T3_mT4_P12ihipStream_tbEUlT_E0_NS1_11comp_targetILNS1_3genE5ELNS1_11target_archE942ELNS1_3gpuE9ELNS1_3repE0EEENS1_30default_config_static_selectorELNS0_4arch9wavefront6targetE1EEEvS17_, .Lfunc_end1241-_ZN7rocprim17ROCPRIM_400000_NS6detail17trampoline_kernelINS0_14default_configENS1_22reduce_config_selectorIN6thrust23THRUST_200600_302600_NS5tupleIblNS6_9null_typeES8_S8_S8_S8_S8_S8_S8_EEEEZNS1_11reduce_implILb1ES3_NS6_12zip_iteratorINS7_INS6_11hip_rocprim26transform_input_iterator_tIbPlNS6_6detail10functional5actorINSH_9compositeIJNSH_27transparent_binary_operatorINS6_8equal_toIvEEEENSI_INSH_8argumentILj0EEEEENSH_5valueIlEEEEEEEEENSD_19counting_iterator_tIlEES8_S8_S8_S8_S8_S8_S8_S8_EEEEPS9_S9_NSD_9__find_if7functorIS9_EEEE10hipError_tPvRmT1_T2_T3_mT4_P12ihipStream_tbEUlT_E0_NS1_11comp_targetILNS1_3genE5ELNS1_11target_archE942ELNS1_3gpuE9ELNS1_3repE0EEENS1_30default_config_static_selectorELNS0_4arch9wavefront6targetE1EEEvS17_
                                        ; -- End function
	.set _ZN7rocprim17ROCPRIM_400000_NS6detail17trampoline_kernelINS0_14default_configENS1_22reduce_config_selectorIN6thrust23THRUST_200600_302600_NS5tupleIblNS6_9null_typeES8_S8_S8_S8_S8_S8_S8_EEEEZNS1_11reduce_implILb1ES3_NS6_12zip_iteratorINS7_INS6_11hip_rocprim26transform_input_iterator_tIbPlNS6_6detail10functional5actorINSH_9compositeIJNSH_27transparent_binary_operatorINS6_8equal_toIvEEEENSI_INSH_8argumentILj0EEEEENSH_5valueIlEEEEEEEEENSD_19counting_iterator_tIlEES8_S8_S8_S8_S8_S8_S8_S8_EEEEPS9_S9_NSD_9__find_if7functorIS9_EEEE10hipError_tPvRmT1_T2_T3_mT4_P12ihipStream_tbEUlT_E0_NS1_11comp_targetILNS1_3genE5ELNS1_11target_archE942ELNS1_3gpuE9ELNS1_3repE0EEENS1_30default_config_static_selectorELNS0_4arch9wavefront6targetE1EEEvS17_.num_vgpr, 0
	.set _ZN7rocprim17ROCPRIM_400000_NS6detail17trampoline_kernelINS0_14default_configENS1_22reduce_config_selectorIN6thrust23THRUST_200600_302600_NS5tupleIblNS6_9null_typeES8_S8_S8_S8_S8_S8_S8_EEEEZNS1_11reduce_implILb1ES3_NS6_12zip_iteratorINS7_INS6_11hip_rocprim26transform_input_iterator_tIbPlNS6_6detail10functional5actorINSH_9compositeIJNSH_27transparent_binary_operatorINS6_8equal_toIvEEEENSI_INSH_8argumentILj0EEEEENSH_5valueIlEEEEEEEEENSD_19counting_iterator_tIlEES8_S8_S8_S8_S8_S8_S8_S8_EEEEPS9_S9_NSD_9__find_if7functorIS9_EEEE10hipError_tPvRmT1_T2_T3_mT4_P12ihipStream_tbEUlT_E0_NS1_11comp_targetILNS1_3genE5ELNS1_11target_archE942ELNS1_3gpuE9ELNS1_3repE0EEENS1_30default_config_static_selectorELNS0_4arch9wavefront6targetE1EEEvS17_.num_agpr, 0
	.set _ZN7rocprim17ROCPRIM_400000_NS6detail17trampoline_kernelINS0_14default_configENS1_22reduce_config_selectorIN6thrust23THRUST_200600_302600_NS5tupleIblNS6_9null_typeES8_S8_S8_S8_S8_S8_S8_EEEEZNS1_11reduce_implILb1ES3_NS6_12zip_iteratorINS7_INS6_11hip_rocprim26transform_input_iterator_tIbPlNS6_6detail10functional5actorINSH_9compositeIJNSH_27transparent_binary_operatorINS6_8equal_toIvEEEENSI_INSH_8argumentILj0EEEEENSH_5valueIlEEEEEEEEENSD_19counting_iterator_tIlEES8_S8_S8_S8_S8_S8_S8_S8_EEEEPS9_S9_NSD_9__find_if7functorIS9_EEEE10hipError_tPvRmT1_T2_T3_mT4_P12ihipStream_tbEUlT_E0_NS1_11comp_targetILNS1_3genE5ELNS1_11target_archE942ELNS1_3gpuE9ELNS1_3repE0EEENS1_30default_config_static_selectorELNS0_4arch9wavefront6targetE1EEEvS17_.numbered_sgpr, 0
	.set _ZN7rocprim17ROCPRIM_400000_NS6detail17trampoline_kernelINS0_14default_configENS1_22reduce_config_selectorIN6thrust23THRUST_200600_302600_NS5tupleIblNS6_9null_typeES8_S8_S8_S8_S8_S8_S8_EEEEZNS1_11reduce_implILb1ES3_NS6_12zip_iteratorINS7_INS6_11hip_rocprim26transform_input_iterator_tIbPlNS6_6detail10functional5actorINSH_9compositeIJNSH_27transparent_binary_operatorINS6_8equal_toIvEEEENSI_INSH_8argumentILj0EEEEENSH_5valueIlEEEEEEEEENSD_19counting_iterator_tIlEES8_S8_S8_S8_S8_S8_S8_S8_EEEEPS9_S9_NSD_9__find_if7functorIS9_EEEE10hipError_tPvRmT1_T2_T3_mT4_P12ihipStream_tbEUlT_E0_NS1_11comp_targetILNS1_3genE5ELNS1_11target_archE942ELNS1_3gpuE9ELNS1_3repE0EEENS1_30default_config_static_selectorELNS0_4arch9wavefront6targetE1EEEvS17_.num_named_barrier, 0
	.set _ZN7rocprim17ROCPRIM_400000_NS6detail17trampoline_kernelINS0_14default_configENS1_22reduce_config_selectorIN6thrust23THRUST_200600_302600_NS5tupleIblNS6_9null_typeES8_S8_S8_S8_S8_S8_S8_EEEEZNS1_11reduce_implILb1ES3_NS6_12zip_iteratorINS7_INS6_11hip_rocprim26transform_input_iterator_tIbPlNS6_6detail10functional5actorINSH_9compositeIJNSH_27transparent_binary_operatorINS6_8equal_toIvEEEENSI_INSH_8argumentILj0EEEEENSH_5valueIlEEEEEEEEENSD_19counting_iterator_tIlEES8_S8_S8_S8_S8_S8_S8_S8_EEEEPS9_S9_NSD_9__find_if7functorIS9_EEEE10hipError_tPvRmT1_T2_T3_mT4_P12ihipStream_tbEUlT_E0_NS1_11comp_targetILNS1_3genE5ELNS1_11target_archE942ELNS1_3gpuE9ELNS1_3repE0EEENS1_30default_config_static_selectorELNS0_4arch9wavefront6targetE1EEEvS17_.private_seg_size, 0
	.set _ZN7rocprim17ROCPRIM_400000_NS6detail17trampoline_kernelINS0_14default_configENS1_22reduce_config_selectorIN6thrust23THRUST_200600_302600_NS5tupleIblNS6_9null_typeES8_S8_S8_S8_S8_S8_S8_EEEEZNS1_11reduce_implILb1ES3_NS6_12zip_iteratorINS7_INS6_11hip_rocprim26transform_input_iterator_tIbPlNS6_6detail10functional5actorINSH_9compositeIJNSH_27transparent_binary_operatorINS6_8equal_toIvEEEENSI_INSH_8argumentILj0EEEEENSH_5valueIlEEEEEEEEENSD_19counting_iterator_tIlEES8_S8_S8_S8_S8_S8_S8_S8_EEEEPS9_S9_NSD_9__find_if7functorIS9_EEEE10hipError_tPvRmT1_T2_T3_mT4_P12ihipStream_tbEUlT_E0_NS1_11comp_targetILNS1_3genE5ELNS1_11target_archE942ELNS1_3gpuE9ELNS1_3repE0EEENS1_30default_config_static_selectorELNS0_4arch9wavefront6targetE1EEEvS17_.uses_vcc, 0
	.set _ZN7rocprim17ROCPRIM_400000_NS6detail17trampoline_kernelINS0_14default_configENS1_22reduce_config_selectorIN6thrust23THRUST_200600_302600_NS5tupleIblNS6_9null_typeES8_S8_S8_S8_S8_S8_S8_EEEEZNS1_11reduce_implILb1ES3_NS6_12zip_iteratorINS7_INS6_11hip_rocprim26transform_input_iterator_tIbPlNS6_6detail10functional5actorINSH_9compositeIJNSH_27transparent_binary_operatorINS6_8equal_toIvEEEENSI_INSH_8argumentILj0EEEEENSH_5valueIlEEEEEEEEENSD_19counting_iterator_tIlEES8_S8_S8_S8_S8_S8_S8_S8_EEEEPS9_S9_NSD_9__find_if7functorIS9_EEEE10hipError_tPvRmT1_T2_T3_mT4_P12ihipStream_tbEUlT_E0_NS1_11comp_targetILNS1_3genE5ELNS1_11target_archE942ELNS1_3gpuE9ELNS1_3repE0EEENS1_30default_config_static_selectorELNS0_4arch9wavefront6targetE1EEEvS17_.uses_flat_scratch, 0
	.set _ZN7rocprim17ROCPRIM_400000_NS6detail17trampoline_kernelINS0_14default_configENS1_22reduce_config_selectorIN6thrust23THRUST_200600_302600_NS5tupleIblNS6_9null_typeES8_S8_S8_S8_S8_S8_S8_EEEEZNS1_11reduce_implILb1ES3_NS6_12zip_iteratorINS7_INS6_11hip_rocprim26transform_input_iterator_tIbPlNS6_6detail10functional5actorINSH_9compositeIJNSH_27transparent_binary_operatorINS6_8equal_toIvEEEENSI_INSH_8argumentILj0EEEEENSH_5valueIlEEEEEEEEENSD_19counting_iterator_tIlEES8_S8_S8_S8_S8_S8_S8_S8_EEEEPS9_S9_NSD_9__find_if7functorIS9_EEEE10hipError_tPvRmT1_T2_T3_mT4_P12ihipStream_tbEUlT_E0_NS1_11comp_targetILNS1_3genE5ELNS1_11target_archE942ELNS1_3gpuE9ELNS1_3repE0EEENS1_30default_config_static_selectorELNS0_4arch9wavefront6targetE1EEEvS17_.has_dyn_sized_stack, 0
	.set _ZN7rocprim17ROCPRIM_400000_NS6detail17trampoline_kernelINS0_14default_configENS1_22reduce_config_selectorIN6thrust23THRUST_200600_302600_NS5tupleIblNS6_9null_typeES8_S8_S8_S8_S8_S8_S8_EEEEZNS1_11reduce_implILb1ES3_NS6_12zip_iteratorINS7_INS6_11hip_rocprim26transform_input_iterator_tIbPlNS6_6detail10functional5actorINSH_9compositeIJNSH_27transparent_binary_operatorINS6_8equal_toIvEEEENSI_INSH_8argumentILj0EEEEENSH_5valueIlEEEEEEEEENSD_19counting_iterator_tIlEES8_S8_S8_S8_S8_S8_S8_S8_EEEEPS9_S9_NSD_9__find_if7functorIS9_EEEE10hipError_tPvRmT1_T2_T3_mT4_P12ihipStream_tbEUlT_E0_NS1_11comp_targetILNS1_3genE5ELNS1_11target_archE942ELNS1_3gpuE9ELNS1_3repE0EEENS1_30default_config_static_selectorELNS0_4arch9wavefront6targetE1EEEvS17_.has_recursion, 0
	.set _ZN7rocprim17ROCPRIM_400000_NS6detail17trampoline_kernelINS0_14default_configENS1_22reduce_config_selectorIN6thrust23THRUST_200600_302600_NS5tupleIblNS6_9null_typeES8_S8_S8_S8_S8_S8_S8_EEEEZNS1_11reduce_implILb1ES3_NS6_12zip_iteratorINS7_INS6_11hip_rocprim26transform_input_iterator_tIbPlNS6_6detail10functional5actorINSH_9compositeIJNSH_27transparent_binary_operatorINS6_8equal_toIvEEEENSI_INSH_8argumentILj0EEEEENSH_5valueIlEEEEEEEEENSD_19counting_iterator_tIlEES8_S8_S8_S8_S8_S8_S8_S8_EEEEPS9_S9_NSD_9__find_if7functorIS9_EEEE10hipError_tPvRmT1_T2_T3_mT4_P12ihipStream_tbEUlT_E0_NS1_11comp_targetILNS1_3genE5ELNS1_11target_archE942ELNS1_3gpuE9ELNS1_3repE0EEENS1_30default_config_static_selectorELNS0_4arch9wavefront6targetE1EEEvS17_.has_indirect_call, 0
	.section	.AMDGPU.csdata,"",@progbits
; Kernel info:
; codeLenInByte = 0
; TotalNumSgprs: 4
; NumVgprs: 0
; ScratchSize: 0
; MemoryBound: 0
; FloatMode: 240
; IeeeMode: 1
; LDSByteSize: 0 bytes/workgroup (compile time only)
; SGPRBlocks: 0
; VGPRBlocks: 0
; NumSGPRsForWavesPerEU: 4
; NumVGPRsForWavesPerEU: 1
; Occupancy: 10
; WaveLimiterHint : 0
; COMPUTE_PGM_RSRC2:SCRATCH_EN: 0
; COMPUTE_PGM_RSRC2:USER_SGPR: 6
; COMPUTE_PGM_RSRC2:TRAP_HANDLER: 0
; COMPUTE_PGM_RSRC2:TGID_X_EN: 1
; COMPUTE_PGM_RSRC2:TGID_Y_EN: 0
; COMPUTE_PGM_RSRC2:TGID_Z_EN: 0
; COMPUTE_PGM_RSRC2:TIDIG_COMP_CNT: 0
	.section	.text._ZN7rocprim17ROCPRIM_400000_NS6detail17trampoline_kernelINS0_14default_configENS1_22reduce_config_selectorIN6thrust23THRUST_200600_302600_NS5tupleIblNS6_9null_typeES8_S8_S8_S8_S8_S8_S8_EEEEZNS1_11reduce_implILb1ES3_NS6_12zip_iteratorINS7_INS6_11hip_rocprim26transform_input_iterator_tIbPlNS6_6detail10functional5actorINSH_9compositeIJNSH_27transparent_binary_operatorINS6_8equal_toIvEEEENSI_INSH_8argumentILj0EEEEENSH_5valueIlEEEEEEEEENSD_19counting_iterator_tIlEES8_S8_S8_S8_S8_S8_S8_S8_EEEEPS9_S9_NSD_9__find_if7functorIS9_EEEE10hipError_tPvRmT1_T2_T3_mT4_P12ihipStream_tbEUlT_E0_NS1_11comp_targetILNS1_3genE4ELNS1_11target_archE910ELNS1_3gpuE8ELNS1_3repE0EEENS1_30default_config_static_selectorELNS0_4arch9wavefront6targetE1EEEvS17_,"axG",@progbits,_ZN7rocprim17ROCPRIM_400000_NS6detail17trampoline_kernelINS0_14default_configENS1_22reduce_config_selectorIN6thrust23THRUST_200600_302600_NS5tupleIblNS6_9null_typeES8_S8_S8_S8_S8_S8_S8_EEEEZNS1_11reduce_implILb1ES3_NS6_12zip_iteratorINS7_INS6_11hip_rocprim26transform_input_iterator_tIbPlNS6_6detail10functional5actorINSH_9compositeIJNSH_27transparent_binary_operatorINS6_8equal_toIvEEEENSI_INSH_8argumentILj0EEEEENSH_5valueIlEEEEEEEEENSD_19counting_iterator_tIlEES8_S8_S8_S8_S8_S8_S8_S8_EEEEPS9_S9_NSD_9__find_if7functorIS9_EEEE10hipError_tPvRmT1_T2_T3_mT4_P12ihipStream_tbEUlT_E0_NS1_11comp_targetILNS1_3genE4ELNS1_11target_archE910ELNS1_3gpuE8ELNS1_3repE0EEENS1_30default_config_static_selectorELNS0_4arch9wavefront6targetE1EEEvS17_,comdat
	.protected	_ZN7rocprim17ROCPRIM_400000_NS6detail17trampoline_kernelINS0_14default_configENS1_22reduce_config_selectorIN6thrust23THRUST_200600_302600_NS5tupleIblNS6_9null_typeES8_S8_S8_S8_S8_S8_S8_EEEEZNS1_11reduce_implILb1ES3_NS6_12zip_iteratorINS7_INS6_11hip_rocprim26transform_input_iterator_tIbPlNS6_6detail10functional5actorINSH_9compositeIJNSH_27transparent_binary_operatorINS6_8equal_toIvEEEENSI_INSH_8argumentILj0EEEEENSH_5valueIlEEEEEEEEENSD_19counting_iterator_tIlEES8_S8_S8_S8_S8_S8_S8_S8_EEEEPS9_S9_NSD_9__find_if7functorIS9_EEEE10hipError_tPvRmT1_T2_T3_mT4_P12ihipStream_tbEUlT_E0_NS1_11comp_targetILNS1_3genE4ELNS1_11target_archE910ELNS1_3gpuE8ELNS1_3repE0EEENS1_30default_config_static_selectorELNS0_4arch9wavefront6targetE1EEEvS17_ ; -- Begin function _ZN7rocprim17ROCPRIM_400000_NS6detail17trampoline_kernelINS0_14default_configENS1_22reduce_config_selectorIN6thrust23THRUST_200600_302600_NS5tupleIblNS6_9null_typeES8_S8_S8_S8_S8_S8_S8_EEEEZNS1_11reduce_implILb1ES3_NS6_12zip_iteratorINS7_INS6_11hip_rocprim26transform_input_iterator_tIbPlNS6_6detail10functional5actorINSH_9compositeIJNSH_27transparent_binary_operatorINS6_8equal_toIvEEEENSI_INSH_8argumentILj0EEEEENSH_5valueIlEEEEEEEEENSD_19counting_iterator_tIlEES8_S8_S8_S8_S8_S8_S8_S8_EEEEPS9_S9_NSD_9__find_if7functorIS9_EEEE10hipError_tPvRmT1_T2_T3_mT4_P12ihipStream_tbEUlT_E0_NS1_11comp_targetILNS1_3genE4ELNS1_11target_archE910ELNS1_3gpuE8ELNS1_3repE0EEENS1_30default_config_static_selectorELNS0_4arch9wavefront6targetE1EEEvS17_
	.globl	_ZN7rocprim17ROCPRIM_400000_NS6detail17trampoline_kernelINS0_14default_configENS1_22reduce_config_selectorIN6thrust23THRUST_200600_302600_NS5tupleIblNS6_9null_typeES8_S8_S8_S8_S8_S8_S8_EEEEZNS1_11reduce_implILb1ES3_NS6_12zip_iteratorINS7_INS6_11hip_rocprim26transform_input_iterator_tIbPlNS6_6detail10functional5actorINSH_9compositeIJNSH_27transparent_binary_operatorINS6_8equal_toIvEEEENSI_INSH_8argumentILj0EEEEENSH_5valueIlEEEEEEEEENSD_19counting_iterator_tIlEES8_S8_S8_S8_S8_S8_S8_S8_EEEEPS9_S9_NSD_9__find_if7functorIS9_EEEE10hipError_tPvRmT1_T2_T3_mT4_P12ihipStream_tbEUlT_E0_NS1_11comp_targetILNS1_3genE4ELNS1_11target_archE910ELNS1_3gpuE8ELNS1_3repE0EEENS1_30default_config_static_selectorELNS0_4arch9wavefront6targetE1EEEvS17_
	.p2align	8
	.type	_ZN7rocprim17ROCPRIM_400000_NS6detail17trampoline_kernelINS0_14default_configENS1_22reduce_config_selectorIN6thrust23THRUST_200600_302600_NS5tupleIblNS6_9null_typeES8_S8_S8_S8_S8_S8_S8_EEEEZNS1_11reduce_implILb1ES3_NS6_12zip_iteratorINS7_INS6_11hip_rocprim26transform_input_iterator_tIbPlNS6_6detail10functional5actorINSH_9compositeIJNSH_27transparent_binary_operatorINS6_8equal_toIvEEEENSI_INSH_8argumentILj0EEEEENSH_5valueIlEEEEEEEEENSD_19counting_iterator_tIlEES8_S8_S8_S8_S8_S8_S8_S8_EEEEPS9_S9_NSD_9__find_if7functorIS9_EEEE10hipError_tPvRmT1_T2_T3_mT4_P12ihipStream_tbEUlT_E0_NS1_11comp_targetILNS1_3genE4ELNS1_11target_archE910ELNS1_3gpuE8ELNS1_3repE0EEENS1_30default_config_static_selectorELNS0_4arch9wavefront6targetE1EEEvS17_,@function
_ZN7rocprim17ROCPRIM_400000_NS6detail17trampoline_kernelINS0_14default_configENS1_22reduce_config_selectorIN6thrust23THRUST_200600_302600_NS5tupleIblNS6_9null_typeES8_S8_S8_S8_S8_S8_S8_EEEEZNS1_11reduce_implILb1ES3_NS6_12zip_iteratorINS7_INS6_11hip_rocprim26transform_input_iterator_tIbPlNS6_6detail10functional5actorINSH_9compositeIJNSH_27transparent_binary_operatorINS6_8equal_toIvEEEENSI_INSH_8argumentILj0EEEEENSH_5valueIlEEEEEEEEENSD_19counting_iterator_tIlEES8_S8_S8_S8_S8_S8_S8_S8_EEEEPS9_S9_NSD_9__find_if7functorIS9_EEEE10hipError_tPvRmT1_T2_T3_mT4_P12ihipStream_tbEUlT_E0_NS1_11comp_targetILNS1_3genE4ELNS1_11target_archE910ELNS1_3gpuE8ELNS1_3repE0EEENS1_30default_config_static_selectorELNS0_4arch9wavefront6targetE1EEEvS17_: ; @_ZN7rocprim17ROCPRIM_400000_NS6detail17trampoline_kernelINS0_14default_configENS1_22reduce_config_selectorIN6thrust23THRUST_200600_302600_NS5tupleIblNS6_9null_typeES8_S8_S8_S8_S8_S8_S8_EEEEZNS1_11reduce_implILb1ES3_NS6_12zip_iteratorINS7_INS6_11hip_rocprim26transform_input_iterator_tIbPlNS6_6detail10functional5actorINSH_9compositeIJNSH_27transparent_binary_operatorINS6_8equal_toIvEEEENSI_INSH_8argumentILj0EEEEENSH_5valueIlEEEEEEEEENSD_19counting_iterator_tIlEES8_S8_S8_S8_S8_S8_S8_S8_EEEEPS9_S9_NSD_9__find_if7functorIS9_EEEE10hipError_tPvRmT1_T2_T3_mT4_P12ihipStream_tbEUlT_E0_NS1_11comp_targetILNS1_3genE4ELNS1_11target_archE910ELNS1_3gpuE8ELNS1_3repE0EEENS1_30default_config_static_selectorELNS0_4arch9wavefront6targetE1EEEvS17_
; %bb.0:
	.section	.rodata,"a",@progbits
	.p2align	6, 0x0
	.amdhsa_kernel _ZN7rocprim17ROCPRIM_400000_NS6detail17trampoline_kernelINS0_14default_configENS1_22reduce_config_selectorIN6thrust23THRUST_200600_302600_NS5tupleIblNS6_9null_typeES8_S8_S8_S8_S8_S8_S8_EEEEZNS1_11reduce_implILb1ES3_NS6_12zip_iteratorINS7_INS6_11hip_rocprim26transform_input_iterator_tIbPlNS6_6detail10functional5actorINSH_9compositeIJNSH_27transparent_binary_operatorINS6_8equal_toIvEEEENSI_INSH_8argumentILj0EEEEENSH_5valueIlEEEEEEEEENSD_19counting_iterator_tIlEES8_S8_S8_S8_S8_S8_S8_S8_EEEEPS9_S9_NSD_9__find_if7functorIS9_EEEE10hipError_tPvRmT1_T2_T3_mT4_P12ihipStream_tbEUlT_E0_NS1_11comp_targetILNS1_3genE4ELNS1_11target_archE910ELNS1_3gpuE8ELNS1_3repE0EEENS1_30default_config_static_selectorELNS0_4arch9wavefront6targetE1EEEvS17_
		.amdhsa_group_segment_fixed_size 0
		.amdhsa_private_segment_fixed_size 0
		.amdhsa_kernarg_size 96
		.amdhsa_user_sgpr_count 6
		.amdhsa_user_sgpr_private_segment_buffer 1
		.amdhsa_user_sgpr_dispatch_ptr 0
		.amdhsa_user_sgpr_queue_ptr 0
		.amdhsa_user_sgpr_kernarg_segment_ptr 1
		.amdhsa_user_sgpr_dispatch_id 0
		.amdhsa_user_sgpr_flat_scratch_init 0
		.amdhsa_user_sgpr_private_segment_size 0
		.amdhsa_uses_dynamic_stack 0
		.amdhsa_system_sgpr_private_segment_wavefront_offset 0
		.amdhsa_system_sgpr_workgroup_id_x 1
		.amdhsa_system_sgpr_workgroup_id_y 0
		.amdhsa_system_sgpr_workgroup_id_z 0
		.amdhsa_system_sgpr_workgroup_info 0
		.amdhsa_system_vgpr_workitem_id 0
		.amdhsa_next_free_vgpr 1
		.amdhsa_next_free_sgpr 0
		.amdhsa_reserve_vcc 0
		.amdhsa_reserve_flat_scratch 0
		.amdhsa_float_round_mode_32 0
		.amdhsa_float_round_mode_16_64 0
		.amdhsa_float_denorm_mode_32 3
		.amdhsa_float_denorm_mode_16_64 3
		.amdhsa_dx10_clamp 1
		.amdhsa_ieee_mode 1
		.amdhsa_fp16_overflow 0
		.amdhsa_exception_fp_ieee_invalid_op 0
		.amdhsa_exception_fp_denorm_src 0
		.amdhsa_exception_fp_ieee_div_zero 0
		.amdhsa_exception_fp_ieee_overflow 0
		.amdhsa_exception_fp_ieee_underflow 0
		.amdhsa_exception_fp_ieee_inexact 0
		.amdhsa_exception_int_div_zero 0
	.end_amdhsa_kernel
	.section	.text._ZN7rocprim17ROCPRIM_400000_NS6detail17trampoline_kernelINS0_14default_configENS1_22reduce_config_selectorIN6thrust23THRUST_200600_302600_NS5tupleIblNS6_9null_typeES8_S8_S8_S8_S8_S8_S8_EEEEZNS1_11reduce_implILb1ES3_NS6_12zip_iteratorINS7_INS6_11hip_rocprim26transform_input_iterator_tIbPlNS6_6detail10functional5actorINSH_9compositeIJNSH_27transparent_binary_operatorINS6_8equal_toIvEEEENSI_INSH_8argumentILj0EEEEENSH_5valueIlEEEEEEEEENSD_19counting_iterator_tIlEES8_S8_S8_S8_S8_S8_S8_S8_EEEEPS9_S9_NSD_9__find_if7functorIS9_EEEE10hipError_tPvRmT1_T2_T3_mT4_P12ihipStream_tbEUlT_E0_NS1_11comp_targetILNS1_3genE4ELNS1_11target_archE910ELNS1_3gpuE8ELNS1_3repE0EEENS1_30default_config_static_selectorELNS0_4arch9wavefront6targetE1EEEvS17_,"axG",@progbits,_ZN7rocprim17ROCPRIM_400000_NS6detail17trampoline_kernelINS0_14default_configENS1_22reduce_config_selectorIN6thrust23THRUST_200600_302600_NS5tupleIblNS6_9null_typeES8_S8_S8_S8_S8_S8_S8_EEEEZNS1_11reduce_implILb1ES3_NS6_12zip_iteratorINS7_INS6_11hip_rocprim26transform_input_iterator_tIbPlNS6_6detail10functional5actorINSH_9compositeIJNSH_27transparent_binary_operatorINS6_8equal_toIvEEEENSI_INSH_8argumentILj0EEEEENSH_5valueIlEEEEEEEEENSD_19counting_iterator_tIlEES8_S8_S8_S8_S8_S8_S8_S8_EEEEPS9_S9_NSD_9__find_if7functorIS9_EEEE10hipError_tPvRmT1_T2_T3_mT4_P12ihipStream_tbEUlT_E0_NS1_11comp_targetILNS1_3genE4ELNS1_11target_archE910ELNS1_3gpuE8ELNS1_3repE0EEENS1_30default_config_static_selectorELNS0_4arch9wavefront6targetE1EEEvS17_,comdat
.Lfunc_end1242:
	.size	_ZN7rocprim17ROCPRIM_400000_NS6detail17trampoline_kernelINS0_14default_configENS1_22reduce_config_selectorIN6thrust23THRUST_200600_302600_NS5tupleIblNS6_9null_typeES8_S8_S8_S8_S8_S8_S8_EEEEZNS1_11reduce_implILb1ES3_NS6_12zip_iteratorINS7_INS6_11hip_rocprim26transform_input_iterator_tIbPlNS6_6detail10functional5actorINSH_9compositeIJNSH_27transparent_binary_operatorINS6_8equal_toIvEEEENSI_INSH_8argumentILj0EEEEENSH_5valueIlEEEEEEEEENSD_19counting_iterator_tIlEES8_S8_S8_S8_S8_S8_S8_S8_EEEEPS9_S9_NSD_9__find_if7functorIS9_EEEE10hipError_tPvRmT1_T2_T3_mT4_P12ihipStream_tbEUlT_E0_NS1_11comp_targetILNS1_3genE4ELNS1_11target_archE910ELNS1_3gpuE8ELNS1_3repE0EEENS1_30default_config_static_selectorELNS0_4arch9wavefront6targetE1EEEvS17_, .Lfunc_end1242-_ZN7rocprim17ROCPRIM_400000_NS6detail17trampoline_kernelINS0_14default_configENS1_22reduce_config_selectorIN6thrust23THRUST_200600_302600_NS5tupleIblNS6_9null_typeES8_S8_S8_S8_S8_S8_S8_EEEEZNS1_11reduce_implILb1ES3_NS6_12zip_iteratorINS7_INS6_11hip_rocprim26transform_input_iterator_tIbPlNS6_6detail10functional5actorINSH_9compositeIJNSH_27transparent_binary_operatorINS6_8equal_toIvEEEENSI_INSH_8argumentILj0EEEEENSH_5valueIlEEEEEEEEENSD_19counting_iterator_tIlEES8_S8_S8_S8_S8_S8_S8_S8_EEEEPS9_S9_NSD_9__find_if7functorIS9_EEEE10hipError_tPvRmT1_T2_T3_mT4_P12ihipStream_tbEUlT_E0_NS1_11comp_targetILNS1_3genE4ELNS1_11target_archE910ELNS1_3gpuE8ELNS1_3repE0EEENS1_30default_config_static_selectorELNS0_4arch9wavefront6targetE1EEEvS17_
                                        ; -- End function
	.set _ZN7rocprim17ROCPRIM_400000_NS6detail17trampoline_kernelINS0_14default_configENS1_22reduce_config_selectorIN6thrust23THRUST_200600_302600_NS5tupleIblNS6_9null_typeES8_S8_S8_S8_S8_S8_S8_EEEEZNS1_11reduce_implILb1ES3_NS6_12zip_iteratorINS7_INS6_11hip_rocprim26transform_input_iterator_tIbPlNS6_6detail10functional5actorINSH_9compositeIJNSH_27transparent_binary_operatorINS6_8equal_toIvEEEENSI_INSH_8argumentILj0EEEEENSH_5valueIlEEEEEEEEENSD_19counting_iterator_tIlEES8_S8_S8_S8_S8_S8_S8_S8_EEEEPS9_S9_NSD_9__find_if7functorIS9_EEEE10hipError_tPvRmT1_T2_T3_mT4_P12ihipStream_tbEUlT_E0_NS1_11comp_targetILNS1_3genE4ELNS1_11target_archE910ELNS1_3gpuE8ELNS1_3repE0EEENS1_30default_config_static_selectorELNS0_4arch9wavefront6targetE1EEEvS17_.num_vgpr, 0
	.set _ZN7rocprim17ROCPRIM_400000_NS6detail17trampoline_kernelINS0_14default_configENS1_22reduce_config_selectorIN6thrust23THRUST_200600_302600_NS5tupleIblNS6_9null_typeES8_S8_S8_S8_S8_S8_S8_EEEEZNS1_11reduce_implILb1ES3_NS6_12zip_iteratorINS7_INS6_11hip_rocprim26transform_input_iterator_tIbPlNS6_6detail10functional5actorINSH_9compositeIJNSH_27transparent_binary_operatorINS6_8equal_toIvEEEENSI_INSH_8argumentILj0EEEEENSH_5valueIlEEEEEEEEENSD_19counting_iterator_tIlEES8_S8_S8_S8_S8_S8_S8_S8_EEEEPS9_S9_NSD_9__find_if7functorIS9_EEEE10hipError_tPvRmT1_T2_T3_mT4_P12ihipStream_tbEUlT_E0_NS1_11comp_targetILNS1_3genE4ELNS1_11target_archE910ELNS1_3gpuE8ELNS1_3repE0EEENS1_30default_config_static_selectorELNS0_4arch9wavefront6targetE1EEEvS17_.num_agpr, 0
	.set _ZN7rocprim17ROCPRIM_400000_NS6detail17trampoline_kernelINS0_14default_configENS1_22reduce_config_selectorIN6thrust23THRUST_200600_302600_NS5tupleIblNS6_9null_typeES8_S8_S8_S8_S8_S8_S8_EEEEZNS1_11reduce_implILb1ES3_NS6_12zip_iteratorINS7_INS6_11hip_rocprim26transform_input_iterator_tIbPlNS6_6detail10functional5actorINSH_9compositeIJNSH_27transparent_binary_operatorINS6_8equal_toIvEEEENSI_INSH_8argumentILj0EEEEENSH_5valueIlEEEEEEEEENSD_19counting_iterator_tIlEES8_S8_S8_S8_S8_S8_S8_S8_EEEEPS9_S9_NSD_9__find_if7functorIS9_EEEE10hipError_tPvRmT1_T2_T3_mT4_P12ihipStream_tbEUlT_E0_NS1_11comp_targetILNS1_3genE4ELNS1_11target_archE910ELNS1_3gpuE8ELNS1_3repE0EEENS1_30default_config_static_selectorELNS0_4arch9wavefront6targetE1EEEvS17_.numbered_sgpr, 0
	.set _ZN7rocprim17ROCPRIM_400000_NS6detail17trampoline_kernelINS0_14default_configENS1_22reduce_config_selectorIN6thrust23THRUST_200600_302600_NS5tupleIblNS6_9null_typeES8_S8_S8_S8_S8_S8_S8_EEEEZNS1_11reduce_implILb1ES3_NS6_12zip_iteratorINS7_INS6_11hip_rocprim26transform_input_iterator_tIbPlNS6_6detail10functional5actorINSH_9compositeIJNSH_27transparent_binary_operatorINS6_8equal_toIvEEEENSI_INSH_8argumentILj0EEEEENSH_5valueIlEEEEEEEEENSD_19counting_iterator_tIlEES8_S8_S8_S8_S8_S8_S8_S8_EEEEPS9_S9_NSD_9__find_if7functorIS9_EEEE10hipError_tPvRmT1_T2_T3_mT4_P12ihipStream_tbEUlT_E0_NS1_11comp_targetILNS1_3genE4ELNS1_11target_archE910ELNS1_3gpuE8ELNS1_3repE0EEENS1_30default_config_static_selectorELNS0_4arch9wavefront6targetE1EEEvS17_.num_named_barrier, 0
	.set _ZN7rocprim17ROCPRIM_400000_NS6detail17trampoline_kernelINS0_14default_configENS1_22reduce_config_selectorIN6thrust23THRUST_200600_302600_NS5tupleIblNS6_9null_typeES8_S8_S8_S8_S8_S8_S8_EEEEZNS1_11reduce_implILb1ES3_NS6_12zip_iteratorINS7_INS6_11hip_rocprim26transform_input_iterator_tIbPlNS6_6detail10functional5actorINSH_9compositeIJNSH_27transparent_binary_operatorINS6_8equal_toIvEEEENSI_INSH_8argumentILj0EEEEENSH_5valueIlEEEEEEEEENSD_19counting_iterator_tIlEES8_S8_S8_S8_S8_S8_S8_S8_EEEEPS9_S9_NSD_9__find_if7functorIS9_EEEE10hipError_tPvRmT1_T2_T3_mT4_P12ihipStream_tbEUlT_E0_NS1_11comp_targetILNS1_3genE4ELNS1_11target_archE910ELNS1_3gpuE8ELNS1_3repE0EEENS1_30default_config_static_selectorELNS0_4arch9wavefront6targetE1EEEvS17_.private_seg_size, 0
	.set _ZN7rocprim17ROCPRIM_400000_NS6detail17trampoline_kernelINS0_14default_configENS1_22reduce_config_selectorIN6thrust23THRUST_200600_302600_NS5tupleIblNS6_9null_typeES8_S8_S8_S8_S8_S8_S8_EEEEZNS1_11reduce_implILb1ES3_NS6_12zip_iteratorINS7_INS6_11hip_rocprim26transform_input_iterator_tIbPlNS6_6detail10functional5actorINSH_9compositeIJNSH_27transparent_binary_operatorINS6_8equal_toIvEEEENSI_INSH_8argumentILj0EEEEENSH_5valueIlEEEEEEEEENSD_19counting_iterator_tIlEES8_S8_S8_S8_S8_S8_S8_S8_EEEEPS9_S9_NSD_9__find_if7functorIS9_EEEE10hipError_tPvRmT1_T2_T3_mT4_P12ihipStream_tbEUlT_E0_NS1_11comp_targetILNS1_3genE4ELNS1_11target_archE910ELNS1_3gpuE8ELNS1_3repE0EEENS1_30default_config_static_selectorELNS0_4arch9wavefront6targetE1EEEvS17_.uses_vcc, 0
	.set _ZN7rocprim17ROCPRIM_400000_NS6detail17trampoline_kernelINS0_14default_configENS1_22reduce_config_selectorIN6thrust23THRUST_200600_302600_NS5tupleIblNS6_9null_typeES8_S8_S8_S8_S8_S8_S8_EEEEZNS1_11reduce_implILb1ES3_NS6_12zip_iteratorINS7_INS6_11hip_rocprim26transform_input_iterator_tIbPlNS6_6detail10functional5actorINSH_9compositeIJNSH_27transparent_binary_operatorINS6_8equal_toIvEEEENSI_INSH_8argumentILj0EEEEENSH_5valueIlEEEEEEEEENSD_19counting_iterator_tIlEES8_S8_S8_S8_S8_S8_S8_S8_EEEEPS9_S9_NSD_9__find_if7functorIS9_EEEE10hipError_tPvRmT1_T2_T3_mT4_P12ihipStream_tbEUlT_E0_NS1_11comp_targetILNS1_3genE4ELNS1_11target_archE910ELNS1_3gpuE8ELNS1_3repE0EEENS1_30default_config_static_selectorELNS0_4arch9wavefront6targetE1EEEvS17_.uses_flat_scratch, 0
	.set _ZN7rocprim17ROCPRIM_400000_NS6detail17trampoline_kernelINS0_14default_configENS1_22reduce_config_selectorIN6thrust23THRUST_200600_302600_NS5tupleIblNS6_9null_typeES8_S8_S8_S8_S8_S8_S8_EEEEZNS1_11reduce_implILb1ES3_NS6_12zip_iteratorINS7_INS6_11hip_rocprim26transform_input_iterator_tIbPlNS6_6detail10functional5actorINSH_9compositeIJNSH_27transparent_binary_operatorINS6_8equal_toIvEEEENSI_INSH_8argumentILj0EEEEENSH_5valueIlEEEEEEEEENSD_19counting_iterator_tIlEES8_S8_S8_S8_S8_S8_S8_S8_EEEEPS9_S9_NSD_9__find_if7functorIS9_EEEE10hipError_tPvRmT1_T2_T3_mT4_P12ihipStream_tbEUlT_E0_NS1_11comp_targetILNS1_3genE4ELNS1_11target_archE910ELNS1_3gpuE8ELNS1_3repE0EEENS1_30default_config_static_selectorELNS0_4arch9wavefront6targetE1EEEvS17_.has_dyn_sized_stack, 0
	.set _ZN7rocprim17ROCPRIM_400000_NS6detail17trampoline_kernelINS0_14default_configENS1_22reduce_config_selectorIN6thrust23THRUST_200600_302600_NS5tupleIblNS6_9null_typeES8_S8_S8_S8_S8_S8_S8_EEEEZNS1_11reduce_implILb1ES3_NS6_12zip_iteratorINS7_INS6_11hip_rocprim26transform_input_iterator_tIbPlNS6_6detail10functional5actorINSH_9compositeIJNSH_27transparent_binary_operatorINS6_8equal_toIvEEEENSI_INSH_8argumentILj0EEEEENSH_5valueIlEEEEEEEEENSD_19counting_iterator_tIlEES8_S8_S8_S8_S8_S8_S8_S8_EEEEPS9_S9_NSD_9__find_if7functorIS9_EEEE10hipError_tPvRmT1_T2_T3_mT4_P12ihipStream_tbEUlT_E0_NS1_11comp_targetILNS1_3genE4ELNS1_11target_archE910ELNS1_3gpuE8ELNS1_3repE0EEENS1_30default_config_static_selectorELNS0_4arch9wavefront6targetE1EEEvS17_.has_recursion, 0
	.set _ZN7rocprim17ROCPRIM_400000_NS6detail17trampoline_kernelINS0_14default_configENS1_22reduce_config_selectorIN6thrust23THRUST_200600_302600_NS5tupleIblNS6_9null_typeES8_S8_S8_S8_S8_S8_S8_EEEEZNS1_11reduce_implILb1ES3_NS6_12zip_iteratorINS7_INS6_11hip_rocprim26transform_input_iterator_tIbPlNS6_6detail10functional5actorINSH_9compositeIJNSH_27transparent_binary_operatorINS6_8equal_toIvEEEENSI_INSH_8argumentILj0EEEEENSH_5valueIlEEEEEEEEENSD_19counting_iterator_tIlEES8_S8_S8_S8_S8_S8_S8_S8_EEEEPS9_S9_NSD_9__find_if7functorIS9_EEEE10hipError_tPvRmT1_T2_T3_mT4_P12ihipStream_tbEUlT_E0_NS1_11comp_targetILNS1_3genE4ELNS1_11target_archE910ELNS1_3gpuE8ELNS1_3repE0EEENS1_30default_config_static_selectorELNS0_4arch9wavefront6targetE1EEEvS17_.has_indirect_call, 0
	.section	.AMDGPU.csdata,"",@progbits
; Kernel info:
; codeLenInByte = 0
; TotalNumSgprs: 4
; NumVgprs: 0
; ScratchSize: 0
; MemoryBound: 0
; FloatMode: 240
; IeeeMode: 1
; LDSByteSize: 0 bytes/workgroup (compile time only)
; SGPRBlocks: 0
; VGPRBlocks: 0
; NumSGPRsForWavesPerEU: 4
; NumVGPRsForWavesPerEU: 1
; Occupancy: 10
; WaveLimiterHint : 0
; COMPUTE_PGM_RSRC2:SCRATCH_EN: 0
; COMPUTE_PGM_RSRC2:USER_SGPR: 6
; COMPUTE_PGM_RSRC2:TRAP_HANDLER: 0
; COMPUTE_PGM_RSRC2:TGID_X_EN: 1
; COMPUTE_PGM_RSRC2:TGID_Y_EN: 0
; COMPUTE_PGM_RSRC2:TGID_Z_EN: 0
; COMPUTE_PGM_RSRC2:TIDIG_COMP_CNT: 0
	.section	.text._ZN7rocprim17ROCPRIM_400000_NS6detail17trampoline_kernelINS0_14default_configENS1_22reduce_config_selectorIN6thrust23THRUST_200600_302600_NS5tupleIblNS6_9null_typeES8_S8_S8_S8_S8_S8_S8_EEEEZNS1_11reduce_implILb1ES3_NS6_12zip_iteratorINS7_INS6_11hip_rocprim26transform_input_iterator_tIbPlNS6_6detail10functional5actorINSH_9compositeIJNSH_27transparent_binary_operatorINS6_8equal_toIvEEEENSI_INSH_8argumentILj0EEEEENSH_5valueIlEEEEEEEEENSD_19counting_iterator_tIlEES8_S8_S8_S8_S8_S8_S8_S8_EEEEPS9_S9_NSD_9__find_if7functorIS9_EEEE10hipError_tPvRmT1_T2_T3_mT4_P12ihipStream_tbEUlT_E0_NS1_11comp_targetILNS1_3genE3ELNS1_11target_archE908ELNS1_3gpuE7ELNS1_3repE0EEENS1_30default_config_static_selectorELNS0_4arch9wavefront6targetE1EEEvS17_,"axG",@progbits,_ZN7rocprim17ROCPRIM_400000_NS6detail17trampoline_kernelINS0_14default_configENS1_22reduce_config_selectorIN6thrust23THRUST_200600_302600_NS5tupleIblNS6_9null_typeES8_S8_S8_S8_S8_S8_S8_EEEEZNS1_11reduce_implILb1ES3_NS6_12zip_iteratorINS7_INS6_11hip_rocprim26transform_input_iterator_tIbPlNS6_6detail10functional5actorINSH_9compositeIJNSH_27transparent_binary_operatorINS6_8equal_toIvEEEENSI_INSH_8argumentILj0EEEEENSH_5valueIlEEEEEEEEENSD_19counting_iterator_tIlEES8_S8_S8_S8_S8_S8_S8_S8_EEEEPS9_S9_NSD_9__find_if7functorIS9_EEEE10hipError_tPvRmT1_T2_T3_mT4_P12ihipStream_tbEUlT_E0_NS1_11comp_targetILNS1_3genE3ELNS1_11target_archE908ELNS1_3gpuE7ELNS1_3repE0EEENS1_30default_config_static_selectorELNS0_4arch9wavefront6targetE1EEEvS17_,comdat
	.protected	_ZN7rocprim17ROCPRIM_400000_NS6detail17trampoline_kernelINS0_14default_configENS1_22reduce_config_selectorIN6thrust23THRUST_200600_302600_NS5tupleIblNS6_9null_typeES8_S8_S8_S8_S8_S8_S8_EEEEZNS1_11reduce_implILb1ES3_NS6_12zip_iteratorINS7_INS6_11hip_rocprim26transform_input_iterator_tIbPlNS6_6detail10functional5actorINSH_9compositeIJNSH_27transparent_binary_operatorINS6_8equal_toIvEEEENSI_INSH_8argumentILj0EEEEENSH_5valueIlEEEEEEEEENSD_19counting_iterator_tIlEES8_S8_S8_S8_S8_S8_S8_S8_EEEEPS9_S9_NSD_9__find_if7functorIS9_EEEE10hipError_tPvRmT1_T2_T3_mT4_P12ihipStream_tbEUlT_E0_NS1_11comp_targetILNS1_3genE3ELNS1_11target_archE908ELNS1_3gpuE7ELNS1_3repE0EEENS1_30default_config_static_selectorELNS0_4arch9wavefront6targetE1EEEvS17_ ; -- Begin function _ZN7rocprim17ROCPRIM_400000_NS6detail17trampoline_kernelINS0_14default_configENS1_22reduce_config_selectorIN6thrust23THRUST_200600_302600_NS5tupleIblNS6_9null_typeES8_S8_S8_S8_S8_S8_S8_EEEEZNS1_11reduce_implILb1ES3_NS6_12zip_iteratorINS7_INS6_11hip_rocprim26transform_input_iterator_tIbPlNS6_6detail10functional5actorINSH_9compositeIJNSH_27transparent_binary_operatorINS6_8equal_toIvEEEENSI_INSH_8argumentILj0EEEEENSH_5valueIlEEEEEEEEENSD_19counting_iterator_tIlEES8_S8_S8_S8_S8_S8_S8_S8_EEEEPS9_S9_NSD_9__find_if7functorIS9_EEEE10hipError_tPvRmT1_T2_T3_mT4_P12ihipStream_tbEUlT_E0_NS1_11comp_targetILNS1_3genE3ELNS1_11target_archE908ELNS1_3gpuE7ELNS1_3repE0EEENS1_30default_config_static_selectorELNS0_4arch9wavefront6targetE1EEEvS17_
	.globl	_ZN7rocprim17ROCPRIM_400000_NS6detail17trampoline_kernelINS0_14default_configENS1_22reduce_config_selectorIN6thrust23THRUST_200600_302600_NS5tupleIblNS6_9null_typeES8_S8_S8_S8_S8_S8_S8_EEEEZNS1_11reduce_implILb1ES3_NS6_12zip_iteratorINS7_INS6_11hip_rocprim26transform_input_iterator_tIbPlNS6_6detail10functional5actorINSH_9compositeIJNSH_27transparent_binary_operatorINS6_8equal_toIvEEEENSI_INSH_8argumentILj0EEEEENSH_5valueIlEEEEEEEEENSD_19counting_iterator_tIlEES8_S8_S8_S8_S8_S8_S8_S8_EEEEPS9_S9_NSD_9__find_if7functorIS9_EEEE10hipError_tPvRmT1_T2_T3_mT4_P12ihipStream_tbEUlT_E0_NS1_11comp_targetILNS1_3genE3ELNS1_11target_archE908ELNS1_3gpuE7ELNS1_3repE0EEENS1_30default_config_static_selectorELNS0_4arch9wavefront6targetE1EEEvS17_
	.p2align	8
	.type	_ZN7rocprim17ROCPRIM_400000_NS6detail17trampoline_kernelINS0_14default_configENS1_22reduce_config_selectorIN6thrust23THRUST_200600_302600_NS5tupleIblNS6_9null_typeES8_S8_S8_S8_S8_S8_S8_EEEEZNS1_11reduce_implILb1ES3_NS6_12zip_iteratorINS7_INS6_11hip_rocprim26transform_input_iterator_tIbPlNS6_6detail10functional5actorINSH_9compositeIJNSH_27transparent_binary_operatorINS6_8equal_toIvEEEENSI_INSH_8argumentILj0EEEEENSH_5valueIlEEEEEEEEENSD_19counting_iterator_tIlEES8_S8_S8_S8_S8_S8_S8_S8_EEEEPS9_S9_NSD_9__find_if7functorIS9_EEEE10hipError_tPvRmT1_T2_T3_mT4_P12ihipStream_tbEUlT_E0_NS1_11comp_targetILNS1_3genE3ELNS1_11target_archE908ELNS1_3gpuE7ELNS1_3repE0EEENS1_30default_config_static_selectorELNS0_4arch9wavefront6targetE1EEEvS17_,@function
_ZN7rocprim17ROCPRIM_400000_NS6detail17trampoline_kernelINS0_14default_configENS1_22reduce_config_selectorIN6thrust23THRUST_200600_302600_NS5tupleIblNS6_9null_typeES8_S8_S8_S8_S8_S8_S8_EEEEZNS1_11reduce_implILb1ES3_NS6_12zip_iteratorINS7_INS6_11hip_rocprim26transform_input_iterator_tIbPlNS6_6detail10functional5actorINSH_9compositeIJNSH_27transparent_binary_operatorINS6_8equal_toIvEEEENSI_INSH_8argumentILj0EEEEENSH_5valueIlEEEEEEEEENSD_19counting_iterator_tIlEES8_S8_S8_S8_S8_S8_S8_S8_EEEEPS9_S9_NSD_9__find_if7functorIS9_EEEE10hipError_tPvRmT1_T2_T3_mT4_P12ihipStream_tbEUlT_E0_NS1_11comp_targetILNS1_3genE3ELNS1_11target_archE908ELNS1_3gpuE7ELNS1_3repE0EEENS1_30default_config_static_selectorELNS0_4arch9wavefront6targetE1EEEvS17_: ; @_ZN7rocprim17ROCPRIM_400000_NS6detail17trampoline_kernelINS0_14default_configENS1_22reduce_config_selectorIN6thrust23THRUST_200600_302600_NS5tupleIblNS6_9null_typeES8_S8_S8_S8_S8_S8_S8_EEEEZNS1_11reduce_implILb1ES3_NS6_12zip_iteratorINS7_INS6_11hip_rocprim26transform_input_iterator_tIbPlNS6_6detail10functional5actorINSH_9compositeIJNSH_27transparent_binary_operatorINS6_8equal_toIvEEEENSI_INSH_8argumentILj0EEEEENSH_5valueIlEEEEEEEEENSD_19counting_iterator_tIlEES8_S8_S8_S8_S8_S8_S8_S8_EEEEPS9_S9_NSD_9__find_if7functorIS9_EEEE10hipError_tPvRmT1_T2_T3_mT4_P12ihipStream_tbEUlT_E0_NS1_11comp_targetILNS1_3genE3ELNS1_11target_archE908ELNS1_3gpuE7ELNS1_3repE0EEENS1_30default_config_static_selectorELNS0_4arch9wavefront6targetE1EEEvS17_
; %bb.0:
	.section	.rodata,"a",@progbits
	.p2align	6, 0x0
	.amdhsa_kernel _ZN7rocprim17ROCPRIM_400000_NS6detail17trampoline_kernelINS0_14default_configENS1_22reduce_config_selectorIN6thrust23THRUST_200600_302600_NS5tupleIblNS6_9null_typeES8_S8_S8_S8_S8_S8_S8_EEEEZNS1_11reduce_implILb1ES3_NS6_12zip_iteratorINS7_INS6_11hip_rocprim26transform_input_iterator_tIbPlNS6_6detail10functional5actorINSH_9compositeIJNSH_27transparent_binary_operatorINS6_8equal_toIvEEEENSI_INSH_8argumentILj0EEEEENSH_5valueIlEEEEEEEEENSD_19counting_iterator_tIlEES8_S8_S8_S8_S8_S8_S8_S8_EEEEPS9_S9_NSD_9__find_if7functorIS9_EEEE10hipError_tPvRmT1_T2_T3_mT4_P12ihipStream_tbEUlT_E0_NS1_11comp_targetILNS1_3genE3ELNS1_11target_archE908ELNS1_3gpuE7ELNS1_3repE0EEENS1_30default_config_static_selectorELNS0_4arch9wavefront6targetE1EEEvS17_
		.amdhsa_group_segment_fixed_size 0
		.amdhsa_private_segment_fixed_size 0
		.amdhsa_kernarg_size 96
		.amdhsa_user_sgpr_count 6
		.amdhsa_user_sgpr_private_segment_buffer 1
		.amdhsa_user_sgpr_dispatch_ptr 0
		.amdhsa_user_sgpr_queue_ptr 0
		.amdhsa_user_sgpr_kernarg_segment_ptr 1
		.amdhsa_user_sgpr_dispatch_id 0
		.amdhsa_user_sgpr_flat_scratch_init 0
		.amdhsa_user_sgpr_private_segment_size 0
		.amdhsa_uses_dynamic_stack 0
		.amdhsa_system_sgpr_private_segment_wavefront_offset 0
		.amdhsa_system_sgpr_workgroup_id_x 1
		.amdhsa_system_sgpr_workgroup_id_y 0
		.amdhsa_system_sgpr_workgroup_id_z 0
		.amdhsa_system_sgpr_workgroup_info 0
		.amdhsa_system_vgpr_workitem_id 0
		.amdhsa_next_free_vgpr 1
		.amdhsa_next_free_sgpr 0
		.amdhsa_reserve_vcc 0
		.amdhsa_reserve_flat_scratch 0
		.amdhsa_float_round_mode_32 0
		.amdhsa_float_round_mode_16_64 0
		.amdhsa_float_denorm_mode_32 3
		.amdhsa_float_denorm_mode_16_64 3
		.amdhsa_dx10_clamp 1
		.amdhsa_ieee_mode 1
		.amdhsa_fp16_overflow 0
		.amdhsa_exception_fp_ieee_invalid_op 0
		.amdhsa_exception_fp_denorm_src 0
		.amdhsa_exception_fp_ieee_div_zero 0
		.amdhsa_exception_fp_ieee_overflow 0
		.amdhsa_exception_fp_ieee_underflow 0
		.amdhsa_exception_fp_ieee_inexact 0
		.amdhsa_exception_int_div_zero 0
	.end_amdhsa_kernel
	.section	.text._ZN7rocprim17ROCPRIM_400000_NS6detail17trampoline_kernelINS0_14default_configENS1_22reduce_config_selectorIN6thrust23THRUST_200600_302600_NS5tupleIblNS6_9null_typeES8_S8_S8_S8_S8_S8_S8_EEEEZNS1_11reduce_implILb1ES3_NS6_12zip_iteratorINS7_INS6_11hip_rocprim26transform_input_iterator_tIbPlNS6_6detail10functional5actorINSH_9compositeIJNSH_27transparent_binary_operatorINS6_8equal_toIvEEEENSI_INSH_8argumentILj0EEEEENSH_5valueIlEEEEEEEEENSD_19counting_iterator_tIlEES8_S8_S8_S8_S8_S8_S8_S8_EEEEPS9_S9_NSD_9__find_if7functorIS9_EEEE10hipError_tPvRmT1_T2_T3_mT4_P12ihipStream_tbEUlT_E0_NS1_11comp_targetILNS1_3genE3ELNS1_11target_archE908ELNS1_3gpuE7ELNS1_3repE0EEENS1_30default_config_static_selectorELNS0_4arch9wavefront6targetE1EEEvS17_,"axG",@progbits,_ZN7rocprim17ROCPRIM_400000_NS6detail17trampoline_kernelINS0_14default_configENS1_22reduce_config_selectorIN6thrust23THRUST_200600_302600_NS5tupleIblNS6_9null_typeES8_S8_S8_S8_S8_S8_S8_EEEEZNS1_11reduce_implILb1ES3_NS6_12zip_iteratorINS7_INS6_11hip_rocprim26transform_input_iterator_tIbPlNS6_6detail10functional5actorINSH_9compositeIJNSH_27transparent_binary_operatorINS6_8equal_toIvEEEENSI_INSH_8argumentILj0EEEEENSH_5valueIlEEEEEEEEENSD_19counting_iterator_tIlEES8_S8_S8_S8_S8_S8_S8_S8_EEEEPS9_S9_NSD_9__find_if7functorIS9_EEEE10hipError_tPvRmT1_T2_T3_mT4_P12ihipStream_tbEUlT_E0_NS1_11comp_targetILNS1_3genE3ELNS1_11target_archE908ELNS1_3gpuE7ELNS1_3repE0EEENS1_30default_config_static_selectorELNS0_4arch9wavefront6targetE1EEEvS17_,comdat
.Lfunc_end1243:
	.size	_ZN7rocprim17ROCPRIM_400000_NS6detail17trampoline_kernelINS0_14default_configENS1_22reduce_config_selectorIN6thrust23THRUST_200600_302600_NS5tupleIblNS6_9null_typeES8_S8_S8_S8_S8_S8_S8_EEEEZNS1_11reduce_implILb1ES3_NS6_12zip_iteratorINS7_INS6_11hip_rocprim26transform_input_iterator_tIbPlNS6_6detail10functional5actorINSH_9compositeIJNSH_27transparent_binary_operatorINS6_8equal_toIvEEEENSI_INSH_8argumentILj0EEEEENSH_5valueIlEEEEEEEEENSD_19counting_iterator_tIlEES8_S8_S8_S8_S8_S8_S8_S8_EEEEPS9_S9_NSD_9__find_if7functorIS9_EEEE10hipError_tPvRmT1_T2_T3_mT4_P12ihipStream_tbEUlT_E0_NS1_11comp_targetILNS1_3genE3ELNS1_11target_archE908ELNS1_3gpuE7ELNS1_3repE0EEENS1_30default_config_static_selectorELNS0_4arch9wavefront6targetE1EEEvS17_, .Lfunc_end1243-_ZN7rocprim17ROCPRIM_400000_NS6detail17trampoline_kernelINS0_14default_configENS1_22reduce_config_selectorIN6thrust23THRUST_200600_302600_NS5tupleIblNS6_9null_typeES8_S8_S8_S8_S8_S8_S8_EEEEZNS1_11reduce_implILb1ES3_NS6_12zip_iteratorINS7_INS6_11hip_rocprim26transform_input_iterator_tIbPlNS6_6detail10functional5actorINSH_9compositeIJNSH_27transparent_binary_operatorINS6_8equal_toIvEEEENSI_INSH_8argumentILj0EEEEENSH_5valueIlEEEEEEEEENSD_19counting_iterator_tIlEES8_S8_S8_S8_S8_S8_S8_S8_EEEEPS9_S9_NSD_9__find_if7functorIS9_EEEE10hipError_tPvRmT1_T2_T3_mT4_P12ihipStream_tbEUlT_E0_NS1_11comp_targetILNS1_3genE3ELNS1_11target_archE908ELNS1_3gpuE7ELNS1_3repE0EEENS1_30default_config_static_selectorELNS0_4arch9wavefront6targetE1EEEvS17_
                                        ; -- End function
	.set _ZN7rocprim17ROCPRIM_400000_NS6detail17trampoline_kernelINS0_14default_configENS1_22reduce_config_selectorIN6thrust23THRUST_200600_302600_NS5tupleIblNS6_9null_typeES8_S8_S8_S8_S8_S8_S8_EEEEZNS1_11reduce_implILb1ES3_NS6_12zip_iteratorINS7_INS6_11hip_rocprim26transform_input_iterator_tIbPlNS6_6detail10functional5actorINSH_9compositeIJNSH_27transparent_binary_operatorINS6_8equal_toIvEEEENSI_INSH_8argumentILj0EEEEENSH_5valueIlEEEEEEEEENSD_19counting_iterator_tIlEES8_S8_S8_S8_S8_S8_S8_S8_EEEEPS9_S9_NSD_9__find_if7functorIS9_EEEE10hipError_tPvRmT1_T2_T3_mT4_P12ihipStream_tbEUlT_E0_NS1_11comp_targetILNS1_3genE3ELNS1_11target_archE908ELNS1_3gpuE7ELNS1_3repE0EEENS1_30default_config_static_selectorELNS0_4arch9wavefront6targetE1EEEvS17_.num_vgpr, 0
	.set _ZN7rocprim17ROCPRIM_400000_NS6detail17trampoline_kernelINS0_14default_configENS1_22reduce_config_selectorIN6thrust23THRUST_200600_302600_NS5tupleIblNS6_9null_typeES8_S8_S8_S8_S8_S8_S8_EEEEZNS1_11reduce_implILb1ES3_NS6_12zip_iteratorINS7_INS6_11hip_rocprim26transform_input_iterator_tIbPlNS6_6detail10functional5actorINSH_9compositeIJNSH_27transparent_binary_operatorINS6_8equal_toIvEEEENSI_INSH_8argumentILj0EEEEENSH_5valueIlEEEEEEEEENSD_19counting_iterator_tIlEES8_S8_S8_S8_S8_S8_S8_S8_EEEEPS9_S9_NSD_9__find_if7functorIS9_EEEE10hipError_tPvRmT1_T2_T3_mT4_P12ihipStream_tbEUlT_E0_NS1_11comp_targetILNS1_3genE3ELNS1_11target_archE908ELNS1_3gpuE7ELNS1_3repE0EEENS1_30default_config_static_selectorELNS0_4arch9wavefront6targetE1EEEvS17_.num_agpr, 0
	.set _ZN7rocprim17ROCPRIM_400000_NS6detail17trampoline_kernelINS0_14default_configENS1_22reduce_config_selectorIN6thrust23THRUST_200600_302600_NS5tupleIblNS6_9null_typeES8_S8_S8_S8_S8_S8_S8_EEEEZNS1_11reduce_implILb1ES3_NS6_12zip_iteratorINS7_INS6_11hip_rocprim26transform_input_iterator_tIbPlNS6_6detail10functional5actorINSH_9compositeIJNSH_27transparent_binary_operatorINS6_8equal_toIvEEEENSI_INSH_8argumentILj0EEEEENSH_5valueIlEEEEEEEEENSD_19counting_iterator_tIlEES8_S8_S8_S8_S8_S8_S8_S8_EEEEPS9_S9_NSD_9__find_if7functorIS9_EEEE10hipError_tPvRmT1_T2_T3_mT4_P12ihipStream_tbEUlT_E0_NS1_11comp_targetILNS1_3genE3ELNS1_11target_archE908ELNS1_3gpuE7ELNS1_3repE0EEENS1_30default_config_static_selectorELNS0_4arch9wavefront6targetE1EEEvS17_.numbered_sgpr, 0
	.set _ZN7rocprim17ROCPRIM_400000_NS6detail17trampoline_kernelINS0_14default_configENS1_22reduce_config_selectorIN6thrust23THRUST_200600_302600_NS5tupleIblNS6_9null_typeES8_S8_S8_S8_S8_S8_S8_EEEEZNS1_11reduce_implILb1ES3_NS6_12zip_iteratorINS7_INS6_11hip_rocprim26transform_input_iterator_tIbPlNS6_6detail10functional5actorINSH_9compositeIJNSH_27transparent_binary_operatorINS6_8equal_toIvEEEENSI_INSH_8argumentILj0EEEEENSH_5valueIlEEEEEEEEENSD_19counting_iterator_tIlEES8_S8_S8_S8_S8_S8_S8_S8_EEEEPS9_S9_NSD_9__find_if7functorIS9_EEEE10hipError_tPvRmT1_T2_T3_mT4_P12ihipStream_tbEUlT_E0_NS1_11comp_targetILNS1_3genE3ELNS1_11target_archE908ELNS1_3gpuE7ELNS1_3repE0EEENS1_30default_config_static_selectorELNS0_4arch9wavefront6targetE1EEEvS17_.num_named_barrier, 0
	.set _ZN7rocprim17ROCPRIM_400000_NS6detail17trampoline_kernelINS0_14default_configENS1_22reduce_config_selectorIN6thrust23THRUST_200600_302600_NS5tupleIblNS6_9null_typeES8_S8_S8_S8_S8_S8_S8_EEEEZNS1_11reduce_implILb1ES3_NS6_12zip_iteratorINS7_INS6_11hip_rocprim26transform_input_iterator_tIbPlNS6_6detail10functional5actorINSH_9compositeIJNSH_27transparent_binary_operatorINS6_8equal_toIvEEEENSI_INSH_8argumentILj0EEEEENSH_5valueIlEEEEEEEEENSD_19counting_iterator_tIlEES8_S8_S8_S8_S8_S8_S8_S8_EEEEPS9_S9_NSD_9__find_if7functorIS9_EEEE10hipError_tPvRmT1_T2_T3_mT4_P12ihipStream_tbEUlT_E0_NS1_11comp_targetILNS1_3genE3ELNS1_11target_archE908ELNS1_3gpuE7ELNS1_3repE0EEENS1_30default_config_static_selectorELNS0_4arch9wavefront6targetE1EEEvS17_.private_seg_size, 0
	.set _ZN7rocprim17ROCPRIM_400000_NS6detail17trampoline_kernelINS0_14default_configENS1_22reduce_config_selectorIN6thrust23THRUST_200600_302600_NS5tupleIblNS6_9null_typeES8_S8_S8_S8_S8_S8_S8_EEEEZNS1_11reduce_implILb1ES3_NS6_12zip_iteratorINS7_INS6_11hip_rocprim26transform_input_iterator_tIbPlNS6_6detail10functional5actorINSH_9compositeIJNSH_27transparent_binary_operatorINS6_8equal_toIvEEEENSI_INSH_8argumentILj0EEEEENSH_5valueIlEEEEEEEEENSD_19counting_iterator_tIlEES8_S8_S8_S8_S8_S8_S8_S8_EEEEPS9_S9_NSD_9__find_if7functorIS9_EEEE10hipError_tPvRmT1_T2_T3_mT4_P12ihipStream_tbEUlT_E0_NS1_11comp_targetILNS1_3genE3ELNS1_11target_archE908ELNS1_3gpuE7ELNS1_3repE0EEENS1_30default_config_static_selectorELNS0_4arch9wavefront6targetE1EEEvS17_.uses_vcc, 0
	.set _ZN7rocprim17ROCPRIM_400000_NS6detail17trampoline_kernelINS0_14default_configENS1_22reduce_config_selectorIN6thrust23THRUST_200600_302600_NS5tupleIblNS6_9null_typeES8_S8_S8_S8_S8_S8_S8_EEEEZNS1_11reduce_implILb1ES3_NS6_12zip_iteratorINS7_INS6_11hip_rocprim26transform_input_iterator_tIbPlNS6_6detail10functional5actorINSH_9compositeIJNSH_27transparent_binary_operatorINS6_8equal_toIvEEEENSI_INSH_8argumentILj0EEEEENSH_5valueIlEEEEEEEEENSD_19counting_iterator_tIlEES8_S8_S8_S8_S8_S8_S8_S8_EEEEPS9_S9_NSD_9__find_if7functorIS9_EEEE10hipError_tPvRmT1_T2_T3_mT4_P12ihipStream_tbEUlT_E0_NS1_11comp_targetILNS1_3genE3ELNS1_11target_archE908ELNS1_3gpuE7ELNS1_3repE0EEENS1_30default_config_static_selectorELNS0_4arch9wavefront6targetE1EEEvS17_.uses_flat_scratch, 0
	.set _ZN7rocprim17ROCPRIM_400000_NS6detail17trampoline_kernelINS0_14default_configENS1_22reduce_config_selectorIN6thrust23THRUST_200600_302600_NS5tupleIblNS6_9null_typeES8_S8_S8_S8_S8_S8_S8_EEEEZNS1_11reduce_implILb1ES3_NS6_12zip_iteratorINS7_INS6_11hip_rocprim26transform_input_iterator_tIbPlNS6_6detail10functional5actorINSH_9compositeIJNSH_27transparent_binary_operatorINS6_8equal_toIvEEEENSI_INSH_8argumentILj0EEEEENSH_5valueIlEEEEEEEEENSD_19counting_iterator_tIlEES8_S8_S8_S8_S8_S8_S8_S8_EEEEPS9_S9_NSD_9__find_if7functorIS9_EEEE10hipError_tPvRmT1_T2_T3_mT4_P12ihipStream_tbEUlT_E0_NS1_11comp_targetILNS1_3genE3ELNS1_11target_archE908ELNS1_3gpuE7ELNS1_3repE0EEENS1_30default_config_static_selectorELNS0_4arch9wavefront6targetE1EEEvS17_.has_dyn_sized_stack, 0
	.set _ZN7rocprim17ROCPRIM_400000_NS6detail17trampoline_kernelINS0_14default_configENS1_22reduce_config_selectorIN6thrust23THRUST_200600_302600_NS5tupleIblNS6_9null_typeES8_S8_S8_S8_S8_S8_S8_EEEEZNS1_11reduce_implILb1ES3_NS6_12zip_iteratorINS7_INS6_11hip_rocprim26transform_input_iterator_tIbPlNS6_6detail10functional5actorINSH_9compositeIJNSH_27transparent_binary_operatorINS6_8equal_toIvEEEENSI_INSH_8argumentILj0EEEEENSH_5valueIlEEEEEEEEENSD_19counting_iterator_tIlEES8_S8_S8_S8_S8_S8_S8_S8_EEEEPS9_S9_NSD_9__find_if7functorIS9_EEEE10hipError_tPvRmT1_T2_T3_mT4_P12ihipStream_tbEUlT_E0_NS1_11comp_targetILNS1_3genE3ELNS1_11target_archE908ELNS1_3gpuE7ELNS1_3repE0EEENS1_30default_config_static_selectorELNS0_4arch9wavefront6targetE1EEEvS17_.has_recursion, 0
	.set _ZN7rocprim17ROCPRIM_400000_NS6detail17trampoline_kernelINS0_14default_configENS1_22reduce_config_selectorIN6thrust23THRUST_200600_302600_NS5tupleIblNS6_9null_typeES8_S8_S8_S8_S8_S8_S8_EEEEZNS1_11reduce_implILb1ES3_NS6_12zip_iteratorINS7_INS6_11hip_rocprim26transform_input_iterator_tIbPlNS6_6detail10functional5actorINSH_9compositeIJNSH_27transparent_binary_operatorINS6_8equal_toIvEEEENSI_INSH_8argumentILj0EEEEENSH_5valueIlEEEEEEEEENSD_19counting_iterator_tIlEES8_S8_S8_S8_S8_S8_S8_S8_EEEEPS9_S9_NSD_9__find_if7functorIS9_EEEE10hipError_tPvRmT1_T2_T3_mT4_P12ihipStream_tbEUlT_E0_NS1_11comp_targetILNS1_3genE3ELNS1_11target_archE908ELNS1_3gpuE7ELNS1_3repE0EEENS1_30default_config_static_selectorELNS0_4arch9wavefront6targetE1EEEvS17_.has_indirect_call, 0
	.section	.AMDGPU.csdata,"",@progbits
; Kernel info:
; codeLenInByte = 0
; TotalNumSgprs: 4
; NumVgprs: 0
; ScratchSize: 0
; MemoryBound: 0
; FloatMode: 240
; IeeeMode: 1
; LDSByteSize: 0 bytes/workgroup (compile time only)
; SGPRBlocks: 0
; VGPRBlocks: 0
; NumSGPRsForWavesPerEU: 4
; NumVGPRsForWavesPerEU: 1
; Occupancy: 10
; WaveLimiterHint : 0
; COMPUTE_PGM_RSRC2:SCRATCH_EN: 0
; COMPUTE_PGM_RSRC2:USER_SGPR: 6
; COMPUTE_PGM_RSRC2:TRAP_HANDLER: 0
; COMPUTE_PGM_RSRC2:TGID_X_EN: 1
; COMPUTE_PGM_RSRC2:TGID_Y_EN: 0
; COMPUTE_PGM_RSRC2:TGID_Z_EN: 0
; COMPUTE_PGM_RSRC2:TIDIG_COMP_CNT: 0
	.section	.text._ZN7rocprim17ROCPRIM_400000_NS6detail17trampoline_kernelINS0_14default_configENS1_22reduce_config_selectorIN6thrust23THRUST_200600_302600_NS5tupleIblNS6_9null_typeES8_S8_S8_S8_S8_S8_S8_EEEEZNS1_11reduce_implILb1ES3_NS6_12zip_iteratorINS7_INS6_11hip_rocprim26transform_input_iterator_tIbPlNS6_6detail10functional5actorINSH_9compositeIJNSH_27transparent_binary_operatorINS6_8equal_toIvEEEENSI_INSH_8argumentILj0EEEEENSH_5valueIlEEEEEEEEENSD_19counting_iterator_tIlEES8_S8_S8_S8_S8_S8_S8_S8_EEEEPS9_S9_NSD_9__find_if7functorIS9_EEEE10hipError_tPvRmT1_T2_T3_mT4_P12ihipStream_tbEUlT_E0_NS1_11comp_targetILNS1_3genE2ELNS1_11target_archE906ELNS1_3gpuE6ELNS1_3repE0EEENS1_30default_config_static_selectorELNS0_4arch9wavefront6targetE1EEEvS17_,"axG",@progbits,_ZN7rocprim17ROCPRIM_400000_NS6detail17trampoline_kernelINS0_14default_configENS1_22reduce_config_selectorIN6thrust23THRUST_200600_302600_NS5tupleIblNS6_9null_typeES8_S8_S8_S8_S8_S8_S8_EEEEZNS1_11reduce_implILb1ES3_NS6_12zip_iteratorINS7_INS6_11hip_rocprim26transform_input_iterator_tIbPlNS6_6detail10functional5actorINSH_9compositeIJNSH_27transparent_binary_operatorINS6_8equal_toIvEEEENSI_INSH_8argumentILj0EEEEENSH_5valueIlEEEEEEEEENSD_19counting_iterator_tIlEES8_S8_S8_S8_S8_S8_S8_S8_EEEEPS9_S9_NSD_9__find_if7functorIS9_EEEE10hipError_tPvRmT1_T2_T3_mT4_P12ihipStream_tbEUlT_E0_NS1_11comp_targetILNS1_3genE2ELNS1_11target_archE906ELNS1_3gpuE6ELNS1_3repE0EEENS1_30default_config_static_selectorELNS0_4arch9wavefront6targetE1EEEvS17_,comdat
	.protected	_ZN7rocprim17ROCPRIM_400000_NS6detail17trampoline_kernelINS0_14default_configENS1_22reduce_config_selectorIN6thrust23THRUST_200600_302600_NS5tupleIblNS6_9null_typeES8_S8_S8_S8_S8_S8_S8_EEEEZNS1_11reduce_implILb1ES3_NS6_12zip_iteratorINS7_INS6_11hip_rocprim26transform_input_iterator_tIbPlNS6_6detail10functional5actorINSH_9compositeIJNSH_27transparent_binary_operatorINS6_8equal_toIvEEEENSI_INSH_8argumentILj0EEEEENSH_5valueIlEEEEEEEEENSD_19counting_iterator_tIlEES8_S8_S8_S8_S8_S8_S8_S8_EEEEPS9_S9_NSD_9__find_if7functorIS9_EEEE10hipError_tPvRmT1_T2_T3_mT4_P12ihipStream_tbEUlT_E0_NS1_11comp_targetILNS1_3genE2ELNS1_11target_archE906ELNS1_3gpuE6ELNS1_3repE0EEENS1_30default_config_static_selectorELNS0_4arch9wavefront6targetE1EEEvS17_ ; -- Begin function _ZN7rocprim17ROCPRIM_400000_NS6detail17trampoline_kernelINS0_14default_configENS1_22reduce_config_selectorIN6thrust23THRUST_200600_302600_NS5tupleIblNS6_9null_typeES8_S8_S8_S8_S8_S8_S8_EEEEZNS1_11reduce_implILb1ES3_NS6_12zip_iteratorINS7_INS6_11hip_rocprim26transform_input_iterator_tIbPlNS6_6detail10functional5actorINSH_9compositeIJNSH_27transparent_binary_operatorINS6_8equal_toIvEEEENSI_INSH_8argumentILj0EEEEENSH_5valueIlEEEEEEEEENSD_19counting_iterator_tIlEES8_S8_S8_S8_S8_S8_S8_S8_EEEEPS9_S9_NSD_9__find_if7functorIS9_EEEE10hipError_tPvRmT1_T2_T3_mT4_P12ihipStream_tbEUlT_E0_NS1_11comp_targetILNS1_3genE2ELNS1_11target_archE906ELNS1_3gpuE6ELNS1_3repE0EEENS1_30default_config_static_selectorELNS0_4arch9wavefront6targetE1EEEvS17_
	.globl	_ZN7rocprim17ROCPRIM_400000_NS6detail17trampoline_kernelINS0_14default_configENS1_22reduce_config_selectorIN6thrust23THRUST_200600_302600_NS5tupleIblNS6_9null_typeES8_S8_S8_S8_S8_S8_S8_EEEEZNS1_11reduce_implILb1ES3_NS6_12zip_iteratorINS7_INS6_11hip_rocprim26transform_input_iterator_tIbPlNS6_6detail10functional5actorINSH_9compositeIJNSH_27transparent_binary_operatorINS6_8equal_toIvEEEENSI_INSH_8argumentILj0EEEEENSH_5valueIlEEEEEEEEENSD_19counting_iterator_tIlEES8_S8_S8_S8_S8_S8_S8_S8_EEEEPS9_S9_NSD_9__find_if7functorIS9_EEEE10hipError_tPvRmT1_T2_T3_mT4_P12ihipStream_tbEUlT_E0_NS1_11comp_targetILNS1_3genE2ELNS1_11target_archE906ELNS1_3gpuE6ELNS1_3repE0EEENS1_30default_config_static_selectorELNS0_4arch9wavefront6targetE1EEEvS17_
	.p2align	8
	.type	_ZN7rocprim17ROCPRIM_400000_NS6detail17trampoline_kernelINS0_14default_configENS1_22reduce_config_selectorIN6thrust23THRUST_200600_302600_NS5tupleIblNS6_9null_typeES8_S8_S8_S8_S8_S8_S8_EEEEZNS1_11reduce_implILb1ES3_NS6_12zip_iteratorINS7_INS6_11hip_rocprim26transform_input_iterator_tIbPlNS6_6detail10functional5actorINSH_9compositeIJNSH_27transparent_binary_operatorINS6_8equal_toIvEEEENSI_INSH_8argumentILj0EEEEENSH_5valueIlEEEEEEEEENSD_19counting_iterator_tIlEES8_S8_S8_S8_S8_S8_S8_S8_EEEEPS9_S9_NSD_9__find_if7functorIS9_EEEE10hipError_tPvRmT1_T2_T3_mT4_P12ihipStream_tbEUlT_E0_NS1_11comp_targetILNS1_3genE2ELNS1_11target_archE906ELNS1_3gpuE6ELNS1_3repE0EEENS1_30default_config_static_selectorELNS0_4arch9wavefront6targetE1EEEvS17_,@function
_ZN7rocprim17ROCPRIM_400000_NS6detail17trampoline_kernelINS0_14default_configENS1_22reduce_config_selectorIN6thrust23THRUST_200600_302600_NS5tupleIblNS6_9null_typeES8_S8_S8_S8_S8_S8_S8_EEEEZNS1_11reduce_implILb1ES3_NS6_12zip_iteratorINS7_INS6_11hip_rocprim26transform_input_iterator_tIbPlNS6_6detail10functional5actorINSH_9compositeIJNSH_27transparent_binary_operatorINS6_8equal_toIvEEEENSI_INSH_8argumentILj0EEEEENSH_5valueIlEEEEEEEEENSD_19counting_iterator_tIlEES8_S8_S8_S8_S8_S8_S8_S8_EEEEPS9_S9_NSD_9__find_if7functorIS9_EEEE10hipError_tPvRmT1_T2_T3_mT4_P12ihipStream_tbEUlT_E0_NS1_11comp_targetILNS1_3genE2ELNS1_11target_archE906ELNS1_3gpuE6ELNS1_3repE0EEENS1_30default_config_static_selectorELNS0_4arch9wavefront6targetE1EEEvS17_: ; @_ZN7rocprim17ROCPRIM_400000_NS6detail17trampoline_kernelINS0_14default_configENS1_22reduce_config_selectorIN6thrust23THRUST_200600_302600_NS5tupleIblNS6_9null_typeES8_S8_S8_S8_S8_S8_S8_EEEEZNS1_11reduce_implILb1ES3_NS6_12zip_iteratorINS7_INS6_11hip_rocprim26transform_input_iterator_tIbPlNS6_6detail10functional5actorINSH_9compositeIJNSH_27transparent_binary_operatorINS6_8equal_toIvEEEENSI_INSH_8argumentILj0EEEEENSH_5valueIlEEEEEEEEENSD_19counting_iterator_tIlEES8_S8_S8_S8_S8_S8_S8_S8_EEEEPS9_S9_NSD_9__find_if7functorIS9_EEEE10hipError_tPvRmT1_T2_T3_mT4_P12ihipStream_tbEUlT_E0_NS1_11comp_targetILNS1_3genE2ELNS1_11target_archE906ELNS1_3gpuE6ELNS1_3repE0EEENS1_30default_config_static_selectorELNS0_4arch9wavefront6targetE1EEEvS17_
; %bb.0:
	s_load_dwordx8 s[16:23], s[4:5], 0x10
	s_load_dwordx2 s[0:1], s[4:5], 0x0
	s_load_dwordx2 s[14:15], s[4:5], 0x40
	s_load_dwordx4 s[24:27], s[4:5], 0x30
	s_mov_b32 s31, 0
	s_waitcnt lgkmcnt(0)
	s_lshl_b64 s[2:3], s[20:21], 3
	s_add_u32 s8, s0, s2
	s_addc_u32 s9, s1, s3
	s_lshl_b32 s30, s6, 8
	s_lshr_b64 s[0:1], s[22:23], 8
	s_lshl_b64 s[2:3], s[30:31], 3
	s_add_u32 s28, s8, s2
	s_addc_u32 s29, s9, s3
	s_add_u32 s2, s18, s30
	s_addc_u32 s3, s19, 0
	s_add_u32 s18, s2, s20
	s_mov_b32 s7, s31
	s_addc_u32 s19, s3, s21
	s_cmp_lg_u64 s[0:1], s[6:7]
	v_lshlrev_b32_e32 v9, 3, v0
	v_mbcnt_lo_u32_b32 v8, -1, 0
	s_cbranch_scc0 .LBB1244_10
; %bb.1:
	global_load_dwordx2 v[1:2], v9, s[28:29] offset:1024
	global_load_dwordx2 v[6:7], v9, s[28:29]
	v_mov_b32_e32 v4, s19
	v_add_co_u32_e32 v10, vcc, s18, v0
	v_addc_co_u32_e32 v4, vcc, 0, v4, vcc
	v_add_co_u32_e32 v11, vcc, 0x80, v10
	v_addc_co_u32_e32 v12, vcc, 0, v4, vcc
	v_mbcnt_hi_u32_b32 v3, -1, v8
	v_lshlrev_b32_e32 v5, 2, v3
	v_or_b32_e32 v13, 0xfc, v5
	s_waitcnt vmcnt(1)
	v_cmp_eq_u64_e32 vcc, s[16:17], v[1:2]
	s_waitcnt vmcnt(0)
	v_cmp_eq_u64_e64 s[0:1], s[16:17], v[6:7]
	v_cndmask_b32_e64 v2, v12, v4, s[0:1]
	v_cndmask_b32_e64 v1, v11, v10, s[0:1]
	s_nop 0
	v_mov_b32_dpp v7, v2 quad_perm:[1,0,3,2] row_mask:0xf bank_mask:0xf bound_ctrl:1
	s_or_b64 s[0:1], s[0:1], vcc
	v_mov_b32_dpp v6, v1 quad_perm:[1,0,3,2] row_mask:0xf bank_mask:0xf bound_ctrl:1
	v_cndmask_b32_e64 v4, 0, 1, s[0:1]
	v_cmp_lt_i64_e32 vcc, v[1:2], v[6:7]
	s_and_b64 vcc, s[0:1], vcc
	v_mov_b32_dpp v10, v4 quad_perm:[1,0,3,2] row_mask:0xf bank_mask:0xf bound_ctrl:1
	v_and_b32_e32 v10, 1, v10
	v_cndmask_b32_e32 v6, v6, v1, vcc
	v_cndmask_b32_e32 v7, v7, v2, vcc
	v_cmp_eq_u32_e32 vcc, 1, v10
	v_cndmask_b32_e32 v2, v2, v7, vcc
	v_cndmask_b32_e32 v1, v1, v6, vcc
	v_cndmask_b32_e64 v4, v4, 1, vcc
	v_mov_b32_dpp v7, v2 quad_perm:[2,3,0,1] row_mask:0xf bank_mask:0xf bound_ctrl:1
	v_mov_b32_dpp v6, v1 quad_perm:[2,3,0,1] row_mask:0xf bank_mask:0xf bound_ctrl:1
	v_and_b32_e32 v11, 1, v4
	v_cmp_lt_i64_e64 s[0:1], v[1:2], v[6:7]
	v_mov_b32_dpp v10, v4 quad_perm:[2,3,0,1] row_mask:0xf bank_mask:0xf bound_ctrl:1
	v_cmp_eq_u32_e32 vcc, 1, v11
	v_and_b32_e32 v10, 1, v10
	s_and_b64 vcc, vcc, s[0:1]
	v_cmp_eq_u32_e64 s[2:3], 1, v10
	v_cndmask_b32_e32 v6, v6, v1, vcc
	v_cndmask_b32_e32 v7, v7, v2, vcc
	v_cndmask_b32_e64 v1, v1, v6, s[2:3]
	v_cndmask_b32_e64 v2, v2, v7, s[2:3]
	;; [unrolled: 1-line block ×3, first 2 shown]
	v_mov_b32_dpp v6, v1 row_ror:4 row_mask:0xf bank_mask:0xf bound_ctrl:1
	v_mov_b32_dpp v7, v2 row_ror:4 row_mask:0xf bank_mask:0xf bound_ctrl:1
	v_and_b32_e32 v11, 1, v4
	v_cmp_lt_i64_e64 s[2:3], v[1:2], v[6:7]
	v_mov_b32_dpp v10, v4 row_ror:4 row_mask:0xf bank_mask:0xf bound_ctrl:1
	v_cmp_eq_u32_e32 vcc, 1, v11
	v_and_b32_e32 v10, 1, v10
	s_and_b64 vcc, vcc, s[2:3]
	v_cmp_eq_u32_e64 s[0:1], 1, v10
	v_cndmask_b32_e32 v6, v6, v1, vcc
	v_cndmask_b32_e32 v7, v7, v2, vcc
	v_cndmask_b32_e64 v1, v1, v6, s[0:1]
	v_cndmask_b32_e64 v2, v2, v7, s[0:1]
	;; [unrolled: 1-line block ×3, first 2 shown]
	v_mov_b32_dpp v6, v1 row_ror:8 row_mask:0xf bank_mask:0xf bound_ctrl:1
	v_mov_b32_dpp v7, v2 row_ror:8 row_mask:0xf bank_mask:0xf bound_ctrl:1
	v_and_b32_e32 v11, 1, v4
	v_cmp_lt_i64_e64 s[2:3], v[1:2], v[6:7]
	v_mov_b32_dpp v10, v4 row_ror:8 row_mask:0xf bank_mask:0xf bound_ctrl:1
	v_cmp_eq_u32_e64 s[8:9], 1, v11
	v_and_b32_e32 v10, 1, v10
	s_and_b64 s[2:3], s[8:9], s[2:3]
	v_cmp_eq_u32_e64 s[10:11], 1, v10
	v_cndmask_b32_e64 v6, v6, v1, s[2:3]
	v_cndmask_b32_e64 v7, v7, v2, s[2:3]
	;; [unrolled: 1-line block ×5, first 2 shown]
	v_mov_b32_dpp v10, v4 row_bcast:15 row_mask:0xf bank_mask:0xf bound_ctrl:1
	v_mov_b32_dpp v6, v1 row_bcast:15 row_mask:0xf bank_mask:0xf bound_ctrl:1
	v_mov_b32_dpp v7, v2 row_bcast:15 row_mask:0xf bank_mask:0xf bound_ctrl:1
	v_and_b32_e32 v11, 1, v4
	v_and_b32_e32 v10, 1, v10
	v_cmp_lt_i64_e64 s[2:3], v[1:2], v[6:7]
	v_cmp_eq_u32_e32 vcc, 1, v11
	v_cmp_eq_u32_e64 s[0:1], 1, v10
	v_cndmask_b32_e64 v4, v4, 1, s[0:1]
	s_and_b64 vcc, vcc, s[2:3]
	v_cndmask_b32_e32 v6, v6, v1, vcc
	v_mov_b32_dpp v10, v4 row_bcast:31 row_mask:0xf bank_mask:0xf bound_ctrl:1
	v_cndmask_b32_e32 v7, v7, v2, vcc
	v_and_b32_e32 v11, 1, v4
	v_and_b32_e32 v10, 1, v10
	v_cndmask_b32_e64 v1, v1, v6, s[0:1]
	v_cndmask_b32_e64 v2, v2, v7, s[0:1]
	v_cmp_eq_u32_e64 s[12:13], 1, v11
	v_cmp_eq_u32_e64 s[8:9], 1, v10
	v_mov_b32_dpp v10, v1 row_bcast:31 row_mask:0xf bank_mask:0xf bound_ctrl:1
	v_mov_b32_dpp v11, v2 row_bcast:31 row_mask:0xf bank_mask:0xf bound_ctrl:1
	v_cmp_lt_i64_e32 vcc, v[1:2], v[10:11]
	v_cndmask_b32_e64 v4, v4, 1, s[8:9]
	s_and_b64 vcc, s[12:13], vcc
	ds_bpermute_b32 v7, v13, v4
	v_cndmask_b32_e32 v4, v10, v1, vcc
	v_cndmask_b32_e32 v6, v11, v2, vcc
	v_cndmask_b32_e64 v1, v1, v4, s[8:9]
	v_cndmask_b32_e64 v2, v2, v6, s[8:9]
	ds_bpermute_b32 v1, v13, v1
	ds_bpermute_b32 v2, v13, v2
	v_cmp_eq_u32_e32 vcc, 0, v3
	s_and_saveexec_b64 s[0:1], vcc
	s_cbranch_execz .LBB1244_3
; %bb.2:
	v_lshrrev_b32_e32 v4, 2, v0
	v_and_b32_e32 v4, 16, v4
	s_waitcnt lgkmcnt(2)
	ds_write_b8 v4, v7
	s_waitcnt lgkmcnt(1)
	ds_write_b64 v4, v[1:2] offset:8
.LBB1244_3:
	s_or_b64 exec, exec, s[0:1]
	v_cmp_gt_u32_e32 vcc, 64, v0
	s_waitcnt lgkmcnt(0)
	s_barrier
	s_and_saveexec_b64 s[0:1], vcc
	s_cbranch_execz .LBB1244_9
; %bb.4:
	v_and_b32_e32 v1, 1, v3
	v_lshlrev_b32_e32 v1, 4, v1
	ds_read_u8 v10, v1
	ds_read_b64 v[3:4], v1 offset:8
	v_or_b32_e32 v2, 4, v5
	s_waitcnt lgkmcnt(1)
	v_and_b32_e32 v1, 0xff, v10
	ds_bpermute_b32 v11, v2, v1
	s_waitcnt lgkmcnt(1)
	ds_bpermute_b32 v5, v2, v3
	ds_bpermute_b32 v6, v2, v4
	s_waitcnt lgkmcnt(2)
	v_and_b32_e32 v1, v10, v11
	v_and_b32_e32 v1, 1, v1
	v_cmp_eq_u32_e32 vcc, 1, v1
                                        ; implicit-def: $vgpr1_vgpr2
	s_and_saveexec_b64 s[2:3], vcc
	s_xor_b64 s[2:3], exec, s[2:3]
	s_cbranch_execz .LBB1244_6
; %bb.5:
	s_waitcnt lgkmcnt(0)
	v_cmp_lt_i64_e32 vcc, v[5:6], v[3:4]
                                        ; implicit-def: $vgpr10
                                        ; implicit-def: $vgpr11
	v_cndmask_b32_e32 v2, v4, v6, vcc
	v_cndmask_b32_e32 v1, v3, v5, vcc
                                        ; implicit-def: $vgpr5_vgpr6
                                        ; implicit-def: $vgpr3_vgpr4
.LBB1244_6:
	s_or_saveexec_b64 s[2:3], s[2:3]
	v_mov_b32_e32 v7, 1
	s_xor_b64 exec, exec, s[2:3]
	s_cbranch_execz .LBB1244_8
; %bb.7:
	v_and_b32_e32 v1, 1, v10
	v_cmp_eq_u32_e32 vcc, 1, v1
	s_waitcnt lgkmcnt(0)
	v_cndmask_b32_e32 v2, v6, v4, vcc
	v_cndmask_b32_e32 v1, v5, v3, vcc
	v_cndmask_b32_e64 v7, v11, 1, vcc
.LBB1244_8:
	s_or_b64 exec, exec, s[2:3]
.LBB1244_9:
	s_or_b64 exec, exec, s[0:1]
	s_load_dword s10, s[4:5], 0x48
	s_load_dwordx2 s[8:9], s[4:5], 0x50
	s_branch .LBB1244_62
.LBB1244_10:
                                        ; implicit-def: $vgpr1_vgpr2
                                        ; implicit-def: $vgpr7
	s_load_dword s10, s[4:5], 0x48
	s_load_dwordx2 s[8:9], s[4:5], 0x50
	s_cbranch_execz .LBB1244_62
; %bb.11:
	s_sub_i32 s11, s22, s30
	v_mov_b32_e32 v3, 0
	v_mov_b32_e32 v1, 0
	v_cmp_gt_u32_e32 vcc, s11, v0
	s_waitcnt lgkmcnt(0)
	v_mov_b32_e32 v5, 0
	v_mov_b32_e32 v4, 0
	;; [unrolled: 1-line block ×4, first 2 shown]
	s_and_saveexec_b64 s[0:1], vcc
	s_cbranch_execz .LBB1244_13
; %bb.12:
	global_load_dwordx2 v[6:7], v9, s[28:29]
	v_mov_b32_e32 v2, s19
	v_add_co_u32_e32 v1, vcc, s18, v0
	v_addc_co_u32_e32 v2, vcc, 0, v2, vcc
	s_waitcnt vmcnt(0)
	v_cmp_eq_u64_e32 vcc, s[16:17], v[6:7]
	v_cndmask_b32_e64 v6, 0, 1, vcc
.LBB1244_13:
	s_or_b64 exec, exec, s[0:1]
	v_or_b32_e32 v7, 0x80, v0
	v_cmp_gt_u32_e32 vcc, s11, v7
	s_and_saveexec_b64 s[2:3], vcc
	s_cbranch_execz .LBB1244_15
; %bb.14:
	global_load_dwordx2 v[9:10], v9, s[28:29] offset:1024
	v_mov_b32_e32 v4, s19
	v_add_co_u32_e64 v3, s[0:1], s18, v7
	v_addc_co_u32_e64 v4, s[0:1], 0, v4, s[0:1]
	s_waitcnt vmcnt(0)
	v_cmp_eq_u64_e64 s[0:1], s[16:17], v[9:10]
	v_cndmask_b32_e64 v5, 0, 1, s[0:1]
.LBB1244_15:
	s_or_b64 exec, exec, s[2:3]
	v_and_b32_e32 v9, 0xffff, v5
	v_and_b32_e32 v5, 1, v5
	v_cmp_eq_u32_e64 s[0:1], 1, v5
	v_and_b32_e32 v5, 1, v6
	v_cmp_lt_i64_e64 s[2:3], v[3:4], v[1:2]
	v_cmp_eq_u32_e64 s[4:5], 1, v5
	v_and_b32_e32 v7, 0xffff, v6
	v_cndmask_b32_e64 v5, v9, 1, s[4:5]
	s_and_b64 s[0:1], s[0:1], s[2:3]
	v_cndmask_b32_e64 v6, v2, v4, s[0:1]
	v_cndmask_b32_e64 v9, v1, v3, s[0:1]
	v_cndmask_b32_e32 v7, v7, v5, vcc
	v_mbcnt_hi_u32_b32 v5, -1, v8
	v_cndmask_b32_e64 v3, v3, v9, s[4:5]
	v_cndmask_b32_e64 v4, v4, v6, s[4:5]
	v_and_b32_e32 v6, 63, v5
	v_cndmask_b32_e32 v2, v2, v4, vcc
	v_cndmask_b32_e32 v1, v1, v3, vcc
	v_cmp_ne_u32_e32 vcc, 63, v6
	v_addc_co_u32_e32 v3, vcc, 0, v5, vcc
	v_lshlrev_b32_e32 v4, 2, v3
	ds_bpermute_b32 v9, v4, v7
	ds_bpermute_b32 v3, v4, v1
	;; [unrolled: 1-line block ×3, first 2 shown]
	s_min_u32 s4, s11, 0x80
	v_and_b32_e32 v8, 64, v0
	v_sub_u32_e64 v8, s4, v8 clamp
	v_add_u32_e32 v10, 1, v6
	v_cmp_lt_u32_e32 vcc, v10, v8
	s_and_saveexec_b64 s[0:1], vcc
	s_cbranch_execz .LBB1244_21
; %bb.16:
	s_waitcnt lgkmcnt(2)
	v_and_b32_e32 v10, v9, v7
	v_cmp_ne_u32_e32 vcc, 0, v10
	s_and_saveexec_b64 s[2:3], vcc
	s_xor_b64 s[2:3], exec, s[2:3]
	s_cbranch_execz .LBB1244_18
; %bb.17:
	s_waitcnt lgkmcnt(0)
	v_cmp_lt_i64_e32 vcc, v[3:4], v[1:2]
                                        ; implicit-def: $vgpr7
                                        ; implicit-def: $vgpr9
	v_cndmask_b32_e32 v2, v2, v4, vcc
	v_cndmask_b32_e32 v1, v1, v3, vcc
                                        ; implicit-def: $vgpr3_vgpr4
.LBB1244_18:
	s_or_saveexec_b64 s[2:3], s[2:3]
	v_mov_b32_e32 v10, 1
	s_xor_b64 exec, exec, s[2:3]
	s_cbranch_execz .LBB1244_20
; %bb.19:
	v_and_b32_e32 v7, 1, v7
	v_cmp_eq_u32_e32 vcc, 1, v7
	s_waitcnt lgkmcnt(1)
	v_cndmask_b32_e32 v1, v3, v1, vcc
	v_and_b32_e32 v3, 0xff, v9
	s_waitcnt lgkmcnt(0)
	v_cndmask_b32_e32 v2, v4, v2, vcc
	v_cndmask_b32_e64 v10, v3, 1, vcc
.LBB1244_20:
	s_or_b64 exec, exec, s[2:3]
	v_mov_b32_e32 v7, v10
.LBB1244_21:
	s_or_b64 exec, exec, s[0:1]
	v_cmp_gt_u32_e32 vcc, 62, v6
	s_waitcnt lgkmcnt(1)
	v_cndmask_b32_e64 v3, 0, 2, vcc
	s_waitcnt lgkmcnt(0)
	v_add_lshl_u32 v4, v3, v5, 2
	ds_bpermute_b32 v9, v4, v7
	ds_bpermute_b32 v3, v4, v1
	ds_bpermute_b32 v4, v4, v2
	v_add_u32_e32 v10, 2, v6
	v_cmp_lt_u32_e32 vcc, v10, v8
	s_and_saveexec_b64 s[0:1], vcc
	s_cbranch_execz .LBB1244_27
; %bb.22:
	s_waitcnt lgkmcnt(2)
	v_and_b32_e32 v10, v7, v9
	v_and_b32_e32 v10, 1, v10
	v_cmp_eq_u32_e32 vcc, 1, v10
	s_and_saveexec_b64 s[2:3], vcc
	s_xor_b64 s[2:3], exec, s[2:3]
	s_cbranch_execz .LBB1244_24
; %bb.23:
	s_waitcnt lgkmcnt(0)
	v_cmp_lt_i64_e32 vcc, v[3:4], v[1:2]
                                        ; implicit-def: $vgpr7
                                        ; implicit-def: $vgpr9
	v_cndmask_b32_e32 v2, v2, v4, vcc
	v_cndmask_b32_e32 v1, v1, v3, vcc
                                        ; implicit-def: $vgpr3_vgpr4
.LBB1244_24:
	s_or_saveexec_b64 s[2:3], s[2:3]
	v_mov_b32_e32 v10, 1
	s_xor_b64 exec, exec, s[2:3]
	s_cbranch_execz .LBB1244_26
; %bb.25:
	v_and_b32_e32 v7, 1, v7
	v_cmp_eq_u32_e32 vcc, 1, v7
	s_waitcnt lgkmcnt(1)
	v_cndmask_b32_e32 v1, v3, v1, vcc
	v_and_b32_e32 v3, 0xff, v9
	s_waitcnt lgkmcnt(0)
	v_cndmask_b32_e32 v2, v4, v2, vcc
	v_cndmask_b32_e64 v10, v3, 1, vcc
.LBB1244_26:
	s_or_b64 exec, exec, s[2:3]
	v_mov_b32_e32 v7, v10
.LBB1244_27:
	s_or_b64 exec, exec, s[0:1]
	v_cmp_gt_u32_e32 vcc, 60, v6
	s_waitcnt lgkmcnt(1)
	v_cndmask_b32_e64 v3, 0, 4, vcc
	s_waitcnt lgkmcnt(0)
	v_add_lshl_u32 v4, v3, v5, 2
	ds_bpermute_b32 v9, v4, v7
	ds_bpermute_b32 v3, v4, v1
	ds_bpermute_b32 v4, v4, v2
	v_add_u32_e32 v10, 4, v6
	v_cmp_lt_u32_e32 vcc, v10, v8
	s_and_saveexec_b64 s[0:1], vcc
	s_cbranch_execz .LBB1244_33
; %bb.28:
	s_waitcnt lgkmcnt(2)
	v_and_b32_e32 v10, v7, v9
	v_and_b32_e32 v10, 1, v10
	v_cmp_eq_u32_e32 vcc, 1, v10
	s_and_saveexec_b64 s[2:3], vcc
	s_xor_b64 s[2:3], exec, s[2:3]
	s_cbranch_execz .LBB1244_30
; %bb.29:
	s_waitcnt lgkmcnt(0)
	v_cmp_lt_i64_e32 vcc, v[3:4], v[1:2]
                                        ; implicit-def: $vgpr7
                                        ; implicit-def: $vgpr9
	v_cndmask_b32_e32 v2, v2, v4, vcc
	v_cndmask_b32_e32 v1, v1, v3, vcc
                                        ; implicit-def: $vgpr3_vgpr4
.LBB1244_30:
	s_or_saveexec_b64 s[2:3], s[2:3]
	v_mov_b32_e32 v10, 1
	s_xor_b64 exec, exec, s[2:3]
	s_cbranch_execz .LBB1244_32
; %bb.31:
	v_and_b32_e32 v7, 1, v7
	v_cmp_eq_u32_e32 vcc, 1, v7
	s_waitcnt lgkmcnt(1)
	v_cndmask_b32_e32 v1, v3, v1, vcc
	v_and_b32_e32 v3, 0xff, v9
	s_waitcnt lgkmcnt(0)
	v_cndmask_b32_e32 v2, v4, v2, vcc
	v_cndmask_b32_e64 v10, v3, 1, vcc
.LBB1244_32:
	s_or_b64 exec, exec, s[2:3]
	v_mov_b32_e32 v7, v10
.LBB1244_33:
	;; [unrolled: 47-line block ×4, first 2 shown]
	s_or_b64 exec, exec, s[0:1]
	s_waitcnt lgkmcnt(2)
	v_lshlrev_b32_e32 v9, 2, v5
	s_waitcnt lgkmcnt(0)
	v_or_b32_e32 v4, 0x80, v9
	ds_bpermute_b32 v10, v4, v7
	ds_bpermute_b32 v3, v4, v1
	;; [unrolled: 1-line block ×3, first 2 shown]
	v_add_u32_e32 v6, 32, v6
	v_cmp_lt_u32_e32 vcc, v6, v8
	v_mov_b32_e32 v6, v7
	s_and_saveexec_b64 s[0:1], vcc
	s_cbranch_execz .LBB1244_51
; %bb.46:
	s_waitcnt lgkmcnt(2)
	v_and_b32_e32 v6, v7, v10
	v_and_b32_e32 v6, 1, v6
	v_cmp_eq_u32_e32 vcc, 1, v6
	s_and_saveexec_b64 s[2:3], vcc
	s_xor_b64 s[2:3], exec, s[2:3]
	s_cbranch_execz .LBB1244_48
; %bb.47:
	s_waitcnt lgkmcnt(0)
	v_cmp_lt_i64_e32 vcc, v[3:4], v[1:2]
                                        ; implicit-def: $vgpr7
                                        ; implicit-def: $vgpr10
	v_cndmask_b32_e32 v2, v2, v4, vcc
	v_cndmask_b32_e32 v1, v1, v3, vcc
                                        ; implicit-def: $vgpr3_vgpr4
.LBB1244_48:
	s_or_saveexec_b64 s[2:3], s[2:3]
	v_mov_b32_e32 v6, 1
	s_xor_b64 exec, exec, s[2:3]
	s_cbranch_execz .LBB1244_50
; %bb.49:
	v_and_b32_e32 v6, 1, v7
	v_cmp_eq_u32_e32 vcc, 1, v6
	v_cndmask_b32_e64 v6, v10, 1, vcc
	s_waitcnt lgkmcnt(0)
	v_cndmask_b32_e32 v2, v4, v2, vcc
	v_cndmask_b32_e32 v1, v3, v1, vcc
.LBB1244_50:
	s_or_b64 exec, exec, s[2:3]
	v_and_b32_e32 v7, 0xff, v6
.LBB1244_51:
	s_or_b64 exec, exec, s[0:1]
	v_cmp_eq_u32_e32 vcc, 0, v5
	s_and_saveexec_b64 s[0:1], vcc
	s_cbranch_execz .LBB1244_53
; %bb.52:
	s_waitcnt lgkmcnt(1)
	v_lshrrev_b32_e32 v3, 2, v0
	v_and_b32_e32 v3, 16, v3
	ds_write_b8 v3, v6 offset:32
	ds_write_b64 v3, v[1:2] offset:40
.LBB1244_53:
	s_or_b64 exec, exec, s[0:1]
	v_cmp_gt_u32_e32 vcc, 2, v0
	s_waitcnt lgkmcnt(0)
	s_barrier
	s_and_saveexec_b64 s[0:1], vcc
	s_cbranch_execz .LBB1244_61
; %bb.54:
	v_lshlrev_b32_e32 v1, 4, v5
	ds_read_u8 v6, v1 offset:32
	ds_read_b64 v[1:2], v1 offset:40
	v_or_b32_e32 v4, 4, v9
	s_add_i32 s4, s4, 63
	v_and_b32_e32 v5, 1, v5
	s_waitcnt lgkmcnt(1)
	v_and_b32_e32 v7, 0xff, v6
	s_waitcnt lgkmcnt(0)
	ds_bpermute_b32 v3, v4, v1
	ds_bpermute_b32 v8, v4, v7
	;; [unrolled: 1-line block ×3, first 2 shown]
	s_lshr_b32 s2, s4, 6
	v_add_u32_e32 v5, 1, v5
	v_cmp_gt_u32_e32 vcc, s2, v5
	s_and_saveexec_b64 s[2:3], vcc
	s_cbranch_execz .LBB1244_60
; %bb.55:
	s_waitcnt lgkmcnt(1)
	v_and_b32_e32 v5, v7, v8
	v_and_b32_e32 v5, 1, v5
	v_cmp_eq_u32_e32 vcc, 1, v5
	s_and_saveexec_b64 s[4:5], vcc
	s_xor_b64 s[4:5], exec, s[4:5]
	s_cbranch_execz .LBB1244_57
; %bb.56:
	s_waitcnt lgkmcnt(0)
	v_cmp_lt_i64_e32 vcc, v[3:4], v[1:2]
                                        ; implicit-def: $vgpr6
                                        ; implicit-def: $vgpr8
	v_cndmask_b32_e32 v2, v2, v4, vcc
	v_cndmask_b32_e32 v1, v1, v3, vcc
                                        ; implicit-def: $vgpr3_vgpr4
.LBB1244_57:
	s_or_saveexec_b64 s[4:5], s[4:5]
	v_mov_b32_e32 v7, 1
	s_xor_b64 exec, exec, s[4:5]
	s_cbranch_execz .LBB1244_59
; %bb.58:
	v_and_b32_e32 v5, 1, v6
	v_cmp_eq_u32_e32 vcc, 1, v5
	s_waitcnt lgkmcnt(0)
	v_cndmask_b32_e32 v2, v4, v2, vcc
	v_cndmask_b32_e32 v1, v3, v1, vcc
	v_cndmask_b32_e64 v7, v8, 1, vcc
.LBB1244_59:
	s_or_b64 exec, exec, s[4:5]
.LBB1244_60:
	s_or_b64 exec, exec, s[2:3]
.LBB1244_61:
	s_or_b64 exec, exec, s[0:1]
.LBB1244_62:
	v_cmp_eq_u32_e32 vcc, 0, v0
	s_and_saveexec_b64 s[0:1], vcc
	s_cbranch_execnz .LBB1244_64
; %bb.63:
	s_endpgm
.LBB1244_64:
	s_mul_i32 s0, s14, s27
	s_mul_hi_u32 s1, s14, s26
	s_add_i32 s0, s1, s0
	s_mul_i32 s1, s15, s26
	s_add_i32 s1, s0, s1
	s_mul_i32 s0, s14, s26
	s_lshl_b64 s[0:1], s[0:1], 4
	s_add_u32 s2, s24, s0
	s_addc_u32 s3, s25, s1
	s_cmp_eq_u64 s[22:23], 0
	s_waitcnt lgkmcnt(0)
	v_mov_b32_e32 v0, s9
	s_cselect_b64 vcc, -1, 0
	v_cndmask_b32_e32 v2, v2, v0, vcc
	v_mov_b32_e32 v0, s8
	s_lshl_b64 s[0:1], s[6:7], 4
	v_cndmask_b32_e32 v1, v1, v0, vcc
	v_mov_b32_e32 v0, s10
	s_add_u32 s0, s2, s0
	v_cndmask_b32_e32 v0, v7, v0, vcc
	s_addc_u32 s1, s3, s1
	v_mov_b32_e32 v3, 0
	global_store_byte v3, v0, s[0:1]
	global_store_dwordx2 v3, v[1:2], s[0:1] offset:8
	s_endpgm
	.section	.rodata,"a",@progbits
	.p2align	6, 0x0
	.amdhsa_kernel _ZN7rocprim17ROCPRIM_400000_NS6detail17trampoline_kernelINS0_14default_configENS1_22reduce_config_selectorIN6thrust23THRUST_200600_302600_NS5tupleIblNS6_9null_typeES8_S8_S8_S8_S8_S8_S8_EEEEZNS1_11reduce_implILb1ES3_NS6_12zip_iteratorINS7_INS6_11hip_rocprim26transform_input_iterator_tIbPlNS6_6detail10functional5actorINSH_9compositeIJNSH_27transparent_binary_operatorINS6_8equal_toIvEEEENSI_INSH_8argumentILj0EEEEENSH_5valueIlEEEEEEEEENSD_19counting_iterator_tIlEES8_S8_S8_S8_S8_S8_S8_S8_EEEEPS9_S9_NSD_9__find_if7functorIS9_EEEE10hipError_tPvRmT1_T2_T3_mT4_P12ihipStream_tbEUlT_E0_NS1_11comp_targetILNS1_3genE2ELNS1_11target_archE906ELNS1_3gpuE6ELNS1_3repE0EEENS1_30default_config_static_selectorELNS0_4arch9wavefront6targetE1EEEvS17_
		.amdhsa_group_segment_fixed_size 64
		.amdhsa_private_segment_fixed_size 0
		.amdhsa_kernarg_size 96
		.amdhsa_user_sgpr_count 6
		.amdhsa_user_sgpr_private_segment_buffer 1
		.amdhsa_user_sgpr_dispatch_ptr 0
		.amdhsa_user_sgpr_queue_ptr 0
		.amdhsa_user_sgpr_kernarg_segment_ptr 1
		.amdhsa_user_sgpr_dispatch_id 0
		.amdhsa_user_sgpr_flat_scratch_init 0
		.amdhsa_user_sgpr_private_segment_size 0
		.amdhsa_uses_dynamic_stack 0
		.amdhsa_system_sgpr_private_segment_wavefront_offset 0
		.amdhsa_system_sgpr_workgroup_id_x 1
		.amdhsa_system_sgpr_workgroup_id_y 0
		.amdhsa_system_sgpr_workgroup_id_z 0
		.amdhsa_system_sgpr_workgroup_info 0
		.amdhsa_system_vgpr_workitem_id 0
		.amdhsa_next_free_vgpr 14
		.amdhsa_next_free_sgpr 32
		.amdhsa_reserve_vcc 1
		.amdhsa_reserve_flat_scratch 0
		.amdhsa_float_round_mode_32 0
		.amdhsa_float_round_mode_16_64 0
		.amdhsa_float_denorm_mode_32 3
		.amdhsa_float_denorm_mode_16_64 3
		.amdhsa_dx10_clamp 1
		.amdhsa_ieee_mode 1
		.amdhsa_fp16_overflow 0
		.amdhsa_exception_fp_ieee_invalid_op 0
		.amdhsa_exception_fp_denorm_src 0
		.amdhsa_exception_fp_ieee_div_zero 0
		.amdhsa_exception_fp_ieee_overflow 0
		.amdhsa_exception_fp_ieee_underflow 0
		.amdhsa_exception_fp_ieee_inexact 0
		.amdhsa_exception_int_div_zero 0
	.end_amdhsa_kernel
	.section	.text._ZN7rocprim17ROCPRIM_400000_NS6detail17trampoline_kernelINS0_14default_configENS1_22reduce_config_selectorIN6thrust23THRUST_200600_302600_NS5tupleIblNS6_9null_typeES8_S8_S8_S8_S8_S8_S8_EEEEZNS1_11reduce_implILb1ES3_NS6_12zip_iteratorINS7_INS6_11hip_rocprim26transform_input_iterator_tIbPlNS6_6detail10functional5actorINSH_9compositeIJNSH_27transparent_binary_operatorINS6_8equal_toIvEEEENSI_INSH_8argumentILj0EEEEENSH_5valueIlEEEEEEEEENSD_19counting_iterator_tIlEES8_S8_S8_S8_S8_S8_S8_S8_EEEEPS9_S9_NSD_9__find_if7functorIS9_EEEE10hipError_tPvRmT1_T2_T3_mT4_P12ihipStream_tbEUlT_E0_NS1_11comp_targetILNS1_3genE2ELNS1_11target_archE906ELNS1_3gpuE6ELNS1_3repE0EEENS1_30default_config_static_selectorELNS0_4arch9wavefront6targetE1EEEvS17_,"axG",@progbits,_ZN7rocprim17ROCPRIM_400000_NS6detail17trampoline_kernelINS0_14default_configENS1_22reduce_config_selectorIN6thrust23THRUST_200600_302600_NS5tupleIblNS6_9null_typeES8_S8_S8_S8_S8_S8_S8_EEEEZNS1_11reduce_implILb1ES3_NS6_12zip_iteratorINS7_INS6_11hip_rocprim26transform_input_iterator_tIbPlNS6_6detail10functional5actorINSH_9compositeIJNSH_27transparent_binary_operatorINS6_8equal_toIvEEEENSI_INSH_8argumentILj0EEEEENSH_5valueIlEEEEEEEEENSD_19counting_iterator_tIlEES8_S8_S8_S8_S8_S8_S8_S8_EEEEPS9_S9_NSD_9__find_if7functorIS9_EEEE10hipError_tPvRmT1_T2_T3_mT4_P12ihipStream_tbEUlT_E0_NS1_11comp_targetILNS1_3genE2ELNS1_11target_archE906ELNS1_3gpuE6ELNS1_3repE0EEENS1_30default_config_static_selectorELNS0_4arch9wavefront6targetE1EEEvS17_,comdat
.Lfunc_end1244:
	.size	_ZN7rocprim17ROCPRIM_400000_NS6detail17trampoline_kernelINS0_14default_configENS1_22reduce_config_selectorIN6thrust23THRUST_200600_302600_NS5tupleIblNS6_9null_typeES8_S8_S8_S8_S8_S8_S8_EEEEZNS1_11reduce_implILb1ES3_NS6_12zip_iteratorINS7_INS6_11hip_rocprim26transform_input_iterator_tIbPlNS6_6detail10functional5actorINSH_9compositeIJNSH_27transparent_binary_operatorINS6_8equal_toIvEEEENSI_INSH_8argumentILj0EEEEENSH_5valueIlEEEEEEEEENSD_19counting_iterator_tIlEES8_S8_S8_S8_S8_S8_S8_S8_EEEEPS9_S9_NSD_9__find_if7functorIS9_EEEE10hipError_tPvRmT1_T2_T3_mT4_P12ihipStream_tbEUlT_E0_NS1_11comp_targetILNS1_3genE2ELNS1_11target_archE906ELNS1_3gpuE6ELNS1_3repE0EEENS1_30default_config_static_selectorELNS0_4arch9wavefront6targetE1EEEvS17_, .Lfunc_end1244-_ZN7rocprim17ROCPRIM_400000_NS6detail17trampoline_kernelINS0_14default_configENS1_22reduce_config_selectorIN6thrust23THRUST_200600_302600_NS5tupleIblNS6_9null_typeES8_S8_S8_S8_S8_S8_S8_EEEEZNS1_11reduce_implILb1ES3_NS6_12zip_iteratorINS7_INS6_11hip_rocprim26transform_input_iterator_tIbPlNS6_6detail10functional5actorINSH_9compositeIJNSH_27transparent_binary_operatorINS6_8equal_toIvEEEENSI_INSH_8argumentILj0EEEEENSH_5valueIlEEEEEEEEENSD_19counting_iterator_tIlEES8_S8_S8_S8_S8_S8_S8_S8_EEEEPS9_S9_NSD_9__find_if7functorIS9_EEEE10hipError_tPvRmT1_T2_T3_mT4_P12ihipStream_tbEUlT_E0_NS1_11comp_targetILNS1_3genE2ELNS1_11target_archE906ELNS1_3gpuE6ELNS1_3repE0EEENS1_30default_config_static_selectorELNS0_4arch9wavefront6targetE1EEEvS17_
                                        ; -- End function
	.set _ZN7rocprim17ROCPRIM_400000_NS6detail17trampoline_kernelINS0_14default_configENS1_22reduce_config_selectorIN6thrust23THRUST_200600_302600_NS5tupleIblNS6_9null_typeES8_S8_S8_S8_S8_S8_S8_EEEEZNS1_11reduce_implILb1ES3_NS6_12zip_iteratorINS7_INS6_11hip_rocprim26transform_input_iterator_tIbPlNS6_6detail10functional5actorINSH_9compositeIJNSH_27transparent_binary_operatorINS6_8equal_toIvEEEENSI_INSH_8argumentILj0EEEEENSH_5valueIlEEEEEEEEENSD_19counting_iterator_tIlEES8_S8_S8_S8_S8_S8_S8_S8_EEEEPS9_S9_NSD_9__find_if7functorIS9_EEEE10hipError_tPvRmT1_T2_T3_mT4_P12ihipStream_tbEUlT_E0_NS1_11comp_targetILNS1_3genE2ELNS1_11target_archE906ELNS1_3gpuE6ELNS1_3repE0EEENS1_30default_config_static_selectorELNS0_4arch9wavefront6targetE1EEEvS17_.num_vgpr, 14
	.set _ZN7rocprim17ROCPRIM_400000_NS6detail17trampoline_kernelINS0_14default_configENS1_22reduce_config_selectorIN6thrust23THRUST_200600_302600_NS5tupleIblNS6_9null_typeES8_S8_S8_S8_S8_S8_S8_EEEEZNS1_11reduce_implILb1ES3_NS6_12zip_iteratorINS7_INS6_11hip_rocprim26transform_input_iterator_tIbPlNS6_6detail10functional5actorINSH_9compositeIJNSH_27transparent_binary_operatorINS6_8equal_toIvEEEENSI_INSH_8argumentILj0EEEEENSH_5valueIlEEEEEEEEENSD_19counting_iterator_tIlEES8_S8_S8_S8_S8_S8_S8_S8_EEEEPS9_S9_NSD_9__find_if7functorIS9_EEEE10hipError_tPvRmT1_T2_T3_mT4_P12ihipStream_tbEUlT_E0_NS1_11comp_targetILNS1_3genE2ELNS1_11target_archE906ELNS1_3gpuE6ELNS1_3repE0EEENS1_30default_config_static_selectorELNS0_4arch9wavefront6targetE1EEEvS17_.num_agpr, 0
	.set _ZN7rocprim17ROCPRIM_400000_NS6detail17trampoline_kernelINS0_14default_configENS1_22reduce_config_selectorIN6thrust23THRUST_200600_302600_NS5tupleIblNS6_9null_typeES8_S8_S8_S8_S8_S8_S8_EEEEZNS1_11reduce_implILb1ES3_NS6_12zip_iteratorINS7_INS6_11hip_rocprim26transform_input_iterator_tIbPlNS6_6detail10functional5actorINSH_9compositeIJNSH_27transparent_binary_operatorINS6_8equal_toIvEEEENSI_INSH_8argumentILj0EEEEENSH_5valueIlEEEEEEEEENSD_19counting_iterator_tIlEES8_S8_S8_S8_S8_S8_S8_S8_EEEEPS9_S9_NSD_9__find_if7functorIS9_EEEE10hipError_tPvRmT1_T2_T3_mT4_P12ihipStream_tbEUlT_E0_NS1_11comp_targetILNS1_3genE2ELNS1_11target_archE906ELNS1_3gpuE6ELNS1_3repE0EEENS1_30default_config_static_selectorELNS0_4arch9wavefront6targetE1EEEvS17_.numbered_sgpr, 32
	.set _ZN7rocprim17ROCPRIM_400000_NS6detail17trampoline_kernelINS0_14default_configENS1_22reduce_config_selectorIN6thrust23THRUST_200600_302600_NS5tupleIblNS6_9null_typeES8_S8_S8_S8_S8_S8_S8_EEEEZNS1_11reduce_implILb1ES3_NS6_12zip_iteratorINS7_INS6_11hip_rocprim26transform_input_iterator_tIbPlNS6_6detail10functional5actorINSH_9compositeIJNSH_27transparent_binary_operatorINS6_8equal_toIvEEEENSI_INSH_8argumentILj0EEEEENSH_5valueIlEEEEEEEEENSD_19counting_iterator_tIlEES8_S8_S8_S8_S8_S8_S8_S8_EEEEPS9_S9_NSD_9__find_if7functorIS9_EEEE10hipError_tPvRmT1_T2_T3_mT4_P12ihipStream_tbEUlT_E0_NS1_11comp_targetILNS1_3genE2ELNS1_11target_archE906ELNS1_3gpuE6ELNS1_3repE0EEENS1_30default_config_static_selectorELNS0_4arch9wavefront6targetE1EEEvS17_.num_named_barrier, 0
	.set _ZN7rocprim17ROCPRIM_400000_NS6detail17trampoline_kernelINS0_14default_configENS1_22reduce_config_selectorIN6thrust23THRUST_200600_302600_NS5tupleIblNS6_9null_typeES8_S8_S8_S8_S8_S8_S8_EEEEZNS1_11reduce_implILb1ES3_NS6_12zip_iteratorINS7_INS6_11hip_rocprim26transform_input_iterator_tIbPlNS6_6detail10functional5actorINSH_9compositeIJNSH_27transparent_binary_operatorINS6_8equal_toIvEEEENSI_INSH_8argumentILj0EEEEENSH_5valueIlEEEEEEEEENSD_19counting_iterator_tIlEES8_S8_S8_S8_S8_S8_S8_S8_EEEEPS9_S9_NSD_9__find_if7functorIS9_EEEE10hipError_tPvRmT1_T2_T3_mT4_P12ihipStream_tbEUlT_E0_NS1_11comp_targetILNS1_3genE2ELNS1_11target_archE906ELNS1_3gpuE6ELNS1_3repE0EEENS1_30default_config_static_selectorELNS0_4arch9wavefront6targetE1EEEvS17_.private_seg_size, 0
	.set _ZN7rocprim17ROCPRIM_400000_NS6detail17trampoline_kernelINS0_14default_configENS1_22reduce_config_selectorIN6thrust23THRUST_200600_302600_NS5tupleIblNS6_9null_typeES8_S8_S8_S8_S8_S8_S8_EEEEZNS1_11reduce_implILb1ES3_NS6_12zip_iteratorINS7_INS6_11hip_rocprim26transform_input_iterator_tIbPlNS6_6detail10functional5actorINSH_9compositeIJNSH_27transparent_binary_operatorINS6_8equal_toIvEEEENSI_INSH_8argumentILj0EEEEENSH_5valueIlEEEEEEEEENSD_19counting_iterator_tIlEES8_S8_S8_S8_S8_S8_S8_S8_EEEEPS9_S9_NSD_9__find_if7functorIS9_EEEE10hipError_tPvRmT1_T2_T3_mT4_P12ihipStream_tbEUlT_E0_NS1_11comp_targetILNS1_3genE2ELNS1_11target_archE906ELNS1_3gpuE6ELNS1_3repE0EEENS1_30default_config_static_selectorELNS0_4arch9wavefront6targetE1EEEvS17_.uses_vcc, 1
	.set _ZN7rocprim17ROCPRIM_400000_NS6detail17trampoline_kernelINS0_14default_configENS1_22reduce_config_selectorIN6thrust23THRUST_200600_302600_NS5tupleIblNS6_9null_typeES8_S8_S8_S8_S8_S8_S8_EEEEZNS1_11reduce_implILb1ES3_NS6_12zip_iteratorINS7_INS6_11hip_rocprim26transform_input_iterator_tIbPlNS6_6detail10functional5actorINSH_9compositeIJNSH_27transparent_binary_operatorINS6_8equal_toIvEEEENSI_INSH_8argumentILj0EEEEENSH_5valueIlEEEEEEEEENSD_19counting_iterator_tIlEES8_S8_S8_S8_S8_S8_S8_S8_EEEEPS9_S9_NSD_9__find_if7functorIS9_EEEE10hipError_tPvRmT1_T2_T3_mT4_P12ihipStream_tbEUlT_E0_NS1_11comp_targetILNS1_3genE2ELNS1_11target_archE906ELNS1_3gpuE6ELNS1_3repE0EEENS1_30default_config_static_selectorELNS0_4arch9wavefront6targetE1EEEvS17_.uses_flat_scratch, 0
	.set _ZN7rocprim17ROCPRIM_400000_NS6detail17trampoline_kernelINS0_14default_configENS1_22reduce_config_selectorIN6thrust23THRUST_200600_302600_NS5tupleIblNS6_9null_typeES8_S8_S8_S8_S8_S8_S8_EEEEZNS1_11reduce_implILb1ES3_NS6_12zip_iteratorINS7_INS6_11hip_rocprim26transform_input_iterator_tIbPlNS6_6detail10functional5actorINSH_9compositeIJNSH_27transparent_binary_operatorINS6_8equal_toIvEEEENSI_INSH_8argumentILj0EEEEENSH_5valueIlEEEEEEEEENSD_19counting_iterator_tIlEES8_S8_S8_S8_S8_S8_S8_S8_EEEEPS9_S9_NSD_9__find_if7functorIS9_EEEE10hipError_tPvRmT1_T2_T3_mT4_P12ihipStream_tbEUlT_E0_NS1_11comp_targetILNS1_3genE2ELNS1_11target_archE906ELNS1_3gpuE6ELNS1_3repE0EEENS1_30default_config_static_selectorELNS0_4arch9wavefront6targetE1EEEvS17_.has_dyn_sized_stack, 0
	.set _ZN7rocprim17ROCPRIM_400000_NS6detail17trampoline_kernelINS0_14default_configENS1_22reduce_config_selectorIN6thrust23THRUST_200600_302600_NS5tupleIblNS6_9null_typeES8_S8_S8_S8_S8_S8_S8_EEEEZNS1_11reduce_implILb1ES3_NS6_12zip_iteratorINS7_INS6_11hip_rocprim26transform_input_iterator_tIbPlNS6_6detail10functional5actorINSH_9compositeIJNSH_27transparent_binary_operatorINS6_8equal_toIvEEEENSI_INSH_8argumentILj0EEEEENSH_5valueIlEEEEEEEEENSD_19counting_iterator_tIlEES8_S8_S8_S8_S8_S8_S8_S8_EEEEPS9_S9_NSD_9__find_if7functorIS9_EEEE10hipError_tPvRmT1_T2_T3_mT4_P12ihipStream_tbEUlT_E0_NS1_11comp_targetILNS1_3genE2ELNS1_11target_archE906ELNS1_3gpuE6ELNS1_3repE0EEENS1_30default_config_static_selectorELNS0_4arch9wavefront6targetE1EEEvS17_.has_recursion, 0
	.set _ZN7rocprim17ROCPRIM_400000_NS6detail17trampoline_kernelINS0_14default_configENS1_22reduce_config_selectorIN6thrust23THRUST_200600_302600_NS5tupleIblNS6_9null_typeES8_S8_S8_S8_S8_S8_S8_EEEEZNS1_11reduce_implILb1ES3_NS6_12zip_iteratorINS7_INS6_11hip_rocprim26transform_input_iterator_tIbPlNS6_6detail10functional5actorINSH_9compositeIJNSH_27transparent_binary_operatorINS6_8equal_toIvEEEENSI_INSH_8argumentILj0EEEEENSH_5valueIlEEEEEEEEENSD_19counting_iterator_tIlEES8_S8_S8_S8_S8_S8_S8_S8_EEEEPS9_S9_NSD_9__find_if7functorIS9_EEEE10hipError_tPvRmT1_T2_T3_mT4_P12ihipStream_tbEUlT_E0_NS1_11comp_targetILNS1_3genE2ELNS1_11target_archE906ELNS1_3gpuE6ELNS1_3repE0EEENS1_30default_config_static_selectorELNS0_4arch9wavefront6targetE1EEEvS17_.has_indirect_call, 0
	.section	.AMDGPU.csdata,"",@progbits
; Kernel info:
; codeLenInByte = 2756
; TotalNumSgprs: 36
; NumVgprs: 14
; ScratchSize: 0
; MemoryBound: 0
; FloatMode: 240
; IeeeMode: 1
; LDSByteSize: 64 bytes/workgroup (compile time only)
; SGPRBlocks: 4
; VGPRBlocks: 3
; NumSGPRsForWavesPerEU: 36
; NumVGPRsForWavesPerEU: 14
; Occupancy: 10
; WaveLimiterHint : 1
; COMPUTE_PGM_RSRC2:SCRATCH_EN: 0
; COMPUTE_PGM_RSRC2:USER_SGPR: 6
; COMPUTE_PGM_RSRC2:TRAP_HANDLER: 0
; COMPUTE_PGM_RSRC2:TGID_X_EN: 1
; COMPUTE_PGM_RSRC2:TGID_Y_EN: 0
; COMPUTE_PGM_RSRC2:TGID_Z_EN: 0
; COMPUTE_PGM_RSRC2:TIDIG_COMP_CNT: 0
	.section	.text._ZN7rocprim17ROCPRIM_400000_NS6detail17trampoline_kernelINS0_14default_configENS1_22reduce_config_selectorIN6thrust23THRUST_200600_302600_NS5tupleIblNS6_9null_typeES8_S8_S8_S8_S8_S8_S8_EEEEZNS1_11reduce_implILb1ES3_NS6_12zip_iteratorINS7_INS6_11hip_rocprim26transform_input_iterator_tIbPlNS6_6detail10functional5actorINSH_9compositeIJNSH_27transparent_binary_operatorINS6_8equal_toIvEEEENSI_INSH_8argumentILj0EEEEENSH_5valueIlEEEEEEEEENSD_19counting_iterator_tIlEES8_S8_S8_S8_S8_S8_S8_S8_EEEEPS9_S9_NSD_9__find_if7functorIS9_EEEE10hipError_tPvRmT1_T2_T3_mT4_P12ihipStream_tbEUlT_E0_NS1_11comp_targetILNS1_3genE10ELNS1_11target_archE1201ELNS1_3gpuE5ELNS1_3repE0EEENS1_30default_config_static_selectorELNS0_4arch9wavefront6targetE1EEEvS17_,"axG",@progbits,_ZN7rocprim17ROCPRIM_400000_NS6detail17trampoline_kernelINS0_14default_configENS1_22reduce_config_selectorIN6thrust23THRUST_200600_302600_NS5tupleIblNS6_9null_typeES8_S8_S8_S8_S8_S8_S8_EEEEZNS1_11reduce_implILb1ES3_NS6_12zip_iteratorINS7_INS6_11hip_rocprim26transform_input_iterator_tIbPlNS6_6detail10functional5actorINSH_9compositeIJNSH_27transparent_binary_operatorINS6_8equal_toIvEEEENSI_INSH_8argumentILj0EEEEENSH_5valueIlEEEEEEEEENSD_19counting_iterator_tIlEES8_S8_S8_S8_S8_S8_S8_S8_EEEEPS9_S9_NSD_9__find_if7functorIS9_EEEE10hipError_tPvRmT1_T2_T3_mT4_P12ihipStream_tbEUlT_E0_NS1_11comp_targetILNS1_3genE10ELNS1_11target_archE1201ELNS1_3gpuE5ELNS1_3repE0EEENS1_30default_config_static_selectorELNS0_4arch9wavefront6targetE1EEEvS17_,comdat
	.protected	_ZN7rocprim17ROCPRIM_400000_NS6detail17trampoline_kernelINS0_14default_configENS1_22reduce_config_selectorIN6thrust23THRUST_200600_302600_NS5tupleIblNS6_9null_typeES8_S8_S8_S8_S8_S8_S8_EEEEZNS1_11reduce_implILb1ES3_NS6_12zip_iteratorINS7_INS6_11hip_rocprim26transform_input_iterator_tIbPlNS6_6detail10functional5actorINSH_9compositeIJNSH_27transparent_binary_operatorINS6_8equal_toIvEEEENSI_INSH_8argumentILj0EEEEENSH_5valueIlEEEEEEEEENSD_19counting_iterator_tIlEES8_S8_S8_S8_S8_S8_S8_S8_EEEEPS9_S9_NSD_9__find_if7functorIS9_EEEE10hipError_tPvRmT1_T2_T3_mT4_P12ihipStream_tbEUlT_E0_NS1_11comp_targetILNS1_3genE10ELNS1_11target_archE1201ELNS1_3gpuE5ELNS1_3repE0EEENS1_30default_config_static_selectorELNS0_4arch9wavefront6targetE1EEEvS17_ ; -- Begin function _ZN7rocprim17ROCPRIM_400000_NS6detail17trampoline_kernelINS0_14default_configENS1_22reduce_config_selectorIN6thrust23THRUST_200600_302600_NS5tupleIblNS6_9null_typeES8_S8_S8_S8_S8_S8_S8_EEEEZNS1_11reduce_implILb1ES3_NS6_12zip_iteratorINS7_INS6_11hip_rocprim26transform_input_iterator_tIbPlNS6_6detail10functional5actorINSH_9compositeIJNSH_27transparent_binary_operatorINS6_8equal_toIvEEEENSI_INSH_8argumentILj0EEEEENSH_5valueIlEEEEEEEEENSD_19counting_iterator_tIlEES8_S8_S8_S8_S8_S8_S8_S8_EEEEPS9_S9_NSD_9__find_if7functorIS9_EEEE10hipError_tPvRmT1_T2_T3_mT4_P12ihipStream_tbEUlT_E0_NS1_11comp_targetILNS1_3genE10ELNS1_11target_archE1201ELNS1_3gpuE5ELNS1_3repE0EEENS1_30default_config_static_selectorELNS0_4arch9wavefront6targetE1EEEvS17_
	.globl	_ZN7rocprim17ROCPRIM_400000_NS6detail17trampoline_kernelINS0_14default_configENS1_22reduce_config_selectorIN6thrust23THRUST_200600_302600_NS5tupleIblNS6_9null_typeES8_S8_S8_S8_S8_S8_S8_EEEEZNS1_11reduce_implILb1ES3_NS6_12zip_iteratorINS7_INS6_11hip_rocprim26transform_input_iterator_tIbPlNS6_6detail10functional5actorINSH_9compositeIJNSH_27transparent_binary_operatorINS6_8equal_toIvEEEENSI_INSH_8argumentILj0EEEEENSH_5valueIlEEEEEEEEENSD_19counting_iterator_tIlEES8_S8_S8_S8_S8_S8_S8_S8_EEEEPS9_S9_NSD_9__find_if7functorIS9_EEEE10hipError_tPvRmT1_T2_T3_mT4_P12ihipStream_tbEUlT_E0_NS1_11comp_targetILNS1_3genE10ELNS1_11target_archE1201ELNS1_3gpuE5ELNS1_3repE0EEENS1_30default_config_static_selectorELNS0_4arch9wavefront6targetE1EEEvS17_
	.p2align	8
	.type	_ZN7rocprim17ROCPRIM_400000_NS6detail17trampoline_kernelINS0_14default_configENS1_22reduce_config_selectorIN6thrust23THRUST_200600_302600_NS5tupleIblNS6_9null_typeES8_S8_S8_S8_S8_S8_S8_EEEEZNS1_11reduce_implILb1ES3_NS6_12zip_iteratorINS7_INS6_11hip_rocprim26transform_input_iterator_tIbPlNS6_6detail10functional5actorINSH_9compositeIJNSH_27transparent_binary_operatorINS6_8equal_toIvEEEENSI_INSH_8argumentILj0EEEEENSH_5valueIlEEEEEEEEENSD_19counting_iterator_tIlEES8_S8_S8_S8_S8_S8_S8_S8_EEEEPS9_S9_NSD_9__find_if7functorIS9_EEEE10hipError_tPvRmT1_T2_T3_mT4_P12ihipStream_tbEUlT_E0_NS1_11comp_targetILNS1_3genE10ELNS1_11target_archE1201ELNS1_3gpuE5ELNS1_3repE0EEENS1_30default_config_static_selectorELNS0_4arch9wavefront6targetE1EEEvS17_,@function
_ZN7rocprim17ROCPRIM_400000_NS6detail17trampoline_kernelINS0_14default_configENS1_22reduce_config_selectorIN6thrust23THRUST_200600_302600_NS5tupleIblNS6_9null_typeES8_S8_S8_S8_S8_S8_S8_EEEEZNS1_11reduce_implILb1ES3_NS6_12zip_iteratorINS7_INS6_11hip_rocprim26transform_input_iterator_tIbPlNS6_6detail10functional5actorINSH_9compositeIJNSH_27transparent_binary_operatorINS6_8equal_toIvEEEENSI_INSH_8argumentILj0EEEEENSH_5valueIlEEEEEEEEENSD_19counting_iterator_tIlEES8_S8_S8_S8_S8_S8_S8_S8_EEEEPS9_S9_NSD_9__find_if7functorIS9_EEEE10hipError_tPvRmT1_T2_T3_mT4_P12ihipStream_tbEUlT_E0_NS1_11comp_targetILNS1_3genE10ELNS1_11target_archE1201ELNS1_3gpuE5ELNS1_3repE0EEENS1_30default_config_static_selectorELNS0_4arch9wavefront6targetE1EEEvS17_: ; @_ZN7rocprim17ROCPRIM_400000_NS6detail17trampoline_kernelINS0_14default_configENS1_22reduce_config_selectorIN6thrust23THRUST_200600_302600_NS5tupleIblNS6_9null_typeES8_S8_S8_S8_S8_S8_S8_EEEEZNS1_11reduce_implILb1ES3_NS6_12zip_iteratorINS7_INS6_11hip_rocprim26transform_input_iterator_tIbPlNS6_6detail10functional5actorINSH_9compositeIJNSH_27transparent_binary_operatorINS6_8equal_toIvEEEENSI_INSH_8argumentILj0EEEEENSH_5valueIlEEEEEEEEENSD_19counting_iterator_tIlEES8_S8_S8_S8_S8_S8_S8_S8_EEEEPS9_S9_NSD_9__find_if7functorIS9_EEEE10hipError_tPvRmT1_T2_T3_mT4_P12ihipStream_tbEUlT_E0_NS1_11comp_targetILNS1_3genE10ELNS1_11target_archE1201ELNS1_3gpuE5ELNS1_3repE0EEENS1_30default_config_static_selectorELNS0_4arch9wavefront6targetE1EEEvS17_
; %bb.0:
	.section	.rodata,"a",@progbits
	.p2align	6, 0x0
	.amdhsa_kernel _ZN7rocprim17ROCPRIM_400000_NS6detail17trampoline_kernelINS0_14default_configENS1_22reduce_config_selectorIN6thrust23THRUST_200600_302600_NS5tupleIblNS6_9null_typeES8_S8_S8_S8_S8_S8_S8_EEEEZNS1_11reduce_implILb1ES3_NS6_12zip_iteratorINS7_INS6_11hip_rocprim26transform_input_iterator_tIbPlNS6_6detail10functional5actorINSH_9compositeIJNSH_27transparent_binary_operatorINS6_8equal_toIvEEEENSI_INSH_8argumentILj0EEEEENSH_5valueIlEEEEEEEEENSD_19counting_iterator_tIlEES8_S8_S8_S8_S8_S8_S8_S8_EEEEPS9_S9_NSD_9__find_if7functorIS9_EEEE10hipError_tPvRmT1_T2_T3_mT4_P12ihipStream_tbEUlT_E0_NS1_11comp_targetILNS1_3genE10ELNS1_11target_archE1201ELNS1_3gpuE5ELNS1_3repE0EEENS1_30default_config_static_selectorELNS0_4arch9wavefront6targetE1EEEvS17_
		.amdhsa_group_segment_fixed_size 0
		.amdhsa_private_segment_fixed_size 0
		.amdhsa_kernarg_size 96
		.amdhsa_user_sgpr_count 6
		.amdhsa_user_sgpr_private_segment_buffer 1
		.amdhsa_user_sgpr_dispatch_ptr 0
		.amdhsa_user_sgpr_queue_ptr 0
		.amdhsa_user_sgpr_kernarg_segment_ptr 1
		.amdhsa_user_sgpr_dispatch_id 0
		.amdhsa_user_sgpr_flat_scratch_init 0
		.amdhsa_user_sgpr_private_segment_size 0
		.amdhsa_uses_dynamic_stack 0
		.amdhsa_system_sgpr_private_segment_wavefront_offset 0
		.amdhsa_system_sgpr_workgroup_id_x 1
		.amdhsa_system_sgpr_workgroup_id_y 0
		.amdhsa_system_sgpr_workgroup_id_z 0
		.amdhsa_system_sgpr_workgroup_info 0
		.amdhsa_system_vgpr_workitem_id 0
		.amdhsa_next_free_vgpr 1
		.amdhsa_next_free_sgpr 0
		.amdhsa_reserve_vcc 0
		.amdhsa_reserve_flat_scratch 0
		.amdhsa_float_round_mode_32 0
		.amdhsa_float_round_mode_16_64 0
		.amdhsa_float_denorm_mode_32 3
		.amdhsa_float_denorm_mode_16_64 3
		.amdhsa_dx10_clamp 1
		.amdhsa_ieee_mode 1
		.amdhsa_fp16_overflow 0
		.amdhsa_exception_fp_ieee_invalid_op 0
		.amdhsa_exception_fp_denorm_src 0
		.amdhsa_exception_fp_ieee_div_zero 0
		.amdhsa_exception_fp_ieee_overflow 0
		.amdhsa_exception_fp_ieee_underflow 0
		.amdhsa_exception_fp_ieee_inexact 0
		.amdhsa_exception_int_div_zero 0
	.end_amdhsa_kernel
	.section	.text._ZN7rocprim17ROCPRIM_400000_NS6detail17trampoline_kernelINS0_14default_configENS1_22reduce_config_selectorIN6thrust23THRUST_200600_302600_NS5tupleIblNS6_9null_typeES8_S8_S8_S8_S8_S8_S8_EEEEZNS1_11reduce_implILb1ES3_NS6_12zip_iteratorINS7_INS6_11hip_rocprim26transform_input_iterator_tIbPlNS6_6detail10functional5actorINSH_9compositeIJNSH_27transparent_binary_operatorINS6_8equal_toIvEEEENSI_INSH_8argumentILj0EEEEENSH_5valueIlEEEEEEEEENSD_19counting_iterator_tIlEES8_S8_S8_S8_S8_S8_S8_S8_EEEEPS9_S9_NSD_9__find_if7functorIS9_EEEE10hipError_tPvRmT1_T2_T3_mT4_P12ihipStream_tbEUlT_E0_NS1_11comp_targetILNS1_3genE10ELNS1_11target_archE1201ELNS1_3gpuE5ELNS1_3repE0EEENS1_30default_config_static_selectorELNS0_4arch9wavefront6targetE1EEEvS17_,"axG",@progbits,_ZN7rocprim17ROCPRIM_400000_NS6detail17trampoline_kernelINS0_14default_configENS1_22reduce_config_selectorIN6thrust23THRUST_200600_302600_NS5tupleIblNS6_9null_typeES8_S8_S8_S8_S8_S8_S8_EEEEZNS1_11reduce_implILb1ES3_NS6_12zip_iteratorINS7_INS6_11hip_rocprim26transform_input_iterator_tIbPlNS6_6detail10functional5actorINSH_9compositeIJNSH_27transparent_binary_operatorINS6_8equal_toIvEEEENSI_INSH_8argumentILj0EEEEENSH_5valueIlEEEEEEEEENSD_19counting_iterator_tIlEES8_S8_S8_S8_S8_S8_S8_S8_EEEEPS9_S9_NSD_9__find_if7functorIS9_EEEE10hipError_tPvRmT1_T2_T3_mT4_P12ihipStream_tbEUlT_E0_NS1_11comp_targetILNS1_3genE10ELNS1_11target_archE1201ELNS1_3gpuE5ELNS1_3repE0EEENS1_30default_config_static_selectorELNS0_4arch9wavefront6targetE1EEEvS17_,comdat
.Lfunc_end1245:
	.size	_ZN7rocprim17ROCPRIM_400000_NS6detail17trampoline_kernelINS0_14default_configENS1_22reduce_config_selectorIN6thrust23THRUST_200600_302600_NS5tupleIblNS6_9null_typeES8_S8_S8_S8_S8_S8_S8_EEEEZNS1_11reduce_implILb1ES3_NS6_12zip_iteratorINS7_INS6_11hip_rocprim26transform_input_iterator_tIbPlNS6_6detail10functional5actorINSH_9compositeIJNSH_27transparent_binary_operatorINS6_8equal_toIvEEEENSI_INSH_8argumentILj0EEEEENSH_5valueIlEEEEEEEEENSD_19counting_iterator_tIlEES8_S8_S8_S8_S8_S8_S8_S8_EEEEPS9_S9_NSD_9__find_if7functorIS9_EEEE10hipError_tPvRmT1_T2_T3_mT4_P12ihipStream_tbEUlT_E0_NS1_11comp_targetILNS1_3genE10ELNS1_11target_archE1201ELNS1_3gpuE5ELNS1_3repE0EEENS1_30default_config_static_selectorELNS0_4arch9wavefront6targetE1EEEvS17_, .Lfunc_end1245-_ZN7rocprim17ROCPRIM_400000_NS6detail17trampoline_kernelINS0_14default_configENS1_22reduce_config_selectorIN6thrust23THRUST_200600_302600_NS5tupleIblNS6_9null_typeES8_S8_S8_S8_S8_S8_S8_EEEEZNS1_11reduce_implILb1ES3_NS6_12zip_iteratorINS7_INS6_11hip_rocprim26transform_input_iterator_tIbPlNS6_6detail10functional5actorINSH_9compositeIJNSH_27transparent_binary_operatorINS6_8equal_toIvEEEENSI_INSH_8argumentILj0EEEEENSH_5valueIlEEEEEEEEENSD_19counting_iterator_tIlEES8_S8_S8_S8_S8_S8_S8_S8_EEEEPS9_S9_NSD_9__find_if7functorIS9_EEEE10hipError_tPvRmT1_T2_T3_mT4_P12ihipStream_tbEUlT_E0_NS1_11comp_targetILNS1_3genE10ELNS1_11target_archE1201ELNS1_3gpuE5ELNS1_3repE0EEENS1_30default_config_static_selectorELNS0_4arch9wavefront6targetE1EEEvS17_
                                        ; -- End function
	.set _ZN7rocprim17ROCPRIM_400000_NS6detail17trampoline_kernelINS0_14default_configENS1_22reduce_config_selectorIN6thrust23THRUST_200600_302600_NS5tupleIblNS6_9null_typeES8_S8_S8_S8_S8_S8_S8_EEEEZNS1_11reduce_implILb1ES3_NS6_12zip_iteratorINS7_INS6_11hip_rocprim26transform_input_iterator_tIbPlNS6_6detail10functional5actorINSH_9compositeIJNSH_27transparent_binary_operatorINS6_8equal_toIvEEEENSI_INSH_8argumentILj0EEEEENSH_5valueIlEEEEEEEEENSD_19counting_iterator_tIlEES8_S8_S8_S8_S8_S8_S8_S8_EEEEPS9_S9_NSD_9__find_if7functorIS9_EEEE10hipError_tPvRmT1_T2_T3_mT4_P12ihipStream_tbEUlT_E0_NS1_11comp_targetILNS1_3genE10ELNS1_11target_archE1201ELNS1_3gpuE5ELNS1_3repE0EEENS1_30default_config_static_selectorELNS0_4arch9wavefront6targetE1EEEvS17_.num_vgpr, 0
	.set _ZN7rocprim17ROCPRIM_400000_NS6detail17trampoline_kernelINS0_14default_configENS1_22reduce_config_selectorIN6thrust23THRUST_200600_302600_NS5tupleIblNS6_9null_typeES8_S8_S8_S8_S8_S8_S8_EEEEZNS1_11reduce_implILb1ES3_NS6_12zip_iteratorINS7_INS6_11hip_rocprim26transform_input_iterator_tIbPlNS6_6detail10functional5actorINSH_9compositeIJNSH_27transparent_binary_operatorINS6_8equal_toIvEEEENSI_INSH_8argumentILj0EEEEENSH_5valueIlEEEEEEEEENSD_19counting_iterator_tIlEES8_S8_S8_S8_S8_S8_S8_S8_EEEEPS9_S9_NSD_9__find_if7functorIS9_EEEE10hipError_tPvRmT1_T2_T3_mT4_P12ihipStream_tbEUlT_E0_NS1_11comp_targetILNS1_3genE10ELNS1_11target_archE1201ELNS1_3gpuE5ELNS1_3repE0EEENS1_30default_config_static_selectorELNS0_4arch9wavefront6targetE1EEEvS17_.num_agpr, 0
	.set _ZN7rocprim17ROCPRIM_400000_NS6detail17trampoline_kernelINS0_14default_configENS1_22reduce_config_selectorIN6thrust23THRUST_200600_302600_NS5tupleIblNS6_9null_typeES8_S8_S8_S8_S8_S8_S8_EEEEZNS1_11reduce_implILb1ES3_NS6_12zip_iteratorINS7_INS6_11hip_rocprim26transform_input_iterator_tIbPlNS6_6detail10functional5actorINSH_9compositeIJNSH_27transparent_binary_operatorINS6_8equal_toIvEEEENSI_INSH_8argumentILj0EEEEENSH_5valueIlEEEEEEEEENSD_19counting_iterator_tIlEES8_S8_S8_S8_S8_S8_S8_S8_EEEEPS9_S9_NSD_9__find_if7functorIS9_EEEE10hipError_tPvRmT1_T2_T3_mT4_P12ihipStream_tbEUlT_E0_NS1_11comp_targetILNS1_3genE10ELNS1_11target_archE1201ELNS1_3gpuE5ELNS1_3repE0EEENS1_30default_config_static_selectorELNS0_4arch9wavefront6targetE1EEEvS17_.numbered_sgpr, 0
	.set _ZN7rocprim17ROCPRIM_400000_NS6detail17trampoline_kernelINS0_14default_configENS1_22reduce_config_selectorIN6thrust23THRUST_200600_302600_NS5tupleIblNS6_9null_typeES8_S8_S8_S8_S8_S8_S8_EEEEZNS1_11reduce_implILb1ES3_NS6_12zip_iteratorINS7_INS6_11hip_rocprim26transform_input_iterator_tIbPlNS6_6detail10functional5actorINSH_9compositeIJNSH_27transparent_binary_operatorINS6_8equal_toIvEEEENSI_INSH_8argumentILj0EEEEENSH_5valueIlEEEEEEEEENSD_19counting_iterator_tIlEES8_S8_S8_S8_S8_S8_S8_S8_EEEEPS9_S9_NSD_9__find_if7functorIS9_EEEE10hipError_tPvRmT1_T2_T3_mT4_P12ihipStream_tbEUlT_E0_NS1_11comp_targetILNS1_3genE10ELNS1_11target_archE1201ELNS1_3gpuE5ELNS1_3repE0EEENS1_30default_config_static_selectorELNS0_4arch9wavefront6targetE1EEEvS17_.num_named_barrier, 0
	.set _ZN7rocprim17ROCPRIM_400000_NS6detail17trampoline_kernelINS0_14default_configENS1_22reduce_config_selectorIN6thrust23THRUST_200600_302600_NS5tupleIblNS6_9null_typeES8_S8_S8_S8_S8_S8_S8_EEEEZNS1_11reduce_implILb1ES3_NS6_12zip_iteratorINS7_INS6_11hip_rocprim26transform_input_iterator_tIbPlNS6_6detail10functional5actorINSH_9compositeIJNSH_27transparent_binary_operatorINS6_8equal_toIvEEEENSI_INSH_8argumentILj0EEEEENSH_5valueIlEEEEEEEEENSD_19counting_iterator_tIlEES8_S8_S8_S8_S8_S8_S8_S8_EEEEPS9_S9_NSD_9__find_if7functorIS9_EEEE10hipError_tPvRmT1_T2_T3_mT4_P12ihipStream_tbEUlT_E0_NS1_11comp_targetILNS1_3genE10ELNS1_11target_archE1201ELNS1_3gpuE5ELNS1_3repE0EEENS1_30default_config_static_selectorELNS0_4arch9wavefront6targetE1EEEvS17_.private_seg_size, 0
	.set _ZN7rocprim17ROCPRIM_400000_NS6detail17trampoline_kernelINS0_14default_configENS1_22reduce_config_selectorIN6thrust23THRUST_200600_302600_NS5tupleIblNS6_9null_typeES8_S8_S8_S8_S8_S8_S8_EEEEZNS1_11reduce_implILb1ES3_NS6_12zip_iteratorINS7_INS6_11hip_rocprim26transform_input_iterator_tIbPlNS6_6detail10functional5actorINSH_9compositeIJNSH_27transparent_binary_operatorINS6_8equal_toIvEEEENSI_INSH_8argumentILj0EEEEENSH_5valueIlEEEEEEEEENSD_19counting_iterator_tIlEES8_S8_S8_S8_S8_S8_S8_S8_EEEEPS9_S9_NSD_9__find_if7functorIS9_EEEE10hipError_tPvRmT1_T2_T3_mT4_P12ihipStream_tbEUlT_E0_NS1_11comp_targetILNS1_3genE10ELNS1_11target_archE1201ELNS1_3gpuE5ELNS1_3repE0EEENS1_30default_config_static_selectorELNS0_4arch9wavefront6targetE1EEEvS17_.uses_vcc, 0
	.set _ZN7rocprim17ROCPRIM_400000_NS6detail17trampoline_kernelINS0_14default_configENS1_22reduce_config_selectorIN6thrust23THRUST_200600_302600_NS5tupleIblNS6_9null_typeES8_S8_S8_S8_S8_S8_S8_EEEEZNS1_11reduce_implILb1ES3_NS6_12zip_iteratorINS7_INS6_11hip_rocprim26transform_input_iterator_tIbPlNS6_6detail10functional5actorINSH_9compositeIJNSH_27transparent_binary_operatorINS6_8equal_toIvEEEENSI_INSH_8argumentILj0EEEEENSH_5valueIlEEEEEEEEENSD_19counting_iterator_tIlEES8_S8_S8_S8_S8_S8_S8_S8_EEEEPS9_S9_NSD_9__find_if7functorIS9_EEEE10hipError_tPvRmT1_T2_T3_mT4_P12ihipStream_tbEUlT_E0_NS1_11comp_targetILNS1_3genE10ELNS1_11target_archE1201ELNS1_3gpuE5ELNS1_3repE0EEENS1_30default_config_static_selectorELNS0_4arch9wavefront6targetE1EEEvS17_.uses_flat_scratch, 0
	.set _ZN7rocprim17ROCPRIM_400000_NS6detail17trampoline_kernelINS0_14default_configENS1_22reduce_config_selectorIN6thrust23THRUST_200600_302600_NS5tupleIblNS6_9null_typeES8_S8_S8_S8_S8_S8_S8_EEEEZNS1_11reduce_implILb1ES3_NS6_12zip_iteratorINS7_INS6_11hip_rocprim26transform_input_iterator_tIbPlNS6_6detail10functional5actorINSH_9compositeIJNSH_27transparent_binary_operatorINS6_8equal_toIvEEEENSI_INSH_8argumentILj0EEEEENSH_5valueIlEEEEEEEEENSD_19counting_iterator_tIlEES8_S8_S8_S8_S8_S8_S8_S8_EEEEPS9_S9_NSD_9__find_if7functorIS9_EEEE10hipError_tPvRmT1_T2_T3_mT4_P12ihipStream_tbEUlT_E0_NS1_11comp_targetILNS1_3genE10ELNS1_11target_archE1201ELNS1_3gpuE5ELNS1_3repE0EEENS1_30default_config_static_selectorELNS0_4arch9wavefront6targetE1EEEvS17_.has_dyn_sized_stack, 0
	.set _ZN7rocprim17ROCPRIM_400000_NS6detail17trampoline_kernelINS0_14default_configENS1_22reduce_config_selectorIN6thrust23THRUST_200600_302600_NS5tupleIblNS6_9null_typeES8_S8_S8_S8_S8_S8_S8_EEEEZNS1_11reduce_implILb1ES3_NS6_12zip_iteratorINS7_INS6_11hip_rocprim26transform_input_iterator_tIbPlNS6_6detail10functional5actorINSH_9compositeIJNSH_27transparent_binary_operatorINS6_8equal_toIvEEEENSI_INSH_8argumentILj0EEEEENSH_5valueIlEEEEEEEEENSD_19counting_iterator_tIlEES8_S8_S8_S8_S8_S8_S8_S8_EEEEPS9_S9_NSD_9__find_if7functorIS9_EEEE10hipError_tPvRmT1_T2_T3_mT4_P12ihipStream_tbEUlT_E0_NS1_11comp_targetILNS1_3genE10ELNS1_11target_archE1201ELNS1_3gpuE5ELNS1_3repE0EEENS1_30default_config_static_selectorELNS0_4arch9wavefront6targetE1EEEvS17_.has_recursion, 0
	.set _ZN7rocprim17ROCPRIM_400000_NS6detail17trampoline_kernelINS0_14default_configENS1_22reduce_config_selectorIN6thrust23THRUST_200600_302600_NS5tupleIblNS6_9null_typeES8_S8_S8_S8_S8_S8_S8_EEEEZNS1_11reduce_implILb1ES3_NS6_12zip_iteratorINS7_INS6_11hip_rocprim26transform_input_iterator_tIbPlNS6_6detail10functional5actorINSH_9compositeIJNSH_27transparent_binary_operatorINS6_8equal_toIvEEEENSI_INSH_8argumentILj0EEEEENSH_5valueIlEEEEEEEEENSD_19counting_iterator_tIlEES8_S8_S8_S8_S8_S8_S8_S8_EEEEPS9_S9_NSD_9__find_if7functorIS9_EEEE10hipError_tPvRmT1_T2_T3_mT4_P12ihipStream_tbEUlT_E0_NS1_11comp_targetILNS1_3genE10ELNS1_11target_archE1201ELNS1_3gpuE5ELNS1_3repE0EEENS1_30default_config_static_selectorELNS0_4arch9wavefront6targetE1EEEvS17_.has_indirect_call, 0
	.section	.AMDGPU.csdata,"",@progbits
; Kernel info:
; codeLenInByte = 0
; TotalNumSgprs: 4
; NumVgprs: 0
; ScratchSize: 0
; MemoryBound: 0
; FloatMode: 240
; IeeeMode: 1
; LDSByteSize: 0 bytes/workgroup (compile time only)
; SGPRBlocks: 0
; VGPRBlocks: 0
; NumSGPRsForWavesPerEU: 4
; NumVGPRsForWavesPerEU: 1
; Occupancy: 10
; WaveLimiterHint : 0
; COMPUTE_PGM_RSRC2:SCRATCH_EN: 0
; COMPUTE_PGM_RSRC2:USER_SGPR: 6
; COMPUTE_PGM_RSRC2:TRAP_HANDLER: 0
; COMPUTE_PGM_RSRC2:TGID_X_EN: 1
; COMPUTE_PGM_RSRC2:TGID_Y_EN: 0
; COMPUTE_PGM_RSRC2:TGID_Z_EN: 0
; COMPUTE_PGM_RSRC2:TIDIG_COMP_CNT: 0
	.section	.text._ZN7rocprim17ROCPRIM_400000_NS6detail17trampoline_kernelINS0_14default_configENS1_22reduce_config_selectorIN6thrust23THRUST_200600_302600_NS5tupleIblNS6_9null_typeES8_S8_S8_S8_S8_S8_S8_EEEEZNS1_11reduce_implILb1ES3_NS6_12zip_iteratorINS7_INS6_11hip_rocprim26transform_input_iterator_tIbPlNS6_6detail10functional5actorINSH_9compositeIJNSH_27transparent_binary_operatorINS6_8equal_toIvEEEENSI_INSH_8argumentILj0EEEEENSH_5valueIlEEEEEEEEENSD_19counting_iterator_tIlEES8_S8_S8_S8_S8_S8_S8_S8_EEEEPS9_S9_NSD_9__find_if7functorIS9_EEEE10hipError_tPvRmT1_T2_T3_mT4_P12ihipStream_tbEUlT_E0_NS1_11comp_targetILNS1_3genE10ELNS1_11target_archE1200ELNS1_3gpuE4ELNS1_3repE0EEENS1_30default_config_static_selectorELNS0_4arch9wavefront6targetE1EEEvS17_,"axG",@progbits,_ZN7rocprim17ROCPRIM_400000_NS6detail17trampoline_kernelINS0_14default_configENS1_22reduce_config_selectorIN6thrust23THRUST_200600_302600_NS5tupleIblNS6_9null_typeES8_S8_S8_S8_S8_S8_S8_EEEEZNS1_11reduce_implILb1ES3_NS6_12zip_iteratorINS7_INS6_11hip_rocprim26transform_input_iterator_tIbPlNS6_6detail10functional5actorINSH_9compositeIJNSH_27transparent_binary_operatorINS6_8equal_toIvEEEENSI_INSH_8argumentILj0EEEEENSH_5valueIlEEEEEEEEENSD_19counting_iterator_tIlEES8_S8_S8_S8_S8_S8_S8_S8_EEEEPS9_S9_NSD_9__find_if7functorIS9_EEEE10hipError_tPvRmT1_T2_T3_mT4_P12ihipStream_tbEUlT_E0_NS1_11comp_targetILNS1_3genE10ELNS1_11target_archE1200ELNS1_3gpuE4ELNS1_3repE0EEENS1_30default_config_static_selectorELNS0_4arch9wavefront6targetE1EEEvS17_,comdat
	.protected	_ZN7rocprim17ROCPRIM_400000_NS6detail17trampoline_kernelINS0_14default_configENS1_22reduce_config_selectorIN6thrust23THRUST_200600_302600_NS5tupleIblNS6_9null_typeES8_S8_S8_S8_S8_S8_S8_EEEEZNS1_11reduce_implILb1ES3_NS6_12zip_iteratorINS7_INS6_11hip_rocprim26transform_input_iterator_tIbPlNS6_6detail10functional5actorINSH_9compositeIJNSH_27transparent_binary_operatorINS6_8equal_toIvEEEENSI_INSH_8argumentILj0EEEEENSH_5valueIlEEEEEEEEENSD_19counting_iterator_tIlEES8_S8_S8_S8_S8_S8_S8_S8_EEEEPS9_S9_NSD_9__find_if7functorIS9_EEEE10hipError_tPvRmT1_T2_T3_mT4_P12ihipStream_tbEUlT_E0_NS1_11comp_targetILNS1_3genE10ELNS1_11target_archE1200ELNS1_3gpuE4ELNS1_3repE0EEENS1_30default_config_static_selectorELNS0_4arch9wavefront6targetE1EEEvS17_ ; -- Begin function _ZN7rocprim17ROCPRIM_400000_NS6detail17trampoline_kernelINS0_14default_configENS1_22reduce_config_selectorIN6thrust23THRUST_200600_302600_NS5tupleIblNS6_9null_typeES8_S8_S8_S8_S8_S8_S8_EEEEZNS1_11reduce_implILb1ES3_NS6_12zip_iteratorINS7_INS6_11hip_rocprim26transform_input_iterator_tIbPlNS6_6detail10functional5actorINSH_9compositeIJNSH_27transparent_binary_operatorINS6_8equal_toIvEEEENSI_INSH_8argumentILj0EEEEENSH_5valueIlEEEEEEEEENSD_19counting_iterator_tIlEES8_S8_S8_S8_S8_S8_S8_S8_EEEEPS9_S9_NSD_9__find_if7functorIS9_EEEE10hipError_tPvRmT1_T2_T3_mT4_P12ihipStream_tbEUlT_E0_NS1_11comp_targetILNS1_3genE10ELNS1_11target_archE1200ELNS1_3gpuE4ELNS1_3repE0EEENS1_30default_config_static_selectorELNS0_4arch9wavefront6targetE1EEEvS17_
	.globl	_ZN7rocprim17ROCPRIM_400000_NS6detail17trampoline_kernelINS0_14default_configENS1_22reduce_config_selectorIN6thrust23THRUST_200600_302600_NS5tupleIblNS6_9null_typeES8_S8_S8_S8_S8_S8_S8_EEEEZNS1_11reduce_implILb1ES3_NS6_12zip_iteratorINS7_INS6_11hip_rocprim26transform_input_iterator_tIbPlNS6_6detail10functional5actorINSH_9compositeIJNSH_27transparent_binary_operatorINS6_8equal_toIvEEEENSI_INSH_8argumentILj0EEEEENSH_5valueIlEEEEEEEEENSD_19counting_iterator_tIlEES8_S8_S8_S8_S8_S8_S8_S8_EEEEPS9_S9_NSD_9__find_if7functorIS9_EEEE10hipError_tPvRmT1_T2_T3_mT4_P12ihipStream_tbEUlT_E0_NS1_11comp_targetILNS1_3genE10ELNS1_11target_archE1200ELNS1_3gpuE4ELNS1_3repE0EEENS1_30default_config_static_selectorELNS0_4arch9wavefront6targetE1EEEvS17_
	.p2align	8
	.type	_ZN7rocprim17ROCPRIM_400000_NS6detail17trampoline_kernelINS0_14default_configENS1_22reduce_config_selectorIN6thrust23THRUST_200600_302600_NS5tupleIblNS6_9null_typeES8_S8_S8_S8_S8_S8_S8_EEEEZNS1_11reduce_implILb1ES3_NS6_12zip_iteratorINS7_INS6_11hip_rocprim26transform_input_iterator_tIbPlNS6_6detail10functional5actorINSH_9compositeIJNSH_27transparent_binary_operatorINS6_8equal_toIvEEEENSI_INSH_8argumentILj0EEEEENSH_5valueIlEEEEEEEEENSD_19counting_iterator_tIlEES8_S8_S8_S8_S8_S8_S8_S8_EEEEPS9_S9_NSD_9__find_if7functorIS9_EEEE10hipError_tPvRmT1_T2_T3_mT4_P12ihipStream_tbEUlT_E0_NS1_11comp_targetILNS1_3genE10ELNS1_11target_archE1200ELNS1_3gpuE4ELNS1_3repE0EEENS1_30default_config_static_selectorELNS0_4arch9wavefront6targetE1EEEvS17_,@function
_ZN7rocprim17ROCPRIM_400000_NS6detail17trampoline_kernelINS0_14default_configENS1_22reduce_config_selectorIN6thrust23THRUST_200600_302600_NS5tupleIblNS6_9null_typeES8_S8_S8_S8_S8_S8_S8_EEEEZNS1_11reduce_implILb1ES3_NS6_12zip_iteratorINS7_INS6_11hip_rocprim26transform_input_iterator_tIbPlNS6_6detail10functional5actorINSH_9compositeIJNSH_27transparent_binary_operatorINS6_8equal_toIvEEEENSI_INSH_8argumentILj0EEEEENSH_5valueIlEEEEEEEEENSD_19counting_iterator_tIlEES8_S8_S8_S8_S8_S8_S8_S8_EEEEPS9_S9_NSD_9__find_if7functorIS9_EEEE10hipError_tPvRmT1_T2_T3_mT4_P12ihipStream_tbEUlT_E0_NS1_11comp_targetILNS1_3genE10ELNS1_11target_archE1200ELNS1_3gpuE4ELNS1_3repE0EEENS1_30default_config_static_selectorELNS0_4arch9wavefront6targetE1EEEvS17_: ; @_ZN7rocprim17ROCPRIM_400000_NS6detail17trampoline_kernelINS0_14default_configENS1_22reduce_config_selectorIN6thrust23THRUST_200600_302600_NS5tupleIblNS6_9null_typeES8_S8_S8_S8_S8_S8_S8_EEEEZNS1_11reduce_implILb1ES3_NS6_12zip_iteratorINS7_INS6_11hip_rocprim26transform_input_iterator_tIbPlNS6_6detail10functional5actorINSH_9compositeIJNSH_27transparent_binary_operatorINS6_8equal_toIvEEEENSI_INSH_8argumentILj0EEEEENSH_5valueIlEEEEEEEEENSD_19counting_iterator_tIlEES8_S8_S8_S8_S8_S8_S8_S8_EEEEPS9_S9_NSD_9__find_if7functorIS9_EEEE10hipError_tPvRmT1_T2_T3_mT4_P12ihipStream_tbEUlT_E0_NS1_11comp_targetILNS1_3genE10ELNS1_11target_archE1200ELNS1_3gpuE4ELNS1_3repE0EEENS1_30default_config_static_selectorELNS0_4arch9wavefront6targetE1EEEvS17_
; %bb.0:
	.section	.rodata,"a",@progbits
	.p2align	6, 0x0
	.amdhsa_kernel _ZN7rocprim17ROCPRIM_400000_NS6detail17trampoline_kernelINS0_14default_configENS1_22reduce_config_selectorIN6thrust23THRUST_200600_302600_NS5tupleIblNS6_9null_typeES8_S8_S8_S8_S8_S8_S8_EEEEZNS1_11reduce_implILb1ES3_NS6_12zip_iteratorINS7_INS6_11hip_rocprim26transform_input_iterator_tIbPlNS6_6detail10functional5actorINSH_9compositeIJNSH_27transparent_binary_operatorINS6_8equal_toIvEEEENSI_INSH_8argumentILj0EEEEENSH_5valueIlEEEEEEEEENSD_19counting_iterator_tIlEES8_S8_S8_S8_S8_S8_S8_S8_EEEEPS9_S9_NSD_9__find_if7functorIS9_EEEE10hipError_tPvRmT1_T2_T3_mT4_P12ihipStream_tbEUlT_E0_NS1_11comp_targetILNS1_3genE10ELNS1_11target_archE1200ELNS1_3gpuE4ELNS1_3repE0EEENS1_30default_config_static_selectorELNS0_4arch9wavefront6targetE1EEEvS17_
		.amdhsa_group_segment_fixed_size 0
		.amdhsa_private_segment_fixed_size 0
		.amdhsa_kernarg_size 96
		.amdhsa_user_sgpr_count 6
		.amdhsa_user_sgpr_private_segment_buffer 1
		.amdhsa_user_sgpr_dispatch_ptr 0
		.amdhsa_user_sgpr_queue_ptr 0
		.amdhsa_user_sgpr_kernarg_segment_ptr 1
		.amdhsa_user_sgpr_dispatch_id 0
		.amdhsa_user_sgpr_flat_scratch_init 0
		.amdhsa_user_sgpr_private_segment_size 0
		.amdhsa_uses_dynamic_stack 0
		.amdhsa_system_sgpr_private_segment_wavefront_offset 0
		.amdhsa_system_sgpr_workgroup_id_x 1
		.amdhsa_system_sgpr_workgroup_id_y 0
		.amdhsa_system_sgpr_workgroup_id_z 0
		.amdhsa_system_sgpr_workgroup_info 0
		.amdhsa_system_vgpr_workitem_id 0
		.amdhsa_next_free_vgpr 1
		.amdhsa_next_free_sgpr 0
		.amdhsa_reserve_vcc 0
		.amdhsa_reserve_flat_scratch 0
		.amdhsa_float_round_mode_32 0
		.amdhsa_float_round_mode_16_64 0
		.amdhsa_float_denorm_mode_32 3
		.amdhsa_float_denorm_mode_16_64 3
		.amdhsa_dx10_clamp 1
		.amdhsa_ieee_mode 1
		.amdhsa_fp16_overflow 0
		.amdhsa_exception_fp_ieee_invalid_op 0
		.amdhsa_exception_fp_denorm_src 0
		.amdhsa_exception_fp_ieee_div_zero 0
		.amdhsa_exception_fp_ieee_overflow 0
		.amdhsa_exception_fp_ieee_underflow 0
		.amdhsa_exception_fp_ieee_inexact 0
		.amdhsa_exception_int_div_zero 0
	.end_amdhsa_kernel
	.section	.text._ZN7rocprim17ROCPRIM_400000_NS6detail17trampoline_kernelINS0_14default_configENS1_22reduce_config_selectorIN6thrust23THRUST_200600_302600_NS5tupleIblNS6_9null_typeES8_S8_S8_S8_S8_S8_S8_EEEEZNS1_11reduce_implILb1ES3_NS6_12zip_iteratorINS7_INS6_11hip_rocprim26transform_input_iterator_tIbPlNS6_6detail10functional5actorINSH_9compositeIJNSH_27transparent_binary_operatorINS6_8equal_toIvEEEENSI_INSH_8argumentILj0EEEEENSH_5valueIlEEEEEEEEENSD_19counting_iterator_tIlEES8_S8_S8_S8_S8_S8_S8_S8_EEEEPS9_S9_NSD_9__find_if7functorIS9_EEEE10hipError_tPvRmT1_T2_T3_mT4_P12ihipStream_tbEUlT_E0_NS1_11comp_targetILNS1_3genE10ELNS1_11target_archE1200ELNS1_3gpuE4ELNS1_3repE0EEENS1_30default_config_static_selectorELNS0_4arch9wavefront6targetE1EEEvS17_,"axG",@progbits,_ZN7rocprim17ROCPRIM_400000_NS6detail17trampoline_kernelINS0_14default_configENS1_22reduce_config_selectorIN6thrust23THRUST_200600_302600_NS5tupleIblNS6_9null_typeES8_S8_S8_S8_S8_S8_S8_EEEEZNS1_11reduce_implILb1ES3_NS6_12zip_iteratorINS7_INS6_11hip_rocprim26transform_input_iterator_tIbPlNS6_6detail10functional5actorINSH_9compositeIJNSH_27transparent_binary_operatorINS6_8equal_toIvEEEENSI_INSH_8argumentILj0EEEEENSH_5valueIlEEEEEEEEENSD_19counting_iterator_tIlEES8_S8_S8_S8_S8_S8_S8_S8_EEEEPS9_S9_NSD_9__find_if7functorIS9_EEEE10hipError_tPvRmT1_T2_T3_mT4_P12ihipStream_tbEUlT_E0_NS1_11comp_targetILNS1_3genE10ELNS1_11target_archE1200ELNS1_3gpuE4ELNS1_3repE0EEENS1_30default_config_static_selectorELNS0_4arch9wavefront6targetE1EEEvS17_,comdat
.Lfunc_end1246:
	.size	_ZN7rocprim17ROCPRIM_400000_NS6detail17trampoline_kernelINS0_14default_configENS1_22reduce_config_selectorIN6thrust23THRUST_200600_302600_NS5tupleIblNS6_9null_typeES8_S8_S8_S8_S8_S8_S8_EEEEZNS1_11reduce_implILb1ES3_NS6_12zip_iteratorINS7_INS6_11hip_rocprim26transform_input_iterator_tIbPlNS6_6detail10functional5actorINSH_9compositeIJNSH_27transparent_binary_operatorINS6_8equal_toIvEEEENSI_INSH_8argumentILj0EEEEENSH_5valueIlEEEEEEEEENSD_19counting_iterator_tIlEES8_S8_S8_S8_S8_S8_S8_S8_EEEEPS9_S9_NSD_9__find_if7functorIS9_EEEE10hipError_tPvRmT1_T2_T3_mT4_P12ihipStream_tbEUlT_E0_NS1_11comp_targetILNS1_3genE10ELNS1_11target_archE1200ELNS1_3gpuE4ELNS1_3repE0EEENS1_30default_config_static_selectorELNS0_4arch9wavefront6targetE1EEEvS17_, .Lfunc_end1246-_ZN7rocprim17ROCPRIM_400000_NS6detail17trampoline_kernelINS0_14default_configENS1_22reduce_config_selectorIN6thrust23THRUST_200600_302600_NS5tupleIblNS6_9null_typeES8_S8_S8_S8_S8_S8_S8_EEEEZNS1_11reduce_implILb1ES3_NS6_12zip_iteratorINS7_INS6_11hip_rocprim26transform_input_iterator_tIbPlNS6_6detail10functional5actorINSH_9compositeIJNSH_27transparent_binary_operatorINS6_8equal_toIvEEEENSI_INSH_8argumentILj0EEEEENSH_5valueIlEEEEEEEEENSD_19counting_iterator_tIlEES8_S8_S8_S8_S8_S8_S8_S8_EEEEPS9_S9_NSD_9__find_if7functorIS9_EEEE10hipError_tPvRmT1_T2_T3_mT4_P12ihipStream_tbEUlT_E0_NS1_11comp_targetILNS1_3genE10ELNS1_11target_archE1200ELNS1_3gpuE4ELNS1_3repE0EEENS1_30default_config_static_selectorELNS0_4arch9wavefront6targetE1EEEvS17_
                                        ; -- End function
	.set _ZN7rocprim17ROCPRIM_400000_NS6detail17trampoline_kernelINS0_14default_configENS1_22reduce_config_selectorIN6thrust23THRUST_200600_302600_NS5tupleIblNS6_9null_typeES8_S8_S8_S8_S8_S8_S8_EEEEZNS1_11reduce_implILb1ES3_NS6_12zip_iteratorINS7_INS6_11hip_rocprim26transform_input_iterator_tIbPlNS6_6detail10functional5actorINSH_9compositeIJNSH_27transparent_binary_operatorINS6_8equal_toIvEEEENSI_INSH_8argumentILj0EEEEENSH_5valueIlEEEEEEEEENSD_19counting_iterator_tIlEES8_S8_S8_S8_S8_S8_S8_S8_EEEEPS9_S9_NSD_9__find_if7functorIS9_EEEE10hipError_tPvRmT1_T2_T3_mT4_P12ihipStream_tbEUlT_E0_NS1_11comp_targetILNS1_3genE10ELNS1_11target_archE1200ELNS1_3gpuE4ELNS1_3repE0EEENS1_30default_config_static_selectorELNS0_4arch9wavefront6targetE1EEEvS17_.num_vgpr, 0
	.set _ZN7rocprim17ROCPRIM_400000_NS6detail17trampoline_kernelINS0_14default_configENS1_22reduce_config_selectorIN6thrust23THRUST_200600_302600_NS5tupleIblNS6_9null_typeES8_S8_S8_S8_S8_S8_S8_EEEEZNS1_11reduce_implILb1ES3_NS6_12zip_iteratorINS7_INS6_11hip_rocprim26transform_input_iterator_tIbPlNS6_6detail10functional5actorINSH_9compositeIJNSH_27transparent_binary_operatorINS6_8equal_toIvEEEENSI_INSH_8argumentILj0EEEEENSH_5valueIlEEEEEEEEENSD_19counting_iterator_tIlEES8_S8_S8_S8_S8_S8_S8_S8_EEEEPS9_S9_NSD_9__find_if7functorIS9_EEEE10hipError_tPvRmT1_T2_T3_mT4_P12ihipStream_tbEUlT_E0_NS1_11comp_targetILNS1_3genE10ELNS1_11target_archE1200ELNS1_3gpuE4ELNS1_3repE0EEENS1_30default_config_static_selectorELNS0_4arch9wavefront6targetE1EEEvS17_.num_agpr, 0
	.set _ZN7rocprim17ROCPRIM_400000_NS6detail17trampoline_kernelINS0_14default_configENS1_22reduce_config_selectorIN6thrust23THRUST_200600_302600_NS5tupleIblNS6_9null_typeES8_S8_S8_S8_S8_S8_S8_EEEEZNS1_11reduce_implILb1ES3_NS6_12zip_iteratorINS7_INS6_11hip_rocprim26transform_input_iterator_tIbPlNS6_6detail10functional5actorINSH_9compositeIJNSH_27transparent_binary_operatorINS6_8equal_toIvEEEENSI_INSH_8argumentILj0EEEEENSH_5valueIlEEEEEEEEENSD_19counting_iterator_tIlEES8_S8_S8_S8_S8_S8_S8_S8_EEEEPS9_S9_NSD_9__find_if7functorIS9_EEEE10hipError_tPvRmT1_T2_T3_mT4_P12ihipStream_tbEUlT_E0_NS1_11comp_targetILNS1_3genE10ELNS1_11target_archE1200ELNS1_3gpuE4ELNS1_3repE0EEENS1_30default_config_static_selectorELNS0_4arch9wavefront6targetE1EEEvS17_.numbered_sgpr, 0
	.set _ZN7rocprim17ROCPRIM_400000_NS6detail17trampoline_kernelINS0_14default_configENS1_22reduce_config_selectorIN6thrust23THRUST_200600_302600_NS5tupleIblNS6_9null_typeES8_S8_S8_S8_S8_S8_S8_EEEEZNS1_11reduce_implILb1ES3_NS6_12zip_iteratorINS7_INS6_11hip_rocprim26transform_input_iterator_tIbPlNS6_6detail10functional5actorINSH_9compositeIJNSH_27transparent_binary_operatorINS6_8equal_toIvEEEENSI_INSH_8argumentILj0EEEEENSH_5valueIlEEEEEEEEENSD_19counting_iterator_tIlEES8_S8_S8_S8_S8_S8_S8_S8_EEEEPS9_S9_NSD_9__find_if7functorIS9_EEEE10hipError_tPvRmT1_T2_T3_mT4_P12ihipStream_tbEUlT_E0_NS1_11comp_targetILNS1_3genE10ELNS1_11target_archE1200ELNS1_3gpuE4ELNS1_3repE0EEENS1_30default_config_static_selectorELNS0_4arch9wavefront6targetE1EEEvS17_.num_named_barrier, 0
	.set _ZN7rocprim17ROCPRIM_400000_NS6detail17trampoline_kernelINS0_14default_configENS1_22reduce_config_selectorIN6thrust23THRUST_200600_302600_NS5tupleIblNS6_9null_typeES8_S8_S8_S8_S8_S8_S8_EEEEZNS1_11reduce_implILb1ES3_NS6_12zip_iteratorINS7_INS6_11hip_rocprim26transform_input_iterator_tIbPlNS6_6detail10functional5actorINSH_9compositeIJNSH_27transparent_binary_operatorINS6_8equal_toIvEEEENSI_INSH_8argumentILj0EEEEENSH_5valueIlEEEEEEEEENSD_19counting_iterator_tIlEES8_S8_S8_S8_S8_S8_S8_S8_EEEEPS9_S9_NSD_9__find_if7functorIS9_EEEE10hipError_tPvRmT1_T2_T3_mT4_P12ihipStream_tbEUlT_E0_NS1_11comp_targetILNS1_3genE10ELNS1_11target_archE1200ELNS1_3gpuE4ELNS1_3repE0EEENS1_30default_config_static_selectorELNS0_4arch9wavefront6targetE1EEEvS17_.private_seg_size, 0
	.set _ZN7rocprim17ROCPRIM_400000_NS6detail17trampoline_kernelINS0_14default_configENS1_22reduce_config_selectorIN6thrust23THRUST_200600_302600_NS5tupleIblNS6_9null_typeES8_S8_S8_S8_S8_S8_S8_EEEEZNS1_11reduce_implILb1ES3_NS6_12zip_iteratorINS7_INS6_11hip_rocprim26transform_input_iterator_tIbPlNS6_6detail10functional5actorINSH_9compositeIJNSH_27transparent_binary_operatorINS6_8equal_toIvEEEENSI_INSH_8argumentILj0EEEEENSH_5valueIlEEEEEEEEENSD_19counting_iterator_tIlEES8_S8_S8_S8_S8_S8_S8_S8_EEEEPS9_S9_NSD_9__find_if7functorIS9_EEEE10hipError_tPvRmT1_T2_T3_mT4_P12ihipStream_tbEUlT_E0_NS1_11comp_targetILNS1_3genE10ELNS1_11target_archE1200ELNS1_3gpuE4ELNS1_3repE0EEENS1_30default_config_static_selectorELNS0_4arch9wavefront6targetE1EEEvS17_.uses_vcc, 0
	.set _ZN7rocprim17ROCPRIM_400000_NS6detail17trampoline_kernelINS0_14default_configENS1_22reduce_config_selectorIN6thrust23THRUST_200600_302600_NS5tupleIblNS6_9null_typeES8_S8_S8_S8_S8_S8_S8_EEEEZNS1_11reduce_implILb1ES3_NS6_12zip_iteratorINS7_INS6_11hip_rocprim26transform_input_iterator_tIbPlNS6_6detail10functional5actorINSH_9compositeIJNSH_27transparent_binary_operatorINS6_8equal_toIvEEEENSI_INSH_8argumentILj0EEEEENSH_5valueIlEEEEEEEEENSD_19counting_iterator_tIlEES8_S8_S8_S8_S8_S8_S8_S8_EEEEPS9_S9_NSD_9__find_if7functorIS9_EEEE10hipError_tPvRmT1_T2_T3_mT4_P12ihipStream_tbEUlT_E0_NS1_11comp_targetILNS1_3genE10ELNS1_11target_archE1200ELNS1_3gpuE4ELNS1_3repE0EEENS1_30default_config_static_selectorELNS0_4arch9wavefront6targetE1EEEvS17_.uses_flat_scratch, 0
	.set _ZN7rocprim17ROCPRIM_400000_NS6detail17trampoline_kernelINS0_14default_configENS1_22reduce_config_selectorIN6thrust23THRUST_200600_302600_NS5tupleIblNS6_9null_typeES8_S8_S8_S8_S8_S8_S8_EEEEZNS1_11reduce_implILb1ES3_NS6_12zip_iteratorINS7_INS6_11hip_rocprim26transform_input_iterator_tIbPlNS6_6detail10functional5actorINSH_9compositeIJNSH_27transparent_binary_operatorINS6_8equal_toIvEEEENSI_INSH_8argumentILj0EEEEENSH_5valueIlEEEEEEEEENSD_19counting_iterator_tIlEES8_S8_S8_S8_S8_S8_S8_S8_EEEEPS9_S9_NSD_9__find_if7functorIS9_EEEE10hipError_tPvRmT1_T2_T3_mT4_P12ihipStream_tbEUlT_E0_NS1_11comp_targetILNS1_3genE10ELNS1_11target_archE1200ELNS1_3gpuE4ELNS1_3repE0EEENS1_30default_config_static_selectorELNS0_4arch9wavefront6targetE1EEEvS17_.has_dyn_sized_stack, 0
	.set _ZN7rocprim17ROCPRIM_400000_NS6detail17trampoline_kernelINS0_14default_configENS1_22reduce_config_selectorIN6thrust23THRUST_200600_302600_NS5tupleIblNS6_9null_typeES8_S8_S8_S8_S8_S8_S8_EEEEZNS1_11reduce_implILb1ES3_NS6_12zip_iteratorINS7_INS6_11hip_rocprim26transform_input_iterator_tIbPlNS6_6detail10functional5actorINSH_9compositeIJNSH_27transparent_binary_operatorINS6_8equal_toIvEEEENSI_INSH_8argumentILj0EEEEENSH_5valueIlEEEEEEEEENSD_19counting_iterator_tIlEES8_S8_S8_S8_S8_S8_S8_S8_EEEEPS9_S9_NSD_9__find_if7functorIS9_EEEE10hipError_tPvRmT1_T2_T3_mT4_P12ihipStream_tbEUlT_E0_NS1_11comp_targetILNS1_3genE10ELNS1_11target_archE1200ELNS1_3gpuE4ELNS1_3repE0EEENS1_30default_config_static_selectorELNS0_4arch9wavefront6targetE1EEEvS17_.has_recursion, 0
	.set _ZN7rocprim17ROCPRIM_400000_NS6detail17trampoline_kernelINS0_14default_configENS1_22reduce_config_selectorIN6thrust23THRUST_200600_302600_NS5tupleIblNS6_9null_typeES8_S8_S8_S8_S8_S8_S8_EEEEZNS1_11reduce_implILb1ES3_NS6_12zip_iteratorINS7_INS6_11hip_rocprim26transform_input_iterator_tIbPlNS6_6detail10functional5actorINSH_9compositeIJNSH_27transparent_binary_operatorINS6_8equal_toIvEEEENSI_INSH_8argumentILj0EEEEENSH_5valueIlEEEEEEEEENSD_19counting_iterator_tIlEES8_S8_S8_S8_S8_S8_S8_S8_EEEEPS9_S9_NSD_9__find_if7functorIS9_EEEE10hipError_tPvRmT1_T2_T3_mT4_P12ihipStream_tbEUlT_E0_NS1_11comp_targetILNS1_3genE10ELNS1_11target_archE1200ELNS1_3gpuE4ELNS1_3repE0EEENS1_30default_config_static_selectorELNS0_4arch9wavefront6targetE1EEEvS17_.has_indirect_call, 0
	.section	.AMDGPU.csdata,"",@progbits
; Kernel info:
; codeLenInByte = 0
; TotalNumSgprs: 4
; NumVgprs: 0
; ScratchSize: 0
; MemoryBound: 0
; FloatMode: 240
; IeeeMode: 1
; LDSByteSize: 0 bytes/workgroup (compile time only)
; SGPRBlocks: 0
; VGPRBlocks: 0
; NumSGPRsForWavesPerEU: 4
; NumVGPRsForWavesPerEU: 1
; Occupancy: 10
; WaveLimiterHint : 0
; COMPUTE_PGM_RSRC2:SCRATCH_EN: 0
; COMPUTE_PGM_RSRC2:USER_SGPR: 6
; COMPUTE_PGM_RSRC2:TRAP_HANDLER: 0
; COMPUTE_PGM_RSRC2:TGID_X_EN: 1
; COMPUTE_PGM_RSRC2:TGID_Y_EN: 0
; COMPUTE_PGM_RSRC2:TGID_Z_EN: 0
; COMPUTE_PGM_RSRC2:TIDIG_COMP_CNT: 0
	.section	.text._ZN7rocprim17ROCPRIM_400000_NS6detail17trampoline_kernelINS0_14default_configENS1_22reduce_config_selectorIN6thrust23THRUST_200600_302600_NS5tupleIblNS6_9null_typeES8_S8_S8_S8_S8_S8_S8_EEEEZNS1_11reduce_implILb1ES3_NS6_12zip_iteratorINS7_INS6_11hip_rocprim26transform_input_iterator_tIbPlNS6_6detail10functional5actorINSH_9compositeIJNSH_27transparent_binary_operatorINS6_8equal_toIvEEEENSI_INSH_8argumentILj0EEEEENSH_5valueIlEEEEEEEEENSD_19counting_iterator_tIlEES8_S8_S8_S8_S8_S8_S8_S8_EEEEPS9_S9_NSD_9__find_if7functorIS9_EEEE10hipError_tPvRmT1_T2_T3_mT4_P12ihipStream_tbEUlT_E0_NS1_11comp_targetILNS1_3genE9ELNS1_11target_archE1100ELNS1_3gpuE3ELNS1_3repE0EEENS1_30default_config_static_selectorELNS0_4arch9wavefront6targetE1EEEvS17_,"axG",@progbits,_ZN7rocprim17ROCPRIM_400000_NS6detail17trampoline_kernelINS0_14default_configENS1_22reduce_config_selectorIN6thrust23THRUST_200600_302600_NS5tupleIblNS6_9null_typeES8_S8_S8_S8_S8_S8_S8_EEEEZNS1_11reduce_implILb1ES3_NS6_12zip_iteratorINS7_INS6_11hip_rocprim26transform_input_iterator_tIbPlNS6_6detail10functional5actorINSH_9compositeIJNSH_27transparent_binary_operatorINS6_8equal_toIvEEEENSI_INSH_8argumentILj0EEEEENSH_5valueIlEEEEEEEEENSD_19counting_iterator_tIlEES8_S8_S8_S8_S8_S8_S8_S8_EEEEPS9_S9_NSD_9__find_if7functorIS9_EEEE10hipError_tPvRmT1_T2_T3_mT4_P12ihipStream_tbEUlT_E0_NS1_11comp_targetILNS1_3genE9ELNS1_11target_archE1100ELNS1_3gpuE3ELNS1_3repE0EEENS1_30default_config_static_selectorELNS0_4arch9wavefront6targetE1EEEvS17_,comdat
	.protected	_ZN7rocprim17ROCPRIM_400000_NS6detail17trampoline_kernelINS0_14default_configENS1_22reduce_config_selectorIN6thrust23THRUST_200600_302600_NS5tupleIblNS6_9null_typeES8_S8_S8_S8_S8_S8_S8_EEEEZNS1_11reduce_implILb1ES3_NS6_12zip_iteratorINS7_INS6_11hip_rocprim26transform_input_iterator_tIbPlNS6_6detail10functional5actorINSH_9compositeIJNSH_27transparent_binary_operatorINS6_8equal_toIvEEEENSI_INSH_8argumentILj0EEEEENSH_5valueIlEEEEEEEEENSD_19counting_iterator_tIlEES8_S8_S8_S8_S8_S8_S8_S8_EEEEPS9_S9_NSD_9__find_if7functorIS9_EEEE10hipError_tPvRmT1_T2_T3_mT4_P12ihipStream_tbEUlT_E0_NS1_11comp_targetILNS1_3genE9ELNS1_11target_archE1100ELNS1_3gpuE3ELNS1_3repE0EEENS1_30default_config_static_selectorELNS0_4arch9wavefront6targetE1EEEvS17_ ; -- Begin function _ZN7rocprim17ROCPRIM_400000_NS6detail17trampoline_kernelINS0_14default_configENS1_22reduce_config_selectorIN6thrust23THRUST_200600_302600_NS5tupleIblNS6_9null_typeES8_S8_S8_S8_S8_S8_S8_EEEEZNS1_11reduce_implILb1ES3_NS6_12zip_iteratorINS7_INS6_11hip_rocprim26transform_input_iterator_tIbPlNS6_6detail10functional5actorINSH_9compositeIJNSH_27transparent_binary_operatorINS6_8equal_toIvEEEENSI_INSH_8argumentILj0EEEEENSH_5valueIlEEEEEEEEENSD_19counting_iterator_tIlEES8_S8_S8_S8_S8_S8_S8_S8_EEEEPS9_S9_NSD_9__find_if7functorIS9_EEEE10hipError_tPvRmT1_T2_T3_mT4_P12ihipStream_tbEUlT_E0_NS1_11comp_targetILNS1_3genE9ELNS1_11target_archE1100ELNS1_3gpuE3ELNS1_3repE0EEENS1_30default_config_static_selectorELNS0_4arch9wavefront6targetE1EEEvS17_
	.globl	_ZN7rocprim17ROCPRIM_400000_NS6detail17trampoline_kernelINS0_14default_configENS1_22reduce_config_selectorIN6thrust23THRUST_200600_302600_NS5tupleIblNS6_9null_typeES8_S8_S8_S8_S8_S8_S8_EEEEZNS1_11reduce_implILb1ES3_NS6_12zip_iteratorINS7_INS6_11hip_rocprim26transform_input_iterator_tIbPlNS6_6detail10functional5actorINSH_9compositeIJNSH_27transparent_binary_operatorINS6_8equal_toIvEEEENSI_INSH_8argumentILj0EEEEENSH_5valueIlEEEEEEEEENSD_19counting_iterator_tIlEES8_S8_S8_S8_S8_S8_S8_S8_EEEEPS9_S9_NSD_9__find_if7functorIS9_EEEE10hipError_tPvRmT1_T2_T3_mT4_P12ihipStream_tbEUlT_E0_NS1_11comp_targetILNS1_3genE9ELNS1_11target_archE1100ELNS1_3gpuE3ELNS1_3repE0EEENS1_30default_config_static_selectorELNS0_4arch9wavefront6targetE1EEEvS17_
	.p2align	8
	.type	_ZN7rocprim17ROCPRIM_400000_NS6detail17trampoline_kernelINS0_14default_configENS1_22reduce_config_selectorIN6thrust23THRUST_200600_302600_NS5tupleIblNS6_9null_typeES8_S8_S8_S8_S8_S8_S8_EEEEZNS1_11reduce_implILb1ES3_NS6_12zip_iteratorINS7_INS6_11hip_rocprim26transform_input_iterator_tIbPlNS6_6detail10functional5actorINSH_9compositeIJNSH_27transparent_binary_operatorINS6_8equal_toIvEEEENSI_INSH_8argumentILj0EEEEENSH_5valueIlEEEEEEEEENSD_19counting_iterator_tIlEES8_S8_S8_S8_S8_S8_S8_S8_EEEEPS9_S9_NSD_9__find_if7functorIS9_EEEE10hipError_tPvRmT1_T2_T3_mT4_P12ihipStream_tbEUlT_E0_NS1_11comp_targetILNS1_3genE9ELNS1_11target_archE1100ELNS1_3gpuE3ELNS1_3repE0EEENS1_30default_config_static_selectorELNS0_4arch9wavefront6targetE1EEEvS17_,@function
_ZN7rocprim17ROCPRIM_400000_NS6detail17trampoline_kernelINS0_14default_configENS1_22reduce_config_selectorIN6thrust23THRUST_200600_302600_NS5tupleIblNS6_9null_typeES8_S8_S8_S8_S8_S8_S8_EEEEZNS1_11reduce_implILb1ES3_NS6_12zip_iteratorINS7_INS6_11hip_rocprim26transform_input_iterator_tIbPlNS6_6detail10functional5actorINSH_9compositeIJNSH_27transparent_binary_operatorINS6_8equal_toIvEEEENSI_INSH_8argumentILj0EEEEENSH_5valueIlEEEEEEEEENSD_19counting_iterator_tIlEES8_S8_S8_S8_S8_S8_S8_S8_EEEEPS9_S9_NSD_9__find_if7functorIS9_EEEE10hipError_tPvRmT1_T2_T3_mT4_P12ihipStream_tbEUlT_E0_NS1_11comp_targetILNS1_3genE9ELNS1_11target_archE1100ELNS1_3gpuE3ELNS1_3repE0EEENS1_30default_config_static_selectorELNS0_4arch9wavefront6targetE1EEEvS17_: ; @_ZN7rocprim17ROCPRIM_400000_NS6detail17trampoline_kernelINS0_14default_configENS1_22reduce_config_selectorIN6thrust23THRUST_200600_302600_NS5tupleIblNS6_9null_typeES8_S8_S8_S8_S8_S8_S8_EEEEZNS1_11reduce_implILb1ES3_NS6_12zip_iteratorINS7_INS6_11hip_rocprim26transform_input_iterator_tIbPlNS6_6detail10functional5actorINSH_9compositeIJNSH_27transparent_binary_operatorINS6_8equal_toIvEEEENSI_INSH_8argumentILj0EEEEENSH_5valueIlEEEEEEEEENSD_19counting_iterator_tIlEES8_S8_S8_S8_S8_S8_S8_S8_EEEEPS9_S9_NSD_9__find_if7functorIS9_EEEE10hipError_tPvRmT1_T2_T3_mT4_P12ihipStream_tbEUlT_E0_NS1_11comp_targetILNS1_3genE9ELNS1_11target_archE1100ELNS1_3gpuE3ELNS1_3repE0EEENS1_30default_config_static_selectorELNS0_4arch9wavefront6targetE1EEEvS17_
; %bb.0:
	.section	.rodata,"a",@progbits
	.p2align	6, 0x0
	.amdhsa_kernel _ZN7rocprim17ROCPRIM_400000_NS6detail17trampoline_kernelINS0_14default_configENS1_22reduce_config_selectorIN6thrust23THRUST_200600_302600_NS5tupleIblNS6_9null_typeES8_S8_S8_S8_S8_S8_S8_EEEEZNS1_11reduce_implILb1ES3_NS6_12zip_iteratorINS7_INS6_11hip_rocprim26transform_input_iterator_tIbPlNS6_6detail10functional5actorINSH_9compositeIJNSH_27transparent_binary_operatorINS6_8equal_toIvEEEENSI_INSH_8argumentILj0EEEEENSH_5valueIlEEEEEEEEENSD_19counting_iterator_tIlEES8_S8_S8_S8_S8_S8_S8_S8_EEEEPS9_S9_NSD_9__find_if7functorIS9_EEEE10hipError_tPvRmT1_T2_T3_mT4_P12ihipStream_tbEUlT_E0_NS1_11comp_targetILNS1_3genE9ELNS1_11target_archE1100ELNS1_3gpuE3ELNS1_3repE0EEENS1_30default_config_static_selectorELNS0_4arch9wavefront6targetE1EEEvS17_
		.amdhsa_group_segment_fixed_size 0
		.amdhsa_private_segment_fixed_size 0
		.amdhsa_kernarg_size 96
		.amdhsa_user_sgpr_count 6
		.amdhsa_user_sgpr_private_segment_buffer 1
		.amdhsa_user_sgpr_dispatch_ptr 0
		.amdhsa_user_sgpr_queue_ptr 0
		.amdhsa_user_sgpr_kernarg_segment_ptr 1
		.amdhsa_user_sgpr_dispatch_id 0
		.amdhsa_user_sgpr_flat_scratch_init 0
		.amdhsa_user_sgpr_private_segment_size 0
		.amdhsa_uses_dynamic_stack 0
		.amdhsa_system_sgpr_private_segment_wavefront_offset 0
		.amdhsa_system_sgpr_workgroup_id_x 1
		.amdhsa_system_sgpr_workgroup_id_y 0
		.amdhsa_system_sgpr_workgroup_id_z 0
		.amdhsa_system_sgpr_workgroup_info 0
		.amdhsa_system_vgpr_workitem_id 0
		.amdhsa_next_free_vgpr 1
		.amdhsa_next_free_sgpr 0
		.amdhsa_reserve_vcc 0
		.amdhsa_reserve_flat_scratch 0
		.amdhsa_float_round_mode_32 0
		.amdhsa_float_round_mode_16_64 0
		.amdhsa_float_denorm_mode_32 3
		.amdhsa_float_denorm_mode_16_64 3
		.amdhsa_dx10_clamp 1
		.amdhsa_ieee_mode 1
		.amdhsa_fp16_overflow 0
		.amdhsa_exception_fp_ieee_invalid_op 0
		.amdhsa_exception_fp_denorm_src 0
		.amdhsa_exception_fp_ieee_div_zero 0
		.amdhsa_exception_fp_ieee_overflow 0
		.amdhsa_exception_fp_ieee_underflow 0
		.amdhsa_exception_fp_ieee_inexact 0
		.amdhsa_exception_int_div_zero 0
	.end_amdhsa_kernel
	.section	.text._ZN7rocprim17ROCPRIM_400000_NS6detail17trampoline_kernelINS0_14default_configENS1_22reduce_config_selectorIN6thrust23THRUST_200600_302600_NS5tupleIblNS6_9null_typeES8_S8_S8_S8_S8_S8_S8_EEEEZNS1_11reduce_implILb1ES3_NS6_12zip_iteratorINS7_INS6_11hip_rocprim26transform_input_iterator_tIbPlNS6_6detail10functional5actorINSH_9compositeIJNSH_27transparent_binary_operatorINS6_8equal_toIvEEEENSI_INSH_8argumentILj0EEEEENSH_5valueIlEEEEEEEEENSD_19counting_iterator_tIlEES8_S8_S8_S8_S8_S8_S8_S8_EEEEPS9_S9_NSD_9__find_if7functorIS9_EEEE10hipError_tPvRmT1_T2_T3_mT4_P12ihipStream_tbEUlT_E0_NS1_11comp_targetILNS1_3genE9ELNS1_11target_archE1100ELNS1_3gpuE3ELNS1_3repE0EEENS1_30default_config_static_selectorELNS0_4arch9wavefront6targetE1EEEvS17_,"axG",@progbits,_ZN7rocprim17ROCPRIM_400000_NS6detail17trampoline_kernelINS0_14default_configENS1_22reduce_config_selectorIN6thrust23THRUST_200600_302600_NS5tupleIblNS6_9null_typeES8_S8_S8_S8_S8_S8_S8_EEEEZNS1_11reduce_implILb1ES3_NS6_12zip_iteratorINS7_INS6_11hip_rocprim26transform_input_iterator_tIbPlNS6_6detail10functional5actorINSH_9compositeIJNSH_27transparent_binary_operatorINS6_8equal_toIvEEEENSI_INSH_8argumentILj0EEEEENSH_5valueIlEEEEEEEEENSD_19counting_iterator_tIlEES8_S8_S8_S8_S8_S8_S8_S8_EEEEPS9_S9_NSD_9__find_if7functorIS9_EEEE10hipError_tPvRmT1_T2_T3_mT4_P12ihipStream_tbEUlT_E0_NS1_11comp_targetILNS1_3genE9ELNS1_11target_archE1100ELNS1_3gpuE3ELNS1_3repE0EEENS1_30default_config_static_selectorELNS0_4arch9wavefront6targetE1EEEvS17_,comdat
.Lfunc_end1247:
	.size	_ZN7rocprim17ROCPRIM_400000_NS6detail17trampoline_kernelINS0_14default_configENS1_22reduce_config_selectorIN6thrust23THRUST_200600_302600_NS5tupleIblNS6_9null_typeES8_S8_S8_S8_S8_S8_S8_EEEEZNS1_11reduce_implILb1ES3_NS6_12zip_iteratorINS7_INS6_11hip_rocprim26transform_input_iterator_tIbPlNS6_6detail10functional5actorINSH_9compositeIJNSH_27transparent_binary_operatorINS6_8equal_toIvEEEENSI_INSH_8argumentILj0EEEEENSH_5valueIlEEEEEEEEENSD_19counting_iterator_tIlEES8_S8_S8_S8_S8_S8_S8_S8_EEEEPS9_S9_NSD_9__find_if7functorIS9_EEEE10hipError_tPvRmT1_T2_T3_mT4_P12ihipStream_tbEUlT_E0_NS1_11comp_targetILNS1_3genE9ELNS1_11target_archE1100ELNS1_3gpuE3ELNS1_3repE0EEENS1_30default_config_static_selectorELNS0_4arch9wavefront6targetE1EEEvS17_, .Lfunc_end1247-_ZN7rocprim17ROCPRIM_400000_NS6detail17trampoline_kernelINS0_14default_configENS1_22reduce_config_selectorIN6thrust23THRUST_200600_302600_NS5tupleIblNS6_9null_typeES8_S8_S8_S8_S8_S8_S8_EEEEZNS1_11reduce_implILb1ES3_NS6_12zip_iteratorINS7_INS6_11hip_rocprim26transform_input_iterator_tIbPlNS6_6detail10functional5actorINSH_9compositeIJNSH_27transparent_binary_operatorINS6_8equal_toIvEEEENSI_INSH_8argumentILj0EEEEENSH_5valueIlEEEEEEEEENSD_19counting_iterator_tIlEES8_S8_S8_S8_S8_S8_S8_S8_EEEEPS9_S9_NSD_9__find_if7functorIS9_EEEE10hipError_tPvRmT1_T2_T3_mT4_P12ihipStream_tbEUlT_E0_NS1_11comp_targetILNS1_3genE9ELNS1_11target_archE1100ELNS1_3gpuE3ELNS1_3repE0EEENS1_30default_config_static_selectorELNS0_4arch9wavefront6targetE1EEEvS17_
                                        ; -- End function
	.set _ZN7rocprim17ROCPRIM_400000_NS6detail17trampoline_kernelINS0_14default_configENS1_22reduce_config_selectorIN6thrust23THRUST_200600_302600_NS5tupleIblNS6_9null_typeES8_S8_S8_S8_S8_S8_S8_EEEEZNS1_11reduce_implILb1ES3_NS6_12zip_iteratorINS7_INS6_11hip_rocprim26transform_input_iterator_tIbPlNS6_6detail10functional5actorINSH_9compositeIJNSH_27transparent_binary_operatorINS6_8equal_toIvEEEENSI_INSH_8argumentILj0EEEEENSH_5valueIlEEEEEEEEENSD_19counting_iterator_tIlEES8_S8_S8_S8_S8_S8_S8_S8_EEEEPS9_S9_NSD_9__find_if7functorIS9_EEEE10hipError_tPvRmT1_T2_T3_mT4_P12ihipStream_tbEUlT_E0_NS1_11comp_targetILNS1_3genE9ELNS1_11target_archE1100ELNS1_3gpuE3ELNS1_3repE0EEENS1_30default_config_static_selectorELNS0_4arch9wavefront6targetE1EEEvS17_.num_vgpr, 0
	.set _ZN7rocprim17ROCPRIM_400000_NS6detail17trampoline_kernelINS0_14default_configENS1_22reduce_config_selectorIN6thrust23THRUST_200600_302600_NS5tupleIblNS6_9null_typeES8_S8_S8_S8_S8_S8_S8_EEEEZNS1_11reduce_implILb1ES3_NS6_12zip_iteratorINS7_INS6_11hip_rocprim26transform_input_iterator_tIbPlNS6_6detail10functional5actorINSH_9compositeIJNSH_27transparent_binary_operatorINS6_8equal_toIvEEEENSI_INSH_8argumentILj0EEEEENSH_5valueIlEEEEEEEEENSD_19counting_iterator_tIlEES8_S8_S8_S8_S8_S8_S8_S8_EEEEPS9_S9_NSD_9__find_if7functorIS9_EEEE10hipError_tPvRmT1_T2_T3_mT4_P12ihipStream_tbEUlT_E0_NS1_11comp_targetILNS1_3genE9ELNS1_11target_archE1100ELNS1_3gpuE3ELNS1_3repE0EEENS1_30default_config_static_selectorELNS0_4arch9wavefront6targetE1EEEvS17_.num_agpr, 0
	.set _ZN7rocprim17ROCPRIM_400000_NS6detail17trampoline_kernelINS0_14default_configENS1_22reduce_config_selectorIN6thrust23THRUST_200600_302600_NS5tupleIblNS6_9null_typeES8_S8_S8_S8_S8_S8_S8_EEEEZNS1_11reduce_implILb1ES3_NS6_12zip_iteratorINS7_INS6_11hip_rocprim26transform_input_iterator_tIbPlNS6_6detail10functional5actorINSH_9compositeIJNSH_27transparent_binary_operatorINS6_8equal_toIvEEEENSI_INSH_8argumentILj0EEEEENSH_5valueIlEEEEEEEEENSD_19counting_iterator_tIlEES8_S8_S8_S8_S8_S8_S8_S8_EEEEPS9_S9_NSD_9__find_if7functorIS9_EEEE10hipError_tPvRmT1_T2_T3_mT4_P12ihipStream_tbEUlT_E0_NS1_11comp_targetILNS1_3genE9ELNS1_11target_archE1100ELNS1_3gpuE3ELNS1_3repE0EEENS1_30default_config_static_selectorELNS0_4arch9wavefront6targetE1EEEvS17_.numbered_sgpr, 0
	.set _ZN7rocprim17ROCPRIM_400000_NS6detail17trampoline_kernelINS0_14default_configENS1_22reduce_config_selectorIN6thrust23THRUST_200600_302600_NS5tupleIblNS6_9null_typeES8_S8_S8_S8_S8_S8_S8_EEEEZNS1_11reduce_implILb1ES3_NS6_12zip_iteratorINS7_INS6_11hip_rocprim26transform_input_iterator_tIbPlNS6_6detail10functional5actorINSH_9compositeIJNSH_27transparent_binary_operatorINS6_8equal_toIvEEEENSI_INSH_8argumentILj0EEEEENSH_5valueIlEEEEEEEEENSD_19counting_iterator_tIlEES8_S8_S8_S8_S8_S8_S8_S8_EEEEPS9_S9_NSD_9__find_if7functorIS9_EEEE10hipError_tPvRmT1_T2_T3_mT4_P12ihipStream_tbEUlT_E0_NS1_11comp_targetILNS1_3genE9ELNS1_11target_archE1100ELNS1_3gpuE3ELNS1_3repE0EEENS1_30default_config_static_selectorELNS0_4arch9wavefront6targetE1EEEvS17_.num_named_barrier, 0
	.set _ZN7rocprim17ROCPRIM_400000_NS6detail17trampoline_kernelINS0_14default_configENS1_22reduce_config_selectorIN6thrust23THRUST_200600_302600_NS5tupleIblNS6_9null_typeES8_S8_S8_S8_S8_S8_S8_EEEEZNS1_11reduce_implILb1ES3_NS6_12zip_iteratorINS7_INS6_11hip_rocprim26transform_input_iterator_tIbPlNS6_6detail10functional5actorINSH_9compositeIJNSH_27transparent_binary_operatorINS6_8equal_toIvEEEENSI_INSH_8argumentILj0EEEEENSH_5valueIlEEEEEEEEENSD_19counting_iterator_tIlEES8_S8_S8_S8_S8_S8_S8_S8_EEEEPS9_S9_NSD_9__find_if7functorIS9_EEEE10hipError_tPvRmT1_T2_T3_mT4_P12ihipStream_tbEUlT_E0_NS1_11comp_targetILNS1_3genE9ELNS1_11target_archE1100ELNS1_3gpuE3ELNS1_3repE0EEENS1_30default_config_static_selectorELNS0_4arch9wavefront6targetE1EEEvS17_.private_seg_size, 0
	.set _ZN7rocprim17ROCPRIM_400000_NS6detail17trampoline_kernelINS0_14default_configENS1_22reduce_config_selectorIN6thrust23THRUST_200600_302600_NS5tupleIblNS6_9null_typeES8_S8_S8_S8_S8_S8_S8_EEEEZNS1_11reduce_implILb1ES3_NS6_12zip_iteratorINS7_INS6_11hip_rocprim26transform_input_iterator_tIbPlNS6_6detail10functional5actorINSH_9compositeIJNSH_27transparent_binary_operatorINS6_8equal_toIvEEEENSI_INSH_8argumentILj0EEEEENSH_5valueIlEEEEEEEEENSD_19counting_iterator_tIlEES8_S8_S8_S8_S8_S8_S8_S8_EEEEPS9_S9_NSD_9__find_if7functorIS9_EEEE10hipError_tPvRmT1_T2_T3_mT4_P12ihipStream_tbEUlT_E0_NS1_11comp_targetILNS1_3genE9ELNS1_11target_archE1100ELNS1_3gpuE3ELNS1_3repE0EEENS1_30default_config_static_selectorELNS0_4arch9wavefront6targetE1EEEvS17_.uses_vcc, 0
	.set _ZN7rocprim17ROCPRIM_400000_NS6detail17trampoline_kernelINS0_14default_configENS1_22reduce_config_selectorIN6thrust23THRUST_200600_302600_NS5tupleIblNS6_9null_typeES8_S8_S8_S8_S8_S8_S8_EEEEZNS1_11reduce_implILb1ES3_NS6_12zip_iteratorINS7_INS6_11hip_rocprim26transform_input_iterator_tIbPlNS6_6detail10functional5actorINSH_9compositeIJNSH_27transparent_binary_operatorINS6_8equal_toIvEEEENSI_INSH_8argumentILj0EEEEENSH_5valueIlEEEEEEEEENSD_19counting_iterator_tIlEES8_S8_S8_S8_S8_S8_S8_S8_EEEEPS9_S9_NSD_9__find_if7functorIS9_EEEE10hipError_tPvRmT1_T2_T3_mT4_P12ihipStream_tbEUlT_E0_NS1_11comp_targetILNS1_3genE9ELNS1_11target_archE1100ELNS1_3gpuE3ELNS1_3repE0EEENS1_30default_config_static_selectorELNS0_4arch9wavefront6targetE1EEEvS17_.uses_flat_scratch, 0
	.set _ZN7rocprim17ROCPRIM_400000_NS6detail17trampoline_kernelINS0_14default_configENS1_22reduce_config_selectorIN6thrust23THRUST_200600_302600_NS5tupleIblNS6_9null_typeES8_S8_S8_S8_S8_S8_S8_EEEEZNS1_11reduce_implILb1ES3_NS6_12zip_iteratorINS7_INS6_11hip_rocprim26transform_input_iterator_tIbPlNS6_6detail10functional5actorINSH_9compositeIJNSH_27transparent_binary_operatorINS6_8equal_toIvEEEENSI_INSH_8argumentILj0EEEEENSH_5valueIlEEEEEEEEENSD_19counting_iterator_tIlEES8_S8_S8_S8_S8_S8_S8_S8_EEEEPS9_S9_NSD_9__find_if7functorIS9_EEEE10hipError_tPvRmT1_T2_T3_mT4_P12ihipStream_tbEUlT_E0_NS1_11comp_targetILNS1_3genE9ELNS1_11target_archE1100ELNS1_3gpuE3ELNS1_3repE0EEENS1_30default_config_static_selectorELNS0_4arch9wavefront6targetE1EEEvS17_.has_dyn_sized_stack, 0
	.set _ZN7rocprim17ROCPRIM_400000_NS6detail17trampoline_kernelINS0_14default_configENS1_22reduce_config_selectorIN6thrust23THRUST_200600_302600_NS5tupleIblNS6_9null_typeES8_S8_S8_S8_S8_S8_S8_EEEEZNS1_11reduce_implILb1ES3_NS6_12zip_iteratorINS7_INS6_11hip_rocprim26transform_input_iterator_tIbPlNS6_6detail10functional5actorINSH_9compositeIJNSH_27transparent_binary_operatorINS6_8equal_toIvEEEENSI_INSH_8argumentILj0EEEEENSH_5valueIlEEEEEEEEENSD_19counting_iterator_tIlEES8_S8_S8_S8_S8_S8_S8_S8_EEEEPS9_S9_NSD_9__find_if7functorIS9_EEEE10hipError_tPvRmT1_T2_T3_mT4_P12ihipStream_tbEUlT_E0_NS1_11comp_targetILNS1_3genE9ELNS1_11target_archE1100ELNS1_3gpuE3ELNS1_3repE0EEENS1_30default_config_static_selectorELNS0_4arch9wavefront6targetE1EEEvS17_.has_recursion, 0
	.set _ZN7rocprim17ROCPRIM_400000_NS6detail17trampoline_kernelINS0_14default_configENS1_22reduce_config_selectorIN6thrust23THRUST_200600_302600_NS5tupleIblNS6_9null_typeES8_S8_S8_S8_S8_S8_S8_EEEEZNS1_11reduce_implILb1ES3_NS6_12zip_iteratorINS7_INS6_11hip_rocprim26transform_input_iterator_tIbPlNS6_6detail10functional5actorINSH_9compositeIJNSH_27transparent_binary_operatorINS6_8equal_toIvEEEENSI_INSH_8argumentILj0EEEEENSH_5valueIlEEEEEEEEENSD_19counting_iterator_tIlEES8_S8_S8_S8_S8_S8_S8_S8_EEEEPS9_S9_NSD_9__find_if7functorIS9_EEEE10hipError_tPvRmT1_T2_T3_mT4_P12ihipStream_tbEUlT_E0_NS1_11comp_targetILNS1_3genE9ELNS1_11target_archE1100ELNS1_3gpuE3ELNS1_3repE0EEENS1_30default_config_static_selectorELNS0_4arch9wavefront6targetE1EEEvS17_.has_indirect_call, 0
	.section	.AMDGPU.csdata,"",@progbits
; Kernel info:
; codeLenInByte = 0
; TotalNumSgprs: 4
; NumVgprs: 0
; ScratchSize: 0
; MemoryBound: 0
; FloatMode: 240
; IeeeMode: 1
; LDSByteSize: 0 bytes/workgroup (compile time only)
; SGPRBlocks: 0
; VGPRBlocks: 0
; NumSGPRsForWavesPerEU: 4
; NumVGPRsForWavesPerEU: 1
; Occupancy: 10
; WaveLimiterHint : 0
; COMPUTE_PGM_RSRC2:SCRATCH_EN: 0
; COMPUTE_PGM_RSRC2:USER_SGPR: 6
; COMPUTE_PGM_RSRC2:TRAP_HANDLER: 0
; COMPUTE_PGM_RSRC2:TGID_X_EN: 1
; COMPUTE_PGM_RSRC2:TGID_Y_EN: 0
; COMPUTE_PGM_RSRC2:TGID_Z_EN: 0
; COMPUTE_PGM_RSRC2:TIDIG_COMP_CNT: 0
	.section	.text._ZN7rocprim17ROCPRIM_400000_NS6detail17trampoline_kernelINS0_14default_configENS1_22reduce_config_selectorIN6thrust23THRUST_200600_302600_NS5tupleIblNS6_9null_typeES8_S8_S8_S8_S8_S8_S8_EEEEZNS1_11reduce_implILb1ES3_NS6_12zip_iteratorINS7_INS6_11hip_rocprim26transform_input_iterator_tIbPlNS6_6detail10functional5actorINSH_9compositeIJNSH_27transparent_binary_operatorINS6_8equal_toIvEEEENSI_INSH_8argumentILj0EEEEENSH_5valueIlEEEEEEEEENSD_19counting_iterator_tIlEES8_S8_S8_S8_S8_S8_S8_S8_EEEEPS9_S9_NSD_9__find_if7functorIS9_EEEE10hipError_tPvRmT1_T2_T3_mT4_P12ihipStream_tbEUlT_E0_NS1_11comp_targetILNS1_3genE8ELNS1_11target_archE1030ELNS1_3gpuE2ELNS1_3repE0EEENS1_30default_config_static_selectorELNS0_4arch9wavefront6targetE1EEEvS17_,"axG",@progbits,_ZN7rocprim17ROCPRIM_400000_NS6detail17trampoline_kernelINS0_14default_configENS1_22reduce_config_selectorIN6thrust23THRUST_200600_302600_NS5tupleIblNS6_9null_typeES8_S8_S8_S8_S8_S8_S8_EEEEZNS1_11reduce_implILb1ES3_NS6_12zip_iteratorINS7_INS6_11hip_rocprim26transform_input_iterator_tIbPlNS6_6detail10functional5actorINSH_9compositeIJNSH_27transparent_binary_operatorINS6_8equal_toIvEEEENSI_INSH_8argumentILj0EEEEENSH_5valueIlEEEEEEEEENSD_19counting_iterator_tIlEES8_S8_S8_S8_S8_S8_S8_S8_EEEEPS9_S9_NSD_9__find_if7functorIS9_EEEE10hipError_tPvRmT1_T2_T3_mT4_P12ihipStream_tbEUlT_E0_NS1_11comp_targetILNS1_3genE8ELNS1_11target_archE1030ELNS1_3gpuE2ELNS1_3repE0EEENS1_30default_config_static_selectorELNS0_4arch9wavefront6targetE1EEEvS17_,comdat
	.protected	_ZN7rocprim17ROCPRIM_400000_NS6detail17trampoline_kernelINS0_14default_configENS1_22reduce_config_selectorIN6thrust23THRUST_200600_302600_NS5tupleIblNS6_9null_typeES8_S8_S8_S8_S8_S8_S8_EEEEZNS1_11reduce_implILb1ES3_NS6_12zip_iteratorINS7_INS6_11hip_rocprim26transform_input_iterator_tIbPlNS6_6detail10functional5actorINSH_9compositeIJNSH_27transparent_binary_operatorINS6_8equal_toIvEEEENSI_INSH_8argumentILj0EEEEENSH_5valueIlEEEEEEEEENSD_19counting_iterator_tIlEES8_S8_S8_S8_S8_S8_S8_S8_EEEEPS9_S9_NSD_9__find_if7functorIS9_EEEE10hipError_tPvRmT1_T2_T3_mT4_P12ihipStream_tbEUlT_E0_NS1_11comp_targetILNS1_3genE8ELNS1_11target_archE1030ELNS1_3gpuE2ELNS1_3repE0EEENS1_30default_config_static_selectorELNS0_4arch9wavefront6targetE1EEEvS17_ ; -- Begin function _ZN7rocprim17ROCPRIM_400000_NS6detail17trampoline_kernelINS0_14default_configENS1_22reduce_config_selectorIN6thrust23THRUST_200600_302600_NS5tupleIblNS6_9null_typeES8_S8_S8_S8_S8_S8_S8_EEEEZNS1_11reduce_implILb1ES3_NS6_12zip_iteratorINS7_INS6_11hip_rocprim26transform_input_iterator_tIbPlNS6_6detail10functional5actorINSH_9compositeIJNSH_27transparent_binary_operatorINS6_8equal_toIvEEEENSI_INSH_8argumentILj0EEEEENSH_5valueIlEEEEEEEEENSD_19counting_iterator_tIlEES8_S8_S8_S8_S8_S8_S8_S8_EEEEPS9_S9_NSD_9__find_if7functorIS9_EEEE10hipError_tPvRmT1_T2_T3_mT4_P12ihipStream_tbEUlT_E0_NS1_11comp_targetILNS1_3genE8ELNS1_11target_archE1030ELNS1_3gpuE2ELNS1_3repE0EEENS1_30default_config_static_selectorELNS0_4arch9wavefront6targetE1EEEvS17_
	.globl	_ZN7rocprim17ROCPRIM_400000_NS6detail17trampoline_kernelINS0_14default_configENS1_22reduce_config_selectorIN6thrust23THRUST_200600_302600_NS5tupleIblNS6_9null_typeES8_S8_S8_S8_S8_S8_S8_EEEEZNS1_11reduce_implILb1ES3_NS6_12zip_iteratorINS7_INS6_11hip_rocprim26transform_input_iterator_tIbPlNS6_6detail10functional5actorINSH_9compositeIJNSH_27transparent_binary_operatorINS6_8equal_toIvEEEENSI_INSH_8argumentILj0EEEEENSH_5valueIlEEEEEEEEENSD_19counting_iterator_tIlEES8_S8_S8_S8_S8_S8_S8_S8_EEEEPS9_S9_NSD_9__find_if7functorIS9_EEEE10hipError_tPvRmT1_T2_T3_mT4_P12ihipStream_tbEUlT_E0_NS1_11comp_targetILNS1_3genE8ELNS1_11target_archE1030ELNS1_3gpuE2ELNS1_3repE0EEENS1_30default_config_static_selectorELNS0_4arch9wavefront6targetE1EEEvS17_
	.p2align	8
	.type	_ZN7rocprim17ROCPRIM_400000_NS6detail17trampoline_kernelINS0_14default_configENS1_22reduce_config_selectorIN6thrust23THRUST_200600_302600_NS5tupleIblNS6_9null_typeES8_S8_S8_S8_S8_S8_S8_EEEEZNS1_11reduce_implILb1ES3_NS6_12zip_iteratorINS7_INS6_11hip_rocprim26transform_input_iterator_tIbPlNS6_6detail10functional5actorINSH_9compositeIJNSH_27transparent_binary_operatorINS6_8equal_toIvEEEENSI_INSH_8argumentILj0EEEEENSH_5valueIlEEEEEEEEENSD_19counting_iterator_tIlEES8_S8_S8_S8_S8_S8_S8_S8_EEEEPS9_S9_NSD_9__find_if7functorIS9_EEEE10hipError_tPvRmT1_T2_T3_mT4_P12ihipStream_tbEUlT_E0_NS1_11comp_targetILNS1_3genE8ELNS1_11target_archE1030ELNS1_3gpuE2ELNS1_3repE0EEENS1_30default_config_static_selectorELNS0_4arch9wavefront6targetE1EEEvS17_,@function
_ZN7rocprim17ROCPRIM_400000_NS6detail17trampoline_kernelINS0_14default_configENS1_22reduce_config_selectorIN6thrust23THRUST_200600_302600_NS5tupleIblNS6_9null_typeES8_S8_S8_S8_S8_S8_S8_EEEEZNS1_11reduce_implILb1ES3_NS6_12zip_iteratorINS7_INS6_11hip_rocprim26transform_input_iterator_tIbPlNS6_6detail10functional5actorINSH_9compositeIJNSH_27transparent_binary_operatorINS6_8equal_toIvEEEENSI_INSH_8argumentILj0EEEEENSH_5valueIlEEEEEEEEENSD_19counting_iterator_tIlEES8_S8_S8_S8_S8_S8_S8_S8_EEEEPS9_S9_NSD_9__find_if7functorIS9_EEEE10hipError_tPvRmT1_T2_T3_mT4_P12ihipStream_tbEUlT_E0_NS1_11comp_targetILNS1_3genE8ELNS1_11target_archE1030ELNS1_3gpuE2ELNS1_3repE0EEENS1_30default_config_static_selectorELNS0_4arch9wavefront6targetE1EEEvS17_: ; @_ZN7rocprim17ROCPRIM_400000_NS6detail17trampoline_kernelINS0_14default_configENS1_22reduce_config_selectorIN6thrust23THRUST_200600_302600_NS5tupleIblNS6_9null_typeES8_S8_S8_S8_S8_S8_S8_EEEEZNS1_11reduce_implILb1ES3_NS6_12zip_iteratorINS7_INS6_11hip_rocprim26transform_input_iterator_tIbPlNS6_6detail10functional5actorINSH_9compositeIJNSH_27transparent_binary_operatorINS6_8equal_toIvEEEENSI_INSH_8argumentILj0EEEEENSH_5valueIlEEEEEEEEENSD_19counting_iterator_tIlEES8_S8_S8_S8_S8_S8_S8_S8_EEEEPS9_S9_NSD_9__find_if7functorIS9_EEEE10hipError_tPvRmT1_T2_T3_mT4_P12ihipStream_tbEUlT_E0_NS1_11comp_targetILNS1_3genE8ELNS1_11target_archE1030ELNS1_3gpuE2ELNS1_3repE0EEENS1_30default_config_static_selectorELNS0_4arch9wavefront6targetE1EEEvS17_
; %bb.0:
	.section	.rodata,"a",@progbits
	.p2align	6, 0x0
	.amdhsa_kernel _ZN7rocprim17ROCPRIM_400000_NS6detail17trampoline_kernelINS0_14default_configENS1_22reduce_config_selectorIN6thrust23THRUST_200600_302600_NS5tupleIblNS6_9null_typeES8_S8_S8_S8_S8_S8_S8_EEEEZNS1_11reduce_implILb1ES3_NS6_12zip_iteratorINS7_INS6_11hip_rocprim26transform_input_iterator_tIbPlNS6_6detail10functional5actorINSH_9compositeIJNSH_27transparent_binary_operatorINS6_8equal_toIvEEEENSI_INSH_8argumentILj0EEEEENSH_5valueIlEEEEEEEEENSD_19counting_iterator_tIlEES8_S8_S8_S8_S8_S8_S8_S8_EEEEPS9_S9_NSD_9__find_if7functorIS9_EEEE10hipError_tPvRmT1_T2_T3_mT4_P12ihipStream_tbEUlT_E0_NS1_11comp_targetILNS1_3genE8ELNS1_11target_archE1030ELNS1_3gpuE2ELNS1_3repE0EEENS1_30default_config_static_selectorELNS0_4arch9wavefront6targetE1EEEvS17_
		.amdhsa_group_segment_fixed_size 0
		.amdhsa_private_segment_fixed_size 0
		.amdhsa_kernarg_size 96
		.amdhsa_user_sgpr_count 6
		.amdhsa_user_sgpr_private_segment_buffer 1
		.amdhsa_user_sgpr_dispatch_ptr 0
		.amdhsa_user_sgpr_queue_ptr 0
		.amdhsa_user_sgpr_kernarg_segment_ptr 1
		.amdhsa_user_sgpr_dispatch_id 0
		.amdhsa_user_sgpr_flat_scratch_init 0
		.amdhsa_user_sgpr_private_segment_size 0
		.amdhsa_uses_dynamic_stack 0
		.amdhsa_system_sgpr_private_segment_wavefront_offset 0
		.amdhsa_system_sgpr_workgroup_id_x 1
		.amdhsa_system_sgpr_workgroup_id_y 0
		.amdhsa_system_sgpr_workgroup_id_z 0
		.amdhsa_system_sgpr_workgroup_info 0
		.amdhsa_system_vgpr_workitem_id 0
		.amdhsa_next_free_vgpr 1
		.amdhsa_next_free_sgpr 0
		.amdhsa_reserve_vcc 0
		.amdhsa_reserve_flat_scratch 0
		.amdhsa_float_round_mode_32 0
		.amdhsa_float_round_mode_16_64 0
		.amdhsa_float_denorm_mode_32 3
		.amdhsa_float_denorm_mode_16_64 3
		.amdhsa_dx10_clamp 1
		.amdhsa_ieee_mode 1
		.amdhsa_fp16_overflow 0
		.amdhsa_exception_fp_ieee_invalid_op 0
		.amdhsa_exception_fp_denorm_src 0
		.amdhsa_exception_fp_ieee_div_zero 0
		.amdhsa_exception_fp_ieee_overflow 0
		.amdhsa_exception_fp_ieee_underflow 0
		.amdhsa_exception_fp_ieee_inexact 0
		.amdhsa_exception_int_div_zero 0
	.end_amdhsa_kernel
	.section	.text._ZN7rocprim17ROCPRIM_400000_NS6detail17trampoline_kernelINS0_14default_configENS1_22reduce_config_selectorIN6thrust23THRUST_200600_302600_NS5tupleIblNS6_9null_typeES8_S8_S8_S8_S8_S8_S8_EEEEZNS1_11reduce_implILb1ES3_NS6_12zip_iteratorINS7_INS6_11hip_rocprim26transform_input_iterator_tIbPlNS6_6detail10functional5actorINSH_9compositeIJNSH_27transparent_binary_operatorINS6_8equal_toIvEEEENSI_INSH_8argumentILj0EEEEENSH_5valueIlEEEEEEEEENSD_19counting_iterator_tIlEES8_S8_S8_S8_S8_S8_S8_S8_EEEEPS9_S9_NSD_9__find_if7functorIS9_EEEE10hipError_tPvRmT1_T2_T3_mT4_P12ihipStream_tbEUlT_E0_NS1_11comp_targetILNS1_3genE8ELNS1_11target_archE1030ELNS1_3gpuE2ELNS1_3repE0EEENS1_30default_config_static_selectorELNS0_4arch9wavefront6targetE1EEEvS17_,"axG",@progbits,_ZN7rocprim17ROCPRIM_400000_NS6detail17trampoline_kernelINS0_14default_configENS1_22reduce_config_selectorIN6thrust23THRUST_200600_302600_NS5tupleIblNS6_9null_typeES8_S8_S8_S8_S8_S8_S8_EEEEZNS1_11reduce_implILb1ES3_NS6_12zip_iteratorINS7_INS6_11hip_rocprim26transform_input_iterator_tIbPlNS6_6detail10functional5actorINSH_9compositeIJNSH_27transparent_binary_operatorINS6_8equal_toIvEEEENSI_INSH_8argumentILj0EEEEENSH_5valueIlEEEEEEEEENSD_19counting_iterator_tIlEES8_S8_S8_S8_S8_S8_S8_S8_EEEEPS9_S9_NSD_9__find_if7functorIS9_EEEE10hipError_tPvRmT1_T2_T3_mT4_P12ihipStream_tbEUlT_E0_NS1_11comp_targetILNS1_3genE8ELNS1_11target_archE1030ELNS1_3gpuE2ELNS1_3repE0EEENS1_30default_config_static_selectorELNS0_4arch9wavefront6targetE1EEEvS17_,comdat
.Lfunc_end1248:
	.size	_ZN7rocprim17ROCPRIM_400000_NS6detail17trampoline_kernelINS0_14default_configENS1_22reduce_config_selectorIN6thrust23THRUST_200600_302600_NS5tupleIblNS6_9null_typeES8_S8_S8_S8_S8_S8_S8_EEEEZNS1_11reduce_implILb1ES3_NS6_12zip_iteratorINS7_INS6_11hip_rocprim26transform_input_iterator_tIbPlNS6_6detail10functional5actorINSH_9compositeIJNSH_27transparent_binary_operatorINS6_8equal_toIvEEEENSI_INSH_8argumentILj0EEEEENSH_5valueIlEEEEEEEEENSD_19counting_iterator_tIlEES8_S8_S8_S8_S8_S8_S8_S8_EEEEPS9_S9_NSD_9__find_if7functorIS9_EEEE10hipError_tPvRmT1_T2_T3_mT4_P12ihipStream_tbEUlT_E0_NS1_11comp_targetILNS1_3genE8ELNS1_11target_archE1030ELNS1_3gpuE2ELNS1_3repE0EEENS1_30default_config_static_selectorELNS0_4arch9wavefront6targetE1EEEvS17_, .Lfunc_end1248-_ZN7rocprim17ROCPRIM_400000_NS6detail17trampoline_kernelINS0_14default_configENS1_22reduce_config_selectorIN6thrust23THRUST_200600_302600_NS5tupleIblNS6_9null_typeES8_S8_S8_S8_S8_S8_S8_EEEEZNS1_11reduce_implILb1ES3_NS6_12zip_iteratorINS7_INS6_11hip_rocprim26transform_input_iterator_tIbPlNS6_6detail10functional5actorINSH_9compositeIJNSH_27transparent_binary_operatorINS6_8equal_toIvEEEENSI_INSH_8argumentILj0EEEEENSH_5valueIlEEEEEEEEENSD_19counting_iterator_tIlEES8_S8_S8_S8_S8_S8_S8_S8_EEEEPS9_S9_NSD_9__find_if7functorIS9_EEEE10hipError_tPvRmT1_T2_T3_mT4_P12ihipStream_tbEUlT_E0_NS1_11comp_targetILNS1_3genE8ELNS1_11target_archE1030ELNS1_3gpuE2ELNS1_3repE0EEENS1_30default_config_static_selectorELNS0_4arch9wavefront6targetE1EEEvS17_
                                        ; -- End function
	.set _ZN7rocprim17ROCPRIM_400000_NS6detail17trampoline_kernelINS0_14default_configENS1_22reduce_config_selectorIN6thrust23THRUST_200600_302600_NS5tupleIblNS6_9null_typeES8_S8_S8_S8_S8_S8_S8_EEEEZNS1_11reduce_implILb1ES3_NS6_12zip_iteratorINS7_INS6_11hip_rocprim26transform_input_iterator_tIbPlNS6_6detail10functional5actorINSH_9compositeIJNSH_27transparent_binary_operatorINS6_8equal_toIvEEEENSI_INSH_8argumentILj0EEEEENSH_5valueIlEEEEEEEEENSD_19counting_iterator_tIlEES8_S8_S8_S8_S8_S8_S8_S8_EEEEPS9_S9_NSD_9__find_if7functorIS9_EEEE10hipError_tPvRmT1_T2_T3_mT4_P12ihipStream_tbEUlT_E0_NS1_11comp_targetILNS1_3genE8ELNS1_11target_archE1030ELNS1_3gpuE2ELNS1_3repE0EEENS1_30default_config_static_selectorELNS0_4arch9wavefront6targetE1EEEvS17_.num_vgpr, 0
	.set _ZN7rocprim17ROCPRIM_400000_NS6detail17trampoline_kernelINS0_14default_configENS1_22reduce_config_selectorIN6thrust23THRUST_200600_302600_NS5tupleIblNS6_9null_typeES8_S8_S8_S8_S8_S8_S8_EEEEZNS1_11reduce_implILb1ES3_NS6_12zip_iteratorINS7_INS6_11hip_rocprim26transform_input_iterator_tIbPlNS6_6detail10functional5actorINSH_9compositeIJNSH_27transparent_binary_operatorINS6_8equal_toIvEEEENSI_INSH_8argumentILj0EEEEENSH_5valueIlEEEEEEEEENSD_19counting_iterator_tIlEES8_S8_S8_S8_S8_S8_S8_S8_EEEEPS9_S9_NSD_9__find_if7functorIS9_EEEE10hipError_tPvRmT1_T2_T3_mT4_P12ihipStream_tbEUlT_E0_NS1_11comp_targetILNS1_3genE8ELNS1_11target_archE1030ELNS1_3gpuE2ELNS1_3repE0EEENS1_30default_config_static_selectorELNS0_4arch9wavefront6targetE1EEEvS17_.num_agpr, 0
	.set _ZN7rocprim17ROCPRIM_400000_NS6detail17trampoline_kernelINS0_14default_configENS1_22reduce_config_selectorIN6thrust23THRUST_200600_302600_NS5tupleIblNS6_9null_typeES8_S8_S8_S8_S8_S8_S8_EEEEZNS1_11reduce_implILb1ES3_NS6_12zip_iteratorINS7_INS6_11hip_rocprim26transform_input_iterator_tIbPlNS6_6detail10functional5actorINSH_9compositeIJNSH_27transparent_binary_operatorINS6_8equal_toIvEEEENSI_INSH_8argumentILj0EEEEENSH_5valueIlEEEEEEEEENSD_19counting_iterator_tIlEES8_S8_S8_S8_S8_S8_S8_S8_EEEEPS9_S9_NSD_9__find_if7functorIS9_EEEE10hipError_tPvRmT1_T2_T3_mT4_P12ihipStream_tbEUlT_E0_NS1_11comp_targetILNS1_3genE8ELNS1_11target_archE1030ELNS1_3gpuE2ELNS1_3repE0EEENS1_30default_config_static_selectorELNS0_4arch9wavefront6targetE1EEEvS17_.numbered_sgpr, 0
	.set _ZN7rocprim17ROCPRIM_400000_NS6detail17trampoline_kernelINS0_14default_configENS1_22reduce_config_selectorIN6thrust23THRUST_200600_302600_NS5tupleIblNS6_9null_typeES8_S8_S8_S8_S8_S8_S8_EEEEZNS1_11reduce_implILb1ES3_NS6_12zip_iteratorINS7_INS6_11hip_rocprim26transform_input_iterator_tIbPlNS6_6detail10functional5actorINSH_9compositeIJNSH_27transparent_binary_operatorINS6_8equal_toIvEEEENSI_INSH_8argumentILj0EEEEENSH_5valueIlEEEEEEEEENSD_19counting_iterator_tIlEES8_S8_S8_S8_S8_S8_S8_S8_EEEEPS9_S9_NSD_9__find_if7functorIS9_EEEE10hipError_tPvRmT1_T2_T3_mT4_P12ihipStream_tbEUlT_E0_NS1_11comp_targetILNS1_3genE8ELNS1_11target_archE1030ELNS1_3gpuE2ELNS1_3repE0EEENS1_30default_config_static_selectorELNS0_4arch9wavefront6targetE1EEEvS17_.num_named_barrier, 0
	.set _ZN7rocprim17ROCPRIM_400000_NS6detail17trampoline_kernelINS0_14default_configENS1_22reduce_config_selectorIN6thrust23THRUST_200600_302600_NS5tupleIblNS6_9null_typeES8_S8_S8_S8_S8_S8_S8_EEEEZNS1_11reduce_implILb1ES3_NS6_12zip_iteratorINS7_INS6_11hip_rocprim26transform_input_iterator_tIbPlNS6_6detail10functional5actorINSH_9compositeIJNSH_27transparent_binary_operatorINS6_8equal_toIvEEEENSI_INSH_8argumentILj0EEEEENSH_5valueIlEEEEEEEEENSD_19counting_iterator_tIlEES8_S8_S8_S8_S8_S8_S8_S8_EEEEPS9_S9_NSD_9__find_if7functorIS9_EEEE10hipError_tPvRmT1_T2_T3_mT4_P12ihipStream_tbEUlT_E0_NS1_11comp_targetILNS1_3genE8ELNS1_11target_archE1030ELNS1_3gpuE2ELNS1_3repE0EEENS1_30default_config_static_selectorELNS0_4arch9wavefront6targetE1EEEvS17_.private_seg_size, 0
	.set _ZN7rocprim17ROCPRIM_400000_NS6detail17trampoline_kernelINS0_14default_configENS1_22reduce_config_selectorIN6thrust23THRUST_200600_302600_NS5tupleIblNS6_9null_typeES8_S8_S8_S8_S8_S8_S8_EEEEZNS1_11reduce_implILb1ES3_NS6_12zip_iteratorINS7_INS6_11hip_rocprim26transform_input_iterator_tIbPlNS6_6detail10functional5actorINSH_9compositeIJNSH_27transparent_binary_operatorINS6_8equal_toIvEEEENSI_INSH_8argumentILj0EEEEENSH_5valueIlEEEEEEEEENSD_19counting_iterator_tIlEES8_S8_S8_S8_S8_S8_S8_S8_EEEEPS9_S9_NSD_9__find_if7functorIS9_EEEE10hipError_tPvRmT1_T2_T3_mT4_P12ihipStream_tbEUlT_E0_NS1_11comp_targetILNS1_3genE8ELNS1_11target_archE1030ELNS1_3gpuE2ELNS1_3repE0EEENS1_30default_config_static_selectorELNS0_4arch9wavefront6targetE1EEEvS17_.uses_vcc, 0
	.set _ZN7rocprim17ROCPRIM_400000_NS6detail17trampoline_kernelINS0_14default_configENS1_22reduce_config_selectorIN6thrust23THRUST_200600_302600_NS5tupleIblNS6_9null_typeES8_S8_S8_S8_S8_S8_S8_EEEEZNS1_11reduce_implILb1ES3_NS6_12zip_iteratorINS7_INS6_11hip_rocprim26transform_input_iterator_tIbPlNS6_6detail10functional5actorINSH_9compositeIJNSH_27transparent_binary_operatorINS6_8equal_toIvEEEENSI_INSH_8argumentILj0EEEEENSH_5valueIlEEEEEEEEENSD_19counting_iterator_tIlEES8_S8_S8_S8_S8_S8_S8_S8_EEEEPS9_S9_NSD_9__find_if7functorIS9_EEEE10hipError_tPvRmT1_T2_T3_mT4_P12ihipStream_tbEUlT_E0_NS1_11comp_targetILNS1_3genE8ELNS1_11target_archE1030ELNS1_3gpuE2ELNS1_3repE0EEENS1_30default_config_static_selectorELNS0_4arch9wavefront6targetE1EEEvS17_.uses_flat_scratch, 0
	.set _ZN7rocprim17ROCPRIM_400000_NS6detail17trampoline_kernelINS0_14default_configENS1_22reduce_config_selectorIN6thrust23THRUST_200600_302600_NS5tupleIblNS6_9null_typeES8_S8_S8_S8_S8_S8_S8_EEEEZNS1_11reduce_implILb1ES3_NS6_12zip_iteratorINS7_INS6_11hip_rocprim26transform_input_iterator_tIbPlNS6_6detail10functional5actorINSH_9compositeIJNSH_27transparent_binary_operatorINS6_8equal_toIvEEEENSI_INSH_8argumentILj0EEEEENSH_5valueIlEEEEEEEEENSD_19counting_iterator_tIlEES8_S8_S8_S8_S8_S8_S8_S8_EEEEPS9_S9_NSD_9__find_if7functorIS9_EEEE10hipError_tPvRmT1_T2_T3_mT4_P12ihipStream_tbEUlT_E0_NS1_11comp_targetILNS1_3genE8ELNS1_11target_archE1030ELNS1_3gpuE2ELNS1_3repE0EEENS1_30default_config_static_selectorELNS0_4arch9wavefront6targetE1EEEvS17_.has_dyn_sized_stack, 0
	.set _ZN7rocprim17ROCPRIM_400000_NS6detail17trampoline_kernelINS0_14default_configENS1_22reduce_config_selectorIN6thrust23THRUST_200600_302600_NS5tupleIblNS6_9null_typeES8_S8_S8_S8_S8_S8_S8_EEEEZNS1_11reduce_implILb1ES3_NS6_12zip_iteratorINS7_INS6_11hip_rocprim26transform_input_iterator_tIbPlNS6_6detail10functional5actorINSH_9compositeIJNSH_27transparent_binary_operatorINS6_8equal_toIvEEEENSI_INSH_8argumentILj0EEEEENSH_5valueIlEEEEEEEEENSD_19counting_iterator_tIlEES8_S8_S8_S8_S8_S8_S8_S8_EEEEPS9_S9_NSD_9__find_if7functorIS9_EEEE10hipError_tPvRmT1_T2_T3_mT4_P12ihipStream_tbEUlT_E0_NS1_11comp_targetILNS1_3genE8ELNS1_11target_archE1030ELNS1_3gpuE2ELNS1_3repE0EEENS1_30default_config_static_selectorELNS0_4arch9wavefront6targetE1EEEvS17_.has_recursion, 0
	.set _ZN7rocprim17ROCPRIM_400000_NS6detail17trampoline_kernelINS0_14default_configENS1_22reduce_config_selectorIN6thrust23THRUST_200600_302600_NS5tupleIblNS6_9null_typeES8_S8_S8_S8_S8_S8_S8_EEEEZNS1_11reduce_implILb1ES3_NS6_12zip_iteratorINS7_INS6_11hip_rocprim26transform_input_iterator_tIbPlNS6_6detail10functional5actorINSH_9compositeIJNSH_27transparent_binary_operatorINS6_8equal_toIvEEEENSI_INSH_8argumentILj0EEEEENSH_5valueIlEEEEEEEEENSD_19counting_iterator_tIlEES8_S8_S8_S8_S8_S8_S8_S8_EEEEPS9_S9_NSD_9__find_if7functorIS9_EEEE10hipError_tPvRmT1_T2_T3_mT4_P12ihipStream_tbEUlT_E0_NS1_11comp_targetILNS1_3genE8ELNS1_11target_archE1030ELNS1_3gpuE2ELNS1_3repE0EEENS1_30default_config_static_selectorELNS0_4arch9wavefront6targetE1EEEvS17_.has_indirect_call, 0
	.section	.AMDGPU.csdata,"",@progbits
; Kernel info:
; codeLenInByte = 0
; TotalNumSgprs: 4
; NumVgprs: 0
; ScratchSize: 0
; MemoryBound: 0
; FloatMode: 240
; IeeeMode: 1
; LDSByteSize: 0 bytes/workgroup (compile time only)
; SGPRBlocks: 0
; VGPRBlocks: 0
; NumSGPRsForWavesPerEU: 4
; NumVGPRsForWavesPerEU: 1
; Occupancy: 10
; WaveLimiterHint : 0
; COMPUTE_PGM_RSRC2:SCRATCH_EN: 0
; COMPUTE_PGM_RSRC2:USER_SGPR: 6
; COMPUTE_PGM_RSRC2:TRAP_HANDLER: 0
; COMPUTE_PGM_RSRC2:TGID_X_EN: 1
; COMPUTE_PGM_RSRC2:TGID_Y_EN: 0
; COMPUTE_PGM_RSRC2:TGID_Z_EN: 0
; COMPUTE_PGM_RSRC2:TIDIG_COMP_CNT: 0
	.section	.text._ZN7rocprim17ROCPRIM_400000_NS6detail17trampoline_kernelINS0_14default_configENS1_22reduce_config_selectorIN6thrust23THRUST_200600_302600_NS5tupleIblNS6_9null_typeES8_S8_S8_S8_S8_S8_S8_EEEEZNS1_11reduce_implILb1ES3_NS6_12zip_iteratorINS7_INS6_11hip_rocprim26transform_input_iterator_tIbPlNS6_6detail10functional5actorINSH_9compositeIJNSH_27transparent_binary_operatorINS6_8equal_toIvEEEENSI_INSH_8argumentILj0EEEEENSH_5valueIlEEEEEEEEENSD_19counting_iterator_tIlEES8_S8_S8_S8_S8_S8_S8_S8_EEEEPS9_S9_NSD_9__find_if7functorIS9_EEEE10hipError_tPvRmT1_T2_T3_mT4_P12ihipStream_tbEUlT_E1_NS1_11comp_targetILNS1_3genE0ELNS1_11target_archE4294967295ELNS1_3gpuE0ELNS1_3repE0EEENS1_30default_config_static_selectorELNS0_4arch9wavefront6targetE1EEEvS17_,"axG",@progbits,_ZN7rocprim17ROCPRIM_400000_NS6detail17trampoline_kernelINS0_14default_configENS1_22reduce_config_selectorIN6thrust23THRUST_200600_302600_NS5tupleIblNS6_9null_typeES8_S8_S8_S8_S8_S8_S8_EEEEZNS1_11reduce_implILb1ES3_NS6_12zip_iteratorINS7_INS6_11hip_rocprim26transform_input_iterator_tIbPlNS6_6detail10functional5actorINSH_9compositeIJNSH_27transparent_binary_operatorINS6_8equal_toIvEEEENSI_INSH_8argumentILj0EEEEENSH_5valueIlEEEEEEEEENSD_19counting_iterator_tIlEES8_S8_S8_S8_S8_S8_S8_S8_EEEEPS9_S9_NSD_9__find_if7functorIS9_EEEE10hipError_tPvRmT1_T2_T3_mT4_P12ihipStream_tbEUlT_E1_NS1_11comp_targetILNS1_3genE0ELNS1_11target_archE4294967295ELNS1_3gpuE0ELNS1_3repE0EEENS1_30default_config_static_selectorELNS0_4arch9wavefront6targetE1EEEvS17_,comdat
	.protected	_ZN7rocprim17ROCPRIM_400000_NS6detail17trampoline_kernelINS0_14default_configENS1_22reduce_config_selectorIN6thrust23THRUST_200600_302600_NS5tupleIblNS6_9null_typeES8_S8_S8_S8_S8_S8_S8_EEEEZNS1_11reduce_implILb1ES3_NS6_12zip_iteratorINS7_INS6_11hip_rocprim26transform_input_iterator_tIbPlNS6_6detail10functional5actorINSH_9compositeIJNSH_27transparent_binary_operatorINS6_8equal_toIvEEEENSI_INSH_8argumentILj0EEEEENSH_5valueIlEEEEEEEEENSD_19counting_iterator_tIlEES8_S8_S8_S8_S8_S8_S8_S8_EEEEPS9_S9_NSD_9__find_if7functorIS9_EEEE10hipError_tPvRmT1_T2_T3_mT4_P12ihipStream_tbEUlT_E1_NS1_11comp_targetILNS1_3genE0ELNS1_11target_archE4294967295ELNS1_3gpuE0ELNS1_3repE0EEENS1_30default_config_static_selectorELNS0_4arch9wavefront6targetE1EEEvS17_ ; -- Begin function _ZN7rocprim17ROCPRIM_400000_NS6detail17trampoline_kernelINS0_14default_configENS1_22reduce_config_selectorIN6thrust23THRUST_200600_302600_NS5tupleIblNS6_9null_typeES8_S8_S8_S8_S8_S8_S8_EEEEZNS1_11reduce_implILb1ES3_NS6_12zip_iteratorINS7_INS6_11hip_rocprim26transform_input_iterator_tIbPlNS6_6detail10functional5actorINSH_9compositeIJNSH_27transparent_binary_operatorINS6_8equal_toIvEEEENSI_INSH_8argumentILj0EEEEENSH_5valueIlEEEEEEEEENSD_19counting_iterator_tIlEES8_S8_S8_S8_S8_S8_S8_S8_EEEEPS9_S9_NSD_9__find_if7functorIS9_EEEE10hipError_tPvRmT1_T2_T3_mT4_P12ihipStream_tbEUlT_E1_NS1_11comp_targetILNS1_3genE0ELNS1_11target_archE4294967295ELNS1_3gpuE0ELNS1_3repE0EEENS1_30default_config_static_selectorELNS0_4arch9wavefront6targetE1EEEvS17_
	.globl	_ZN7rocprim17ROCPRIM_400000_NS6detail17trampoline_kernelINS0_14default_configENS1_22reduce_config_selectorIN6thrust23THRUST_200600_302600_NS5tupleIblNS6_9null_typeES8_S8_S8_S8_S8_S8_S8_EEEEZNS1_11reduce_implILb1ES3_NS6_12zip_iteratorINS7_INS6_11hip_rocprim26transform_input_iterator_tIbPlNS6_6detail10functional5actorINSH_9compositeIJNSH_27transparent_binary_operatorINS6_8equal_toIvEEEENSI_INSH_8argumentILj0EEEEENSH_5valueIlEEEEEEEEENSD_19counting_iterator_tIlEES8_S8_S8_S8_S8_S8_S8_S8_EEEEPS9_S9_NSD_9__find_if7functorIS9_EEEE10hipError_tPvRmT1_T2_T3_mT4_P12ihipStream_tbEUlT_E1_NS1_11comp_targetILNS1_3genE0ELNS1_11target_archE4294967295ELNS1_3gpuE0ELNS1_3repE0EEENS1_30default_config_static_selectorELNS0_4arch9wavefront6targetE1EEEvS17_
	.p2align	8
	.type	_ZN7rocprim17ROCPRIM_400000_NS6detail17trampoline_kernelINS0_14default_configENS1_22reduce_config_selectorIN6thrust23THRUST_200600_302600_NS5tupleIblNS6_9null_typeES8_S8_S8_S8_S8_S8_S8_EEEEZNS1_11reduce_implILb1ES3_NS6_12zip_iteratorINS7_INS6_11hip_rocprim26transform_input_iterator_tIbPlNS6_6detail10functional5actorINSH_9compositeIJNSH_27transparent_binary_operatorINS6_8equal_toIvEEEENSI_INSH_8argumentILj0EEEEENSH_5valueIlEEEEEEEEENSD_19counting_iterator_tIlEES8_S8_S8_S8_S8_S8_S8_S8_EEEEPS9_S9_NSD_9__find_if7functorIS9_EEEE10hipError_tPvRmT1_T2_T3_mT4_P12ihipStream_tbEUlT_E1_NS1_11comp_targetILNS1_3genE0ELNS1_11target_archE4294967295ELNS1_3gpuE0ELNS1_3repE0EEENS1_30default_config_static_selectorELNS0_4arch9wavefront6targetE1EEEvS17_,@function
_ZN7rocprim17ROCPRIM_400000_NS6detail17trampoline_kernelINS0_14default_configENS1_22reduce_config_selectorIN6thrust23THRUST_200600_302600_NS5tupleIblNS6_9null_typeES8_S8_S8_S8_S8_S8_S8_EEEEZNS1_11reduce_implILb1ES3_NS6_12zip_iteratorINS7_INS6_11hip_rocprim26transform_input_iterator_tIbPlNS6_6detail10functional5actorINSH_9compositeIJNSH_27transparent_binary_operatorINS6_8equal_toIvEEEENSI_INSH_8argumentILj0EEEEENSH_5valueIlEEEEEEEEENSD_19counting_iterator_tIlEES8_S8_S8_S8_S8_S8_S8_S8_EEEEPS9_S9_NSD_9__find_if7functorIS9_EEEE10hipError_tPvRmT1_T2_T3_mT4_P12ihipStream_tbEUlT_E1_NS1_11comp_targetILNS1_3genE0ELNS1_11target_archE4294967295ELNS1_3gpuE0ELNS1_3repE0EEENS1_30default_config_static_selectorELNS0_4arch9wavefront6targetE1EEEvS17_: ; @_ZN7rocprim17ROCPRIM_400000_NS6detail17trampoline_kernelINS0_14default_configENS1_22reduce_config_selectorIN6thrust23THRUST_200600_302600_NS5tupleIblNS6_9null_typeES8_S8_S8_S8_S8_S8_S8_EEEEZNS1_11reduce_implILb1ES3_NS6_12zip_iteratorINS7_INS6_11hip_rocprim26transform_input_iterator_tIbPlNS6_6detail10functional5actorINSH_9compositeIJNSH_27transparent_binary_operatorINS6_8equal_toIvEEEENSI_INSH_8argumentILj0EEEEENSH_5valueIlEEEEEEEEENSD_19counting_iterator_tIlEES8_S8_S8_S8_S8_S8_S8_S8_EEEEPS9_S9_NSD_9__find_if7functorIS9_EEEE10hipError_tPvRmT1_T2_T3_mT4_P12ihipStream_tbEUlT_E1_NS1_11comp_targetILNS1_3genE0ELNS1_11target_archE4294967295ELNS1_3gpuE0ELNS1_3repE0EEENS1_30default_config_static_selectorELNS0_4arch9wavefront6targetE1EEEvS17_
; %bb.0:
	.section	.rodata,"a",@progbits
	.p2align	6, 0x0
	.amdhsa_kernel _ZN7rocprim17ROCPRIM_400000_NS6detail17trampoline_kernelINS0_14default_configENS1_22reduce_config_selectorIN6thrust23THRUST_200600_302600_NS5tupleIblNS6_9null_typeES8_S8_S8_S8_S8_S8_S8_EEEEZNS1_11reduce_implILb1ES3_NS6_12zip_iteratorINS7_INS6_11hip_rocprim26transform_input_iterator_tIbPlNS6_6detail10functional5actorINSH_9compositeIJNSH_27transparent_binary_operatorINS6_8equal_toIvEEEENSI_INSH_8argumentILj0EEEEENSH_5valueIlEEEEEEEEENSD_19counting_iterator_tIlEES8_S8_S8_S8_S8_S8_S8_S8_EEEEPS9_S9_NSD_9__find_if7functorIS9_EEEE10hipError_tPvRmT1_T2_T3_mT4_P12ihipStream_tbEUlT_E1_NS1_11comp_targetILNS1_3genE0ELNS1_11target_archE4294967295ELNS1_3gpuE0ELNS1_3repE0EEENS1_30default_config_static_selectorELNS0_4arch9wavefront6targetE1EEEvS17_
		.amdhsa_group_segment_fixed_size 0
		.amdhsa_private_segment_fixed_size 0
		.amdhsa_kernarg_size 80
		.amdhsa_user_sgpr_count 6
		.amdhsa_user_sgpr_private_segment_buffer 1
		.amdhsa_user_sgpr_dispatch_ptr 0
		.amdhsa_user_sgpr_queue_ptr 0
		.amdhsa_user_sgpr_kernarg_segment_ptr 1
		.amdhsa_user_sgpr_dispatch_id 0
		.amdhsa_user_sgpr_flat_scratch_init 0
		.amdhsa_user_sgpr_private_segment_size 0
		.amdhsa_uses_dynamic_stack 0
		.amdhsa_system_sgpr_private_segment_wavefront_offset 0
		.amdhsa_system_sgpr_workgroup_id_x 1
		.amdhsa_system_sgpr_workgroup_id_y 0
		.amdhsa_system_sgpr_workgroup_id_z 0
		.amdhsa_system_sgpr_workgroup_info 0
		.amdhsa_system_vgpr_workitem_id 0
		.amdhsa_next_free_vgpr 1
		.amdhsa_next_free_sgpr 0
		.amdhsa_reserve_vcc 0
		.amdhsa_reserve_flat_scratch 0
		.amdhsa_float_round_mode_32 0
		.amdhsa_float_round_mode_16_64 0
		.amdhsa_float_denorm_mode_32 3
		.amdhsa_float_denorm_mode_16_64 3
		.amdhsa_dx10_clamp 1
		.amdhsa_ieee_mode 1
		.amdhsa_fp16_overflow 0
		.amdhsa_exception_fp_ieee_invalid_op 0
		.amdhsa_exception_fp_denorm_src 0
		.amdhsa_exception_fp_ieee_div_zero 0
		.amdhsa_exception_fp_ieee_overflow 0
		.amdhsa_exception_fp_ieee_underflow 0
		.amdhsa_exception_fp_ieee_inexact 0
		.amdhsa_exception_int_div_zero 0
	.end_amdhsa_kernel
	.section	.text._ZN7rocprim17ROCPRIM_400000_NS6detail17trampoline_kernelINS0_14default_configENS1_22reduce_config_selectorIN6thrust23THRUST_200600_302600_NS5tupleIblNS6_9null_typeES8_S8_S8_S8_S8_S8_S8_EEEEZNS1_11reduce_implILb1ES3_NS6_12zip_iteratorINS7_INS6_11hip_rocprim26transform_input_iterator_tIbPlNS6_6detail10functional5actorINSH_9compositeIJNSH_27transparent_binary_operatorINS6_8equal_toIvEEEENSI_INSH_8argumentILj0EEEEENSH_5valueIlEEEEEEEEENSD_19counting_iterator_tIlEES8_S8_S8_S8_S8_S8_S8_S8_EEEEPS9_S9_NSD_9__find_if7functorIS9_EEEE10hipError_tPvRmT1_T2_T3_mT4_P12ihipStream_tbEUlT_E1_NS1_11comp_targetILNS1_3genE0ELNS1_11target_archE4294967295ELNS1_3gpuE0ELNS1_3repE0EEENS1_30default_config_static_selectorELNS0_4arch9wavefront6targetE1EEEvS17_,"axG",@progbits,_ZN7rocprim17ROCPRIM_400000_NS6detail17trampoline_kernelINS0_14default_configENS1_22reduce_config_selectorIN6thrust23THRUST_200600_302600_NS5tupleIblNS6_9null_typeES8_S8_S8_S8_S8_S8_S8_EEEEZNS1_11reduce_implILb1ES3_NS6_12zip_iteratorINS7_INS6_11hip_rocprim26transform_input_iterator_tIbPlNS6_6detail10functional5actorINSH_9compositeIJNSH_27transparent_binary_operatorINS6_8equal_toIvEEEENSI_INSH_8argumentILj0EEEEENSH_5valueIlEEEEEEEEENSD_19counting_iterator_tIlEES8_S8_S8_S8_S8_S8_S8_S8_EEEEPS9_S9_NSD_9__find_if7functorIS9_EEEE10hipError_tPvRmT1_T2_T3_mT4_P12ihipStream_tbEUlT_E1_NS1_11comp_targetILNS1_3genE0ELNS1_11target_archE4294967295ELNS1_3gpuE0ELNS1_3repE0EEENS1_30default_config_static_selectorELNS0_4arch9wavefront6targetE1EEEvS17_,comdat
.Lfunc_end1249:
	.size	_ZN7rocprim17ROCPRIM_400000_NS6detail17trampoline_kernelINS0_14default_configENS1_22reduce_config_selectorIN6thrust23THRUST_200600_302600_NS5tupleIblNS6_9null_typeES8_S8_S8_S8_S8_S8_S8_EEEEZNS1_11reduce_implILb1ES3_NS6_12zip_iteratorINS7_INS6_11hip_rocprim26transform_input_iterator_tIbPlNS6_6detail10functional5actorINSH_9compositeIJNSH_27transparent_binary_operatorINS6_8equal_toIvEEEENSI_INSH_8argumentILj0EEEEENSH_5valueIlEEEEEEEEENSD_19counting_iterator_tIlEES8_S8_S8_S8_S8_S8_S8_S8_EEEEPS9_S9_NSD_9__find_if7functorIS9_EEEE10hipError_tPvRmT1_T2_T3_mT4_P12ihipStream_tbEUlT_E1_NS1_11comp_targetILNS1_3genE0ELNS1_11target_archE4294967295ELNS1_3gpuE0ELNS1_3repE0EEENS1_30default_config_static_selectorELNS0_4arch9wavefront6targetE1EEEvS17_, .Lfunc_end1249-_ZN7rocprim17ROCPRIM_400000_NS6detail17trampoline_kernelINS0_14default_configENS1_22reduce_config_selectorIN6thrust23THRUST_200600_302600_NS5tupleIblNS6_9null_typeES8_S8_S8_S8_S8_S8_S8_EEEEZNS1_11reduce_implILb1ES3_NS6_12zip_iteratorINS7_INS6_11hip_rocprim26transform_input_iterator_tIbPlNS6_6detail10functional5actorINSH_9compositeIJNSH_27transparent_binary_operatorINS6_8equal_toIvEEEENSI_INSH_8argumentILj0EEEEENSH_5valueIlEEEEEEEEENSD_19counting_iterator_tIlEES8_S8_S8_S8_S8_S8_S8_S8_EEEEPS9_S9_NSD_9__find_if7functorIS9_EEEE10hipError_tPvRmT1_T2_T3_mT4_P12ihipStream_tbEUlT_E1_NS1_11comp_targetILNS1_3genE0ELNS1_11target_archE4294967295ELNS1_3gpuE0ELNS1_3repE0EEENS1_30default_config_static_selectorELNS0_4arch9wavefront6targetE1EEEvS17_
                                        ; -- End function
	.set _ZN7rocprim17ROCPRIM_400000_NS6detail17trampoline_kernelINS0_14default_configENS1_22reduce_config_selectorIN6thrust23THRUST_200600_302600_NS5tupleIblNS6_9null_typeES8_S8_S8_S8_S8_S8_S8_EEEEZNS1_11reduce_implILb1ES3_NS6_12zip_iteratorINS7_INS6_11hip_rocprim26transform_input_iterator_tIbPlNS6_6detail10functional5actorINSH_9compositeIJNSH_27transparent_binary_operatorINS6_8equal_toIvEEEENSI_INSH_8argumentILj0EEEEENSH_5valueIlEEEEEEEEENSD_19counting_iterator_tIlEES8_S8_S8_S8_S8_S8_S8_S8_EEEEPS9_S9_NSD_9__find_if7functorIS9_EEEE10hipError_tPvRmT1_T2_T3_mT4_P12ihipStream_tbEUlT_E1_NS1_11comp_targetILNS1_3genE0ELNS1_11target_archE4294967295ELNS1_3gpuE0ELNS1_3repE0EEENS1_30default_config_static_selectorELNS0_4arch9wavefront6targetE1EEEvS17_.num_vgpr, 0
	.set _ZN7rocprim17ROCPRIM_400000_NS6detail17trampoline_kernelINS0_14default_configENS1_22reduce_config_selectorIN6thrust23THRUST_200600_302600_NS5tupleIblNS6_9null_typeES8_S8_S8_S8_S8_S8_S8_EEEEZNS1_11reduce_implILb1ES3_NS6_12zip_iteratorINS7_INS6_11hip_rocprim26transform_input_iterator_tIbPlNS6_6detail10functional5actorINSH_9compositeIJNSH_27transparent_binary_operatorINS6_8equal_toIvEEEENSI_INSH_8argumentILj0EEEEENSH_5valueIlEEEEEEEEENSD_19counting_iterator_tIlEES8_S8_S8_S8_S8_S8_S8_S8_EEEEPS9_S9_NSD_9__find_if7functorIS9_EEEE10hipError_tPvRmT1_T2_T3_mT4_P12ihipStream_tbEUlT_E1_NS1_11comp_targetILNS1_3genE0ELNS1_11target_archE4294967295ELNS1_3gpuE0ELNS1_3repE0EEENS1_30default_config_static_selectorELNS0_4arch9wavefront6targetE1EEEvS17_.num_agpr, 0
	.set _ZN7rocprim17ROCPRIM_400000_NS6detail17trampoline_kernelINS0_14default_configENS1_22reduce_config_selectorIN6thrust23THRUST_200600_302600_NS5tupleIblNS6_9null_typeES8_S8_S8_S8_S8_S8_S8_EEEEZNS1_11reduce_implILb1ES3_NS6_12zip_iteratorINS7_INS6_11hip_rocprim26transform_input_iterator_tIbPlNS6_6detail10functional5actorINSH_9compositeIJNSH_27transparent_binary_operatorINS6_8equal_toIvEEEENSI_INSH_8argumentILj0EEEEENSH_5valueIlEEEEEEEEENSD_19counting_iterator_tIlEES8_S8_S8_S8_S8_S8_S8_S8_EEEEPS9_S9_NSD_9__find_if7functorIS9_EEEE10hipError_tPvRmT1_T2_T3_mT4_P12ihipStream_tbEUlT_E1_NS1_11comp_targetILNS1_3genE0ELNS1_11target_archE4294967295ELNS1_3gpuE0ELNS1_3repE0EEENS1_30default_config_static_selectorELNS0_4arch9wavefront6targetE1EEEvS17_.numbered_sgpr, 0
	.set _ZN7rocprim17ROCPRIM_400000_NS6detail17trampoline_kernelINS0_14default_configENS1_22reduce_config_selectorIN6thrust23THRUST_200600_302600_NS5tupleIblNS6_9null_typeES8_S8_S8_S8_S8_S8_S8_EEEEZNS1_11reduce_implILb1ES3_NS6_12zip_iteratorINS7_INS6_11hip_rocprim26transform_input_iterator_tIbPlNS6_6detail10functional5actorINSH_9compositeIJNSH_27transparent_binary_operatorINS6_8equal_toIvEEEENSI_INSH_8argumentILj0EEEEENSH_5valueIlEEEEEEEEENSD_19counting_iterator_tIlEES8_S8_S8_S8_S8_S8_S8_S8_EEEEPS9_S9_NSD_9__find_if7functorIS9_EEEE10hipError_tPvRmT1_T2_T3_mT4_P12ihipStream_tbEUlT_E1_NS1_11comp_targetILNS1_3genE0ELNS1_11target_archE4294967295ELNS1_3gpuE0ELNS1_3repE0EEENS1_30default_config_static_selectorELNS0_4arch9wavefront6targetE1EEEvS17_.num_named_barrier, 0
	.set _ZN7rocprim17ROCPRIM_400000_NS6detail17trampoline_kernelINS0_14default_configENS1_22reduce_config_selectorIN6thrust23THRUST_200600_302600_NS5tupleIblNS6_9null_typeES8_S8_S8_S8_S8_S8_S8_EEEEZNS1_11reduce_implILb1ES3_NS6_12zip_iteratorINS7_INS6_11hip_rocprim26transform_input_iterator_tIbPlNS6_6detail10functional5actorINSH_9compositeIJNSH_27transparent_binary_operatorINS6_8equal_toIvEEEENSI_INSH_8argumentILj0EEEEENSH_5valueIlEEEEEEEEENSD_19counting_iterator_tIlEES8_S8_S8_S8_S8_S8_S8_S8_EEEEPS9_S9_NSD_9__find_if7functorIS9_EEEE10hipError_tPvRmT1_T2_T3_mT4_P12ihipStream_tbEUlT_E1_NS1_11comp_targetILNS1_3genE0ELNS1_11target_archE4294967295ELNS1_3gpuE0ELNS1_3repE0EEENS1_30default_config_static_selectorELNS0_4arch9wavefront6targetE1EEEvS17_.private_seg_size, 0
	.set _ZN7rocprim17ROCPRIM_400000_NS6detail17trampoline_kernelINS0_14default_configENS1_22reduce_config_selectorIN6thrust23THRUST_200600_302600_NS5tupleIblNS6_9null_typeES8_S8_S8_S8_S8_S8_S8_EEEEZNS1_11reduce_implILb1ES3_NS6_12zip_iteratorINS7_INS6_11hip_rocprim26transform_input_iterator_tIbPlNS6_6detail10functional5actorINSH_9compositeIJNSH_27transparent_binary_operatorINS6_8equal_toIvEEEENSI_INSH_8argumentILj0EEEEENSH_5valueIlEEEEEEEEENSD_19counting_iterator_tIlEES8_S8_S8_S8_S8_S8_S8_S8_EEEEPS9_S9_NSD_9__find_if7functorIS9_EEEE10hipError_tPvRmT1_T2_T3_mT4_P12ihipStream_tbEUlT_E1_NS1_11comp_targetILNS1_3genE0ELNS1_11target_archE4294967295ELNS1_3gpuE0ELNS1_3repE0EEENS1_30default_config_static_selectorELNS0_4arch9wavefront6targetE1EEEvS17_.uses_vcc, 0
	.set _ZN7rocprim17ROCPRIM_400000_NS6detail17trampoline_kernelINS0_14default_configENS1_22reduce_config_selectorIN6thrust23THRUST_200600_302600_NS5tupleIblNS6_9null_typeES8_S8_S8_S8_S8_S8_S8_EEEEZNS1_11reduce_implILb1ES3_NS6_12zip_iteratorINS7_INS6_11hip_rocprim26transform_input_iterator_tIbPlNS6_6detail10functional5actorINSH_9compositeIJNSH_27transparent_binary_operatorINS6_8equal_toIvEEEENSI_INSH_8argumentILj0EEEEENSH_5valueIlEEEEEEEEENSD_19counting_iterator_tIlEES8_S8_S8_S8_S8_S8_S8_S8_EEEEPS9_S9_NSD_9__find_if7functorIS9_EEEE10hipError_tPvRmT1_T2_T3_mT4_P12ihipStream_tbEUlT_E1_NS1_11comp_targetILNS1_3genE0ELNS1_11target_archE4294967295ELNS1_3gpuE0ELNS1_3repE0EEENS1_30default_config_static_selectorELNS0_4arch9wavefront6targetE1EEEvS17_.uses_flat_scratch, 0
	.set _ZN7rocprim17ROCPRIM_400000_NS6detail17trampoline_kernelINS0_14default_configENS1_22reduce_config_selectorIN6thrust23THRUST_200600_302600_NS5tupleIblNS6_9null_typeES8_S8_S8_S8_S8_S8_S8_EEEEZNS1_11reduce_implILb1ES3_NS6_12zip_iteratorINS7_INS6_11hip_rocprim26transform_input_iterator_tIbPlNS6_6detail10functional5actorINSH_9compositeIJNSH_27transparent_binary_operatorINS6_8equal_toIvEEEENSI_INSH_8argumentILj0EEEEENSH_5valueIlEEEEEEEEENSD_19counting_iterator_tIlEES8_S8_S8_S8_S8_S8_S8_S8_EEEEPS9_S9_NSD_9__find_if7functorIS9_EEEE10hipError_tPvRmT1_T2_T3_mT4_P12ihipStream_tbEUlT_E1_NS1_11comp_targetILNS1_3genE0ELNS1_11target_archE4294967295ELNS1_3gpuE0ELNS1_3repE0EEENS1_30default_config_static_selectorELNS0_4arch9wavefront6targetE1EEEvS17_.has_dyn_sized_stack, 0
	.set _ZN7rocprim17ROCPRIM_400000_NS6detail17trampoline_kernelINS0_14default_configENS1_22reduce_config_selectorIN6thrust23THRUST_200600_302600_NS5tupleIblNS6_9null_typeES8_S8_S8_S8_S8_S8_S8_EEEEZNS1_11reduce_implILb1ES3_NS6_12zip_iteratorINS7_INS6_11hip_rocprim26transform_input_iterator_tIbPlNS6_6detail10functional5actorINSH_9compositeIJNSH_27transparent_binary_operatorINS6_8equal_toIvEEEENSI_INSH_8argumentILj0EEEEENSH_5valueIlEEEEEEEEENSD_19counting_iterator_tIlEES8_S8_S8_S8_S8_S8_S8_S8_EEEEPS9_S9_NSD_9__find_if7functorIS9_EEEE10hipError_tPvRmT1_T2_T3_mT4_P12ihipStream_tbEUlT_E1_NS1_11comp_targetILNS1_3genE0ELNS1_11target_archE4294967295ELNS1_3gpuE0ELNS1_3repE0EEENS1_30default_config_static_selectorELNS0_4arch9wavefront6targetE1EEEvS17_.has_recursion, 0
	.set _ZN7rocprim17ROCPRIM_400000_NS6detail17trampoline_kernelINS0_14default_configENS1_22reduce_config_selectorIN6thrust23THRUST_200600_302600_NS5tupleIblNS6_9null_typeES8_S8_S8_S8_S8_S8_S8_EEEEZNS1_11reduce_implILb1ES3_NS6_12zip_iteratorINS7_INS6_11hip_rocprim26transform_input_iterator_tIbPlNS6_6detail10functional5actorINSH_9compositeIJNSH_27transparent_binary_operatorINS6_8equal_toIvEEEENSI_INSH_8argumentILj0EEEEENSH_5valueIlEEEEEEEEENSD_19counting_iterator_tIlEES8_S8_S8_S8_S8_S8_S8_S8_EEEEPS9_S9_NSD_9__find_if7functorIS9_EEEE10hipError_tPvRmT1_T2_T3_mT4_P12ihipStream_tbEUlT_E1_NS1_11comp_targetILNS1_3genE0ELNS1_11target_archE4294967295ELNS1_3gpuE0ELNS1_3repE0EEENS1_30default_config_static_selectorELNS0_4arch9wavefront6targetE1EEEvS17_.has_indirect_call, 0
	.section	.AMDGPU.csdata,"",@progbits
; Kernel info:
; codeLenInByte = 0
; TotalNumSgprs: 4
; NumVgprs: 0
; ScratchSize: 0
; MemoryBound: 0
; FloatMode: 240
; IeeeMode: 1
; LDSByteSize: 0 bytes/workgroup (compile time only)
; SGPRBlocks: 0
; VGPRBlocks: 0
; NumSGPRsForWavesPerEU: 4
; NumVGPRsForWavesPerEU: 1
; Occupancy: 10
; WaveLimiterHint : 0
; COMPUTE_PGM_RSRC2:SCRATCH_EN: 0
; COMPUTE_PGM_RSRC2:USER_SGPR: 6
; COMPUTE_PGM_RSRC2:TRAP_HANDLER: 0
; COMPUTE_PGM_RSRC2:TGID_X_EN: 1
; COMPUTE_PGM_RSRC2:TGID_Y_EN: 0
; COMPUTE_PGM_RSRC2:TGID_Z_EN: 0
; COMPUTE_PGM_RSRC2:TIDIG_COMP_CNT: 0
	.section	.text._ZN7rocprim17ROCPRIM_400000_NS6detail17trampoline_kernelINS0_14default_configENS1_22reduce_config_selectorIN6thrust23THRUST_200600_302600_NS5tupleIblNS6_9null_typeES8_S8_S8_S8_S8_S8_S8_EEEEZNS1_11reduce_implILb1ES3_NS6_12zip_iteratorINS7_INS6_11hip_rocprim26transform_input_iterator_tIbPlNS6_6detail10functional5actorINSH_9compositeIJNSH_27transparent_binary_operatorINS6_8equal_toIvEEEENSI_INSH_8argumentILj0EEEEENSH_5valueIlEEEEEEEEENSD_19counting_iterator_tIlEES8_S8_S8_S8_S8_S8_S8_S8_EEEEPS9_S9_NSD_9__find_if7functorIS9_EEEE10hipError_tPvRmT1_T2_T3_mT4_P12ihipStream_tbEUlT_E1_NS1_11comp_targetILNS1_3genE5ELNS1_11target_archE942ELNS1_3gpuE9ELNS1_3repE0EEENS1_30default_config_static_selectorELNS0_4arch9wavefront6targetE1EEEvS17_,"axG",@progbits,_ZN7rocprim17ROCPRIM_400000_NS6detail17trampoline_kernelINS0_14default_configENS1_22reduce_config_selectorIN6thrust23THRUST_200600_302600_NS5tupleIblNS6_9null_typeES8_S8_S8_S8_S8_S8_S8_EEEEZNS1_11reduce_implILb1ES3_NS6_12zip_iteratorINS7_INS6_11hip_rocprim26transform_input_iterator_tIbPlNS6_6detail10functional5actorINSH_9compositeIJNSH_27transparent_binary_operatorINS6_8equal_toIvEEEENSI_INSH_8argumentILj0EEEEENSH_5valueIlEEEEEEEEENSD_19counting_iterator_tIlEES8_S8_S8_S8_S8_S8_S8_S8_EEEEPS9_S9_NSD_9__find_if7functorIS9_EEEE10hipError_tPvRmT1_T2_T3_mT4_P12ihipStream_tbEUlT_E1_NS1_11comp_targetILNS1_3genE5ELNS1_11target_archE942ELNS1_3gpuE9ELNS1_3repE0EEENS1_30default_config_static_selectorELNS0_4arch9wavefront6targetE1EEEvS17_,comdat
	.protected	_ZN7rocprim17ROCPRIM_400000_NS6detail17trampoline_kernelINS0_14default_configENS1_22reduce_config_selectorIN6thrust23THRUST_200600_302600_NS5tupleIblNS6_9null_typeES8_S8_S8_S8_S8_S8_S8_EEEEZNS1_11reduce_implILb1ES3_NS6_12zip_iteratorINS7_INS6_11hip_rocprim26transform_input_iterator_tIbPlNS6_6detail10functional5actorINSH_9compositeIJNSH_27transparent_binary_operatorINS6_8equal_toIvEEEENSI_INSH_8argumentILj0EEEEENSH_5valueIlEEEEEEEEENSD_19counting_iterator_tIlEES8_S8_S8_S8_S8_S8_S8_S8_EEEEPS9_S9_NSD_9__find_if7functorIS9_EEEE10hipError_tPvRmT1_T2_T3_mT4_P12ihipStream_tbEUlT_E1_NS1_11comp_targetILNS1_3genE5ELNS1_11target_archE942ELNS1_3gpuE9ELNS1_3repE0EEENS1_30default_config_static_selectorELNS0_4arch9wavefront6targetE1EEEvS17_ ; -- Begin function _ZN7rocprim17ROCPRIM_400000_NS6detail17trampoline_kernelINS0_14default_configENS1_22reduce_config_selectorIN6thrust23THRUST_200600_302600_NS5tupleIblNS6_9null_typeES8_S8_S8_S8_S8_S8_S8_EEEEZNS1_11reduce_implILb1ES3_NS6_12zip_iteratorINS7_INS6_11hip_rocprim26transform_input_iterator_tIbPlNS6_6detail10functional5actorINSH_9compositeIJNSH_27transparent_binary_operatorINS6_8equal_toIvEEEENSI_INSH_8argumentILj0EEEEENSH_5valueIlEEEEEEEEENSD_19counting_iterator_tIlEES8_S8_S8_S8_S8_S8_S8_S8_EEEEPS9_S9_NSD_9__find_if7functorIS9_EEEE10hipError_tPvRmT1_T2_T3_mT4_P12ihipStream_tbEUlT_E1_NS1_11comp_targetILNS1_3genE5ELNS1_11target_archE942ELNS1_3gpuE9ELNS1_3repE0EEENS1_30default_config_static_selectorELNS0_4arch9wavefront6targetE1EEEvS17_
	.globl	_ZN7rocprim17ROCPRIM_400000_NS6detail17trampoline_kernelINS0_14default_configENS1_22reduce_config_selectorIN6thrust23THRUST_200600_302600_NS5tupleIblNS6_9null_typeES8_S8_S8_S8_S8_S8_S8_EEEEZNS1_11reduce_implILb1ES3_NS6_12zip_iteratorINS7_INS6_11hip_rocprim26transform_input_iterator_tIbPlNS6_6detail10functional5actorINSH_9compositeIJNSH_27transparent_binary_operatorINS6_8equal_toIvEEEENSI_INSH_8argumentILj0EEEEENSH_5valueIlEEEEEEEEENSD_19counting_iterator_tIlEES8_S8_S8_S8_S8_S8_S8_S8_EEEEPS9_S9_NSD_9__find_if7functorIS9_EEEE10hipError_tPvRmT1_T2_T3_mT4_P12ihipStream_tbEUlT_E1_NS1_11comp_targetILNS1_3genE5ELNS1_11target_archE942ELNS1_3gpuE9ELNS1_3repE0EEENS1_30default_config_static_selectorELNS0_4arch9wavefront6targetE1EEEvS17_
	.p2align	8
	.type	_ZN7rocprim17ROCPRIM_400000_NS6detail17trampoline_kernelINS0_14default_configENS1_22reduce_config_selectorIN6thrust23THRUST_200600_302600_NS5tupleIblNS6_9null_typeES8_S8_S8_S8_S8_S8_S8_EEEEZNS1_11reduce_implILb1ES3_NS6_12zip_iteratorINS7_INS6_11hip_rocprim26transform_input_iterator_tIbPlNS6_6detail10functional5actorINSH_9compositeIJNSH_27transparent_binary_operatorINS6_8equal_toIvEEEENSI_INSH_8argumentILj0EEEEENSH_5valueIlEEEEEEEEENSD_19counting_iterator_tIlEES8_S8_S8_S8_S8_S8_S8_S8_EEEEPS9_S9_NSD_9__find_if7functorIS9_EEEE10hipError_tPvRmT1_T2_T3_mT4_P12ihipStream_tbEUlT_E1_NS1_11comp_targetILNS1_3genE5ELNS1_11target_archE942ELNS1_3gpuE9ELNS1_3repE0EEENS1_30default_config_static_selectorELNS0_4arch9wavefront6targetE1EEEvS17_,@function
_ZN7rocprim17ROCPRIM_400000_NS6detail17trampoline_kernelINS0_14default_configENS1_22reduce_config_selectorIN6thrust23THRUST_200600_302600_NS5tupleIblNS6_9null_typeES8_S8_S8_S8_S8_S8_S8_EEEEZNS1_11reduce_implILb1ES3_NS6_12zip_iteratorINS7_INS6_11hip_rocprim26transform_input_iterator_tIbPlNS6_6detail10functional5actorINSH_9compositeIJNSH_27transparent_binary_operatorINS6_8equal_toIvEEEENSI_INSH_8argumentILj0EEEEENSH_5valueIlEEEEEEEEENSD_19counting_iterator_tIlEES8_S8_S8_S8_S8_S8_S8_S8_EEEEPS9_S9_NSD_9__find_if7functorIS9_EEEE10hipError_tPvRmT1_T2_T3_mT4_P12ihipStream_tbEUlT_E1_NS1_11comp_targetILNS1_3genE5ELNS1_11target_archE942ELNS1_3gpuE9ELNS1_3repE0EEENS1_30default_config_static_selectorELNS0_4arch9wavefront6targetE1EEEvS17_: ; @_ZN7rocprim17ROCPRIM_400000_NS6detail17trampoline_kernelINS0_14default_configENS1_22reduce_config_selectorIN6thrust23THRUST_200600_302600_NS5tupleIblNS6_9null_typeES8_S8_S8_S8_S8_S8_S8_EEEEZNS1_11reduce_implILb1ES3_NS6_12zip_iteratorINS7_INS6_11hip_rocprim26transform_input_iterator_tIbPlNS6_6detail10functional5actorINSH_9compositeIJNSH_27transparent_binary_operatorINS6_8equal_toIvEEEENSI_INSH_8argumentILj0EEEEENSH_5valueIlEEEEEEEEENSD_19counting_iterator_tIlEES8_S8_S8_S8_S8_S8_S8_S8_EEEEPS9_S9_NSD_9__find_if7functorIS9_EEEE10hipError_tPvRmT1_T2_T3_mT4_P12ihipStream_tbEUlT_E1_NS1_11comp_targetILNS1_3genE5ELNS1_11target_archE942ELNS1_3gpuE9ELNS1_3repE0EEENS1_30default_config_static_selectorELNS0_4arch9wavefront6targetE1EEEvS17_
; %bb.0:
	.section	.rodata,"a",@progbits
	.p2align	6, 0x0
	.amdhsa_kernel _ZN7rocprim17ROCPRIM_400000_NS6detail17trampoline_kernelINS0_14default_configENS1_22reduce_config_selectorIN6thrust23THRUST_200600_302600_NS5tupleIblNS6_9null_typeES8_S8_S8_S8_S8_S8_S8_EEEEZNS1_11reduce_implILb1ES3_NS6_12zip_iteratorINS7_INS6_11hip_rocprim26transform_input_iterator_tIbPlNS6_6detail10functional5actorINSH_9compositeIJNSH_27transparent_binary_operatorINS6_8equal_toIvEEEENSI_INSH_8argumentILj0EEEEENSH_5valueIlEEEEEEEEENSD_19counting_iterator_tIlEES8_S8_S8_S8_S8_S8_S8_S8_EEEEPS9_S9_NSD_9__find_if7functorIS9_EEEE10hipError_tPvRmT1_T2_T3_mT4_P12ihipStream_tbEUlT_E1_NS1_11comp_targetILNS1_3genE5ELNS1_11target_archE942ELNS1_3gpuE9ELNS1_3repE0EEENS1_30default_config_static_selectorELNS0_4arch9wavefront6targetE1EEEvS17_
		.amdhsa_group_segment_fixed_size 0
		.amdhsa_private_segment_fixed_size 0
		.amdhsa_kernarg_size 80
		.amdhsa_user_sgpr_count 6
		.amdhsa_user_sgpr_private_segment_buffer 1
		.amdhsa_user_sgpr_dispatch_ptr 0
		.amdhsa_user_sgpr_queue_ptr 0
		.amdhsa_user_sgpr_kernarg_segment_ptr 1
		.amdhsa_user_sgpr_dispatch_id 0
		.amdhsa_user_sgpr_flat_scratch_init 0
		.amdhsa_user_sgpr_private_segment_size 0
		.amdhsa_uses_dynamic_stack 0
		.amdhsa_system_sgpr_private_segment_wavefront_offset 0
		.amdhsa_system_sgpr_workgroup_id_x 1
		.amdhsa_system_sgpr_workgroup_id_y 0
		.amdhsa_system_sgpr_workgroup_id_z 0
		.amdhsa_system_sgpr_workgroup_info 0
		.amdhsa_system_vgpr_workitem_id 0
		.amdhsa_next_free_vgpr 1
		.amdhsa_next_free_sgpr 0
		.amdhsa_reserve_vcc 0
		.amdhsa_reserve_flat_scratch 0
		.amdhsa_float_round_mode_32 0
		.amdhsa_float_round_mode_16_64 0
		.amdhsa_float_denorm_mode_32 3
		.amdhsa_float_denorm_mode_16_64 3
		.amdhsa_dx10_clamp 1
		.amdhsa_ieee_mode 1
		.amdhsa_fp16_overflow 0
		.amdhsa_exception_fp_ieee_invalid_op 0
		.amdhsa_exception_fp_denorm_src 0
		.amdhsa_exception_fp_ieee_div_zero 0
		.amdhsa_exception_fp_ieee_overflow 0
		.amdhsa_exception_fp_ieee_underflow 0
		.amdhsa_exception_fp_ieee_inexact 0
		.amdhsa_exception_int_div_zero 0
	.end_amdhsa_kernel
	.section	.text._ZN7rocprim17ROCPRIM_400000_NS6detail17trampoline_kernelINS0_14default_configENS1_22reduce_config_selectorIN6thrust23THRUST_200600_302600_NS5tupleIblNS6_9null_typeES8_S8_S8_S8_S8_S8_S8_EEEEZNS1_11reduce_implILb1ES3_NS6_12zip_iteratorINS7_INS6_11hip_rocprim26transform_input_iterator_tIbPlNS6_6detail10functional5actorINSH_9compositeIJNSH_27transparent_binary_operatorINS6_8equal_toIvEEEENSI_INSH_8argumentILj0EEEEENSH_5valueIlEEEEEEEEENSD_19counting_iterator_tIlEES8_S8_S8_S8_S8_S8_S8_S8_EEEEPS9_S9_NSD_9__find_if7functorIS9_EEEE10hipError_tPvRmT1_T2_T3_mT4_P12ihipStream_tbEUlT_E1_NS1_11comp_targetILNS1_3genE5ELNS1_11target_archE942ELNS1_3gpuE9ELNS1_3repE0EEENS1_30default_config_static_selectorELNS0_4arch9wavefront6targetE1EEEvS17_,"axG",@progbits,_ZN7rocprim17ROCPRIM_400000_NS6detail17trampoline_kernelINS0_14default_configENS1_22reduce_config_selectorIN6thrust23THRUST_200600_302600_NS5tupleIblNS6_9null_typeES8_S8_S8_S8_S8_S8_S8_EEEEZNS1_11reduce_implILb1ES3_NS6_12zip_iteratorINS7_INS6_11hip_rocprim26transform_input_iterator_tIbPlNS6_6detail10functional5actorINSH_9compositeIJNSH_27transparent_binary_operatorINS6_8equal_toIvEEEENSI_INSH_8argumentILj0EEEEENSH_5valueIlEEEEEEEEENSD_19counting_iterator_tIlEES8_S8_S8_S8_S8_S8_S8_S8_EEEEPS9_S9_NSD_9__find_if7functorIS9_EEEE10hipError_tPvRmT1_T2_T3_mT4_P12ihipStream_tbEUlT_E1_NS1_11comp_targetILNS1_3genE5ELNS1_11target_archE942ELNS1_3gpuE9ELNS1_3repE0EEENS1_30default_config_static_selectorELNS0_4arch9wavefront6targetE1EEEvS17_,comdat
.Lfunc_end1250:
	.size	_ZN7rocprim17ROCPRIM_400000_NS6detail17trampoline_kernelINS0_14default_configENS1_22reduce_config_selectorIN6thrust23THRUST_200600_302600_NS5tupleIblNS6_9null_typeES8_S8_S8_S8_S8_S8_S8_EEEEZNS1_11reduce_implILb1ES3_NS6_12zip_iteratorINS7_INS6_11hip_rocprim26transform_input_iterator_tIbPlNS6_6detail10functional5actorINSH_9compositeIJNSH_27transparent_binary_operatorINS6_8equal_toIvEEEENSI_INSH_8argumentILj0EEEEENSH_5valueIlEEEEEEEEENSD_19counting_iterator_tIlEES8_S8_S8_S8_S8_S8_S8_S8_EEEEPS9_S9_NSD_9__find_if7functorIS9_EEEE10hipError_tPvRmT1_T2_T3_mT4_P12ihipStream_tbEUlT_E1_NS1_11comp_targetILNS1_3genE5ELNS1_11target_archE942ELNS1_3gpuE9ELNS1_3repE0EEENS1_30default_config_static_selectorELNS0_4arch9wavefront6targetE1EEEvS17_, .Lfunc_end1250-_ZN7rocprim17ROCPRIM_400000_NS6detail17trampoline_kernelINS0_14default_configENS1_22reduce_config_selectorIN6thrust23THRUST_200600_302600_NS5tupleIblNS6_9null_typeES8_S8_S8_S8_S8_S8_S8_EEEEZNS1_11reduce_implILb1ES3_NS6_12zip_iteratorINS7_INS6_11hip_rocprim26transform_input_iterator_tIbPlNS6_6detail10functional5actorINSH_9compositeIJNSH_27transparent_binary_operatorINS6_8equal_toIvEEEENSI_INSH_8argumentILj0EEEEENSH_5valueIlEEEEEEEEENSD_19counting_iterator_tIlEES8_S8_S8_S8_S8_S8_S8_S8_EEEEPS9_S9_NSD_9__find_if7functorIS9_EEEE10hipError_tPvRmT1_T2_T3_mT4_P12ihipStream_tbEUlT_E1_NS1_11comp_targetILNS1_3genE5ELNS1_11target_archE942ELNS1_3gpuE9ELNS1_3repE0EEENS1_30default_config_static_selectorELNS0_4arch9wavefront6targetE1EEEvS17_
                                        ; -- End function
	.set _ZN7rocprim17ROCPRIM_400000_NS6detail17trampoline_kernelINS0_14default_configENS1_22reduce_config_selectorIN6thrust23THRUST_200600_302600_NS5tupleIblNS6_9null_typeES8_S8_S8_S8_S8_S8_S8_EEEEZNS1_11reduce_implILb1ES3_NS6_12zip_iteratorINS7_INS6_11hip_rocprim26transform_input_iterator_tIbPlNS6_6detail10functional5actorINSH_9compositeIJNSH_27transparent_binary_operatorINS6_8equal_toIvEEEENSI_INSH_8argumentILj0EEEEENSH_5valueIlEEEEEEEEENSD_19counting_iterator_tIlEES8_S8_S8_S8_S8_S8_S8_S8_EEEEPS9_S9_NSD_9__find_if7functorIS9_EEEE10hipError_tPvRmT1_T2_T3_mT4_P12ihipStream_tbEUlT_E1_NS1_11comp_targetILNS1_3genE5ELNS1_11target_archE942ELNS1_3gpuE9ELNS1_3repE0EEENS1_30default_config_static_selectorELNS0_4arch9wavefront6targetE1EEEvS17_.num_vgpr, 0
	.set _ZN7rocprim17ROCPRIM_400000_NS6detail17trampoline_kernelINS0_14default_configENS1_22reduce_config_selectorIN6thrust23THRUST_200600_302600_NS5tupleIblNS6_9null_typeES8_S8_S8_S8_S8_S8_S8_EEEEZNS1_11reduce_implILb1ES3_NS6_12zip_iteratorINS7_INS6_11hip_rocprim26transform_input_iterator_tIbPlNS6_6detail10functional5actorINSH_9compositeIJNSH_27transparent_binary_operatorINS6_8equal_toIvEEEENSI_INSH_8argumentILj0EEEEENSH_5valueIlEEEEEEEEENSD_19counting_iterator_tIlEES8_S8_S8_S8_S8_S8_S8_S8_EEEEPS9_S9_NSD_9__find_if7functorIS9_EEEE10hipError_tPvRmT1_T2_T3_mT4_P12ihipStream_tbEUlT_E1_NS1_11comp_targetILNS1_3genE5ELNS1_11target_archE942ELNS1_3gpuE9ELNS1_3repE0EEENS1_30default_config_static_selectorELNS0_4arch9wavefront6targetE1EEEvS17_.num_agpr, 0
	.set _ZN7rocprim17ROCPRIM_400000_NS6detail17trampoline_kernelINS0_14default_configENS1_22reduce_config_selectorIN6thrust23THRUST_200600_302600_NS5tupleIblNS6_9null_typeES8_S8_S8_S8_S8_S8_S8_EEEEZNS1_11reduce_implILb1ES3_NS6_12zip_iteratorINS7_INS6_11hip_rocprim26transform_input_iterator_tIbPlNS6_6detail10functional5actorINSH_9compositeIJNSH_27transparent_binary_operatorINS6_8equal_toIvEEEENSI_INSH_8argumentILj0EEEEENSH_5valueIlEEEEEEEEENSD_19counting_iterator_tIlEES8_S8_S8_S8_S8_S8_S8_S8_EEEEPS9_S9_NSD_9__find_if7functorIS9_EEEE10hipError_tPvRmT1_T2_T3_mT4_P12ihipStream_tbEUlT_E1_NS1_11comp_targetILNS1_3genE5ELNS1_11target_archE942ELNS1_3gpuE9ELNS1_3repE0EEENS1_30default_config_static_selectorELNS0_4arch9wavefront6targetE1EEEvS17_.numbered_sgpr, 0
	.set _ZN7rocprim17ROCPRIM_400000_NS6detail17trampoline_kernelINS0_14default_configENS1_22reduce_config_selectorIN6thrust23THRUST_200600_302600_NS5tupleIblNS6_9null_typeES8_S8_S8_S8_S8_S8_S8_EEEEZNS1_11reduce_implILb1ES3_NS6_12zip_iteratorINS7_INS6_11hip_rocprim26transform_input_iterator_tIbPlNS6_6detail10functional5actorINSH_9compositeIJNSH_27transparent_binary_operatorINS6_8equal_toIvEEEENSI_INSH_8argumentILj0EEEEENSH_5valueIlEEEEEEEEENSD_19counting_iterator_tIlEES8_S8_S8_S8_S8_S8_S8_S8_EEEEPS9_S9_NSD_9__find_if7functorIS9_EEEE10hipError_tPvRmT1_T2_T3_mT4_P12ihipStream_tbEUlT_E1_NS1_11comp_targetILNS1_3genE5ELNS1_11target_archE942ELNS1_3gpuE9ELNS1_3repE0EEENS1_30default_config_static_selectorELNS0_4arch9wavefront6targetE1EEEvS17_.num_named_barrier, 0
	.set _ZN7rocprim17ROCPRIM_400000_NS6detail17trampoline_kernelINS0_14default_configENS1_22reduce_config_selectorIN6thrust23THRUST_200600_302600_NS5tupleIblNS6_9null_typeES8_S8_S8_S8_S8_S8_S8_EEEEZNS1_11reduce_implILb1ES3_NS6_12zip_iteratorINS7_INS6_11hip_rocprim26transform_input_iterator_tIbPlNS6_6detail10functional5actorINSH_9compositeIJNSH_27transparent_binary_operatorINS6_8equal_toIvEEEENSI_INSH_8argumentILj0EEEEENSH_5valueIlEEEEEEEEENSD_19counting_iterator_tIlEES8_S8_S8_S8_S8_S8_S8_S8_EEEEPS9_S9_NSD_9__find_if7functorIS9_EEEE10hipError_tPvRmT1_T2_T3_mT4_P12ihipStream_tbEUlT_E1_NS1_11comp_targetILNS1_3genE5ELNS1_11target_archE942ELNS1_3gpuE9ELNS1_3repE0EEENS1_30default_config_static_selectorELNS0_4arch9wavefront6targetE1EEEvS17_.private_seg_size, 0
	.set _ZN7rocprim17ROCPRIM_400000_NS6detail17trampoline_kernelINS0_14default_configENS1_22reduce_config_selectorIN6thrust23THRUST_200600_302600_NS5tupleIblNS6_9null_typeES8_S8_S8_S8_S8_S8_S8_EEEEZNS1_11reduce_implILb1ES3_NS6_12zip_iteratorINS7_INS6_11hip_rocprim26transform_input_iterator_tIbPlNS6_6detail10functional5actorINSH_9compositeIJNSH_27transparent_binary_operatorINS6_8equal_toIvEEEENSI_INSH_8argumentILj0EEEEENSH_5valueIlEEEEEEEEENSD_19counting_iterator_tIlEES8_S8_S8_S8_S8_S8_S8_S8_EEEEPS9_S9_NSD_9__find_if7functorIS9_EEEE10hipError_tPvRmT1_T2_T3_mT4_P12ihipStream_tbEUlT_E1_NS1_11comp_targetILNS1_3genE5ELNS1_11target_archE942ELNS1_3gpuE9ELNS1_3repE0EEENS1_30default_config_static_selectorELNS0_4arch9wavefront6targetE1EEEvS17_.uses_vcc, 0
	.set _ZN7rocprim17ROCPRIM_400000_NS6detail17trampoline_kernelINS0_14default_configENS1_22reduce_config_selectorIN6thrust23THRUST_200600_302600_NS5tupleIblNS6_9null_typeES8_S8_S8_S8_S8_S8_S8_EEEEZNS1_11reduce_implILb1ES3_NS6_12zip_iteratorINS7_INS6_11hip_rocprim26transform_input_iterator_tIbPlNS6_6detail10functional5actorINSH_9compositeIJNSH_27transparent_binary_operatorINS6_8equal_toIvEEEENSI_INSH_8argumentILj0EEEEENSH_5valueIlEEEEEEEEENSD_19counting_iterator_tIlEES8_S8_S8_S8_S8_S8_S8_S8_EEEEPS9_S9_NSD_9__find_if7functorIS9_EEEE10hipError_tPvRmT1_T2_T3_mT4_P12ihipStream_tbEUlT_E1_NS1_11comp_targetILNS1_3genE5ELNS1_11target_archE942ELNS1_3gpuE9ELNS1_3repE0EEENS1_30default_config_static_selectorELNS0_4arch9wavefront6targetE1EEEvS17_.uses_flat_scratch, 0
	.set _ZN7rocprim17ROCPRIM_400000_NS6detail17trampoline_kernelINS0_14default_configENS1_22reduce_config_selectorIN6thrust23THRUST_200600_302600_NS5tupleIblNS6_9null_typeES8_S8_S8_S8_S8_S8_S8_EEEEZNS1_11reduce_implILb1ES3_NS6_12zip_iteratorINS7_INS6_11hip_rocprim26transform_input_iterator_tIbPlNS6_6detail10functional5actorINSH_9compositeIJNSH_27transparent_binary_operatorINS6_8equal_toIvEEEENSI_INSH_8argumentILj0EEEEENSH_5valueIlEEEEEEEEENSD_19counting_iterator_tIlEES8_S8_S8_S8_S8_S8_S8_S8_EEEEPS9_S9_NSD_9__find_if7functorIS9_EEEE10hipError_tPvRmT1_T2_T3_mT4_P12ihipStream_tbEUlT_E1_NS1_11comp_targetILNS1_3genE5ELNS1_11target_archE942ELNS1_3gpuE9ELNS1_3repE0EEENS1_30default_config_static_selectorELNS0_4arch9wavefront6targetE1EEEvS17_.has_dyn_sized_stack, 0
	.set _ZN7rocprim17ROCPRIM_400000_NS6detail17trampoline_kernelINS0_14default_configENS1_22reduce_config_selectorIN6thrust23THRUST_200600_302600_NS5tupleIblNS6_9null_typeES8_S8_S8_S8_S8_S8_S8_EEEEZNS1_11reduce_implILb1ES3_NS6_12zip_iteratorINS7_INS6_11hip_rocprim26transform_input_iterator_tIbPlNS6_6detail10functional5actorINSH_9compositeIJNSH_27transparent_binary_operatorINS6_8equal_toIvEEEENSI_INSH_8argumentILj0EEEEENSH_5valueIlEEEEEEEEENSD_19counting_iterator_tIlEES8_S8_S8_S8_S8_S8_S8_S8_EEEEPS9_S9_NSD_9__find_if7functorIS9_EEEE10hipError_tPvRmT1_T2_T3_mT4_P12ihipStream_tbEUlT_E1_NS1_11comp_targetILNS1_3genE5ELNS1_11target_archE942ELNS1_3gpuE9ELNS1_3repE0EEENS1_30default_config_static_selectorELNS0_4arch9wavefront6targetE1EEEvS17_.has_recursion, 0
	.set _ZN7rocprim17ROCPRIM_400000_NS6detail17trampoline_kernelINS0_14default_configENS1_22reduce_config_selectorIN6thrust23THRUST_200600_302600_NS5tupleIblNS6_9null_typeES8_S8_S8_S8_S8_S8_S8_EEEEZNS1_11reduce_implILb1ES3_NS6_12zip_iteratorINS7_INS6_11hip_rocprim26transform_input_iterator_tIbPlNS6_6detail10functional5actorINSH_9compositeIJNSH_27transparent_binary_operatorINS6_8equal_toIvEEEENSI_INSH_8argumentILj0EEEEENSH_5valueIlEEEEEEEEENSD_19counting_iterator_tIlEES8_S8_S8_S8_S8_S8_S8_S8_EEEEPS9_S9_NSD_9__find_if7functorIS9_EEEE10hipError_tPvRmT1_T2_T3_mT4_P12ihipStream_tbEUlT_E1_NS1_11comp_targetILNS1_3genE5ELNS1_11target_archE942ELNS1_3gpuE9ELNS1_3repE0EEENS1_30default_config_static_selectorELNS0_4arch9wavefront6targetE1EEEvS17_.has_indirect_call, 0
	.section	.AMDGPU.csdata,"",@progbits
; Kernel info:
; codeLenInByte = 0
; TotalNumSgprs: 4
; NumVgprs: 0
; ScratchSize: 0
; MemoryBound: 0
; FloatMode: 240
; IeeeMode: 1
; LDSByteSize: 0 bytes/workgroup (compile time only)
; SGPRBlocks: 0
; VGPRBlocks: 0
; NumSGPRsForWavesPerEU: 4
; NumVGPRsForWavesPerEU: 1
; Occupancy: 10
; WaveLimiterHint : 0
; COMPUTE_PGM_RSRC2:SCRATCH_EN: 0
; COMPUTE_PGM_RSRC2:USER_SGPR: 6
; COMPUTE_PGM_RSRC2:TRAP_HANDLER: 0
; COMPUTE_PGM_RSRC2:TGID_X_EN: 1
; COMPUTE_PGM_RSRC2:TGID_Y_EN: 0
; COMPUTE_PGM_RSRC2:TGID_Z_EN: 0
; COMPUTE_PGM_RSRC2:TIDIG_COMP_CNT: 0
	.section	.text._ZN7rocprim17ROCPRIM_400000_NS6detail17trampoline_kernelINS0_14default_configENS1_22reduce_config_selectorIN6thrust23THRUST_200600_302600_NS5tupleIblNS6_9null_typeES8_S8_S8_S8_S8_S8_S8_EEEEZNS1_11reduce_implILb1ES3_NS6_12zip_iteratorINS7_INS6_11hip_rocprim26transform_input_iterator_tIbPlNS6_6detail10functional5actorINSH_9compositeIJNSH_27transparent_binary_operatorINS6_8equal_toIvEEEENSI_INSH_8argumentILj0EEEEENSH_5valueIlEEEEEEEEENSD_19counting_iterator_tIlEES8_S8_S8_S8_S8_S8_S8_S8_EEEEPS9_S9_NSD_9__find_if7functorIS9_EEEE10hipError_tPvRmT1_T2_T3_mT4_P12ihipStream_tbEUlT_E1_NS1_11comp_targetILNS1_3genE4ELNS1_11target_archE910ELNS1_3gpuE8ELNS1_3repE0EEENS1_30default_config_static_selectorELNS0_4arch9wavefront6targetE1EEEvS17_,"axG",@progbits,_ZN7rocprim17ROCPRIM_400000_NS6detail17trampoline_kernelINS0_14default_configENS1_22reduce_config_selectorIN6thrust23THRUST_200600_302600_NS5tupleIblNS6_9null_typeES8_S8_S8_S8_S8_S8_S8_EEEEZNS1_11reduce_implILb1ES3_NS6_12zip_iteratorINS7_INS6_11hip_rocprim26transform_input_iterator_tIbPlNS6_6detail10functional5actorINSH_9compositeIJNSH_27transparent_binary_operatorINS6_8equal_toIvEEEENSI_INSH_8argumentILj0EEEEENSH_5valueIlEEEEEEEEENSD_19counting_iterator_tIlEES8_S8_S8_S8_S8_S8_S8_S8_EEEEPS9_S9_NSD_9__find_if7functorIS9_EEEE10hipError_tPvRmT1_T2_T3_mT4_P12ihipStream_tbEUlT_E1_NS1_11comp_targetILNS1_3genE4ELNS1_11target_archE910ELNS1_3gpuE8ELNS1_3repE0EEENS1_30default_config_static_selectorELNS0_4arch9wavefront6targetE1EEEvS17_,comdat
	.protected	_ZN7rocprim17ROCPRIM_400000_NS6detail17trampoline_kernelINS0_14default_configENS1_22reduce_config_selectorIN6thrust23THRUST_200600_302600_NS5tupleIblNS6_9null_typeES8_S8_S8_S8_S8_S8_S8_EEEEZNS1_11reduce_implILb1ES3_NS6_12zip_iteratorINS7_INS6_11hip_rocprim26transform_input_iterator_tIbPlNS6_6detail10functional5actorINSH_9compositeIJNSH_27transparent_binary_operatorINS6_8equal_toIvEEEENSI_INSH_8argumentILj0EEEEENSH_5valueIlEEEEEEEEENSD_19counting_iterator_tIlEES8_S8_S8_S8_S8_S8_S8_S8_EEEEPS9_S9_NSD_9__find_if7functorIS9_EEEE10hipError_tPvRmT1_T2_T3_mT4_P12ihipStream_tbEUlT_E1_NS1_11comp_targetILNS1_3genE4ELNS1_11target_archE910ELNS1_3gpuE8ELNS1_3repE0EEENS1_30default_config_static_selectorELNS0_4arch9wavefront6targetE1EEEvS17_ ; -- Begin function _ZN7rocprim17ROCPRIM_400000_NS6detail17trampoline_kernelINS0_14default_configENS1_22reduce_config_selectorIN6thrust23THRUST_200600_302600_NS5tupleIblNS6_9null_typeES8_S8_S8_S8_S8_S8_S8_EEEEZNS1_11reduce_implILb1ES3_NS6_12zip_iteratorINS7_INS6_11hip_rocprim26transform_input_iterator_tIbPlNS6_6detail10functional5actorINSH_9compositeIJNSH_27transparent_binary_operatorINS6_8equal_toIvEEEENSI_INSH_8argumentILj0EEEEENSH_5valueIlEEEEEEEEENSD_19counting_iterator_tIlEES8_S8_S8_S8_S8_S8_S8_S8_EEEEPS9_S9_NSD_9__find_if7functorIS9_EEEE10hipError_tPvRmT1_T2_T3_mT4_P12ihipStream_tbEUlT_E1_NS1_11comp_targetILNS1_3genE4ELNS1_11target_archE910ELNS1_3gpuE8ELNS1_3repE0EEENS1_30default_config_static_selectorELNS0_4arch9wavefront6targetE1EEEvS17_
	.globl	_ZN7rocprim17ROCPRIM_400000_NS6detail17trampoline_kernelINS0_14default_configENS1_22reduce_config_selectorIN6thrust23THRUST_200600_302600_NS5tupleIblNS6_9null_typeES8_S8_S8_S8_S8_S8_S8_EEEEZNS1_11reduce_implILb1ES3_NS6_12zip_iteratorINS7_INS6_11hip_rocprim26transform_input_iterator_tIbPlNS6_6detail10functional5actorINSH_9compositeIJNSH_27transparent_binary_operatorINS6_8equal_toIvEEEENSI_INSH_8argumentILj0EEEEENSH_5valueIlEEEEEEEEENSD_19counting_iterator_tIlEES8_S8_S8_S8_S8_S8_S8_S8_EEEEPS9_S9_NSD_9__find_if7functorIS9_EEEE10hipError_tPvRmT1_T2_T3_mT4_P12ihipStream_tbEUlT_E1_NS1_11comp_targetILNS1_3genE4ELNS1_11target_archE910ELNS1_3gpuE8ELNS1_3repE0EEENS1_30default_config_static_selectorELNS0_4arch9wavefront6targetE1EEEvS17_
	.p2align	8
	.type	_ZN7rocprim17ROCPRIM_400000_NS6detail17trampoline_kernelINS0_14default_configENS1_22reduce_config_selectorIN6thrust23THRUST_200600_302600_NS5tupleIblNS6_9null_typeES8_S8_S8_S8_S8_S8_S8_EEEEZNS1_11reduce_implILb1ES3_NS6_12zip_iteratorINS7_INS6_11hip_rocprim26transform_input_iterator_tIbPlNS6_6detail10functional5actorINSH_9compositeIJNSH_27transparent_binary_operatorINS6_8equal_toIvEEEENSI_INSH_8argumentILj0EEEEENSH_5valueIlEEEEEEEEENSD_19counting_iterator_tIlEES8_S8_S8_S8_S8_S8_S8_S8_EEEEPS9_S9_NSD_9__find_if7functorIS9_EEEE10hipError_tPvRmT1_T2_T3_mT4_P12ihipStream_tbEUlT_E1_NS1_11comp_targetILNS1_3genE4ELNS1_11target_archE910ELNS1_3gpuE8ELNS1_3repE0EEENS1_30default_config_static_selectorELNS0_4arch9wavefront6targetE1EEEvS17_,@function
_ZN7rocprim17ROCPRIM_400000_NS6detail17trampoline_kernelINS0_14default_configENS1_22reduce_config_selectorIN6thrust23THRUST_200600_302600_NS5tupleIblNS6_9null_typeES8_S8_S8_S8_S8_S8_S8_EEEEZNS1_11reduce_implILb1ES3_NS6_12zip_iteratorINS7_INS6_11hip_rocprim26transform_input_iterator_tIbPlNS6_6detail10functional5actorINSH_9compositeIJNSH_27transparent_binary_operatorINS6_8equal_toIvEEEENSI_INSH_8argumentILj0EEEEENSH_5valueIlEEEEEEEEENSD_19counting_iterator_tIlEES8_S8_S8_S8_S8_S8_S8_S8_EEEEPS9_S9_NSD_9__find_if7functorIS9_EEEE10hipError_tPvRmT1_T2_T3_mT4_P12ihipStream_tbEUlT_E1_NS1_11comp_targetILNS1_3genE4ELNS1_11target_archE910ELNS1_3gpuE8ELNS1_3repE0EEENS1_30default_config_static_selectorELNS0_4arch9wavefront6targetE1EEEvS17_: ; @_ZN7rocprim17ROCPRIM_400000_NS6detail17trampoline_kernelINS0_14default_configENS1_22reduce_config_selectorIN6thrust23THRUST_200600_302600_NS5tupleIblNS6_9null_typeES8_S8_S8_S8_S8_S8_S8_EEEEZNS1_11reduce_implILb1ES3_NS6_12zip_iteratorINS7_INS6_11hip_rocprim26transform_input_iterator_tIbPlNS6_6detail10functional5actorINSH_9compositeIJNSH_27transparent_binary_operatorINS6_8equal_toIvEEEENSI_INSH_8argumentILj0EEEEENSH_5valueIlEEEEEEEEENSD_19counting_iterator_tIlEES8_S8_S8_S8_S8_S8_S8_S8_EEEEPS9_S9_NSD_9__find_if7functorIS9_EEEE10hipError_tPvRmT1_T2_T3_mT4_P12ihipStream_tbEUlT_E1_NS1_11comp_targetILNS1_3genE4ELNS1_11target_archE910ELNS1_3gpuE8ELNS1_3repE0EEENS1_30default_config_static_selectorELNS0_4arch9wavefront6targetE1EEEvS17_
; %bb.0:
	.section	.rodata,"a",@progbits
	.p2align	6, 0x0
	.amdhsa_kernel _ZN7rocprim17ROCPRIM_400000_NS6detail17trampoline_kernelINS0_14default_configENS1_22reduce_config_selectorIN6thrust23THRUST_200600_302600_NS5tupleIblNS6_9null_typeES8_S8_S8_S8_S8_S8_S8_EEEEZNS1_11reduce_implILb1ES3_NS6_12zip_iteratorINS7_INS6_11hip_rocprim26transform_input_iterator_tIbPlNS6_6detail10functional5actorINSH_9compositeIJNSH_27transparent_binary_operatorINS6_8equal_toIvEEEENSI_INSH_8argumentILj0EEEEENSH_5valueIlEEEEEEEEENSD_19counting_iterator_tIlEES8_S8_S8_S8_S8_S8_S8_S8_EEEEPS9_S9_NSD_9__find_if7functorIS9_EEEE10hipError_tPvRmT1_T2_T3_mT4_P12ihipStream_tbEUlT_E1_NS1_11comp_targetILNS1_3genE4ELNS1_11target_archE910ELNS1_3gpuE8ELNS1_3repE0EEENS1_30default_config_static_selectorELNS0_4arch9wavefront6targetE1EEEvS17_
		.amdhsa_group_segment_fixed_size 0
		.amdhsa_private_segment_fixed_size 0
		.amdhsa_kernarg_size 80
		.amdhsa_user_sgpr_count 6
		.amdhsa_user_sgpr_private_segment_buffer 1
		.amdhsa_user_sgpr_dispatch_ptr 0
		.amdhsa_user_sgpr_queue_ptr 0
		.amdhsa_user_sgpr_kernarg_segment_ptr 1
		.amdhsa_user_sgpr_dispatch_id 0
		.amdhsa_user_sgpr_flat_scratch_init 0
		.amdhsa_user_sgpr_private_segment_size 0
		.amdhsa_uses_dynamic_stack 0
		.amdhsa_system_sgpr_private_segment_wavefront_offset 0
		.amdhsa_system_sgpr_workgroup_id_x 1
		.amdhsa_system_sgpr_workgroup_id_y 0
		.amdhsa_system_sgpr_workgroup_id_z 0
		.amdhsa_system_sgpr_workgroup_info 0
		.amdhsa_system_vgpr_workitem_id 0
		.amdhsa_next_free_vgpr 1
		.amdhsa_next_free_sgpr 0
		.amdhsa_reserve_vcc 0
		.amdhsa_reserve_flat_scratch 0
		.amdhsa_float_round_mode_32 0
		.amdhsa_float_round_mode_16_64 0
		.amdhsa_float_denorm_mode_32 3
		.amdhsa_float_denorm_mode_16_64 3
		.amdhsa_dx10_clamp 1
		.amdhsa_ieee_mode 1
		.amdhsa_fp16_overflow 0
		.amdhsa_exception_fp_ieee_invalid_op 0
		.amdhsa_exception_fp_denorm_src 0
		.amdhsa_exception_fp_ieee_div_zero 0
		.amdhsa_exception_fp_ieee_overflow 0
		.amdhsa_exception_fp_ieee_underflow 0
		.amdhsa_exception_fp_ieee_inexact 0
		.amdhsa_exception_int_div_zero 0
	.end_amdhsa_kernel
	.section	.text._ZN7rocprim17ROCPRIM_400000_NS6detail17trampoline_kernelINS0_14default_configENS1_22reduce_config_selectorIN6thrust23THRUST_200600_302600_NS5tupleIblNS6_9null_typeES8_S8_S8_S8_S8_S8_S8_EEEEZNS1_11reduce_implILb1ES3_NS6_12zip_iteratorINS7_INS6_11hip_rocprim26transform_input_iterator_tIbPlNS6_6detail10functional5actorINSH_9compositeIJNSH_27transparent_binary_operatorINS6_8equal_toIvEEEENSI_INSH_8argumentILj0EEEEENSH_5valueIlEEEEEEEEENSD_19counting_iterator_tIlEES8_S8_S8_S8_S8_S8_S8_S8_EEEEPS9_S9_NSD_9__find_if7functorIS9_EEEE10hipError_tPvRmT1_T2_T3_mT4_P12ihipStream_tbEUlT_E1_NS1_11comp_targetILNS1_3genE4ELNS1_11target_archE910ELNS1_3gpuE8ELNS1_3repE0EEENS1_30default_config_static_selectorELNS0_4arch9wavefront6targetE1EEEvS17_,"axG",@progbits,_ZN7rocprim17ROCPRIM_400000_NS6detail17trampoline_kernelINS0_14default_configENS1_22reduce_config_selectorIN6thrust23THRUST_200600_302600_NS5tupleIblNS6_9null_typeES8_S8_S8_S8_S8_S8_S8_EEEEZNS1_11reduce_implILb1ES3_NS6_12zip_iteratorINS7_INS6_11hip_rocprim26transform_input_iterator_tIbPlNS6_6detail10functional5actorINSH_9compositeIJNSH_27transparent_binary_operatorINS6_8equal_toIvEEEENSI_INSH_8argumentILj0EEEEENSH_5valueIlEEEEEEEEENSD_19counting_iterator_tIlEES8_S8_S8_S8_S8_S8_S8_S8_EEEEPS9_S9_NSD_9__find_if7functorIS9_EEEE10hipError_tPvRmT1_T2_T3_mT4_P12ihipStream_tbEUlT_E1_NS1_11comp_targetILNS1_3genE4ELNS1_11target_archE910ELNS1_3gpuE8ELNS1_3repE0EEENS1_30default_config_static_selectorELNS0_4arch9wavefront6targetE1EEEvS17_,comdat
.Lfunc_end1251:
	.size	_ZN7rocprim17ROCPRIM_400000_NS6detail17trampoline_kernelINS0_14default_configENS1_22reduce_config_selectorIN6thrust23THRUST_200600_302600_NS5tupleIblNS6_9null_typeES8_S8_S8_S8_S8_S8_S8_EEEEZNS1_11reduce_implILb1ES3_NS6_12zip_iteratorINS7_INS6_11hip_rocprim26transform_input_iterator_tIbPlNS6_6detail10functional5actorINSH_9compositeIJNSH_27transparent_binary_operatorINS6_8equal_toIvEEEENSI_INSH_8argumentILj0EEEEENSH_5valueIlEEEEEEEEENSD_19counting_iterator_tIlEES8_S8_S8_S8_S8_S8_S8_S8_EEEEPS9_S9_NSD_9__find_if7functorIS9_EEEE10hipError_tPvRmT1_T2_T3_mT4_P12ihipStream_tbEUlT_E1_NS1_11comp_targetILNS1_3genE4ELNS1_11target_archE910ELNS1_3gpuE8ELNS1_3repE0EEENS1_30default_config_static_selectorELNS0_4arch9wavefront6targetE1EEEvS17_, .Lfunc_end1251-_ZN7rocprim17ROCPRIM_400000_NS6detail17trampoline_kernelINS0_14default_configENS1_22reduce_config_selectorIN6thrust23THRUST_200600_302600_NS5tupleIblNS6_9null_typeES8_S8_S8_S8_S8_S8_S8_EEEEZNS1_11reduce_implILb1ES3_NS6_12zip_iteratorINS7_INS6_11hip_rocprim26transform_input_iterator_tIbPlNS6_6detail10functional5actorINSH_9compositeIJNSH_27transparent_binary_operatorINS6_8equal_toIvEEEENSI_INSH_8argumentILj0EEEEENSH_5valueIlEEEEEEEEENSD_19counting_iterator_tIlEES8_S8_S8_S8_S8_S8_S8_S8_EEEEPS9_S9_NSD_9__find_if7functorIS9_EEEE10hipError_tPvRmT1_T2_T3_mT4_P12ihipStream_tbEUlT_E1_NS1_11comp_targetILNS1_3genE4ELNS1_11target_archE910ELNS1_3gpuE8ELNS1_3repE0EEENS1_30default_config_static_selectorELNS0_4arch9wavefront6targetE1EEEvS17_
                                        ; -- End function
	.set _ZN7rocprim17ROCPRIM_400000_NS6detail17trampoline_kernelINS0_14default_configENS1_22reduce_config_selectorIN6thrust23THRUST_200600_302600_NS5tupleIblNS6_9null_typeES8_S8_S8_S8_S8_S8_S8_EEEEZNS1_11reduce_implILb1ES3_NS6_12zip_iteratorINS7_INS6_11hip_rocprim26transform_input_iterator_tIbPlNS6_6detail10functional5actorINSH_9compositeIJNSH_27transparent_binary_operatorINS6_8equal_toIvEEEENSI_INSH_8argumentILj0EEEEENSH_5valueIlEEEEEEEEENSD_19counting_iterator_tIlEES8_S8_S8_S8_S8_S8_S8_S8_EEEEPS9_S9_NSD_9__find_if7functorIS9_EEEE10hipError_tPvRmT1_T2_T3_mT4_P12ihipStream_tbEUlT_E1_NS1_11comp_targetILNS1_3genE4ELNS1_11target_archE910ELNS1_3gpuE8ELNS1_3repE0EEENS1_30default_config_static_selectorELNS0_4arch9wavefront6targetE1EEEvS17_.num_vgpr, 0
	.set _ZN7rocprim17ROCPRIM_400000_NS6detail17trampoline_kernelINS0_14default_configENS1_22reduce_config_selectorIN6thrust23THRUST_200600_302600_NS5tupleIblNS6_9null_typeES8_S8_S8_S8_S8_S8_S8_EEEEZNS1_11reduce_implILb1ES3_NS6_12zip_iteratorINS7_INS6_11hip_rocprim26transform_input_iterator_tIbPlNS6_6detail10functional5actorINSH_9compositeIJNSH_27transparent_binary_operatorINS6_8equal_toIvEEEENSI_INSH_8argumentILj0EEEEENSH_5valueIlEEEEEEEEENSD_19counting_iterator_tIlEES8_S8_S8_S8_S8_S8_S8_S8_EEEEPS9_S9_NSD_9__find_if7functorIS9_EEEE10hipError_tPvRmT1_T2_T3_mT4_P12ihipStream_tbEUlT_E1_NS1_11comp_targetILNS1_3genE4ELNS1_11target_archE910ELNS1_3gpuE8ELNS1_3repE0EEENS1_30default_config_static_selectorELNS0_4arch9wavefront6targetE1EEEvS17_.num_agpr, 0
	.set _ZN7rocprim17ROCPRIM_400000_NS6detail17trampoline_kernelINS0_14default_configENS1_22reduce_config_selectorIN6thrust23THRUST_200600_302600_NS5tupleIblNS6_9null_typeES8_S8_S8_S8_S8_S8_S8_EEEEZNS1_11reduce_implILb1ES3_NS6_12zip_iteratorINS7_INS6_11hip_rocprim26transform_input_iterator_tIbPlNS6_6detail10functional5actorINSH_9compositeIJNSH_27transparent_binary_operatorINS6_8equal_toIvEEEENSI_INSH_8argumentILj0EEEEENSH_5valueIlEEEEEEEEENSD_19counting_iterator_tIlEES8_S8_S8_S8_S8_S8_S8_S8_EEEEPS9_S9_NSD_9__find_if7functorIS9_EEEE10hipError_tPvRmT1_T2_T3_mT4_P12ihipStream_tbEUlT_E1_NS1_11comp_targetILNS1_3genE4ELNS1_11target_archE910ELNS1_3gpuE8ELNS1_3repE0EEENS1_30default_config_static_selectorELNS0_4arch9wavefront6targetE1EEEvS17_.numbered_sgpr, 0
	.set _ZN7rocprim17ROCPRIM_400000_NS6detail17trampoline_kernelINS0_14default_configENS1_22reduce_config_selectorIN6thrust23THRUST_200600_302600_NS5tupleIblNS6_9null_typeES8_S8_S8_S8_S8_S8_S8_EEEEZNS1_11reduce_implILb1ES3_NS6_12zip_iteratorINS7_INS6_11hip_rocprim26transform_input_iterator_tIbPlNS6_6detail10functional5actorINSH_9compositeIJNSH_27transparent_binary_operatorINS6_8equal_toIvEEEENSI_INSH_8argumentILj0EEEEENSH_5valueIlEEEEEEEEENSD_19counting_iterator_tIlEES8_S8_S8_S8_S8_S8_S8_S8_EEEEPS9_S9_NSD_9__find_if7functorIS9_EEEE10hipError_tPvRmT1_T2_T3_mT4_P12ihipStream_tbEUlT_E1_NS1_11comp_targetILNS1_3genE4ELNS1_11target_archE910ELNS1_3gpuE8ELNS1_3repE0EEENS1_30default_config_static_selectorELNS0_4arch9wavefront6targetE1EEEvS17_.num_named_barrier, 0
	.set _ZN7rocprim17ROCPRIM_400000_NS6detail17trampoline_kernelINS0_14default_configENS1_22reduce_config_selectorIN6thrust23THRUST_200600_302600_NS5tupleIblNS6_9null_typeES8_S8_S8_S8_S8_S8_S8_EEEEZNS1_11reduce_implILb1ES3_NS6_12zip_iteratorINS7_INS6_11hip_rocprim26transform_input_iterator_tIbPlNS6_6detail10functional5actorINSH_9compositeIJNSH_27transparent_binary_operatorINS6_8equal_toIvEEEENSI_INSH_8argumentILj0EEEEENSH_5valueIlEEEEEEEEENSD_19counting_iterator_tIlEES8_S8_S8_S8_S8_S8_S8_S8_EEEEPS9_S9_NSD_9__find_if7functorIS9_EEEE10hipError_tPvRmT1_T2_T3_mT4_P12ihipStream_tbEUlT_E1_NS1_11comp_targetILNS1_3genE4ELNS1_11target_archE910ELNS1_3gpuE8ELNS1_3repE0EEENS1_30default_config_static_selectorELNS0_4arch9wavefront6targetE1EEEvS17_.private_seg_size, 0
	.set _ZN7rocprim17ROCPRIM_400000_NS6detail17trampoline_kernelINS0_14default_configENS1_22reduce_config_selectorIN6thrust23THRUST_200600_302600_NS5tupleIblNS6_9null_typeES8_S8_S8_S8_S8_S8_S8_EEEEZNS1_11reduce_implILb1ES3_NS6_12zip_iteratorINS7_INS6_11hip_rocprim26transform_input_iterator_tIbPlNS6_6detail10functional5actorINSH_9compositeIJNSH_27transparent_binary_operatorINS6_8equal_toIvEEEENSI_INSH_8argumentILj0EEEEENSH_5valueIlEEEEEEEEENSD_19counting_iterator_tIlEES8_S8_S8_S8_S8_S8_S8_S8_EEEEPS9_S9_NSD_9__find_if7functorIS9_EEEE10hipError_tPvRmT1_T2_T3_mT4_P12ihipStream_tbEUlT_E1_NS1_11comp_targetILNS1_3genE4ELNS1_11target_archE910ELNS1_3gpuE8ELNS1_3repE0EEENS1_30default_config_static_selectorELNS0_4arch9wavefront6targetE1EEEvS17_.uses_vcc, 0
	.set _ZN7rocprim17ROCPRIM_400000_NS6detail17trampoline_kernelINS0_14default_configENS1_22reduce_config_selectorIN6thrust23THRUST_200600_302600_NS5tupleIblNS6_9null_typeES8_S8_S8_S8_S8_S8_S8_EEEEZNS1_11reduce_implILb1ES3_NS6_12zip_iteratorINS7_INS6_11hip_rocprim26transform_input_iterator_tIbPlNS6_6detail10functional5actorINSH_9compositeIJNSH_27transparent_binary_operatorINS6_8equal_toIvEEEENSI_INSH_8argumentILj0EEEEENSH_5valueIlEEEEEEEEENSD_19counting_iterator_tIlEES8_S8_S8_S8_S8_S8_S8_S8_EEEEPS9_S9_NSD_9__find_if7functorIS9_EEEE10hipError_tPvRmT1_T2_T3_mT4_P12ihipStream_tbEUlT_E1_NS1_11comp_targetILNS1_3genE4ELNS1_11target_archE910ELNS1_3gpuE8ELNS1_3repE0EEENS1_30default_config_static_selectorELNS0_4arch9wavefront6targetE1EEEvS17_.uses_flat_scratch, 0
	.set _ZN7rocprim17ROCPRIM_400000_NS6detail17trampoline_kernelINS0_14default_configENS1_22reduce_config_selectorIN6thrust23THRUST_200600_302600_NS5tupleIblNS6_9null_typeES8_S8_S8_S8_S8_S8_S8_EEEEZNS1_11reduce_implILb1ES3_NS6_12zip_iteratorINS7_INS6_11hip_rocprim26transform_input_iterator_tIbPlNS6_6detail10functional5actorINSH_9compositeIJNSH_27transparent_binary_operatorINS6_8equal_toIvEEEENSI_INSH_8argumentILj0EEEEENSH_5valueIlEEEEEEEEENSD_19counting_iterator_tIlEES8_S8_S8_S8_S8_S8_S8_S8_EEEEPS9_S9_NSD_9__find_if7functorIS9_EEEE10hipError_tPvRmT1_T2_T3_mT4_P12ihipStream_tbEUlT_E1_NS1_11comp_targetILNS1_3genE4ELNS1_11target_archE910ELNS1_3gpuE8ELNS1_3repE0EEENS1_30default_config_static_selectorELNS0_4arch9wavefront6targetE1EEEvS17_.has_dyn_sized_stack, 0
	.set _ZN7rocprim17ROCPRIM_400000_NS6detail17trampoline_kernelINS0_14default_configENS1_22reduce_config_selectorIN6thrust23THRUST_200600_302600_NS5tupleIblNS6_9null_typeES8_S8_S8_S8_S8_S8_S8_EEEEZNS1_11reduce_implILb1ES3_NS6_12zip_iteratorINS7_INS6_11hip_rocprim26transform_input_iterator_tIbPlNS6_6detail10functional5actorINSH_9compositeIJNSH_27transparent_binary_operatorINS6_8equal_toIvEEEENSI_INSH_8argumentILj0EEEEENSH_5valueIlEEEEEEEEENSD_19counting_iterator_tIlEES8_S8_S8_S8_S8_S8_S8_S8_EEEEPS9_S9_NSD_9__find_if7functorIS9_EEEE10hipError_tPvRmT1_T2_T3_mT4_P12ihipStream_tbEUlT_E1_NS1_11comp_targetILNS1_3genE4ELNS1_11target_archE910ELNS1_3gpuE8ELNS1_3repE0EEENS1_30default_config_static_selectorELNS0_4arch9wavefront6targetE1EEEvS17_.has_recursion, 0
	.set _ZN7rocprim17ROCPRIM_400000_NS6detail17trampoline_kernelINS0_14default_configENS1_22reduce_config_selectorIN6thrust23THRUST_200600_302600_NS5tupleIblNS6_9null_typeES8_S8_S8_S8_S8_S8_S8_EEEEZNS1_11reduce_implILb1ES3_NS6_12zip_iteratorINS7_INS6_11hip_rocprim26transform_input_iterator_tIbPlNS6_6detail10functional5actorINSH_9compositeIJNSH_27transparent_binary_operatorINS6_8equal_toIvEEEENSI_INSH_8argumentILj0EEEEENSH_5valueIlEEEEEEEEENSD_19counting_iterator_tIlEES8_S8_S8_S8_S8_S8_S8_S8_EEEEPS9_S9_NSD_9__find_if7functorIS9_EEEE10hipError_tPvRmT1_T2_T3_mT4_P12ihipStream_tbEUlT_E1_NS1_11comp_targetILNS1_3genE4ELNS1_11target_archE910ELNS1_3gpuE8ELNS1_3repE0EEENS1_30default_config_static_selectorELNS0_4arch9wavefront6targetE1EEEvS17_.has_indirect_call, 0
	.section	.AMDGPU.csdata,"",@progbits
; Kernel info:
; codeLenInByte = 0
; TotalNumSgprs: 4
; NumVgprs: 0
; ScratchSize: 0
; MemoryBound: 0
; FloatMode: 240
; IeeeMode: 1
; LDSByteSize: 0 bytes/workgroup (compile time only)
; SGPRBlocks: 0
; VGPRBlocks: 0
; NumSGPRsForWavesPerEU: 4
; NumVGPRsForWavesPerEU: 1
; Occupancy: 10
; WaveLimiterHint : 0
; COMPUTE_PGM_RSRC2:SCRATCH_EN: 0
; COMPUTE_PGM_RSRC2:USER_SGPR: 6
; COMPUTE_PGM_RSRC2:TRAP_HANDLER: 0
; COMPUTE_PGM_RSRC2:TGID_X_EN: 1
; COMPUTE_PGM_RSRC2:TGID_Y_EN: 0
; COMPUTE_PGM_RSRC2:TGID_Z_EN: 0
; COMPUTE_PGM_RSRC2:TIDIG_COMP_CNT: 0
	.section	.text._ZN7rocprim17ROCPRIM_400000_NS6detail17trampoline_kernelINS0_14default_configENS1_22reduce_config_selectorIN6thrust23THRUST_200600_302600_NS5tupleIblNS6_9null_typeES8_S8_S8_S8_S8_S8_S8_EEEEZNS1_11reduce_implILb1ES3_NS6_12zip_iteratorINS7_INS6_11hip_rocprim26transform_input_iterator_tIbPlNS6_6detail10functional5actorINSH_9compositeIJNSH_27transparent_binary_operatorINS6_8equal_toIvEEEENSI_INSH_8argumentILj0EEEEENSH_5valueIlEEEEEEEEENSD_19counting_iterator_tIlEES8_S8_S8_S8_S8_S8_S8_S8_EEEEPS9_S9_NSD_9__find_if7functorIS9_EEEE10hipError_tPvRmT1_T2_T3_mT4_P12ihipStream_tbEUlT_E1_NS1_11comp_targetILNS1_3genE3ELNS1_11target_archE908ELNS1_3gpuE7ELNS1_3repE0EEENS1_30default_config_static_selectorELNS0_4arch9wavefront6targetE1EEEvS17_,"axG",@progbits,_ZN7rocprim17ROCPRIM_400000_NS6detail17trampoline_kernelINS0_14default_configENS1_22reduce_config_selectorIN6thrust23THRUST_200600_302600_NS5tupleIblNS6_9null_typeES8_S8_S8_S8_S8_S8_S8_EEEEZNS1_11reduce_implILb1ES3_NS6_12zip_iteratorINS7_INS6_11hip_rocprim26transform_input_iterator_tIbPlNS6_6detail10functional5actorINSH_9compositeIJNSH_27transparent_binary_operatorINS6_8equal_toIvEEEENSI_INSH_8argumentILj0EEEEENSH_5valueIlEEEEEEEEENSD_19counting_iterator_tIlEES8_S8_S8_S8_S8_S8_S8_S8_EEEEPS9_S9_NSD_9__find_if7functorIS9_EEEE10hipError_tPvRmT1_T2_T3_mT4_P12ihipStream_tbEUlT_E1_NS1_11comp_targetILNS1_3genE3ELNS1_11target_archE908ELNS1_3gpuE7ELNS1_3repE0EEENS1_30default_config_static_selectorELNS0_4arch9wavefront6targetE1EEEvS17_,comdat
	.protected	_ZN7rocprim17ROCPRIM_400000_NS6detail17trampoline_kernelINS0_14default_configENS1_22reduce_config_selectorIN6thrust23THRUST_200600_302600_NS5tupleIblNS6_9null_typeES8_S8_S8_S8_S8_S8_S8_EEEEZNS1_11reduce_implILb1ES3_NS6_12zip_iteratorINS7_INS6_11hip_rocprim26transform_input_iterator_tIbPlNS6_6detail10functional5actorINSH_9compositeIJNSH_27transparent_binary_operatorINS6_8equal_toIvEEEENSI_INSH_8argumentILj0EEEEENSH_5valueIlEEEEEEEEENSD_19counting_iterator_tIlEES8_S8_S8_S8_S8_S8_S8_S8_EEEEPS9_S9_NSD_9__find_if7functorIS9_EEEE10hipError_tPvRmT1_T2_T3_mT4_P12ihipStream_tbEUlT_E1_NS1_11comp_targetILNS1_3genE3ELNS1_11target_archE908ELNS1_3gpuE7ELNS1_3repE0EEENS1_30default_config_static_selectorELNS0_4arch9wavefront6targetE1EEEvS17_ ; -- Begin function _ZN7rocprim17ROCPRIM_400000_NS6detail17trampoline_kernelINS0_14default_configENS1_22reduce_config_selectorIN6thrust23THRUST_200600_302600_NS5tupleIblNS6_9null_typeES8_S8_S8_S8_S8_S8_S8_EEEEZNS1_11reduce_implILb1ES3_NS6_12zip_iteratorINS7_INS6_11hip_rocprim26transform_input_iterator_tIbPlNS6_6detail10functional5actorINSH_9compositeIJNSH_27transparent_binary_operatorINS6_8equal_toIvEEEENSI_INSH_8argumentILj0EEEEENSH_5valueIlEEEEEEEEENSD_19counting_iterator_tIlEES8_S8_S8_S8_S8_S8_S8_S8_EEEEPS9_S9_NSD_9__find_if7functorIS9_EEEE10hipError_tPvRmT1_T2_T3_mT4_P12ihipStream_tbEUlT_E1_NS1_11comp_targetILNS1_3genE3ELNS1_11target_archE908ELNS1_3gpuE7ELNS1_3repE0EEENS1_30default_config_static_selectorELNS0_4arch9wavefront6targetE1EEEvS17_
	.globl	_ZN7rocprim17ROCPRIM_400000_NS6detail17trampoline_kernelINS0_14default_configENS1_22reduce_config_selectorIN6thrust23THRUST_200600_302600_NS5tupleIblNS6_9null_typeES8_S8_S8_S8_S8_S8_S8_EEEEZNS1_11reduce_implILb1ES3_NS6_12zip_iteratorINS7_INS6_11hip_rocprim26transform_input_iterator_tIbPlNS6_6detail10functional5actorINSH_9compositeIJNSH_27transparent_binary_operatorINS6_8equal_toIvEEEENSI_INSH_8argumentILj0EEEEENSH_5valueIlEEEEEEEEENSD_19counting_iterator_tIlEES8_S8_S8_S8_S8_S8_S8_S8_EEEEPS9_S9_NSD_9__find_if7functorIS9_EEEE10hipError_tPvRmT1_T2_T3_mT4_P12ihipStream_tbEUlT_E1_NS1_11comp_targetILNS1_3genE3ELNS1_11target_archE908ELNS1_3gpuE7ELNS1_3repE0EEENS1_30default_config_static_selectorELNS0_4arch9wavefront6targetE1EEEvS17_
	.p2align	8
	.type	_ZN7rocprim17ROCPRIM_400000_NS6detail17trampoline_kernelINS0_14default_configENS1_22reduce_config_selectorIN6thrust23THRUST_200600_302600_NS5tupleIblNS6_9null_typeES8_S8_S8_S8_S8_S8_S8_EEEEZNS1_11reduce_implILb1ES3_NS6_12zip_iteratorINS7_INS6_11hip_rocprim26transform_input_iterator_tIbPlNS6_6detail10functional5actorINSH_9compositeIJNSH_27transparent_binary_operatorINS6_8equal_toIvEEEENSI_INSH_8argumentILj0EEEEENSH_5valueIlEEEEEEEEENSD_19counting_iterator_tIlEES8_S8_S8_S8_S8_S8_S8_S8_EEEEPS9_S9_NSD_9__find_if7functorIS9_EEEE10hipError_tPvRmT1_T2_T3_mT4_P12ihipStream_tbEUlT_E1_NS1_11comp_targetILNS1_3genE3ELNS1_11target_archE908ELNS1_3gpuE7ELNS1_3repE0EEENS1_30default_config_static_selectorELNS0_4arch9wavefront6targetE1EEEvS17_,@function
_ZN7rocprim17ROCPRIM_400000_NS6detail17trampoline_kernelINS0_14default_configENS1_22reduce_config_selectorIN6thrust23THRUST_200600_302600_NS5tupleIblNS6_9null_typeES8_S8_S8_S8_S8_S8_S8_EEEEZNS1_11reduce_implILb1ES3_NS6_12zip_iteratorINS7_INS6_11hip_rocprim26transform_input_iterator_tIbPlNS6_6detail10functional5actorINSH_9compositeIJNSH_27transparent_binary_operatorINS6_8equal_toIvEEEENSI_INSH_8argumentILj0EEEEENSH_5valueIlEEEEEEEEENSD_19counting_iterator_tIlEES8_S8_S8_S8_S8_S8_S8_S8_EEEEPS9_S9_NSD_9__find_if7functorIS9_EEEE10hipError_tPvRmT1_T2_T3_mT4_P12ihipStream_tbEUlT_E1_NS1_11comp_targetILNS1_3genE3ELNS1_11target_archE908ELNS1_3gpuE7ELNS1_3repE0EEENS1_30default_config_static_selectorELNS0_4arch9wavefront6targetE1EEEvS17_: ; @_ZN7rocprim17ROCPRIM_400000_NS6detail17trampoline_kernelINS0_14default_configENS1_22reduce_config_selectorIN6thrust23THRUST_200600_302600_NS5tupleIblNS6_9null_typeES8_S8_S8_S8_S8_S8_S8_EEEEZNS1_11reduce_implILb1ES3_NS6_12zip_iteratorINS7_INS6_11hip_rocprim26transform_input_iterator_tIbPlNS6_6detail10functional5actorINSH_9compositeIJNSH_27transparent_binary_operatorINS6_8equal_toIvEEEENSI_INSH_8argumentILj0EEEEENSH_5valueIlEEEEEEEEENSD_19counting_iterator_tIlEES8_S8_S8_S8_S8_S8_S8_S8_EEEEPS9_S9_NSD_9__find_if7functorIS9_EEEE10hipError_tPvRmT1_T2_T3_mT4_P12ihipStream_tbEUlT_E1_NS1_11comp_targetILNS1_3genE3ELNS1_11target_archE908ELNS1_3gpuE7ELNS1_3repE0EEENS1_30default_config_static_selectorELNS0_4arch9wavefront6targetE1EEEvS17_
; %bb.0:
	.section	.rodata,"a",@progbits
	.p2align	6, 0x0
	.amdhsa_kernel _ZN7rocprim17ROCPRIM_400000_NS6detail17trampoline_kernelINS0_14default_configENS1_22reduce_config_selectorIN6thrust23THRUST_200600_302600_NS5tupleIblNS6_9null_typeES8_S8_S8_S8_S8_S8_S8_EEEEZNS1_11reduce_implILb1ES3_NS6_12zip_iteratorINS7_INS6_11hip_rocprim26transform_input_iterator_tIbPlNS6_6detail10functional5actorINSH_9compositeIJNSH_27transparent_binary_operatorINS6_8equal_toIvEEEENSI_INSH_8argumentILj0EEEEENSH_5valueIlEEEEEEEEENSD_19counting_iterator_tIlEES8_S8_S8_S8_S8_S8_S8_S8_EEEEPS9_S9_NSD_9__find_if7functorIS9_EEEE10hipError_tPvRmT1_T2_T3_mT4_P12ihipStream_tbEUlT_E1_NS1_11comp_targetILNS1_3genE3ELNS1_11target_archE908ELNS1_3gpuE7ELNS1_3repE0EEENS1_30default_config_static_selectorELNS0_4arch9wavefront6targetE1EEEvS17_
		.amdhsa_group_segment_fixed_size 0
		.amdhsa_private_segment_fixed_size 0
		.amdhsa_kernarg_size 80
		.amdhsa_user_sgpr_count 6
		.amdhsa_user_sgpr_private_segment_buffer 1
		.amdhsa_user_sgpr_dispatch_ptr 0
		.amdhsa_user_sgpr_queue_ptr 0
		.amdhsa_user_sgpr_kernarg_segment_ptr 1
		.amdhsa_user_sgpr_dispatch_id 0
		.amdhsa_user_sgpr_flat_scratch_init 0
		.amdhsa_user_sgpr_private_segment_size 0
		.amdhsa_uses_dynamic_stack 0
		.amdhsa_system_sgpr_private_segment_wavefront_offset 0
		.amdhsa_system_sgpr_workgroup_id_x 1
		.amdhsa_system_sgpr_workgroup_id_y 0
		.amdhsa_system_sgpr_workgroup_id_z 0
		.amdhsa_system_sgpr_workgroup_info 0
		.amdhsa_system_vgpr_workitem_id 0
		.amdhsa_next_free_vgpr 1
		.amdhsa_next_free_sgpr 0
		.amdhsa_reserve_vcc 0
		.amdhsa_reserve_flat_scratch 0
		.amdhsa_float_round_mode_32 0
		.amdhsa_float_round_mode_16_64 0
		.amdhsa_float_denorm_mode_32 3
		.amdhsa_float_denorm_mode_16_64 3
		.amdhsa_dx10_clamp 1
		.amdhsa_ieee_mode 1
		.amdhsa_fp16_overflow 0
		.amdhsa_exception_fp_ieee_invalid_op 0
		.amdhsa_exception_fp_denorm_src 0
		.amdhsa_exception_fp_ieee_div_zero 0
		.amdhsa_exception_fp_ieee_overflow 0
		.amdhsa_exception_fp_ieee_underflow 0
		.amdhsa_exception_fp_ieee_inexact 0
		.amdhsa_exception_int_div_zero 0
	.end_amdhsa_kernel
	.section	.text._ZN7rocprim17ROCPRIM_400000_NS6detail17trampoline_kernelINS0_14default_configENS1_22reduce_config_selectorIN6thrust23THRUST_200600_302600_NS5tupleIblNS6_9null_typeES8_S8_S8_S8_S8_S8_S8_EEEEZNS1_11reduce_implILb1ES3_NS6_12zip_iteratorINS7_INS6_11hip_rocprim26transform_input_iterator_tIbPlNS6_6detail10functional5actorINSH_9compositeIJNSH_27transparent_binary_operatorINS6_8equal_toIvEEEENSI_INSH_8argumentILj0EEEEENSH_5valueIlEEEEEEEEENSD_19counting_iterator_tIlEES8_S8_S8_S8_S8_S8_S8_S8_EEEEPS9_S9_NSD_9__find_if7functorIS9_EEEE10hipError_tPvRmT1_T2_T3_mT4_P12ihipStream_tbEUlT_E1_NS1_11comp_targetILNS1_3genE3ELNS1_11target_archE908ELNS1_3gpuE7ELNS1_3repE0EEENS1_30default_config_static_selectorELNS0_4arch9wavefront6targetE1EEEvS17_,"axG",@progbits,_ZN7rocprim17ROCPRIM_400000_NS6detail17trampoline_kernelINS0_14default_configENS1_22reduce_config_selectorIN6thrust23THRUST_200600_302600_NS5tupleIblNS6_9null_typeES8_S8_S8_S8_S8_S8_S8_EEEEZNS1_11reduce_implILb1ES3_NS6_12zip_iteratorINS7_INS6_11hip_rocprim26transform_input_iterator_tIbPlNS6_6detail10functional5actorINSH_9compositeIJNSH_27transparent_binary_operatorINS6_8equal_toIvEEEENSI_INSH_8argumentILj0EEEEENSH_5valueIlEEEEEEEEENSD_19counting_iterator_tIlEES8_S8_S8_S8_S8_S8_S8_S8_EEEEPS9_S9_NSD_9__find_if7functorIS9_EEEE10hipError_tPvRmT1_T2_T3_mT4_P12ihipStream_tbEUlT_E1_NS1_11comp_targetILNS1_3genE3ELNS1_11target_archE908ELNS1_3gpuE7ELNS1_3repE0EEENS1_30default_config_static_selectorELNS0_4arch9wavefront6targetE1EEEvS17_,comdat
.Lfunc_end1252:
	.size	_ZN7rocprim17ROCPRIM_400000_NS6detail17trampoline_kernelINS0_14default_configENS1_22reduce_config_selectorIN6thrust23THRUST_200600_302600_NS5tupleIblNS6_9null_typeES8_S8_S8_S8_S8_S8_S8_EEEEZNS1_11reduce_implILb1ES3_NS6_12zip_iteratorINS7_INS6_11hip_rocprim26transform_input_iterator_tIbPlNS6_6detail10functional5actorINSH_9compositeIJNSH_27transparent_binary_operatorINS6_8equal_toIvEEEENSI_INSH_8argumentILj0EEEEENSH_5valueIlEEEEEEEEENSD_19counting_iterator_tIlEES8_S8_S8_S8_S8_S8_S8_S8_EEEEPS9_S9_NSD_9__find_if7functorIS9_EEEE10hipError_tPvRmT1_T2_T3_mT4_P12ihipStream_tbEUlT_E1_NS1_11comp_targetILNS1_3genE3ELNS1_11target_archE908ELNS1_3gpuE7ELNS1_3repE0EEENS1_30default_config_static_selectorELNS0_4arch9wavefront6targetE1EEEvS17_, .Lfunc_end1252-_ZN7rocprim17ROCPRIM_400000_NS6detail17trampoline_kernelINS0_14default_configENS1_22reduce_config_selectorIN6thrust23THRUST_200600_302600_NS5tupleIblNS6_9null_typeES8_S8_S8_S8_S8_S8_S8_EEEEZNS1_11reduce_implILb1ES3_NS6_12zip_iteratorINS7_INS6_11hip_rocprim26transform_input_iterator_tIbPlNS6_6detail10functional5actorINSH_9compositeIJNSH_27transparent_binary_operatorINS6_8equal_toIvEEEENSI_INSH_8argumentILj0EEEEENSH_5valueIlEEEEEEEEENSD_19counting_iterator_tIlEES8_S8_S8_S8_S8_S8_S8_S8_EEEEPS9_S9_NSD_9__find_if7functorIS9_EEEE10hipError_tPvRmT1_T2_T3_mT4_P12ihipStream_tbEUlT_E1_NS1_11comp_targetILNS1_3genE3ELNS1_11target_archE908ELNS1_3gpuE7ELNS1_3repE0EEENS1_30default_config_static_selectorELNS0_4arch9wavefront6targetE1EEEvS17_
                                        ; -- End function
	.set _ZN7rocprim17ROCPRIM_400000_NS6detail17trampoline_kernelINS0_14default_configENS1_22reduce_config_selectorIN6thrust23THRUST_200600_302600_NS5tupleIblNS6_9null_typeES8_S8_S8_S8_S8_S8_S8_EEEEZNS1_11reduce_implILb1ES3_NS6_12zip_iteratorINS7_INS6_11hip_rocprim26transform_input_iterator_tIbPlNS6_6detail10functional5actorINSH_9compositeIJNSH_27transparent_binary_operatorINS6_8equal_toIvEEEENSI_INSH_8argumentILj0EEEEENSH_5valueIlEEEEEEEEENSD_19counting_iterator_tIlEES8_S8_S8_S8_S8_S8_S8_S8_EEEEPS9_S9_NSD_9__find_if7functorIS9_EEEE10hipError_tPvRmT1_T2_T3_mT4_P12ihipStream_tbEUlT_E1_NS1_11comp_targetILNS1_3genE3ELNS1_11target_archE908ELNS1_3gpuE7ELNS1_3repE0EEENS1_30default_config_static_selectorELNS0_4arch9wavefront6targetE1EEEvS17_.num_vgpr, 0
	.set _ZN7rocprim17ROCPRIM_400000_NS6detail17trampoline_kernelINS0_14default_configENS1_22reduce_config_selectorIN6thrust23THRUST_200600_302600_NS5tupleIblNS6_9null_typeES8_S8_S8_S8_S8_S8_S8_EEEEZNS1_11reduce_implILb1ES3_NS6_12zip_iteratorINS7_INS6_11hip_rocprim26transform_input_iterator_tIbPlNS6_6detail10functional5actorINSH_9compositeIJNSH_27transparent_binary_operatorINS6_8equal_toIvEEEENSI_INSH_8argumentILj0EEEEENSH_5valueIlEEEEEEEEENSD_19counting_iterator_tIlEES8_S8_S8_S8_S8_S8_S8_S8_EEEEPS9_S9_NSD_9__find_if7functorIS9_EEEE10hipError_tPvRmT1_T2_T3_mT4_P12ihipStream_tbEUlT_E1_NS1_11comp_targetILNS1_3genE3ELNS1_11target_archE908ELNS1_3gpuE7ELNS1_3repE0EEENS1_30default_config_static_selectorELNS0_4arch9wavefront6targetE1EEEvS17_.num_agpr, 0
	.set _ZN7rocprim17ROCPRIM_400000_NS6detail17trampoline_kernelINS0_14default_configENS1_22reduce_config_selectorIN6thrust23THRUST_200600_302600_NS5tupleIblNS6_9null_typeES8_S8_S8_S8_S8_S8_S8_EEEEZNS1_11reduce_implILb1ES3_NS6_12zip_iteratorINS7_INS6_11hip_rocprim26transform_input_iterator_tIbPlNS6_6detail10functional5actorINSH_9compositeIJNSH_27transparent_binary_operatorINS6_8equal_toIvEEEENSI_INSH_8argumentILj0EEEEENSH_5valueIlEEEEEEEEENSD_19counting_iterator_tIlEES8_S8_S8_S8_S8_S8_S8_S8_EEEEPS9_S9_NSD_9__find_if7functorIS9_EEEE10hipError_tPvRmT1_T2_T3_mT4_P12ihipStream_tbEUlT_E1_NS1_11comp_targetILNS1_3genE3ELNS1_11target_archE908ELNS1_3gpuE7ELNS1_3repE0EEENS1_30default_config_static_selectorELNS0_4arch9wavefront6targetE1EEEvS17_.numbered_sgpr, 0
	.set _ZN7rocprim17ROCPRIM_400000_NS6detail17trampoline_kernelINS0_14default_configENS1_22reduce_config_selectorIN6thrust23THRUST_200600_302600_NS5tupleIblNS6_9null_typeES8_S8_S8_S8_S8_S8_S8_EEEEZNS1_11reduce_implILb1ES3_NS6_12zip_iteratorINS7_INS6_11hip_rocprim26transform_input_iterator_tIbPlNS6_6detail10functional5actorINSH_9compositeIJNSH_27transparent_binary_operatorINS6_8equal_toIvEEEENSI_INSH_8argumentILj0EEEEENSH_5valueIlEEEEEEEEENSD_19counting_iterator_tIlEES8_S8_S8_S8_S8_S8_S8_S8_EEEEPS9_S9_NSD_9__find_if7functorIS9_EEEE10hipError_tPvRmT1_T2_T3_mT4_P12ihipStream_tbEUlT_E1_NS1_11comp_targetILNS1_3genE3ELNS1_11target_archE908ELNS1_3gpuE7ELNS1_3repE0EEENS1_30default_config_static_selectorELNS0_4arch9wavefront6targetE1EEEvS17_.num_named_barrier, 0
	.set _ZN7rocprim17ROCPRIM_400000_NS6detail17trampoline_kernelINS0_14default_configENS1_22reduce_config_selectorIN6thrust23THRUST_200600_302600_NS5tupleIblNS6_9null_typeES8_S8_S8_S8_S8_S8_S8_EEEEZNS1_11reduce_implILb1ES3_NS6_12zip_iteratorINS7_INS6_11hip_rocprim26transform_input_iterator_tIbPlNS6_6detail10functional5actorINSH_9compositeIJNSH_27transparent_binary_operatorINS6_8equal_toIvEEEENSI_INSH_8argumentILj0EEEEENSH_5valueIlEEEEEEEEENSD_19counting_iterator_tIlEES8_S8_S8_S8_S8_S8_S8_S8_EEEEPS9_S9_NSD_9__find_if7functorIS9_EEEE10hipError_tPvRmT1_T2_T3_mT4_P12ihipStream_tbEUlT_E1_NS1_11comp_targetILNS1_3genE3ELNS1_11target_archE908ELNS1_3gpuE7ELNS1_3repE0EEENS1_30default_config_static_selectorELNS0_4arch9wavefront6targetE1EEEvS17_.private_seg_size, 0
	.set _ZN7rocprim17ROCPRIM_400000_NS6detail17trampoline_kernelINS0_14default_configENS1_22reduce_config_selectorIN6thrust23THRUST_200600_302600_NS5tupleIblNS6_9null_typeES8_S8_S8_S8_S8_S8_S8_EEEEZNS1_11reduce_implILb1ES3_NS6_12zip_iteratorINS7_INS6_11hip_rocprim26transform_input_iterator_tIbPlNS6_6detail10functional5actorINSH_9compositeIJNSH_27transparent_binary_operatorINS6_8equal_toIvEEEENSI_INSH_8argumentILj0EEEEENSH_5valueIlEEEEEEEEENSD_19counting_iterator_tIlEES8_S8_S8_S8_S8_S8_S8_S8_EEEEPS9_S9_NSD_9__find_if7functorIS9_EEEE10hipError_tPvRmT1_T2_T3_mT4_P12ihipStream_tbEUlT_E1_NS1_11comp_targetILNS1_3genE3ELNS1_11target_archE908ELNS1_3gpuE7ELNS1_3repE0EEENS1_30default_config_static_selectorELNS0_4arch9wavefront6targetE1EEEvS17_.uses_vcc, 0
	.set _ZN7rocprim17ROCPRIM_400000_NS6detail17trampoline_kernelINS0_14default_configENS1_22reduce_config_selectorIN6thrust23THRUST_200600_302600_NS5tupleIblNS6_9null_typeES8_S8_S8_S8_S8_S8_S8_EEEEZNS1_11reduce_implILb1ES3_NS6_12zip_iteratorINS7_INS6_11hip_rocprim26transform_input_iterator_tIbPlNS6_6detail10functional5actorINSH_9compositeIJNSH_27transparent_binary_operatorINS6_8equal_toIvEEEENSI_INSH_8argumentILj0EEEEENSH_5valueIlEEEEEEEEENSD_19counting_iterator_tIlEES8_S8_S8_S8_S8_S8_S8_S8_EEEEPS9_S9_NSD_9__find_if7functorIS9_EEEE10hipError_tPvRmT1_T2_T3_mT4_P12ihipStream_tbEUlT_E1_NS1_11comp_targetILNS1_3genE3ELNS1_11target_archE908ELNS1_3gpuE7ELNS1_3repE0EEENS1_30default_config_static_selectorELNS0_4arch9wavefront6targetE1EEEvS17_.uses_flat_scratch, 0
	.set _ZN7rocprim17ROCPRIM_400000_NS6detail17trampoline_kernelINS0_14default_configENS1_22reduce_config_selectorIN6thrust23THRUST_200600_302600_NS5tupleIblNS6_9null_typeES8_S8_S8_S8_S8_S8_S8_EEEEZNS1_11reduce_implILb1ES3_NS6_12zip_iteratorINS7_INS6_11hip_rocprim26transform_input_iterator_tIbPlNS6_6detail10functional5actorINSH_9compositeIJNSH_27transparent_binary_operatorINS6_8equal_toIvEEEENSI_INSH_8argumentILj0EEEEENSH_5valueIlEEEEEEEEENSD_19counting_iterator_tIlEES8_S8_S8_S8_S8_S8_S8_S8_EEEEPS9_S9_NSD_9__find_if7functorIS9_EEEE10hipError_tPvRmT1_T2_T3_mT4_P12ihipStream_tbEUlT_E1_NS1_11comp_targetILNS1_3genE3ELNS1_11target_archE908ELNS1_3gpuE7ELNS1_3repE0EEENS1_30default_config_static_selectorELNS0_4arch9wavefront6targetE1EEEvS17_.has_dyn_sized_stack, 0
	.set _ZN7rocprim17ROCPRIM_400000_NS6detail17trampoline_kernelINS0_14default_configENS1_22reduce_config_selectorIN6thrust23THRUST_200600_302600_NS5tupleIblNS6_9null_typeES8_S8_S8_S8_S8_S8_S8_EEEEZNS1_11reduce_implILb1ES3_NS6_12zip_iteratorINS7_INS6_11hip_rocprim26transform_input_iterator_tIbPlNS6_6detail10functional5actorINSH_9compositeIJNSH_27transparent_binary_operatorINS6_8equal_toIvEEEENSI_INSH_8argumentILj0EEEEENSH_5valueIlEEEEEEEEENSD_19counting_iterator_tIlEES8_S8_S8_S8_S8_S8_S8_S8_EEEEPS9_S9_NSD_9__find_if7functorIS9_EEEE10hipError_tPvRmT1_T2_T3_mT4_P12ihipStream_tbEUlT_E1_NS1_11comp_targetILNS1_3genE3ELNS1_11target_archE908ELNS1_3gpuE7ELNS1_3repE0EEENS1_30default_config_static_selectorELNS0_4arch9wavefront6targetE1EEEvS17_.has_recursion, 0
	.set _ZN7rocprim17ROCPRIM_400000_NS6detail17trampoline_kernelINS0_14default_configENS1_22reduce_config_selectorIN6thrust23THRUST_200600_302600_NS5tupleIblNS6_9null_typeES8_S8_S8_S8_S8_S8_S8_EEEEZNS1_11reduce_implILb1ES3_NS6_12zip_iteratorINS7_INS6_11hip_rocprim26transform_input_iterator_tIbPlNS6_6detail10functional5actorINSH_9compositeIJNSH_27transparent_binary_operatorINS6_8equal_toIvEEEENSI_INSH_8argumentILj0EEEEENSH_5valueIlEEEEEEEEENSD_19counting_iterator_tIlEES8_S8_S8_S8_S8_S8_S8_S8_EEEEPS9_S9_NSD_9__find_if7functorIS9_EEEE10hipError_tPvRmT1_T2_T3_mT4_P12ihipStream_tbEUlT_E1_NS1_11comp_targetILNS1_3genE3ELNS1_11target_archE908ELNS1_3gpuE7ELNS1_3repE0EEENS1_30default_config_static_selectorELNS0_4arch9wavefront6targetE1EEEvS17_.has_indirect_call, 0
	.section	.AMDGPU.csdata,"",@progbits
; Kernel info:
; codeLenInByte = 0
; TotalNumSgprs: 4
; NumVgprs: 0
; ScratchSize: 0
; MemoryBound: 0
; FloatMode: 240
; IeeeMode: 1
; LDSByteSize: 0 bytes/workgroup (compile time only)
; SGPRBlocks: 0
; VGPRBlocks: 0
; NumSGPRsForWavesPerEU: 4
; NumVGPRsForWavesPerEU: 1
; Occupancy: 10
; WaveLimiterHint : 0
; COMPUTE_PGM_RSRC2:SCRATCH_EN: 0
; COMPUTE_PGM_RSRC2:USER_SGPR: 6
; COMPUTE_PGM_RSRC2:TRAP_HANDLER: 0
; COMPUTE_PGM_RSRC2:TGID_X_EN: 1
; COMPUTE_PGM_RSRC2:TGID_Y_EN: 0
; COMPUTE_PGM_RSRC2:TGID_Z_EN: 0
; COMPUTE_PGM_RSRC2:TIDIG_COMP_CNT: 0
	.section	.text._ZN7rocprim17ROCPRIM_400000_NS6detail17trampoline_kernelINS0_14default_configENS1_22reduce_config_selectorIN6thrust23THRUST_200600_302600_NS5tupleIblNS6_9null_typeES8_S8_S8_S8_S8_S8_S8_EEEEZNS1_11reduce_implILb1ES3_NS6_12zip_iteratorINS7_INS6_11hip_rocprim26transform_input_iterator_tIbPlNS6_6detail10functional5actorINSH_9compositeIJNSH_27transparent_binary_operatorINS6_8equal_toIvEEEENSI_INSH_8argumentILj0EEEEENSH_5valueIlEEEEEEEEENSD_19counting_iterator_tIlEES8_S8_S8_S8_S8_S8_S8_S8_EEEEPS9_S9_NSD_9__find_if7functorIS9_EEEE10hipError_tPvRmT1_T2_T3_mT4_P12ihipStream_tbEUlT_E1_NS1_11comp_targetILNS1_3genE2ELNS1_11target_archE906ELNS1_3gpuE6ELNS1_3repE0EEENS1_30default_config_static_selectorELNS0_4arch9wavefront6targetE1EEEvS17_,"axG",@progbits,_ZN7rocprim17ROCPRIM_400000_NS6detail17trampoline_kernelINS0_14default_configENS1_22reduce_config_selectorIN6thrust23THRUST_200600_302600_NS5tupleIblNS6_9null_typeES8_S8_S8_S8_S8_S8_S8_EEEEZNS1_11reduce_implILb1ES3_NS6_12zip_iteratorINS7_INS6_11hip_rocprim26transform_input_iterator_tIbPlNS6_6detail10functional5actorINSH_9compositeIJNSH_27transparent_binary_operatorINS6_8equal_toIvEEEENSI_INSH_8argumentILj0EEEEENSH_5valueIlEEEEEEEEENSD_19counting_iterator_tIlEES8_S8_S8_S8_S8_S8_S8_S8_EEEEPS9_S9_NSD_9__find_if7functorIS9_EEEE10hipError_tPvRmT1_T2_T3_mT4_P12ihipStream_tbEUlT_E1_NS1_11comp_targetILNS1_3genE2ELNS1_11target_archE906ELNS1_3gpuE6ELNS1_3repE0EEENS1_30default_config_static_selectorELNS0_4arch9wavefront6targetE1EEEvS17_,comdat
	.protected	_ZN7rocprim17ROCPRIM_400000_NS6detail17trampoline_kernelINS0_14default_configENS1_22reduce_config_selectorIN6thrust23THRUST_200600_302600_NS5tupleIblNS6_9null_typeES8_S8_S8_S8_S8_S8_S8_EEEEZNS1_11reduce_implILb1ES3_NS6_12zip_iteratorINS7_INS6_11hip_rocprim26transform_input_iterator_tIbPlNS6_6detail10functional5actorINSH_9compositeIJNSH_27transparent_binary_operatorINS6_8equal_toIvEEEENSI_INSH_8argumentILj0EEEEENSH_5valueIlEEEEEEEEENSD_19counting_iterator_tIlEES8_S8_S8_S8_S8_S8_S8_S8_EEEEPS9_S9_NSD_9__find_if7functorIS9_EEEE10hipError_tPvRmT1_T2_T3_mT4_P12ihipStream_tbEUlT_E1_NS1_11comp_targetILNS1_3genE2ELNS1_11target_archE906ELNS1_3gpuE6ELNS1_3repE0EEENS1_30default_config_static_selectorELNS0_4arch9wavefront6targetE1EEEvS17_ ; -- Begin function _ZN7rocprim17ROCPRIM_400000_NS6detail17trampoline_kernelINS0_14default_configENS1_22reduce_config_selectorIN6thrust23THRUST_200600_302600_NS5tupleIblNS6_9null_typeES8_S8_S8_S8_S8_S8_S8_EEEEZNS1_11reduce_implILb1ES3_NS6_12zip_iteratorINS7_INS6_11hip_rocprim26transform_input_iterator_tIbPlNS6_6detail10functional5actorINSH_9compositeIJNSH_27transparent_binary_operatorINS6_8equal_toIvEEEENSI_INSH_8argumentILj0EEEEENSH_5valueIlEEEEEEEEENSD_19counting_iterator_tIlEES8_S8_S8_S8_S8_S8_S8_S8_EEEEPS9_S9_NSD_9__find_if7functorIS9_EEEE10hipError_tPvRmT1_T2_T3_mT4_P12ihipStream_tbEUlT_E1_NS1_11comp_targetILNS1_3genE2ELNS1_11target_archE906ELNS1_3gpuE6ELNS1_3repE0EEENS1_30default_config_static_selectorELNS0_4arch9wavefront6targetE1EEEvS17_
	.globl	_ZN7rocprim17ROCPRIM_400000_NS6detail17trampoline_kernelINS0_14default_configENS1_22reduce_config_selectorIN6thrust23THRUST_200600_302600_NS5tupleIblNS6_9null_typeES8_S8_S8_S8_S8_S8_S8_EEEEZNS1_11reduce_implILb1ES3_NS6_12zip_iteratorINS7_INS6_11hip_rocprim26transform_input_iterator_tIbPlNS6_6detail10functional5actorINSH_9compositeIJNSH_27transparent_binary_operatorINS6_8equal_toIvEEEENSI_INSH_8argumentILj0EEEEENSH_5valueIlEEEEEEEEENSD_19counting_iterator_tIlEES8_S8_S8_S8_S8_S8_S8_S8_EEEEPS9_S9_NSD_9__find_if7functorIS9_EEEE10hipError_tPvRmT1_T2_T3_mT4_P12ihipStream_tbEUlT_E1_NS1_11comp_targetILNS1_3genE2ELNS1_11target_archE906ELNS1_3gpuE6ELNS1_3repE0EEENS1_30default_config_static_selectorELNS0_4arch9wavefront6targetE1EEEvS17_
	.p2align	8
	.type	_ZN7rocprim17ROCPRIM_400000_NS6detail17trampoline_kernelINS0_14default_configENS1_22reduce_config_selectorIN6thrust23THRUST_200600_302600_NS5tupleIblNS6_9null_typeES8_S8_S8_S8_S8_S8_S8_EEEEZNS1_11reduce_implILb1ES3_NS6_12zip_iteratorINS7_INS6_11hip_rocprim26transform_input_iterator_tIbPlNS6_6detail10functional5actorINSH_9compositeIJNSH_27transparent_binary_operatorINS6_8equal_toIvEEEENSI_INSH_8argumentILj0EEEEENSH_5valueIlEEEEEEEEENSD_19counting_iterator_tIlEES8_S8_S8_S8_S8_S8_S8_S8_EEEEPS9_S9_NSD_9__find_if7functorIS9_EEEE10hipError_tPvRmT1_T2_T3_mT4_P12ihipStream_tbEUlT_E1_NS1_11comp_targetILNS1_3genE2ELNS1_11target_archE906ELNS1_3gpuE6ELNS1_3repE0EEENS1_30default_config_static_selectorELNS0_4arch9wavefront6targetE1EEEvS17_,@function
_ZN7rocprim17ROCPRIM_400000_NS6detail17trampoline_kernelINS0_14default_configENS1_22reduce_config_selectorIN6thrust23THRUST_200600_302600_NS5tupleIblNS6_9null_typeES8_S8_S8_S8_S8_S8_S8_EEEEZNS1_11reduce_implILb1ES3_NS6_12zip_iteratorINS7_INS6_11hip_rocprim26transform_input_iterator_tIbPlNS6_6detail10functional5actorINSH_9compositeIJNSH_27transparent_binary_operatorINS6_8equal_toIvEEEENSI_INSH_8argumentILj0EEEEENSH_5valueIlEEEEEEEEENSD_19counting_iterator_tIlEES8_S8_S8_S8_S8_S8_S8_S8_EEEEPS9_S9_NSD_9__find_if7functorIS9_EEEE10hipError_tPvRmT1_T2_T3_mT4_P12ihipStream_tbEUlT_E1_NS1_11comp_targetILNS1_3genE2ELNS1_11target_archE906ELNS1_3gpuE6ELNS1_3repE0EEENS1_30default_config_static_selectorELNS0_4arch9wavefront6targetE1EEEvS17_: ; @_ZN7rocprim17ROCPRIM_400000_NS6detail17trampoline_kernelINS0_14default_configENS1_22reduce_config_selectorIN6thrust23THRUST_200600_302600_NS5tupleIblNS6_9null_typeES8_S8_S8_S8_S8_S8_S8_EEEEZNS1_11reduce_implILb1ES3_NS6_12zip_iteratorINS7_INS6_11hip_rocprim26transform_input_iterator_tIbPlNS6_6detail10functional5actorINSH_9compositeIJNSH_27transparent_binary_operatorINS6_8equal_toIvEEEENSI_INSH_8argumentILj0EEEEENSH_5valueIlEEEEEEEEENSD_19counting_iterator_tIlEES8_S8_S8_S8_S8_S8_S8_S8_EEEEPS9_S9_NSD_9__find_if7functorIS9_EEEE10hipError_tPvRmT1_T2_T3_mT4_P12ihipStream_tbEUlT_E1_NS1_11comp_targetILNS1_3genE2ELNS1_11target_archE906ELNS1_3gpuE6ELNS1_3repE0EEENS1_30default_config_static_selectorELNS0_4arch9wavefront6targetE1EEEvS17_
; %bb.0:
	s_load_dword s34, s[4:5], 0x4
	s_load_dwordx2 s[26:27], s[4:5], 0x8
	s_load_dwordx8 s[16:23], s[4:5], 0x18
	s_load_dword s33, s[4:5], 0x38
	s_load_dwordx2 s[24:25], s[4:5], 0x40
	s_waitcnt lgkmcnt(0)
	s_cmp_lt_i32 s34, 4
	s_cbranch_scc1 .LBB1253_13
; %bb.1:
	s_cmp_gt_i32 s34, 7
	s_cbranch_scc0 .LBB1253_14
; %bb.2:
	s_cmp_eq_u32 s34, 8
	s_mov_b64 s[28:29], 0
	s_cbranch_scc0 .LBB1253_15
; %bb.3:
	s_mov_b32 s7, 0
	s_lshl_b32 s12, s6, 10
	s_mov_b32 s13, s7
	s_lshr_b64 s[0:1], s[20:21], 10
	s_lshl_b64 s[2:3], s[12:13], 3
	s_add_u32 s14, s26, s2
	s_addc_u32 s15, s27, s3
	s_add_u32 s36, s18, s12
	s_addc_u32 s37, s19, 0
	s_cmp_lg_u64 s[0:1], s[6:7]
	s_cbranch_scc0 .LBB1253_28
; %bb.4:
	v_lshlrev_b32_e32 v9, 3, v0
	global_load_dwordx2 v[1:2], v9, s[14:15] offset:1024
	global_load_dwordx2 v[3:4], v9, s[14:15] offset:2048
	v_mov_b32_e32 v5, s15
	v_add_co_u32_e32 v10, vcc, s14, v9
	v_addc_co_u32_e32 v11, vcc, 0, v5, vcc
	global_load_dwordx2 v[5:6], v9, s[14:15] offset:3072
	global_load_dwordx2 v[7:8], v9, s[14:15]
	v_add_co_u32_e32 v9, vcc, 0x1000, v10
	v_addc_co_u32_e32 v10, vcc, 0, v11, vcc
	global_load_dwordx2 v[11:12], v[9:10], off
	global_load_dwordx2 v[13:14], v[9:10], off offset:2048
	global_load_dwordx2 v[15:16], v[9:10], off offset:3072
	;; [unrolled: 1-line block ×3, first 2 shown]
	v_mov_b32_e32 v9, s37
	v_mov_b32_e32 v10, 0x100
	;; [unrolled: 1-line block ×7, first 2 shown]
	s_waitcnt vmcnt(7)
	v_cmp_eq_u64_e32 vcc, s[16:17], v[1:2]
	s_waitcnt vmcnt(6)
	v_cmp_eq_u64_e64 s[0:1], s[16:17], v[3:4]
	v_add_co_u32_e64 v4, s[2:3], s36, v0
	v_addc_co_u32_e64 v9, s[2:3], 0, v9, s[2:3]
	v_mbcnt_lo_u32_b32 v2, -1, 0
	s_waitcnt vmcnt(4)
	v_cmp_eq_u64_e64 s[4:5], s[16:17], v[7:8]
	v_cmp_eq_u64_e64 s[2:3], s[16:17], v[5:6]
	v_mbcnt_hi_u32_b32 v3, -1, v2
	v_cndmask_b32_e32 v2, v10, v19, vcc
	s_or_b64 s[10:11], s[4:5], vcc
	v_cndmask_b32_e64 v5, v20, v21, s[2:3]
	v_cndmask_b32_e64 v2, v2, 0, s[4:5]
	s_waitcnt vmcnt(3)
	v_cmp_eq_u64_e32 vcc, s[16:17], v[11:12]
	s_or_b64 s[0:1], s[10:11], s[0:1]
	v_cndmask_b32_e64 v2, v5, v2, s[0:1]
	s_waitcnt vmcnt(0)
	v_cmp_eq_u64_e64 s[10:11], s[16:17], v[17:18]
	s_or_b64 s[0:1], s[0:1], s[2:3]
	v_cmp_eq_u64_e64 s[4:5], s[16:17], v[13:14]
	s_or_b64 vcc, s[0:1], vcc
	v_cndmask_b32_e64 v5, v22, v23, s[10:11]
	s_or_b64 s[0:1], vcc, s[10:11]
	v_mov_b32_e32 v1, 0x380
	v_cndmask_b32_e32 v2, v5, v2, vcc
	s_or_b64 vcc, s[0:1], s[4:5]
	v_cndmask_b32_e32 v1, v1, v2, vcc
	v_cmp_eq_u64_e64 s[8:9], s[16:17], v[15:16]
	v_add_co_u32_e64 v1, s[0:1], v4, v1
	v_addc_co_u32_e64 v2, s[0:1], 0, v9, s[0:1]
	s_or_b64 s[0:1], vcc, s[8:9]
	v_mov_b32_dpp v4, v1 quad_perm:[1,0,3,2] row_mask:0xf bank_mask:0xf bound_ctrl:1
	v_mov_b32_dpp v5, v2 quad_perm:[1,0,3,2] row_mask:0xf bank_mask:0xf bound_ctrl:1
	v_cndmask_b32_e64 v6, 0, 1, s[0:1]
	v_cmp_lt_i64_e32 vcc, v[1:2], v[4:5]
	s_and_b64 vcc, s[0:1], vcc
	v_mov_b32_dpp v7, v6 quad_perm:[1,0,3,2] row_mask:0xf bank_mask:0xf bound_ctrl:1
	v_and_b32_e32 v7, 1, v7
	v_cndmask_b32_e32 v4, v4, v1, vcc
	v_cndmask_b32_e32 v5, v5, v2, vcc
	v_cmp_eq_u32_e32 vcc, 1, v7
	v_cndmask_b32_e32 v2, v2, v5, vcc
	v_cndmask_b32_e32 v1, v1, v4, vcc
	v_cndmask_b32_e64 v6, v6, 1, vcc
	v_mov_b32_dpp v5, v2 quad_perm:[2,3,0,1] row_mask:0xf bank_mask:0xf bound_ctrl:1
	v_mov_b32_dpp v4, v1 quad_perm:[2,3,0,1] row_mask:0xf bank_mask:0xf bound_ctrl:1
	v_and_b32_e32 v8, 1, v6
	v_cmp_lt_i64_e64 s[0:1], v[1:2], v[4:5]
	v_mov_b32_dpp v7, v6 quad_perm:[2,3,0,1] row_mask:0xf bank_mask:0xf bound_ctrl:1
	v_cmp_eq_u32_e32 vcc, 1, v8
	v_and_b32_e32 v7, 1, v7
	s_and_b64 vcc, vcc, s[0:1]
	v_cmp_eq_u32_e64 s[2:3], 1, v7
	v_cndmask_b32_e32 v4, v4, v1, vcc
	v_cndmask_b32_e32 v5, v5, v2, vcc
	v_cndmask_b32_e64 v1, v1, v4, s[2:3]
	v_cndmask_b32_e64 v2, v2, v5, s[2:3]
	;; [unrolled: 1-line block ×3, first 2 shown]
	v_mov_b32_dpp v4, v1 row_ror:4 row_mask:0xf bank_mask:0xf bound_ctrl:1
	v_mov_b32_dpp v5, v2 row_ror:4 row_mask:0xf bank_mask:0xf bound_ctrl:1
	v_and_b32_e32 v8, 1, v6
	v_cmp_lt_i64_e64 s[2:3], v[1:2], v[4:5]
	v_mov_b32_dpp v7, v6 row_ror:4 row_mask:0xf bank_mask:0xf bound_ctrl:1
	v_cmp_eq_u32_e32 vcc, 1, v8
	v_and_b32_e32 v7, 1, v7
	s_and_b64 vcc, vcc, s[2:3]
	v_cmp_eq_u32_e64 s[0:1], 1, v7
	v_cndmask_b32_e32 v4, v4, v1, vcc
	v_cndmask_b32_e32 v5, v5, v2, vcc
	v_cndmask_b32_e64 v1, v1, v4, s[0:1]
	v_cndmask_b32_e64 v2, v2, v5, s[0:1]
	v_cndmask_b32_e64 v6, v6, 1, s[0:1]
	v_mov_b32_dpp v4, v1 row_ror:8 row_mask:0xf bank_mask:0xf bound_ctrl:1
	v_mov_b32_dpp v5, v2 row_ror:8 row_mask:0xf bank_mask:0xf bound_ctrl:1
	v_and_b32_e32 v8, 1, v6
	v_cmp_lt_i64_e32 vcc, v[1:2], v[4:5]
	v_mov_b32_dpp v7, v6 row_ror:8 row_mask:0xf bank_mask:0xf bound_ctrl:1
	v_cmp_eq_u32_e64 s[4:5], 1, v8
	v_and_b32_e32 v7, 1, v7
	s_and_b64 vcc, s[4:5], vcc
	v_cmp_eq_u32_e64 s[0:1], 1, v7
	v_cndmask_b32_e32 v4, v4, v1, vcc
	v_cndmask_b32_e32 v5, v5, v2, vcc
	v_cndmask_b32_e64 v1, v1, v4, s[0:1]
	v_cndmask_b32_e64 v2, v2, v5, s[0:1]
	;; [unrolled: 1-line block ×3, first 2 shown]
	v_mov_b32_dpp v4, v1 row_bcast:15 row_mask:0xf bank_mask:0xf bound_ctrl:1
	v_mov_b32_dpp v5, v2 row_bcast:15 row_mask:0xf bank_mask:0xf bound_ctrl:1
	v_and_b32_e32 v8, 1, v6
	v_cmp_lt_i64_e64 s[0:1], v[1:2], v[4:5]
	v_mov_b32_dpp v7, v6 row_bcast:15 row_mask:0xf bank_mask:0xf bound_ctrl:1
	v_cmp_eq_u32_e32 vcc, 1, v8
	v_and_b32_e32 v7, 1, v7
	s_and_b64 vcc, vcc, s[0:1]
	v_cmp_eq_u32_e64 s[2:3], 1, v7
	v_cndmask_b32_e32 v4, v4, v1, vcc
	v_cndmask_b32_e32 v5, v5, v2, vcc
	v_cndmask_b32_e64 v2, v2, v5, s[2:3]
	v_cndmask_b32_e64 v1, v1, v4, s[2:3]
	;; [unrolled: 1-line block ×3, first 2 shown]
	v_mov_b32_dpp v5, v2 row_bcast:31 row_mask:0xf bank_mask:0xf bound_ctrl:1
	v_mov_b32_dpp v4, v1 row_bcast:31 row_mask:0xf bank_mask:0xf bound_ctrl:1
	v_and_b32_e32 v8, 1, v6
	v_cmp_lt_i64_e64 s[0:1], v[1:2], v[4:5]
	v_mov_b32_dpp v7, v6 row_bcast:31 row_mask:0xf bank_mask:0xf bound_ctrl:1
	v_cmp_eq_u32_e32 vcc, 1, v8
	v_and_b32_e32 v7, 1, v7
	s_and_b64 vcc, vcc, s[0:1]
	v_cmp_eq_u32_e64 s[2:3], 1, v7
	v_cndmask_b32_e32 v5, v5, v2, vcc
	v_cndmask_b32_e32 v4, v4, v1, vcc
	v_cndmask_b32_e64 v2, v2, v5, s[2:3]
	v_lshlrev_b32_e32 v5, 2, v3
	v_cndmask_b32_e64 v6, v6, 1, s[2:3]
	v_cndmask_b32_e64 v1, v1, v4, s[2:3]
	v_or_b32_e32 v4, 0xfc, v5
	ds_bpermute_b32 v17, v4, v6
	ds_bpermute_b32 v1, v4, v1
	;; [unrolled: 1-line block ×3, first 2 shown]
	v_cmp_eq_u32_e32 vcc, 0, v3
	s_and_saveexec_b64 s[0:1], vcc
	s_cbranch_execz .LBB1253_6
; %bb.5:
	v_lshrrev_b32_e32 v4, 2, v0
	v_and_b32_e32 v4, 16, v4
	s_waitcnt lgkmcnt(2)
	ds_write_b8 v4, v17 offset:96
	s_waitcnt lgkmcnt(1)
	ds_write_b64 v4, v[1:2] offset:104
.LBB1253_6:
	s_or_b64 exec, exec, s[0:1]
	v_cmp_gt_u32_e32 vcc, 64, v0
	s_waitcnt lgkmcnt(0)
	s_barrier
	s_and_saveexec_b64 s[0:1], vcc
	s_cbranch_execz .LBB1253_12
; %bb.7:
	v_and_b32_e32 v1, 1, v3
	v_lshlrev_b32_e32 v1, 4, v1
	ds_read_u8 v7, v1 offset:96
	ds_read_b64 v[3:4], v1 offset:104
	v_or_b32_e32 v2, 4, v5
	s_waitcnt lgkmcnt(1)
	v_and_b32_e32 v1, 0xff, v7
	ds_bpermute_b32 v8, v2, v1
	s_waitcnt lgkmcnt(1)
	ds_bpermute_b32 v5, v2, v3
	ds_bpermute_b32 v6, v2, v4
	s_waitcnt lgkmcnt(2)
	v_and_b32_e32 v1, v7, v8
	v_and_b32_e32 v1, 1, v1
	v_cmp_eq_u32_e32 vcc, 1, v1
                                        ; implicit-def: $vgpr1_vgpr2
	s_and_saveexec_b64 s[2:3], vcc
	s_xor_b64 s[2:3], exec, s[2:3]
	s_cbranch_execz .LBB1253_9
; %bb.8:
	s_waitcnt lgkmcnt(0)
	v_cmp_lt_i64_e32 vcc, v[5:6], v[3:4]
                                        ; implicit-def: $vgpr7
                                        ; implicit-def: $vgpr8
	v_cndmask_b32_e32 v2, v4, v6, vcc
	v_cndmask_b32_e32 v1, v3, v5, vcc
                                        ; implicit-def: $vgpr5_vgpr6
                                        ; implicit-def: $vgpr3_vgpr4
.LBB1253_9:
	s_or_saveexec_b64 s[2:3], s[2:3]
	v_mov_b32_e32 v17, 1
	s_xor_b64 exec, exec, s[2:3]
	s_cbranch_execz .LBB1253_11
; %bb.10:
	v_and_b32_e32 v1, 1, v7
	v_cmp_eq_u32_e32 vcc, 1, v1
	s_waitcnt lgkmcnt(0)
	v_cndmask_b32_e32 v2, v6, v4, vcc
	v_cndmask_b32_e32 v1, v5, v3, vcc
	v_cndmask_b32_e64 v17, v8, 1, vcc
.LBB1253_11:
	s_or_b64 exec, exec, s[2:3]
.LBB1253_12:
	s_or_b64 exec, exec, s[0:1]
	s_branch .LBB1253_145
.LBB1253_13:
	s_mov_b64 s[12:13], 0
                                        ; implicit-def: $vgpr3_vgpr4
                                        ; implicit-def: $vgpr5
                                        ; implicit-def: $vgpr1_vgpr2
	s_cbranch_execnz .LBB1253_219
	s_branch .LBB1253_306
.LBB1253_14:
	s_mov_b64 s[28:29], -1
.LBB1253_15:
	s_mov_b64 s[12:13], 0
                                        ; implicit-def: $vgpr3_vgpr4
                                        ; implicit-def: $vgpr5
                                        ; implicit-def: $vgpr1_vgpr2
	s_and_b64 vcc, exec, s[28:29]
	s_cbranch_vccz .LBB1253_150
.LBB1253_16:
	s_cmp_eq_u32 s34, 4
	s_cbranch_scc0 .LBB1253_27
; %bb.17:
	s_mov_b32 s7, 0
	s_lshl_b32 s28, s6, 9
	s_mov_b32 s29, s7
	s_lshr_b64 s[0:1], s[20:21], 9
	s_lshl_b64 s[2:3], s[28:29], 3
	s_add_u32 s14, s26, s2
	s_addc_u32 s15, s27, s3
	s_add_u32 s29, s18, s28
	s_addc_u32 s30, s19, 0
	s_cmp_lg_u64 s[0:1], s[6:7]
	s_cbranch_scc0 .LBB1253_51
; %bb.18:
	s_waitcnt lgkmcnt(2)
	v_lshlrev_b32_e32 v3, 3, v0
	global_load_dwordx2 v[1:2], v3, s[14:15] offset:2048
	s_waitcnt lgkmcnt(0)
	global_load_dwordx2 v[6:7], v3, s[14:15] offset:3072
	global_load_dwordx2 v[8:9], v3, s[14:15] offset:1024
	global_load_dwordx2 v[10:11], v3, s[14:15]
	v_mov_b32_e32 v3, s30
	v_add_co_u32_e32 v14, vcc, s29, v0
	v_addc_co_u32_e32 v15, vcc, 0, v3, vcc
	v_mov_b32_e32 v4, 0x100
	v_mov_b32_e32 v12, 0x80
	v_mov_b32_e32 v13, 0x180
	v_mbcnt_lo_u32_b32 v5, -1, 0
	v_mbcnt_hi_u32_b32 v3, -1, v5
	v_lshlrev_b32_e32 v5, 2, v3
	v_or_b32_e32 v16, 0xfc, v5
	s_waitcnt vmcnt(3)
	v_cmp_eq_u64_e32 vcc, s[16:17], v[1:2]
	s_waitcnt vmcnt(2)
	v_cmp_eq_u64_e64 s[0:1], s[16:17], v[6:7]
	s_waitcnt vmcnt(1)
	v_cmp_eq_u64_e64 s[2:3], s[16:17], v[8:9]
	;; [unrolled: 2-line block ×3, first 2 shown]
	v_cndmask_b32_e64 v1, v4, v12, s[2:3]
	s_or_b64 s[2:3], s[4:5], s[2:3]
	v_cndmask_b32_e64 v1, v1, 0, s[4:5]
	s_or_b64 vcc, s[2:3], vcc
	v_cndmask_b32_e32 v1, v13, v1, vcc
	v_add_co_u32_e64 v1, s[2:3], v14, v1
	v_addc_co_u32_e64 v2, s[2:3], 0, v15, s[2:3]
	s_or_b64 s[0:1], vcc, s[0:1]
	v_mov_b32_dpp v6, v1 quad_perm:[1,0,3,2] row_mask:0xf bank_mask:0xf bound_ctrl:1
	v_mov_b32_dpp v7, v2 quad_perm:[1,0,3,2] row_mask:0xf bank_mask:0xf bound_ctrl:1
	v_cndmask_b32_e64 v4, 0, 1, s[0:1]
	v_cmp_lt_i64_e32 vcc, v[1:2], v[6:7]
	s_and_b64 vcc, s[0:1], vcc
	v_mov_b32_dpp v8, v4 quad_perm:[1,0,3,2] row_mask:0xf bank_mask:0xf bound_ctrl:1
	v_and_b32_e32 v8, 1, v8
	v_cndmask_b32_e32 v6, v6, v1, vcc
	v_cndmask_b32_e32 v7, v7, v2, vcc
	v_cmp_eq_u32_e32 vcc, 1, v8
	v_cndmask_b32_e32 v2, v2, v7, vcc
	v_cndmask_b32_e32 v1, v1, v6, vcc
	v_cndmask_b32_e64 v4, v4, 1, vcc
	v_mov_b32_dpp v7, v2 quad_perm:[2,3,0,1] row_mask:0xf bank_mask:0xf bound_ctrl:1
	v_mov_b32_dpp v6, v1 quad_perm:[2,3,0,1] row_mask:0xf bank_mask:0xf bound_ctrl:1
	v_and_b32_e32 v9, 1, v4
	v_cmp_lt_i64_e64 s[0:1], v[1:2], v[6:7]
	v_mov_b32_dpp v8, v4 quad_perm:[2,3,0,1] row_mask:0xf bank_mask:0xf bound_ctrl:1
	v_cmp_eq_u32_e32 vcc, 1, v9
	v_and_b32_e32 v8, 1, v8
	s_and_b64 vcc, vcc, s[0:1]
	v_cmp_eq_u32_e64 s[2:3], 1, v8
	v_cndmask_b32_e32 v6, v6, v1, vcc
	v_cndmask_b32_e32 v7, v7, v2, vcc
	v_cndmask_b32_e64 v1, v1, v6, s[2:3]
	v_cndmask_b32_e64 v2, v2, v7, s[2:3]
	;; [unrolled: 1-line block ×3, first 2 shown]
	v_mov_b32_dpp v6, v1 row_ror:4 row_mask:0xf bank_mask:0xf bound_ctrl:1
	v_mov_b32_dpp v7, v2 row_ror:4 row_mask:0xf bank_mask:0xf bound_ctrl:1
	v_and_b32_e32 v9, 1, v4
	v_cmp_lt_i64_e64 s[2:3], v[1:2], v[6:7]
	v_mov_b32_dpp v8, v4 row_ror:4 row_mask:0xf bank_mask:0xf bound_ctrl:1
	v_cmp_eq_u32_e32 vcc, 1, v9
	v_and_b32_e32 v8, 1, v8
	s_and_b64 vcc, vcc, s[2:3]
	v_cmp_eq_u32_e64 s[0:1], 1, v8
	v_cndmask_b32_e32 v6, v6, v1, vcc
	v_cndmask_b32_e32 v7, v7, v2, vcc
	v_cndmask_b32_e64 v1, v1, v6, s[0:1]
	v_cndmask_b32_e64 v2, v2, v7, s[0:1]
	;; [unrolled: 1-line block ×3, first 2 shown]
	v_mov_b32_dpp v6, v1 row_ror:8 row_mask:0xf bank_mask:0xf bound_ctrl:1
	v_mov_b32_dpp v7, v2 row_ror:8 row_mask:0xf bank_mask:0xf bound_ctrl:1
	v_and_b32_e32 v9, 1, v4
	v_cmp_lt_i64_e64 s[2:3], v[1:2], v[6:7]
	v_mov_b32_dpp v8, v4 row_ror:8 row_mask:0xf bank_mask:0xf bound_ctrl:1
	v_cmp_eq_u32_e64 s[4:5], 1, v9
	v_and_b32_e32 v8, 1, v8
	s_and_b64 s[2:3], s[4:5], s[2:3]
	v_cmp_eq_u32_e64 s[8:9], 1, v8
	v_cndmask_b32_e64 v6, v6, v1, s[2:3]
	v_cndmask_b32_e64 v7, v7, v2, s[2:3]
	;; [unrolled: 1-line block ×5, first 2 shown]
	v_mov_b32_dpp v6, v1 row_bcast:15 row_mask:0xf bank_mask:0xf bound_ctrl:1
	v_mov_b32_dpp v7, v2 row_bcast:15 row_mask:0xf bank_mask:0xf bound_ctrl:1
	v_and_b32_e32 v9, 1, v4
	v_cmp_lt_i64_e64 s[2:3], v[1:2], v[6:7]
	v_mov_b32_dpp v8, v4 row_bcast:15 row_mask:0xf bank_mask:0xf bound_ctrl:1
	v_cmp_eq_u32_e32 vcc, 1, v9
	v_and_b32_e32 v8, 1, v8
	s_and_b64 vcc, vcc, s[2:3]
	v_cmp_eq_u32_e64 s[0:1], 1, v8
	v_cndmask_b32_e32 v6, v6, v1, vcc
	v_cndmask_b32_e32 v7, v7, v2, vcc
	v_cndmask_b32_e64 v4, v4, 1, s[0:1]
	v_cndmask_b32_e64 v1, v1, v6, s[0:1]
	;; [unrolled: 1-line block ×3, first 2 shown]
	v_mov_b32_dpp v8, v4 row_bcast:31 row_mask:0xf bank_mask:0xf bound_ctrl:1
	v_mov_b32_dpp v6, v1 row_bcast:31 row_mask:0xf bank_mask:0xf bound_ctrl:1
	;; [unrolled: 1-line block ×3, first 2 shown]
	v_and_b32_e32 v9, 1, v4
	v_and_b32_e32 v8, 1, v8
	v_cmp_lt_i64_e32 vcc, v[1:2], v[6:7]
	v_cmp_eq_u32_e64 s[10:11], 1, v9
	v_cmp_eq_u32_e64 s[4:5], 1, v8
	v_cndmask_b32_e64 v4, v4, 1, s[4:5]
	s_and_b64 vcc, s[10:11], vcc
	ds_bpermute_b32 v9, v16, v4
	v_cndmask_b32_e32 v4, v6, v1, vcc
	v_cndmask_b32_e32 v6, v7, v2, vcc
	v_cndmask_b32_e64 v1, v1, v4, s[4:5]
	v_cndmask_b32_e64 v2, v2, v6, s[4:5]
	ds_bpermute_b32 v1, v16, v1
	ds_bpermute_b32 v2, v16, v2
	v_cmp_eq_u32_e32 vcc, 0, v3
	s_and_saveexec_b64 s[0:1], vcc
	s_cbranch_execz .LBB1253_20
; %bb.19:
	v_lshrrev_b32_e32 v4, 2, v0
	v_and_b32_e32 v4, 16, v4
	s_waitcnt lgkmcnt(2)
	ds_write_b8 v4, v9 offset:64
	s_waitcnt lgkmcnt(1)
	ds_write_b64 v4, v[1:2] offset:72
.LBB1253_20:
	s_or_b64 exec, exec, s[0:1]
	v_cmp_gt_u32_e32 vcc, 64, v0
	s_waitcnt lgkmcnt(0)
	s_barrier
	s_and_saveexec_b64 s[0:1], vcc
	s_cbranch_execz .LBB1253_26
; %bb.21:
	v_and_b32_e32 v1, 1, v3
	v_lshlrev_b32_e32 v1, 4, v1
	ds_read_u8 v7, v1 offset:64
	ds_read_b64 v[3:4], v1 offset:72
	v_or_b32_e32 v2, 4, v5
	s_waitcnt lgkmcnt(1)
	v_and_b32_e32 v1, 0xff, v7
	ds_bpermute_b32 v8, v2, v1
	s_waitcnt lgkmcnt(1)
	ds_bpermute_b32 v5, v2, v3
	ds_bpermute_b32 v6, v2, v4
	s_waitcnt lgkmcnt(2)
	v_and_b32_e32 v1, v7, v8
	v_and_b32_e32 v1, 1, v1
	v_cmp_eq_u32_e32 vcc, 1, v1
                                        ; implicit-def: $vgpr1_vgpr2
	s_and_saveexec_b64 s[2:3], vcc
	s_xor_b64 s[2:3], exec, s[2:3]
	s_cbranch_execz .LBB1253_23
; %bb.22:
	s_waitcnt lgkmcnt(0)
	v_cmp_lt_i64_e32 vcc, v[5:6], v[3:4]
                                        ; implicit-def: $vgpr7
                                        ; implicit-def: $vgpr8
	v_cndmask_b32_e32 v2, v4, v6, vcc
	v_cndmask_b32_e32 v1, v3, v5, vcc
                                        ; implicit-def: $vgpr5_vgpr6
                                        ; implicit-def: $vgpr3_vgpr4
.LBB1253_23:
	s_or_saveexec_b64 s[2:3], s[2:3]
	v_mov_b32_e32 v9, 1
	s_xor_b64 exec, exec, s[2:3]
	s_cbranch_execz .LBB1253_25
; %bb.24:
	v_and_b32_e32 v1, 1, v7
	v_cmp_eq_u32_e32 vcc, 1, v1
	s_waitcnt lgkmcnt(0)
	v_cndmask_b32_e32 v2, v6, v4, vcc
	v_cndmask_b32_e32 v1, v5, v3, vcc
	v_cndmask_b32_e64 v9, v8, 1, vcc
.LBB1253_25:
	s_or_b64 exec, exec, s[2:3]
.LBB1253_26:
	s_or_b64 exec, exec, s[0:1]
	s_branch .LBB1253_214
.LBB1253_27:
                                        ; implicit-def: $vgpr3_vgpr4
                                        ; implicit-def: $vgpr5
                                        ; implicit-def: $vgpr1_vgpr2
	s_branch .LBB1253_306
.LBB1253_28:
                                        ; implicit-def: $vgpr1_vgpr2
                                        ; implicit-def: $vgpr17
	s_cbranch_execz .LBB1253_145
; %bb.29:
	s_sub_i32 s35, s20, s12
	v_mov_b32_e32 v15, 0
	v_mov_b32_e32 v1, 0
	v_cmp_gt_u32_e32 vcc, s35, v0
	v_mov_b32_e32 v24, 0
	v_mov_b32_e32 v16, 0
	;; [unrolled: 1-line block ×4, first 2 shown]
	s_and_saveexec_b64 s[0:1], vcc
	s_cbranch_execz .LBB1253_31
; %bb.30:
	v_lshlrev_b32_e32 v1, 3, v0
	global_load_dwordx2 v[3:4], v1, s[14:15]
	v_mov_b32_e32 v2, s37
	v_add_co_u32_e32 v1, vcc, s36, v0
	v_addc_co_u32_e32 v2, vcc, 0, v2, vcc
	s_waitcnt vmcnt(0)
	v_cmp_eq_u64_e32 vcc, s[16:17], v[3:4]
	v_cndmask_b32_e64 v17, 0, 1, vcc
.LBB1253_31:
	s_or_b64 exec, exec, s[0:1]
	v_or_b32_e32 v3, 0x80, v0
	v_cmp_gt_u32_e64 s[12:13], s35, v3
	s_and_saveexec_b64 s[0:1], s[12:13]
	s_cbranch_execz .LBB1253_33
; %bb.32:
	v_lshlrev_b32_e32 v4, 3, v0
	s_waitcnt lgkmcnt(1)
	global_load_dwordx2 v[4:5], v4, s[14:15] offset:1024
	s_waitcnt lgkmcnt(0)
	v_mov_b32_e32 v6, s37
	v_add_co_u32_e32 v15, vcc, s36, v3
	v_addc_co_u32_e32 v16, vcc, 0, v6, vcc
	s_waitcnt vmcnt(0)
	v_cmp_eq_u64_e32 vcc, s[16:17], v[4:5]
	v_cndmask_b32_e64 v24, 0, 1, vcc
.LBB1253_33:
	s_or_b64 exec, exec, s[0:1]
	v_or_b32_e32 v3, 0x100, v0
	v_mov_b32_e32 v11, 0
	v_mov_b32_e32 v13, 0
	v_cmp_gt_u32_e64 s[10:11], s35, v3
	v_mov_b32_e32 v22, 0
	v_mov_b32_e32 v12, 0
	;; [unrolled: 1-line block ×4, first 2 shown]
	s_and_saveexec_b64 s[0:1], s[10:11]
	s_cbranch_execz .LBB1253_35
; %bb.34:
	v_lshlrev_b32_e32 v4, 3, v0
	s_waitcnt lgkmcnt(1)
	global_load_dwordx2 v[4:5], v4, s[14:15] offset:2048
	s_waitcnt lgkmcnt(0)
	v_mov_b32_e32 v6, s37
	v_add_co_u32_e32 v13, vcc, s36, v3
	v_addc_co_u32_e32 v14, vcc, 0, v6, vcc
	s_waitcnt vmcnt(0)
	v_cmp_eq_u64_e32 vcc, s[16:17], v[4:5]
	v_cndmask_b32_e64 v23, 0, 1, vcc
.LBB1253_35:
	s_or_b64 exec, exec, s[0:1]
	v_or_b32_e32 v3, 0x180, v0
	v_cmp_gt_u32_e64 s[8:9], s35, v3
	s_and_saveexec_b64 s[0:1], s[8:9]
	s_cbranch_execz .LBB1253_37
; %bb.36:
	v_lshlrev_b32_e32 v4, 3, v0
	s_waitcnt lgkmcnt(1)
	global_load_dwordx2 v[4:5], v4, s[14:15] offset:3072
	s_waitcnt lgkmcnt(0)
	v_mov_b32_e32 v6, s37
	v_add_co_u32_e32 v11, vcc, s36, v3
	v_addc_co_u32_e32 v12, vcc, 0, v6, vcc
	s_waitcnt vmcnt(0)
	v_cmp_eq_u64_e32 vcc, s[16:17], v[4:5]
	v_cndmask_b32_e64 v22, 0, 1, vcc
.LBB1253_37:
	s_or_b64 exec, exec, s[0:1]
	v_or_b32_e32 v3, 0x200, v0
	v_mov_b32_e32 v7, 0
	v_mov_b32_e32 v9, 0
	v_cmp_gt_u32_e64 s[4:5], s35, v3
	v_mov_b32_e32 v20, 0
	v_mov_b32_e32 v8, 0
	;; [unrolled: 1-line block ×4, first 2 shown]
	s_and_saveexec_b64 s[0:1], s[4:5]
	s_cbranch_execz .LBB1253_39
; %bb.38:
	v_lshlrev_b32_e32 v4, 3, v3
	s_waitcnt lgkmcnt(1)
	global_load_dwordx2 v[4:5], v4, s[14:15]
	s_waitcnt lgkmcnt(0)
	v_mov_b32_e32 v6, s37
	v_add_co_u32_e32 v9, vcc, s36, v3
	v_addc_co_u32_e32 v10, vcc, 0, v6, vcc
	s_waitcnt vmcnt(0)
	v_cmp_eq_u64_e32 vcc, s[16:17], v[4:5]
	v_cndmask_b32_e64 v21, 0, 1, vcc
.LBB1253_39:
	s_or_b64 exec, exec, s[0:1]
	v_or_b32_e32 v3, 0x280, v0
	v_cmp_gt_u32_e64 s[2:3], s35, v3
	s_and_saveexec_b64 s[0:1], s[2:3]
	s_cbranch_execz .LBB1253_41
; %bb.40:
	v_lshlrev_b32_e32 v4, 3, v3
	s_waitcnt lgkmcnt(1)
	global_load_dwordx2 v[4:5], v4, s[14:15]
	s_waitcnt lgkmcnt(0)
	v_mov_b32_e32 v6, s37
	v_add_co_u32_e32 v7, vcc, s36, v3
	v_addc_co_u32_e32 v8, vcc, 0, v6, vcc
	s_waitcnt vmcnt(0)
	v_cmp_eq_u64_e32 vcc, s[16:17], v[4:5]
	v_cndmask_b32_e64 v20, 0, 1, vcc
.LBB1253_41:
	s_or_b64 exec, exec, s[0:1]
	v_or_b32_e32 v25, 0x300, v0
	v_mov_b32_e32 v3, 0
	s_waitcnt lgkmcnt(0)
	v_mov_b32_e32 v5, 0
	v_cmp_gt_u32_e64 s[0:1], s35, v25
	v_mov_b32_e32 v4, 0
	v_mov_b32_e32 v18, 0
	;; [unrolled: 1-line block ×4, first 2 shown]
	s_and_saveexec_b64 s[30:31], s[0:1]
	s_cbranch_execz .LBB1253_43
; %bb.42:
	v_lshlrev_b32_e32 v5, 3, v25
	global_load_dwordx2 v[26:27], v5, s[14:15]
	v_mov_b32_e32 v6, s37
	v_add_co_u32_e32 v5, vcc, s36, v25
	v_addc_co_u32_e32 v6, vcc, 0, v6, vcc
	s_waitcnt vmcnt(0)
	v_cmp_eq_u64_e32 vcc, s[16:17], v[26:27]
	v_cndmask_b32_e64 v19, 0, 1, vcc
.LBB1253_43:
	s_or_b64 exec, exec, s[30:31]
	v_or_b32_e32 v25, 0x380, v0
	v_cmp_gt_u32_e32 vcc, s35, v25
	s_and_saveexec_b64 s[30:31], vcc
	s_cbranch_execnz .LBB1253_62
; %bb.44:
	s_or_b64 exec, exec, s[30:31]
	s_and_saveexec_b64 s[30:31], s[12:13]
	s_cbranch_execnz .LBB1253_63
.LBB1253_45:
	s_or_b64 exec, exec, s[30:31]
	s_and_saveexec_b64 s[14:15], s[10:11]
	s_cbranch_execnz .LBB1253_68
.LBB1253_46:
	s_or_b64 exec, exec, s[14:15]
	s_and_saveexec_b64 s[12:13], s[8:9]
	s_cbranch_execnz .LBB1253_73
.LBB1253_47:
	s_or_b64 exec, exec, s[12:13]
	s_and_saveexec_b64 s[10:11], s[4:5]
	s_cbranch_execnz .LBB1253_78
.LBB1253_48:
	s_or_b64 exec, exec, s[10:11]
	s_and_saveexec_b64 s[8:9], s[2:3]
	s_cbranch_execnz .LBB1253_83
.LBB1253_49:
	s_or_b64 exec, exec, s[8:9]
	s_and_saveexec_b64 s[4:5], s[0:1]
	s_cbranch_execnz .LBB1253_88
.LBB1253_50:
	s_or_b64 exec, exec, s[4:5]
	s_and_saveexec_b64 s[2:3], vcc
	s_cbranch_execnz .LBB1253_93
	s_branch .LBB1253_98
.LBB1253_51:
                                        ; implicit-def: $vgpr1_vgpr2
                                        ; implicit-def: $vgpr9
	s_cbranch_execz .LBB1253_214
; %bb.52:
	s_sub_i32 s10, s20, s28
	s_waitcnt lgkmcnt(1)
	v_mov_b32_e32 v7, 0
	v_mov_b32_e32 v1, 0
	v_cmp_gt_u32_e32 vcc, s10, v0
	v_mov_b32_e32 v12, 0
	v_mov_b32_e32 v8, 0
	;; [unrolled: 1-line block ×4, first 2 shown]
	s_and_saveexec_b64 s[0:1], vcc
	s_cbranch_execz .LBB1253_54
; %bb.53:
	v_lshlrev_b32_e32 v1, 3, v0
	s_waitcnt lgkmcnt(0)
	global_load_dwordx2 v[3:4], v1, s[14:15]
	v_mov_b32_e32 v2, s30
	v_add_co_u32_e32 v1, vcc, s29, v0
	v_addc_co_u32_e32 v2, vcc, 0, v2, vcc
	s_waitcnt vmcnt(0)
	v_cmp_eq_u64_e32 vcc, s[16:17], v[3:4]
	v_cndmask_b32_e64 v9, 0, 1, vcc
.LBB1253_54:
	s_or_b64 exec, exec, s[0:1]
	v_or_b32_e32 v3, 0x80, v0
	v_cmp_gt_u32_e64 s[2:3], s10, v3
	s_and_saveexec_b64 s[0:1], s[2:3]
	s_cbranch_execz .LBB1253_56
; %bb.55:
	s_waitcnt lgkmcnt(0)
	v_lshlrev_b32_e32 v4, 3, v0
	global_load_dwordx2 v[4:5], v4, s[14:15] offset:1024
	v_mov_b32_e32 v6, s30
	v_add_co_u32_e32 v7, vcc, s29, v3
	v_addc_co_u32_e32 v8, vcc, 0, v6, vcc
	s_waitcnt vmcnt(0)
	v_cmp_eq_u64_e32 vcc, s[16:17], v[4:5]
	v_cndmask_b32_e64 v12, 0, 1, vcc
.LBB1253_56:
	s_or_b64 exec, exec, s[0:1]
	v_or_b32_e32 v13, 0x100, v0
	s_waitcnt lgkmcnt(0)
	v_mov_b32_e32 v3, 0
	v_mov_b32_e32 v5, 0
	v_cmp_gt_u32_e64 s[0:1], s10, v13
	v_mov_b32_e32 v10, 0
	v_mov_b32_e32 v4, 0
	;; [unrolled: 1-line block ×4, first 2 shown]
	s_and_saveexec_b64 s[4:5], s[0:1]
	s_cbranch_execz .LBB1253_58
; %bb.57:
	v_lshlrev_b32_e32 v5, 3, v0
	global_load_dwordx2 v[14:15], v5, s[14:15] offset:2048
	v_mov_b32_e32 v6, s30
	v_add_co_u32_e32 v5, vcc, s29, v13
	v_addc_co_u32_e32 v6, vcc, 0, v6, vcc
	s_waitcnt vmcnt(0)
	v_cmp_eq_u64_e32 vcc, s[16:17], v[14:15]
	v_cndmask_b32_e64 v11, 0, 1, vcc
.LBB1253_58:
	s_or_b64 exec, exec, s[4:5]
	v_or_b32_e32 v13, 0x180, v0
	v_cmp_gt_u32_e32 vcc, s10, v13
	s_and_saveexec_b64 s[8:9], vcc
	s_cbranch_execnz .LBB1253_151
; %bb.59:
	s_or_b64 exec, exec, s[8:9]
	s_and_saveexec_b64 s[8:9], s[2:3]
	s_cbranch_execnz .LBB1253_152
.LBB1253_60:
	s_or_b64 exec, exec, s[8:9]
	s_and_saveexec_b64 s[4:5], s[0:1]
	s_cbranch_execnz .LBB1253_157
.LBB1253_61:
	s_or_b64 exec, exec, s[4:5]
	s_and_saveexec_b64 s[2:3], vcc
	s_cbranch_execnz .LBB1253_162
	s_branch .LBB1253_167
.LBB1253_62:
	v_lshlrev_b32_e32 v3, 3, v25
	global_load_dwordx2 v[26:27], v3, s[14:15]
	v_mov_b32_e32 v4, s37
	v_add_co_u32_e64 v3, s[14:15], s36, v25
	v_addc_co_u32_e64 v4, s[14:15], 0, v4, s[14:15]
	s_waitcnt vmcnt(0)
	v_cmp_eq_u64_e64 s[14:15], s[16:17], v[26:27]
	v_cndmask_b32_e64 v18, 0, 1, s[14:15]
	s_or_b64 exec, exec, s[30:31]
	s_and_saveexec_b64 s[30:31], s[12:13]
	s_cbranch_execz .LBB1253_45
.LBB1253_63:
	v_and_b32_e32 v17, 1, v17
	v_cmp_eq_u32_e64 s[12:13], 1, v17
	v_and_b32_e32 v17, 1, v24
	v_cmp_eq_u32_e64 s[14:15], 1, v17
	s_and_b64 s[14:15], s[12:13], s[14:15]
	s_xor_b64 s[14:15], s[14:15], -1
                                        ; implicit-def: $vgpr17
	s_and_saveexec_b64 s[36:37], s[14:15]
	s_xor_b64 s[14:15], exec, s[36:37]
; %bb.64:
	v_and_b32_e32 v17, 0xffff, v24
	v_cndmask_b32_e64 v17, v17, 1, s[12:13]
	v_cndmask_b32_e64 v2, v16, v2, s[12:13]
	;; [unrolled: 1-line block ×3, first 2 shown]
                                        ; implicit-def: $vgpr15_vgpr16
; %bb.65:
	s_andn2_saveexec_b64 s[14:15], s[14:15]
; %bb.66:
	v_cmp_lt_i64_e64 s[12:13], v[15:16], v[1:2]
	v_mov_b32_e32 v17, 1
	v_cndmask_b32_e64 v2, v2, v16, s[12:13]
	v_cndmask_b32_e64 v1, v1, v15, s[12:13]
; %bb.67:
	s_or_b64 exec, exec, s[14:15]
	s_or_b64 exec, exec, s[30:31]
	s_and_saveexec_b64 s[14:15], s[10:11]
	s_cbranch_execz .LBB1253_46
.LBB1253_68:
	v_and_b32_e32 v15, 1, v17
	v_cmp_eq_u32_e64 s[10:11], 1, v15
	v_and_b32_e32 v15, 1, v23
	v_cmp_eq_u32_e64 s[12:13], 1, v15
	s_and_b64 s[12:13], s[10:11], s[12:13]
	s_xor_b64 s[12:13], s[12:13], -1
                                        ; implicit-def: $vgpr17
	s_and_saveexec_b64 s[30:31], s[12:13]
	s_xor_b64 s[12:13], exec, s[30:31]
; %bb.69:
	v_and_b32_e32 v15, 0xffff, v23
	v_cndmask_b32_e64 v17, v15, 1, s[10:11]
	v_cndmask_b32_e64 v2, v14, v2, s[10:11]
	;; [unrolled: 1-line block ×3, first 2 shown]
                                        ; implicit-def: $vgpr13_vgpr14
; %bb.70:
	s_andn2_saveexec_b64 s[12:13], s[12:13]
; %bb.71:
	v_cmp_lt_i64_e64 s[10:11], v[13:14], v[1:2]
	v_mov_b32_e32 v17, 1
	v_cndmask_b32_e64 v2, v2, v14, s[10:11]
	v_cndmask_b32_e64 v1, v1, v13, s[10:11]
; %bb.72:
	s_or_b64 exec, exec, s[12:13]
	s_or_b64 exec, exec, s[14:15]
	s_and_saveexec_b64 s[12:13], s[8:9]
	s_cbranch_execz .LBB1253_47
.LBB1253_73:
	v_and_b32_e32 v13, 1, v17
	v_cmp_eq_u32_e64 s[8:9], 1, v13
	v_and_b32_e32 v13, 1, v22
	v_cmp_eq_u32_e64 s[10:11], 1, v13
	s_and_b64 s[10:11], s[8:9], s[10:11]
	s_xor_b64 s[10:11], s[10:11], -1
                                        ; implicit-def: $vgpr17
	s_and_saveexec_b64 s[14:15], s[10:11]
	s_xor_b64 s[10:11], exec, s[14:15]
; %bb.74:
	v_and_b32_e32 v13, 0xffff, v22
	v_cndmask_b32_e64 v17, v13, 1, s[8:9]
	v_cndmask_b32_e64 v2, v12, v2, s[8:9]
	;; [unrolled: 1-line block ×3, first 2 shown]
                                        ; implicit-def: $vgpr11_vgpr12
; %bb.75:
	s_andn2_saveexec_b64 s[10:11], s[10:11]
; %bb.76:
	v_cmp_lt_i64_e64 s[8:9], v[11:12], v[1:2]
	v_mov_b32_e32 v17, 1
	v_cndmask_b32_e64 v2, v2, v12, s[8:9]
	v_cndmask_b32_e64 v1, v1, v11, s[8:9]
; %bb.77:
	s_or_b64 exec, exec, s[10:11]
	s_or_b64 exec, exec, s[12:13]
	s_and_saveexec_b64 s[10:11], s[4:5]
	s_cbranch_execz .LBB1253_48
.LBB1253_78:
	v_and_b32_e32 v11, 1, v17
	v_cmp_eq_u32_e64 s[4:5], 1, v11
	v_and_b32_e32 v11, 1, v21
	v_cmp_eq_u32_e64 s[8:9], 1, v11
	s_and_b64 s[8:9], s[4:5], s[8:9]
	s_xor_b64 s[8:9], s[8:9], -1
                                        ; implicit-def: $vgpr17
	s_and_saveexec_b64 s[12:13], s[8:9]
	s_xor_b64 s[8:9], exec, s[12:13]
; %bb.79:
	v_and_b32_e32 v11, 0xffff, v21
	v_cndmask_b32_e64 v17, v11, 1, s[4:5]
	v_cndmask_b32_e64 v2, v10, v2, s[4:5]
	;; [unrolled: 1-line block ×3, first 2 shown]
                                        ; implicit-def: $vgpr9_vgpr10
; %bb.80:
	s_andn2_saveexec_b64 s[8:9], s[8:9]
; %bb.81:
	v_cmp_lt_i64_e64 s[4:5], v[9:10], v[1:2]
	v_mov_b32_e32 v17, 1
	v_cndmask_b32_e64 v2, v2, v10, s[4:5]
	v_cndmask_b32_e64 v1, v1, v9, s[4:5]
; %bb.82:
	s_or_b64 exec, exec, s[8:9]
	s_or_b64 exec, exec, s[10:11]
	s_and_saveexec_b64 s[8:9], s[2:3]
	s_cbranch_execz .LBB1253_49
.LBB1253_83:
	v_and_b32_e32 v9, 1, v17
	v_cmp_eq_u32_e64 s[2:3], 1, v9
	v_and_b32_e32 v9, 1, v20
	v_cmp_eq_u32_e64 s[4:5], 1, v9
	s_and_b64 s[4:5], s[2:3], s[4:5]
	s_xor_b64 s[4:5], s[4:5], -1
                                        ; implicit-def: $vgpr17
	s_and_saveexec_b64 s[10:11], s[4:5]
	s_xor_b64 s[4:5], exec, s[10:11]
; %bb.84:
	v_and_b32_e32 v9, 0xffff, v20
	v_cndmask_b32_e64 v17, v9, 1, s[2:3]
	v_cndmask_b32_e64 v2, v8, v2, s[2:3]
	;; [unrolled: 1-line block ×3, first 2 shown]
                                        ; implicit-def: $vgpr7_vgpr8
; %bb.85:
	s_andn2_saveexec_b64 s[4:5], s[4:5]
; %bb.86:
	v_cmp_lt_i64_e64 s[2:3], v[7:8], v[1:2]
	v_mov_b32_e32 v17, 1
	v_cndmask_b32_e64 v2, v2, v8, s[2:3]
	v_cndmask_b32_e64 v1, v1, v7, s[2:3]
; %bb.87:
	s_or_b64 exec, exec, s[4:5]
	s_or_b64 exec, exec, s[8:9]
	s_and_saveexec_b64 s[4:5], s[0:1]
	s_cbranch_execz .LBB1253_50
.LBB1253_88:
	v_and_b32_e32 v7, 1, v17
	v_cmp_eq_u32_e64 s[0:1], 1, v7
	v_and_b32_e32 v7, 1, v19
	v_cmp_eq_u32_e64 s[2:3], 1, v7
	s_and_b64 s[2:3], s[0:1], s[2:3]
	s_xor_b64 s[2:3], s[2:3], -1
                                        ; implicit-def: $vgpr17
	s_and_saveexec_b64 s[8:9], s[2:3]
	s_xor_b64 s[2:3], exec, s[8:9]
; %bb.89:
	v_and_b32_e32 v7, 0xffff, v19
	v_cndmask_b32_e64 v17, v7, 1, s[0:1]
	v_cndmask_b32_e64 v2, v6, v2, s[0:1]
	;; [unrolled: 1-line block ×3, first 2 shown]
                                        ; implicit-def: $vgpr5_vgpr6
; %bb.90:
	s_andn2_saveexec_b64 s[2:3], s[2:3]
; %bb.91:
	v_cmp_lt_i64_e64 s[0:1], v[5:6], v[1:2]
	v_mov_b32_e32 v17, 1
	v_cndmask_b32_e64 v2, v2, v6, s[0:1]
	v_cndmask_b32_e64 v1, v1, v5, s[0:1]
; %bb.92:
	s_or_b64 exec, exec, s[2:3]
	s_or_b64 exec, exec, s[4:5]
	s_and_saveexec_b64 s[2:3], vcc
	s_cbranch_execz .LBB1253_98
.LBB1253_93:
	v_and_b32_e32 v5, 1, v17
	v_cmp_eq_u32_e32 vcc, 1, v5
	v_and_b32_e32 v5, 1, v18
	v_cmp_eq_u32_e64 s[0:1], 1, v5
	s_and_b64 s[0:1], vcc, s[0:1]
	s_xor_b64 s[0:1], s[0:1], -1
                                        ; implicit-def: $vgpr17
	s_and_saveexec_b64 s[4:5], s[0:1]
	s_xor_b64 s[0:1], exec, s[4:5]
; %bb.94:
	v_and_b32_e32 v5, 0xffff, v18
	v_cndmask_b32_e64 v17, v5, 1, vcc
	v_cndmask_b32_e32 v2, v4, v2, vcc
	v_cndmask_b32_e32 v1, v3, v1, vcc
                                        ; implicit-def: $vgpr3_vgpr4
; %bb.95:
	s_andn2_saveexec_b64 s[0:1], s[0:1]
; %bb.96:
	v_cmp_lt_i64_e32 vcc, v[3:4], v[1:2]
	v_mov_b32_e32 v17, 1
	v_cndmask_b32_e32 v2, v2, v4, vcc
	v_cndmask_b32_e32 v1, v1, v3, vcc
; %bb.97:
	s_or_b64 exec, exec, s[0:1]
.LBB1253_98:
	s_or_b64 exec, exec, s[2:3]
	v_mbcnt_lo_u32_b32 v3, -1, 0
	v_mbcnt_hi_u32_b32 v5, -1, v3
	v_and_b32_e32 v6, 63, v5
	v_cmp_ne_u32_e32 vcc, 63, v6
	v_addc_co_u32_e32 v3, vcc, 0, v5, vcc
	v_lshlrev_b32_e32 v4, 2, v3
	ds_bpermute_b32 v8, v4, v17
	ds_bpermute_b32 v3, v4, v1
	;; [unrolled: 1-line block ×3, first 2 shown]
	s_min_u32 s4, s35, 0x80
	v_and_b32_e32 v7, 64, v0
	v_sub_u32_e64 v7, s4, v7 clamp
	v_add_u32_e32 v9, 1, v6
	v_cmp_lt_u32_e32 vcc, v9, v7
	s_and_saveexec_b64 s[0:1], vcc
	s_xor_b64 s[0:1], exec, s[0:1]
	s_cbranch_execz .LBB1253_104
; %bb.99:
	s_waitcnt lgkmcnt(2)
	v_and_b32_e32 v9, v8, v17
	v_cmp_ne_u32_e32 vcc, 0, v9
	s_and_saveexec_b64 s[2:3], vcc
	s_xor_b64 s[2:3], exec, s[2:3]
	s_cbranch_execz .LBB1253_101
; %bb.100:
	s_waitcnt lgkmcnt(0)
	v_cmp_lt_i64_e32 vcc, v[3:4], v[1:2]
                                        ; implicit-def: $vgpr17
                                        ; implicit-def: $vgpr8
	v_cndmask_b32_e32 v2, v2, v4, vcc
	v_cndmask_b32_e32 v1, v1, v3, vcc
                                        ; implicit-def: $vgpr3_vgpr4
.LBB1253_101:
	s_or_saveexec_b64 s[2:3], s[2:3]
	v_mov_b32_e32 v9, 1
	s_xor_b64 exec, exec, s[2:3]
	s_cbranch_execz .LBB1253_103
; %bb.102:
	v_and_b32_e32 v9, 1, v17
	v_cmp_eq_u32_e32 vcc, 1, v9
	s_waitcnt lgkmcnt(1)
	v_cndmask_b32_e32 v1, v3, v1, vcc
	v_and_b32_e32 v3, 0xff, v8
	s_waitcnt lgkmcnt(0)
	v_cndmask_b32_e32 v2, v4, v2, vcc
	v_cndmask_b32_e64 v9, v3, 1, vcc
.LBB1253_103:
	s_or_b64 exec, exec, s[2:3]
	v_mov_b32_e32 v17, v9
.LBB1253_104:
	s_or_b64 exec, exec, s[0:1]
	v_cmp_gt_u32_e32 vcc, 62, v6
	s_waitcnt lgkmcnt(1)
	v_cndmask_b32_e64 v3, 0, 2, vcc
	s_waitcnt lgkmcnt(0)
	v_add_lshl_u32 v4, v3, v5, 2
	ds_bpermute_b32 v8, v4, v17
	ds_bpermute_b32 v3, v4, v1
	ds_bpermute_b32 v4, v4, v2
	v_add_u32_e32 v9, 2, v6
	v_cmp_lt_u32_e32 vcc, v9, v7
	s_and_saveexec_b64 s[0:1], vcc
	s_cbranch_execz .LBB1253_110
; %bb.105:
	s_waitcnt lgkmcnt(2)
	v_and_b32_e32 v9, v17, v8
	v_and_b32_e32 v9, 1, v9
	v_cmp_eq_u32_e32 vcc, 1, v9
	s_and_saveexec_b64 s[2:3], vcc
	s_xor_b64 s[2:3], exec, s[2:3]
	s_cbranch_execz .LBB1253_107
; %bb.106:
	s_waitcnt lgkmcnt(0)
	v_cmp_lt_i64_e32 vcc, v[3:4], v[1:2]
                                        ; implicit-def: $vgpr17
                                        ; implicit-def: $vgpr8
	v_cndmask_b32_e32 v2, v2, v4, vcc
	v_cndmask_b32_e32 v1, v1, v3, vcc
                                        ; implicit-def: $vgpr3_vgpr4
.LBB1253_107:
	s_or_saveexec_b64 s[2:3], s[2:3]
	v_mov_b32_e32 v9, 1
	s_xor_b64 exec, exec, s[2:3]
	s_cbranch_execz .LBB1253_109
; %bb.108:
	v_and_b32_e32 v9, 1, v17
	v_cmp_eq_u32_e32 vcc, 1, v9
	s_waitcnt lgkmcnt(1)
	v_cndmask_b32_e32 v1, v3, v1, vcc
	v_and_b32_e32 v3, 0xff, v8
	s_waitcnt lgkmcnt(0)
	v_cndmask_b32_e32 v2, v4, v2, vcc
	v_cndmask_b32_e64 v9, v3, 1, vcc
.LBB1253_109:
	s_or_b64 exec, exec, s[2:3]
	v_mov_b32_e32 v17, v9
.LBB1253_110:
	s_or_b64 exec, exec, s[0:1]
	v_cmp_gt_u32_e32 vcc, 60, v6
	s_waitcnt lgkmcnt(1)
	v_cndmask_b32_e64 v3, 0, 4, vcc
	s_waitcnt lgkmcnt(0)
	v_add_lshl_u32 v4, v3, v5, 2
	ds_bpermute_b32 v8, v4, v17
	ds_bpermute_b32 v3, v4, v1
	ds_bpermute_b32 v4, v4, v2
	v_add_u32_e32 v9, 4, v6
	v_cmp_lt_u32_e32 vcc, v9, v7
	s_and_saveexec_b64 s[0:1], vcc
	s_cbranch_execz .LBB1253_116
; %bb.111:
	s_waitcnt lgkmcnt(2)
	v_and_b32_e32 v9, v17, v8
	v_and_b32_e32 v9, 1, v9
	v_cmp_eq_u32_e32 vcc, 1, v9
	s_and_saveexec_b64 s[2:3], vcc
	s_xor_b64 s[2:3], exec, s[2:3]
	s_cbranch_execz .LBB1253_113
; %bb.112:
	s_waitcnt lgkmcnt(0)
	v_cmp_lt_i64_e32 vcc, v[3:4], v[1:2]
                                        ; implicit-def: $vgpr17
                                        ; implicit-def: $vgpr8
	v_cndmask_b32_e32 v2, v2, v4, vcc
	v_cndmask_b32_e32 v1, v1, v3, vcc
                                        ; implicit-def: $vgpr3_vgpr4
.LBB1253_113:
	s_or_saveexec_b64 s[2:3], s[2:3]
	v_mov_b32_e32 v9, 1
	s_xor_b64 exec, exec, s[2:3]
	s_cbranch_execz .LBB1253_115
; %bb.114:
	v_and_b32_e32 v9, 1, v17
	v_cmp_eq_u32_e32 vcc, 1, v9
	s_waitcnt lgkmcnt(1)
	v_cndmask_b32_e32 v1, v3, v1, vcc
	v_and_b32_e32 v3, 0xff, v8
	s_waitcnt lgkmcnt(0)
	v_cndmask_b32_e32 v2, v4, v2, vcc
	v_cndmask_b32_e64 v9, v3, 1, vcc
.LBB1253_115:
	s_or_b64 exec, exec, s[2:3]
	v_mov_b32_e32 v17, v9
.LBB1253_116:
	;; [unrolled: 47-line block ×4, first 2 shown]
	s_or_b64 exec, exec, s[0:1]
	s_waitcnt lgkmcnt(2)
	v_lshlrev_b32_e32 v8, 2, v5
	s_waitcnt lgkmcnt(0)
	v_or_b32_e32 v4, 0x80, v8
	ds_bpermute_b32 v9, v4, v17
	ds_bpermute_b32 v3, v4, v1
	ds_bpermute_b32 v4, v4, v2
	v_add_u32_e32 v6, 32, v6
	v_cmp_lt_u32_e32 vcc, v6, v7
	v_mov_b32_e32 v6, v17
	s_and_saveexec_b64 s[0:1], vcc
	s_cbranch_execz .LBB1253_134
; %bb.129:
	s_waitcnt lgkmcnt(2)
	v_and_b32_e32 v6, v17, v9
	v_and_b32_e32 v6, 1, v6
	v_cmp_eq_u32_e32 vcc, 1, v6
	s_and_saveexec_b64 s[2:3], vcc
	s_xor_b64 s[2:3], exec, s[2:3]
	s_cbranch_execz .LBB1253_131
; %bb.130:
	s_waitcnt lgkmcnt(0)
	v_cmp_lt_i64_e32 vcc, v[3:4], v[1:2]
                                        ; implicit-def: $vgpr17
                                        ; implicit-def: $vgpr9
	v_cndmask_b32_e32 v2, v2, v4, vcc
	v_cndmask_b32_e32 v1, v1, v3, vcc
                                        ; implicit-def: $vgpr3_vgpr4
.LBB1253_131:
	s_or_saveexec_b64 s[2:3], s[2:3]
	v_mov_b32_e32 v6, 1
	s_xor_b64 exec, exec, s[2:3]
	s_cbranch_execz .LBB1253_133
; %bb.132:
	v_and_b32_e32 v6, 1, v17
	v_cmp_eq_u32_e32 vcc, 1, v6
	v_cndmask_b32_e64 v6, v9, 1, vcc
	s_waitcnt lgkmcnt(0)
	v_cndmask_b32_e32 v2, v4, v2, vcc
	v_cndmask_b32_e32 v1, v3, v1, vcc
.LBB1253_133:
	s_or_b64 exec, exec, s[2:3]
	v_and_b32_e32 v17, 0xff, v6
.LBB1253_134:
	s_or_b64 exec, exec, s[0:1]
	v_cmp_eq_u32_e32 vcc, 0, v5
	s_and_saveexec_b64 s[0:1], vcc
	s_cbranch_execz .LBB1253_136
; %bb.135:
	s_waitcnt lgkmcnt(1)
	v_lshrrev_b32_e32 v3, 2, v0
	v_and_b32_e32 v3, 16, v3
	ds_write_b8 v3, v6 offset:128
	ds_write_b64 v3, v[1:2] offset:136
.LBB1253_136:
	s_or_b64 exec, exec, s[0:1]
	v_cmp_gt_u32_e32 vcc, 2, v0
	s_waitcnt lgkmcnt(0)
	s_barrier
	s_and_saveexec_b64 s[0:1], vcc
	s_cbranch_execz .LBB1253_144
; %bb.137:
	v_lshlrev_b32_e32 v1, 4, v5
	ds_read_u8 v6, v1 offset:128
	ds_read_b64 v[1:2], v1 offset:136
	v_or_b32_e32 v4, 4, v8
	s_add_i32 s4, s4, 63
	v_and_b32_e32 v5, 1, v5
	s_waitcnt lgkmcnt(1)
	v_and_b32_e32 v17, 0xff, v6
	s_waitcnt lgkmcnt(0)
	ds_bpermute_b32 v3, v4, v1
	ds_bpermute_b32 v7, v4, v17
	;; [unrolled: 1-line block ×3, first 2 shown]
	s_lshr_b32 s2, s4, 6
	v_add_u32_e32 v5, 1, v5
	v_cmp_gt_u32_e32 vcc, s2, v5
	s_and_saveexec_b64 s[2:3], vcc
	s_cbranch_execz .LBB1253_143
; %bb.138:
	s_waitcnt lgkmcnt(1)
	v_and_b32_e32 v5, v17, v7
	v_and_b32_e32 v5, 1, v5
	v_cmp_eq_u32_e32 vcc, 1, v5
	s_and_saveexec_b64 s[4:5], vcc
	s_xor_b64 s[4:5], exec, s[4:5]
	s_cbranch_execz .LBB1253_140
; %bb.139:
	s_waitcnt lgkmcnt(0)
	v_cmp_lt_i64_e32 vcc, v[3:4], v[1:2]
                                        ; implicit-def: $vgpr6
                                        ; implicit-def: $vgpr7
	v_cndmask_b32_e32 v2, v2, v4, vcc
	v_cndmask_b32_e32 v1, v1, v3, vcc
                                        ; implicit-def: $vgpr3_vgpr4
.LBB1253_140:
	s_or_saveexec_b64 s[4:5], s[4:5]
	v_mov_b32_e32 v17, 1
	s_xor_b64 exec, exec, s[4:5]
	s_cbranch_execz .LBB1253_142
; %bb.141:
	v_and_b32_e32 v5, 1, v6
	v_cmp_eq_u32_e32 vcc, 1, v5
	s_waitcnt lgkmcnt(0)
	v_cndmask_b32_e32 v2, v4, v2, vcc
	v_cndmask_b32_e32 v1, v3, v1, vcc
	v_cndmask_b32_e64 v17, v7, 1, vcc
.LBB1253_142:
	s_or_b64 exec, exec, s[4:5]
.LBB1253_143:
	s_or_b64 exec, exec, s[2:3]
.LBB1253_144:
	s_or_b64 exec, exec, s[0:1]
.LBB1253_145:
	v_cmp_eq_u32_e32 vcc, 0, v0
	s_mov_b64 s[12:13], 0
                                        ; implicit-def: $vgpr3_vgpr4
                                        ; implicit-def: $vgpr5
	s_and_saveexec_b64 s[0:1], vcc
	s_xor_b64 s[4:5], exec, s[0:1]
	s_cbranch_execz .LBB1253_149
; %bb.146:
	s_waitcnt lgkmcnt(0)
	v_mov_b32_e32 v3, s24
	s_cmp_eq_u64 s[20:21], 0
	v_mov_b32_e32 v4, s25
	v_mov_b32_e32 v5, s33
	s_cbranch_scc1 .LBB1253_148
; %bb.147:
	v_and_b32_e32 v3, 1, v17
	v_cmp_gt_i64_e64 s[0:1], s[24:25], v[1:2]
	s_bitcmp1_b32 s33, 0
	v_cmp_eq_u32_e32 vcc, 1, v3
	s_cselect_b64 s[2:3], -1, 0
	v_mov_b32_e32 v3, s24
	s_and_b64 vcc, vcc, s[0:1]
	v_mov_b32_e32 v4, s25
	v_cndmask_b32_e32 v3, v3, v1, vcc
	v_cndmask_b32_e32 v4, v4, v2, vcc
	v_cndmask_b32_e64 v5, v17, 1, s[2:3]
	v_cndmask_b32_e64 v4, v2, v4, s[2:3]
	;; [unrolled: 1-line block ×3, first 2 shown]
.LBB1253_148:
	s_mov_b64 s[12:13], exec
.LBB1253_149:
	s_or_b64 exec, exec, s[4:5]
	v_mov_b32_e32 v1, s6
	v_mov_b32_e32 v2, s7
	s_and_b64 vcc, exec, s[28:29]
	s_cbranch_vccnz .LBB1253_16
.LBB1253_150:
	s_branch .LBB1253_306
.LBB1253_151:
	v_lshlrev_b32_e32 v3, 3, v0
	global_load_dwordx2 v[14:15], v3, s[14:15] offset:3072
	v_mov_b32_e32 v4, s30
	v_add_co_u32_e64 v3, s[4:5], s29, v13
	v_addc_co_u32_e64 v4, s[4:5], 0, v4, s[4:5]
	s_waitcnt vmcnt(0)
	v_cmp_eq_u64_e64 s[4:5], s[16:17], v[14:15]
	v_cndmask_b32_e64 v10, 0, 1, s[4:5]
	s_or_b64 exec, exec, s[8:9]
	s_and_saveexec_b64 s[8:9], s[2:3]
	s_cbranch_execz .LBB1253_60
.LBB1253_152:
	v_and_b32_e32 v9, 1, v9
	v_cmp_eq_u32_e64 s[2:3], 1, v9
	v_and_b32_e32 v9, 1, v12
	v_cmp_eq_u32_e64 s[4:5], 1, v9
	s_and_b64 s[4:5], s[2:3], s[4:5]
	s_xor_b64 s[4:5], s[4:5], -1
                                        ; implicit-def: $vgpr9
	s_and_saveexec_b64 s[14:15], s[4:5]
	s_xor_b64 s[4:5], exec, s[14:15]
; %bb.153:
	v_and_b32_e32 v9, 0xffff, v12
	v_cndmask_b32_e64 v9, v9, 1, s[2:3]
	v_cndmask_b32_e64 v2, v8, v2, s[2:3]
	;; [unrolled: 1-line block ×3, first 2 shown]
                                        ; implicit-def: $vgpr7_vgpr8
; %bb.154:
	s_andn2_saveexec_b64 s[4:5], s[4:5]
; %bb.155:
	v_cmp_lt_i64_e64 s[2:3], v[7:8], v[1:2]
	v_mov_b32_e32 v9, 1
	v_cndmask_b32_e64 v2, v2, v8, s[2:3]
	v_cndmask_b32_e64 v1, v1, v7, s[2:3]
; %bb.156:
	s_or_b64 exec, exec, s[4:5]
	s_or_b64 exec, exec, s[8:9]
	s_and_saveexec_b64 s[4:5], s[0:1]
	s_cbranch_execz .LBB1253_61
.LBB1253_157:
	v_and_b32_e32 v7, 1, v9
	v_cmp_eq_u32_e64 s[0:1], 1, v7
	v_and_b32_e32 v7, 1, v11
	v_cmp_eq_u32_e64 s[2:3], 1, v7
	s_and_b64 s[2:3], s[0:1], s[2:3]
	s_xor_b64 s[2:3], s[2:3], -1
                                        ; implicit-def: $vgpr9
	s_and_saveexec_b64 s[8:9], s[2:3]
	s_xor_b64 s[2:3], exec, s[8:9]
; %bb.158:
	v_and_b32_e32 v7, 0xffff, v11
	v_cndmask_b32_e64 v9, v7, 1, s[0:1]
	v_cndmask_b32_e64 v2, v6, v2, s[0:1]
	;; [unrolled: 1-line block ×3, first 2 shown]
                                        ; implicit-def: $vgpr5_vgpr6
; %bb.159:
	s_andn2_saveexec_b64 s[2:3], s[2:3]
; %bb.160:
	v_cmp_lt_i64_e64 s[0:1], v[5:6], v[1:2]
	v_mov_b32_e32 v9, 1
	v_cndmask_b32_e64 v2, v2, v6, s[0:1]
	v_cndmask_b32_e64 v1, v1, v5, s[0:1]
; %bb.161:
	s_or_b64 exec, exec, s[2:3]
	s_or_b64 exec, exec, s[4:5]
	s_and_saveexec_b64 s[2:3], vcc
	s_cbranch_execz .LBB1253_167
.LBB1253_162:
	v_and_b32_e32 v5, 1, v9
	v_cmp_eq_u32_e32 vcc, 1, v5
	v_and_b32_e32 v5, 1, v10
	v_cmp_eq_u32_e64 s[0:1], 1, v5
	s_and_b64 s[0:1], vcc, s[0:1]
	s_xor_b64 s[0:1], s[0:1], -1
                                        ; implicit-def: $vgpr9
	s_and_saveexec_b64 s[4:5], s[0:1]
	s_xor_b64 s[0:1], exec, s[4:5]
; %bb.163:
	v_and_b32_e32 v5, 0xffff, v10
	v_cndmask_b32_e64 v9, v5, 1, vcc
	v_cndmask_b32_e32 v2, v4, v2, vcc
	v_cndmask_b32_e32 v1, v3, v1, vcc
                                        ; implicit-def: $vgpr3_vgpr4
; %bb.164:
	s_andn2_saveexec_b64 s[0:1], s[0:1]
; %bb.165:
	v_cmp_lt_i64_e32 vcc, v[3:4], v[1:2]
	v_mov_b32_e32 v9, 1
	v_cndmask_b32_e32 v2, v2, v4, vcc
	v_cndmask_b32_e32 v1, v1, v3, vcc
; %bb.166:
	s_or_b64 exec, exec, s[0:1]
.LBB1253_167:
	s_or_b64 exec, exec, s[2:3]
	v_mbcnt_lo_u32_b32 v3, -1, 0
	v_mbcnt_hi_u32_b32 v5, -1, v3
	v_and_b32_e32 v6, 63, v5
	v_cmp_ne_u32_e32 vcc, 63, v6
	v_addc_co_u32_e32 v3, vcc, 0, v5, vcc
	v_lshlrev_b32_e32 v4, 2, v3
	ds_bpermute_b32 v8, v4, v9
	ds_bpermute_b32 v3, v4, v1
	;; [unrolled: 1-line block ×3, first 2 shown]
	s_min_u32 s4, s10, 0x80
	v_and_b32_e32 v7, 64, v0
	v_sub_u32_e64 v7, s4, v7 clamp
	v_add_u32_e32 v10, 1, v6
	v_cmp_lt_u32_e32 vcc, v10, v7
	s_and_saveexec_b64 s[0:1], vcc
	s_xor_b64 s[0:1], exec, s[0:1]
	s_cbranch_execz .LBB1253_173
; %bb.168:
	s_waitcnt lgkmcnt(2)
	v_and_b32_e32 v10, v8, v9
	v_cmp_ne_u32_e32 vcc, 0, v10
	s_and_saveexec_b64 s[2:3], vcc
	s_xor_b64 s[2:3], exec, s[2:3]
	s_cbranch_execz .LBB1253_170
; %bb.169:
	s_waitcnt lgkmcnt(0)
	v_cmp_lt_i64_e32 vcc, v[3:4], v[1:2]
                                        ; implicit-def: $vgpr9
                                        ; implicit-def: $vgpr8
	v_cndmask_b32_e32 v2, v2, v4, vcc
	v_cndmask_b32_e32 v1, v1, v3, vcc
                                        ; implicit-def: $vgpr3_vgpr4
.LBB1253_170:
	s_or_saveexec_b64 s[2:3], s[2:3]
	v_mov_b32_e32 v10, 1
	s_xor_b64 exec, exec, s[2:3]
	s_cbranch_execz .LBB1253_172
; %bb.171:
	v_and_b32_e32 v9, 1, v9
	v_cmp_eq_u32_e32 vcc, 1, v9
	s_waitcnt lgkmcnt(1)
	v_cndmask_b32_e32 v1, v3, v1, vcc
	v_and_b32_e32 v3, 0xff, v8
	s_waitcnt lgkmcnt(0)
	v_cndmask_b32_e32 v2, v4, v2, vcc
	v_cndmask_b32_e64 v10, v3, 1, vcc
.LBB1253_172:
	s_or_b64 exec, exec, s[2:3]
	v_mov_b32_e32 v9, v10
.LBB1253_173:
	s_or_b64 exec, exec, s[0:1]
	v_cmp_gt_u32_e32 vcc, 62, v6
	s_waitcnt lgkmcnt(1)
	v_cndmask_b32_e64 v3, 0, 2, vcc
	s_waitcnt lgkmcnt(0)
	v_add_lshl_u32 v4, v3, v5, 2
	ds_bpermute_b32 v8, v4, v9
	ds_bpermute_b32 v3, v4, v1
	ds_bpermute_b32 v4, v4, v2
	v_add_u32_e32 v10, 2, v6
	v_cmp_lt_u32_e32 vcc, v10, v7
	s_and_saveexec_b64 s[0:1], vcc
	s_cbranch_execz .LBB1253_179
; %bb.174:
	s_waitcnt lgkmcnt(2)
	v_and_b32_e32 v10, v9, v8
	v_and_b32_e32 v10, 1, v10
	v_cmp_eq_u32_e32 vcc, 1, v10
	s_and_saveexec_b64 s[2:3], vcc
	s_xor_b64 s[2:3], exec, s[2:3]
	s_cbranch_execz .LBB1253_176
; %bb.175:
	s_waitcnt lgkmcnt(0)
	v_cmp_lt_i64_e32 vcc, v[3:4], v[1:2]
                                        ; implicit-def: $vgpr9
                                        ; implicit-def: $vgpr8
	v_cndmask_b32_e32 v2, v2, v4, vcc
	v_cndmask_b32_e32 v1, v1, v3, vcc
                                        ; implicit-def: $vgpr3_vgpr4
.LBB1253_176:
	s_or_saveexec_b64 s[2:3], s[2:3]
	v_mov_b32_e32 v10, 1
	s_xor_b64 exec, exec, s[2:3]
	s_cbranch_execz .LBB1253_178
; %bb.177:
	v_and_b32_e32 v9, 1, v9
	v_cmp_eq_u32_e32 vcc, 1, v9
	s_waitcnt lgkmcnt(1)
	v_cndmask_b32_e32 v1, v3, v1, vcc
	v_and_b32_e32 v3, 0xff, v8
	s_waitcnt lgkmcnt(0)
	v_cndmask_b32_e32 v2, v4, v2, vcc
	v_cndmask_b32_e64 v10, v3, 1, vcc
.LBB1253_178:
	s_or_b64 exec, exec, s[2:3]
	v_mov_b32_e32 v9, v10
.LBB1253_179:
	s_or_b64 exec, exec, s[0:1]
	v_cmp_gt_u32_e32 vcc, 60, v6
	s_waitcnt lgkmcnt(1)
	v_cndmask_b32_e64 v3, 0, 4, vcc
	s_waitcnt lgkmcnt(0)
	v_add_lshl_u32 v4, v3, v5, 2
	ds_bpermute_b32 v8, v4, v9
	ds_bpermute_b32 v3, v4, v1
	ds_bpermute_b32 v4, v4, v2
	v_add_u32_e32 v10, 4, v6
	v_cmp_lt_u32_e32 vcc, v10, v7
	s_and_saveexec_b64 s[0:1], vcc
	s_cbranch_execz .LBB1253_185
; %bb.180:
	s_waitcnt lgkmcnt(2)
	v_and_b32_e32 v10, v9, v8
	v_and_b32_e32 v10, 1, v10
	v_cmp_eq_u32_e32 vcc, 1, v10
	s_and_saveexec_b64 s[2:3], vcc
	s_xor_b64 s[2:3], exec, s[2:3]
	s_cbranch_execz .LBB1253_182
; %bb.181:
	s_waitcnt lgkmcnt(0)
	v_cmp_lt_i64_e32 vcc, v[3:4], v[1:2]
                                        ; implicit-def: $vgpr9
                                        ; implicit-def: $vgpr8
	v_cndmask_b32_e32 v2, v2, v4, vcc
	v_cndmask_b32_e32 v1, v1, v3, vcc
                                        ; implicit-def: $vgpr3_vgpr4
.LBB1253_182:
	s_or_saveexec_b64 s[2:3], s[2:3]
	v_mov_b32_e32 v10, 1
	s_xor_b64 exec, exec, s[2:3]
	s_cbranch_execz .LBB1253_184
; %bb.183:
	v_and_b32_e32 v9, 1, v9
	v_cmp_eq_u32_e32 vcc, 1, v9
	s_waitcnt lgkmcnt(1)
	v_cndmask_b32_e32 v1, v3, v1, vcc
	v_and_b32_e32 v3, 0xff, v8
	s_waitcnt lgkmcnt(0)
	v_cndmask_b32_e32 v2, v4, v2, vcc
	v_cndmask_b32_e64 v10, v3, 1, vcc
.LBB1253_184:
	s_or_b64 exec, exec, s[2:3]
	v_mov_b32_e32 v9, v10
.LBB1253_185:
	;; [unrolled: 47-line block ×4, first 2 shown]
	s_or_b64 exec, exec, s[0:1]
	s_waitcnt lgkmcnt(2)
	v_lshlrev_b32_e32 v8, 2, v5
	s_waitcnt lgkmcnt(0)
	v_or_b32_e32 v4, 0x80, v8
	ds_bpermute_b32 v10, v4, v9
	ds_bpermute_b32 v3, v4, v1
	;; [unrolled: 1-line block ×3, first 2 shown]
	v_add_u32_e32 v6, 32, v6
	v_cmp_lt_u32_e32 vcc, v6, v7
	v_mov_b32_e32 v6, v9
	s_and_saveexec_b64 s[0:1], vcc
	s_cbranch_execz .LBB1253_203
; %bb.198:
	s_waitcnt lgkmcnt(2)
	v_and_b32_e32 v6, v9, v10
	v_and_b32_e32 v6, 1, v6
	v_cmp_eq_u32_e32 vcc, 1, v6
	s_and_saveexec_b64 s[2:3], vcc
	s_xor_b64 s[2:3], exec, s[2:3]
	s_cbranch_execz .LBB1253_200
; %bb.199:
	s_waitcnt lgkmcnt(0)
	v_cmp_lt_i64_e32 vcc, v[3:4], v[1:2]
                                        ; implicit-def: $vgpr9
                                        ; implicit-def: $vgpr10
	v_cndmask_b32_e32 v2, v2, v4, vcc
	v_cndmask_b32_e32 v1, v1, v3, vcc
                                        ; implicit-def: $vgpr3_vgpr4
.LBB1253_200:
	s_or_saveexec_b64 s[2:3], s[2:3]
	v_mov_b32_e32 v6, 1
	s_xor_b64 exec, exec, s[2:3]
	s_cbranch_execz .LBB1253_202
; %bb.201:
	v_and_b32_e32 v6, 1, v9
	v_cmp_eq_u32_e32 vcc, 1, v6
	v_cndmask_b32_e64 v6, v10, 1, vcc
	s_waitcnt lgkmcnt(0)
	v_cndmask_b32_e32 v2, v4, v2, vcc
	v_cndmask_b32_e32 v1, v3, v1, vcc
.LBB1253_202:
	s_or_b64 exec, exec, s[2:3]
	v_and_b32_e32 v9, 0xff, v6
.LBB1253_203:
	s_or_b64 exec, exec, s[0:1]
	v_cmp_eq_u32_e32 vcc, 0, v5
	s_and_saveexec_b64 s[0:1], vcc
	s_cbranch_execz .LBB1253_205
; %bb.204:
	s_waitcnt lgkmcnt(1)
	v_lshrrev_b32_e32 v3, 2, v0
	v_and_b32_e32 v3, 16, v3
	ds_write_b8 v3, v6 offset:128
	ds_write_b64 v3, v[1:2] offset:136
.LBB1253_205:
	s_or_b64 exec, exec, s[0:1]
	v_cmp_gt_u32_e32 vcc, 2, v0
	s_waitcnt lgkmcnt(0)
	s_barrier
	s_and_saveexec_b64 s[0:1], vcc
	s_cbranch_execz .LBB1253_213
; %bb.206:
	v_lshlrev_b32_e32 v1, 4, v5
	ds_read_u8 v6, v1 offset:128
	ds_read_b64 v[1:2], v1 offset:136
	v_or_b32_e32 v4, 4, v8
	s_add_i32 s4, s4, 63
	v_and_b32_e32 v5, 1, v5
	s_waitcnt lgkmcnt(1)
	v_and_b32_e32 v9, 0xff, v6
	s_waitcnt lgkmcnt(0)
	ds_bpermute_b32 v3, v4, v1
	ds_bpermute_b32 v7, v4, v9
	;; [unrolled: 1-line block ×3, first 2 shown]
	s_lshr_b32 s2, s4, 6
	v_add_u32_e32 v5, 1, v5
	v_cmp_gt_u32_e32 vcc, s2, v5
	s_and_saveexec_b64 s[2:3], vcc
	s_cbranch_execz .LBB1253_212
; %bb.207:
	s_waitcnt lgkmcnt(1)
	v_and_b32_e32 v5, v9, v7
	v_and_b32_e32 v5, 1, v5
	v_cmp_eq_u32_e32 vcc, 1, v5
	s_and_saveexec_b64 s[4:5], vcc
	s_xor_b64 s[4:5], exec, s[4:5]
	s_cbranch_execz .LBB1253_209
; %bb.208:
	s_waitcnt lgkmcnt(0)
	v_cmp_lt_i64_e32 vcc, v[3:4], v[1:2]
                                        ; implicit-def: $vgpr6
                                        ; implicit-def: $vgpr7
	v_cndmask_b32_e32 v2, v2, v4, vcc
	v_cndmask_b32_e32 v1, v1, v3, vcc
                                        ; implicit-def: $vgpr3_vgpr4
.LBB1253_209:
	s_or_saveexec_b64 s[4:5], s[4:5]
	v_mov_b32_e32 v9, 1
	s_xor_b64 exec, exec, s[4:5]
	s_cbranch_execz .LBB1253_211
; %bb.210:
	v_and_b32_e32 v5, 1, v6
	v_cmp_eq_u32_e32 vcc, 1, v5
	s_waitcnt lgkmcnt(0)
	v_cndmask_b32_e32 v2, v4, v2, vcc
	v_cndmask_b32_e32 v1, v3, v1, vcc
	v_cndmask_b32_e64 v9, v7, 1, vcc
.LBB1253_211:
	s_or_b64 exec, exec, s[4:5]
.LBB1253_212:
	s_or_b64 exec, exec, s[2:3]
.LBB1253_213:
	s_or_b64 exec, exec, s[0:1]
.LBB1253_214:
	v_cmp_eq_u32_e32 vcc, 0, v0
                                        ; implicit-def: $vgpr3_vgpr4
                                        ; implicit-def: $vgpr5
	s_and_saveexec_b64 s[0:1], vcc
	s_xor_b64 s[4:5], exec, s[0:1]
	s_cbranch_execz .LBB1253_218
; %bb.215:
	s_waitcnt lgkmcnt(0)
	v_mov_b32_e32 v3, s24
	s_cmp_eq_u64 s[20:21], 0
	v_mov_b32_e32 v4, s25
	v_mov_b32_e32 v5, s33
	s_cbranch_scc1 .LBB1253_217
; %bb.216:
	v_and_b32_e32 v3, 1, v9
	v_cmp_gt_i64_e64 s[0:1], s[24:25], v[1:2]
	s_bitcmp1_b32 s33, 0
	v_cmp_eq_u32_e32 vcc, 1, v3
	s_cselect_b64 s[2:3], -1, 0
	v_mov_b32_e32 v3, s24
	s_and_b64 vcc, vcc, s[0:1]
	v_mov_b32_e32 v4, s25
	v_cndmask_b32_e32 v3, v3, v1, vcc
	v_cndmask_b32_e32 v4, v4, v2, vcc
	v_cndmask_b32_e64 v5, v9, 1, s[2:3]
	v_cndmask_b32_e64 v4, v2, v4, s[2:3]
	;; [unrolled: 1-line block ×3, first 2 shown]
.LBB1253_217:
	s_or_b64 s[12:13], s[12:13], exec
.LBB1253_218:
	s_or_b64 exec, exec, s[4:5]
	v_mov_b32_e32 v1, s6
	v_mov_b32_e32 v2, s7
	s_branch .LBB1253_306
.LBB1253_219:
	s_cmp_gt_i32 s34, 1
	s_cbranch_scc0 .LBB1253_231
; %bb.220:
	s_cmp_eq_u32 s34, 2
	s_cbranch_scc0 .LBB1253_232
; %bb.221:
	s_mov_b32 s7, 0
	s_lshl_b32 s28, s6, 8
	s_mov_b32 s29, s7
	s_lshr_b64 s[0:1], s[20:21], 8
	s_lshl_b64 s[2:3], s[28:29], 3
	s_add_u32 s14, s26, s2
	s_addc_u32 s15, s27, s3
	s_add_u32 s29, s18, s28
	s_addc_u32 s30, s19, 0
	s_cmp_lg_u64 s[0:1], s[6:7]
	s_cbranch_scc0 .LBB1253_233
; %bb.222:
	s_waitcnt lgkmcnt(2)
	v_lshlrev_b32_e32 v3, 3, v0
	global_load_dwordx2 v[1:2], v3, s[14:15] offset:1024
	s_waitcnt lgkmcnt(0)
	global_load_dwordx2 v[6:7], v3, s[14:15]
	v_mov_b32_e32 v3, s30
	v_add_co_u32_e32 v8, vcc, s29, v0
	v_addc_co_u32_e32 v9, vcc, 0, v3, vcc
	v_mbcnt_lo_u32_b32 v4, -1, 0
	v_add_co_u32_e32 v10, vcc, 0x80, v8
	v_mbcnt_hi_u32_b32 v3, -1, v4
	v_addc_co_u32_e32 v4, vcc, 0, v9, vcc
	v_lshlrev_b32_e32 v5, 2, v3
	v_or_b32_e32 v11, 0xfc, v5
	s_waitcnt vmcnt(1)
	v_cmp_eq_u64_e32 vcc, s[16:17], v[1:2]
	s_waitcnt vmcnt(0)
	v_cmp_eq_u64_e64 s[0:1], s[16:17], v[6:7]
	v_cndmask_b32_e64 v2, v4, v9, s[0:1]
	v_cndmask_b32_e64 v1, v10, v8, s[0:1]
	s_nop 0
	v_mov_b32_dpp v7, v2 quad_perm:[1,0,3,2] row_mask:0xf bank_mask:0xf bound_ctrl:1
	s_or_b64 s[0:1], s[0:1], vcc
	v_mov_b32_dpp v6, v1 quad_perm:[1,0,3,2] row_mask:0xf bank_mask:0xf bound_ctrl:1
	v_cndmask_b32_e64 v4, 0, 1, s[0:1]
	v_cmp_lt_i64_e32 vcc, v[1:2], v[6:7]
	s_and_b64 vcc, s[0:1], vcc
	v_mov_b32_dpp v8, v4 quad_perm:[1,0,3,2] row_mask:0xf bank_mask:0xf bound_ctrl:1
	v_and_b32_e32 v8, 1, v8
	v_cndmask_b32_e32 v6, v6, v1, vcc
	v_cndmask_b32_e32 v7, v7, v2, vcc
	v_cmp_eq_u32_e32 vcc, 1, v8
	v_cndmask_b32_e32 v2, v2, v7, vcc
	v_cndmask_b32_e32 v1, v1, v6, vcc
	v_cndmask_b32_e64 v4, v4, 1, vcc
	v_mov_b32_dpp v7, v2 quad_perm:[2,3,0,1] row_mask:0xf bank_mask:0xf bound_ctrl:1
	v_mov_b32_dpp v6, v1 quad_perm:[2,3,0,1] row_mask:0xf bank_mask:0xf bound_ctrl:1
	v_and_b32_e32 v9, 1, v4
	v_cmp_lt_i64_e64 s[0:1], v[1:2], v[6:7]
	v_mov_b32_dpp v8, v4 quad_perm:[2,3,0,1] row_mask:0xf bank_mask:0xf bound_ctrl:1
	v_cmp_eq_u32_e32 vcc, 1, v9
	v_and_b32_e32 v8, 1, v8
	s_and_b64 vcc, vcc, s[0:1]
	v_cmp_eq_u32_e64 s[2:3], 1, v8
	v_cndmask_b32_e32 v6, v6, v1, vcc
	v_cndmask_b32_e32 v7, v7, v2, vcc
	v_cndmask_b32_e64 v1, v1, v6, s[2:3]
	v_cndmask_b32_e64 v2, v2, v7, s[2:3]
	;; [unrolled: 1-line block ×3, first 2 shown]
	v_mov_b32_dpp v6, v1 row_ror:4 row_mask:0xf bank_mask:0xf bound_ctrl:1
	v_mov_b32_dpp v7, v2 row_ror:4 row_mask:0xf bank_mask:0xf bound_ctrl:1
	v_and_b32_e32 v9, 1, v4
	v_cmp_lt_i64_e64 s[2:3], v[1:2], v[6:7]
	v_mov_b32_dpp v8, v4 row_ror:4 row_mask:0xf bank_mask:0xf bound_ctrl:1
	v_cmp_eq_u32_e32 vcc, 1, v9
	v_and_b32_e32 v8, 1, v8
	s_and_b64 vcc, vcc, s[2:3]
	v_cmp_eq_u32_e64 s[0:1], 1, v8
	v_cndmask_b32_e32 v6, v6, v1, vcc
	v_cndmask_b32_e32 v7, v7, v2, vcc
	v_cndmask_b32_e64 v1, v1, v6, s[0:1]
	v_cndmask_b32_e64 v2, v2, v7, s[0:1]
	v_cndmask_b32_e64 v4, v4, 1, s[0:1]
	v_mov_b32_dpp v6, v1 row_ror:8 row_mask:0xf bank_mask:0xf bound_ctrl:1
	v_mov_b32_dpp v7, v2 row_ror:8 row_mask:0xf bank_mask:0xf bound_ctrl:1
	v_and_b32_e32 v9, 1, v4
	v_cmp_lt_i64_e64 s[2:3], v[1:2], v[6:7]
	v_mov_b32_dpp v8, v4 row_ror:8 row_mask:0xf bank_mask:0xf bound_ctrl:1
	v_cmp_eq_u32_e64 s[4:5], 1, v9
	v_and_b32_e32 v8, 1, v8
	s_and_b64 s[2:3], s[4:5], s[2:3]
	v_cmp_eq_u32_e64 s[8:9], 1, v8
	v_cndmask_b32_e64 v6, v6, v1, s[2:3]
	v_cndmask_b32_e64 v7, v7, v2, s[2:3]
	;; [unrolled: 1-line block ×5, first 2 shown]
	v_mov_b32_dpp v8, v4 row_bcast:15 row_mask:0xf bank_mask:0xf bound_ctrl:1
	v_mov_b32_dpp v6, v1 row_bcast:15 row_mask:0xf bank_mask:0xf bound_ctrl:1
	;; [unrolled: 1-line block ×3, first 2 shown]
	v_and_b32_e32 v9, 1, v4
	v_and_b32_e32 v8, 1, v8
	v_cmp_lt_i64_e64 s[2:3], v[1:2], v[6:7]
	v_cmp_eq_u32_e32 vcc, 1, v9
	v_cmp_eq_u32_e64 s[0:1], 1, v8
	v_cndmask_b32_e64 v4, v4, 1, s[0:1]
	s_and_b64 vcc, vcc, s[2:3]
	v_cndmask_b32_e32 v6, v6, v1, vcc
	v_mov_b32_dpp v8, v4 row_bcast:31 row_mask:0xf bank_mask:0xf bound_ctrl:1
	v_cndmask_b32_e32 v7, v7, v2, vcc
	v_and_b32_e32 v9, 1, v4
	v_and_b32_e32 v8, 1, v8
	v_cndmask_b32_e64 v1, v1, v6, s[0:1]
	v_cndmask_b32_e64 v2, v2, v7, s[0:1]
	v_cmp_eq_u32_e64 s[10:11], 1, v9
	v_cmp_eq_u32_e64 s[4:5], 1, v8
	v_mov_b32_dpp v8, v1 row_bcast:31 row_mask:0xf bank_mask:0xf bound_ctrl:1
	v_mov_b32_dpp v9, v2 row_bcast:31 row_mask:0xf bank_mask:0xf bound_ctrl:1
	v_cmp_lt_i64_e32 vcc, v[1:2], v[8:9]
	v_cndmask_b32_e64 v4, v4, 1, s[4:5]
	s_and_b64 vcc, s[10:11], vcc
	ds_bpermute_b32 v7, v11, v4
	v_cndmask_b32_e32 v4, v8, v1, vcc
	v_cndmask_b32_e32 v6, v9, v2, vcc
	v_cndmask_b32_e64 v1, v1, v4, s[4:5]
	v_cndmask_b32_e64 v2, v2, v6, s[4:5]
	ds_bpermute_b32 v1, v11, v1
	ds_bpermute_b32 v2, v11, v2
	v_cmp_eq_u32_e32 vcc, 0, v3
	s_and_saveexec_b64 s[0:1], vcc
	s_cbranch_execz .LBB1253_224
; %bb.223:
	v_lshrrev_b32_e32 v4, 2, v0
	v_and_b32_e32 v4, 16, v4
	s_waitcnt lgkmcnt(2)
	ds_write_b8 v4, v7 offset:32
	s_waitcnt lgkmcnt(1)
	ds_write_b64 v4, v[1:2] offset:40
.LBB1253_224:
	s_or_b64 exec, exec, s[0:1]
	v_cmp_gt_u32_e32 vcc, 64, v0
	s_waitcnt lgkmcnt(0)
	s_barrier
	s_and_saveexec_b64 s[0:1], vcc
	s_cbranch_execz .LBB1253_230
; %bb.225:
	v_and_b32_e32 v1, 1, v3
	v_lshlrev_b32_e32 v1, 4, v1
	ds_read_u8 v8, v1 offset:32
	ds_read_b64 v[3:4], v1 offset:40
	v_or_b32_e32 v2, 4, v5
	s_waitcnt lgkmcnt(1)
	v_and_b32_e32 v1, 0xff, v8
	ds_bpermute_b32 v9, v2, v1
	s_waitcnt lgkmcnt(1)
	ds_bpermute_b32 v5, v2, v3
	ds_bpermute_b32 v6, v2, v4
	s_waitcnt lgkmcnt(2)
	v_and_b32_e32 v1, v8, v9
	v_and_b32_e32 v1, 1, v1
	v_cmp_eq_u32_e32 vcc, 1, v1
                                        ; implicit-def: $vgpr1_vgpr2
	s_and_saveexec_b64 s[2:3], vcc
	s_xor_b64 s[2:3], exec, s[2:3]
	s_cbranch_execz .LBB1253_227
; %bb.226:
	s_waitcnt lgkmcnt(0)
	v_cmp_lt_i64_e32 vcc, v[5:6], v[3:4]
                                        ; implicit-def: $vgpr8
                                        ; implicit-def: $vgpr9
	v_cndmask_b32_e32 v2, v4, v6, vcc
	v_cndmask_b32_e32 v1, v3, v5, vcc
                                        ; implicit-def: $vgpr5_vgpr6
                                        ; implicit-def: $vgpr3_vgpr4
.LBB1253_227:
	s_or_saveexec_b64 s[2:3], s[2:3]
	v_mov_b32_e32 v7, 1
	s_xor_b64 exec, exec, s[2:3]
	s_cbranch_execz .LBB1253_229
; %bb.228:
	v_and_b32_e32 v1, 1, v8
	v_cmp_eq_u32_e32 vcc, 1, v1
	s_waitcnt lgkmcnt(0)
	v_cndmask_b32_e32 v2, v6, v4, vcc
	v_cndmask_b32_e32 v1, v5, v3, vcc
	v_cndmask_b32_e64 v7, v9, 1, vcc
.LBB1253_229:
	s_or_b64 exec, exec, s[2:3]
.LBB1253_230:
	s_or_b64 exec, exec, s[0:1]
	s_branch .LBB1253_285
.LBB1253_231:
                                        ; implicit-def: $vgpr3_vgpr4
                                        ; implicit-def: $vgpr5
                                        ; implicit-def: $vgpr1_vgpr2
	s_cbranch_execnz .LBB1253_290
	s_branch .LBB1253_306
.LBB1253_232:
                                        ; implicit-def: $vgpr3_vgpr4
                                        ; implicit-def: $vgpr5
                                        ; implicit-def: $vgpr1_vgpr2
	s_branch .LBB1253_306
.LBB1253_233:
                                        ; implicit-def: $vgpr1_vgpr2
                                        ; implicit-def: $vgpr7
	s_cbranch_execz .LBB1253_285
; %bb.234:
	s_sub_i32 s8, s20, s28
	s_waitcnt lgkmcnt(0)
	v_mov_b32_e32 v3, 0
	v_mov_b32_e32 v1, 0
	v_cmp_gt_u32_e32 vcc, s8, v0
	v_mov_b32_e32 v5, 0
	v_mov_b32_e32 v4, 0
	;; [unrolled: 1-line block ×4, first 2 shown]
	s_and_saveexec_b64 s[0:1], vcc
	s_cbranch_execz .LBB1253_236
; %bb.235:
	v_lshlrev_b32_e32 v1, 3, v0
	global_load_dwordx2 v[6:7], v1, s[14:15]
	v_mov_b32_e32 v2, s30
	v_add_co_u32_e32 v1, vcc, s29, v0
	v_addc_co_u32_e32 v2, vcc, 0, v2, vcc
	s_waitcnt vmcnt(0)
	v_cmp_eq_u64_e32 vcc, s[16:17], v[6:7]
	v_cndmask_b32_e64 v6, 0, 1, vcc
.LBB1253_236:
	s_or_b64 exec, exec, s[0:1]
	v_or_b32_e32 v7, 0x80, v0
	v_cmp_gt_u32_e32 vcc, s8, v7
	s_and_saveexec_b64 s[2:3], vcc
	s_cbranch_execz .LBB1253_238
; %bb.237:
	v_lshlrev_b32_e32 v3, 3, v0
	global_load_dwordx2 v[8:9], v3, s[14:15] offset:1024
	v_mov_b32_e32 v4, s30
	v_add_co_u32_e64 v3, s[0:1], s29, v7
	v_addc_co_u32_e64 v4, s[0:1], 0, v4, s[0:1]
	s_waitcnt vmcnt(0)
	v_cmp_eq_u64_e64 s[0:1], s[16:17], v[8:9]
	v_cndmask_b32_e64 v5, 0, 1, s[0:1]
.LBB1253_238:
	s_or_b64 exec, exec, s[2:3]
	v_and_b32_e32 v8, 0xffff, v5
	v_and_b32_e32 v5, 1, v5
	v_cmp_lt_i64_e64 s[2:3], v[3:4], v[1:2]
	v_cmp_eq_u32_e64 s[0:1], 1, v5
	v_and_b32_e32 v5, 1, v6
	v_cmp_eq_u32_e64 s[4:5], 1, v5
	s_and_b64 s[0:1], s[0:1], s[2:3]
	v_cndmask_b32_e64 v5, v8, 1, s[4:5]
	v_cndmask_b32_e64 v8, v1, v3, s[0:1]
	;; [unrolled: 1-line block ×3, first 2 shown]
	v_and_b32_e32 v7, 0xffff, v6
	v_cndmask_b32_e32 v1, v1, v3, vcc
	v_mbcnt_lo_u32_b32 v3, -1, 0
	v_cndmask_b32_e64 v6, v2, v4, s[0:1]
	v_cndmask_b32_e32 v7, v7, v5, vcc
	v_mbcnt_hi_u32_b32 v5, -1, v3
	v_cndmask_b32_e64 v4, v4, v6, s[4:5]
	v_and_b32_e32 v6, 63, v5
	v_cndmask_b32_e32 v2, v2, v4, vcc
	v_cmp_ne_u32_e32 vcc, 63, v6
	v_addc_co_u32_e32 v3, vcc, 0, v5, vcc
	v_lshlrev_b32_e32 v4, 2, v3
	ds_bpermute_b32 v9, v4, v7
	ds_bpermute_b32 v3, v4, v1
	;; [unrolled: 1-line block ×3, first 2 shown]
	s_min_u32 s4, s8, 0x80
	v_and_b32_e32 v8, 64, v0
	v_sub_u32_e64 v8, s4, v8 clamp
	v_add_u32_e32 v10, 1, v6
	v_cmp_lt_u32_e32 vcc, v10, v8
	s_and_saveexec_b64 s[0:1], vcc
	s_cbranch_execz .LBB1253_244
; %bb.239:
	s_waitcnt lgkmcnt(2)
	v_and_b32_e32 v10, v9, v7
	v_cmp_ne_u32_e32 vcc, 0, v10
	s_and_saveexec_b64 s[2:3], vcc
	s_xor_b64 s[2:3], exec, s[2:3]
	s_cbranch_execz .LBB1253_241
; %bb.240:
	s_waitcnt lgkmcnt(0)
	v_cmp_lt_i64_e32 vcc, v[3:4], v[1:2]
                                        ; implicit-def: $vgpr7
                                        ; implicit-def: $vgpr9
	v_cndmask_b32_e32 v2, v2, v4, vcc
	v_cndmask_b32_e32 v1, v1, v3, vcc
                                        ; implicit-def: $vgpr3_vgpr4
.LBB1253_241:
	s_or_saveexec_b64 s[2:3], s[2:3]
	v_mov_b32_e32 v10, 1
	s_xor_b64 exec, exec, s[2:3]
	s_cbranch_execz .LBB1253_243
; %bb.242:
	v_and_b32_e32 v7, 1, v7
	v_cmp_eq_u32_e32 vcc, 1, v7
	s_waitcnt lgkmcnt(1)
	v_cndmask_b32_e32 v1, v3, v1, vcc
	v_and_b32_e32 v3, 0xff, v9
	s_waitcnt lgkmcnt(0)
	v_cndmask_b32_e32 v2, v4, v2, vcc
	v_cndmask_b32_e64 v10, v3, 1, vcc
.LBB1253_243:
	s_or_b64 exec, exec, s[2:3]
	v_mov_b32_e32 v7, v10
.LBB1253_244:
	s_or_b64 exec, exec, s[0:1]
	v_cmp_gt_u32_e32 vcc, 62, v6
	s_waitcnt lgkmcnt(1)
	v_cndmask_b32_e64 v3, 0, 2, vcc
	s_waitcnt lgkmcnt(0)
	v_add_lshl_u32 v4, v3, v5, 2
	ds_bpermute_b32 v9, v4, v7
	ds_bpermute_b32 v3, v4, v1
	ds_bpermute_b32 v4, v4, v2
	v_add_u32_e32 v10, 2, v6
	v_cmp_lt_u32_e32 vcc, v10, v8
	s_and_saveexec_b64 s[0:1], vcc
	s_cbranch_execz .LBB1253_250
; %bb.245:
	s_waitcnt lgkmcnt(2)
	v_and_b32_e32 v10, v7, v9
	v_and_b32_e32 v10, 1, v10
	v_cmp_eq_u32_e32 vcc, 1, v10
	s_and_saveexec_b64 s[2:3], vcc
	s_xor_b64 s[2:3], exec, s[2:3]
	s_cbranch_execz .LBB1253_247
; %bb.246:
	s_waitcnt lgkmcnt(0)
	v_cmp_lt_i64_e32 vcc, v[3:4], v[1:2]
                                        ; implicit-def: $vgpr7
                                        ; implicit-def: $vgpr9
	v_cndmask_b32_e32 v2, v2, v4, vcc
	v_cndmask_b32_e32 v1, v1, v3, vcc
                                        ; implicit-def: $vgpr3_vgpr4
.LBB1253_247:
	s_or_saveexec_b64 s[2:3], s[2:3]
	v_mov_b32_e32 v10, 1
	s_xor_b64 exec, exec, s[2:3]
	s_cbranch_execz .LBB1253_249
; %bb.248:
	v_and_b32_e32 v7, 1, v7
	v_cmp_eq_u32_e32 vcc, 1, v7
	s_waitcnt lgkmcnt(1)
	v_cndmask_b32_e32 v1, v3, v1, vcc
	v_and_b32_e32 v3, 0xff, v9
	s_waitcnt lgkmcnt(0)
	v_cndmask_b32_e32 v2, v4, v2, vcc
	v_cndmask_b32_e64 v10, v3, 1, vcc
.LBB1253_249:
	s_or_b64 exec, exec, s[2:3]
	v_mov_b32_e32 v7, v10
.LBB1253_250:
	s_or_b64 exec, exec, s[0:1]
	v_cmp_gt_u32_e32 vcc, 60, v6
	s_waitcnt lgkmcnt(1)
	v_cndmask_b32_e64 v3, 0, 4, vcc
	s_waitcnt lgkmcnt(0)
	v_add_lshl_u32 v4, v3, v5, 2
	ds_bpermute_b32 v9, v4, v7
	ds_bpermute_b32 v3, v4, v1
	ds_bpermute_b32 v4, v4, v2
	v_add_u32_e32 v10, 4, v6
	v_cmp_lt_u32_e32 vcc, v10, v8
	s_and_saveexec_b64 s[0:1], vcc
	s_cbranch_execz .LBB1253_256
; %bb.251:
	s_waitcnt lgkmcnt(2)
	v_and_b32_e32 v10, v7, v9
	v_and_b32_e32 v10, 1, v10
	v_cmp_eq_u32_e32 vcc, 1, v10
	s_and_saveexec_b64 s[2:3], vcc
	s_xor_b64 s[2:3], exec, s[2:3]
	s_cbranch_execz .LBB1253_253
; %bb.252:
	s_waitcnt lgkmcnt(0)
	v_cmp_lt_i64_e32 vcc, v[3:4], v[1:2]
                                        ; implicit-def: $vgpr7
                                        ; implicit-def: $vgpr9
	v_cndmask_b32_e32 v2, v2, v4, vcc
	v_cndmask_b32_e32 v1, v1, v3, vcc
                                        ; implicit-def: $vgpr3_vgpr4
.LBB1253_253:
	s_or_saveexec_b64 s[2:3], s[2:3]
	v_mov_b32_e32 v10, 1
	s_xor_b64 exec, exec, s[2:3]
	s_cbranch_execz .LBB1253_255
; %bb.254:
	v_and_b32_e32 v7, 1, v7
	v_cmp_eq_u32_e32 vcc, 1, v7
	s_waitcnt lgkmcnt(1)
	v_cndmask_b32_e32 v1, v3, v1, vcc
	v_and_b32_e32 v3, 0xff, v9
	s_waitcnt lgkmcnt(0)
	v_cndmask_b32_e32 v2, v4, v2, vcc
	v_cndmask_b32_e64 v10, v3, 1, vcc
.LBB1253_255:
	s_or_b64 exec, exec, s[2:3]
	v_mov_b32_e32 v7, v10
.LBB1253_256:
	;; [unrolled: 47-line block ×4, first 2 shown]
	s_or_b64 exec, exec, s[0:1]
	s_waitcnt lgkmcnt(2)
	v_lshlrev_b32_e32 v9, 2, v5
	s_waitcnt lgkmcnt(0)
	v_or_b32_e32 v4, 0x80, v9
	ds_bpermute_b32 v10, v4, v7
	ds_bpermute_b32 v3, v4, v1
	;; [unrolled: 1-line block ×3, first 2 shown]
	v_add_u32_e32 v6, 32, v6
	v_cmp_lt_u32_e32 vcc, v6, v8
	v_mov_b32_e32 v6, v7
	s_and_saveexec_b64 s[0:1], vcc
	s_cbranch_execz .LBB1253_274
; %bb.269:
	s_waitcnt lgkmcnt(2)
	v_and_b32_e32 v6, v7, v10
	v_and_b32_e32 v6, 1, v6
	v_cmp_eq_u32_e32 vcc, 1, v6
	s_and_saveexec_b64 s[2:3], vcc
	s_xor_b64 s[2:3], exec, s[2:3]
	s_cbranch_execz .LBB1253_271
; %bb.270:
	s_waitcnt lgkmcnt(0)
	v_cmp_lt_i64_e32 vcc, v[3:4], v[1:2]
                                        ; implicit-def: $vgpr7
                                        ; implicit-def: $vgpr10
	v_cndmask_b32_e32 v2, v2, v4, vcc
	v_cndmask_b32_e32 v1, v1, v3, vcc
                                        ; implicit-def: $vgpr3_vgpr4
.LBB1253_271:
	s_or_saveexec_b64 s[2:3], s[2:3]
	v_mov_b32_e32 v6, 1
	s_xor_b64 exec, exec, s[2:3]
	s_cbranch_execz .LBB1253_273
; %bb.272:
	v_and_b32_e32 v6, 1, v7
	v_cmp_eq_u32_e32 vcc, 1, v6
	v_cndmask_b32_e64 v6, v10, 1, vcc
	s_waitcnt lgkmcnt(0)
	v_cndmask_b32_e32 v2, v4, v2, vcc
	v_cndmask_b32_e32 v1, v3, v1, vcc
.LBB1253_273:
	s_or_b64 exec, exec, s[2:3]
	v_and_b32_e32 v7, 0xff, v6
.LBB1253_274:
	s_or_b64 exec, exec, s[0:1]
	v_cmp_eq_u32_e32 vcc, 0, v5
	s_and_saveexec_b64 s[0:1], vcc
	s_cbranch_execz .LBB1253_276
; %bb.275:
	s_waitcnt lgkmcnt(1)
	v_lshrrev_b32_e32 v3, 2, v0
	v_and_b32_e32 v3, 16, v3
	ds_write_b8 v3, v6 offset:128
	ds_write_b64 v3, v[1:2] offset:136
.LBB1253_276:
	s_or_b64 exec, exec, s[0:1]
	v_cmp_gt_u32_e32 vcc, 2, v0
	s_waitcnt lgkmcnt(0)
	s_barrier
	s_and_saveexec_b64 s[0:1], vcc
	s_cbranch_execz .LBB1253_284
; %bb.277:
	v_lshlrev_b32_e32 v1, 4, v5
	ds_read_u8 v6, v1 offset:128
	ds_read_b64 v[1:2], v1 offset:136
	v_or_b32_e32 v4, 4, v9
	s_add_i32 s4, s4, 63
	v_and_b32_e32 v5, 1, v5
	s_waitcnt lgkmcnt(1)
	v_and_b32_e32 v7, 0xff, v6
	s_waitcnt lgkmcnt(0)
	ds_bpermute_b32 v3, v4, v1
	ds_bpermute_b32 v8, v4, v7
	;; [unrolled: 1-line block ×3, first 2 shown]
	s_lshr_b32 s2, s4, 6
	v_add_u32_e32 v5, 1, v5
	v_cmp_gt_u32_e32 vcc, s2, v5
	s_and_saveexec_b64 s[2:3], vcc
	s_cbranch_execz .LBB1253_283
; %bb.278:
	s_waitcnt lgkmcnt(1)
	v_and_b32_e32 v5, v7, v8
	v_and_b32_e32 v5, 1, v5
	v_cmp_eq_u32_e32 vcc, 1, v5
	s_and_saveexec_b64 s[4:5], vcc
	s_xor_b64 s[4:5], exec, s[4:5]
	s_cbranch_execz .LBB1253_280
; %bb.279:
	s_waitcnt lgkmcnt(0)
	v_cmp_lt_i64_e32 vcc, v[3:4], v[1:2]
                                        ; implicit-def: $vgpr6
                                        ; implicit-def: $vgpr8
	v_cndmask_b32_e32 v2, v2, v4, vcc
	v_cndmask_b32_e32 v1, v1, v3, vcc
                                        ; implicit-def: $vgpr3_vgpr4
.LBB1253_280:
	s_or_saveexec_b64 s[4:5], s[4:5]
	v_mov_b32_e32 v7, 1
	s_xor_b64 exec, exec, s[4:5]
	s_cbranch_execz .LBB1253_282
; %bb.281:
	v_and_b32_e32 v5, 1, v6
	v_cmp_eq_u32_e32 vcc, 1, v5
	s_waitcnt lgkmcnt(0)
	v_cndmask_b32_e32 v2, v4, v2, vcc
	v_cndmask_b32_e32 v1, v3, v1, vcc
	v_cndmask_b32_e64 v7, v8, 1, vcc
.LBB1253_282:
	s_or_b64 exec, exec, s[4:5]
.LBB1253_283:
	s_or_b64 exec, exec, s[2:3]
.LBB1253_284:
	s_or_b64 exec, exec, s[0:1]
.LBB1253_285:
	v_cmp_eq_u32_e32 vcc, 0, v0
                                        ; implicit-def: $vgpr3_vgpr4
                                        ; implicit-def: $vgpr5
	s_and_saveexec_b64 s[0:1], vcc
	s_xor_b64 s[4:5], exec, s[0:1]
	s_cbranch_execz .LBB1253_289
; %bb.286:
	s_waitcnt lgkmcnt(0)
	v_mov_b32_e32 v3, s24
	s_cmp_eq_u64 s[20:21], 0
	v_mov_b32_e32 v4, s25
	v_mov_b32_e32 v5, s33
	s_cbranch_scc1 .LBB1253_288
; %bb.287:
	v_and_b32_e32 v3, 1, v7
	v_cmp_gt_i64_e64 s[0:1], s[24:25], v[1:2]
	s_bitcmp1_b32 s33, 0
	v_cmp_eq_u32_e32 vcc, 1, v3
	s_cselect_b64 s[2:3], -1, 0
	v_mov_b32_e32 v3, s24
	s_and_b64 vcc, vcc, s[0:1]
	v_mov_b32_e32 v4, s25
	v_cndmask_b32_e32 v3, v3, v1, vcc
	v_cndmask_b32_e32 v4, v4, v2, vcc
	v_cndmask_b32_e64 v5, v7, 1, s[2:3]
	v_cndmask_b32_e64 v4, v2, v4, s[2:3]
	;; [unrolled: 1-line block ×3, first 2 shown]
.LBB1253_288:
	s_or_b64 s[12:13], s[12:13], exec
.LBB1253_289:
	s_or_b64 exec, exec, s[4:5]
	v_mov_b32_e32 v1, s6
	v_mov_b32_e32 v2, s7
	s_branch .LBB1253_306
.LBB1253_290:
	s_cmp_eq_u32 s34, 1
	s_cbranch_scc0 .LBB1253_305
; %bb.291:
	s_mov_b32 s5, 0
	s_lshl_b32 s4, s6, 7
	s_mov_b32 s7, s5
	s_lshr_b64 s[0:1], s[20:21], 7
	s_cmp_lg_u64 s[0:1], s[6:7]
	s_cbranch_scc0 .LBB1253_309
; %bb.292:
	s_lshl_b64 s[0:1], s[4:5], 3
	s_add_u32 s0, s26, s0
	s_addc_u32 s1, s27, s1
	v_lshlrev_b32_e32 v1, 3, v0
	global_load_dwordx2 v[1:2], v1, s[0:1]
	s_add_u32 s0, s18, s4
	s_addc_u32 s1, s19, 0
	s_waitcnt lgkmcnt(0)
	v_mov_b32_e32 v4, s1
	v_add_co_u32_e32 v3, vcc, s0, v0
	v_addc_co_u32_e32 v4, vcc, 0, v4, vcc
	s_nop 0
	v_mov_b32_dpp v5, v3 quad_perm:[1,0,3,2] row_mask:0xf bank_mask:0xf bound_ctrl:1
	v_mov_b32_dpp v6, v4 quad_perm:[1,0,3,2] row_mask:0xf bank_mask:0xf bound_ctrl:1
	v_cmp_lt_i64_e32 vcc, v[3:4], v[5:6]
                                        ; implicit-def: $vgpr7
	s_waitcnt vmcnt(0)
	v_cmp_eq_u64_e64 s[0:1], s[16:17], v[1:2]
	v_cndmask_b32_e64 v1, 0, 1, s[0:1]
	s_and_b64 vcc, s[0:1], vcc
	s_nop 0
	v_mov_b32_dpp v1, v1 quad_perm:[1,0,3,2] row_mask:0xf bank_mask:0xf bound_ctrl:1
	v_and_b32_e32 v1, 1, v1
	v_cndmask_b32_e32 v2, v5, v3, vcc
	v_cndmask_b32_e32 v5, v6, v4, vcc
	v_cmp_eq_u32_e32 vcc, 1, v1
	s_or_b64 s[0:1], vcc, s[0:1]
	v_cndmask_b32_e64 v1, 0, 1, s[0:1]
	v_cndmask_b32_e32 v4, v4, v5, vcc
	v_cndmask_b32_e32 v3, v3, v2, vcc
	v_mov_b32_dpp v1, v1 quad_perm:[2,3,0,1] row_mask:0xf bank_mask:0xf bound_ctrl:1
	v_and_b32_e32 v1, 1, v1
	v_cmp_eq_u32_e32 vcc, 1, v1
	s_and_b64 s[2:3], vcc, s[0:1]
	v_mov_b32_dpp v5, v3 quad_perm:[2,3,0,1] row_mask:0xf bank_mask:0xf bound_ctrl:1
	v_mov_b32_dpp v6, v4 quad_perm:[2,3,0,1] row_mask:0xf bank_mask:0xf bound_ctrl:1
	s_xor_b64 s[2:3], s[2:3], -1
                                        ; implicit-def: $vgpr1_vgpr2
	s_and_saveexec_b64 s[8:9], s[2:3]
	s_xor_b64 s[2:3], exec, s[8:9]
; %bb.293:
	s_or_b64 s[0:1], vcc, s[0:1]
	v_cndmask_b32_e32 v2, v4, v6, vcc
	v_cndmask_b32_e32 v1, v3, v5, vcc
	v_cndmask_b32_e64 v7, 0, 1, s[0:1]
                                        ; implicit-def: $vgpr3_vgpr4
                                        ; implicit-def: $vgpr5_vgpr6
; %bb.294:
	s_andn2_saveexec_b64 s[0:1], s[2:3]
; %bb.295:
	v_cmp_lt_i64_e32 vcc, v[3:4], v[5:6]
	v_mov_b32_e32 v7, 1
	v_cndmask_b32_e32 v2, v6, v4, vcc
	v_cndmask_b32_e32 v1, v5, v3, vcc
; %bb.296:
	s_or_b64 exec, exec, s[0:1]
	s_nop 0
	v_mov_b32_dpp v4, v1 row_ror:4 row_mask:0xf bank_mask:0xf bound_ctrl:1
	v_mov_b32_dpp v5, v2 row_ror:4 row_mask:0xf bank_mask:0xf bound_ctrl:1
	v_and_b32_e32 v8, 1, v7
	v_cmp_lt_i64_e64 s[0:1], v[1:2], v[4:5]
	v_mov_b32_dpp v6, v7 row_ror:4 row_mask:0xf bank_mask:0xf bound_ctrl:1
	v_cmp_eq_u32_e32 vcc, 1, v8
	v_and_b32_e32 v6, 1, v6
	s_and_b64 vcc, vcc, s[0:1]
	v_cmp_eq_u32_e64 s[2:3], 1, v6
	v_cndmask_b32_e32 v4, v4, v1, vcc
	v_cndmask_b32_e32 v5, v5, v2, vcc
	v_cndmask_b32_e64 v2, v2, v5, s[2:3]
	v_cndmask_b32_e64 v1, v1, v4, s[2:3]
	;; [unrolled: 1-line block ×3, first 2 shown]
	v_mov_b32_dpp v5, v2 row_ror:8 row_mask:0xf bank_mask:0xf bound_ctrl:1
	v_mov_b32_dpp v4, v1 row_ror:8 row_mask:0xf bank_mask:0xf bound_ctrl:1
	v_and_b32_e32 v8, 1, v6
	v_cmp_lt_i64_e64 s[0:1], v[1:2], v[4:5]
	v_mov_b32_dpp v7, v6 row_ror:8 row_mask:0xf bank_mask:0xf bound_ctrl:1
	v_cmp_eq_u32_e32 vcc, 1, v8
	v_and_b32_e32 v7, 1, v7
	s_and_b64 vcc, vcc, s[0:1]
	v_cmp_eq_u32_e64 s[2:3], 1, v7
	v_cndmask_b32_e32 v4, v4, v1, vcc
	v_cndmask_b32_e32 v5, v5, v2, vcc
	v_cndmask_b32_e64 v2, v2, v5, s[2:3]
	v_cndmask_b32_e64 v1, v1, v4, s[2:3]
	;; [unrolled: 1-line block ×3, first 2 shown]
	v_mov_b32_dpp v5, v2 row_bcast:15 row_mask:0xf bank_mask:0xf bound_ctrl:1
	v_mov_b32_dpp v4, v1 row_bcast:15 row_mask:0xf bank_mask:0xf bound_ctrl:1
	v_and_b32_e32 v8, 1, v6
	v_cmp_lt_i64_e64 s[0:1], v[1:2], v[4:5]
	v_mov_b32_dpp v7, v6 row_bcast:15 row_mask:0xf bank_mask:0xf bound_ctrl:1
	v_cmp_eq_u32_e32 vcc, 1, v8
	v_and_b32_e32 v7, 1, v7
	s_and_b64 vcc, vcc, s[0:1]
	v_cmp_eq_u32_e64 s[2:3], 1, v7
	v_cndmask_b32_e32 v4, v4, v1, vcc
	v_cndmask_b32_e32 v5, v5, v2, vcc
	v_cndmask_b32_e64 v2, v2, v5, s[2:3]
	v_cndmask_b32_e64 v1, v1, v4, s[2:3]
	;; [unrolled: 1-line block ×3, first 2 shown]
	v_mov_b32_dpp v5, v2 row_bcast:31 row_mask:0xf bank_mask:0xf bound_ctrl:1
	v_mov_b32_dpp v4, v1 row_bcast:31 row_mask:0xf bank_mask:0xf bound_ctrl:1
	v_and_b32_e32 v8, 1, v6
	v_cmp_lt_i64_e64 s[0:1], v[1:2], v[4:5]
	v_mov_b32_dpp v7, v6 row_bcast:31 row_mask:0xf bank_mask:0xf bound_ctrl:1
	v_cmp_eq_u32_e32 vcc, 1, v8
	v_mbcnt_lo_u32_b32 v3, -1, 0
	v_and_b32_e32 v7, 1, v7
	s_and_b64 vcc, vcc, s[0:1]
	v_mbcnt_hi_u32_b32 v3, -1, v3
	v_cmp_eq_u32_e64 s[2:3], 1, v7
	v_cndmask_b32_e32 v5, v5, v2, vcc
	v_cndmask_b32_e32 v4, v4, v1, vcc
	v_cndmask_b32_e64 v2, v2, v5, s[2:3]
	v_lshlrev_b32_e32 v5, 2, v3
	v_cndmask_b32_e64 v6, v6, 1, s[2:3]
	v_cndmask_b32_e64 v1, v1, v4, s[2:3]
	v_or_b32_e32 v4, 0xfc, v5
	ds_bpermute_b32 v7, v4, v6
	ds_bpermute_b32 v1, v4, v1
	ds_bpermute_b32 v2, v4, v2
	v_cmp_eq_u32_e32 vcc, 0, v3
	s_and_saveexec_b64 s[0:1], vcc
	s_cbranch_execz .LBB1253_298
; %bb.297:
	v_lshrrev_b32_e32 v4, 2, v0
	v_and_b32_e32 v4, 16, v4
	s_waitcnt lgkmcnt(2)
	ds_write_b8 v4, v7
	s_waitcnt lgkmcnt(1)
	ds_write_b64 v4, v[1:2] offset:8
.LBB1253_298:
	s_or_b64 exec, exec, s[0:1]
	v_cmp_gt_u32_e32 vcc, 64, v0
	s_waitcnt lgkmcnt(0)
	s_barrier
	s_and_saveexec_b64 s[0:1], vcc
	s_cbranch_execz .LBB1253_304
; %bb.299:
	v_and_b32_e32 v1, 1, v3
	v_lshlrev_b32_e32 v1, 4, v1
	ds_read_u8 v8, v1
	ds_read_b64 v[3:4], v1 offset:8
	v_or_b32_e32 v2, 4, v5
	s_waitcnt lgkmcnt(1)
	v_and_b32_e32 v1, 0xff, v8
	ds_bpermute_b32 v9, v2, v1
	s_waitcnt lgkmcnt(1)
	ds_bpermute_b32 v5, v2, v3
	ds_bpermute_b32 v6, v2, v4
	s_waitcnt lgkmcnt(2)
	v_and_b32_e32 v1, v8, v9
	v_and_b32_e32 v1, 1, v1
	v_cmp_eq_u32_e32 vcc, 1, v1
                                        ; implicit-def: $vgpr1_vgpr2
	s_and_saveexec_b64 s[2:3], vcc
	s_xor_b64 s[2:3], exec, s[2:3]
	s_cbranch_execz .LBB1253_301
; %bb.300:
	s_waitcnt lgkmcnt(0)
	v_cmp_lt_i64_e32 vcc, v[5:6], v[3:4]
                                        ; implicit-def: $vgpr8
                                        ; implicit-def: $vgpr9
	v_cndmask_b32_e32 v2, v4, v6, vcc
	v_cndmask_b32_e32 v1, v3, v5, vcc
                                        ; implicit-def: $vgpr5_vgpr6
                                        ; implicit-def: $vgpr3_vgpr4
.LBB1253_301:
	s_or_saveexec_b64 s[2:3], s[2:3]
	v_mov_b32_e32 v7, 1
	s_xor_b64 exec, exec, s[2:3]
	s_cbranch_execz .LBB1253_303
; %bb.302:
	v_and_b32_e32 v1, 1, v8
	v_cmp_eq_u32_e32 vcc, 1, v1
	s_waitcnt lgkmcnt(0)
	v_cndmask_b32_e32 v2, v6, v4, vcc
	v_cndmask_b32_e32 v1, v5, v3, vcc
	v_cndmask_b32_e64 v7, v9, 1, vcc
.LBB1253_303:
	s_or_b64 exec, exec, s[2:3]
.LBB1253_304:
	s_or_b64 exec, exec, s[0:1]
	s_branch .LBB1253_359
.LBB1253_305:
                                        ; implicit-def: $vgpr3_vgpr4
                                        ; implicit-def: $vgpr5
                                        ; implicit-def: $vgpr1_vgpr2
.LBB1253_306:
	s_and_saveexec_b64 s[0:1], s[12:13]
	s_cbranch_execz .LBB1253_308
.LBB1253_307:
	v_lshlrev_b64 v[0:1], 4, v[1:2]
	v_mov_b32_e32 v2, s23
	v_add_co_u32_e32 v0, vcc, s22, v0
	v_addc_co_u32_e32 v1, vcc, v2, v1, vcc
	s_waitcnt lgkmcnt(1)
	global_store_byte v[0:1], v5, off
	s_waitcnt lgkmcnt(0)
	global_store_dwordx2 v[0:1], v[3:4], off offset:8
.LBB1253_308:
	s_endpgm
.LBB1253_309:
                                        ; implicit-def: $vgpr1_vgpr2
                                        ; implicit-def: $vgpr7
	s_cbranch_execz .LBB1253_359
; %bb.310:
	s_sub_i32 s2, s20, s4
	v_mov_b32_e32 v1, 0
	v_cmp_gt_u32_e32 vcc, s2, v0
	v_mov_b32_e32 v2, 0
	v_mov_b32_e32 v9, 0
	s_and_saveexec_b64 s[0:1], vcc
	s_cbranch_execz .LBB1253_312
; %bb.311:
	s_lshl_b64 s[8:9], s[4:5], 3
	s_add_u32 s8, s26, s8
	s_addc_u32 s9, s27, s9
	v_lshlrev_b32_e32 v1, 3, v0
	s_waitcnt lgkmcnt(0)
	global_load_dwordx2 v[3:4], v1, s[8:9]
	s_add_u32 s3, s18, s4
	s_addc_u32 s4, s19, 0
	v_mov_b32_e32 v2, s4
	v_add_co_u32_e32 v1, vcc, s3, v0
	v_addc_co_u32_e32 v2, vcc, 0, v2, vcc
	s_waitcnt vmcnt(0)
	v_cmp_eq_u64_e32 vcc, s[16:17], v[3:4]
	v_cndmask_b32_e64 v9, 0, 1, vcc
.LBB1253_312:
	s_or_b64 exec, exec, s[0:1]
	s_waitcnt lgkmcnt(2)
	v_mbcnt_lo_u32_b32 v3, -1, 0
	s_waitcnt lgkmcnt(1)
	v_mbcnt_hi_u32_b32 v5, -1, v3
	s_waitcnt lgkmcnt(0)
	v_and_b32_e32 v6, 63, v5
	v_cmp_ne_u32_e32 vcc, 63, v6
	v_addc_co_u32_e32 v3, vcc, 0, v5, vcc
	v_and_b32_e32 v7, 0xffff, v9
	v_lshlrev_b32_e32 v4, 2, v3
	ds_bpermute_b32 v10, v4, v7
	ds_bpermute_b32 v3, v4, v1
	;; [unrolled: 1-line block ×3, first 2 shown]
	s_min_u32 s4, s2, 0x80
	v_and_b32_e32 v8, 64, v0
	v_sub_u32_e64 v8, s4, v8 clamp
	v_add_u32_e32 v11, 1, v6
	v_cmp_lt_u32_e32 vcc, v11, v8
	s_and_saveexec_b64 s[0:1], vcc
	s_cbranch_execz .LBB1253_318
; %bb.313:
	s_waitcnt lgkmcnt(2)
	v_and_b32_e32 v7, v10, v7
	v_and_b32_e32 v7, 1, v7
	v_cmp_eq_u32_e32 vcc, 1, v7
	s_and_saveexec_b64 s[2:3], vcc
	s_xor_b64 s[2:3], exec, s[2:3]
	s_cbranch_execz .LBB1253_315
; %bb.314:
	s_waitcnt lgkmcnt(0)
	v_cmp_lt_i64_e32 vcc, v[3:4], v[1:2]
                                        ; implicit-def: $vgpr9
                                        ; implicit-def: $vgpr10
	v_cndmask_b32_e32 v2, v2, v4, vcc
	v_cndmask_b32_e32 v1, v1, v3, vcc
                                        ; implicit-def: $vgpr3_vgpr4
.LBB1253_315:
	s_or_saveexec_b64 s[2:3], s[2:3]
	v_mov_b32_e32 v7, 1
	s_xor_b64 exec, exec, s[2:3]
	s_cbranch_execz .LBB1253_317
; %bb.316:
	v_and_b32_e32 v7, 1, v9
	v_cmp_eq_u32_e32 vcc, 1, v7
	s_waitcnt lgkmcnt(1)
	v_cndmask_b32_e32 v1, v3, v1, vcc
	v_and_b32_e32 v3, 0xff, v10
	s_waitcnt lgkmcnt(0)
	v_cndmask_b32_e32 v2, v4, v2, vcc
	v_cndmask_b32_e64 v7, v3, 1, vcc
.LBB1253_317:
	s_or_b64 exec, exec, s[2:3]
.LBB1253_318:
	s_or_b64 exec, exec, s[0:1]
	v_cmp_gt_u32_e32 vcc, 62, v6
	s_waitcnt lgkmcnt(1)
	v_cndmask_b32_e64 v3, 0, 2, vcc
	s_waitcnt lgkmcnt(0)
	v_add_lshl_u32 v4, v3, v5, 2
	ds_bpermute_b32 v9, v4, v7
	ds_bpermute_b32 v3, v4, v1
	ds_bpermute_b32 v4, v4, v2
	v_add_u32_e32 v10, 2, v6
	v_cmp_lt_u32_e32 vcc, v10, v8
	s_and_saveexec_b64 s[0:1], vcc
	s_cbranch_execz .LBB1253_324
; %bb.319:
	s_waitcnt lgkmcnt(2)
	v_and_b32_e32 v10, v7, v9
	v_and_b32_e32 v10, 1, v10
	v_cmp_eq_u32_e32 vcc, 1, v10
	s_and_saveexec_b64 s[2:3], vcc
	s_xor_b64 s[2:3], exec, s[2:3]
	s_cbranch_execz .LBB1253_321
; %bb.320:
	s_waitcnt lgkmcnt(0)
	v_cmp_lt_i64_e32 vcc, v[3:4], v[1:2]
                                        ; implicit-def: $vgpr7
                                        ; implicit-def: $vgpr9
	v_cndmask_b32_e32 v2, v2, v4, vcc
	v_cndmask_b32_e32 v1, v1, v3, vcc
                                        ; implicit-def: $vgpr3_vgpr4
.LBB1253_321:
	s_or_saveexec_b64 s[2:3], s[2:3]
	v_mov_b32_e32 v10, 1
	s_xor_b64 exec, exec, s[2:3]
	s_cbranch_execz .LBB1253_323
; %bb.322:
	v_and_b32_e32 v7, 1, v7
	v_cmp_eq_u32_e32 vcc, 1, v7
	s_waitcnt lgkmcnt(1)
	v_cndmask_b32_e32 v1, v3, v1, vcc
	v_and_b32_e32 v3, 0xff, v9
	s_waitcnt lgkmcnt(0)
	v_cndmask_b32_e32 v2, v4, v2, vcc
	v_cndmask_b32_e64 v10, v3, 1, vcc
.LBB1253_323:
	s_or_b64 exec, exec, s[2:3]
	v_mov_b32_e32 v7, v10
.LBB1253_324:
	s_or_b64 exec, exec, s[0:1]
	v_cmp_gt_u32_e32 vcc, 60, v6
	s_waitcnt lgkmcnt(1)
	v_cndmask_b32_e64 v3, 0, 4, vcc
	s_waitcnt lgkmcnt(0)
	v_add_lshl_u32 v4, v3, v5, 2
	ds_bpermute_b32 v9, v4, v7
	ds_bpermute_b32 v3, v4, v1
	ds_bpermute_b32 v4, v4, v2
	v_add_u32_e32 v10, 4, v6
	v_cmp_lt_u32_e32 vcc, v10, v8
	s_and_saveexec_b64 s[0:1], vcc
	s_cbranch_execz .LBB1253_330
; %bb.325:
	s_waitcnt lgkmcnt(2)
	v_and_b32_e32 v10, v7, v9
	v_and_b32_e32 v10, 1, v10
	v_cmp_eq_u32_e32 vcc, 1, v10
	s_and_saveexec_b64 s[2:3], vcc
	s_xor_b64 s[2:3], exec, s[2:3]
	s_cbranch_execz .LBB1253_327
; %bb.326:
	s_waitcnt lgkmcnt(0)
	v_cmp_lt_i64_e32 vcc, v[3:4], v[1:2]
                                        ; implicit-def: $vgpr7
                                        ; implicit-def: $vgpr9
	v_cndmask_b32_e32 v2, v2, v4, vcc
	v_cndmask_b32_e32 v1, v1, v3, vcc
                                        ; implicit-def: $vgpr3_vgpr4
.LBB1253_327:
	s_or_saveexec_b64 s[2:3], s[2:3]
	v_mov_b32_e32 v10, 1
	s_xor_b64 exec, exec, s[2:3]
	s_cbranch_execz .LBB1253_329
; %bb.328:
	v_and_b32_e32 v7, 1, v7
	v_cmp_eq_u32_e32 vcc, 1, v7
	s_waitcnt lgkmcnt(1)
	v_cndmask_b32_e32 v1, v3, v1, vcc
	v_and_b32_e32 v3, 0xff, v9
	s_waitcnt lgkmcnt(0)
	v_cndmask_b32_e32 v2, v4, v2, vcc
	v_cndmask_b32_e64 v10, v3, 1, vcc
.LBB1253_329:
	s_or_b64 exec, exec, s[2:3]
	v_mov_b32_e32 v7, v10
.LBB1253_330:
	;; [unrolled: 47-line block ×4, first 2 shown]
	s_or_b64 exec, exec, s[0:1]
	s_waitcnt lgkmcnt(2)
	v_lshlrev_b32_e32 v9, 2, v5
	s_waitcnt lgkmcnt(0)
	v_or_b32_e32 v4, 0x80, v9
	ds_bpermute_b32 v10, v4, v7
	ds_bpermute_b32 v3, v4, v1
	;; [unrolled: 1-line block ×3, first 2 shown]
	v_add_u32_e32 v6, 32, v6
	v_cmp_lt_u32_e32 vcc, v6, v8
	v_mov_b32_e32 v6, v7
	s_and_saveexec_b64 s[0:1], vcc
	s_cbranch_execz .LBB1253_348
; %bb.343:
	s_waitcnt lgkmcnt(2)
	v_and_b32_e32 v6, v7, v10
	v_and_b32_e32 v6, 1, v6
	v_cmp_eq_u32_e32 vcc, 1, v6
	s_and_saveexec_b64 s[2:3], vcc
	s_xor_b64 s[2:3], exec, s[2:3]
	s_cbranch_execz .LBB1253_345
; %bb.344:
	s_waitcnt lgkmcnt(0)
	v_cmp_lt_i64_e32 vcc, v[3:4], v[1:2]
                                        ; implicit-def: $vgpr7
                                        ; implicit-def: $vgpr10
	v_cndmask_b32_e32 v2, v2, v4, vcc
	v_cndmask_b32_e32 v1, v1, v3, vcc
                                        ; implicit-def: $vgpr3_vgpr4
.LBB1253_345:
	s_or_saveexec_b64 s[2:3], s[2:3]
	v_mov_b32_e32 v6, 1
	s_xor_b64 exec, exec, s[2:3]
	s_cbranch_execz .LBB1253_347
; %bb.346:
	v_and_b32_e32 v6, 1, v7
	v_cmp_eq_u32_e32 vcc, 1, v6
	v_cndmask_b32_e64 v6, v10, 1, vcc
	s_waitcnt lgkmcnt(0)
	v_cndmask_b32_e32 v2, v4, v2, vcc
	v_cndmask_b32_e32 v1, v3, v1, vcc
.LBB1253_347:
	s_or_b64 exec, exec, s[2:3]
	v_and_b32_e32 v7, 0xff, v6
.LBB1253_348:
	s_or_b64 exec, exec, s[0:1]
	v_cmp_eq_u32_e32 vcc, 0, v5
	s_and_saveexec_b64 s[0:1], vcc
	s_cbranch_execz .LBB1253_350
; %bb.349:
	s_waitcnt lgkmcnt(1)
	v_lshrrev_b32_e32 v3, 2, v0
	v_and_b32_e32 v3, 16, v3
	ds_write_b8 v3, v6 offset:128
	ds_write_b64 v3, v[1:2] offset:136
.LBB1253_350:
	s_or_b64 exec, exec, s[0:1]
	v_cmp_gt_u32_e32 vcc, 2, v0
	s_waitcnt lgkmcnt(0)
	s_barrier
	s_and_saveexec_b64 s[0:1], vcc
	s_cbranch_execz .LBB1253_358
; %bb.351:
	v_lshlrev_b32_e32 v1, 4, v5
	ds_read_u8 v6, v1 offset:128
	ds_read_b64 v[1:2], v1 offset:136
	v_or_b32_e32 v4, 4, v9
	s_add_i32 s4, s4, 63
	v_and_b32_e32 v5, 1, v5
	s_waitcnt lgkmcnt(1)
	v_and_b32_e32 v7, 0xff, v6
	s_waitcnt lgkmcnt(0)
	ds_bpermute_b32 v3, v4, v1
	ds_bpermute_b32 v8, v4, v7
	;; [unrolled: 1-line block ×3, first 2 shown]
	s_lshr_b32 s2, s4, 6
	v_add_u32_e32 v5, 1, v5
	v_cmp_gt_u32_e32 vcc, s2, v5
	s_and_saveexec_b64 s[2:3], vcc
	s_cbranch_execz .LBB1253_357
; %bb.352:
	s_waitcnt lgkmcnt(1)
	v_and_b32_e32 v5, v7, v8
	v_and_b32_e32 v5, 1, v5
	v_cmp_eq_u32_e32 vcc, 1, v5
	s_and_saveexec_b64 s[4:5], vcc
	s_xor_b64 s[4:5], exec, s[4:5]
	s_cbranch_execz .LBB1253_354
; %bb.353:
	s_waitcnt lgkmcnt(0)
	v_cmp_lt_i64_e32 vcc, v[3:4], v[1:2]
                                        ; implicit-def: $vgpr6
                                        ; implicit-def: $vgpr8
	v_cndmask_b32_e32 v2, v2, v4, vcc
	v_cndmask_b32_e32 v1, v1, v3, vcc
                                        ; implicit-def: $vgpr3_vgpr4
.LBB1253_354:
	s_or_saveexec_b64 s[4:5], s[4:5]
	v_mov_b32_e32 v7, 1
	s_xor_b64 exec, exec, s[4:5]
	s_cbranch_execz .LBB1253_356
; %bb.355:
	v_and_b32_e32 v5, 1, v6
	v_cmp_eq_u32_e32 vcc, 1, v5
	s_waitcnt lgkmcnt(0)
	v_cndmask_b32_e32 v2, v4, v2, vcc
	v_cndmask_b32_e32 v1, v3, v1, vcc
	v_cndmask_b32_e64 v7, v8, 1, vcc
.LBB1253_356:
	s_or_b64 exec, exec, s[4:5]
.LBB1253_357:
	s_or_b64 exec, exec, s[2:3]
.LBB1253_358:
	s_or_b64 exec, exec, s[0:1]
.LBB1253_359:
	v_cmp_eq_u32_e32 vcc, 0, v0
                                        ; implicit-def: $vgpr3_vgpr4
                                        ; implicit-def: $vgpr5
	s_and_saveexec_b64 s[4:5], vcc
	s_cbranch_execz .LBB1253_363
; %bb.360:
	s_waitcnt lgkmcnt(0)
	v_mov_b32_e32 v3, s24
	s_cmp_eq_u64 s[20:21], 0
	v_mov_b32_e32 v4, s25
	v_mov_b32_e32 v5, s33
	s_cbranch_scc1 .LBB1253_362
; %bb.361:
	v_and_b32_e32 v0, 1, v7
	v_cmp_gt_i64_e64 s[0:1], s[24:25], v[1:2]
	s_bitcmp1_b32 s33, 0
	v_cmp_eq_u32_e32 vcc, 1, v0
	s_cselect_b64 s[2:3], -1, 0
	v_mov_b32_e32 v0, s24
	s_and_b64 vcc, vcc, s[0:1]
	v_mov_b32_e32 v3, s25
	v_cndmask_b32_e32 v0, v0, v1, vcc
	v_cndmask_b32_e32 v3, v3, v2, vcc
	v_cndmask_b32_e64 v5, v7, 1, s[2:3]
	v_cndmask_b32_e64 v4, v2, v3, s[2:3]
	;; [unrolled: 1-line block ×3, first 2 shown]
.LBB1253_362:
	s_or_b64 s[12:13], s[12:13], exec
.LBB1253_363:
	s_or_b64 exec, exec, s[4:5]
	v_mov_b32_e32 v1, s6
	v_mov_b32_e32 v2, s7
	s_and_saveexec_b64 s[0:1], s[12:13]
	s_cbranch_execnz .LBB1253_307
	s_branch .LBB1253_308
	.section	.rodata,"a",@progbits
	.p2align	6, 0x0
	.amdhsa_kernel _ZN7rocprim17ROCPRIM_400000_NS6detail17trampoline_kernelINS0_14default_configENS1_22reduce_config_selectorIN6thrust23THRUST_200600_302600_NS5tupleIblNS6_9null_typeES8_S8_S8_S8_S8_S8_S8_EEEEZNS1_11reduce_implILb1ES3_NS6_12zip_iteratorINS7_INS6_11hip_rocprim26transform_input_iterator_tIbPlNS6_6detail10functional5actorINSH_9compositeIJNSH_27transparent_binary_operatorINS6_8equal_toIvEEEENSI_INSH_8argumentILj0EEEEENSH_5valueIlEEEEEEEEENSD_19counting_iterator_tIlEES8_S8_S8_S8_S8_S8_S8_S8_EEEEPS9_S9_NSD_9__find_if7functorIS9_EEEE10hipError_tPvRmT1_T2_T3_mT4_P12ihipStream_tbEUlT_E1_NS1_11comp_targetILNS1_3genE2ELNS1_11target_archE906ELNS1_3gpuE6ELNS1_3repE0EEENS1_30default_config_static_selectorELNS0_4arch9wavefront6targetE1EEEvS17_
		.amdhsa_group_segment_fixed_size 160
		.amdhsa_private_segment_fixed_size 0
		.amdhsa_kernarg_size 80
		.amdhsa_user_sgpr_count 6
		.amdhsa_user_sgpr_private_segment_buffer 1
		.amdhsa_user_sgpr_dispatch_ptr 0
		.amdhsa_user_sgpr_queue_ptr 0
		.amdhsa_user_sgpr_kernarg_segment_ptr 1
		.amdhsa_user_sgpr_dispatch_id 0
		.amdhsa_user_sgpr_flat_scratch_init 0
		.amdhsa_user_sgpr_private_segment_size 0
		.amdhsa_uses_dynamic_stack 0
		.amdhsa_system_sgpr_private_segment_wavefront_offset 0
		.amdhsa_system_sgpr_workgroup_id_x 1
		.amdhsa_system_sgpr_workgroup_id_y 0
		.amdhsa_system_sgpr_workgroup_id_z 0
		.amdhsa_system_sgpr_workgroup_info 0
		.amdhsa_system_vgpr_workitem_id 0
		.amdhsa_next_free_vgpr 28
		.amdhsa_next_free_sgpr 38
		.amdhsa_reserve_vcc 1
		.amdhsa_reserve_flat_scratch 0
		.amdhsa_float_round_mode_32 0
		.amdhsa_float_round_mode_16_64 0
		.amdhsa_float_denorm_mode_32 3
		.amdhsa_float_denorm_mode_16_64 3
		.amdhsa_dx10_clamp 1
		.amdhsa_ieee_mode 1
		.amdhsa_fp16_overflow 0
		.amdhsa_exception_fp_ieee_invalid_op 0
		.amdhsa_exception_fp_denorm_src 0
		.amdhsa_exception_fp_ieee_div_zero 0
		.amdhsa_exception_fp_ieee_overflow 0
		.amdhsa_exception_fp_ieee_underflow 0
		.amdhsa_exception_fp_ieee_inexact 0
		.amdhsa_exception_int_div_zero 0
	.end_amdhsa_kernel
	.section	.text._ZN7rocprim17ROCPRIM_400000_NS6detail17trampoline_kernelINS0_14default_configENS1_22reduce_config_selectorIN6thrust23THRUST_200600_302600_NS5tupleIblNS6_9null_typeES8_S8_S8_S8_S8_S8_S8_EEEEZNS1_11reduce_implILb1ES3_NS6_12zip_iteratorINS7_INS6_11hip_rocprim26transform_input_iterator_tIbPlNS6_6detail10functional5actorINSH_9compositeIJNSH_27transparent_binary_operatorINS6_8equal_toIvEEEENSI_INSH_8argumentILj0EEEEENSH_5valueIlEEEEEEEEENSD_19counting_iterator_tIlEES8_S8_S8_S8_S8_S8_S8_S8_EEEEPS9_S9_NSD_9__find_if7functorIS9_EEEE10hipError_tPvRmT1_T2_T3_mT4_P12ihipStream_tbEUlT_E1_NS1_11comp_targetILNS1_3genE2ELNS1_11target_archE906ELNS1_3gpuE6ELNS1_3repE0EEENS1_30default_config_static_selectorELNS0_4arch9wavefront6targetE1EEEvS17_,"axG",@progbits,_ZN7rocprim17ROCPRIM_400000_NS6detail17trampoline_kernelINS0_14default_configENS1_22reduce_config_selectorIN6thrust23THRUST_200600_302600_NS5tupleIblNS6_9null_typeES8_S8_S8_S8_S8_S8_S8_EEEEZNS1_11reduce_implILb1ES3_NS6_12zip_iteratorINS7_INS6_11hip_rocprim26transform_input_iterator_tIbPlNS6_6detail10functional5actorINSH_9compositeIJNSH_27transparent_binary_operatorINS6_8equal_toIvEEEENSI_INSH_8argumentILj0EEEEENSH_5valueIlEEEEEEEEENSD_19counting_iterator_tIlEES8_S8_S8_S8_S8_S8_S8_S8_EEEEPS9_S9_NSD_9__find_if7functorIS9_EEEE10hipError_tPvRmT1_T2_T3_mT4_P12ihipStream_tbEUlT_E1_NS1_11comp_targetILNS1_3genE2ELNS1_11target_archE906ELNS1_3gpuE6ELNS1_3repE0EEENS1_30default_config_static_selectorELNS0_4arch9wavefront6targetE1EEEvS17_,comdat
.Lfunc_end1253:
	.size	_ZN7rocprim17ROCPRIM_400000_NS6detail17trampoline_kernelINS0_14default_configENS1_22reduce_config_selectorIN6thrust23THRUST_200600_302600_NS5tupleIblNS6_9null_typeES8_S8_S8_S8_S8_S8_S8_EEEEZNS1_11reduce_implILb1ES3_NS6_12zip_iteratorINS7_INS6_11hip_rocprim26transform_input_iterator_tIbPlNS6_6detail10functional5actorINSH_9compositeIJNSH_27transparent_binary_operatorINS6_8equal_toIvEEEENSI_INSH_8argumentILj0EEEEENSH_5valueIlEEEEEEEEENSD_19counting_iterator_tIlEES8_S8_S8_S8_S8_S8_S8_S8_EEEEPS9_S9_NSD_9__find_if7functorIS9_EEEE10hipError_tPvRmT1_T2_T3_mT4_P12ihipStream_tbEUlT_E1_NS1_11comp_targetILNS1_3genE2ELNS1_11target_archE906ELNS1_3gpuE6ELNS1_3repE0EEENS1_30default_config_static_selectorELNS0_4arch9wavefront6targetE1EEEvS17_, .Lfunc_end1253-_ZN7rocprim17ROCPRIM_400000_NS6detail17trampoline_kernelINS0_14default_configENS1_22reduce_config_selectorIN6thrust23THRUST_200600_302600_NS5tupleIblNS6_9null_typeES8_S8_S8_S8_S8_S8_S8_EEEEZNS1_11reduce_implILb1ES3_NS6_12zip_iteratorINS7_INS6_11hip_rocprim26transform_input_iterator_tIbPlNS6_6detail10functional5actorINSH_9compositeIJNSH_27transparent_binary_operatorINS6_8equal_toIvEEEENSI_INSH_8argumentILj0EEEEENSH_5valueIlEEEEEEEEENSD_19counting_iterator_tIlEES8_S8_S8_S8_S8_S8_S8_S8_EEEEPS9_S9_NSD_9__find_if7functorIS9_EEEE10hipError_tPvRmT1_T2_T3_mT4_P12ihipStream_tbEUlT_E1_NS1_11comp_targetILNS1_3genE2ELNS1_11target_archE906ELNS1_3gpuE6ELNS1_3repE0EEENS1_30default_config_static_selectorELNS0_4arch9wavefront6targetE1EEEvS17_
                                        ; -- End function
	.set _ZN7rocprim17ROCPRIM_400000_NS6detail17trampoline_kernelINS0_14default_configENS1_22reduce_config_selectorIN6thrust23THRUST_200600_302600_NS5tupleIblNS6_9null_typeES8_S8_S8_S8_S8_S8_S8_EEEEZNS1_11reduce_implILb1ES3_NS6_12zip_iteratorINS7_INS6_11hip_rocprim26transform_input_iterator_tIbPlNS6_6detail10functional5actorINSH_9compositeIJNSH_27transparent_binary_operatorINS6_8equal_toIvEEEENSI_INSH_8argumentILj0EEEEENSH_5valueIlEEEEEEEEENSD_19counting_iterator_tIlEES8_S8_S8_S8_S8_S8_S8_S8_EEEEPS9_S9_NSD_9__find_if7functorIS9_EEEE10hipError_tPvRmT1_T2_T3_mT4_P12ihipStream_tbEUlT_E1_NS1_11comp_targetILNS1_3genE2ELNS1_11target_archE906ELNS1_3gpuE6ELNS1_3repE0EEENS1_30default_config_static_selectorELNS0_4arch9wavefront6targetE1EEEvS17_.num_vgpr, 28
	.set _ZN7rocprim17ROCPRIM_400000_NS6detail17trampoline_kernelINS0_14default_configENS1_22reduce_config_selectorIN6thrust23THRUST_200600_302600_NS5tupleIblNS6_9null_typeES8_S8_S8_S8_S8_S8_S8_EEEEZNS1_11reduce_implILb1ES3_NS6_12zip_iteratorINS7_INS6_11hip_rocprim26transform_input_iterator_tIbPlNS6_6detail10functional5actorINSH_9compositeIJNSH_27transparent_binary_operatorINS6_8equal_toIvEEEENSI_INSH_8argumentILj0EEEEENSH_5valueIlEEEEEEEEENSD_19counting_iterator_tIlEES8_S8_S8_S8_S8_S8_S8_S8_EEEEPS9_S9_NSD_9__find_if7functorIS9_EEEE10hipError_tPvRmT1_T2_T3_mT4_P12ihipStream_tbEUlT_E1_NS1_11comp_targetILNS1_3genE2ELNS1_11target_archE906ELNS1_3gpuE6ELNS1_3repE0EEENS1_30default_config_static_selectorELNS0_4arch9wavefront6targetE1EEEvS17_.num_agpr, 0
	.set _ZN7rocprim17ROCPRIM_400000_NS6detail17trampoline_kernelINS0_14default_configENS1_22reduce_config_selectorIN6thrust23THRUST_200600_302600_NS5tupleIblNS6_9null_typeES8_S8_S8_S8_S8_S8_S8_EEEEZNS1_11reduce_implILb1ES3_NS6_12zip_iteratorINS7_INS6_11hip_rocprim26transform_input_iterator_tIbPlNS6_6detail10functional5actorINSH_9compositeIJNSH_27transparent_binary_operatorINS6_8equal_toIvEEEENSI_INSH_8argumentILj0EEEEENSH_5valueIlEEEEEEEEENSD_19counting_iterator_tIlEES8_S8_S8_S8_S8_S8_S8_S8_EEEEPS9_S9_NSD_9__find_if7functorIS9_EEEE10hipError_tPvRmT1_T2_T3_mT4_P12ihipStream_tbEUlT_E1_NS1_11comp_targetILNS1_3genE2ELNS1_11target_archE906ELNS1_3gpuE6ELNS1_3repE0EEENS1_30default_config_static_selectorELNS0_4arch9wavefront6targetE1EEEvS17_.numbered_sgpr, 38
	.set _ZN7rocprim17ROCPRIM_400000_NS6detail17trampoline_kernelINS0_14default_configENS1_22reduce_config_selectorIN6thrust23THRUST_200600_302600_NS5tupleIblNS6_9null_typeES8_S8_S8_S8_S8_S8_S8_EEEEZNS1_11reduce_implILb1ES3_NS6_12zip_iteratorINS7_INS6_11hip_rocprim26transform_input_iterator_tIbPlNS6_6detail10functional5actorINSH_9compositeIJNSH_27transparent_binary_operatorINS6_8equal_toIvEEEENSI_INSH_8argumentILj0EEEEENSH_5valueIlEEEEEEEEENSD_19counting_iterator_tIlEES8_S8_S8_S8_S8_S8_S8_S8_EEEEPS9_S9_NSD_9__find_if7functorIS9_EEEE10hipError_tPvRmT1_T2_T3_mT4_P12ihipStream_tbEUlT_E1_NS1_11comp_targetILNS1_3genE2ELNS1_11target_archE906ELNS1_3gpuE6ELNS1_3repE0EEENS1_30default_config_static_selectorELNS0_4arch9wavefront6targetE1EEEvS17_.num_named_barrier, 0
	.set _ZN7rocprim17ROCPRIM_400000_NS6detail17trampoline_kernelINS0_14default_configENS1_22reduce_config_selectorIN6thrust23THRUST_200600_302600_NS5tupleIblNS6_9null_typeES8_S8_S8_S8_S8_S8_S8_EEEEZNS1_11reduce_implILb1ES3_NS6_12zip_iteratorINS7_INS6_11hip_rocprim26transform_input_iterator_tIbPlNS6_6detail10functional5actorINSH_9compositeIJNSH_27transparent_binary_operatorINS6_8equal_toIvEEEENSI_INSH_8argumentILj0EEEEENSH_5valueIlEEEEEEEEENSD_19counting_iterator_tIlEES8_S8_S8_S8_S8_S8_S8_S8_EEEEPS9_S9_NSD_9__find_if7functorIS9_EEEE10hipError_tPvRmT1_T2_T3_mT4_P12ihipStream_tbEUlT_E1_NS1_11comp_targetILNS1_3genE2ELNS1_11target_archE906ELNS1_3gpuE6ELNS1_3repE0EEENS1_30default_config_static_selectorELNS0_4arch9wavefront6targetE1EEEvS17_.private_seg_size, 0
	.set _ZN7rocprim17ROCPRIM_400000_NS6detail17trampoline_kernelINS0_14default_configENS1_22reduce_config_selectorIN6thrust23THRUST_200600_302600_NS5tupleIblNS6_9null_typeES8_S8_S8_S8_S8_S8_S8_EEEEZNS1_11reduce_implILb1ES3_NS6_12zip_iteratorINS7_INS6_11hip_rocprim26transform_input_iterator_tIbPlNS6_6detail10functional5actorINSH_9compositeIJNSH_27transparent_binary_operatorINS6_8equal_toIvEEEENSI_INSH_8argumentILj0EEEEENSH_5valueIlEEEEEEEEENSD_19counting_iterator_tIlEES8_S8_S8_S8_S8_S8_S8_S8_EEEEPS9_S9_NSD_9__find_if7functorIS9_EEEE10hipError_tPvRmT1_T2_T3_mT4_P12ihipStream_tbEUlT_E1_NS1_11comp_targetILNS1_3genE2ELNS1_11target_archE906ELNS1_3gpuE6ELNS1_3repE0EEENS1_30default_config_static_selectorELNS0_4arch9wavefront6targetE1EEEvS17_.uses_vcc, 1
	.set _ZN7rocprim17ROCPRIM_400000_NS6detail17trampoline_kernelINS0_14default_configENS1_22reduce_config_selectorIN6thrust23THRUST_200600_302600_NS5tupleIblNS6_9null_typeES8_S8_S8_S8_S8_S8_S8_EEEEZNS1_11reduce_implILb1ES3_NS6_12zip_iteratorINS7_INS6_11hip_rocprim26transform_input_iterator_tIbPlNS6_6detail10functional5actorINSH_9compositeIJNSH_27transparent_binary_operatorINS6_8equal_toIvEEEENSI_INSH_8argumentILj0EEEEENSH_5valueIlEEEEEEEEENSD_19counting_iterator_tIlEES8_S8_S8_S8_S8_S8_S8_S8_EEEEPS9_S9_NSD_9__find_if7functorIS9_EEEE10hipError_tPvRmT1_T2_T3_mT4_P12ihipStream_tbEUlT_E1_NS1_11comp_targetILNS1_3genE2ELNS1_11target_archE906ELNS1_3gpuE6ELNS1_3repE0EEENS1_30default_config_static_selectorELNS0_4arch9wavefront6targetE1EEEvS17_.uses_flat_scratch, 0
	.set _ZN7rocprim17ROCPRIM_400000_NS6detail17trampoline_kernelINS0_14default_configENS1_22reduce_config_selectorIN6thrust23THRUST_200600_302600_NS5tupleIblNS6_9null_typeES8_S8_S8_S8_S8_S8_S8_EEEEZNS1_11reduce_implILb1ES3_NS6_12zip_iteratorINS7_INS6_11hip_rocprim26transform_input_iterator_tIbPlNS6_6detail10functional5actorINSH_9compositeIJNSH_27transparent_binary_operatorINS6_8equal_toIvEEEENSI_INSH_8argumentILj0EEEEENSH_5valueIlEEEEEEEEENSD_19counting_iterator_tIlEES8_S8_S8_S8_S8_S8_S8_S8_EEEEPS9_S9_NSD_9__find_if7functorIS9_EEEE10hipError_tPvRmT1_T2_T3_mT4_P12ihipStream_tbEUlT_E1_NS1_11comp_targetILNS1_3genE2ELNS1_11target_archE906ELNS1_3gpuE6ELNS1_3repE0EEENS1_30default_config_static_selectorELNS0_4arch9wavefront6targetE1EEEvS17_.has_dyn_sized_stack, 0
	.set _ZN7rocprim17ROCPRIM_400000_NS6detail17trampoline_kernelINS0_14default_configENS1_22reduce_config_selectorIN6thrust23THRUST_200600_302600_NS5tupleIblNS6_9null_typeES8_S8_S8_S8_S8_S8_S8_EEEEZNS1_11reduce_implILb1ES3_NS6_12zip_iteratorINS7_INS6_11hip_rocprim26transform_input_iterator_tIbPlNS6_6detail10functional5actorINSH_9compositeIJNSH_27transparent_binary_operatorINS6_8equal_toIvEEEENSI_INSH_8argumentILj0EEEEENSH_5valueIlEEEEEEEEENSD_19counting_iterator_tIlEES8_S8_S8_S8_S8_S8_S8_S8_EEEEPS9_S9_NSD_9__find_if7functorIS9_EEEE10hipError_tPvRmT1_T2_T3_mT4_P12ihipStream_tbEUlT_E1_NS1_11comp_targetILNS1_3genE2ELNS1_11target_archE906ELNS1_3gpuE6ELNS1_3repE0EEENS1_30default_config_static_selectorELNS0_4arch9wavefront6targetE1EEEvS17_.has_recursion, 0
	.set _ZN7rocprim17ROCPRIM_400000_NS6detail17trampoline_kernelINS0_14default_configENS1_22reduce_config_selectorIN6thrust23THRUST_200600_302600_NS5tupleIblNS6_9null_typeES8_S8_S8_S8_S8_S8_S8_EEEEZNS1_11reduce_implILb1ES3_NS6_12zip_iteratorINS7_INS6_11hip_rocprim26transform_input_iterator_tIbPlNS6_6detail10functional5actorINSH_9compositeIJNSH_27transparent_binary_operatorINS6_8equal_toIvEEEENSI_INSH_8argumentILj0EEEEENSH_5valueIlEEEEEEEEENSD_19counting_iterator_tIlEES8_S8_S8_S8_S8_S8_S8_S8_EEEEPS9_S9_NSD_9__find_if7functorIS9_EEEE10hipError_tPvRmT1_T2_T3_mT4_P12ihipStream_tbEUlT_E1_NS1_11comp_targetILNS1_3genE2ELNS1_11target_archE906ELNS1_3gpuE6ELNS1_3repE0EEENS1_30default_config_static_selectorELNS0_4arch9wavefront6targetE1EEEvS17_.has_indirect_call, 0
	.section	.AMDGPU.csdata,"",@progbits
; Kernel info:
; codeLenInByte = 12876
; TotalNumSgprs: 42
; NumVgprs: 28
; ScratchSize: 0
; MemoryBound: 0
; FloatMode: 240
; IeeeMode: 1
; LDSByteSize: 160 bytes/workgroup (compile time only)
; SGPRBlocks: 5
; VGPRBlocks: 6
; NumSGPRsForWavesPerEU: 42
; NumVGPRsForWavesPerEU: 28
; Occupancy: 9
; WaveLimiterHint : 1
; COMPUTE_PGM_RSRC2:SCRATCH_EN: 0
; COMPUTE_PGM_RSRC2:USER_SGPR: 6
; COMPUTE_PGM_RSRC2:TRAP_HANDLER: 0
; COMPUTE_PGM_RSRC2:TGID_X_EN: 1
; COMPUTE_PGM_RSRC2:TGID_Y_EN: 0
; COMPUTE_PGM_RSRC2:TGID_Z_EN: 0
; COMPUTE_PGM_RSRC2:TIDIG_COMP_CNT: 0
	.section	.text._ZN7rocprim17ROCPRIM_400000_NS6detail17trampoline_kernelINS0_14default_configENS1_22reduce_config_selectorIN6thrust23THRUST_200600_302600_NS5tupleIblNS6_9null_typeES8_S8_S8_S8_S8_S8_S8_EEEEZNS1_11reduce_implILb1ES3_NS6_12zip_iteratorINS7_INS6_11hip_rocprim26transform_input_iterator_tIbPlNS6_6detail10functional5actorINSH_9compositeIJNSH_27transparent_binary_operatorINS6_8equal_toIvEEEENSI_INSH_8argumentILj0EEEEENSH_5valueIlEEEEEEEEENSD_19counting_iterator_tIlEES8_S8_S8_S8_S8_S8_S8_S8_EEEEPS9_S9_NSD_9__find_if7functorIS9_EEEE10hipError_tPvRmT1_T2_T3_mT4_P12ihipStream_tbEUlT_E1_NS1_11comp_targetILNS1_3genE10ELNS1_11target_archE1201ELNS1_3gpuE5ELNS1_3repE0EEENS1_30default_config_static_selectorELNS0_4arch9wavefront6targetE1EEEvS17_,"axG",@progbits,_ZN7rocprim17ROCPRIM_400000_NS6detail17trampoline_kernelINS0_14default_configENS1_22reduce_config_selectorIN6thrust23THRUST_200600_302600_NS5tupleIblNS6_9null_typeES8_S8_S8_S8_S8_S8_S8_EEEEZNS1_11reduce_implILb1ES3_NS6_12zip_iteratorINS7_INS6_11hip_rocprim26transform_input_iterator_tIbPlNS6_6detail10functional5actorINSH_9compositeIJNSH_27transparent_binary_operatorINS6_8equal_toIvEEEENSI_INSH_8argumentILj0EEEEENSH_5valueIlEEEEEEEEENSD_19counting_iterator_tIlEES8_S8_S8_S8_S8_S8_S8_S8_EEEEPS9_S9_NSD_9__find_if7functorIS9_EEEE10hipError_tPvRmT1_T2_T3_mT4_P12ihipStream_tbEUlT_E1_NS1_11comp_targetILNS1_3genE10ELNS1_11target_archE1201ELNS1_3gpuE5ELNS1_3repE0EEENS1_30default_config_static_selectorELNS0_4arch9wavefront6targetE1EEEvS17_,comdat
	.protected	_ZN7rocprim17ROCPRIM_400000_NS6detail17trampoline_kernelINS0_14default_configENS1_22reduce_config_selectorIN6thrust23THRUST_200600_302600_NS5tupleIblNS6_9null_typeES8_S8_S8_S8_S8_S8_S8_EEEEZNS1_11reduce_implILb1ES3_NS6_12zip_iteratorINS7_INS6_11hip_rocprim26transform_input_iterator_tIbPlNS6_6detail10functional5actorINSH_9compositeIJNSH_27transparent_binary_operatorINS6_8equal_toIvEEEENSI_INSH_8argumentILj0EEEEENSH_5valueIlEEEEEEEEENSD_19counting_iterator_tIlEES8_S8_S8_S8_S8_S8_S8_S8_EEEEPS9_S9_NSD_9__find_if7functorIS9_EEEE10hipError_tPvRmT1_T2_T3_mT4_P12ihipStream_tbEUlT_E1_NS1_11comp_targetILNS1_3genE10ELNS1_11target_archE1201ELNS1_3gpuE5ELNS1_3repE0EEENS1_30default_config_static_selectorELNS0_4arch9wavefront6targetE1EEEvS17_ ; -- Begin function _ZN7rocprim17ROCPRIM_400000_NS6detail17trampoline_kernelINS0_14default_configENS1_22reduce_config_selectorIN6thrust23THRUST_200600_302600_NS5tupleIblNS6_9null_typeES8_S8_S8_S8_S8_S8_S8_EEEEZNS1_11reduce_implILb1ES3_NS6_12zip_iteratorINS7_INS6_11hip_rocprim26transform_input_iterator_tIbPlNS6_6detail10functional5actorINSH_9compositeIJNSH_27transparent_binary_operatorINS6_8equal_toIvEEEENSI_INSH_8argumentILj0EEEEENSH_5valueIlEEEEEEEEENSD_19counting_iterator_tIlEES8_S8_S8_S8_S8_S8_S8_S8_EEEEPS9_S9_NSD_9__find_if7functorIS9_EEEE10hipError_tPvRmT1_T2_T3_mT4_P12ihipStream_tbEUlT_E1_NS1_11comp_targetILNS1_3genE10ELNS1_11target_archE1201ELNS1_3gpuE5ELNS1_3repE0EEENS1_30default_config_static_selectorELNS0_4arch9wavefront6targetE1EEEvS17_
	.globl	_ZN7rocprim17ROCPRIM_400000_NS6detail17trampoline_kernelINS0_14default_configENS1_22reduce_config_selectorIN6thrust23THRUST_200600_302600_NS5tupleIblNS6_9null_typeES8_S8_S8_S8_S8_S8_S8_EEEEZNS1_11reduce_implILb1ES3_NS6_12zip_iteratorINS7_INS6_11hip_rocprim26transform_input_iterator_tIbPlNS6_6detail10functional5actorINSH_9compositeIJNSH_27transparent_binary_operatorINS6_8equal_toIvEEEENSI_INSH_8argumentILj0EEEEENSH_5valueIlEEEEEEEEENSD_19counting_iterator_tIlEES8_S8_S8_S8_S8_S8_S8_S8_EEEEPS9_S9_NSD_9__find_if7functorIS9_EEEE10hipError_tPvRmT1_T2_T3_mT4_P12ihipStream_tbEUlT_E1_NS1_11comp_targetILNS1_3genE10ELNS1_11target_archE1201ELNS1_3gpuE5ELNS1_3repE0EEENS1_30default_config_static_selectorELNS0_4arch9wavefront6targetE1EEEvS17_
	.p2align	8
	.type	_ZN7rocprim17ROCPRIM_400000_NS6detail17trampoline_kernelINS0_14default_configENS1_22reduce_config_selectorIN6thrust23THRUST_200600_302600_NS5tupleIblNS6_9null_typeES8_S8_S8_S8_S8_S8_S8_EEEEZNS1_11reduce_implILb1ES3_NS6_12zip_iteratorINS7_INS6_11hip_rocprim26transform_input_iterator_tIbPlNS6_6detail10functional5actorINSH_9compositeIJNSH_27transparent_binary_operatorINS6_8equal_toIvEEEENSI_INSH_8argumentILj0EEEEENSH_5valueIlEEEEEEEEENSD_19counting_iterator_tIlEES8_S8_S8_S8_S8_S8_S8_S8_EEEEPS9_S9_NSD_9__find_if7functorIS9_EEEE10hipError_tPvRmT1_T2_T3_mT4_P12ihipStream_tbEUlT_E1_NS1_11comp_targetILNS1_3genE10ELNS1_11target_archE1201ELNS1_3gpuE5ELNS1_3repE0EEENS1_30default_config_static_selectorELNS0_4arch9wavefront6targetE1EEEvS17_,@function
_ZN7rocprim17ROCPRIM_400000_NS6detail17trampoline_kernelINS0_14default_configENS1_22reduce_config_selectorIN6thrust23THRUST_200600_302600_NS5tupleIblNS6_9null_typeES8_S8_S8_S8_S8_S8_S8_EEEEZNS1_11reduce_implILb1ES3_NS6_12zip_iteratorINS7_INS6_11hip_rocprim26transform_input_iterator_tIbPlNS6_6detail10functional5actorINSH_9compositeIJNSH_27transparent_binary_operatorINS6_8equal_toIvEEEENSI_INSH_8argumentILj0EEEEENSH_5valueIlEEEEEEEEENSD_19counting_iterator_tIlEES8_S8_S8_S8_S8_S8_S8_S8_EEEEPS9_S9_NSD_9__find_if7functorIS9_EEEE10hipError_tPvRmT1_T2_T3_mT4_P12ihipStream_tbEUlT_E1_NS1_11comp_targetILNS1_3genE10ELNS1_11target_archE1201ELNS1_3gpuE5ELNS1_3repE0EEENS1_30default_config_static_selectorELNS0_4arch9wavefront6targetE1EEEvS17_: ; @_ZN7rocprim17ROCPRIM_400000_NS6detail17trampoline_kernelINS0_14default_configENS1_22reduce_config_selectorIN6thrust23THRUST_200600_302600_NS5tupleIblNS6_9null_typeES8_S8_S8_S8_S8_S8_S8_EEEEZNS1_11reduce_implILb1ES3_NS6_12zip_iteratorINS7_INS6_11hip_rocprim26transform_input_iterator_tIbPlNS6_6detail10functional5actorINSH_9compositeIJNSH_27transparent_binary_operatorINS6_8equal_toIvEEEENSI_INSH_8argumentILj0EEEEENSH_5valueIlEEEEEEEEENSD_19counting_iterator_tIlEES8_S8_S8_S8_S8_S8_S8_S8_EEEEPS9_S9_NSD_9__find_if7functorIS9_EEEE10hipError_tPvRmT1_T2_T3_mT4_P12ihipStream_tbEUlT_E1_NS1_11comp_targetILNS1_3genE10ELNS1_11target_archE1201ELNS1_3gpuE5ELNS1_3repE0EEENS1_30default_config_static_selectorELNS0_4arch9wavefront6targetE1EEEvS17_
; %bb.0:
	.section	.rodata,"a",@progbits
	.p2align	6, 0x0
	.amdhsa_kernel _ZN7rocprim17ROCPRIM_400000_NS6detail17trampoline_kernelINS0_14default_configENS1_22reduce_config_selectorIN6thrust23THRUST_200600_302600_NS5tupleIblNS6_9null_typeES8_S8_S8_S8_S8_S8_S8_EEEEZNS1_11reduce_implILb1ES3_NS6_12zip_iteratorINS7_INS6_11hip_rocprim26transform_input_iterator_tIbPlNS6_6detail10functional5actorINSH_9compositeIJNSH_27transparent_binary_operatorINS6_8equal_toIvEEEENSI_INSH_8argumentILj0EEEEENSH_5valueIlEEEEEEEEENSD_19counting_iterator_tIlEES8_S8_S8_S8_S8_S8_S8_S8_EEEEPS9_S9_NSD_9__find_if7functorIS9_EEEE10hipError_tPvRmT1_T2_T3_mT4_P12ihipStream_tbEUlT_E1_NS1_11comp_targetILNS1_3genE10ELNS1_11target_archE1201ELNS1_3gpuE5ELNS1_3repE0EEENS1_30default_config_static_selectorELNS0_4arch9wavefront6targetE1EEEvS17_
		.amdhsa_group_segment_fixed_size 0
		.amdhsa_private_segment_fixed_size 0
		.amdhsa_kernarg_size 80
		.amdhsa_user_sgpr_count 6
		.amdhsa_user_sgpr_private_segment_buffer 1
		.amdhsa_user_sgpr_dispatch_ptr 0
		.amdhsa_user_sgpr_queue_ptr 0
		.amdhsa_user_sgpr_kernarg_segment_ptr 1
		.amdhsa_user_sgpr_dispatch_id 0
		.amdhsa_user_sgpr_flat_scratch_init 0
		.amdhsa_user_sgpr_private_segment_size 0
		.amdhsa_uses_dynamic_stack 0
		.amdhsa_system_sgpr_private_segment_wavefront_offset 0
		.amdhsa_system_sgpr_workgroup_id_x 1
		.amdhsa_system_sgpr_workgroup_id_y 0
		.amdhsa_system_sgpr_workgroup_id_z 0
		.amdhsa_system_sgpr_workgroup_info 0
		.amdhsa_system_vgpr_workitem_id 0
		.amdhsa_next_free_vgpr 1
		.amdhsa_next_free_sgpr 0
		.amdhsa_reserve_vcc 0
		.amdhsa_reserve_flat_scratch 0
		.amdhsa_float_round_mode_32 0
		.amdhsa_float_round_mode_16_64 0
		.amdhsa_float_denorm_mode_32 3
		.amdhsa_float_denorm_mode_16_64 3
		.amdhsa_dx10_clamp 1
		.amdhsa_ieee_mode 1
		.amdhsa_fp16_overflow 0
		.amdhsa_exception_fp_ieee_invalid_op 0
		.amdhsa_exception_fp_denorm_src 0
		.amdhsa_exception_fp_ieee_div_zero 0
		.amdhsa_exception_fp_ieee_overflow 0
		.amdhsa_exception_fp_ieee_underflow 0
		.amdhsa_exception_fp_ieee_inexact 0
		.amdhsa_exception_int_div_zero 0
	.end_amdhsa_kernel
	.section	.text._ZN7rocprim17ROCPRIM_400000_NS6detail17trampoline_kernelINS0_14default_configENS1_22reduce_config_selectorIN6thrust23THRUST_200600_302600_NS5tupleIblNS6_9null_typeES8_S8_S8_S8_S8_S8_S8_EEEEZNS1_11reduce_implILb1ES3_NS6_12zip_iteratorINS7_INS6_11hip_rocprim26transform_input_iterator_tIbPlNS6_6detail10functional5actorINSH_9compositeIJNSH_27transparent_binary_operatorINS6_8equal_toIvEEEENSI_INSH_8argumentILj0EEEEENSH_5valueIlEEEEEEEEENSD_19counting_iterator_tIlEES8_S8_S8_S8_S8_S8_S8_S8_EEEEPS9_S9_NSD_9__find_if7functorIS9_EEEE10hipError_tPvRmT1_T2_T3_mT4_P12ihipStream_tbEUlT_E1_NS1_11comp_targetILNS1_3genE10ELNS1_11target_archE1201ELNS1_3gpuE5ELNS1_3repE0EEENS1_30default_config_static_selectorELNS0_4arch9wavefront6targetE1EEEvS17_,"axG",@progbits,_ZN7rocprim17ROCPRIM_400000_NS6detail17trampoline_kernelINS0_14default_configENS1_22reduce_config_selectorIN6thrust23THRUST_200600_302600_NS5tupleIblNS6_9null_typeES8_S8_S8_S8_S8_S8_S8_EEEEZNS1_11reduce_implILb1ES3_NS6_12zip_iteratorINS7_INS6_11hip_rocprim26transform_input_iterator_tIbPlNS6_6detail10functional5actorINSH_9compositeIJNSH_27transparent_binary_operatorINS6_8equal_toIvEEEENSI_INSH_8argumentILj0EEEEENSH_5valueIlEEEEEEEEENSD_19counting_iterator_tIlEES8_S8_S8_S8_S8_S8_S8_S8_EEEEPS9_S9_NSD_9__find_if7functorIS9_EEEE10hipError_tPvRmT1_T2_T3_mT4_P12ihipStream_tbEUlT_E1_NS1_11comp_targetILNS1_3genE10ELNS1_11target_archE1201ELNS1_3gpuE5ELNS1_3repE0EEENS1_30default_config_static_selectorELNS0_4arch9wavefront6targetE1EEEvS17_,comdat
.Lfunc_end1254:
	.size	_ZN7rocprim17ROCPRIM_400000_NS6detail17trampoline_kernelINS0_14default_configENS1_22reduce_config_selectorIN6thrust23THRUST_200600_302600_NS5tupleIblNS6_9null_typeES8_S8_S8_S8_S8_S8_S8_EEEEZNS1_11reduce_implILb1ES3_NS6_12zip_iteratorINS7_INS6_11hip_rocprim26transform_input_iterator_tIbPlNS6_6detail10functional5actorINSH_9compositeIJNSH_27transparent_binary_operatorINS6_8equal_toIvEEEENSI_INSH_8argumentILj0EEEEENSH_5valueIlEEEEEEEEENSD_19counting_iterator_tIlEES8_S8_S8_S8_S8_S8_S8_S8_EEEEPS9_S9_NSD_9__find_if7functorIS9_EEEE10hipError_tPvRmT1_T2_T3_mT4_P12ihipStream_tbEUlT_E1_NS1_11comp_targetILNS1_3genE10ELNS1_11target_archE1201ELNS1_3gpuE5ELNS1_3repE0EEENS1_30default_config_static_selectorELNS0_4arch9wavefront6targetE1EEEvS17_, .Lfunc_end1254-_ZN7rocprim17ROCPRIM_400000_NS6detail17trampoline_kernelINS0_14default_configENS1_22reduce_config_selectorIN6thrust23THRUST_200600_302600_NS5tupleIblNS6_9null_typeES8_S8_S8_S8_S8_S8_S8_EEEEZNS1_11reduce_implILb1ES3_NS6_12zip_iteratorINS7_INS6_11hip_rocprim26transform_input_iterator_tIbPlNS6_6detail10functional5actorINSH_9compositeIJNSH_27transparent_binary_operatorINS6_8equal_toIvEEEENSI_INSH_8argumentILj0EEEEENSH_5valueIlEEEEEEEEENSD_19counting_iterator_tIlEES8_S8_S8_S8_S8_S8_S8_S8_EEEEPS9_S9_NSD_9__find_if7functorIS9_EEEE10hipError_tPvRmT1_T2_T3_mT4_P12ihipStream_tbEUlT_E1_NS1_11comp_targetILNS1_3genE10ELNS1_11target_archE1201ELNS1_3gpuE5ELNS1_3repE0EEENS1_30default_config_static_selectorELNS0_4arch9wavefront6targetE1EEEvS17_
                                        ; -- End function
	.set _ZN7rocprim17ROCPRIM_400000_NS6detail17trampoline_kernelINS0_14default_configENS1_22reduce_config_selectorIN6thrust23THRUST_200600_302600_NS5tupleIblNS6_9null_typeES8_S8_S8_S8_S8_S8_S8_EEEEZNS1_11reduce_implILb1ES3_NS6_12zip_iteratorINS7_INS6_11hip_rocprim26transform_input_iterator_tIbPlNS6_6detail10functional5actorINSH_9compositeIJNSH_27transparent_binary_operatorINS6_8equal_toIvEEEENSI_INSH_8argumentILj0EEEEENSH_5valueIlEEEEEEEEENSD_19counting_iterator_tIlEES8_S8_S8_S8_S8_S8_S8_S8_EEEEPS9_S9_NSD_9__find_if7functorIS9_EEEE10hipError_tPvRmT1_T2_T3_mT4_P12ihipStream_tbEUlT_E1_NS1_11comp_targetILNS1_3genE10ELNS1_11target_archE1201ELNS1_3gpuE5ELNS1_3repE0EEENS1_30default_config_static_selectorELNS0_4arch9wavefront6targetE1EEEvS17_.num_vgpr, 0
	.set _ZN7rocprim17ROCPRIM_400000_NS6detail17trampoline_kernelINS0_14default_configENS1_22reduce_config_selectorIN6thrust23THRUST_200600_302600_NS5tupleIblNS6_9null_typeES8_S8_S8_S8_S8_S8_S8_EEEEZNS1_11reduce_implILb1ES3_NS6_12zip_iteratorINS7_INS6_11hip_rocprim26transform_input_iterator_tIbPlNS6_6detail10functional5actorINSH_9compositeIJNSH_27transparent_binary_operatorINS6_8equal_toIvEEEENSI_INSH_8argumentILj0EEEEENSH_5valueIlEEEEEEEEENSD_19counting_iterator_tIlEES8_S8_S8_S8_S8_S8_S8_S8_EEEEPS9_S9_NSD_9__find_if7functorIS9_EEEE10hipError_tPvRmT1_T2_T3_mT4_P12ihipStream_tbEUlT_E1_NS1_11comp_targetILNS1_3genE10ELNS1_11target_archE1201ELNS1_3gpuE5ELNS1_3repE0EEENS1_30default_config_static_selectorELNS0_4arch9wavefront6targetE1EEEvS17_.num_agpr, 0
	.set _ZN7rocprim17ROCPRIM_400000_NS6detail17trampoline_kernelINS0_14default_configENS1_22reduce_config_selectorIN6thrust23THRUST_200600_302600_NS5tupleIblNS6_9null_typeES8_S8_S8_S8_S8_S8_S8_EEEEZNS1_11reduce_implILb1ES3_NS6_12zip_iteratorINS7_INS6_11hip_rocprim26transform_input_iterator_tIbPlNS6_6detail10functional5actorINSH_9compositeIJNSH_27transparent_binary_operatorINS6_8equal_toIvEEEENSI_INSH_8argumentILj0EEEEENSH_5valueIlEEEEEEEEENSD_19counting_iterator_tIlEES8_S8_S8_S8_S8_S8_S8_S8_EEEEPS9_S9_NSD_9__find_if7functorIS9_EEEE10hipError_tPvRmT1_T2_T3_mT4_P12ihipStream_tbEUlT_E1_NS1_11comp_targetILNS1_3genE10ELNS1_11target_archE1201ELNS1_3gpuE5ELNS1_3repE0EEENS1_30default_config_static_selectorELNS0_4arch9wavefront6targetE1EEEvS17_.numbered_sgpr, 0
	.set _ZN7rocprim17ROCPRIM_400000_NS6detail17trampoline_kernelINS0_14default_configENS1_22reduce_config_selectorIN6thrust23THRUST_200600_302600_NS5tupleIblNS6_9null_typeES8_S8_S8_S8_S8_S8_S8_EEEEZNS1_11reduce_implILb1ES3_NS6_12zip_iteratorINS7_INS6_11hip_rocprim26transform_input_iterator_tIbPlNS6_6detail10functional5actorINSH_9compositeIJNSH_27transparent_binary_operatorINS6_8equal_toIvEEEENSI_INSH_8argumentILj0EEEEENSH_5valueIlEEEEEEEEENSD_19counting_iterator_tIlEES8_S8_S8_S8_S8_S8_S8_S8_EEEEPS9_S9_NSD_9__find_if7functorIS9_EEEE10hipError_tPvRmT1_T2_T3_mT4_P12ihipStream_tbEUlT_E1_NS1_11comp_targetILNS1_3genE10ELNS1_11target_archE1201ELNS1_3gpuE5ELNS1_3repE0EEENS1_30default_config_static_selectorELNS0_4arch9wavefront6targetE1EEEvS17_.num_named_barrier, 0
	.set _ZN7rocprim17ROCPRIM_400000_NS6detail17trampoline_kernelINS0_14default_configENS1_22reduce_config_selectorIN6thrust23THRUST_200600_302600_NS5tupleIblNS6_9null_typeES8_S8_S8_S8_S8_S8_S8_EEEEZNS1_11reduce_implILb1ES3_NS6_12zip_iteratorINS7_INS6_11hip_rocprim26transform_input_iterator_tIbPlNS6_6detail10functional5actorINSH_9compositeIJNSH_27transparent_binary_operatorINS6_8equal_toIvEEEENSI_INSH_8argumentILj0EEEEENSH_5valueIlEEEEEEEEENSD_19counting_iterator_tIlEES8_S8_S8_S8_S8_S8_S8_S8_EEEEPS9_S9_NSD_9__find_if7functorIS9_EEEE10hipError_tPvRmT1_T2_T3_mT4_P12ihipStream_tbEUlT_E1_NS1_11comp_targetILNS1_3genE10ELNS1_11target_archE1201ELNS1_3gpuE5ELNS1_3repE0EEENS1_30default_config_static_selectorELNS0_4arch9wavefront6targetE1EEEvS17_.private_seg_size, 0
	.set _ZN7rocprim17ROCPRIM_400000_NS6detail17trampoline_kernelINS0_14default_configENS1_22reduce_config_selectorIN6thrust23THRUST_200600_302600_NS5tupleIblNS6_9null_typeES8_S8_S8_S8_S8_S8_S8_EEEEZNS1_11reduce_implILb1ES3_NS6_12zip_iteratorINS7_INS6_11hip_rocprim26transform_input_iterator_tIbPlNS6_6detail10functional5actorINSH_9compositeIJNSH_27transparent_binary_operatorINS6_8equal_toIvEEEENSI_INSH_8argumentILj0EEEEENSH_5valueIlEEEEEEEEENSD_19counting_iterator_tIlEES8_S8_S8_S8_S8_S8_S8_S8_EEEEPS9_S9_NSD_9__find_if7functorIS9_EEEE10hipError_tPvRmT1_T2_T3_mT4_P12ihipStream_tbEUlT_E1_NS1_11comp_targetILNS1_3genE10ELNS1_11target_archE1201ELNS1_3gpuE5ELNS1_3repE0EEENS1_30default_config_static_selectorELNS0_4arch9wavefront6targetE1EEEvS17_.uses_vcc, 0
	.set _ZN7rocprim17ROCPRIM_400000_NS6detail17trampoline_kernelINS0_14default_configENS1_22reduce_config_selectorIN6thrust23THRUST_200600_302600_NS5tupleIblNS6_9null_typeES8_S8_S8_S8_S8_S8_S8_EEEEZNS1_11reduce_implILb1ES3_NS6_12zip_iteratorINS7_INS6_11hip_rocprim26transform_input_iterator_tIbPlNS6_6detail10functional5actorINSH_9compositeIJNSH_27transparent_binary_operatorINS6_8equal_toIvEEEENSI_INSH_8argumentILj0EEEEENSH_5valueIlEEEEEEEEENSD_19counting_iterator_tIlEES8_S8_S8_S8_S8_S8_S8_S8_EEEEPS9_S9_NSD_9__find_if7functorIS9_EEEE10hipError_tPvRmT1_T2_T3_mT4_P12ihipStream_tbEUlT_E1_NS1_11comp_targetILNS1_3genE10ELNS1_11target_archE1201ELNS1_3gpuE5ELNS1_3repE0EEENS1_30default_config_static_selectorELNS0_4arch9wavefront6targetE1EEEvS17_.uses_flat_scratch, 0
	.set _ZN7rocprim17ROCPRIM_400000_NS6detail17trampoline_kernelINS0_14default_configENS1_22reduce_config_selectorIN6thrust23THRUST_200600_302600_NS5tupleIblNS6_9null_typeES8_S8_S8_S8_S8_S8_S8_EEEEZNS1_11reduce_implILb1ES3_NS6_12zip_iteratorINS7_INS6_11hip_rocprim26transform_input_iterator_tIbPlNS6_6detail10functional5actorINSH_9compositeIJNSH_27transparent_binary_operatorINS6_8equal_toIvEEEENSI_INSH_8argumentILj0EEEEENSH_5valueIlEEEEEEEEENSD_19counting_iterator_tIlEES8_S8_S8_S8_S8_S8_S8_S8_EEEEPS9_S9_NSD_9__find_if7functorIS9_EEEE10hipError_tPvRmT1_T2_T3_mT4_P12ihipStream_tbEUlT_E1_NS1_11comp_targetILNS1_3genE10ELNS1_11target_archE1201ELNS1_3gpuE5ELNS1_3repE0EEENS1_30default_config_static_selectorELNS0_4arch9wavefront6targetE1EEEvS17_.has_dyn_sized_stack, 0
	.set _ZN7rocprim17ROCPRIM_400000_NS6detail17trampoline_kernelINS0_14default_configENS1_22reduce_config_selectorIN6thrust23THRUST_200600_302600_NS5tupleIblNS6_9null_typeES8_S8_S8_S8_S8_S8_S8_EEEEZNS1_11reduce_implILb1ES3_NS6_12zip_iteratorINS7_INS6_11hip_rocprim26transform_input_iterator_tIbPlNS6_6detail10functional5actorINSH_9compositeIJNSH_27transparent_binary_operatorINS6_8equal_toIvEEEENSI_INSH_8argumentILj0EEEEENSH_5valueIlEEEEEEEEENSD_19counting_iterator_tIlEES8_S8_S8_S8_S8_S8_S8_S8_EEEEPS9_S9_NSD_9__find_if7functorIS9_EEEE10hipError_tPvRmT1_T2_T3_mT4_P12ihipStream_tbEUlT_E1_NS1_11comp_targetILNS1_3genE10ELNS1_11target_archE1201ELNS1_3gpuE5ELNS1_3repE0EEENS1_30default_config_static_selectorELNS0_4arch9wavefront6targetE1EEEvS17_.has_recursion, 0
	.set _ZN7rocprim17ROCPRIM_400000_NS6detail17trampoline_kernelINS0_14default_configENS1_22reduce_config_selectorIN6thrust23THRUST_200600_302600_NS5tupleIblNS6_9null_typeES8_S8_S8_S8_S8_S8_S8_EEEEZNS1_11reduce_implILb1ES3_NS6_12zip_iteratorINS7_INS6_11hip_rocprim26transform_input_iterator_tIbPlNS6_6detail10functional5actorINSH_9compositeIJNSH_27transparent_binary_operatorINS6_8equal_toIvEEEENSI_INSH_8argumentILj0EEEEENSH_5valueIlEEEEEEEEENSD_19counting_iterator_tIlEES8_S8_S8_S8_S8_S8_S8_S8_EEEEPS9_S9_NSD_9__find_if7functorIS9_EEEE10hipError_tPvRmT1_T2_T3_mT4_P12ihipStream_tbEUlT_E1_NS1_11comp_targetILNS1_3genE10ELNS1_11target_archE1201ELNS1_3gpuE5ELNS1_3repE0EEENS1_30default_config_static_selectorELNS0_4arch9wavefront6targetE1EEEvS17_.has_indirect_call, 0
	.section	.AMDGPU.csdata,"",@progbits
; Kernel info:
; codeLenInByte = 0
; TotalNumSgprs: 4
; NumVgprs: 0
; ScratchSize: 0
; MemoryBound: 0
; FloatMode: 240
; IeeeMode: 1
; LDSByteSize: 0 bytes/workgroup (compile time only)
; SGPRBlocks: 0
; VGPRBlocks: 0
; NumSGPRsForWavesPerEU: 4
; NumVGPRsForWavesPerEU: 1
; Occupancy: 10
; WaveLimiterHint : 0
; COMPUTE_PGM_RSRC2:SCRATCH_EN: 0
; COMPUTE_PGM_RSRC2:USER_SGPR: 6
; COMPUTE_PGM_RSRC2:TRAP_HANDLER: 0
; COMPUTE_PGM_RSRC2:TGID_X_EN: 1
; COMPUTE_PGM_RSRC2:TGID_Y_EN: 0
; COMPUTE_PGM_RSRC2:TGID_Z_EN: 0
; COMPUTE_PGM_RSRC2:TIDIG_COMP_CNT: 0
	.section	.text._ZN7rocprim17ROCPRIM_400000_NS6detail17trampoline_kernelINS0_14default_configENS1_22reduce_config_selectorIN6thrust23THRUST_200600_302600_NS5tupleIblNS6_9null_typeES8_S8_S8_S8_S8_S8_S8_EEEEZNS1_11reduce_implILb1ES3_NS6_12zip_iteratorINS7_INS6_11hip_rocprim26transform_input_iterator_tIbPlNS6_6detail10functional5actorINSH_9compositeIJNSH_27transparent_binary_operatorINS6_8equal_toIvEEEENSI_INSH_8argumentILj0EEEEENSH_5valueIlEEEEEEEEENSD_19counting_iterator_tIlEES8_S8_S8_S8_S8_S8_S8_S8_EEEEPS9_S9_NSD_9__find_if7functorIS9_EEEE10hipError_tPvRmT1_T2_T3_mT4_P12ihipStream_tbEUlT_E1_NS1_11comp_targetILNS1_3genE10ELNS1_11target_archE1200ELNS1_3gpuE4ELNS1_3repE0EEENS1_30default_config_static_selectorELNS0_4arch9wavefront6targetE1EEEvS17_,"axG",@progbits,_ZN7rocprim17ROCPRIM_400000_NS6detail17trampoline_kernelINS0_14default_configENS1_22reduce_config_selectorIN6thrust23THRUST_200600_302600_NS5tupleIblNS6_9null_typeES8_S8_S8_S8_S8_S8_S8_EEEEZNS1_11reduce_implILb1ES3_NS6_12zip_iteratorINS7_INS6_11hip_rocprim26transform_input_iterator_tIbPlNS6_6detail10functional5actorINSH_9compositeIJNSH_27transparent_binary_operatorINS6_8equal_toIvEEEENSI_INSH_8argumentILj0EEEEENSH_5valueIlEEEEEEEEENSD_19counting_iterator_tIlEES8_S8_S8_S8_S8_S8_S8_S8_EEEEPS9_S9_NSD_9__find_if7functorIS9_EEEE10hipError_tPvRmT1_T2_T3_mT4_P12ihipStream_tbEUlT_E1_NS1_11comp_targetILNS1_3genE10ELNS1_11target_archE1200ELNS1_3gpuE4ELNS1_3repE0EEENS1_30default_config_static_selectorELNS0_4arch9wavefront6targetE1EEEvS17_,comdat
	.protected	_ZN7rocprim17ROCPRIM_400000_NS6detail17trampoline_kernelINS0_14default_configENS1_22reduce_config_selectorIN6thrust23THRUST_200600_302600_NS5tupleIblNS6_9null_typeES8_S8_S8_S8_S8_S8_S8_EEEEZNS1_11reduce_implILb1ES3_NS6_12zip_iteratorINS7_INS6_11hip_rocprim26transform_input_iterator_tIbPlNS6_6detail10functional5actorINSH_9compositeIJNSH_27transparent_binary_operatorINS6_8equal_toIvEEEENSI_INSH_8argumentILj0EEEEENSH_5valueIlEEEEEEEEENSD_19counting_iterator_tIlEES8_S8_S8_S8_S8_S8_S8_S8_EEEEPS9_S9_NSD_9__find_if7functorIS9_EEEE10hipError_tPvRmT1_T2_T3_mT4_P12ihipStream_tbEUlT_E1_NS1_11comp_targetILNS1_3genE10ELNS1_11target_archE1200ELNS1_3gpuE4ELNS1_3repE0EEENS1_30default_config_static_selectorELNS0_4arch9wavefront6targetE1EEEvS17_ ; -- Begin function _ZN7rocprim17ROCPRIM_400000_NS6detail17trampoline_kernelINS0_14default_configENS1_22reduce_config_selectorIN6thrust23THRUST_200600_302600_NS5tupleIblNS6_9null_typeES8_S8_S8_S8_S8_S8_S8_EEEEZNS1_11reduce_implILb1ES3_NS6_12zip_iteratorINS7_INS6_11hip_rocprim26transform_input_iterator_tIbPlNS6_6detail10functional5actorINSH_9compositeIJNSH_27transparent_binary_operatorINS6_8equal_toIvEEEENSI_INSH_8argumentILj0EEEEENSH_5valueIlEEEEEEEEENSD_19counting_iterator_tIlEES8_S8_S8_S8_S8_S8_S8_S8_EEEEPS9_S9_NSD_9__find_if7functorIS9_EEEE10hipError_tPvRmT1_T2_T3_mT4_P12ihipStream_tbEUlT_E1_NS1_11comp_targetILNS1_3genE10ELNS1_11target_archE1200ELNS1_3gpuE4ELNS1_3repE0EEENS1_30default_config_static_selectorELNS0_4arch9wavefront6targetE1EEEvS17_
	.globl	_ZN7rocprim17ROCPRIM_400000_NS6detail17trampoline_kernelINS0_14default_configENS1_22reduce_config_selectorIN6thrust23THRUST_200600_302600_NS5tupleIblNS6_9null_typeES8_S8_S8_S8_S8_S8_S8_EEEEZNS1_11reduce_implILb1ES3_NS6_12zip_iteratorINS7_INS6_11hip_rocprim26transform_input_iterator_tIbPlNS6_6detail10functional5actorINSH_9compositeIJNSH_27transparent_binary_operatorINS6_8equal_toIvEEEENSI_INSH_8argumentILj0EEEEENSH_5valueIlEEEEEEEEENSD_19counting_iterator_tIlEES8_S8_S8_S8_S8_S8_S8_S8_EEEEPS9_S9_NSD_9__find_if7functorIS9_EEEE10hipError_tPvRmT1_T2_T3_mT4_P12ihipStream_tbEUlT_E1_NS1_11comp_targetILNS1_3genE10ELNS1_11target_archE1200ELNS1_3gpuE4ELNS1_3repE0EEENS1_30default_config_static_selectorELNS0_4arch9wavefront6targetE1EEEvS17_
	.p2align	8
	.type	_ZN7rocprim17ROCPRIM_400000_NS6detail17trampoline_kernelINS0_14default_configENS1_22reduce_config_selectorIN6thrust23THRUST_200600_302600_NS5tupleIblNS6_9null_typeES8_S8_S8_S8_S8_S8_S8_EEEEZNS1_11reduce_implILb1ES3_NS6_12zip_iteratorINS7_INS6_11hip_rocprim26transform_input_iterator_tIbPlNS6_6detail10functional5actorINSH_9compositeIJNSH_27transparent_binary_operatorINS6_8equal_toIvEEEENSI_INSH_8argumentILj0EEEEENSH_5valueIlEEEEEEEEENSD_19counting_iterator_tIlEES8_S8_S8_S8_S8_S8_S8_S8_EEEEPS9_S9_NSD_9__find_if7functorIS9_EEEE10hipError_tPvRmT1_T2_T3_mT4_P12ihipStream_tbEUlT_E1_NS1_11comp_targetILNS1_3genE10ELNS1_11target_archE1200ELNS1_3gpuE4ELNS1_3repE0EEENS1_30default_config_static_selectorELNS0_4arch9wavefront6targetE1EEEvS17_,@function
_ZN7rocprim17ROCPRIM_400000_NS6detail17trampoline_kernelINS0_14default_configENS1_22reduce_config_selectorIN6thrust23THRUST_200600_302600_NS5tupleIblNS6_9null_typeES8_S8_S8_S8_S8_S8_S8_EEEEZNS1_11reduce_implILb1ES3_NS6_12zip_iteratorINS7_INS6_11hip_rocprim26transform_input_iterator_tIbPlNS6_6detail10functional5actorINSH_9compositeIJNSH_27transparent_binary_operatorINS6_8equal_toIvEEEENSI_INSH_8argumentILj0EEEEENSH_5valueIlEEEEEEEEENSD_19counting_iterator_tIlEES8_S8_S8_S8_S8_S8_S8_S8_EEEEPS9_S9_NSD_9__find_if7functorIS9_EEEE10hipError_tPvRmT1_T2_T3_mT4_P12ihipStream_tbEUlT_E1_NS1_11comp_targetILNS1_3genE10ELNS1_11target_archE1200ELNS1_3gpuE4ELNS1_3repE0EEENS1_30default_config_static_selectorELNS0_4arch9wavefront6targetE1EEEvS17_: ; @_ZN7rocprim17ROCPRIM_400000_NS6detail17trampoline_kernelINS0_14default_configENS1_22reduce_config_selectorIN6thrust23THRUST_200600_302600_NS5tupleIblNS6_9null_typeES8_S8_S8_S8_S8_S8_S8_EEEEZNS1_11reduce_implILb1ES3_NS6_12zip_iteratorINS7_INS6_11hip_rocprim26transform_input_iterator_tIbPlNS6_6detail10functional5actorINSH_9compositeIJNSH_27transparent_binary_operatorINS6_8equal_toIvEEEENSI_INSH_8argumentILj0EEEEENSH_5valueIlEEEEEEEEENSD_19counting_iterator_tIlEES8_S8_S8_S8_S8_S8_S8_S8_EEEEPS9_S9_NSD_9__find_if7functorIS9_EEEE10hipError_tPvRmT1_T2_T3_mT4_P12ihipStream_tbEUlT_E1_NS1_11comp_targetILNS1_3genE10ELNS1_11target_archE1200ELNS1_3gpuE4ELNS1_3repE0EEENS1_30default_config_static_selectorELNS0_4arch9wavefront6targetE1EEEvS17_
; %bb.0:
	.section	.rodata,"a",@progbits
	.p2align	6, 0x0
	.amdhsa_kernel _ZN7rocprim17ROCPRIM_400000_NS6detail17trampoline_kernelINS0_14default_configENS1_22reduce_config_selectorIN6thrust23THRUST_200600_302600_NS5tupleIblNS6_9null_typeES8_S8_S8_S8_S8_S8_S8_EEEEZNS1_11reduce_implILb1ES3_NS6_12zip_iteratorINS7_INS6_11hip_rocprim26transform_input_iterator_tIbPlNS6_6detail10functional5actorINSH_9compositeIJNSH_27transparent_binary_operatorINS6_8equal_toIvEEEENSI_INSH_8argumentILj0EEEEENSH_5valueIlEEEEEEEEENSD_19counting_iterator_tIlEES8_S8_S8_S8_S8_S8_S8_S8_EEEEPS9_S9_NSD_9__find_if7functorIS9_EEEE10hipError_tPvRmT1_T2_T3_mT4_P12ihipStream_tbEUlT_E1_NS1_11comp_targetILNS1_3genE10ELNS1_11target_archE1200ELNS1_3gpuE4ELNS1_3repE0EEENS1_30default_config_static_selectorELNS0_4arch9wavefront6targetE1EEEvS17_
		.amdhsa_group_segment_fixed_size 0
		.amdhsa_private_segment_fixed_size 0
		.amdhsa_kernarg_size 80
		.amdhsa_user_sgpr_count 6
		.amdhsa_user_sgpr_private_segment_buffer 1
		.amdhsa_user_sgpr_dispatch_ptr 0
		.amdhsa_user_sgpr_queue_ptr 0
		.amdhsa_user_sgpr_kernarg_segment_ptr 1
		.amdhsa_user_sgpr_dispatch_id 0
		.amdhsa_user_sgpr_flat_scratch_init 0
		.amdhsa_user_sgpr_private_segment_size 0
		.amdhsa_uses_dynamic_stack 0
		.amdhsa_system_sgpr_private_segment_wavefront_offset 0
		.amdhsa_system_sgpr_workgroup_id_x 1
		.amdhsa_system_sgpr_workgroup_id_y 0
		.amdhsa_system_sgpr_workgroup_id_z 0
		.amdhsa_system_sgpr_workgroup_info 0
		.amdhsa_system_vgpr_workitem_id 0
		.amdhsa_next_free_vgpr 1
		.amdhsa_next_free_sgpr 0
		.amdhsa_reserve_vcc 0
		.amdhsa_reserve_flat_scratch 0
		.amdhsa_float_round_mode_32 0
		.amdhsa_float_round_mode_16_64 0
		.amdhsa_float_denorm_mode_32 3
		.amdhsa_float_denorm_mode_16_64 3
		.amdhsa_dx10_clamp 1
		.amdhsa_ieee_mode 1
		.amdhsa_fp16_overflow 0
		.amdhsa_exception_fp_ieee_invalid_op 0
		.amdhsa_exception_fp_denorm_src 0
		.amdhsa_exception_fp_ieee_div_zero 0
		.amdhsa_exception_fp_ieee_overflow 0
		.amdhsa_exception_fp_ieee_underflow 0
		.amdhsa_exception_fp_ieee_inexact 0
		.amdhsa_exception_int_div_zero 0
	.end_amdhsa_kernel
	.section	.text._ZN7rocprim17ROCPRIM_400000_NS6detail17trampoline_kernelINS0_14default_configENS1_22reduce_config_selectorIN6thrust23THRUST_200600_302600_NS5tupleIblNS6_9null_typeES8_S8_S8_S8_S8_S8_S8_EEEEZNS1_11reduce_implILb1ES3_NS6_12zip_iteratorINS7_INS6_11hip_rocprim26transform_input_iterator_tIbPlNS6_6detail10functional5actorINSH_9compositeIJNSH_27transparent_binary_operatorINS6_8equal_toIvEEEENSI_INSH_8argumentILj0EEEEENSH_5valueIlEEEEEEEEENSD_19counting_iterator_tIlEES8_S8_S8_S8_S8_S8_S8_S8_EEEEPS9_S9_NSD_9__find_if7functorIS9_EEEE10hipError_tPvRmT1_T2_T3_mT4_P12ihipStream_tbEUlT_E1_NS1_11comp_targetILNS1_3genE10ELNS1_11target_archE1200ELNS1_3gpuE4ELNS1_3repE0EEENS1_30default_config_static_selectorELNS0_4arch9wavefront6targetE1EEEvS17_,"axG",@progbits,_ZN7rocprim17ROCPRIM_400000_NS6detail17trampoline_kernelINS0_14default_configENS1_22reduce_config_selectorIN6thrust23THRUST_200600_302600_NS5tupleIblNS6_9null_typeES8_S8_S8_S8_S8_S8_S8_EEEEZNS1_11reduce_implILb1ES3_NS6_12zip_iteratorINS7_INS6_11hip_rocprim26transform_input_iterator_tIbPlNS6_6detail10functional5actorINSH_9compositeIJNSH_27transparent_binary_operatorINS6_8equal_toIvEEEENSI_INSH_8argumentILj0EEEEENSH_5valueIlEEEEEEEEENSD_19counting_iterator_tIlEES8_S8_S8_S8_S8_S8_S8_S8_EEEEPS9_S9_NSD_9__find_if7functorIS9_EEEE10hipError_tPvRmT1_T2_T3_mT4_P12ihipStream_tbEUlT_E1_NS1_11comp_targetILNS1_3genE10ELNS1_11target_archE1200ELNS1_3gpuE4ELNS1_3repE0EEENS1_30default_config_static_selectorELNS0_4arch9wavefront6targetE1EEEvS17_,comdat
.Lfunc_end1255:
	.size	_ZN7rocprim17ROCPRIM_400000_NS6detail17trampoline_kernelINS0_14default_configENS1_22reduce_config_selectorIN6thrust23THRUST_200600_302600_NS5tupleIblNS6_9null_typeES8_S8_S8_S8_S8_S8_S8_EEEEZNS1_11reduce_implILb1ES3_NS6_12zip_iteratorINS7_INS6_11hip_rocprim26transform_input_iterator_tIbPlNS6_6detail10functional5actorINSH_9compositeIJNSH_27transparent_binary_operatorINS6_8equal_toIvEEEENSI_INSH_8argumentILj0EEEEENSH_5valueIlEEEEEEEEENSD_19counting_iterator_tIlEES8_S8_S8_S8_S8_S8_S8_S8_EEEEPS9_S9_NSD_9__find_if7functorIS9_EEEE10hipError_tPvRmT1_T2_T3_mT4_P12ihipStream_tbEUlT_E1_NS1_11comp_targetILNS1_3genE10ELNS1_11target_archE1200ELNS1_3gpuE4ELNS1_3repE0EEENS1_30default_config_static_selectorELNS0_4arch9wavefront6targetE1EEEvS17_, .Lfunc_end1255-_ZN7rocprim17ROCPRIM_400000_NS6detail17trampoline_kernelINS0_14default_configENS1_22reduce_config_selectorIN6thrust23THRUST_200600_302600_NS5tupleIblNS6_9null_typeES8_S8_S8_S8_S8_S8_S8_EEEEZNS1_11reduce_implILb1ES3_NS6_12zip_iteratorINS7_INS6_11hip_rocprim26transform_input_iterator_tIbPlNS6_6detail10functional5actorINSH_9compositeIJNSH_27transparent_binary_operatorINS6_8equal_toIvEEEENSI_INSH_8argumentILj0EEEEENSH_5valueIlEEEEEEEEENSD_19counting_iterator_tIlEES8_S8_S8_S8_S8_S8_S8_S8_EEEEPS9_S9_NSD_9__find_if7functorIS9_EEEE10hipError_tPvRmT1_T2_T3_mT4_P12ihipStream_tbEUlT_E1_NS1_11comp_targetILNS1_3genE10ELNS1_11target_archE1200ELNS1_3gpuE4ELNS1_3repE0EEENS1_30default_config_static_selectorELNS0_4arch9wavefront6targetE1EEEvS17_
                                        ; -- End function
	.set _ZN7rocprim17ROCPRIM_400000_NS6detail17trampoline_kernelINS0_14default_configENS1_22reduce_config_selectorIN6thrust23THRUST_200600_302600_NS5tupleIblNS6_9null_typeES8_S8_S8_S8_S8_S8_S8_EEEEZNS1_11reduce_implILb1ES3_NS6_12zip_iteratorINS7_INS6_11hip_rocprim26transform_input_iterator_tIbPlNS6_6detail10functional5actorINSH_9compositeIJNSH_27transparent_binary_operatorINS6_8equal_toIvEEEENSI_INSH_8argumentILj0EEEEENSH_5valueIlEEEEEEEEENSD_19counting_iterator_tIlEES8_S8_S8_S8_S8_S8_S8_S8_EEEEPS9_S9_NSD_9__find_if7functorIS9_EEEE10hipError_tPvRmT1_T2_T3_mT4_P12ihipStream_tbEUlT_E1_NS1_11comp_targetILNS1_3genE10ELNS1_11target_archE1200ELNS1_3gpuE4ELNS1_3repE0EEENS1_30default_config_static_selectorELNS0_4arch9wavefront6targetE1EEEvS17_.num_vgpr, 0
	.set _ZN7rocprim17ROCPRIM_400000_NS6detail17trampoline_kernelINS0_14default_configENS1_22reduce_config_selectorIN6thrust23THRUST_200600_302600_NS5tupleIblNS6_9null_typeES8_S8_S8_S8_S8_S8_S8_EEEEZNS1_11reduce_implILb1ES3_NS6_12zip_iteratorINS7_INS6_11hip_rocprim26transform_input_iterator_tIbPlNS6_6detail10functional5actorINSH_9compositeIJNSH_27transparent_binary_operatorINS6_8equal_toIvEEEENSI_INSH_8argumentILj0EEEEENSH_5valueIlEEEEEEEEENSD_19counting_iterator_tIlEES8_S8_S8_S8_S8_S8_S8_S8_EEEEPS9_S9_NSD_9__find_if7functorIS9_EEEE10hipError_tPvRmT1_T2_T3_mT4_P12ihipStream_tbEUlT_E1_NS1_11comp_targetILNS1_3genE10ELNS1_11target_archE1200ELNS1_3gpuE4ELNS1_3repE0EEENS1_30default_config_static_selectorELNS0_4arch9wavefront6targetE1EEEvS17_.num_agpr, 0
	.set _ZN7rocprim17ROCPRIM_400000_NS6detail17trampoline_kernelINS0_14default_configENS1_22reduce_config_selectorIN6thrust23THRUST_200600_302600_NS5tupleIblNS6_9null_typeES8_S8_S8_S8_S8_S8_S8_EEEEZNS1_11reduce_implILb1ES3_NS6_12zip_iteratorINS7_INS6_11hip_rocprim26transform_input_iterator_tIbPlNS6_6detail10functional5actorINSH_9compositeIJNSH_27transparent_binary_operatorINS6_8equal_toIvEEEENSI_INSH_8argumentILj0EEEEENSH_5valueIlEEEEEEEEENSD_19counting_iterator_tIlEES8_S8_S8_S8_S8_S8_S8_S8_EEEEPS9_S9_NSD_9__find_if7functorIS9_EEEE10hipError_tPvRmT1_T2_T3_mT4_P12ihipStream_tbEUlT_E1_NS1_11comp_targetILNS1_3genE10ELNS1_11target_archE1200ELNS1_3gpuE4ELNS1_3repE0EEENS1_30default_config_static_selectorELNS0_4arch9wavefront6targetE1EEEvS17_.numbered_sgpr, 0
	.set _ZN7rocprim17ROCPRIM_400000_NS6detail17trampoline_kernelINS0_14default_configENS1_22reduce_config_selectorIN6thrust23THRUST_200600_302600_NS5tupleIblNS6_9null_typeES8_S8_S8_S8_S8_S8_S8_EEEEZNS1_11reduce_implILb1ES3_NS6_12zip_iteratorINS7_INS6_11hip_rocprim26transform_input_iterator_tIbPlNS6_6detail10functional5actorINSH_9compositeIJNSH_27transparent_binary_operatorINS6_8equal_toIvEEEENSI_INSH_8argumentILj0EEEEENSH_5valueIlEEEEEEEEENSD_19counting_iterator_tIlEES8_S8_S8_S8_S8_S8_S8_S8_EEEEPS9_S9_NSD_9__find_if7functorIS9_EEEE10hipError_tPvRmT1_T2_T3_mT4_P12ihipStream_tbEUlT_E1_NS1_11comp_targetILNS1_3genE10ELNS1_11target_archE1200ELNS1_3gpuE4ELNS1_3repE0EEENS1_30default_config_static_selectorELNS0_4arch9wavefront6targetE1EEEvS17_.num_named_barrier, 0
	.set _ZN7rocprim17ROCPRIM_400000_NS6detail17trampoline_kernelINS0_14default_configENS1_22reduce_config_selectorIN6thrust23THRUST_200600_302600_NS5tupleIblNS6_9null_typeES8_S8_S8_S8_S8_S8_S8_EEEEZNS1_11reduce_implILb1ES3_NS6_12zip_iteratorINS7_INS6_11hip_rocprim26transform_input_iterator_tIbPlNS6_6detail10functional5actorINSH_9compositeIJNSH_27transparent_binary_operatorINS6_8equal_toIvEEEENSI_INSH_8argumentILj0EEEEENSH_5valueIlEEEEEEEEENSD_19counting_iterator_tIlEES8_S8_S8_S8_S8_S8_S8_S8_EEEEPS9_S9_NSD_9__find_if7functorIS9_EEEE10hipError_tPvRmT1_T2_T3_mT4_P12ihipStream_tbEUlT_E1_NS1_11comp_targetILNS1_3genE10ELNS1_11target_archE1200ELNS1_3gpuE4ELNS1_3repE0EEENS1_30default_config_static_selectorELNS0_4arch9wavefront6targetE1EEEvS17_.private_seg_size, 0
	.set _ZN7rocprim17ROCPRIM_400000_NS6detail17trampoline_kernelINS0_14default_configENS1_22reduce_config_selectorIN6thrust23THRUST_200600_302600_NS5tupleIblNS6_9null_typeES8_S8_S8_S8_S8_S8_S8_EEEEZNS1_11reduce_implILb1ES3_NS6_12zip_iteratorINS7_INS6_11hip_rocprim26transform_input_iterator_tIbPlNS6_6detail10functional5actorINSH_9compositeIJNSH_27transparent_binary_operatorINS6_8equal_toIvEEEENSI_INSH_8argumentILj0EEEEENSH_5valueIlEEEEEEEEENSD_19counting_iterator_tIlEES8_S8_S8_S8_S8_S8_S8_S8_EEEEPS9_S9_NSD_9__find_if7functorIS9_EEEE10hipError_tPvRmT1_T2_T3_mT4_P12ihipStream_tbEUlT_E1_NS1_11comp_targetILNS1_3genE10ELNS1_11target_archE1200ELNS1_3gpuE4ELNS1_3repE0EEENS1_30default_config_static_selectorELNS0_4arch9wavefront6targetE1EEEvS17_.uses_vcc, 0
	.set _ZN7rocprim17ROCPRIM_400000_NS6detail17trampoline_kernelINS0_14default_configENS1_22reduce_config_selectorIN6thrust23THRUST_200600_302600_NS5tupleIblNS6_9null_typeES8_S8_S8_S8_S8_S8_S8_EEEEZNS1_11reduce_implILb1ES3_NS6_12zip_iteratorINS7_INS6_11hip_rocprim26transform_input_iterator_tIbPlNS6_6detail10functional5actorINSH_9compositeIJNSH_27transparent_binary_operatorINS6_8equal_toIvEEEENSI_INSH_8argumentILj0EEEEENSH_5valueIlEEEEEEEEENSD_19counting_iterator_tIlEES8_S8_S8_S8_S8_S8_S8_S8_EEEEPS9_S9_NSD_9__find_if7functorIS9_EEEE10hipError_tPvRmT1_T2_T3_mT4_P12ihipStream_tbEUlT_E1_NS1_11comp_targetILNS1_3genE10ELNS1_11target_archE1200ELNS1_3gpuE4ELNS1_3repE0EEENS1_30default_config_static_selectorELNS0_4arch9wavefront6targetE1EEEvS17_.uses_flat_scratch, 0
	.set _ZN7rocprim17ROCPRIM_400000_NS6detail17trampoline_kernelINS0_14default_configENS1_22reduce_config_selectorIN6thrust23THRUST_200600_302600_NS5tupleIblNS6_9null_typeES8_S8_S8_S8_S8_S8_S8_EEEEZNS1_11reduce_implILb1ES3_NS6_12zip_iteratorINS7_INS6_11hip_rocprim26transform_input_iterator_tIbPlNS6_6detail10functional5actorINSH_9compositeIJNSH_27transparent_binary_operatorINS6_8equal_toIvEEEENSI_INSH_8argumentILj0EEEEENSH_5valueIlEEEEEEEEENSD_19counting_iterator_tIlEES8_S8_S8_S8_S8_S8_S8_S8_EEEEPS9_S9_NSD_9__find_if7functorIS9_EEEE10hipError_tPvRmT1_T2_T3_mT4_P12ihipStream_tbEUlT_E1_NS1_11comp_targetILNS1_3genE10ELNS1_11target_archE1200ELNS1_3gpuE4ELNS1_3repE0EEENS1_30default_config_static_selectorELNS0_4arch9wavefront6targetE1EEEvS17_.has_dyn_sized_stack, 0
	.set _ZN7rocprim17ROCPRIM_400000_NS6detail17trampoline_kernelINS0_14default_configENS1_22reduce_config_selectorIN6thrust23THRUST_200600_302600_NS5tupleIblNS6_9null_typeES8_S8_S8_S8_S8_S8_S8_EEEEZNS1_11reduce_implILb1ES3_NS6_12zip_iteratorINS7_INS6_11hip_rocprim26transform_input_iterator_tIbPlNS6_6detail10functional5actorINSH_9compositeIJNSH_27transparent_binary_operatorINS6_8equal_toIvEEEENSI_INSH_8argumentILj0EEEEENSH_5valueIlEEEEEEEEENSD_19counting_iterator_tIlEES8_S8_S8_S8_S8_S8_S8_S8_EEEEPS9_S9_NSD_9__find_if7functorIS9_EEEE10hipError_tPvRmT1_T2_T3_mT4_P12ihipStream_tbEUlT_E1_NS1_11comp_targetILNS1_3genE10ELNS1_11target_archE1200ELNS1_3gpuE4ELNS1_3repE0EEENS1_30default_config_static_selectorELNS0_4arch9wavefront6targetE1EEEvS17_.has_recursion, 0
	.set _ZN7rocprim17ROCPRIM_400000_NS6detail17trampoline_kernelINS0_14default_configENS1_22reduce_config_selectorIN6thrust23THRUST_200600_302600_NS5tupleIblNS6_9null_typeES8_S8_S8_S8_S8_S8_S8_EEEEZNS1_11reduce_implILb1ES3_NS6_12zip_iteratorINS7_INS6_11hip_rocprim26transform_input_iterator_tIbPlNS6_6detail10functional5actorINSH_9compositeIJNSH_27transparent_binary_operatorINS6_8equal_toIvEEEENSI_INSH_8argumentILj0EEEEENSH_5valueIlEEEEEEEEENSD_19counting_iterator_tIlEES8_S8_S8_S8_S8_S8_S8_S8_EEEEPS9_S9_NSD_9__find_if7functorIS9_EEEE10hipError_tPvRmT1_T2_T3_mT4_P12ihipStream_tbEUlT_E1_NS1_11comp_targetILNS1_3genE10ELNS1_11target_archE1200ELNS1_3gpuE4ELNS1_3repE0EEENS1_30default_config_static_selectorELNS0_4arch9wavefront6targetE1EEEvS17_.has_indirect_call, 0
	.section	.AMDGPU.csdata,"",@progbits
; Kernel info:
; codeLenInByte = 0
; TotalNumSgprs: 4
; NumVgprs: 0
; ScratchSize: 0
; MemoryBound: 0
; FloatMode: 240
; IeeeMode: 1
; LDSByteSize: 0 bytes/workgroup (compile time only)
; SGPRBlocks: 0
; VGPRBlocks: 0
; NumSGPRsForWavesPerEU: 4
; NumVGPRsForWavesPerEU: 1
; Occupancy: 10
; WaveLimiterHint : 0
; COMPUTE_PGM_RSRC2:SCRATCH_EN: 0
; COMPUTE_PGM_RSRC2:USER_SGPR: 6
; COMPUTE_PGM_RSRC2:TRAP_HANDLER: 0
; COMPUTE_PGM_RSRC2:TGID_X_EN: 1
; COMPUTE_PGM_RSRC2:TGID_Y_EN: 0
; COMPUTE_PGM_RSRC2:TGID_Z_EN: 0
; COMPUTE_PGM_RSRC2:TIDIG_COMP_CNT: 0
	.section	.text._ZN7rocprim17ROCPRIM_400000_NS6detail17trampoline_kernelINS0_14default_configENS1_22reduce_config_selectorIN6thrust23THRUST_200600_302600_NS5tupleIblNS6_9null_typeES8_S8_S8_S8_S8_S8_S8_EEEEZNS1_11reduce_implILb1ES3_NS6_12zip_iteratorINS7_INS6_11hip_rocprim26transform_input_iterator_tIbPlNS6_6detail10functional5actorINSH_9compositeIJNSH_27transparent_binary_operatorINS6_8equal_toIvEEEENSI_INSH_8argumentILj0EEEEENSH_5valueIlEEEEEEEEENSD_19counting_iterator_tIlEES8_S8_S8_S8_S8_S8_S8_S8_EEEEPS9_S9_NSD_9__find_if7functorIS9_EEEE10hipError_tPvRmT1_T2_T3_mT4_P12ihipStream_tbEUlT_E1_NS1_11comp_targetILNS1_3genE9ELNS1_11target_archE1100ELNS1_3gpuE3ELNS1_3repE0EEENS1_30default_config_static_selectorELNS0_4arch9wavefront6targetE1EEEvS17_,"axG",@progbits,_ZN7rocprim17ROCPRIM_400000_NS6detail17trampoline_kernelINS0_14default_configENS1_22reduce_config_selectorIN6thrust23THRUST_200600_302600_NS5tupleIblNS6_9null_typeES8_S8_S8_S8_S8_S8_S8_EEEEZNS1_11reduce_implILb1ES3_NS6_12zip_iteratorINS7_INS6_11hip_rocprim26transform_input_iterator_tIbPlNS6_6detail10functional5actorINSH_9compositeIJNSH_27transparent_binary_operatorINS6_8equal_toIvEEEENSI_INSH_8argumentILj0EEEEENSH_5valueIlEEEEEEEEENSD_19counting_iterator_tIlEES8_S8_S8_S8_S8_S8_S8_S8_EEEEPS9_S9_NSD_9__find_if7functorIS9_EEEE10hipError_tPvRmT1_T2_T3_mT4_P12ihipStream_tbEUlT_E1_NS1_11comp_targetILNS1_3genE9ELNS1_11target_archE1100ELNS1_3gpuE3ELNS1_3repE0EEENS1_30default_config_static_selectorELNS0_4arch9wavefront6targetE1EEEvS17_,comdat
	.protected	_ZN7rocprim17ROCPRIM_400000_NS6detail17trampoline_kernelINS0_14default_configENS1_22reduce_config_selectorIN6thrust23THRUST_200600_302600_NS5tupleIblNS6_9null_typeES8_S8_S8_S8_S8_S8_S8_EEEEZNS1_11reduce_implILb1ES3_NS6_12zip_iteratorINS7_INS6_11hip_rocprim26transform_input_iterator_tIbPlNS6_6detail10functional5actorINSH_9compositeIJNSH_27transparent_binary_operatorINS6_8equal_toIvEEEENSI_INSH_8argumentILj0EEEEENSH_5valueIlEEEEEEEEENSD_19counting_iterator_tIlEES8_S8_S8_S8_S8_S8_S8_S8_EEEEPS9_S9_NSD_9__find_if7functorIS9_EEEE10hipError_tPvRmT1_T2_T3_mT4_P12ihipStream_tbEUlT_E1_NS1_11comp_targetILNS1_3genE9ELNS1_11target_archE1100ELNS1_3gpuE3ELNS1_3repE0EEENS1_30default_config_static_selectorELNS0_4arch9wavefront6targetE1EEEvS17_ ; -- Begin function _ZN7rocprim17ROCPRIM_400000_NS6detail17trampoline_kernelINS0_14default_configENS1_22reduce_config_selectorIN6thrust23THRUST_200600_302600_NS5tupleIblNS6_9null_typeES8_S8_S8_S8_S8_S8_S8_EEEEZNS1_11reduce_implILb1ES3_NS6_12zip_iteratorINS7_INS6_11hip_rocprim26transform_input_iterator_tIbPlNS6_6detail10functional5actorINSH_9compositeIJNSH_27transparent_binary_operatorINS6_8equal_toIvEEEENSI_INSH_8argumentILj0EEEEENSH_5valueIlEEEEEEEEENSD_19counting_iterator_tIlEES8_S8_S8_S8_S8_S8_S8_S8_EEEEPS9_S9_NSD_9__find_if7functorIS9_EEEE10hipError_tPvRmT1_T2_T3_mT4_P12ihipStream_tbEUlT_E1_NS1_11comp_targetILNS1_3genE9ELNS1_11target_archE1100ELNS1_3gpuE3ELNS1_3repE0EEENS1_30default_config_static_selectorELNS0_4arch9wavefront6targetE1EEEvS17_
	.globl	_ZN7rocprim17ROCPRIM_400000_NS6detail17trampoline_kernelINS0_14default_configENS1_22reduce_config_selectorIN6thrust23THRUST_200600_302600_NS5tupleIblNS6_9null_typeES8_S8_S8_S8_S8_S8_S8_EEEEZNS1_11reduce_implILb1ES3_NS6_12zip_iteratorINS7_INS6_11hip_rocprim26transform_input_iterator_tIbPlNS6_6detail10functional5actorINSH_9compositeIJNSH_27transparent_binary_operatorINS6_8equal_toIvEEEENSI_INSH_8argumentILj0EEEEENSH_5valueIlEEEEEEEEENSD_19counting_iterator_tIlEES8_S8_S8_S8_S8_S8_S8_S8_EEEEPS9_S9_NSD_9__find_if7functorIS9_EEEE10hipError_tPvRmT1_T2_T3_mT4_P12ihipStream_tbEUlT_E1_NS1_11comp_targetILNS1_3genE9ELNS1_11target_archE1100ELNS1_3gpuE3ELNS1_3repE0EEENS1_30default_config_static_selectorELNS0_4arch9wavefront6targetE1EEEvS17_
	.p2align	8
	.type	_ZN7rocprim17ROCPRIM_400000_NS6detail17trampoline_kernelINS0_14default_configENS1_22reduce_config_selectorIN6thrust23THRUST_200600_302600_NS5tupleIblNS6_9null_typeES8_S8_S8_S8_S8_S8_S8_EEEEZNS1_11reduce_implILb1ES3_NS6_12zip_iteratorINS7_INS6_11hip_rocprim26transform_input_iterator_tIbPlNS6_6detail10functional5actorINSH_9compositeIJNSH_27transparent_binary_operatorINS6_8equal_toIvEEEENSI_INSH_8argumentILj0EEEEENSH_5valueIlEEEEEEEEENSD_19counting_iterator_tIlEES8_S8_S8_S8_S8_S8_S8_S8_EEEEPS9_S9_NSD_9__find_if7functorIS9_EEEE10hipError_tPvRmT1_T2_T3_mT4_P12ihipStream_tbEUlT_E1_NS1_11comp_targetILNS1_3genE9ELNS1_11target_archE1100ELNS1_3gpuE3ELNS1_3repE0EEENS1_30default_config_static_selectorELNS0_4arch9wavefront6targetE1EEEvS17_,@function
_ZN7rocprim17ROCPRIM_400000_NS6detail17trampoline_kernelINS0_14default_configENS1_22reduce_config_selectorIN6thrust23THRUST_200600_302600_NS5tupleIblNS6_9null_typeES8_S8_S8_S8_S8_S8_S8_EEEEZNS1_11reduce_implILb1ES3_NS6_12zip_iteratorINS7_INS6_11hip_rocprim26transform_input_iterator_tIbPlNS6_6detail10functional5actorINSH_9compositeIJNSH_27transparent_binary_operatorINS6_8equal_toIvEEEENSI_INSH_8argumentILj0EEEEENSH_5valueIlEEEEEEEEENSD_19counting_iterator_tIlEES8_S8_S8_S8_S8_S8_S8_S8_EEEEPS9_S9_NSD_9__find_if7functorIS9_EEEE10hipError_tPvRmT1_T2_T3_mT4_P12ihipStream_tbEUlT_E1_NS1_11comp_targetILNS1_3genE9ELNS1_11target_archE1100ELNS1_3gpuE3ELNS1_3repE0EEENS1_30default_config_static_selectorELNS0_4arch9wavefront6targetE1EEEvS17_: ; @_ZN7rocprim17ROCPRIM_400000_NS6detail17trampoline_kernelINS0_14default_configENS1_22reduce_config_selectorIN6thrust23THRUST_200600_302600_NS5tupleIblNS6_9null_typeES8_S8_S8_S8_S8_S8_S8_EEEEZNS1_11reduce_implILb1ES3_NS6_12zip_iteratorINS7_INS6_11hip_rocprim26transform_input_iterator_tIbPlNS6_6detail10functional5actorINSH_9compositeIJNSH_27transparent_binary_operatorINS6_8equal_toIvEEEENSI_INSH_8argumentILj0EEEEENSH_5valueIlEEEEEEEEENSD_19counting_iterator_tIlEES8_S8_S8_S8_S8_S8_S8_S8_EEEEPS9_S9_NSD_9__find_if7functorIS9_EEEE10hipError_tPvRmT1_T2_T3_mT4_P12ihipStream_tbEUlT_E1_NS1_11comp_targetILNS1_3genE9ELNS1_11target_archE1100ELNS1_3gpuE3ELNS1_3repE0EEENS1_30default_config_static_selectorELNS0_4arch9wavefront6targetE1EEEvS17_
; %bb.0:
	.section	.rodata,"a",@progbits
	.p2align	6, 0x0
	.amdhsa_kernel _ZN7rocprim17ROCPRIM_400000_NS6detail17trampoline_kernelINS0_14default_configENS1_22reduce_config_selectorIN6thrust23THRUST_200600_302600_NS5tupleIblNS6_9null_typeES8_S8_S8_S8_S8_S8_S8_EEEEZNS1_11reduce_implILb1ES3_NS6_12zip_iteratorINS7_INS6_11hip_rocprim26transform_input_iterator_tIbPlNS6_6detail10functional5actorINSH_9compositeIJNSH_27transparent_binary_operatorINS6_8equal_toIvEEEENSI_INSH_8argumentILj0EEEEENSH_5valueIlEEEEEEEEENSD_19counting_iterator_tIlEES8_S8_S8_S8_S8_S8_S8_S8_EEEEPS9_S9_NSD_9__find_if7functorIS9_EEEE10hipError_tPvRmT1_T2_T3_mT4_P12ihipStream_tbEUlT_E1_NS1_11comp_targetILNS1_3genE9ELNS1_11target_archE1100ELNS1_3gpuE3ELNS1_3repE0EEENS1_30default_config_static_selectorELNS0_4arch9wavefront6targetE1EEEvS17_
		.amdhsa_group_segment_fixed_size 0
		.amdhsa_private_segment_fixed_size 0
		.amdhsa_kernarg_size 80
		.amdhsa_user_sgpr_count 6
		.amdhsa_user_sgpr_private_segment_buffer 1
		.amdhsa_user_sgpr_dispatch_ptr 0
		.amdhsa_user_sgpr_queue_ptr 0
		.amdhsa_user_sgpr_kernarg_segment_ptr 1
		.amdhsa_user_sgpr_dispatch_id 0
		.amdhsa_user_sgpr_flat_scratch_init 0
		.amdhsa_user_sgpr_private_segment_size 0
		.amdhsa_uses_dynamic_stack 0
		.amdhsa_system_sgpr_private_segment_wavefront_offset 0
		.amdhsa_system_sgpr_workgroup_id_x 1
		.amdhsa_system_sgpr_workgroup_id_y 0
		.amdhsa_system_sgpr_workgroup_id_z 0
		.amdhsa_system_sgpr_workgroup_info 0
		.amdhsa_system_vgpr_workitem_id 0
		.amdhsa_next_free_vgpr 1
		.amdhsa_next_free_sgpr 0
		.amdhsa_reserve_vcc 0
		.amdhsa_reserve_flat_scratch 0
		.amdhsa_float_round_mode_32 0
		.amdhsa_float_round_mode_16_64 0
		.amdhsa_float_denorm_mode_32 3
		.amdhsa_float_denorm_mode_16_64 3
		.amdhsa_dx10_clamp 1
		.amdhsa_ieee_mode 1
		.amdhsa_fp16_overflow 0
		.amdhsa_exception_fp_ieee_invalid_op 0
		.amdhsa_exception_fp_denorm_src 0
		.amdhsa_exception_fp_ieee_div_zero 0
		.amdhsa_exception_fp_ieee_overflow 0
		.amdhsa_exception_fp_ieee_underflow 0
		.amdhsa_exception_fp_ieee_inexact 0
		.amdhsa_exception_int_div_zero 0
	.end_amdhsa_kernel
	.section	.text._ZN7rocprim17ROCPRIM_400000_NS6detail17trampoline_kernelINS0_14default_configENS1_22reduce_config_selectorIN6thrust23THRUST_200600_302600_NS5tupleIblNS6_9null_typeES8_S8_S8_S8_S8_S8_S8_EEEEZNS1_11reduce_implILb1ES3_NS6_12zip_iteratorINS7_INS6_11hip_rocprim26transform_input_iterator_tIbPlNS6_6detail10functional5actorINSH_9compositeIJNSH_27transparent_binary_operatorINS6_8equal_toIvEEEENSI_INSH_8argumentILj0EEEEENSH_5valueIlEEEEEEEEENSD_19counting_iterator_tIlEES8_S8_S8_S8_S8_S8_S8_S8_EEEEPS9_S9_NSD_9__find_if7functorIS9_EEEE10hipError_tPvRmT1_T2_T3_mT4_P12ihipStream_tbEUlT_E1_NS1_11comp_targetILNS1_3genE9ELNS1_11target_archE1100ELNS1_3gpuE3ELNS1_3repE0EEENS1_30default_config_static_selectorELNS0_4arch9wavefront6targetE1EEEvS17_,"axG",@progbits,_ZN7rocprim17ROCPRIM_400000_NS6detail17trampoline_kernelINS0_14default_configENS1_22reduce_config_selectorIN6thrust23THRUST_200600_302600_NS5tupleIblNS6_9null_typeES8_S8_S8_S8_S8_S8_S8_EEEEZNS1_11reduce_implILb1ES3_NS6_12zip_iteratorINS7_INS6_11hip_rocprim26transform_input_iterator_tIbPlNS6_6detail10functional5actorINSH_9compositeIJNSH_27transparent_binary_operatorINS6_8equal_toIvEEEENSI_INSH_8argumentILj0EEEEENSH_5valueIlEEEEEEEEENSD_19counting_iterator_tIlEES8_S8_S8_S8_S8_S8_S8_S8_EEEEPS9_S9_NSD_9__find_if7functorIS9_EEEE10hipError_tPvRmT1_T2_T3_mT4_P12ihipStream_tbEUlT_E1_NS1_11comp_targetILNS1_3genE9ELNS1_11target_archE1100ELNS1_3gpuE3ELNS1_3repE0EEENS1_30default_config_static_selectorELNS0_4arch9wavefront6targetE1EEEvS17_,comdat
.Lfunc_end1256:
	.size	_ZN7rocprim17ROCPRIM_400000_NS6detail17trampoline_kernelINS0_14default_configENS1_22reduce_config_selectorIN6thrust23THRUST_200600_302600_NS5tupleIblNS6_9null_typeES8_S8_S8_S8_S8_S8_S8_EEEEZNS1_11reduce_implILb1ES3_NS6_12zip_iteratorINS7_INS6_11hip_rocprim26transform_input_iterator_tIbPlNS6_6detail10functional5actorINSH_9compositeIJNSH_27transparent_binary_operatorINS6_8equal_toIvEEEENSI_INSH_8argumentILj0EEEEENSH_5valueIlEEEEEEEEENSD_19counting_iterator_tIlEES8_S8_S8_S8_S8_S8_S8_S8_EEEEPS9_S9_NSD_9__find_if7functorIS9_EEEE10hipError_tPvRmT1_T2_T3_mT4_P12ihipStream_tbEUlT_E1_NS1_11comp_targetILNS1_3genE9ELNS1_11target_archE1100ELNS1_3gpuE3ELNS1_3repE0EEENS1_30default_config_static_selectorELNS0_4arch9wavefront6targetE1EEEvS17_, .Lfunc_end1256-_ZN7rocprim17ROCPRIM_400000_NS6detail17trampoline_kernelINS0_14default_configENS1_22reduce_config_selectorIN6thrust23THRUST_200600_302600_NS5tupleIblNS6_9null_typeES8_S8_S8_S8_S8_S8_S8_EEEEZNS1_11reduce_implILb1ES3_NS6_12zip_iteratorINS7_INS6_11hip_rocprim26transform_input_iterator_tIbPlNS6_6detail10functional5actorINSH_9compositeIJNSH_27transparent_binary_operatorINS6_8equal_toIvEEEENSI_INSH_8argumentILj0EEEEENSH_5valueIlEEEEEEEEENSD_19counting_iterator_tIlEES8_S8_S8_S8_S8_S8_S8_S8_EEEEPS9_S9_NSD_9__find_if7functorIS9_EEEE10hipError_tPvRmT1_T2_T3_mT4_P12ihipStream_tbEUlT_E1_NS1_11comp_targetILNS1_3genE9ELNS1_11target_archE1100ELNS1_3gpuE3ELNS1_3repE0EEENS1_30default_config_static_selectorELNS0_4arch9wavefront6targetE1EEEvS17_
                                        ; -- End function
	.set _ZN7rocprim17ROCPRIM_400000_NS6detail17trampoline_kernelINS0_14default_configENS1_22reduce_config_selectorIN6thrust23THRUST_200600_302600_NS5tupleIblNS6_9null_typeES8_S8_S8_S8_S8_S8_S8_EEEEZNS1_11reduce_implILb1ES3_NS6_12zip_iteratorINS7_INS6_11hip_rocprim26transform_input_iterator_tIbPlNS6_6detail10functional5actorINSH_9compositeIJNSH_27transparent_binary_operatorINS6_8equal_toIvEEEENSI_INSH_8argumentILj0EEEEENSH_5valueIlEEEEEEEEENSD_19counting_iterator_tIlEES8_S8_S8_S8_S8_S8_S8_S8_EEEEPS9_S9_NSD_9__find_if7functorIS9_EEEE10hipError_tPvRmT1_T2_T3_mT4_P12ihipStream_tbEUlT_E1_NS1_11comp_targetILNS1_3genE9ELNS1_11target_archE1100ELNS1_3gpuE3ELNS1_3repE0EEENS1_30default_config_static_selectorELNS0_4arch9wavefront6targetE1EEEvS17_.num_vgpr, 0
	.set _ZN7rocprim17ROCPRIM_400000_NS6detail17trampoline_kernelINS0_14default_configENS1_22reduce_config_selectorIN6thrust23THRUST_200600_302600_NS5tupleIblNS6_9null_typeES8_S8_S8_S8_S8_S8_S8_EEEEZNS1_11reduce_implILb1ES3_NS6_12zip_iteratorINS7_INS6_11hip_rocprim26transform_input_iterator_tIbPlNS6_6detail10functional5actorINSH_9compositeIJNSH_27transparent_binary_operatorINS6_8equal_toIvEEEENSI_INSH_8argumentILj0EEEEENSH_5valueIlEEEEEEEEENSD_19counting_iterator_tIlEES8_S8_S8_S8_S8_S8_S8_S8_EEEEPS9_S9_NSD_9__find_if7functorIS9_EEEE10hipError_tPvRmT1_T2_T3_mT4_P12ihipStream_tbEUlT_E1_NS1_11comp_targetILNS1_3genE9ELNS1_11target_archE1100ELNS1_3gpuE3ELNS1_3repE0EEENS1_30default_config_static_selectorELNS0_4arch9wavefront6targetE1EEEvS17_.num_agpr, 0
	.set _ZN7rocprim17ROCPRIM_400000_NS6detail17trampoline_kernelINS0_14default_configENS1_22reduce_config_selectorIN6thrust23THRUST_200600_302600_NS5tupleIblNS6_9null_typeES8_S8_S8_S8_S8_S8_S8_EEEEZNS1_11reduce_implILb1ES3_NS6_12zip_iteratorINS7_INS6_11hip_rocprim26transform_input_iterator_tIbPlNS6_6detail10functional5actorINSH_9compositeIJNSH_27transparent_binary_operatorINS6_8equal_toIvEEEENSI_INSH_8argumentILj0EEEEENSH_5valueIlEEEEEEEEENSD_19counting_iterator_tIlEES8_S8_S8_S8_S8_S8_S8_S8_EEEEPS9_S9_NSD_9__find_if7functorIS9_EEEE10hipError_tPvRmT1_T2_T3_mT4_P12ihipStream_tbEUlT_E1_NS1_11comp_targetILNS1_3genE9ELNS1_11target_archE1100ELNS1_3gpuE3ELNS1_3repE0EEENS1_30default_config_static_selectorELNS0_4arch9wavefront6targetE1EEEvS17_.numbered_sgpr, 0
	.set _ZN7rocprim17ROCPRIM_400000_NS6detail17trampoline_kernelINS0_14default_configENS1_22reduce_config_selectorIN6thrust23THRUST_200600_302600_NS5tupleIblNS6_9null_typeES8_S8_S8_S8_S8_S8_S8_EEEEZNS1_11reduce_implILb1ES3_NS6_12zip_iteratorINS7_INS6_11hip_rocprim26transform_input_iterator_tIbPlNS6_6detail10functional5actorINSH_9compositeIJNSH_27transparent_binary_operatorINS6_8equal_toIvEEEENSI_INSH_8argumentILj0EEEEENSH_5valueIlEEEEEEEEENSD_19counting_iterator_tIlEES8_S8_S8_S8_S8_S8_S8_S8_EEEEPS9_S9_NSD_9__find_if7functorIS9_EEEE10hipError_tPvRmT1_T2_T3_mT4_P12ihipStream_tbEUlT_E1_NS1_11comp_targetILNS1_3genE9ELNS1_11target_archE1100ELNS1_3gpuE3ELNS1_3repE0EEENS1_30default_config_static_selectorELNS0_4arch9wavefront6targetE1EEEvS17_.num_named_barrier, 0
	.set _ZN7rocprim17ROCPRIM_400000_NS6detail17trampoline_kernelINS0_14default_configENS1_22reduce_config_selectorIN6thrust23THRUST_200600_302600_NS5tupleIblNS6_9null_typeES8_S8_S8_S8_S8_S8_S8_EEEEZNS1_11reduce_implILb1ES3_NS6_12zip_iteratorINS7_INS6_11hip_rocprim26transform_input_iterator_tIbPlNS6_6detail10functional5actorINSH_9compositeIJNSH_27transparent_binary_operatorINS6_8equal_toIvEEEENSI_INSH_8argumentILj0EEEEENSH_5valueIlEEEEEEEEENSD_19counting_iterator_tIlEES8_S8_S8_S8_S8_S8_S8_S8_EEEEPS9_S9_NSD_9__find_if7functorIS9_EEEE10hipError_tPvRmT1_T2_T3_mT4_P12ihipStream_tbEUlT_E1_NS1_11comp_targetILNS1_3genE9ELNS1_11target_archE1100ELNS1_3gpuE3ELNS1_3repE0EEENS1_30default_config_static_selectorELNS0_4arch9wavefront6targetE1EEEvS17_.private_seg_size, 0
	.set _ZN7rocprim17ROCPRIM_400000_NS6detail17trampoline_kernelINS0_14default_configENS1_22reduce_config_selectorIN6thrust23THRUST_200600_302600_NS5tupleIblNS6_9null_typeES8_S8_S8_S8_S8_S8_S8_EEEEZNS1_11reduce_implILb1ES3_NS6_12zip_iteratorINS7_INS6_11hip_rocprim26transform_input_iterator_tIbPlNS6_6detail10functional5actorINSH_9compositeIJNSH_27transparent_binary_operatorINS6_8equal_toIvEEEENSI_INSH_8argumentILj0EEEEENSH_5valueIlEEEEEEEEENSD_19counting_iterator_tIlEES8_S8_S8_S8_S8_S8_S8_S8_EEEEPS9_S9_NSD_9__find_if7functorIS9_EEEE10hipError_tPvRmT1_T2_T3_mT4_P12ihipStream_tbEUlT_E1_NS1_11comp_targetILNS1_3genE9ELNS1_11target_archE1100ELNS1_3gpuE3ELNS1_3repE0EEENS1_30default_config_static_selectorELNS0_4arch9wavefront6targetE1EEEvS17_.uses_vcc, 0
	.set _ZN7rocprim17ROCPRIM_400000_NS6detail17trampoline_kernelINS0_14default_configENS1_22reduce_config_selectorIN6thrust23THRUST_200600_302600_NS5tupleIblNS6_9null_typeES8_S8_S8_S8_S8_S8_S8_EEEEZNS1_11reduce_implILb1ES3_NS6_12zip_iteratorINS7_INS6_11hip_rocprim26transform_input_iterator_tIbPlNS6_6detail10functional5actorINSH_9compositeIJNSH_27transparent_binary_operatorINS6_8equal_toIvEEEENSI_INSH_8argumentILj0EEEEENSH_5valueIlEEEEEEEEENSD_19counting_iterator_tIlEES8_S8_S8_S8_S8_S8_S8_S8_EEEEPS9_S9_NSD_9__find_if7functorIS9_EEEE10hipError_tPvRmT1_T2_T3_mT4_P12ihipStream_tbEUlT_E1_NS1_11comp_targetILNS1_3genE9ELNS1_11target_archE1100ELNS1_3gpuE3ELNS1_3repE0EEENS1_30default_config_static_selectorELNS0_4arch9wavefront6targetE1EEEvS17_.uses_flat_scratch, 0
	.set _ZN7rocprim17ROCPRIM_400000_NS6detail17trampoline_kernelINS0_14default_configENS1_22reduce_config_selectorIN6thrust23THRUST_200600_302600_NS5tupleIblNS6_9null_typeES8_S8_S8_S8_S8_S8_S8_EEEEZNS1_11reduce_implILb1ES3_NS6_12zip_iteratorINS7_INS6_11hip_rocprim26transform_input_iterator_tIbPlNS6_6detail10functional5actorINSH_9compositeIJNSH_27transparent_binary_operatorINS6_8equal_toIvEEEENSI_INSH_8argumentILj0EEEEENSH_5valueIlEEEEEEEEENSD_19counting_iterator_tIlEES8_S8_S8_S8_S8_S8_S8_S8_EEEEPS9_S9_NSD_9__find_if7functorIS9_EEEE10hipError_tPvRmT1_T2_T3_mT4_P12ihipStream_tbEUlT_E1_NS1_11comp_targetILNS1_3genE9ELNS1_11target_archE1100ELNS1_3gpuE3ELNS1_3repE0EEENS1_30default_config_static_selectorELNS0_4arch9wavefront6targetE1EEEvS17_.has_dyn_sized_stack, 0
	.set _ZN7rocprim17ROCPRIM_400000_NS6detail17trampoline_kernelINS0_14default_configENS1_22reduce_config_selectorIN6thrust23THRUST_200600_302600_NS5tupleIblNS6_9null_typeES8_S8_S8_S8_S8_S8_S8_EEEEZNS1_11reduce_implILb1ES3_NS6_12zip_iteratorINS7_INS6_11hip_rocprim26transform_input_iterator_tIbPlNS6_6detail10functional5actorINSH_9compositeIJNSH_27transparent_binary_operatorINS6_8equal_toIvEEEENSI_INSH_8argumentILj0EEEEENSH_5valueIlEEEEEEEEENSD_19counting_iterator_tIlEES8_S8_S8_S8_S8_S8_S8_S8_EEEEPS9_S9_NSD_9__find_if7functorIS9_EEEE10hipError_tPvRmT1_T2_T3_mT4_P12ihipStream_tbEUlT_E1_NS1_11comp_targetILNS1_3genE9ELNS1_11target_archE1100ELNS1_3gpuE3ELNS1_3repE0EEENS1_30default_config_static_selectorELNS0_4arch9wavefront6targetE1EEEvS17_.has_recursion, 0
	.set _ZN7rocprim17ROCPRIM_400000_NS6detail17trampoline_kernelINS0_14default_configENS1_22reduce_config_selectorIN6thrust23THRUST_200600_302600_NS5tupleIblNS6_9null_typeES8_S8_S8_S8_S8_S8_S8_EEEEZNS1_11reduce_implILb1ES3_NS6_12zip_iteratorINS7_INS6_11hip_rocprim26transform_input_iterator_tIbPlNS6_6detail10functional5actorINSH_9compositeIJNSH_27transparent_binary_operatorINS6_8equal_toIvEEEENSI_INSH_8argumentILj0EEEEENSH_5valueIlEEEEEEEEENSD_19counting_iterator_tIlEES8_S8_S8_S8_S8_S8_S8_S8_EEEEPS9_S9_NSD_9__find_if7functorIS9_EEEE10hipError_tPvRmT1_T2_T3_mT4_P12ihipStream_tbEUlT_E1_NS1_11comp_targetILNS1_3genE9ELNS1_11target_archE1100ELNS1_3gpuE3ELNS1_3repE0EEENS1_30default_config_static_selectorELNS0_4arch9wavefront6targetE1EEEvS17_.has_indirect_call, 0
	.section	.AMDGPU.csdata,"",@progbits
; Kernel info:
; codeLenInByte = 0
; TotalNumSgprs: 4
; NumVgprs: 0
; ScratchSize: 0
; MemoryBound: 0
; FloatMode: 240
; IeeeMode: 1
; LDSByteSize: 0 bytes/workgroup (compile time only)
; SGPRBlocks: 0
; VGPRBlocks: 0
; NumSGPRsForWavesPerEU: 4
; NumVGPRsForWavesPerEU: 1
; Occupancy: 10
; WaveLimiterHint : 0
; COMPUTE_PGM_RSRC2:SCRATCH_EN: 0
; COMPUTE_PGM_RSRC2:USER_SGPR: 6
; COMPUTE_PGM_RSRC2:TRAP_HANDLER: 0
; COMPUTE_PGM_RSRC2:TGID_X_EN: 1
; COMPUTE_PGM_RSRC2:TGID_Y_EN: 0
; COMPUTE_PGM_RSRC2:TGID_Z_EN: 0
; COMPUTE_PGM_RSRC2:TIDIG_COMP_CNT: 0
	.section	.text._ZN7rocprim17ROCPRIM_400000_NS6detail17trampoline_kernelINS0_14default_configENS1_22reduce_config_selectorIN6thrust23THRUST_200600_302600_NS5tupleIblNS6_9null_typeES8_S8_S8_S8_S8_S8_S8_EEEEZNS1_11reduce_implILb1ES3_NS6_12zip_iteratorINS7_INS6_11hip_rocprim26transform_input_iterator_tIbPlNS6_6detail10functional5actorINSH_9compositeIJNSH_27transparent_binary_operatorINS6_8equal_toIvEEEENSI_INSH_8argumentILj0EEEEENSH_5valueIlEEEEEEEEENSD_19counting_iterator_tIlEES8_S8_S8_S8_S8_S8_S8_S8_EEEEPS9_S9_NSD_9__find_if7functorIS9_EEEE10hipError_tPvRmT1_T2_T3_mT4_P12ihipStream_tbEUlT_E1_NS1_11comp_targetILNS1_3genE8ELNS1_11target_archE1030ELNS1_3gpuE2ELNS1_3repE0EEENS1_30default_config_static_selectorELNS0_4arch9wavefront6targetE1EEEvS17_,"axG",@progbits,_ZN7rocprim17ROCPRIM_400000_NS6detail17trampoline_kernelINS0_14default_configENS1_22reduce_config_selectorIN6thrust23THRUST_200600_302600_NS5tupleIblNS6_9null_typeES8_S8_S8_S8_S8_S8_S8_EEEEZNS1_11reduce_implILb1ES3_NS6_12zip_iteratorINS7_INS6_11hip_rocprim26transform_input_iterator_tIbPlNS6_6detail10functional5actorINSH_9compositeIJNSH_27transparent_binary_operatorINS6_8equal_toIvEEEENSI_INSH_8argumentILj0EEEEENSH_5valueIlEEEEEEEEENSD_19counting_iterator_tIlEES8_S8_S8_S8_S8_S8_S8_S8_EEEEPS9_S9_NSD_9__find_if7functorIS9_EEEE10hipError_tPvRmT1_T2_T3_mT4_P12ihipStream_tbEUlT_E1_NS1_11comp_targetILNS1_3genE8ELNS1_11target_archE1030ELNS1_3gpuE2ELNS1_3repE0EEENS1_30default_config_static_selectorELNS0_4arch9wavefront6targetE1EEEvS17_,comdat
	.protected	_ZN7rocprim17ROCPRIM_400000_NS6detail17trampoline_kernelINS0_14default_configENS1_22reduce_config_selectorIN6thrust23THRUST_200600_302600_NS5tupleIblNS6_9null_typeES8_S8_S8_S8_S8_S8_S8_EEEEZNS1_11reduce_implILb1ES3_NS6_12zip_iteratorINS7_INS6_11hip_rocprim26transform_input_iterator_tIbPlNS6_6detail10functional5actorINSH_9compositeIJNSH_27transparent_binary_operatorINS6_8equal_toIvEEEENSI_INSH_8argumentILj0EEEEENSH_5valueIlEEEEEEEEENSD_19counting_iterator_tIlEES8_S8_S8_S8_S8_S8_S8_S8_EEEEPS9_S9_NSD_9__find_if7functorIS9_EEEE10hipError_tPvRmT1_T2_T3_mT4_P12ihipStream_tbEUlT_E1_NS1_11comp_targetILNS1_3genE8ELNS1_11target_archE1030ELNS1_3gpuE2ELNS1_3repE0EEENS1_30default_config_static_selectorELNS0_4arch9wavefront6targetE1EEEvS17_ ; -- Begin function _ZN7rocprim17ROCPRIM_400000_NS6detail17trampoline_kernelINS0_14default_configENS1_22reduce_config_selectorIN6thrust23THRUST_200600_302600_NS5tupleIblNS6_9null_typeES8_S8_S8_S8_S8_S8_S8_EEEEZNS1_11reduce_implILb1ES3_NS6_12zip_iteratorINS7_INS6_11hip_rocprim26transform_input_iterator_tIbPlNS6_6detail10functional5actorINSH_9compositeIJNSH_27transparent_binary_operatorINS6_8equal_toIvEEEENSI_INSH_8argumentILj0EEEEENSH_5valueIlEEEEEEEEENSD_19counting_iterator_tIlEES8_S8_S8_S8_S8_S8_S8_S8_EEEEPS9_S9_NSD_9__find_if7functorIS9_EEEE10hipError_tPvRmT1_T2_T3_mT4_P12ihipStream_tbEUlT_E1_NS1_11comp_targetILNS1_3genE8ELNS1_11target_archE1030ELNS1_3gpuE2ELNS1_3repE0EEENS1_30default_config_static_selectorELNS0_4arch9wavefront6targetE1EEEvS17_
	.globl	_ZN7rocprim17ROCPRIM_400000_NS6detail17trampoline_kernelINS0_14default_configENS1_22reduce_config_selectorIN6thrust23THRUST_200600_302600_NS5tupleIblNS6_9null_typeES8_S8_S8_S8_S8_S8_S8_EEEEZNS1_11reduce_implILb1ES3_NS6_12zip_iteratorINS7_INS6_11hip_rocprim26transform_input_iterator_tIbPlNS6_6detail10functional5actorINSH_9compositeIJNSH_27transparent_binary_operatorINS6_8equal_toIvEEEENSI_INSH_8argumentILj0EEEEENSH_5valueIlEEEEEEEEENSD_19counting_iterator_tIlEES8_S8_S8_S8_S8_S8_S8_S8_EEEEPS9_S9_NSD_9__find_if7functorIS9_EEEE10hipError_tPvRmT1_T2_T3_mT4_P12ihipStream_tbEUlT_E1_NS1_11comp_targetILNS1_3genE8ELNS1_11target_archE1030ELNS1_3gpuE2ELNS1_3repE0EEENS1_30default_config_static_selectorELNS0_4arch9wavefront6targetE1EEEvS17_
	.p2align	8
	.type	_ZN7rocprim17ROCPRIM_400000_NS6detail17trampoline_kernelINS0_14default_configENS1_22reduce_config_selectorIN6thrust23THRUST_200600_302600_NS5tupleIblNS6_9null_typeES8_S8_S8_S8_S8_S8_S8_EEEEZNS1_11reduce_implILb1ES3_NS6_12zip_iteratorINS7_INS6_11hip_rocprim26transform_input_iterator_tIbPlNS6_6detail10functional5actorINSH_9compositeIJNSH_27transparent_binary_operatorINS6_8equal_toIvEEEENSI_INSH_8argumentILj0EEEEENSH_5valueIlEEEEEEEEENSD_19counting_iterator_tIlEES8_S8_S8_S8_S8_S8_S8_S8_EEEEPS9_S9_NSD_9__find_if7functorIS9_EEEE10hipError_tPvRmT1_T2_T3_mT4_P12ihipStream_tbEUlT_E1_NS1_11comp_targetILNS1_3genE8ELNS1_11target_archE1030ELNS1_3gpuE2ELNS1_3repE0EEENS1_30default_config_static_selectorELNS0_4arch9wavefront6targetE1EEEvS17_,@function
_ZN7rocprim17ROCPRIM_400000_NS6detail17trampoline_kernelINS0_14default_configENS1_22reduce_config_selectorIN6thrust23THRUST_200600_302600_NS5tupleIblNS6_9null_typeES8_S8_S8_S8_S8_S8_S8_EEEEZNS1_11reduce_implILb1ES3_NS6_12zip_iteratorINS7_INS6_11hip_rocprim26transform_input_iterator_tIbPlNS6_6detail10functional5actorINSH_9compositeIJNSH_27transparent_binary_operatorINS6_8equal_toIvEEEENSI_INSH_8argumentILj0EEEEENSH_5valueIlEEEEEEEEENSD_19counting_iterator_tIlEES8_S8_S8_S8_S8_S8_S8_S8_EEEEPS9_S9_NSD_9__find_if7functorIS9_EEEE10hipError_tPvRmT1_T2_T3_mT4_P12ihipStream_tbEUlT_E1_NS1_11comp_targetILNS1_3genE8ELNS1_11target_archE1030ELNS1_3gpuE2ELNS1_3repE0EEENS1_30default_config_static_selectorELNS0_4arch9wavefront6targetE1EEEvS17_: ; @_ZN7rocprim17ROCPRIM_400000_NS6detail17trampoline_kernelINS0_14default_configENS1_22reduce_config_selectorIN6thrust23THRUST_200600_302600_NS5tupleIblNS6_9null_typeES8_S8_S8_S8_S8_S8_S8_EEEEZNS1_11reduce_implILb1ES3_NS6_12zip_iteratorINS7_INS6_11hip_rocprim26transform_input_iterator_tIbPlNS6_6detail10functional5actorINSH_9compositeIJNSH_27transparent_binary_operatorINS6_8equal_toIvEEEENSI_INSH_8argumentILj0EEEEENSH_5valueIlEEEEEEEEENSD_19counting_iterator_tIlEES8_S8_S8_S8_S8_S8_S8_S8_EEEEPS9_S9_NSD_9__find_if7functorIS9_EEEE10hipError_tPvRmT1_T2_T3_mT4_P12ihipStream_tbEUlT_E1_NS1_11comp_targetILNS1_3genE8ELNS1_11target_archE1030ELNS1_3gpuE2ELNS1_3repE0EEENS1_30default_config_static_selectorELNS0_4arch9wavefront6targetE1EEEvS17_
; %bb.0:
	.section	.rodata,"a",@progbits
	.p2align	6, 0x0
	.amdhsa_kernel _ZN7rocprim17ROCPRIM_400000_NS6detail17trampoline_kernelINS0_14default_configENS1_22reduce_config_selectorIN6thrust23THRUST_200600_302600_NS5tupleIblNS6_9null_typeES8_S8_S8_S8_S8_S8_S8_EEEEZNS1_11reduce_implILb1ES3_NS6_12zip_iteratorINS7_INS6_11hip_rocprim26transform_input_iterator_tIbPlNS6_6detail10functional5actorINSH_9compositeIJNSH_27transparent_binary_operatorINS6_8equal_toIvEEEENSI_INSH_8argumentILj0EEEEENSH_5valueIlEEEEEEEEENSD_19counting_iterator_tIlEES8_S8_S8_S8_S8_S8_S8_S8_EEEEPS9_S9_NSD_9__find_if7functorIS9_EEEE10hipError_tPvRmT1_T2_T3_mT4_P12ihipStream_tbEUlT_E1_NS1_11comp_targetILNS1_3genE8ELNS1_11target_archE1030ELNS1_3gpuE2ELNS1_3repE0EEENS1_30default_config_static_selectorELNS0_4arch9wavefront6targetE1EEEvS17_
		.amdhsa_group_segment_fixed_size 0
		.amdhsa_private_segment_fixed_size 0
		.amdhsa_kernarg_size 80
		.amdhsa_user_sgpr_count 6
		.amdhsa_user_sgpr_private_segment_buffer 1
		.amdhsa_user_sgpr_dispatch_ptr 0
		.amdhsa_user_sgpr_queue_ptr 0
		.amdhsa_user_sgpr_kernarg_segment_ptr 1
		.amdhsa_user_sgpr_dispatch_id 0
		.amdhsa_user_sgpr_flat_scratch_init 0
		.amdhsa_user_sgpr_private_segment_size 0
		.amdhsa_uses_dynamic_stack 0
		.amdhsa_system_sgpr_private_segment_wavefront_offset 0
		.amdhsa_system_sgpr_workgroup_id_x 1
		.amdhsa_system_sgpr_workgroup_id_y 0
		.amdhsa_system_sgpr_workgroup_id_z 0
		.amdhsa_system_sgpr_workgroup_info 0
		.amdhsa_system_vgpr_workitem_id 0
		.amdhsa_next_free_vgpr 1
		.amdhsa_next_free_sgpr 0
		.amdhsa_reserve_vcc 0
		.amdhsa_reserve_flat_scratch 0
		.amdhsa_float_round_mode_32 0
		.amdhsa_float_round_mode_16_64 0
		.amdhsa_float_denorm_mode_32 3
		.amdhsa_float_denorm_mode_16_64 3
		.amdhsa_dx10_clamp 1
		.amdhsa_ieee_mode 1
		.amdhsa_fp16_overflow 0
		.amdhsa_exception_fp_ieee_invalid_op 0
		.amdhsa_exception_fp_denorm_src 0
		.amdhsa_exception_fp_ieee_div_zero 0
		.amdhsa_exception_fp_ieee_overflow 0
		.amdhsa_exception_fp_ieee_underflow 0
		.amdhsa_exception_fp_ieee_inexact 0
		.amdhsa_exception_int_div_zero 0
	.end_amdhsa_kernel
	.section	.text._ZN7rocprim17ROCPRIM_400000_NS6detail17trampoline_kernelINS0_14default_configENS1_22reduce_config_selectorIN6thrust23THRUST_200600_302600_NS5tupleIblNS6_9null_typeES8_S8_S8_S8_S8_S8_S8_EEEEZNS1_11reduce_implILb1ES3_NS6_12zip_iteratorINS7_INS6_11hip_rocprim26transform_input_iterator_tIbPlNS6_6detail10functional5actorINSH_9compositeIJNSH_27transparent_binary_operatorINS6_8equal_toIvEEEENSI_INSH_8argumentILj0EEEEENSH_5valueIlEEEEEEEEENSD_19counting_iterator_tIlEES8_S8_S8_S8_S8_S8_S8_S8_EEEEPS9_S9_NSD_9__find_if7functorIS9_EEEE10hipError_tPvRmT1_T2_T3_mT4_P12ihipStream_tbEUlT_E1_NS1_11comp_targetILNS1_3genE8ELNS1_11target_archE1030ELNS1_3gpuE2ELNS1_3repE0EEENS1_30default_config_static_selectorELNS0_4arch9wavefront6targetE1EEEvS17_,"axG",@progbits,_ZN7rocprim17ROCPRIM_400000_NS6detail17trampoline_kernelINS0_14default_configENS1_22reduce_config_selectorIN6thrust23THRUST_200600_302600_NS5tupleIblNS6_9null_typeES8_S8_S8_S8_S8_S8_S8_EEEEZNS1_11reduce_implILb1ES3_NS6_12zip_iteratorINS7_INS6_11hip_rocprim26transform_input_iterator_tIbPlNS6_6detail10functional5actorINSH_9compositeIJNSH_27transparent_binary_operatorINS6_8equal_toIvEEEENSI_INSH_8argumentILj0EEEEENSH_5valueIlEEEEEEEEENSD_19counting_iterator_tIlEES8_S8_S8_S8_S8_S8_S8_S8_EEEEPS9_S9_NSD_9__find_if7functorIS9_EEEE10hipError_tPvRmT1_T2_T3_mT4_P12ihipStream_tbEUlT_E1_NS1_11comp_targetILNS1_3genE8ELNS1_11target_archE1030ELNS1_3gpuE2ELNS1_3repE0EEENS1_30default_config_static_selectorELNS0_4arch9wavefront6targetE1EEEvS17_,comdat
.Lfunc_end1257:
	.size	_ZN7rocprim17ROCPRIM_400000_NS6detail17trampoline_kernelINS0_14default_configENS1_22reduce_config_selectorIN6thrust23THRUST_200600_302600_NS5tupleIblNS6_9null_typeES8_S8_S8_S8_S8_S8_S8_EEEEZNS1_11reduce_implILb1ES3_NS6_12zip_iteratorINS7_INS6_11hip_rocprim26transform_input_iterator_tIbPlNS6_6detail10functional5actorINSH_9compositeIJNSH_27transparent_binary_operatorINS6_8equal_toIvEEEENSI_INSH_8argumentILj0EEEEENSH_5valueIlEEEEEEEEENSD_19counting_iterator_tIlEES8_S8_S8_S8_S8_S8_S8_S8_EEEEPS9_S9_NSD_9__find_if7functorIS9_EEEE10hipError_tPvRmT1_T2_T3_mT4_P12ihipStream_tbEUlT_E1_NS1_11comp_targetILNS1_3genE8ELNS1_11target_archE1030ELNS1_3gpuE2ELNS1_3repE0EEENS1_30default_config_static_selectorELNS0_4arch9wavefront6targetE1EEEvS17_, .Lfunc_end1257-_ZN7rocprim17ROCPRIM_400000_NS6detail17trampoline_kernelINS0_14default_configENS1_22reduce_config_selectorIN6thrust23THRUST_200600_302600_NS5tupleIblNS6_9null_typeES8_S8_S8_S8_S8_S8_S8_EEEEZNS1_11reduce_implILb1ES3_NS6_12zip_iteratorINS7_INS6_11hip_rocprim26transform_input_iterator_tIbPlNS6_6detail10functional5actorINSH_9compositeIJNSH_27transparent_binary_operatorINS6_8equal_toIvEEEENSI_INSH_8argumentILj0EEEEENSH_5valueIlEEEEEEEEENSD_19counting_iterator_tIlEES8_S8_S8_S8_S8_S8_S8_S8_EEEEPS9_S9_NSD_9__find_if7functorIS9_EEEE10hipError_tPvRmT1_T2_T3_mT4_P12ihipStream_tbEUlT_E1_NS1_11comp_targetILNS1_3genE8ELNS1_11target_archE1030ELNS1_3gpuE2ELNS1_3repE0EEENS1_30default_config_static_selectorELNS0_4arch9wavefront6targetE1EEEvS17_
                                        ; -- End function
	.set _ZN7rocprim17ROCPRIM_400000_NS6detail17trampoline_kernelINS0_14default_configENS1_22reduce_config_selectorIN6thrust23THRUST_200600_302600_NS5tupleIblNS6_9null_typeES8_S8_S8_S8_S8_S8_S8_EEEEZNS1_11reduce_implILb1ES3_NS6_12zip_iteratorINS7_INS6_11hip_rocprim26transform_input_iterator_tIbPlNS6_6detail10functional5actorINSH_9compositeIJNSH_27transparent_binary_operatorINS6_8equal_toIvEEEENSI_INSH_8argumentILj0EEEEENSH_5valueIlEEEEEEEEENSD_19counting_iterator_tIlEES8_S8_S8_S8_S8_S8_S8_S8_EEEEPS9_S9_NSD_9__find_if7functorIS9_EEEE10hipError_tPvRmT1_T2_T3_mT4_P12ihipStream_tbEUlT_E1_NS1_11comp_targetILNS1_3genE8ELNS1_11target_archE1030ELNS1_3gpuE2ELNS1_3repE0EEENS1_30default_config_static_selectorELNS0_4arch9wavefront6targetE1EEEvS17_.num_vgpr, 0
	.set _ZN7rocprim17ROCPRIM_400000_NS6detail17trampoline_kernelINS0_14default_configENS1_22reduce_config_selectorIN6thrust23THRUST_200600_302600_NS5tupleIblNS6_9null_typeES8_S8_S8_S8_S8_S8_S8_EEEEZNS1_11reduce_implILb1ES3_NS6_12zip_iteratorINS7_INS6_11hip_rocprim26transform_input_iterator_tIbPlNS6_6detail10functional5actorINSH_9compositeIJNSH_27transparent_binary_operatorINS6_8equal_toIvEEEENSI_INSH_8argumentILj0EEEEENSH_5valueIlEEEEEEEEENSD_19counting_iterator_tIlEES8_S8_S8_S8_S8_S8_S8_S8_EEEEPS9_S9_NSD_9__find_if7functorIS9_EEEE10hipError_tPvRmT1_T2_T3_mT4_P12ihipStream_tbEUlT_E1_NS1_11comp_targetILNS1_3genE8ELNS1_11target_archE1030ELNS1_3gpuE2ELNS1_3repE0EEENS1_30default_config_static_selectorELNS0_4arch9wavefront6targetE1EEEvS17_.num_agpr, 0
	.set _ZN7rocprim17ROCPRIM_400000_NS6detail17trampoline_kernelINS0_14default_configENS1_22reduce_config_selectorIN6thrust23THRUST_200600_302600_NS5tupleIblNS6_9null_typeES8_S8_S8_S8_S8_S8_S8_EEEEZNS1_11reduce_implILb1ES3_NS6_12zip_iteratorINS7_INS6_11hip_rocprim26transform_input_iterator_tIbPlNS6_6detail10functional5actorINSH_9compositeIJNSH_27transparent_binary_operatorINS6_8equal_toIvEEEENSI_INSH_8argumentILj0EEEEENSH_5valueIlEEEEEEEEENSD_19counting_iterator_tIlEES8_S8_S8_S8_S8_S8_S8_S8_EEEEPS9_S9_NSD_9__find_if7functorIS9_EEEE10hipError_tPvRmT1_T2_T3_mT4_P12ihipStream_tbEUlT_E1_NS1_11comp_targetILNS1_3genE8ELNS1_11target_archE1030ELNS1_3gpuE2ELNS1_3repE0EEENS1_30default_config_static_selectorELNS0_4arch9wavefront6targetE1EEEvS17_.numbered_sgpr, 0
	.set _ZN7rocprim17ROCPRIM_400000_NS6detail17trampoline_kernelINS0_14default_configENS1_22reduce_config_selectorIN6thrust23THRUST_200600_302600_NS5tupleIblNS6_9null_typeES8_S8_S8_S8_S8_S8_S8_EEEEZNS1_11reduce_implILb1ES3_NS6_12zip_iteratorINS7_INS6_11hip_rocprim26transform_input_iterator_tIbPlNS6_6detail10functional5actorINSH_9compositeIJNSH_27transparent_binary_operatorINS6_8equal_toIvEEEENSI_INSH_8argumentILj0EEEEENSH_5valueIlEEEEEEEEENSD_19counting_iterator_tIlEES8_S8_S8_S8_S8_S8_S8_S8_EEEEPS9_S9_NSD_9__find_if7functorIS9_EEEE10hipError_tPvRmT1_T2_T3_mT4_P12ihipStream_tbEUlT_E1_NS1_11comp_targetILNS1_3genE8ELNS1_11target_archE1030ELNS1_3gpuE2ELNS1_3repE0EEENS1_30default_config_static_selectorELNS0_4arch9wavefront6targetE1EEEvS17_.num_named_barrier, 0
	.set _ZN7rocprim17ROCPRIM_400000_NS6detail17trampoline_kernelINS0_14default_configENS1_22reduce_config_selectorIN6thrust23THRUST_200600_302600_NS5tupleIblNS6_9null_typeES8_S8_S8_S8_S8_S8_S8_EEEEZNS1_11reduce_implILb1ES3_NS6_12zip_iteratorINS7_INS6_11hip_rocprim26transform_input_iterator_tIbPlNS6_6detail10functional5actorINSH_9compositeIJNSH_27transparent_binary_operatorINS6_8equal_toIvEEEENSI_INSH_8argumentILj0EEEEENSH_5valueIlEEEEEEEEENSD_19counting_iterator_tIlEES8_S8_S8_S8_S8_S8_S8_S8_EEEEPS9_S9_NSD_9__find_if7functorIS9_EEEE10hipError_tPvRmT1_T2_T3_mT4_P12ihipStream_tbEUlT_E1_NS1_11comp_targetILNS1_3genE8ELNS1_11target_archE1030ELNS1_3gpuE2ELNS1_3repE0EEENS1_30default_config_static_selectorELNS0_4arch9wavefront6targetE1EEEvS17_.private_seg_size, 0
	.set _ZN7rocprim17ROCPRIM_400000_NS6detail17trampoline_kernelINS0_14default_configENS1_22reduce_config_selectorIN6thrust23THRUST_200600_302600_NS5tupleIblNS6_9null_typeES8_S8_S8_S8_S8_S8_S8_EEEEZNS1_11reduce_implILb1ES3_NS6_12zip_iteratorINS7_INS6_11hip_rocprim26transform_input_iterator_tIbPlNS6_6detail10functional5actorINSH_9compositeIJNSH_27transparent_binary_operatorINS6_8equal_toIvEEEENSI_INSH_8argumentILj0EEEEENSH_5valueIlEEEEEEEEENSD_19counting_iterator_tIlEES8_S8_S8_S8_S8_S8_S8_S8_EEEEPS9_S9_NSD_9__find_if7functorIS9_EEEE10hipError_tPvRmT1_T2_T3_mT4_P12ihipStream_tbEUlT_E1_NS1_11comp_targetILNS1_3genE8ELNS1_11target_archE1030ELNS1_3gpuE2ELNS1_3repE0EEENS1_30default_config_static_selectorELNS0_4arch9wavefront6targetE1EEEvS17_.uses_vcc, 0
	.set _ZN7rocprim17ROCPRIM_400000_NS6detail17trampoline_kernelINS0_14default_configENS1_22reduce_config_selectorIN6thrust23THRUST_200600_302600_NS5tupleIblNS6_9null_typeES8_S8_S8_S8_S8_S8_S8_EEEEZNS1_11reduce_implILb1ES3_NS6_12zip_iteratorINS7_INS6_11hip_rocprim26transform_input_iterator_tIbPlNS6_6detail10functional5actorINSH_9compositeIJNSH_27transparent_binary_operatorINS6_8equal_toIvEEEENSI_INSH_8argumentILj0EEEEENSH_5valueIlEEEEEEEEENSD_19counting_iterator_tIlEES8_S8_S8_S8_S8_S8_S8_S8_EEEEPS9_S9_NSD_9__find_if7functorIS9_EEEE10hipError_tPvRmT1_T2_T3_mT4_P12ihipStream_tbEUlT_E1_NS1_11comp_targetILNS1_3genE8ELNS1_11target_archE1030ELNS1_3gpuE2ELNS1_3repE0EEENS1_30default_config_static_selectorELNS0_4arch9wavefront6targetE1EEEvS17_.uses_flat_scratch, 0
	.set _ZN7rocprim17ROCPRIM_400000_NS6detail17trampoline_kernelINS0_14default_configENS1_22reduce_config_selectorIN6thrust23THRUST_200600_302600_NS5tupleIblNS6_9null_typeES8_S8_S8_S8_S8_S8_S8_EEEEZNS1_11reduce_implILb1ES3_NS6_12zip_iteratorINS7_INS6_11hip_rocprim26transform_input_iterator_tIbPlNS6_6detail10functional5actorINSH_9compositeIJNSH_27transparent_binary_operatorINS6_8equal_toIvEEEENSI_INSH_8argumentILj0EEEEENSH_5valueIlEEEEEEEEENSD_19counting_iterator_tIlEES8_S8_S8_S8_S8_S8_S8_S8_EEEEPS9_S9_NSD_9__find_if7functorIS9_EEEE10hipError_tPvRmT1_T2_T3_mT4_P12ihipStream_tbEUlT_E1_NS1_11comp_targetILNS1_3genE8ELNS1_11target_archE1030ELNS1_3gpuE2ELNS1_3repE0EEENS1_30default_config_static_selectorELNS0_4arch9wavefront6targetE1EEEvS17_.has_dyn_sized_stack, 0
	.set _ZN7rocprim17ROCPRIM_400000_NS6detail17trampoline_kernelINS0_14default_configENS1_22reduce_config_selectorIN6thrust23THRUST_200600_302600_NS5tupleIblNS6_9null_typeES8_S8_S8_S8_S8_S8_S8_EEEEZNS1_11reduce_implILb1ES3_NS6_12zip_iteratorINS7_INS6_11hip_rocprim26transform_input_iterator_tIbPlNS6_6detail10functional5actorINSH_9compositeIJNSH_27transparent_binary_operatorINS6_8equal_toIvEEEENSI_INSH_8argumentILj0EEEEENSH_5valueIlEEEEEEEEENSD_19counting_iterator_tIlEES8_S8_S8_S8_S8_S8_S8_S8_EEEEPS9_S9_NSD_9__find_if7functorIS9_EEEE10hipError_tPvRmT1_T2_T3_mT4_P12ihipStream_tbEUlT_E1_NS1_11comp_targetILNS1_3genE8ELNS1_11target_archE1030ELNS1_3gpuE2ELNS1_3repE0EEENS1_30default_config_static_selectorELNS0_4arch9wavefront6targetE1EEEvS17_.has_recursion, 0
	.set _ZN7rocprim17ROCPRIM_400000_NS6detail17trampoline_kernelINS0_14default_configENS1_22reduce_config_selectorIN6thrust23THRUST_200600_302600_NS5tupleIblNS6_9null_typeES8_S8_S8_S8_S8_S8_S8_EEEEZNS1_11reduce_implILb1ES3_NS6_12zip_iteratorINS7_INS6_11hip_rocprim26transform_input_iterator_tIbPlNS6_6detail10functional5actorINSH_9compositeIJNSH_27transparent_binary_operatorINS6_8equal_toIvEEEENSI_INSH_8argumentILj0EEEEENSH_5valueIlEEEEEEEEENSD_19counting_iterator_tIlEES8_S8_S8_S8_S8_S8_S8_S8_EEEEPS9_S9_NSD_9__find_if7functorIS9_EEEE10hipError_tPvRmT1_T2_T3_mT4_P12ihipStream_tbEUlT_E1_NS1_11comp_targetILNS1_3genE8ELNS1_11target_archE1030ELNS1_3gpuE2ELNS1_3repE0EEENS1_30default_config_static_selectorELNS0_4arch9wavefront6targetE1EEEvS17_.has_indirect_call, 0
	.section	.AMDGPU.csdata,"",@progbits
; Kernel info:
; codeLenInByte = 0
; TotalNumSgprs: 4
; NumVgprs: 0
; ScratchSize: 0
; MemoryBound: 0
; FloatMode: 240
; IeeeMode: 1
; LDSByteSize: 0 bytes/workgroup (compile time only)
; SGPRBlocks: 0
; VGPRBlocks: 0
; NumSGPRsForWavesPerEU: 4
; NumVGPRsForWavesPerEU: 1
; Occupancy: 10
; WaveLimiterHint : 0
; COMPUTE_PGM_RSRC2:SCRATCH_EN: 0
; COMPUTE_PGM_RSRC2:USER_SGPR: 6
; COMPUTE_PGM_RSRC2:TRAP_HANDLER: 0
; COMPUTE_PGM_RSRC2:TGID_X_EN: 1
; COMPUTE_PGM_RSRC2:TGID_Y_EN: 0
; COMPUTE_PGM_RSRC2:TGID_Z_EN: 0
; COMPUTE_PGM_RSRC2:TIDIG_COMP_CNT: 0
	.section	.text._ZN7rocprim17ROCPRIM_400000_NS6detail17trampoline_kernelINS0_13kernel_configILj256ELj4ELj4294967295EEENS1_37radix_sort_block_sort_config_selectorIslEEZNS1_21radix_sort_block_sortIS4_Lb0EPsS8_N6thrust23THRUST_200600_302600_NS10device_ptrIlEESC_NS0_19identity_decomposerEEE10hipError_tT1_T2_T3_T4_jRjT5_jjP12ihipStream_tbEUlT_E_NS1_11comp_targetILNS1_3genE0ELNS1_11target_archE4294967295ELNS1_3gpuE0ELNS1_3repE0EEENS1_44radix_sort_block_sort_config_static_selectorELNS0_4arch9wavefront6targetE1EEEvSF_,"axG",@progbits,_ZN7rocprim17ROCPRIM_400000_NS6detail17trampoline_kernelINS0_13kernel_configILj256ELj4ELj4294967295EEENS1_37radix_sort_block_sort_config_selectorIslEEZNS1_21radix_sort_block_sortIS4_Lb0EPsS8_N6thrust23THRUST_200600_302600_NS10device_ptrIlEESC_NS0_19identity_decomposerEEE10hipError_tT1_T2_T3_T4_jRjT5_jjP12ihipStream_tbEUlT_E_NS1_11comp_targetILNS1_3genE0ELNS1_11target_archE4294967295ELNS1_3gpuE0ELNS1_3repE0EEENS1_44radix_sort_block_sort_config_static_selectorELNS0_4arch9wavefront6targetE1EEEvSF_,comdat
	.protected	_ZN7rocprim17ROCPRIM_400000_NS6detail17trampoline_kernelINS0_13kernel_configILj256ELj4ELj4294967295EEENS1_37radix_sort_block_sort_config_selectorIslEEZNS1_21radix_sort_block_sortIS4_Lb0EPsS8_N6thrust23THRUST_200600_302600_NS10device_ptrIlEESC_NS0_19identity_decomposerEEE10hipError_tT1_T2_T3_T4_jRjT5_jjP12ihipStream_tbEUlT_E_NS1_11comp_targetILNS1_3genE0ELNS1_11target_archE4294967295ELNS1_3gpuE0ELNS1_3repE0EEENS1_44radix_sort_block_sort_config_static_selectorELNS0_4arch9wavefront6targetE1EEEvSF_ ; -- Begin function _ZN7rocprim17ROCPRIM_400000_NS6detail17trampoline_kernelINS0_13kernel_configILj256ELj4ELj4294967295EEENS1_37radix_sort_block_sort_config_selectorIslEEZNS1_21radix_sort_block_sortIS4_Lb0EPsS8_N6thrust23THRUST_200600_302600_NS10device_ptrIlEESC_NS0_19identity_decomposerEEE10hipError_tT1_T2_T3_T4_jRjT5_jjP12ihipStream_tbEUlT_E_NS1_11comp_targetILNS1_3genE0ELNS1_11target_archE4294967295ELNS1_3gpuE0ELNS1_3repE0EEENS1_44radix_sort_block_sort_config_static_selectorELNS0_4arch9wavefront6targetE1EEEvSF_
	.globl	_ZN7rocprim17ROCPRIM_400000_NS6detail17trampoline_kernelINS0_13kernel_configILj256ELj4ELj4294967295EEENS1_37radix_sort_block_sort_config_selectorIslEEZNS1_21radix_sort_block_sortIS4_Lb0EPsS8_N6thrust23THRUST_200600_302600_NS10device_ptrIlEESC_NS0_19identity_decomposerEEE10hipError_tT1_T2_T3_T4_jRjT5_jjP12ihipStream_tbEUlT_E_NS1_11comp_targetILNS1_3genE0ELNS1_11target_archE4294967295ELNS1_3gpuE0ELNS1_3repE0EEENS1_44radix_sort_block_sort_config_static_selectorELNS0_4arch9wavefront6targetE1EEEvSF_
	.p2align	8
	.type	_ZN7rocprim17ROCPRIM_400000_NS6detail17trampoline_kernelINS0_13kernel_configILj256ELj4ELj4294967295EEENS1_37radix_sort_block_sort_config_selectorIslEEZNS1_21radix_sort_block_sortIS4_Lb0EPsS8_N6thrust23THRUST_200600_302600_NS10device_ptrIlEESC_NS0_19identity_decomposerEEE10hipError_tT1_T2_T3_T4_jRjT5_jjP12ihipStream_tbEUlT_E_NS1_11comp_targetILNS1_3genE0ELNS1_11target_archE4294967295ELNS1_3gpuE0ELNS1_3repE0EEENS1_44radix_sort_block_sort_config_static_selectorELNS0_4arch9wavefront6targetE1EEEvSF_,@function
_ZN7rocprim17ROCPRIM_400000_NS6detail17trampoline_kernelINS0_13kernel_configILj256ELj4ELj4294967295EEENS1_37radix_sort_block_sort_config_selectorIslEEZNS1_21radix_sort_block_sortIS4_Lb0EPsS8_N6thrust23THRUST_200600_302600_NS10device_ptrIlEESC_NS0_19identity_decomposerEEE10hipError_tT1_T2_T3_T4_jRjT5_jjP12ihipStream_tbEUlT_E_NS1_11comp_targetILNS1_3genE0ELNS1_11target_archE4294967295ELNS1_3gpuE0ELNS1_3repE0EEENS1_44radix_sort_block_sort_config_static_selectorELNS0_4arch9wavefront6targetE1EEEvSF_: ; @_ZN7rocprim17ROCPRIM_400000_NS6detail17trampoline_kernelINS0_13kernel_configILj256ELj4ELj4294967295EEENS1_37radix_sort_block_sort_config_selectorIslEEZNS1_21radix_sort_block_sortIS4_Lb0EPsS8_N6thrust23THRUST_200600_302600_NS10device_ptrIlEESC_NS0_19identity_decomposerEEE10hipError_tT1_T2_T3_T4_jRjT5_jjP12ihipStream_tbEUlT_E_NS1_11comp_targetILNS1_3genE0ELNS1_11target_archE4294967295ELNS1_3gpuE0ELNS1_3repE0EEENS1_44radix_sort_block_sort_config_static_selectorELNS0_4arch9wavefront6targetE1EEEvSF_
; %bb.0:
	.section	.rodata,"a",@progbits
	.p2align	6, 0x0
	.amdhsa_kernel _ZN7rocprim17ROCPRIM_400000_NS6detail17trampoline_kernelINS0_13kernel_configILj256ELj4ELj4294967295EEENS1_37radix_sort_block_sort_config_selectorIslEEZNS1_21radix_sort_block_sortIS4_Lb0EPsS8_N6thrust23THRUST_200600_302600_NS10device_ptrIlEESC_NS0_19identity_decomposerEEE10hipError_tT1_T2_T3_T4_jRjT5_jjP12ihipStream_tbEUlT_E_NS1_11comp_targetILNS1_3genE0ELNS1_11target_archE4294967295ELNS1_3gpuE0ELNS1_3repE0EEENS1_44radix_sort_block_sort_config_static_selectorELNS0_4arch9wavefront6targetE1EEEvSF_
		.amdhsa_group_segment_fixed_size 0
		.amdhsa_private_segment_fixed_size 0
		.amdhsa_kernarg_size 48
		.amdhsa_user_sgpr_count 6
		.amdhsa_user_sgpr_private_segment_buffer 1
		.amdhsa_user_sgpr_dispatch_ptr 0
		.amdhsa_user_sgpr_queue_ptr 0
		.amdhsa_user_sgpr_kernarg_segment_ptr 1
		.amdhsa_user_sgpr_dispatch_id 0
		.amdhsa_user_sgpr_flat_scratch_init 0
		.amdhsa_user_sgpr_private_segment_size 0
		.amdhsa_uses_dynamic_stack 0
		.amdhsa_system_sgpr_private_segment_wavefront_offset 0
		.amdhsa_system_sgpr_workgroup_id_x 1
		.amdhsa_system_sgpr_workgroup_id_y 0
		.amdhsa_system_sgpr_workgroup_id_z 0
		.amdhsa_system_sgpr_workgroup_info 0
		.amdhsa_system_vgpr_workitem_id 0
		.amdhsa_next_free_vgpr 1
		.amdhsa_next_free_sgpr 0
		.amdhsa_reserve_vcc 0
		.amdhsa_reserve_flat_scratch 0
		.amdhsa_float_round_mode_32 0
		.amdhsa_float_round_mode_16_64 0
		.amdhsa_float_denorm_mode_32 3
		.amdhsa_float_denorm_mode_16_64 3
		.amdhsa_dx10_clamp 1
		.amdhsa_ieee_mode 1
		.amdhsa_fp16_overflow 0
		.amdhsa_exception_fp_ieee_invalid_op 0
		.amdhsa_exception_fp_denorm_src 0
		.amdhsa_exception_fp_ieee_div_zero 0
		.amdhsa_exception_fp_ieee_overflow 0
		.amdhsa_exception_fp_ieee_underflow 0
		.amdhsa_exception_fp_ieee_inexact 0
		.amdhsa_exception_int_div_zero 0
	.end_amdhsa_kernel
	.section	.text._ZN7rocprim17ROCPRIM_400000_NS6detail17trampoline_kernelINS0_13kernel_configILj256ELj4ELj4294967295EEENS1_37radix_sort_block_sort_config_selectorIslEEZNS1_21radix_sort_block_sortIS4_Lb0EPsS8_N6thrust23THRUST_200600_302600_NS10device_ptrIlEESC_NS0_19identity_decomposerEEE10hipError_tT1_T2_T3_T4_jRjT5_jjP12ihipStream_tbEUlT_E_NS1_11comp_targetILNS1_3genE0ELNS1_11target_archE4294967295ELNS1_3gpuE0ELNS1_3repE0EEENS1_44radix_sort_block_sort_config_static_selectorELNS0_4arch9wavefront6targetE1EEEvSF_,"axG",@progbits,_ZN7rocprim17ROCPRIM_400000_NS6detail17trampoline_kernelINS0_13kernel_configILj256ELj4ELj4294967295EEENS1_37radix_sort_block_sort_config_selectorIslEEZNS1_21radix_sort_block_sortIS4_Lb0EPsS8_N6thrust23THRUST_200600_302600_NS10device_ptrIlEESC_NS0_19identity_decomposerEEE10hipError_tT1_T2_T3_T4_jRjT5_jjP12ihipStream_tbEUlT_E_NS1_11comp_targetILNS1_3genE0ELNS1_11target_archE4294967295ELNS1_3gpuE0ELNS1_3repE0EEENS1_44radix_sort_block_sort_config_static_selectorELNS0_4arch9wavefront6targetE1EEEvSF_,comdat
.Lfunc_end1258:
	.size	_ZN7rocprim17ROCPRIM_400000_NS6detail17trampoline_kernelINS0_13kernel_configILj256ELj4ELj4294967295EEENS1_37radix_sort_block_sort_config_selectorIslEEZNS1_21radix_sort_block_sortIS4_Lb0EPsS8_N6thrust23THRUST_200600_302600_NS10device_ptrIlEESC_NS0_19identity_decomposerEEE10hipError_tT1_T2_T3_T4_jRjT5_jjP12ihipStream_tbEUlT_E_NS1_11comp_targetILNS1_3genE0ELNS1_11target_archE4294967295ELNS1_3gpuE0ELNS1_3repE0EEENS1_44radix_sort_block_sort_config_static_selectorELNS0_4arch9wavefront6targetE1EEEvSF_, .Lfunc_end1258-_ZN7rocprim17ROCPRIM_400000_NS6detail17trampoline_kernelINS0_13kernel_configILj256ELj4ELj4294967295EEENS1_37radix_sort_block_sort_config_selectorIslEEZNS1_21radix_sort_block_sortIS4_Lb0EPsS8_N6thrust23THRUST_200600_302600_NS10device_ptrIlEESC_NS0_19identity_decomposerEEE10hipError_tT1_T2_T3_T4_jRjT5_jjP12ihipStream_tbEUlT_E_NS1_11comp_targetILNS1_3genE0ELNS1_11target_archE4294967295ELNS1_3gpuE0ELNS1_3repE0EEENS1_44radix_sort_block_sort_config_static_selectorELNS0_4arch9wavefront6targetE1EEEvSF_
                                        ; -- End function
	.set _ZN7rocprim17ROCPRIM_400000_NS6detail17trampoline_kernelINS0_13kernel_configILj256ELj4ELj4294967295EEENS1_37radix_sort_block_sort_config_selectorIslEEZNS1_21radix_sort_block_sortIS4_Lb0EPsS8_N6thrust23THRUST_200600_302600_NS10device_ptrIlEESC_NS0_19identity_decomposerEEE10hipError_tT1_T2_T3_T4_jRjT5_jjP12ihipStream_tbEUlT_E_NS1_11comp_targetILNS1_3genE0ELNS1_11target_archE4294967295ELNS1_3gpuE0ELNS1_3repE0EEENS1_44radix_sort_block_sort_config_static_selectorELNS0_4arch9wavefront6targetE1EEEvSF_.num_vgpr, 0
	.set _ZN7rocprim17ROCPRIM_400000_NS6detail17trampoline_kernelINS0_13kernel_configILj256ELj4ELj4294967295EEENS1_37radix_sort_block_sort_config_selectorIslEEZNS1_21radix_sort_block_sortIS4_Lb0EPsS8_N6thrust23THRUST_200600_302600_NS10device_ptrIlEESC_NS0_19identity_decomposerEEE10hipError_tT1_T2_T3_T4_jRjT5_jjP12ihipStream_tbEUlT_E_NS1_11comp_targetILNS1_3genE0ELNS1_11target_archE4294967295ELNS1_3gpuE0ELNS1_3repE0EEENS1_44radix_sort_block_sort_config_static_selectorELNS0_4arch9wavefront6targetE1EEEvSF_.num_agpr, 0
	.set _ZN7rocprim17ROCPRIM_400000_NS6detail17trampoline_kernelINS0_13kernel_configILj256ELj4ELj4294967295EEENS1_37radix_sort_block_sort_config_selectorIslEEZNS1_21radix_sort_block_sortIS4_Lb0EPsS8_N6thrust23THRUST_200600_302600_NS10device_ptrIlEESC_NS0_19identity_decomposerEEE10hipError_tT1_T2_T3_T4_jRjT5_jjP12ihipStream_tbEUlT_E_NS1_11comp_targetILNS1_3genE0ELNS1_11target_archE4294967295ELNS1_3gpuE0ELNS1_3repE0EEENS1_44radix_sort_block_sort_config_static_selectorELNS0_4arch9wavefront6targetE1EEEvSF_.numbered_sgpr, 0
	.set _ZN7rocprim17ROCPRIM_400000_NS6detail17trampoline_kernelINS0_13kernel_configILj256ELj4ELj4294967295EEENS1_37radix_sort_block_sort_config_selectorIslEEZNS1_21radix_sort_block_sortIS4_Lb0EPsS8_N6thrust23THRUST_200600_302600_NS10device_ptrIlEESC_NS0_19identity_decomposerEEE10hipError_tT1_T2_T3_T4_jRjT5_jjP12ihipStream_tbEUlT_E_NS1_11comp_targetILNS1_3genE0ELNS1_11target_archE4294967295ELNS1_3gpuE0ELNS1_3repE0EEENS1_44radix_sort_block_sort_config_static_selectorELNS0_4arch9wavefront6targetE1EEEvSF_.num_named_barrier, 0
	.set _ZN7rocprim17ROCPRIM_400000_NS6detail17trampoline_kernelINS0_13kernel_configILj256ELj4ELj4294967295EEENS1_37radix_sort_block_sort_config_selectorIslEEZNS1_21radix_sort_block_sortIS4_Lb0EPsS8_N6thrust23THRUST_200600_302600_NS10device_ptrIlEESC_NS0_19identity_decomposerEEE10hipError_tT1_T2_T3_T4_jRjT5_jjP12ihipStream_tbEUlT_E_NS1_11comp_targetILNS1_3genE0ELNS1_11target_archE4294967295ELNS1_3gpuE0ELNS1_3repE0EEENS1_44radix_sort_block_sort_config_static_selectorELNS0_4arch9wavefront6targetE1EEEvSF_.private_seg_size, 0
	.set _ZN7rocprim17ROCPRIM_400000_NS6detail17trampoline_kernelINS0_13kernel_configILj256ELj4ELj4294967295EEENS1_37radix_sort_block_sort_config_selectorIslEEZNS1_21radix_sort_block_sortIS4_Lb0EPsS8_N6thrust23THRUST_200600_302600_NS10device_ptrIlEESC_NS0_19identity_decomposerEEE10hipError_tT1_T2_T3_T4_jRjT5_jjP12ihipStream_tbEUlT_E_NS1_11comp_targetILNS1_3genE0ELNS1_11target_archE4294967295ELNS1_3gpuE0ELNS1_3repE0EEENS1_44radix_sort_block_sort_config_static_selectorELNS0_4arch9wavefront6targetE1EEEvSF_.uses_vcc, 0
	.set _ZN7rocprim17ROCPRIM_400000_NS6detail17trampoline_kernelINS0_13kernel_configILj256ELj4ELj4294967295EEENS1_37radix_sort_block_sort_config_selectorIslEEZNS1_21radix_sort_block_sortIS4_Lb0EPsS8_N6thrust23THRUST_200600_302600_NS10device_ptrIlEESC_NS0_19identity_decomposerEEE10hipError_tT1_T2_T3_T4_jRjT5_jjP12ihipStream_tbEUlT_E_NS1_11comp_targetILNS1_3genE0ELNS1_11target_archE4294967295ELNS1_3gpuE0ELNS1_3repE0EEENS1_44radix_sort_block_sort_config_static_selectorELNS0_4arch9wavefront6targetE1EEEvSF_.uses_flat_scratch, 0
	.set _ZN7rocprim17ROCPRIM_400000_NS6detail17trampoline_kernelINS0_13kernel_configILj256ELj4ELj4294967295EEENS1_37radix_sort_block_sort_config_selectorIslEEZNS1_21radix_sort_block_sortIS4_Lb0EPsS8_N6thrust23THRUST_200600_302600_NS10device_ptrIlEESC_NS0_19identity_decomposerEEE10hipError_tT1_T2_T3_T4_jRjT5_jjP12ihipStream_tbEUlT_E_NS1_11comp_targetILNS1_3genE0ELNS1_11target_archE4294967295ELNS1_3gpuE0ELNS1_3repE0EEENS1_44radix_sort_block_sort_config_static_selectorELNS0_4arch9wavefront6targetE1EEEvSF_.has_dyn_sized_stack, 0
	.set _ZN7rocprim17ROCPRIM_400000_NS6detail17trampoline_kernelINS0_13kernel_configILj256ELj4ELj4294967295EEENS1_37radix_sort_block_sort_config_selectorIslEEZNS1_21radix_sort_block_sortIS4_Lb0EPsS8_N6thrust23THRUST_200600_302600_NS10device_ptrIlEESC_NS0_19identity_decomposerEEE10hipError_tT1_T2_T3_T4_jRjT5_jjP12ihipStream_tbEUlT_E_NS1_11comp_targetILNS1_3genE0ELNS1_11target_archE4294967295ELNS1_3gpuE0ELNS1_3repE0EEENS1_44radix_sort_block_sort_config_static_selectorELNS0_4arch9wavefront6targetE1EEEvSF_.has_recursion, 0
	.set _ZN7rocprim17ROCPRIM_400000_NS6detail17trampoline_kernelINS0_13kernel_configILj256ELj4ELj4294967295EEENS1_37radix_sort_block_sort_config_selectorIslEEZNS1_21radix_sort_block_sortIS4_Lb0EPsS8_N6thrust23THRUST_200600_302600_NS10device_ptrIlEESC_NS0_19identity_decomposerEEE10hipError_tT1_T2_T3_T4_jRjT5_jjP12ihipStream_tbEUlT_E_NS1_11comp_targetILNS1_3genE0ELNS1_11target_archE4294967295ELNS1_3gpuE0ELNS1_3repE0EEENS1_44radix_sort_block_sort_config_static_selectorELNS0_4arch9wavefront6targetE1EEEvSF_.has_indirect_call, 0
	.section	.AMDGPU.csdata,"",@progbits
; Kernel info:
; codeLenInByte = 0
; TotalNumSgprs: 4
; NumVgprs: 0
; ScratchSize: 0
; MemoryBound: 0
; FloatMode: 240
; IeeeMode: 1
; LDSByteSize: 0 bytes/workgroup (compile time only)
; SGPRBlocks: 0
; VGPRBlocks: 0
; NumSGPRsForWavesPerEU: 4
; NumVGPRsForWavesPerEU: 1
; Occupancy: 10
; WaveLimiterHint : 0
; COMPUTE_PGM_RSRC2:SCRATCH_EN: 0
; COMPUTE_PGM_RSRC2:USER_SGPR: 6
; COMPUTE_PGM_RSRC2:TRAP_HANDLER: 0
; COMPUTE_PGM_RSRC2:TGID_X_EN: 1
; COMPUTE_PGM_RSRC2:TGID_Y_EN: 0
; COMPUTE_PGM_RSRC2:TGID_Z_EN: 0
; COMPUTE_PGM_RSRC2:TIDIG_COMP_CNT: 0
	.section	.text._ZN7rocprim17ROCPRIM_400000_NS6detail17trampoline_kernelINS0_13kernel_configILj256ELj4ELj4294967295EEENS1_37radix_sort_block_sort_config_selectorIslEEZNS1_21radix_sort_block_sortIS4_Lb0EPsS8_N6thrust23THRUST_200600_302600_NS10device_ptrIlEESC_NS0_19identity_decomposerEEE10hipError_tT1_T2_T3_T4_jRjT5_jjP12ihipStream_tbEUlT_E_NS1_11comp_targetILNS1_3genE5ELNS1_11target_archE942ELNS1_3gpuE9ELNS1_3repE0EEENS1_44radix_sort_block_sort_config_static_selectorELNS0_4arch9wavefront6targetE1EEEvSF_,"axG",@progbits,_ZN7rocprim17ROCPRIM_400000_NS6detail17trampoline_kernelINS0_13kernel_configILj256ELj4ELj4294967295EEENS1_37radix_sort_block_sort_config_selectorIslEEZNS1_21radix_sort_block_sortIS4_Lb0EPsS8_N6thrust23THRUST_200600_302600_NS10device_ptrIlEESC_NS0_19identity_decomposerEEE10hipError_tT1_T2_T3_T4_jRjT5_jjP12ihipStream_tbEUlT_E_NS1_11comp_targetILNS1_3genE5ELNS1_11target_archE942ELNS1_3gpuE9ELNS1_3repE0EEENS1_44radix_sort_block_sort_config_static_selectorELNS0_4arch9wavefront6targetE1EEEvSF_,comdat
	.protected	_ZN7rocprim17ROCPRIM_400000_NS6detail17trampoline_kernelINS0_13kernel_configILj256ELj4ELj4294967295EEENS1_37radix_sort_block_sort_config_selectorIslEEZNS1_21radix_sort_block_sortIS4_Lb0EPsS8_N6thrust23THRUST_200600_302600_NS10device_ptrIlEESC_NS0_19identity_decomposerEEE10hipError_tT1_T2_T3_T4_jRjT5_jjP12ihipStream_tbEUlT_E_NS1_11comp_targetILNS1_3genE5ELNS1_11target_archE942ELNS1_3gpuE9ELNS1_3repE0EEENS1_44radix_sort_block_sort_config_static_selectorELNS0_4arch9wavefront6targetE1EEEvSF_ ; -- Begin function _ZN7rocprim17ROCPRIM_400000_NS6detail17trampoline_kernelINS0_13kernel_configILj256ELj4ELj4294967295EEENS1_37radix_sort_block_sort_config_selectorIslEEZNS1_21radix_sort_block_sortIS4_Lb0EPsS8_N6thrust23THRUST_200600_302600_NS10device_ptrIlEESC_NS0_19identity_decomposerEEE10hipError_tT1_T2_T3_T4_jRjT5_jjP12ihipStream_tbEUlT_E_NS1_11comp_targetILNS1_3genE5ELNS1_11target_archE942ELNS1_3gpuE9ELNS1_3repE0EEENS1_44radix_sort_block_sort_config_static_selectorELNS0_4arch9wavefront6targetE1EEEvSF_
	.globl	_ZN7rocprim17ROCPRIM_400000_NS6detail17trampoline_kernelINS0_13kernel_configILj256ELj4ELj4294967295EEENS1_37radix_sort_block_sort_config_selectorIslEEZNS1_21radix_sort_block_sortIS4_Lb0EPsS8_N6thrust23THRUST_200600_302600_NS10device_ptrIlEESC_NS0_19identity_decomposerEEE10hipError_tT1_T2_T3_T4_jRjT5_jjP12ihipStream_tbEUlT_E_NS1_11comp_targetILNS1_3genE5ELNS1_11target_archE942ELNS1_3gpuE9ELNS1_3repE0EEENS1_44radix_sort_block_sort_config_static_selectorELNS0_4arch9wavefront6targetE1EEEvSF_
	.p2align	8
	.type	_ZN7rocprim17ROCPRIM_400000_NS6detail17trampoline_kernelINS0_13kernel_configILj256ELj4ELj4294967295EEENS1_37radix_sort_block_sort_config_selectorIslEEZNS1_21radix_sort_block_sortIS4_Lb0EPsS8_N6thrust23THRUST_200600_302600_NS10device_ptrIlEESC_NS0_19identity_decomposerEEE10hipError_tT1_T2_T3_T4_jRjT5_jjP12ihipStream_tbEUlT_E_NS1_11comp_targetILNS1_3genE5ELNS1_11target_archE942ELNS1_3gpuE9ELNS1_3repE0EEENS1_44radix_sort_block_sort_config_static_selectorELNS0_4arch9wavefront6targetE1EEEvSF_,@function
_ZN7rocprim17ROCPRIM_400000_NS6detail17trampoline_kernelINS0_13kernel_configILj256ELj4ELj4294967295EEENS1_37radix_sort_block_sort_config_selectorIslEEZNS1_21radix_sort_block_sortIS4_Lb0EPsS8_N6thrust23THRUST_200600_302600_NS10device_ptrIlEESC_NS0_19identity_decomposerEEE10hipError_tT1_T2_T3_T4_jRjT5_jjP12ihipStream_tbEUlT_E_NS1_11comp_targetILNS1_3genE5ELNS1_11target_archE942ELNS1_3gpuE9ELNS1_3repE0EEENS1_44radix_sort_block_sort_config_static_selectorELNS0_4arch9wavefront6targetE1EEEvSF_: ; @_ZN7rocprim17ROCPRIM_400000_NS6detail17trampoline_kernelINS0_13kernel_configILj256ELj4ELj4294967295EEENS1_37radix_sort_block_sort_config_selectorIslEEZNS1_21radix_sort_block_sortIS4_Lb0EPsS8_N6thrust23THRUST_200600_302600_NS10device_ptrIlEESC_NS0_19identity_decomposerEEE10hipError_tT1_T2_T3_T4_jRjT5_jjP12ihipStream_tbEUlT_E_NS1_11comp_targetILNS1_3genE5ELNS1_11target_archE942ELNS1_3gpuE9ELNS1_3repE0EEENS1_44radix_sort_block_sort_config_static_selectorELNS0_4arch9wavefront6targetE1EEEvSF_
; %bb.0:
	.section	.rodata,"a",@progbits
	.p2align	6, 0x0
	.amdhsa_kernel _ZN7rocprim17ROCPRIM_400000_NS6detail17trampoline_kernelINS0_13kernel_configILj256ELj4ELj4294967295EEENS1_37radix_sort_block_sort_config_selectorIslEEZNS1_21radix_sort_block_sortIS4_Lb0EPsS8_N6thrust23THRUST_200600_302600_NS10device_ptrIlEESC_NS0_19identity_decomposerEEE10hipError_tT1_T2_T3_T4_jRjT5_jjP12ihipStream_tbEUlT_E_NS1_11comp_targetILNS1_3genE5ELNS1_11target_archE942ELNS1_3gpuE9ELNS1_3repE0EEENS1_44radix_sort_block_sort_config_static_selectorELNS0_4arch9wavefront6targetE1EEEvSF_
		.amdhsa_group_segment_fixed_size 0
		.amdhsa_private_segment_fixed_size 0
		.amdhsa_kernarg_size 48
		.amdhsa_user_sgpr_count 6
		.amdhsa_user_sgpr_private_segment_buffer 1
		.amdhsa_user_sgpr_dispatch_ptr 0
		.amdhsa_user_sgpr_queue_ptr 0
		.amdhsa_user_sgpr_kernarg_segment_ptr 1
		.amdhsa_user_sgpr_dispatch_id 0
		.amdhsa_user_sgpr_flat_scratch_init 0
		.amdhsa_user_sgpr_private_segment_size 0
		.amdhsa_uses_dynamic_stack 0
		.amdhsa_system_sgpr_private_segment_wavefront_offset 0
		.amdhsa_system_sgpr_workgroup_id_x 1
		.amdhsa_system_sgpr_workgroup_id_y 0
		.amdhsa_system_sgpr_workgroup_id_z 0
		.amdhsa_system_sgpr_workgroup_info 0
		.amdhsa_system_vgpr_workitem_id 0
		.amdhsa_next_free_vgpr 1
		.amdhsa_next_free_sgpr 0
		.amdhsa_reserve_vcc 0
		.amdhsa_reserve_flat_scratch 0
		.amdhsa_float_round_mode_32 0
		.amdhsa_float_round_mode_16_64 0
		.amdhsa_float_denorm_mode_32 3
		.amdhsa_float_denorm_mode_16_64 3
		.amdhsa_dx10_clamp 1
		.amdhsa_ieee_mode 1
		.amdhsa_fp16_overflow 0
		.amdhsa_exception_fp_ieee_invalid_op 0
		.amdhsa_exception_fp_denorm_src 0
		.amdhsa_exception_fp_ieee_div_zero 0
		.amdhsa_exception_fp_ieee_overflow 0
		.amdhsa_exception_fp_ieee_underflow 0
		.amdhsa_exception_fp_ieee_inexact 0
		.amdhsa_exception_int_div_zero 0
	.end_amdhsa_kernel
	.section	.text._ZN7rocprim17ROCPRIM_400000_NS6detail17trampoline_kernelINS0_13kernel_configILj256ELj4ELj4294967295EEENS1_37radix_sort_block_sort_config_selectorIslEEZNS1_21radix_sort_block_sortIS4_Lb0EPsS8_N6thrust23THRUST_200600_302600_NS10device_ptrIlEESC_NS0_19identity_decomposerEEE10hipError_tT1_T2_T3_T4_jRjT5_jjP12ihipStream_tbEUlT_E_NS1_11comp_targetILNS1_3genE5ELNS1_11target_archE942ELNS1_3gpuE9ELNS1_3repE0EEENS1_44radix_sort_block_sort_config_static_selectorELNS0_4arch9wavefront6targetE1EEEvSF_,"axG",@progbits,_ZN7rocprim17ROCPRIM_400000_NS6detail17trampoline_kernelINS0_13kernel_configILj256ELj4ELj4294967295EEENS1_37radix_sort_block_sort_config_selectorIslEEZNS1_21radix_sort_block_sortIS4_Lb0EPsS8_N6thrust23THRUST_200600_302600_NS10device_ptrIlEESC_NS0_19identity_decomposerEEE10hipError_tT1_T2_T3_T4_jRjT5_jjP12ihipStream_tbEUlT_E_NS1_11comp_targetILNS1_3genE5ELNS1_11target_archE942ELNS1_3gpuE9ELNS1_3repE0EEENS1_44radix_sort_block_sort_config_static_selectorELNS0_4arch9wavefront6targetE1EEEvSF_,comdat
.Lfunc_end1259:
	.size	_ZN7rocprim17ROCPRIM_400000_NS6detail17trampoline_kernelINS0_13kernel_configILj256ELj4ELj4294967295EEENS1_37radix_sort_block_sort_config_selectorIslEEZNS1_21radix_sort_block_sortIS4_Lb0EPsS8_N6thrust23THRUST_200600_302600_NS10device_ptrIlEESC_NS0_19identity_decomposerEEE10hipError_tT1_T2_T3_T4_jRjT5_jjP12ihipStream_tbEUlT_E_NS1_11comp_targetILNS1_3genE5ELNS1_11target_archE942ELNS1_3gpuE9ELNS1_3repE0EEENS1_44radix_sort_block_sort_config_static_selectorELNS0_4arch9wavefront6targetE1EEEvSF_, .Lfunc_end1259-_ZN7rocprim17ROCPRIM_400000_NS6detail17trampoline_kernelINS0_13kernel_configILj256ELj4ELj4294967295EEENS1_37radix_sort_block_sort_config_selectorIslEEZNS1_21radix_sort_block_sortIS4_Lb0EPsS8_N6thrust23THRUST_200600_302600_NS10device_ptrIlEESC_NS0_19identity_decomposerEEE10hipError_tT1_T2_T3_T4_jRjT5_jjP12ihipStream_tbEUlT_E_NS1_11comp_targetILNS1_3genE5ELNS1_11target_archE942ELNS1_3gpuE9ELNS1_3repE0EEENS1_44radix_sort_block_sort_config_static_selectorELNS0_4arch9wavefront6targetE1EEEvSF_
                                        ; -- End function
	.set _ZN7rocprim17ROCPRIM_400000_NS6detail17trampoline_kernelINS0_13kernel_configILj256ELj4ELj4294967295EEENS1_37radix_sort_block_sort_config_selectorIslEEZNS1_21radix_sort_block_sortIS4_Lb0EPsS8_N6thrust23THRUST_200600_302600_NS10device_ptrIlEESC_NS0_19identity_decomposerEEE10hipError_tT1_T2_T3_T4_jRjT5_jjP12ihipStream_tbEUlT_E_NS1_11comp_targetILNS1_3genE5ELNS1_11target_archE942ELNS1_3gpuE9ELNS1_3repE0EEENS1_44radix_sort_block_sort_config_static_selectorELNS0_4arch9wavefront6targetE1EEEvSF_.num_vgpr, 0
	.set _ZN7rocprim17ROCPRIM_400000_NS6detail17trampoline_kernelINS0_13kernel_configILj256ELj4ELj4294967295EEENS1_37radix_sort_block_sort_config_selectorIslEEZNS1_21radix_sort_block_sortIS4_Lb0EPsS8_N6thrust23THRUST_200600_302600_NS10device_ptrIlEESC_NS0_19identity_decomposerEEE10hipError_tT1_T2_T3_T4_jRjT5_jjP12ihipStream_tbEUlT_E_NS1_11comp_targetILNS1_3genE5ELNS1_11target_archE942ELNS1_3gpuE9ELNS1_3repE0EEENS1_44radix_sort_block_sort_config_static_selectorELNS0_4arch9wavefront6targetE1EEEvSF_.num_agpr, 0
	.set _ZN7rocprim17ROCPRIM_400000_NS6detail17trampoline_kernelINS0_13kernel_configILj256ELj4ELj4294967295EEENS1_37radix_sort_block_sort_config_selectorIslEEZNS1_21radix_sort_block_sortIS4_Lb0EPsS8_N6thrust23THRUST_200600_302600_NS10device_ptrIlEESC_NS0_19identity_decomposerEEE10hipError_tT1_T2_T3_T4_jRjT5_jjP12ihipStream_tbEUlT_E_NS1_11comp_targetILNS1_3genE5ELNS1_11target_archE942ELNS1_3gpuE9ELNS1_3repE0EEENS1_44radix_sort_block_sort_config_static_selectorELNS0_4arch9wavefront6targetE1EEEvSF_.numbered_sgpr, 0
	.set _ZN7rocprim17ROCPRIM_400000_NS6detail17trampoline_kernelINS0_13kernel_configILj256ELj4ELj4294967295EEENS1_37radix_sort_block_sort_config_selectorIslEEZNS1_21radix_sort_block_sortIS4_Lb0EPsS8_N6thrust23THRUST_200600_302600_NS10device_ptrIlEESC_NS0_19identity_decomposerEEE10hipError_tT1_T2_T3_T4_jRjT5_jjP12ihipStream_tbEUlT_E_NS1_11comp_targetILNS1_3genE5ELNS1_11target_archE942ELNS1_3gpuE9ELNS1_3repE0EEENS1_44radix_sort_block_sort_config_static_selectorELNS0_4arch9wavefront6targetE1EEEvSF_.num_named_barrier, 0
	.set _ZN7rocprim17ROCPRIM_400000_NS6detail17trampoline_kernelINS0_13kernel_configILj256ELj4ELj4294967295EEENS1_37radix_sort_block_sort_config_selectorIslEEZNS1_21radix_sort_block_sortIS4_Lb0EPsS8_N6thrust23THRUST_200600_302600_NS10device_ptrIlEESC_NS0_19identity_decomposerEEE10hipError_tT1_T2_T3_T4_jRjT5_jjP12ihipStream_tbEUlT_E_NS1_11comp_targetILNS1_3genE5ELNS1_11target_archE942ELNS1_3gpuE9ELNS1_3repE0EEENS1_44radix_sort_block_sort_config_static_selectorELNS0_4arch9wavefront6targetE1EEEvSF_.private_seg_size, 0
	.set _ZN7rocprim17ROCPRIM_400000_NS6detail17trampoline_kernelINS0_13kernel_configILj256ELj4ELj4294967295EEENS1_37radix_sort_block_sort_config_selectorIslEEZNS1_21radix_sort_block_sortIS4_Lb0EPsS8_N6thrust23THRUST_200600_302600_NS10device_ptrIlEESC_NS0_19identity_decomposerEEE10hipError_tT1_T2_T3_T4_jRjT5_jjP12ihipStream_tbEUlT_E_NS1_11comp_targetILNS1_3genE5ELNS1_11target_archE942ELNS1_3gpuE9ELNS1_3repE0EEENS1_44radix_sort_block_sort_config_static_selectorELNS0_4arch9wavefront6targetE1EEEvSF_.uses_vcc, 0
	.set _ZN7rocprim17ROCPRIM_400000_NS6detail17trampoline_kernelINS0_13kernel_configILj256ELj4ELj4294967295EEENS1_37radix_sort_block_sort_config_selectorIslEEZNS1_21radix_sort_block_sortIS4_Lb0EPsS8_N6thrust23THRUST_200600_302600_NS10device_ptrIlEESC_NS0_19identity_decomposerEEE10hipError_tT1_T2_T3_T4_jRjT5_jjP12ihipStream_tbEUlT_E_NS1_11comp_targetILNS1_3genE5ELNS1_11target_archE942ELNS1_3gpuE9ELNS1_3repE0EEENS1_44radix_sort_block_sort_config_static_selectorELNS0_4arch9wavefront6targetE1EEEvSF_.uses_flat_scratch, 0
	.set _ZN7rocprim17ROCPRIM_400000_NS6detail17trampoline_kernelINS0_13kernel_configILj256ELj4ELj4294967295EEENS1_37radix_sort_block_sort_config_selectorIslEEZNS1_21radix_sort_block_sortIS4_Lb0EPsS8_N6thrust23THRUST_200600_302600_NS10device_ptrIlEESC_NS0_19identity_decomposerEEE10hipError_tT1_T2_T3_T4_jRjT5_jjP12ihipStream_tbEUlT_E_NS1_11comp_targetILNS1_3genE5ELNS1_11target_archE942ELNS1_3gpuE9ELNS1_3repE0EEENS1_44radix_sort_block_sort_config_static_selectorELNS0_4arch9wavefront6targetE1EEEvSF_.has_dyn_sized_stack, 0
	.set _ZN7rocprim17ROCPRIM_400000_NS6detail17trampoline_kernelINS0_13kernel_configILj256ELj4ELj4294967295EEENS1_37radix_sort_block_sort_config_selectorIslEEZNS1_21radix_sort_block_sortIS4_Lb0EPsS8_N6thrust23THRUST_200600_302600_NS10device_ptrIlEESC_NS0_19identity_decomposerEEE10hipError_tT1_T2_T3_T4_jRjT5_jjP12ihipStream_tbEUlT_E_NS1_11comp_targetILNS1_3genE5ELNS1_11target_archE942ELNS1_3gpuE9ELNS1_3repE0EEENS1_44radix_sort_block_sort_config_static_selectorELNS0_4arch9wavefront6targetE1EEEvSF_.has_recursion, 0
	.set _ZN7rocprim17ROCPRIM_400000_NS6detail17trampoline_kernelINS0_13kernel_configILj256ELj4ELj4294967295EEENS1_37radix_sort_block_sort_config_selectorIslEEZNS1_21radix_sort_block_sortIS4_Lb0EPsS8_N6thrust23THRUST_200600_302600_NS10device_ptrIlEESC_NS0_19identity_decomposerEEE10hipError_tT1_T2_T3_T4_jRjT5_jjP12ihipStream_tbEUlT_E_NS1_11comp_targetILNS1_3genE5ELNS1_11target_archE942ELNS1_3gpuE9ELNS1_3repE0EEENS1_44radix_sort_block_sort_config_static_selectorELNS0_4arch9wavefront6targetE1EEEvSF_.has_indirect_call, 0
	.section	.AMDGPU.csdata,"",@progbits
; Kernel info:
; codeLenInByte = 0
; TotalNumSgprs: 4
; NumVgprs: 0
; ScratchSize: 0
; MemoryBound: 0
; FloatMode: 240
; IeeeMode: 1
; LDSByteSize: 0 bytes/workgroup (compile time only)
; SGPRBlocks: 0
; VGPRBlocks: 0
; NumSGPRsForWavesPerEU: 4
; NumVGPRsForWavesPerEU: 1
; Occupancy: 10
; WaveLimiterHint : 0
; COMPUTE_PGM_RSRC2:SCRATCH_EN: 0
; COMPUTE_PGM_RSRC2:USER_SGPR: 6
; COMPUTE_PGM_RSRC2:TRAP_HANDLER: 0
; COMPUTE_PGM_RSRC2:TGID_X_EN: 1
; COMPUTE_PGM_RSRC2:TGID_Y_EN: 0
; COMPUTE_PGM_RSRC2:TGID_Z_EN: 0
; COMPUTE_PGM_RSRC2:TIDIG_COMP_CNT: 0
	.section	.text._ZN7rocprim17ROCPRIM_400000_NS6detail17trampoline_kernelINS0_13kernel_configILj256ELj4ELj4294967295EEENS1_37radix_sort_block_sort_config_selectorIslEEZNS1_21radix_sort_block_sortIS4_Lb0EPsS8_N6thrust23THRUST_200600_302600_NS10device_ptrIlEESC_NS0_19identity_decomposerEEE10hipError_tT1_T2_T3_T4_jRjT5_jjP12ihipStream_tbEUlT_E_NS1_11comp_targetILNS1_3genE4ELNS1_11target_archE910ELNS1_3gpuE8ELNS1_3repE0EEENS1_44radix_sort_block_sort_config_static_selectorELNS0_4arch9wavefront6targetE1EEEvSF_,"axG",@progbits,_ZN7rocprim17ROCPRIM_400000_NS6detail17trampoline_kernelINS0_13kernel_configILj256ELj4ELj4294967295EEENS1_37radix_sort_block_sort_config_selectorIslEEZNS1_21radix_sort_block_sortIS4_Lb0EPsS8_N6thrust23THRUST_200600_302600_NS10device_ptrIlEESC_NS0_19identity_decomposerEEE10hipError_tT1_T2_T3_T4_jRjT5_jjP12ihipStream_tbEUlT_E_NS1_11comp_targetILNS1_3genE4ELNS1_11target_archE910ELNS1_3gpuE8ELNS1_3repE0EEENS1_44radix_sort_block_sort_config_static_selectorELNS0_4arch9wavefront6targetE1EEEvSF_,comdat
	.protected	_ZN7rocprim17ROCPRIM_400000_NS6detail17trampoline_kernelINS0_13kernel_configILj256ELj4ELj4294967295EEENS1_37radix_sort_block_sort_config_selectorIslEEZNS1_21radix_sort_block_sortIS4_Lb0EPsS8_N6thrust23THRUST_200600_302600_NS10device_ptrIlEESC_NS0_19identity_decomposerEEE10hipError_tT1_T2_T3_T4_jRjT5_jjP12ihipStream_tbEUlT_E_NS1_11comp_targetILNS1_3genE4ELNS1_11target_archE910ELNS1_3gpuE8ELNS1_3repE0EEENS1_44radix_sort_block_sort_config_static_selectorELNS0_4arch9wavefront6targetE1EEEvSF_ ; -- Begin function _ZN7rocprim17ROCPRIM_400000_NS6detail17trampoline_kernelINS0_13kernel_configILj256ELj4ELj4294967295EEENS1_37radix_sort_block_sort_config_selectorIslEEZNS1_21radix_sort_block_sortIS4_Lb0EPsS8_N6thrust23THRUST_200600_302600_NS10device_ptrIlEESC_NS0_19identity_decomposerEEE10hipError_tT1_T2_T3_T4_jRjT5_jjP12ihipStream_tbEUlT_E_NS1_11comp_targetILNS1_3genE4ELNS1_11target_archE910ELNS1_3gpuE8ELNS1_3repE0EEENS1_44radix_sort_block_sort_config_static_selectorELNS0_4arch9wavefront6targetE1EEEvSF_
	.globl	_ZN7rocprim17ROCPRIM_400000_NS6detail17trampoline_kernelINS0_13kernel_configILj256ELj4ELj4294967295EEENS1_37radix_sort_block_sort_config_selectorIslEEZNS1_21radix_sort_block_sortIS4_Lb0EPsS8_N6thrust23THRUST_200600_302600_NS10device_ptrIlEESC_NS0_19identity_decomposerEEE10hipError_tT1_T2_T3_T4_jRjT5_jjP12ihipStream_tbEUlT_E_NS1_11comp_targetILNS1_3genE4ELNS1_11target_archE910ELNS1_3gpuE8ELNS1_3repE0EEENS1_44radix_sort_block_sort_config_static_selectorELNS0_4arch9wavefront6targetE1EEEvSF_
	.p2align	8
	.type	_ZN7rocprim17ROCPRIM_400000_NS6detail17trampoline_kernelINS0_13kernel_configILj256ELj4ELj4294967295EEENS1_37radix_sort_block_sort_config_selectorIslEEZNS1_21radix_sort_block_sortIS4_Lb0EPsS8_N6thrust23THRUST_200600_302600_NS10device_ptrIlEESC_NS0_19identity_decomposerEEE10hipError_tT1_T2_T3_T4_jRjT5_jjP12ihipStream_tbEUlT_E_NS1_11comp_targetILNS1_3genE4ELNS1_11target_archE910ELNS1_3gpuE8ELNS1_3repE0EEENS1_44radix_sort_block_sort_config_static_selectorELNS0_4arch9wavefront6targetE1EEEvSF_,@function
_ZN7rocprim17ROCPRIM_400000_NS6detail17trampoline_kernelINS0_13kernel_configILj256ELj4ELj4294967295EEENS1_37radix_sort_block_sort_config_selectorIslEEZNS1_21radix_sort_block_sortIS4_Lb0EPsS8_N6thrust23THRUST_200600_302600_NS10device_ptrIlEESC_NS0_19identity_decomposerEEE10hipError_tT1_T2_T3_T4_jRjT5_jjP12ihipStream_tbEUlT_E_NS1_11comp_targetILNS1_3genE4ELNS1_11target_archE910ELNS1_3gpuE8ELNS1_3repE0EEENS1_44radix_sort_block_sort_config_static_selectorELNS0_4arch9wavefront6targetE1EEEvSF_: ; @_ZN7rocprim17ROCPRIM_400000_NS6detail17trampoline_kernelINS0_13kernel_configILj256ELj4ELj4294967295EEENS1_37radix_sort_block_sort_config_selectorIslEEZNS1_21radix_sort_block_sortIS4_Lb0EPsS8_N6thrust23THRUST_200600_302600_NS10device_ptrIlEESC_NS0_19identity_decomposerEEE10hipError_tT1_T2_T3_T4_jRjT5_jjP12ihipStream_tbEUlT_E_NS1_11comp_targetILNS1_3genE4ELNS1_11target_archE910ELNS1_3gpuE8ELNS1_3repE0EEENS1_44radix_sort_block_sort_config_static_selectorELNS0_4arch9wavefront6targetE1EEEvSF_
; %bb.0:
	.section	.rodata,"a",@progbits
	.p2align	6, 0x0
	.amdhsa_kernel _ZN7rocprim17ROCPRIM_400000_NS6detail17trampoline_kernelINS0_13kernel_configILj256ELj4ELj4294967295EEENS1_37radix_sort_block_sort_config_selectorIslEEZNS1_21radix_sort_block_sortIS4_Lb0EPsS8_N6thrust23THRUST_200600_302600_NS10device_ptrIlEESC_NS0_19identity_decomposerEEE10hipError_tT1_T2_T3_T4_jRjT5_jjP12ihipStream_tbEUlT_E_NS1_11comp_targetILNS1_3genE4ELNS1_11target_archE910ELNS1_3gpuE8ELNS1_3repE0EEENS1_44radix_sort_block_sort_config_static_selectorELNS0_4arch9wavefront6targetE1EEEvSF_
		.amdhsa_group_segment_fixed_size 0
		.amdhsa_private_segment_fixed_size 0
		.amdhsa_kernarg_size 48
		.amdhsa_user_sgpr_count 6
		.amdhsa_user_sgpr_private_segment_buffer 1
		.amdhsa_user_sgpr_dispatch_ptr 0
		.amdhsa_user_sgpr_queue_ptr 0
		.amdhsa_user_sgpr_kernarg_segment_ptr 1
		.amdhsa_user_sgpr_dispatch_id 0
		.amdhsa_user_sgpr_flat_scratch_init 0
		.amdhsa_user_sgpr_private_segment_size 0
		.amdhsa_uses_dynamic_stack 0
		.amdhsa_system_sgpr_private_segment_wavefront_offset 0
		.amdhsa_system_sgpr_workgroup_id_x 1
		.amdhsa_system_sgpr_workgroup_id_y 0
		.amdhsa_system_sgpr_workgroup_id_z 0
		.amdhsa_system_sgpr_workgroup_info 0
		.amdhsa_system_vgpr_workitem_id 0
		.amdhsa_next_free_vgpr 1
		.amdhsa_next_free_sgpr 0
		.amdhsa_reserve_vcc 0
		.amdhsa_reserve_flat_scratch 0
		.amdhsa_float_round_mode_32 0
		.amdhsa_float_round_mode_16_64 0
		.amdhsa_float_denorm_mode_32 3
		.amdhsa_float_denorm_mode_16_64 3
		.amdhsa_dx10_clamp 1
		.amdhsa_ieee_mode 1
		.amdhsa_fp16_overflow 0
		.amdhsa_exception_fp_ieee_invalid_op 0
		.amdhsa_exception_fp_denorm_src 0
		.amdhsa_exception_fp_ieee_div_zero 0
		.amdhsa_exception_fp_ieee_overflow 0
		.amdhsa_exception_fp_ieee_underflow 0
		.amdhsa_exception_fp_ieee_inexact 0
		.amdhsa_exception_int_div_zero 0
	.end_amdhsa_kernel
	.section	.text._ZN7rocprim17ROCPRIM_400000_NS6detail17trampoline_kernelINS0_13kernel_configILj256ELj4ELj4294967295EEENS1_37radix_sort_block_sort_config_selectorIslEEZNS1_21radix_sort_block_sortIS4_Lb0EPsS8_N6thrust23THRUST_200600_302600_NS10device_ptrIlEESC_NS0_19identity_decomposerEEE10hipError_tT1_T2_T3_T4_jRjT5_jjP12ihipStream_tbEUlT_E_NS1_11comp_targetILNS1_3genE4ELNS1_11target_archE910ELNS1_3gpuE8ELNS1_3repE0EEENS1_44radix_sort_block_sort_config_static_selectorELNS0_4arch9wavefront6targetE1EEEvSF_,"axG",@progbits,_ZN7rocprim17ROCPRIM_400000_NS6detail17trampoline_kernelINS0_13kernel_configILj256ELj4ELj4294967295EEENS1_37radix_sort_block_sort_config_selectorIslEEZNS1_21radix_sort_block_sortIS4_Lb0EPsS8_N6thrust23THRUST_200600_302600_NS10device_ptrIlEESC_NS0_19identity_decomposerEEE10hipError_tT1_T2_T3_T4_jRjT5_jjP12ihipStream_tbEUlT_E_NS1_11comp_targetILNS1_3genE4ELNS1_11target_archE910ELNS1_3gpuE8ELNS1_3repE0EEENS1_44radix_sort_block_sort_config_static_selectorELNS0_4arch9wavefront6targetE1EEEvSF_,comdat
.Lfunc_end1260:
	.size	_ZN7rocprim17ROCPRIM_400000_NS6detail17trampoline_kernelINS0_13kernel_configILj256ELj4ELj4294967295EEENS1_37radix_sort_block_sort_config_selectorIslEEZNS1_21radix_sort_block_sortIS4_Lb0EPsS8_N6thrust23THRUST_200600_302600_NS10device_ptrIlEESC_NS0_19identity_decomposerEEE10hipError_tT1_T2_T3_T4_jRjT5_jjP12ihipStream_tbEUlT_E_NS1_11comp_targetILNS1_3genE4ELNS1_11target_archE910ELNS1_3gpuE8ELNS1_3repE0EEENS1_44radix_sort_block_sort_config_static_selectorELNS0_4arch9wavefront6targetE1EEEvSF_, .Lfunc_end1260-_ZN7rocprim17ROCPRIM_400000_NS6detail17trampoline_kernelINS0_13kernel_configILj256ELj4ELj4294967295EEENS1_37radix_sort_block_sort_config_selectorIslEEZNS1_21radix_sort_block_sortIS4_Lb0EPsS8_N6thrust23THRUST_200600_302600_NS10device_ptrIlEESC_NS0_19identity_decomposerEEE10hipError_tT1_T2_T3_T4_jRjT5_jjP12ihipStream_tbEUlT_E_NS1_11comp_targetILNS1_3genE4ELNS1_11target_archE910ELNS1_3gpuE8ELNS1_3repE0EEENS1_44radix_sort_block_sort_config_static_selectorELNS0_4arch9wavefront6targetE1EEEvSF_
                                        ; -- End function
	.set _ZN7rocprim17ROCPRIM_400000_NS6detail17trampoline_kernelINS0_13kernel_configILj256ELj4ELj4294967295EEENS1_37radix_sort_block_sort_config_selectorIslEEZNS1_21radix_sort_block_sortIS4_Lb0EPsS8_N6thrust23THRUST_200600_302600_NS10device_ptrIlEESC_NS0_19identity_decomposerEEE10hipError_tT1_T2_T3_T4_jRjT5_jjP12ihipStream_tbEUlT_E_NS1_11comp_targetILNS1_3genE4ELNS1_11target_archE910ELNS1_3gpuE8ELNS1_3repE0EEENS1_44radix_sort_block_sort_config_static_selectorELNS0_4arch9wavefront6targetE1EEEvSF_.num_vgpr, 0
	.set _ZN7rocprim17ROCPRIM_400000_NS6detail17trampoline_kernelINS0_13kernel_configILj256ELj4ELj4294967295EEENS1_37radix_sort_block_sort_config_selectorIslEEZNS1_21radix_sort_block_sortIS4_Lb0EPsS8_N6thrust23THRUST_200600_302600_NS10device_ptrIlEESC_NS0_19identity_decomposerEEE10hipError_tT1_T2_T3_T4_jRjT5_jjP12ihipStream_tbEUlT_E_NS1_11comp_targetILNS1_3genE4ELNS1_11target_archE910ELNS1_3gpuE8ELNS1_3repE0EEENS1_44radix_sort_block_sort_config_static_selectorELNS0_4arch9wavefront6targetE1EEEvSF_.num_agpr, 0
	.set _ZN7rocprim17ROCPRIM_400000_NS6detail17trampoline_kernelINS0_13kernel_configILj256ELj4ELj4294967295EEENS1_37radix_sort_block_sort_config_selectorIslEEZNS1_21radix_sort_block_sortIS4_Lb0EPsS8_N6thrust23THRUST_200600_302600_NS10device_ptrIlEESC_NS0_19identity_decomposerEEE10hipError_tT1_T2_T3_T4_jRjT5_jjP12ihipStream_tbEUlT_E_NS1_11comp_targetILNS1_3genE4ELNS1_11target_archE910ELNS1_3gpuE8ELNS1_3repE0EEENS1_44radix_sort_block_sort_config_static_selectorELNS0_4arch9wavefront6targetE1EEEvSF_.numbered_sgpr, 0
	.set _ZN7rocprim17ROCPRIM_400000_NS6detail17trampoline_kernelINS0_13kernel_configILj256ELj4ELj4294967295EEENS1_37radix_sort_block_sort_config_selectorIslEEZNS1_21radix_sort_block_sortIS4_Lb0EPsS8_N6thrust23THRUST_200600_302600_NS10device_ptrIlEESC_NS0_19identity_decomposerEEE10hipError_tT1_T2_T3_T4_jRjT5_jjP12ihipStream_tbEUlT_E_NS1_11comp_targetILNS1_3genE4ELNS1_11target_archE910ELNS1_3gpuE8ELNS1_3repE0EEENS1_44radix_sort_block_sort_config_static_selectorELNS0_4arch9wavefront6targetE1EEEvSF_.num_named_barrier, 0
	.set _ZN7rocprim17ROCPRIM_400000_NS6detail17trampoline_kernelINS0_13kernel_configILj256ELj4ELj4294967295EEENS1_37radix_sort_block_sort_config_selectorIslEEZNS1_21radix_sort_block_sortIS4_Lb0EPsS8_N6thrust23THRUST_200600_302600_NS10device_ptrIlEESC_NS0_19identity_decomposerEEE10hipError_tT1_T2_T3_T4_jRjT5_jjP12ihipStream_tbEUlT_E_NS1_11comp_targetILNS1_3genE4ELNS1_11target_archE910ELNS1_3gpuE8ELNS1_3repE0EEENS1_44radix_sort_block_sort_config_static_selectorELNS0_4arch9wavefront6targetE1EEEvSF_.private_seg_size, 0
	.set _ZN7rocprim17ROCPRIM_400000_NS6detail17trampoline_kernelINS0_13kernel_configILj256ELj4ELj4294967295EEENS1_37radix_sort_block_sort_config_selectorIslEEZNS1_21radix_sort_block_sortIS4_Lb0EPsS8_N6thrust23THRUST_200600_302600_NS10device_ptrIlEESC_NS0_19identity_decomposerEEE10hipError_tT1_T2_T3_T4_jRjT5_jjP12ihipStream_tbEUlT_E_NS1_11comp_targetILNS1_3genE4ELNS1_11target_archE910ELNS1_3gpuE8ELNS1_3repE0EEENS1_44radix_sort_block_sort_config_static_selectorELNS0_4arch9wavefront6targetE1EEEvSF_.uses_vcc, 0
	.set _ZN7rocprim17ROCPRIM_400000_NS6detail17trampoline_kernelINS0_13kernel_configILj256ELj4ELj4294967295EEENS1_37radix_sort_block_sort_config_selectorIslEEZNS1_21radix_sort_block_sortIS4_Lb0EPsS8_N6thrust23THRUST_200600_302600_NS10device_ptrIlEESC_NS0_19identity_decomposerEEE10hipError_tT1_T2_T3_T4_jRjT5_jjP12ihipStream_tbEUlT_E_NS1_11comp_targetILNS1_3genE4ELNS1_11target_archE910ELNS1_3gpuE8ELNS1_3repE0EEENS1_44radix_sort_block_sort_config_static_selectorELNS0_4arch9wavefront6targetE1EEEvSF_.uses_flat_scratch, 0
	.set _ZN7rocprim17ROCPRIM_400000_NS6detail17trampoline_kernelINS0_13kernel_configILj256ELj4ELj4294967295EEENS1_37radix_sort_block_sort_config_selectorIslEEZNS1_21radix_sort_block_sortIS4_Lb0EPsS8_N6thrust23THRUST_200600_302600_NS10device_ptrIlEESC_NS0_19identity_decomposerEEE10hipError_tT1_T2_T3_T4_jRjT5_jjP12ihipStream_tbEUlT_E_NS1_11comp_targetILNS1_3genE4ELNS1_11target_archE910ELNS1_3gpuE8ELNS1_3repE0EEENS1_44radix_sort_block_sort_config_static_selectorELNS0_4arch9wavefront6targetE1EEEvSF_.has_dyn_sized_stack, 0
	.set _ZN7rocprim17ROCPRIM_400000_NS6detail17trampoline_kernelINS0_13kernel_configILj256ELj4ELj4294967295EEENS1_37radix_sort_block_sort_config_selectorIslEEZNS1_21radix_sort_block_sortIS4_Lb0EPsS8_N6thrust23THRUST_200600_302600_NS10device_ptrIlEESC_NS0_19identity_decomposerEEE10hipError_tT1_T2_T3_T4_jRjT5_jjP12ihipStream_tbEUlT_E_NS1_11comp_targetILNS1_3genE4ELNS1_11target_archE910ELNS1_3gpuE8ELNS1_3repE0EEENS1_44radix_sort_block_sort_config_static_selectorELNS0_4arch9wavefront6targetE1EEEvSF_.has_recursion, 0
	.set _ZN7rocprim17ROCPRIM_400000_NS6detail17trampoline_kernelINS0_13kernel_configILj256ELj4ELj4294967295EEENS1_37radix_sort_block_sort_config_selectorIslEEZNS1_21radix_sort_block_sortIS4_Lb0EPsS8_N6thrust23THRUST_200600_302600_NS10device_ptrIlEESC_NS0_19identity_decomposerEEE10hipError_tT1_T2_T3_T4_jRjT5_jjP12ihipStream_tbEUlT_E_NS1_11comp_targetILNS1_3genE4ELNS1_11target_archE910ELNS1_3gpuE8ELNS1_3repE0EEENS1_44radix_sort_block_sort_config_static_selectorELNS0_4arch9wavefront6targetE1EEEvSF_.has_indirect_call, 0
	.section	.AMDGPU.csdata,"",@progbits
; Kernel info:
; codeLenInByte = 0
; TotalNumSgprs: 4
; NumVgprs: 0
; ScratchSize: 0
; MemoryBound: 0
; FloatMode: 240
; IeeeMode: 1
; LDSByteSize: 0 bytes/workgroup (compile time only)
; SGPRBlocks: 0
; VGPRBlocks: 0
; NumSGPRsForWavesPerEU: 4
; NumVGPRsForWavesPerEU: 1
; Occupancy: 10
; WaveLimiterHint : 0
; COMPUTE_PGM_RSRC2:SCRATCH_EN: 0
; COMPUTE_PGM_RSRC2:USER_SGPR: 6
; COMPUTE_PGM_RSRC2:TRAP_HANDLER: 0
; COMPUTE_PGM_RSRC2:TGID_X_EN: 1
; COMPUTE_PGM_RSRC2:TGID_Y_EN: 0
; COMPUTE_PGM_RSRC2:TGID_Z_EN: 0
; COMPUTE_PGM_RSRC2:TIDIG_COMP_CNT: 0
	.section	.text._ZN7rocprim17ROCPRIM_400000_NS6detail17trampoline_kernelINS0_13kernel_configILj256ELj4ELj4294967295EEENS1_37radix_sort_block_sort_config_selectorIslEEZNS1_21radix_sort_block_sortIS4_Lb0EPsS8_N6thrust23THRUST_200600_302600_NS10device_ptrIlEESC_NS0_19identity_decomposerEEE10hipError_tT1_T2_T3_T4_jRjT5_jjP12ihipStream_tbEUlT_E_NS1_11comp_targetILNS1_3genE3ELNS1_11target_archE908ELNS1_3gpuE7ELNS1_3repE0EEENS1_44radix_sort_block_sort_config_static_selectorELNS0_4arch9wavefront6targetE1EEEvSF_,"axG",@progbits,_ZN7rocprim17ROCPRIM_400000_NS6detail17trampoline_kernelINS0_13kernel_configILj256ELj4ELj4294967295EEENS1_37radix_sort_block_sort_config_selectorIslEEZNS1_21radix_sort_block_sortIS4_Lb0EPsS8_N6thrust23THRUST_200600_302600_NS10device_ptrIlEESC_NS0_19identity_decomposerEEE10hipError_tT1_T2_T3_T4_jRjT5_jjP12ihipStream_tbEUlT_E_NS1_11comp_targetILNS1_3genE3ELNS1_11target_archE908ELNS1_3gpuE7ELNS1_3repE0EEENS1_44radix_sort_block_sort_config_static_selectorELNS0_4arch9wavefront6targetE1EEEvSF_,comdat
	.protected	_ZN7rocprim17ROCPRIM_400000_NS6detail17trampoline_kernelINS0_13kernel_configILj256ELj4ELj4294967295EEENS1_37radix_sort_block_sort_config_selectorIslEEZNS1_21radix_sort_block_sortIS4_Lb0EPsS8_N6thrust23THRUST_200600_302600_NS10device_ptrIlEESC_NS0_19identity_decomposerEEE10hipError_tT1_T2_T3_T4_jRjT5_jjP12ihipStream_tbEUlT_E_NS1_11comp_targetILNS1_3genE3ELNS1_11target_archE908ELNS1_3gpuE7ELNS1_3repE0EEENS1_44radix_sort_block_sort_config_static_selectorELNS0_4arch9wavefront6targetE1EEEvSF_ ; -- Begin function _ZN7rocprim17ROCPRIM_400000_NS6detail17trampoline_kernelINS0_13kernel_configILj256ELj4ELj4294967295EEENS1_37radix_sort_block_sort_config_selectorIslEEZNS1_21radix_sort_block_sortIS4_Lb0EPsS8_N6thrust23THRUST_200600_302600_NS10device_ptrIlEESC_NS0_19identity_decomposerEEE10hipError_tT1_T2_T3_T4_jRjT5_jjP12ihipStream_tbEUlT_E_NS1_11comp_targetILNS1_3genE3ELNS1_11target_archE908ELNS1_3gpuE7ELNS1_3repE0EEENS1_44radix_sort_block_sort_config_static_selectorELNS0_4arch9wavefront6targetE1EEEvSF_
	.globl	_ZN7rocprim17ROCPRIM_400000_NS6detail17trampoline_kernelINS0_13kernel_configILj256ELj4ELj4294967295EEENS1_37radix_sort_block_sort_config_selectorIslEEZNS1_21radix_sort_block_sortIS4_Lb0EPsS8_N6thrust23THRUST_200600_302600_NS10device_ptrIlEESC_NS0_19identity_decomposerEEE10hipError_tT1_T2_T3_T4_jRjT5_jjP12ihipStream_tbEUlT_E_NS1_11comp_targetILNS1_3genE3ELNS1_11target_archE908ELNS1_3gpuE7ELNS1_3repE0EEENS1_44radix_sort_block_sort_config_static_selectorELNS0_4arch9wavefront6targetE1EEEvSF_
	.p2align	8
	.type	_ZN7rocprim17ROCPRIM_400000_NS6detail17trampoline_kernelINS0_13kernel_configILj256ELj4ELj4294967295EEENS1_37radix_sort_block_sort_config_selectorIslEEZNS1_21radix_sort_block_sortIS4_Lb0EPsS8_N6thrust23THRUST_200600_302600_NS10device_ptrIlEESC_NS0_19identity_decomposerEEE10hipError_tT1_T2_T3_T4_jRjT5_jjP12ihipStream_tbEUlT_E_NS1_11comp_targetILNS1_3genE3ELNS1_11target_archE908ELNS1_3gpuE7ELNS1_3repE0EEENS1_44radix_sort_block_sort_config_static_selectorELNS0_4arch9wavefront6targetE1EEEvSF_,@function
_ZN7rocprim17ROCPRIM_400000_NS6detail17trampoline_kernelINS0_13kernel_configILj256ELj4ELj4294967295EEENS1_37radix_sort_block_sort_config_selectorIslEEZNS1_21radix_sort_block_sortIS4_Lb0EPsS8_N6thrust23THRUST_200600_302600_NS10device_ptrIlEESC_NS0_19identity_decomposerEEE10hipError_tT1_T2_T3_T4_jRjT5_jjP12ihipStream_tbEUlT_E_NS1_11comp_targetILNS1_3genE3ELNS1_11target_archE908ELNS1_3gpuE7ELNS1_3repE0EEENS1_44radix_sort_block_sort_config_static_selectorELNS0_4arch9wavefront6targetE1EEEvSF_: ; @_ZN7rocprim17ROCPRIM_400000_NS6detail17trampoline_kernelINS0_13kernel_configILj256ELj4ELj4294967295EEENS1_37radix_sort_block_sort_config_selectorIslEEZNS1_21radix_sort_block_sortIS4_Lb0EPsS8_N6thrust23THRUST_200600_302600_NS10device_ptrIlEESC_NS0_19identity_decomposerEEE10hipError_tT1_T2_T3_T4_jRjT5_jjP12ihipStream_tbEUlT_E_NS1_11comp_targetILNS1_3genE3ELNS1_11target_archE908ELNS1_3gpuE7ELNS1_3repE0EEENS1_44radix_sort_block_sort_config_static_selectorELNS0_4arch9wavefront6targetE1EEEvSF_
; %bb.0:
	.section	.rodata,"a",@progbits
	.p2align	6, 0x0
	.amdhsa_kernel _ZN7rocprim17ROCPRIM_400000_NS6detail17trampoline_kernelINS0_13kernel_configILj256ELj4ELj4294967295EEENS1_37radix_sort_block_sort_config_selectorIslEEZNS1_21radix_sort_block_sortIS4_Lb0EPsS8_N6thrust23THRUST_200600_302600_NS10device_ptrIlEESC_NS0_19identity_decomposerEEE10hipError_tT1_T2_T3_T4_jRjT5_jjP12ihipStream_tbEUlT_E_NS1_11comp_targetILNS1_3genE3ELNS1_11target_archE908ELNS1_3gpuE7ELNS1_3repE0EEENS1_44radix_sort_block_sort_config_static_selectorELNS0_4arch9wavefront6targetE1EEEvSF_
		.amdhsa_group_segment_fixed_size 0
		.amdhsa_private_segment_fixed_size 0
		.amdhsa_kernarg_size 48
		.amdhsa_user_sgpr_count 6
		.amdhsa_user_sgpr_private_segment_buffer 1
		.amdhsa_user_sgpr_dispatch_ptr 0
		.amdhsa_user_sgpr_queue_ptr 0
		.amdhsa_user_sgpr_kernarg_segment_ptr 1
		.amdhsa_user_sgpr_dispatch_id 0
		.amdhsa_user_sgpr_flat_scratch_init 0
		.amdhsa_user_sgpr_private_segment_size 0
		.amdhsa_uses_dynamic_stack 0
		.amdhsa_system_sgpr_private_segment_wavefront_offset 0
		.amdhsa_system_sgpr_workgroup_id_x 1
		.amdhsa_system_sgpr_workgroup_id_y 0
		.amdhsa_system_sgpr_workgroup_id_z 0
		.amdhsa_system_sgpr_workgroup_info 0
		.amdhsa_system_vgpr_workitem_id 0
		.amdhsa_next_free_vgpr 1
		.amdhsa_next_free_sgpr 0
		.amdhsa_reserve_vcc 0
		.amdhsa_reserve_flat_scratch 0
		.amdhsa_float_round_mode_32 0
		.amdhsa_float_round_mode_16_64 0
		.amdhsa_float_denorm_mode_32 3
		.amdhsa_float_denorm_mode_16_64 3
		.amdhsa_dx10_clamp 1
		.amdhsa_ieee_mode 1
		.amdhsa_fp16_overflow 0
		.amdhsa_exception_fp_ieee_invalid_op 0
		.amdhsa_exception_fp_denorm_src 0
		.amdhsa_exception_fp_ieee_div_zero 0
		.amdhsa_exception_fp_ieee_overflow 0
		.amdhsa_exception_fp_ieee_underflow 0
		.amdhsa_exception_fp_ieee_inexact 0
		.amdhsa_exception_int_div_zero 0
	.end_amdhsa_kernel
	.section	.text._ZN7rocprim17ROCPRIM_400000_NS6detail17trampoline_kernelINS0_13kernel_configILj256ELj4ELj4294967295EEENS1_37radix_sort_block_sort_config_selectorIslEEZNS1_21radix_sort_block_sortIS4_Lb0EPsS8_N6thrust23THRUST_200600_302600_NS10device_ptrIlEESC_NS0_19identity_decomposerEEE10hipError_tT1_T2_T3_T4_jRjT5_jjP12ihipStream_tbEUlT_E_NS1_11comp_targetILNS1_3genE3ELNS1_11target_archE908ELNS1_3gpuE7ELNS1_3repE0EEENS1_44radix_sort_block_sort_config_static_selectorELNS0_4arch9wavefront6targetE1EEEvSF_,"axG",@progbits,_ZN7rocprim17ROCPRIM_400000_NS6detail17trampoline_kernelINS0_13kernel_configILj256ELj4ELj4294967295EEENS1_37radix_sort_block_sort_config_selectorIslEEZNS1_21radix_sort_block_sortIS4_Lb0EPsS8_N6thrust23THRUST_200600_302600_NS10device_ptrIlEESC_NS0_19identity_decomposerEEE10hipError_tT1_T2_T3_T4_jRjT5_jjP12ihipStream_tbEUlT_E_NS1_11comp_targetILNS1_3genE3ELNS1_11target_archE908ELNS1_3gpuE7ELNS1_3repE0EEENS1_44radix_sort_block_sort_config_static_selectorELNS0_4arch9wavefront6targetE1EEEvSF_,comdat
.Lfunc_end1261:
	.size	_ZN7rocprim17ROCPRIM_400000_NS6detail17trampoline_kernelINS0_13kernel_configILj256ELj4ELj4294967295EEENS1_37radix_sort_block_sort_config_selectorIslEEZNS1_21radix_sort_block_sortIS4_Lb0EPsS8_N6thrust23THRUST_200600_302600_NS10device_ptrIlEESC_NS0_19identity_decomposerEEE10hipError_tT1_T2_T3_T4_jRjT5_jjP12ihipStream_tbEUlT_E_NS1_11comp_targetILNS1_3genE3ELNS1_11target_archE908ELNS1_3gpuE7ELNS1_3repE0EEENS1_44radix_sort_block_sort_config_static_selectorELNS0_4arch9wavefront6targetE1EEEvSF_, .Lfunc_end1261-_ZN7rocprim17ROCPRIM_400000_NS6detail17trampoline_kernelINS0_13kernel_configILj256ELj4ELj4294967295EEENS1_37radix_sort_block_sort_config_selectorIslEEZNS1_21radix_sort_block_sortIS4_Lb0EPsS8_N6thrust23THRUST_200600_302600_NS10device_ptrIlEESC_NS0_19identity_decomposerEEE10hipError_tT1_T2_T3_T4_jRjT5_jjP12ihipStream_tbEUlT_E_NS1_11comp_targetILNS1_3genE3ELNS1_11target_archE908ELNS1_3gpuE7ELNS1_3repE0EEENS1_44radix_sort_block_sort_config_static_selectorELNS0_4arch9wavefront6targetE1EEEvSF_
                                        ; -- End function
	.set _ZN7rocprim17ROCPRIM_400000_NS6detail17trampoline_kernelINS0_13kernel_configILj256ELj4ELj4294967295EEENS1_37radix_sort_block_sort_config_selectorIslEEZNS1_21radix_sort_block_sortIS4_Lb0EPsS8_N6thrust23THRUST_200600_302600_NS10device_ptrIlEESC_NS0_19identity_decomposerEEE10hipError_tT1_T2_T3_T4_jRjT5_jjP12ihipStream_tbEUlT_E_NS1_11comp_targetILNS1_3genE3ELNS1_11target_archE908ELNS1_3gpuE7ELNS1_3repE0EEENS1_44radix_sort_block_sort_config_static_selectorELNS0_4arch9wavefront6targetE1EEEvSF_.num_vgpr, 0
	.set _ZN7rocprim17ROCPRIM_400000_NS6detail17trampoline_kernelINS0_13kernel_configILj256ELj4ELj4294967295EEENS1_37radix_sort_block_sort_config_selectorIslEEZNS1_21radix_sort_block_sortIS4_Lb0EPsS8_N6thrust23THRUST_200600_302600_NS10device_ptrIlEESC_NS0_19identity_decomposerEEE10hipError_tT1_T2_T3_T4_jRjT5_jjP12ihipStream_tbEUlT_E_NS1_11comp_targetILNS1_3genE3ELNS1_11target_archE908ELNS1_3gpuE7ELNS1_3repE0EEENS1_44radix_sort_block_sort_config_static_selectorELNS0_4arch9wavefront6targetE1EEEvSF_.num_agpr, 0
	.set _ZN7rocprim17ROCPRIM_400000_NS6detail17trampoline_kernelINS0_13kernel_configILj256ELj4ELj4294967295EEENS1_37radix_sort_block_sort_config_selectorIslEEZNS1_21radix_sort_block_sortIS4_Lb0EPsS8_N6thrust23THRUST_200600_302600_NS10device_ptrIlEESC_NS0_19identity_decomposerEEE10hipError_tT1_T2_T3_T4_jRjT5_jjP12ihipStream_tbEUlT_E_NS1_11comp_targetILNS1_3genE3ELNS1_11target_archE908ELNS1_3gpuE7ELNS1_3repE0EEENS1_44radix_sort_block_sort_config_static_selectorELNS0_4arch9wavefront6targetE1EEEvSF_.numbered_sgpr, 0
	.set _ZN7rocprim17ROCPRIM_400000_NS6detail17trampoline_kernelINS0_13kernel_configILj256ELj4ELj4294967295EEENS1_37radix_sort_block_sort_config_selectorIslEEZNS1_21radix_sort_block_sortIS4_Lb0EPsS8_N6thrust23THRUST_200600_302600_NS10device_ptrIlEESC_NS0_19identity_decomposerEEE10hipError_tT1_T2_T3_T4_jRjT5_jjP12ihipStream_tbEUlT_E_NS1_11comp_targetILNS1_3genE3ELNS1_11target_archE908ELNS1_3gpuE7ELNS1_3repE0EEENS1_44radix_sort_block_sort_config_static_selectorELNS0_4arch9wavefront6targetE1EEEvSF_.num_named_barrier, 0
	.set _ZN7rocprim17ROCPRIM_400000_NS6detail17trampoline_kernelINS0_13kernel_configILj256ELj4ELj4294967295EEENS1_37radix_sort_block_sort_config_selectorIslEEZNS1_21radix_sort_block_sortIS4_Lb0EPsS8_N6thrust23THRUST_200600_302600_NS10device_ptrIlEESC_NS0_19identity_decomposerEEE10hipError_tT1_T2_T3_T4_jRjT5_jjP12ihipStream_tbEUlT_E_NS1_11comp_targetILNS1_3genE3ELNS1_11target_archE908ELNS1_3gpuE7ELNS1_3repE0EEENS1_44radix_sort_block_sort_config_static_selectorELNS0_4arch9wavefront6targetE1EEEvSF_.private_seg_size, 0
	.set _ZN7rocprim17ROCPRIM_400000_NS6detail17trampoline_kernelINS0_13kernel_configILj256ELj4ELj4294967295EEENS1_37radix_sort_block_sort_config_selectorIslEEZNS1_21radix_sort_block_sortIS4_Lb0EPsS8_N6thrust23THRUST_200600_302600_NS10device_ptrIlEESC_NS0_19identity_decomposerEEE10hipError_tT1_T2_T3_T4_jRjT5_jjP12ihipStream_tbEUlT_E_NS1_11comp_targetILNS1_3genE3ELNS1_11target_archE908ELNS1_3gpuE7ELNS1_3repE0EEENS1_44radix_sort_block_sort_config_static_selectorELNS0_4arch9wavefront6targetE1EEEvSF_.uses_vcc, 0
	.set _ZN7rocprim17ROCPRIM_400000_NS6detail17trampoline_kernelINS0_13kernel_configILj256ELj4ELj4294967295EEENS1_37radix_sort_block_sort_config_selectorIslEEZNS1_21radix_sort_block_sortIS4_Lb0EPsS8_N6thrust23THRUST_200600_302600_NS10device_ptrIlEESC_NS0_19identity_decomposerEEE10hipError_tT1_T2_T3_T4_jRjT5_jjP12ihipStream_tbEUlT_E_NS1_11comp_targetILNS1_3genE3ELNS1_11target_archE908ELNS1_3gpuE7ELNS1_3repE0EEENS1_44radix_sort_block_sort_config_static_selectorELNS0_4arch9wavefront6targetE1EEEvSF_.uses_flat_scratch, 0
	.set _ZN7rocprim17ROCPRIM_400000_NS6detail17trampoline_kernelINS0_13kernel_configILj256ELj4ELj4294967295EEENS1_37radix_sort_block_sort_config_selectorIslEEZNS1_21radix_sort_block_sortIS4_Lb0EPsS8_N6thrust23THRUST_200600_302600_NS10device_ptrIlEESC_NS0_19identity_decomposerEEE10hipError_tT1_T2_T3_T4_jRjT5_jjP12ihipStream_tbEUlT_E_NS1_11comp_targetILNS1_3genE3ELNS1_11target_archE908ELNS1_3gpuE7ELNS1_3repE0EEENS1_44radix_sort_block_sort_config_static_selectorELNS0_4arch9wavefront6targetE1EEEvSF_.has_dyn_sized_stack, 0
	.set _ZN7rocprim17ROCPRIM_400000_NS6detail17trampoline_kernelINS0_13kernel_configILj256ELj4ELj4294967295EEENS1_37radix_sort_block_sort_config_selectorIslEEZNS1_21radix_sort_block_sortIS4_Lb0EPsS8_N6thrust23THRUST_200600_302600_NS10device_ptrIlEESC_NS0_19identity_decomposerEEE10hipError_tT1_T2_T3_T4_jRjT5_jjP12ihipStream_tbEUlT_E_NS1_11comp_targetILNS1_3genE3ELNS1_11target_archE908ELNS1_3gpuE7ELNS1_3repE0EEENS1_44radix_sort_block_sort_config_static_selectorELNS0_4arch9wavefront6targetE1EEEvSF_.has_recursion, 0
	.set _ZN7rocprim17ROCPRIM_400000_NS6detail17trampoline_kernelINS0_13kernel_configILj256ELj4ELj4294967295EEENS1_37radix_sort_block_sort_config_selectorIslEEZNS1_21radix_sort_block_sortIS4_Lb0EPsS8_N6thrust23THRUST_200600_302600_NS10device_ptrIlEESC_NS0_19identity_decomposerEEE10hipError_tT1_T2_T3_T4_jRjT5_jjP12ihipStream_tbEUlT_E_NS1_11comp_targetILNS1_3genE3ELNS1_11target_archE908ELNS1_3gpuE7ELNS1_3repE0EEENS1_44radix_sort_block_sort_config_static_selectorELNS0_4arch9wavefront6targetE1EEEvSF_.has_indirect_call, 0
	.section	.AMDGPU.csdata,"",@progbits
; Kernel info:
; codeLenInByte = 0
; TotalNumSgprs: 4
; NumVgprs: 0
; ScratchSize: 0
; MemoryBound: 0
; FloatMode: 240
; IeeeMode: 1
; LDSByteSize: 0 bytes/workgroup (compile time only)
; SGPRBlocks: 0
; VGPRBlocks: 0
; NumSGPRsForWavesPerEU: 4
; NumVGPRsForWavesPerEU: 1
; Occupancy: 10
; WaveLimiterHint : 0
; COMPUTE_PGM_RSRC2:SCRATCH_EN: 0
; COMPUTE_PGM_RSRC2:USER_SGPR: 6
; COMPUTE_PGM_RSRC2:TRAP_HANDLER: 0
; COMPUTE_PGM_RSRC2:TGID_X_EN: 1
; COMPUTE_PGM_RSRC2:TGID_Y_EN: 0
; COMPUTE_PGM_RSRC2:TGID_Z_EN: 0
; COMPUTE_PGM_RSRC2:TIDIG_COMP_CNT: 0
	.section	.text._ZN7rocprim17ROCPRIM_400000_NS6detail17trampoline_kernelINS0_13kernel_configILj256ELj4ELj4294967295EEENS1_37radix_sort_block_sort_config_selectorIslEEZNS1_21radix_sort_block_sortIS4_Lb0EPsS8_N6thrust23THRUST_200600_302600_NS10device_ptrIlEESC_NS0_19identity_decomposerEEE10hipError_tT1_T2_T3_T4_jRjT5_jjP12ihipStream_tbEUlT_E_NS1_11comp_targetILNS1_3genE2ELNS1_11target_archE906ELNS1_3gpuE6ELNS1_3repE0EEENS1_44radix_sort_block_sort_config_static_selectorELNS0_4arch9wavefront6targetE1EEEvSF_,"axG",@progbits,_ZN7rocprim17ROCPRIM_400000_NS6detail17trampoline_kernelINS0_13kernel_configILj256ELj4ELj4294967295EEENS1_37radix_sort_block_sort_config_selectorIslEEZNS1_21radix_sort_block_sortIS4_Lb0EPsS8_N6thrust23THRUST_200600_302600_NS10device_ptrIlEESC_NS0_19identity_decomposerEEE10hipError_tT1_T2_T3_T4_jRjT5_jjP12ihipStream_tbEUlT_E_NS1_11comp_targetILNS1_3genE2ELNS1_11target_archE906ELNS1_3gpuE6ELNS1_3repE0EEENS1_44radix_sort_block_sort_config_static_selectorELNS0_4arch9wavefront6targetE1EEEvSF_,comdat
	.protected	_ZN7rocprim17ROCPRIM_400000_NS6detail17trampoline_kernelINS0_13kernel_configILj256ELj4ELj4294967295EEENS1_37radix_sort_block_sort_config_selectorIslEEZNS1_21radix_sort_block_sortIS4_Lb0EPsS8_N6thrust23THRUST_200600_302600_NS10device_ptrIlEESC_NS0_19identity_decomposerEEE10hipError_tT1_T2_T3_T4_jRjT5_jjP12ihipStream_tbEUlT_E_NS1_11comp_targetILNS1_3genE2ELNS1_11target_archE906ELNS1_3gpuE6ELNS1_3repE0EEENS1_44radix_sort_block_sort_config_static_selectorELNS0_4arch9wavefront6targetE1EEEvSF_ ; -- Begin function _ZN7rocprim17ROCPRIM_400000_NS6detail17trampoline_kernelINS0_13kernel_configILj256ELj4ELj4294967295EEENS1_37radix_sort_block_sort_config_selectorIslEEZNS1_21radix_sort_block_sortIS4_Lb0EPsS8_N6thrust23THRUST_200600_302600_NS10device_ptrIlEESC_NS0_19identity_decomposerEEE10hipError_tT1_T2_T3_T4_jRjT5_jjP12ihipStream_tbEUlT_E_NS1_11comp_targetILNS1_3genE2ELNS1_11target_archE906ELNS1_3gpuE6ELNS1_3repE0EEENS1_44radix_sort_block_sort_config_static_selectorELNS0_4arch9wavefront6targetE1EEEvSF_
	.globl	_ZN7rocprim17ROCPRIM_400000_NS6detail17trampoline_kernelINS0_13kernel_configILj256ELj4ELj4294967295EEENS1_37radix_sort_block_sort_config_selectorIslEEZNS1_21radix_sort_block_sortIS4_Lb0EPsS8_N6thrust23THRUST_200600_302600_NS10device_ptrIlEESC_NS0_19identity_decomposerEEE10hipError_tT1_T2_T3_T4_jRjT5_jjP12ihipStream_tbEUlT_E_NS1_11comp_targetILNS1_3genE2ELNS1_11target_archE906ELNS1_3gpuE6ELNS1_3repE0EEENS1_44radix_sort_block_sort_config_static_selectorELNS0_4arch9wavefront6targetE1EEEvSF_
	.p2align	8
	.type	_ZN7rocprim17ROCPRIM_400000_NS6detail17trampoline_kernelINS0_13kernel_configILj256ELj4ELj4294967295EEENS1_37radix_sort_block_sort_config_selectorIslEEZNS1_21radix_sort_block_sortIS4_Lb0EPsS8_N6thrust23THRUST_200600_302600_NS10device_ptrIlEESC_NS0_19identity_decomposerEEE10hipError_tT1_T2_T3_T4_jRjT5_jjP12ihipStream_tbEUlT_E_NS1_11comp_targetILNS1_3genE2ELNS1_11target_archE906ELNS1_3gpuE6ELNS1_3repE0EEENS1_44radix_sort_block_sort_config_static_selectorELNS0_4arch9wavefront6targetE1EEEvSF_,@function
_ZN7rocprim17ROCPRIM_400000_NS6detail17trampoline_kernelINS0_13kernel_configILj256ELj4ELj4294967295EEENS1_37radix_sort_block_sort_config_selectorIslEEZNS1_21radix_sort_block_sortIS4_Lb0EPsS8_N6thrust23THRUST_200600_302600_NS10device_ptrIlEESC_NS0_19identity_decomposerEEE10hipError_tT1_T2_T3_T4_jRjT5_jjP12ihipStream_tbEUlT_E_NS1_11comp_targetILNS1_3genE2ELNS1_11target_archE906ELNS1_3gpuE6ELNS1_3repE0EEENS1_44radix_sort_block_sort_config_static_selectorELNS0_4arch9wavefront6targetE1EEEvSF_: ; @_ZN7rocprim17ROCPRIM_400000_NS6detail17trampoline_kernelINS0_13kernel_configILj256ELj4ELj4294967295EEENS1_37radix_sort_block_sort_config_selectorIslEEZNS1_21radix_sort_block_sortIS4_Lb0EPsS8_N6thrust23THRUST_200600_302600_NS10device_ptrIlEESC_NS0_19identity_decomposerEEE10hipError_tT1_T2_T3_T4_jRjT5_jjP12ihipStream_tbEUlT_E_NS1_11comp_targetILNS1_3genE2ELNS1_11target_archE906ELNS1_3gpuE6ELNS1_3repE0EEENS1_44radix_sort_block_sort_config_static_selectorELNS0_4arch9wavefront6targetE1EEEvSF_
; %bb.0:
	s_load_dword s2, s[4:5], 0x20
	s_load_dwordx8 s[36:43], s[4:5], 0x0
	s_lshl_b32 s28, s6, 10
	s_mov_b32 s29, 0
	v_mbcnt_lo_u32_b32 v3, -1, 0
	s_waitcnt lgkmcnt(0)
	s_lshr_b32 s0, s2, 10
	s_cmp_lg_u32 s6, s0
	s_cselect_b64 s[30:31], -1, 0
	s_lshl_b64 s[34:35], s[28:29], 1
	v_mbcnt_hi_u32_b32 v15, -1, v3
	s_add_u32 s1, s36, s34
	v_and_b32_e32 v13, 63, v15
	v_lshlrev_b32_e32 v3, 2, v0
	s_addc_u32 s3, s37, s35
	v_and_b32_e32 v14, 0x300, v3
	v_lshlrev_b32_e32 v3, 1, v13
	v_mov_b32_e32 v4, s3
	v_add_co_u32_e32 v3, vcc, s1, v3
	v_addc_co_u32_e32 v4, vcc, 0, v4, vcc
	v_lshlrev_b32_e32 v16, 1, v14
	v_add_co_u32_e32 v9, vcc, v3, v16
	s_cmp_eq_u32 s6, s0
	v_addc_co_u32_e32 v10, vcc, 0, v4, vcc
	v_lshlrev_b32_e32 v17, 3, v13
	v_lshlrev_b32_e32 v18, 3, v14
	s_cbranch_scc1 .LBB1262_2
; %bb.1:
	s_lshl_b64 s[0:1], s[28:29], 3
	s_add_u32 s0, s40, s0
	s_addc_u32 s1, s41, s1
	v_mov_b32_e32 v3, s1
	v_add_co_u32_e32 v4, vcc, s0, v17
	v_addc_co_u32_e32 v3, vcc, 0, v3, vcc
	v_add_co_u32_e32 v11, vcc, v4, v18
	v_addc_co_u32_e32 v12, vcc, 0, v3, vcc
	global_load_ushort v19, v[9:10], off
	global_load_ushort v20, v[9:10], off offset:128
	global_load_ushort v21, v[9:10], off offset:256
	;; [unrolled: 1-line block ×3, first 2 shown]
	global_load_dwordx2 v[3:4], v[11:12], off
	global_load_dwordx2 v[5:6], v[11:12], off offset:512
	global_load_dwordx2 v[7:8], v[11:12], off offset:1024
	s_mov_b32 s0, 0x5040100
	s_mov_b64 s[8:9], -1
	s_waitcnt vmcnt(5)
	v_perm_b32 v11, v20, v19, s0
	s_waitcnt vmcnt(3)
	v_perm_b32 v12, v22, v21, s0
	s_load_dwordx2 s[36:37], s[4:5], 0x28
	s_sub_i32 s33, s2, s28
	s_cbranch_execz .LBB1262_3
	s_branch .LBB1262_16
.LBB1262_2:
	s_mov_b64 s[8:9], 0
                                        ; implicit-def: $vgpr11_vgpr12
                                        ; implicit-def: $vgpr3_vgpr4
                                        ; implicit-def: $vgpr7_vgpr8
	s_load_dwordx2 s[36:37], s[4:5], 0x28
	s_sub_i32 s33, s2, s28
.LBB1262_3:
	s_waitcnt vmcnt(2)
	v_or_b32_e32 v3, v13, v14
	v_mov_b32_e32 v11, 0x7fff7fff
	v_cmp_gt_u32_e32 vcc, s33, v3
	v_mov_b32_e32 v12, v11
	s_and_saveexec_b64 s[0:1], vcc
	s_cbranch_execz .LBB1262_5
; %bb.4:
	global_load_ushort v4, v[9:10], off
	s_movk_i32 s2, 0x7fff
	s_waitcnt vmcnt(2)
	v_mov_b32_e32 v5, 0x5040100
	s_waitcnt vmcnt(0)
	v_perm_b32 v4, s2, v4, v5
	v_mov_b32_e32 v5, v11
	v_mov_b32_e32 v12, v5
	;; [unrolled: 1-line block ×3, first 2 shown]
.LBB1262_5:
	s_or_b64 exec, exec, s[0:1]
	v_or_b32_e32 v4, 64, v3
	v_cmp_gt_u32_e64 s[0:1], s33, v4
	s_and_saveexec_b64 s[2:3], s[0:1]
	s_cbranch_execz .LBB1262_7
; %bb.6:
	global_load_ushort v4, v[9:10], off offset:128
	s_mov_b32 s6, 0x5040100
	s_waitcnt vmcnt(0)
	v_perm_b32 v11, v4, v11, s6
.LBB1262_7:
	s_or_b64 exec, exec, s[2:3]
	v_or_b32_e32 v4, 0x80, v3
	v_cmp_gt_u32_e64 s[2:3], s33, v4
	s_and_saveexec_b64 s[6:7], s[2:3]
	s_cbranch_execz .LBB1262_9
; %bb.8:
	global_load_ushort v4, v[9:10], off offset:256
	s_mov_b32 s8, 0xffff
	s_waitcnt vmcnt(0)
	v_bfi_b32 v12, s8, v4, v12
.LBB1262_9:
	s_or_b64 exec, exec, s[6:7]
	v_or_b32_e32 v3, 0xc0, v3
	v_cmp_gt_u32_e64 s[8:9], s33, v3
	s_and_saveexec_b64 s[6:7], s[8:9]
	s_cbranch_execz .LBB1262_11
; %bb.10:
	global_load_ushort v3, v[9:10], off offset:384
	s_mov_b32 s10, 0x5040100
	s_waitcnt vmcnt(0)
	v_perm_b32 v12, v3, v12, s10
.LBB1262_11:
	s_or_b64 exec, exec, s[6:7]
	s_lshl_b64 s[6:7], s[28:29], 3
	s_add_u32 s6, s40, s6
	s_addc_u32 s7, s41, s7
	v_mov_b32_e32 v3, s7
	v_add_co_u32_e64 v4, s[6:7], s6, v17
	v_addc_co_u32_e64 v3, s[6:7], 0, v3, s[6:7]
	v_add_co_u32_e64 v9, s[6:7], v4, v18
	v_addc_co_u32_e64 v10, s[6:7], 0, v3, s[6:7]
                                        ; implicit-def: $vgpr3_vgpr4
	s_and_saveexec_b64 s[6:7], vcc
	s_cbranch_execnz .LBB1262_55
; %bb.12:
	s_or_b64 exec, exec, s[6:7]
	s_and_saveexec_b64 s[6:7], s[0:1]
	s_cbranch_execnz .LBB1262_56
.LBB1262_13:
	s_or_b64 exec, exec, s[6:7]
                                        ; implicit-def: $vgpr7_vgpr8
	s_and_saveexec_b64 s[0:1], s[2:3]
	s_cbranch_execz .LBB1262_15
.LBB1262_14:
	global_load_dwordx2 v[7:8], v[9:10], off offset:1024
.LBB1262_15:
	s_or_b64 exec, exec, s[0:1]
.LBB1262_16:
	s_and_saveexec_b64 s[0:1], s[8:9]
	s_cbranch_execz .LBB1262_18
; %bb.17:
	s_lshl_b64 s[2:3], s[28:29], 3
	s_add_u32 s2, s40, s2
	s_addc_u32 s3, s41, s3
	v_mov_b32_e32 v9, s3
	v_add_co_u32_e32 v10, vcc, s2, v17
	v_addc_co_u32_e32 v19, vcc, 0, v9, vcc
	v_add_co_u32_e32 v9, vcc, v10, v18
	v_addc_co_u32_e32 v10, vcc, 0, v19, vcc
	global_load_dwordx2 v[9:10], v[9:10], off offset:1536
.LBB1262_18:
	s_or_b64 exec, exec, s[0:1]
	s_load_dword s1, s[4:5], 0x3c
	s_movk_i32 s0, 0x8000
	v_xor_b32_e32 v18, 0xffff8000, v12
	v_xor_b32_sdwa v12, v12, s0 dst_sel:DWORD dst_unused:UNUSED_PAD src0_sel:WORD_1 src1_sel:DWORD
	v_xor_b32_e32 v19, 0xffff8000, v11
	v_xor_b32_sdwa v11, v11, s0 dst_sel:DWORD dst_unused:UNUSED_PAD src0_sel:WORD_1 src1_sel:DWORD
	s_waitcnt lgkmcnt(0)
	s_lshr_b32 s0, s1, 16
	s_and_b32 s1, s1, 0xffff
	v_mad_u32_u24 v1, v2, s0, v1
	v_mad_u64_u32 v[1:2], s[0:1], v1, s1, v[0:1]
	s_add_i32 s40, s37, s36
	s_getpc_b64 s[0:1]
	s_add_u32 s0, s0, _ZN7rocprim17ROCPRIM_400000_NS16block_radix_sortIsLj256ELj4ElLj1ELj1ELj0ELNS0_26block_radix_rank_algorithmE1ELNS0_18block_padding_hintE2ELNS0_4arch9wavefront6targetE1EE19radix_bits_per_passE@rel32@lo+4
	s_addc_u32 s1, s1, _ZN7rocprim17ROCPRIM_400000_NS16block_radix_sortIsLj256ELj4ElLj1ELj1ELj0ELNS0_26block_radix_rank_algorithmE1ELNS0_18block_padding_hintE2ELNS0_4arch9wavefront6targetE1EE19radix_bits_per_passE@rel32@hi+12
	v_lshrrev_b32_e32 v1, 4, v1
	v_and_b32_e32 v26, 0xffffffc, v1
	v_and_b32_e32 v1, 15, v15
	s_load_dword s41, s[0:1], 0x0
	v_cmp_eq_u32_e64 s[0:1], 0, v1
	v_cmp_lt_u32_e64 s[2:3], 1, v1
	v_cmp_lt_u32_e64 s[4:5], 3, v1
	;; [unrolled: 1-line block ×3, first 2 shown]
	v_and_b32_e32 v1, 16, v15
	v_cmp_eq_u32_e64 s[8:9], 0, v1
	v_or_b32_e32 v1, 63, v0
	v_cmp_eq_u32_e64 s[12:13], v0, v1
	v_subrev_co_u32_e64 v1, s[18:19], 1, v15
	v_and_b32_e32 v2, 64, v15
	v_cmp_lt_i32_e32 vcc, v1, v2
	s_mov_b32 s26, 0
	v_cndmask_b32_e32 v1, v1, v15, vcc
	v_lshlrev_b32_e32 v27, 2, v1
	v_lshrrev_b32_e32 v1, 4, v0
	s_mov_b32 s44, 0x5040100
	s_mov_b32 s46, s26
	v_lshlrev_b32_e32 v25, 4, v0
	v_and_b32_e32 v28, 12, v1
	v_mul_i32_i24_e32 v1, -12, v0
	v_and_b32_e32 v2, 3, v15
	v_perm_b32 v34, v11, v19, s44
	s_mov_b32 s27, s26
	s_mov_b32 s47, s26
	v_mov_b32_e32 v19, s26
	v_mov_b32_e32 v21, s46
	v_cmp_lt_u32_e64 s[10:11], 31, v15
	v_cmp_gt_u32_e64 s[14:15], 4, v0
	v_cmp_lt_u32_e64 s[16:17], 63, v0
	v_cmp_eq_u32_e64 s[20:21], 0, v0
	v_cmp_eq_u32_e64 s[22:23], 0, v2
	v_cmp_lt_u32_e64 s[24:25], 1, v2
	v_add_u32_e32 v29, -4, v28
	v_lshl_add_u32 v30, v13, 1, v16
	v_lshl_add_u32 v31, v14, 3, v17
	v_perm_b32 v43, v12, v18, s44
	v_mov_b32_e32 v20, s27
	v_mov_b32_e32 v22, s47
	;; [unrolled: 1-line block ×3, first 2 shown]
	v_add_u32_e32 v32, v25, v1
	s_branch .LBB1262_20
.LBB1262_19:                            ;   in Loop: Header=BB1262_20 Depth=1
	s_andn2_b64 vcc, exec, s[26:27]
	s_cbranch_vccz .LBB1262_36
.LBB1262_20:                            ; =>This Inner Loop Header: Depth=1
	s_waitcnt lgkmcnt(0)
	s_min_u32 s26, s41, s37
	s_lshl_b32 s26, -1, s26
	s_not_b32 s45, s26
	v_lshrrev_b32_sdwa v1, s36, v34 dst_sel:DWORD dst_unused:UNUSED_PAD src0_sel:DWORD src1_sel:WORD_0
	v_and_b32_e32 v1, s45, v1
	s_waitcnt vmcnt(0)
	v_mov_b32_e32 v18, v4
	v_and_b32_e32 v2, 1, v1
	v_mov_b32_e32 v17, v3
	v_mov_b32_e32 v16, v6
	v_add_co_u32_e32 v4, vcc, -1, v2
	v_mov_b32_e32 v15, v5
	v_addc_co_u32_e64 v5, s[26:27], 0, -1, vcc
	v_cmp_ne_u32_e32 vcc, 0, v2
	v_lshlrev_b32_e32 v24, 30, v1
	v_xor_b32_e32 v2, vcc_hi, v5
	v_xor_b32_e32 v4, vcc_lo, v4
	v_cmp_gt_i64_e32 vcc, 0, v[23:24]
	v_not_b32_e32 v5, v24
	v_ashrrev_i32_e32 v5, 31, v5
	v_and_b32_e32 v4, exec_lo, v4
	v_xor_b32_e32 v6, vcc_hi, v5
	v_xor_b32_e32 v5, vcc_lo, v5
	v_lshlrev_b32_e32 v24, 29, v1
	v_and_b32_e32 v4, v4, v5
	v_cmp_gt_i64_e32 vcc, 0, v[23:24]
	v_not_b32_e32 v5, v24
	v_and_b32_e32 v2, exec_hi, v2
	v_ashrrev_i32_e32 v5, 31, v5
	v_and_b32_e32 v2, v2, v6
	v_xor_b32_e32 v6, vcc_hi, v5
	v_xor_b32_e32 v5, vcc_lo, v5
	v_lshlrev_b32_e32 v24, 28, v1
	v_and_b32_e32 v4, v4, v5
	v_cmp_gt_i64_e32 vcc, 0, v[23:24]
	v_not_b32_e32 v5, v24
	v_ashrrev_i32_e32 v5, 31, v5
	v_and_b32_e32 v2, v2, v6
	v_xor_b32_e32 v6, vcc_hi, v5
	v_xor_b32_e32 v5, vcc_lo, v5
	v_lshlrev_b32_e32 v24, 27, v1
	v_and_b32_e32 v4, v4, v5
	v_cmp_gt_i64_e32 vcc, 0, v[23:24]
	v_not_b32_e32 v5, v24
	;; [unrolled: 8-line block ×4, first 2 shown]
	v_ashrrev_i32_e32 v5, 31, v5
	v_lshlrev_b32_e32 v24, 24, v1
	v_lshlrev_b32_e32 v3, 4, v1
	v_and_b32_e32 v2, v2, v6
	v_xor_b32_e32 v6, vcc_hi, v5
	v_xor_b32_e32 v5, vcc_lo, v5
	v_cmp_gt_i64_e32 vcc, 0, v[23:24]
	v_not_b32_e32 v1, v24
	v_ashrrev_i32_e32 v1, 31, v1
	v_and_b32_e32 v4, v4, v5
	v_xor_b32_e32 v5, vcc_hi, v1
	v_xor_b32_e32 v1, vcc_lo, v1
	v_and_b32_e32 v2, v2, v6
	v_and_b32_e32 v1, v4, v1
	;; [unrolled: 1-line block ×3, first 2 shown]
	v_mbcnt_lo_u32_b32 v4, v1, 0
	v_mbcnt_hi_u32_b32 v5, v2, v4
	v_cmp_ne_u64_e32 vcc, 0, v[1:2]
	v_mov_b32_e32 v14, v8
	v_mov_b32_e32 v12, v10
	v_cmp_eq_u32_e64 s[26:27], 0, v5
	v_mov_b32_e32 v33, v43
	v_mov_b32_e32 v13, v7
	;; [unrolled: 1-line block ×3, first 2 shown]
	s_and_b64 s[46:47], vcc, s[26:27]
	v_add_u32_e32 v6, v26, v3
	ds_write2_b64 v25, v[19:20], v[21:22] offset0:2 offset1:3
	s_waitcnt lgkmcnt(0)
	s_barrier
	; wave barrier
	s_and_saveexec_b64 s[26:27], s[46:47]
; %bb.21:                               ;   in Loop: Header=BB1262_20 Depth=1
	v_bcnt_u32_b32 v1, v1, 0
	v_bcnt_u32_b32 v1, v2, v1
	ds_write_b32 v6, v1 offset:16
; %bb.22:                               ;   in Loop: Header=BB1262_20 Depth=1
	s_or_b64 exec, exec, s[26:27]
	v_lshrrev_b32_e32 v35, 16, v34
	v_lshrrev_b32_e32 v1, s36, v35
	v_and_b32_e32 v1, s45, v1
	v_lshlrev_b32_e32 v2, 4, v1
	v_add_u32_e32 v8, v26, v2
	v_and_b32_e32 v2, 1, v1
	v_add_co_u32_e32 v3, vcc, -1, v2
	v_addc_co_u32_e64 v4, s[26:27], 0, -1, vcc
	v_cmp_ne_u32_e32 vcc, 0, v2
	v_lshlrev_b32_e32 v24, 30, v1
	v_xor_b32_e32 v2, vcc_hi, v4
	v_xor_b32_e32 v3, vcc_lo, v3
	v_cmp_gt_i64_e32 vcc, 0, v[23:24]
	v_not_b32_e32 v4, v24
	v_ashrrev_i32_e32 v4, 31, v4
	v_and_b32_e32 v3, exec_lo, v3
	v_xor_b32_e32 v9, vcc_hi, v4
	v_xor_b32_e32 v4, vcc_lo, v4
	v_lshlrev_b32_e32 v24, 29, v1
	v_and_b32_e32 v3, v3, v4
	v_cmp_gt_i64_e32 vcc, 0, v[23:24]
	v_not_b32_e32 v4, v24
	v_and_b32_e32 v2, exec_hi, v2
	v_ashrrev_i32_e32 v4, 31, v4
	v_and_b32_e32 v2, v2, v9
	v_xor_b32_e32 v9, vcc_hi, v4
	v_xor_b32_e32 v4, vcc_lo, v4
	v_lshlrev_b32_e32 v24, 28, v1
	v_and_b32_e32 v3, v3, v4
	v_cmp_gt_i64_e32 vcc, 0, v[23:24]
	v_not_b32_e32 v4, v24
	v_ashrrev_i32_e32 v4, 31, v4
	v_and_b32_e32 v2, v2, v9
	v_xor_b32_e32 v9, vcc_hi, v4
	v_xor_b32_e32 v4, vcc_lo, v4
	v_lshlrev_b32_e32 v24, 27, v1
	v_and_b32_e32 v3, v3, v4
	v_cmp_gt_i64_e32 vcc, 0, v[23:24]
	v_not_b32_e32 v4, v24
	v_ashrrev_i32_e32 v4, 31, v4
	v_and_b32_e32 v2, v2, v9
	v_xor_b32_e32 v9, vcc_hi, v4
	v_xor_b32_e32 v4, vcc_lo, v4
	v_lshlrev_b32_e32 v24, 26, v1
	v_and_b32_e32 v3, v3, v4
	v_cmp_gt_i64_e32 vcc, 0, v[23:24]
	v_not_b32_e32 v4, v24
	v_ashrrev_i32_e32 v4, 31, v4
	v_and_b32_e32 v2, v2, v9
	v_xor_b32_e32 v9, vcc_hi, v4
	v_xor_b32_e32 v4, vcc_lo, v4
	v_lshlrev_b32_e32 v24, 25, v1
	v_and_b32_e32 v3, v3, v4
	v_cmp_gt_i64_e32 vcc, 0, v[23:24]
	v_not_b32_e32 v4, v24
	v_ashrrev_i32_e32 v4, 31, v4
	v_lshlrev_b32_e32 v24, 24, v1
	v_and_b32_e32 v2, v2, v9
	v_xor_b32_e32 v9, vcc_hi, v4
	v_xor_b32_e32 v4, vcc_lo, v4
	v_cmp_gt_i64_e32 vcc, 0, v[23:24]
	v_not_b32_e32 v1, v24
	v_ashrrev_i32_e32 v1, 31, v1
	v_and_b32_e32 v3, v3, v4
	v_xor_b32_e32 v4, vcc_hi, v1
	v_xor_b32_e32 v1, vcc_lo, v1
	; wave barrier
	ds_read_b32 v7, v8 offset:16
	v_and_b32_e32 v2, v2, v9
	v_and_b32_e32 v1, v3, v1
	;; [unrolled: 1-line block ×3, first 2 shown]
	v_mbcnt_lo_u32_b32 v3, v1, 0
	v_mbcnt_hi_u32_b32 v9, v2, v3
	v_cmp_ne_u64_e32 vcc, 0, v[1:2]
	v_cmp_eq_u32_e64 s[26:27], 0, v9
	s_and_b64 s[46:47], vcc, s[26:27]
	; wave barrier
	s_and_saveexec_b64 s[26:27], s[46:47]
	s_cbranch_execz .LBB1262_24
; %bb.23:                               ;   in Loop: Header=BB1262_20 Depth=1
	v_bcnt_u32_b32 v1, v1, 0
	v_bcnt_u32_b32 v1, v2, v1
	s_waitcnt lgkmcnt(0)
	v_add_u32_e32 v1, v7, v1
	ds_write_b32 v8, v1 offset:16
.LBB1262_24:                            ;   in Loop: Header=BB1262_20 Depth=1
	s_or_b64 exec, exec, s[26:27]
	v_lshrrev_b32_sdwa v1, s36, v33 dst_sel:DWORD dst_unused:UNUSED_PAD src0_sel:DWORD src1_sel:WORD_0
	v_and_b32_e32 v1, s45, v1
	v_lshlrev_b32_e32 v2, 4, v1
	v_add_u32_e32 v37, v26, v2
	v_and_b32_e32 v2, 1, v1
	v_add_co_u32_e32 v3, vcc, -1, v2
	v_addc_co_u32_e64 v4, s[26:27], 0, -1, vcc
	v_cmp_ne_u32_e32 vcc, 0, v2
	v_lshlrev_b32_e32 v24, 30, v1
	v_xor_b32_e32 v2, vcc_hi, v4
	v_xor_b32_e32 v3, vcc_lo, v3
	v_cmp_gt_i64_e32 vcc, 0, v[23:24]
	v_not_b32_e32 v4, v24
	v_ashrrev_i32_e32 v4, 31, v4
	v_and_b32_e32 v2, exec_hi, v2
	v_xor_b32_e32 v24, vcc_hi, v4
	v_and_b32_e32 v3, exec_lo, v3
	v_xor_b32_e32 v4, vcc_lo, v4
	v_and_b32_e32 v2, v2, v24
	v_lshlrev_b32_e32 v24, 29, v1
	v_and_b32_e32 v3, v3, v4
	v_cmp_gt_i64_e32 vcc, 0, v[23:24]
	v_not_b32_e32 v4, v24
	v_ashrrev_i32_e32 v4, 31, v4
	v_xor_b32_e32 v24, vcc_hi, v4
	v_xor_b32_e32 v4, vcc_lo, v4
	v_and_b32_e32 v2, v2, v24
	v_lshlrev_b32_e32 v24, 28, v1
	v_and_b32_e32 v3, v3, v4
	v_cmp_gt_i64_e32 vcc, 0, v[23:24]
	v_not_b32_e32 v4, v24
	v_ashrrev_i32_e32 v4, 31, v4
	v_xor_b32_e32 v24, vcc_hi, v4
	;; [unrolled: 8-line block ×5, first 2 shown]
	v_and_b32_e32 v2, v2, v24
	v_lshlrev_b32_e32 v24, 24, v1
	v_xor_b32_e32 v4, vcc_lo, v4
	v_cmp_gt_i64_e32 vcc, 0, v[23:24]
	v_not_b32_e32 v1, v24
	v_ashrrev_i32_e32 v1, 31, v1
	v_and_b32_e32 v3, v3, v4
	v_xor_b32_e32 v4, vcc_hi, v1
	v_xor_b32_e32 v1, vcc_lo, v1
	; wave barrier
	ds_read_b32 v10, v37 offset:16
	v_and_b32_e32 v1, v3, v1
	v_and_b32_e32 v2, v2, v4
	v_mbcnt_lo_u32_b32 v3, v1, 0
	v_mbcnt_hi_u32_b32 v38, v2, v3
	v_cmp_ne_u64_e32 vcc, 0, v[1:2]
	v_cmp_eq_u32_e64 s[26:27], 0, v38
	s_and_b64 s[46:47], vcc, s[26:27]
	; wave barrier
	s_and_saveexec_b64 s[26:27], s[46:47]
	s_cbranch_execz .LBB1262_26
; %bb.25:                               ;   in Loop: Header=BB1262_20 Depth=1
	v_bcnt_u32_b32 v1, v1, 0
	v_bcnt_u32_b32 v1, v2, v1
	s_waitcnt lgkmcnt(0)
	v_add_u32_e32 v1, v10, v1
	ds_write_b32 v37, v1 offset:16
.LBB1262_26:                            ;   in Loop: Header=BB1262_20 Depth=1
	s_or_b64 exec, exec, s[26:27]
	v_lshrrev_b32_e32 v36, 16, v33
	v_lshrrev_b32_e32 v1, s36, v36
	v_and_b32_e32 v1, s45, v1
	v_lshlrev_b32_e32 v2, 4, v1
	v_add_u32_e32 v40, v26, v2
	v_and_b32_e32 v2, 1, v1
	v_add_co_u32_e32 v3, vcc, -1, v2
	v_addc_co_u32_e64 v4, s[26:27], 0, -1, vcc
	v_cmp_ne_u32_e32 vcc, 0, v2
	v_lshlrev_b32_e32 v24, 30, v1
	v_xor_b32_e32 v2, vcc_hi, v4
	v_xor_b32_e32 v3, vcc_lo, v3
	v_cmp_gt_i64_e32 vcc, 0, v[23:24]
	v_not_b32_e32 v4, v24
	v_ashrrev_i32_e32 v4, 31, v4
	v_and_b32_e32 v2, exec_hi, v2
	v_xor_b32_e32 v24, vcc_hi, v4
	v_and_b32_e32 v3, exec_lo, v3
	v_xor_b32_e32 v4, vcc_lo, v4
	v_and_b32_e32 v2, v2, v24
	v_lshlrev_b32_e32 v24, 29, v1
	v_and_b32_e32 v3, v3, v4
	v_cmp_gt_i64_e32 vcc, 0, v[23:24]
	v_not_b32_e32 v4, v24
	v_ashrrev_i32_e32 v4, 31, v4
	v_xor_b32_e32 v24, vcc_hi, v4
	v_xor_b32_e32 v4, vcc_lo, v4
	v_and_b32_e32 v2, v2, v24
	v_lshlrev_b32_e32 v24, 28, v1
	v_and_b32_e32 v3, v3, v4
	v_cmp_gt_i64_e32 vcc, 0, v[23:24]
	v_not_b32_e32 v4, v24
	v_ashrrev_i32_e32 v4, 31, v4
	v_xor_b32_e32 v24, vcc_hi, v4
	;; [unrolled: 8-line block ×5, first 2 shown]
	v_and_b32_e32 v2, v2, v24
	v_lshlrev_b32_e32 v24, 24, v1
	v_xor_b32_e32 v4, vcc_lo, v4
	v_cmp_gt_i64_e32 vcc, 0, v[23:24]
	v_not_b32_e32 v1, v24
	v_ashrrev_i32_e32 v1, 31, v1
	v_and_b32_e32 v3, v3, v4
	v_xor_b32_e32 v4, vcc_hi, v1
	v_xor_b32_e32 v1, vcc_lo, v1
	; wave barrier
	ds_read_b32 v39, v40 offset:16
	v_and_b32_e32 v1, v3, v1
	v_and_b32_e32 v2, v2, v4
	v_mbcnt_lo_u32_b32 v3, v1, 0
	v_mbcnt_hi_u32_b32 v24, v2, v3
	v_cmp_ne_u64_e32 vcc, 0, v[1:2]
	v_cmp_eq_u32_e64 s[26:27], 0, v24
	s_and_b64 s[46:47], vcc, s[26:27]
	; wave barrier
	s_and_saveexec_b64 s[26:27], s[46:47]
	s_cbranch_execz .LBB1262_28
; %bb.27:                               ;   in Loop: Header=BB1262_20 Depth=1
	v_bcnt_u32_b32 v1, v1, 0
	v_bcnt_u32_b32 v1, v2, v1
	s_waitcnt lgkmcnt(0)
	v_add_u32_e32 v1, v39, v1
	ds_write_b32 v40, v1 offset:16
.LBB1262_28:                            ;   in Loop: Header=BB1262_20 Depth=1
	s_or_b64 exec, exec, s[26:27]
	; wave barrier
	s_waitcnt lgkmcnt(0)
	s_barrier
	ds_read2_b64 v[1:4], v25 offset0:2 offset1:3
	s_waitcnt lgkmcnt(0)
	v_add_u32_e32 v41, v2, v1
	v_add3_u32 v4, v41, v3, v4
	s_nop 1
	v_mov_b32_dpp v41, v4 row_shr:1 row_mask:0xf bank_mask:0xf
	v_cndmask_b32_e64 v41, v41, 0, s[0:1]
	v_add_u32_e32 v4, v41, v4
	s_nop 1
	v_mov_b32_dpp v41, v4 row_shr:2 row_mask:0xf bank_mask:0xf
	v_cndmask_b32_e64 v41, 0, v41, s[2:3]
	v_add_u32_e32 v4, v4, v41
	;; [unrolled: 4-line block ×4, first 2 shown]
	s_nop 1
	v_mov_b32_dpp v41, v4 row_bcast:15 row_mask:0xf bank_mask:0xf
	v_cndmask_b32_e64 v41, v41, 0, s[8:9]
	v_add_u32_e32 v4, v4, v41
	s_nop 1
	v_mov_b32_dpp v41, v4 row_bcast:31 row_mask:0xf bank_mask:0xf
	v_cndmask_b32_e64 v41, 0, v41, s[10:11]
	v_add_u32_e32 v4, v4, v41
	s_and_saveexec_b64 s[26:27], s[12:13]
; %bb.29:                               ;   in Loop: Header=BB1262_20 Depth=1
	ds_write_b32 v28, v4
; %bb.30:                               ;   in Loop: Header=BB1262_20 Depth=1
	s_or_b64 exec, exec, s[26:27]
	s_waitcnt lgkmcnt(0)
	s_barrier
	s_and_saveexec_b64 s[26:27], s[14:15]
	s_cbranch_execz .LBB1262_32
; %bb.31:                               ;   in Loop: Header=BB1262_20 Depth=1
	ds_read_b32 v41, v32
	s_waitcnt lgkmcnt(0)
	s_nop 0
	v_mov_b32_dpp v42, v41 row_shr:1 row_mask:0xf bank_mask:0xf
	v_cndmask_b32_e64 v42, v42, 0, s[22:23]
	v_add_u32_e32 v41, v42, v41
	s_nop 1
	v_mov_b32_dpp v42, v41 row_shr:2 row_mask:0xf bank_mask:0xf
	v_cndmask_b32_e64 v42, 0, v42, s[24:25]
	v_add_u32_e32 v41, v41, v42
	ds_write_b32 v32, v41
.LBB1262_32:                            ;   in Loop: Header=BB1262_20 Depth=1
	s_or_b64 exec, exec, s[26:27]
	v_mov_b32_e32 v41, 0
	s_waitcnt lgkmcnt(0)
	s_barrier
	s_and_saveexec_b64 s[26:27], s[16:17]
; %bb.33:                               ;   in Loop: Header=BB1262_20 Depth=1
	ds_read_b32 v41, v29
; %bb.34:                               ;   in Loop: Header=BB1262_20 Depth=1
	s_or_b64 exec, exec, s[26:27]
	s_waitcnt lgkmcnt(0)
	v_add_u32_e32 v4, v41, v4
	ds_bpermute_b32 v4, v27, v4
	s_add_i32 s36, s36, 8
	s_cmp_ge_u32 s36, s40
	s_mov_b64 s[26:27], -1
                                        ; implicit-def: $vgpr43
	s_waitcnt lgkmcnt(0)
	v_cndmask_b32_e64 v4, v4, v41, s[18:19]
	v_cndmask_b32_e64 v41, v4, 0, s[20:21]
	v_add_u32_e32 v42, v41, v1
	v_add_u32_e32 v1, v42, v2
	;; [unrolled: 1-line block ×3, first 2 shown]
	ds_write2_b64 v25, v[41:42], v[1:2] offset0:2 offset1:3
	s_waitcnt lgkmcnt(0)
	s_barrier
	ds_read_b32 v1, v6 offset:16
	ds_read_b32 v2, v8 offset:16
	;; [unrolled: 1-line block ×4, first 2 shown]
	v_mov_b32_e32 v42, v34
	s_waitcnt lgkmcnt(3)
	v_add_u32_e32 v1, v1, v5
	v_mul_lo_u32 v41, v1, 6
	s_waitcnt lgkmcnt(2)
	v_add3_u32 v40, v9, v7, v2
	s_waitcnt lgkmcnt(1)
	v_add3_u32 v38, v38, v10, v3
	;; [unrolled: 2-line block ×3, first 2 shown]
	v_lshlrev_b32_e32 v39, 1, v1
	v_lshlrev_b32_e32 v2, 1, v40
	;; [unrolled: 1-line block ×4, first 2 shown]
                                        ; implicit-def: $vgpr3_vgpr4
                                        ; implicit-def: $vgpr7_vgpr8
	s_cbranch_scc1 .LBB1262_19
; %bb.35:                               ;   in Loop: Header=BB1262_20 Depth=1
	v_mad_u64_u32 v[3:4], s[26:27], v40, 6, v[2:3]
	v_mad_u64_u32 v[4:5], s[26:27], v38, 6, v[24:25]
	s_barrier
	ds_write_b16 v39, v34
	ds_write_b16 v2, v35
	;; [unrolled: 1-line block ×4, first 2 shown]
	s_waitcnt lgkmcnt(0)
	s_barrier
	ds_read_u16 v34, v30
	ds_read_u16 v43, v30 offset:128
	ds_read_u16 v44, v30 offset:256
	;; [unrolled: 1-line block ×3, first 2 shown]
	v_add_u32_e32 v7, v39, v41
	v_mad_u64_u32 v[5:6], s[26:27], v37, 6, v[1:2]
	s_waitcnt lgkmcnt(0)
	s_barrier
	ds_write_b64 v7, v[17:18]
	ds_write_b64 v3, v[15:16]
	;; [unrolled: 1-line block ×4, first 2 shown]
	s_waitcnt lgkmcnt(0)
	s_barrier
	ds_read2st64_b64 v[3:6], v31 offset1:1
	ds_read2st64_b64 v[7:10], v31 offset0:2 offset1:3
	v_perm_b32 v34, v43, v34, s44
	v_perm_b32 v43, v45, v44, s44
	s_add_i32 s37, s37, -8
	s_mov_b64 s[26:27], 0
	s_waitcnt lgkmcnt(0)
	s_barrier
	s_branch .LBB1262_19
.LBB1262_36:
	s_barrier
	ds_write_b16 v39, v42
	ds_write_b16 v2, v35
	;; [unrolled: 1-line block ×4, first 2 shown]
	v_mad_u64_u32 v[2:3], s[0:1], v40, 6, v[2:3]
	v_lshlrev_b32_e32 v9, 1, v0
	v_mad_u64_u32 v[3:4], s[0:1], v38, 6, v[24:25]
	s_waitcnt lgkmcnt(0)
	s_barrier
	ds_read_u16 v10, v9
	ds_read_u16 v19, v9 offset:512
	ds_read_u16 v20, v9 offset:1024
	;; [unrolled: 1-line block ×3, first 2 shown]
	v_add_u32_e32 v6, v39, v41
	v_mad_u64_u32 v[4:5], s[0:1], v37, 6, v[1:2]
	v_mad_u32_u24 v1, v0, 6, v9
	s_waitcnt lgkmcnt(0)
	s_barrier
	ds_write_b64 v6, v[17:18]
	ds_write_b64 v2, v[15:16]
	;; [unrolled: 1-line block ×4, first 2 shown]
	s_waitcnt lgkmcnt(0)
	s_barrier
	ds_read2st64_b64 v[5:8], v1 offset1:4
	ds_read2st64_b64 v[1:4], v1 offset0:8 offset1:12
	s_add_u32 s0, s38, s34
	s_addc_u32 s1, s39, s35
	v_xor_b32_e32 v15, 0xffff8000, v10
	v_mov_b32_e32 v10, s1
	v_add_co_u32_e32 v9, vcc, s0, v9
	v_addc_co_u32_e32 v10, vcc, 0, v10, vcc
	v_xor_b32_e32 v14, 0xffff8000, v19
	v_xor_b32_e32 v13, 0xffff8000, v20
	;; [unrolled: 1-line block ×3, first 2 shown]
	s_andn2_b64 vcc, exec, s[30:31]
	v_lshlrev_b32_e32 v11, 3, v0
	s_cbranch_vccnz .LBB1262_38
; %bb.37:
	s_lshl_b64 s[0:1], s[28:29], 3
	s_add_u32 s0, s42, s0
	s_addc_u32 s1, s43, s1
	v_mov_b32_e32 v16, s1
	v_add_co_u32_e32 v17, vcc, s0, v11
	v_addc_co_u32_e32 v18, vcc, 0, v16, vcc
	v_add_co_u32_e32 v16, vcc, 0x1000, v17
	global_store_short v[9:10], v15, off
	global_store_short v[9:10], v14, off offset:512
	global_store_short v[9:10], v13, off offset:1024
	;; [unrolled: 1-line block ×3, first 2 shown]
	s_waitcnt lgkmcnt(1)
	global_store_dwordx2 v11, v[5:6], s[0:1]
	global_store_dwordx2 v11, v[7:8], s[0:1] offset:2048
	v_addc_co_u32_e32 v17, vcc, 0, v18, vcc
	s_mov_b64 s[6:7], -1
	s_waitcnt lgkmcnt(0)
	global_store_dwordx2 v[16:17], v[1:2], off
	s_cbranch_execz .LBB1262_39
	s_branch .LBB1262_52
.LBB1262_38:
	s_mov_b64 s[6:7], 0
.LBB1262_39:
	v_cmp_gt_u32_e32 vcc, s33, v0
	s_and_saveexec_b64 s[0:1], vcc
	s_cbranch_execz .LBB1262_41
; %bb.40:
	global_store_short v[9:10], v15, off
.LBB1262_41:
	s_or_b64 exec, exec, s[0:1]
	v_or_b32_e32 v15, 0x100, v0
	v_cmp_gt_u32_e64 s[0:1], s33, v15
	s_and_saveexec_b64 s[2:3], s[0:1]
	s_cbranch_execz .LBB1262_43
; %bb.42:
	global_store_short v[9:10], v14, off offset:512
.LBB1262_43:
	s_or_b64 exec, exec, s[2:3]
	v_or_b32_e32 v14, 0x200, v0
	v_cmp_gt_u32_e64 s[2:3], s33, v14
	s_and_saveexec_b64 s[4:5], s[2:3]
	s_cbranch_execz .LBB1262_45
; %bb.44:
	global_store_short v[9:10], v13, off offset:1024
.LBB1262_45:
	;; [unrolled: 8-line block ×3, first 2 shown]
	s_or_b64 exec, exec, s[4:5]
	s_lshl_b64 s[4:5], s[28:29], 3
	s_add_u32 s4, s42, s4
	s_addc_u32 s5, s43, s5
	v_mov_b32_e32 v0, s5
	v_add_co_u32_e64 v9, s[4:5], s4, v11
	v_addc_co_u32_e64 v10, s[4:5], 0, v0, s[4:5]
	s_and_saveexec_b64 s[4:5], vcc
	s_cbranch_execnz .LBB1262_57
; %bb.48:
	s_or_b64 exec, exec, s[4:5]
	s_and_saveexec_b64 s[4:5], s[0:1]
	s_cbranch_execnz .LBB1262_58
.LBB1262_49:
	s_or_b64 exec, exec, s[4:5]
	s_and_saveexec_b64 s[0:1], s[2:3]
	s_cbranch_execz .LBB1262_51
.LBB1262_50:
	s_waitcnt lgkmcnt(1)
	v_add_co_u32_e32 v5, vcc, 0x1000, v9
	v_addc_co_u32_e32 v6, vcc, 0, v10, vcc
	s_waitcnt lgkmcnt(0)
	global_store_dwordx2 v[5:6], v[1:2], off
.LBB1262_51:
	s_or_b64 exec, exec, s[0:1]
.LBB1262_52:
	s_and_saveexec_b64 s[0:1], s[6:7]
	s_cbranch_execnz .LBB1262_54
; %bb.53:
	s_endpgm
.LBB1262_54:
	s_lshl_b64 s[0:1], s[28:29], 3
	s_add_u32 s0, s42, s0
	s_addc_u32 s1, s43, s1
	v_mov_b32_e32 v0, s1
	s_waitcnt lgkmcnt(0)
	v_add_co_u32_e32 v1, vcc, s0, v11
	v_addc_co_u32_e32 v2, vcc, 0, v0, vcc
	v_add_co_u32_e32 v0, vcc, 0x1000, v1
	v_addc_co_u32_e32 v1, vcc, 0, v2, vcc
	global_store_dwordx2 v[0:1], v[3:4], off offset:2048
	s_endpgm
.LBB1262_55:
	global_load_dwordx2 v[3:4], v[9:10], off
	s_or_b64 exec, exec, s[6:7]
	s_and_saveexec_b64 s[6:7], s[0:1]
	s_cbranch_execz .LBB1262_13
.LBB1262_56:
	global_load_dwordx2 v[5:6], v[9:10], off offset:512
	s_or_b64 exec, exec, s[6:7]
                                        ; implicit-def: $vgpr7_vgpr8
	s_and_saveexec_b64 s[0:1], s[2:3]
	s_cbranch_execnz .LBB1262_14
	s_branch .LBB1262_15
.LBB1262_57:
	s_waitcnt lgkmcnt(1)
	global_store_dwordx2 v[9:10], v[5:6], off
	s_or_b64 exec, exec, s[4:5]
	s_and_saveexec_b64 s[4:5], s[0:1]
	s_cbranch_execz .LBB1262_49
.LBB1262_58:
	s_waitcnt lgkmcnt(1)
	global_store_dwordx2 v[9:10], v[7:8], off offset:2048
	s_or_b64 exec, exec, s[4:5]
	s_and_saveexec_b64 s[0:1], s[2:3]
	s_cbranch_execnz .LBB1262_50
	s_branch .LBB1262_51
	.section	.rodata,"a",@progbits
	.p2align	6, 0x0
	.amdhsa_kernel _ZN7rocprim17ROCPRIM_400000_NS6detail17trampoline_kernelINS0_13kernel_configILj256ELj4ELj4294967295EEENS1_37radix_sort_block_sort_config_selectorIslEEZNS1_21radix_sort_block_sortIS4_Lb0EPsS8_N6thrust23THRUST_200600_302600_NS10device_ptrIlEESC_NS0_19identity_decomposerEEE10hipError_tT1_T2_T3_T4_jRjT5_jjP12ihipStream_tbEUlT_E_NS1_11comp_targetILNS1_3genE2ELNS1_11target_archE906ELNS1_3gpuE6ELNS1_3repE0EEENS1_44radix_sort_block_sort_config_static_selectorELNS0_4arch9wavefront6targetE1EEEvSF_
		.amdhsa_group_segment_fixed_size 8192
		.amdhsa_private_segment_fixed_size 0
		.amdhsa_kernarg_size 304
		.amdhsa_user_sgpr_count 6
		.amdhsa_user_sgpr_private_segment_buffer 1
		.amdhsa_user_sgpr_dispatch_ptr 0
		.amdhsa_user_sgpr_queue_ptr 0
		.amdhsa_user_sgpr_kernarg_segment_ptr 1
		.amdhsa_user_sgpr_dispatch_id 0
		.amdhsa_user_sgpr_flat_scratch_init 0
		.amdhsa_user_sgpr_private_segment_size 0
		.amdhsa_uses_dynamic_stack 0
		.amdhsa_system_sgpr_private_segment_wavefront_offset 0
		.amdhsa_system_sgpr_workgroup_id_x 1
		.amdhsa_system_sgpr_workgroup_id_y 0
		.amdhsa_system_sgpr_workgroup_id_z 0
		.amdhsa_system_sgpr_workgroup_info 0
		.amdhsa_system_vgpr_workitem_id 2
		.amdhsa_next_free_vgpr 46
		.amdhsa_next_free_sgpr 61
		.amdhsa_reserve_vcc 1
		.amdhsa_reserve_flat_scratch 0
		.amdhsa_float_round_mode_32 0
		.amdhsa_float_round_mode_16_64 0
		.amdhsa_float_denorm_mode_32 3
		.amdhsa_float_denorm_mode_16_64 3
		.amdhsa_dx10_clamp 1
		.amdhsa_ieee_mode 1
		.amdhsa_fp16_overflow 0
		.amdhsa_exception_fp_ieee_invalid_op 0
		.amdhsa_exception_fp_denorm_src 0
		.amdhsa_exception_fp_ieee_div_zero 0
		.amdhsa_exception_fp_ieee_overflow 0
		.amdhsa_exception_fp_ieee_underflow 0
		.amdhsa_exception_fp_ieee_inexact 0
		.amdhsa_exception_int_div_zero 0
	.end_amdhsa_kernel
	.section	.text._ZN7rocprim17ROCPRIM_400000_NS6detail17trampoline_kernelINS0_13kernel_configILj256ELj4ELj4294967295EEENS1_37radix_sort_block_sort_config_selectorIslEEZNS1_21radix_sort_block_sortIS4_Lb0EPsS8_N6thrust23THRUST_200600_302600_NS10device_ptrIlEESC_NS0_19identity_decomposerEEE10hipError_tT1_T2_T3_T4_jRjT5_jjP12ihipStream_tbEUlT_E_NS1_11comp_targetILNS1_3genE2ELNS1_11target_archE906ELNS1_3gpuE6ELNS1_3repE0EEENS1_44radix_sort_block_sort_config_static_selectorELNS0_4arch9wavefront6targetE1EEEvSF_,"axG",@progbits,_ZN7rocprim17ROCPRIM_400000_NS6detail17trampoline_kernelINS0_13kernel_configILj256ELj4ELj4294967295EEENS1_37radix_sort_block_sort_config_selectorIslEEZNS1_21radix_sort_block_sortIS4_Lb0EPsS8_N6thrust23THRUST_200600_302600_NS10device_ptrIlEESC_NS0_19identity_decomposerEEE10hipError_tT1_T2_T3_T4_jRjT5_jjP12ihipStream_tbEUlT_E_NS1_11comp_targetILNS1_3genE2ELNS1_11target_archE906ELNS1_3gpuE6ELNS1_3repE0EEENS1_44radix_sort_block_sort_config_static_selectorELNS0_4arch9wavefront6targetE1EEEvSF_,comdat
.Lfunc_end1262:
	.size	_ZN7rocprim17ROCPRIM_400000_NS6detail17trampoline_kernelINS0_13kernel_configILj256ELj4ELj4294967295EEENS1_37radix_sort_block_sort_config_selectorIslEEZNS1_21radix_sort_block_sortIS4_Lb0EPsS8_N6thrust23THRUST_200600_302600_NS10device_ptrIlEESC_NS0_19identity_decomposerEEE10hipError_tT1_T2_T3_T4_jRjT5_jjP12ihipStream_tbEUlT_E_NS1_11comp_targetILNS1_3genE2ELNS1_11target_archE906ELNS1_3gpuE6ELNS1_3repE0EEENS1_44radix_sort_block_sort_config_static_selectorELNS0_4arch9wavefront6targetE1EEEvSF_, .Lfunc_end1262-_ZN7rocprim17ROCPRIM_400000_NS6detail17trampoline_kernelINS0_13kernel_configILj256ELj4ELj4294967295EEENS1_37radix_sort_block_sort_config_selectorIslEEZNS1_21radix_sort_block_sortIS4_Lb0EPsS8_N6thrust23THRUST_200600_302600_NS10device_ptrIlEESC_NS0_19identity_decomposerEEE10hipError_tT1_T2_T3_T4_jRjT5_jjP12ihipStream_tbEUlT_E_NS1_11comp_targetILNS1_3genE2ELNS1_11target_archE906ELNS1_3gpuE6ELNS1_3repE0EEENS1_44radix_sort_block_sort_config_static_selectorELNS0_4arch9wavefront6targetE1EEEvSF_
                                        ; -- End function
	.set _ZN7rocprim17ROCPRIM_400000_NS6detail17trampoline_kernelINS0_13kernel_configILj256ELj4ELj4294967295EEENS1_37radix_sort_block_sort_config_selectorIslEEZNS1_21radix_sort_block_sortIS4_Lb0EPsS8_N6thrust23THRUST_200600_302600_NS10device_ptrIlEESC_NS0_19identity_decomposerEEE10hipError_tT1_T2_T3_T4_jRjT5_jjP12ihipStream_tbEUlT_E_NS1_11comp_targetILNS1_3genE2ELNS1_11target_archE906ELNS1_3gpuE6ELNS1_3repE0EEENS1_44radix_sort_block_sort_config_static_selectorELNS0_4arch9wavefront6targetE1EEEvSF_.num_vgpr, 46
	.set _ZN7rocprim17ROCPRIM_400000_NS6detail17trampoline_kernelINS0_13kernel_configILj256ELj4ELj4294967295EEENS1_37radix_sort_block_sort_config_selectorIslEEZNS1_21radix_sort_block_sortIS4_Lb0EPsS8_N6thrust23THRUST_200600_302600_NS10device_ptrIlEESC_NS0_19identity_decomposerEEE10hipError_tT1_T2_T3_T4_jRjT5_jjP12ihipStream_tbEUlT_E_NS1_11comp_targetILNS1_3genE2ELNS1_11target_archE906ELNS1_3gpuE6ELNS1_3repE0EEENS1_44radix_sort_block_sort_config_static_selectorELNS0_4arch9wavefront6targetE1EEEvSF_.num_agpr, 0
	.set _ZN7rocprim17ROCPRIM_400000_NS6detail17trampoline_kernelINS0_13kernel_configILj256ELj4ELj4294967295EEENS1_37radix_sort_block_sort_config_selectorIslEEZNS1_21radix_sort_block_sortIS4_Lb0EPsS8_N6thrust23THRUST_200600_302600_NS10device_ptrIlEESC_NS0_19identity_decomposerEEE10hipError_tT1_T2_T3_T4_jRjT5_jjP12ihipStream_tbEUlT_E_NS1_11comp_targetILNS1_3genE2ELNS1_11target_archE906ELNS1_3gpuE6ELNS1_3repE0EEENS1_44radix_sort_block_sort_config_static_selectorELNS0_4arch9wavefront6targetE1EEEvSF_.numbered_sgpr, 48
	.set _ZN7rocprim17ROCPRIM_400000_NS6detail17trampoline_kernelINS0_13kernel_configILj256ELj4ELj4294967295EEENS1_37radix_sort_block_sort_config_selectorIslEEZNS1_21radix_sort_block_sortIS4_Lb0EPsS8_N6thrust23THRUST_200600_302600_NS10device_ptrIlEESC_NS0_19identity_decomposerEEE10hipError_tT1_T2_T3_T4_jRjT5_jjP12ihipStream_tbEUlT_E_NS1_11comp_targetILNS1_3genE2ELNS1_11target_archE906ELNS1_3gpuE6ELNS1_3repE0EEENS1_44radix_sort_block_sort_config_static_selectorELNS0_4arch9wavefront6targetE1EEEvSF_.num_named_barrier, 0
	.set _ZN7rocprim17ROCPRIM_400000_NS6detail17trampoline_kernelINS0_13kernel_configILj256ELj4ELj4294967295EEENS1_37radix_sort_block_sort_config_selectorIslEEZNS1_21radix_sort_block_sortIS4_Lb0EPsS8_N6thrust23THRUST_200600_302600_NS10device_ptrIlEESC_NS0_19identity_decomposerEEE10hipError_tT1_T2_T3_T4_jRjT5_jjP12ihipStream_tbEUlT_E_NS1_11comp_targetILNS1_3genE2ELNS1_11target_archE906ELNS1_3gpuE6ELNS1_3repE0EEENS1_44radix_sort_block_sort_config_static_selectorELNS0_4arch9wavefront6targetE1EEEvSF_.private_seg_size, 0
	.set _ZN7rocprim17ROCPRIM_400000_NS6detail17trampoline_kernelINS0_13kernel_configILj256ELj4ELj4294967295EEENS1_37radix_sort_block_sort_config_selectorIslEEZNS1_21radix_sort_block_sortIS4_Lb0EPsS8_N6thrust23THRUST_200600_302600_NS10device_ptrIlEESC_NS0_19identity_decomposerEEE10hipError_tT1_T2_T3_T4_jRjT5_jjP12ihipStream_tbEUlT_E_NS1_11comp_targetILNS1_3genE2ELNS1_11target_archE906ELNS1_3gpuE6ELNS1_3repE0EEENS1_44radix_sort_block_sort_config_static_selectorELNS0_4arch9wavefront6targetE1EEEvSF_.uses_vcc, 1
	.set _ZN7rocprim17ROCPRIM_400000_NS6detail17trampoline_kernelINS0_13kernel_configILj256ELj4ELj4294967295EEENS1_37radix_sort_block_sort_config_selectorIslEEZNS1_21radix_sort_block_sortIS4_Lb0EPsS8_N6thrust23THRUST_200600_302600_NS10device_ptrIlEESC_NS0_19identity_decomposerEEE10hipError_tT1_T2_T3_T4_jRjT5_jjP12ihipStream_tbEUlT_E_NS1_11comp_targetILNS1_3genE2ELNS1_11target_archE906ELNS1_3gpuE6ELNS1_3repE0EEENS1_44radix_sort_block_sort_config_static_selectorELNS0_4arch9wavefront6targetE1EEEvSF_.uses_flat_scratch, 0
	.set _ZN7rocprim17ROCPRIM_400000_NS6detail17trampoline_kernelINS0_13kernel_configILj256ELj4ELj4294967295EEENS1_37radix_sort_block_sort_config_selectorIslEEZNS1_21radix_sort_block_sortIS4_Lb0EPsS8_N6thrust23THRUST_200600_302600_NS10device_ptrIlEESC_NS0_19identity_decomposerEEE10hipError_tT1_T2_T3_T4_jRjT5_jjP12ihipStream_tbEUlT_E_NS1_11comp_targetILNS1_3genE2ELNS1_11target_archE906ELNS1_3gpuE6ELNS1_3repE0EEENS1_44radix_sort_block_sort_config_static_selectorELNS0_4arch9wavefront6targetE1EEEvSF_.has_dyn_sized_stack, 0
	.set _ZN7rocprim17ROCPRIM_400000_NS6detail17trampoline_kernelINS0_13kernel_configILj256ELj4ELj4294967295EEENS1_37radix_sort_block_sort_config_selectorIslEEZNS1_21radix_sort_block_sortIS4_Lb0EPsS8_N6thrust23THRUST_200600_302600_NS10device_ptrIlEESC_NS0_19identity_decomposerEEE10hipError_tT1_T2_T3_T4_jRjT5_jjP12ihipStream_tbEUlT_E_NS1_11comp_targetILNS1_3genE2ELNS1_11target_archE906ELNS1_3gpuE6ELNS1_3repE0EEENS1_44radix_sort_block_sort_config_static_selectorELNS0_4arch9wavefront6targetE1EEEvSF_.has_recursion, 0
	.set _ZN7rocprim17ROCPRIM_400000_NS6detail17trampoline_kernelINS0_13kernel_configILj256ELj4ELj4294967295EEENS1_37radix_sort_block_sort_config_selectorIslEEZNS1_21radix_sort_block_sortIS4_Lb0EPsS8_N6thrust23THRUST_200600_302600_NS10device_ptrIlEESC_NS0_19identity_decomposerEEE10hipError_tT1_T2_T3_T4_jRjT5_jjP12ihipStream_tbEUlT_E_NS1_11comp_targetILNS1_3genE2ELNS1_11target_archE906ELNS1_3gpuE6ELNS1_3repE0EEENS1_44radix_sort_block_sort_config_static_selectorELNS0_4arch9wavefront6targetE1EEEvSF_.has_indirect_call, 0
	.section	.AMDGPU.csdata,"",@progbits
; Kernel info:
; codeLenInByte = 4000
; TotalNumSgprs: 52
; NumVgprs: 46
; ScratchSize: 0
; MemoryBound: 0
; FloatMode: 240
; IeeeMode: 1
; LDSByteSize: 8192 bytes/workgroup (compile time only)
; SGPRBlocks: 8
; VGPRBlocks: 11
; NumSGPRsForWavesPerEU: 65
; NumVGPRsForWavesPerEU: 46
; Occupancy: 5
; WaveLimiterHint : 1
; COMPUTE_PGM_RSRC2:SCRATCH_EN: 0
; COMPUTE_PGM_RSRC2:USER_SGPR: 6
; COMPUTE_PGM_RSRC2:TRAP_HANDLER: 0
; COMPUTE_PGM_RSRC2:TGID_X_EN: 1
; COMPUTE_PGM_RSRC2:TGID_Y_EN: 0
; COMPUTE_PGM_RSRC2:TGID_Z_EN: 0
; COMPUTE_PGM_RSRC2:TIDIG_COMP_CNT: 2
	.section	.text._ZN7rocprim17ROCPRIM_400000_NS6detail17trampoline_kernelINS0_13kernel_configILj256ELj4ELj4294967295EEENS1_37radix_sort_block_sort_config_selectorIslEEZNS1_21radix_sort_block_sortIS4_Lb0EPsS8_N6thrust23THRUST_200600_302600_NS10device_ptrIlEESC_NS0_19identity_decomposerEEE10hipError_tT1_T2_T3_T4_jRjT5_jjP12ihipStream_tbEUlT_E_NS1_11comp_targetILNS1_3genE10ELNS1_11target_archE1201ELNS1_3gpuE5ELNS1_3repE0EEENS1_44radix_sort_block_sort_config_static_selectorELNS0_4arch9wavefront6targetE1EEEvSF_,"axG",@progbits,_ZN7rocprim17ROCPRIM_400000_NS6detail17trampoline_kernelINS0_13kernel_configILj256ELj4ELj4294967295EEENS1_37radix_sort_block_sort_config_selectorIslEEZNS1_21radix_sort_block_sortIS4_Lb0EPsS8_N6thrust23THRUST_200600_302600_NS10device_ptrIlEESC_NS0_19identity_decomposerEEE10hipError_tT1_T2_T3_T4_jRjT5_jjP12ihipStream_tbEUlT_E_NS1_11comp_targetILNS1_3genE10ELNS1_11target_archE1201ELNS1_3gpuE5ELNS1_3repE0EEENS1_44radix_sort_block_sort_config_static_selectorELNS0_4arch9wavefront6targetE1EEEvSF_,comdat
	.protected	_ZN7rocprim17ROCPRIM_400000_NS6detail17trampoline_kernelINS0_13kernel_configILj256ELj4ELj4294967295EEENS1_37radix_sort_block_sort_config_selectorIslEEZNS1_21radix_sort_block_sortIS4_Lb0EPsS8_N6thrust23THRUST_200600_302600_NS10device_ptrIlEESC_NS0_19identity_decomposerEEE10hipError_tT1_T2_T3_T4_jRjT5_jjP12ihipStream_tbEUlT_E_NS1_11comp_targetILNS1_3genE10ELNS1_11target_archE1201ELNS1_3gpuE5ELNS1_3repE0EEENS1_44radix_sort_block_sort_config_static_selectorELNS0_4arch9wavefront6targetE1EEEvSF_ ; -- Begin function _ZN7rocprim17ROCPRIM_400000_NS6detail17trampoline_kernelINS0_13kernel_configILj256ELj4ELj4294967295EEENS1_37radix_sort_block_sort_config_selectorIslEEZNS1_21radix_sort_block_sortIS4_Lb0EPsS8_N6thrust23THRUST_200600_302600_NS10device_ptrIlEESC_NS0_19identity_decomposerEEE10hipError_tT1_T2_T3_T4_jRjT5_jjP12ihipStream_tbEUlT_E_NS1_11comp_targetILNS1_3genE10ELNS1_11target_archE1201ELNS1_3gpuE5ELNS1_3repE0EEENS1_44radix_sort_block_sort_config_static_selectorELNS0_4arch9wavefront6targetE1EEEvSF_
	.globl	_ZN7rocprim17ROCPRIM_400000_NS6detail17trampoline_kernelINS0_13kernel_configILj256ELj4ELj4294967295EEENS1_37radix_sort_block_sort_config_selectorIslEEZNS1_21radix_sort_block_sortIS4_Lb0EPsS8_N6thrust23THRUST_200600_302600_NS10device_ptrIlEESC_NS0_19identity_decomposerEEE10hipError_tT1_T2_T3_T4_jRjT5_jjP12ihipStream_tbEUlT_E_NS1_11comp_targetILNS1_3genE10ELNS1_11target_archE1201ELNS1_3gpuE5ELNS1_3repE0EEENS1_44radix_sort_block_sort_config_static_selectorELNS0_4arch9wavefront6targetE1EEEvSF_
	.p2align	8
	.type	_ZN7rocprim17ROCPRIM_400000_NS6detail17trampoline_kernelINS0_13kernel_configILj256ELj4ELj4294967295EEENS1_37radix_sort_block_sort_config_selectorIslEEZNS1_21radix_sort_block_sortIS4_Lb0EPsS8_N6thrust23THRUST_200600_302600_NS10device_ptrIlEESC_NS0_19identity_decomposerEEE10hipError_tT1_T2_T3_T4_jRjT5_jjP12ihipStream_tbEUlT_E_NS1_11comp_targetILNS1_3genE10ELNS1_11target_archE1201ELNS1_3gpuE5ELNS1_3repE0EEENS1_44radix_sort_block_sort_config_static_selectorELNS0_4arch9wavefront6targetE1EEEvSF_,@function
_ZN7rocprim17ROCPRIM_400000_NS6detail17trampoline_kernelINS0_13kernel_configILj256ELj4ELj4294967295EEENS1_37radix_sort_block_sort_config_selectorIslEEZNS1_21radix_sort_block_sortIS4_Lb0EPsS8_N6thrust23THRUST_200600_302600_NS10device_ptrIlEESC_NS0_19identity_decomposerEEE10hipError_tT1_T2_T3_T4_jRjT5_jjP12ihipStream_tbEUlT_E_NS1_11comp_targetILNS1_3genE10ELNS1_11target_archE1201ELNS1_3gpuE5ELNS1_3repE0EEENS1_44radix_sort_block_sort_config_static_selectorELNS0_4arch9wavefront6targetE1EEEvSF_: ; @_ZN7rocprim17ROCPRIM_400000_NS6detail17trampoline_kernelINS0_13kernel_configILj256ELj4ELj4294967295EEENS1_37radix_sort_block_sort_config_selectorIslEEZNS1_21radix_sort_block_sortIS4_Lb0EPsS8_N6thrust23THRUST_200600_302600_NS10device_ptrIlEESC_NS0_19identity_decomposerEEE10hipError_tT1_T2_T3_T4_jRjT5_jjP12ihipStream_tbEUlT_E_NS1_11comp_targetILNS1_3genE10ELNS1_11target_archE1201ELNS1_3gpuE5ELNS1_3repE0EEENS1_44radix_sort_block_sort_config_static_selectorELNS0_4arch9wavefront6targetE1EEEvSF_
; %bb.0:
	.section	.rodata,"a",@progbits
	.p2align	6, 0x0
	.amdhsa_kernel _ZN7rocprim17ROCPRIM_400000_NS6detail17trampoline_kernelINS0_13kernel_configILj256ELj4ELj4294967295EEENS1_37radix_sort_block_sort_config_selectorIslEEZNS1_21radix_sort_block_sortIS4_Lb0EPsS8_N6thrust23THRUST_200600_302600_NS10device_ptrIlEESC_NS0_19identity_decomposerEEE10hipError_tT1_T2_T3_T4_jRjT5_jjP12ihipStream_tbEUlT_E_NS1_11comp_targetILNS1_3genE10ELNS1_11target_archE1201ELNS1_3gpuE5ELNS1_3repE0EEENS1_44radix_sort_block_sort_config_static_selectorELNS0_4arch9wavefront6targetE1EEEvSF_
		.amdhsa_group_segment_fixed_size 0
		.amdhsa_private_segment_fixed_size 0
		.amdhsa_kernarg_size 48
		.amdhsa_user_sgpr_count 6
		.amdhsa_user_sgpr_private_segment_buffer 1
		.amdhsa_user_sgpr_dispatch_ptr 0
		.amdhsa_user_sgpr_queue_ptr 0
		.amdhsa_user_sgpr_kernarg_segment_ptr 1
		.amdhsa_user_sgpr_dispatch_id 0
		.amdhsa_user_sgpr_flat_scratch_init 0
		.amdhsa_user_sgpr_private_segment_size 0
		.amdhsa_uses_dynamic_stack 0
		.amdhsa_system_sgpr_private_segment_wavefront_offset 0
		.amdhsa_system_sgpr_workgroup_id_x 1
		.amdhsa_system_sgpr_workgroup_id_y 0
		.amdhsa_system_sgpr_workgroup_id_z 0
		.amdhsa_system_sgpr_workgroup_info 0
		.amdhsa_system_vgpr_workitem_id 0
		.amdhsa_next_free_vgpr 1
		.amdhsa_next_free_sgpr 0
		.amdhsa_reserve_vcc 0
		.amdhsa_reserve_flat_scratch 0
		.amdhsa_float_round_mode_32 0
		.amdhsa_float_round_mode_16_64 0
		.amdhsa_float_denorm_mode_32 3
		.amdhsa_float_denorm_mode_16_64 3
		.amdhsa_dx10_clamp 1
		.amdhsa_ieee_mode 1
		.amdhsa_fp16_overflow 0
		.amdhsa_exception_fp_ieee_invalid_op 0
		.amdhsa_exception_fp_denorm_src 0
		.amdhsa_exception_fp_ieee_div_zero 0
		.amdhsa_exception_fp_ieee_overflow 0
		.amdhsa_exception_fp_ieee_underflow 0
		.amdhsa_exception_fp_ieee_inexact 0
		.amdhsa_exception_int_div_zero 0
	.end_amdhsa_kernel
	.section	.text._ZN7rocprim17ROCPRIM_400000_NS6detail17trampoline_kernelINS0_13kernel_configILj256ELj4ELj4294967295EEENS1_37radix_sort_block_sort_config_selectorIslEEZNS1_21radix_sort_block_sortIS4_Lb0EPsS8_N6thrust23THRUST_200600_302600_NS10device_ptrIlEESC_NS0_19identity_decomposerEEE10hipError_tT1_T2_T3_T4_jRjT5_jjP12ihipStream_tbEUlT_E_NS1_11comp_targetILNS1_3genE10ELNS1_11target_archE1201ELNS1_3gpuE5ELNS1_3repE0EEENS1_44radix_sort_block_sort_config_static_selectorELNS0_4arch9wavefront6targetE1EEEvSF_,"axG",@progbits,_ZN7rocprim17ROCPRIM_400000_NS6detail17trampoline_kernelINS0_13kernel_configILj256ELj4ELj4294967295EEENS1_37radix_sort_block_sort_config_selectorIslEEZNS1_21radix_sort_block_sortIS4_Lb0EPsS8_N6thrust23THRUST_200600_302600_NS10device_ptrIlEESC_NS0_19identity_decomposerEEE10hipError_tT1_T2_T3_T4_jRjT5_jjP12ihipStream_tbEUlT_E_NS1_11comp_targetILNS1_3genE10ELNS1_11target_archE1201ELNS1_3gpuE5ELNS1_3repE0EEENS1_44radix_sort_block_sort_config_static_selectorELNS0_4arch9wavefront6targetE1EEEvSF_,comdat
.Lfunc_end1263:
	.size	_ZN7rocprim17ROCPRIM_400000_NS6detail17trampoline_kernelINS0_13kernel_configILj256ELj4ELj4294967295EEENS1_37radix_sort_block_sort_config_selectorIslEEZNS1_21radix_sort_block_sortIS4_Lb0EPsS8_N6thrust23THRUST_200600_302600_NS10device_ptrIlEESC_NS0_19identity_decomposerEEE10hipError_tT1_T2_T3_T4_jRjT5_jjP12ihipStream_tbEUlT_E_NS1_11comp_targetILNS1_3genE10ELNS1_11target_archE1201ELNS1_3gpuE5ELNS1_3repE0EEENS1_44radix_sort_block_sort_config_static_selectorELNS0_4arch9wavefront6targetE1EEEvSF_, .Lfunc_end1263-_ZN7rocprim17ROCPRIM_400000_NS6detail17trampoline_kernelINS0_13kernel_configILj256ELj4ELj4294967295EEENS1_37radix_sort_block_sort_config_selectorIslEEZNS1_21radix_sort_block_sortIS4_Lb0EPsS8_N6thrust23THRUST_200600_302600_NS10device_ptrIlEESC_NS0_19identity_decomposerEEE10hipError_tT1_T2_T3_T4_jRjT5_jjP12ihipStream_tbEUlT_E_NS1_11comp_targetILNS1_3genE10ELNS1_11target_archE1201ELNS1_3gpuE5ELNS1_3repE0EEENS1_44radix_sort_block_sort_config_static_selectorELNS0_4arch9wavefront6targetE1EEEvSF_
                                        ; -- End function
	.set _ZN7rocprim17ROCPRIM_400000_NS6detail17trampoline_kernelINS0_13kernel_configILj256ELj4ELj4294967295EEENS1_37radix_sort_block_sort_config_selectorIslEEZNS1_21radix_sort_block_sortIS4_Lb0EPsS8_N6thrust23THRUST_200600_302600_NS10device_ptrIlEESC_NS0_19identity_decomposerEEE10hipError_tT1_T2_T3_T4_jRjT5_jjP12ihipStream_tbEUlT_E_NS1_11comp_targetILNS1_3genE10ELNS1_11target_archE1201ELNS1_3gpuE5ELNS1_3repE0EEENS1_44radix_sort_block_sort_config_static_selectorELNS0_4arch9wavefront6targetE1EEEvSF_.num_vgpr, 0
	.set _ZN7rocprim17ROCPRIM_400000_NS6detail17trampoline_kernelINS0_13kernel_configILj256ELj4ELj4294967295EEENS1_37radix_sort_block_sort_config_selectorIslEEZNS1_21radix_sort_block_sortIS4_Lb0EPsS8_N6thrust23THRUST_200600_302600_NS10device_ptrIlEESC_NS0_19identity_decomposerEEE10hipError_tT1_T2_T3_T4_jRjT5_jjP12ihipStream_tbEUlT_E_NS1_11comp_targetILNS1_3genE10ELNS1_11target_archE1201ELNS1_3gpuE5ELNS1_3repE0EEENS1_44radix_sort_block_sort_config_static_selectorELNS0_4arch9wavefront6targetE1EEEvSF_.num_agpr, 0
	.set _ZN7rocprim17ROCPRIM_400000_NS6detail17trampoline_kernelINS0_13kernel_configILj256ELj4ELj4294967295EEENS1_37radix_sort_block_sort_config_selectorIslEEZNS1_21radix_sort_block_sortIS4_Lb0EPsS8_N6thrust23THRUST_200600_302600_NS10device_ptrIlEESC_NS0_19identity_decomposerEEE10hipError_tT1_T2_T3_T4_jRjT5_jjP12ihipStream_tbEUlT_E_NS1_11comp_targetILNS1_3genE10ELNS1_11target_archE1201ELNS1_3gpuE5ELNS1_3repE0EEENS1_44radix_sort_block_sort_config_static_selectorELNS0_4arch9wavefront6targetE1EEEvSF_.numbered_sgpr, 0
	.set _ZN7rocprim17ROCPRIM_400000_NS6detail17trampoline_kernelINS0_13kernel_configILj256ELj4ELj4294967295EEENS1_37radix_sort_block_sort_config_selectorIslEEZNS1_21radix_sort_block_sortIS4_Lb0EPsS8_N6thrust23THRUST_200600_302600_NS10device_ptrIlEESC_NS0_19identity_decomposerEEE10hipError_tT1_T2_T3_T4_jRjT5_jjP12ihipStream_tbEUlT_E_NS1_11comp_targetILNS1_3genE10ELNS1_11target_archE1201ELNS1_3gpuE5ELNS1_3repE0EEENS1_44radix_sort_block_sort_config_static_selectorELNS0_4arch9wavefront6targetE1EEEvSF_.num_named_barrier, 0
	.set _ZN7rocprim17ROCPRIM_400000_NS6detail17trampoline_kernelINS0_13kernel_configILj256ELj4ELj4294967295EEENS1_37radix_sort_block_sort_config_selectorIslEEZNS1_21radix_sort_block_sortIS4_Lb0EPsS8_N6thrust23THRUST_200600_302600_NS10device_ptrIlEESC_NS0_19identity_decomposerEEE10hipError_tT1_T2_T3_T4_jRjT5_jjP12ihipStream_tbEUlT_E_NS1_11comp_targetILNS1_3genE10ELNS1_11target_archE1201ELNS1_3gpuE5ELNS1_3repE0EEENS1_44radix_sort_block_sort_config_static_selectorELNS0_4arch9wavefront6targetE1EEEvSF_.private_seg_size, 0
	.set _ZN7rocprim17ROCPRIM_400000_NS6detail17trampoline_kernelINS0_13kernel_configILj256ELj4ELj4294967295EEENS1_37radix_sort_block_sort_config_selectorIslEEZNS1_21radix_sort_block_sortIS4_Lb0EPsS8_N6thrust23THRUST_200600_302600_NS10device_ptrIlEESC_NS0_19identity_decomposerEEE10hipError_tT1_T2_T3_T4_jRjT5_jjP12ihipStream_tbEUlT_E_NS1_11comp_targetILNS1_3genE10ELNS1_11target_archE1201ELNS1_3gpuE5ELNS1_3repE0EEENS1_44radix_sort_block_sort_config_static_selectorELNS0_4arch9wavefront6targetE1EEEvSF_.uses_vcc, 0
	.set _ZN7rocprim17ROCPRIM_400000_NS6detail17trampoline_kernelINS0_13kernel_configILj256ELj4ELj4294967295EEENS1_37radix_sort_block_sort_config_selectorIslEEZNS1_21radix_sort_block_sortIS4_Lb0EPsS8_N6thrust23THRUST_200600_302600_NS10device_ptrIlEESC_NS0_19identity_decomposerEEE10hipError_tT1_T2_T3_T4_jRjT5_jjP12ihipStream_tbEUlT_E_NS1_11comp_targetILNS1_3genE10ELNS1_11target_archE1201ELNS1_3gpuE5ELNS1_3repE0EEENS1_44radix_sort_block_sort_config_static_selectorELNS0_4arch9wavefront6targetE1EEEvSF_.uses_flat_scratch, 0
	.set _ZN7rocprim17ROCPRIM_400000_NS6detail17trampoline_kernelINS0_13kernel_configILj256ELj4ELj4294967295EEENS1_37radix_sort_block_sort_config_selectorIslEEZNS1_21radix_sort_block_sortIS4_Lb0EPsS8_N6thrust23THRUST_200600_302600_NS10device_ptrIlEESC_NS0_19identity_decomposerEEE10hipError_tT1_T2_T3_T4_jRjT5_jjP12ihipStream_tbEUlT_E_NS1_11comp_targetILNS1_3genE10ELNS1_11target_archE1201ELNS1_3gpuE5ELNS1_3repE0EEENS1_44radix_sort_block_sort_config_static_selectorELNS0_4arch9wavefront6targetE1EEEvSF_.has_dyn_sized_stack, 0
	.set _ZN7rocprim17ROCPRIM_400000_NS6detail17trampoline_kernelINS0_13kernel_configILj256ELj4ELj4294967295EEENS1_37radix_sort_block_sort_config_selectorIslEEZNS1_21radix_sort_block_sortIS4_Lb0EPsS8_N6thrust23THRUST_200600_302600_NS10device_ptrIlEESC_NS0_19identity_decomposerEEE10hipError_tT1_T2_T3_T4_jRjT5_jjP12ihipStream_tbEUlT_E_NS1_11comp_targetILNS1_3genE10ELNS1_11target_archE1201ELNS1_3gpuE5ELNS1_3repE0EEENS1_44radix_sort_block_sort_config_static_selectorELNS0_4arch9wavefront6targetE1EEEvSF_.has_recursion, 0
	.set _ZN7rocprim17ROCPRIM_400000_NS6detail17trampoline_kernelINS0_13kernel_configILj256ELj4ELj4294967295EEENS1_37radix_sort_block_sort_config_selectorIslEEZNS1_21radix_sort_block_sortIS4_Lb0EPsS8_N6thrust23THRUST_200600_302600_NS10device_ptrIlEESC_NS0_19identity_decomposerEEE10hipError_tT1_T2_T3_T4_jRjT5_jjP12ihipStream_tbEUlT_E_NS1_11comp_targetILNS1_3genE10ELNS1_11target_archE1201ELNS1_3gpuE5ELNS1_3repE0EEENS1_44radix_sort_block_sort_config_static_selectorELNS0_4arch9wavefront6targetE1EEEvSF_.has_indirect_call, 0
	.section	.AMDGPU.csdata,"",@progbits
; Kernel info:
; codeLenInByte = 0
; TotalNumSgprs: 4
; NumVgprs: 0
; ScratchSize: 0
; MemoryBound: 0
; FloatMode: 240
; IeeeMode: 1
; LDSByteSize: 0 bytes/workgroup (compile time only)
; SGPRBlocks: 0
; VGPRBlocks: 0
; NumSGPRsForWavesPerEU: 4
; NumVGPRsForWavesPerEU: 1
; Occupancy: 10
; WaveLimiterHint : 0
; COMPUTE_PGM_RSRC2:SCRATCH_EN: 0
; COMPUTE_PGM_RSRC2:USER_SGPR: 6
; COMPUTE_PGM_RSRC2:TRAP_HANDLER: 0
; COMPUTE_PGM_RSRC2:TGID_X_EN: 1
; COMPUTE_PGM_RSRC2:TGID_Y_EN: 0
; COMPUTE_PGM_RSRC2:TGID_Z_EN: 0
; COMPUTE_PGM_RSRC2:TIDIG_COMP_CNT: 0
	.section	.text._ZN7rocprim17ROCPRIM_400000_NS6detail17trampoline_kernelINS0_13kernel_configILj256ELj4ELj4294967295EEENS1_37radix_sort_block_sort_config_selectorIslEEZNS1_21radix_sort_block_sortIS4_Lb0EPsS8_N6thrust23THRUST_200600_302600_NS10device_ptrIlEESC_NS0_19identity_decomposerEEE10hipError_tT1_T2_T3_T4_jRjT5_jjP12ihipStream_tbEUlT_E_NS1_11comp_targetILNS1_3genE10ELNS1_11target_archE1200ELNS1_3gpuE4ELNS1_3repE0EEENS1_44radix_sort_block_sort_config_static_selectorELNS0_4arch9wavefront6targetE1EEEvSF_,"axG",@progbits,_ZN7rocprim17ROCPRIM_400000_NS6detail17trampoline_kernelINS0_13kernel_configILj256ELj4ELj4294967295EEENS1_37radix_sort_block_sort_config_selectorIslEEZNS1_21radix_sort_block_sortIS4_Lb0EPsS8_N6thrust23THRUST_200600_302600_NS10device_ptrIlEESC_NS0_19identity_decomposerEEE10hipError_tT1_T2_T3_T4_jRjT5_jjP12ihipStream_tbEUlT_E_NS1_11comp_targetILNS1_3genE10ELNS1_11target_archE1200ELNS1_3gpuE4ELNS1_3repE0EEENS1_44radix_sort_block_sort_config_static_selectorELNS0_4arch9wavefront6targetE1EEEvSF_,comdat
	.protected	_ZN7rocprim17ROCPRIM_400000_NS6detail17trampoline_kernelINS0_13kernel_configILj256ELj4ELj4294967295EEENS1_37radix_sort_block_sort_config_selectorIslEEZNS1_21radix_sort_block_sortIS4_Lb0EPsS8_N6thrust23THRUST_200600_302600_NS10device_ptrIlEESC_NS0_19identity_decomposerEEE10hipError_tT1_T2_T3_T4_jRjT5_jjP12ihipStream_tbEUlT_E_NS1_11comp_targetILNS1_3genE10ELNS1_11target_archE1200ELNS1_3gpuE4ELNS1_3repE0EEENS1_44radix_sort_block_sort_config_static_selectorELNS0_4arch9wavefront6targetE1EEEvSF_ ; -- Begin function _ZN7rocprim17ROCPRIM_400000_NS6detail17trampoline_kernelINS0_13kernel_configILj256ELj4ELj4294967295EEENS1_37radix_sort_block_sort_config_selectorIslEEZNS1_21radix_sort_block_sortIS4_Lb0EPsS8_N6thrust23THRUST_200600_302600_NS10device_ptrIlEESC_NS0_19identity_decomposerEEE10hipError_tT1_T2_T3_T4_jRjT5_jjP12ihipStream_tbEUlT_E_NS1_11comp_targetILNS1_3genE10ELNS1_11target_archE1200ELNS1_3gpuE4ELNS1_3repE0EEENS1_44radix_sort_block_sort_config_static_selectorELNS0_4arch9wavefront6targetE1EEEvSF_
	.globl	_ZN7rocprim17ROCPRIM_400000_NS6detail17trampoline_kernelINS0_13kernel_configILj256ELj4ELj4294967295EEENS1_37radix_sort_block_sort_config_selectorIslEEZNS1_21radix_sort_block_sortIS4_Lb0EPsS8_N6thrust23THRUST_200600_302600_NS10device_ptrIlEESC_NS0_19identity_decomposerEEE10hipError_tT1_T2_T3_T4_jRjT5_jjP12ihipStream_tbEUlT_E_NS1_11comp_targetILNS1_3genE10ELNS1_11target_archE1200ELNS1_3gpuE4ELNS1_3repE0EEENS1_44radix_sort_block_sort_config_static_selectorELNS0_4arch9wavefront6targetE1EEEvSF_
	.p2align	8
	.type	_ZN7rocprim17ROCPRIM_400000_NS6detail17trampoline_kernelINS0_13kernel_configILj256ELj4ELj4294967295EEENS1_37radix_sort_block_sort_config_selectorIslEEZNS1_21radix_sort_block_sortIS4_Lb0EPsS8_N6thrust23THRUST_200600_302600_NS10device_ptrIlEESC_NS0_19identity_decomposerEEE10hipError_tT1_T2_T3_T4_jRjT5_jjP12ihipStream_tbEUlT_E_NS1_11comp_targetILNS1_3genE10ELNS1_11target_archE1200ELNS1_3gpuE4ELNS1_3repE0EEENS1_44radix_sort_block_sort_config_static_selectorELNS0_4arch9wavefront6targetE1EEEvSF_,@function
_ZN7rocprim17ROCPRIM_400000_NS6detail17trampoline_kernelINS0_13kernel_configILj256ELj4ELj4294967295EEENS1_37radix_sort_block_sort_config_selectorIslEEZNS1_21radix_sort_block_sortIS4_Lb0EPsS8_N6thrust23THRUST_200600_302600_NS10device_ptrIlEESC_NS0_19identity_decomposerEEE10hipError_tT1_T2_T3_T4_jRjT5_jjP12ihipStream_tbEUlT_E_NS1_11comp_targetILNS1_3genE10ELNS1_11target_archE1200ELNS1_3gpuE4ELNS1_3repE0EEENS1_44radix_sort_block_sort_config_static_selectorELNS0_4arch9wavefront6targetE1EEEvSF_: ; @_ZN7rocprim17ROCPRIM_400000_NS6detail17trampoline_kernelINS0_13kernel_configILj256ELj4ELj4294967295EEENS1_37radix_sort_block_sort_config_selectorIslEEZNS1_21radix_sort_block_sortIS4_Lb0EPsS8_N6thrust23THRUST_200600_302600_NS10device_ptrIlEESC_NS0_19identity_decomposerEEE10hipError_tT1_T2_T3_T4_jRjT5_jjP12ihipStream_tbEUlT_E_NS1_11comp_targetILNS1_3genE10ELNS1_11target_archE1200ELNS1_3gpuE4ELNS1_3repE0EEENS1_44radix_sort_block_sort_config_static_selectorELNS0_4arch9wavefront6targetE1EEEvSF_
; %bb.0:
	.section	.rodata,"a",@progbits
	.p2align	6, 0x0
	.amdhsa_kernel _ZN7rocprim17ROCPRIM_400000_NS6detail17trampoline_kernelINS0_13kernel_configILj256ELj4ELj4294967295EEENS1_37radix_sort_block_sort_config_selectorIslEEZNS1_21radix_sort_block_sortIS4_Lb0EPsS8_N6thrust23THRUST_200600_302600_NS10device_ptrIlEESC_NS0_19identity_decomposerEEE10hipError_tT1_T2_T3_T4_jRjT5_jjP12ihipStream_tbEUlT_E_NS1_11comp_targetILNS1_3genE10ELNS1_11target_archE1200ELNS1_3gpuE4ELNS1_3repE0EEENS1_44radix_sort_block_sort_config_static_selectorELNS0_4arch9wavefront6targetE1EEEvSF_
		.amdhsa_group_segment_fixed_size 0
		.amdhsa_private_segment_fixed_size 0
		.amdhsa_kernarg_size 48
		.amdhsa_user_sgpr_count 6
		.amdhsa_user_sgpr_private_segment_buffer 1
		.amdhsa_user_sgpr_dispatch_ptr 0
		.amdhsa_user_sgpr_queue_ptr 0
		.amdhsa_user_sgpr_kernarg_segment_ptr 1
		.amdhsa_user_sgpr_dispatch_id 0
		.amdhsa_user_sgpr_flat_scratch_init 0
		.amdhsa_user_sgpr_private_segment_size 0
		.amdhsa_uses_dynamic_stack 0
		.amdhsa_system_sgpr_private_segment_wavefront_offset 0
		.amdhsa_system_sgpr_workgroup_id_x 1
		.amdhsa_system_sgpr_workgroup_id_y 0
		.amdhsa_system_sgpr_workgroup_id_z 0
		.amdhsa_system_sgpr_workgroup_info 0
		.amdhsa_system_vgpr_workitem_id 0
		.amdhsa_next_free_vgpr 1
		.amdhsa_next_free_sgpr 0
		.amdhsa_reserve_vcc 0
		.amdhsa_reserve_flat_scratch 0
		.amdhsa_float_round_mode_32 0
		.amdhsa_float_round_mode_16_64 0
		.amdhsa_float_denorm_mode_32 3
		.amdhsa_float_denorm_mode_16_64 3
		.amdhsa_dx10_clamp 1
		.amdhsa_ieee_mode 1
		.amdhsa_fp16_overflow 0
		.amdhsa_exception_fp_ieee_invalid_op 0
		.amdhsa_exception_fp_denorm_src 0
		.amdhsa_exception_fp_ieee_div_zero 0
		.amdhsa_exception_fp_ieee_overflow 0
		.amdhsa_exception_fp_ieee_underflow 0
		.amdhsa_exception_fp_ieee_inexact 0
		.amdhsa_exception_int_div_zero 0
	.end_amdhsa_kernel
	.section	.text._ZN7rocprim17ROCPRIM_400000_NS6detail17trampoline_kernelINS0_13kernel_configILj256ELj4ELj4294967295EEENS1_37radix_sort_block_sort_config_selectorIslEEZNS1_21radix_sort_block_sortIS4_Lb0EPsS8_N6thrust23THRUST_200600_302600_NS10device_ptrIlEESC_NS0_19identity_decomposerEEE10hipError_tT1_T2_T3_T4_jRjT5_jjP12ihipStream_tbEUlT_E_NS1_11comp_targetILNS1_3genE10ELNS1_11target_archE1200ELNS1_3gpuE4ELNS1_3repE0EEENS1_44radix_sort_block_sort_config_static_selectorELNS0_4arch9wavefront6targetE1EEEvSF_,"axG",@progbits,_ZN7rocprim17ROCPRIM_400000_NS6detail17trampoline_kernelINS0_13kernel_configILj256ELj4ELj4294967295EEENS1_37radix_sort_block_sort_config_selectorIslEEZNS1_21radix_sort_block_sortIS4_Lb0EPsS8_N6thrust23THRUST_200600_302600_NS10device_ptrIlEESC_NS0_19identity_decomposerEEE10hipError_tT1_T2_T3_T4_jRjT5_jjP12ihipStream_tbEUlT_E_NS1_11comp_targetILNS1_3genE10ELNS1_11target_archE1200ELNS1_3gpuE4ELNS1_3repE0EEENS1_44radix_sort_block_sort_config_static_selectorELNS0_4arch9wavefront6targetE1EEEvSF_,comdat
.Lfunc_end1264:
	.size	_ZN7rocprim17ROCPRIM_400000_NS6detail17trampoline_kernelINS0_13kernel_configILj256ELj4ELj4294967295EEENS1_37radix_sort_block_sort_config_selectorIslEEZNS1_21radix_sort_block_sortIS4_Lb0EPsS8_N6thrust23THRUST_200600_302600_NS10device_ptrIlEESC_NS0_19identity_decomposerEEE10hipError_tT1_T2_T3_T4_jRjT5_jjP12ihipStream_tbEUlT_E_NS1_11comp_targetILNS1_3genE10ELNS1_11target_archE1200ELNS1_3gpuE4ELNS1_3repE0EEENS1_44radix_sort_block_sort_config_static_selectorELNS0_4arch9wavefront6targetE1EEEvSF_, .Lfunc_end1264-_ZN7rocprim17ROCPRIM_400000_NS6detail17trampoline_kernelINS0_13kernel_configILj256ELj4ELj4294967295EEENS1_37radix_sort_block_sort_config_selectorIslEEZNS1_21radix_sort_block_sortIS4_Lb0EPsS8_N6thrust23THRUST_200600_302600_NS10device_ptrIlEESC_NS0_19identity_decomposerEEE10hipError_tT1_T2_T3_T4_jRjT5_jjP12ihipStream_tbEUlT_E_NS1_11comp_targetILNS1_3genE10ELNS1_11target_archE1200ELNS1_3gpuE4ELNS1_3repE0EEENS1_44radix_sort_block_sort_config_static_selectorELNS0_4arch9wavefront6targetE1EEEvSF_
                                        ; -- End function
	.set _ZN7rocprim17ROCPRIM_400000_NS6detail17trampoline_kernelINS0_13kernel_configILj256ELj4ELj4294967295EEENS1_37radix_sort_block_sort_config_selectorIslEEZNS1_21radix_sort_block_sortIS4_Lb0EPsS8_N6thrust23THRUST_200600_302600_NS10device_ptrIlEESC_NS0_19identity_decomposerEEE10hipError_tT1_T2_T3_T4_jRjT5_jjP12ihipStream_tbEUlT_E_NS1_11comp_targetILNS1_3genE10ELNS1_11target_archE1200ELNS1_3gpuE4ELNS1_3repE0EEENS1_44radix_sort_block_sort_config_static_selectorELNS0_4arch9wavefront6targetE1EEEvSF_.num_vgpr, 0
	.set _ZN7rocprim17ROCPRIM_400000_NS6detail17trampoline_kernelINS0_13kernel_configILj256ELj4ELj4294967295EEENS1_37radix_sort_block_sort_config_selectorIslEEZNS1_21radix_sort_block_sortIS4_Lb0EPsS8_N6thrust23THRUST_200600_302600_NS10device_ptrIlEESC_NS0_19identity_decomposerEEE10hipError_tT1_T2_T3_T4_jRjT5_jjP12ihipStream_tbEUlT_E_NS1_11comp_targetILNS1_3genE10ELNS1_11target_archE1200ELNS1_3gpuE4ELNS1_3repE0EEENS1_44radix_sort_block_sort_config_static_selectorELNS0_4arch9wavefront6targetE1EEEvSF_.num_agpr, 0
	.set _ZN7rocprim17ROCPRIM_400000_NS6detail17trampoline_kernelINS0_13kernel_configILj256ELj4ELj4294967295EEENS1_37radix_sort_block_sort_config_selectorIslEEZNS1_21radix_sort_block_sortIS4_Lb0EPsS8_N6thrust23THRUST_200600_302600_NS10device_ptrIlEESC_NS0_19identity_decomposerEEE10hipError_tT1_T2_T3_T4_jRjT5_jjP12ihipStream_tbEUlT_E_NS1_11comp_targetILNS1_3genE10ELNS1_11target_archE1200ELNS1_3gpuE4ELNS1_3repE0EEENS1_44radix_sort_block_sort_config_static_selectorELNS0_4arch9wavefront6targetE1EEEvSF_.numbered_sgpr, 0
	.set _ZN7rocprim17ROCPRIM_400000_NS6detail17trampoline_kernelINS0_13kernel_configILj256ELj4ELj4294967295EEENS1_37radix_sort_block_sort_config_selectorIslEEZNS1_21radix_sort_block_sortIS4_Lb0EPsS8_N6thrust23THRUST_200600_302600_NS10device_ptrIlEESC_NS0_19identity_decomposerEEE10hipError_tT1_T2_T3_T4_jRjT5_jjP12ihipStream_tbEUlT_E_NS1_11comp_targetILNS1_3genE10ELNS1_11target_archE1200ELNS1_3gpuE4ELNS1_3repE0EEENS1_44radix_sort_block_sort_config_static_selectorELNS0_4arch9wavefront6targetE1EEEvSF_.num_named_barrier, 0
	.set _ZN7rocprim17ROCPRIM_400000_NS6detail17trampoline_kernelINS0_13kernel_configILj256ELj4ELj4294967295EEENS1_37radix_sort_block_sort_config_selectorIslEEZNS1_21radix_sort_block_sortIS4_Lb0EPsS8_N6thrust23THRUST_200600_302600_NS10device_ptrIlEESC_NS0_19identity_decomposerEEE10hipError_tT1_T2_T3_T4_jRjT5_jjP12ihipStream_tbEUlT_E_NS1_11comp_targetILNS1_3genE10ELNS1_11target_archE1200ELNS1_3gpuE4ELNS1_3repE0EEENS1_44radix_sort_block_sort_config_static_selectorELNS0_4arch9wavefront6targetE1EEEvSF_.private_seg_size, 0
	.set _ZN7rocprim17ROCPRIM_400000_NS6detail17trampoline_kernelINS0_13kernel_configILj256ELj4ELj4294967295EEENS1_37radix_sort_block_sort_config_selectorIslEEZNS1_21radix_sort_block_sortIS4_Lb0EPsS8_N6thrust23THRUST_200600_302600_NS10device_ptrIlEESC_NS0_19identity_decomposerEEE10hipError_tT1_T2_T3_T4_jRjT5_jjP12ihipStream_tbEUlT_E_NS1_11comp_targetILNS1_3genE10ELNS1_11target_archE1200ELNS1_3gpuE4ELNS1_3repE0EEENS1_44radix_sort_block_sort_config_static_selectorELNS0_4arch9wavefront6targetE1EEEvSF_.uses_vcc, 0
	.set _ZN7rocprim17ROCPRIM_400000_NS6detail17trampoline_kernelINS0_13kernel_configILj256ELj4ELj4294967295EEENS1_37radix_sort_block_sort_config_selectorIslEEZNS1_21radix_sort_block_sortIS4_Lb0EPsS8_N6thrust23THRUST_200600_302600_NS10device_ptrIlEESC_NS0_19identity_decomposerEEE10hipError_tT1_T2_T3_T4_jRjT5_jjP12ihipStream_tbEUlT_E_NS1_11comp_targetILNS1_3genE10ELNS1_11target_archE1200ELNS1_3gpuE4ELNS1_3repE0EEENS1_44radix_sort_block_sort_config_static_selectorELNS0_4arch9wavefront6targetE1EEEvSF_.uses_flat_scratch, 0
	.set _ZN7rocprim17ROCPRIM_400000_NS6detail17trampoline_kernelINS0_13kernel_configILj256ELj4ELj4294967295EEENS1_37radix_sort_block_sort_config_selectorIslEEZNS1_21radix_sort_block_sortIS4_Lb0EPsS8_N6thrust23THRUST_200600_302600_NS10device_ptrIlEESC_NS0_19identity_decomposerEEE10hipError_tT1_T2_T3_T4_jRjT5_jjP12ihipStream_tbEUlT_E_NS1_11comp_targetILNS1_3genE10ELNS1_11target_archE1200ELNS1_3gpuE4ELNS1_3repE0EEENS1_44radix_sort_block_sort_config_static_selectorELNS0_4arch9wavefront6targetE1EEEvSF_.has_dyn_sized_stack, 0
	.set _ZN7rocprim17ROCPRIM_400000_NS6detail17trampoline_kernelINS0_13kernel_configILj256ELj4ELj4294967295EEENS1_37radix_sort_block_sort_config_selectorIslEEZNS1_21radix_sort_block_sortIS4_Lb0EPsS8_N6thrust23THRUST_200600_302600_NS10device_ptrIlEESC_NS0_19identity_decomposerEEE10hipError_tT1_T2_T3_T4_jRjT5_jjP12ihipStream_tbEUlT_E_NS1_11comp_targetILNS1_3genE10ELNS1_11target_archE1200ELNS1_3gpuE4ELNS1_3repE0EEENS1_44radix_sort_block_sort_config_static_selectorELNS0_4arch9wavefront6targetE1EEEvSF_.has_recursion, 0
	.set _ZN7rocprim17ROCPRIM_400000_NS6detail17trampoline_kernelINS0_13kernel_configILj256ELj4ELj4294967295EEENS1_37radix_sort_block_sort_config_selectorIslEEZNS1_21radix_sort_block_sortIS4_Lb0EPsS8_N6thrust23THRUST_200600_302600_NS10device_ptrIlEESC_NS0_19identity_decomposerEEE10hipError_tT1_T2_T3_T4_jRjT5_jjP12ihipStream_tbEUlT_E_NS1_11comp_targetILNS1_3genE10ELNS1_11target_archE1200ELNS1_3gpuE4ELNS1_3repE0EEENS1_44radix_sort_block_sort_config_static_selectorELNS0_4arch9wavefront6targetE1EEEvSF_.has_indirect_call, 0
	.section	.AMDGPU.csdata,"",@progbits
; Kernel info:
; codeLenInByte = 0
; TotalNumSgprs: 4
; NumVgprs: 0
; ScratchSize: 0
; MemoryBound: 0
; FloatMode: 240
; IeeeMode: 1
; LDSByteSize: 0 bytes/workgroup (compile time only)
; SGPRBlocks: 0
; VGPRBlocks: 0
; NumSGPRsForWavesPerEU: 4
; NumVGPRsForWavesPerEU: 1
; Occupancy: 10
; WaveLimiterHint : 0
; COMPUTE_PGM_RSRC2:SCRATCH_EN: 0
; COMPUTE_PGM_RSRC2:USER_SGPR: 6
; COMPUTE_PGM_RSRC2:TRAP_HANDLER: 0
; COMPUTE_PGM_RSRC2:TGID_X_EN: 1
; COMPUTE_PGM_RSRC2:TGID_Y_EN: 0
; COMPUTE_PGM_RSRC2:TGID_Z_EN: 0
; COMPUTE_PGM_RSRC2:TIDIG_COMP_CNT: 0
	.section	.text._ZN7rocprim17ROCPRIM_400000_NS6detail17trampoline_kernelINS0_13kernel_configILj256ELj4ELj4294967295EEENS1_37radix_sort_block_sort_config_selectorIslEEZNS1_21radix_sort_block_sortIS4_Lb0EPsS8_N6thrust23THRUST_200600_302600_NS10device_ptrIlEESC_NS0_19identity_decomposerEEE10hipError_tT1_T2_T3_T4_jRjT5_jjP12ihipStream_tbEUlT_E_NS1_11comp_targetILNS1_3genE9ELNS1_11target_archE1100ELNS1_3gpuE3ELNS1_3repE0EEENS1_44radix_sort_block_sort_config_static_selectorELNS0_4arch9wavefront6targetE1EEEvSF_,"axG",@progbits,_ZN7rocprim17ROCPRIM_400000_NS6detail17trampoline_kernelINS0_13kernel_configILj256ELj4ELj4294967295EEENS1_37radix_sort_block_sort_config_selectorIslEEZNS1_21radix_sort_block_sortIS4_Lb0EPsS8_N6thrust23THRUST_200600_302600_NS10device_ptrIlEESC_NS0_19identity_decomposerEEE10hipError_tT1_T2_T3_T4_jRjT5_jjP12ihipStream_tbEUlT_E_NS1_11comp_targetILNS1_3genE9ELNS1_11target_archE1100ELNS1_3gpuE3ELNS1_3repE0EEENS1_44radix_sort_block_sort_config_static_selectorELNS0_4arch9wavefront6targetE1EEEvSF_,comdat
	.protected	_ZN7rocprim17ROCPRIM_400000_NS6detail17trampoline_kernelINS0_13kernel_configILj256ELj4ELj4294967295EEENS1_37radix_sort_block_sort_config_selectorIslEEZNS1_21radix_sort_block_sortIS4_Lb0EPsS8_N6thrust23THRUST_200600_302600_NS10device_ptrIlEESC_NS0_19identity_decomposerEEE10hipError_tT1_T2_T3_T4_jRjT5_jjP12ihipStream_tbEUlT_E_NS1_11comp_targetILNS1_3genE9ELNS1_11target_archE1100ELNS1_3gpuE3ELNS1_3repE0EEENS1_44radix_sort_block_sort_config_static_selectorELNS0_4arch9wavefront6targetE1EEEvSF_ ; -- Begin function _ZN7rocprim17ROCPRIM_400000_NS6detail17trampoline_kernelINS0_13kernel_configILj256ELj4ELj4294967295EEENS1_37radix_sort_block_sort_config_selectorIslEEZNS1_21radix_sort_block_sortIS4_Lb0EPsS8_N6thrust23THRUST_200600_302600_NS10device_ptrIlEESC_NS0_19identity_decomposerEEE10hipError_tT1_T2_T3_T4_jRjT5_jjP12ihipStream_tbEUlT_E_NS1_11comp_targetILNS1_3genE9ELNS1_11target_archE1100ELNS1_3gpuE3ELNS1_3repE0EEENS1_44radix_sort_block_sort_config_static_selectorELNS0_4arch9wavefront6targetE1EEEvSF_
	.globl	_ZN7rocprim17ROCPRIM_400000_NS6detail17trampoline_kernelINS0_13kernel_configILj256ELj4ELj4294967295EEENS1_37radix_sort_block_sort_config_selectorIslEEZNS1_21radix_sort_block_sortIS4_Lb0EPsS8_N6thrust23THRUST_200600_302600_NS10device_ptrIlEESC_NS0_19identity_decomposerEEE10hipError_tT1_T2_T3_T4_jRjT5_jjP12ihipStream_tbEUlT_E_NS1_11comp_targetILNS1_3genE9ELNS1_11target_archE1100ELNS1_3gpuE3ELNS1_3repE0EEENS1_44radix_sort_block_sort_config_static_selectorELNS0_4arch9wavefront6targetE1EEEvSF_
	.p2align	8
	.type	_ZN7rocprim17ROCPRIM_400000_NS6detail17trampoline_kernelINS0_13kernel_configILj256ELj4ELj4294967295EEENS1_37radix_sort_block_sort_config_selectorIslEEZNS1_21radix_sort_block_sortIS4_Lb0EPsS8_N6thrust23THRUST_200600_302600_NS10device_ptrIlEESC_NS0_19identity_decomposerEEE10hipError_tT1_T2_T3_T4_jRjT5_jjP12ihipStream_tbEUlT_E_NS1_11comp_targetILNS1_3genE9ELNS1_11target_archE1100ELNS1_3gpuE3ELNS1_3repE0EEENS1_44radix_sort_block_sort_config_static_selectorELNS0_4arch9wavefront6targetE1EEEvSF_,@function
_ZN7rocprim17ROCPRIM_400000_NS6detail17trampoline_kernelINS0_13kernel_configILj256ELj4ELj4294967295EEENS1_37radix_sort_block_sort_config_selectorIslEEZNS1_21radix_sort_block_sortIS4_Lb0EPsS8_N6thrust23THRUST_200600_302600_NS10device_ptrIlEESC_NS0_19identity_decomposerEEE10hipError_tT1_T2_T3_T4_jRjT5_jjP12ihipStream_tbEUlT_E_NS1_11comp_targetILNS1_3genE9ELNS1_11target_archE1100ELNS1_3gpuE3ELNS1_3repE0EEENS1_44radix_sort_block_sort_config_static_selectorELNS0_4arch9wavefront6targetE1EEEvSF_: ; @_ZN7rocprim17ROCPRIM_400000_NS6detail17trampoline_kernelINS0_13kernel_configILj256ELj4ELj4294967295EEENS1_37radix_sort_block_sort_config_selectorIslEEZNS1_21radix_sort_block_sortIS4_Lb0EPsS8_N6thrust23THRUST_200600_302600_NS10device_ptrIlEESC_NS0_19identity_decomposerEEE10hipError_tT1_T2_T3_T4_jRjT5_jjP12ihipStream_tbEUlT_E_NS1_11comp_targetILNS1_3genE9ELNS1_11target_archE1100ELNS1_3gpuE3ELNS1_3repE0EEENS1_44radix_sort_block_sort_config_static_selectorELNS0_4arch9wavefront6targetE1EEEvSF_
; %bb.0:
	.section	.rodata,"a",@progbits
	.p2align	6, 0x0
	.amdhsa_kernel _ZN7rocprim17ROCPRIM_400000_NS6detail17trampoline_kernelINS0_13kernel_configILj256ELj4ELj4294967295EEENS1_37radix_sort_block_sort_config_selectorIslEEZNS1_21radix_sort_block_sortIS4_Lb0EPsS8_N6thrust23THRUST_200600_302600_NS10device_ptrIlEESC_NS0_19identity_decomposerEEE10hipError_tT1_T2_T3_T4_jRjT5_jjP12ihipStream_tbEUlT_E_NS1_11comp_targetILNS1_3genE9ELNS1_11target_archE1100ELNS1_3gpuE3ELNS1_3repE0EEENS1_44radix_sort_block_sort_config_static_selectorELNS0_4arch9wavefront6targetE1EEEvSF_
		.amdhsa_group_segment_fixed_size 0
		.amdhsa_private_segment_fixed_size 0
		.amdhsa_kernarg_size 48
		.amdhsa_user_sgpr_count 6
		.amdhsa_user_sgpr_private_segment_buffer 1
		.amdhsa_user_sgpr_dispatch_ptr 0
		.amdhsa_user_sgpr_queue_ptr 0
		.amdhsa_user_sgpr_kernarg_segment_ptr 1
		.amdhsa_user_sgpr_dispatch_id 0
		.amdhsa_user_sgpr_flat_scratch_init 0
		.amdhsa_user_sgpr_private_segment_size 0
		.amdhsa_uses_dynamic_stack 0
		.amdhsa_system_sgpr_private_segment_wavefront_offset 0
		.amdhsa_system_sgpr_workgroup_id_x 1
		.amdhsa_system_sgpr_workgroup_id_y 0
		.amdhsa_system_sgpr_workgroup_id_z 0
		.amdhsa_system_sgpr_workgroup_info 0
		.amdhsa_system_vgpr_workitem_id 0
		.amdhsa_next_free_vgpr 1
		.amdhsa_next_free_sgpr 0
		.amdhsa_reserve_vcc 0
		.amdhsa_reserve_flat_scratch 0
		.amdhsa_float_round_mode_32 0
		.amdhsa_float_round_mode_16_64 0
		.amdhsa_float_denorm_mode_32 3
		.amdhsa_float_denorm_mode_16_64 3
		.amdhsa_dx10_clamp 1
		.amdhsa_ieee_mode 1
		.amdhsa_fp16_overflow 0
		.amdhsa_exception_fp_ieee_invalid_op 0
		.amdhsa_exception_fp_denorm_src 0
		.amdhsa_exception_fp_ieee_div_zero 0
		.amdhsa_exception_fp_ieee_overflow 0
		.amdhsa_exception_fp_ieee_underflow 0
		.amdhsa_exception_fp_ieee_inexact 0
		.amdhsa_exception_int_div_zero 0
	.end_amdhsa_kernel
	.section	.text._ZN7rocprim17ROCPRIM_400000_NS6detail17trampoline_kernelINS0_13kernel_configILj256ELj4ELj4294967295EEENS1_37radix_sort_block_sort_config_selectorIslEEZNS1_21radix_sort_block_sortIS4_Lb0EPsS8_N6thrust23THRUST_200600_302600_NS10device_ptrIlEESC_NS0_19identity_decomposerEEE10hipError_tT1_T2_T3_T4_jRjT5_jjP12ihipStream_tbEUlT_E_NS1_11comp_targetILNS1_3genE9ELNS1_11target_archE1100ELNS1_3gpuE3ELNS1_3repE0EEENS1_44radix_sort_block_sort_config_static_selectorELNS0_4arch9wavefront6targetE1EEEvSF_,"axG",@progbits,_ZN7rocprim17ROCPRIM_400000_NS6detail17trampoline_kernelINS0_13kernel_configILj256ELj4ELj4294967295EEENS1_37radix_sort_block_sort_config_selectorIslEEZNS1_21radix_sort_block_sortIS4_Lb0EPsS8_N6thrust23THRUST_200600_302600_NS10device_ptrIlEESC_NS0_19identity_decomposerEEE10hipError_tT1_T2_T3_T4_jRjT5_jjP12ihipStream_tbEUlT_E_NS1_11comp_targetILNS1_3genE9ELNS1_11target_archE1100ELNS1_3gpuE3ELNS1_3repE0EEENS1_44radix_sort_block_sort_config_static_selectorELNS0_4arch9wavefront6targetE1EEEvSF_,comdat
.Lfunc_end1265:
	.size	_ZN7rocprim17ROCPRIM_400000_NS6detail17trampoline_kernelINS0_13kernel_configILj256ELj4ELj4294967295EEENS1_37radix_sort_block_sort_config_selectorIslEEZNS1_21radix_sort_block_sortIS4_Lb0EPsS8_N6thrust23THRUST_200600_302600_NS10device_ptrIlEESC_NS0_19identity_decomposerEEE10hipError_tT1_T2_T3_T4_jRjT5_jjP12ihipStream_tbEUlT_E_NS1_11comp_targetILNS1_3genE9ELNS1_11target_archE1100ELNS1_3gpuE3ELNS1_3repE0EEENS1_44radix_sort_block_sort_config_static_selectorELNS0_4arch9wavefront6targetE1EEEvSF_, .Lfunc_end1265-_ZN7rocprim17ROCPRIM_400000_NS6detail17trampoline_kernelINS0_13kernel_configILj256ELj4ELj4294967295EEENS1_37radix_sort_block_sort_config_selectorIslEEZNS1_21radix_sort_block_sortIS4_Lb0EPsS8_N6thrust23THRUST_200600_302600_NS10device_ptrIlEESC_NS0_19identity_decomposerEEE10hipError_tT1_T2_T3_T4_jRjT5_jjP12ihipStream_tbEUlT_E_NS1_11comp_targetILNS1_3genE9ELNS1_11target_archE1100ELNS1_3gpuE3ELNS1_3repE0EEENS1_44radix_sort_block_sort_config_static_selectorELNS0_4arch9wavefront6targetE1EEEvSF_
                                        ; -- End function
	.set _ZN7rocprim17ROCPRIM_400000_NS6detail17trampoline_kernelINS0_13kernel_configILj256ELj4ELj4294967295EEENS1_37radix_sort_block_sort_config_selectorIslEEZNS1_21radix_sort_block_sortIS4_Lb0EPsS8_N6thrust23THRUST_200600_302600_NS10device_ptrIlEESC_NS0_19identity_decomposerEEE10hipError_tT1_T2_T3_T4_jRjT5_jjP12ihipStream_tbEUlT_E_NS1_11comp_targetILNS1_3genE9ELNS1_11target_archE1100ELNS1_3gpuE3ELNS1_3repE0EEENS1_44radix_sort_block_sort_config_static_selectorELNS0_4arch9wavefront6targetE1EEEvSF_.num_vgpr, 0
	.set _ZN7rocprim17ROCPRIM_400000_NS6detail17trampoline_kernelINS0_13kernel_configILj256ELj4ELj4294967295EEENS1_37radix_sort_block_sort_config_selectorIslEEZNS1_21radix_sort_block_sortIS4_Lb0EPsS8_N6thrust23THRUST_200600_302600_NS10device_ptrIlEESC_NS0_19identity_decomposerEEE10hipError_tT1_T2_T3_T4_jRjT5_jjP12ihipStream_tbEUlT_E_NS1_11comp_targetILNS1_3genE9ELNS1_11target_archE1100ELNS1_3gpuE3ELNS1_3repE0EEENS1_44radix_sort_block_sort_config_static_selectorELNS0_4arch9wavefront6targetE1EEEvSF_.num_agpr, 0
	.set _ZN7rocprim17ROCPRIM_400000_NS6detail17trampoline_kernelINS0_13kernel_configILj256ELj4ELj4294967295EEENS1_37radix_sort_block_sort_config_selectorIslEEZNS1_21radix_sort_block_sortIS4_Lb0EPsS8_N6thrust23THRUST_200600_302600_NS10device_ptrIlEESC_NS0_19identity_decomposerEEE10hipError_tT1_T2_T3_T4_jRjT5_jjP12ihipStream_tbEUlT_E_NS1_11comp_targetILNS1_3genE9ELNS1_11target_archE1100ELNS1_3gpuE3ELNS1_3repE0EEENS1_44radix_sort_block_sort_config_static_selectorELNS0_4arch9wavefront6targetE1EEEvSF_.numbered_sgpr, 0
	.set _ZN7rocprim17ROCPRIM_400000_NS6detail17trampoline_kernelINS0_13kernel_configILj256ELj4ELj4294967295EEENS1_37radix_sort_block_sort_config_selectorIslEEZNS1_21radix_sort_block_sortIS4_Lb0EPsS8_N6thrust23THRUST_200600_302600_NS10device_ptrIlEESC_NS0_19identity_decomposerEEE10hipError_tT1_T2_T3_T4_jRjT5_jjP12ihipStream_tbEUlT_E_NS1_11comp_targetILNS1_3genE9ELNS1_11target_archE1100ELNS1_3gpuE3ELNS1_3repE0EEENS1_44radix_sort_block_sort_config_static_selectorELNS0_4arch9wavefront6targetE1EEEvSF_.num_named_barrier, 0
	.set _ZN7rocprim17ROCPRIM_400000_NS6detail17trampoline_kernelINS0_13kernel_configILj256ELj4ELj4294967295EEENS1_37radix_sort_block_sort_config_selectorIslEEZNS1_21radix_sort_block_sortIS4_Lb0EPsS8_N6thrust23THRUST_200600_302600_NS10device_ptrIlEESC_NS0_19identity_decomposerEEE10hipError_tT1_T2_T3_T4_jRjT5_jjP12ihipStream_tbEUlT_E_NS1_11comp_targetILNS1_3genE9ELNS1_11target_archE1100ELNS1_3gpuE3ELNS1_3repE0EEENS1_44radix_sort_block_sort_config_static_selectorELNS0_4arch9wavefront6targetE1EEEvSF_.private_seg_size, 0
	.set _ZN7rocprim17ROCPRIM_400000_NS6detail17trampoline_kernelINS0_13kernel_configILj256ELj4ELj4294967295EEENS1_37radix_sort_block_sort_config_selectorIslEEZNS1_21radix_sort_block_sortIS4_Lb0EPsS8_N6thrust23THRUST_200600_302600_NS10device_ptrIlEESC_NS0_19identity_decomposerEEE10hipError_tT1_T2_T3_T4_jRjT5_jjP12ihipStream_tbEUlT_E_NS1_11comp_targetILNS1_3genE9ELNS1_11target_archE1100ELNS1_3gpuE3ELNS1_3repE0EEENS1_44radix_sort_block_sort_config_static_selectorELNS0_4arch9wavefront6targetE1EEEvSF_.uses_vcc, 0
	.set _ZN7rocprim17ROCPRIM_400000_NS6detail17trampoline_kernelINS0_13kernel_configILj256ELj4ELj4294967295EEENS1_37radix_sort_block_sort_config_selectorIslEEZNS1_21radix_sort_block_sortIS4_Lb0EPsS8_N6thrust23THRUST_200600_302600_NS10device_ptrIlEESC_NS0_19identity_decomposerEEE10hipError_tT1_T2_T3_T4_jRjT5_jjP12ihipStream_tbEUlT_E_NS1_11comp_targetILNS1_3genE9ELNS1_11target_archE1100ELNS1_3gpuE3ELNS1_3repE0EEENS1_44radix_sort_block_sort_config_static_selectorELNS0_4arch9wavefront6targetE1EEEvSF_.uses_flat_scratch, 0
	.set _ZN7rocprim17ROCPRIM_400000_NS6detail17trampoline_kernelINS0_13kernel_configILj256ELj4ELj4294967295EEENS1_37radix_sort_block_sort_config_selectorIslEEZNS1_21radix_sort_block_sortIS4_Lb0EPsS8_N6thrust23THRUST_200600_302600_NS10device_ptrIlEESC_NS0_19identity_decomposerEEE10hipError_tT1_T2_T3_T4_jRjT5_jjP12ihipStream_tbEUlT_E_NS1_11comp_targetILNS1_3genE9ELNS1_11target_archE1100ELNS1_3gpuE3ELNS1_3repE0EEENS1_44radix_sort_block_sort_config_static_selectorELNS0_4arch9wavefront6targetE1EEEvSF_.has_dyn_sized_stack, 0
	.set _ZN7rocprim17ROCPRIM_400000_NS6detail17trampoline_kernelINS0_13kernel_configILj256ELj4ELj4294967295EEENS1_37radix_sort_block_sort_config_selectorIslEEZNS1_21radix_sort_block_sortIS4_Lb0EPsS8_N6thrust23THRUST_200600_302600_NS10device_ptrIlEESC_NS0_19identity_decomposerEEE10hipError_tT1_T2_T3_T4_jRjT5_jjP12ihipStream_tbEUlT_E_NS1_11comp_targetILNS1_3genE9ELNS1_11target_archE1100ELNS1_3gpuE3ELNS1_3repE0EEENS1_44radix_sort_block_sort_config_static_selectorELNS0_4arch9wavefront6targetE1EEEvSF_.has_recursion, 0
	.set _ZN7rocprim17ROCPRIM_400000_NS6detail17trampoline_kernelINS0_13kernel_configILj256ELj4ELj4294967295EEENS1_37radix_sort_block_sort_config_selectorIslEEZNS1_21radix_sort_block_sortIS4_Lb0EPsS8_N6thrust23THRUST_200600_302600_NS10device_ptrIlEESC_NS0_19identity_decomposerEEE10hipError_tT1_T2_T3_T4_jRjT5_jjP12ihipStream_tbEUlT_E_NS1_11comp_targetILNS1_3genE9ELNS1_11target_archE1100ELNS1_3gpuE3ELNS1_3repE0EEENS1_44radix_sort_block_sort_config_static_selectorELNS0_4arch9wavefront6targetE1EEEvSF_.has_indirect_call, 0
	.section	.AMDGPU.csdata,"",@progbits
; Kernel info:
; codeLenInByte = 0
; TotalNumSgprs: 4
; NumVgprs: 0
; ScratchSize: 0
; MemoryBound: 0
; FloatMode: 240
; IeeeMode: 1
; LDSByteSize: 0 bytes/workgroup (compile time only)
; SGPRBlocks: 0
; VGPRBlocks: 0
; NumSGPRsForWavesPerEU: 4
; NumVGPRsForWavesPerEU: 1
; Occupancy: 10
; WaveLimiterHint : 0
; COMPUTE_PGM_RSRC2:SCRATCH_EN: 0
; COMPUTE_PGM_RSRC2:USER_SGPR: 6
; COMPUTE_PGM_RSRC2:TRAP_HANDLER: 0
; COMPUTE_PGM_RSRC2:TGID_X_EN: 1
; COMPUTE_PGM_RSRC2:TGID_Y_EN: 0
; COMPUTE_PGM_RSRC2:TGID_Z_EN: 0
; COMPUTE_PGM_RSRC2:TIDIG_COMP_CNT: 0
	.section	.text._ZN7rocprim17ROCPRIM_400000_NS6detail17trampoline_kernelINS0_13kernel_configILj256ELj4ELj4294967295EEENS1_37radix_sort_block_sort_config_selectorIslEEZNS1_21radix_sort_block_sortIS4_Lb0EPsS8_N6thrust23THRUST_200600_302600_NS10device_ptrIlEESC_NS0_19identity_decomposerEEE10hipError_tT1_T2_T3_T4_jRjT5_jjP12ihipStream_tbEUlT_E_NS1_11comp_targetILNS1_3genE8ELNS1_11target_archE1030ELNS1_3gpuE2ELNS1_3repE0EEENS1_44radix_sort_block_sort_config_static_selectorELNS0_4arch9wavefront6targetE1EEEvSF_,"axG",@progbits,_ZN7rocprim17ROCPRIM_400000_NS6detail17trampoline_kernelINS0_13kernel_configILj256ELj4ELj4294967295EEENS1_37radix_sort_block_sort_config_selectorIslEEZNS1_21radix_sort_block_sortIS4_Lb0EPsS8_N6thrust23THRUST_200600_302600_NS10device_ptrIlEESC_NS0_19identity_decomposerEEE10hipError_tT1_T2_T3_T4_jRjT5_jjP12ihipStream_tbEUlT_E_NS1_11comp_targetILNS1_3genE8ELNS1_11target_archE1030ELNS1_3gpuE2ELNS1_3repE0EEENS1_44radix_sort_block_sort_config_static_selectorELNS0_4arch9wavefront6targetE1EEEvSF_,comdat
	.protected	_ZN7rocprim17ROCPRIM_400000_NS6detail17trampoline_kernelINS0_13kernel_configILj256ELj4ELj4294967295EEENS1_37radix_sort_block_sort_config_selectorIslEEZNS1_21radix_sort_block_sortIS4_Lb0EPsS8_N6thrust23THRUST_200600_302600_NS10device_ptrIlEESC_NS0_19identity_decomposerEEE10hipError_tT1_T2_T3_T4_jRjT5_jjP12ihipStream_tbEUlT_E_NS1_11comp_targetILNS1_3genE8ELNS1_11target_archE1030ELNS1_3gpuE2ELNS1_3repE0EEENS1_44radix_sort_block_sort_config_static_selectorELNS0_4arch9wavefront6targetE1EEEvSF_ ; -- Begin function _ZN7rocprim17ROCPRIM_400000_NS6detail17trampoline_kernelINS0_13kernel_configILj256ELj4ELj4294967295EEENS1_37radix_sort_block_sort_config_selectorIslEEZNS1_21radix_sort_block_sortIS4_Lb0EPsS8_N6thrust23THRUST_200600_302600_NS10device_ptrIlEESC_NS0_19identity_decomposerEEE10hipError_tT1_T2_T3_T4_jRjT5_jjP12ihipStream_tbEUlT_E_NS1_11comp_targetILNS1_3genE8ELNS1_11target_archE1030ELNS1_3gpuE2ELNS1_3repE0EEENS1_44radix_sort_block_sort_config_static_selectorELNS0_4arch9wavefront6targetE1EEEvSF_
	.globl	_ZN7rocprim17ROCPRIM_400000_NS6detail17trampoline_kernelINS0_13kernel_configILj256ELj4ELj4294967295EEENS1_37radix_sort_block_sort_config_selectorIslEEZNS1_21radix_sort_block_sortIS4_Lb0EPsS8_N6thrust23THRUST_200600_302600_NS10device_ptrIlEESC_NS0_19identity_decomposerEEE10hipError_tT1_T2_T3_T4_jRjT5_jjP12ihipStream_tbEUlT_E_NS1_11comp_targetILNS1_3genE8ELNS1_11target_archE1030ELNS1_3gpuE2ELNS1_3repE0EEENS1_44radix_sort_block_sort_config_static_selectorELNS0_4arch9wavefront6targetE1EEEvSF_
	.p2align	8
	.type	_ZN7rocprim17ROCPRIM_400000_NS6detail17trampoline_kernelINS0_13kernel_configILj256ELj4ELj4294967295EEENS1_37radix_sort_block_sort_config_selectorIslEEZNS1_21radix_sort_block_sortIS4_Lb0EPsS8_N6thrust23THRUST_200600_302600_NS10device_ptrIlEESC_NS0_19identity_decomposerEEE10hipError_tT1_T2_T3_T4_jRjT5_jjP12ihipStream_tbEUlT_E_NS1_11comp_targetILNS1_3genE8ELNS1_11target_archE1030ELNS1_3gpuE2ELNS1_3repE0EEENS1_44radix_sort_block_sort_config_static_selectorELNS0_4arch9wavefront6targetE1EEEvSF_,@function
_ZN7rocprim17ROCPRIM_400000_NS6detail17trampoline_kernelINS0_13kernel_configILj256ELj4ELj4294967295EEENS1_37radix_sort_block_sort_config_selectorIslEEZNS1_21radix_sort_block_sortIS4_Lb0EPsS8_N6thrust23THRUST_200600_302600_NS10device_ptrIlEESC_NS0_19identity_decomposerEEE10hipError_tT1_T2_T3_T4_jRjT5_jjP12ihipStream_tbEUlT_E_NS1_11comp_targetILNS1_3genE8ELNS1_11target_archE1030ELNS1_3gpuE2ELNS1_3repE0EEENS1_44radix_sort_block_sort_config_static_selectorELNS0_4arch9wavefront6targetE1EEEvSF_: ; @_ZN7rocprim17ROCPRIM_400000_NS6detail17trampoline_kernelINS0_13kernel_configILj256ELj4ELj4294967295EEENS1_37radix_sort_block_sort_config_selectorIslEEZNS1_21radix_sort_block_sortIS4_Lb0EPsS8_N6thrust23THRUST_200600_302600_NS10device_ptrIlEESC_NS0_19identity_decomposerEEE10hipError_tT1_T2_T3_T4_jRjT5_jjP12ihipStream_tbEUlT_E_NS1_11comp_targetILNS1_3genE8ELNS1_11target_archE1030ELNS1_3gpuE2ELNS1_3repE0EEENS1_44radix_sort_block_sort_config_static_selectorELNS0_4arch9wavefront6targetE1EEEvSF_
; %bb.0:
	.section	.rodata,"a",@progbits
	.p2align	6, 0x0
	.amdhsa_kernel _ZN7rocprim17ROCPRIM_400000_NS6detail17trampoline_kernelINS0_13kernel_configILj256ELj4ELj4294967295EEENS1_37radix_sort_block_sort_config_selectorIslEEZNS1_21radix_sort_block_sortIS4_Lb0EPsS8_N6thrust23THRUST_200600_302600_NS10device_ptrIlEESC_NS0_19identity_decomposerEEE10hipError_tT1_T2_T3_T4_jRjT5_jjP12ihipStream_tbEUlT_E_NS1_11comp_targetILNS1_3genE8ELNS1_11target_archE1030ELNS1_3gpuE2ELNS1_3repE0EEENS1_44radix_sort_block_sort_config_static_selectorELNS0_4arch9wavefront6targetE1EEEvSF_
		.amdhsa_group_segment_fixed_size 0
		.amdhsa_private_segment_fixed_size 0
		.amdhsa_kernarg_size 48
		.amdhsa_user_sgpr_count 6
		.amdhsa_user_sgpr_private_segment_buffer 1
		.amdhsa_user_sgpr_dispatch_ptr 0
		.amdhsa_user_sgpr_queue_ptr 0
		.amdhsa_user_sgpr_kernarg_segment_ptr 1
		.amdhsa_user_sgpr_dispatch_id 0
		.amdhsa_user_sgpr_flat_scratch_init 0
		.amdhsa_user_sgpr_private_segment_size 0
		.amdhsa_uses_dynamic_stack 0
		.amdhsa_system_sgpr_private_segment_wavefront_offset 0
		.amdhsa_system_sgpr_workgroup_id_x 1
		.amdhsa_system_sgpr_workgroup_id_y 0
		.amdhsa_system_sgpr_workgroup_id_z 0
		.amdhsa_system_sgpr_workgroup_info 0
		.amdhsa_system_vgpr_workitem_id 0
		.amdhsa_next_free_vgpr 1
		.amdhsa_next_free_sgpr 0
		.amdhsa_reserve_vcc 0
		.amdhsa_reserve_flat_scratch 0
		.amdhsa_float_round_mode_32 0
		.amdhsa_float_round_mode_16_64 0
		.amdhsa_float_denorm_mode_32 3
		.amdhsa_float_denorm_mode_16_64 3
		.amdhsa_dx10_clamp 1
		.amdhsa_ieee_mode 1
		.amdhsa_fp16_overflow 0
		.amdhsa_exception_fp_ieee_invalid_op 0
		.amdhsa_exception_fp_denorm_src 0
		.amdhsa_exception_fp_ieee_div_zero 0
		.amdhsa_exception_fp_ieee_overflow 0
		.amdhsa_exception_fp_ieee_underflow 0
		.amdhsa_exception_fp_ieee_inexact 0
		.amdhsa_exception_int_div_zero 0
	.end_amdhsa_kernel
	.section	.text._ZN7rocprim17ROCPRIM_400000_NS6detail17trampoline_kernelINS0_13kernel_configILj256ELj4ELj4294967295EEENS1_37radix_sort_block_sort_config_selectorIslEEZNS1_21radix_sort_block_sortIS4_Lb0EPsS8_N6thrust23THRUST_200600_302600_NS10device_ptrIlEESC_NS0_19identity_decomposerEEE10hipError_tT1_T2_T3_T4_jRjT5_jjP12ihipStream_tbEUlT_E_NS1_11comp_targetILNS1_3genE8ELNS1_11target_archE1030ELNS1_3gpuE2ELNS1_3repE0EEENS1_44radix_sort_block_sort_config_static_selectorELNS0_4arch9wavefront6targetE1EEEvSF_,"axG",@progbits,_ZN7rocprim17ROCPRIM_400000_NS6detail17trampoline_kernelINS0_13kernel_configILj256ELj4ELj4294967295EEENS1_37radix_sort_block_sort_config_selectorIslEEZNS1_21radix_sort_block_sortIS4_Lb0EPsS8_N6thrust23THRUST_200600_302600_NS10device_ptrIlEESC_NS0_19identity_decomposerEEE10hipError_tT1_T2_T3_T4_jRjT5_jjP12ihipStream_tbEUlT_E_NS1_11comp_targetILNS1_3genE8ELNS1_11target_archE1030ELNS1_3gpuE2ELNS1_3repE0EEENS1_44radix_sort_block_sort_config_static_selectorELNS0_4arch9wavefront6targetE1EEEvSF_,comdat
.Lfunc_end1266:
	.size	_ZN7rocprim17ROCPRIM_400000_NS6detail17trampoline_kernelINS0_13kernel_configILj256ELj4ELj4294967295EEENS1_37radix_sort_block_sort_config_selectorIslEEZNS1_21radix_sort_block_sortIS4_Lb0EPsS8_N6thrust23THRUST_200600_302600_NS10device_ptrIlEESC_NS0_19identity_decomposerEEE10hipError_tT1_T2_T3_T4_jRjT5_jjP12ihipStream_tbEUlT_E_NS1_11comp_targetILNS1_3genE8ELNS1_11target_archE1030ELNS1_3gpuE2ELNS1_3repE0EEENS1_44radix_sort_block_sort_config_static_selectorELNS0_4arch9wavefront6targetE1EEEvSF_, .Lfunc_end1266-_ZN7rocprim17ROCPRIM_400000_NS6detail17trampoline_kernelINS0_13kernel_configILj256ELj4ELj4294967295EEENS1_37radix_sort_block_sort_config_selectorIslEEZNS1_21radix_sort_block_sortIS4_Lb0EPsS8_N6thrust23THRUST_200600_302600_NS10device_ptrIlEESC_NS0_19identity_decomposerEEE10hipError_tT1_T2_T3_T4_jRjT5_jjP12ihipStream_tbEUlT_E_NS1_11comp_targetILNS1_3genE8ELNS1_11target_archE1030ELNS1_3gpuE2ELNS1_3repE0EEENS1_44radix_sort_block_sort_config_static_selectorELNS0_4arch9wavefront6targetE1EEEvSF_
                                        ; -- End function
	.set _ZN7rocprim17ROCPRIM_400000_NS6detail17trampoline_kernelINS0_13kernel_configILj256ELj4ELj4294967295EEENS1_37radix_sort_block_sort_config_selectorIslEEZNS1_21radix_sort_block_sortIS4_Lb0EPsS8_N6thrust23THRUST_200600_302600_NS10device_ptrIlEESC_NS0_19identity_decomposerEEE10hipError_tT1_T2_T3_T4_jRjT5_jjP12ihipStream_tbEUlT_E_NS1_11comp_targetILNS1_3genE8ELNS1_11target_archE1030ELNS1_3gpuE2ELNS1_3repE0EEENS1_44radix_sort_block_sort_config_static_selectorELNS0_4arch9wavefront6targetE1EEEvSF_.num_vgpr, 0
	.set _ZN7rocprim17ROCPRIM_400000_NS6detail17trampoline_kernelINS0_13kernel_configILj256ELj4ELj4294967295EEENS1_37radix_sort_block_sort_config_selectorIslEEZNS1_21radix_sort_block_sortIS4_Lb0EPsS8_N6thrust23THRUST_200600_302600_NS10device_ptrIlEESC_NS0_19identity_decomposerEEE10hipError_tT1_T2_T3_T4_jRjT5_jjP12ihipStream_tbEUlT_E_NS1_11comp_targetILNS1_3genE8ELNS1_11target_archE1030ELNS1_3gpuE2ELNS1_3repE0EEENS1_44radix_sort_block_sort_config_static_selectorELNS0_4arch9wavefront6targetE1EEEvSF_.num_agpr, 0
	.set _ZN7rocprim17ROCPRIM_400000_NS6detail17trampoline_kernelINS0_13kernel_configILj256ELj4ELj4294967295EEENS1_37radix_sort_block_sort_config_selectorIslEEZNS1_21radix_sort_block_sortIS4_Lb0EPsS8_N6thrust23THRUST_200600_302600_NS10device_ptrIlEESC_NS0_19identity_decomposerEEE10hipError_tT1_T2_T3_T4_jRjT5_jjP12ihipStream_tbEUlT_E_NS1_11comp_targetILNS1_3genE8ELNS1_11target_archE1030ELNS1_3gpuE2ELNS1_3repE0EEENS1_44radix_sort_block_sort_config_static_selectorELNS0_4arch9wavefront6targetE1EEEvSF_.numbered_sgpr, 0
	.set _ZN7rocprim17ROCPRIM_400000_NS6detail17trampoline_kernelINS0_13kernel_configILj256ELj4ELj4294967295EEENS1_37radix_sort_block_sort_config_selectorIslEEZNS1_21radix_sort_block_sortIS4_Lb0EPsS8_N6thrust23THRUST_200600_302600_NS10device_ptrIlEESC_NS0_19identity_decomposerEEE10hipError_tT1_T2_T3_T4_jRjT5_jjP12ihipStream_tbEUlT_E_NS1_11comp_targetILNS1_3genE8ELNS1_11target_archE1030ELNS1_3gpuE2ELNS1_3repE0EEENS1_44radix_sort_block_sort_config_static_selectorELNS0_4arch9wavefront6targetE1EEEvSF_.num_named_barrier, 0
	.set _ZN7rocprim17ROCPRIM_400000_NS6detail17trampoline_kernelINS0_13kernel_configILj256ELj4ELj4294967295EEENS1_37radix_sort_block_sort_config_selectorIslEEZNS1_21radix_sort_block_sortIS4_Lb0EPsS8_N6thrust23THRUST_200600_302600_NS10device_ptrIlEESC_NS0_19identity_decomposerEEE10hipError_tT1_T2_T3_T4_jRjT5_jjP12ihipStream_tbEUlT_E_NS1_11comp_targetILNS1_3genE8ELNS1_11target_archE1030ELNS1_3gpuE2ELNS1_3repE0EEENS1_44radix_sort_block_sort_config_static_selectorELNS0_4arch9wavefront6targetE1EEEvSF_.private_seg_size, 0
	.set _ZN7rocprim17ROCPRIM_400000_NS6detail17trampoline_kernelINS0_13kernel_configILj256ELj4ELj4294967295EEENS1_37radix_sort_block_sort_config_selectorIslEEZNS1_21radix_sort_block_sortIS4_Lb0EPsS8_N6thrust23THRUST_200600_302600_NS10device_ptrIlEESC_NS0_19identity_decomposerEEE10hipError_tT1_T2_T3_T4_jRjT5_jjP12ihipStream_tbEUlT_E_NS1_11comp_targetILNS1_3genE8ELNS1_11target_archE1030ELNS1_3gpuE2ELNS1_3repE0EEENS1_44radix_sort_block_sort_config_static_selectorELNS0_4arch9wavefront6targetE1EEEvSF_.uses_vcc, 0
	.set _ZN7rocprim17ROCPRIM_400000_NS6detail17trampoline_kernelINS0_13kernel_configILj256ELj4ELj4294967295EEENS1_37radix_sort_block_sort_config_selectorIslEEZNS1_21radix_sort_block_sortIS4_Lb0EPsS8_N6thrust23THRUST_200600_302600_NS10device_ptrIlEESC_NS0_19identity_decomposerEEE10hipError_tT1_T2_T3_T4_jRjT5_jjP12ihipStream_tbEUlT_E_NS1_11comp_targetILNS1_3genE8ELNS1_11target_archE1030ELNS1_3gpuE2ELNS1_3repE0EEENS1_44radix_sort_block_sort_config_static_selectorELNS0_4arch9wavefront6targetE1EEEvSF_.uses_flat_scratch, 0
	.set _ZN7rocprim17ROCPRIM_400000_NS6detail17trampoline_kernelINS0_13kernel_configILj256ELj4ELj4294967295EEENS1_37radix_sort_block_sort_config_selectorIslEEZNS1_21radix_sort_block_sortIS4_Lb0EPsS8_N6thrust23THRUST_200600_302600_NS10device_ptrIlEESC_NS0_19identity_decomposerEEE10hipError_tT1_T2_T3_T4_jRjT5_jjP12ihipStream_tbEUlT_E_NS1_11comp_targetILNS1_3genE8ELNS1_11target_archE1030ELNS1_3gpuE2ELNS1_3repE0EEENS1_44radix_sort_block_sort_config_static_selectorELNS0_4arch9wavefront6targetE1EEEvSF_.has_dyn_sized_stack, 0
	.set _ZN7rocprim17ROCPRIM_400000_NS6detail17trampoline_kernelINS0_13kernel_configILj256ELj4ELj4294967295EEENS1_37radix_sort_block_sort_config_selectorIslEEZNS1_21radix_sort_block_sortIS4_Lb0EPsS8_N6thrust23THRUST_200600_302600_NS10device_ptrIlEESC_NS0_19identity_decomposerEEE10hipError_tT1_T2_T3_T4_jRjT5_jjP12ihipStream_tbEUlT_E_NS1_11comp_targetILNS1_3genE8ELNS1_11target_archE1030ELNS1_3gpuE2ELNS1_3repE0EEENS1_44radix_sort_block_sort_config_static_selectorELNS0_4arch9wavefront6targetE1EEEvSF_.has_recursion, 0
	.set _ZN7rocprim17ROCPRIM_400000_NS6detail17trampoline_kernelINS0_13kernel_configILj256ELj4ELj4294967295EEENS1_37radix_sort_block_sort_config_selectorIslEEZNS1_21radix_sort_block_sortIS4_Lb0EPsS8_N6thrust23THRUST_200600_302600_NS10device_ptrIlEESC_NS0_19identity_decomposerEEE10hipError_tT1_T2_T3_T4_jRjT5_jjP12ihipStream_tbEUlT_E_NS1_11comp_targetILNS1_3genE8ELNS1_11target_archE1030ELNS1_3gpuE2ELNS1_3repE0EEENS1_44radix_sort_block_sort_config_static_selectorELNS0_4arch9wavefront6targetE1EEEvSF_.has_indirect_call, 0
	.section	.AMDGPU.csdata,"",@progbits
; Kernel info:
; codeLenInByte = 0
; TotalNumSgprs: 4
; NumVgprs: 0
; ScratchSize: 0
; MemoryBound: 0
; FloatMode: 240
; IeeeMode: 1
; LDSByteSize: 0 bytes/workgroup (compile time only)
; SGPRBlocks: 0
; VGPRBlocks: 0
; NumSGPRsForWavesPerEU: 4
; NumVGPRsForWavesPerEU: 1
; Occupancy: 10
; WaveLimiterHint : 0
; COMPUTE_PGM_RSRC2:SCRATCH_EN: 0
; COMPUTE_PGM_RSRC2:USER_SGPR: 6
; COMPUTE_PGM_RSRC2:TRAP_HANDLER: 0
; COMPUTE_PGM_RSRC2:TGID_X_EN: 1
; COMPUTE_PGM_RSRC2:TGID_Y_EN: 0
; COMPUTE_PGM_RSRC2:TGID_Z_EN: 0
; COMPUTE_PGM_RSRC2:TIDIG_COMP_CNT: 0
	.section	.text._ZN7rocprim17ROCPRIM_400000_NS6detail44device_merge_sort_compile_time_verifier_archINS1_11comp_targetILNS1_3genE0ELNS1_11target_archE4294967295ELNS1_3gpuE0ELNS1_3repE0EEES8_NS1_28merge_sort_block_sort_configILj256ELj4ELNS0_20block_sort_algorithmE0EEENS0_14default_configENS1_37merge_sort_block_sort_config_selectorIslEENS1_38merge_sort_block_merge_config_selectorIslEEEEvv,"axG",@progbits,_ZN7rocprim17ROCPRIM_400000_NS6detail44device_merge_sort_compile_time_verifier_archINS1_11comp_targetILNS1_3genE0ELNS1_11target_archE4294967295ELNS1_3gpuE0ELNS1_3repE0EEES8_NS1_28merge_sort_block_sort_configILj256ELj4ELNS0_20block_sort_algorithmE0EEENS0_14default_configENS1_37merge_sort_block_sort_config_selectorIslEENS1_38merge_sort_block_merge_config_selectorIslEEEEvv,comdat
	.protected	_ZN7rocprim17ROCPRIM_400000_NS6detail44device_merge_sort_compile_time_verifier_archINS1_11comp_targetILNS1_3genE0ELNS1_11target_archE4294967295ELNS1_3gpuE0ELNS1_3repE0EEES8_NS1_28merge_sort_block_sort_configILj256ELj4ELNS0_20block_sort_algorithmE0EEENS0_14default_configENS1_37merge_sort_block_sort_config_selectorIslEENS1_38merge_sort_block_merge_config_selectorIslEEEEvv ; -- Begin function _ZN7rocprim17ROCPRIM_400000_NS6detail44device_merge_sort_compile_time_verifier_archINS1_11comp_targetILNS1_3genE0ELNS1_11target_archE4294967295ELNS1_3gpuE0ELNS1_3repE0EEES8_NS1_28merge_sort_block_sort_configILj256ELj4ELNS0_20block_sort_algorithmE0EEENS0_14default_configENS1_37merge_sort_block_sort_config_selectorIslEENS1_38merge_sort_block_merge_config_selectorIslEEEEvv
	.globl	_ZN7rocprim17ROCPRIM_400000_NS6detail44device_merge_sort_compile_time_verifier_archINS1_11comp_targetILNS1_3genE0ELNS1_11target_archE4294967295ELNS1_3gpuE0ELNS1_3repE0EEES8_NS1_28merge_sort_block_sort_configILj256ELj4ELNS0_20block_sort_algorithmE0EEENS0_14default_configENS1_37merge_sort_block_sort_config_selectorIslEENS1_38merge_sort_block_merge_config_selectorIslEEEEvv
	.p2align	8
	.type	_ZN7rocprim17ROCPRIM_400000_NS6detail44device_merge_sort_compile_time_verifier_archINS1_11comp_targetILNS1_3genE0ELNS1_11target_archE4294967295ELNS1_3gpuE0ELNS1_3repE0EEES8_NS1_28merge_sort_block_sort_configILj256ELj4ELNS0_20block_sort_algorithmE0EEENS0_14default_configENS1_37merge_sort_block_sort_config_selectorIslEENS1_38merge_sort_block_merge_config_selectorIslEEEEvv,@function
_ZN7rocprim17ROCPRIM_400000_NS6detail44device_merge_sort_compile_time_verifier_archINS1_11comp_targetILNS1_3genE0ELNS1_11target_archE4294967295ELNS1_3gpuE0ELNS1_3repE0EEES8_NS1_28merge_sort_block_sort_configILj256ELj4ELNS0_20block_sort_algorithmE0EEENS0_14default_configENS1_37merge_sort_block_sort_config_selectorIslEENS1_38merge_sort_block_merge_config_selectorIslEEEEvv: ; @_ZN7rocprim17ROCPRIM_400000_NS6detail44device_merge_sort_compile_time_verifier_archINS1_11comp_targetILNS1_3genE0ELNS1_11target_archE4294967295ELNS1_3gpuE0ELNS1_3repE0EEES8_NS1_28merge_sort_block_sort_configILj256ELj4ELNS0_20block_sort_algorithmE0EEENS0_14default_configENS1_37merge_sort_block_sort_config_selectorIslEENS1_38merge_sort_block_merge_config_selectorIslEEEEvv
; %bb.0:
	s_endpgm
	.section	.rodata,"a",@progbits
	.p2align	6, 0x0
	.amdhsa_kernel _ZN7rocprim17ROCPRIM_400000_NS6detail44device_merge_sort_compile_time_verifier_archINS1_11comp_targetILNS1_3genE0ELNS1_11target_archE4294967295ELNS1_3gpuE0ELNS1_3repE0EEES8_NS1_28merge_sort_block_sort_configILj256ELj4ELNS0_20block_sort_algorithmE0EEENS0_14default_configENS1_37merge_sort_block_sort_config_selectorIslEENS1_38merge_sort_block_merge_config_selectorIslEEEEvv
		.amdhsa_group_segment_fixed_size 0
		.amdhsa_private_segment_fixed_size 0
		.amdhsa_kernarg_size 0
		.amdhsa_user_sgpr_count 4
		.amdhsa_user_sgpr_private_segment_buffer 1
		.amdhsa_user_sgpr_dispatch_ptr 0
		.amdhsa_user_sgpr_queue_ptr 0
		.amdhsa_user_sgpr_kernarg_segment_ptr 0
		.amdhsa_user_sgpr_dispatch_id 0
		.amdhsa_user_sgpr_flat_scratch_init 0
		.amdhsa_user_sgpr_private_segment_size 0
		.amdhsa_uses_dynamic_stack 0
		.amdhsa_system_sgpr_private_segment_wavefront_offset 0
		.amdhsa_system_sgpr_workgroup_id_x 1
		.amdhsa_system_sgpr_workgroup_id_y 0
		.amdhsa_system_sgpr_workgroup_id_z 0
		.amdhsa_system_sgpr_workgroup_info 0
		.amdhsa_system_vgpr_workitem_id 0
		.amdhsa_next_free_vgpr 1
		.amdhsa_next_free_sgpr 0
		.amdhsa_reserve_vcc 0
		.amdhsa_reserve_flat_scratch 0
		.amdhsa_float_round_mode_32 0
		.amdhsa_float_round_mode_16_64 0
		.amdhsa_float_denorm_mode_32 3
		.amdhsa_float_denorm_mode_16_64 3
		.amdhsa_dx10_clamp 1
		.amdhsa_ieee_mode 1
		.amdhsa_fp16_overflow 0
		.amdhsa_exception_fp_ieee_invalid_op 0
		.amdhsa_exception_fp_denorm_src 0
		.amdhsa_exception_fp_ieee_div_zero 0
		.amdhsa_exception_fp_ieee_overflow 0
		.amdhsa_exception_fp_ieee_underflow 0
		.amdhsa_exception_fp_ieee_inexact 0
		.amdhsa_exception_int_div_zero 0
	.end_amdhsa_kernel
	.section	.text._ZN7rocprim17ROCPRIM_400000_NS6detail44device_merge_sort_compile_time_verifier_archINS1_11comp_targetILNS1_3genE0ELNS1_11target_archE4294967295ELNS1_3gpuE0ELNS1_3repE0EEES8_NS1_28merge_sort_block_sort_configILj256ELj4ELNS0_20block_sort_algorithmE0EEENS0_14default_configENS1_37merge_sort_block_sort_config_selectorIslEENS1_38merge_sort_block_merge_config_selectorIslEEEEvv,"axG",@progbits,_ZN7rocprim17ROCPRIM_400000_NS6detail44device_merge_sort_compile_time_verifier_archINS1_11comp_targetILNS1_3genE0ELNS1_11target_archE4294967295ELNS1_3gpuE0ELNS1_3repE0EEES8_NS1_28merge_sort_block_sort_configILj256ELj4ELNS0_20block_sort_algorithmE0EEENS0_14default_configENS1_37merge_sort_block_sort_config_selectorIslEENS1_38merge_sort_block_merge_config_selectorIslEEEEvv,comdat
.Lfunc_end1267:
	.size	_ZN7rocprim17ROCPRIM_400000_NS6detail44device_merge_sort_compile_time_verifier_archINS1_11comp_targetILNS1_3genE0ELNS1_11target_archE4294967295ELNS1_3gpuE0ELNS1_3repE0EEES8_NS1_28merge_sort_block_sort_configILj256ELj4ELNS0_20block_sort_algorithmE0EEENS0_14default_configENS1_37merge_sort_block_sort_config_selectorIslEENS1_38merge_sort_block_merge_config_selectorIslEEEEvv, .Lfunc_end1267-_ZN7rocprim17ROCPRIM_400000_NS6detail44device_merge_sort_compile_time_verifier_archINS1_11comp_targetILNS1_3genE0ELNS1_11target_archE4294967295ELNS1_3gpuE0ELNS1_3repE0EEES8_NS1_28merge_sort_block_sort_configILj256ELj4ELNS0_20block_sort_algorithmE0EEENS0_14default_configENS1_37merge_sort_block_sort_config_selectorIslEENS1_38merge_sort_block_merge_config_selectorIslEEEEvv
                                        ; -- End function
	.set _ZN7rocprim17ROCPRIM_400000_NS6detail44device_merge_sort_compile_time_verifier_archINS1_11comp_targetILNS1_3genE0ELNS1_11target_archE4294967295ELNS1_3gpuE0ELNS1_3repE0EEES8_NS1_28merge_sort_block_sort_configILj256ELj4ELNS0_20block_sort_algorithmE0EEENS0_14default_configENS1_37merge_sort_block_sort_config_selectorIslEENS1_38merge_sort_block_merge_config_selectorIslEEEEvv.num_vgpr, 0
	.set _ZN7rocprim17ROCPRIM_400000_NS6detail44device_merge_sort_compile_time_verifier_archINS1_11comp_targetILNS1_3genE0ELNS1_11target_archE4294967295ELNS1_3gpuE0ELNS1_3repE0EEES8_NS1_28merge_sort_block_sort_configILj256ELj4ELNS0_20block_sort_algorithmE0EEENS0_14default_configENS1_37merge_sort_block_sort_config_selectorIslEENS1_38merge_sort_block_merge_config_selectorIslEEEEvv.num_agpr, 0
	.set _ZN7rocprim17ROCPRIM_400000_NS6detail44device_merge_sort_compile_time_verifier_archINS1_11comp_targetILNS1_3genE0ELNS1_11target_archE4294967295ELNS1_3gpuE0ELNS1_3repE0EEES8_NS1_28merge_sort_block_sort_configILj256ELj4ELNS0_20block_sort_algorithmE0EEENS0_14default_configENS1_37merge_sort_block_sort_config_selectorIslEENS1_38merge_sort_block_merge_config_selectorIslEEEEvv.numbered_sgpr, 0
	.set _ZN7rocprim17ROCPRIM_400000_NS6detail44device_merge_sort_compile_time_verifier_archINS1_11comp_targetILNS1_3genE0ELNS1_11target_archE4294967295ELNS1_3gpuE0ELNS1_3repE0EEES8_NS1_28merge_sort_block_sort_configILj256ELj4ELNS0_20block_sort_algorithmE0EEENS0_14default_configENS1_37merge_sort_block_sort_config_selectorIslEENS1_38merge_sort_block_merge_config_selectorIslEEEEvv.num_named_barrier, 0
	.set _ZN7rocprim17ROCPRIM_400000_NS6detail44device_merge_sort_compile_time_verifier_archINS1_11comp_targetILNS1_3genE0ELNS1_11target_archE4294967295ELNS1_3gpuE0ELNS1_3repE0EEES8_NS1_28merge_sort_block_sort_configILj256ELj4ELNS0_20block_sort_algorithmE0EEENS0_14default_configENS1_37merge_sort_block_sort_config_selectorIslEENS1_38merge_sort_block_merge_config_selectorIslEEEEvv.private_seg_size, 0
	.set _ZN7rocprim17ROCPRIM_400000_NS6detail44device_merge_sort_compile_time_verifier_archINS1_11comp_targetILNS1_3genE0ELNS1_11target_archE4294967295ELNS1_3gpuE0ELNS1_3repE0EEES8_NS1_28merge_sort_block_sort_configILj256ELj4ELNS0_20block_sort_algorithmE0EEENS0_14default_configENS1_37merge_sort_block_sort_config_selectorIslEENS1_38merge_sort_block_merge_config_selectorIslEEEEvv.uses_vcc, 0
	.set _ZN7rocprim17ROCPRIM_400000_NS6detail44device_merge_sort_compile_time_verifier_archINS1_11comp_targetILNS1_3genE0ELNS1_11target_archE4294967295ELNS1_3gpuE0ELNS1_3repE0EEES8_NS1_28merge_sort_block_sort_configILj256ELj4ELNS0_20block_sort_algorithmE0EEENS0_14default_configENS1_37merge_sort_block_sort_config_selectorIslEENS1_38merge_sort_block_merge_config_selectorIslEEEEvv.uses_flat_scratch, 0
	.set _ZN7rocprim17ROCPRIM_400000_NS6detail44device_merge_sort_compile_time_verifier_archINS1_11comp_targetILNS1_3genE0ELNS1_11target_archE4294967295ELNS1_3gpuE0ELNS1_3repE0EEES8_NS1_28merge_sort_block_sort_configILj256ELj4ELNS0_20block_sort_algorithmE0EEENS0_14default_configENS1_37merge_sort_block_sort_config_selectorIslEENS1_38merge_sort_block_merge_config_selectorIslEEEEvv.has_dyn_sized_stack, 0
	.set _ZN7rocprim17ROCPRIM_400000_NS6detail44device_merge_sort_compile_time_verifier_archINS1_11comp_targetILNS1_3genE0ELNS1_11target_archE4294967295ELNS1_3gpuE0ELNS1_3repE0EEES8_NS1_28merge_sort_block_sort_configILj256ELj4ELNS0_20block_sort_algorithmE0EEENS0_14default_configENS1_37merge_sort_block_sort_config_selectorIslEENS1_38merge_sort_block_merge_config_selectorIslEEEEvv.has_recursion, 0
	.set _ZN7rocprim17ROCPRIM_400000_NS6detail44device_merge_sort_compile_time_verifier_archINS1_11comp_targetILNS1_3genE0ELNS1_11target_archE4294967295ELNS1_3gpuE0ELNS1_3repE0EEES8_NS1_28merge_sort_block_sort_configILj256ELj4ELNS0_20block_sort_algorithmE0EEENS0_14default_configENS1_37merge_sort_block_sort_config_selectorIslEENS1_38merge_sort_block_merge_config_selectorIslEEEEvv.has_indirect_call, 0
	.section	.AMDGPU.csdata,"",@progbits
; Kernel info:
; codeLenInByte = 4
; TotalNumSgprs: 4
; NumVgprs: 0
; ScratchSize: 0
; MemoryBound: 0
; FloatMode: 240
; IeeeMode: 1
; LDSByteSize: 0 bytes/workgroup (compile time only)
; SGPRBlocks: 0
; VGPRBlocks: 0
; NumSGPRsForWavesPerEU: 4
; NumVGPRsForWavesPerEU: 1
; Occupancy: 10
; WaveLimiterHint : 0
; COMPUTE_PGM_RSRC2:SCRATCH_EN: 0
; COMPUTE_PGM_RSRC2:USER_SGPR: 4
; COMPUTE_PGM_RSRC2:TRAP_HANDLER: 0
; COMPUTE_PGM_RSRC2:TGID_X_EN: 1
; COMPUTE_PGM_RSRC2:TGID_Y_EN: 0
; COMPUTE_PGM_RSRC2:TGID_Z_EN: 0
; COMPUTE_PGM_RSRC2:TIDIG_COMP_CNT: 0
	.section	.text._ZN7rocprim17ROCPRIM_400000_NS6detail44device_merge_sort_compile_time_verifier_archINS1_11comp_targetILNS1_3genE5ELNS1_11target_archE942ELNS1_3gpuE9ELNS1_3repE0EEES8_NS1_28merge_sort_block_sort_configILj256ELj4ELNS0_20block_sort_algorithmE0EEENS0_14default_configENS1_37merge_sort_block_sort_config_selectorIslEENS1_38merge_sort_block_merge_config_selectorIslEEEEvv,"axG",@progbits,_ZN7rocprim17ROCPRIM_400000_NS6detail44device_merge_sort_compile_time_verifier_archINS1_11comp_targetILNS1_3genE5ELNS1_11target_archE942ELNS1_3gpuE9ELNS1_3repE0EEES8_NS1_28merge_sort_block_sort_configILj256ELj4ELNS0_20block_sort_algorithmE0EEENS0_14default_configENS1_37merge_sort_block_sort_config_selectorIslEENS1_38merge_sort_block_merge_config_selectorIslEEEEvv,comdat
	.protected	_ZN7rocprim17ROCPRIM_400000_NS6detail44device_merge_sort_compile_time_verifier_archINS1_11comp_targetILNS1_3genE5ELNS1_11target_archE942ELNS1_3gpuE9ELNS1_3repE0EEES8_NS1_28merge_sort_block_sort_configILj256ELj4ELNS0_20block_sort_algorithmE0EEENS0_14default_configENS1_37merge_sort_block_sort_config_selectorIslEENS1_38merge_sort_block_merge_config_selectorIslEEEEvv ; -- Begin function _ZN7rocprim17ROCPRIM_400000_NS6detail44device_merge_sort_compile_time_verifier_archINS1_11comp_targetILNS1_3genE5ELNS1_11target_archE942ELNS1_3gpuE9ELNS1_3repE0EEES8_NS1_28merge_sort_block_sort_configILj256ELj4ELNS0_20block_sort_algorithmE0EEENS0_14default_configENS1_37merge_sort_block_sort_config_selectorIslEENS1_38merge_sort_block_merge_config_selectorIslEEEEvv
	.globl	_ZN7rocprim17ROCPRIM_400000_NS6detail44device_merge_sort_compile_time_verifier_archINS1_11comp_targetILNS1_3genE5ELNS1_11target_archE942ELNS1_3gpuE9ELNS1_3repE0EEES8_NS1_28merge_sort_block_sort_configILj256ELj4ELNS0_20block_sort_algorithmE0EEENS0_14default_configENS1_37merge_sort_block_sort_config_selectorIslEENS1_38merge_sort_block_merge_config_selectorIslEEEEvv
	.p2align	8
	.type	_ZN7rocprim17ROCPRIM_400000_NS6detail44device_merge_sort_compile_time_verifier_archINS1_11comp_targetILNS1_3genE5ELNS1_11target_archE942ELNS1_3gpuE9ELNS1_3repE0EEES8_NS1_28merge_sort_block_sort_configILj256ELj4ELNS0_20block_sort_algorithmE0EEENS0_14default_configENS1_37merge_sort_block_sort_config_selectorIslEENS1_38merge_sort_block_merge_config_selectorIslEEEEvv,@function
_ZN7rocprim17ROCPRIM_400000_NS6detail44device_merge_sort_compile_time_verifier_archINS1_11comp_targetILNS1_3genE5ELNS1_11target_archE942ELNS1_3gpuE9ELNS1_3repE0EEES8_NS1_28merge_sort_block_sort_configILj256ELj4ELNS0_20block_sort_algorithmE0EEENS0_14default_configENS1_37merge_sort_block_sort_config_selectorIslEENS1_38merge_sort_block_merge_config_selectorIslEEEEvv: ; @_ZN7rocprim17ROCPRIM_400000_NS6detail44device_merge_sort_compile_time_verifier_archINS1_11comp_targetILNS1_3genE5ELNS1_11target_archE942ELNS1_3gpuE9ELNS1_3repE0EEES8_NS1_28merge_sort_block_sort_configILj256ELj4ELNS0_20block_sort_algorithmE0EEENS0_14default_configENS1_37merge_sort_block_sort_config_selectorIslEENS1_38merge_sort_block_merge_config_selectorIslEEEEvv
; %bb.0:
	s_endpgm
	.section	.rodata,"a",@progbits
	.p2align	6, 0x0
	.amdhsa_kernel _ZN7rocprim17ROCPRIM_400000_NS6detail44device_merge_sort_compile_time_verifier_archINS1_11comp_targetILNS1_3genE5ELNS1_11target_archE942ELNS1_3gpuE9ELNS1_3repE0EEES8_NS1_28merge_sort_block_sort_configILj256ELj4ELNS0_20block_sort_algorithmE0EEENS0_14default_configENS1_37merge_sort_block_sort_config_selectorIslEENS1_38merge_sort_block_merge_config_selectorIslEEEEvv
		.amdhsa_group_segment_fixed_size 0
		.amdhsa_private_segment_fixed_size 0
		.amdhsa_kernarg_size 0
		.amdhsa_user_sgpr_count 4
		.amdhsa_user_sgpr_private_segment_buffer 1
		.amdhsa_user_sgpr_dispatch_ptr 0
		.amdhsa_user_sgpr_queue_ptr 0
		.amdhsa_user_sgpr_kernarg_segment_ptr 0
		.amdhsa_user_sgpr_dispatch_id 0
		.amdhsa_user_sgpr_flat_scratch_init 0
		.amdhsa_user_sgpr_private_segment_size 0
		.amdhsa_uses_dynamic_stack 0
		.amdhsa_system_sgpr_private_segment_wavefront_offset 0
		.amdhsa_system_sgpr_workgroup_id_x 1
		.amdhsa_system_sgpr_workgroup_id_y 0
		.amdhsa_system_sgpr_workgroup_id_z 0
		.amdhsa_system_sgpr_workgroup_info 0
		.amdhsa_system_vgpr_workitem_id 0
		.amdhsa_next_free_vgpr 1
		.amdhsa_next_free_sgpr 0
		.amdhsa_reserve_vcc 0
		.amdhsa_reserve_flat_scratch 0
		.amdhsa_float_round_mode_32 0
		.amdhsa_float_round_mode_16_64 0
		.amdhsa_float_denorm_mode_32 3
		.amdhsa_float_denorm_mode_16_64 3
		.amdhsa_dx10_clamp 1
		.amdhsa_ieee_mode 1
		.amdhsa_fp16_overflow 0
		.amdhsa_exception_fp_ieee_invalid_op 0
		.amdhsa_exception_fp_denorm_src 0
		.amdhsa_exception_fp_ieee_div_zero 0
		.amdhsa_exception_fp_ieee_overflow 0
		.amdhsa_exception_fp_ieee_underflow 0
		.amdhsa_exception_fp_ieee_inexact 0
		.amdhsa_exception_int_div_zero 0
	.end_amdhsa_kernel
	.section	.text._ZN7rocprim17ROCPRIM_400000_NS6detail44device_merge_sort_compile_time_verifier_archINS1_11comp_targetILNS1_3genE5ELNS1_11target_archE942ELNS1_3gpuE9ELNS1_3repE0EEES8_NS1_28merge_sort_block_sort_configILj256ELj4ELNS0_20block_sort_algorithmE0EEENS0_14default_configENS1_37merge_sort_block_sort_config_selectorIslEENS1_38merge_sort_block_merge_config_selectorIslEEEEvv,"axG",@progbits,_ZN7rocprim17ROCPRIM_400000_NS6detail44device_merge_sort_compile_time_verifier_archINS1_11comp_targetILNS1_3genE5ELNS1_11target_archE942ELNS1_3gpuE9ELNS1_3repE0EEES8_NS1_28merge_sort_block_sort_configILj256ELj4ELNS0_20block_sort_algorithmE0EEENS0_14default_configENS1_37merge_sort_block_sort_config_selectorIslEENS1_38merge_sort_block_merge_config_selectorIslEEEEvv,comdat
.Lfunc_end1268:
	.size	_ZN7rocprim17ROCPRIM_400000_NS6detail44device_merge_sort_compile_time_verifier_archINS1_11comp_targetILNS1_3genE5ELNS1_11target_archE942ELNS1_3gpuE9ELNS1_3repE0EEES8_NS1_28merge_sort_block_sort_configILj256ELj4ELNS0_20block_sort_algorithmE0EEENS0_14default_configENS1_37merge_sort_block_sort_config_selectorIslEENS1_38merge_sort_block_merge_config_selectorIslEEEEvv, .Lfunc_end1268-_ZN7rocprim17ROCPRIM_400000_NS6detail44device_merge_sort_compile_time_verifier_archINS1_11comp_targetILNS1_3genE5ELNS1_11target_archE942ELNS1_3gpuE9ELNS1_3repE0EEES8_NS1_28merge_sort_block_sort_configILj256ELj4ELNS0_20block_sort_algorithmE0EEENS0_14default_configENS1_37merge_sort_block_sort_config_selectorIslEENS1_38merge_sort_block_merge_config_selectorIslEEEEvv
                                        ; -- End function
	.set _ZN7rocprim17ROCPRIM_400000_NS6detail44device_merge_sort_compile_time_verifier_archINS1_11comp_targetILNS1_3genE5ELNS1_11target_archE942ELNS1_3gpuE9ELNS1_3repE0EEES8_NS1_28merge_sort_block_sort_configILj256ELj4ELNS0_20block_sort_algorithmE0EEENS0_14default_configENS1_37merge_sort_block_sort_config_selectorIslEENS1_38merge_sort_block_merge_config_selectorIslEEEEvv.num_vgpr, 0
	.set _ZN7rocprim17ROCPRIM_400000_NS6detail44device_merge_sort_compile_time_verifier_archINS1_11comp_targetILNS1_3genE5ELNS1_11target_archE942ELNS1_3gpuE9ELNS1_3repE0EEES8_NS1_28merge_sort_block_sort_configILj256ELj4ELNS0_20block_sort_algorithmE0EEENS0_14default_configENS1_37merge_sort_block_sort_config_selectorIslEENS1_38merge_sort_block_merge_config_selectorIslEEEEvv.num_agpr, 0
	.set _ZN7rocprim17ROCPRIM_400000_NS6detail44device_merge_sort_compile_time_verifier_archINS1_11comp_targetILNS1_3genE5ELNS1_11target_archE942ELNS1_3gpuE9ELNS1_3repE0EEES8_NS1_28merge_sort_block_sort_configILj256ELj4ELNS0_20block_sort_algorithmE0EEENS0_14default_configENS1_37merge_sort_block_sort_config_selectorIslEENS1_38merge_sort_block_merge_config_selectorIslEEEEvv.numbered_sgpr, 0
	.set _ZN7rocprim17ROCPRIM_400000_NS6detail44device_merge_sort_compile_time_verifier_archINS1_11comp_targetILNS1_3genE5ELNS1_11target_archE942ELNS1_3gpuE9ELNS1_3repE0EEES8_NS1_28merge_sort_block_sort_configILj256ELj4ELNS0_20block_sort_algorithmE0EEENS0_14default_configENS1_37merge_sort_block_sort_config_selectorIslEENS1_38merge_sort_block_merge_config_selectorIslEEEEvv.num_named_barrier, 0
	.set _ZN7rocprim17ROCPRIM_400000_NS6detail44device_merge_sort_compile_time_verifier_archINS1_11comp_targetILNS1_3genE5ELNS1_11target_archE942ELNS1_3gpuE9ELNS1_3repE0EEES8_NS1_28merge_sort_block_sort_configILj256ELj4ELNS0_20block_sort_algorithmE0EEENS0_14default_configENS1_37merge_sort_block_sort_config_selectorIslEENS1_38merge_sort_block_merge_config_selectorIslEEEEvv.private_seg_size, 0
	.set _ZN7rocprim17ROCPRIM_400000_NS6detail44device_merge_sort_compile_time_verifier_archINS1_11comp_targetILNS1_3genE5ELNS1_11target_archE942ELNS1_3gpuE9ELNS1_3repE0EEES8_NS1_28merge_sort_block_sort_configILj256ELj4ELNS0_20block_sort_algorithmE0EEENS0_14default_configENS1_37merge_sort_block_sort_config_selectorIslEENS1_38merge_sort_block_merge_config_selectorIslEEEEvv.uses_vcc, 0
	.set _ZN7rocprim17ROCPRIM_400000_NS6detail44device_merge_sort_compile_time_verifier_archINS1_11comp_targetILNS1_3genE5ELNS1_11target_archE942ELNS1_3gpuE9ELNS1_3repE0EEES8_NS1_28merge_sort_block_sort_configILj256ELj4ELNS0_20block_sort_algorithmE0EEENS0_14default_configENS1_37merge_sort_block_sort_config_selectorIslEENS1_38merge_sort_block_merge_config_selectorIslEEEEvv.uses_flat_scratch, 0
	.set _ZN7rocprim17ROCPRIM_400000_NS6detail44device_merge_sort_compile_time_verifier_archINS1_11comp_targetILNS1_3genE5ELNS1_11target_archE942ELNS1_3gpuE9ELNS1_3repE0EEES8_NS1_28merge_sort_block_sort_configILj256ELj4ELNS0_20block_sort_algorithmE0EEENS0_14default_configENS1_37merge_sort_block_sort_config_selectorIslEENS1_38merge_sort_block_merge_config_selectorIslEEEEvv.has_dyn_sized_stack, 0
	.set _ZN7rocprim17ROCPRIM_400000_NS6detail44device_merge_sort_compile_time_verifier_archINS1_11comp_targetILNS1_3genE5ELNS1_11target_archE942ELNS1_3gpuE9ELNS1_3repE0EEES8_NS1_28merge_sort_block_sort_configILj256ELj4ELNS0_20block_sort_algorithmE0EEENS0_14default_configENS1_37merge_sort_block_sort_config_selectorIslEENS1_38merge_sort_block_merge_config_selectorIslEEEEvv.has_recursion, 0
	.set _ZN7rocprim17ROCPRIM_400000_NS6detail44device_merge_sort_compile_time_verifier_archINS1_11comp_targetILNS1_3genE5ELNS1_11target_archE942ELNS1_3gpuE9ELNS1_3repE0EEES8_NS1_28merge_sort_block_sort_configILj256ELj4ELNS0_20block_sort_algorithmE0EEENS0_14default_configENS1_37merge_sort_block_sort_config_selectorIslEENS1_38merge_sort_block_merge_config_selectorIslEEEEvv.has_indirect_call, 0
	.section	.AMDGPU.csdata,"",@progbits
; Kernel info:
; codeLenInByte = 4
; TotalNumSgprs: 4
; NumVgprs: 0
; ScratchSize: 0
; MemoryBound: 0
; FloatMode: 240
; IeeeMode: 1
; LDSByteSize: 0 bytes/workgroup (compile time only)
; SGPRBlocks: 0
; VGPRBlocks: 0
; NumSGPRsForWavesPerEU: 4
; NumVGPRsForWavesPerEU: 1
; Occupancy: 10
; WaveLimiterHint : 0
; COMPUTE_PGM_RSRC2:SCRATCH_EN: 0
; COMPUTE_PGM_RSRC2:USER_SGPR: 4
; COMPUTE_PGM_RSRC2:TRAP_HANDLER: 0
; COMPUTE_PGM_RSRC2:TGID_X_EN: 1
; COMPUTE_PGM_RSRC2:TGID_Y_EN: 0
; COMPUTE_PGM_RSRC2:TGID_Z_EN: 0
; COMPUTE_PGM_RSRC2:TIDIG_COMP_CNT: 0
	.section	.text._ZN7rocprim17ROCPRIM_400000_NS6detail44device_merge_sort_compile_time_verifier_archINS1_11comp_targetILNS1_3genE4ELNS1_11target_archE910ELNS1_3gpuE8ELNS1_3repE0EEES8_NS1_28merge_sort_block_sort_configILj256ELj4ELNS0_20block_sort_algorithmE0EEENS0_14default_configENS1_37merge_sort_block_sort_config_selectorIslEENS1_38merge_sort_block_merge_config_selectorIslEEEEvv,"axG",@progbits,_ZN7rocprim17ROCPRIM_400000_NS6detail44device_merge_sort_compile_time_verifier_archINS1_11comp_targetILNS1_3genE4ELNS1_11target_archE910ELNS1_3gpuE8ELNS1_3repE0EEES8_NS1_28merge_sort_block_sort_configILj256ELj4ELNS0_20block_sort_algorithmE0EEENS0_14default_configENS1_37merge_sort_block_sort_config_selectorIslEENS1_38merge_sort_block_merge_config_selectorIslEEEEvv,comdat
	.protected	_ZN7rocprim17ROCPRIM_400000_NS6detail44device_merge_sort_compile_time_verifier_archINS1_11comp_targetILNS1_3genE4ELNS1_11target_archE910ELNS1_3gpuE8ELNS1_3repE0EEES8_NS1_28merge_sort_block_sort_configILj256ELj4ELNS0_20block_sort_algorithmE0EEENS0_14default_configENS1_37merge_sort_block_sort_config_selectorIslEENS1_38merge_sort_block_merge_config_selectorIslEEEEvv ; -- Begin function _ZN7rocprim17ROCPRIM_400000_NS6detail44device_merge_sort_compile_time_verifier_archINS1_11comp_targetILNS1_3genE4ELNS1_11target_archE910ELNS1_3gpuE8ELNS1_3repE0EEES8_NS1_28merge_sort_block_sort_configILj256ELj4ELNS0_20block_sort_algorithmE0EEENS0_14default_configENS1_37merge_sort_block_sort_config_selectorIslEENS1_38merge_sort_block_merge_config_selectorIslEEEEvv
	.globl	_ZN7rocprim17ROCPRIM_400000_NS6detail44device_merge_sort_compile_time_verifier_archINS1_11comp_targetILNS1_3genE4ELNS1_11target_archE910ELNS1_3gpuE8ELNS1_3repE0EEES8_NS1_28merge_sort_block_sort_configILj256ELj4ELNS0_20block_sort_algorithmE0EEENS0_14default_configENS1_37merge_sort_block_sort_config_selectorIslEENS1_38merge_sort_block_merge_config_selectorIslEEEEvv
	.p2align	8
	.type	_ZN7rocprim17ROCPRIM_400000_NS6detail44device_merge_sort_compile_time_verifier_archINS1_11comp_targetILNS1_3genE4ELNS1_11target_archE910ELNS1_3gpuE8ELNS1_3repE0EEES8_NS1_28merge_sort_block_sort_configILj256ELj4ELNS0_20block_sort_algorithmE0EEENS0_14default_configENS1_37merge_sort_block_sort_config_selectorIslEENS1_38merge_sort_block_merge_config_selectorIslEEEEvv,@function
_ZN7rocprim17ROCPRIM_400000_NS6detail44device_merge_sort_compile_time_verifier_archINS1_11comp_targetILNS1_3genE4ELNS1_11target_archE910ELNS1_3gpuE8ELNS1_3repE0EEES8_NS1_28merge_sort_block_sort_configILj256ELj4ELNS0_20block_sort_algorithmE0EEENS0_14default_configENS1_37merge_sort_block_sort_config_selectorIslEENS1_38merge_sort_block_merge_config_selectorIslEEEEvv: ; @_ZN7rocprim17ROCPRIM_400000_NS6detail44device_merge_sort_compile_time_verifier_archINS1_11comp_targetILNS1_3genE4ELNS1_11target_archE910ELNS1_3gpuE8ELNS1_3repE0EEES8_NS1_28merge_sort_block_sort_configILj256ELj4ELNS0_20block_sort_algorithmE0EEENS0_14default_configENS1_37merge_sort_block_sort_config_selectorIslEENS1_38merge_sort_block_merge_config_selectorIslEEEEvv
; %bb.0:
	s_endpgm
	.section	.rodata,"a",@progbits
	.p2align	6, 0x0
	.amdhsa_kernel _ZN7rocprim17ROCPRIM_400000_NS6detail44device_merge_sort_compile_time_verifier_archINS1_11comp_targetILNS1_3genE4ELNS1_11target_archE910ELNS1_3gpuE8ELNS1_3repE0EEES8_NS1_28merge_sort_block_sort_configILj256ELj4ELNS0_20block_sort_algorithmE0EEENS0_14default_configENS1_37merge_sort_block_sort_config_selectorIslEENS1_38merge_sort_block_merge_config_selectorIslEEEEvv
		.amdhsa_group_segment_fixed_size 0
		.amdhsa_private_segment_fixed_size 0
		.amdhsa_kernarg_size 0
		.amdhsa_user_sgpr_count 4
		.amdhsa_user_sgpr_private_segment_buffer 1
		.amdhsa_user_sgpr_dispatch_ptr 0
		.amdhsa_user_sgpr_queue_ptr 0
		.amdhsa_user_sgpr_kernarg_segment_ptr 0
		.amdhsa_user_sgpr_dispatch_id 0
		.amdhsa_user_sgpr_flat_scratch_init 0
		.amdhsa_user_sgpr_private_segment_size 0
		.amdhsa_uses_dynamic_stack 0
		.amdhsa_system_sgpr_private_segment_wavefront_offset 0
		.amdhsa_system_sgpr_workgroup_id_x 1
		.amdhsa_system_sgpr_workgroup_id_y 0
		.amdhsa_system_sgpr_workgroup_id_z 0
		.amdhsa_system_sgpr_workgroup_info 0
		.amdhsa_system_vgpr_workitem_id 0
		.amdhsa_next_free_vgpr 1
		.amdhsa_next_free_sgpr 0
		.amdhsa_reserve_vcc 0
		.amdhsa_reserve_flat_scratch 0
		.amdhsa_float_round_mode_32 0
		.amdhsa_float_round_mode_16_64 0
		.amdhsa_float_denorm_mode_32 3
		.amdhsa_float_denorm_mode_16_64 3
		.amdhsa_dx10_clamp 1
		.amdhsa_ieee_mode 1
		.amdhsa_fp16_overflow 0
		.amdhsa_exception_fp_ieee_invalid_op 0
		.amdhsa_exception_fp_denorm_src 0
		.amdhsa_exception_fp_ieee_div_zero 0
		.amdhsa_exception_fp_ieee_overflow 0
		.amdhsa_exception_fp_ieee_underflow 0
		.amdhsa_exception_fp_ieee_inexact 0
		.amdhsa_exception_int_div_zero 0
	.end_amdhsa_kernel
	.section	.text._ZN7rocprim17ROCPRIM_400000_NS6detail44device_merge_sort_compile_time_verifier_archINS1_11comp_targetILNS1_3genE4ELNS1_11target_archE910ELNS1_3gpuE8ELNS1_3repE0EEES8_NS1_28merge_sort_block_sort_configILj256ELj4ELNS0_20block_sort_algorithmE0EEENS0_14default_configENS1_37merge_sort_block_sort_config_selectorIslEENS1_38merge_sort_block_merge_config_selectorIslEEEEvv,"axG",@progbits,_ZN7rocprim17ROCPRIM_400000_NS6detail44device_merge_sort_compile_time_verifier_archINS1_11comp_targetILNS1_3genE4ELNS1_11target_archE910ELNS1_3gpuE8ELNS1_3repE0EEES8_NS1_28merge_sort_block_sort_configILj256ELj4ELNS0_20block_sort_algorithmE0EEENS0_14default_configENS1_37merge_sort_block_sort_config_selectorIslEENS1_38merge_sort_block_merge_config_selectorIslEEEEvv,comdat
.Lfunc_end1269:
	.size	_ZN7rocprim17ROCPRIM_400000_NS6detail44device_merge_sort_compile_time_verifier_archINS1_11comp_targetILNS1_3genE4ELNS1_11target_archE910ELNS1_3gpuE8ELNS1_3repE0EEES8_NS1_28merge_sort_block_sort_configILj256ELj4ELNS0_20block_sort_algorithmE0EEENS0_14default_configENS1_37merge_sort_block_sort_config_selectorIslEENS1_38merge_sort_block_merge_config_selectorIslEEEEvv, .Lfunc_end1269-_ZN7rocprim17ROCPRIM_400000_NS6detail44device_merge_sort_compile_time_verifier_archINS1_11comp_targetILNS1_3genE4ELNS1_11target_archE910ELNS1_3gpuE8ELNS1_3repE0EEES8_NS1_28merge_sort_block_sort_configILj256ELj4ELNS0_20block_sort_algorithmE0EEENS0_14default_configENS1_37merge_sort_block_sort_config_selectorIslEENS1_38merge_sort_block_merge_config_selectorIslEEEEvv
                                        ; -- End function
	.set _ZN7rocprim17ROCPRIM_400000_NS6detail44device_merge_sort_compile_time_verifier_archINS1_11comp_targetILNS1_3genE4ELNS1_11target_archE910ELNS1_3gpuE8ELNS1_3repE0EEES8_NS1_28merge_sort_block_sort_configILj256ELj4ELNS0_20block_sort_algorithmE0EEENS0_14default_configENS1_37merge_sort_block_sort_config_selectorIslEENS1_38merge_sort_block_merge_config_selectorIslEEEEvv.num_vgpr, 0
	.set _ZN7rocprim17ROCPRIM_400000_NS6detail44device_merge_sort_compile_time_verifier_archINS1_11comp_targetILNS1_3genE4ELNS1_11target_archE910ELNS1_3gpuE8ELNS1_3repE0EEES8_NS1_28merge_sort_block_sort_configILj256ELj4ELNS0_20block_sort_algorithmE0EEENS0_14default_configENS1_37merge_sort_block_sort_config_selectorIslEENS1_38merge_sort_block_merge_config_selectorIslEEEEvv.num_agpr, 0
	.set _ZN7rocprim17ROCPRIM_400000_NS6detail44device_merge_sort_compile_time_verifier_archINS1_11comp_targetILNS1_3genE4ELNS1_11target_archE910ELNS1_3gpuE8ELNS1_3repE0EEES8_NS1_28merge_sort_block_sort_configILj256ELj4ELNS0_20block_sort_algorithmE0EEENS0_14default_configENS1_37merge_sort_block_sort_config_selectorIslEENS1_38merge_sort_block_merge_config_selectorIslEEEEvv.numbered_sgpr, 0
	.set _ZN7rocprim17ROCPRIM_400000_NS6detail44device_merge_sort_compile_time_verifier_archINS1_11comp_targetILNS1_3genE4ELNS1_11target_archE910ELNS1_3gpuE8ELNS1_3repE0EEES8_NS1_28merge_sort_block_sort_configILj256ELj4ELNS0_20block_sort_algorithmE0EEENS0_14default_configENS1_37merge_sort_block_sort_config_selectorIslEENS1_38merge_sort_block_merge_config_selectorIslEEEEvv.num_named_barrier, 0
	.set _ZN7rocprim17ROCPRIM_400000_NS6detail44device_merge_sort_compile_time_verifier_archINS1_11comp_targetILNS1_3genE4ELNS1_11target_archE910ELNS1_3gpuE8ELNS1_3repE0EEES8_NS1_28merge_sort_block_sort_configILj256ELj4ELNS0_20block_sort_algorithmE0EEENS0_14default_configENS1_37merge_sort_block_sort_config_selectorIslEENS1_38merge_sort_block_merge_config_selectorIslEEEEvv.private_seg_size, 0
	.set _ZN7rocprim17ROCPRIM_400000_NS6detail44device_merge_sort_compile_time_verifier_archINS1_11comp_targetILNS1_3genE4ELNS1_11target_archE910ELNS1_3gpuE8ELNS1_3repE0EEES8_NS1_28merge_sort_block_sort_configILj256ELj4ELNS0_20block_sort_algorithmE0EEENS0_14default_configENS1_37merge_sort_block_sort_config_selectorIslEENS1_38merge_sort_block_merge_config_selectorIslEEEEvv.uses_vcc, 0
	.set _ZN7rocprim17ROCPRIM_400000_NS6detail44device_merge_sort_compile_time_verifier_archINS1_11comp_targetILNS1_3genE4ELNS1_11target_archE910ELNS1_3gpuE8ELNS1_3repE0EEES8_NS1_28merge_sort_block_sort_configILj256ELj4ELNS0_20block_sort_algorithmE0EEENS0_14default_configENS1_37merge_sort_block_sort_config_selectorIslEENS1_38merge_sort_block_merge_config_selectorIslEEEEvv.uses_flat_scratch, 0
	.set _ZN7rocprim17ROCPRIM_400000_NS6detail44device_merge_sort_compile_time_verifier_archINS1_11comp_targetILNS1_3genE4ELNS1_11target_archE910ELNS1_3gpuE8ELNS1_3repE0EEES8_NS1_28merge_sort_block_sort_configILj256ELj4ELNS0_20block_sort_algorithmE0EEENS0_14default_configENS1_37merge_sort_block_sort_config_selectorIslEENS1_38merge_sort_block_merge_config_selectorIslEEEEvv.has_dyn_sized_stack, 0
	.set _ZN7rocprim17ROCPRIM_400000_NS6detail44device_merge_sort_compile_time_verifier_archINS1_11comp_targetILNS1_3genE4ELNS1_11target_archE910ELNS1_3gpuE8ELNS1_3repE0EEES8_NS1_28merge_sort_block_sort_configILj256ELj4ELNS0_20block_sort_algorithmE0EEENS0_14default_configENS1_37merge_sort_block_sort_config_selectorIslEENS1_38merge_sort_block_merge_config_selectorIslEEEEvv.has_recursion, 0
	.set _ZN7rocprim17ROCPRIM_400000_NS6detail44device_merge_sort_compile_time_verifier_archINS1_11comp_targetILNS1_3genE4ELNS1_11target_archE910ELNS1_3gpuE8ELNS1_3repE0EEES8_NS1_28merge_sort_block_sort_configILj256ELj4ELNS0_20block_sort_algorithmE0EEENS0_14default_configENS1_37merge_sort_block_sort_config_selectorIslEENS1_38merge_sort_block_merge_config_selectorIslEEEEvv.has_indirect_call, 0
	.section	.AMDGPU.csdata,"",@progbits
; Kernel info:
; codeLenInByte = 4
; TotalNumSgprs: 4
; NumVgprs: 0
; ScratchSize: 0
; MemoryBound: 0
; FloatMode: 240
; IeeeMode: 1
; LDSByteSize: 0 bytes/workgroup (compile time only)
; SGPRBlocks: 0
; VGPRBlocks: 0
; NumSGPRsForWavesPerEU: 4
; NumVGPRsForWavesPerEU: 1
; Occupancy: 10
; WaveLimiterHint : 0
; COMPUTE_PGM_RSRC2:SCRATCH_EN: 0
; COMPUTE_PGM_RSRC2:USER_SGPR: 4
; COMPUTE_PGM_RSRC2:TRAP_HANDLER: 0
; COMPUTE_PGM_RSRC2:TGID_X_EN: 1
; COMPUTE_PGM_RSRC2:TGID_Y_EN: 0
; COMPUTE_PGM_RSRC2:TGID_Z_EN: 0
; COMPUTE_PGM_RSRC2:TIDIG_COMP_CNT: 0
	.section	.text._ZN7rocprim17ROCPRIM_400000_NS6detail44device_merge_sort_compile_time_verifier_archINS1_11comp_targetILNS1_3genE3ELNS1_11target_archE908ELNS1_3gpuE7ELNS1_3repE0EEES8_NS1_28merge_sort_block_sort_configILj256ELj4ELNS0_20block_sort_algorithmE0EEENS0_14default_configENS1_37merge_sort_block_sort_config_selectorIslEENS1_38merge_sort_block_merge_config_selectorIslEEEEvv,"axG",@progbits,_ZN7rocprim17ROCPRIM_400000_NS6detail44device_merge_sort_compile_time_verifier_archINS1_11comp_targetILNS1_3genE3ELNS1_11target_archE908ELNS1_3gpuE7ELNS1_3repE0EEES8_NS1_28merge_sort_block_sort_configILj256ELj4ELNS0_20block_sort_algorithmE0EEENS0_14default_configENS1_37merge_sort_block_sort_config_selectorIslEENS1_38merge_sort_block_merge_config_selectorIslEEEEvv,comdat
	.protected	_ZN7rocprim17ROCPRIM_400000_NS6detail44device_merge_sort_compile_time_verifier_archINS1_11comp_targetILNS1_3genE3ELNS1_11target_archE908ELNS1_3gpuE7ELNS1_3repE0EEES8_NS1_28merge_sort_block_sort_configILj256ELj4ELNS0_20block_sort_algorithmE0EEENS0_14default_configENS1_37merge_sort_block_sort_config_selectorIslEENS1_38merge_sort_block_merge_config_selectorIslEEEEvv ; -- Begin function _ZN7rocprim17ROCPRIM_400000_NS6detail44device_merge_sort_compile_time_verifier_archINS1_11comp_targetILNS1_3genE3ELNS1_11target_archE908ELNS1_3gpuE7ELNS1_3repE0EEES8_NS1_28merge_sort_block_sort_configILj256ELj4ELNS0_20block_sort_algorithmE0EEENS0_14default_configENS1_37merge_sort_block_sort_config_selectorIslEENS1_38merge_sort_block_merge_config_selectorIslEEEEvv
	.globl	_ZN7rocprim17ROCPRIM_400000_NS6detail44device_merge_sort_compile_time_verifier_archINS1_11comp_targetILNS1_3genE3ELNS1_11target_archE908ELNS1_3gpuE7ELNS1_3repE0EEES8_NS1_28merge_sort_block_sort_configILj256ELj4ELNS0_20block_sort_algorithmE0EEENS0_14default_configENS1_37merge_sort_block_sort_config_selectorIslEENS1_38merge_sort_block_merge_config_selectorIslEEEEvv
	.p2align	8
	.type	_ZN7rocprim17ROCPRIM_400000_NS6detail44device_merge_sort_compile_time_verifier_archINS1_11comp_targetILNS1_3genE3ELNS1_11target_archE908ELNS1_3gpuE7ELNS1_3repE0EEES8_NS1_28merge_sort_block_sort_configILj256ELj4ELNS0_20block_sort_algorithmE0EEENS0_14default_configENS1_37merge_sort_block_sort_config_selectorIslEENS1_38merge_sort_block_merge_config_selectorIslEEEEvv,@function
_ZN7rocprim17ROCPRIM_400000_NS6detail44device_merge_sort_compile_time_verifier_archINS1_11comp_targetILNS1_3genE3ELNS1_11target_archE908ELNS1_3gpuE7ELNS1_3repE0EEES8_NS1_28merge_sort_block_sort_configILj256ELj4ELNS0_20block_sort_algorithmE0EEENS0_14default_configENS1_37merge_sort_block_sort_config_selectorIslEENS1_38merge_sort_block_merge_config_selectorIslEEEEvv: ; @_ZN7rocprim17ROCPRIM_400000_NS6detail44device_merge_sort_compile_time_verifier_archINS1_11comp_targetILNS1_3genE3ELNS1_11target_archE908ELNS1_3gpuE7ELNS1_3repE0EEES8_NS1_28merge_sort_block_sort_configILj256ELj4ELNS0_20block_sort_algorithmE0EEENS0_14default_configENS1_37merge_sort_block_sort_config_selectorIslEENS1_38merge_sort_block_merge_config_selectorIslEEEEvv
; %bb.0:
	s_endpgm
	.section	.rodata,"a",@progbits
	.p2align	6, 0x0
	.amdhsa_kernel _ZN7rocprim17ROCPRIM_400000_NS6detail44device_merge_sort_compile_time_verifier_archINS1_11comp_targetILNS1_3genE3ELNS1_11target_archE908ELNS1_3gpuE7ELNS1_3repE0EEES8_NS1_28merge_sort_block_sort_configILj256ELj4ELNS0_20block_sort_algorithmE0EEENS0_14default_configENS1_37merge_sort_block_sort_config_selectorIslEENS1_38merge_sort_block_merge_config_selectorIslEEEEvv
		.amdhsa_group_segment_fixed_size 0
		.amdhsa_private_segment_fixed_size 0
		.amdhsa_kernarg_size 0
		.amdhsa_user_sgpr_count 4
		.amdhsa_user_sgpr_private_segment_buffer 1
		.amdhsa_user_sgpr_dispatch_ptr 0
		.amdhsa_user_sgpr_queue_ptr 0
		.amdhsa_user_sgpr_kernarg_segment_ptr 0
		.amdhsa_user_sgpr_dispatch_id 0
		.amdhsa_user_sgpr_flat_scratch_init 0
		.amdhsa_user_sgpr_private_segment_size 0
		.amdhsa_uses_dynamic_stack 0
		.amdhsa_system_sgpr_private_segment_wavefront_offset 0
		.amdhsa_system_sgpr_workgroup_id_x 1
		.amdhsa_system_sgpr_workgroup_id_y 0
		.amdhsa_system_sgpr_workgroup_id_z 0
		.amdhsa_system_sgpr_workgroup_info 0
		.amdhsa_system_vgpr_workitem_id 0
		.amdhsa_next_free_vgpr 1
		.amdhsa_next_free_sgpr 0
		.amdhsa_reserve_vcc 0
		.amdhsa_reserve_flat_scratch 0
		.amdhsa_float_round_mode_32 0
		.amdhsa_float_round_mode_16_64 0
		.amdhsa_float_denorm_mode_32 3
		.amdhsa_float_denorm_mode_16_64 3
		.amdhsa_dx10_clamp 1
		.amdhsa_ieee_mode 1
		.amdhsa_fp16_overflow 0
		.amdhsa_exception_fp_ieee_invalid_op 0
		.amdhsa_exception_fp_denorm_src 0
		.amdhsa_exception_fp_ieee_div_zero 0
		.amdhsa_exception_fp_ieee_overflow 0
		.amdhsa_exception_fp_ieee_underflow 0
		.amdhsa_exception_fp_ieee_inexact 0
		.amdhsa_exception_int_div_zero 0
	.end_amdhsa_kernel
	.section	.text._ZN7rocprim17ROCPRIM_400000_NS6detail44device_merge_sort_compile_time_verifier_archINS1_11comp_targetILNS1_3genE3ELNS1_11target_archE908ELNS1_3gpuE7ELNS1_3repE0EEES8_NS1_28merge_sort_block_sort_configILj256ELj4ELNS0_20block_sort_algorithmE0EEENS0_14default_configENS1_37merge_sort_block_sort_config_selectorIslEENS1_38merge_sort_block_merge_config_selectorIslEEEEvv,"axG",@progbits,_ZN7rocprim17ROCPRIM_400000_NS6detail44device_merge_sort_compile_time_verifier_archINS1_11comp_targetILNS1_3genE3ELNS1_11target_archE908ELNS1_3gpuE7ELNS1_3repE0EEES8_NS1_28merge_sort_block_sort_configILj256ELj4ELNS0_20block_sort_algorithmE0EEENS0_14default_configENS1_37merge_sort_block_sort_config_selectorIslEENS1_38merge_sort_block_merge_config_selectorIslEEEEvv,comdat
.Lfunc_end1270:
	.size	_ZN7rocprim17ROCPRIM_400000_NS6detail44device_merge_sort_compile_time_verifier_archINS1_11comp_targetILNS1_3genE3ELNS1_11target_archE908ELNS1_3gpuE7ELNS1_3repE0EEES8_NS1_28merge_sort_block_sort_configILj256ELj4ELNS0_20block_sort_algorithmE0EEENS0_14default_configENS1_37merge_sort_block_sort_config_selectorIslEENS1_38merge_sort_block_merge_config_selectorIslEEEEvv, .Lfunc_end1270-_ZN7rocprim17ROCPRIM_400000_NS6detail44device_merge_sort_compile_time_verifier_archINS1_11comp_targetILNS1_3genE3ELNS1_11target_archE908ELNS1_3gpuE7ELNS1_3repE0EEES8_NS1_28merge_sort_block_sort_configILj256ELj4ELNS0_20block_sort_algorithmE0EEENS0_14default_configENS1_37merge_sort_block_sort_config_selectorIslEENS1_38merge_sort_block_merge_config_selectorIslEEEEvv
                                        ; -- End function
	.set _ZN7rocprim17ROCPRIM_400000_NS6detail44device_merge_sort_compile_time_verifier_archINS1_11comp_targetILNS1_3genE3ELNS1_11target_archE908ELNS1_3gpuE7ELNS1_3repE0EEES8_NS1_28merge_sort_block_sort_configILj256ELj4ELNS0_20block_sort_algorithmE0EEENS0_14default_configENS1_37merge_sort_block_sort_config_selectorIslEENS1_38merge_sort_block_merge_config_selectorIslEEEEvv.num_vgpr, 0
	.set _ZN7rocprim17ROCPRIM_400000_NS6detail44device_merge_sort_compile_time_verifier_archINS1_11comp_targetILNS1_3genE3ELNS1_11target_archE908ELNS1_3gpuE7ELNS1_3repE0EEES8_NS1_28merge_sort_block_sort_configILj256ELj4ELNS0_20block_sort_algorithmE0EEENS0_14default_configENS1_37merge_sort_block_sort_config_selectorIslEENS1_38merge_sort_block_merge_config_selectorIslEEEEvv.num_agpr, 0
	.set _ZN7rocprim17ROCPRIM_400000_NS6detail44device_merge_sort_compile_time_verifier_archINS1_11comp_targetILNS1_3genE3ELNS1_11target_archE908ELNS1_3gpuE7ELNS1_3repE0EEES8_NS1_28merge_sort_block_sort_configILj256ELj4ELNS0_20block_sort_algorithmE0EEENS0_14default_configENS1_37merge_sort_block_sort_config_selectorIslEENS1_38merge_sort_block_merge_config_selectorIslEEEEvv.numbered_sgpr, 0
	.set _ZN7rocprim17ROCPRIM_400000_NS6detail44device_merge_sort_compile_time_verifier_archINS1_11comp_targetILNS1_3genE3ELNS1_11target_archE908ELNS1_3gpuE7ELNS1_3repE0EEES8_NS1_28merge_sort_block_sort_configILj256ELj4ELNS0_20block_sort_algorithmE0EEENS0_14default_configENS1_37merge_sort_block_sort_config_selectorIslEENS1_38merge_sort_block_merge_config_selectorIslEEEEvv.num_named_barrier, 0
	.set _ZN7rocprim17ROCPRIM_400000_NS6detail44device_merge_sort_compile_time_verifier_archINS1_11comp_targetILNS1_3genE3ELNS1_11target_archE908ELNS1_3gpuE7ELNS1_3repE0EEES8_NS1_28merge_sort_block_sort_configILj256ELj4ELNS0_20block_sort_algorithmE0EEENS0_14default_configENS1_37merge_sort_block_sort_config_selectorIslEENS1_38merge_sort_block_merge_config_selectorIslEEEEvv.private_seg_size, 0
	.set _ZN7rocprim17ROCPRIM_400000_NS6detail44device_merge_sort_compile_time_verifier_archINS1_11comp_targetILNS1_3genE3ELNS1_11target_archE908ELNS1_3gpuE7ELNS1_3repE0EEES8_NS1_28merge_sort_block_sort_configILj256ELj4ELNS0_20block_sort_algorithmE0EEENS0_14default_configENS1_37merge_sort_block_sort_config_selectorIslEENS1_38merge_sort_block_merge_config_selectorIslEEEEvv.uses_vcc, 0
	.set _ZN7rocprim17ROCPRIM_400000_NS6detail44device_merge_sort_compile_time_verifier_archINS1_11comp_targetILNS1_3genE3ELNS1_11target_archE908ELNS1_3gpuE7ELNS1_3repE0EEES8_NS1_28merge_sort_block_sort_configILj256ELj4ELNS0_20block_sort_algorithmE0EEENS0_14default_configENS1_37merge_sort_block_sort_config_selectorIslEENS1_38merge_sort_block_merge_config_selectorIslEEEEvv.uses_flat_scratch, 0
	.set _ZN7rocprim17ROCPRIM_400000_NS6detail44device_merge_sort_compile_time_verifier_archINS1_11comp_targetILNS1_3genE3ELNS1_11target_archE908ELNS1_3gpuE7ELNS1_3repE0EEES8_NS1_28merge_sort_block_sort_configILj256ELj4ELNS0_20block_sort_algorithmE0EEENS0_14default_configENS1_37merge_sort_block_sort_config_selectorIslEENS1_38merge_sort_block_merge_config_selectorIslEEEEvv.has_dyn_sized_stack, 0
	.set _ZN7rocprim17ROCPRIM_400000_NS6detail44device_merge_sort_compile_time_verifier_archINS1_11comp_targetILNS1_3genE3ELNS1_11target_archE908ELNS1_3gpuE7ELNS1_3repE0EEES8_NS1_28merge_sort_block_sort_configILj256ELj4ELNS0_20block_sort_algorithmE0EEENS0_14default_configENS1_37merge_sort_block_sort_config_selectorIslEENS1_38merge_sort_block_merge_config_selectorIslEEEEvv.has_recursion, 0
	.set _ZN7rocprim17ROCPRIM_400000_NS6detail44device_merge_sort_compile_time_verifier_archINS1_11comp_targetILNS1_3genE3ELNS1_11target_archE908ELNS1_3gpuE7ELNS1_3repE0EEES8_NS1_28merge_sort_block_sort_configILj256ELj4ELNS0_20block_sort_algorithmE0EEENS0_14default_configENS1_37merge_sort_block_sort_config_selectorIslEENS1_38merge_sort_block_merge_config_selectorIslEEEEvv.has_indirect_call, 0
	.section	.AMDGPU.csdata,"",@progbits
; Kernel info:
; codeLenInByte = 4
; TotalNumSgprs: 4
; NumVgprs: 0
; ScratchSize: 0
; MemoryBound: 0
; FloatMode: 240
; IeeeMode: 1
; LDSByteSize: 0 bytes/workgroup (compile time only)
; SGPRBlocks: 0
; VGPRBlocks: 0
; NumSGPRsForWavesPerEU: 4
; NumVGPRsForWavesPerEU: 1
; Occupancy: 10
; WaveLimiterHint : 0
; COMPUTE_PGM_RSRC2:SCRATCH_EN: 0
; COMPUTE_PGM_RSRC2:USER_SGPR: 4
; COMPUTE_PGM_RSRC2:TRAP_HANDLER: 0
; COMPUTE_PGM_RSRC2:TGID_X_EN: 1
; COMPUTE_PGM_RSRC2:TGID_Y_EN: 0
; COMPUTE_PGM_RSRC2:TGID_Z_EN: 0
; COMPUTE_PGM_RSRC2:TIDIG_COMP_CNT: 0
	.section	.text._ZN7rocprim17ROCPRIM_400000_NS6detail44device_merge_sort_compile_time_verifier_archINS1_11comp_targetILNS1_3genE2ELNS1_11target_archE906ELNS1_3gpuE6ELNS1_3repE0EEES8_NS1_28merge_sort_block_sort_configILj256ELj4ELNS0_20block_sort_algorithmE0EEENS0_14default_configENS1_37merge_sort_block_sort_config_selectorIslEENS1_38merge_sort_block_merge_config_selectorIslEEEEvv,"axG",@progbits,_ZN7rocprim17ROCPRIM_400000_NS6detail44device_merge_sort_compile_time_verifier_archINS1_11comp_targetILNS1_3genE2ELNS1_11target_archE906ELNS1_3gpuE6ELNS1_3repE0EEES8_NS1_28merge_sort_block_sort_configILj256ELj4ELNS0_20block_sort_algorithmE0EEENS0_14default_configENS1_37merge_sort_block_sort_config_selectorIslEENS1_38merge_sort_block_merge_config_selectorIslEEEEvv,comdat
	.protected	_ZN7rocprim17ROCPRIM_400000_NS6detail44device_merge_sort_compile_time_verifier_archINS1_11comp_targetILNS1_3genE2ELNS1_11target_archE906ELNS1_3gpuE6ELNS1_3repE0EEES8_NS1_28merge_sort_block_sort_configILj256ELj4ELNS0_20block_sort_algorithmE0EEENS0_14default_configENS1_37merge_sort_block_sort_config_selectorIslEENS1_38merge_sort_block_merge_config_selectorIslEEEEvv ; -- Begin function _ZN7rocprim17ROCPRIM_400000_NS6detail44device_merge_sort_compile_time_verifier_archINS1_11comp_targetILNS1_3genE2ELNS1_11target_archE906ELNS1_3gpuE6ELNS1_3repE0EEES8_NS1_28merge_sort_block_sort_configILj256ELj4ELNS0_20block_sort_algorithmE0EEENS0_14default_configENS1_37merge_sort_block_sort_config_selectorIslEENS1_38merge_sort_block_merge_config_selectorIslEEEEvv
	.globl	_ZN7rocprim17ROCPRIM_400000_NS6detail44device_merge_sort_compile_time_verifier_archINS1_11comp_targetILNS1_3genE2ELNS1_11target_archE906ELNS1_3gpuE6ELNS1_3repE0EEES8_NS1_28merge_sort_block_sort_configILj256ELj4ELNS0_20block_sort_algorithmE0EEENS0_14default_configENS1_37merge_sort_block_sort_config_selectorIslEENS1_38merge_sort_block_merge_config_selectorIslEEEEvv
	.p2align	8
	.type	_ZN7rocprim17ROCPRIM_400000_NS6detail44device_merge_sort_compile_time_verifier_archINS1_11comp_targetILNS1_3genE2ELNS1_11target_archE906ELNS1_3gpuE6ELNS1_3repE0EEES8_NS1_28merge_sort_block_sort_configILj256ELj4ELNS0_20block_sort_algorithmE0EEENS0_14default_configENS1_37merge_sort_block_sort_config_selectorIslEENS1_38merge_sort_block_merge_config_selectorIslEEEEvv,@function
_ZN7rocprim17ROCPRIM_400000_NS6detail44device_merge_sort_compile_time_verifier_archINS1_11comp_targetILNS1_3genE2ELNS1_11target_archE906ELNS1_3gpuE6ELNS1_3repE0EEES8_NS1_28merge_sort_block_sort_configILj256ELj4ELNS0_20block_sort_algorithmE0EEENS0_14default_configENS1_37merge_sort_block_sort_config_selectorIslEENS1_38merge_sort_block_merge_config_selectorIslEEEEvv: ; @_ZN7rocprim17ROCPRIM_400000_NS6detail44device_merge_sort_compile_time_verifier_archINS1_11comp_targetILNS1_3genE2ELNS1_11target_archE906ELNS1_3gpuE6ELNS1_3repE0EEES8_NS1_28merge_sort_block_sort_configILj256ELj4ELNS0_20block_sort_algorithmE0EEENS0_14default_configENS1_37merge_sort_block_sort_config_selectorIslEENS1_38merge_sort_block_merge_config_selectorIslEEEEvv
; %bb.0:
	s_endpgm
	.section	.rodata,"a",@progbits
	.p2align	6, 0x0
	.amdhsa_kernel _ZN7rocprim17ROCPRIM_400000_NS6detail44device_merge_sort_compile_time_verifier_archINS1_11comp_targetILNS1_3genE2ELNS1_11target_archE906ELNS1_3gpuE6ELNS1_3repE0EEES8_NS1_28merge_sort_block_sort_configILj256ELj4ELNS0_20block_sort_algorithmE0EEENS0_14default_configENS1_37merge_sort_block_sort_config_selectorIslEENS1_38merge_sort_block_merge_config_selectorIslEEEEvv
		.amdhsa_group_segment_fixed_size 0
		.amdhsa_private_segment_fixed_size 0
		.amdhsa_kernarg_size 0
		.amdhsa_user_sgpr_count 4
		.amdhsa_user_sgpr_private_segment_buffer 1
		.amdhsa_user_sgpr_dispatch_ptr 0
		.amdhsa_user_sgpr_queue_ptr 0
		.amdhsa_user_sgpr_kernarg_segment_ptr 0
		.amdhsa_user_sgpr_dispatch_id 0
		.amdhsa_user_sgpr_flat_scratch_init 0
		.amdhsa_user_sgpr_private_segment_size 0
		.amdhsa_uses_dynamic_stack 0
		.amdhsa_system_sgpr_private_segment_wavefront_offset 0
		.amdhsa_system_sgpr_workgroup_id_x 1
		.amdhsa_system_sgpr_workgroup_id_y 0
		.amdhsa_system_sgpr_workgroup_id_z 0
		.amdhsa_system_sgpr_workgroup_info 0
		.amdhsa_system_vgpr_workitem_id 0
		.amdhsa_next_free_vgpr 1
		.amdhsa_next_free_sgpr 0
		.amdhsa_reserve_vcc 0
		.amdhsa_reserve_flat_scratch 0
		.amdhsa_float_round_mode_32 0
		.amdhsa_float_round_mode_16_64 0
		.amdhsa_float_denorm_mode_32 3
		.amdhsa_float_denorm_mode_16_64 3
		.amdhsa_dx10_clamp 1
		.amdhsa_ieee_mode 1
		.amdhsa_fp16_overflow 0
		.amdhsa_exception_fp_ieee_invalid_op 0
		.amdhsa_exception_fp_denorm_src 0
		.amdhsa_exception_fp_ieee_div_zero 0
		.amdhsa_exception_fp_ieee_overflow 0
		.amdhsa_exception_fp_ieee_underflow 0
		.amdhsa_exception_fp_ieee_inexact 0
		.amdhsa_exception_int_div_zero 0
	.end_amdhsa_kernel
	.section	.text._ZN7rocprim17ROCPRIM_400000_NS6detail44device_merge_sort_compile_time_verifier_archINS1_11comp_targetILNS1_3genE2ELNS1_11target_archE906ELNS1_3gpuE6ELNS1_3repE0EEES8_NS1_28merge_sort_block_sort_configILj256ELj4ELNS0_20block_sort_algorithmE0EEENS0_14default_configENS1_37merge_sort_block_sort_config_selectorIslEENS1_38merge_sort_block_merge_config_selectorIslEEEEvv,"axG",@progbits,_ZN7rocprim17ROCPRIM_400000_NS6detail44device_merge_sort_compile_time_verifier_archINS1_11comp_targetILNS1_3genE2ELNS1_11target_archE906ELNS1_3gpuE6ELNS1_3repE0EEES8_NS1_28merge_sort_block_sort_configILj256ELj4ELNS0_20block_sort_algorithmE0EEENS0_14default_configENS1_37merge_sort_block_sort_config_selectorIslEENS1_38merge_sort_block_merge_config_selectorIslEEEEvv,comdat
.Lfunc_end1271:
	.size	_ZN7rocprim17ROCPRIM_400000_NS6detail44device_merge_sort_compile_time_verifier_archINS1_11comp_targetILNS1_3genE2ELNS1_11target_archE906ELNS1_3gpuE6ELNS1_3repE0EEES8_NS1_28merge_sort_block_sort_configILj256ELj4ELNS0_20block_sort_algorithmE0EEENS0_14default_configENS1_37merge_sort_block_sort_config_selectorIslEENS1_38merge_sort_block_merge_config_selectorIslEEEEvv, .Lfunc_end1271-_ZN7rocprim17ROCPRIM_400000_NS6detail44device_merge_sort_compile_time_verifier_archINS1_11comp_targetILNS1_3genE2ELNS1_11target_archE906ELNS1_3gpuE6ELNS1_3repE0EEES8_NS1_28merge_sort_block_sort_configILj256ELj4ELNS0_20block_sort_algorithmE0EEENS0_14default_configENS1_37merge_sort_block_sort_config_selectorIslEENS1_38merge_sort_block_merge_config_selectorIslEEEEvv
                                        ; -- End function
	.set _ZN7rocprim17ROCPRIM_400000_NS6detail44device_merge_sort_compile_time_verifier_archINS1_11comp_targetILNS1_3genE2ELNS1_11target_archE906ELNS1_3gpuE6ELNS1_3repE0EEES8_NS1_28merge_sort_block_sort_configILj256ELj4ELNS0_20block_sort_algorithmE0EEENS0_14default_configENS1_37merge_sort_block_sort_config_selectorIslEENS1_38merge_sort_block_merge_config_selectorIslEEEEvv.num_vgpr, 0
	.set _ZN7rocprim17ROCPRIM_400000_NS6detail44device_merge_sort_compile_time_verifier_archINS1_11comp_targetILNS1_3genE2ELNS1_11target_archE906ELNS1_3gpuE6ELNS1_3repE0EEES8_NS1_28merge_sort_block_sort_configILj256ELj4ELNS0_20block_sort_algorithmE0EEENS0_14default_configENS1_37merge_sort_block_sort_config_selectorIslEENS1_38merge_sort_block_merge_config_selectorIslEEEEvv.num_agpr, 0
	.set _ZN7rocprim17ROCPRIM_400000_NS6detail44device_merge_sort_compile_time_verifier_archINS1_11comp_targetILNS1_3genE2ELNS1_11target_archE906ELNS1_3gpuE6ELNS1_3repE0EEES8_NS1_28merge_sort_block_sort_configILj256ELj4ELNS0_20block_sort_algorithmE0EEENS0_14default_configENS1_37merge_sort_block_sort_config_selectorIslEENS1_38merge_sort_block_merge_config_selectorIslEEEEvv.numbered_sgpr, 0
	.set _ZN7rocprim17ROCPRIM_400000_NS6detail44device_merge_sort_compile_time_verifier_archINS1_11comp_targetILNS1_3genE2ELNS1_11target_archE906ELNS1_3gpuE6ELNS1_3repE0EEES8_NS1_28merge_sort_block_sort_configILj256ELj4ELNS0_20block_sort_algorithmE0EEENS0_14default_configENS1_37merge_sort_block_sort_config_selectorIslEENS1_38merge_sort_block_merge_config_selectorIslEEEEvv.num_named_barrier, 0
	.set _ZN7rocprim17ROCPRIM_400000_NS6detail44device_merge_sort_compile_time_verifier_archINS1_11comp_targetILNS1_3genE2ELNS1_11target_archE906ELNS1_3gpuE6ELNS1_3repE0EEES8_NS1_28merge_sort_block_sort_configILj256ELj4ELNS0_20block_sort_algorithmE0EEENS0_14default_configENS1_37merge_sort_block_sort_config_selectorIslEENS1_38merge_sort_block_merge_config_selectorIslEEEEvv.private_seg_size, 0
	.set _ZN7rocprim17ROCPRIM_400000_NS6detail44device_merge_sort_compile_time_verifier_archINS1_11comp_targetILNS1_3genE2ELNS1_11target_archE906ELNS1_3gpuE6ELNS1_3repE0EEES8_NS1_28merge_sort_block_sort_configILj256ELj4ELNS0_20block_sort_algorithmE0EEENS0_14default_configENS1_37merge_sort_block_sort_config_selectorIslEENS1_38merge_sort_block_merge_config_selectorIslEEEEvv.uses_vcc, 0
	.set _ZN7rocprim17ROCPRIM_400000_NS6detail44device_merge_sort_compile_time_verifier_archINS1_11comp_targetILNS1_3genE2ELNS1_11target_archE906ELNS1_3gpuE6ELNS1_3repE0EEES8_NS1_28merge_sort_block_sort_configILj256ELj4ELNS0_20block_sort_algorithmE0EEENS0_14default_configENS1_37merge_sort_block_sort_config_selectorIslEENS1_38merge_sort_block_merge_config_selectorIslEEEEvv.uses_flat_scratch, 0
	.set _ZN7rocprim17ROCPRIM_400000_NS6detail44device_merge_sort_compile_time_verifier_archINS1_11comp_targetILNS1_3genE2ELNS1_11target_archE906ELNS1_3gpuE6ELNS1_3repE0EEES8_NS1_28merge_sort_block_sort_configILj256ELj4ELNS0_20block_sort_algorithmE0EEENS0_14default_configENS1_37merge_sort_block_sort_config_selectorIslEENS1_38merge_sort_block_merge_config_selectorIslEEEEvv.has_dyn_sized_stack, 0
	.set _ZN7rocprim17ROCPRIM_400000_NS6detail44device_merge_sort_compile_time_verifier_archINS1_11comp_targetILNS1_3genE2ELNS1_11target_archE906ELNS1_3gpuE6ELNS1_3repE0EEES8_NS1_28merge_sort_block_sort_configILj256ELj4ELNS0_20block_sort_algorithmE0EEENS0_14default_configENS1_37merge_sort_block_sort_config_selectorIslEENS1_38merge_sort_block_merge_config_selectorIslEEEEvv.has_recursion, 0
	.set _ZN7rocprim17ROCPRIM_400000_NS6detail44device_merge_sort_compile_time_verifier_archINS1_11comp_targetILNS1_3genE2ELNS1_11target_archE906ELNS1_3gpuE6ELNS1_3repE0EEES8_NS1_28merge_sort_block_sort_configILj256ELj4ELNS0_20block_sort_algorithmE0EEENS0_14default_configENS1_37merge_sort_block_sort_config_selectorIslEENS1_38merge_sort_block_merge_config_selectorIslEEEEvv.has_indirect_call, 0
	.section	.AMDGPU.csdata,"",@progbits
; Kernel info:
; codeLenInByte = 4
; TotalNumSgprs: 4
; NumVgprs: 0
; ScratchSize: 0
; MemoryBound: 0
; FloatMode: 240
; IeeeMode: 1
; LDSByteSize: 0 bytes/workgroup (compile time only)
; SGPRBlocks: 0
; VGPRBlocks: 0
; NumSGPRsForWavesPerEU: 4
; NumVGPRsForWavesPerEU: 1
; Occupancy: 10
; WaveLimiterHint : 0
; COMPUTE_PGM_RSRC2:SCRATCH_EN: 0
; COMPUTE_PGM_RSRC2:USER_SGPR: 4
; COMPUTE_PGM_RSRC2:TRAP_HANDLER: 0
; COMPUTE_PGM_RSRC2:TGID_X_EN: 1
; COMPUTE_PGM_RSRC2:TGID_Y_EN: 0
; COMPUTE_PGM_RSRC2:TGID_Z_EN: 0
; COMPUTE_PGM_RSRC2:TIDIG_COMP_CNT: 0
	.section	.text._ZN7rocprim17ROCPRIM_400000_NS6detail44device_merge_sort_compile_time_verifier_archINS1_11comp_targetILNS1_3genE10ELNS1_11target_archE1201ELNS1_3gpuE5ELNS1_3repE0EEES8_NS1_28merge_sort_block_sort_configILj256ELj4ELNS0_20block_sort_algorithmE0EEENS0_14default_configENS1_37merge_sort_block_sort_config_selectorIslEENS1_38merge_sort_block_merge_config_selectorIslEEEEvv,"axG",@progbits,_ZN7rocprim17ROCPRIM_400000_NS6detail44device_merge_sort_compile_time_verifier_archINS1_11comp_targetILNS1_3genE10ELNS1_11target_archE1201ELNS1_3gpuE5ELNS1_3repE0EEES8_NS1_28merge_sort_block_sort_configILj256ELj4ELNS0_20block_sort_algorithmE0EEENS0_14default_configENS1_37merge_sort_block_sort_config_selectorIslEENS1_38merge_sort_block_merge_config_selectorIslEEEEvv,comdat
	.protected	_ZN7rocprim17ROCPRIM_400000_NS6detail44device_merge_sort_compile_time_verifier_archINS1_11comp_targetILNS1_3genE10ELNS1_11target_archE1201ELNS1_3gpuE5ELNS1_3repE0EEES8_NS1_28merge_sort_block_sort_configILj256ELj4ELNS0_20block_sort_algorithmE0EEENS0_14default_configENS1_37merge_sort_block_sort_config_selectorIslEENS1_38merge_sort_block_merge_config_selectorIslEEEEvv ; -- Begin function _ZN7rocprim17ROCPRIM_400000_NS6detail44device_merge_sort_compile_time_verifier_archINS1_11comp_targetILNS1_3genE10ELNS1_11target_archE1201ELNS1_3gpuE5ELNS1_3repE0EEES8_NS1_28merge_sort_block_sort_configILj256ELj4ELNS0_20block_sort_algorithmE0EEENS0_14default_configENS1_37merge_sort_block_sort_config_selectorIslEENS1_38merge_sort_block_merge_config_selectorIslEEEEvv
	.globl	_ZN7rocprim17ROCPRIM_400000_NS6detail44device_merge_sort_compile_time_verifier_archINS1_11comp_targetILNS1_3genE10ELNS1_11target_archE1201ELNS1_3gpuE5ELNS1_3repE0EEES8_NS1_28merge_sort_block_sort_configILj256ELj4ELNS0_20block_sort_algorithmE0EEENS0_14default_configENS1_37merge_sort_block_sort_config_selectorIslEENS1_38merge_sort_block_merge_config_selectorIslEEEEvv
	.p2align	8
	.type	_ZN7rocprim17ROCPRIM_400000_NS6detail44device_merge_sort_compile_time_verifier_archINS1_11comp_targetILNS1_3genE10ELNS1_11target_archE1201ELNS1_3gpuE5ELNS1_3repE0EEES8_NS1_28merge_sort_block_sort_configILj256ELj4ELNS0_20block_sort_algorithmE0EEENS0_14default_configENS1_37merge_sort_block_sort_config_selectorIslEENS1_38merge_sort_block_merge_config_selectorIslEEEEvv,@function
_ZN7rocprim17ROCPRIM_400000_NS6detail44device_merge_sort_compile_time_verifier_archINS1_11comp_targetILNS1_3genE10ELNS1_11target_archE1201ELNS1_3gpuE5ELNS1_3repE0EEES8_NS1_28merge_sort_block_sort_configILj256ELj4ELNS0_20block_sort_algorithmE0EEENS0_14default_configENS1_37merge_sort_block_sort_config_selectorIslEENS1_38merge_sort_block_merge_config_selectorIslEEEEvv: ; @_ZN7rocprim17ROCPRIM_400000_NS6detail44device_merge_sort_compile_time_verifier_archINS1_11comp_targetILNS1_3genE10ELNS1_11target_archE1201ELNS1_3gpuE5ELNS1_3repE0EEES8_NS1_28merge_sort_block_sort_configILj256ELj4ELNS0_20block_sort_algorithmE0EEENS0_14default_configENS1_37merge_sort_block_sort_config_selectorIslEENS1_38merge_sort_block_merge_config_selectorIslEEEEvv
; %bb.0:
	s_endpgm
	.section	.rodata,"a",@progbits
	.p2align	6, 0x0
	.amdhsa_kernel _ZN7rocprim17ROCPRIM_400000_NS6detail44device_merge_sort_compile_time_verifier_archINS1_11comp_targetILNS1_3genE10ELNS1_11target_archE1201ELNS1_3gpuE5ELNS1_3repE0EEES8_NS1_28merge_sort_block_sort_configILj256ELj4ELNS0_20block_sort_algorithmE0EEENS0_14default_configENS1_37merge_sort_block_sort_config_selectorIslEENS1_38merge_sort_block_merge_config_selectorIslEEEEvv
		.amdhsa_group_segment_fixed_size 0
		.amdhsa_private_segment_fixed_size 0
		.amdhsa_kernarg_size 0
		.amdhsa_user_sgpr_count 4
		.amdhsa_user_sgpr_private_segment_buffer 1
		.amdhsa_user_sgpr_dispatch_ptr 0
		.amdhsa_user_sgpr_queue_ptr 0
		.amdhsa_user_sgpr_kernarg_segment_ptr 0
		.amdhsa_user_sgpr_dispatch_id 0
		.amdhsa_user_sgpr_flat_scratch_init 0
		.amdhsa_user_sgpr_private_segment_size 0
		.amdhsa_uses_dynamic_stack 0
		.amdhsa_system_sgpr_private_segment_wavefront_offset 0
		.amdhsa_system_sgpr_workgroup_id_x 1
		.amdhsa_system_sgpr_workgroup_id_y 0
		.amdhsa_system_sgpr_workgroup_id_z 0
		.amdhsa_system_sgpr_workgroup_info 0
		.amdhsa_system_vgpr_workitem_id 0
		.amdhsa_next_free_vgpr 1
		.amdhsa_next_free_sgpr 0
		.amdhsa_reserve_vcc 0
		.amdhsa_reserve_flat_scratch 0
		.amdhsa_float_round_mode_32 0
		.amdhsa_float_round_mode_16_64 0
		.amdhsa_float_denorm_mode_32 3
		.amdhsa_float_denorm_mode_16_64 3
		.amdhsa_dx10_clamp 1
		.amdhsa_ieee_mode 1
		.amdhsa_fp16_overflow 0
		.amdhsa_exception_fp_ieee_invalid_op 0
		.amdhsa_exception_fp_denorm_src 0
		.amdhsa_exception_fp_ieee_div_zero 0
		.amdhsa_exception_fp_ieee_overflow 0
		.amdhsa_exception_fp_ieee_underflow 0
		.amdhsa_exception_fp_ieee_inexact 0
		.amdhsa_exception_int_div_zero 0
	.end_amdhsa_kernel
	.section	.text._ZN7rocprim17ROCPRIM_400000_NS6detail44device_merge_sort_compile_time_verifier_archINS1_11comp_targetILNS1_3genE10ELNS1_11target_archE1201ELNS1_3gpuE5ELNS1_3repE0EEES8_NS1_28merge_sort_block_sort_configILj256ELj4ELNS0_20block_sort_algorithmE0EEENS0_14default_configENS1_37merge_sort_block_sort_config_selectorIslEENS1_38merge_sort_block_merge_config_selectorIslEEEEvv,"axG",@progbits,_ZN7rocprim17ROCPRIM_400000_NS6detail44device_merge_sort_compile_time_verifier_archINS1_11comp_targetILNS1_3genE10ELNS1_11target_archE1201ELNS1_3gpuE5ELNS1_3repE0EEES8_NS1_28merge_sort_block_sort_configILj256ELj4ELNS0_20block_sort_algorithmE0EEENS0_14default_configENS1_37merge_sort_block_sort_config_selectorIslEENS1_38merge_sort_block_merge_config_selectorIslEEEEvv,comdat
.Lfunc_end1272:
	.size	_ZN7rocprim17ROCPRIM_400000_NS6detail44device_merge_sort_compile_time_verifier_archINS1_11comp_targetILNS1_3genE10ELNS1_11target_archE1201ELNS1_3gpuE5ELNS1_3repE0EEES8_NS1_28merge_sort_block_sort_configILj256ELj4ELNS0_20block_sort_algorithmE0EEENS0_14default_configENS1_37merge_sort_block_sort_config_selectorIslEENS1_38merge_sort_block_merge_config_selectorIslEEEEvv, .Lfunc_end1272-_ZN7rocprim17ROCPRIM_400000_NS6detail44device_merge_sort_compile_time_verifier_archINS1_11comp_targetILNS1_3genE10ELNS1_11target_archE1201ELNS1_3gpuE5ELNS1_3repE0EEES8_NS1_28merge_sort_block_sort_configILj256ELj4ELNS0_20block_sort_algorithmE0EEENS0_14default_configENS1_37merge_sort_block_sort_config_selectorIslEENS1_38merge_sort_block_merge_config_selectorIslEEEEvv
                                        ; -- End function
	.set _ZN7rocprim17ROCPRIM_400000_NS6detail44device_merge_sort_compile_time_verifier_archINS1_11comp_targetILNS1_3genE10ELNS1_11target_archE1201ELNS1_3gpuE5ELNS1_3repE0EEES8_NS1_28merge_sort_block_sort_configILj256ELj4ELNS0_20block_sort_algorithmE0EEENS0_14default_configENS1_37merge_sort_block_sort_config_selectorIslEENS1_38merge_sort_block_merge_config_selectorIslEEEEvv.num_vgpr, 0
	.set _ZN7rocprim17ROCPRIM_400000_NS6detail44device_merge_sort_compile_time_verifier_archINS1_11comp_targetILNS1_3genE10ELNS1_11target_archE1201ELNS1_3gpuE5ELNS1_3repE0EEES8_NS1_28merge_sort_block_sort_configILj256ELj4ELNS0_20block_sort_algorithmE0EEENS0_14default_configENS1_37merge_sort_block_sort_config_selectorIslEENS1_38merge_sort_block_merge_config_selectorIslEEEEvv.num_agpr, 0
	.set _ZN7rocprim17ROCPRIM_400000_NS6detail44device_merge_sort_compile_time_verifier_archINS1_11comp_targetILNS1_3genE10ELNS1_11target_archE1201ELNS1_3gpuE5ELNS1_3repE0EEES8_NS1_28merge_sort_block_sort_configILj256ELj4ELNS0_20block_sort_algorithmE0EEENS0_14default_configENS1_37merge_sort_block_sort_config_selectorIslEENS1_38merge_sort_block_merge_config_selectorIslEEEEvv.numbered_sgpr, 0
	.set _ZN7rocprim17ROCPRIM_400000_NS6detail44device_merge_sort_compile_time_verifier_archINS1_11comp_targetILNS1_3genE10ELNS1_11target_archE1201ELNS1_3gpuE5ELNS1_3repE0EEES8_NS1_28merge_sort_block_sort_configILj256ELj4ELNS0_20block_sort_algorithmE0EEENS0_14default_configENS1_37merge_sort_block_sort_config_selectorIslEENS1_38merge_sort_block_merge_config_selectorIslEEEEvv.num_named_barrier, 0
	.set _ZN7rocprim17ROCPRIM_400000_NS6detail44device_merge_sort_compile_time_verifier_archINS1_11comp_targetILNS1_3genE10ELNS1_11target_archE1201ELNS1_3gpuE5ELNS1_3repE0EEES8_NS1_28merge_sort_block_sort_configILj256ELj4ELNS0_20block_sort_algorithmE0EEENS0_14default_configENS1_37merge_sort_block_sort_config_selectorIslEENS1_38merge_sort_block_merge_config_selectorIslEEEEvv.private_seg_size, 0
	.set _ZN7rocprim17ROCPRIM_400000_NS6detail44device_merge_sort_compile_time_verifier_archINS1_11comp_targetILNS1_3genE10ELNS1_11target_archE1201ELNS1_3gpuE5ELNS1_3repE0EEES8_NS1_28merge_sort_block_sort_configILj256ELj4ELNS0_20block_sort_algorithmE0EEENS0_14default_configENS1_37merge_sort_block_sort_config_selectorIslEENS1_38merge_sort_block_merge_config_selectorIslEEEEvv.uses_vcc, 0
	.set _ZN7rocprim17ROCPRIM_400000_NS6detail44device_merge_sort_compile_time_verifier_archINS1_11comp_targetILNS1_3genE10ELNS1_11target_archE1201ELNS1_3gpuE5ELNS1_3repE0EEES8_NS1_28merge_sort_block_sort_configILj256ELj4ELNS0_20block_sort_algorithmE0EEENS0_14default_configENS1_37merge_sort_block_sort_config_selectorIslEENS1_38merge_sort_block_merge_config_selectorIslEEEEvv.uses_flat_scratch, 0
	.set _ZN7rocprim17ROCPRIM_400000_NS6detail44device_merge_sort_compile_time_verifier_archINS1_11comp_targetILNS1_3genE10ELNS1_11target_archE1201ELNS1_3gpuE5ELNS1_3repE0EEES8_NS1_28merge_sort_block_sort_configILj256ELj4ELNS0_20block_sort_algorithmE0EEENS0_14default_configENS1_37merge_sort_block_sort_config_selectorIslEENS1_38merge_sort_block_merge_config_selectorIslEEEEvv.has_dyn_sized_stack, 0
	.set _ZN7rocprim17ROCPRIM_400000_NS6detail44device_merge_sort_compile_time_verifier_archINS1_11comp_targetILNS1_3genE10ELNS1_11target_archE1201ELNS1_3gpuE5ELNS1_3repE0EEES8_NS1_28merge_sort_block_sort_configILj256ELj4ELNS0_20block_sort_algorithmE0EEENS0_14default_configENS1_37merge_sort_block_sort_config_selectorIslEENS1_38merge_sort_block_merge_config_selectorIslEEEEvv.has_recursion, 0
	.set _ZN7rocprim17ROCPRIM_400000_NS6detail44device_merge_sort_compile_time_verifier_archINS1_11comp_targetILNS1_3genE10ELNS1_11target_archE1201ELNS1_3gpuE5ELNS1_3repE0EEES8_NS1_28merge_sort_block_sort_configILj256ELj4ELNS0_20block_sort_algorithmE0EEENS0_14default_configENS1_37merge_sort_block_sort_config_selectorIslEENS1_38merge_sort_block_merge_config_selectorIslEEEEvv.has_indirect_call, 0
	.section	.AMDGPU.csdata,"",@progbits
; Kernel info:
; codeLenInByte = 4
; TotalNumSgprs: 4
; NumVgprs: 0
; ScratchSize: 0
; MemoryBound: 0
; FloatMode: 240
; IeeeMode: 1
; LDSByteSize: 0 bytes/workgroup (compile time only)
; SGPRBlocks: 0
; VGPRBlocks: 0
; NumSGPRsForWavesPerEU: 4
; NumVGPRsForWavesPerEU: 1
; Occupancy: 10
; WaveLimiterHint : 0
; COMPUTE_PGM_RSRC2:SCRATCH_EN: 0
; COMPUTE_PGM_RSRC2:USER_SGPR: 4
; COMPUTE_PGM_RSRC2:TRAP_HANDLER: 0
; COMPUTE_PGM_RSRC2:TGID_X_EN: 1
; COMPUTE_PGM_RSRC2:TGID_Y_EN: 0
; COMPUTE_PGM_RSRC2:TGID_Z_EN: 0
; COMPUTE_PGM_RSRC2:TIDIG_COMP_CNT: 0
	.section	.text._ZN7rocprim17ROCPRIM_400000_NS6detail44device_merge_sort_compile_time_verifier_archINS1_11comp_targetILNS1_3genE10ELNS1_11target_archE1200ELNS1_3gpuE4ELNS1_3repE0EEENS3_ILS4_10ELS5_1201ELS6_5ELS7_0EEENS1_28merge_sort_block_sort_configILj256ELj4ELNS0_20block_sort_algorithmE0EEENS0_14default_configENS1_37merge_sort_block_sort_config_selectorIslEENS1_38merge_sort_block_merge_config_selectorIslEEEEvv,"axG",@progbits,_ZN7rocprim17ROCPRIM_400000_NS6detail44device_merge_sort_compile_time_verifier_archINS1_11comp_targetILNS1_3genE10ELNS1_11target_archE1200ELNS1_3gpuE4ELNS1_3repE0EEENS3_ILS4_10ELS5_1201ELS6_5ELS7_0EEENS1_28merge_sort_block_sort_configILj256ELj4ELNS0_20block_sort_algorithmE0EEENS0_14default_configENS1_37merge_sort_block_sort_config_selectorIslEENS1_38merge_sort_block_merge_config_selectorIslEEEEvv,comdat
	.protected	_ZN7rocprim17ROCPRIM_400000_NS6detail44device_merge_sort_compile_time_verifier_archINS1_11comp_targetILNS1_3genE10ELNS1_11target_archE1200ELNS1_3gpuE4ELNS1_3repE0EEENS3_ILS4_10ELS5_1201ELS6_5ELS7_0EEENS1_28merge_sort_block_sort_configILj256ELj4ELNS0_20block_sort_algorithmE0EEENS0_14default_configENS1_37merge_sort_block_sort_config_selectorIslEENS1_38merge_sort_block_merge_config_selectorIslEEEEvv ; -- Begin function _ZN7rocprim17ROCPRIM_400000_NS6detail44device_merge_sort_compile_time_verifier_archINS1_11comp_targetILNS1_3genE10ELNS1_11target_archE1200ELNS1_3gpuE4ELNS1_3repE0EEENS3_ILS4_10ELS5_1201ELS6_5ELS7_0EEENS1_28merge_sort_block_sort_configILj256ELj4ELNS0_20block_sort_algorithmE0EEENS0_14default_configENS1_37merge_sort_block_sort_config_selectorIslEENS1_38merge_sort_block_merge_config_selectorIslEEEEvv
	.globl	_ZN7rocprim17ROCPRIM_400000_NS6detail44device_merge_sort_compile_time_verifier_archINS1_11comp_targetILNS1_3genE10ELNS1_11target_archE1200ELNS1_3gpuE4ELNS1_3repE0EEENS3_ILS4_10ELS5_1201ELS6_5ELS7_0EEENS1_28merge_sort_block_sort_configILj256ELj4ELNS0_20block_sort_algorithmE0EEENS0_14default_configENS1_37merge_sort_block_sort_config_selectorIslEENS1_38merge_sort_block_merge_config_selectorIslEEEEvv
	.p2align	8
	.type	_ZN7rocprim17ROCPRIM_400000_NS6detail44device_merge_sort_compile_time_verifier_archINS1_11comp_targetILNS1_3genE10ELNS1_11target_archE1200ELNS1_3gpuE4ELNS1_3repE0EEENS3_ILS4_10ELS5_1201ELS6_5ELS7_0EEENS1_28merge_sort_block_sort_configILj256ELj4ELNS0_20block_sort_algorithmE0EEENS0_14default_configENS1_37merge_sort_block_sort_config_selectorIslEENS1_38merge_sort_block_merge_config_selectorIslEEEEvv,@function
_ZN7rocprim17ROCPRIM_400000_NS6detail44device_merge_sort_compile_time_verifier_archINS1_11comp_targetILNS1_3genE10ELNS1_11target_archE1200ELNS1_3gpuE4ELNS1_3repE0EEENS3_ILS4_10ELS5_1201ELS6_5ELS7_0EEENS1_28merge_sort_block_sort_configILj256ELj4ELNS0_20block_sort_algorithmE0EEENS0_14default_configENS1_37merge_sort_block_sort_config_selectorIslEENS1_38merge_sort_block_merge_config_selectorIslEEEEvv: ; @_ZN7rocprim17ROCPRIM_400000_NS6detail44device_merge_sort_compile_time_verifier_archINS1_11comp_targetILNS1_3genE10ELNS1_11target_archE1200ELNS1_3gpuE4ELNS1_3repE0EEENS3_ILS4_10ELS5_1201ELS6_5ELS7_0EEENS1_28merge_sort_block_sort_configILj256ELj4ELNS0_20block_sort_algorithmE0EEENS0_14default_configENS1_37merge_sort_block_sort_config_selectorIslEENS1_38merge_sort_block_merge_config_selectorIslEEEEvv
; %bb.0:
	s_endpgm
	.section	.rodata,"a",@progbits
	.p2align	6, 0x0
	.amdhsa_kernel _ZN7rocprim17ROCPRIM_400000_NS6detail44device_merge_sort_compile_time_verifier_archINS1_11comp_targetILNS1_3genE10ELNS1_11target_archE1200ELNS1_3gpuE4ELNS1_3repE0EEENS3_ILS4_10ELS5_1201ELS6_5ELS7_0EEENS1_28merge_sort_block_sort_configILj256ELj4ELNS0_20block_sort_algorithmE0EEENS0_14default_configENS1_37merge_sort_block_sort_config_selectorIslEENS1_38merge_sort_block_merge_config_selectorIslEEEEvv
		.amdhsa_group_segment_fixed_size 0
		.amdhsa_private_segment_fixed_size 0
		.amdhsa_kernarg_size 0
		.amdhsa_user_sgpr_count 4
		.amdhsa_user_sgpr_private_segment_buffer 1
		.amdhsa_user_sgpr_dispatch_ptr 0
		.amdhsa_user_sgpr_queue_ptr 0
		.amdhsa_user_sgpr_kernarg_segment_ptr 0
		.amdhsa_user_sgpr_dispatch_id 0
		.amdhsa_user_sgpr_flat_scratch_init 0
		.amdhsa_user_sgpr_private_segment_size 0
		.amdhsa_uses_dynamic_stack 0
		.amdhsa_system_sgpr_private_segment_wavefront_offset 0
		.amdhsa_system_sgpr_workgroup_id_x 1
		.amdhsa_system_sgpr_workgroup_id_y 0
		.amdhsa_system_sgpr_workgroup_id_z 0
		.amdhsa_system_sgpr_workgroup_info 0
		.amdhsa_system_vgpr_workitem_id 0
		.amdhsa_next_free_vgpr 1
		.amdhsa_next_free_sgpr 0
		.amdhsa_reserve_vcc 0
		.amdhsa_reserve_flat_scratch 0
		.amdhsa_float_round_mode_32 0
		.amdhsa_float_round_mode_16_64 0
		.amdhsa_float_denorm_mode_32 3
		.amdhsa_float_denorm_mode_16_64 3
		.amdhsa_dx10_clamp 1
		.amdhsa_ieee_mode 1
		.amdhsa_fp16_overflow 0
		.amdhsa_exception_fp_ieee_invalid_op 0
		.amdhsa_exception_fp_denorm_src 0
		.amdhsa_exception_fp_ieee_div_zero 0
		.amdhsa_exception_fp_ieee_overflow 0
		.amdhsa_exception_fp_ieee_underflow 0
		.amdhsa_exception_fp_ieee_inexact 0
		.amdhsa_exception_int_div_zero 0
	.end_amdhsa_kernel
	.section	.text._ZN7rocprim17ROCPRIM_400000_NS6detail44device_merge_sort_compile_time_verifier_archINS1_11comp_targetILNS1_3genE10ELNS1_11target_archE1200ELNS1_3gpuE4ELNS1_3repE0EEENS3_ILS4_10ELS5_1201ELS6_5ELS7_0EEENS1_28merge_sort_block_sort_configILj256ELj4ELNS0_20block_sort_algorithmE0EEENS0_14default_configENS1_37merge_sort_block_sort_config_selectorIslEENS1_38merge_sort_block_merge_config_selectorIslEEEEvv,"axG",@progbits,_ZN7rocprim17ROCPRIM_400000_NS6detail44device_merge_sort_compile_time_verifier_archINS1_11comp_targetILNS1_3genE10ELNS1_11target_archE1200ELNS1_3gpuE4ELNS1_3repE0EEENS3_ILS4_10ELS5_1201ELS6_5ELS7_0EEENS1_28merge_sort_block_sort_configILj256ELj4ELNS0_20block_sort_algorithmE0EEENS0_14default_configENS1_37merge_sort_block_sort_config_selectorIslEENS1_38merge_sort_block_merge_config_selectorIslEEEEvv,comdat
.Lfunc_end1273:
	.size	_ZN7rocprim17ROCPRIM_400000_NS6detail44device_merge_sort_compile_time_verifier_archINS1_11comp_targetILNS1_3genE10ELNS1_11target_archE1200ELNS1_3gpuE4ELNS1_3repE0EEENS3_ILS4_10ELS5_1201ELS6_5ELS7_0EEENS1_28merge_sort_block_sort_configILj256ELj4ELNS0_20block_sort_algorithmE0EEENS0_14default_configENS1_37merge_sort_block_sort_config_selectorIslEENS1_38merge_sort_block_merge_config_selectorIslEEEEvv, .Lfunc_end1273-_ZN7rocprim17ROCPRIM_400000_NS6detail44device_merge_sort_compile_time_verifier_archINS1_11comp_targetILNS1_3genE10ELNS1_11target_archE1200ELNS1_3gpuE4ELNS1_3repE0EEENS3_ILS4_10ELS5_1201ELS6_5ELS7_0EEENS1_28merge_sort_block_sort_configILj256ELj4ELNS0_20block_sort_algorithmE0EEENS0_14default_configENS1_37merge_sort_block_sort_config_selectorIslEENS1_38merge_sort_block_merge_config_selectorIslEEEEvv
                                        ; -- End function
	.set _ZN7rocprim17ROCPRIM_400000_NS6detail44device_merge_sort_compile_time_verifier_archINS1_11comp_targetILNS1_3genE10ELNS1_11target_archE1200ELNS1_3gpuE4ELNS1_3repE0EEENS3_ILS4_10ELS5_1201ELS6_5ELS7_0EEENS1_28merge_sort_block_sort_configILj256ELj4ELNS0_20block_sort_algorithmE0EEENS0_14default_configENS1_37merge_sort_block_sort_config_selectorIslEENS1_38merge_sort_block_merge_config_selectorIslEEEEvv.num_vgpr, 0
	.set _ZN7rocprim17ROCPRIM_400000_NS6detail44device_merge_sort_compile_time_verifier_archINS1_11comp_targetILNS1_3genE10ELNS1_11target_archE1200ELNS1_3gpuE4ELNS1_3repE0EEENS3_ILS4_10ELS5_1201ELS6_5ELS7_0EEENS1_28merge_sort_block_sort_configILj256ELj4ELNS0_20block_sort_algorithmE0EEENS0_14default_configENS1_37merge_sort_block_sort_config_selectorIslEENS1_38merge_sort_block_merge_config_selectorIslEEEEvv.num_agpr, 0
	.set _ZN7rocprim17ROCPRIM_400000_NS6detail44device_merge_sort_compile_time_verifier_archINS1_11comp_targetILNS1_3genE10ELNS1_11target_archE1200ELNS1_3gpuE4ELNS1_3repE0EEENS3_ILS4_10ELS5_1201ELS6_5ELS7_0EEENS1_28merge_sort_block_sort_configILj256ELj4ELNS0_20block_sort_algorithmE0EEENS0_14default_configENS1_37merge_sort_block_sort_config_selectorIslEENS1_38merge_sort_block_merge_config_selectorIslEEEEvv.numbered_sgpr, 0
	.set _ZN7rocprim17ROCPRIM_400000_NS6detail44device_merge_sort_compile_time_verifier_archINS1_11comp_targetILNS1_3genE10ELNS1_11target_archE1200ELNS1_3gpuE4ELNS1_3repE0EEENS3_ILS4_10ELS5_1201ELS6_5ELS7_0EEENS1_28merge_sort_block_sort_configILj256ELj4ELNS0_20block_sort_algorithmE0EEENS0_14default_configENS1_37merge_sort_block_sort_config_selectorIslEENS1_38merge_sort_block_merge_config_selectorIslEEEEvv.num_named_barrier, 0
	.set _ZN7rocprim17ROCPRIM_400000_NS6detail44device_merge_sort_compile_time_verifier_archINS1_11comp_targetILNS1_3genE10ELNS1_11target_archE1200ELNS1_3gpuE4ELNS1_3repE0EEENS3_ILS4_10ELS5_1201ELS6_5ELS7_0EEENS1_28merge_sort_block_sort_configILj256ELj4ELNS0_20block_sort_algorithmE0EEENS0_14default_configENS1_37merge_sort_block_sort_config_selectorIslEENS1_38merge_sort_block_merge_config_selectorIslEEEEvv.private_seg_size, 0
	.set _ZN7rocprim17ROCPRIM_400000_NS6detail44device_merge_sort_compile_time_verifier_archINS1_11comp_targetILNS1_3genE10ELNS1_11target_archE1200ELNS1_3gpuE4ELNS1_3repE0EEENS3_ILS4_10ELS5_1201ELS6_5ELS7_0EEENS1_28merge_sort_block_sort_configILj256ELj4ELNS0_20block_sort_algorithmE0EEENS0_14default_configENS1_37merge_sort_block_sort_config_selectorIslEENS1_38merge_sort_block_merge_config_selectorIslEEEEvv.uses_vcc, 0
	.set _ZN7rocprim17ROCPRIM_400000_NS6detail44device_merge_sort_compile_time_verifier_archINS1_11comp_targetILNS1_3genE10ELNS1_11target_archE1200ELNS1_3gpuE4ELNS1_3repE0EEENS3_ILS4_10ELS5_1201ELS6_5ELS7_0EEENS1_28merge_sort_block_sort_configILj256ELj4ELNS0_20block_sort_algorithmE0EEENS0_14default_configENS1_37merge_sort_block_sort_config_selectorIslEENS1_38merge_sort_block_merge_config_selectorIslEEEEvv.uses_flat_scratch, 0
	.set _ZN7rocprim17ROCPRIM_400000_NS6detail44device_merge_sort_compile_time_verifier_archINS1_11comp_targetILNS1_3genE10ELNS1_11target_archE1200ELNS1_3gpuE4ELNS1_3repE0EEENS3_ILS4_10ELS5_1201ELS6_5ELS7_0EEENS1_28merge_sort_block_sort_configILj256ELj4ELNS0_20block_sort_algorithmE0EEENS0_14default_configENS1_37merge_sort_block_sort_config_selectorIslEENS1_38merge_sort_block_merge_config_selectorIslEEEEvv.has_dyn_sized_stack, 0
	.set _ZN7rocprim17ROCPRIM_400000_NS6detail44device_merge_sort_compile_time_verifier_archINS1_11comp_targetILNS1_3genE10ELNS1_11target_archE1200ELNS1_3gpuE4ELNS1_3repE0EEENS3_ILS4_10ELS5_1201ELS6_5ELS7_0EEENS1_28merge_sort_block_sort_configILj256ELj4ELNS0_20block_sort_algorithmE0EEENS0_14default_configENS1_37merge_sort_block_sort_config_selectorIslEENS1_38merge_sort_block_merge_config_selectorIslEEEEvv.has_recursion, 0
	.set _ZN7rocprim17ROCPRIM_400000_NS6detail44device_merge_sort_compile_time_verifier_archINS1_11comp_targetILNS1_3genE10ELNS1_11target_archE1200ELNS1_3gpuE4ELNS1_3repE0EEENS3_ILS4_10ELS5_1201ELS6_5ELS7_0EEENS1_28merge_sort_block_sort_configILj256ELj4ELNS0_20block_sort_algorithmE0EEENS0_14default_configENS1_37merge_sort_block_sort_config_selectorIslEENS1_38merge_sort_block_merge_config_selectorIslEEEEvv.has_indirect_call, 0
	.section	.AMDGPU.csdata,"",@progbits
; Kernel info:
; codeLenInByte = 4
; TotalNumSgprs: 4
; NumVgprs: 0
; ScratchSize: 0
; MemoryBound: 0
; FloatMode: 240
; IeeeMode: 1
; LDSByteSize: 0 bytes/workgroup (compile time only)
; SGPRBlocks: 0
; VGPRBlocks: 0
; NumSGPRsForWavesPerEU: 4
; NumVGPRsForWavesPerEU: 1
; Occupancy: 10
; WaveLimiterHint : 0
; COMPUTE_PGM_RSRC2:SCRATCH_EN: 0
; COMPUTE_PGM_RSRC2:USER_SGPR: 4
; COMPUTE_PGM_RSRC2:TRAP_HANDLER: 0
; COMPUTE_PGM_RSRC2:TGID_X_EN: 1
; COMPUTE_PGM_RSRC2:TGID_Y_EN: 0
; COMPUTE_PGM_RSRC2:TGID_Z_EN: 0
; COMPUTE_PGM_RSRC2:TIDIG_COMP_CNT: 0
	.section	.text._ZN7rocprim17ROCPRIM_400000_NS6detail44device_merge_sort_compile_time_verifier_archINS1_11comp_targetILNS1_3genE9ELNS1_11target_archE1100ELNS1_3gpuE3ELNS1_3repE0EEES8_NS1_28merge_sort_block_sort_configILj256ELj4ELNS0_20block_sort_algorithmE0EEENS0_14default_configENS1_37merge_sort_block_sort_config_selectorIslEENS1_38merge_sort_block_merge_config_selectorIslEEEEvv,"axG",@progbits,_ZN7rocprim17ROCPRIM_400000_NS6detail44device_merge_sort_compile_time_verifier_archINS1_11comp_targetILNS1_3genE9ELNS1_11target_archE1100ELNS1_3gpuE3ELNS1_3repE0EEES8_NS1_28merge_sort_block_sort_configILj256ELj4ELNS0_20block_sort_algorithmE0EEENS0_14default_configENS1_37merge_sort_block_sort_config_selectorIslEENS1_38merge_sort_block_merge_config_selectorIslEEEEvv,comdat
	.protected	_ZN7rocprim17ROCPRIM_400000_NS6detail44device_merge_sort_compile_time_verifier_archINS1_11comp_targetILNS1_3genE9ELNS1_11target_archE1100ELNS1_3gpuE3ELNS1_3repE0EEES8_NS1_28merge_sort_block_sort_configILj256ELj4ELNS0_20block_sort_algorithmE0EEENS0_14default_configENS1_37merge_sort_block_sort_config_selectorIslEENS1_38merge_sort_block_merge_config_selectorIslEEEEvv ; -- Begin function _ZN7rocprim17ROCPRIM_400000_NS6detail44device_merge_sort_compile_time_verifier_archINS1_11comp_targetILNS1_3genE9ELNS1_11target_archE1100ELNS1_3gpuE3ELNS1_3repE0EEES8_NS1_28merge_sort_block_sort_configILj256ELj4ELNS0_20block_sort_algorithmE0EEENS0_14default_configENS1_37merge_sort_block_sort_config_selectorIslEENS1_38merge_sort_block_merge_config_selectorIslEEEEvv
	.globl	_ZN7rocprim17ROCPRIM_400000_NS6detail44device_merge_sort_compile_time_verifier_archINS1_11comp_targetILNS1_3genE9ELNS1_11target_archE1100ELNS1_3gpuE3ELNS1_3repE0EEES8_NS1_28merge_sort_block_sort_configILj256ELj4ELNS0_20block_sort_algorithmE0EEENS0_14default_configENS1_37merge_sort_block_sort_config_selectorIslEENS1_38merge_sort_block_merge_config_selectorIslEEEEvv
	.p2align	8
	.type	_ZN7rocprim17ROCPRIM_400000_NS6detail44device_merge_sort_compile_time_verifier_archINS1_11comp_targetILNS1_3genE9ELNS1_11target_archE1100ELNS1_3gpuE3ELNS1_3repE0EEES8_NS1_28merge_sort_block_sort_configILj256ELj4ELNS0_20block_sort_algorithmE0EEENS0_14default_configENS1_37merge_sort_block_sort_config_selectorIslEENS1_38merge_sort_block_merge_config_selectorIslEEEEvv,@function
_ZN7rocprim17ROCPRIM_400000_NS6detail44device_merge_sort_compile_time_verifier_archINS1_11comp_targetILNS1_3genE9ELNS1_11target_archE1100ELNS1_3gpuE3ELNS1_3repE0EEES8_NS1_28merge_sort_block_sort_configILj256ELj4ELNS0_20block_sort_algorithmE0EEENS0_14default_configENS1_37merge_sort_block_sort_config_selectorIslEENS1_38merge_sort_block_merge_config_selectorIslEEEEvv: ; @_ZN7rocprim17ROCPRIM_400000_NS6detail44device_merge_sort_compile_time_verifier_archINS1_11comp_targetILNS1_3genE9ELNS1_11target_archE1100ELNS1_3gpuE3ELNS1_3repE0EEES8_NS1_28merge_sort_block_sort_configILj256ELj4ELNS0_20block_sort_algorithmE0EEENS0_14default_configENS1_37merge_sort_block_sort_config_selectorIslEENS1_38merge_sort_block_merge_config_selectorIslEEEEvv
; %bb.0:
	s_endpgm
	.section	.rodata,"a",@progbits
	.p2align	6, 0x0
	.amdhsa_kernel _ZN7rocprim17ROCPRIM_400000_NS6detail44device_merge_sort_compile_time_verifier_archINS1_11comp_targetILNS1_3genE9ELNS1_11target_archE1100ELNS1_3gpuE3ELNS1_3repE0EEES8_NS1_28merge_sort_block_sort_configILj256ELj4ELNS0_20block_sort_algorithmE0EEENS0_14default_configENS1_37merge_sort_block_sort_config_selectorIslEENS1_38merge_sort_block_merge_config_selectorIslEEEEvv
		.amdhsa_group_segment_fixed_size 0
		.amdhsa_private_segment_fixed_size 0
		.amdhsa_kernarg_size 0
		.amdhsa_user_sgpr_count 4
		.amdhsa_user_sgpr_private_segment_buffer 1
		.amdhsa_user_sgpr_dispatch_ptr 0
		.amdhsa_user_sgpr_queue_ptr 0
		.amdhsa_user_sgpr_kernarg_segment_ptr 0
		.amdhsa_user_sgpr_dispatch_id 0
		.amdhsa_user_sgpr_flat_scratch_init 0
		.amdhsa_user_sgpr_private_segment_size 0
		.amdhsa_uses_dynamic_stack 0
		.amdhsa_system_sgpr_private_segment_wavefront_offset 0
		.amdhsa_system_sgpr_workgroup_id_x 1
		.amdhsa_system_sgpr_workgroup_id_y 0
		.amdhsa_system_sgpr_workgroup_id_z 0
		.amdhsa_system_sgpr_workgroup_info 0
		.amdhsa_system_vgpr_workitem_id 0
		.amdhsa_next_free_vgpr 1
		.amdhsa_next_free_sgpr 0
		.amdhsa_reserve_vcc 0
		.amdhsa_reserve_flat_scratch 0
		.amdhsa_float_round_mode_32 0
		.amdhsa_float_round_mode_16_64 0
		.amdhsa_float_denorm_mode_32 3
		.amdhsa_float_denorm_mode_16_64 3
		.amdhsa_dx10_clamp 1
		.amdhsa_ieee_mode 1
		.amdhsa_fp16_overflow 0
		.amdhsa_exception_fp_ieee_invalid_op 0
		.amdhsa_exception_fp_denorm_src 0
		.amdhsa_exception_fp_ieee_div_zero 0
		.amdhsa_exception_fp_ieee_overflow 0
		.amdhsa_exception_fp_ieee_underflow 0
		.amdhsa_exception_fp_ieee_inexact 0
		.amdhsa_exception_int_div_zero 0
	.end_amdhsa_kernel
	.section	.text._ZN7rocprim17ROCPRIM_400000_NS6detail44device_merge_sort_compile_time_verifier_archINS1_11comp_targetILNS1_3genE9ELNS1_11target_archE1100ELNS1_3gpuE3ELNS1_3repE0EEES8_NS1_28merge_sort_block_sort_configILj256ELj4ELNS0_20block_sort_algorithmE0EEENS0_14default_configENS1_37merge_sort_block_sort_config_selectorIslEENS1_38merge_sort_block_merge_config_selectorIslEEEEvv,"axG",@progbits,_ZN7rocprim17ROCPRIM_400000_NS6detail44device_merge_sort_compile_time_verifier_archINS1_11comp_targetILNS1_3genE9ELNS1_11target_archE1100ELNS1_3gpuE3ELNS1_3repE0EEES8_NS1_28merge_sort_block_sort_configILj256ELj4ELNS0_20block_sort_algorithmE0EEENS0_14default_configENS1_37merge_sort_block_sort_config_selectorIslEENS1_38merge_sort_block_merge_config_selectorIslEEEEvv,comdat
.Lfunc_end1274:
	.size	_ZN7rocprim17ROCPRIM_400000_NS6detail44device_merge_sort_compile_time_verifier_archINS1_11comp_targetILNS1_3genE9ELNS1_11target_archE1100ELNS1_3gpuE3ELNS1_3repE0EEES8_NS1_28merge_sort_block_sort_configILj256ELj4ELNS0_20block_sort_algorithmE0EEENS0_14default_configENS1_37merge_sort_block_sort_config_selectorIslEENS1_38merge_sort_block_merge_config_selectorIslEEEEvv, .Lfunc_end1274-_ZN7rocprim17ROCPRIM_400000_NS6detail44device_merge_sort_compile_time_verifier_archINS1_11comp_targetILNS1_3genE9ELNS1_11target_archE1100ELNS1_3gpuE3ELNS1_3repE0EEES8_NS1_28merge_sort_block_sort_configILj256ELj4ELNS0_20block_sort_algorithmE0EEENS0_14default_configENS1_37merge_sort_block_sort_config_selectorIslEENS1_38merge_sort_block_merge_config_selectorIslEEEEvv
                                        ; -- End function
	.set _ZN7rocprim17ROCPRIM_400000_NS6detail44device_merge_sort_compile_time_verifier_archINS1_11comp_targetILNS1_3genE9ELNS1_11target_archE1100ELNS1_3gpuE3ELNS1_3repE0EEES8_NS1_28merge_sort_block_sort_configILj256ELj4ELNS0_20block_sort_algorithmE0EEENS0_14default_configENS1_37merge_sort_block_sort_config_selectorIslEENS1_38merge_sort_block_merge_config_selectorIslEEEEvv.num_vgpr, 0
	.set _ZN7rocprim17ROCPRIM_400000_NS6detail44device_merge_sort_compile_time_verifier_archINS1_11comp_targetILNS1_3genE9ELNS1_11target_archE1100ELNS1_3gpuE3ELNS1_3repE0EEES8_NS1_28merge_sort_block_sort_configILj256ELj4ELNS0_20block_sort_algorithmE0EEENS0_14default_configENS1_37merge_sort_block_sort_config_selectorIslEENS1_38merge_sort_block_merge_config_selectorIslEEEEvv.num_agpr, 0
	.set _ZN7rocprim17ROCPRIM_400000_NS6detail44device_merge_sort_compile_time_verifier_archINS1_11comp_targetILNS1_3genE9ELNS1_11target_archE1100ELNS1_3gpuE3ELNS1_3repE0EEES8_NS1_28merge_sort_block_sort_configILj256ELj4ELNS0_20block_sort_algorithmE0EEENS0_14default_configENS1_37merge_sort_block_sort_config_selectorIslEENS1_38merge_sort_block_merge_config_selectorIslEEEEvv.numbered_sgpr, 0
	.set _ZN7rocprim17ROCPRIM_400000_NS6detail44device_merge_sort_compile_time_verifier_archINS1_11comp_targetILNS1_3genE9ELNS1_11target_archE1100ELNS1_3gpuE3ELNS1_3repE0EEES8_NS1_28merge_sort_block_sort_configILj256ELj4ELNS0_20block_sort_algorithmE0EEENS0_14default_configENS1_37merge_sort_block_sort_config_selectorIslEENS1_38merge_sort_block_merge_config_selectorIslEEEEvv.num_named_barrier, 0
	.set _ZN7rocprim17ROCPRIM_400000_NS6detail44device_merge_sort_compile_time_verifier_archINS1_11comp_targetILNS1_3genE9ELNS1_11target_archE1100ELNS1_3gpuE3ELNS1_3repE0EEES8_NS1_28merge_sort_block_sort_configILj256ELj4ELNS0_20block_sort_algorithmE0EEENS0_14default_configENS1_37merge_sort_block_sort_config_selectorIslEENS1_38merge_sort_block_merge_config_selectorIslEEEEvv.private_seg_size, 0
	.set _ZN7rocprim17ROCPRIM_400000_NS6detail44device_merge_sort_compile_time_verifier_archINS1_11comp_targetILNS1_3genE9ELNS1_11target_archE1100ELNS1_3gpuE3ELNS1_3repE0EEES8_NS1_28merge_sort_block_sort_configILj256ELj4ELNS0_20block_sort_algorithmE0EEENS0_14default_configENS1_37merge_sort_block_sort_config_selectorIslEENS1_38merge_sort_block_merge_config_selectorIslEEEEvv.uses_vcc, 0
	.set _ZN7rocprim17ROCPRIM_400000_NS6detail44device_merge_sort_compile_time_verifier_archINS1_11comp_targetILNS1_3genE9ELNS1_11target_archE1100ELNS1_3gpuE3ELNS1_3repE0EEES8_NS1_28merge_sort_block_sort_configILj256ELj4ELNS0_20block_sort_algorithmE0EEENS0_14default_configENS1_37merge_sort_block_sort_config_selectorIslEENS1_38merge_sort_block_merge_config_selectorIslEEEEvv.uses_flat_scratch, 0
	.set _ZN7rocprim17ROCPRIM_400000_NS6detail44device_merge_sort_compile_time_verifier_archINS1_11comp_targetILNS1_3genE9ELNS1_11target_archE1100ELNS1_3gpuE3ELNS1_3repE0EEES8_NS1_28merge_sort_block_sort_configILj256ELj4ELNS0_20block_sort_algorithmE0EEENS0_14default_configENS1_37merge_sort_block_sort_config_selectorIslEENS1_38merge_sort_block_merge_config_selectorIslEEEEvv.has_dyn_sized_stack, 0
	.set _ZN7rocprim17ROCPRIM_400000_NS6detail44device_merge_sort_compile_time_verifier_archINS1_11comp_targetILNS1_3genE9ELNS1_11target_archE1100ELNS1_3gpuE3ELNS1_3repE0EEES8_NS1_28merge_sort_block_sort_configILj256ELj4ELNS0_20block_sort_algorithmE0EEENS0_14default_configENS1_37merge_sort_block_sort_config_selectorIslEENS1_38merge_sort_block_merge_config_selectorIslEEEEvv.has_recursion, 0
	.set _ZN7rocprim17ROCPRIM_400000_NS6detail44device_merge_sort_compile_time_verifier_archINS1_11comp_targetILNS1_3genE9ELNS1_11target_archE1100ELNS1_3gpuE3ELNS1_3repE0EEES8_NS1_28merge_sort_block_sort_configILj256ELj4ELNS0_20block_sort_algorithmE0EEENS0_14default_configENS1_37merge_sort_block_sort_config_selectorIslEENS1_38merge_sort_block_merge_config_selectorIslEEEEvv.has_indirect_call, 0
	.section	.AMDGPU.csdata,"",@progbits
; Kernel info:
; codeLenInByte = 4
; TotalNumSgprs: 4
; NumVgprs: 0
; ScratchSize: 0
; MemoryBound: 0
; FloatMode: 240
; IeeeMode: 1
; LDSByteSize: 0 bytes/workgroup (compile time only)
; SGPRBlocks: 0
; VGPRBlocks: 0
; NumSGPRsForWavesPerEU: 4
; NumVGPRsForWavesPerEU: 1
; Occupancy: 10
; WaveLimiterHint : 0
; COMPUTE_PGM_RSRC2:SCRATCH_EN: 0
; COMPUTE_PGM_RSRC2:USER_SGPR: 4
; COMPUTE_PGM_RSRC2:TRAP_HANDLER: 0
; COMPUTE_PGM_RSRC2:TGID_X_EN: 1
; COMPUTE_PGM_RSRC2:TGID_Y_EN: 0
; COMPUTE_PGM_RSRC2:TGID_Z_EN: 0
; COMPUTE_PGM_RSRC2:TIDIG_COMP_CNT: 0
	.section	.text._ZN7rocprim17ROCPRIM_400000_NS6detail44device_merge_sort_compile_time_verifier_archINS1_11comp_targetILNS1_3genE8ELNS1_11target_archE1030ELNS1_3gpuE2ELNS1_3repE0EEES8_NS1_28merge_sort_block_sort_configILj256ELj4ELNS0_20block_sort_algorithmE0EEENS0_14default_configENS1_37merge_sort_block_sort_config_selectorIslEENS1_38merge_sort_block_merge_config_selectorIslEEEEvv,"axG",@progbits,_ZN7rocprim17ROCPRIM_400000_NS6detail44device_merge_sort_compile_time_verifier_archINS1_11comp_targetILNS1_3genE8ELNS1_11target_archE1030ELNS1_3gpuE2ELNS1_3repE0EEES8_NS1_28merge_sort_block_sort_configILj256ELj4ELNS0_20block_sort_algorithmE0EEENS0_14default_configENS1_37merge_sort_block_sort_config_selectorIslEENS1_38merge_sort_block_merge_config_selectorIslEEEEvv,comdat
	.protected	_ZN7rocprim17ROCPRIM_400000_NS6detail44device_merge_sort_compile_time_verifier_archINS1_11comp_targetILNS1_3genE8ELNS1_11target_archE1030ELNS1_3gpuE2ELNS1_3repE0EEES8_NS1_28merge_sort_block_sort_configILj256ELj4ELNS0_20block_sort_algorithmE0EEENS0_14default_configENS1_37merge_sort_block_sort_config_selectorIslEENS1_38merge_sort_block_merge_config_selectorIslEEEEvv ; -- Begin function _ZN7rocprim17ROCPRIM_400000_NS6detail44device_merge_sort_compile_time_verifier_archINS1_11comp_targetILNS1_3genE8ELNS1_11target_archE1030ELNS1_3gpuE2ELNS1_3repE0EEES8_NS1_28merge_sort_block_sort_configILj256ELj4ELNS0_20block_sort_algorithmE0EEENS0_14default_configENS1_37merge_sort_block_sort_config_selectorIslEENS1_38merge_sort_block_merge_config_selectorIslEEEEvv
	.globl	_ZN7rocprim17ROCPRIM_400000_NS6detail44device_merge_sort_compile_time_verifier_archINS1_11comp_targetILNS1_3genE8ELNS1_11target_archE1030ELNS1_3gpuE2ELNS1_3repE0EEES8_NS1_28merge_sort_block_sort_configILj256ELj4ELNS0_20block_sort_algorithmE0EEENS0_14default_configENS1_37merge_sort_block_sort_config_selectorIslEENS1_38merge_sort_block_merge_config_selectorIslEEEEvv
	.p2align	8
	.type	_ZN7rocprim17ROCPRIM_400000_NS6detail44device_merge_sort_compile_time_verifier_archINS1_11comp_targetILNS1_3genE8ELNS1_11target_archE1030ELNS1_3gpuE2ELNS1_3repE0EEES8_NS1_28merge_sort_block_sort_configILj256ELj4ELNS0_20block_sort_algorithmE0EEENS0_14default_configENS1_37merge_sort_block_sort_config_selectorIslEENS1_38merge_sort_block_merge_config_selectorIslEEEEvv,@function
_ZN7rocprim17ROCPRIM_400000_NS6detail44device_merge_sort_compile_time_verifier_archINS1_11comp_targetILNS1_3genE8ELNS1_11target_archE1030ELNS1_3gpuE2ELNS1_3repE0EEES8_NS1_28merge_sort_block_sort_configILj256ELj4ELNS0_20block_sort_algorithmE0EEENS0_14default_configENS1_37merge_sort_block_sort_config_selectorIslEENS1_38merge_sort_block_merge_config_selectorIslEEEEvv: ; @_ZN7rocprim17ROCPRIM_400000_NS6detail44device_merge_sort_compile_time_verifier_archINS1_11comp_targetILNS1_3genE8ELNS1_11target_archE1030ELNS1_3gpuE2ELNS1_3repE0EEES8_NS1_28merge_sort_block_sort_configILj256ELj4ELNS0_20block_sort_algorithmE0EEENS0_14default_configENS1_37merge_sort_block_sort_config_selectorIslEENS1_38merge_sort_block_merge_config_selectorIslEEEEvv
; %bb.0:
	s_endpgm
	.section	.rodata,"a",@progbits
	.p2align	6, 0x0
	.amdhsa_kernel _ZN7rocprim17ROCPRIM_400000_NS6detail44device_merge_sort_compile_time_verifier_archINS1_11comp_targetILNS1_3genE8ELNS1_11target_archE1030ELNS1_3gpuE2ELNS1_3repE0EEES8_NS1_28merge_sort_block_sort_configILj256ELj4ELNS0_20block_sort_algorithmE0EEENS0_14default_configENS1_37merge_sort_block_sort_config_selectorIslEENS1_38merge_sort_block_merge_config_selectorIslEEEEvv
		.amdhsa_group_segment_fixed_size 0
		.amdhsa_private_segment_fixed_size 0
		.amdhsa_kernarg_size 0
		.amdhsa_user_sgpr_count 4
		.amdhsa_user_sgpr_private_segment_buffer 1
		.amdhsa_user_sgpr_dispatch_ptr 0
		.amdhsa_user_sgpr_queue_ptr 0
		.amdhsa_user_sgpr_kernarg_segment_ptr 0
		.amdhsa_user_sgpr_dispatch_id 0
		.amdhsa_user_sgpr_flat_scratch_init 0
		.amdhsa_user_sgpr_private_segment_size 0
		.amdhsa_uses_dynamic_stack 0
		.amdhsa_system_sgpr_private_segment_wavefront_offset 0
		.amdhsa_system_sgpr_workgroup_id_x 1
		.amdhsa_system_sgpr_workgroup_id_y 0
		.amdhsa_system_sgpr_workgroup_id_z 0
		.amdhsa_system_sgpr_workgroup_info 0
		.amdhsa_system_vgpr_workitem_id 0
		.amdhsa_next_free_vgpr 1
		.amdhsa_next_free_sgpr 0
		.amdhsa_reserve_vcc 0
		.amdhsa_reserve_flat_scratch 0
		.amdhsa_float_round_mode_32 0
		.amdhsa_float_round_mode_16_64 0
		.amdhsa_float_denorm_mode_32 3
		.amdhsa_float_denorm_mode_16_64 3
		.amdhsa_dx10_clamp 1
		.amdhsa_ieee_mode 1
		.amdhsa_fp16_overflow 0
		.amdhsa_exception_fp_ieee_invalid_op 0
		.amdhsa_exception_fp_denorm_src 0
		.amdhsa_exception_fp_ieee_div_zero 0
		.amdhsa_exception_fp_ieee_overflow 0
		.amdhsa_exception_fp_ieee_underflow 0
		.amdhsa_exception_fp_ieee_inexact 0
		.amdhsa_exception_int_div_zero 0
	.end_amdhsa_kernel
	.section	.text._ZN7rocprim17ROCPRIM_400000_NS6detail44device_merge_sort_compile_time_verifier_archINS1_11comp_targetILNS1_3genE8ELNS1_11target_archE1030ELNS1_3gpuE2ELNS1_3repE0EEES8_NS1_28merge_sort_block_sort_configILj256ELj4ELNS0_20block_sort_algorithmE0EEENS0_14default_configENS1_37merge_sort_block_sort_config_selectorIslEENS1_38merge_sort_block_merge_config_selectorIslEEEEvv,"axG",@progbits,_ZN7rocprim17ROCPRIM_400000_NS6detail44device_merge_sort_compile_time_verifier_archINS1_11comp_targetILNS1_3genE8ELNS1_11target_archE1030ELNS1_3gpuE2ELNS1_3repE0EEES8_NS1_28merge_sort_block_sort_configILj256ELj4ELNS0_20block_sort_algorithmE0EEENS0_14default_configENS1_37merge_sort_block_sort_config_selectorIslEENS1_38merge_sort_block_merge_config_selectorIslEEEEvv,comdat
.Lfunc_end1275:
	.size	_ZN7rocprim17ROCPRIM_400000_NS6detail44device_merge_sort_compile_time_verifier_archINS1_11comp_targetILNS1_3genE8ELNS1_11target_archE1030ELNS1_3gpuE2ELNS1_3repE0EEES8_NS1_28merge_sort_block_sort_configILj256ELj4ELNS0_20block_sort_algorithmE0EEENS0_14default_configENS1_37merge_sort_block_sort_config_selectorIslEENS1_38merge_sort_block_merge_config_selectorIslEEEEvv, .Lfunc_end1275-_ZN7rocprim17ROCPRIM_400000_NS6detail44device_merge_sort_compile_time_verifier_archINS1_11comp_targetILNS1_3genE8ELNS1_11target_archE1030ELNS1_3gpuE2ELNS1_3repE0EEES8_NS1_28merge_sort_block_sort_configILj256ELj4ELNS0_20block_sort_algorithmE0EEENS0_14default_configENS1_37merge_sort_block_sort_config_selectorIslEENS1_38merge_sort_block_merge_config_selectorIslEEEEvv
                                        ; -- End function
	.set _ZN7rocprim17ROCPRIM_400000_NS6detail44device_merge_sort_compile_time_verifier_archINS1_11comp_targetILNS1_3genE8ELNS1_11target_archE1030ELNS1_3gpuE2ELNS1_3repE0EEES8_NS1_28merge_sort_block_sort_configILj256ELj4ELNS0_20block_sort_algorithmE0EEENS0_14default_configENS1_37merge_sort_block_sort_config_selectorIslEENS1_38merge_sort_block_merge_config_selectorIslEEEEvv.num_vgpr, 0
	.set _ZN7rocprim17ROCPRIM_400000_NS6detail44device_merge_sort_compile_time_verifier_archINS1_11comp_targetILNS1_3genE8ELNS1_11target_archE1030ELNS1_3gpuE2ELNS1_3repE0EEES8_NS1_28merge_sort_block_sort_configILj256ELj4ELNS0_20block_sort_algorithmE0EEENS0_14default_configENS1_37merge_sort_block_sort_config_selectorIslEENS1_38merge_sort_block_merge_config_selectorIslEEEEvv.num_agpr, 0
	.set _ZN7rocprim17ROCPRIM_400000_NS6detail44device_merge_sort_compile_time_verifier_archINS1_11comp_targetILNS1_3genE8ELNS1_11target_archE1030ELNS1_3gpuE2ELNS1_3repE0EEES8_NS1_28merge_sort_block_sort_configILj256ELj4ELNS0_20block_sort_algorithmE0EEENS0_14default_configENS1_37merge_sort_block_sort_config_selectorIslEENS1_38merge_sort_block_merge_config_selectorIslEEEEvv.numbered_sgpr, 0
	.set _ZN7rocprim17ROCPRIM_400000_NS6detail44device_merge_sort_compile_time_verifier_archINS1_11comp_targetILNS1_3genE8ELNS1_11target_archE1030ELNS1_3gpuE2ELNS1_3repE0EEES8_NS1_28merge_sort_block_sort_configILj256ELj4ELNS0_20block_sort_algorithmE0EEENS0_14default_configENS1_37merge_sort_block_sort_config_selectorIslEENS1_38merge_sort_block_merge_config_selectorIslEEEEvv.num_named_barrier, 0
	.set _ZN7rocprim17ROCPRIM_400000_NS6detail44device_merge_sort_compile_time_verifier_archINS1_11comp_targetILNS1_3genE8ELNS1_11target_archE1030ELNS1_3gpuE2ELNS1_3repE0EEES8_NS1_28merge_sort_block_sort_configILj256ELj4ELNS0_20block_sort_algorithmE0EEENS0_14default_configENS1_37merge_sort_block_sort_config_selectorIslEENS1_38merge_sort_block_merge_config_selectorIslEEEEvv.private_seg_size, 0
	.set _ZN7rocprim17ROCPRIM_400000_NS6detail44device_merge_sort_compile_time_verifier_archINS1_11comp_targetILNS1_3genE8ELNS1_11target_archE1030ELNS1_3gpuE2ELNS1_3repE0EEES8_NS1_28merge_sort_block_sort_configILj256ELj4ELNS0_20block_sort_algorithmE0EEENS0_14default_configENS1_37merge_sort_block_sort_config_selectorIslEENS1_38merge_sort_block_merge_config_selectorIslEEEEvv.uses_vcc, 0
	.set _ZN7rocprim17ROCPRIM_400000_NS6detail44device_merge_sort_compile_time_verifier_archINS1_11comp_targetILNS1_3genE8ELNS1_11target_archE1030ELNS1_3gpuE2ELNS1_3repE0EEES8_NS1_28merge_sort_block_sort_configILj256ELj4ELNS0_20block_sort_algorithmE0EEENS0_14default_configENS1_37merge_sort_block_sort_config_selectorIslEENS1_38merge_sort_block_merge_config_selectorIslEEEEvv.uses_flat_scratch, 0
	.set _ZN7rocprim17ROCPRIM_400000_NS6detail44device_merge_sort_compile_time_verifier_archINS1_11comp_targetILNS1_3genE8ELNS1_11target_archE1030ELNS1_3gpuE2ELNS1_3repE0EEES8_NS1_28merge_sort_block_sort_configILj256ELj4ELNS0_20block_sort_algorithmE0EEENS0_14default_configENS1_37merge_sort_block_sort_config_selectorIslEENS1_38merge_sort_block_merge_config_selectorIslEEEEvv.has_dyn_sized_stack, 0
	.set _ZN7rocprim17ROCPRIM_400000_NS6detail44device_merge_sort_compile_time_verifier_archINS1_11comp_targetILNS1_3genE8ELNS1_11target_archE1030ELNS1_3gpuE2ELNS1_3repE0EEES8_NS1_28merge_sort_block_sort_configILj256ELj4ELNS0_20block_sort_algorithmE0EEENS0_14default_configENS1_37merge_sort_block_sort_config_selectorIslEENS1_38merge_sort_block_merge_config_selectorIslEEEEvv.has_recursion, 0
	.set _ZN7rocprim17ROCPRIM_400000_NS6detail44device_merge_sort_compile_time_verifier_archINS1_11comp_targetILNS1_3genE8ELNS1_11target_archE1030ELNS1_3gpuE2ELNS1_3repE0EEES8_NS1_28merge_sort_block_sort_configILj256ELj4ELNS0_20block_sort_algorithmE0EEENS0_14default_configENS1_37merge_sort_block_sort_config_selectorIslEENS1_38merge_sort_block_merge_config_selectorIslEEEEvv.has_indirect_call, 0
	.section	.AMDGPU.csdata,"",@progbits
; Kernel info:
; codeLenInByte = 4
; TotalNumSgprs: 4
; NumVgprs: 0
; ScratchSize: 0
; MemoryBound: 0
; FloatMode: 240
; IeeeMode: 1
; LDSByteSize: 0 bytes/workgroup (compile time only)
; SGPRBlocks: 0
; VGPRBlocks: 0
; NumSGPRsForWavesPerEU: 4
; NumVGPRsForWavesPerEU: 1
; Occupancy: 10
; WaveLimiterHint : 0
; COMPUTE_PGM_RSRC2:SCRATCH_EN: 0
; COMPUTE_PGM_RSRC2:USER_SGPR: 4
; COMPUTE_PGM_RSRC2:TRAP_HANDLER: 0
; COMPUTE_PGM_RSRC2:TGID_X_EN: 1
; COMPUTE_PGM_RSRC2:TGID_Y_EN: 0
; COMPUTE_PGM_RSRC2:TGID_Z_EN: 0
; COMPUTE_PGM_RSRC2:TIDIG_COMP_CNT: 0
	.section	.text._ZN7rocprim17ROCPRIM_400000_NS6detail17trampoline_kernelINS0_14default_configENS1_38merge_sort_block_merge_config_selectorIslEEZZNS1_27merge_sort_block_merge_implIS3_PsN6thrust23THRUST_200600_302600_NS10device_ptrIlEEjNS1_19radix_merge_compareILb0ELb0EsNS0_19identity_decomposerEEEEE10hipError_tT0_T1_T2_jT3_P12ihipStream_tbPNSt15iterator_traitsISG_E10value_typeEPNSM_ISH_E10value_typeEPSI_NS1_7vsmem_tEENKUlT_SG_SH_SI_E_clIS7_S7_PlSB_EESF_SV_SG_SH_SI_EUlSV_E_NS1_11comp_targetILNS1_3genE0ELNS1_11target_archE4294967295ELNS1_3gpuE0ELNS1_3repE0EEENS1_48merge_mergepath_partition_config_static_selectorELNS0_4arch9wavefront6targetE1EEEvSH_,"axG",@progbits,_ZN7rocprim17ROCPRIM_400000_NS6detail17trampoline_kernelINS0_14default_configENS1_38merge_sort_block_merge_config_selectorIslEEZZNS1_27merge_sort_block_merge_implIS3_PsN6thrust23THRUST_200600_302600_NS10device_ptrIlEEjNS1_19radix_merge_compareILb0ELb0EsNS0_19identity_decomposerEEEEE10hipError_tT0_T1_T2_jT3_P12ihipStream_tbPNSt15iterator_traitsISG_E10value_typeEPNSM_ISH_E10value_typeEPSI_NS1_7vsmem_tEENKUlT_SG_SH_SI_E_clIS7_S7_PlSB_EESF_SV_SG_SH_SI_EUlSV_E_NS1_11comp_targetILNS1_3genE0ELNS1_11target_archE4294967295ELNS1_3gpuE0ELNS1_3repE0EEENS1_48merge_mergepath_partition_config_static_selectorELNS0_4arch9wavefront6targetE1EEEvSH_,comdat
	.protected	_ZN7rocprim17ROCPRIM_400000_NS6detail17trampoline_kernelINS0_14default_configENS1_38merge_sort_block_merge_config_selectorIslEEZZNS1_27merge_sort_block_merge_implIS3_PsN6thrust23THRUST_200600_302600_NS10device_ptrIlEEjNS1_19radix_merge_compareILb0ELb0EsNS0_19identity_decomposerEEEEE10hipError_tT0_T1_T2_jT3_P12ihipStream_tbPNSt15iterator_traitsISG_E10value_typeEPNSM_ISH_E10value_typeEPSI_NS1_7vsmem_tEENKUlT_SG_SH_SI_E_clIS7_S7_PlSB_EESF_SV_SG_SH_SI_EUlSV_E_NS1_11comp_targetILNS1_3genE0ELNS1_11target_archE4294967295ELNS1_3gpuE0ELNS1_3repE0EEENS1_48merge_mergepath_partition_config_static_selectorELNS0_4arch9wavefront6targetE1EEEvSH_ ; -- Begin function _ZN7rocprim17ROCPRIM_400000_NS6detail17trampoline_kernelINS0_14default_configENS1_38merge_sort_block_merge_config_selectorIslEEZZNS1_27merge_sort_block_merge_implIS3_PsN6thrust23THRUST_200600_302600_NS10device_ptrIlEEjNS1_19radix_merge_compareILb0ELb0EsNS0_19identity_decomposerEEEEE10hipError_tT0_T1_T2_jT3_P12ihipStream_tbPNSt15iterator_traitsISG_E10value_typeEPNSM_ISH_E10value_typeEPSI_NS1_7vsmem_tEENKUlT_SG_SH_SI_E_clIS7_S7_PlSB_EESF_SV_SG_SH_SI_EUlSV_E_NS1_11comp_targetILNS1_3genE0ELNS1_11target_archE4294967295ELNS1_3gpuE0ELNS1_3repE0EEENS1_48merge_mergepath_partition_config_static_selectorELNS0_4arch9wavefront6targetE1EEEvSH_
	.globl	_ZN7rocprim17ROCPRIM_400000_NS6detail17trampoline_kernelINS0_14default_configENS1_38merge_sort_block_merge_config_selectorIslEEZZNS1_27merge_sort_block_merge_implIS3_PsN6thrust23THRUST_200600_302600_NS10device_ptrIlEEjNS1_19radix_merge_compareILb0ELb0EsNS0_19identity_decomposerEEEEE10hipError_tT0_T1_T2_jT3_P12ihipStream_tbPNSt15iterator_traitsISG_E10value_typeEPNSM_ISH_E10value_typeEPSI_NS1_7vsmem_tEENKUlT_SG_SH_SI_E_clIS7_S7_PlSB_EESF_SV_SG_SH_SI_EUlSV_E_NS1_11comp_targetILNS1_3genE0ELNS1_11target_archE4294967295ELNS1_3gpuE0ELNS1_3repE0EEENS1_48merge_mergepath_partition_config_static_selectorELNS0_4arch9wavefront6targetE1EEEvSH_
	.p2align	8
	.type	_ZN7rocprim17ROCPRIM_400000_NS6detail17trampoline_kernelINS0_14default_configENS1_38merge_sort_block_merge_config_selectorIslEEZZNS1_27merge_sort_block_merge_implIS3_PsN6thrust23THRUST_200600_302600_NS10device_ptrIlEEjNS1_19radix_merge_compareILb0ELb0EsNS0_19identity_decomposerEEEEE10hipError_tT0_T1_T2_jT3_P12ihipStream_tbPNSt15iterator_traitsISG_E10value_typeEPNSM_ISH_E10value_typeEPSI_NS1_7vsmem_tEENKUlT_SG_SH_SI_E_clIS7_S7_PlSB_EESF_SV_SG_SH_SI_EUlSV_E_NS1_11comp_targetILNS1_3genE0ELNS1_11target_archE4294967295ELNS1_3gpuE0ELNS1_3repE0EEENS1_48merge_mergepath_partition_config_static_selectorELNS0_4arch9wavefront6targetE1EEEvSH_,@function
_ZN7rocprim17ROCPRIM_400000_NS6detail17trampoline_kernelINS0_14default_configENS1_38merge_sort_block_merge_config_selectorIslEEZZNS1_27merge_sort_block_merge_implIS3_PsN6thrust23THRUST_200600_302600_NS10device_ptrIlEEjNS1_19radix_merge_compareILb0ELb0EsNS0_19identity_decomposerEEEEE10hipError_tT0_T1_T2_jT3_P12ihipStream_tbPNSt15iterator_traitsISG_E10value_typeEPNSM_ISH_E10value_typeEPSI_NS1_7vsmem_tEENKUlT_SG_SH_SI_E_clIS7_S7_PlSB_EESF_SV_SG_SH_SI_EUlSV_E_NS1_11comp_targetILNS1_3genE0ELNS1_11target_archE4294967295ELNS1_3gpuE0ELNS1_3repE0EEENS1_48merge_mergepath_partition_config_static_selectorELNS0_4arch9wavefront6targetE1EEEvSH_: ; @_ZN7rocprim17ROCPRIM_400000_NS6detail17trampoline_kernelINS0_14default_configENS1_38merge_sort_block_merge_config_selectorIslEEZZNS1_27merge_sort_block_merge_implIS3_PsN6thrust23THRUST_200600_302600_NS10device_ptrIlEEjNS1_19radix_merge_compareILb0ELb0EsNS0_19identity_decomposerEEEEE10hipError_tT0_T1_T2_jT3_P12ihipStream_tbPNSt15iterator_traitsISG_E10value_typeEPNSM_ISH_E10value_typeEPSI_NS1_7vsmem_tEENKUlT_SG_SH_SI_E_clIS7_S7_PlSB_EESF_SV_SG_SH_SI_EUlSV_E_NS1_11comp_targetILNS1_3genE0ELNS1_11target_archE4294967295ELNS1_3gpuE0ELNS1_3repE0EEENS1_48merge_mergepath_partition_config_static_selectorELNS0_4arch9wavefront6targetE1EEEvSH_
; %bb.0:
	.section	.rodata,"a",@progbits
	.p2align	6, 0x0
	.amdhsa_kernel _ZN7rocprim17ROCPRIM_400000_NS6detail17trampoline_kernelINS0_14default_configENS1_38merge_sort_block_merge_config_selectorIslEEZZNS1_27merge_sort_block_merge_implIS3_PsN6thrust23THRUST_200600_302600_NS10device_ptrIlEEjNS1_19radix_merge_compareILb0ELb0EsNS0_19identity_decomposerEEEEE10hipError_tT0_T1_T2_jT3_P12ihipStream_tbPNSt15iterator_traitsISG_E10value_typeEPNSM_ISH_E10value_typeEPSI_NS1_7vsmem_tEENKUlT_SG_SH_SI_E_clIS7_S7_PlSB_EESF_SV_SG_SH_SI_EUlSV_E_NS1_11comp_targetILNS1_3genE0ELNS1_11target_archE4294967295ELNS1_3gpuE0ELNS1_3repE0EEENS1_48merge_mergepath_partition_config_static_selectorELNS0_4arch9wavefront6targetE1EEEvSH_
		.amdhsa_group_segment_fixed_size 0
		.amdhsa_private_segment_fixed_size 0
		.amdhsa_kernarg_size 40
		.amdhsa_user_sgpr_count 6
		.amdhsa_user_sgpr_private_segment_buffer 1
		.amdhsa_user_sgpr_dispatch_ptr 0
		.amdhsa_user_sgpr_queue_ptr 0
		.amdhsa_user_sgpr_kernarg_segment_ptr 1
		.amdhsa_user_sgpr_dispatch_id 0
		.amdhsa_user_sgpr_flat_scratch_init 0
		.amdhsa_user_sgpr_private_segment_size 0
		.amdhsa_uses_dynamic_stack 0
		.amdhsa_system_sgpr_private_segment_wavefront_offset 0
		.amdhsa_system_sgpr_workgroup_id_x 1
		.amdhsa_system_sgpr_workgroup_id_y 0
		.amdhsa_system_sgpr_workgroup_id_z 0
		.amdhsa_system_sgpr_workgroup_info 0
		.amdhsa_system_vgpr_workitem_id 0
		.amdhsa_next_free_vgpr 1
		.amdhsa_next_free_sgpr 0
		.amdhsa_reserve_vcc 0
		.amdhsa_reserve_flat_scratch 0
		.amdhsa_float_round_mode_32 0
		.amdhsa_float_round_mode_16_64 0
		.amdhsa_float_denorm_mode_32 3
		.amdhsa_float_denorm_mode_16_64 3
		.amdhsa_dx10_clamp 1
		.amdhsa_ieee_mode 1
		.amdhsa_fp16_overflow 0
		.amdhsa_exception_fp_ieee_invalid_op 0
		.amdhsa_exception_fp_denorm_src 0
		.amdhsa_exception_fp_ieee_div_zero 0
		.amdhsa_exception_fp_ieee_overflow 0
		.amdhsa_exception_fp_ieee_underflow 0
		.amdhsa_exception_fp_ieee_inexact 0
		.amdhsa_exception_int_div_zero 0
	.end_amdhsa_kernel
	.section	.text._ZN7rocprim17ROCPRIM_400000_NS6detail17trampoline_kernelINS0_14default_configENS1_38merge_sort_block_merge_config_selectorIslEEZZNS1_27merge_sort_block_merge_implIS3_PsN6thrust23THRUST_200600_302600_NS10device_ptrIlEEjNS1_19radix_merge_compareILb0ELb0EsNS0_19identity_decomposerEEEEE10hipError_tT0_T1_T2_jT3_P12ihipStream_tbPNSt15iterator_traitsISG_E10value_typeEPNSM_ISH_E10value_typeEPSI_NS1_7vsmem_tEENKUlT_SG_SH_SI_E_clIS7_S7_PlSB_EESF_SV_SG_SH_SI_EUlSV_E_NS1_11comp_targetILNS1_3genE0ELNS1_11target_archE4294967295ELNS1_3gpuE0ELNS1_3repE0EEENS1_48merge_mergepath_partition_config_static_selectorELNS0_4arch9wavefront6targetE1EEEvSH_,"axG",@progbits,_ZN7rocprim17ROCPRIM_400000_NS6detail17trampoline_kernelINS0_14default_configENS1_38merge_sort_block_merge_config_selectorIslEEZZNS1_27merge_sort_block_merge_implIS3_PsN6thrust23THRUST_200600_302600_NS10device_ptrIlEEjNS1_19radix_merge_compareILb0ELb0EsNS0_19identity_decomposerEEEEE10hipError_tT0_T1_T2_jT3_P12ihipStream_tbPNSt15iterator_traitsISG_E10value_typeEPNSM_ISH_E10value_typeEPSI_NS1_7vsmem_tEENKUlT_SG_SH_SI_E_clIS7_S7_PlSB_EESF_SV_SG_SH_SI_EUlSV_E_NS1_11comp_targetILNS1_3genE0ELNS1_11target_archE4294967295ELNS1_3gpuE0ELNS1_3repE0EEENS1_48merge_mergepath_partition_config_static_selectorELNS0_4arch9wavefront6targetE1EEEvSH_,comdat
.Lfunc_end1276:
	.size	_ZN7rocprim17ROCPRIM_400000_NS6detail17trampoline_kernelINS0_14default_configENS1_38merge_sort_block_merge_config_selectorIslEEZZNS1_27merge_sort_block_merge_implIS3_PsN6thrust23THRUST_200600_302600_NS10device_ptrIlEEjNS1_19radix_merge_compareILb0ELb0EsNS0_19identity_decomposerEEEEE10hipError_tT0_T1_T2_jT3_P12ihipStream_tbPNSt15iterator_traitsISG_E10value_typeEPNSM_ISH_E10value_typeEPSI_NS1_7vsmem_tEENKUlT_SG_SH_SI_E_clIS7_S7_PlSB_EESF_SV_SG_SH_SI_EUlSV_E_NS1_11comp_targetILNS1_3genE0ELNS1_11target_archE4294967295ELNS1_3gpuE0ELNS1_3repE0EEENS1_48merge_mergepath_partition_config_static_selectorELNS0_4arch9wavefront6targetE1EEEvSH_, .Lfunc_end1276-_ZN7rocprim17ROCPRIM_400000_NS6detail17trampoline_kernelINS0_14default_configENS1_38merge_sort_block_merge_config_selectorIslEEZZNS1_27merge_sort_block_merge_implIS3_PsN6thrust23THRUST_200600_302600_NS10device_ptrIlEEjNS1_19radix_merge_compareILb0ELb0EsNS0_19identity_decomposerEEEEE10hipError_tT0_T1_T2_jT3_P12ihipStream_tbPNSt15iterator_traitsISG_E10value_typeEPNSM_ISH_E10value_typeEPSI_NS1_7vsmem_tEENKUlT_SG_SH_SI_E_clIS7_S7_PlSB_EESF_SV_SG_SH_SI_EUlSV_E_NS1_11comp_targetILNS1_3genE0ELNS1_11target_archE4294967295ELNS1_3gpuE0ELNS1_3repE0EEENS1_48merge_mergepath_partition_config_static_selectorELNS0_4arch9wavefront6targetE1EEEvSH_
                                        ; -- End function
	.set _ZN7rocprim17ROCPRIM_400000_NS6detail17trampoline_kernelINS0_14default_configENS1_38merge_sort_block_merge_config_selectorIslEEZZNS1_27merge_sort_block_merge_implIS3_PsN6thrust23THRUST_200600_302600_NS10device_ptrIlEEjNS1_19radix_merge_compareILb0ELb0EsNS0_19identity_decomposerEEEEE10hipError_tT0_T1_T2_jT3_P12ihipStream_tbPNSt15iterator_traitsISG_E10value_typeEPNSM_ISH_E10value_typeEPSI_NS1_7vsmem_tEENKUlT_SG_SH_SI_E_clIS7_S7_PlSB_EESF_SV_SG_SH_SI_EUlSV_E_NS1_11comp_targetILNS1_3genE0ELNS1_11target_archE4294967295ELNS1_3gpuE0ELNS1_3repE0EEENS1_48merge_mergepath_partition_config_static_selectorELNS0_4arch9wavefront6targetE1EEEvSH_.num_vgpr, 0
	.set _ZN7rocprim17ROCPRIM_400000_NS6detail17trampoline_kernelINS0_14default_configENS1_38merge_sort_block_merge_config_selectorIslEEZZNS1_27merge_sort_block_merge_implIS3_PsN6thrust23THRUST_200600_302600_NS10device_ptrIlEEjNS1_19radix_merge_compareILb0ELb0EsNS0_19identity_decomposerEEEEE10hipError_tT0_T1_T2_jT3_P12ihipStream_tbPNSt15iterator_traitsISG_E10value_typeEPNSM_ISH_E10value_typeEPSI_NS1_7vsmem_tEENKUlT_SG_SH_SI_E_clIS7_S7_PlSB_EESF_SV_SG_SH_SI_EUlSV_E_NS1_11comp_targetILNS1_3genE0ELNS1_11target_archE4294967295ELNS1_3gpuE0ELNS1_3repE0EEENS1_48merge_mergepath_partition_config_static_selectorELNS0_4arch9wavefront6targetE1EEEvSH_.num_agpr, 0
	.set _ZN7rocprim17ROCPRIM_400000_NS6detail17trampoline_kernelINS0_14default_configENS1_38merge_sort_block_merge_config_selectorIslEEZZNS1_27merge_sort_block_merge_implIS3_PsN6thrust23THRUST_200600_302600_NS10device_ptrIlEEjNS1_19radix_merge_compareILb0ELb0EsNS0_19identity_decomposerEEEEE10hipError_tT0_T1_T2_jT3_P12ihipStream_tbPNSt15iterator_traitsISG_E10value_typeEPNSM_ISH_E10value_typeEPSI_NS1_7vsmem_tEENKUlT_SG_SH_SI_E_clIS7_S7_PlSB_EESF_SV_SG_SH_SI_EUlSV_E_NS1_11comp_targetILNS1_3genE0ELNS1_11target_archE4294967295ELNS1_3gpuE0ELNS1_3repE0EEENS1_48merge_mergepath_partition_config_static_selectorELNS0_4arch9wavefront6targetE1EEEvSH_.numbered_sgpr, 0
	.set _ZN7rocprim17ROCPRIM_400000_NS6detail17trampoline_kernelINS0_14default_configENS1_38merge_sort_block_merge_config_selectorIslEEZZNS1_27merge_sort_block_merge_implIS3_PsN6thrust23THRUST_200600_302600_NS10device_ptrIlEEjNS1_19radix_merge_compareILb0ELb0EsNS0_19identity_decomposerEEEEE10hipError_tT0_T1_T2_jT3_P12ihipStream_tbPNSt15iterator_traitsISG_E10value_typeEPNSM_ISH_E10value_typeEPSI_NS1_7vsmem_tEENKUlT_SG_SH_SI_E_clIS7_S7_PlSB_EESF_SV_SG_SH_SI_EUlSV_E_NS1_11comp_targetILNS1_3genE0ELNS1_11target_archE4294967295ELNS1_3gpuE0ELNS1_3repE0EEENS1_48merge_mergepath_partition_config_static_selectorELNS0_4arch9wavefront6targetE1EEEvSH_.num_named_barrier, 0
	.set _ZN7rocprim17ROCPRIM_400000_NS6detail17trampoline_kernelINS0_14default_configENS1_38merge_sort_block_merge_config_selectorIslEEZZNS1_27merge_sort_block_merge_implIS3_PsN6thrust23THRUST_200600_302600_NS10device_ptrIlEEjNS1_19radix_merge_compareILb0ELb0EsNS0_19identity_decomposerEEEEE10hipError_tT0_T1_T2_jT3_P12ihipStream_tbPNSt15iterator_traitsISG_E10value_typeEPNSM_ISH_E10value_typeEPSI_NS1_7vsmem_tEENKUlT_SG_SH_SI_E_clIS7_S7_PlSB_EESF_SV_SG_SH_SI_EUlSV_E_NS1_11comp_targetILNS1_3genE0ELNS1_11target_archE4294967295ELNS1_3gpuE0ELNS1_3repE0EEENS1_48merge_mergepath_partition_config_static_selectorELNS0_4arch9wavefront6targetE1EEEvSH_.private_seg_size, 0
	.set _ZN7rocprim17ROCPRIM_400000_NS6detail17trampoline_kernelINS0_14default_configENS1_38merge_sort_block_merge_config_selectorIslEEZZNS1_27merge_sort_block_merge_implIS3_PsN6thrust23THRUST_200600_302600_NS10device_ptrIlEEjNS1_19radix_merge_compareILb0ELb0EsNS0_19identity_decomposerEEEEE10hipError_tT0_T1_T2_jT3_P12ihipStream_tbPNSt15iterator_traitsISG_E10value_typeEPNSM_ISH_E10value_typeEPSI_NS1_7vsmem_tEENKUlT_SG_SH_SI_E_clIS7_S7_PlSB_EESF_SV_SG_SH_SI_EUlSV_E_NS1_11comp_targetILNS1_3genE0ELNS1_11target_archE4294967295ELNS1_3gpuE0ELNS1_3repE0EEENS1_48merge_mergepath_partition_config_static_selectorELNS0_4arch9wavefront6targetE1EEEvSH_.uses_vcc, 0
	.set _ZN7rocprim17ROCPRIM_400000_NS6detail17trampoline_kernelINS0_14default_configENS1_38merge_sort_block_merge_config_selectorIslEEZZNS1_27merge_sort_block_merge_implIS3_PsN6thrust23THRUST_200600_302600_NS10device_ptrIlEEjNS1_19radix_merge_compareILb0ELb0EsNS0_19identity_decomposerEEEEE10hipError_tT0_T1_T2_jT3_P12ihipStream_tbPNSt15iterator_traitsISG_E10value_typeEPNSM_ISH_E10value_typeEPSI_NS1_7vsmem_tEENKUlT_SG_SH_SI_E_clIS7_S7_PlSB_EESF_SV_SG_SH_SI_EUlSV_E_NS1_11comp_targetILNS1_3genE0ELNS1_11target_archE4294967295ELNS1_3gpuE0ELNS1_3repE0EEENS1_48merge_mergepath_partition_config_static_selectorELNS0_4arch9wavefront6targetE1EEEvSH_.uses_flat_scratch, 0
	.set _ZN7rocprim17ROCPRIM_400000_NS6detail17trampoline_kernelINS0_14default_configENS1_38merge_sort_block_merge_config_selectorIslEEZZNS1_27merge_sort_block_merge_implIS3_PsN6thrust23THRUST_200600_302600_NS10device_ptrIlEEjNS1_19radix_merge_compareILb0ELb0EsNS0_19identity_decomposerEEEEE10hipError_tT0_T1_T2_jT3_P12ihipStream_tbPNSt15iterator_traitsISG_E10value_typeEPNSM_ISH_E10value_typeEPSI_NS1_7vsmem_tEENKUlT_SG_SH_SI_E_clIS7_S7_PlSB_EESF_SV_SG_SH_SI_EUlSV_E_NS1_11comp_targetILNS1_3genE0ELNS1_11target_archE4294967295ELNS1_3gpuE0ELNS1_3repE0EEENS1_48merge_mergepath_partition_config_static_selectorELNS0_4arch9wavefront6targetE1EEEvSH_.has_dyn_sized_stack, 0
	.set _ZN7rocprim17ROCPRIM_400000_NS6detail17trampoline_kernelINS0_14default_configENS1_38merge_sort_block_merge_config_selectorIslEEZZNS1_27merge_sort_block_merge_implIS3_PsN6thrust23THRUST_200600_302600_NS10device_ptrIlEEjNS1_19radix_merge_compareILb0ELb0EsNS0_19identity_decomposerEEEEE10hipError_tT0_T1_T2_jT3_P12ihipStream_tbPNSt15iterator_traitsISG_E10value_typeEPNSM_ISH_E10value_typeEPSI_NS1_7vsmem_tEENKUlT_SG_SH_SI_E_clIS7_S7_PlSB_EESF_SV_SG_SH_SI_EUlSV_E_NS1_11comp_targetILNS1_3genE0ELNS1_11target_archE4294967295ELNS1_3gpuE0ELNS1_3repE0EEENS1_48merge_mergepath_partition_config_static_selectorELNS0_4arch9wavefront6targetE1EEEvSH_.has_recursion, 0
	.set _ZN7rocprim17ROCPRIM_400000_NS6detail17trampoline_kernelINS0_14default_configENS1_38merge_sort_block_merge_config_selectorIslEEZZNS1_27merge_sort_block_merge_implIS3_PsN6thrust23THRUST_200600_302600_NS10device_ptrIlEEjNS1_19radix_merge_compareILb0ELb0EsNS0_19identity_decomposerEEEEE10hipError_tT0_T1_T2_jT3_P12ihipStream_tbPNSt15iterator_traitsISG_E10value_typeEPNSM_ISH_E10value_typeEPSI_NS1_7vsmem_tEENKUlT_SG_SH_SI_E_clIS7_S7_PlSB_EESF_SV_SG_SH_SI_EUlSV_E_NS1_11comp_targetILNS1_3genE0ELNS1_11target_archE4294967295ELNS1_3gpuE0ELNS1_3repE0EEENS1_48merge_mergepath_partition_config_static_selectorELNS0_4arch9wavefront6targetE1EEEvSH_.has_indirect_call, 0
	.section	.AMDGPU.csdata,"",@progbits
; Kernel info:
; codeLenInByte = 0
; TotalNumSgprs: 4
; NumVgprs: 0
; ScratchSize: 0
; MemoryBound: 0
; FloatMode: 240
; IeeeMode: 1
; LDSByteSize: 0 bytes/workgroup (compile time only)
; SGPRBlocks: 0
; VGPRBlocks: 0
; NumSGPRsForWavesPerEU: 4
; NumVGPRsForWavesPerEU: 1
; Occupancy: 10
; WaveLimiterHint : 0
; COMPUTE_PGM_RSRC2:SCRATCH_EN: 0
; COMPUTE_PGM_RSRC2:USER_SGPR: 6
; COMPUTE_PGM_RSRC2:TRAP_HANDLER: 0
; COMPUTE_PGM_RSRC2:TGID_X_EN: 1
; COMPUTE_PGM_RSRC2:TGID_Y_EN: 0
; COMPUTE_PGM_RSRC2:TGID_Z_EN: 0
; COMPUTE_PGM_RSRC2:TIDIG_COMP_CNT: 0
	.section	.text._ZN7rocprim17ROCPRIM_400000_NS6detail17trampoline_kernelINS0_14default_configENS1_38merge_sort_block_merge_config_selectorIslEEZZNS1_27merge_sort_block_merge_implIS3_PsN6thrust23THRUST_200600_302600_NS10device_ptrIlEEjNS1_19radix_merge_compareILb0ELb0EsNS0_19identity_decomposerEEEEE10hipError_tT0_T1_T2_jT3_P12ihipStream_tbPNSt15iterator_traitsISG_E10value_typeEPNSM_ISH_E10value_typeEPSI_NS1_7vsmem_tEENKUlT_SG_SH_SI_E_clIS7_S7_PlSB_EESF_SV_SG_SH_SI_EUlSV_E_NS1_11comp_targetILNS1_3genE10ELNS1_11target_archE1201ELNS1_3gpuE5ELNS1_3repE0EEENS1_48merge_mergepath_partition_config_static_selectorELNS0_4arch9wavefront6targetE1EEEvSH_,"axG",@progbits,_ZN7rocprim17ROCPRIM_400000_NS6detail17trampoline_kernelINS0_14default_configENS1_38merge_sort_block_merge_config_selectorIslEEZZNS1_27merge_sort_block_merge_implIS3_PsN6thrust23THRUST_200600_302600_NS10device_ptrIlEEjNS1_19radix_merge_compareILb0ELb0EsNS0_19identity_decomposerEEEEE10hipError_tT0_T1_T2_jT3_P12ihipStream_tbPNSt15iterator_traitsISG_E10value_typeEPNSM_ISH_E10value_typeEPSI_NS1_7vsmem_tEENKUlT_SG_SH_SI_E_clIS7_S7_PlSB_EESF_SV_SG_SH_SI_EUlSV_E_NS1_11comp_targetILNS1_3genE10ELNS1_11target_archE1201ELNS1_3gpuE5ELNS1_3repE0EEENS1_48merge_mergepath_partition_config_static_selectorELNS0_4arch9wavefront6targetE1EEEvSH_,comdat
	.protected	_ZN7rocprim17ROCPRIM_400000_NS6detail17trampoline_kernelINS0_14default_configENS1_38merge_sort_block_merge_config_selectorIslEEZZNS1_27merge_sort_block_merge_implIS3_PsN6thrust23THRUST_200600_302600_NS10device_ptrIlEEjNS1_19radix_merge_compareILb0ELb0EsNS0_19identity_decomposerEEEEE10hipError_tT0_T1_T2_jT3_P12ihipStream_tbPNSt15iterator_traitsISG_E10value_typeEPNSM_ISH_E10value_typeEPSI_NS1_7vsmem_tEENKUlT_SG_SH_SI_E_clIS7_S7_PlSB_EESF_SV_SG_SH_SI_EUlSV_E_NS1_11comp_targetILNS1_3genE10ELNS1_11target_archE1201ELNS1_3gpuE5ELNS1_3repE0EEENS1_48merge_mergepath_partition_config_static_selectorELNS0_4arch9wavefront6targetE1EEEvSH_ ; -- Begin function _ZN7rocprim17ROCPRIM_400000_NS6detail17trampoline_kernelINS0_14default_configENS1_38merge_sort_block_merge_config_selectorIslEEZZNS1_27merge_sort_block_merge_implIS3_PsN6thrust23THRUST_200600_302600_NS10device_ptrIlEEjNS1_19radix_merge_compareILb0ELb0EsNS0_19identity_decomposerEEEEE10hipError_tT0_T1_T2_jT3_P12ihipStream_tbPNSt15iterator_traitsISG_E10value_typeEPNSM_ISH_E10value_typeEPSI_NS1_7vsmem_tEENKUlT_SG_SH_SI_E_clIS7_S7_PlSB_EESF_SV_SG_SH_SI_EUlSV_E_NS1_11comp_targetILNS1_3genE10ELNS1_11target_archE1201ELNS1_3gpuE5ELNS1_3repE0EEENS1_48merge_mergepath_partition_config_static_selectorELNS0_4arch9wavefront6targetE1EEEvSH_
	.globl	_ZN7rocprim17ROCPRIM_400000_NS6detail17trampoline_kernelINS0_14default_configENS1_38merge_sort_block_merge_config_selectorIslEEZZNS1_27merge_sort_block_merge_implIS3_PsN6thrust23THRUST_200600_302600_NS10device_ptrIlEEjNS1_19radix_merge_compareILb0ELb0EsNS0_19identity_decomposerEEEEE10hipError_tT0_T1_T2_jT3_P12ihipStream_tbPNSt15iterator_traitsISG_E10value_typeEPNSM_ISH_E10value_typeEPSI_NS1_7vsmem_tEENKUlT_SG_SH_SI_E_clIS7_S7_PlSB_EESF_SV_SG_SH_SI_EUlSV_E_NS1_11comp_targetILNS1_3genE10ELNS1_11target_archE1201ELNS1_3gpuE5ELNS1_3repE0EEENS1_48merge_mergepath_partition_config_static_selectorELNS0_4arch9wavefront6targetE1EEEvSH_
	.p2align	8
	.type	_ZN7rocprim17ROCPRIM_400000_NS6detail17trampoline_kernelINS0_14default_configENS1_38merge_sort_block_merge_config_selectorIslEEZZNS1_27merge_sort_block_merge_implIS3_PsN6thrust23THRUST_200600_302600_NS10device_ptrIlEEjNS1_19radix_merge_compareILb0ELb0EsNS0_19identity_decomposerEEEEE10hipError_tT0_T1_T2_jT3_P12ihipStream_tbPNSt15iterator_traitsISG_E10value_typeEPNSM_ISH_E10value_typeEPSI_NS1_7vsmem_tEENKUlT_SG_SH_SI_E_clIS7_S7_PlSB_EESF_SV_SG_SH_SI_EUlSV_E_NS1_11comp_targetILNS1_3genE10ELNS1_11target_archE1201ELNS1_3gpuE5ELNS1_3repE0EEENS1_48merge_mergepath_partition_config_static_selectorELNS0_4arch9wavefront6targetE1EEEvSH_,@function
_ZN7rocprim17ROCPRIM_400000_NS6detail17trampoline_kernelINS0_14default_configENS1_38merge_sort_block_merge_config_selectorIslEEZZNS1_27merge_sort_block_merge_implIS3_PsN6thrust23THRUST_200600_302600_NS10device_ptrIlEEjNS1_19radix_merge_compareILb0ELb0EsNS0_19identity_decomposerEEEEE10hipError_tT0_T1_T2_jT3_P12ihipStream_tbPNSt15iterator_traitsISG_E10value_typeEPNSM_ISH_E10value_typeEPSI_NS1_7vsmem_tEENKUlT_SG_SH_SI_E_clIS7_S7_PlSB_EESF_SV_SG_SH_SI_EUlSV_E_NS1_11comp_targetILNS1_3genE10ELNS1_11target_archE1201ELNS1_3gpuE5ELNS1_3repE0EEENS1_48merge_mergepath_partition_config_static_selectorELNS0_4arch9wavefront6targetE1EEEvSH_: ; @_ZN7rocprim17ROCPRIM_400000_NS6detail17trampoline_kernelINS0_14default_configENS1_38merge_sort_block_merge_config_selectorIslEEZZNS1_27merge_sort_block_merge_implIS3_PsN6thrust23THRUST_200600_302600_NS10device_ptrIlEEjNS1_19radix_merge_compareILb0ELb0EsNS0_19identity_decomposerEEEEE10hipError_tT0_T1_T2_jT3_P12ihipStream_tbPNSt15iterator_traitsISG_E10value_typeEPNSM_ISH_E10value_typeEPSI_NS1_7vsmem_tEENKUlT_SG_SH_SI_E_clIS7_S7_PlSB_EESF_SV_SG_SH_SI_EUlSV_E_NS1_11comp_targetILNS1_3genE10ELNS1_11target_archE1201ELNS1_3gpuE5ELNS1_3repE0EEENS1_48merge_mergepath_partition_config_static_selectorELNS0_4arch9wavefront6targetE1EEEvSH_
; %bb.0:
	.section	.rodata,"a",@progbits
	.p2align	6, 0x0
	.amdhsa_kernel _ZN7rocprim17ROCPRIM_400000_NS6detail17trampoline_kernelINS0_14default_configENS1_38merge_sort_block_merge_config_selectorIslEEZZNS1_27merge_sort_block_merge_implIS3_PsN6thrust23THRUST_200600_302600_NS10device_ptrIlEEjNS1_19radix_merge_compareILb0ELb0EsNS0_19identity_decomposerEEEEE10hipError_tT0_T1_T2_jT3_P12ihipStream_tbPNSt15iterator_traitsISG_E10value_typeEPNSM_ISH_E10value_typeEPSI_NS1_7vsmem_tEENKUlT_SG_SH_SI_E_clIS7_S7_PlSB_EESF_SV_SG_SH_SI_EUlSV_E_NS1_11comp_targetILNS1_3genE10ELNS1_11target_archE1201ELNS1_3gpuE5ELNS1_3repE0EEENS1_48merge_mergepath_partition_config_static_selectorELNS0_4arch9wavefront6targetE1EEEvSH_
		.amdhsa_group_segment_fixed_size 0
		.amdhsa_private_segment_fixed_size 0
		.amdhsa_kernarg_size 40
		.amdhsa_user_sgpr_count 6
		.amdhsa_user_sgpr_private_segment_buffer 1
		.amdhsa_user_sgpr_dispatch_ptr 0
		.amdhsa_user_sgpr_queue_ptr 0
		.amdhsa_user_sgpr_kernarg_segment_ptr 1
		.amdhsa_user_sgpr_dispatch_id 0
		.amdhsa_user_sgpr_flat_scratch_init 0
		.amdhsa_user_sgpr_private_segment_size 0
		.amdhsa_uses_dynamic_stack 0
		.amdhsa_system_sgpr_private_segment_wavefront_offset 0
		.amdhsa_system_sgpr_workgroup_id_x 1
		.amdhsa_system_sgpr_workgroup_id_y 0
		.amdhsa_system_sgpr_workgroup_id_z 0
		.amdhsa_system_sgpr_workgroup_info 0
		.amdhsa_system_vgpr_workitem_id 0
		.amdhsa_next_free_vgpr 1
		.amdhsa_next_free_sgpr 0
		.amdhsa_reserve_vcc 0
		.amdhsa_reserve_flat_scratch 0
		.amdhsa_float_round_mode_32 0
		.amdhsa_float_round_mode_16_64 0
		.amdhsa_float_denorm_mode_32 3
		.amdhsa_float_denorm_mode_16_64 3
		.amdhsa_dx10_clamp 1
		.amdhsa_ieee_mode 1
		.amdhsa_fp16_overflow 0
		.amdhsa_exception_fp_ieee_invalid_op 0
		.amdhsa_exception_fp_denorm_src 0
		.amdhsa_exception_fp_ieee_div_zero 0
		.amdhsa_exception_fp_ieee_overflow 0
		.amdhsa_exception_fp_ieee_underflow 0
		.amdhsa_exception_fp_ieee_inexact 0
		.amdhsa_exception_int_div_zero 0
	.end_amdhsa_kernel
	.section	.text._ZN7rocprim17ROCPRIM_400000_NS6detail17trampoline_kernelINS0_14default_configENS1_38merge_sort_block_merge_config_selectorIslEEZZNS1_27merge_sort_block_merge_implIS3_PsN6thrust23THRUST_200600_302600_NS10device_ptrIlEEjNS1_19radix_merge_compareILb0ELb0EsNS0_19identity_decomposerEEEEE10hipError_tT0_T1_T2_jT3_P12ihipStream_tbPNSt15iterator_traitsISG_E10value_typeEPNSM_ISH_E10value_typeEPSI_NS1_7vsmem_tEENKUlT_SG_SH_SI_E_clIS7_S7_PlSB_EESF_SV_SG_SH_SI_EUlSV_E_NS1_11comp_targetILNS1_3genE10ELNS1_11target_archE1201ELNS1_3gpuE5ELNS1_3repE0EEENS1_48merge_mergepath_partition_config_static_selectorELNS0_4arch9wavefront6targetE1EEEvSH_,"axG",@progbits,_ZN7rocprim17ROCPRIM_400000_NS6detail17trampoline_kernelINS0_14default_configENS1_38merge_sort_block_merge_config_selectorIslEEZZNS1_27merge_sort_block_merge_implIS3_PsN6thrust23THRUST_200600_302600_NS10device_ptrIlEEjNS1_19radix_merge_compareILb0ELb0EsNS0_19identity_decomposerEEEEE10hipError_tT0_T1_T2_jT3_P12ihipStream_tbPNSt15iterator_traitsISG_E10value_typeEPNSM_ISH_E10value_typeEPSI_NS1_7vsmem_tEENKUlT_SG_SH_SI_E_clIS7_S7_PlSB_EESF_SV_SG_SH_SI_EUlSV_E_NS1_11comp_targetILNS1_3genE10ELNS1_11target_archE1201ELNS1_3gpuE5ELNS1_3repE0EEENS1_48merge_mergepath_partition_config_static_selectorELNS0_4arch9wavefront6targetE1EEEvSH_,comdat
.Lfunc_end1277:
	.size	_ZN7rocprim17ROCPRIM_400000_NS6detail17trampoline_kernelINS0_14default_configENS1_38merge_sort_block_merge_config_selectorIslEEZZNS1_27merge_sort_block_merge_implIS3_PsN6thrust23THRUST_200600_302600_NS10device_ptrIlEEjNS1_19radix_merge_compareILb0ELb0EsNS0_19identity_decomposerEEEEE10hipError_tT0_T1_T2_jT3_P12ihipStream_tbPNSt15iterator_traitsISG_E10value_typeEPNSM_ISH_E10value_typeEPSI_NS1_7vsmem_tEENKUlT_SG_SH_SI_E_clIS7_S7_PlSB_EESF_SV_SG_SH_SI_EUlSV_E_NS1_11comp_targetILNS1_3genE10ELNS1_11target_archE1201ELNS1_3gpuE5ELNS1_3repE0EEENS1_48merge_mergepath_partition_config_static_selectorELNS0_4arch9wavefront6targetE1EEEvSH_, .Lfunc_end1277-_ZN7rocprim17ROCPRIM_400000_NS6detail17trampoline_kernelINS0_14default_configENS1_38merge_sort_block_merge_config_selectorIslEEZZNS1_27merge_sort_block_merge_implIS3_PsN6thrust23THRUST_200600_302600_NS10device_ptrIlEEjNS1_19radix_merge_compareILb0ELb0EsNS0_19identity_decomposerEEEEE10hipError_tT0_T1_T2_jT3_P12ihipStream_tbPNSt15iterator_traitsISG_E10value_typeEPNSM_ISH_E10value_typeEPSI_NS1_7vsmem_tEENKUlT_SG_SH_SI_E_clIS7_S7_PlSB_EESF_SV_SG_SH_SI_EUlSV_E_NS1_11comp_targetILNS1_3genE10ELNS1_11target_archE1201ELNS1_3gpuE5ELNS1_3repE0EEENS1_48merge_mergepath_partition_config_static_selectorELNS0_4arch9wavefront6targetE1EEEvSH_
                                        ; -- End function
	.set _ZN7rocprim17ROCPRIM_400000_NS6detail17trampoline_kernelINS0_14default_configENS1_38merge_sort_block_merge_config_selectorIslEEZZNS1_27merge_sort_block_merge_implIS3_PsN6thrust23THRUST_200600_302600_NS10device_ptrIlEEjNS1_19radix_merge_compareILb0ELb0EsNS0_19identity_decomposerEEEEE10hipError_tT0_T1_T2_jT3_P12ihipStream_tbPNSt15iterator_traitsISG_E10value_typeEPNSM_ISH_E10value_typeEPSI_NS1_7vsmem_tEENKUlT_SG_SH_SI_E_clIS7_S7_PlSB_EESF_SV_SG_SH_SI_EUlSV_E_NS1_11comp_targetILNS1_3genE10ELNS1_11target_archE1201ELNS1_3gpuE5ELNS1_3repE0EEENS1_48merge_mergepath_partition_config_static_selectorELNS0_4arch9wavefront6targetE1EEEvSH_.num_vgpr, 0
	.set _ZN7rocprim17ROCPRIM_400000_NS6detail17trampoline_kernelINS0_14default_configENS1_38merge_sort_block_merge_config_selectorIslEEZZNS1_27merge_sort_block_merge_implIS3_PsN6thrust23THRUST_200600_302600_NS10device_ptrIlEEjNS1_19radix_merge_compareILb0ELb0EsNS0_19identity_decomposerEEEEE10hipError_tT0_T1_T2_jT3_P12ihipStream_tbPNSt15iterator_traitsISG_E10value_typeEPNSM_ISH_E10value_typeEPSI_NS1_7vsmem_tEENKUlT_SG_SH_SI_E_clIS7_S7_PlSB_EESF_SV_SG_SH_SI_EUlSV_E_NS1_11comp_targetILNS1_3genE10ELNS1_11target_archE1201ELNS1_3gpuE5ELNS1_3repE0EEENS1_48merge_mergepath_partition_config_static_selectorELNS0_4arch9wavefront6targetE1EEEvSH_.num_agpr, 0
	.set _ZN7rocprim17ROCPRIM_400000_NS6detail17trampoline_kernelINS0_14default_configENS1_38merge_sort_block_merge_config_selectorIslEEZZNS1_27merge_sort_block_merge_implIS3_PsN6thrust23THRUST_200600_302600_NS10device_ptrIlEEjNS1_19radix_merge_compareILb0ELb0EsNS0_19identity_decomposerEEEEE10hipError_tT0_T1_T2_jT3_P12ihipStream_tbPNSt15iterator_traitsISG_E10value_typeEPNSM_ISH_E10value_typeEPSI_NS1_7vsmem_tEENKUlT_SG_SH_SI_E_clIS7_S7_PlSB_EESF_SV_SG_SH_SI_EUlSV_E_NS1_11comp_targetILNS1_3genE10ELNS1_11target_archE1201ELNS1_3gpuE5ELNS1_3repE0EEENS1_48merge_mergepath_partition_config_static_selectorELNS0_4arch9wavefront6targetE1EEEvSH_.numbered_sgpr, 0
	.set _ZN7rocprim17ROCPRIM_400000_NS6detail17trampoline_kernelINS0_14default_configENS1_38merge_sort_block_merge_config_selectorIslEEZZNS1_27merge_sort_block_merge_implIS3_PsN6thrust23THRUST_200600_302600_NS10device_ptrIlEEjNS1_19radix_merge_compareILb0ELb0EsNS0_19identity_decomposerEEEEE10hipError_tT0_T1_T2_jT3_P12ihipStream_tbPNSt15iterator_traitsISG_E10value_typeEPNSM_ISH_E10value_typeEPSI_NS1_7vsmem_tEENKUlT_SG_SH_SI_E_clIS7_S7_PlSB_EESF_SV_SG_SH_SI_EUlSV_E_NS1_11comp_targetILNS1_3genE10ELNS1_11target_archE1201ELNS1_3gpuE5ELNS1_3repE0EEENS1_48merge_mergepath_partition_config_static_selectorELNS0_4arch9wavefront6targetE1EEEvSH_.num_named_barrier, 0
	.set _ZN7rocprim17ROCPRIM_400000_NS6detail17trampoline_kernelINS0_14default_configENS1_38merge_sort_block_merge_config_selectorIslEEZZNS1_27merge_sort_block_merge_implIS3_PsN6thrust23THRUST_200600_302600_NS10device_ptrIlEEjNS1_19radix_merge_compareILb0ELb0EsNS0_19identity_decomposerEEEEE10hipError_tT0_T1_T2_jT3_P12ihipStream_tbPNSt15iterator_traitsISG_E10value_typeEPNSM_ISH_E10value_typeEPSI_NS1_7vsmem_tEENKUlT_SG_SH_SI_E_clIS7_S7_PlSB_EESF_SV_SG_SH_SI_EUlSV_E_NS1_11comp_targetILNS1_3genE10ELNS1_11target_archE1201ELNS1_3gpuE5ELNS1_3repE0EEENS1_48merge_mergepath_partition_config_static_selectorELNS0_4arch9wavefront6targetE1EEEvSH_.private_seg_size, 0
	.set _ZN7rocprim17ROCPRIM_400000_NS6detail17trampoline_kernelINS0_14default_configENS1_38merge_sort_block_merge_config_selectorIslEEZZNS1_27merge_sort_block_merge_implIS3_PsN6thrust23THRUST_200600_302600_NS10device_ptrIlEEjNS1_19radix_merge_compareILb0ELb0EsNS0_19identity_decomposerEEEEE10hipError_tT0_T1_T2_jT3_P12ihipStream_tbPNSt15iterator_traitsISG_E10value_typeEPNSM_ISH_E10value_typeEPSI_NS1_7vsmem_tEENKUlT_SG_SH_SI_E_clIS7_S7_PlSB_EESF_SV_SG_SH_SI_EUlSV_E_NS1_11comp_targetILNS1_3genE10ELNS1_11target_archE1201ELNS1_3gpuE5ELNS1_3repE0EEENS1_48merge_mergepath_partition_config_static_selectorELNS0_4arch9wavefront6targetE1EEEvSH_.uses_vcc, 0
	.set _ZN7rocprim17ROCPRIM_400000_NS6detail17trampoline_kernelINS0_14default_configENS1_38merge_sort_block_merge_config_selectorIslEEZZNS1_27merge_sort_block_merge_implIS3_PsN6thrust23THRUST_200600_302600_NS10device_ptrIlEEjNS1_19radix_merge_compareILb0ELb0EsNS0_19identity_decomposerEEEEE10hipError_tT0_T1_T2_jT3_P12ihipStream_tbPNSt15iterator_traitsISG_E10value_typeEPNSM_ISH_E10value_typeEPSI_NS1_7vsmem_tEENKUlT_SG_SH_SI_E_clIS7_S7_PlSB_EESF_SV_SG_SH_SI_EUlSV_E_NS1_11comp_targetILNS1_3genE10ELNS1_11target_archE1201ELNS1_3gpuE5ELNS1_3repE0EEENS1_48merge_mergepath_partition_config_static_selectorELNS0_4arch9wavefront6targetE1EEEvSH_.uses_flat_scratch, 0
	.set _ZN7rocprim17ROCPRIM_400000_NS6detail17trampoline_kernelINS0_14default_configENS1_38merge_sort_block_merge_config_selectorIslEEZZNS1_27merge_sort_block_merge_implIS3_PsN6thrust23THRUST_200600_302600_NS10device_ptrIlEEjNS1_19radix_merge_compareILb0ELb0EsNS0_19identity_decomposerEEEEE10hipError_tT0_T1_T2_jT3_P12ihipStream_tbPNSt15iterator_traitsISG_E10value_typeEPNSM_ISH_E10value_typeEPSI_NS1_7vsmem_tEENKUlT_SG_SH_SI_E_clIS7_S7_PlSB_EESF_SV_SG_SH_SI_EUlSV_E_NS1_11comp_targetILNS1_3genE10ELNS1_11target_archE1201ELNS1_3gpuE5ELNS1_3repE0EEENS1_48merge_mergepath_partition_config_static_selectorELNS0_4arch9wavefront6targetE1EEEvSH_.has_dyn_sized_stack, 0
	.set _ZN7rocprim17ROCPRIM_400000_NS6detail17trampoline_kernelINS0_14default_configENS1_38merge_sort_block_merge_config_selectorIslEEZZNS1_27merge_sort_block_merge_implIS3_PsN6thrust23THRUST_200600_302600_NS10device_ptrIlEEjNS1_19radix_merge_compareILb0ELb0EsNS0_19identity_decomposerEEEEE10hipError_tT0_T1_T2_jT3_P12ihipStream_tbPNSt15iterator_traitsISG_E10value_typeEPNSM_ISH_E10value_typeEPSI_NS1_7vsmem_tEENKUlT_SG_SH_SI_E_clIS7_S7_PlSB_EESF_SV_SG_SH_SI_EUlSV_E_NS1_11comp_targetILNS1_3genE10ELNS1_11target_archE1201ELNS1_3gpuE5ELNS1_3repE0EEENS1_48merge_mergepath_partition_config_static_selectorELNS0_4arch9wavefront6targetE1EEEvSH_.has_recursion, 0
	.set _ZN7rocprim17ROCPRIM_400000_NS6detail17trampoline_kernelINS0_14default_configENS1_38merge_sort_block_merge_config_selectorIslEEZZNS1_27merge_sort_block_merge_implIS3_PsN6thrust23THRUST_200600_302600_NS10device_ptrIlEEjNS1_19radix_merge_compareILb0ELb0EsNS0_19identity_decomposerEEEEE10hipError_tT0_T1_T2_jT3_P12ihipStream_tbPNSt15iterator_traitsISG_E10value_typeEPNSM_ISH_E10value_typeEPSI_NS1_7vsmem_tEENKUlT_SG_SH_SI_E_clIS7_S7_PlSB_EESF_SV_SG_SH_SI_EUlSV_E_NS1_11comp_targetILNS1_3genE10ELNS1_11target_archE1201ELNS1_3gpuE5ELNS1_3repE0EEENS1_48merge_mergepath_partition_config_static_selectorELNS0_4arch9wavefront6targetE1EEEvSH_.has_indirect_call, 0
	.section	.AMDGPU.csdata,"",@progbits
; Kernel info:
; codeLenInByte = 0
; TotalNumSgprs: 4
; NumVgprs: 0
; ScratchSize: 0
; MemoryBound: 0
; FloatMode: 240
; IeeeMode: 1
; LDSByteSize: 0 bytes/workgroup (compile time only)
; SGPRBlocks: 0
; VGPRBlocks: 0
; NumSGPRsForWavesPerEU: 4
; NumVGPRsForWavesPerEU: 1
; Occupancy: 10
; WaveLimiterHint : 0
; COMPUTE_PGM_RSRC2:SCRATCH_EN: 0
; COMPUTE_PGM_RSRC2:USER_SGPR: 6
; COMPUTE_PGM_RSRC2:TRAP_HANDLER: 0
; COMPUTE_PGM_RSRC2:TGID_X_EN: 1
; COMPUTE_PGM_RSRC2:TGID_Y_EN: 0
; COMPUTE_PGM_RSRC2:TGID_Z_EN: 0
; COMPUTE_PGM_RSRC2:TIDIG_COMP_CNT: 0
	.section	.text._ZN7rocprim17ROCPRIM_400000_NS6detail17trampoline_kernelINS0_14default_configENS1_38merge_sort_block_merge_config_selectorIslEEZZNS1_27merge_sort_block_merge_implIS3_PsN6thrust23THRUST_200600_302600_NS10device_ptrIlEEjNS1_19radix_merge_compareILb0ELb0EsNS0_19identity_decomposerEEEEE10hipError_tT0_T1_T2_jT3_P12ihipStream_tbPNSt15iterator_traitsISG_E10value_typeEPNSM_ISH_E10value_typeEPSI_NS1_7vsmem_tEENKUlT_SG_SH_SI_E_clIS7_S7_PlSB_EESF_SV_SG_SH_SI_EUlSV_E_NS1_11comp_targetILNS1_3genE5ELNS1_11target_archE942ELNS1_3gpuE9ELNS1_3repE0EEENS1_48merge_mergepath_partition_config_static_selectorELNS0_4arch9wavefront6targetE1EEEvSH_,"axG",@progbits,_ZN7rocprim17ROCPRIM_400000_NS6detail17trampoline_kernelINS0_14default_configENS1_38merge_sort_block_merge_config_selectorIslEEZZNS1_27merge_sort_block_merge_implIS3_PsN6thrust23THRUST_200600_302600_NS10device_ptrIlEEjNS1_19radix_merge_compareILb0ELb0EsNS0_19identity_decomposerEEEEE10hipError_tT0_T1_T2_jT3_P12ihipStream_tbPNSt15iterator_traitsISG_E10value_typeEPNSM_ISH_E10value_typeEPSI_NS1_7vsmem_tEENKUlT_SG_SH_SI_E_clIS7_S7_PlSB_EESF_SV_SG_SH_SI_EUlSV_E_NS1_11comp_targetILNS1_3genE5ELNS1_11target_archE942ELNS1_3gpuE9ELNS1_3repE0EEENS1_48merge_mergepath_partition_config_static_selectorELNS0_4arch9wavefront6targetE1EEEvSH_,comdat
	.protected	_ZN7rocprim17ROCPRIM_400000_NS6detail17trampoline_kernelINS0_14default_configENS1_38merge_sort_block_merge_config_selectorIslEEZZNS1_27merge_sort_block_merge_implIS3_PsN6thrust23THRUST_200600_302600_NS10device_ptrIlEEjNS1_19radix_merge_compareILb0ELb0EsNS0_19identity_decomposerEEEEE10hipError_tT0_T1_T2_jT3_P12ihipStream_tbPNSt15iterator_traitsISG_E10value_typeEPNSM_ISH_E10value_typeEPSI_NS1_7vsmem_tEENKUlT_SG_SH_SI_E_clIS7_S7_PlSB_EESF_SV_SG_SH_SI_EUlSV_E_NS1_11comp_targetILNS1_3genE5ELNS1_11target_archE942ELNS1_3gpuE9ELNS1_3repE0EEENS1_48merge_mergepath_partition_config_static_selectorELNS0_4arch9wavefront6targetE1EEEvSH_ ; -- Begin function _ZN7rocprim17ROCPRIM_400000_NS6detail17trampoline_kernelINS0_14default_configENS1_38merge_sort_block_merge_config_selectorIslEEZZNS1_27merge_sort_block_merge_implIS3_PsN6thrust23THRUST_200600_302600_NS10device_ptrIlEEjNS1_19radix_merge_compareILb0ELb0EsNS0_19identity_decomposerEEEEE10hipError_tT0_T1_T2_jT3_P12ihipStream_tbPNSt15iterator_traitsISG_E10value_typeEPNSM_ISH_E10value_typeEPSI_NS1_7vsmem_tEENKUlT_SG_SH_SI_E_clIS7_S7_PlSB_EESF_SV_SG_SH_SI_EUlSV_E_NS1_11comp_targetILNS1_3genE5ELNS1_11target_archE942ELNS1_3gpuE9ELNS1_3repE0EEENS1_48merge_mergepath_partition_config_static_selectorELNS0_4arch9wavefront6targetE1EEEvSH_
	.globl	_ZN7rocprim17ROCPRIM_400000_NS6detail17trampoline_kernelINS0_14default_configENS1_38merge_sort_block_merge_config_selectorIslEEZZNS1_27merge_sort_block_merge_implIS3_PsN6thrust23THRUST_200600_302600_NS10device_ptrIlEEjNS1_19radix_merge_compareILb0ELb0EsNS0_19identity_decomposerEEEEE10hipError_tT0_T1_T2_jT3_P12ihipStream_tbPNSt15iterator_traitsISG_E10value_typeEPNSM_ISH_E10value_typeEPSI_NS1_7vsmem_tEENKUlT_SG_SH_SI_E_clIS7_S7_PlSB_EESF_SV_SG_SH_SI_EUlSV_E_NS1_11comp_targetILNS1_3genE5ELNS1_11target_archE942ELNS1_3gpuE9ELNS1_3repE0EEENS1_48merge_mergepath_partition_config_static_selectorELNS0_4arch9wavefront6targetE1EEEvSH_
	.p2align	8
	.type	_ZN7rocprim17ROCPRIM_400000_NS6detail17trampoline_kernelINS0_14default_configENS1_38merge_sort_block_merge_config_selectorIslEEZZNS1_27merge_sort_block_merge_implIS3_PsN6thrust23THRUST_200600_302600_NS10device_ptrIlEEjNS1_19radix_merge_compareILb0ELb0EsNS0_19identity_decomposerEEEEE10hipError_tT0_T1_T2_jT3_P12ihipStream_tbPNSt15iterator_traitsISG_E10value_typeEPNSM_ISH_E10value_typeEPSI_NS1_7vsmem_tEENKUlT_SG_SH_SI_E_clIS7_S7_PlSB_EESF_SV_SG_SH_SI_EUlSV_E_NS1_11comp_targetILNS1_3genE5ELNS1_11target_archE942ELNS1_3gpuE9ELNS1_3repE0EEENS1_48merge_mergepath_partition_config_static_selectorELNS0_4arch9wavefront6targetE1EEEvSH_,@function
_ZN7rocprim17ROCPRIM_400000_NS6detail17trampoline_kernelINS0_14default_configENS1_38merge_sort_block_merge_config_selectorIslEEZZNS1_27merge_sort_block_merge_implIS3_PsN6thrust23THRUST_200600_302600_NS10device_ptrIlEEjNS1_19radix_merge_compareILb0ELb0EsNS0_19identity_decomposerEEEEE10hipError_tT0_T1_T2_jT3_P12ihipStream_tbPNSt15iterator_traitsISG_E10value_typeEPNSM_ISH_E10value_typeEPSI_NS1_7vsmem_tEENKUlT_SG_SH_SI_E_clIS7_S7_PlSB_EESF_SV_SG_SH_SI_EUlSV_E_NS1_11comp_targetILNS1_3genE5ELNS1_11target_archE942ELNS1_3gpuE9ELNS1_3repE0EEENS1_48merge_mergepath_partition_config_static_selectorELNS0_4arch9wavefront6targetE1EEEvSH_: ; @_ZN7rocprim17ROCPRIM_400000_NS6detail17trampoline_kernelINS0_14default_configENS1_38merge_sort_block_merge_config_selectorIslEEZZNS1_27merge_sort_block_merge_implIS3_PsN6thrust23THRUST_200600_302600_NS10device_ptrIlEEjNS1_19radix_merge_compareILb0ELb0EsNS0_19identity_decomposerEEEEE10hipError_tT0_T1_T2_jT3_P12ihipStream_tbPNSt15iterator_traitsISG_E10value_typeEPNSM_ISH_E10value_typeEPSI_NS1_7vsmem_tEENKUlT_SG_SH_SI_E_clIS7_S7_PlSB_EESF_SV_SG_SH_SI_EUlSV_E_NS1_11comp_targetILNS1_3genE5ELNS1_11target_archE942ELNS1_3gpuE9ELNS1_3repE0EEENS1_48merge_mergepath_partition_config_static_selectorELNS0_4arch9wavefront6targetE1EEEvSH_
; %bb.0:
	.section	.rodata,"a",@progbits
	.p2align	6, 0x0
	.amdhsa_kernel _ZN7rocprim17ROCPRIM_400000_NS6detail17trampoline_kernelINS0_14default_configENS1_38merge_sort_block_merge_config_selectorIslEEZZNS1_27merge_sort_block_merge_implIS3_PsN6thrust23THRUST_200600_302600_NS10device_ptrIlEEjNS1_19radix_merge_compareILb0ELb0EsNS0_19identity_decomposerEEEEE10hipError_tT0_T1_T2_jT3_P12ihipStream_tbPNSt15iterator_traitsISG_E10value_typeEPNSM_ISH_E10value_typeEPSI_NS1_7vsmem_tEENKUlT_SG_SH_SI_E_clIS7_S7_PlSB_EESF_SV_SG_SH_SI_EUlSV_E_NS1_11comp_targetILNS1_3genE5ELNS1_11target_archE942ELNS1_3gpuE9ELNS1_3repE0EEENS1_48merge_mergepath_partition_config_static_selectorELNS0_4arch9wavefront6targetE1EEEvSH_
		.amdhsa_group_segment_fixed_size 0
		.amdhsa_private_segment_fixed_size 0
		.amdhsa_kernarg_size 40
		.amdhsa_user_sgpr_count 6
		.amdhsa_user_sgpr_private_segment_buffer 1
		.amdhsa_user_sgpr_dispatch_ptr 0
		.amdhsa_user_sgpr_queue_ptr 0
		.amdhsa_user_sgpr_kernarg_segment_ptr 1
		.amdhsa_user_sgpr_dispatch_id 0
		.amdhsa_user_sgpr_flat_scratch_init 0
		.amdhsa_user_sgpr_private_segment_size 0
		.amdhsa_uses_dynamic_stack 0
		.amdhsa_system_sgpr_private_segment_wavefront_offset 0
		.amdhsa_system_sgpr_workgroup_id_x 1
		.amdhsa_system_sgpr_workgroup_id_y 0
		.amdhsa_system_sgpr_workgroup_id_z 0
		.amdhsa_system_sgpr_workgroup_info 0
		.amdhsa_system_vgpr_workitem_id 0
		.amdhsa_next_free_vgpr 1
		.amdhsa_next_free_sgpr 0
		.amdhsa_reserve_vcc 0
		.amdhsa_reserve_flat_scratch 0
		.amdhsa_float_round_mode_32 0
		.amdhsa_float_round_mode_16_64 0
		.amdhsa_float_denorm_mode_32 3
		.amdhsa_float_denorm_mode_16_64 3
		.amdhsa_dx10_clamp 1
		.amdhsa_ieee_mode 1
		.amdhsa_fp16_overflow 0
		.amdhsa_exception_fp_ieee_invalid_op 0
		.amdhsa_exception_fp_denorm_src 0
		.amdhsa_exception_fp_ieee_div_zero 0
		.amdhsa_exception_fp_ieee_overflow 0
		.amdhsa_exception_fp_ieee_underflow 0
		.amdhsa_exception_fp_ieee_inexact 0
		.amdhsa_exception_int_div_zero 0
	.end_amdhsa_kernel
	.section	.text._ZN7rocprim17ROCPRIM_400000_NS6detail17trampoline_kernelINS0_14default_configENS1_38merge_sort_block_merge_config_selectorIslEEZZNS1_27merge_sort_block_merge_implIS3_PsN6thrust23THRUST_200600_302600_NS10device_ptrIlEEjNS1_19radix_merge_compareILb0ELb0EsNS0_19identity_decomposerEEEEE10hipError_tT0_T1_T2_jT3_P12ihipStream_tbPNSt15iterator_traitsISG_E10value_typeEPNSM_ISH_E10value_typeEPSI_NS1_7vsmem_tEENKUlT_SG_SH_SI_E_clIS7_S7_PlSB_EESF_SV_SG_SH_SI_EUlSV_E_NS1_11comp_targetILNS1_3genE5ELNS1_11target_archE942ELNS1_3gpuE9ELNS1_3repE0EEENS1_48merge_mergepath_partition_config_static_selectorELNS0_4arch9wavefront6targetE1EEEvSH_,"axG",@progbits,_ZN7rocprim17ROCPRIM_400000_NS6detail17trampoline_kernelINS0_14default_configENS1_38merge_sort_block_merge_config_selectorIslEEZZNS1_27merge_sort_block_merge_implIS3_PsN6thrust23THRUST_200600_302600_NS10device_ptrIlEEjNS1_19radix_merge_compareILb0ELb0EsNS0_19identity_decomposerEEEEE10hipError_tT0_T1_T2_jT3_P12ihipStream_tbPNSt15iterator_traitsISG_E10value_typeEPNSM_ISH_E10value_typeEPSI_NS1_7vsmem_tEENKUlT_SG_SH_SI_E_clIS7_S7_PlSB_EESF_SV_SG_SH_SI_EUlSV_E_NS1_11comp_targetILNS1_3genE5ELNS1_11target_archE942ELNS1_3gpuE9ELNS1_3repE0EEENS1_48merge_mergepath_partition_config_static_selectorELNS0_4arch9wavefront6targetE1EEEvSH_,comdat
.Lfunc_end1278:
	.size	_ZN7rocprim17ROCPRIM_400000_NS6detail17trampoline_kernelINS0_14default_configENS1_38merge_sort_block_merge_config_selectorIslEEZZNS1_27merge_sort_block_merge_implIS3_PsN6thrust23THRUST_200600_302600_NS10device_ptrIlEEjNS1_19radix_merge_compareILb0ELb0EsNS0_19identity_decomposerEEEEE10hipError_tT0_T1_T2_jT3_P12ihipStream_tbPNSt15iterator_traitsISG_E10value_typeEPNSM_ISH_E10value_typeEPSI_NS1_7vsmem_tEENKUlT_SG_SH_SI_E_clIS7_S7_PlSB_EESF_SV_SG_SH_SI_EUlSV_E_NS1_11comp_targetILNS1_3genE5ELNS1_11target_archE942ELNS1_3gpuE9ELNS1_3repE0EEENS1_48merge_mergepath_partition_config_static_selectorELNS0_4arch9wavefront6targetE1EEEvSH_, .Lfunc_end1278-_ZN7rocprim17ROCPRIM_400000_NS6detail17trampoline_kernelINS0_14default_configENS1_38merge_sort_block_merge_config_selectorIslEEZZNS1_27merge_sort_block_merge_implIS3_PsN6thrust23THRUST_200600_302600_NS10device_ptrIlEEjNS1_19radix_merge_compareILb0ELb0EsNS0_19identity_decomposerEEEEE10hipError_tT0_T1_T2_jT3_P12ihipStream_tbPNSt15iterator_traitsISG_E10value_typeEPNSM_ISH_E10value_typeEPSI_NS1_7vsmem_tEENKUlT_SG_SH_SI_E_clIS7_S7_PlSB_EESF_SV_SG_SH_SI_EUlSV_E_NS1_11comp_targetILNS1_3genE5ELNS1_11target_archE942ELNS1_3gpuE9ELNS1_3repE0EEENS1_48merge_mergepath_partition_config_static_selectorELNS0_4arch9wavefront6targetE1EEEvSH_
                                        ; -- End function
	.set _ZN7rocprim17ROCPRIM_400000_NS6detail17trampoline_kernelINS0_14default_configENS1_38merge_sort_block_merge_config_selectorIslEEZZNS1_27merge_sort_block_merge_implIS3_PsN6thrust23THRUST_200600_302600_NS10device_ptrIlEEjNS1_19radix_merge_compareILb0ELb0EsNS0_19identity_decomposerEEEEE10hipError_tT0_T1_T2_jT3_P12ihipStream_tbPNSt15iterator_traitsISG_E10value_typeEPNSM_ISH_E10value_typeEPSI_NS1_7vsmem_tEENKUlT_SG_SH_SI_E_clIS7_S7_PlSB_EESF_SV_SG_SH_SI_EUlSV_E_NS1_11comp_targetILNS1_3genE5ELNS1_11target_archE942ELNS1_3gpuE9ELNS1_3repE0EEENS1_48merge_mergepath_partition_config_static_selectorELNS0_4arch9wavefront6targetE1EEEvSH_.num_vgpr, 0
	.set _ZN7rocprim17ROCPRIM_400000_NS6detail17trampoline_kernelINS0_14default_configENS1_38merge_sort_block_merge_config_selectorIslEEZZNS1_27merge_sort_block_merge_implIS3_PsN6thrust23THRUST_200600_302600_NS10device_ptrIlEEjNS1_19radix_merge_compareILb0ELb0EsNS0_19identity_decomposerEEEEE10hipError_tT0_T1_T2_jT3_P12ihipStream_tbPNSt15iterator_traitsISG_E10value_typeEPNSM_ISH_E10value_typeEPSI_NS1_7vsmem_tEENKUlT_SG_SH_SI_E_clIS7_S7_PlSB_EESF_SV_SG_SH_SI_EUlSV_E_NS1_11comp_targetILNS1_3genE5ELNS1_11target_archE942ELNS1_3gpuE9ELNS1_3repE0EEENS1_48merge_mergepath_partition_config_static_selectorELNS0_4arch9wavefront6targetE1EEEvSH_.num_agpr, 0
	.set _ZN7rocprim17ROCPRIM_400000_NS6detail17trampoline_kernelINS0_14default_configENS1_38merge_sort_block_merge_config_selectorIslEEZZNS1_27merge_sort_block_merge_implIS3_PsN6thrust23THRUST_200600_302600_NS10device_ptrIlEEjNS1_19radix_merge_compareILb0ELb0EsNS0_19identity_decomposerEEEEE10hipError_tT0_T1_T2_jT3_P12ihipStream_tbPNSt15iterator_traitsISG_E10value_typeEPNSM_ISH_E10value_typeEPSI_NS1_7vsmem_tEENKUlT_SG_SH_SI_E_clIS7_S7_PlSB_EESF_SV_SG_SH_SI_EUlSV_E_NS1_11comp_targetILNS1_3genE5ELNS1_11target_archE942ELNS1_3gpuE9ELNS1_3repE0EEENS1_48merge_mergepath_partition_config_static_selectorELNS0_4arch9wavefront6targetE1EEEvSH_.numbered_sgpr, 0
	.set _ZN7rocprim17ROCPRIM_400000_NS6detail17trampoline_kernelINS0_14default_configENS1_38merge_sort_block_merge_config_selectorIslEEZZNS1_27merge_sort_block_merge_implIS3_PsN6thrust23THRUST_200600_302600_NS10device_ptrIlEEjNS1_19radix_merge_compareILb0ELb0EsNS0_19identity_decomposerEEEEE10hipError_tT0_T1_T2_jT3_P12ihipStream_tbPNSt15iterator_traitsISG_E10value_typeEPNSM_ISH_E10value_typeEPSI_NS1_7vsmem_tEENKUlT_SG_SH_SI_E_clIS7_S7_PlSB_EESF_SV_SG_SH_SI_EUlSV_E_NS1_11comp_targetILNS1_3genE5ELNS1_11target_archE942ELNS1_3gpuE9ELNS1_3repE0EEENS1_48merge_mergepath_partition_config_static_selectorELNS0_4arch9wavefront6targetE1EEEvSH_.num_named_barrier, 0
	.set _ZN7rocprim17ROCPRIM_400000_NS6detail17trampoline_kernelINS0_14default_configENS1_38merge_sort_block_merge_config_selectorIslEEZZNS1_27merge_sort_block_merge_implIS3_PsN6thrust23THRUST_200600_302600_NS10device_ptrIlEEjNS1_19radix_merge_compareILb0ELb0EsNS0_19identity_decomposerEEEEE10hipError_tT0_T1_T2_jT3_P12ihipStream_tbPNSt15iterator_traitsISG_E10value_typeEPNSM_ISH_E10value_typeEPSI_NS1_7vsmem_tEENKUlT_SG_SH_SI_E_clIS7_S7_PlSB_EESF_SV_SG_SH_SI_EUlSV_E_NS1_11comp_targetILNS1_3genE5ELNS1_11target_archE942ELNS1_3gpuE9ELNS1_3repE0EEENS1_48merge_mergepath_partition_config_static_selectorELNS0_4arch9wavefront6targetE1EEEvSH_.private_seg_size, 0
	.set _ZN7rocprim17ROCPRIM_400000_NS6detail17trampoline_kernelINS0_14default_configENS1_38merge_sort_block_merge_config_selectorIslEEZZNS1_27merge_sort_block_merge_implIS3_PsN6thrust23THRUST_200600_302600_NS10device_ptrIlEEjNS1_19radix_merge_compareILb0ELb0EsNS0_19identity_decomposerEEEEE10hipError_tT0_T1_T2_jT3_P12ihipStream_tbPNSt15iterator_traitsISG_E10value_typeEPNSM_ISH_E10value_typeEPSI_NS1_7vsmem_tEENKUlT_SG_SH_SI_E_clIS7_S7_PlSB_EESF_SV_SG_SH_SI_EUlSV_E_NS1_11comp_targetILNS1_3genE5ELNS1_11target_archE942ELNS1_3gpuE9ELNS1_3repE0EEENS1_48merge_mergepath_partition_config_static_selectorELNS0_4arch9wavefront6targetE1EEEvSH_.uses_vcc, 0
	.set _ZN7rocprim17ROCPRIM_400000_NS6detail17trampoline_kernelINS0_14default_configENS1_38merge_sort_block_merge_config_selectorIslEEZZNS1_27merge_sort_block_merge_implIS3_PsN6thrust23THRUST_200600_302600_NS10device_ptrIlEEjNS1_19radix_merge_compareILb0ELb0EsNS0_19identity_decomposerEEEEE10hipError_tT0_T1_T2_jT3_P12ihipStream_tbPNSt15iterator_traitsISG_E10value_typeEPNSM_ISH_E10value_typeEPSI_NS1_7vsmem_tEENKUlT_SG_SH_SI_E_clIS7_S7_PlSB_EESF_SV_SG_SH_SI_EUlSV_E_NS1_11comp_targetILNS1_3genE5ELNS1_11target_archE942ELNS1_3gpuE9ELNS1_3repE0EEENS1_48merge_mergepath_partition_config_static_selectorELNS0_4arch9wavefront6targetE1EEEvSH_.uses_flat_scratch, 0
	.set _ZN7rocprim17ROCPRIM_400000_NS6detail17trampoline_kernelINS0_14default_configENS1_38merge_sort_block_merge_config_selectorIslEEZZNS1_27merge_sort_block_merge_implIS3_PsN6thrust23THRUST_200600_302600_NS10device_ptrIlEEjNS1_19radix_merge_compareILb0ELb0EsNS0_19identity_decomposerEEEEE10hipError_tT0_T1_T2_jT3_P12ihipStream_tbPNSt15iterator_traitsISG_E10value_typeEPNSM_ISH_E10value_typeEPSI_NS1_7vsmem_tEENKUlT_SG_SH_SI_E_clIS7_S7_PlSB_EESF_SV_SG_SH_SI_EUlSV_E_NS1_11comp_targetILNS1_3genE5ELNS1_11target_archE942ELNS1_3gpuE9ELNS1_3repE0EEENS1_48merge_mergepath_partition_config_static_selectorELNS0_4arch9wavefront6targetE1EEEvSH_.has_dyn_sized_stack, 0
	.set _ZN7rocprim17ROCPRIM_400000_NS6detail17trampoline_kernelINS0_14default_configENS1_38merge_sort_block_merge_config_selectorIslEEZZNS1_27merge_sort_block_merge_implIS3_PsN6thrust23THRUST_200600_302600_NS10device_ptrIlEEjNS1_19radix_merge_compareILb0ELb0EsNS0_19identity_decomposerEEEEE10hipError_tT0_T1_T2_jT3_P12ihipStream_tbPNSt15iterator_traitsISG_E10value_typeEPNSM_ISH_E10value_typeEPSI_NS1_7vsmem_tEENKUlT_SG_SH_SI_E_clIS7_S7_PlSB_EESF_SV_SG_SH_SI_EUlSV_E_NS1_11comp_targetILNS1_3genE5ELNS1_11target_archE942ELNS1_3gpuE9ELNS1_3repE0EEENS1_48merge_mergepath_partition_config_static_selectorELNS0_4arch9wavefront6targetE1EEEvSH_.has_recursion, 0
	.set _ZN7rocprim17ROCPRIM_400000_NS6detail17trampoline_kernelINS0_14default_configENS1_38merge_sort_block_merge_config_selectorIslEEZZNS1_27merge_sort_block_merge_implIS3_PsN6thrust23THRUST_200600_302600_NS10device_ptrIlEEjNS1_19radix_merge_compareILb0ELb0EsNS0_19identity_decomposerEEEEE10hipError_tT0_T1_T2_jT3_P12ihipStream_tbPNSt15iterator_traitsISG_E10value_typeEPNSM_ISH_E10value_typeEPSI_NS1_7vsmem_tEENKUlT_SG_SH_SI_E_clIS7_S7_PlSB_EESF_SV_SG_SH_SI_EUlSV_E_NS1_11comp_targetILNS1_3genE5ELNS1_11target_archE942ELNS1_3gpuE9ELNS1_3repE0EEENS1_48merge_mergepath_partition_config_static_selectorELNS0_4arch9wavefront6targetE1EEEvSH_.has_indirect_call, 0
	.section	.AMDGPU.csdata,"",@progbits
; Kernel info:
; codeLenInByte = 0
; TotalNumSgprs: 4
; NumVgprs: 0
; ScratchSize: 0
; MemoryBound: 0
; FloatMode: 240
; IeeeMode: 1
; LDSByteSize: 0 bytes/workgroup (compile time only)
; SGPRBlocks: 0
; VGPRBlocks: 0
; NumSGPRsForWavesPerEU: 4
; NumVGPRsForWavesPerEU: 1
; Occupancy: 10
; WaveLimiterHint : 0
; COMPUTE_PGM_RSRC2:SCRATCH_EN: 0
; COMPUTE_PGM_RSRC2:USER_SGPR: 6
; COMPUTE_PGM_RSRC2:TRAP_HANDLER: 0
; COMPUTE_PGM_RSRC2:TGID_X_EN: 1
; COMPUTE_PGM_RSRC2:TGID_Y_EN: 0
; COMPUTE_PGM_RSRC2:TGID_Z_EN: 0
; COMPUTE_PGM_RSRC2:TIDIG_COMP_CNT: 0
	.section	.text._ZN7rocprim17ROCPRIM_400000_NS6detail17trampoline_kernelINS0_14default_configENS1_38merge_sort_block_merge_config_selectorIslEEZZNS1_27merge_sort_block_merge_implIS3_PsN6thrust23THRUST_200600_302600_NS10device_ptrIlEEjNS1_19radix_merge_compareILb0ELb0EsNS0_19identity_decomposerEEEEE10hipError_tT0_T1_T2_jT3_P12ihipStream_tbPNSt15iterator_traitsISG_E10value_typeEPNSM_ISH_E10value_typeEPSI_NS1_7vsmem_tEENKUlT_SG_SH_SI_E_clIS7_S7_PlSB_EESF_SV_SG_SH_SI_EUlSV_E_NS1_11comp_targetILNS1_3genE4ELNS1_11target_archE910ELNS1_3gpuE8ELNS1_3repE0EEENS1_48merge_mergepath_partition_config_static_selectorELNS0_4arch9wavefront6targetE1EEEvSH_,"axG",@progbits,_ZN7rocprim17ROCPRIM_400000_NS6detail17trampoline_kernelINS0_14default_configENS1_38merge_sort_block_merge_config_selectorIslEEZZNS1_27merge_sort_block_merge_implIS3_PsN6thrust23THRUST_200600_302600_NS10device_ptrIlEEjNS1_19radix_merge_compareILb0ELb0EsNS0_19identity_decomposerEEEEE10hipError_tT0_T1_T2_jT3_P12ihipStream_tbPNSt15iterator_traitsISG_E10value_typeEPNSM_ISH_E10value_typeEPSI_NS1_7vsmem_tEENKUlT_SG_SH_SI_E_clIS7_S7_PlSB_EESF_SV_SG_SH_SI_EUlSV_E_NS1_11comp_targetILNS1_3genE4ELNS1_11target_archE910ELNS1_3gpuE8ELNS1_3repE0EEENS1_48merge_mergepath_partition_config_static_selectorELNS0_4arch9wavefront6targetE1EEEvSH_,comdat
	.protected	_ZN7rocprim17ROCPRIM_400000_NS6detail17trampoline_kernelINS0_14default_configENS1_38merge_sort_block_merge_config_selectorIslEEZZNS1_27merge_sort_block_merge_implIS3_PsN6thrust23THRUST_200600_302600_NS10device_ptrIlEEjNS1_19radix_merge_compareILb0ELb0EsNS0_19identity_decomposerEEEEE10hipError_tT0_T1_T2_jT3_P12ihipStream_tbPNSt15iterator_traitsISG_E10value_typeEPNSM_ISH_E10value_typeEPSI_NS1_7vsmem_tEENKUlT_SG_SH_SI_E_clIS7_S7_PlSB_EESF_SV_SG_SH_SI_EUlSV_E_NS1_11comp_targetILNS1_3genE4ELNS1_11target_archE910ELNS1_3gpuE8ELNS1_3repE0EEENS1_48merge_mergepath_partition_config_static_selectorELNS0_4arch9wavefront6targetE1EEEvSH_ ; -- Begin function _ZN7rocprim17ROCPRIM_400000_NS6detail17trampoline_kernelINS0_14default_configENS1_38merge_sort_block_merge_config_selectorIslEEZZNS1_27merge_sort_block_merge_implIS3_PsN6thrust23THRUST_200600_302600_NS10device_ptrIlEEjNS1_19radix_merge_compareILb0ELb0EsNS0_19identity_decomposerEEEEE10hipError_tT0_T1_T2_jT3_P12ihipStream_tbPNSt15iterator_traitsISG_E10value_typeEPNSM_ISH_E10value_typeEPSI_NS1_7vsmem_tEENKUlT_SG_SH_SI_E_clIS7_S7_PlSB_EESF_SV_SG_SH_SI_EUlSV_E_NS1_11comp_targetILNS1_3genE4ELNS1_11target_archE910ELNS1_3gpuE8ELNS1_3repE0EEENS1_48merge_mergepath_partition_config_static_selectorELNS0_4arch9wavefront6targetE1EEEvSH_
	.globl	_ZN7rocprim17ROCPRIM_400000_NS6detail17trampoline_kernelINS0_14default_configENS1_38merge_sort_block_merge_config_selectorIslEEZZNS1_27merge_sort_block_merge_implIS3_PsN6thrust23THRUST_200600_302600_NS10device_ptrIlEEjNS1_19radix_merge_compareILb0ELb0EsNS0_19identity_decomposerEEEEE10hipError_tT0_T1_T2_jT3_P12ihipStream_tbPNSt15iterator_traitsISG_E10value_typeEPNSM_ISH_E10value_typeEPSI_NS1_7vsmem_tEENKUlT_SG_SH_SI_E_clIS7_S7_PlSB_EESF_SV_SG_SH_SI_EUlSV_E_NS1_11comp_targetILNS1_3genE4ELNS1_11target_archE910ELNS1_3gpuE8ELNS1_3repE0EEENS1_48merge_mergepath_partition_config_static_selectorELNS0_4arch9wavefront6targetE1EEEvSH_
	.p2align	8
	.type	_ZN7rocprim17ROCPRIM_400000_NS6detail17trampoline_kernelINS0_14default_configENS1_38merge_sort_block_merge_config_selectorIslEEZZNS1_27merge_sort_block_merge_implIS3_PsN6thrust23THRUST_200600_302600_NS10device_ptrIlEEjNS1_19radix_merge_compareILb0ELb0EsNS0_19identity_decomposerEEEEE10hipError_tT0_T1_T2_jT3_P12ihipStream_tbPNSt15iterator_traitsISG_E10value_typeEPNSM_ISH_E10value_typeEPSI_NS1_7vsmem_tEENKUlT_SG_SH_SI_E_clIS7_S7_PlSB_EESF_SV_SG_SH_SI_EUlSV_E_NS1_11comp_targetILNS1_3genE4ELNS1_11target_archE910ELNS1_3gpuE8ELNS1_3repE0EEENS1_48merge_mergepath_partition_config_static_selectorELNS0_4arch9wavefront6targetE1EEEvSH_,@function
_ZN7rocprim17ROCPRIM_400000_NS6detail17trampoline_kernelINS0_14default_configENS1_38merge_sort_block_merge_config_selectorIslEEZZNS1_27merge_sort_block_merge_implIS3_PsN6thrust23THRUST_200600_302600_NS10device_ptrIlEEjNS1_19radix_merge_compareILb0ELb0EsNS0_19identity_decomposerEEEEE10hipError_tT0_T1_T2_jT3_P12ihipStream_tbPNSt15iterator_traitsISG_E10value_typeEPNSM_ISH_E10value_typeEPSI_NS1_7vsmem_tEENKUlT_SG_SH_SI_E_clIS7_S7_PlSB_EESF_SV_SG_SH_SI_EUlSV_E_NS1_11comp_targetILNS1_3genE4ELNS1_11target_archE910ELNS1_3gpuE8ELNS1_3repE0EEENS1_48merge_mergepath_partition_config_static_selectorELNS0_4arch9wavefront6targetE1EEEvSH_: ; @_ZN7rocprim17ROCPRIM_400000_NS6detail17trampoline_kernelINS0_14default_configENS1_38merge_sort_block_merge_config_selectorIslEEZZNS1_27merge_sort_block_merge_implIS3_PsN6thrust23THRUST_200600_302600_NS10device_ptrIlEEjNS1_19radix_merge_compareILb0ELb0EsNS0_19identity_decomposerEEEEE10hipError_tT0_T1_T2_jT3_P12ihipStream_tbPNSt15iterator_traitsISG_E10value_typeEPNSM_ISH_E10value_typeEPSI_NS1_7vsmem_tEENKUlT_SG_SH_SI_E_clIS7_S7_PlSB_EESF_SV_SG_SH_SI_EUlSV_E_NS1_11comp_targetILNS1_3genE4ELNS1_11target_archE910ELNS1_3gpuE8ELNS1_3repE0EEENS1_48merge_mergepath_partition_config_static_selectorELNS0_4arch9wavefront6targetE1EEEvSH_
; %bb.0:
	.section	.rodata,"a",@progbits
	.p2align	6, 0x0
	.amdhsa_kernel _ZN7rocprim17ROCPRIM_400000_NS6detail17trampoline_kernelINS0_14default_configENS1_38merge_sort_block_merge_config_selectorIslEEZZNS1_27merge_sort_block_merge_implIS3_PsN6thrust23THRUST_200600_302600_NS10device_ptrIlEEjNS1_19radix_merge_compareILb0ELb0EsNS0_19identity_decomposerEEEEE10hipError_tT0_T1_T2_jT3_P12ihipStream_tbPNSt15iterator_traitsISG_E10value_typeEPNSM_ISH_E10value_typeEPSI_NS1_7vsmem_tEENKUlT_SG_SH_SI_E_clIS7_S7_PlSB_EESF_SV_SG_SH_SI_EUlSV_E_NS1_11comp_targetILNS1_3genE4ELNS1_11target_archE910ELNS1_3gpuE8ELNS1_3repE0EEENS1_48merge_mergepath_partition_config_static_selectorELNS0_4arch9wavefront6targetE1EEEvSH_
		.amdhsa_group_segment_fixed_size 0
		.amdhsa_private_segment_fixed_size 0
		.amdhsa_kernarg_size 40
		.amdhsa_user_sgpr_count 6
		.amdhsa_user_sgpr_private_segment_buffer 1
		.amdhsa_user_sgpr_dispatch_ptr 0
		.amdhsa_user_sgpr_queue_ptr 0
		.amdhsa_user_sgpr_kernarg_segment_ptr 1
		.amdhsa_user_sgpr_dispatch_id 0
		.amdhsa_user_sgpr_flat_scratch_init 0
		.amdhsa_user_sgpr_private_segment_size 0
		.amdhsa_uses_dynamic_stack 0
		.amdhsa_system_sgpr_private_segment_wavefront_offset 0
		.amdhsa_system_sgpr_workgroup_id_x 1
		.amdhsa_system_sgpr_workgroup_id_y 0
		.amdhsa_system_sgpr_workgroup_id_z 0
		.amdhsa_system_sgpr_workgroup_info 0
		.amdhsa_system_vgpr_workitem_id 0
		.amdhsa_next_free_vgpr 1
		.amdhsa_next_free_sgpr 0
		.amdhsa_reserve_vcc 0
		.amdhsa_reserve_flat_scratch 0
		.amdhsa_float_round_mode_32 0
		.amdhsa_float_round_mode_16_64 0
		.amdhsa_float_denorm_mode_32 3
		.amdhsa_float_denorm_mode_16_64 3
		.amdhsa_dx10_clamp 1
		.amdhsa_ieee_mode 1
		.amdhsa_fp16_overflow 0
		.amdhsa_exception_fp_ieee_invalid_op 0
		.amdhsa_exception_fp_denorm_src 0
		.amdhsa_exception_fp_ieee_div_zero 0
		.amdhsa_exception_fp_ieee_overflow 0
		.amdhsa_exception_fp_ieee_underflow 0
		.amdhsa_exception_fp_ieee_inexact 0
		.amdhsa_exception_int_div_zero 0
	.end_amdhsa_kernel
	.section	.text._ZN7rocprim17ROCPRIM_400000_NS6detail17trampoline_kernelINS0_14default_configENS1_38merge_sort_block_merge_config_selectorIslEEZZNS1_27merge_sort_block_merge_implIS3_PsN6thrust23THRUST_200600_302600_NS10device_ptrIlEEjNS1_19radix_merge_compareILb0ELb0EsNS0_19identity_decomposerEEEEE10hipError_tT0_T1_T2_jT3_P12ihipStream_tbPNSt15iterator_traitsISG_E10value_typeEPNSM_ISH_E10value_typeEPSI_NS1_7vsmem_tEENKUlT_SG_SH_SI_E_clIS7_S7_PlSB_EESF_SV_SG_SH_SI_EUlSV_E_NS1_11comp_targetILNS1_3genE4ELNS1_11target_archE910ELNS1_3gpuE8ELNS1_3repE0EEENS1_48merge_mergepath_partition_config_static_selectorELNS0_4arch9wavefront6targetE1EEEvSH_,"axG",@progbits,_ZN7rocprim17ROCPRIM_400000_NS6detail17trampoline_kernelINS0_14default_configENS1_38merge_sort_block_merge_config_selectorIslEEZZNS1_27merge_sort_block_merge_implIS3_PsN6thrust23THRUST_200600_302600_NS10device_ptrIlEEjNS1_19radix_merge_compareILb0ELb0EsNS0_19identity_decomposerEEEEE10hipError_tT0_T1_T2_jT3_P12ihipStream_tbPNSt15iterator_traitsISG_E10value_typeEPNSM_ISH_E10value_typeEPSI_NS1_7vsmem_tEENKUlT_SG_SH_SI_E_clIS7_S7_PlSB_EESF_SV_SG_SH_SI_EUlSV_E_NS1_11comp_targetILNS1_3genE4ELNS1_11target_archE910ELNS1_3gpuE8ELNS1_3repE0EEENS1_48merge_mergepath_partition_config_static_selectorELNS0_4arch9wavefront6targetE1EEEvSH_,comdat
.Lfunc_end1279:
	.size	_ZN7rocprim17ROCPRIM_400000_NS6detail17trampoline_kernelINS0_14default_configENS1_38merge_sort_block_merge_config_selectorIslEEZZNS1_27merge_sort_block_merge_implIS3_PsN6thrust23THRUST_200600_302600_NS10device_ptrIlEEjNS1_19radix_merge_compareILb0ELb0EsNS0_19identity_decomposerEEEEE10hipError_tT0_T1_T2_jT3_P12ihipStream_tbPNSt15iterator_traitsISG_E10value_typeEPNSM_ISH_E10value_typeEPSI_NS1_7vsmem_tEENKUlT_SG_SH_SI_E_clIS7_S7_PlSB_EESF_SV_SG_SH_SI_EUlSV_E_NS1_11comp_targetILNS1_3genE4ELNS1_11target_archE910ELNS1_3gpuE8ELNS1_3repE0EEENS1_48merge_mergepath_partition_config_static_selectorELNS0_4arch9wavefront6targetE1EEEvSH_, .Lfunc_end1279-_ZN7rocprim17ROCPRIM_400000_NS6detail17trampoline_kernelINS0_14default_configENS1_38merge_sort_block_merge_config_selectorIslEEZZNS1_27merge_sort_block_merge_implIS3_PsN6thrust23THRUST_200600_302600_NS10device_ptrIlEEjNS1_19radix_merge_compareILb0ELb0EsNS0_19identity_decomposerEEEEE10hipError_tT0_T1_T2_jT3_P12ihipStream_tbPNSt15iterator_traitsISG_E10value_typeEPNSM_ISH_E10value_typeEPSI_NS1_7vsmem_tEENKUlT_SG_SH_SI_E_clIS7_S7_PlSB_EESF_SV_SG_SH_SI_EUlSV_E_NS1_11comp_targetILNS1_3genE4ELNS1_11target_archE910ELNS1_3gpuE8ELNS1_3repE0EEENS1_48merge_mergepath_partition_config_static_selectorELNS0_4arch9wavefront6targetE1EEEvSH_
                                        ; -- End function
	.set _ZN7rocprim17ROCPRIM_400000_NS6detail17trampoline_kernelINS0_14default_configENS1_38merge_sort_block_merge_config_selectorIslEEZZNS1_27merge_sort_block_merge_implIS3_PsN6thrust23THRUST_200600_302600_NS10device_ptrIlEEjNS1_19radix_merge_compareILb0ELb0EsNS0_19identity_decomposerEEEEE10hipError_tT0_T1_T2_jT3_P12ihipStream_tbPNSt15iterator_traitsISG_E10value_typeEPNSM_ISH_E10value_typeEPSI_NS1_7vsmem_tEENKUlT_SG_SH_SI_E_clIS7_S7_PlSB_EESF_SV_SG_SH_SI_EUlSV_E_NS1_11comp_targetILNS1_3genE4ELNS1_11target_archE910ELNS1_3gpuE8ELNS1_3repE0EEENS1_48merge_mergepath_partition_config_static_selectorELNS0_4arch9wavefront6targetE1EEEvSH_.num_vgpr, 0
	.set _ZN7rocprim17ROCPRIM_400000_NS6detail17trampoline_kernelINS0_14default_configENS1_38merge_sort_block_merge_config_selectorIslEEZZNS1_27merge_sort_block_merge_implIS3_PsN6thrust23THRUST_200600_302600_NS10device_ptrIlEEjNS1_19radix_merge_compareILb0ELb0EsNS0_19identity_decomposerEEEEE10hipError_tT0_T1_T2_jT3_P12ihipStream_tbPNSt15iterator_traitsISG_E10value_typeEPNSM_ISH_E10value_typeEPSI_NS1_7vsmem_tEENKUlT_SG_SH_SI_E_clIS7_S7_PlSB_EESF_SV_SG_SH_SI_EUlSV_E_NS1_11comp_targetILNS1_3genE4ELNS1_11target_archE910ELNS1_3gpuE8ELNS1_3repE0EEENS1_48merge_mergepath_partition_config_static_selectorELNS0_4arch9wavefront6targetE1EEEvSH_.num_agpr, 0
	.set _ZN7rocprim17ROCPRIM_400000_NS6detail17trampoline_kernelINS0_14default_configENS1_38merge_sort_block_merge_config_selectorIslEEZZNS1_27merge_sort_block_merge_implIS3_PsN6thrust23THRUST_200600_302600_NS10device_ptrIlEEjNS1_19radix_merge_compareILb0ELb0EsNS0_19identity_decomposerEEEEE10hipError_tT0_T1_T2_jT3_P12ihipStream_tbPNSt15iterator_traitsISG_E10value_typeEPNSM_ISH_E10value_typeEPSI_NS1_7vsmem_tEENKUlT_SG_SH_SI_E_clIS7_S7_PlSB_EESF_SV_SG_SH_SI_EUlSV_E_NS1_11comp_targetILNS1_3genE4ELNS1_11target_archE910ELNS1_3gpuE8ELNS1_3repE0EEENS1_48merge_mergepath_partition_config_static_selectorELNS0_4arch9wavefront6targetE1EEEvSH_.numbered_sgpr, 0
	.set _ZN7rocprim17ROCPRIM_400000_NS6detail17trampoline_kernelINS0_14default_configENS1_38merge_sort_block_merge_config_selectorIslEEZZNS1_27merge_sort_block_merge_implIS3_PsN6thrust23THRUST_200600_302600_NS10device_ptrIlEEjNS1_19radix_merge_compareILb0ELb0EsNS0_19identity_decomposerEEEEE10hipError_tT0_T1_T2_jT3_P12ihipStream_tbPNSt15iterator_traitsISG_E10value_typeEPNSM_ISH_E10value_typeEPSI_NS1_7vsmem_tEENKUlT_SG_SH_SI_E_clIS7_S7_PlSB_EESF_SV_SG_SH_SI_EUlSV_E_NS1_11comp_targetILNS1_3genE4ELNS1_11target_archE910ELNS1_3gpuE8ELNS1_3repE0EEENS1_48merge_mergepath_partition_config_static_selectorELNS0_4arch9wavefront6targetE1EEEvSH_.num_named_barrier, 0
	.set _ZN7rocprim17ROCPRIM_400000_NS6detail17trampoline_kernelINS0_14default_configENS1_38merge_sort_block_merge_config_selectorIslEEZZNS1_27merge_sort_block_merge_implIS3_PsN6thrust23THRUST_200600_302600_NS10device_ptrIlEEjNS1_19radix_merge_compareILb0ELb0EsNS0_19identity_decomposerEEEEE10hipError_tT0_T1_T2_jT3_P12ihipStream_tbPNSt15iterator_traitsISG_E10value_typeEPNSM_ISH_E10value_typeEPSI_NS1_7vsmem_tEENKUlT_SG_SH_SI_E_clIS7_S7_PlSB_EESF_SV_SG_SH_SI_EUlSV_E_NS1_11comp_targetILNS1_3genE4ELNS1_11target_archE910ELNS1_3gpuE8ELNS1_3repE0EEENS1_48merge_mergepath_partition_config_static_selectorELNS0_4arch9wavefront6targetE1EEEvSH_.private_seg_size, 0
	.set _ZN7rocprim17ROCPRIM_400000_NS6detail17trampoline_kernelINS0_14default_configENS1_38merge_sort_block_merge_config_selectorIslEEZZNS1_27merge_sort_block_merge_implIS3_PsN6thrust23THRUST_200600_302600_NS10device_ptrIlEEjNS1_19radix_merge_compareILb0ELb0EsNS0_19identity_decomposerEEEEE10hipError_tT0_T1_T2_jT3_P12ihipStream_tbPNSt15iterator_traitsISG_E10value_typeEPNSM_ISH_E10value_typeEPSI_NS1_7vsmem_tEENKUlT_SG_SH_SI_E_clIS7_S7_PlSB_EESF_SV_SG_SH_SI_EUlSV_E_NS1_11comp_targetILNS1_3genE4ELNS1_11target_archE910ELNS1_3gpuE8ELNS1_3repE0EEENS1_48merge_mergepath_partition_config_static_selectorELNS0_4arch9wavefront6targetE1EEEvSH_.uses_vcc, 0
	.set _ZN7rocprim17ROCPRIM_400000_NS6detail17trampoline_kernelINS0_14default_configENS1_38merge_sort_block_merge_config_selectorIslEEZZNS1_27merge_sort_block_merge_implIS3_PsN6thrust23THRUST_200600_302600_NS10device_ptrIlEEjNS1_19radix_merge_compareILb0ELb0EsNS0_19identity_decomposerEEEEE10hipError_tT0_T1_T2_jT3_P12ihipStream_tbPNSt15iterator_traitsISG_E10value_typeEPNSM_ISH_E10value_typeEPSI_NS1_7vsmem_tEENKUlT_SG_SH_SI_E_clIS7_S7_PlSB_EESF_SV_SG_SH_SI_EUlSV_E_NS1_11comp_targetILNS1_3genE4ELNS1_11target_archE910ELNS1_3gpuE8ELNS1_3repE0EEENS1_48merge_mergepath_partition_config_static_selectorELNS0_4arch9wavefront6targetE1EEEvSH_.uses_flat_scratch, 0
	.set _ZN7rocprim17ROCPRIM_400000_NS6detail17trampoline_kernelINS0_14default_configENS1_38merge_sort_block_merge_config_selectorIslEEZZNS1_27merge_sort_block_merge_implIS3_PsN6thrust23THRUST_200600_302600_NS10device_ptrIlEEjNS1_19radix_merge_compareILb0ELb0EsNS0_19identity_decomposerEEEEE10hipError_tT0_T1_T2_jT3_P12ihipStream_tbPNSt15iterator_traitsISG_E10value_typeEPNSM_ISH_E10value_typeEPSI_NS1_7vsmem_tEENKUlT_SG_SH_SI_E_clIS7_S7_PlSB_EESF_SV_SG_SH_SI_EUlSV_E_NS1_11comp_targetILNS1_3genE4ELNS1_11target_archE910ELNS1_3gpuE8ELNS1_3repE0EEENS1_48merge_mergepath_partition_config_static_selectorELNS0_4arch9wavefront6targetE1EEEvSH_.has_dyn_sized_stack, 0
	.set _ZN7rocprim17ROCPRIM_400000_NS6detail17trampoline_kernelINS0_14default_configENS1_38merge_sort_block_merge_config_selectorIslEEZZNS1_27merge_sort_block_merge_implIS3_PsN6thrust23THRUST_200600_302600_NS10device_ptrIlEEjNS1_19radix_merge_compareILb0ELb0EsNS0_19identity_decomposerEEEEE10hipError_tT0_T1_T2_jT3_P12ihipStream_tbPNSt15iterator_traitsISG_E10value_typeEPNSM_ISH_E10value_typeEPSI_NS1_7vsmem_tEENKUlT_SG_SH_SI_E_clIS7_S7_PlSB_EESF_SV_SG_SH_SI_EUlSV_E_NS1_11comp_targetILNS1_3genE4ELNS1_11target_archE910ELNS1_3gpuE8ELNS1_3repE0EEENS1_48merge_mergepath_partition_config_static_selectorELNS0_4arch9wavefront6targetE1EEEvSH_.has_recursion, 0
	.set _ZN7rocprim17ROCPRIM_400000_NS6detail17trampoline_kernelINS0_14default_configENS1_38merge_sort_block_merge_config_selectorIslEEZZNS1_27merge_sort_block_merge_implIS3_PsN6thrust23THRUST_200600_302600_NS10device_ptrIlEEjNS1_19radix_merge_compareILb0ELb0EsNS0_19identity_decomposerEEEEE10hipError_tT0_T1_T2_jT3_P12ihipStream_tbPNSt15iterator_traitsISG_E10value_typeEPNSM_ISH_E10value_typeEPSI_NS1_7vsmem_tEENKUlT_SG_SH_SI_E_clIS7_S7_PlSB_EESF_SV_SG_SH_SI_EUlSV_E_NS1_11comp_targetILNS1_3genE4ELNS1_11target_archE910ELNS1_3gpuE8ELNS1_3repE0EEENS1_48merge_mergepath_partition_config_static_selectorELNS0_4arch9wavefront6targetE1EEEvSH_.has_indirect_call, 0
	.section	.AMDGPU.csdata,"",@progbits
; Kernel info:
; codeLenInByte = 0
; TotalNumSgprs: 4
; NumVgprs: 0
; ScratchSize: 0
; MemoryBound: 0
; FloatMode: 240
; IeeeMode: 1
; LDSByteSize: 0 bytes/workgroup (compile time only)
; SGPRBlocks: 0
; VGPRBlocks: 0
; NumSGPRsForWavesPerEU: 4
; NumVGPRsForWavesPerEU: 1
; Occupancy: 10
; WaveLimiterHint : 0
; COMPUTE_PGM_RSRC2:SCRATCH_EN: 0
; COMPUTE_PGM_RSRC2:USER_SGPR: 6
; COMPUTE_PGM_RSRC2:TRAP_HANDLER: 0
; COMPUTE_PGM_RSRC2:TGID_X_EN: 1
; COMPUTE_PGM_RSRC2:TGID_Y_EN: 0
; COMPUTE_PGM_RSRC2:TGID_Z_EN: 0
; COMPUTE_PGM_RSRC2:TIDIG_COMP_CNT: 0
	.section	.text._ZN7rocprim17ROCPRIM_400000_NS6detail17trampoline_kernelINS0_14default_configENS1_38merge_sort_block_merge_config_selectorIslEEZZNS1_27merge_sort_block_merge_implIS3_PsN6thrust23THRUST_200600_302600_NS10device_ptrIlEEjNS1_19radix_merge_compareILb0ELb0EsNS0_19identity_decomposerEEEEE10hipError_tT0_T1_T2_jT3_P12ihipStream_tbPNSt15iterator_traitsISG_E10value_typeEPNSM_ISH_E10value_typeEPSI_NS1_7vsmem_tEENKUlT_SG_SH_SI_E_clIS7_S7_PlSB_EESF_SV_SG_SH_SI_EUlSV_E_NS1_11comp_targetILNS1_3genE3ELNS1_11target_archE908ELNS1_3gpuE7ELNS1_3repE0EEENS1_48merge_mergepath_partition_config_static_selectorELNS0_4arch9wavefront6targetE1EEEvSH_,"axG",@progbits,_ZN7rocprim17ROCPRIM_400000_NS6detail17trampoline_kernelINS0_14default_configENS1_38merge_sort_block_merge_config_selectorIslEEZZNS1_27merge_sort_block_merge_implIS3_PsN6thrust23THRUST_200600_302600_NS10device_ptrIlEEjNS1_19radix_merge_compareILb0ELb0EsNS0_19identity_decomposerEEEEE10hipError_tT0_T1_T2_jT3_P12ihipStream_tbPNSt15iterator_traitsISG_E10value_typeEPNSM_ISH_E10value_typeEPSI_NS1_7vsmem_tEENKUlT_SG_SH_SI_E_clIS7_S7_PlSB_EESF_SV_SG_SH_SI_EUlSV_E_NS1_11comp_targetILNS1_3genE3ELNS1_11target_archE908ELNS1_3gpuE7ELNS1_3repE0EEENS1_48merge_mergepath_partition_config_static_selectorELNS0_4arch9wavefront6targetE1EEEvSH_,comdat
	.protected	_ZN7rocprim17ROCPRIM_400000_NS6detail17trampoline_kernelINS0_14default_configENS1_38merge_sort_block_merge_config_selectorIslEEZZNS1_27merge_sort_block_merge_implIS3_PsN6thrust23THRUST_200600_302600_NS10device_ptrIlEEjNS1_19radix_merge_compareILb0ELb0EsNS0_19identity_decomposerEEEEE10hipError_tT0_T1_T2_jT3_P12ihipStream_tbPNSt15iterator_traitsISG_E10value_typeEPNSM_ISH_E10value_typeEPSI_NS1_7vsmem_tEENKUlT_SG_SH_SI_E_clIS7_S7_PlSB_EESF_SV_SG_SH_SI_EUlSV_E_NS1_11comp_targetILNS1_3genE3ELNS1_11target_archE908ELNS1_3gpuE7ELNS1_3repE0EEENS1_48merge_mergepath_partition_config_static_selectorELNS0_4arch9wavefront6targetE1EEEvSH_ ; -- Begin function _ZN7rocprim17ROCPRIM_400000_NS6detail17trampoline_kernelINS0_14default_configENS1_38merge_sort_block_merge_config_selectorIslEEZZNS1_27merge_sort_block_merge_implIS3_PsN6thrust23THRUST_200600_302600_NS10device_ptrIlEEjNS1_19radix_merge_compareILb0ELb0EsNS0_19identity_decomposerEEEEE10hipError_tT0_T1_T2_jT3_P12ihipStream_tbPNSt15iterator_traitsISG_E10value_typeEPNSM_ISH_E10value_typeEPSI_NS1_7vsmem_tEENKUlT_SG_SH_SI_E_clIS7_S7_PlSB_EESF_SV_SG_SH_SI_EUlSV_E_NS1_11comp_targetILNS1_3genE3ELNS1_11target_archE908ELNS1_3gpuE7ELNS1_3repE0EEENS1_48merge_mergepath_partition_config_static_selectorELNS0_4arch9wavefront6targetE1EEEvSH_
	.globl	_ZN7rocprim17ROCPRIM_400000_NS6detail17trampoline_kernelINS0_14default_configENS1_38merge_sort_block_merge_config_selectorIslEEZZNS1_27merge_sort_block_merge_implIS3_PsN6thrust23THRUST_200600_302600_NS10device_ptrIlEEjNS1_19radix_merge_compareILb0ELb0EsNS0_19identity_decomposerEEEEE10hipError_tT0_T1_T2_jT3_P12ihipStream_tbPNSt15iterator_traitsISG_E10value_typeEPNSM_ISH_E10value_typeEPSI_NS1_7vsmem_tEENKUlT_SG_SH_SI_E_clIS7_S7_PlSB_EESF_SV_SG_SH_SI_EUlSV_E_NS1_11comp_targetILNS1_3genE3ELNS1_11target_archE908ELNS1_3gpuE7ELNS1_3repE0EEENS1_48merge_mergepath_partition_config_static_selectorELNS0_4arch9wavefront6targetE1EEEvSH_
	.p2align	8
	.type	_ZN7rocprim17ROCPRIM_400000_NS6detail17trampoline_kernelINS0_14default_configENS1_38merge_sort_block_merge_config_selectorIslEEZZNS1_27merge_sort_block_merge_implIS3_PsN6thrust23THRUST_200600_302600_NS10device_ptrIlEEjNS1_19radix_merge_compareILb0ELb0EsNS0_19identity_decomposerEEEEE10hipError_tT0_T1_T2_jT3_P12ihipStream_tbPNSt15iterator_traitsISG_E10value_typeEPNSM_ISH_E10value_typeEPSI_NS1_7vsmem_tEENKUlT_SG_SH_SI_E_clIS7_S7_PlSB_EESF_SV_SG_SH_SI_EUlSV_E_NS1_11comp_targetILNS1_3genE3ELNS1_11target_archE908ELNS1_3gpuE7ELNS1_3repE0EEENS1_48merge_mergepath_partition_config_static_selectorELNS0_4arch9wavefront6targetE1EEEvSH_,@function
_ZN7rocprim17ROCPRIM_400000_NS6detail17trampoline_kernelINS0_14default_configENS1_38merge_sort_block_merge_config_selectorIslEEZZNS1_27merge_sort_block_merge_implIS3_PsN6thrust23THRUST_200600_302600_NS10device_ptrIlEEjNS1_19radix_merge_compareILb0ELb0EsNS0_19identity_decomposerEEEEE10hipError_tT0_T1_T2_jT3_P12ihipStream_tbPNSt15iterator_traitsISG_E10value_typeEPNSM_ISH_E10value_typeEPSI_NS1_7vsmem_tEENKUlT_SG_SH_SI_E_clIS7_S7_PlSB_EESF_SV_SG_SH_SI_EUlSV_E_NS1_11comp_targetILNS1_3genE3ELNS1_11target_archE908ELNS1_3gpuE7ELNS1_3repE0EEENS1_48merge_mergepath_partition_config_static_selectorELNS0_4arch9wavefront6targetE1EEEvSH_: ; @_ZN7rocprim17ROCPRIM_400000_NS6detail17trampoline_kernelINS0_14default_configENS1_38merge_sort_block_merge_config_selectorIslEEZZNS1_27merge_sort_block_merge_implIS3_PsN6thrust23THRUST_200600_302600_NS10device_ptrIlEEjNS1_19radix_merge_compareILb0ELb0EsNS0_19identity_decomposerEEEEE10hipError_tT0_T1_T2_jT3_P12ihipStream_tbPNSt15iterator_traitsISG_E10value_typeEPNSM_ISH_E10value_typeEPSI_NS1_7vsmem_tEENKUlT_SG_SH_SI_E_clIS7_S7_PlSB_EESF_SV_SG_SH_SI_EUlSV_E_NS1_11comp_targetILNS1_3genE3ELNS1_11target_archE908ELNS1_3gpuE7ELNS1_3repE0EEENS1_48merge_mergepath_partition_config_static_selectorELNS0_4arch9wavefront6targetE1EEEvSH_
; %bb.0:
	.section	.rodata,"a",@progbits
	.p2align	6, 0x0
	.amdhsa_kernel _ZN7rocprim17ROCPRIM_400000_NS6detail17trampoline_kernelINS0_14default_configENS1_38merge_sort_block_merge_config_selectorIslEEZZNS1_27merge_sort_block_merge_implIS3_PsN6thrust23THRUST_200600_302600_NS10device_ptrIlEEjNS1_19radix_merge_compareILb0ELb0EsNS0_19identity_decomposerEEEEE10hipError_tT0_T1_T2_jT3_P12ihipStream_tbPNSt15iterator_traitsISG_E10value_typeEPNSM_ISH_E10value_typeEPSI_NS1_7vsmem_tEENKUlT_SG_SH_SI_E_clIS7_S7_PlSB_EESF_SV_SG_SH_SI_EUlSV_E_NS1_11comp_targetILNS1_3genE3ELNS1_11target_archE908ELNS1_3gpuE7ELNS1_3repE0EEENS1_48merge_mergepath_partition_config_static_selectorELNS0_4arch9wavefront6targetE1EEEvSH_
		.amdhsa_group_segment_fixed_size 0
		.amdhsa_private_segment_fixed_size 0
		.amdhsa_kernarg_size 40
		.amdhsa_user_sgpr_count 6
		.amdhsa_user_sgpr_private_segment_buffer 1
		.amdhsa_user_sgpr_dispatch_ptr 0
		.amdhsa_user_sgpr_queue_ptr 0
		.amdhsa_user_sgpr_kernarg_segment_ptr 1
		.amdhsa_user_sgpr_dispatch_id 0
		.amdhsa_user_sgpr_flat_scratch_init 0
		.amdhsa_user_sgpr_private_segment_size 0
		.amdhsa_uses_dynamic_stack 0
		.amdhsa_system_sgpr_private_segment_wavefront_offset 0
		.amdhsa_system_sgpr_workgroup_id_x 1
		.amdhsa_system_sgpr_workgroup_id_y 0
		.amdhsa_system_sgpr_workgroup_id_z 0
		.amdhsa_system_sgpr_workgroup_info 0
		.amdhsa_system_vgpr_workitem_id 0
		.amdhsa_next_free_vgpr 1
		.amdhsa_next_free_sgpr 0
		.amdhsa_reserve_vcc 0
		.amdhsa_reserve_flat_scratch 0
		.amdhsa_float_round_mode_32 0
		.amdhsa_float_round_mode_16_64 0
		.amdhsa_float_denorm_mode_32 3
		.amdhsa_float_denorm_mode_16_64 3
		.amdhsa_dx10_clamp 1
		.amdhsa_ieee_mode 1
		.amdhsa_fp16_overflow 0
		.amdhsa_exception_fp_ieee_invalid_op 0
		.amdhsa_exception_fp_denorm_src 0
		.amdhsa_exception_fp_ieee_div_zero 0
		.amdhsa_exception_fp_ieee_overflow 0
		.amdhsa_exception_fp_ieee_underflow 0
		.amdhsa_exception_fp_ieee_inexact 0
		.amdhsa_exception_int_div_zero 0
	.end_amdhsa_kernel
	.section	.text._ZN7rocprim17ROCPRIM_400000_NS6detail17trampoline_kernelINS0_14default_configENS1_38merge_sort_block_merge_config_selectorIslEEZZNS1_27merge_sort_block_merge_implIS3_PsN6thrust23THRUST_200600_302600_NS10device_ptrIlEEjNS1_19radix_merge_compareILb0ELb0EsNS0_19identity_decomposerEEEEE10hipError_tT0_T1_T2_jT3_P12ihipStream_tbPNSt15iterator_traitsISG_E10value_typeEPNSM_ISH_E10value_typeEPSI_NS1_7vsmem_tEENKUlT_SG_SH_SI_E_clIS7_S7_PlSB_EESF_SV_SG_SH_SI_EUlSV_E_NS1_11comp_targetILNS1_3genE3ELNS1_11target_archE908ELNS1_3gpuE7ELNS1_3repE0EEENS1_48merge_mergepath_partition_config_static_selectorELNS0_4arch9wavefront6targetE1EEEvSH_,"axG",@progbits,_ZN7rocprim17ROCPRIM_400000_NS6detail17trampoline_kernelINS0_14default_configENS1_38merge_sort_block_merge_config_selectorIslEEZZNS1_27merge_sort_block_merge_implIS3_PsN6thrust23THRUST_200600_302600_NS10device_ptrIlEEjNS1_19radix_merge_compareILb0ELb0EsNS0_19identity_decomposerEEEEE10hipError_tT0_T1_T2_jT3_P12ihipStream_tbPNSt15iterator_traitsISG_E10value_typeEPNSM_ISH_E10value_typeEPSI_NS1_7vsmem_tEENKUlT_SG_SH_SI_E_clIS7_S7_PlSB_EESF_SV_SG_SH_SI_EUlSV_E_NS1_11comp_targetILNS1_3genE3ELNS1_11target_archE908ELNS1_3gpuE7ELNS1_3repE0EEENS1_48merge_mergepath_partition_config_static_selectorELNS0_4arch9wavefront6targetE1EEEvSH_,comdat
.Lfunc_end1280:
	.size	_ZN7rocprim17ROCPRIM_400000_NS6detail17trampoline_kernelINS0_14default_configENS1_38merge_sort_block_merge_config_selectorIslEEZZNS1_27merge_sort_block_merge_implIS3_PsN6thrust23THRUST_200600_302600_NS10device_ptrIlEEjNS1_19radix_merge_compareILb0ELb0EsNS0_19identity_decomposerEEEEE10hipError_tT0_T1_T2_jT3_P12ihipStream_tbPNSt15iterator_traitsISG_E10value_typeEPNSM_ISH_E10value_typeEPSI_NS1_7vsmem_tEENKUlT_SG_SH_SI_E_clIS7_S7_PlSB_EESF_SV_SG_SH_SI_EUlSV_E_NS1_11comp_targetILNS1_3genE3ELNS1_11target_archE908ELNS1_3gpuE7ELNS1_3repE0EEENS1_48merge_mergepath_partition_config_static_selectorELNS0_4arch9wavefront6targetE1EEEvSH_, .Lfunc_end1280-_ZN7rocprim17ROCPRIM_400000_NS6detail17trampoline_kernelINS0_14default_configENS1_38merge_sort_block_merge_config_selectorIslEEZZNS1_27merge_sort_block_merge_implIS3_PsN6thrust23THRUST_200600_302600_NS10device_ptrIlEEjNS1_19radix_merge_compareILb0ELb0EsNS0_19identity_decomposerEEEEE10hipError_tT0_T1_T2_jT3_P12ihipStream_tbPNSt15iterator_traitsISG_E10value_typeEPNSM_ISH_E10value_typeEPSI_NS1_7vsmem_tEENKUlT_SG_SH_SI_E_clIS7_S7_PlSB_EESF_SV_SG_SH_SI_EUlSV_E_NS1_11comp_targetILNS1_3genE3ELNS1_11target_archE908ELNS1_3gpuE7ELNS1_3repE0EEENS1_48merge_mergepath_partition_config_static_selectorELNS0_4arch9wavefront6targetE1EEEvSH_
                                        ; -- End function
	.set _ZN7rocprim17ROCPRIM_400000_NS6detail17trampoline_kernelINS0_14default_configENS1_38merge_sort_block_merge_config_selectorIslEEZZNS1_27merge_sort_block_merge_implIS3_PsN6thrust23THRUST_200600_302600_NS10device_ptrIlEEjNS1_19radix_merge_compareILb0ELb0EsNS0_19identity_decomposerEEEEE10hipError_tT0_T1_T2_jT3_P12ihipStream_tbPNSt15iterator_traitsISG_E10value_typeEPNSM_ISH_E10value_typeEPSI_NS1_7vsmem_tEENKUlT_SG_SH_SI_E_clIS7_S7_PlSB_EESF_SV_SG_SH_SI_EUlSV_E_NS1_11comp_targetILNS1_3genE3ELNS1_11target_archE908ELNS1_3gpuE7ELNS1_3repE0EEENS1_48merge_mergepath_partition_config_static_selectorELNS0_4arch9wavefront6targetE1EEEvSH_.num_vgpr, 0
	.set _ZN7rocprim17ROCPRIM_400000_NS6detail17trampoline_kernelINS0_14default_configENS1_38merge_sort_block_merge_config_selectorIslEEZZNS1_27merge_sort_block_merge_implIS3_PsN6thrust23THRUST_200600_302600_NS10device_ptrIlEEjNS1_19radix_merge_compareILb0ELb0EsNS0_19identity_decomposerEEEEE10hipError_tT0_T1_T2_jT3_P12ihipStream_tbPNSt15iterator_traitsISG_E10value_typeEPNSM_ISH_E10value_typeEPSI_NS1_7vsmem_tEENKUlT_SG_SH_SI_E_clIS7_S7_PlSB_EESF_SV_SG_SH_SI_EUlSV_E_NS1_11comp_targetILNS1_3genE3ELNS1_11target_archE908ELNS1_3gpuE7ELNS1_3repE0EEENS1_48merge_mergepath_partition_config_static_selectorELNS0_4arch9wavefront6targetE1EEEvSH_.num_agpr, 0
	.set _ZN7rocprim17ROCPRIM_400000_NS6detail17trampoline_kernelINS0_14default_configENS1_38merge_sort_block_merge_config_selectorIslEEZZNS1_27merge_sort_block_merge_implIS3_PsN6thrust23THRUST_200600_302600_NS10device_ptrIlEEjNS1_19radix_merge_compareILb0ELb0EsNS0_19identity_decomposerEEEEE10hipError_tT0_T1_T2_jT3_P12ihipStream_tbPNSt15iterator_traitsISG_E10value_typeEPNSM_ISH_E10value_typeEPSI_NS1_7vsmem_tEENKUlT_SG_SH_SI_E_clIS7_S7_PlSB_EESF_SV_SG_SH_SI_EUlSV_E_NS1_11comp_targetILNS1_3genE3ELNS1_11target_archE908ELNS1_3gpuE7ELNS1_3repE0EEENS1_48merge_mergepath_partition_config_static_selectorELNS0_4arch9wavefront6targetE1EEEvSH_.numbered_sgpr, 0
	.set _ZN7rocprim17ROCPRIM_400000_NS6detail17trampoline_kernelINS0_14default_configENS1_38merge_sort_block_merge_config_selectorIslEEZZNS1_27merge_sort_block_merge_implIS3_PsN6thrust23THRUST_200600_302600_NS10device_ptrIlEEjNS1_19radix_merge_compareILb0ELb0EsNS0_19identity_decomposerEEEEE10hipError_tT0_T1_T2_jT3_P12ihipStream_tbPNSt15iterator_traitsISG_E10value_typeEPNSM_ISH_E10value_typeEPSI_NS1_7vsmem_tEENKUlT_SG_SH_SI_E_clIS7_S7_PlSB_EESF_SV_SG_SH_SI_EUlSV_E_NS1_11comp_targetILNS1_3genE3ELNS1_11target_archE908ELNS1_3gpuE7ELNS1_3repE0EEENS1_48merge_mergepath_partition_config_static_selectorELNS0_4arch9wavefront6targetE1EEEvSH_.num_named_barrier, 0
	.set _ZN7rocprim17ROCPRIM_400000_NS6detail17trampoline_kernelINS0_14default_configENS1_38merge_sort_block_merge_config_selectorIslEEZZNS1_27merge_sort_block_merge_implIS3_PsN6thrust23THRUST_200600_302600_NS10device_ptrIlEEjNS1_19radix_merge_compareILb0ELb0EsNS0_19identity_decomposerEEEEE10hipError_tT0_T1_T2_jT3_P12ihipStream_tbPNSt15iterator_traitsISG_E10value_typeEPNSM_ISH_E10value_typeEPSI_NS1_7vsmem_tEENKUlT_SG_SH_SI_E_clIS7_S7_PlSB_EESF_SV_SG_SH_SI_EUlSV_E_NS1_11comp_targetILNS1_3genE3ELNS1_11target_archE908ELNS1_3gpuE7ELNS1_3repE0EEENS1_48merge_mergepath_partition_config_static_selectorELNS0_4arch9wavefront6targetE1EEEvSH_.private_seg_size, 0
	.set _ZN7rocprim17ROCPRIM_400000_NS6detail17trampoline_kernelINS0_14default_configENS1_38merge_sort_block_merge_config_selectorIslEEZZNS1_27merge_sort_block_merge_implIS3_PsN6thrust23THRUST_200600_302600_NS10device_ptrIlEEjNS1_19radix_merge_compareILb0ELb0EsNS0_19identity_decomposerEEEEE10hipError_tT0_T1_T2_jT3_P12ihipStream_tbPNSt15iterator_traitsISG_E10value_typeEPNSM_ISH_E10value_typeEPSI_NS1_7vsmem_tEENKUlT_SG_SH_SI_E_clIS7_S7_PlSB_EESF_SV_SG_SH_SI_EUlSV_E_NS1_11comp_targetILNS1_3genE3ELNS1_11target_archE908ELNS1_3gpuE7ELNS1_3repE0EEENS1_48merge_mergepath_partition_config_static_selectorELNS0_4arch9wavefront6targetE1EEEvSH_.uses_vcc, 0
	.set _ZN7rocprim17ROCPRIM_400000_NS6detail17trampoline_kernelINS0_14default_configENS1_38merge_sort_block_merge_config_selectorIslEEZZNS1_27merge_sort_block_merge_implIS3_PsN6thrust23THRUST_200600_302600_NS10device_ptrIlEEjNS1_19radix_merge_compareILb0ELb0EsNS0_19identity_decomposerEEEEE10hipError_tT0_T1_T2_jT3_P12ihipStream_tbPNSt15iterator_traitsISG_E10value_typeEPNSM_ISH_E10value_typeEPSI_NS1_7vsmem_tEENKUlT_SG_SH_SI_E_clIS7_S7_PlSB_EESF_SV_SG_SH_SI_EUlSV_E_NS1_11comp_targetILNS1_3genE3ELNS1_11target_archE908ELNS1_3gpuE7ELNS1_3repE0EEENS1_48merge_mergepath_partition_config_static_selectorELNS0_4arch9wavefront6targetE1EEEvSH_.uses_flat_scratch, 0
	.set _ZN7rocprim17ROCPRIM_400000_NS6detail17trampoline_kernelINS0_14default_configENS1_38merge_sort_block_merge_config_selectorIslEEZZNS1_27merge_sort_block_merge_implIS3_PsN6thrust23THRUST_200600_302600_NS10device_ptrIlEEjNS1_19radix_merge_compareILb0ELb0EsNS0_19identity_decomposerEEEEE10hipError_tT0_T1_T2_jT3_P12ihipStream_tbPNSt15iterator_traitsISG_E10value_typeEPNSM_ISH_E10value_typeEPSI_NS1_7vsmem_tEENKUlT_SG_SH_SI_E_clIS7_S7_PlSB_EESF_SV_SG_SH_SI_EUlSV_E_NS1_11comp_targetILNS1_3genE3ELNS1_11target_archE908ELNS1_3gpuE7ELNS1_3repE0EEENS1_48merge_mergepath_partition_config_static_selectorELNS0_4arch9wavefront6targetE1EEEvSH_.has_dyn_sized_stack, 0
	.set _ZN7rocprim17ROCPRIM_400000_NS6detail17trampoline_kernelINS0_14default_configENS1_38merge_sort_block_merge_config_selectorIslEEZZNS1_27merge_sort_block_merge_implIS3_PsN6thrust23THRUST_200600_302600_NS10device_ptrIlEEjNS1_19radix_merge_compareILb0ELb0EsNS0_19identity_decomposerEEEEE10hipError_tT0_T1_T2_jT3_P12ihipStream_tbPNSt15iterator_traitsISG_E10value_typeEPNSM_ISH_E10value_typeEPSI_NS1_7vsmem_tEENKUlT_SG_SH_SI_E_clIS7_S7_PlSB_EESF_SV_SG_SH_SI_EUlSV_E_NS1_11comp_targetILNS1_3genE3ELNS1_11target_archE908ELNS1_3gpuE7ELNS1_3repE0EEENS1_48merge_mergepath_partition_config_static_selectorELNS0_4arch9wavefront6targetE1EEEvSH_.has_recursion, 0
	.set _ZN7rocprim17ROCPRIM_400000_NS6detail17trampoline_kernelINS0_14default_configENS1_38merge_sort_block_merge_config_selectorIslEEZZNS1_27merge_sort_block_merge_implIS3_PsN6thrust23THRUST_200600_302600_NS10device_ptrIlEEjNS1_19radix_merge_compareILb0ELb0EsNS0_19identity_decomposerEEEEE10hipError_tT0_T1_T2_jT3_P12ihipStream_tbPNSt15iterator_traitsISG_E10value_typeEPNSM_ISH_E10value_typeEPSI_NS1_7vsmem_tEENKUlT_SG_SH_SI_E_clIS7_S7_PlSB_EESF_SV_SG_SH_SI_EUlSV_E_NS1_11comp_targetILNS1_3genE3ELNS1_11target_archE908ELNS1_3gpuE7ELNS1_3repE0EEENS1_48merge_mergepath_partition_config_static_selectorELNS0_4arch9wavefront6targetE1EEEvSH_.has_indirect_call, 0
	.section	.AMDGPU.csdata,"",@progbits
; Kernel info:
; codeLenInByte = 0
; TotalNumSgprs: 4
; NumVgprs: 0
; ScratchSize: 0
; MemoryBound: 0
; FloatMode: 240
; IeeeMode: 1
; LDSByteSize: 0 bytes/workgroup (compile time only)
; SGPRBlocks: 0
; VGPRBlocks: 0
; NumSGPRsForWavesPerEU: 4
; NumVGPRsForWavesPerEU: 1
; Occupancy: 10
; WaveLimiterHint : 0
; COMPUTE_PGM_RSRC2:SCRATCH_EN: 0
; COMPUTE_PGM_RSRC2:USER_SGPR: 6
; COMPUTE_PGM_RSRC2:TRAP_HANDLER: 0
; COMPUTE_PGM_RSRC2:TGID_X_EN: 1
; COMPUTE_PGM_RSRC2:TGID_Y_EN: 0
; COMPUTE_PGM_RSRC2:TGID_Z_EN: 0
; COMPUTE_PGM_RSRC2:TIDIG_COMP_CNT: 0
	.section	.text._ZN7rocprim17ROCPRIM_400000_NS6detail17trampoline_kernelINS0_14default_configENS1_38merge_sort_block_merge_config_selectorIslEEZZNS1_27merge_sort_block_merge_implIS3_PsN6thrust23THRUST_200600_302600_NS10device_ptrIlEEjNS1_19radix_merge_compareILb0ELb0EsNS0_19identity_decomposerEEEEE10hipError_tT0_T1_T2_jT3_P12ihipStream_tbPNSt15iterator_traitsISG_E10value_typeEPNSM_ISH_E10value_typeEPSI_NS1_7vsmem_tEENKUlT_SG_SH_SI_E_clIS7_S7_PlSB_EESF_SV_SG_SH_SI_EUlSV_E_NS1_11comp_targetILNS1_3genE2ELNS1_11target_archE906ELNS1_3gpuE6ELNS1_3repE0EEENS1_48merge_mergepath_partition_config_static_selectorELNS0_4arch9wavefront6targetE1EEEvSH_,"axG",@progbits,_ZN7rocprim17ROCPRIM_400000_NS6detail17trampoline_kernelINS0_14default_configENS1_38merge_sort_block_merge_config_selectorIslEEZZNS1_27merge_sort_block_merge_implIS3_PsN6thrust23THRUST_200600_302600_NS10device_ptrIlEEjNS1_19radix_merge_compareILb0ELb0EsNS0_19identity_decomposerEEEEE10hipError_tT0_T1_T2_jT3_P12ihipStream_tbPNSt15iterator_traitsISG_E10value_typeEPNSM_ISH_E10value_typeEPSI_NS1_7vsmem_tEENKUlT_SG_SH_SI_E_clIS7_S7_PlSB_EESF_SV_SG_SH_SI_EUlSV_E_NS1_11comp_targetILNS1_3genE2ELNS1_11target_archE906ELNS1_3gpuE6ELNS1_3repE0EEENS1_48merge_mergepath_partition_config_static_selectorELNS0_4arch9wavefront6targetE1EEEvSH_,comdat
	.protected	_ZN7rocprim17ROCPRIM_400000_NS6detail17trampoline_kernelINS0_14default_configENS1_38merge_sort_block_merge_config_selectorIslEEZZNS1_27merge_sort_block_merge_implIS3_PsN6thrust23THRUST_200600_302600_NS10device_ptrIlEEjNS1_19radix_merge_compareILb0ELb0EsNS0_19identity_decomposerEEEEE10hipError_tT0_T1_T2_jT3_P12ihipStream_tbPNSt15iterator_traitsISG_E10value_typeEPNSM_ISH_E10value_typeEPSI_NS1_7vsmem_tEENKUlT_SG_SH_SI_E_clIS7_S7_PlSB_EESF_SV_SG_SH_SI_EUlSV_E_NS1_11comp_targetILNS1_3genE2ELNS1_11target_archE906ELNS1_3gpuE6ELNS1_3repE0EEENS1_48merge_mergepath_partition_config_static_selectorELNS0_4arch9wavefront6targetE1EEEvSH_ ; -- Begin function _ZN7rocprim17ROCPRIM_400000_NS6detail17trampoline_kernelINS0_14default_configENS1_38merge_sort_block_merge_config_selectorIslEEZZNS1_27merge_sort_block_merge_implIS3_PsN6thrust23THRUST_200600_302600_NS10device_ptrIlEEjNS1_19radix_merge_compareILb0ELb0EsNS0_19identity_decomposerEEEEE10hipError_tT0_T1_T2_jT3_P12ihipStream_tbPNSt15iterator_traitsISG_E10value_typeEPNSM_ISH_E10value_typeEPSI_NS1_7vsmem_tEENKUlT_SG_SH_SI_E_clIS7_S7_PlSB_EESF_SV_SG_SH_SI_EUlSV_E_NS1_11comp_targetILNS1_3genE2ELNS1_11target_archE906ELNS1_3gpuE6ELNS1_3repE0EEENS1_48merge_mergepath_partition_config_static_selectorELNS0_4arch9wavefront6targetE1EEEvSH_
	.globl	_ZN7rocprim17ROCPRIM_400000_NS6detail17trampoline_kernelINS0_14default_configENS1_38merge_sort_block_merge_config_selectorIslEEZZNS1_27merge_sort_block_merge_implIS3_PsN6thrust23THRUST_200600_302600_NS10device_ptrIlEEjNS1_19radix_merge_compareILb0ELb0EsNS0_19identity_decomposerEEEEE10hipError_tT0_T1_T2_jT3_P12ihipStream_tbPNSt15iterator_traitsISG_E10value_typeEPNSM_ISH_E10value_typeEPSI_NS1_7vsmem_tEENKUlT_SG_SH_SI_E_clIS7_S7_PlSB_EESF_SV_SG_SH_SI_EUlSV_E_NS1_11comp_targetILNS1_3genE2ELNS1_11target_archE906ELNS1_3gpuE6ELNS1_3repE0EEENS1_48merge_mergepath_partition_config_static_selectorELNS0_4arch9wavefront6targetE1EEEvSH_
	.p2align	8
	.type	_ZN7rocprim17ROCPRIM_400000_NS6detail17trampoline_kernelINS0_14default_configENS1_38merge_sort_block_merge_config_selectorIslEEZZNS1_27merge_sort_block_merge_implIS3_PsN6thrust23THRUST_200600_302600_NS10device_ptrIlEEjNS1_19radix_merge_compareILb0ELb0EsNS0_19identity_decomposerEEEEE10hipError_tT0_T1_T2_jT3_P12ihipStream_tbPNSt15iterator_traitsISG_E10value_typeEPNSM_ISH_E10value_typeEPSI_NS1_7vsmem_tEENKUlT_SG_SH_SI_E_clIS7_S7_PlSB_EESF_SV_SG_SH_SI_EUlSV_E_NS1_11comp_targetILNS1_3genE2ELNS1_11target_archE906ELNS1_3gpuE6ELNS1_3repE0EEENS1_48merge_mergepath_partition_config_static_selectorELNS0_4arch9wavefront6targetE1EEEvSH_,@function
_ZN7rocprim17ROCPRIM_400000_NS6detail17trampoline_kernelINS0_14default_configENS1_38merge_sort_block_merge_config_selectorIslEEZZNS1_27merge_sort_block_merge_implIS3_PsN6thrust23THRUST_200600_302600_NS10device_ptrIlEEjNS1_19radix_merge_compareILb0ELb0EsNS0_19identity_decomposerEEEEE10hipError_tT0_T1_T2_jT3_P12ihipStream_tbPNSt15iterator_traitsISG_E10value_typeEPNSM_ISH_E10value_typeEPSI_NS1_7vsmem_tEENKUlT_SG_SH_SI_E_clIS7_S7_PlSB_EESF_SV_SG_SH_SI_EUlSV_E_NS1_11comp_targetILNS1_3genE2ELNS1_11target_archE906ELNS1_3gpuE6ELNS1_3repE0EEENS1_48merge_mergepath_partition_config_static_selectorELNS0_4arch9wavefront6targetE1EEEvSH_: ; @_ZN7rocprim17ROCPRIM_400000_NS6detail17trampoline_kernelINS0_14default_configENS1_38merge_sort_block_merge_config_selectorIslEEZZNS1_27merge_sort_block_merge_implIS3_PsN6thrust23THRUST_200600_302600_NS10device_ptrIlEEjNS1_19radix_merge_compareILb0ELb0EsNS0_19identity_decomposerEEEEE10hipError_tT0_T1_T2_jT3_P12ihipStream_tbPNSt15iterator_traitsISG_E10value_typeEPNSM_ISH_E10value_typeEPSI_NS1_7vsmem_tEENKUlT_SG_SH_SI_E_clIS7_S7_PlSB_EESF_SV_SG_SH_SI_EUlSV_E_NS1_11comp_targetILNS1_3genE2ELNS1_11target_archE906ELNS1_3gpuE6ELNS1_3repE0EEENS1_48merge_mergepath_partition_config_static_selectorELNS0_4arch9wavefront6targetE1EEEvSH_
; %bb.0:
	s_load_dword s0, s[4:5], 0x0
	v_lshl_or_b32 v0, s6, 7, v0
	s_waitcnt lgkmcnt(0)
	v_cmp_gt_u32_e32 vcc, s0, v0
	s_and_saveexec_b64 s[0:1], vcc
	s_cbranch_execz .LBB1281_6
; %bb.1:
	s_load_dwordx2 s[2:3], s[4:5], 0x4
	s_load_dwordx2 s[0:1], s[4:5], 0x20
	s_waitcnt lgkmcnt(0)
	s_lshr_b32 s6, s2, 9
	s_and_b32 s6, s6, 0x7ffffe
	s_add_i32 s7, s6, -1
	s_sub_i32 s6, 0, s6
	v_and_b32_e32 v1, s6, v0
	v_lshlrev_b32_e32 v3, 10, v1
	v_min_u32_e32 v1, s3, v3
	v_add_u32_e32 v3, s2, v3
	v_min_u32_e32 v3, s3, v3
	v_add_u32_e32 v4, s2, v3
	v_and_b32_e32 v2, s7, v0
	v_min_u32_e32 v4, s3, v4
	v_sub_u32_e32 v5, v4, v1
	v_lshlrev_b32_e32 v2, 10, v2
	v_min_u32_e32 v6, v5, v2
	v_sub_u32_e32 v2, v3, v1
	v_sub_u32_e32 v4, v4, v3
	v_sub_u32_e64 v5, v6, v4 clamp
	v_min_u32_e32 v7, v6, v2
	v_cmp_lt_u32_e32 vcc, v5, v7
	s_and_saveexec_b64 s[2:3], vcc
	s_cbranch_execz .LBB1281_5
; %bb.2:
	s_load_dwordx2 s[4:5], s[4:5], 0x10
	v_mov_b32_e32 v4, 0
	v_mov_b32_e32 v2, v4
	v_lshlrev_b64 v[8:9], 1, v[1:2]
	s_waitcnt lgkmcnt(0)
	v_mov_b32_e32 v11, s5
	v_add_co_u32_e32 v2, vcc, s4, v8
	v_addc_co_u32_e32 v8, vcc, v11, v9, vcc
	v_lshlrev_b64 v[9:10], 1, v[3:4]
	v_add_co_u32_e32 v9, vcc, s4, v9
	v_addc_co_u32_e32 v10, vcc, v11, v10, vcc
	s_mov_b64 s[4:5], 0
.LBB1281_3:                             ; =>This Inner Loop Header: Depth=1
	v_add_u32_e32 v3, v7, v5
	v_and_b32_e32 v11, -2, v3
	v_lshrrev_b32_e32 v13, 1, v3
	v_add_co_u32_e32 v11, vcc, v2, v11
	v_xad_u32 v3, v13, -1, v6
	v_addc_co_u32_e32 v12, vcc, 0, v8, vcc
	global_load_ushort v14, v[11:12], off
	v_lshlrev_b64 v[11:12], 1, v[3:4]
	v_add_co_u32_e32 v11, vcc, v9, v11
	v_addc_co_u32_e32 v12, vcc, v10, v12, vcc
	global_load_ushort v3, v[11:12], off
	v_add_u32_e32 v11, 1, v13
	s_waitcnt vmcnt(0)
	v_cmp_gt_i16_e32 vcc, v14, v3
	v_cndmask_b32_e32 v7, v7, v13, vcc
	v_cndmask_b32_e32 v5, v11, v5, vcc
	v_cmp_ge_u32_e32 vcc, v5, v7
	s_or_b64 s[4:5], vcc, s[4:5]
	s_andn2_b64 exec, exec, s[4:5]
	s_cbranch_execnz .LBB1281_3
; %bb.4:
	s_or_b64 exec, exec, s[4:5]
.LBB1281_5:
	s_or_b64 exec, exec, s[2:3]
	v_add_u32_e32 v2, v5, v1
	v_mov_b32_e32 v1, 0
	v_lshlrev_b64 v[0:1], 2, v[0:1]
	v_mov_b32_e32 v3, s1
	v_add_co_u32_e32 v0, vcc, s0, v0
	v_addc_co_u32_e32 v1, vcc, v3, v1, vcc
	global_store_dword v[0:1], v2, off
.LBB1281_6:
	s_endpgm
	.section	.rodata,"a",@progbits
	.p2align	6, 0x0
	.amdhsa_kernel _ZN7rocprim17ROCPRIM_400000_NS6detail17trampoline_kernelINS0_14default_configENS1_38merge_sort_block_merge_config_selectorIslEEZZNS1_27merge_sort_block_merge_implIS3_PsN6thrust23THRUST_200600_302600_NS10device_ptrIlEEjNS1_19radix_merge_compareILb0ELb0EsNS0_19identity_decomposerEEEEE10hipError_tT0_T1_T2_jT3_P12ihipStream_tbPNSt15iterator_traitsISG_E10value_typeEPNSM_ISH_E10value_typeEPSI_NS1_7vsmem_tEENKUlT_SG_SH_SI_E_clIS7_S7_PlSB_EESF_SV_SG_SH_SI_EUlSV_E_NS1_11comp_targetILNS1_3genE2ELNS1_11target_archE906ELNS1_3gpuE6ELNS1_3repE0EEENS1_48merge_mergepath_partition_config_static_selectorELNS0_4arch9wavefront6targetE1EEEvSH_
		.amdhsa_group_segment_fixed_size 0
		.amdhsa_private_segment_fixed_size 0
		.amdhsa_kernarg_size 40
		.amdhsa_user_sgpr_count 6
		.amdhsa_user_sgpr_private_segment_buffer 1
		.amdhsa_user_sgpr_dispatch_ptr 0
		.amdhsa_user_sgpr_queue_ptr 0
		.amdhsa_user_sgpr_kernarg_segment_ptr 1
		.amdhsa_user_sgpr_dispatch_id 0
		.amdhsa_user_sgpr_flat_scratch_init 0
		.amdhsa_user_sgpr_private_segment_size 0
		.amdhsa_uses_dynamic_stack 0
		.amdhsa_system_sgpr_private_segment_wavefront_offset 0
		.amdhsa_system_sgpr_workgroup_id_x 1
		.amdhsa_system_sgpr_workgroup_id_y 0
		.amdhsa_system_sgpr_workgroup_id_z 0
		.amdhsa_system_sgpr_workgroup_info 0
		.amdhsa_system_vgpr_workitem_id 0
		.amdhsa_next_free_vgpr 15
		.amdhsa_next_free_sgpr 8
		.amdhsa_reserve_vcc 1
		.amdhsa_reserve_flat_scratch 0
		.amdhsa_float_round_mode_32 0
		.amdhsa_float_round_mode_16_64 0
		.amdhsa_float_denorm_mode_32 3
		.amdhsa_float_denorm_mode_16_64 3
		.amdhsa_dx10_clamp 1
		.amdhsa_ieee_mode 1
		.amdhsa_fp16_overflow 0
		.amdhsa_exception_fp_ieee_invalid_op 0
		.amdhsa_exception_fp_denorm_src 0
		.amdhsa_exception_fp_ieee_div_zero 0
		.amdhsa_exception_fp_ieee_overflow 0
		.amdhsa_exception_fp_ieee_underflow 0
		.amdhsa_exception_fp_ieee_inexact 0
		.amdhsa_exception_int_div_zero 0
	.end_amdhsa_kernel
	.section	.text._ZN7rocprim17ROCPRIM_400000_NS6detail17trampoline_kernelINS0_14default_configENS1_38merge_sort_block_merge_config_selectorIslEEZZNS1_27merge_sort_block_merge_implIS3_PsN6thrust23THRUST_200600_302600_NS10device_ptrIlEEjNS1_19radix_merge_compareILb0ELb0EsNS0_19identity_decomposerEEEEE10hipError_tT0_T1_T2_jT3_P12ihipStream_tbPNSt15iterator_traitsISG_E10value_typeEPNSM_ISH_E10value_typeEPSI_NS1_7vsmem_tEENKUlT_SG_SH_SI_E_clIS7_S7_PlSB_EESF_SV_SG_SH_SI_EUlSV_E_NS1_11comp_targetILNS1_3genE2ELNS1_11target_archE906ELNS1_3gpuE6ELNS1_3repE0EEENS1_48merge_mergepath_partition_config_static_selectorELNS0_4arch9wavefront6targetE1EEEvSH_,"axG",@progbits,_ZN7rocprim17ROCPRIM_400000_NS6detail17trampoline_kernelINS0_14default_configENS1_38merge_sort_block_merge_config_selectorIslEEZZNS1_27merge_sort_block_merge_implIS3_PsN6thrust23THRUST_200600_302600_NS10device_ptrIlEEjNS1_19radix_merge_compareILb0ELb0EsNS0_19identity_decomposerEEEEE10hipError_tT0_T1_T2_jT3_P12ihipStream_tbPNSt15iterator_traitsISG_E10value_typeEPNSM_ISH_E10value_typeEPSI_NS1_7vsmem_tEENKUlT_SG_SH_SI_E_clIS7_S7_PlSB_EESF_SV_SG_SH_SI_EUlSV_E_NS1_11comp_targetILNS1_3genE2ELNS1_11target_archE906ELNS1_3gpuE6ELNS1_3repE0EEENS1_48merge_mergepath_partition_config_static_selectorELNS0_4arch9wavefront6targetE1EEEvSH_,comdat
.Lfunc_end1281:
	.size	_ZN7rocprim17ROCPRIM_400000_NS6detail17trampoline_kernelINS0_14default_configENS1_38merge_sort_block_merge_config_selectorIslEEZZNS1_27merge_sort_block_merge_implIS3_PsN6thrust23THRUST_200600_302600_NS10device_ptrIlEEjNS1_19radix_merge_compareILb0ELb0EsNS0_19identity_decomposerEEEEE10hipError_tT0_T1_T2_jT3_P12ihipStream_tbPNSt15iterator_traitsISG_E10value_typeEPNSM_ISH_E10value_typeEPSI_NS1_7vsmem_tEENKUlT_SG_SH_SI_E_clIS7_S7_PlSB_EESF_SV_SG_SH_SI_EUlSV_E_NS1_11comp_targetILNS1_3genE2ELNS1_11target_archE906ELNS1_3gpuE6ELNS1_3repE0EEENS1_48merge_mergepath_partition_config_static_selectorELNS0_4arch9wavefront6targetE1EEEvSH_, .Lfunc_end1281-_ZN7rocprim17ROCPRIM_400000_NS6detail17trampoline_kernelINS0_14default_configENS1_38merge_sort_block_merge_config_selectorIslEEZZNS1_27merge_sort_block_merge_implIS3_PsN6thrust23THRUST_200600_302600_NS10device_ptrIlEEjNS1_19radix_merge_compareILb0ELb0EsNS0_19identity_decomposerEEEEE10hipError_tT0_T1_T2_jT3_P12ihipStream_tbPNSt15iterator_traitsISG_E10value_typeEPNSM_ISH_E10value_typeEPSI_NS1_7vsmem_tEENKUlT_SG_SH_SI_E_clIS7_S7_PlSB_EESF_SV_SG_SH_SI_EUlSV_E_NS1_11comp_targetILNS1_3genE2ELNS1_11target_archE906ELNS1_3gpuE6ELNS1_3repE0EEENS1_48merge_mergepath_partition_config_static_selectorELNS0_4arch9wavefront6targetE1EEEvSH_
                                        ; -- End function
	.set _ZN7rocprim17ROCPRIM_400000_NS6detail17trampoline_kernelINS0_14default_configENS1_38merge_sort_block_merge_config_selectorIslEEZZNS1_27merge_sort_block_merge_implIS3_PsN6thrust23THRUST_200600_302600_NS10device_ptrIlEEjNS1_19radix_merge_compareILb0ELb0EsNS0_19identity_decomposerEEEEE10hipError_tT0_T1_T2_jT3_P12ihipStream_tbPNSt15iterator_traitsISG_E10value_typeEPNSM_ISH_E10value_typeEPSI_NS1_7vsmem_tEENKUlT_SG_SH_SI_E_clIS7_S7_PlSB_EESF_SV_SG_SH_SI_EUlSV_E_NS1_11comp_targetILNS1_3genE2ELNS1_11target_archE906ELNS1_3gpuE6ELNS1_3repE0EEENS1_48merge_mergepath_partition_config_static_selectorELNS0_4arch9wavefront6targetE1EEEvSH_.num_vgpr, 15
	.set _ZN7rocprim17ROCPRIM_400000_NS6detail17trampoline_kernelINS0_14default_configENS1_38merge_sort_block_merge_config_selectorIslEEZZNS1_27merge_sort_block_merge_implIS3_PsN6thrust23THRUST_200600_302600_NS10device_ptrIlEEjNS1_19radix_merge_compareILb0ELb0EsNS0_19identity_decomposerEEEEE10hipError_tT0_T1_T2_jT3_P12ihipStream_tbPNSt15iterator_traitsISG_E10value_typeEPNSM_ISH_E10value_typeEPSI_NS1_7vsmem_tEENKUlT_SG_SH_SI_E_clIS7_S7_PlSB_EESF_SV_SG_SH_SI_EUlSV_E_NS1_11comp_targetILNS1_3genE2ELNS1_11target_archE906ELNS1_3gpuE6ELNS1_3repE0EEENS1_48merge_mergepath_partition_config_static_selectorELNS0_4arch9wavefront6targetE1EEEvSH_.num_agpr, 0
	.set _ZN7rocprim17ROCPRIM_400000_NS6detail17trampoline_kernelINS0_14default_configENS1_38merge_sort_block_merge_config_selectorIslEEZZNS1_27merge_sort_block_merge_implIS3_PsN6thrust23THRUST_200600_302600_NS10device_ptrIlEEjNS1_19radix_merge_compareILb0ELb0EsNS0_19identity_decomposerEEEEE10hipError_tT0_T1_T2_jT3_P12ihipStream_tbPNSt15iterator_traitsISG_E10value_typeEPNSM_ISH_E10value_typeEPSI_NS1_7vsmem_tEENKUlT_SG_SH_SI_E_clIS7_S7_PlSB_EESF_SV_SG_SH_SI_EUlSV_E_NS1_11comp_targetILNS1_3genE2ELNS1_11target_archE906ELNS1_3gpuE6ELNS1_3repE0EEENS1_48merge_mergepath_partition_config_static_selectorELNS0_4arch9wavefront6targetE1EEEvSH_.numbered_sgpr, 8
	.set _ZN7rocprim17ROCPRIM_400000_NS6detail17trampoline_kernelINS0_14default_configENS1_38merge_sort_block_merge_config_selectorIslEEZZNS1_27merge_sort_block_merge_implIS3_PsN6thrust23THRUST_200600_302600_NS10device_ptrIlEEjNS1_19radix_merge_compareILb0ELb0EsNS0_19identity_decomposerEEEEE10hipError_tT0_T1_T2_jT3_P12ihipStream_tbPNSt15iterator_traitsISG_E10value_typeEPNSM_ISH_E10value_typeEPSI_NS1_7vsmem_tEENKUlT_SG_SH_SI_E_clIS7_S7_PlSB_EESF_SV_SG_SH_SI_EUlSV_E_NS1_11comp_targetILNS1_3genE2ELNS1_11target_archE906ELNS1_3gpuE6ELNS1_3repE0EEENS1_48merge_mergepath_partition_config_static_selectorELNS0_4arch9wavefront6targetE1EEEvSH_.num_named_barrier, 0
	.set _ZN7rocprim17ROCPRIM_400000_NS6detail17trampoline_kernelINS0_14default_configENS1_38merge_sort_block_merge_config_selectorIslEEZZNS1_27merge_sort_block_merge_implIS3_PsN6thrust23THRUST_200600_302600_NS10device_ptrIlEEjNS1_19radix_merge_compareILb0ELb0EsNS0_19identity_decomposerEEEEE10hipError_tT0_T1_T2_jT3_P12ihipStream_tbPNSt15iterator_traitsISG_E10value_typeEPNSM_ISH_E10value_typeEPSI_NS1_7vsmem_tEENKUlT_SG_SH_SI_E_clIS7_S7_PlSB_EESF_SV_SG_SH_SI_EUlSV_E_NS1_11comp_targetILNS1_3genE2ELNS1_11target_archE906ELNS1_3gpuE6ELNS1_3repE0EEENS1_48merge_mergepath_partition_config_static_selectorELNS0_4arch9wavefront6targetE1EEEvSH_.private_seg_size, 0
	.set _ZN7rocprim17ROCPRIM_400000_NS6detail17trampoline_kernelINS0_14default_configENS1_38merge_sort_block_merge_config_selectorIslEEZZNS1_27merge_sort_block_merge_implIS3_PsN6thrust23THRUST_200600_302600_NS10device_ptrIlEEjNS1_19radix_merge_compareILb0ELb0EsNS0_19identity_decomposerEEEEE10hipError_tT0_T1_T2_jT3_P12ihipStream_tbPNSt15iterator_traitsISG_E10value_typeEPNSM_ISH_E10value_typeEPSI_NS1_7vsmem_tEENKUlT_SG_SH_SI_E_clIS7_S7_PlSB_EESF_SV_SG_SH_SI_EUlSV_E_NS1_11comp_targetILNS1_3genE2ELNS1_11target_archE906ELNS1_3gpuE6ELNS1_3repE0EEENS1_48merge_mergepath_partition_config_static_selectorELNS0_4arch9wavefront6targetE1EEEvSH_.uses_vcc, 1
	.set _ZN7rocprim17ROCPRIM_400000_NS6detail17trampoline_kernelINS0_14default_configENS1_38merge_sort_block_merge_config_selectorIslEEZZNS1_27merge_sort_block_merge_implIS3_PsN6thrust23THRUST_200600_302600_NS10device_ptrIlEEjNS1_19radix_merge_compareILb0ELb0EsNS0_19identity_decomposerEEEEE10hipError_tT0_T1_T2_jT3_P12ihipStream_tbPNSt15iterator_traitsISG_E10value_typeEPNSM_ISH_E10value_typeEPSI_NS1_7vsmem_tEENKUlT_SG_SH_SI_E_clIS7_S7_PlSB_EESF_SV_SG_SH_SI_EUlSV_E_NS1_11comp_targetILNS1_3genE2ELNS1_11target_archE906ELNS1_3gpuE6ELNS1_3repE0EEENS1_48merge_mergepath_partition_config_static_selectorELNS0_4arch9wavefront6targetE1EEEvSH_.uses_flat_scratch, 0
	.set _ZN7rocprim17ROCPRIM_400000_NS6detail17trampoline_kernelINS0_14default_configENS1_38merge_sort_block_merge_config_selectorIslEEZZNS1_27merge_sort_block_merge_implIS3_PsN6thrust23THRUST_200600_302600_NS10device_ptrIlEEjNS1_19radix_merge_compareILb0ELb0EsNS0_19identity_decomposerEEEEE10hipError_tT0_T1_T2_jT3_P12ihipStream_tbPNSt15iterator_traitsISG_E10value_typeEPNSM_ISH_E10value_typeEPSI_NS1_7vsmem_tEENKUlT_SG_SH_SI_E_clIS7_S7_PlSB_EESF_SV_SG_SH_SI_EUlSV_E_NS1_11comp_targetILNS1_3genE2ELNS1_11target_archE906ELNS1_3gpuE6ELNS1_3repE0EEENS1_48merge_mergepath_partition_config_static_selectorELNS0_4arch9wavefront6targetE1EEEvSH_.has_dyn_sized_stack, 0
	.set _ZN7rocprim17ROCPRIM_400000_NS6detail17trampoline_kernelINS0_14default_configENS1_38merge_sort_block_merge_config_selectorIslEEZZNS1_27merge_sort_block_merge_implIS3_PsN6thrust23THRUST_200600_302600_NS10device_ptrIlEEjNS1_19radix_merge_compareILb0ELb0EsNS0_19identity_decomposerEEEEE10hipError_tT0_T1_T2_jT3_P12ihipStream_tbPNSt15iterator_traitsISG_E10value_typeEPNSM_ISH_E10value_typeEPSI_NS1_7vsmem_tEENKUlT_SG_SH_SI_E_clIS7_S7_PlSB_EESF_SV_SG_SH_SI_EUlSV_E_NS1_11comp_targetILNS1_3genE2ELNS1_11target_archE906ELNS1_3gpuE6ELNS1_3repE0EEENS1_48merge_mergepath_partition_config_static_selectorELNS0_4arch9wavefront6targetE1EEEvSH_.has_recursion, 0
	.set _ZN7rocprim17ROCPRIM_400000_NS6detail17trampoline_kernelINS0_14default_configENS1_38merge_sort_block_merge_config_selectorIslEEZZNS1_27merge_sort_block_merge_implIS3_PsN6thrust23THRUST_200600_302600_NS10device_ptrIlEEjNS1_19radix_merge_compareILb0ELb0EsNS0_19identity_decomposerEEEEE10hipError_tT0_T1_T2_jT3_P12ihipStream_tbPNSt15iterator_traitsISG_E10value_typeEPNSM_ISH_E10value_typeEPSI_NS1_7vsmem_tEENKUlT_SG_SH_SI_E_clIS7_S7_PlSB_EESF_SV_SG_SH_SI_EUlSV_E_NS1_11comp_targetILNS1_3genE2ELNS1_11target_archE906ELNS1_3gpuE6ELNS1_3repE0EEENS1_48merge_mergepath_partition_config_static_selectorELNS0_4arch9wavefront6targetE1EEEvSH_.has_indirect_call, 0
	.section	.AMDGPU.csdata,"",@progbits
; Kernel info:
; codeLenInByte = 352
; TotalNumSgprs: 12
; NumVgprs: 15
; ScratchSize: 0
; MemoryBound: 0
; FloatMode: 240
; IeeeMode: 1
; LDSByteSize: 0 bytes/workgroup (compile time only)
; SGPRBlocks: 1
; VGPRBlocks: 3
; NumSGPRsForWavesPerEU: 12
; NumVGPRsForWavesPerEU: 15
; Occupancy: 10
; WaveLimiterHint : 0
; COMPUTE_PGM_RSRC2:SCRATCH_EN: 0
; COMPUTE_PGM_RSRC2:USER_SGPR: 6
; COMPUTE_PGM_RSRC2:TRAP_HANDLER: 0
; COMPUTE_PGM_RSRC2:TGID_X_EN: 1
; COMPUTE_PGM_RSRC2:TGID_Y_EN: 0
; COMPUTE_PGM_RSRC2:TGID_Z_EN: 0
; COMPUTE_PGM_RSRC2:TIDIG_COMP_CNT: 0
	.section	.text._ZN7rocprim17ROCPRIM_400000_NS6detail17trampoline_kernelINS0_14default_configENS1_38merge_sort_block_merge_config_selectorIslEEZZNS1_27merge_sort_block_merge_implIS3_PsN6thrust23THRUST_200600_302600_NS10device_ptrIlEEjNS1_19radix_merge_compareILb0ELb0EsNS0_19identity_decomposerEEEEE10hipError_tT0_T1_T2_jT3_P12ihipStream_tbPNSt15iterator_traitsISG_E10value_typeEPNSM_ISH_E10value_typeEPSI_NS1_7vsmem_tEENKUlT_SG_SH_SI_E_clIS7_S7_PlSB_EESF_SV_SG_SH_SI_EUlSV_E_NS1_11comp_targetILNS1_3genE9ELNS1_11target_archE1100ELNS1_3gpuE3ELNS1_3repE0EEENS1_48merge_mergepath_partition_config_static_selectorELNS0_4arch9wavefront6targetE1EEEvSH_,"axG",@progbits,_ZN7rocprim17ROCPRIM_400000_NS6detail17trampoline_kernelINS0_14default_configENS1_38merge_sort_block_merge_config_selectorIslEEZZNS1_27merge_sort_block_merge_implIS3_PsN6thrust23THRUST_200600_302600_NS10device_ptrIlEEjNS1_19radix_merge_compareILb0ELb0EsNS0_19identity_decomposerEEEEE10hipError_tT0_T1_T2_jT3_P12ihipStream_tbPNSt15iterator_traitsISG_E10value_typeEPNSM_ISH_E10value_typeEPSI_NS1_7vsmem_tEENKUlT_SG_SH_SI_E_clIS7_S7_PlSB_EESF_SV_SG_SH_SI_EUlSV_E_NS1_11comp_targetILNS1_3genE9ELNS1_11target_archE1100ELNS1_3gpuE3ELNS1_3repE0EEENS1_48merge_mergepath_partition_config_static_selectorELNS0_4arch9wavefront6targetE1EEEvSH_,comdat
	.protected	_ZN7rocprim17ROCPRIM_400000_NS6detail17trampoline_kernelINS0_14default_configENS1_38merge_sort_block_merge_config_selectorIslEEZZNS1_27merge_sort_block_merge_implIS3_PsN6thrust23THRUST_200600_302600_NS10device_ptrIlEEjNS1_19radix_merge_compareILb0ELb0EsNS0_19identity_decomposerEEEEE10hipError_tT0_T1_T2_jT3_P12ihipStream_tbPNSt15iterator_traitsISG_E10value_typeEPNSM_ISH_E10value_typeEPSI_NS1_7vsmem_tEENKUlT_SG_SH_SI_E_clIS7_S7_PlSB_EESF_SV_SG_SH_SI_EUlSV_E_NS1_11comp_targetILNS1_3genE9ELNS1_11target_archE1100ELNS1_3gpuE3ELNS1_3repE0EEENS1_48merge_mergepath_partition_config_static_selectorELNS0_4arch9wavefront6targetE1EEEvSH_ ; -- Begin function _ZN7rocprim17ROCPRIM_400000_NS6detail17trampoline_kernelINS0_14default_configENS1_38merge_sort_block_merge_config_selectorIslEEZZNS1_27merge_sort_block_merge_implIS3_PsN6thrust23THRUST_200600_302600_NS10device_ptrIlEEjNS1_19radix_merge_compareILb0ELb0EsNS0_19identity_decomposerEEEEE10hipError_tT0_T1_T2_jT3_P12ihipStream_tbPNSt15iterator_traitsISG_E10value_typeEPNSM_ISH_E10value_typeEPSI_NS1_7vsmem_tEENKUlT_SG_SH_SI_E_clIS7_S7_PlSB_EESF_SV_SG_SH_SI_EUlSV_E_NS1_11comp_targetILNS1_3genE9ELNS1_11target_archE1100ELNS1_3gpuE3ELNS1_3repE0EEENS1_48merge_mergepath_partition_config_static_selectorELNS0_4arch9wavefront6targetE1EEEvSH_
	.globl	_ZN7rocprim17ROCPRIM_400000_NS6detail17trampoline_kernelINS0_14default_configENS1_38merge_sort_block_merge_config_selectorIslEEZZNS1_27merge_sort_block_merge_implIS3_PsN6thrust23THRUST_200600_302600_NS10device_ptrIlEEjNS1_19radix_merge_compareILb0ELb0EsNS0_19identity_decomposerEEEEE10hipError_tT0_T1_T2_jT3_P12ihipStream_tbPNSt15iterator_traitsISG_E10value_typeEPNSM_ISH_E10value_typeEPSI_NS1_7vsmem_tEENKUlT_SG_SH_SI_E_clIS7_S7_PlSB_EESF_SV_SG_SH_SI_EUlSV_E_NS1_11comp_targetILNS1_3genE9ELNS1_11target_archE1100ELNS1_3gpuE3ELNS1_3repE0EEENS1_48merge_mergepath_partition_config_static_selectorELNS0_4arch9wavefront6targetE1EEEvSH_
	.p2align	8
	.type	_ZN7rocprim17ROCPRIM_400000_NS6detail17trampoline_kernelINS0_14default_configENS1_38merge_sort_block_merge_config_selectorIslEEZZNS1_27merge_sort_block_merge_implIS3_PsN6thrust23THRUST_200600_302600_NS10device_ptrIlEEjNS1_19radix_merge_compareILb0ELb0EsNS0_19identity_decomposerEEEEE10hipError_tT0_T1_T2_jT3_P12ihipStream_tbPNSt15iterator_traitsISG_E10value_typeEPNSM_ISH_E10value_typeEPSI_NS1_7vsmem_tEENKUlT_SG_SH_SI_E_clIS7_S7_PlSB_EESF_SV_SG_SH_SI_EUlSV_E_NS1_11comp_targetILNS1_3genE9ELNS1_11target_archE1100ELNS1_3gpuE3ELNS1_3repE0EEENS1_48merge_mergepath_partition_config_static_selectorELNS0_4arch9wavefront6targetE1EEEvSH_,@function
_ZN7rocprim17ROCPRIM_400000_NS6detail17trampoline_kernelINS0_14default_configENS1_38merge_sort_block_merge_config_selectorIslEEZZNS1_27merge_sort_block_merge_implIS3_PsN6thrust23THRUST_200600_302600_NS10device_ptrIlEEjNS1_19radix_merge_compareILb0ELb0EsNS0_19identity_decomposerEEEEE10hipError_tT0_T1_T2_jT3_P12ihipStream_tbPNSt15iterator_traitsISG_E10value_typeEPNSM_ISH_E10value_typeEPSI_NS1_7vsmem_tEENKUlT_SG_SH_SI_E_clIS7_S7_PlSB_EESF_SV_SG_SH_SI_EUlSV_E_NS1_11comp_targetILNS1_3genE9ELNS1_11target_archE1100ELNS1_3gpuE3ELNS1_3repE0EEENS1_48merge_mergepath_partition_config_static_selectorELNS0_4arch9wavefront6targetE1EEEvSH_: ; @_ZN7rocprim17ROCPRIM_400000_NS6detail17trampoline_kernelINS0_14default_configENS1_38merge_sort_block_merge_config_selectorIslEEZZNS1_27merge_sort_block_merge_implIS3_PsN6thrust23THRUST_200600_302600_NS10device_ptrIlEEjNS1_19radix_merge_compareILb0ELb0EsNS0_19identity_decomposerEEEEE10hipError_tT0_T1_T2_jT3_P12ihipStream_tbPNSt15iterator_traitsISG_E10value_typeEPNSM_ISH_E10value_typeEPSI_NS1_7vsmem_tEENKUlT_SG_SH_SI_E_clIS7_S7_PlSB_EESF_SV_SG_SH_SI_EUlSV_E_NS1_11comp_targetILNS1_3genE9ELNS1_11target_archE1100ELNS1_3gpuE3ELNS1_3repE0EEENS1_48merge_mergepath_partition_config_static_selectorELNS0_4arch9wavefront6targetE1EEEvSH_
; %bb.0:
	.section	.rodata,"a",@progbits
	.p2align	6, 0x0
	.amdhsa_kernel _ZN7rocprim17ROCPRIM_400000_NS6detail17trampoline_kernelINS0_14default_configENS1_38merge_sort_block_merge_config_selectorIslEEZZNS1_27merge_sort_block_merge_implIS3_PsN6thrust23THRUST_200600_302600_NS10device_ptrIlEEjNS1_19radix_merge_compareILb0ELb0EsNS0_19identity_decomposerEEEEE10hipError_tT0_T1_T2_jT3_P12ihipStream_tbPNSt15iterator_traitsISG_E10value_typeEPNSM_ISH_E10value_typeEPSI_NS1_7vsmem_tEENKUlT_SG_SH_SI_E_clIS7_S7_PlSB_EESF_SV_SG_SH_SI_EUlSV_E_NS1_11comp_targetILNS1_3genE9ELNS1_11target_archE1100ELNS1_3gpuE3ELNS1_3repE0EEENS1_48merge_mergepath_partition_config_static_selectorELNS0_4arch9wavefront6targetE1EEEvSH_
		.amdhsa_group_segment_fixed_size 0
		.amdhsa_private_segment_fixed_size 0
		.amdhsa_kernarg_size 40
		.amdhsa_user_sgpr_count 6
		.amdhsa_user_sgpr_private_segment_buffer 1
		.amdhsa_user_sgpr_dispatch_ptr 0
		.amdhsa_user_sgpr_queue_ptr 0
		.amdhsa_user_sgpr_kernarg_segment_ptr 1
		.amdhsa_user_sgpr_dispatch_id 0
		.amdhsa_user_sgpr_flat_scratch_init 0
		.amdhsa_user_sgpr_private_segment_size 0
		.amdhsa_uses_dynamic_stack 0
		.amdhsa_system_sgpr_private_segment_wavefront_offset 0
		.amdhsa_system_sgpr_workgroup_id_x 1
		.amdhsa_system_sgpr_workgroup_id_y 0
		.amdhsa_system_sgpr_workgroup_id_z 0
		.amdhsa_system_sgpr_workgroup_info 0
		.amdhsa_system_vgpr_workitem_id 0
		.amdhsa_next_free_vgpr 1
		.amdhsa_next_free_sgpr 0
		.amdhsa_reserve_vcc 0
		.amdhsa_reserve_flat_scratch 0
		.amdhsa_float_round_mode_32 0
		.amdhsa_float_round_mode_16_64 0
		.amdhsa_float_denorm_mode_32 3
		.amdhsa_float_denorm_mode_16_64 3
		.amdhsa_dx10_clamp 1
		.amdhsa_ieee_mode 1
		.amdhsa_fp16_overflow 0
		.amdhsa_exception_fp_ieee_invalid_op 0
		.amdhsa_exception_fp_denorm_src 0
		.amdhsa_exception_fp_ieee_div_zero 0
		.amdhsa_exception_fp_ieee_overflow 0
		.amdhsa_exception_fp_ieee_underflow 0
		.amdhsa_exception_fp_ieee_inexact 0
		.amdhsa_exception_int_div_zero 0
	.end_amdhsa_kernel
	.section	.text._ZN7rocprim17ROCPRIM_400000_NS6detail17trampoline_kernelINS0_14default_configENS1_38merge_sort_block_merge_config_selectorIslEEZZNS1_27merge_sort_block_merge_implIS3_PsN6thrust23THRUST_200600_302600_NS10device_ptrIlEEjNS1_19radix_merge_compareILb0ELb0EsNS0_19identity_decomposerEEEEE10hipError_tT0_T1_T2_jT3_P12ihipStream_tbPNSt15iterator_traitsISG_E10value_typeEPNSM_ISH_E10value_typeEPSI_NS1_7vsmem_tEENKUlT_SG_SH_SI_E_clIS7_S7_PlSB_EESF_SV_SG_SH_SI_EUlSV_E_NS1_11comp_targetILNS1_3genE9ELNS1_11target_archE1100ELNS1_3gpuE3ELNS1_3repE0EEENS1_48merge_mergepath_partition_config_static_selectorELNS0_4arch9wavefront6targetE1EEEvSH_,"axG",@progbits,_ZN7rocprim17ROCPRIM_400000_NS6detail17trampoline_kernelINS0_14default_configENS1_38merge_sort_block_merge_config_selectorIslEEZZNS1_27merge_sort_block_merge_implIS3_PsN6thrust23THRUST_200600_302600_NS10device_ptrIlEEjNS1_19radix_merge_compareILb0ELb0EsNS0_19identity_decomposerEEEEE10hipError_tT0_T1_T2_jT3_P12ihipStream_tbPNSt15iterator_traitsISG_E10value_typeEPNSM_ISH_E10value_typeEPSI_NS1_7vsmem_tEENKUlT_SG_SH_SI_E_clIS7_S7_PlSB_EESF_SV_SG_SH_SI_EUlSV_E_NS1_11comp_targetILNS1_3genE9ELNS1_11target_archE1100ELNS1_3gpuE3ELNS1_3repE0EEENS1_48merge_mergepath_partition_config_static_selectorELNS0_4arch9wavefront6targetE1EEEvSH_,comdat
.Lfunc_end1282:
	.size	_ZN7rocprim17ROCPRIM_400000_NS6detail17trampoline_kernelINS0_14default_configENS1_38merge_sort_block_merge_config_selectorIslEEZZNS1_27merge_sort_block_merge_implIS3_PsN6thrust23THRUST_200600_302600_NS10device_ptrIlEEjNS1_19radix_merge_compareILb0ELb0EsNS0_19identity_decomposerEEEEE10hipError_tT0_T1_T2_jT3_P12ihipStream_tbPNSt15iterator_traitsISG_E10value_typeEPNSM_ISH_E10value_typeEPSI_NS1_7vsmem_tEENKUlT_SG_SH_SI_E_clIS7_S7_PlSB_EESF_SV_SG_SH_SI_EUlSV_E_NS1_11comp_targetILNS1_3genE9ELNS1_11target_archE1100ELNS1_3gpuE3ELNS1_3repE0EEENS1_48merge_mergepath_partition_config_static_selectorELNS0_4arch9wavefront6targetE1EEEvSH_, .Lfunc_end1282-_ZN7rocprim17ROCPRIM_400000_NS6detail17trampoline_kernelINS0_14default_configENS1_38merge_sort_block_merge_config_selectorIslEEZZNS1_27merge_sort_block_merge_implIS3_PsN6thrust23THRUST_200600_302600_NS10device_ptrIlEEjNS1_19radix_merge_compareILb0ELb0EsNS0_19identity_decomposerEEEEE10hipError_tT0_T1_T2_jT3_P12ihipStream_tbPNSt15iterator_traitsISG_E10value_typeEPNSM_ISH_E10value_typeEPSI_NS1_7vsmem_tEENKUlT_SG_SH_SI_E_clIS7_S7_PlSB_EESF_SV_SG_SH_SI_EUlSV_E_NS1_11comp_targetILNS1_3genE9ELNS1_11target_archE1100ELNS1_3gpuE3ELNS1_3repE0EEENS1_48merge_mergepath_partition_config_static_selectorELNS0_4arch9wavefront6targetE1EEEvSH_
                                        ; -- End function
	.set _ZN7rocprim17ROCPRIM_400000_NS6detail17trampoline_kernelINS0_14default_configENS1_38merge_sort_block_merge_config_selectorIslEEZZNS1_27merge_sort_block_merge_implIS3_PsN6thrust23THRUST_200600_302600_NS10device_ptrIlEEjNS1_19radix_merge_compareILb0ELb0EsNS0_19identity_decomposerEEEEE10hipError_tT0_T1_T2_jT3_P12ihipStream_tbPNSt15iterator_traitsISG_E10value_typeEPNSM_ISH_E10value_typeEPSI_NS1_7vsmem_tEENKUlT_SG_SH_SI_E_clIS7_S7_PlSB_EESF_SV_SG_SH_SI_EUlSV_E_NS1_11comp_targetILNS1_3genE9ELNS1_11target_archE1100ELNS1_3gpuE3ELNS1_3repE0EEENS1_48merge_mergepath_partition_config_static_selectorELNS0_4arch9wavefront6targetE1EEEvSH_.num_vgpr, 0
	.set _ZN7rocprim17ROCPRIM_400000_NS6detail17trampoline_kernelINS0_14default_configENS1_38merge_sort_block_merge_config_selectorIslEEZZNS1_27merge_sort_block_merge_implIS3_PsN6thrust23THRUST_200600_302600_NS10device_ptrIlEEjNS1_19radix_merge_compareILb0ELb0EsNS0_19identity_decomposerEEEEE10hipError_tT0_T1_T2_jT3_P12ihipStream_tbPNSt15iterator_traitsISG_E10value_typeEPNSM_ISH_E10value_typeEPSI_NS1_7vsmem_tEENKUlT_SG_SH_SI_E_clIS7_S7_PlSB_EESF_SV_SG_SH_SI_EUlSV_E_NS1_11comp_targetILNS1_3genE9ELNS1_11target_archE1100ELNS1_3gpuE3ELNS1_3repE0EEENS1_48merge_mergepath_partition_config_static_selectorELNS0_4arch9wavefront6targetE1EEEvSH_.num_agpr, 0
	.set _ZN7rocprim17ROCPRIM_400000_NS6detail17trampoline_kernelINS0_14default_configENS1_38merge_sort_block_merge_config_selectorIslEEZZNS1_27merge_sort_block_merge_implIS3_PsN6thrust23THRUST_200600_302600_NS10device_ptrIlEEjNS1_19radix_merge_compareILb0ELb0EsNS0_19identity_decomposerEEEEE10hipError_tT0_T1_T2_jT3_P12ihipStream_tbPNSt15iterator_traitsISG_E10value_typeEPNSM_ISH_E10value_typeEPSI_NS1_7vsmem_tEENKUlT_SG_SH_SI_E_clIS7_S7_PlSB_EESF_SV_SG_SH_SI_EUlSV_E_NS1_11comp_targetILNS1_3genE9ELNS1_11target_archE1100ELNS1_3gpuE3ELNS1_3repE0EEENS1_48merge_mergepath_partition_config_static_selectorELNS0_4arch9wavefront6targetE1EEEvSH_.numbered_sgpr, 0
	.set _ZN7rocprim17ROCPRIM_400000_NS6detail17trampoline_kernelINS0_14default_configENS1_38merge_sort_block_merge_config_selectorIslEEZZNS1_27merge_sort_block_merge_implIS3_PsN6thrust23THRUST_200600_302600_NS10device_ptrIlEEjNS1_19radix_merge_compareILb0ELb0EsNS0_19identity_decomposerEEEEE10hipError_tT0_T1_T2_jT3_P12ihipStream_tbPNSt15iterator_traitsISG_E10value_typeEPNSM_ISH_E10value_typeEPSI_NS1_7vsmem_tEENKUlT_SG_SH_SI_E_clIS7_S7_PlSB_EESF_SV_SG_SH_SI_EUlSV_E_NS1_11comp_targetILNS1_3genE9ELNS1_11target_archE1100ELNS1_3gpuE3ELNS1_3repE0EEENS1_48merge_mergepath_partition_config_static_selectorELNS0_4arch9wavefront6targetE1EEEvSH_.num_named_barrier, 0
	.set _ZN7rocprim17ROCPRIM_400000_NS6detail17trampoline_kernelINS0_14default_configENS1_38merge_sort_block_merge_config_selectorIslEEZZNS1_27merge_sort_block_merge_implIS3_PsN6thrust23THRUST_200600_302600_NS10device_ptrIlEEjNS1_19radix_merge_compareILb0ELb0EsNS0_19identity_decomposerEEEEE10hipError_tT0_T1_T2_jT3_P12ihipStream_tbPNSt15iterator_traitsISG_E10value_typeEPNSM_ISH_E10value_typeEPSI_NS1_7vsmem_tEENKUlT_SG_SH_SI_E_clIS7_S7_PlSB_EESF_SV_SG_SH_SI_EUlSV_E_NS1_11comp_targetILNS1_3genE9ELNS1_11target_archE1100ELNS1_3gpuE3ELNS1_3repE0EEENS1_48merge_mergepath_partition_config_static_selectorELNS0_4arch9wavefront6targetE1EEEvSH_.private_seg_size, 0
	.set _ZN7rocprim17ROCPRIM_400000_NS6detail17trampoline_kernelINS0_14default_configENS1_38merge_sort_block_merge_config_selectorIslEEZZNS1_27merge_sort_block_merge_implIS3_PsN6thrust23THRUST_200600_302600_NS10device_ptrIlEEjNS1_19radix_merge_compareILb0ELb0EsNS0_19identity_decomposerEEEEE10hipError_tT0_T1_T2_jT3_P12ihipStream_tbPNSt15iterator_traitsISG_E10value_typeEPNSM_ISH_E10value_typeEPSI_NS1_7vsmem_tEENKUlT_SG_SH_SI_E_clIS7_S7_PlSB_EESF_SV_SG_SH_SI_EUlSV_E_NS1_11comp_targetILNS1_3genE9ELNS1_11target_archE1100ELNS1_3gpuE3ELNS1_3repE0EEENS1_48merge_mergepath_partition_config_static_selectorELNS0_4arch9wavefront6targetE1EEEvSH_.uses_vcc, 0
	.set _ZN7rocprim17ROCPRIM_400000_NS6detail17trampoline_kernelINS0_14default_configENS1_38merge_sort_block_merge_config_selectorIslEEZZNS1_27merge_sort_block_merge_implIS3_PsN6thrust23THRUST_200600_302600_NS10device_ptrIlEEjNS1_19radix_merge_compareILb0ELb0EsNS0_19identity_decomposerEEEEE10hipError_tT0_T1_T2_jT3_P12ihipStream_tbPNSt15iterator_traitsISG_E10value_typeEPNSM_ISH_E10value_typeEPSI_NS1_7vsmem_tEENKUlT_SG_SH_SI_E_clIS7_S7_PlSB_EESF_SV_SG_SH_SI_EUlSV_E_NS1_11comp_targetILNS1_3genE9ELNS1_11target_archE1100ELNS1_3gpuE3ELNS1_3repE0EEENS1_48merge_mergepath_partition_config_static_selectorELNS0_4arch9wavefront6targetE1EEEvSH_.uses_flat_scratch, 0
	.set _ZN7rocprim17ROCPRIM_400000_NS6detail17trampoline_kernelINS0_14default_configENS1_38merge_sort_block_merge_config_selectorIslEEZZNS1_27merge_sort_block_merge_implIS3_PsN6thrust23THRUST_200600_302600_NS10device_ptrIlEEjNS1_19radix_merge_compareILb0ELb0EsNS0_19identity_decomposerEEEEE10hipError_tT0_T1_T2_jT3_P12ihipStream_tbPNSt15iterator_traitsISG_E10value_typeEPNSM_ISH_E10value_typeEPSI_NS1_7vsmem_tEENKUlT_SG_SH_SI_E_clIS7_S7_PlSB_EESF_SV_SG_SH_SI_EUlSV_E_NS1_11comp_targetILNS1_3genE9ELNS1_11target_archE1100ELNS1_3gpuE3ELNS1_3repE0EEENS1_48merge_mergepath_partition_config_static_selectorELNS0_4arch9wavefront6targetE1EEEvSH_.has_dyn_sized_stack, 0
	.set _ZN7rocprim17ROCPRIM_400000_NS6detail17trampoline_kernelINS0_14default_configENS1_38merge_sort_block_merge_config_selectorIslEEZZNS1_27merge_sort_block_merge_implIS3_PsN6thrust23THRUST_200600_302600_NS10device_ptrIlEEjNS1_19radix_merge_compareILb0ELb0EsNS0_19identity_decomposerEEEEE10hipError_tT0_T1_T2_jT3_P12ihipStream_tbPNSt15iterator_traitsISG_E10value_typeEPNSM_ISH_E10value_typeEPSI_NS1_7vsmem_tEENKUlT_SG_SH_SI_E_clIS7_S7_PlSB_EESF_SV_SG_SH_SI_EUlSV_E_NS1_11comp_targetILNS1_3genE9ELNS1_11target_archE1100ELNS1_3gpuE3ELNS1_3repE0EEENS1_48merge_mergepath_partition_config_static_selectorELNS0_4arch9wavefront6targetE1EEEvSH_.has_recursion, 0
	.set _ZN7rocprim17ROCPRIM_400000_NS6detail17trampoline_kernelINS0_14default_configENS1_38merge_sort_block_merge_config_selectorIslEEZZNS1_27merge_sort_block_merge_implIS3_PsN6thrust23THRUST_200600_302600_NS10device_ptrIlEEjNS1_19radix_merge_compareILb0ELb0EsNS0_19identity_decomposerEEEEE10hipError_tT0_T1_T2_jT3_P12ihipStream_tbPNSt15iterator_traitsISG_E10value_typeEPNSM_ISH_E10value_typeEPSI_NS1_7vsmem_tEENKUlT_SG_SH_SI_E_clIS7_S7_PlSB_EESF_SV_SG_SH_SI_EUlSV_E_NS1_11comp_targetILNS1_3genE9ELNS1_11target_archE1100ELNS1_3gpuE3ELNS1_3repE0EEENS1_48merge_mergepath_partition_config_static_selectorELNS0_4arch9wavefront6targetE1EEEvSH_.has_indirect_call, 0
	.section	.AMDGPU.csdata,"",@progbits
; Kernel info:
; codeLenInByte = 0
; TotalNumSgprs: 4
; NumVgprs: 0
; ScratchSize: 0
; MemoryBound: 0
; FloatMode: 240
; IeeeMode: 1
; LDSByteSize: 0 bytes/workgroup (compile time only)
; SGPRBlocks: 0
; VGPRBlocks: 0
; NumSGPRsForWavesPerEU: 4
; NumVGPRsForWavesPerEU: 1
; Occupancy: 10
; WaveLimiterHint : 0
; COMPUTE_PGM_RSRC2:SCRATCH_EN: 0
; COMPUTE_PGM_RSRC2:USER_SGPR: 6
; COMPUTE_PGM_RSRC2:TRAP_HANDLER: 0
; COMPUTE_PGM_RSRC2:TGID_X_EN: 1
; COMPUTE_PGM_RSRC2:TGID_Y_EN: 0
; COMPUTE_PGM_RSRC2:TGID_Z_EN: 0
; COMPUTE_PGM_RSRC2:TIDIG_COMP_CNT: 0
	.section	.text._ZN7rocprim17ROCPRIM_400000_NS6detail17trampoline_kernelINS0_14default_configENS1_38merge_sort_block_merge_config_selectorIslEEZZNS1_27merge_sort_block_merge_implIS3_PsN6thrust23THRUST_200600_302600_NS10device_ptrIlEEjNS1_19radix_merge_compareILb0ELb0EsNS0_19identity_decomposerEEEEE10hipError_tT0_T1_T2_jT3_P12ihipStream_tbPNSt15iterator_traitsISG_E10value_typeEPNSM_ISH_E10value_typeEPSI_NS1_7vsmem_tEENKUlT_SG_SH_SI_E_clIS7_S7_PlSB_EESF_SV_SG_SH_SI_EUlSV_E_NS1_11comp_targetILNS1_3genE8ELNS1_11target_archE1030ELNS1_3gpuE2ELNS1_3repE0EEENS1_48merge_mergepath_partition_config_static_selectorELNS0_4arch9wavefront6targetE1EEEvSH_,"axG",@progbits,_ZN7rocprim17ROCPRIM_400000_NS6detail17trampoline_kernelINS0_14default_configENS1_38merge_sort_block_merge_config_selectorIslEEZZNS1_27merge_sort_block_merge_implIS3_PsN6thrust23THRUST_200600_302600_NS10device_ptrIlEEjNS1_19radix_merge_compareILb0ELb0EsNS0_19identity_decomposerEEEEE10hipError_tT0_T1_T2_jT3_P12ihipStream_tbPNSt15iterator_traitsISG_E10value_typeEPNSM_ISH_E10value_typeEPSI_NS1_7vsmem_tEENKUlT_SG_SH_SI_E_clIS7_S7_PlSB_EESF_SV_SG_SH_SI_EUlSV_E_NS1_11comp_targetILNS1_3genE8ELNS1_11target_archE1030ELNS1_3gpuE2ELNS1_3repE0EEENS1_48merge_mergepath_partition_config_static_selectorELNS0_4arch9wavefront6targetE1EEEvSH_,comdat
	.protected	_ZN7rocprim17ROCPRIM_400000_NS6detail17trampoline_kernelINS0_14default_configENS1_38merge_sort_block_merge_config_selectorIslEEZZNS1_27merge_sort_block_merge_implIS3_PsN6thrust23THRUST_200600_302600_NS10device_ptrIlEEjNS1_19radix_merge_compareILb0ELb0EsNS0_19identity_decomposerEEEEE10hipError_tT0_T1_T2_jT3_P12ihipStream_tbPNSt15iterator_traitsISG_E10value_typeEPNSM_ISH_E10value_typeEPSI_NS1_7vsmem_tEENKUlT_SG_SH_SI_E_clIS7_S7_PlSB_EESF_SV_SG_SH_SI_EUlSV_E_NS1_11comp_targetILNS1_3genE8ELNS1_11target_archE1030ELNS1_3gpuE2ELNS1_3repE0EEENS1_48merge_mergepath_partition_config_static_selectorELNS0_4arch9wavefront6targetE1EEEvSH_ ; -- Begin function _ZN7rocprim17ROCPRIM_400000_NS6detail17trampoline_kernelINS0_14default_configENS1_38merge_sort_block_merge_config_selectorIslEEZZNS1_27merge_sort_block_merge_implIS3_PsN6thrust23THRUST_200600_302600_NS10device_ptrIlEEjNS1_19radix_merge_compareILb0ELb0EsNS0_19identity_decomposerEEEEE10hipError_tT0_T1_T2_jT3_P12ihipStream_tbPNSt15iterator_traitsISG_E10value_typeEPNSM_ISH_E10value_typeEPSI_NS1_7vsmem_tEENKUlT_SG_SH_SI_E_clIS7_S7_PlSB_EESF_SV_SG_SH_SI_EUlSV_E_NS1_11comp_targetILNS1_3genE8ELNS1_11target_archE1030ELNS1_3gpuE2ELNS1_3repE0EEENS1_48merge_mergepath_partition_config_static_selectorELNS0_4arch9wavefront6targetE1EEEvSH_
	.globl	_ZN7rocprim17ROCPRIM_400000_NS6detail17trampoline_kernelINS0_14default_configENS1_38merge_sort_block_merge_config_selectorIslEEZZNS1_27merge_sort_block_merge_implIS3_PsN6thrust23THRUST_200600_302600_NS10device_ptrIlEEjNS1_19radix_merge_compareILb0ELb0EsNS0_19identity_decomposerEEEEE10hipError_tT0_T1_T2_jT3_P12ihipStream_tbPNSt15iterator_traitsISG_E10value_typeEPNSM_ISH_E10value_typeEPSI_NS1_7vsmem_tEENKUlT_SG_SH_SI_E_clIS7_S7_PlSB_EESF_SV_SG_SH_SI_EUlSV_E_NS1_11comp_targetILNS1_3genE8ELNS1_11target_archE1030ELNS1_3gpuE2ELNS1_3repE0EEENS1_48merge_mergepath_partition_config_static_selectorELNS0_4arch9wavefront6targetE1EEEvSH_
	.p2align	8
	.type	_ZN7rocprim17ROCPRIM_400000_NS6detail17trampoline_kernelINS0_14default_configENS1_38merge_sort_block_merge_config_selectorIslEEZZNS1_27merge_sort_block_merge_implIS3_PsN6thrust23THRUST_200600_302600_NS10device_ptrIlEEjNS1_19radix_merge_compareILb0ELb0EsNS0_19identity_decomposerEEEEE10hipError_tT0_T1_T2_jT3_P12ihipStream_tbPNSt15iterator_traitsISG_E10value_typeEPNSM_ISH_E10value_typeEPSI_NS1_7vsmem_tEENKUlT_SG_SH_SI_E_clIS7_S7_PlSB_EESF_SV_SG_SH_SI_EUlSV_E_NS1_11comp_targetILNS1_3genE8ELNS1_11target_archE1030ELNS1_3gpuE2ELNS1_3repE0EEENS1_48merge_mergepath_partition_config_static_selectorELNS0_4arch9wavefront6targetE1EEEvSH_,@function
_ZN7rocprim17ROCPRIM_400000_NS6detail17trampoline_kernelINS0_14default_configENS1_38merge_sort_block_merge_config_selectorIslEEZZNS1_27merge_sort_block_merge_implIS3_PsN6thrust23THRUST_200600_302600_NS10device_ptrIlEEjNS1_19radix_merge_compareILb0ELb0EsNS0_19identity_decomposerEEEEE10hipError_tT0_T1_T2_jT3_P12ihipStream_tbPNSt15iterator_traitsISG_E10value_typeEPNSM_ISH_E10value_typeEPSI_NS1_7vsmem_tEENKUlT_SG_SH_SI_E_clIS7_S7_PlSB_EESF_SV_SG_SH_SI_EUlSV_E_NS1_11comp_targetILNS1_3genE8ELNS1_11target_archE1030ELNS1_3gpuE2ELNS1_3repE0EEENS1_48merge_mergepath_partition_config_static_selectorELNS0_4arch9wavefront6targetE1EEEvSH_: ; @_ZN7rocprim17ROCPRIM_400000_NS6detail17trampoline_kernelINS0_14default_configENS1_38merge_sort_block_merge_config_selectorIslEEZZNS1_27merge_sort_block_merge_implIS3_PsN6thrust23THRUST_200600_302600_NS10device_ptrIlEEjNS1_19radix_merge_compareILb0ELb0EsNS0_19identity_decomposerEEEEE10hipError_tT0_T1_T2_jT3_P12ihipStream_tbPNSt15iterator_traitsISG_E10value_typeEPNSM_ISH_E10value_typeEPSI_NS1_7vsmem_tEENKUlT_SG_SH_SI_E_clIS7_S7_PlSB_EESF_SV_SG_SH_SI_EUlSV_E_NS1_11comp_targetILNS1_3genE8ELNS1_11target_archE1030ELNS1_3gpuE2ELNS1_3repE0EEENS1_48merge_mergepath_partition_config_static_selectorELNS0_4arch9wavefront6targetE1EEEvSH_
; %bb.0:
	.section	.rodata,"a",@progbits
	.p2align	6, 0x0
	.amdhsa_kernel _ZN7rocprim17ROCPRIM_400000_NS6detail17trampoline_kernelINS0_14default_configENS1_38merge_sort_block_merge_config_selectorIslEEZZNS1_27merge_sort_block_merge_implIS3_PsN6thrust23THRUST_200600_302600_NS10device_ptrIlEEjNS1_19radix_merge_compareILb0ELb0EsNS0_19identity_decomposerEEEEE10hipError_tT0_T1_T2_jT3_P12ihipStream_tbPNSt15iterator_traitsISG_E10value_typeEPNSM_ISH_E10value_typeEPSI_NS1_7vsmem_tEENKUlT_SG_SH_SI_E_clIS7_S7_PlSB_EESF_SV_SG_SH_SI_EUlSV_E_NS1_11comp_targetILNS1_3genE8ELNS1_11target_archE1030ELNS1_3gpuE2ELNS1_3repE0EEENS1_48merge_mergepath_partition_config_static_selectorELNS0_4arch9wavefront6targetE1EEEvSH_
		.amdhsa_group_segment_fixed_size 0
		.amdhsa_private_segment_fixed_size 0
		.amdhsa_kernarg_size 40
		.amdhsa_user_sgpr_count 6
		.amdhsa_user_sgpr_private_segment_buffer 1
		.amdhsa_user_sgpr_dispatch_ptr 0
		.amdhsa_user_sgpr_queue_ptr 0
		.amdhsa_user_sgpr_kernarg_segment_ptr 1
		.amdhsa_user_sgpr_dispatch_id 0
		.amdhsa_user_sgpr_flat_scratch_init 0
		.amdhsa_user_sgpr_private_segment_size 0
		.amdhsa_uses_dynamic_stack 0
		.amdhsa_system_sgpr_private_segment_wavefront_offset 0
		.amdhsa_system_sgpr_workgroup_id_x 1
		.amdhsa_system_sgpr_workgroup_id_y 0
		.amdhsa_system_sgpr_workgroup_id_z 0
		.amdhsa_system_sgpr_workgroup_info 0
		.amdhsa_system_vgpr_workitem_id 0
		.amdhsa_next_free_vgpr 1
		.amdhsa_next_free_sgpr 0
		.amdhsa_reserve_vcc 0
		.amdhsa_reserve_flat_scratch 0
		.amdhsa_float_round_mode_32 0
		.amdhsa_float_round_mode_16_64 0
		.amdhsa_float_denorm_mode_32 3
		.amdhsa_float_denorm_mode_16_64 3
		.amdhsa_dx10_clamp 1
		.amdhsa_ieee_mode 1
		.amdhsa_fp16_overflow 0
		.amdhsa_exception_fp_ieee_invalid_op 0
		.amdhsa_exception_fp_denorm_src 0
		.amdhsa_exception_fp_ieee_div_zero 0
		.amdhsa_exception_fp_ieee_overflow 0
		.amdhsa_exception_fp_ieee_underflow 0
		.amdhsa_exception_fp_ieee_inexact 0
		.amdhsa_exception_int_div_zero 0
	.end_amdhsa_kernel
	.section	.text._ZN7rocprim17ROCPRIM_400000_NS6detail17trampoline_kernelINS0_14default_configENS1_38merge_sort_block_merge_config_selectorIslEEZZNS1_27merge_sort_block_merge_implIS3_PsN6thrust23THRUST_200600_302600_NS10device_ptrIlEEjNS1_19radix_merge_compareILb0ELb0EsNS0_19identity_decomposerEEEEE10hipError_tT0_T1_T2_jT3_P12ihipStream_tbPNSt15iterator_traitsISG_E10value_typeEPNSM_ISH_E10value_typeEPSI_NS1_7vsmem_tEENKUlT_SG_SH_SI_E_clIS7_S7_PlSB_EESF_SV_SG_SH_SI_EUlSV_E_NS1_11comp_targetILNS1_3genE8ELNS1_11target_archE1030ELNS1_3gpuE2ELNS1_3repE0EEENS1_48merge_mergepath_partition_config_static_selectorELNS0_4arch9wavefront6targetE1EEEvSH_,"axG",@progbits,_ZN7rocprim17ROCPRIM_400000_NS6detail17trampoline_kernelINS0_14default_configENS1_38merge_sort_block_merge_config_selectorIslEEZZNS1_27merge_sort_block_merge_implIS3_PsN6thrust23THRUST_200600_302600_NS10device_ptrIlEEjNS1_19radix_merge_compareILb0ELb0EsNS0_19identity_decomposerEEEEE10hipError_tT0_T1_T2_jT3_P12ihipStream_tbPNSt15iterator_traitsISG_E10value_typeEPNSM_ISH_E10value_typeEPSI_NS1_7vsmem_tEENKUlT_SG_SH_SI_E_clIS7_S7_PlSB_EESF_SV_SG_SH_SI_EUlSV_E_NS1_11comp_targetILNS1_3genE8ELNS1_11target_archE1030ELNS1_3gpuE2ELNS1_3repE0EEENS1_48merge_mergepath_partition_config_static_selectorELNS0_4arch9wavefront6targetE1EEEvSH_,comdat
.Lfunc_end1283:
	.size	_ZN7rocprim17ROCPRIM_400000_NS6detail17trampoline_kernelINS0_14default_configENS1_38merge_sort_block_merge_config_selectorIslEEZZNS1_27merge_sort_block_merge_implIS3_PsN6thrust23THRUST_200600_302600_NS10device_ptrIlEEjNS1_19radix_merge_compareILb0ELb0EsNS0_19identity_decomposerEEEEE10hipError_tT0_T1_T2_jT3_P12ihipStream_tbPNSt15iterator_traitsISG_E10value_typeEPNSM_ISH_E10value_typeEPSI_NS1_7vsmem_tEENKUlT_SG_SH_SI_E_clIS7_S7_PlSB_EESF_SV_SG_SH_SI_EUlSV_E_NS1_11comp_targetILNS1_3genE8ELNS1_11target_archE1030ELNS1_3gpuE2ELNS1_3repE0EEENS1_48merge_mergepath_partition_config_static_selectorELNS0_4arch9wavefront6targetE1EEEvSH_, .Lfunc_end1283-_ZN7rocprim17ROCPRIM_400000_NS6detail17trampoline_kernelINS0_14default_configENS1_38merge_sort_block_merge_config_selectorIslEEZZNS1_27merge_sort_block_merge_implIS3_PsN6thrust23THRUST_200600_302600_NS10device_ptrIlEEjNS1_19radix_merge_compareILb0ELb0EsNS0_19identity_decomposerEEEEE10hipError_tT0_T1_T2_jT3_P12ihipStream_tbPNSt15iterator_traitsISG_E10value_typeEPNSM_ISH_E10value_typeEPSI_NS1_7vsmem_tEENKUlT_SG_SH_SI_E_clIS7_S7_PlSB_EESF_SV_SG_SH_SI_EUlSV_E_NS1_11comp_targetILNS1_3genE8ELNS1_11target_archE1030ELNS1_3gpuE2ELNS1_3repE0EEENS1_48merge_mergepath_partition_config_static_selectorELNS0_4arch9wavefront6targetE1EEEvSH_
                                        ; -- End function
	.set _ZN7rocprim17ROCPRIM_400000_NS6detail17trampoline_kernelINS0_14default_configENS1_38merge_sort_block_merge_config_selectorIslEEZZNS1_27merge_sort_block_merge_implIS3_PsN6thrust23THRUST_200600_302600_NS10device_ptrIlEEjNS1_19radix_merge_compareILb0ELb0EsNS0_19identity_decomposerEEEEE10hipError_tT0_T1_T2_jT3_P12ihipStream_tbPNSt15iterator_traitsISG_E10value_typeEPNSM_ISH_E10value_typeEPSI_NS1_7vsmem_tEENKUlT_SG_SH_SI_E_clIS7_S7_PlSB_EESF_SV_SG_SH_SI_EUlSV_E_NS1_11comp_targetILNS1_3genE8ELNS1_11target_archE1030ELNS1_3gpuE2ELNS1_3repE0EEENS1_48merge_mergepath_partition_config_static_selectorELNS0_4arch9wavefront6targetE1EEEvSH_.num_vgpr, 0
	.set _ZN7rocprim17ROCPRIM_400000_NS6detail17trampoline_kernelINS0_14default_configENS1_38merge_sort_block_merge_config_selectorIslEEZZNS1_27merge_sort_block_merge_implIS3_PsN6thrust23THRUST_200600_302600_NS10device_ptrIlEEjNS1_19radix_merge_compareILb0ELb0EsNS0_19identity_decomposerEEEEE10hipError_tT0_T1_T2_jT3_P12ihipStream_tbPNSt15iterator_traitsISG_E10value_typeEPNSM_ISH_E10value_typeEPSI_NS1_7vsmem_tEENKUlT_SG_SH_SI_E_clIS7_S7_PlSB_EESF_SV_SG_SH_SI_EUlSV_E_NS1_11comp_targetILNS1_3genE8ELNS1_11target_archE1030ELNS1_3gpuE2ELNS1_3repE0EEENS1_48merge_mergepath_partition_config_static_selectorELNS0_4arch9wavefront6targetE1EEEvSH_.num_agpr, 0
	.set _ZN7rocprim17ROCPRIM_400000_NS6detail17trampoline_kernelINS0_14default_configENS1_38merge_sort_block_merge_config_selectorIslEEZZNS1_27merge_sort_block_merge_implIS3_PsN6thrust23THRUST_200600_302600_NS10device_ptrIlEEjNS1_19radix_merge_compareILb0ELb0EsNS0_19identity_decomposerEEEEE10hipError_tT0_T1_T2_jT3_P12ihipStream_tbPNSt15iterator_traitsISG_E10value_typeEPNSM_ISH_E10value_typeEPSI_NS1_7vsmem_tEENKUlT_SG_SH_SI_E_clIS7_S7_PlSB_EESF_SV_SG_SH_SI_EUlSV_E_NS1_11comp_targetILNS1_3genE8ELNS1_11target_archE1030ELNS1_3gpuE2ELNS1_3repE0EEENS1_48merge_mergepath_partition_config_static_selectorELNS0_4arch9wavefront6targetE1EEEvSH_.numbered_sgpr, 0
	.set _ZN7rocprim17ROCPRIM_400000_NS6detail17trampoline_kernelINS0_14default_configENS1_38merge_sort_block_merge_config_selectorIslEEZZNS1_27merge_sort_block_merge_implIS3_PsN6thrust23THRUST_200600_302600_NS10device_ptrIlEEjNS1_19radix_merge_compareILb0ELb0EsNS0_19identity_decomposerEEEEE10hipError_tT0_T1_T2_jT3_P12ihipStream_tbPNSt15iterator_traitsISG_E10value_typeEPNSM_ISH_E10value_typeEPSI_NS1_7vsmem_tEENKUlT_SG_SH_SI_E_clIS7_S7_PlSB_EESF_SV_SG_SH_SI_EUlSV_E_NS1_11comp_targetILNS1_3genE8ELNS1_11target_archE1030ELNS1_3gpuE2ELNS1_3repE0EEENS1_48merge_mergepath_partition_config_static_selectorELNS0_4arch9wavefront6targetE1EEEvSH_.num_named_barrier, 0
	.set _ZN7rocprim17ROCPRIM_400000_NS6detail17trampoline_kernelINS0_14default_configENS1_38merge_sort_block_merge_config_selectorIslEEZZNS1_27merge_sort_block_merge_implIS3_PsN6thrust23THRUST_200600_302600_NS10device_ptrIlEEjNS1_19radix_merge_compareILb0ELb0EsNS0_19identity_decomposerEEEEE10hipError_tT0_T1_T2_jT3_P12ihipStream_tbPNSt15iterator_traitsISG_E10value_typeEPNSM_ISH_E10value_typeEPSI_NS1_7vsmem_tEENKUlT_SG_SH_SI_E_clIS7_S7_PlSB_EESF_SV_SG_SH_SI_EUlSV_E_NS1_11comp_targetILNS1_3genE8ELNS1_11target_archE1030ELNS1_3gpuE2ELNS1_3repE0EEENS1_48merge_mergepath_partition_config_static_selectorELNS0_4arch9wavefront6targetE1EEEvSH_.private_seg_size, 0
	.set _ZN7rocprim17ROCPRIM_400000_NS6detail17trampoline_kernelINS0_14default_configENS1_38merge_sort_block_merge_config_selectorIslEEZZNS1_27merge_sort_block_merge_implIS3_PsN6thrust23THRUST_200600_302600_NS10device_ptrIlEEjNS1_19radix_merge_compareILb0ELb0EsNS0_19identity_decomposerEEEEE10hipError_tT0_T1_T2_jT3_P12ihipStream_tbPNSt15iterator_traitsISG_E10value_typeEPNSM_ISH_E10value_typeEPSI_NS1_7vsmem_tEENKUlT_SG_SH_SI_E_clIS7_S7_PlSB_EESF_SV_SG_SH_SI_EUlSV_E_NS1_11comp_targetILNS1_3genE8ELNS1_11target_archE1030ELNS1_3gpuE2ELNS1_3repE0EEENS1_48merge_mergepath_partition_config_static_selectorELNS0_4arch9wavefront6targetE1EEEvSH_.uses_vcc, 0
	.set _ZN7rocprim17ROCPRIM_400000_NS6detail17trampoline_kernelINS0_14default_configENS1_38merge_sort_block_merge_config_selectorIslEEZZNS1_27merge_sort_block_merge_implIS3_PsN6thrust23THRUST_200600_302600_NS10device_ptrIlEEjNS1_19radix_merge_compareILb0ELb0EsNS0_19identity_decomposerEEEEE10hipError_tT0_T1_T2_jT3_P12ihipStream_tbPNSt15iterator_traitsISG_E10value_typeEPNSM_ISH_E10value_typeEPSI_NS1_7vsmem_tEENKUlT_SG_SH_SI_E_clIS7_S7_PlSB_EESF_SV_SG_SH_SI_EUlSV_E_NS1_11comp_targetILNS1_3genE8ELNS1_11target_archE1030ELNS1_3gpuE2ELNS1_3repE0EEENS1_48merge_mergepath_partition_config_static_selectorELNS0_4arch9wavefront6targetE1EEEvSH_.uses_flat_scratch, 0
	.set _ZN7rocprim17ROCPRIM_400000_NS6detail17trampoline_kernelINS0_14default_configENS1_38merge_sort_block_merge_config_selectorIslEEZZNS1_27merge_sort_block_merge_implIS3_PsN6thrust23THRUST_200600_302600_NS10device_ptrIlEEjNS1_19radix_merge_compareILb0ELb0EsNS0_19identity_decomposerEEEEE10hipError_tT0_T1_T2_jT3_P12ihipStream_tbPNSt15iterator_traitsISG_E10value_typeEPNSM_ISH_E10value_typeEPSI_NS1_7vsmem_tEENKUlT_SG_SH_SI_E_clIS7_S7_PlSB_EESF_SV_SG_SH_SI_EUlSV_E_NS1_11comp_targetILNS1_3genE8ELNS1_11target_archE1030ELNS1_3gpuE2ELNS1_3repE0EEENS1_48merge_mergepath_partition_config_static_selectorELNS0_4arch9wavefront6targetE1EEEvSH_.has_dyn_sized_stack, 0
	.set _ZN7rocprim17ROCPRIM_400000_NS6detail17trampoline_kernelINS0_14default_configENS1_38merge_sort_block_merge_config_selectorIslEEZZNS1_27merge_sort_block_merge_implIS3_PsN6thrust23THRUST_200600_302600_NS10device_ptrIlEEjNS1_19radix_merge_compareILb0ELb0EsNS0_19identity_decomposerEEEEE10hipError_tT0_T1_T2_jT3_P12ihipStream_tbPNSt15iterator_traitsISG_E10value_typeEPNSM_ISH_E10value_typeEPSI_NS1_7vsmem_tEENKUlT_SG_SH_SI_E_clIS7_S7_PlSB_EESF_SV_SG_SH_SI_EUlSV_E_NS1_11comp_targetILNS1_3genE8ELNS1_11target_archE1030ELNS1_3gpuE2ELNS1_3repE0EEENS1_48merge_mergepath_partition_config_static_selectorELNS0_4arch9wavefront6targetE1EEEvSH_.has_recursion, 0
	.set _ZN7rocprim17ROCPRIM_400000_NS6detail17trampoline_kernelINS0_14default_configENS1_38merge_sort_block_merge_config_selectorIslEEZZNS1_27merge_sort_block_merge_implIS3_PsN6thrust23THRUST_200600_302600_NS10device_ptrIlEEjNS1_19radix_merge_compareILb0ELb0EsNS0_19identity_decomposerEEEEE10hipError_tT0_T1_T2_jT3_P12ihipStream_tbPNSt15iterator_traitsISG_E10value_typeEPNSM_ISH_E10value_typeEPSI_NS1_7vsmem_tEENKUlT_SG_SH_SI_E_clIS7_S7_PlSB_EESF_SV_SG_SH_SI_EUlSV_E_NS1_11comp_targetILNS1_3genE8ELNS1_11target_archE1030ELNS1_3gpuE2ELNS1_3repE0EEENS1_48merge_mergepath_partition_config_static_selectorELNS0_4arch9wavefront6targetE1EEEvSH_.has_indirect_call, 0
	.section	.AMDGPU.csdata,"",@progbits
; Kernel info:
; codeLenInByte = 0
; TotalNumSgprs: 4
; NumVgprs: 0
; ScratchSize: 0
; MemoryBound: 0
; FloatMode: 240
; IeeeMode: 1
; LDSByteSize: 0 bytes/workgroup (compile time only)
; SGPRBlocks: 0
; VGPRBlocks: 0
; NumSGPRsForWavesPerEU: 4
; NumVGPRsForWavesPerEU: 1
; Occupancy: 10
; WaveLimiterHint : 0
; COMPUTE_PGM_RSRC2:SCRATCH_EN: 0
; COMPUTE_PGM_RSRC2:USER_SGPR: 6
; COMPUTE_PGM_RSRC2:TRAP_HANDLER: 0
; COMPUTE_PGM_RSRC2:TGID_X_EN: 1
; COMPUTE_PGM_RSRC2:TGID_Y_EN: 0
; COMPUTE_PGM_RSRC2:TGID_Z_EN: 0
; COMPUTE_PGM_RSRC2:TIDIG_COMP_CNT: 0
	.section	.text._ZN7rocprim17ROCPRIM_400000_NS6detail17trampoline_kernelINS0_14default_configENS1_38merge_sort_block_merge_config_selectorIslEEZZNS1_27merge_sort_block_merge_implIS3_PsN6thrust23THRUST_200600_302600_NS10device_ptrIlEEjNS1_19radix_merge_compareILb0ELb0EsNS0_19identity_decomposerEEEEE10hipError_tT0_T1_T2_jT3_P12ihipStream_tbPNSt15iterator_traitsISG_E10value_typeEPNSM_ISH_E10value_typeEPSI_NS1_7vsmem_tEENKUlT_SG_SH_SI_E_clIS7_S7_PlSB_EESF_SV_SG_SH_SI_EUlSV_E0_NS1_11comp_targetILNS1_3genE0ELNS1_11target_archE4294967295ELNS1_3gpuE0ELNS1_3repE0EEENS1_38merge_mergepath_config_static_selectorELNS0_4arch9wavefront6targetE1EEEvSH_,"axG",@progbits,_ZN7rocprim17ROCPRIM_400000_NS6detail17trampoline_kernelINS0_14default_configENS1_38merge_sort_block_merge_config_selectorIslEEZZNS1_27merge_sort_block_merge_implIS3_PsN6thrust23THRUST_200600_302600_NS10device_ptrIlEEjNS1_19radix_merge_compareILb0ELb0EsNS0_19identity_decomposerEEEEE10hipError_tT0_T1_T2_jT3_P12ihipStream_tbPNSt15iterator_traitsISG_E10value_typeEPNSM_ISH_E10value_typeEPSI_NS1_7vsmem_tEENKUlT_SG_SH_SI_E_clIS7_S7_PlSB_EESF_SV_SG_SH_SI_EUlSV_E0_NS1_11comp_targetILNS1_3genE0ELNS1_11target_archE4294967295ELNS1_3gpuE0ELNS1_3repE0EEENS1_38merge_mergepath_config_static_selectorELNS0_4arch9wavefront6targetE1EEEvSH_,comdat
	.protected	_ZN7rocprim17ROCPRIM_400000_NS6detail17trampoline_kernelINS0_14default_configENS1_38merge_sort_block_merge_config_selectorIslEEZZNS1_27merge_sort_block_merge_implIS3_PsN6thrust23THRUST_200600_302600_NS10device_ptrIlEEjNS1_19radix_merge_compareILb0ELb0EsNS0_19identity_decomposerEEEEE10hipError_tT0_T1_T2_jT3_P12ihipStream_tbPNSt15iterator_traitsISG_E10value_typeEPNSM_ISH_E10value_typeEPSI_NS1_7vsmem_tEENKUlT_SG_SH_SI_E_clIS7_S7_PlSB_EESF_SV_SG_SH_SI_EUlSV_E0_NS1_11comp_targetILNS1_3genE0ELNS1_11target_archE4294967295ELNS1_3gpuE0ELNS1_3repE0EEENS1_38merge_mergepath_config_static_selectorELNS0_4arch9wavefront6targetE1EEEvSH_ ; -- Begin function _ZN7rocprim17ROCPRIM_400000_NS6detail17trampoline_kernelINS0_14default_configENS1_38merge_sort_block_merge_config_selectorIslEEZZNS1_27merge_sort_block_merge_implIS3_PsN6thrust23THRUST_200600_302600_NS10device_ptrIlEEjNS1_19radix_merge_compareILb0ELb0EsNS0_19identity_decomposerEEEEE10hipError_tT0_T1_T2_jT3_P12ihipStream_tbPNSt15iterator_traitsISG_E10value_typeEPNSM_ISH_E10value_typeEPSI_NS1_7vsmem_tEENKUlT_SG_SH_SI_E_clIS7_S7_PlSB_EESF_SV_SG_SH_SI_EUlSV_E0_NS1_11comp_targetILNS1_3genE0ELNS1_11target_archE4294967295ELNS1_3gpuE0ELNS1_3repE0EEENS1_38merge_mergepath_config_static_selectorELNS0_4arch9wavefront6targetE1EEEvSH_
	.globl	_ZN7rocprim17ROCPRIM_400000_NS6detail17trampoline_kernelINS0_14default_configENS1_38merge_sort_block_merge_config_selectorIslEEZZNS1_27merge_sort_block_merge_implIS3_PsN6thrust23THRUST_200600_302600_NS10device_ptrIlEEjNS1_19radix_merge_compareILb0ELb0EsNS0_19identity_decomposerEEEEE10hipError_tT0_T1_T2_jT3_P12ihipStream_tbPNSt15iterator_traitsISG_E10value_typeEPNSM_ISH_E10value_typeEPSI_NS1_7vsmem_tEENKUlT_SG_SH_SI_E_clIS7_S7_PlSB_EESF_SV_SG_SH_SI_EUlSV_E0_NS1_11comp_targetILNS1_3genE0ELNS1_11target_archE4294967295ELNS1_3gpuE0ELNS1_3repE0EEENS1_38merge_mergepath_config_static_selectorELNS0_4arch9wavefront6targetE1EEEvSH_
	.p2align	8
	.type	_ZN7rocprim17ROCPRIM_400000_NS6detail17trampoline_kernelINS0_14default_configENS1_38merge_sort_block_merge_config_selectorIslEEZZNS1_27merge_sort_block_merge_implIS3_PsN6thrust23THRUST_200600_302600_NS10device_ptrIlEEjNS1_19radix_merge_compareILb0ELb0EsNS0_19identity_decomposerEEEEE10hipError_tT0_T1_T2_jT3_P12ihipStream_tbPNSt15iterator_traitsISG_E10value_typeEPNSM_ISH_E10value_typeEPSI_NS1_7vsmem_tEENKUlT_SG_SH_SI_E_clIS7_S7_PlSB_EESF_SV_SG_SH_SI_EUlSV_E0_NS1_11comp_targetILNS1_3genE0ELNS1_11target_archE4294967295ELNS1_3gpuE0ELNS1_3repE0EEENS1_38merge_mergepath_config_static_selectorELNS0_4arch9wavefront6targetE1EEEvSH_,@function
_ZN7rocprim17ROCPRIM_400000_NS6detail17trampoline_kernelINS0_14default_configENS1_38merge_sort_block_merge_config_selectorIslEEZZNS1_27merge_sort_block_merge_implIS3_PsN6thrust23THRUST_200600_302600_NS10device_ptrIlEEjNS1_19radix_merge_compareILb0ELb0EsNS0_19identity_decomposerEEEEE10hipError_tT0_T1_T2_jT3_P12ihipStream_tbPNSt15iterator_traitsISG_E10value_typeEPNSM_ISH_E10value_typeEPSI_NS1_7vsmem_tEENKUlT_SG_SH_SI_E_clIS7_S7_PlSB_EESF_SV_SG_SH_SI_EUlSV_E0_NS1_11comp_targetILNS1_3genE0ELNS1_11target_archE4294967295ELNS1_3gpuE0ELNS1_3repE0EEENS1_38merge_mergepath_config_static_selectorELNS0_4arch9wavefront6targetE1EEEvSH_: ; @_ZN7rocprim17ROCPRIM_400000_NS6detail17trampoline_kernelINS0_14default_configENS1_38merge_sort_block_merge_config_selectorIslEEZZNS1_27merge_sort_block_merge_implIS3_PsN6thrust23THRUST_200600_302600_NS10device_ptrIlEEjNS1_19radix_merge_compareILb0ELb0EsNS0_19identity_decomposerEEEEE10hipError_tT0_T1_T2_jT3_P12ihipStream_tbPNSt15iterator_traitsISG_E10value_typeEPNSM_ISH_E10value_typeEPSI_NS1_7vsmem_tEENKUlT_SG_SH_SI_E_clIS7_S7_PlSB_EESF_SV_SG_SH_SI_EUlSV_E0_NS1_11comp_targetILNS1_3genE0ELNS1_11target_archE4294967295ELNS1_3gpuE0ELNS1_3repE0EEENS1_38merge_mergepath_config_static_selectorELNS0_4arch9wavefront6targetE1EEEvSH_
; %bb.0:
	.section	.rodata,"a",@progbits
	.p2align	6, 0x0
	.amdhsa_kernel _ZN7rocprim17ROCPRIM_400000_NS6detail17trampoline_kernelINS0_14default_configENS1_38merge_sort_block_merge_config_selectorIslEEZZNS1_27merge_sort_block_merge_implIS3_PsN6thrust23THRUST_200600_302600_NS10device_ptrIlEEjNS1_19radix_merge_compareILb0ELb0EsNS0_19identity_decomposerEEEEE10hipError_tT0_T1_T2_jT3_P12ihipStream_tbPNSt15iterator_traitsISG_E10value_typeEPNSM_ISH_E10value_typeEPSI_NS1_7vsmem_tEENKUlT_SG_SH_SI_E_clIS7_S7_PlSB_EESF_SV_SG_SH_SI_EUlSV_E0_NS1_11comp_targetILNS1_3genE0ELNS1_11target_archE4294967295ELNS1_3gpuE0ELNS1_3repE0EEENS1_38merge_mergepath_config_static_selectorELNS0_4arch9wavefront6targetE1EEEvSH_
		.amdhsa_group_segment_fixed_size 0
		.amdhsa_private_segment_fixed_size 0
		.amdhsa_kernarg_size 64
		.amdhsa_user_sgpr_count 6
		.amdhsa_user_sgpr_private_segment_buffer 1
		.amdhsa_user_sgpr_dispatch_ptr 0
		.amdhsa_user_sgpr_queue_ptr 0
		.amdhsa_user_sgpr_kernarg_segment_ptr 1
		.amdhsa_user_sgpr_dispatch_id 0
		.amdhsa_user_sgpr_flat_scratch_init 0
		.amdhsa_user_sgpr_private_segment_size 0
		.amdhsa_uses_dynamic_stack 0
		.amdhsa_system_sgpr_private_segment_wavefront_offset 0
		.amdhsa_system_sgpr_workgroup_id_x 1
		.amdhsa_system_sgpr_workgroup_id_y 0
		.amdhsa_system_sgpr_workgroup_id_z 0
		.amdhsa_system_sgpr_workgroup_info 0
		.amdhsa_system_vgpr_workitem_id 0
		.amdhsa_next_free_vgpr 1
		.amdhsa_next_free_sgpr 0
		.amdhsa_reserve_vcc 0
		.amdhsa_reserve_flat_scratch 0
		.amdhsa_float_round_mode_32 0
		.amdhsa_float_round_mode_16_64 0
		.amdhsa_float_denorm_mode_32 3
		.amdhsa_float_denorm_mode_16_64 3
		.amdhsa_dx10_clamp 1
		.amdhsa_ieee_mode 1
		.amdhsa_fp16_overflow 0
		.amdhsa_exception_fp_ieee_invalid_op 0
		.amdhsa_exception_fp_denorm_src 0
		.amdhsa_exception_fp_ieee_div_zero 0
		.amdhsa_exception_fp_ieee_overflow 0
		.amdhsa_exception_fp_ieee_underflow 0
		.amdhsa_exception_fp_ieee_inexact 0
		.amdhsa_exception_int_div_zero 0
	.end_amdhsa_kernel
	.section	.text._ZN7rocprim17ROCPRIM_400000_NS6detail17trampoline_kernelINS0_14default_configENS1_38merge_sort_block_merge_config_selectorIslEEZZNS1_27merge_sort_block_merge_implIS3_PsN6thrust23THRUST_200600_302600_NS10device_ptrIlEEjNS1_19radix_merge_compareILb0ELb0EsNS0_19identity_decomposerEEEEE10hipError_tT0_T1_T2_jT3_P12ihipStream_tbPNSt15iterator_traitsISG_E10value_typeEPNSM_ISH_E10value_typeEPSI_NS1_7vsmem_tEENKUlT_SG_SH_SI_E_clIS7_S7_PlSB_EESF_SV_SG_SH_SI_EUlSV_E0_NS1_11comp_targetILNS1_3genE0ELNS1_11target_archE4294967295ELNS1_3gpuE0ELNS1_3repE0EEENS1_38merge_mergepath_config_static_selectorELNS0_4arch9wavefront6targetE1EEEvSH_,"axG",@progbits,_ZN7rocprim17ROCPRIM_400000_NS6detail17trampoline_kernelINS0_14default_configENS1_38merge_sort_block_merge_config_selectorIslEEZZNS1_27merge_sort_block_merge_implIS3_PsN6thrust23THRUST_200600_302600_NS10device_ptrIlEEjNS1_19radix_merge_compareILb0ELb0EsNS0_19identity_decomposerEEEEE10hipError_tT0_T1_T2_jT3_P12ihipStream_tbPNSt15iterator_traitsISG_E10value_typeEPNSM_ISH_E10value_typeEPSI_NS1_7vsmem_tEENKUlT_SG_SH_SI_E_clIS7_S7_PlSB_EESF_SV_SG_SH_SI_EUlSV_E0_NS1_11comp_targetILNS1_3genE0ELNS1_11target_archE4294967295ELNS1_3gpuE0ELNS1_3repE0EEENS1_38merge_mergepath_config_static_selectorELNS0_4arch9wavefront6targetE1EEEvSH_,comdat
.Lfunc_end1284:
	.size	_ZN7rocprim17ROCPRIM_400000_NS6detail17trampoline_kernelINS0_14default_configENS1_38merge_sort_block_merge_config_selectorIslEEZZNS1_27merge_sort_block_merge_implIS3_PsN6thrust23THRUST_200600_302600_NS10device_ptrIlEEjNS1_19radix_merge_compareILb0ELb0EsNS0_19identity_decomposerEEEEE10hipError_tT0_T1_T2_jT3_P12ihipStream_tbPNSt15iterator_traitsISG_E10value_typeEPNSM_ISH_E10value_typeEPSI_NS1_7vsmem_tEENKUlT_SG_SH_SI_E_clIS7_S7_PlSB_EESF_SV_SG_SH_SI_EUlSV_E0_NS1_11comp_targetILNS1_3genE0ELNS1_11target_archE4294967295ELNS1_3gpuE0ELNS1_3repE0EEENS1_38merge_mergepath_config_static_selectorELNS0_4arch9wavefront6targetE1EEEvSH_, .Lfunc_end1284-_ZN7rocprim17ROCPRIM_400000_NS6detail17trampoline_kernelINS0_14default_configENS1_38merge_sort_block_merge_config_selectorIslEEZZNS1_27merge_sort_block_merge_implIS3_PsN6thrust23THRUST_200600_302600_NS10device_ptrIlEEjNS1_19radix_merge_compareILb0ELb0EsNS0_19identity_decomposerEEEEE10hipError_tT0_T1_T2_jT3_P12ihipStream_tbPNSt15iterator_traitsISG_E10value_typeEPNSM_ISH_E10value_typeEPSI_NS1_7vsmem_tEENKUlT_SG_SH_SI_E_clIS7_S7_PlSB_EESF_SV_SG_SH_SI_EUlSV_E0_NS1_11comp_targetILNS1_3genE0ELNS1_11target_archE4294967295ELNS1_3gpuE0ELNS1_3repE0EEENS1_38merge_mergepath_config_static_selectorELNS0_4arch9wavefront6targetE1EEEvSH_
                                        ; -- End function
	.set _ZN7rocprim17ROCPRIM_400000_NS6detail17trampoline_kernelINS0_14default_configENS1_38merge_sort_block_merge_config_selectorIslEEZZNS1_27merge_sort_block_merge_implIS3_PsN6thrust23THRUST_200600_302600_NS10device_ptrIlEEjNS1_19radix_merge_compareILb0ELb0EsNS0_19identity_decomposerEEEEE10hipError_tT0_T1_T2_jT3_P12ihipStream_tbPNSt15iterator_traitsISG_E10value_typeEPNSM_ISH_E10value_typeEPSI_NS1_7vsmem_tEENKUlT_SG_SH_SI_E_clIS7_S7_PlSB_EESF_SV_SG_SH_SI_EUlSV_E0_NS1_11comp_targetILNS1_3genE0ELNS1_11target_archE4294967295ELNS1_3gpuE0ELNS1_3repE0EEENS1_38merge_mergepath_config_static_selectorELNS0_4arch9wavefront6targetE1EEEvSH_.num_vgpr, 0
	.set _ZN7rocprim17ROCPRIM_400000_NS6detail17trampoline_kernelINS0_14default_configENS1_38merge_sort_block_merge_config_selectorIslEEZZNS1_27merge_sort_block_merge_implIS3_PsN6thrust23THRUST_200600_302600_NS10device_ptrIlEEjNS1_19radix_merge_compareILb0ELb0EsNS0_19identity_decomposerEEEEE10hipError_tT0_T1_T2_jT3_P12ihipStream_tbPNSt15iterator_traitsISG_E10value_typeEPNSM_ISH_E10value_typeEPSI_NS1_7vsmem_tEENKUlT_SG_SH_SI_E_clIS7_S7_PlSB_EESF_SV_SG_SH_SI_EUlSV_E0_NS1_11comp_targetILNS1_3genE0ELNS1_11target_archE4294967295ELNS1_3gpuE0ELNS1_3repE0EEENS1_38merge_mergepath_config_static_selectorELNS0_4arch9wavefront6targetE1EEEvSH_.num_agpr, 0
	.set _ZN7rocprim17ROCPRIM_400000_NS6detail17trampoline_kernelINS0_14default_configENS1_38merge_sort_block_merge_config_selectorIslEEZZNS1_27merge_sort_block_merge_implIS3_PsN6thrust23THRUST_200600_302600_NS10device_ptrIlEEjNS1_19radix_merge_compareILb0ELb0EsNS0_19identity_decomposerEEEEE10hipError_tT0_T1_T2_jT3_P12ihipStream_tbPNSt15iterator_traitsISG_E10value_typeEPNSM_ISH_E10value_typeEPSI_NS1_7vsmem_tEENKUlT_SG_SH_SI_E_clIS7_S7_PlSB_EESF_SV_SG_SH_SI_EUlSV_E0_NS1_11comp_targetILNS1_3genE0ELNS1_11target_archE4294967295ELNS1_3gpuE0ELNS1_3repE0EEENS1_38merge_mergepath_config_static_selectorELNS0_4arch9wavefront6targetE1EEEvSH_.numbered_sgpr, 0
	.set _ZN7rocprim17ROCPRIM_400000_NS6detail17trampoline_kernelINS0_14default_configENS1_38merge_sort_block_merge_config_selectorIslEEZZNS1_27merge_sort_block_merge_implIS3_PsN6thrust23THRUST_200600_302600_NS10device_ptrIlEEjNS1_19radix_merge_compareILb0ELb0EsNS0_19identity_decomposerEEEEE10hipError_tT0_T1_T2_jT3_P12ihipStream_tbPNSt15iterator_traitsISG_E10value_typeEPNSM_ISH_E10value_typeEPSI_NS1_7vsmem_tEENKUlT_SG_SH_SI_E_clIS7_S7_PlSB_EESF_SV_SG_SH_SI_EUlSV_E0_NS1_11comp_targetILNS1_3genE0ELNS1_11target_archE4294967295ELNS1_3gpuE0ELNS1_3repE0EEENS1_38merge_mergepath_config_static_selectorELNS0_4arch9wavefront6targetE1EEEvSH_.num_named_barrier, 0
	.set _ZN7rocprim17ROCPRIM_400000_NS6detail17trampoline_kernelINS0_14default_configENS1_38merge_sort_block_merge_config_selectorIslEEZZNS1_27merge_sort_block_merge_implIS3_PsN6thrust23THRUST_200600_302600_NS10device_ptrIlEEjNS1_19radix_merge_compareILb0ELb0EsNS0_19identity_decomposerEEEEE10hipError_tT0_T1_T2_jT3_P12ihipStream_tbPNSt15iterator_traitsISG_E10value_typeEPNSM_ISH_E10value_typeEPSI_NS1_7vsmem_tEENKUlT_SG_SH_SI_E_clIS7_S7_PlSB_EESF_SV_SG_SH_SI_EUlSV_E0_NS1_11comp_targetILNS1_3genE0ELNS1_11target_archE4294967295ELNS1_3gpuE0ELNS1_3repE0EEENS1_38merge_mergepath_config_static_selectorELNS0_4arch9wavefront6targetE1EEEvSH_.private_seg_size, 0
	.set _ZN7rocprim17ROCPRIM_400000_NS6detail17trampoline_kernelINS0_14default_configENS1_38merge_sort_block_merge_config_selectorIslEEZZNS1_27merge_sort_block_merge_implIS3_PsN6thrust23THRUST_200600_302600_NS10device_ptrIlEEjNS1_19radix_merge_compareILb0ELb0EsNS0_19identity_decomposerEEEEE10hipError_tT0_T1_T2_jT3_P12ihipStream_tbPNSt15iterator_traitsISG_E10value_typeEPNSM_ISH_E10value_typeEPSI_NS1_7vsmem_tEENKUlT_SG_SH_SI_E_clIS7_S7_PlSB_EESF_SV_SG_SH_SI_EUlSV_E0_NS1_11comp_targetILNS1_3genE0ELNS1_11target_archE4294967295ELNS1_3gpuE0ELNS1_3repE0EEENS1_38merge_mergepath_config_static_selectorELNS0_4arch9wavefront6targetE1EEEvSH_.uses_vcc, 0
	.set _ZN7rocprim17ROCPRIM_400000_NS6detail17trampoline_kernelINS0_14default_configENS1_38merge_sort_block_merge_config_selectorIslEEZZNS1_27merge_sort_block_merge_implIS3_PsN6thrust23THRUST_200600_302600_NS10device_ptrIlEEjNS1_19radix_merge_compareILb0ELb0EsNS0_19identity_decomposerEEEEE10hipError_tT0_T1_T2_jT3_P12ihipStream_tbPNSt15iterator_traitsISG_E10value_typeEPNSM_ISH_E10value_typeEPSI_NS1_7vsmem_tEENKUlT_SG_SH_SI_E_clIS7_S7_PlSB_EESF_SV_SG_SH_SI_EUlSV_E0_NS1_11comp_targetILNS1_3genE0ELNS1_11target_archE4294967295ELNS1_3gpuE0ELNS1_3repE0EEENS1_38merge_mergepath_config_static_selectorELNS0_4arch9wavefront6targetE1EEEvSH_.uses_flat_scratch, 0
	.set _ZN7rocprim17ROCPRIM_400000_NS6detail17trampoline_kernelINS0_14default_configENS1_38merge_sort_block_merge_config_selectorIslEEZZNS1_27merge_sort_block_merge_implIS3_PsN6thrust23THRUST_200600_302600_NS10device_ptrIlEEjNS1_19radix_merge_compareILb0ELb0EsNS0_19identity_decomposerEEEEE10hipError_tT0_T1_T2_jT3_P12ihipStream_tbPNSt15iterator_traitsISG_E10value_typeEPNSM_ISH_E10value_typeEPSI_NS1_7vsmem_tEENKUlT_SG_SH_SI_E_clIS7_S7_PlSB_EESF_SV_SG_SH_SI_EUlSV_E0_NS1_11comp_targetILNS1_3genE0ELNS1_11target_archE4294967295ELNS1_3gpuE0ELNS1_3repE0EEENS1_38merge_mergepath_config_static_selectorELNS0_4arch9wavefront6targetE1EEEvSH_.has_dyn_sized_stack, 0
	.set _ZN7rocprim17ROCPRIM_400000_NS6detail17trampoline_kernelINS0_14default_configENS1_38merge_sort_block_merge_config_selectorIslEEZZNS1_27merge_sort_block_merge_implIS3_PsN6thrust23THRUST_200600_302600_NS10device_ptrIlEEjNS1_19radix_merge_compareILb0ELb0EsNS0_19identity_decomposerEEEEE10hipError_tT0_T1_T2_jT3_P12ihipStream_tbPNSt15iterator_traitsISG_E10value_typeEPNSM_ISH_E10value_typeEPSI_NS1_7vsmem_tEENKUlT_SG_SH_SI_E_clIS7_S7_PlSB_EESF_SV_SG_SH_SI_EUlSV_E0_NS1_11comp_targetILNS1_3genE0ELNS1_11target_archE4294967295ELNS1_3gpuE0ELNS1_3repE0EEENS1_38merge_mergepath_config_static_selectorELNS0_4arch9wavefront6targetE1EEEvSH_.has_recursion, 0
	.set _ZN7rocprim17ROCPRIM_400000_NS6detail17trampoline_kernelINS0_14default_configENS1_38merge_sort_block_merge_config_selectorIslEEZZNS1_27merge_sort_block_merge_implIS3_PsN6thrust23THRUST_200600_302600_NS10device_ptrIlEEjNS1_19radix_merge_compareILb0ELb0EsNS0_19identity_decomposerEEEEE10hipError_tT0_T1_T2_jT3_P12ihipStream_tbPNSt15iterator_traitsISG_E10value_typeEPNSM_ISH_E10value_typeEPSI_NS1_7vsmem_tEENKUlT_SG_SH_SI_E_clIS7_S7_PlSB_EESF_SV_SG_SH_SI_EUlSV_E0_NS1_11comp_targetILNS1_3genE0ELNS1_11target_archE4294967295ELNS1_3gpuE0ELNS1_3repE0EEENS1_38merge_mergepath_config_static_selectorELNS0_4arch9wavefront6targetE1EEEvSH_.has_indirect_call, 0
	.section	.AMDGPU.csdata,"",@progbits
; Kernel info:
; codeLenInByte = 0
; TotalNumSgprs: 4
; NumVgprs: 0
; ScratchSize: 0
; MemoryBound: 0
; FloatMode: 240
; IeeeMode: 1
; LDSByteSize: 0 bytes/workgroup (compile time only)
; SGPRBlocks: 0
; VGPRBlocks: 0
; NumSGPRsForWavesPerEU: 4
; NumVGPRsForWavesPerEU: 1
; Occupancy: 10
; WaveLimiterHint : 0
; COMPUTE_PGM_RSRC2:SCRATCH_EN: 0
; COMPUTE_PGM_RSRC2:USER_SGPR: 6
; COMPUTE_PGM_RSRC2:TRAP_HANDLER: 0
; COMPUTE_PGM_RSRC2:TGID_X_EN: 1
; COMPUTE_PGM_RSRC2:TGID_Y_EN: 0
; COMPUTE_PGM_RSRC2:TGID_Z_EN: 0
; COMPUTE_PGM_RSRC2:TIDIG_COMP_CNT: 0
	.section	.text._ZN7rocprim17ROCPRIM_400000_NS6detail17trampoline_kernelINS0_14default_configENS1_38merge_sort_block_merge_config_selectorIslEEZZNS1_27merge_sort_block_merge_implIS3_PsN6thrust23THRUST_200600_302600_NS10device_ptrIlEEjNS1_19radix_merge_compareILb0ELb0EsNS0_19identity_decomposerEEEEE10hipError_tT0_T1_T2_jT3_P12ihipStream_tbPNSt15iterator_traitsISG_E10value_typeEPNSM_ISH_E10value_typeEPSI_NS1_7vsmem_tEENKUlT_SG_SH_SI_E_clIS7_S7_PlSB_EESF_SV_SG_SH_SI_EUlSV_E0_NS1_11comp_targetILNS1_3genE10ELNS1_11target_archE1201ELNS1_3gpuE5ELNS1_3repE0EEENS1_38merge_mergepath_config_static_selectorELNS0_4arch9wavefront6targetE1EEEvSH_,"axG",@progbits,_ZN7rocprim17ROCPRIM_400000_NS6detail17trampoline_kernelINS0_14default_configENS1_38merge_sort_block_merge_config_selectorIslEEZZNS1_27merge_sort_block_merge_implIS3_PsN6thrust23THRUST_200600_302600_NS10device_ptrIlEEjNS1_19radix_merge_compareILb0ELb0EsNS0_19identity_decomposerEEEEE10hipError_tT0_T1_T2_jT3_P12ihipStream_tbPNSt15iterator_traitsISG_E10value_typeEPNSM_ISH_E10value_typeEPSI_NS1_7vsmem_tEENKUlT_SG_SH_SI_E_clIS7_S7_PlSB_EESF_SV_SG_SH_SI_EUlSV_E0_NS1_11comp_targetILNS1_3genE10ELNS1_11target_archE1201ELNS1_3gpuE5ELNS1_3repE0EEENS1_38merge_mergepath_config_static_selectorELNS0_4arch9wavefront6targetE1EEEvSH_,comdat
	.protected	_ZN7rocprim17ROCPRIM_400000_NS6detail17trampoline_kernelINS0_14default_configENS1_38merge_sort_block_merge_config_selectorIslEEZZNS1_27merge_sort_block_merge_implIS3_PsN6thrust23THRUST_200600_302600_NS10device_ptrIlEEjNS1_19radix_merge_compareILb0ELb0EsNS0_19identity_decomposerEEEEE10hipError_tT0_T1_T2_jT3_P12ihipStream_tbPNSt15iterator_traitsISG_E10value_typeEPNSM_ISH_E10value_typeEPSI_NS1_7vsmem_tEENKUlT_SG_SH_SI_E_clIS7_S7_PlSB_EESF_SV_SG_SH_SI_EUlSV_E0_NS1_11comp_targetILNS1_3genE10ELNS1_11target_archE1201ELNS1_3gpuE5ELNS1_3repE0EEENS1_38merge_mergepath_config_static_selectorELNS0_4arch9wavefront6targetE1EEEvSH_ ; -- Begin function _ZN7rocprim17ROCPRIM_400000_NS6detail17trampoline_kernelINS0_14default_configENS1_38merge_sort_block_merge_config_selectorIslEEZZNS1_27merge_sort_block_merge_implIS3_PsN6thrust23THRUST_200600_302600_NS10device_ptrIlEEjNS1_19radix_merge_compareILb0ELb0EsNS0_19identity_decomposerEEEEE10hipError_tT0_T1_T2_jT3_P12ihipStream_tbPNSt15iterator_traitsISG_E10value_typeEPNSM_ISH_E10value_typeEPSI_NS1_7vsmem_tEENKUlT_SG_SH_SI_E_clIS7_S7_PlSB_EESF_SV_SG_SH_SI_EUlSV_E0_NS1_11comp_targetILNS1_3genE10ELNS1_11target_archE1201ELNS1_3gpuE5ELNS1_3repE0EEENS1_38merge_mergepath_config_static_selectorELNS0_4arch9wavefront6targetE1EEEvSH_
	.globl	_ZN7rocprim17ROCPRIM_400000_NS6detail17trampoline_kernelINS0_14default_configENS1_38merge_sort_block_merge_config_selectorIslEEZZNS1_27merge_sort_block_merge_implIS3_PsN6thrust23THRUST_200600_302600_NS10device_ptrIlEEjNS1_19radix_merge_compareILb0ELb0EsNS0_19identity_decomposerEEEEE10hipError_tT0_T1_T2_jT3_P12ihipStream_tbPNSt15iterator_traitsISG_E10value_typeEPNSM_ISH_E10value_typeEPSI_NS1_7vsmem_tEENKUlT_SG_SH_SI_E_clIS7_S7_PlSB_EESF_SV_SG_SH_SI_EUlSV_E0_NS1_11comp_targetILNS1_3genE10ELNS1_11target_archE1201ELNS1_3gpuE5ELNS1_3repE0EEENS1_38merge_mergepath_config_static_selectorELNS0_4arch9wavefront6targetE1EEEvSH_
	.p2align	8
	.type	_ZN7rocprim17ROCPRIM_400000_NS6detail17trampoline_kernelINS0_14default_configENS1_38merge_sort_block_merge_config_selectorIslEEZZNS1_27merge_sort_block_merge_implIS3_PsN6thrust23THRUST_200600_302600_NS10device_ptrIlEEjNS1_19radix_merge_compareILb0ELb0EsNS0_19identity_decomposerEEEEE10hipError_tT0_T1_T2_jT3_P12ihipStream_tbPNSt15iterator_traitsISG_E10value_typeEPNSM_ISH_E10value_typeEPSI_NS1_7vsmem_tEENKUlT_SG_SH_SI_E_clIS7_S7_PlSB_EESF_SV_SG_SH_SI_EUlSV_E0_NS1_11comp_targetILNS1_3genE10ELNS1_11target_archE1201ELNS1_3gpuE5ELNS1_3repE0EEENS1_38merge_mergepath_config_static_selectorELNS0_4arch9wavefront6targetE1EEEvSH_,@function
_ZN7rocprim17ROCPRIM_400000_NS6detail17trampoline_kernelINS0_14default_configENS1_38merge_sort_block_merge_config_selectorIslEEZZNS1_27merge_sort_block_merge_implIS3_PsN6thrust23THRUST_200600_302600_NS10device_ptrIlEEjNS1_19radix_merge_compareILb0ELb0EsNS0_19identity_decomposerEEEEE10hipError_tT0_T1_T2_jT3_P12ihipStream_tbPNSt15iterator_traitsISG_E10value_typeEPNSM_ISH_E10value_typeEPSI_NS1_7vsmem_tEENKUlT_SG_SH_SI_E_clIS7_S7_PlSB_EESF_SV_SG_SH_SI_EUlSV_E0_NS1_11comp_targetILNS1_3genE10ELNS1_11target_archE1201ELNS1_3gpuE5ELNS1_3repE0EEENS1_38merge_mergepath_config_static_selectorELNS0_4arch9wavefront6targetE1EEEvSH_: ; @_ZN7rocprim17ROCPRIM_400000_NS6detail17trampoline_kernelINS0_14default_configENS1_38merge_sort_block_merge_config_selectorIslEEZZNS1_27merge_sort_block_merge_implIS3_PsN6thrust23THRUST_200600_302600_NS10device_ptrIlEEjNS1_19radix_merge_compareILb0ELb0EsNS0_19identity_decomposerEEEEE10hipError_tT0_T1_T2_jT3_P12ihipStream_tbPNSt15iterator_traitsISG_E10value_typeEPNSM_ISH_E10value_typeEPSI_NS1_7vsmem_tEENKUlT_SG_SH_SI_E_clIS7_S7_PlSB_EESF_SV_SG_SH_SI_EUlSV_E0_NS1_11comp_targetILNS1_3genE10ELNS1_11target_archE1201ELNS1_3gpuE5ELNS1_3repE0EEENS1_38merge_mergepath_config_static_selectorELNS0_4arch9wavefront6targetE1EEEvSH_
; %bb.0:
	.section	.rodata,"a",@progbits
	.p2align	6, 0x0
	.amdhsa_kernel _ZN7rocprim17ROCPRIM_400000_NS6detail17trampoline_kernelINS0_14default_configENS1_38merge_sort_block_merge_config_selectorIslEEZZNS1_27merge_sort_block_merge_implIS3_PsN6thrust23THRUST_200600_302600_NS10device_ptrIlEEjNS1_19radix_merge_compareILb0ELb0EsNS0_19identity_decomposerEEEEE10hipError_tT0_T1_T2_jT3_P12ihipStream_tbPNSt15iterator_traitsISG_E10value_typeEPNSM_ISH_E10value_typeEPSI_NS1_7vsmem_tEENKUlT_SG_SH_SI_E_clIS7_S7_PlSB_EESF_SV_SG_SH_SI_EUlSV_E0_NS1_11comp_targetILNS1_3genE10ELNS1_11target_archE1201ELNS1_3gpuE5ELNS1_3repE0EEENS1_38merge_mergepath_config_static_selectorELNS0_4arch9wavefront6targetE1EEEvSH_
		.amdhsa_group_segment_fixed_size 0
		.amdhsa_private_segment_fixed_size 0
		.amdhsa_kernarg_size 64
		.amdhsa_user_sgpr_count 6
		.amdhsa_user_sgpr_private_segment_buffer 1
		.amdhsa_user_sgpr_dispatch_ptr 0
		.amdhsa_user_sgpr_queue_ptr 0
		.amdhsa_user_sgpr_kernarg_segment_ptr 1
		.amdhsa_user_sgpr_dispatch_id 0
		.amdhsa_user_sgpr_flat_scratch_init 0
		.amdhsa_user_sgpr_private_segment_size 0
		.amdhsa_uses_dynamic_stack 0
		.amdhsa_system_sgpr_private_segment_wavefront_offset 0
		.amdhsa_system_sgpr_workgroup_id_x 1
		.amdhsa_system_sgpr_workgroup_id_y 0
		.amdhsa_system_sgpr_workgroup_id_z 0
		.amdhsa_system_sgpr_workgroup_info 0
		.amdhsa_system_vgpr_workitem_id 0
		.amdhsa_next_free_vgpr 1
		.amdhsa_next_free_sgpr 0
		.amdhsa_reserve_vcc 0
		.amdhsa_reserve_flat_scratch 0
		.amdhsa_float_round_mode_32 0
		.amdhsa_float_round_mode_16_64 0
		.amdhsa_float_denorm_mode_32 3
		.amdhsa_float_denorm_mode_16_64 3
		.amdhsa_dx10_clamp 1
		.amdhsa_ieee_mode 1
		.amdhsa_fp16_overflow 0
		.amdhsa_exception_fp_ieee_invalid_op 0
		.amdhsa_exception_fp_denorm_src 0
		.amdhsa_exception_fp_ieee_div_zero 0
		.amdhsa_exception_fp_ieee_overflow 0
		.amdhsa_exception_fp_ieee_underflow 0
		.amdhsa_exception_fp_ieee_inexact 0
		.amdhsa_exception_int_div_zero 0
	.end_amdhsa_kernel
	.section	.text._ZN7rocprim17ROCPRIM_400000_NS6detail17trampoline_kernelINS0_14default_configENS1_38merge_sort_block_merge_config_selectorIslEEZZNS1_27merge_sort_block_merge_implIS3_PsN6thrust23THRUST_200600_302600_NS10device_ptrIlEEjNS1_19radix_merge_compareILb0ELb0EsNS0_19identity_decomposerEEEEE10hipError_tT0_T1_T2_jT3_P12ihipStream_tbPNSt15iterator_traitsISG_E10value_typeEPNSM_ISH_E10value_typeEPSI_NS1_7vsmem_tEENKUlT_SG_SH_SI_E_clIS7_S7_PlSB_EESF_SV_SG_SH_SI_EUlSV_E0_NS1_11comp_targetILNS1_3genE10ELNS1_11target_archE1201ELNS1_3gpuE5ELNS1_3repE0EEENS1_38merge_mergepath_config_static_selectorELNS0_4arch9wavefront6targetE1EEEvSH_,"axG",@progbits,_ZN7rocprim17ROCPRIM_400000_NS6detail17trampoline_kernelINS0_14default_configENS1_38merge_sort_block_merge_config_selectorIslEEZZNS1_27merge_sort_block_merge_implIS3_PsN6thrust23THRUST_200600_302600_NS10device_ptrIlEEjNS1_19radix_merge_compareILb0ELb0EsNS0_19identity_decomposerEEEEE10hipError_tT0_T1_T2_jT3_P12ihipStream_tbPNSt15iterator_traitsISG_E10value_typeEPNSM_ISH_E10value_typeEPSI_NS1_7vsmem_tEENKUlT_SG_SH_SI_E_clIS7_S7_PlSB_EESF_SV_SG_SH_SI_EUlSV_E0_NS1_11comp_targetILNS1_3genE10ELNS1_11target_archE1201ELNS1_3gpuE5ELNS1_3repE0EEENS1_38merge_mergepath_config_static_selectorELNS0_4arch9wavefront6targetE1EEEvSH_,comdat
.Lfunc_end1285:
	.size	_ZN7rocprim17ROCPRIM_400000_NS6detail17trampoline_kernelINS0_14default_configENS1_38merge_sort_block_merge_config_selectorIslEEZZNS1_27merge_sort_block_merge_implIS3_PsN6thrust23THRUST_200600_302600_NS10device_ptrIlEEjNS1_19radix_merge_compareILb0ELb0EsNS0_19identity_decomposerEEEEE10hipError_tT0_T1_T2_jT3_P12ihipStream_tbPNSt15iterator_traitsISG_E10value_typeEPNSM_ISH_E10value_typeEPSI_NS1_7vsmem_tEENKUlT_SG_SH_SI_E_clIS7_S7_PlSB_EESF_SV_SG_SH_SI_EUlSV_E0_NS1_11comp_targetILNS1_3genE10ELNS1_11target_archE1201ELNS1_3gpuE5ELNS1_3repE0EEENS1_38merge_mergepath_config_static_selectorELNS0_4arch9wavefront6targetE1EEEvSH_, .Lfunc_end1285-_ZN7rocprim17ROCPRIM_400000_NS6detail17trampoline_kernelINS0_14default_configENS1_38merge_sort_block_merge_config_selectorIslEEZZNS1_27merge_sort_block_merge_implIS3_PsN6thrust23THRUST_200600_302600_NS10device_ptrIlEEjNS1_19radix_merge_compareILb0ELb0EsNS0_19identity_decomposerEEEEE10hipError_tT0_T1_T2_jT3_P12ihipStream_tbPNSt15iterator_traitsISG_E10value_typeEPNSM_ISH_E10value_typeEPSI_NS1_7vsmem_tEENKUlT_SG_SH_SI_E_clIS7_S7_PlSB_EESF_SV_SG_SH_SI_EUlSV_E0_NS1_11comp_targetILNS1_3genE10ELNS1_11target_archE1201ELNS1_3gpuE5ELNS1_3repE0EEENS1_38merge_mergepath_config_static_selectorELNS0_4arch9wavefront6targetE1EEEvSH_
                                        ; -- End function
	.set _ZN7rocprim17ROCPRIM_400000_NS6detail17trampoline_kernelINS0_14default_configENS1_38merge_sort_block_merge_config_selectorIslEEZZNS1_27merge_sort_block_merge_implIS3_PsN6thrust23THRUST_200600_302600_NS10device_ptrIlEEjNS1_19radix_merge_compareILb0ELb0EsNS0_19identity_decomposerEEEEE10hipError_tT0_T1_T2_jT3_P12ihipStream_tbPNSt15iterator_traitsISG_E10value_typeEPNSM_ISH_E10value_typeEPSI_NS1_7vsmem_tEENKUlT_SG_SH_SI_E_clIS7_S7_PlSB_EESF_SV_SG_SH_SI_EUlSV_E0_NS1_11comp_targetILNS1_3genE10ELNS1_11target_archE1201ELNS1_3gpuE5ELNS1_3repE0EEENS1_38merge_mergepath_config_static_selectorELNS0_4arch9wavefront6targetE1EEEvSH_.num_vgpr, 0
	.set _ZN7rocprim17ROCPRIM_400000_NS6detail17trampoline_kernelINS0_14default_configENS1_38merge_sort_block_merge_config_selectorIslEEZZNS1_27merge_sort_block_merge_implIS3_PsN6thrust23THRUST_200600_302600_NS10device_ptrIlEEjNS1_19radix_merge_compareILb0ELb0EsNS0_19identity_decomposerEEEEE10hipError_tT0_T1_T2_jT3_P12ihipStream_tbPNSt15iterator_traitsISG_E10value_typeEPNSM_ISH_E10value_typeEPSI_NS1_7vsmem_tEENKUlT_SG_SH_SI_E_clIS7_S7_PlSB_EESF_SV_SG_SH_SI_EUlSV_E0_NS1_11comp_targetILNS1_3genE10ELNS1_11target_archE1201ELNS1_3gpuE5ELNS1_3repE0EEENS1_38merge_mergepath_config_static_selectorELNS0_4arch9wavefront6targetE1EEEvSH_.num_agpr, 0
	.set _ZN7rocprim17ROCPRIM_400000_NS6detail17trampoline_kernelINS0_14default_configENS1_38merge_sort_block_merge_config_selectorIslEEZZNS1_27merge_sort_block_merge_implIS3_PsN6thrust23THRUST_200600_302600_NS10device_ptrIlEEjNS1_19radix_merge_compareILb0ELb0EsNS0_19identity_decomposerEEEEE10hipError_tT0_T1_T2_jT3_P12ihipStream_tbPNSt15iterator_traitsISG_E10value_typeEPNSM_ISH_E10value_typeEPSI_NS1_7vsmem_tEENKUlT_SG_SH_SI_E_clIS7_S7_PlSB_EESF_SV_SG_SH_SI_EUlSV_E0_NS1_11comp_targetILNS1_3genE10ELNS1_11target_archE1201ELNS1_3gpuE5ELNS1_3repE0EEENS1_38merge_mergepath_config_static_selectorELNS0_4arch9wavefront6targetE1EEEvSH_.numbered_sgpr, 0
	.set _ZN7rocprim17ROCPRIM_400000_NS6detail17trampoline_kernelINS0_14default_configENS1_38merge_sort_block_merge_config_selectorIslEEZZNS1_27merge_sort_block_merge_implIS3_PsN6thrust23THRUST_200600_302600_NS10device_ptrIlEEjNS1_19radix_merge_compareILb0ELb0EsNS0_19identity_decomposerEEEEE10hipError_tT0_T1_T2_jT3_P12ihipStream_tbPNSt15iterator_traitsISG_E10value_typeEPNSM_ISH_E10value_typeEPSI_NS1_7vsmem_tEENKUlT_SG_SH_SI_E_clIS7_S7_PlSB_EESF_SV_SG_SH_SI_EUlSV_E0_NS1_11comp_targetILNS1_3genE10ELNS1_11target_archE1201ELNS1_3gpuE5ELNS1_3repE0EEENS1_38merge_mergepath_config_static_selectorELNS0_4arch9wavefront6targetE1EEEvSH_.num_named_barrier, 0
	.set _ZN7rocprim17ROCPRIM_400000_NS6detail17trampoline_kernelINS0_14default_configENS1_38merge_sort_block_merge_config_selectorIslEEZZNS1_27merge_sort_block_merge_implIS3_PsN6thrust23THRUST_200600_302600_NS10device_ptrIlEEjNS1_19radix_merge_compareILb0ELb0EsNS0_19identity_decomposerEEEEE10hipError_tT0_T1_T2_jT3_P12ihipStream_tbPNSt15iterator_traitsISG_E10value_typeEPNSM_ISH_E10value_typeEPSI_NS1_7vsmem_tEENKUlT_SG_SH_SI_E_clIS7_S7_PlSB_EESF_SV_SG_SH_SI_EUlSV_E0_NS1_11comp_targetILNS1_3genE10ELNS1_11target_archE1201ELNS1_3gpuE5ELNS1_3repE0EEENS1_38merge_mergepath_config_static_selectorELNS0_4arch9wavefront6targetE1EEEvSH_.private_seg_size, 0
	.set _ZN7rocprim17ROCPRIM_400000_NS6detail17trampoline_kernelINS0_14default_configENS1_38merge_sort_block_merge_config_selectorIslEEZZNS1_27merge_sort_block_merge_implIS3_PsN6thrust23THRUST_200600_302600_NS10device_ptrIlEEjNS1_19radix_merge_compareILb0ELb0EsNS0_19identity_decomposerEEEEE10hipError_tT0_T1_T2_jT3_P12ihipStream_tbPNSt15iterator_traitsISG_E10value_typeEPNSM_ISH_E10value_typeEPSI_NS1_7vsmem_tEENKUlT_SG_SH_SI_E_clIS7_S7_PlSB_EESF_SV_SG_SH_SI_EUlSV_E0_NS1_11comp_targetILNS1_3genE10ELNS1_11target_archE1201ELNS1_3gpuE5ELNS1_3repE0EEENS1_38merge_mergepath_config_static_selectorELNS0_4arch9wavefront6targetE1EEEvSH_.uses_vcc, 0
	.set _ZN7rocprim17ROCPRIM_400000_NS6detail17trampoline_kernelINS0_14default_configENS1_38merge_sort_block_merge_config_selectorIslEEZZNS1_27merge_sort_block_merge_implIS3_PsN6thrust23THRUST_200600_302600_NS10device_ptrIlEEjNS1_19radix_merge_compareILb0ELb0EsNS0_19identity_decomposerEEEEE10hipError_tT0_T1_T2_jT3_P12ihipStream_tbPNSt15iterator_traitsISG_E10value_typeEPNSM_ISH_E10value_typeEPSI_NS1_7vsmem_tEENKUlT_SG_SH_SI_E_clIS7_S7_PlSB_EESF_SV_SG_SH_SI_EUlSV_E0_NS1_11comp_targetILNS1_3genE10ELNS1_11target_archE1201ELNS1_3gpuE5ELNS1_3repE0EEENS1_38merge_mergepath_config_static_selectorELNS0_4arch9wavefront6targetE1EEEvSH_.uses_flat_scratch, 0
	.set _ZN7rocprim17ROCPRIM_400000_NS6detail17trampoline_kernelINS0_14default_configENS1_38merge_sort_block_merge_config_selectorIslEEZZNS1_27merge_sort_block_merge_implIS3_PsN6thrust23THRUST_200600_302600_NS10device_ptrIlEEjNS1_19radix_merge_compareILb0ELb0EsNS0_19identity_decomposerEEEEE10hipError_tT0_T1_T2_jT3_P12ihipStream_tbPNSt15iterator_traitsISG_E10value_typeEPNSM_ISH_E10value_typeEPSI_NS1_7vsmem_tEENKUlT_SG_SH_SI_E_clIS7_S7_PlSB_EESF_SV_SG_SH_SI_EUlSV_E0_NS1_11comp_targetILNS1_3genE10ELNS1_11target_archE1201ELNS1_3gpuE5ELNS1_3repE0EEENS1_38merge_mergepath_config_static_selectorELNS0_4arch9wavefront6targetE1EEEvSH_.has_dyn_sized_stack, 0
	.set _ZN7rocprim17ROCPRIM_400000_NS6detail17trampoline_kernelINS0_14default_configENS1_38merge_sort_block_merge_config_selectorIslEEZZNS1_27merge_sort_block_merge_implIS3_PsN6thrust23THRUST_200600_302600_NS10device_ptrIlEEjNS1_19radix_merge_compareILb0ELb0EsNS0_19identity_decomposerEEEEE10hipError_tT0_T1_T2_jT3_P12ihipStream_tbPNSt15iterator_traitsISG_E10value_typeEPNSM_ISH_E10value_typeEPSI_NS1_7vsmem_tEENKUlT_SG_SH_SI_E_clIS7_S7_PlSB_EESF_SV_SG_SH_SI_EUlSV_E0_NS1_11comp_targetILNS1_3genE10ELNS1_11target_archE1201ELNS1_3gpuE5ELNS1_3repE0EEENS1_38merge_mergepath_config_static_selectorELNS0_4arch9wavefront6targetE1EEEvSH_.has_recursion, 0
	.set _ZN7rocprim17ROCPRIM_400000_NS6detail17trampoline_kernelINS0_14default_configENS1_38merge_sort_block_merge_config_selectorIslEEZZNS1_27merge_sort_block_merge_implIS3_PsN6thrust23THRUST_200600_302600_NS10device_ptrIlEEjNS1_19radix_merge_compareILb0ELb0EsNS0_19identity_decomposerEEEEE10hipError_tT0_T1_T2_jT3_P12ihipStream_tbPNSt15iterator_traitsISG_E10value_typeEPNSM_ISH_E10value_typeEPSI_NS1_7vsmem_tEENKUlT_SG_SH_SI_E_clIS7_S7_PlSB_EESF_SV_SG_SH_SI_EUlSV_E0_NS1_11comp_targetILNS1_3genE10ELNS1_11target_archE1201ELNS1_3gpuE5ELNS1_3repE0EEENS1_38merge_mergepath_config_static_selectorELNS0_4arch9wavefront6targetE1EEEvSH_.has_indirect_call, 0
	.section	.AMDGPU.csdata,"",@progbits
; Kernel info:
; codeLenInByte = 0
; TotalNumSgprs: 4
; NumVgprs: 0
; ScratchSize: 0
; MemoryBound: 0
; FloatMode: 240
; IeeeMode: 1
; LDSByteSize: 0 bytes/workgroup (compile time only)
; SGPRBlocks: 0
; VGPRBlocks: 0
; NumSGPRsForWavesPerEU: 4
; NumVGPRsForWavesPerEU: 1
; Occupancy: 10
; WaveLimiterHint : 0
; COMPUTE_PGM_RSRC2:SCRATCH_EN: 0
; COMPUTE_PGM_RSRC2:USER_SGPR: 6
; COMPUTE_PGM_RSRC2:TRAP_HANDLER: 0
; COMPUTE_PGM_RSRC2:TGID_X_EN: 1
; COMPUTE_PGM_RSRC2:TGID_Y_EN: 0
; COMPUTE_PGM_RSRC2:TGID_Z_EN: 0
; COMPUTE_PGM_RSRC2:TIDIG_COMP_CNT: 0
	.section	.text._ZN7rocprim17ROCPRIM_400000_NS6detail17trampoline_kernelINS0_14default_configENS1_38merge_sort_block_merge_config_selectorIslEEZZNS1_27merge_sort_block_merge_implIS3_PsN6thrust23THRUST_200600_302600_NS10device_ptrIlEEjNS1_19radix_merge_compareILb0ELb0EsNS0_19identity_decomposerEEEEE10hipError_tT0_T1_T2_jT3_P12ihipStream_tbPNSt15iterator_traitsISG_E10value_typeEPNSM_ISH_E10value_typeEPSI_NS1_7vsmem_tEENKUlT_SG_SH_SI_E_clIS7_S7_PlSB_EESF_SV_SG_SH_SI_EUlSV_E0_NS1_11comp_targetILNS1_3genE5ELNS1_11target_archE942ELNS1_3gpuE9ELNS1_3repE0EEENS1_38merge_mergepath_config_static_selectorELNS0_4arch9wavefront6targetE1EEEvSH_,"axG",@progbits,_ZN7rocprim17ROCPRIM_400000_NS6detail17trampoline_kernelINS0_14default_configENS1_38merge_sort_block_merge_config_selectorIslEEZZNS1_27merge_sort_block_merge_implIS3_PsN6thrust23THRUST_200600_302600_NS10device_ptrIlEEjNS1_19radix_merge_compareILb0ELb0EsNS0_19identity_decomposerEEEEE10hipError_tT0_T1_T2_jT3_P12ihipStream_tbPNSt15iterator_traitsISG_E10value_typeEPNSM_ISH_E10value_typeEPSI_NS1_7vsmem_tEENKUlT_SG_SH_SI_E_clIS7_S7_PlSB_EESF_SV_SG_SH_SI_EUlSV_E0_NS1_11comp_targetILNS1_3genE5ELNS1_11target_archE942ELNS1_3gpuE9ELNS1_3repE0EEENS1_38merge_mergepath_config_static_selectorELNS0_4arch9wavefront6targetE1EEEvSH_,comdat
	.protected	_ZN7rocprim17ROCPRIM_400000_NS6detail17trampoline_kernelINS0_14default_configENS1_38merge_sort_block_merge_config_selectorIslEEZZNS1_27merge_sort_block_merge_implIS3_PsN6thrust23THRUST_200600_302600_NS10device_ptrIlEEjNS1_19radix_merge_compareILb0ELb0EsNS0_19identity_decomposerEEEEE10hipError_tT0_T1_T2_jT3_P12ihipStream_tbPNSt15iterator_traitsISG_E10value_typeEPNSM_ISH_E10value_typeEPSI_NS1_7vsmem_tEENKUlT_SG_SH_SI_E_clIS7_S7_PlSB_EESF_SV_SG_SH_SI_EUlSV_E0_NS1_11comp_targetILNS1_3genE5ELNS1_11target_archE942ELNS1_3gpuE9ELNS1_3repE0EEENS1_38merge_mergepath_config_static_selectorELNS0_4arch9wavefront6targetE1EEEvSH_ ; -- Begin function _ZN7rocprim17ROCPRIM_400000_NS6detail17trampoline_kernelINS0_14default_configENS1_38merge_sort_block_merge_config_selectorIslEEZZNS1_27merge_sort_block_merge_implIS3_PsN6thrust23THRUST_200600_302600_NS10device_ptrIlEEjNS1_19radix_merge_compareILb0ELb0EsNS0_19identity_decomposerEEEEE10hipError_tT0_T1_T2_jT3_P12ihipStream_tbPNSt15iterator_traitsISG_E10value_typeEPNSM_ISH_E10value_typeEPSI_NS1_7vsmem_tEENKUlT_SG_SH_SI_E_clIS7_S7_PlSB_EESF_SV_SG_SH_SI_EUlSV_E0_NS1_11comp_targetILNS1_3genE5ELNS1_11target_archE942ELNS1_3gpuE9ELNS1_3repE0EEENS1_38merge_mergepath_config_static_selectorELNS0_4arch9wavefront6targetE1EEEvSH_
	.globl	_ZN7rocprim17ROCPRIM_400000_NS6detail17trampoline_kernelINS0_14default_configENS1_38merge_sort_block_merge_config_selectorIslEEZZNS1_27merge_sort_block_merge_implIS3_PsN6thrust23THRUST_200600_302600_NS10device_ptrIlEEjNS1_19radix_merge_compareILb0ELb0EsNS0_19identity_decomposerEEEEE10hipError_tT0_T1_T2_jT3_P12ihipStream_tbPNSt15iterator_traitsISG_E10value_typeEPNSM_ISH_E10value_typeEPSI_NS1_7vsmem_tEENKUlT_SG_SH_SI_E_clIS7_S7_PlSB_EESF_SV_SG_SH_SI_EUlSV_E0_NS1_11comp_targetILNS1_3genE5ELNS1_11target_archE942ELNS1_3gpuE9ELNS1_3repE0EEENS1_38merge_mergepath_config_static_selectorELNS0_4arch9wavefront6targetE1EEEvSH_
	.p2align	8
	.type	_ZN7rocprim17ROCPRIM_400000_NS6detail17trampoline_kernelINS0_14default_configENS1_38merge_sort_block_merge_config_selectorIslEEZZNS1_27merge_sort_block_merge_implIS3_PsN6thrust23THRUST_200600_302600_NS10device_ptrIlEEjNS1_19radix_merge_compareILb0ELb0EsNS0_19identity_decomposerEEEEE10hipError_tT0_T1_T2_jT3_P12ihipStream_tbPNSt15iterator_traitsISG_E10value_typeEPNSM_ISH_E10value_typeEPSI_NS1_7vsmem_tEENKUlT_SG_SH_SI_E_clIS7_S7_PlSB_EESF_SV_SG_SH_SI_EUlSV_E0_NS1_11comp_targetILNS1_3genE5ELNS1_11target_archE942ELNS1_3gpuE9ELNS1_3repE0EEENS1_38merge_mergepath_config_static_selectorELNS0_4arch9wavefront6targetE1EEEvSH_,@function
_ZN7rocprim17ROCPRIM_400000_NS6detail17trampoline_kernelINS0_14default_configENS1_38merge_sort_block_merge_config_selectorIslEEZZNS1_27merge_sort_block_merge_implIS3_PsN6thrust23THRUST_200600_302600_NS10device_ptrIlEEjNS1_19radix_merge_compareILb0ELb0EsNS0_19identity_decomposerEEEEE10hipError_tT0_T1_T2_jT3_P12ihipStream_tbPNSt15iterator_traitsISG_E10value_typeEPNSM_ISH_E10value_typeEPSI_NS1_7vsmem_tEENKUlT_SG_SH_SI_E_clIS7_S7_PlSB_EESF_SV_SG_SH_SI_EUlSV_E0_NS1_11comp_targetILNS1_3genE5ELNS1_11target_archE942ELNS1_3gpuE9ELNS1_3repE0EEENS1_38merge_mergepath_config_static_selectorELNS0_4arch9wavefront6targetE1EEEvSH_: ; @_ZN7rocprim17ROCPRIM_400000_NS6detail17trampoline_kernelINS0_14default_configENS1_38merge_sort_block_merge_config_selectorIslEEZZNS1_27merge_sort_block_merge_implIS3_PsN6thrust23THRUST_200600_302600_NS10device_ptrIlEEjNS1_19radix_merge_compareILb0ELb0EsNS0_19identity_decomposerEEEEE10hipError_tT0_T1_T2_jT3_P12ihipStream_tbPNSt15iterator_traitsISG_E10value_typeEPNSM_ISH_E10value_typeEPSI_NS1_7vsmem_tEENKUlT_SG_SH_SI_E_clIS7_S7_PlSB_EESF_SV_SG_SH_SI_EUlSV_E0_NS1_11comp_targetILNS1_3genE5ELNS1_11target_archE942ELNS1_3gpuE9ELNS1_3repE0EEENS1_38merge_mergepath_config_static_selectorELNS0_4arch9wavefront6targetE1EEEvSH_
; %bb.0:
	.section	.rodata,"a",@progbits
	.p2align	6, 0x0
	.amdhsa_kernel _ZN7rocprim17ROCPRIM_400000_NS6detail17trampoline_kernelINS0_14default_configENS1_38merge_sort_block_merge_config_selectorIslEEZZNS1_27merge_sort_block_merge_implIS3_PsN6thrust23THRUST_200600_302600_NS10device_ptrIlEEjNS1_19radix_merge_compareILb0ELb0EsNS0_19identity_decomposerEEEEE10hipError_tT0_T1_T2_jT3_P12ihipStream_tbPNSt15iterator_traitsISG_E10value_typeEPNSM_ISH_E10value_typeEPSI_NS1_7vsmem_tEENKUlT_SG_SH_SI_E_clIS7_S7_PlSB_EESF_SV_SG_SH_SI_EUlSV_E0_NS1_11comp_targetILNS1_3genE5ELNS1_11target_archE942ELNS1_3gpuE9ELNS1_3repE0EEENS1_38merge_mergepath_config_static_selectorELNS0_4arch9wavefront6targetE1EEEvSH_
		.amdhsa_group_segment_fixed_size 0
		.amdhsa_private_segment_fixed_size 0
		.amdhsa_kernarg_size 64
		.amdhsa_user_sgpr_count 6
		.amdhsa_user_sgpr_private_segment_buffer 1
		.amdhsa_user_sgpr_dispatch_ptr 0
		.amdhsa_user_sgpr_queue_ptr 0
		.amdhsa_user_sgpr_kernarg_segment_ptr 1
		.amdhsa_user_sgpr_dispatch_id 0
		.amdhsa_user_sgpr_flat_scratch_init 0
		.amdhsa_user_sgpr_private_segment_size 0
		.amdhsa_uses_dynamic_stack 0
		.amdhsa_system_sgpr_private_segment_wavefront_offset 0
		.amdhsa_system_sgpr_workgroup_id_x 1
		.amdhsa_system_sgpr_workgroup_id_y 0
		.amdhsa_system_sgpr_workgroup_id_z 0
		.amdhsa_system_sgpr_workgroup_info 0
		.amdhsa_system_vgpr_workitem_id 0
		.amdhsa_next_free_vgpr 1
		.amdhsa_next_free_sgpr 0
		.amdhsa_reserve_vcc 0
		.amdhsa_reserve_flat_scratch 0
		.amdhsa_float_round_mode_32 0
		.amdhsa_float_round_mode_16_64 0
		.amdhsa_float_denorm_mode_32 3
		.amdhsa_float_denorm_mode_16_64 3
		.amdhsa_dx10_clamp 1
		.amdhsa_ieee_mode 1
		.amdhsa_fp16_overflow 0
		.amdhsa_exception_fp_ieee_invalid_op 0
		.amdhsa_exception_fp_denorm_src 0
		.amdhsa_exception_fp_ieee_div_zero 0
		.amdhsa_exception_fp_ieee_overflow 0
		.amdhsa_exception_fp_ieee_underflow 0
		.amdhsa_exception_fp_ieee_inexact 0
		.amdhsa_exception_int_div_zero 0
	.end_amdhsa_kernel
	.section	.text._ZN7rocprim17ROCPRIM_400000_NS6detail17trampoline_kernelINS0_14default_configENS1_38merge_sort_block_merge_config_selectorIslEEZZNS1_27merge_sort_block_merge_implIS3_PsN6thrust23THRUST_200600_302600_NS10device_ptrIlEEjNS1_19radix_merge_compareILb0ELb0EsNS0_19identity_decomposerEEEEE10hipError_tT0_T1_T2_jT3_P12ihipStream_tbPNSt15iterator_traitsISG_E10value_typeEPNSM_ISH_E10value_typeEPSI_NS1_7vsmem_tEENKUlT_SG_SH_SI_E_clIS7_S7_PlSB_EESF_SV_SG_SH_SI_EUlSV_E0_NS1_11comp_targetILNS1_3genE5ELNS1_11target_archE942ELNS1_3gpuE9ELNS1_3repE0EEENS1_38merge_mergepath_config_static_selectorELNS0_4arch9wavefront6targetE1EEEvSH_,"axG",@progbits,_ZN7rocprim17ROCPRIM_400000_NS6detail17trampoline_kernelINS0_14default_configENS1_38merge_sort_block_merge_config_selectorIslEEZZNS1_27merge_sort_block_merge_implIS3_PsN6thrust23THRUST_200600_302600_NS10device_ptrIlEEjNS1_19radix_merge_compareILb0ELb0EsNS0_19identity_decomposerEEEEE10hipError_tT0_T1_T2_jT3_P12ihipStream_tbPNSt15iterator_traitsISG_E10value_typeEPNSM_ISH_E10value_typeEPSI_NS1_7vsmem_tEENKUlT_SG_SH_SI_E_clIS7_S7_PlSB_EESF_SV_SG_SH_SI_EUlSV_E0_NS1_11comp_targetILNS1_3genE5ELNS1_11target_archE942ELNS1_3gpuE9ELNS1_3repE0EEENS1_38merge_mergepath_config_static_selectorELNS0_4arch9wavefront6targetE1EEEvSH_,comdat
.Lfunc_end1286:
	.size	_ZN7rocprim17ROCPRIM_400000_NS6detail17trampoline_kernelINS0_14default_configENS1_38merge_sort_block_merge_config_selectorIslEEZZNS1_27merge_sort_block_merge_implIS3_PsN6thrust23THRUST_200600_302600_NS10device_ptrIlEEjNS1_19radix_merge_compareILb0ELb0EsNS0_19identity_decomposerEEEEE10hipError_tT0_T1_T2_jT3_P12ihipStream_tbPNSt15iterator_traitsISG_E10value_typeEPNSM_ISH_E10value_typeEPSI_NS1_7vsmem_tEENKUlT_SG_SH_SI_E_clIS7_S7_PlSB_EESF_SV_SG_SH_SI_EUlSV_E0_NS1_11comp_targetILNS1_3genE5ELNS1_11target_archE942ELNS1_3gpuE9ELNS1_3repE0EEENS1_38merge_mergepath_config_static_selectorELNS0_4arch9wavefront6targetE1EEEvSH_, .Lfunc_end1286-_ZN7rocprim17ROCPRIM_400000_NS6detail17trampoline_kernelINS0_14default_configENS1_38merge_sort_block_merge_config_selectorIslEEZZNS1_27merge_sort_block_merge_implIS3_PsN6thrust23THRUST_200600_302600_NS10device_ptrIlEEjNS1_19radix_merge_compareILb0ELb0EsNS0_19identity_decomposerEEEEE10hipError_tT0_T1_T2_jT3_P12ihipStream_tbPNSt15iterator_traitsISG_E10value_typeEPNSM_ISH_E10value_typeEPSI_NS1_7vsmem_tEENKUlT_SG_SH_SI_E_clIS7_S7_PlSB_EESF_SV_SG_SH_SI_EUlSV_E0_NS1_11comp_targetILNS1_3genE5ELNS1_11target_archE942ELNS1_3gpuE9ELNS1_3repE0EEENS1_38merge_mergepath_config_static_selectorELNS0_4arch9wavefront6targetE1EEEvSH_
                                        ; -- End function
	.set _ZN7rocprim17ROCPRIM_400000_NS6detail17trampoline_kernelINS0_14default_configENS1_38merge_sort_block_merge_config_selectorIslEEZZNS1_27merge_sort_block_merge_implIS3_PsN6thrust23THRUST_200600_302600_NS10device_ptrIlEEjNS1_19radix_merge_compareILb0ELb0EsNS0_19identity_decomposerEEEEE10hipError_tT0_T1_T2_jT3_P12ihipStream_tbPNSt15iterator_traitsISG_E10value_typeEPNSM_ISH_E10value_typeEPSI_NS1_7vsmem_tEENKUlT_SG_SH_SI_E_clIS7_S7_PlSB_EESF_SV_SG_SH_SI_EUlSV_E0_NS1_11comp_targetILNS1_3genE5ELNS1_11target_archE942ELNS1_3gpuE9ELNS1_3repE0EEENS1_38merge_mergepath_config_static_selectorELNS0_4arch9wavefront6targetE1EEEvSH_.num_vgpr, 0
	.set _ZN7rocprim17ROCPRIM_400000_NS6detail17trampoline_kernelINS0_14default_configENS1_38merge_sort_block_merge_config_selectorIslEEZZNS1_27merge_sort_block_merge_implIS3_PsN6thrust23THRUST_200600_302600_NS10device_ptrIlEEjNS1_19radix_merge_compareILb0ELb0EsNS0_19identity_decomposerEEEEE10hipError_tT0_T1_T2_jT3_P12ihipStream_tbPNSt15iterator_traitsISG_E10value_typeEPNSM_ISH_E10value_typeEPSI_NS1_7vsmem_tEENKUlT_SG_SH_SI_E_clIS7_S7_PlSB_EESF_SV_SG_SH_SI_EUlSV_E0_NS1_11comp_targetILNS1_3genE5ELNS1_11target_archE942ELNS1_3gpuE9ELNS1_3repE0EEENS1_38merge_mergepath_config_static_selectorELNS0_4arch9wavefront6targetE1EEEvSH_.num_agpr, 0
	.set _ZN7rocprim17ROCPRIM_400000_NS6detail17trampoline_kernelINS0_14default_configENS1_38merge_sort_block_merge_config_selectorIslEEZZNS1_27merge_sort_block_merge_implIS3_PsN6thrust23THRUST_200600_302600_NS10device_ptrIlEEjNS1_19radix_merge_compareILb0ELb0EsNS0_19identity_decomposerEEEEE10hipError_tT0_T1_T2_jT3_P12ihipStream_tbPNSt15iterator_traitsISG_E10value_typeEPNSM_ISH_E10value_typeEPSI_NS1_7vsmem_tEENKUlT_SG_SH_SI_E_clIS7_S7_PlSB_EESF_SV_SG_SH_SI_EUlSV_E0_NS1_11comp_targetILNS1_3genE5ELNS1_11target_archE942ELNS1_3gpuE9ELNS1_3repE0EEENS1_38merge_mergepath_config_static_selectorELNS0_4arch9wavefront6targetE1EEEvSH_.numbered_sgpr, 0
	.set _ZN7rocprim17ROCPRIM_400000_NS6detail17trampoline_kernelINS0_14default_configENS1_38merge_sort_block_merge_config_selectorIslEEZZNS1_27merge_sort_block_merge_implIS3_PsN6thrust23THRUST_200600_302600_NS10device_ptrIlEEjNS1_19radix_merge_compareILb0ELb0EsNS0_19identity_decomposerEEEEE10hipError_tT0_T1_T2_jT3_P12ihipStream_tbPNSt15iterator_traitsISG_E10value_typeEPNSM_ISH_E10value_typeEPSI_NS1_7vsmem_tEENKUlT_SG_SH_SI_E_clIS7_S7_PlSB_EESF_SV_SG_SH_SI_EUlSV_E0_NS1_11comp_targetILNS1_3genE5ELNS1_11target_archE942ELNS1_3gpuE9ELNS1_3repE0EEENS1_38merge_mergepath_config_static_selectorELNS0_4arch9wavefront6targetE1EEEvSH_.num_named_barrier, 0
	.set _ZN7rocprim17ROCPRIM_400000_NS6detail17trampoline_kernelINS0_14default_configENS1_38merge_sort_block_merge_config_selectorIslEEZZNS1_27merge_sort_block_merge_implIS3_PsN6thrust23THRUST_200600_302600_NS10device_ptrIlEEjNS1_19radix_merge_compareILb0ELb0EsNS0_19identity_decomposerEEEEE10hipError_tT0_T1_T2_jT3_P12ihipStream_tbPNSt15iterator_traitsISG_E10value_typeEPNSM_ISH_E10value_typeEPSI_NS1_7vsmem_tEENKUlT_SG_SH_SI_E_clIS7_S7_PlSB_EESF_SV_SG_SH_SI_EUlSV_E0_NS1_11comp_targetILNS1_3genE5ELNS1_11target_archE942ELNS1_3gpuE9ELNS1_3repE0EEENS1_38merge_mergepath_config_static_selectorELNS0_4arch9wavefront6targetE1EEEvSH_.private_seg_size, 0
	.set _ZN7rocprim17ROCPRIM_400000_NS6detail17trampoline_kernelINS0_14default_configENS1_38merge_sort_block_merge_config_selectorIslEEZZNS1_27merge_sort_block_merge_implIS3_PsN6thrust23THRUST_200600_302600_NS10device_ptrIlEEjNS1_19radix_merge_compareILb0ELb0EsNS0_19identity_decomposerEEEEE10hipError_tT0_T1_T2_jT3_P12ihipStream_tbPNSt15iterator_traitsISG_E10value_typeEPNSM_ISH_E10value_typeEPSI_NS1_7vsmem_tEENKUlT_SG_SH_SI_E_clIS7_S7_PlSB_EESF_SV_SG_SH_SI_EUlSV_E0_NS1_11comp_targetILNS1_3genE5ELNS1_11target_archE942ELNS1_3gpuE9ELNS1_3repE0EEENS1_38merge_mergepath_config_static_selectorELNS0_4arch9wavefront6targetE1EEEvSH_.uses_vcc, 0
	.set _ZN7rocprim17ROCPRIM_400000_NS6detail17trampoline_kernelINS0_14default_configENS1_38merge_sort_block_merge_config_selectorIslEEZZNS1_27merge_sort_block_merge_implIS3_PsN6thrust23THRUST_200600_302600_NS10device_ptrIlEEjNS1_19radix_merge_compareILb0ELb0EsNS0_19identity_decomposerEEEEE10hipError_tT0_T1_T2_jT3_P12ihipStream_tbPNSt15iterator_traitsISG_E10value_typeEPNSM_ISH_E10value_typeEPSI_NS1_7vsmem_tEENKUlT_SG_SH_SI_E_clIS7_S7_PlSB_EESF_SV_SG_SH_SI_EUlSV_E0_NS1_11comp_targetILNS1_3genE5ELNS1_11target_archE942ELNS1_3gpuE9ELNS1_3repE0EEENS1_38merge_mergepath_config_static_selectorELNS0_4arch9wavefront6targetE1EEEvSH_.uses_flat_scratch, 0
	.set _ZN7rocprim17ROCPRIM_400000_NS6detail17trampoline_kernelINS0_14default_configENS1_38merge_sort_block_merge_config_selectorIslEEZZNS1_27merge_sort_block_merge_implIS3_PsN6thrust23THRUST_200600_302600_NS10device_ptrIlEEjNS1_19radix_merge_compareILb0ELb0EsNS0_19identity_decomposerEEEEE10hipError_tT0_T1_T2_jT3_P12ihipStream_tbPNSt15iterator_traitsISG_E10value_typeEPNSM_ISH_E10value_typeEPSI_NS1_7vsmem_tEENKUlT_SG_SH_SI_E_clIS7_S7_PlSB_EESF_SV_SG_SH_SI_EUlSV_E0_NS1_11comp_targetILNS1_3genE5ELNS1_11target_archE942ELNS1_3gpuE9ELNS1_3repE0EEENS1_38merge_mergepath_config_static_selectorELNS0_4arch9wavefront6targetE1EEEvSH_.has_dyn_sized_stack, 0
	.set _ZN7rocprim17ROCPRIM_400000_NS6detail17trampoline_kernelINS0_14default_configENS1_38merge_sort_block_merge_config_selectorIslEEZZNS1_27merge_sort_block_merge_implIS3_PsN6thrust23THRUST_200600_302600_NS10device_ptrIlEEjNS1_19radix_merge_compareILb0ELb0EsNS0_19identity_decomposerEEEEE10hipError_tT0_T1_T2_jT3_P12ihipStream_tbPNSt15iterator_traitsISG_E10value_typeEPNSM_ISH_E10value_typeEPSI_NS1_7vsmem_tEENKUlT_SG_SH_SI_E_clIS7_S7_PlSB_EESF_SV_SG_SH_SI_EUlSV_E0_NS1_11comp_targetILNS1_3genE5ELNS1_11target_archE942ELNS1_3gpuE9ELNS1_3repE0EEENS1_38merge_mergepath_config_static_selectorELNS0_4arch9wavefront6targetE1EEEvSH_.has_recursion, 0
	.set _ZN7rocprim17ROCPRIM_400000_NS6detail17trampoline_kernelINS0_14default_configENS1_38merge_sort_block_merge_config_selectorIslEEZZNS1_27merge_sort_block_merge_implIS3_PsN6thrust23THRUST_200600_302600_NS10device_ptrIlEEjNS1_19radix_merge_compareILb0ELb0EsNS0_19identity_decomposerEEEEE10hipError_tT0_T1_T2_jT3_P12ihipStream_tbPNSt15iterator_traitsISG_E10value_typeEPNSM_ISH_E10value_typeEPSI_NS1_7vsmem_tEENKUlT_SG_SH_SI_E_clIS7_S7_PlSB_EESF_SV_SG_SH_SI_EUlSV_E0_NS1_11comp_targetILNS1_3genE5ELNS1_11target_archE942ELNS1_3gpuE9ELNS1_3repE0EEENS1_38merge_mergepath_config_static_selectorELNS0_4arch9wavefront6targetE1EEEvSH_.has_indirect_call, 0
	.section	.AMDGPU.csdata,"",@progbits
; Kernel info:
; codeLenInByte = 0
; TotalNumSgprs: 4
; NumVgprs: 0
; ScratchSize: 0
; MemoryBound: 0
; FloatMode: 240
; IeeeMode: 1
; LDSByteSize: 0 bytes/workgroup (compile time only)
; SGPRBlocks: 0
; VGPRBlocks: 0
; NumSGPRsForWavesPerEU: 4
; NumVGPRsForWavesPerEU: 1
; Occupancy: 10
; WaveLimiterHint : 0
; COMPUTE_PGM_RSRC2:SCRATCH_EN: 0
; COMPUTE_PGM_RSRC2:USER_SGPR: 6
; COMPUTE_PGM_RSRC2:TRAP_HANDLER: 0
; COMPUTE_PGM_RSRC2:TGID_X_EN: 1
; COMPUTE_PGM_RSRC2:TGID_Y_EN: 0
; COMPUTE_PGM_RSRC2:TGID_Z_EN: 0
; COMPUTE_PGM_RSRC2:TIDIG_COMP_CNT: 0
	.section	.text._ZN7rocprim17ROCPRIM_400000_NS6detail17trampoline_kernelINS0_14default_configENS1_38merge_sort_block_merge_config_selectorIslEEZZNS1_27merge_sort_block_merge_implIS3_PsN6thrust23THRUST_200600_302600_NS10device_ptrIlEEjNS1_19radix_merge_compareILb0ELb0EsNS0_19identity_decomposerEEEEE10hipError_tT0_T1_T2_jT3_P12ihipStream_tbPNSt15iterator_traitsISG_E10value_typeEPNSM_ISH_E10value_typeEPSI_NS1_7vsmem_tEENKUlT_SG_SH_SI_E_clIS7_S7_PlSB_EESF_SV_SG_SH_SI_EUlSV_E0_NS1_11comp_targetILNS1_3genE4ELNS1_11target_archE910ELNS1_3gpuE8ELNS1_3repE0EEENS1_38merge_mergepath_config_static_selectorELNS0_4arch9wavefront6targetE1EEEvSH_,"axG",@progbits,_ZN7rocprim17ROCPRIM_400000_NS6detail17trampoline_kernelINS0_14default_configENS1_38merge_sort_block_merge_config_selectorIslEEZZNS1_27merge_sort_block_merge_implIS3_PsN6thrust23THRUST_200600_302600_NS10device_ptrIlEEjNS1_19radix_merge_compareILb0ELb0EsNS0_19identity_decomposerEEEEE10hipError_tT0_T1_T2_jT3_P12ihipStream_tbPNSt15iterator_traitsISG_E10value_typeEPNSM_ISH_E10value_typeEPSI_NS1_7vsmem_tEENKUlT_SG_SH_SI_E_clIS7_S7_PlSB_EESF_SV_SG_SH_SI_EUlSV_E0_NS1_11comp_targetILNS1_3genE4ELNS1_11target_archE910ELNS1_3gpuE8ELNS1_3repE0EEENS1_38merge_mergepath_config_static_selectorELNS0_4arch9wavefront6targetE1EEEvSH_,comdat
	.protected	_ZN7rocprim17ROCPRIM_400000_NS6detail17trampoline_kernelINS0_14default_configENS1_38merge_sort_block_merge_config_selectorIslEEZZNS1_27merge_sort_block_merge_implIS3_PsN6thrust23THRUST_200600_302600_NS10device_ptrIlEEjNS1_19radix_merge_compareILb0ELb0EsNS0_19identity_decomposerEEEEE10hipError_tT0_T1_T2_jT3_P12ihipStream_tbPNSt15iterator_traitsISG_E10value_typeEPNSM_ISH_E10value_typeEPSI_NS1_7vsmem_tEENKUlT_SG_SH_SI_E_clIS7_S7_PlSB_EESF_SV_SG_SH_SI_EUlSV_E0_NS1_11comp_targetILNS1_3genE4ELNS1_11target_archE910ELNS1_3gpuE8ELNS1_3repE0EEENS1_38merge_mergepath_config_static_selectorELNS0_4arch9wavefront6targetE1EEEvSH_ ; -- Begin function _ZN7rocprim17ROCPRIM_400000_NS6detail17trampoline_kernelINS0_14default_configENS1_38merge_sort_block_merge_config_selectorIslEEZZNS1_27merge_sort_block_merge_implIS3_PsN6thrust23THRUST_200600_302600_NS10device_ptrIlEEjNS1_19radix_merge_compareILb0ELb0EsNS0_19identity_decomposerEEEEE10hipError_tT0_T1_T2_jT3_P12ihipStream_tbPNSt15iterator_traitsISG_E10value_typeEPNSM_ISH_E10value_typeEPSI_NS1_7vsmem_tEENKUlT_SG_SH_SI_E_clIS7_S7_PlSB_EESF_SV_SG_SH_SI_EUlSV_E0_NS1_11comp_targetILNS1_3genE4ELNS1_11target_archE910ELNS1_3gpuE8ELNS1_3repE0EEENS1_38merge_mergepath_config_static_selectorELNS0_4arch9wavefront6targetE1EEEvSH_
	.globl	_ZN7rocprim17ROCPRIM_400000_NS6detail17trampoline_kernelINS0_14default_configENS1_38merge_sort_block_merge_config_selectorIslEEZZNS1_27merge_sort_block_merge_implIS3_PsN6thrust23THRUST_200600_302600_NS10device_ptrIlEEjNS1_19radix_merge_compareILb0ELb0EsNS0_19identity_decomposerEEEEE10hipError_tT0_T1_T2_jT3_P12ihipStream_tbPNSt15iterator_traitsISG_E10value_typeEPNSM_ISH_E10value_typeEPSI_NS1_7vsmem_tEENKUlT_SG_SH_SI_E_clIS7_S7_PlSB_EESF_SV_SG_SH_SI_EUlSV_E0_NS1_11comp_targetILNS1_3genE4ELNS1_11target_archE910ELNS1_3gpuE8ELNS1_3repE0EEENS1_38merge_mergepath_config_static_selectorELNS0_4arch9wavefront6targetE1EEEvSH_
	.p2align	8
	.type	_ZN7rocprim17ROCPRIM_400000_NS6detail17trampoline_kernelINS0_14default_configENS1_38merge_sort_block_merge_config_selectorIslEEZZNS1_27merge_sort_block_merge_implIS3_PsN6thrust23THRUST_200600_302600_NS10device_ptrIlEEjNS1_19radix_merge_compareILb0ELb0EsNS0_19identity_decomposerEEEEE10hipError_tT0_T1_T2_jT3_P12ihipStream_tbPNSt15iterator_traitsISG_E10value_typeEPNSM_ISH_E10value_typeEPSI_NS1_7vsmem_tEENKUlT_SG_SH_SI_E_clIS7_S7_PlSB_EESF_SV_SG_SH_SI_EUlSV_E0_NS1_11comp_targetILNS1_3genE4ELNS1_11target_archE910ELNS1_3gpuE8ELNS1_3repE0EEENS1_38merge_mergepath_config_static_selectorELNS0_4arch9wavefront6targetE1EEEvSH_,@function
_ZN7rocprim17ROCPRIM_400000_NS6detail17trampoline_kernelINS0_14default_configENS1_38merge_sort_block_merge_config_selectorIslEEZZNS1_27merge_sort_block_merge_implIS3_PsN6thrust23THRUST_200600_302600_NS10device_ptrIlEEjNS1_19radix_merge_compareILb0ELb0EsNS0_19identity_decomposerEEEEE10hipError_tT0_T1_T2_jT3_P12ihipStream_tbPNSt15iterator_traitsISG_E10value_typeEPNSM_ISH_E10value_typeEPSI_NS1_7vsmem_tEENKUlT_SG_SH_SI_E_clIS7_S7_PlSB_EESF_SV_SG_SH_SI_EUlSV_E0_NS1_11comp_targetILNS1_3genE4ELNS1_11target_archE910ELNS1_3gpuE8ELNS1_3repE0EEENS1_38merge_mergepath_config_static_selectorELNS0_4arch9wavefront6targetE1EEEvSH_: ; @_ZN7rocprim17ROCPRIM_400000_NS6detail17trampoline_kernelINS0_14default_configENS1_38merge_sort_block_merge_config_selectorIslEEZZNS1_27merge_sort_block_merge_implIS3_PsN6thrust23THRUST_200600_302600_NS10device_ptrIlEEjNS1_19radix_merge_compareILb0ELb0EsNS0_19identity_decomposerEEEEE10hipError_tT0_T1_T2_jT3_P12ihipStream_tbPNSt15iterator_traitsISG_E10value_typeEPNSM_ISH_E10value_typeEPSI_NS1_7vsmem_tEENKUlT_SG_SH_SI_E_clIS7_S7_PlSB_EESF_SV_SG_SH_SI_EUlSV_E0_NS1_11comp_targetILNS1_3genE4ELNS1_11target_archE910ELNS1_3gpuE8ELNS1_3repE0EEENS1_38merge_mergepath_config_static_selectorELNS0_4arch9wavefront6targetE1EEEvSH_
; %bb.0:
	.section	.rodata,"a",@progbits
	.p2align	6, 0x0
	.amdhsa_kernel _ZN7rocprim17ROCPRIM_400000_NS6detail17trampoline_kernelINS0_14default_configENS1_38merge_sort_block_merge_config_selectorIslEEZZNS1_27merge_sort_block_merge_implIS3_PsN6thrust23THRUST_200600_302600_NS10device_ptrIlEEjNS1_19radix_merge_compareILb0ELb0EsNS0_19identity_decomposerEEEEE10hipError_tT0_T1_T2_jT3_P12ihipStream_tbPNSt15iterator_traitsISG_E10value_typeEPNSM_ISH_E10value_typeEPSI_NS1_7vsmem_tEENKUlT_SG_SH_SI_E_clIS7_S7_PlSB_EESF_SV_SG_SH_SI_EUlSV_E0_NS1_11comp_targetILNS1_3genE4ELNS1_11target_archE910ELNS1_3gpuE8ELNS1_3repE0EEENS1_38merge_mergepath_config_static_selectorELNS0_4arch9wavefront6targetE1EEEvSH_
		.amdhsa_group_segment_fixed_size 0
		.amdhsa_private_segment_fixed_size 0
		.amdhsa_kernarg_size 64
		.amdhsa_user_sgpr_count 6
		.amdhsa_user_sgpr_private_segment_buffer 1
		.amdhsa_user_sgpr_dispatch_ptr 0
		.amdhsa_user_sgpr_queue_ptr 0
		.amdhsa_user_sgpr_kernarg_segment_ptr 1
		.amdhsa_user_sgpr_dispatch_id 0
		.amdhsa_user_sgpr_flat_scratch_init 0
		.amdhsa_user_sgpr_private_segment_size 0
		.amdhsa_uses_dynamic_stack 0
		.amdhsa_system_sgpr_private_segment_wavefront_offset 0
		.amdhsa_system_sgpr_workgroup_id_x 1
		.amdhsa_system_sgpr_workgroup_id_y 0
		.amdhsa_system_sgpr_workgroup_id_z 0
		.amdhsa_system_sgpr_workgroup_info 0
		.amdhsa_system_vgpr_workitem_id 0
		.amdhsa_next_free_vgpr 1
		.amdhsa_next_free_sgpr 0
		.amdhsa_reserve_vcc 0
		.amdhsa_reserve_flat_scratch 0
		.amdhsa_float_round_mode_32 0
		.amdhsa_float_round_mode_16_64 0
		.amdhsa_float_denorm_mode_32 3
		.amdhsa_float_denorm_mode_16_64 3
		.amdhsa_dx10_clamp 1
		.amdhsa_ieee_mode 1
		.amdhsa_fp16_overflow 0
		.amdhsa_exception_fp_ieee_invalid_op 0
		.amdhsa_exception_fp_denorm_src 0
		.amdhsa_exception_fp_ieee_div_zero 0
		.amdhsa_exception_fp_ieee_overflow 0
		.amdhsa_exception_fp_ieee_underflow 0
		.amdhsa_exception_fp_ieee_inexact 0
		.amdhsa_exception_int_div_zero 0
	.end_amdhsa_kernel
	.section	.text._ZN7rocprim17ROCPRIM_400000_NS6detail17trampoline_kernelINS0_14default_configENS1_38merge_sort_block_merge_config_selectorIslEEZZNS1_27merge_sort_block_merge_implIS3_PsN6thrust23THRUST_200600_302600_NS10device_ptrIlEEjNS1_19radix_merge_compareILb0ELb0EsNS0_19identity_decomposerEEEEE10hipError_tT0_T1_T2_jT3_P12ihipStream_tbPNSt15iterator_traitsISG_E10value_typeEPNSM_ISH_E10value_typeEPSI_NS1_7vsmem_tEENKUlT_SG_SH_SI_E_clIS7_S7_PlSB_EESF_SV_SG_SH_SI_EUlSV_E0_NS1_11comp_targetILNS1_3genE4ELNS1_11target_archE910ELNS1_3gpuE8ELNS1_3repE0EEENS1_38merge_mergepath_config_static_selectorELNS0_4arch9wavefront6targetE1EEEvSH_,"axG",@progbits,_ZN7rocprim17ROCPRIM_400000_NS6detail17trampoline_kernelINS0_14default_configENS1_38merge_sort_block_merge_config_selectorIslEEZZNS1_27merge_sort_block_merge_implIS3_PsN6thrust23THRUST_200600_302600_NS10device_ptrIlEEjNS1_19radix_merge_compareILb0ELb0EsNS0_19identity_decomposerEEEEE10hipError_tT0_T1_T2_jT3_P12ihipStream_tbPNSt15iterator_traitsISG_E10value_typeEPNSM_ISH_E10value_typeEPSI_NS1_7vsmem_tEENKUlT_SG_SH_SI_E_clIS7_S7_PlSB_EESF_SV_SG_SH_SI_EUlSV_E0_NS1_11comp_targetILNS1_3genE4ELNS1_11target_archE910ELNS1_3gpuE8ELNS1_3repE0EEENS1_38merge_mergepath_config_static_selectorELNS0_4arch9wavefront6targetE1EEEvSH_,comdat
.Lfunc_end1287:
	.size	_ZN7rocprim17ROCPRIM_400000_NS6detail17trampoline_kernelINS0_14default_configENS1_38merge_sort_block_merge_config_selectorIslEEZZNS1_27merge_sort_block_merge_implIS3_PsN6thrust23THRUST_200600_302600_NS10device_ptrIlEEjNS1_19radix_merge_compareILb0ELb0EsNS0_19identity_decomposerEEEEE10hipError_tT0_T1_T2_jT3_P12ihipStream_tbPNSt15iterator_traitsISG_E10value_typeEPNSM_ISH_E10value_typeEPSI_NS1_7vsmem_tEENKUlT_SG_SH_SI_E_clIS7_S7_PlSB_EESF_SV_SG_SH_SI_EUlSV_E0_NS1_11comp_targetILNS1_3genE4ELNS1_11target_archE910ELNS1_3gpuE8ELNS1_3repE0EEENS1_38merge_mergepath_config_static_selectorELNS0_4arch9wavefront6targetE1EEEvSH_, .Lfunc_end1287-_ZN7rocprim17ROCPRIM_400000_NS6detail17trampoline_kernelINS0_14default_configENS1_38merge_sort_block_merge_config_selectorIslEEZZNS1_27merge_sort_block_merge_implIS3_PsN6thrust23THRUST_200600_302600_NS10device_ptrIlEEjNS1_19radix_merge_compareILb0ELb0EsNS0_19identity_decomposerEEEEE10hipError_tT0_T1_T2_jT3_P12ihipStream_tbPNSt15iterator_traitsISG_E10value_typeEPNSM_ISH_E10value_typeEPSI_NS1_7vsmem_tEENKUlT_SG_SH_SI_E_clIS7_S7_PlSB_EESF_SV_SG_SH_SI_EUlSV_E0_NS1_11comp_targetILNS1_3genE4ELNS1_11target_archE910ELNS1_3gpuE8ELNS1_3repE0EEENS1_38merge_mergepath_config_static_selectorELNS0_4arch9wavefront6targetE1EEEvSH_
                                        ; -- End function
	.set _ZN7rocprim17ROCPRIM_400000_NS6detail17trampoline_kernelINS0_14default_configENS1_38merge_sort_block_merge_config_selectorIslEEZZNS1_27merge_sort_block_merge_implIS3_PsN6thrust23THRUST_200600_302600_NS10device_ptrIlEEjNS1_19radix_merge_compareILb0ELb0EsNS0_19identity_decomposerEEEEE10hipError_tT0_T1_T2_jT3_P12ihipStream_tbPNSt15iterator_traitsISG_E10value_typeEPNSM_ISH_E10value_typeEPSI_NS1_7vsmem_tEENKUlT_SG_SH_SI_E_clIS7_S7_PlSB_EESF_SV_SG_SH_SI_EUlSV_E0_NS1_11comp_targetILNS1_3genE4ELNS1_11target_archE910ELNS1_3gpuE8ELNS1_3repE0EEENS1_38merge_mergepath_config_static_selectorELNS0_4arch9wavefront6targetE1EEEvSH_.num_vgpr, 0
	.set _ZN7rocprim17ROCPRIM_400000_NS6detail17trampoline_kernelINS0_14default_configENS1_38merge_sort_block_merge_config_selectorIslEEZZNS1_27merge_sort_block_merge_implIS3_PsN6thrust23THRUST_200600_302600_NS10device_ptrIlEEjNS1_19radix_merge_compareILb0ELb0EsNS0_19identity_decomposerEEEEE10hipError_tT0_T1_T2_jT3_P12ihipStream_tbPNSt15iterator_traitsISG_E10value_typeEPNSM_ISH_E10value_typeEPSI_NS1_7vsmem_tEENKUlT_SG_SH_SI_E_clIS7_S7_PlSB_EESF_SV_SG_SH_SI_EUlSV_E0_NS1_11comp_targetILNS1_3genE4ELNS1_11target_archE910ELNS1_3gpuE8ELNS1_3repE0EEENS1_38merge_mergepath_config_static_selectorELNS0_4arch9wavefront6targetE1EEEvSH_.num_agpr, 0
	.set _ZN7rocprim17ROCPRIM_400000_NS6detail17trampoline_kernelINS0_14default_configENS1_38merge_sort_block_merge_config_selectorIslEEZZNS1_27merge_sort_block_merge_implIS3_PsN6thrust23THRUST_200600_302600_NS10device_ptrIlEEjNS1_19radix_merge_compareILb0ELb0EsNS0_19identity_decomposerEEEEE10hipError_tT0_T1_T2_jT3_P12ihipStream_tbPNSt15iterator_traitsISG_E10value_typeEPNSM_ISH_E10value_typeEPSI_NS1_7vsmem_tEENKUlT_SG_SH_SI_E_clIS7_S7_PlSB_EESF_SV_SG_SH_SI_EUlSV_E0_NS1_11comp_targetILNS1_3genE4ELNS1_11target_archE910ELNS1_3gpuE8ELNS1_3repE0EEENS1_38merge_mergepath_config_static_selectorELNS0_4arch9wavefront6targetE1EEEvSH_.numbered_sgpr, 0
	.set _ZN7rocprim17ROCPRIM_400000_NS6detail17trampoline_kernelINS0_14default_configENS1_38merge_sort_block_merge_config_selectorIslEEZZNS1_27merge_sort_block_merge_implIS3_PsN6thrust23THRUST_200600_302600_NS10device_ptrIlEEjNS1_19radix_merge_compareILb0ELb0EsNS0_19identity_decomposerEEEEE10hipError_tT0_T1_T2_jT3_P12ihipStream_tbPNSt15iterator_traitsISG_E10value_typeEPNSM_ISH_E10value_typeEPSI_NS1_7vsmem_tEENKUlT_SG_SH_SI_E_clIS7_S7_PlSB_EESF_SV_SG_SH_SI_EUlSV_E0_NS1_11comp_targetILNS1_3genE4ELNS1_11target_archE910ELNS1_3gpuE8ELNS1_3repE0EEENS1_38merge_mergepath_config_static_selectorELNS0_4arch9wavefront6targetE1EEEvSH_.num_named_barrier, 0
	.set _ZN7rocprim17ROCPRIM_400000_NS6detail17trampoline_kernelINS0_14default_configENS1_38merge_sort_block_merge_config_selectorIslEEZZNS1_27merge_sort_block_merge_implIS3_PsN6thrust23THRUST_200600_302600_NS10device_ptrIlEEjNS1_19radix_merge_compareILb0ELb0EsNS0_19identity_decomposerEEEEE10hipError_tT0_T1_T2_jT3_P12ihipStream_tbPNSt15iterator_traitsISG_E10value_typeEPNSM_ISH_E10value_typeEPSI_NS1_7vsmem_tEENKUlT_SG_SH_SI_E_clIS7_S7_PlSB_EESF_SV_SG_SH_SI_EUlSV_E0_NS1_11comp_targetILNS1_3genE4ELNS1_11target_archE910ELNS1_3gpuE8ELNS1_3repE0EEENS1_38merge_mergepath_config_static_selectorELNS0_4arch9wavefront6targetE1EEEvSH_.private_seg_size, 0
	.set _ZN7rocprim17ROCPRIM_400000_NS6detail17trampoline_kernelINS0_14default_configENS1_38merge_sort_block_merge_config_selectorIslEEZZNS1_27merge_sort_block_merge_implIS3_PsN6thrust23THRUST_200600_302600_NS10device_ptrIlEEjNS1_19radix_merge_compareILb0ELb0EsNS0_19identity_decomposerEEEEE10hipError_tT0_T1_T2_jT3_P12ihipStream_tbPNSt15iterator_traitsISG_E10value_typeEPNSM_ISH_E10value_typeEPSI_NS1_7vsmem_tEENKUlT_SG_SH_SI_E_clIS7_S7_PlSB_EESF_SV_SG_SH_SI_EUlSV_E0_NS1_11comp_targetILNS1_3genE4ELNS1_11target_archE910ELNS1_3gpuE8ELNS1_3repE0EEENS1_38merge_mergepath_config_static_selectorELNS0_4arch9wavefront6targetE1EEEvSH_.uses_vcc, 0
	.set _ZN7rocprim17ROCPRIM_400000_NS6detail17trampoline_kernelINS0_14default_configENS1_38merge_sort_block_merge_config_selectorIslEEZZNS1_27merge_sort_block_merge_implIS3_PsN6thrust23THRUST_200600_302600_NS10device_ptrIlEEjNS1_19radix_merge_compareILb0ELb0EsNS0_19identity_decomposerEEEEE10hipError_tT0_T1_T2_jT3_P12ihipStream_tbPNSt15iterator_traitsISG_E10value_typeEPNSM_ISH_E10value_typeEPSI_NS1_7vsmem_tEENKUlT_SG_SH_SI_E_clIS7_S7_PlSB_EESF_SV_SG_SH_SI_EUlSV_E0_NS1_11comp_targetILNS1_3genE4ELNS1_11target_archE910ELNS1_3gpuE8ELNS1_3repE0EEENS1_38merge_mergepath_config_static_selectorELNS0_4arch9wavefront6targetE1EEEvSH_.uses_flat_scratch, 0
	.set _ZN7rocprim17ROCPRIM_400000_NS6detail17trampoline_kernelINS0_14default_configENS1_38merge_sort_block_merge_config_selectorIslEEZZNS1_27merge_sort_block_merge_implIS3_PsN6thrust23THRUST_200600_302600_NS10device_ptrIlEEjNS1_19radix_merge_compareILb0ELb0EsNS0_19identity_decomposerEEEEE10hipError_tT0_T1_T2_jT3_P12ihipStream_tbPNSt15iterator_traitsISG_E10value_typeEPNSM_ISH_E10value_typeEPSI_NS1_7vsmem_tEENKUlT_SG_SH_SI_E_clIS7_S7_PlSB_EESF_SV_SG_SH_SI_EUlSV_E0_NS1_11comp_targetILNS1_3genE4ELNS1_11target_archE910ELNS1_3gpuE8ELNS1_3repE0EEENS1_38merge_mergepath_config_static_selectorELNS0_4arch9wavefront6targetE1EEEvSH_.has_dyn_sized_stack, 0
	.set _ZN7rocprim17ROCPRIM_400000_NS6detail17trampoline_kernelINS0_14default_configENS1_38merge_sort_block_merge_config_selectorIslEEZZNS1_27merge_sort_block_merge_implIS3_PsN6thrust23THRUST_200600_302600_NS10device_ptrIlEEjNS1_19radix_merge_compareILb0ELb0EsNS0_19identity_decomposerEEEEE10hipError_tT0_T1_T2_jT3_P12ihipStream_tbPNSt15iterator_traitsISG_E10value_typeEPNSM_ISH_E10value_typeEPSI_NS1_7vsmem_tEENKUlT_SG_SH_SI_E_clIS7_S7_PlSB_EESF_SV_SG_SH_SI_EUlSV_E0_NS1_11comp_targetILNS1_3genE4ELNS1_11target_archE910ELNS1_3gpuE8ELNS1_3repE0EEENS1_38merge_mergepath_config_static_selectorELNS0_4arch9wavefront6targetE1EEEvSH_.has_recursion, 0
	.set _ZN7rocprim17ROCPRIM_400000_NS6detail17trampoline_kernelINS0_14default_configENS1_38merge_sort_block_merge_config_selectorIslEEZZNS1_27merge_sort_block_merge_implIS3_PsN6thrust23THRUST_200600_302600_NS10device_ptrIlEEjNS1_19radix_merge_compareILb0ELb0EsNS0_19identity_decomposerEEEEE10hipError_tT0_T1_T2_jT3_P12ihipStream_tbPNSt15iterator_traitsISG_E10value_typeEPNSM_ISH_E10value_typeEPSI_NS1_7vsmem_tEENKUlT_SG_SH_SI_E_clIS7_S7_PlSB_EESF_SV_SG_SH_SI_EUlSV_E0_NS1_11comp_targetILNS1_3genE4ELNS1_11target_archE910ELNS1_3gpuE8ELNS1_3repE0EEENS1_38merge_mergepath_config_static_selectorELNS0_4arch9wavefront6targetE1EEEvSH_.has_indirect_call, 0
	.section	.AMDGPU.csdata,"",@progbits
; Kernel info:
; codeLenInByte = 0
; TotalNumSgprs: 4
; NumVgprs: 0
; ScratchSize: 0
; MemoryBound: 0
; FloatMode: 240
; IeeeMode: 1
; LDSByteSize: 0 bytes/workgroup (compile time only)
; SGPRBlocks: 0
; VGPRBlocks: 0
; NumSGPRsForWavesPerEU: 4
; NumVGPRsForWavesPerEU: 1
; Occupancy: 10
; WaveLimiterHint : 0
; COMPUTE_PGM_RSRC2:SCRATCH_EN: 0
; COMPUTE_PGM_RSRC2:USER_SGPR: 6
; COMPUTE_PGM_RSRC2:TRAP_HANDLER: 0
; COMPUTE_PGM_RSRC2:TGID_X_EN: 1
; COMPUTE_PGM_RSRC2:TGID_Y_EN: 0
; COMPUTE_PGM_RSRC2:TGID_Z_EN: 0
; COMPUTE_PGM_RSRC2:TIDIG_COMP_CNT: 0
	.section	.text._ZN7rocprim17ROCPRIM_400000_NS6detail17trampoline_kernelINS0_14default_configENS1_38merge_sort_block_merge_config_selectorIslEEZZNS1_27merge_sort_block_merge_implIS3_PsN6thrust23THRUST_200600_302600_NS10device_ptrIlEEjNS1_19radix_merge_compareILb0ELb0EsNS0_19identity_decomposerEEEEE10hipError_tT0_T1_T2_jT3_P12ihipStream_tbPNSt15iterator_traitsISG_E10value_typeEPNSM_ISH_E10value_typeEPSI_NS1_7vsmem_tEENKUlT_SG_SH_SI_E_clIS7_S7_PlSB_EESF_SV_SG_SH_SI_EUlSV_E0_NS1_11comp_targetILNS1_3genE3ELNS1_11target_archE908ELNS1_3gpuE7ELNS1_3repE0EEENS1_38merge_mergepath_config_static_selectorELNS0_4arch9wavefront6targetE1EEEvSH_,"axG",@progbits,_ZN7rocprim17ROCPRIM_400000_NS6detail17trampoline_kernelINS0_14default_configENS1_38merge_sort_block_merge_config_selectorIslEEZZNS1_27merge_sort_block_merge_implIS3_PsN6thrust23THRUST_200600_302600_NS10device_ptrIlEEjNS1_19radix_merge_compareILb0ELb0EsNS0_19identity_decomposerEEEEE10hipError_tT0_T1_T2_jT3_P12ihipStream_tbPNSt15iterator_traitsISG_E10value_typeEPNSM_ISH_E10value_typeEPSI_NS1_7vsmem_tEENKUlT_SG_SH_SI_E_clIS7_S7_PlSB_EESF_SV_SG_SH_SI_EUlSV_E0_NS1_11comp_targetILNS1_3genE3ELNS1_11target_archE908ELNS1_3gpuE7ELNS1_3repE0EEENS1_38merge_mergepath_config_static_selectorELNS0_4arch9wavefront6targetE1EEEvSH_,comdat
	.protected	_ZN7rocprim17ROCPRIM_400000_NS6detail17trampoline_kernelINS0_14default_configENS1_38merge_sort_block_merge_config_selectorIslEEZZNS1_27merge_sort_block_merge_implIS3_PsN6thrust23THRUST_200600_302600_NS10device_ptrIlEEjNS1_19radix_merge_compareILb0ELb0EsNS0_19identity_decomposerEEEEE10hipError_tT0_T1_T2_jT3_P12ihipStream_tbPNSt15iterator_traitsISG_E10value_typeEPNSM_ISH_E10value_typeEPSI_NS1_7vsmem_tEENKUlT_SG_SH_SI_E_clIS7_S7_PlSB_EESF_SV_SG_SH_SI_EUlSV_E0_NS1_11comp_targetILNS1_3genE3ELNS1_11target_archE908ELNS1_3gpuE7ELNS1_3repE0EEENS1_38merge_mergepath_config_static_selectorELNS0_4arch9wavefront6targetE1EEEvSH_ ; -- Begin function _ZN7rocprim17ROCPRIM_400000_NS6detail17trampoline_kernelINS0_14default_configENS1_38merge_sort_block_merge_config_selectorIslEEZZNS1_27merge_sort_block_merge_implIS3_PsN6thrust23THRUST_200600_302600_NS10device_ptrIlEEjNS1_19radix_merge_compareILb0ELb0EsNS0_19identity_decomposerEEEEE10hipError_tT0_T1_T2_jT3_P12ihipStream_tbPNSt15iterator_traitsISG_E10value_typeEPNSM_ISH_E10value_typeEPSI_NS1_7vsmem_tEENKUlT_SG_SH_SI_E_clIS7_S7_PlSB_EESF_SV_SG_SH_SI_EUlSV_E0_NS1_11comp_targetILNS1_3genE3ELNS1_11target_archE908ELNS1_3gpuE7ELNS1_3repE0EEENS1_38merge_mergepath_config_static_selectorELNS0_4arch9wavefront6targetE1EEEvSH_
	.globl	_ZN7rocprim17ROCPRIM_400000_NS6detail17trampoline_kernelINS0_14default_configENS1_38merge_sort_block_merge_config_selectorIslEEZZNS1_27merge_sort_block_merge_implIS3_PsN6thrust23THRUST_200600_302600_NS10device_ptrIlEEjNS1_19radix_merge_compareILb0ELb0EsNS0_19identity_decomposerEEEEE10hipError_tT0_T1_T2_jT3_P12ihipStream_tbPNSt15iterator_traitsISG_E10value_typeEPNSM_ISH_E10value_typeEPSI_NS1_7vsmem_tEENKUlT_SG_SH_SI_E_clIS7_S7_PlSB_EESF_SV_SG_SH_SI_EUlSV_E0_NS1_11comp_targetILNS1_3genE3ELNS1_11target_archE908ELNS1_3gpuE7ELNS1_3repE0EEENS1_38merge_mergepath_config_static_selectorELNS0_4arch9wavefront6targetE1EEEvSH_
	.p2align	8
	.type	_ZN7rocprim17ROCPRIM_400000_NS6detail17trampoline_kernelINS0_14default_configENS1_38merge_sort_block_merge_config_selectorIslEEZZNS1_27merge_sort_block_merge_implIS3_PsN6thrust23THRUST_200600_302600_NS10device_ptrIlEEjNS1_19radix_merge_compareILb0ELb0EsNS0_19identity_decomposerEEEEE10hipError_tT0_T1_T2_jT3_P12ihipStream_tbPNSt15iterator_traitsISG_E10value_typeEPNSM_ISH_E10value_typeEPSI_NS1_7vsmem_tEENKUlT_SG_SH_SI_E_clIS7_S7_PlSB_EESF_SV_SG_SH_SI_EUlSV_E0_NS1_11comp_targetILNS1_3genE3ELNS1_11target_archE908ELNS1_3gpuE7ELNS1_3repE0EEENS1_38merge_mergepath_config_static_selectorELNS0_4arch9wavefront6targetE1EEEvSH_,@function
_ZN7rocprim17ROCPRIM_400000_NS6detail17trampoline_kernelINS0_14default_configENS1_38merge_sort_block_merge_config_selectorIslEEZZNS1_27merge_sort_block_merge_implIS3_PsN6thrust23THRUST_200600_302600_NS10device_ptrIlEEjNS1_19radix_merge_compareILb0ELb0EsNS0_19identity_decomposerEEEEE10hipError_tT0_T1_T2_jT3_P12ihipStream_tbPNSt15iterator_traitsISG_E10value_typeEPNSM_ISH_E10value_typeEPSI_NS1_7vsmem_tEENKUlT_SG_SH_SI_E_clIS7_S7_PlSB_EESF_SV_SG_SH_SI_EUlSV_E0_NS1_11comp_targetILNS1_3genE3ELNS1_11target_archE908ELNS1_3gpuE7ELNS1_3repE0EEENS1_38merge_mergepath_config_static_selectorELNS0_4arch9wavefront6targetE1EEEvSH_: ; @_ZN7rocprim17ROCPRIM_400000_NS6detail17trampoline_kernelINS0_14default_configENS1_38merge_sort_block_merge_config_selectorIslEEZZNS1_27merge_sort_block_merge_implIS3_PsN6thrust23THRUST_200600_302600_NS10device_ptrIlEEjNS1_19radix_merge_compareILb0ELb0EsNS0_19identity_decomposerEEEEE10hipError_tT0_T1_T2_jT3_P12ihipStream_tbPNSt15iterator_traitsISG_E10value_typeEPNSM_ISH_E10value_typeEPSI_NS1_7vsmem_tEENKUlT_SG_SH_SI_E_clIS7_S7_PlSB_EESF_SV_SG_SH_SI_EUlSV_E0_NS1_11comp_targetILNS1_3genE3ELNS1_11target_archE908ELNS1_3gpuE7ELNS1_3repE0EEENS1_38merge_mergepath_config_static_selectorELNS0_4arch9wavefront6targetE1EEEvSH_
; %bb.0:
	.section	.rodata,"a",@progbits
	.p2align	6, 0x0
	.amdhsa_kernel _ZN7rocprim17ROCPRIM_400000_NS6detail17trampoline_kernelINS0_14default_configENS1_38merge_sort_block_merge_config_selectorIslEEZZNS1_27merge_sort_block_merge_implIS3_PsN6thrust23THRUST_200600_302600_NS10device_ptrIlEEjNS1_19radix_merge_compareILb0ELb0EsNS0_19identity_decomposerEEEEE10hipError_tT0_T1_T2_jT3_P12ihipStream_tbPNSt15iterator_traitsISG_E10value_typeEPNSM_ISH_E10value_typeEPSI_NS1_7vsmem_tEENKUlT_SG_SH_SI_E_clIS7_S7_PlSB_EESF_SV_SG_SH_SI_EUlSV_E0_NS1_11comp_targetILNS1_3genE3ELNS1_11target_archE908ELNS1_3gpuE7ELNS1_3repE0EEENS1_38merge_mergepath_config_static_selectorELNS0_4arch9wavefront6targetE1EEEvSH_
		.amdhsa_group_segment_fixed_size 0
		.amdhsa_private_segment_fixed_size 0
		.amdhsa_kernarg_size 64
		.amdhsa_user_sgpr_count 6
		.amdhsa_user_sgpr_private_segment_buffer 1
		.amdhsa_user_sgpr_dispatch_ptr 0
		.amdhsa_user_sgpr_queue_ptr 0
		.amdhsa_user_sgpr_kernarg_segment_ptr 1
		.amdhsa_user_sgpr_dispatch_id 0
		.amdhsa_user_sgpr_flat_scratch_init 0
		.amdhsa_user_sgpr_private_segment_size 0
		.amdhsa_uses_dynamic_stack 0
		.amdhsa_system_sgpr_private_segment_wavefront_offset 0
		.amdhsa_system_sgpr_workgroup_id_x 1
		.amdhsa_system_sgpr_workgroup_id_y 0
		.amdhsa_system_sgpr_workgroup_id_z 0
		.amdhsa_system_sgpr_workgroup_info 0
		.amdhsa_system_vgpr_workitem_id 0
		.amdhsa_next_free_vgpr 1
		.amdhsa_next_free_sgpr 0
		.amdhsa_reserve_vcc 0
		.amdhsa_reserve_flat_scratch 0
		.amdhsa_float_round_mode_32 0
		.amdhsa_float_round_mode_16_64 0
		.amdhsa_float_denorm_mode_32 3
		.amdhsa_float_denorm_mode_16_64 3
		.amdhsa_dx10_clamp 1
		.amdhsa_ieee_mode 1
		.amdhsa_fp16_overflow 0
		.amdhsa_exception_fp_ieee_invalid_op 0
		.amdhsa_exception_fp_denorm_src 0
		.amdhsa_exception_fp_ieee_div_zero 0
		.amdhsa_exception_fp_ieee_overflow 0
		.amdhsa_exception_fp_ieee_underflow 0
		.amdhsa_exception_fp_ieee_inexact 0
		.amdhsa_exception_int_div_zero 0
	.end_amdhsa_kernel
	.section	.text._ZN7rocprim17ROCPRIM_400000_NS6detail17trampoline_kernelINS0_14default_configENS1_38merge_sort_block_merge_config_selectorIslEEZZNS1_27merge_sort_block_merge_implIS3_PsN6thrust23THRUST_200600_302600_NS10device_ptrIlEEjNS1_19radix_merge_compareILb0ELb0EsNS0_19identity_decomposerEEEEE10hipError_tT0_T1_T2_jT3_P12ihipStream_tbPNSt15iterator_traitsISG_E10value_typeEPNSM_ISH_E10value_typeEPSI_NS1_7vsmem_tEENKUlT_SG_SH_SI_E_clIS7_S7_PlSB_EESF_SV_SG_SH_SI_EUlSV_E0_NS1_11comp_targetILNS1_3genE3ELNS1_11target_archE908ELNS1_3gpuE7ELNS1_3repE0EEENS1_38merge_mergepath_config_static_selectorELNS0_4arch9wavefront6targetE1EEEvSH_,"axG",@progbits,_ZN7rocprim17ROCPRIM_400000_NS6detail17trampoline_kernelINS0_14default_configENS1_38merge_sort_block_merge_config_selectorIslEEZZNS1_27merge_sort_block_merge_implIS3_PsN6thrust23THRUST_200600_302600_NS10device_ptrIlEEjNS1_19radix_merge_compareILb0ELb0EsNS0_19identity_decomposerEEEEE10hipError_tT0_T1_T2_jT3_P12ihipStream_tbPNSt15iterator_traitsISG_E10value_typeEPNSM_ISH_E10value_typeEPSI_NS1_7vsmem_tEENKUlT_SG_SH_SI_E_clIS7_S7_PlSB_EESF_SV_SG_SH_SI_EUlSV_E0_NS1_11comp_targetILNS1_3genE3ELNS1_11target_archE908ELNS1_3gpuE7ELNS1_3repE0EEENS1_38merge_mergepath_config_static_selectorELNS0_4arch9wavefront6targetE1EEEvSH_,comdat
.Lfunc_end1288:
	.size	_ZN7rocprim17ROCPRIM_400000_NS6detail17trampoline_kernelINS0_14default_configENS1_38merge_sort_block_merge_config_selectorIslEEZZNS1_27merge_sort_block_merge_implIS3_PsN6thrust23THRUST_200600_302600_NS10device_ptrIlEEjNS1_19radix_merge_compareILb0ELb0EsNS0_19identity_decomposerEEEEE10hipError_tT0_T1_T2_jT3_P12ihipStream_tbPNSt15iterator_traitsISG_E10value_typeEPNSM_ISH_E10value_typeEPSI_NS1_7vsmem_tEENKUlT_SG_SH_SI_E_clIS7_S7_PlSB_EESF_SV_SG_SH_SI_EUlSV_E0_NS1_11comp_targetILNS1_3genE3ELNS1_11target_archE908ELNS1_3gpuE7ELNS1_3repE0EEENS1_38merge_mergepath_config_static_selectorELNS0_4arch9wavefront6targetE1EEEvSH_, .Lfunc_end1288-_ZN7rocprim17ROCPRIM_400000_NS6detail17trampoline_kernelINS0_14default_configENS1_38merge_sort_block_merge_config_selectorIslEEZZNS1_27merge_sort_block_merge_implIS3_PsN6thrust23THRUST_200600_302600_NS10device_ptrIlEEjNS1_19radix_merge_compareILb0ELb0EsNS0_19identity_decomposerEEEEE10hipError_tT0_T1_T2_jT3_P12ihipStream_tbPNSt15iterator_traitsISG_E10value_typeEPNSM_ISH_E10value_typeEPSI_NS1_7vsmem_tEENKUlT_SG_SH_SI_E_clIS7_S7_PlSB_EESF_SV_SG_SH_SI_EUlSV_E0_NS1_11comp_targetILNS1_3genE3ELNS1_11target_archE908ELNS1_3gpuE7ELNS1_3repE0EEENS1_38merge_mergepath_config_static_selectorELNS0_4arch9wavefront6targetE1EEEvSH_
                                        ; -- End function
	.set _ZN7rocprim17ROCPRIM_400000_NS6detail17trampoline_kernelINS0_14default_configENS1_38merge_sort_block_merge_config_selectorIslEEZZNS1_27merge_sort_block_merge_implIS3_PsN6thrust23THRUST_200600_302600_NS10device_ptrIlEEjNS1_19radix_merge_compareILb0ELb0EsNS0_19identity_decomposerEEEEE10hipError_tT0_T1_T2_jT3_P12ihipStream_tbPNSt15iterator_traitsISG_E10value_typeEPNSM_ISH_E10value_typeEPSI_NS1_7vsmem_tEENKUlT_SG_SH_SI_E_clIS7_S7_PlSB_EESF_SV_SG_SH_SI_EUlSV_E0_NS1_11comp_targetILNS1_3genE3ELNS1_11target_archE908ELNS1_3gpuE7ELNS1_3repE0EEENS1_38merge_mergepath_config_static_selectorELNS0_4arch9wavefront6targetE1EEEvSH_.num_vgpr, 0
	.set _ZN7rocprim17ROCPRIM_400000_NS6detail17trampoline_kernelINS0_14default_configENS1_38merge_sort_block_merge_config_selectorIslEEZZNS1_27merge_sort_block_merge_implIS3_PsN6thrust23THRUST_200600_302600_NS10device_ptrIlEEjNS1_19radix_merge_compareILb0ELb0EsNS0_19identity_decomposerEEEEE10hipError_tT0_T1_T2_jT3_P12ihipStream_tbPNSt15iterator_traitsISG_E10value_typeEPNSM_ISH_E10value_typeEPSI_NS1_7vsmem_tEENKUlT_SG_SH_SI_E_clIS7_S7_PlSB_EESF_SV_SG_SH_SI_EUlSV_E0_NS1_11comp_targetILNS1_3genE3ELNS1_11target_archE908ELNS1_3gpuE7ELNS1_3repE0EEENS1_38merge_mergepath_config_static_selectorELNS0_4arch9wavefront6targetE1EEEvSH_.num_agpr, 0
	.set _ZN7rocprim17ROCPRIM_400000_NS6detail17trampoline_kernelINS0_14default_configENS1_38merge_sort_block_merge_config_selectorIslEEZZNS1_27merge_sort_block_merge_implIS3_PsN6thrust23THRUST_200600_302600_NS10device_ptrIlEEjNS1_19radix_merge_compareILb0ELb0EsNS0_19identity_decomposerEEEEE10hipError_tT0_T1_T2_jT3_P12ihipStream_tbPNSt15iterator_traitsISG_E10value_typeEPNSM_ISH_E10value_typeEPSI_NS1_7vsmem_tEENKUlT_SG_SH_SI_E_clIS7_S7_PlSB_EESF_SV_SG_SH_SI_EUlSV_E0_NS1_11comp_targetILNS1_3genE3ELNS1_11target_archE908ELNS1_3gpuE7ELNS1_3repE0EEENS1_38merge_mergepath_config_static_selectorELNS0_4arch9wavefront6targetE1EEEvSH_.numbered_sgpr, 0
	.set _ZN7rocprim17ROCPRIM_400000_NS6detail17trampoline_kernelINS0_14default_configENS1_38merge_sort_block_merge_config_selectorIslEEZZNS1_27merge_sort_block_merge_implIS3_PsN6thrust23THRUST_200600_302600_NS10device_ptrIlEEjNS1_19radix_merge_compareILb0ELb0EsNS0_19identity_decomposerEEEEE10hipError_tT0_T1_T2_jT3_P12ihipStream_tbPNSt15iterator_traitsISG_E10value_typeEPNSM_ISH_E10value_typeEPSI_NS1_7vsmem_tEENKUlT_SG_SH_SI_E_clIS7_S7_PlSB_EESF_SV_SG_SH_SI_EUlSV_E0_NS1_11comp_targetILNS1_3genE3ELNS1_11target_archE908ELNS1_3gpuE7ELNS1_3repE0EEENS1_38merge_mergepath_config_static_selectorELNS0_4arch9wavefront6targetE1EEEvSH_.num_named_barrier, 0
	.set _ZN7rocprim17ROCPRIM_400000_NS6detail17trampoline_kernelINS0_14default_configENS1_38merge_sort_block_merge_config_selectorIslEEZZNS1_27merge_sort_block_merge_implIS3_PsN6thrust23THRUST_200600_302600_NS10device_ptrIlEEjNS1_19radix_merge_compareILb0ELb0EsNS0_19identity_decomposerEEEEE10hipError_tT0_T1_T2_jT3_P12ihipStream_tbPNSt15iterator_traitsISG_E10value_typeEPNSM_ISH_E10value_typeEPSI_NS1_7vsmem_tEENKUlT_SG_SH_SI_E_clIS7_S7_PlSB_EESF_SV_SG_SH_SI_EUlSV_E0_NS1_11comp_targetILNS1_3genE3ELNS1_11target_archE908ELNS1_3gpuE7ELNS1_3repE0EEENS1_38merge_mergepath_config_static_selectorELNS0_4arch9wavefront6targetE1EEEvSH_.private_seg_size, 0
	.set _ZN7rocprim17ROCPRIM_400000_NS6detail17trampoline_kernelINS0_14default_configENS1_38merge_sort_block_merge_config_selectorIslEEZZNS1_27merge_sort_block_merge_implIS3_PsN6thrust23THRUST_200600_302600_NS10device_ptrIlEEjNS1_19radix_merge_compareILb0ELb0EsNS0_19identity_decomposerEEEEE10hipError_tT0_T1_T2_jT3_P12ihipStream_tbPNSt15iterator_traitsISG_E10value_typeEPNSM_ISH_E10value_typeEPSI_NS1_7vsmem_tEENKUlT_SG_SH_SI_E_clIS7_S7_PlSB_EESF_SV_SG_SH_SI_EUlSV_E0_NS1_11comp_targetILNS1_3genE3ELNS1_11target_archE908ELNS1_3gpuE7ELNS1_3repE0EEENS1_38merge_mergepath_config_static_selectorELNS0_4arch9wavefront6targetE1EEEvSH_.uses_vcc, 0
	.set _ZN7rocprim17ROCPRIM_400000_NS6detail17trampoline_kernelINS0_14default_configENS1_38merge_sort_block_merge_config_selectorIslEEZZNS1_27merge_sort_block_merge_implIS3_PsN6thrust23THRUST_200600_302600_NS10device_ptrIlEEjNS1_19radix_merge_compareILb0ELb0EsNS0_19identity_decomposerEEEEE10hipError_tT0_T1_T2_jT3_P12ihipStream_tbPNSt15iterator_traitsISG_E10value_typeEPNSM_ISH_E10value_typeEPSI_NS1_7vsmem_tEENKUlT_SG_SH_SI_E_clIS7_S7_PlSB_EESF_SV_SG_SH_SI_EUlSV_E0_NS1_11comp_targetILNS1_3genE3ELNS1_11target_archE908ELNS1_3gpuE7ELNS1_3repE0EEENS1_38merge_mergepath_config_static_selectorELNS0_4arch9wavefront6targetE1EEEvSH_.uses_flat_scratch, 0
	.set _ZN7rocprim17ROCPRIM_400000_NS6detail17trampoline_kernelINS0_14default_configENS1_38merge_sort_block_merge_config_selectorIslEEZZNS1_27merge_sort_block_merge_implIS3_PsN6thrust23THRUST_200600_302600_NS10device_ptrIlEEjNS1_19radix_merge_compareILb0ELb0EsNS0_19identity_decomposerEEEEE10hipError_tT0_T1_T2_jT3_P12ihipStream_tbPNSt15iterator_traitsISG_E10value_typeEPNSM_ISH_E10value_typeEPSI_NS1_7vsmem_tEENKUlT_SG_SH_SI_E_clIS7_S7_PlSB_EESF_SV_SG_SH_SI_EUlSV_E0_NS1_11comp_targetILNS1_3genE3ELNS1_11target_archE908ELNS1_3gpuE7ELNS1_3repE0EEENS1_38merge_mergepath_config_static_selectorELNS0_4arch9wavefront6targetE1EEEvSH_.has_dyn_sized_stack, 0
	.set _ZN7rocprim17ROCPRIM_400000_NS6detail17trampoline_kernelINS0_14default_configENS1_38merge_sort_block_merge_config_selectorIslEEZZNS1_27merge_sort_block_merge_implIS3_PsN6thrust23THRUST_200600_302600_NS10device_ptrIlEEjNS1_19radix_merge_compareILb0ELb0EsNS0_19identity_decomposerEEEEE10hipError_tT0_T1_T2_jT3_P12ihipStream_tbPNSt15iterator_traitsISG_E10value_typeEPNSM_ISH_E10value_typeEPSI_NS1_7vsmem_tEENKUlT_SG_SH_SI_E_clIS7_S7_PlSB_EESF_SV_SG_SH_SI_EUlSV_E0_NS1_11comp_targetILNS1_3genE3ELNS1_11target_archE908ELNS1_3gpuE7ELNS1_3repE0EEENS1_38merge_mergepath_config_static_selectorELNS0_4arch9wavefront6targetE1EEEvSH_.has_recursion, 0
	.set _ZN7rocprim17ROCPRIM_400000_NS6detail17trampoline_kernelINS0_14default_configENS1_38merge_sort_block_merge_config_selectorIslEEZZNS1_27merge_sort_block_merge_implIS3_PsN6thrust23THRUST_200600_302600_NS10device_ptrIlEEjNS1_19radix_merge_compareILb0ELb0EsNS0_19identity_decomposerEEEEE10hipError_tT0_T1_T2_jT3_P12ihipStream_tbPNSt15iterator_traitsISG_E10value_typeEPNSM_ISH_E10value_typeEPSI_NS1_7vsmem_tEENKUlT_SG_SH_SI_E_clIS7_S7_PlSB_EESF_SV_SG_SH_SI_EUlSV_E0_NS1_11comp_targetILNS1_3genE3ELNS1_11target_archE908ELNS1_3gpuE7ELNS1_3repE0EEENS1_38merge_mergepath_config_static_selectorELNS0_4arch9wavefront6targetE1EEEvSH_.has_indirect_call, 0
	.section	.AMDGPU.csdata,"",@progbits
; Kernel info:
; codeLenInByte = 0
; TotalNumSgprs: 4
; NumVgprs: 0
; ScratchSize: 0
; MemoryBound: 0
; FloatMode: 240
; IeeeMode: 1
; LDSByteSize: 0 bytes/workgroup (compile time only)
; SGPRBlocks: 0
; VGPRBlocks: 0
; NumSGPRsForWavesPerEU: 4
; NumVGPRsForWavesPerEU: 1
; Occupancy: 10
; WaveLimiterHint : 0
; COMPUTE_PGM_RSRC2:SCRATCH_EN: 0
; COMPUTE_PGM_RSRC2:USER_SGPR: 6
; COMPUTE_PGM_RSRC2:TRAP_HANDLER: 0
; COMPUTE_PGM_RSRC2:TGID_X_EN: 1
; COMPUTE_PGM_RSRC2:TGID_Y_EN: 0
; COMPUTE_PGM_RSRC2:TGID_Z_EN: 0
; COMPUTE_PGM_RSRC2:TIDIG_COMP_CNT: 0
	.section	.text._ZN7rocprim17ROCPRIM_400000_NS6detail17trampoline_kernelINS0_14default_configENS1_38merge_sort_block_merge_config_selectorIslEEZZNS1_27merge_sort_block_merge_implIS3_PsN6thrust23THRUST_200600_302600_NS10device_ptrIlEEjNS1_19radix_merge_compareILb0ELb0EsNS0_19identity_decomposerEEEEE10hipError_tT0_T1_T2_jT3_P12ihipStream_tbPNSt15iterator_traitsISG_E10value_typeEPNSM_ISH_E10value_typeEPSI_NS1_7vsmem_tEENKUlT_SG_SH_SI_E_clIS7_S7_PlSB_EESF_SV_SG_SH_SI_EUlSV_E0_NS1_11comp_targetILNS1_3genE2ELNS1_11target_archE906ELNS1_3gpuE6ELNS1_3repE0EEENS1_38merge_mergepath_config_static_selectorELNS0_4arch9wavefront6targetE1EEEvSH_,"axG",@progbits,_ZN7rocprim17ROCPRIM_400000_NS6detail17trampoline_kernelINS0_14default_configENS1_38merge_sort_block_merge_config_selectorIslEEZZNS1_27merge_sort_block_merge_implIS3_PsN6thrust23THRUST_200600_302600_NS10device_ptrIlEEjNS1_19radix_merge_compareILb0ELb0EsNS0_19identity_decomposerEEEEE10hipError_tT0_T1_T2_jT3_P12ihipStream_tbPNSt15iterator_traitsISG_E10value_typeEPNSM_ISH_E10value_typeEPSI_NS1_7vsmem_tEENKUlT_SG_SH_SI_E_clIS7_S7_PlSB_EESF_SV_SG_SH_SI_EUlSV_E0_NS1_11comp_targetILNS1_3genE2ELNS1_11target_archE906ELNS1_3gpuE6ELNS1_3repE0EEENS1_38merge_mergepath_config_static_selectorELNS0_4arch9wavefront6targetE1EEEvSH_,comdat
	.protected	_ZN7rocprim17ROCPRIM_400000_NS6detail17trampoline_kernelINS0_14default_configENS1_38merge_sort_block_merge_config_selectorIslEEZZNS1_27merge_sort_block_merge_implIS3_PsN6thrust23THRUST_200600_302600_NS10device_ptrIlEEjNS1_19radix_merge_compareILb0ELb0EsNS0_19identity_decomposerEEEEE10hipError_tT0_T1_T2_jT3_P12ihipStream_tbPNSt15iterator_traitsISG_E10value_typeEPNSM_ISH_E10value_typeEPSI_NS1_7vsmem_tEENKUlT_SG_SH_SI_E_clIS7_S7_PlSB_EESF_SV_SG_SH_SI_EUlSV_E0_NS1_11comp_targetILNS1_3genE2ELNS1_11target_archE906ELNS1_3gpuE6ELNS1_3repE0EEENS1_38merge_mergepath_config_static_selectorELNS0_4arch9wavefront6targetE1EEEvSH_ ; -- Begin function _ZN7rocprim17ROCPRIM_400000_NS6detail17trampoline_kernelINS0_14default_configENS1_38merge_sort_block_merge_config_selectorIslEEZZNS1_27merge_sort_block_merge_implIS3_PsN6thrust23THRUST_200600_302600_NS10device_ptrIlEEjNS1_19radix_merge_compareILb0ELb0EsNS0_19identity_decomposerEEEEE10hipError_tT0_T1_T2_jT3_P12ihipStream_tbPNSt15iterator_traitsISG_E10value_typeEPNSM_ISH_E10value_typeEPSI_NS1_7vsmem_tEENKUlT_SG_SH_SI_E_clIS7_S7_PlSB_EESF_SV_SG_SH_SI_EUlSV_E0_NS1_11comp_targetILNS1_3genE2ELNS1_11target_archE906ELNS1_3gpuE6ELNS1_3repE0EEENS1_38merge_mergepath_config_static_selectorELNS0_4arch9wavefront6targetE1EEEvSH_
	.globl	_ZN7rocprim17ROCPRIM_400000_NS6detail17trampoline_kernelINS0_14default_configENS1_38merge_sort_block_merge_config_selectorIslEEZZNS1_27merge_sort_block_merge_implIS3_PsN6thrust23THRUST_200600_302600_NS10device_ptrIlEEjNS1_19radix_merge_compareILb0ELb0EsNS0_19identity_decomposerEEEEE10hipError_tT0_T1_T2_jT3_P12ihipStream_tbPNSt15iterator_traitsISG_E10value_typeEPNSM_ISH_E10value_typeEPSI_NS1_7vsmem_tEENKUlT_SG_SH_SI_E_clIS7_S7_PlSB_EESF_SV_SG_SH_SI_EUlSV_E0_NS1_11comp_targetILNS1_3genE2ELNS1_11target_archE906ELNS1_3gpuE6ELNS1_3repE0EEENS1_38merge_mergepath_config_static_selectorELNS0_4arch9wavefront6targetE1EEEvSH_
	.p2align	8
	.type	_ZN7rocprim17ROCPRIM_400000_NS6detail17trampoline_kernelINS0_14default_configENS1_38merge_sort_block_merge_config_selectorIslEEZZNS1_27merge_sort_block_merge_implIS3_PsN6thrust23THRUST_200600_302600_NS10device_ptrIlEEjNS1_19radix_merge_compareILb0ELb0EsNS0_19identity_decomposerEEEEE10hipError_tT0_T1_T2_jT3_P12ihipStream_tbPNSt15iterator_traitsISG_E10value_typeEPNSM_ISH_E10value_typeEPSI_NS1_7vsmem_tEENKUlT_SG_SH_SI_E_clIS7_S7_PlSB_EESF_SV_SG_SH_SI_EUlSV_E0_NS1_11comp_targetILNS1_3genE2ELNS1_11target_archE906ELNS1_3gpuE6ELNS1_3repE0EEENS1_38merge_mergepath_config_static_selectorELNS0_4arch9wavefront6targetE1EEEvSH_,@function
_ZN7rocprim17ROCPRIM_400000_NS6detail17trampoline_kernelINS0_14default_configENS1_38merge_sort_block_merge_config_selectorIslEEZZNS1_27merge_sort_block_merge_implIS3_PsN6thrust23THRUST_200600_302600_NS10device_ptrIlEEjNS1_19radix_merge_compareILb0ELb0EsNS0_19identity_decomposerEEEEE10hipError_tT0_T1_T2_jT3_P12ihipStream_tbPNSt15iterator_traitsISG_E10value_typeEPNSM_ISH_E10value_typeEPSI_NS1_7vsmem_tEENKUlT_SG_SH_SI_E_clIS7_S7_PlSB_EESF_SV_SG_SH_SI_EUlSV_E0_NS1_11comp_targetILNS1_3genE2ELNS1_11target_archE906ELNS1_3gpuE6ELNS1_3repE0EEENS1_38merge_mergepath_config_static_selectorELNS0_4arch9wavefront6targetE1EEEvSH_: ; @_ZN7rocprim17ROCPRIM_400000_NS6detail17trampoline_kernelINS0_14default_configENS1_38merge_sort_block_merge_config_selectorIslEEZZNS1_27merge_sort_block_merge_implIS3_PsN6thrust23THRUST_200600_302600_NS10device_ptrIlEEjNS1_19radix_merge_compareILb0ELb0EsNS0_19identity_decomposerEEEEE10hipError_tT0_T1_T2_jT3_P12ihipStream_tbPNSt15iterator_traitsISG_E10value_typeEPNSM_ISH_E10value_typeEPSI_NS1_7vsmem_tEENKUlT_SG_SH_SI_E_clIS7_S7_PlSB_EESF_SV_SG_SH_SI_EUlSV_E0_NS1_11comp_targetILNS1_3genE2ELNS1_11target_archE906ELNS1_3gpuE6ELNS1_3repE0EEENS1_38merge_mergepath_config_static_selectorELNS0_4arch9wavefront6targetE1EEEvSH_
; %bb.0:
	s_load_dwordx2 s[22:23], s[4:5], 0x40
	s_load_dword s1, s[4:5], 0x30
	s_add_u32 s20, s4, 64
	s_addc_u32 s21, s5, 0
	s_waitcnt lgkmcnt(0)
	s_mul_i32 s0, s23, s8
	s_add_i32 s0, s0, s7
	s_mul_i32 s0, s0, s22
	s_add_i32 s0, s0, s6
	s_cmp_ge_u32 s0, s1
	s_cbranch_scc1 .LBB1289_46
; %bb.1:
	s_load_dwordx8 s[8:15], s[4:5], 0x10
	s_load_dwordx2 s[26:27], s[4:5], 0x8
	s_load_dwordx2 s[2:3], s[4:5], 0x38
	s_mov_b32 s1, 0
	v_mov_b32_e32 v2, 0
	s_waitcnt lgkmcnt(0)
	s_lshr_b32 s30, s14, 10
	s_cmp_lg_u32 s0, s30
	s_cselect_b64 s[18:19], -1, 0
	s_lshl_b64 s[4:5], s[0:1], 2
	s_add_u32 s4, s2, s4
	s_addc_u32 s5, s3, s5
	s_load_dwordx2 s[2:3], s[4:5], 0x0
	s_lshr_b32 s4, s15, 9
	s_and_b32 s4, s4, 0x7ffffe
	s_sub_i32 s5, 0, s4
	s_and_b32 s4, s0, s5
	s_lshl_b32 s7, s4, 10
	s_lshl_b32 s16, s0, 10
	;; [unrolled: 1-line block ×3, first 2 shown]
	s_sub_i32 s17, s16, s7
	s_add_i32 s23, s4, s15
	s_add_i32 s17, s23, s17
	s_waitcnt lgkmcnt(0)
	s_sub_i32 s4, s17, s2
	s_sub_i32 s17, s17, s3
	;; [unrolled: 1-line block ×3, first 2 shown]
	s_min_u32 s4, s14, s4
	s_addk_i32 s17, 0x400
	s_or_b32 s5, s0, s5
	s_min_u32 s23, s14, s7
	s_add_i32 s7, s7, s15
	s_cmp_eq_u32 s5, -1
	s_cselect_b32 s3, s23, s3
	s_cselect_b32 s5, s7, s17
	s_sub_i32 s15, s3, s2
	s_mov_b32 s3, s1
	s_min_u32 s17, s5, s14
	s_lshl_b64 s[24:25], s[2:3], 1
	s_add_u32 s24, s26, s24
	s_mov_b32 s5, s1
	s_addc_u32 s25, s27, s25
	s_lshl_b64 s[28:29], s[4:5], 1
	s_add_u32 s23, s26, s28
	global_load_dword v1, v2, s[20:21] offset:14
	s_addc_u32 s26, s27, s29
	s_cmp_lt_u32 s6, s22
	s_cselect_b32 s1, 12, 18
	s_add_u32 s6, s20, s1
	s_addc_u32 s7, s21, 0
	global_load_ushort v3, v2, s[6:7]
	s_cmp_eq_u32 s0, s30
	v_lshlrev_b32_e32 v15, 1, v0
	s_waitcnt vmcnt(1)
	v_lshrrev_b32_e32 v4, 16, v1
	v_and_b32_e32 v1, 0xffff, v1
	v_mul_lo_u32 v1, v1, v4
	s_waitcnt vmcnt(0)
	v_mul_lo_u32 v17, v1, v3
	v_add_u32_e32 v13, v17, v0
	v_add_u32_e32 v11, v13, v17
	s_cbranch_scc1 .LBB1289_3
; %bb.2:
	v_mov_b32_e32 v1, s25
	v_add_co_u32_e32 v5, vcc, s24, v15
	v_addc_co_u32_e32 v6, vcc, 0, v1, vcc
	v_subrev_co_u32_e32 v1, vcc, s15, v0
	v_lshlrev_b64 v[3:4], 1, v[1:2]
	v_mov_b32_e32 v1, s26
	v_add_co_u32_e64 v3, s[0:1], s23, v3
	v_addc_co_u32_e64 v1, s[0:1], v1, v4, s[0:1]
	v_cndmask_b32_e32 v4, v1, v6, vcc
	v_cndmask_b32_e32 v3, v3, v5, vcc
	v_mov_b32_e32 v14, v2
	global_load_ushort v5, v[3:4], off
	v_lshlrev_b64 v[3:4], 1, v[13:14]
	v_mov_b32_e32 v1, s25
	v_add_co_u32_e32 v6, vcc, s24, v3
	v_addc_co_u32_e32 v7, vcc, v1, v4, vcc
	v_subrev_co_u32_e32 v1, vcc, s15, v13
	v_lshlrev_b64 v[3:4], 1, v[1:2]
	v_mov_b32_e32 v1, s26
	v_add_co_u32_e64 v3, s[0:1], s23, v3
	v_addc_co_u32_e64 v1, s[0:1], v1, v4, s[0:1]
	v_cndmask_b32_e32 v4, v1, v7, vcc
	v_cndmask_b32_e32 v3, v3, v6, vcc
	v_mov_b32_e32 v12, v2
	global_load_ushort v6, v[3:4], off
	v_lshlrev_b64 v[3:4], 1, v[11:12]
	v_mov_b32_e32 v1, s25
	v_add_co_u32_e32 v3, vcc, s24, v3
	v_addc_co_u32_e32 v4, vcc, v1, v4, vcc
	v_subrev_co_u32_e32 v1, vcc, s15, v11
	v_lshlrev_b64 v[1:2], 1, v[1:2]
	v_mov_b32_e32 v7, s26
	v_add_co_u32_e64 v1, s[0:1], s23, v1
	v_addc_co_u32_e64 v2, s[0:1], v7, v2, s[0:1]
	v_cndmask_b32_e32 v2, v2, v4, vcc
	v_cndmask_b32_e32 v1, v1, v3, vcc
	global_load_ushort v10, v[1:2], off
	s_mov_b32 s0, 0x5040100
	v_add_u32_e32 v1, v11, v17
	s_waitcnt vmcnt(1)
	v_perm_b32 v9, v6, v5, s0
	s_mov_b64 s[0:1], -1
	s_sub_i32 s17, s17, s4
	s_cbranch_execz .LBB1289_4
	s_branch .LBB1289_9
.LBB1289_3:
	s_mov_b64 s[0:1], 0
                                        ; implicit-def: $vgpr1
                                        ; implicit-def: $vgpr9_vgpr10
	s_sub_i32 s17, s17, s4
.LBB1289_4:
	s_add_i32 s20, s17, s15
	v_mov_b32_e32 v9, 0
	v_cmp_gt_u32_e32 vcc, s20, v0
	s_waitcnt vmcnt(0)
	v_mov_b32_e32 v10, v9
	s_and_saveexec_b64 s[6:7], vcc
	s_cbranch_execnz .LBB1289_47
; %bb.5:
	s_or_b64 exec, exec, s[6:7]
	v_cmp_gt_u32_e32 vcc, s20, v13
	s_and_saveexec_b64 s[6:7], vcc
	s_cbranch_execnz .LBB1289_48
.LBB1289_6:
	s_or_b64 exec, exec, s[6:7]
	v_cmp_gt_u32_e32 vcc, s20, v11
	s_and_saveexec_b64 s[6:7], vcc
	s_cbranch_execz .LBB1289_8
.LBB1289_7:
	v_mov_b32_e32 v12, 0
	v_lshlrev_b64 v[1:2], 1, v[11:12]
	v_mov_b32_e32 v3, s25
	v_add_co_u32_e32 v4, vcc, s24, v1
	v_addc_co_u32_e32 v3, vcc, v3, v2, vcc
	v_subrev_co_u32_e32 v1, vcc, s15, v11
	v_mov_b32_e32 v2, v12
	v_lshlrev_b64 v[1:2], 1, v[1:2]
	v_mov_b32_e32 v5, s26
	v_add_co_u32_e64 v1, s[0:1], s23, v1
	v_addc_co_u32_e64 v2, s[0:1], v5, v2, s[0:1]
	v_cndmask_b32_e32 v2, v2, v3, vcc
	v_cndmask_b32_e32 v1, v1, v4, vcc
	global_load_ushort v1, v[1:2], off
	s_mov_b32 s0, 0xffff
	s_waitcnt vmcnt(0)
	v_bfi_b32 v10, s0, v1, v10
.LBB1289_8:
	s_or_b64 exec, exec, s[6:7]
	v_add_u32_e32 v1, v11, v17
	v_cmp_gt_u32_e64 s[0:1], s20, v1
.LBB1289_9:
	s_and_saveexec_b64 s[6:7], s[0:1]
	s_cbranch_execz .LBB1289_11
; %bb.10:
	v_mov_b32_e32 v2, 0
	v_lshlrev_b64 v[3:4], 1, v[1:2]
	v_mov_b32_e32 v5, s25
	v_add_co_u32_e32 v3, vcc, s24, v3
	v_addc_co_u32_e32 v4, vcc, v5, v4, vcc
	v_subrev_co_u32_e32 v1, vcc, s15, v1
	v_lshlrev_b64 v[1:2], 1, v[1:2]
	v_mov_b32_e32 v5, s26
	v_add_co_u32_e64 v1, s[0:1], s23, v1
	v_addc_co_u32_e64 v2, s[0:1], v5, v2, s[0:1]
	v_cndmask_b32_e32 v2, v2, v4, vcc
	v_cndmask_b32_e32 v1, v1, v3, vcc
	global_load_ushort v1, v[1:2], off
	s_mov_b32 s0, 0x5040100
	s_waitcnt vmcnt(0)
	v_perm_b32 v10, v1, v10, s0
.LBB1289_11:
	s_or_b64 exec, exec, s[6:7]
	s_lshl_b64 s[0:1], s[2:3], 3
	s_add_u32 s6, s10, s0
	s_addc_u32 s7, s11, s1
	s_lshl_b64 s[0:1], s[4:5], 3
	s_add_u32 s4, s10, s0
	v_mov_b32_e32 v8, 0
	v_lshrrev_b32_e32 v18, 16, v9
	s_waitcnt vmcnt(0)
	v_lshrrev_b32_e32 v19, 16, v10
	s_addc_u32 s5, s11, s1
	s_andn2_b64 vcc, exec, s[18:19]
	v_lshlrev_b32_e32 v16, 3, v0
	ds_write_b16 v15, v9
	ds_write_b16 v15, v18 offset:512
	ds_write_b16 v15, v10 offset:1024
	;; [unrolled: 1-line block ×3, first 2 shown]
	s_cbranch_vccnz .LBB1289_13
; %bb.12:
	v_mov_b32_e32 v1, s7
	v_add_co_u32_e32 v3, vcc, s6, v16
	v_addc_co_u32_e32 v4, vcc, 0, v1, vcc
	v_subrev_co_u32_e32 v7, vcc, s15, v0
	v_lshlrev_b64 v[1:2], 3, v[7:8]
	v_mov_b32_e32 v5, s5
	v_add_co_u32_e64 v1, s[0:1], s4, v1
	v_addc_co_u32_e64 v2, s[0:1], v5, v2, s[0:1]
	v_mov_b32_e32 v14, v8
	v_cndmask_b32_e32 v2, v2, v4, vcc
	v_cndmask_b32_e32 v1, v1, v3, vcc
	v_lshlrev_b64 v[3:4], 3, v[13:14]
	v_mov_b32_e32 v5, s7
	v_add_co_u32_e32 v6, vcc, s6, v3
	v_addc_co_u32_e32 v5, vcc, v5, v4, vcc
	v_subrev_co_u32_e32 v7, vcc, s15, v13
	v_lshlrev_b64 v[3:4], 3, v[7:8]
	v_mov_b32_e32 v7, s5
	v_add_co_u32_e64 v3, s[0:1], s4, v3
	v_addc_co_u32_e64 v4, s[0:1], v7, v4, s[0:1]
	v_mov_b32_e32 v12, v8
	v_cndmask_b32_e32 v4, v4, v5, vcc
	v_cndmask_b32_e32 v3, v3, v6, vcc
	v_lshlrev_b64 v[5:6], 3, v[11:12]
	v_mov_b32_e32 v7, s7
	v_add_co_u32_e32 v12, vcc, s6, v5
	v_addc_co_u32_e32 v14, vcc, v7, v6, vcc
	v_subrev_co_u32_e32 v7, vcc, s15, v11
	v_lshlrev_b64 v[5:6], 3, v[7:8]
	v_mov_b32_e32 v7, s5
	v_add_co_u32_e64 v5, s[0:1], s4, v5
	v_addc_co_u32_e64 v6, s[0:1], v7, v6, s[0:1]
	v_add_u32_e32 v7, v11, v17
	v_lshlrev_b64 v[20:21], 3, v[7:8]
	v_cndmask_b32_e32 v6, v6, v14, vcc
	v_cndmask_b32_e32 v5, v5, v12, vcc
	v_mov_b32_e32 v12, s7
	v_add_co_u32_e32 v14, vcc, s6, v20
	v_addc_co_u32_e32 v12, vcc, v12, v21, vcc
	v_subrev_co_u32_e32 v7, vcc, s15, v7
	v_lshlrev_b64 v[7:8], 3, v[7:8]
	v_mov_b32_e32 v20, s5
	v_add_co_u32_e64 v7, s[0:1], s4, v7
	v_addc_co_u32_e64 v8, s[0:1], v20, v8, s[0:1]
	v_cndmask_b32_e32 v8, v8, v12, vcc
	v_cndmask_b32_e32 v7, v7, v14, vcc
	global_load_dwordx2 v[1:2], v[1:2], off
	s_add_i32 s20, s17, s15
	global_load_dwordx2 v[3:4], v[3:4], off
	s_nop 0
	global_load_dwordx2 v[5:6], v[5:6], off
	s_nop 0
	global_load_dwordx2 v[7:8], v[7:8], off
	s_cbranch_execz .LBB1289_14
	s_branch .LBB1289_21
.LBB1289_13:
                                        ; implicit-def: $vgpr1_vgpr2_vgpr3_vgpr4_vgpr5_vgpr6_vgpr7_vgpr8
                                        ; implicit-def: $sgpr20
.LBB1289_14:
	s_add_i32 s20, s17, s15
	s_waitcnt vmcnt(3)
	v_mov_b32_e32 v1, 0
	v_cmp_gt_u32_e32 vcc, s20, v0
	v_mov_b32_e32 v2, v1
	s_waitcnt vmcnt(2)
	v_mov_b32_e32 v3, v1
	v_mov_b32_e32 v4, v1
	s_waitcnt vmcnt(1)
	v_mov_b32_e32 v5, v1
	;; [unrolled: 3-line block ×3, first 2 shown]
	v_mov_b32_e32 v8, v1
	s_and_saveexec_b64 s[2:3], vcc
	s_cbranch_execnz .LBB1289_49
; %bb.15:
	s_or_b64 exec, exec, s[2:3]
	v_cmp_gt_u32_e32 vcc, s20, v13
	s_and_saveexec_b64 s[2:3], vcc
	s_cbranch_execnz .LBB1289_50
.LBB1289_16:
	s_or_b64 exec, exec, s[2:3]
	v_cmp_gt_u32_e32 vcc, s20, v11
	s_and_saveexec_b64 s[2:3], vcc
	s_cbranch_execz .LBB1289_18
.LBB1289_17:
	v_mov_b32_e32 v12, 0
	v_lshlrev_b64 v[5:6], 3, v[11:12]
	v_mov_b32_e32 v13, s7
	v_add_co_u32_e32 v14, vcc, s6, v5
	v_addc_co_u32_e32 v13, vcc, v13, v6, vcc
	v_subrev_co_u32_e32 v5, vcc, s15, v11
	v_mov_b32_e32 v6, v12
	v_lshlrev_b64 v[5:6], 3, v[5:6]
	v_mov_b32_e32 v12, s5
	v_add_co_u32_e64 v5, s[0:1], s4, v5
	v_addc_co_u32_e64 v6, s[0:1], v12, v6, s[0:1]
	v_cndmask_b32_e32 v6, v6, v13, vcc
	v_cndmask_b32_e32 v5, v5, v14, vcc
	global_load_dwordx2 v[5:6], v[5:6], off
.LBB1289_18:
	s_or_b64 exec, exec, s[2:3]
	v_add_u32_e32 v11, v11, v17
	v_cmp_gt_u32_e32 vcc, s20, v11
	s_and_saveexec_b64 s[2:3], vcc
	s_cbranch_execz .LBB1289_20
; %bb.19:
	v_mov_b32_e32 v12, 0
	v_lshlrev_b64 v[7:8], 3, v[11:12]
	v_mov_b32_e32 v13, s7
	v_add_co_u32_e32 v14, vcc, s6, v7
	v_addc_co_u32_e32 v13, vcc, v13, v8, vcc
	v_subrev_co_u32_e32 v11, vcc, s15, v11
	v_lshlrev_b64 v[7:8], 3, v[11:12]
	v_mov_b32_e32 v11, s5
	v_add_co_u32_e64 v7, s[0:1], s4, v7
	v_addc_co_u32_e64 v8, s[0:1], v11, v8, s[0:1]
	v_cndmask_b32_e32 v8, v8, v13, vcc
	v_cndmask_b32_e32 v7, v7, v14, vcc
	global_load_dwordx2 v[7:8], v[7:8], off
.LBB1289_20:
	s_or_b64 exec, exec, s[2:3]
.LBB1289_21:
	v_lshlrev_b32_e32 v11, 2, v0
	v_min_u32_e32 v13, s20, v11
	v_sub_u32_e64 v12, v13, s17 clamp
	v_min_u32_e32 v14, s15, v13
	v_cmp_lt_u32_e32 vcc, v12, v14
	s_waitcnt vmcnt(0) lgkmcnt(0)
	s_barrier
	s_and_saveexec_b64 s[0:1], vcc
	s_cbranch_execz .LBB1289_25
; %bb.22:
	v_lshlrev_b32_e32 v17, 1, v13
	v_lshl_add_u32 v17, s15, 1, v17
	s_mov_b64 s[2:3], 0
.LBB1289_23:                            ; =>This Inner Loop Header: Depth=1
	v_add_u32_e32 v20, v14, v12
	v_lshrrev_b32_e32 v21, 1, v20
	v_not_b32_e32 v22, v21
	v_and_b32_e32 v20, -2, v20
	v_lshl_add_u32 v22, v22, 1, v17
	ds_read_u16 v20, v20
	ds_read_u16 v22, v22
	v_add_u32_e32 v23, 1, v21
	s_waitcnt lgkmcnt(0)
	v_cmp_gt_i16_e32 vcc, v20, v22
	v_cndmask_b32_e32 v14, v14, v21, vcc
	v_cndmask_b32_e32 v12, v23, v12, vcc
	v_cmp_ge_u32_e32 vcc, v12, v14
	s_or_b64 s[2:3], vcc, s[2:3]
	s_andn2_b64 exec, exec, s[2:3]
	s_cbranch_execnz .LBB1289_23
; %bb.24:
	s_or_b64 exec, exec, s[2:3]
.LBB1289_25:
	s_or_b64 exec, exec, s[0:1]
	v_sub_u32_e32 v13, v13, v12
	v_add_u32_e32 v20, s15, v13
	v_cmp_ge_u32_e32 vcc, s15, v12
	v_cmp_ge_u32_e64 s[0:1], s20, v20
	s_or_b64 s[0:1], vcc, s[0:1]
	v_mov_b32_e32 v21, 0
	v_mov_b32_e32 v17, 0
	;; [unrolled: 1-line block ×4, first 2 shown]
	s_and_saveexec_b64 s[10:11], s[0:1]
	s_cbranch_execz .LBB1289_31
; %bb.26:
	v_cmp_gt_u32_e32 vcc, s15, v12
                                        ; implicit-def: $vgpr9
	s_and_saveexec_b64 s[0:1], vcc
; %bb.27:
	v_lshlrev_b32_e32 v9, 1, v12
	ds_read_u16 v9, v9
; %bb.28:
	s_or_b64 exec, exec, s[0:1]
	v_cmp_le_u32_e64 s[0:1], s20, v20
	v_cmp_gt_u32_e64 s[2:3], s20, v20
                                        ; implicit-def: $vgpr10
	s_and_saveexec_b64 s[4:5], s[2:3]
; %bb.29:
	v_lshlrev_b32_e32 v10, 1, v20
	ds_read_u16 v10, v10
; %bb.30:
	s_or_b64 exec, exec, s[4:5]
	s_waitcnt lgkmcnt(0)
	v_cmp_le_i16_e64 s[2:3], v9, v10
	s_and_b64 s[2:3], vcc, s[2:3]
	s_or_b64 vcc, s[0:1], s[2:3]
	v_mov_b32_e32 v18, s20
	v_mov_b32_e32 v19, s15
	v_cndmask_b32_e32 v13, v20, v12, vcc
	v_cndmask_b32_e32 v14, v18, v19, vcc
	v_add_u32_e32 v17, 1, v13
	v_add_u32_e32 v14, -1, v14
	v_min_u32_e32 v14, v17, v14
	v_lshlrev_b32_e32 v14, 1, v14
	ds_read_u16 v14, v14
	v_cndmask_b32_e32 v12, v12, v17, vcc
	v_cndmask_b32_e32 v20, v17, v20, vcc
	v_cmp_gt_u32_e64 s[2:3], s15, v12
	v_cmp_le_u32_e64 s[0:1], s20, v20
	s_waitcnt lgkmcnt(0)
	v_cndmask_b32_e32 v21, v14, v10, vcc
	v_cndmask_b32_e32 v22, v9, v14, vcc
	v_cmp_le_i16_e64 s[4:5], v22, v21
	s_and_b64 s[2:3], s[2:3], s[4:5]
	s_or_b64 s[0:1], s[0:1], s[2:3]
	v_cndmask_b32_e64 v14, v20, v12, s[0:1]
	v_cndmask_b32_e64 v17, v18, v19, s[0:1]
	v_add_u32_e32 v23, 1, v14
	v_add_u32_e32 v17, -1, v17
	v_min_u32_e32 v17, v23, v17
	v_lshlrev_b32_e32 v17, 1, v17
	ds_read_u16 v17, v17
	v_cndmask_b32_e64 v12, v12, v23, s[0:1]
	v_cndmask_b32_e64 v20, v23, v20, s[0:1]
	v_cmp_gt_u32_e64 s[4:5], s15, v12
	v_cmp_le_u32_e64 s[2:3], s20, v20
	s_waitcnt lgkmcnt(0)
	v_cndmask_b32_e64 v24, v17, v21, s[0:1]
	v_cndmask_b32_e64 v25, v22, v17, s[0:1]
	v_cmp_le_i16_e64 s[6:7], v25, v24
	s_and_b64 s[4:5], s[4:5], s[6:7]
	s_or_b64 s[2:3], s[2:3], s[4:5]
	v_cndmask_b32_e64 v17, v20, v12, s[2:3]
	v_cndmask_b32_e64 v18, v18, v19, s[2:3]
	v_add_u32_e32 v19, 1, v17
	v_add_u32_e32 v18, -1, v18
	v_min_u32_e32 v18, v19, v18
	v_lshlrev_b32_e32 v18, 1, v18
	ds_read_u16 v23, v18
	v_cndmask_b32_e64 v18, v21, v22, s[0:1]
	v_cndmask_b32_e64 v12, v12, v19, s[2:3]
	v_cndmask_b32_e32 v9, v10, v9, vcc
	v_cndmask_b32_e64 v10, v24, v25, s[2:3]
	s_waitcnt lgkmcnt(0)
	v_cndmask_b32_e64 v22, v23, v24, s[2:3]
	v_cndmask_b32_e64 v23, v25, v23, s[2:3]
	;; [unrolled: 1-line block ×3, first 2 shown]
	v_cmp_gt_u32_e64 s[0:1], s15, v12
	v_cmp_le_i16_e64 s[2:3], v23, v22
	v_cmp_le_u32_e32 vcc, s20, v20
	s_and_b64 s[0:1], s[0:1], s[2:3]
	s_or_b64 vcc, vcc, s[0:1]
	v_cndmask_b32_e32 v21, v20, v12, vcc
	v_cndmask_b32_e32 v19, v22, v23, vcc
.LBB1289_31:
	s_or_b64 exec, exec, s[10:11]
	v_mad_u32_u24 v12, v0, 6, v15
	s_barrier
	ds_write2st64_b64 v12, v[1:2], v[3:4] offset1:4
	ds_write2st64_b64 v12, v[5:6], v[7:8] offset0:8 offset1:12
	v_lshrrev_b32_e32 v12, 2, v0
	v_and_b32_e32 v12, 60, v12
	s_mov_b32 s2, 0x5040100
	v_lshlrev_b32_e32 v1, 3, v13
	v_lshlrev_b32_e32 v2, 3, v14
	;; [unrolled: 1-line block ×4, first 2 shown]
	v_lshl_add_u32 v12, v11, 1, v12
	v_perm_b32 v10, v19, v10, s2
	v_perm_b32 v9, v18, v9, s2
	s_waitcnt lgkmcnt(0)
	s_barrier
	ds_read_b64 v[5:6], v1
	ds_read_b64 v[7:8], v2
	;; [unrolled: 1-line block ×4, first 2 shown]
	s_waitcnt lgkmcnt(0)
	s_barrier
	s_barrier
	ds_write2_b32 v12, v9, v10 offset1:1
	v_lshrrev_b32_e32 v9, 4, v0
	v_and_b32_e32 v9, 12, v9
	v_or_b32_e32 v22, 0x100, v0
	v_add_u32_e32 v23, v9, v15
	v_lshrrev_b32_e32 v9, 4, v22
	v_and_b32_e32 v9, 28, v9
	v_or_b32_e32 v21, 0x200, v0
	s_mov_b32 s17, 0
	v_add_u32_e32 v24, v9, v15
	v_lshrrev_b32_e32 v9, 4, v21
	s_lshl_b64 s[0:1], s[16:17], 1
	v_and_b32_e32 v9, 44, v9
	v_or_b32_e32 v20, 0x300, v0
	s_add_u32 s0, s8, s0
	v_add_u32_e32 v25, v9, v15
	v_lshrrev_b32_e32 v9, 4, v20
	s_addc_u32 s1, s9, s1
	v_and_b32_e32 v9, 60, v9
	v_add_u32_e32 v26, v9, v15
	v_mov_b32_e32 v10, s1
	v_add_co_u32_e32 v9, vcc, s0, v15
	v_addc_co_u32_e32 v10, vcc, 0, v10, vcc
	v_lshrrev_b32_e32 v14, 3, v0
	v_lshrrev_b32_e32 v13, 5, v0
	;; [unrolled: 1-line block ×5, first 2 shown]
	s_and_b64 vcc, exec, s[18:19]
	v_lshlrev_b32_e32 v15, 3, v11
	s_waitcnt lgkmcnt(0)
	s_cbranch_vccz .LBB1289_33
; %bb.32:
	s_barrier
	ds_read_u16 v11, v23
	ds_read_u16 v12, v24 offset:512
	ds_read_u16 v27, v25 offset:1024
	ds_read_u16 v28, v26 offset:1536
	s_lshl_b64 s[0:1], s[16:17], 3
	s_add_u32 s0, s12, s0
	s_waitcnt lgkmcnt(3)
	global_store_short v[9:10], v11, off
	s_waitcnt lgkmcnt(2)
	global_store_short v[9:10], v12, off offset:512
	s_waitcnt lgkmcnt(1)
	global_store_short v[9:10], v27, off offset:1024
	;; [unrolled: 2-line block ×3, first 2 shown]
	v_lshl_add_u32 v11, v14, 3, v15
	s_waitcnt vmcnt(0)
	s_barrier
	ds_write2_b64 v11, v[5:6], v[7:8] offset1:1
	ds_write2_b64 v11, v[1:2], v[3:4] offset0:2 offset1:3
	v_lshl_add_u32 v11, v13, 3, v16
	v_lshl_add_u32 v12, v17, 3, v16
	;; [unrolled: 1-line block ×3, first 2 shown]
	s_addc_u32 s1, s13, s1
	s_waitcnt lgkmcnt(0)
	s_barrier
	v_lshl_add_u32 v33, v19, 3, v16
	ds_read_b64 v[27:28], v11
	ds_read_b64 v[29:30], v12 offset:2048
	ds_read_b64 v[31:32], v31 offset:4096
	;; [unrolled: 1-line block ×3, first 2 shown]
	v_mov_b32_e32 v33, s1
	v_add_co_u32_e32 v34, vcc, s0, v16
	v_addc_co_u32_e32 v33, vcc, 0, v33, vcc
	s_waitcnt lgkmcnt(3)
	global_store_dwordx2 v16, v[27:28], s[0:1]
	s_waitcnt lgkmcnt(2)
	global_store_dwordx2 v16, v[29:30], s[0:1] offset:2048
	v_add_co_u32_e32 v27, vcc, 0x1000, v34
	v_addc_co_u32_e32 v28, vcc, 0, v33, vcc
	s_waitcnt lgkmcnt(1)
	global_store_dwordx2 v[27:28], v[31:32], off
	s_mov_b64 s[6:7], -1
	s_cbranch_execz .LBB1289_34
	s_branch .LBB1289_44
.LBB1289_33:
	s_mov_b64 s[6:7], 0
                                        ; implicit-def: $vgpr11_vgpr12
.LBB1289_34:
	s_waitcnt vmcnt(0) lgkmcnt(0)
	s_barrier
	ds_read_u16 v24, v24 offset:512
	ds_read_u16 v12, v25 offset:1024
	;; [unrolled: 1-line block ×3, first 2 shown]
	s_sub_i32 s6, s14, s16
	v_cmp_gt_u32_e32 vcc, s6, v0
	s_and_saveexec_b64 s[0:1], vcc
	s_cbranch_execnz .LBB1289_51
; %bb.35:
	s_or_b64 exec, exec, s[0:1]
	v_cmp_gt_u32_e64 s[0:1], s6, v22
	s_and_saveexec_b64 s[2:3], s[0:1]
	s_cbranch_execnz .LBB1289_52
.LBB1289_36:
	s_or_b64 exec, exec, s[2:3]
	v_cmp_gt_u32_e64 s[2:3], s6, v21
	s_and_saveexec_b64 s[4:5], s[2:3]
	s_cbranch_execnz .LBB1289_53
.LBB1289_37:
	s_or_b64 exec, exec, s[4:5]
	v_cmp_gt_u32_e64 s[6:7], s6, v20
	s_and_saveexec_b64 s[4:5], s[6:7]
	s_cbranch_execz .LBB1289_39
.LBB1289_38:
	s_waitcnt lgkmcnt(0)
	global_store_short v[9:10], v11, off offset:1536
.LBB1289_39:
	s_or_b64 exec, exec, s[4:5]
	v_lshl_add_u32 v0, v14, 3, v15
	s_waitcnt vmcnt(0) lgkmcnt(0)
	s_barrier
	ds_write2_b64 v0, v[5:6], v[7:8] offset1:1
	ds_write2_b64 v0, v[1:2], v[3:4] offset0:2 offset1:3
	v_lshl_add_u32 v0, v17, 3, v16
	v_lshl_add_u32 v1, v18, 3, v16
	s_waitcnt lgkmcnt(0)
	s_barrier
	v_lshl_add_u32 v2, v19, 3, v16
	ds_read_b64 v[4:5], v0 offset:2048
	ds_read_b64 v[0:1], v1 offset:4096
	ds_read_b64 v[11:12], v2 offset:6144
	s_lshl_b64 s[4:5], s[16:17], 3
	s_add_u32 s4, s12, s4
	s_addc_u32 s5, s13, s5
	v_mov_b32_e32 v3, s5
	v_add_co_u32_e64 v2, s[4:5], s4, v16
	v_addc_co_u32_e64 v3, s[4:5], 0, v3, s[4:5]
	s_and_saveexec_b64 s[4:5], vcc
	s_cbranch_execnz .LBB1289_54
; %bb.40:
	s_or_b64 exec, exec, s[4:5]
	s_and_saveexec_b64 s[4:5], s[0:1]
	s_cbranch_execnz .LBB1289_55
.LBB1289_41:
	s_or_b64 exec, exec, s[4:5]
	s_and_saveexec_b64 s[0:1], s[2:3]
	s_cbranch_execz .LBB1289_43
.LBB1289_42:
	v_add_co_u32_e32 v2, vcc, 0x1000, v2
	v_addc_co_u32_e32 v3, vcc, 0, v3, vcc
	s_waitcnt lgkmcnt(1)
	global_store_dwordx2 v[2:3], v[0:1], off
.LBB1289_43:
	s_or_b64 exec, exec, s[0:1]
.LBB1289_44:
	s_and_saveexec_b64 s[0:1], s[6:7]
	s_cbranch_execz .LBB1289_46
; %bb.45:
	s_lshl_b64 s[0:1], s[16:17], 3
	s_add_u32 s0, s12, s0
	s_addc_u32 s1, s13, s1
	s_waitcnt lgkmcnt(1)
	v_mov_b32_e32 v0, s1
	v_add_co_u32_e32 v1, vcc, s0, v16
	v_addc_co_u32_e32 v2, vcc, 0, v0, vcc
	v_add_co_u32_e32 v0, vcc, 0x1000, v1
	v_addc_co_u32_e32 v1, vcc, 0, v2, vcc
	s_waitcnt lgkmcnt(0)
	global_store_dwordx2 v[0:1], v[11:12], off offset:2048
.LBB1289_46:
	s_endpgm
.LBB1289_47:
	v_mov_b32_e32 v1, s25
	v_add_co_u32_e32 v3, vcc, s24, v15
	v_addc_co_u32_e32 v4, vcc, 0, v1, vcc
	v_subrev_co_u32_e32 v1, vcc, s15, v0
	v_mov_b32_e32 v2, v9
	v_lshlrev_b64 v[1:2], 1, v[1:2]
	v_mov_b32_e32 v5, s26
	v_add_co_u32_e64 v1, s[0:1], s23, v1
	v_addc_co_u32_e64 v2, s[0:1], v5, v2, s[0:1]
	v_cndmask_b32_e32 v2, v2, v4, vcc
	v_cndmask_b32_e32 v1, v1, v3, vcc
	global_load_ushort v1, v[1:2], off
	v_mov_b32_e32 v2, v9
	s_waitcnt vmcnt(0)
	v_and_b32_e32 v1, 0xffff, v1
	v_mov_b32_e32 v10, v2
	v_mov_b32_e32 v9, v1
	s_or_b64 exec, exec, s[6:7]
	v_cmp_gt_u32_e32 vcc, s20, v13
	s_and_saveexec_b64 s[6:7], vcc
	s_cbranch_execz .LBB1289_6
.LBB1289_48:
	v_mov_b32_e32 v14, 0
	v_lshlrev_b64 v[1:2], 1, v[13:14]
	v_mov_b32_e32 v3, s25
	v_add_co_u32_e32 v4, vcc, s24, v1
	v_addc_co_u32_e32 v3, vcc, v3, v2, vcc
	v_subrev_co_u32_e32 v1, vcc, s15, v13
	v_mov_b32_e32 v2, v14
	v_lshlrev_b64 v[1:2], 1, v[1:2]
	v_mov_b32_e32 v5, s26
	v_add_co_u32_e64 v1, s[0:1], s23, v1
	v_addc_co_u32_e64 v2, s[0:1], v5, v2, s[0:1]
	v_cndmask_b32_e32 v2, v2, v3, vcc
	v_cndmask_b32_e32 v1, v1, v4, vcc
	global_load_ushort v1, v[1:2], off
	s_mov_b32 s0, 0x5040100
	s_waitcnt vmcnt(0)
	v_perm_b32 v9, v1, v9, s0
	s_or_b64 exec, exec, s[6:7]
	v_cmp_gt_u32_e32 vcc, s20, v11
	s_and_saveexec_b64 s[6:7], vcc
	s_cbranch_execnz .LBB1289_7
	s_branch .LBB1289_8
.LBB1289_49:
	v_mov_b32_e32 v2, s7
	v_add_co_u32_e32 v4, vcc, s6, v16
	v_addc_co_u32_e32 v5, vcc, 0, v2, vcc
	v_subrev_co_u32_e32 v2, vcc, s15, v0
	v_mov_b32_e32 v3, v1
	v_lshlrev_b64 v[2:3], 3, v[2:3]
	v_mov_b32_e32 v6, s5
	v_add_co_u32_e64 v2, s[0:1], s4, v2
	v_addc_co_u32_e64 v3, s[0:1], v6, v3, s[0:1]
	v_cndmask_b32_e32 v3, v3, v5, vcc
	v_cndmask_b32_e32 v2, v2, v4, vcc
	global_load_dwordx2 v[20:21], v[2:3], off
	v_mov_b32_e32 v22, v1
	v_mov_b32_e32 v23, v1
	;; [unrolled: 1-line block ×6, first 2 shown]
	s_waitcnt vmcnt(0)
	v_mov_b32_e32 v1, v20
	v_mov_b32_e32 v2, v21
	;; [unrolled: 1-line block ×8, first 2 shown]
	s_or_b64 exec, exec, s[2:3]
	v_cmp_gt_u32_e32 vcc, s20, v13
	s_and_saveexec_b64 s[2:3], vcc
	s_cbranch_execz .LBB1289_16
.LBB1289_50:
	v_mov_b32_e32 v14, 0
	v_lshlrev_b64 v[3:4], 3, v[13:14]
	v_mov_b32_e32 v12, s7
	v_add_co_u32_e32 v20, vcc, s6, v3
	v_addc_co_u32_e32 v12, vcc, v12, v4, vcc
	v_subrev_co_u32_e32 v13, vcc, s15, v13
	v_lshlrev_b64 v[3:4], 3, v[13:14]
	v_mov_b32_e32 v13, s5
	v_add_co_u32_e64 v3, s[0:1], s4, v3
	v_addc_co_u32_e64 v4, s[0:1], v13, v4, s[0:1]
	v_cndmask_b32_e32 v4, v4, v12, vcc
	v_cndmask_b32_e32 v3, v3, v20, vcc
	global_load_dwordx2 v[3:4], v[3:4], off
	s_or_b64 exec, exec, s[2:3]
	v_cmp_gt_u32_e32 vcc, s20, v11
	s_and_saveexec_b64 s[2:3], vcc
	s_cbranch_execnz .LBB1289_17
	s_branch .LBB1289_18
.LBB1289_51:
	ds_read_u16 v0, v23
	s_waitcnt lgkmcnt(0)
	global_store_short v[9:10], v0, off
	s_or_b64 exec, exec, s[0:1]
	v_cmp_gt_u32_e64 s[0:1], s6, v22
	s_and_saveexec_b64 s[2:3], s[0:1]
	s_cbranch_execz .LBB1289_36
.LBB1289_52:
	s_waitcnt lgkmcnt(2)
	global_store_short v[9:10], v24, off offset:512
	s_or_b64 exec, exec, s[2:3]
	v_cmp_gt_u32_e64 s[2:3], s6, v21
	s_and_saveexec_b64 s[4:5], s[2:3]
	s_cbranch_execz .LBB1289_37
.LBB1289_53:
	s_waitcnt lgkmcnt(1)
	global_store_short v[9:10], v12, off offset:1024
	s_or_b64 exec, exec, s[4:5]
	v_cmp_gt_u32_e64 s[6:7], s6, v20
	s_and_saveexec_b64 s[4:5], s[6:7]
	s_cbranch_execnz .LBB1289_38
	s_branch .LBB1289_39
.LBB1289_54:
	v_lshl_add_u32 v6, v13, 3, v16
	ds_read_b64 v[6:7], v6
	s_waitcnt lgkmcnt(0)
	global_store_dwordx2 v[2:3], v[6:7], off
	s_or_b64 exec, exec, s[4:5]
	s_and_saveexec_b64 s[4:5], s[0:1]
	s_cbranch_execz .LBB1289_41
.LBB1289_55:
	s_waitcnt lgkmcnt(2)
	global_store_dwordx2 v[2:3], v[4:5], off offset:2048
	s_or_b64 exec, exec, s[4:5]
	s_and_saveexec_b64 s[0:1], s[2:3]
	s_cbranch_execnz .LBB1289_42
	s_branch .LBB1289_43
	.section	.rodata,"a",@progbits
	.p2align	6, 0x0
	.amdhsa_kernel _ZN7rocprim17ROCPRIM_400000_NS6detail17trampoline_kernelINS0_14default_configENS1_38merge_sort_block_merge_config_selectorIslEEZZNS1_27merge_sort_block_merge_implIS3_PsN6thrust23THRUST_200600_302600_NS10device_ptrIlEEjNS1_19radix_merge_compareILb0ELb0EsNS0_19identity_decomposerEEEEE10hipError_tT0_T1_T2_jT3_P12ihipStream_tbPNSt15iterator_traitsISG_E10value_typeEPNSM_ISH_E10value_typeEPSI_NS1_7vsmem_tEENKUlT_SG_SH_SI_E_clIS7_S7_PlSB_EESF_SV_SG_SH_SI_EUlSV_E0_NS1_11comp_targetILNS1_3genE2ELNS1_11target_archE906ELNS1_3gpuE6ELNS1_3repE0EEENS1_38merge_mergepath_config_static_selectorELNS0_4arch9wavefront6targetE1EEEvSH_
		.amdhsa_group_segment_fixed_size 8448
		.amdhsa_private_segment_fixed_size 0
		.amdhsa_kernarg_size 320
		.amdhsa_user_sgpr_count 6
		.amdhsa_user_sgpr_private_segment_buffer 1
		.amdhsa_user_sgpr_dispatch_ptr 0
		.amdhsa_user_sgpr_queue_ptr 0
		.amdhsa_user_sgpr_kernarg_segment_ptr 1
		.amdhsa_user_sgpr_dispatch_id 0
		.amdhsa_user_sgpr_flat_scratch_init 0
		.amdhsa_user_sgpr_private_segment_size 0
		.amdhsa_uses_dynamic_stack 0
		.amdhsa_system_sgpr_private_segment_wavefront_offset 0
		.amdhsa_system_sgpr_workgroup_id_x 1
		.amdhsa_system_sgpr_workgroup_id_y 1
		.amdhsa_system_sgpr_workgroup_id_z 1
		.amdhsa_system_sgpr_workgroup_info 0
		.amdhsa_system_vgpr_workitem_id 0
		.amdhsa_next_free_vgpr 35
		.amdhsa_next_free_sgpr 77
		.amdhsa_reserve_vcc 1
		.amdhsa_reserve_flat_scratch 0
		.amdhsa_float_round_mode_32 0
		.amdhsa_float_round_mode_16_64 0
		.amdhsa_float_denorm_mode_32 3
		.amdhsa_float_denorm_mode_16_64 3
		.amdhsa_dx10_clamp 1
		.amdhsa_ieee_mode 1
		.amdhsa_fp16_overflow 0
		.amdhsa_exception_fp_ieee_invalid_op 0
		.amdhsa_exception_fp_denorm_src 0
		.amdhsa_exception_fp_ieee_div_zero 0
		.amdhsa_exception_fp_ieee_overflow 0
		.amdhsa_exception_fp_ieee_underflow 0
		.amdhsa_exception_fp_ieee_inexact 0
		.amdhsa_exception_int_div_zero 0
	.end_amdhsa_kernel
	.section	.text._ZN7rocprim17ROCPRIM_400000_NS6detail17trampoline_kernelINS0_14default_configENS1_38merge_sort_block_merge_config_selectorIslEEZZNS1_27merge_sort_block_merge_implIS3_PsN6thrust23THRUST_200600_302600_NS10device_ptrIlEEjNS1_19radix_merge_compareILb0ELb0EsNS0_19identity_decomposerEEEEE10hipError_tT0_T1_T2_jT3_P12ihipStream_tbPNSt15iterator_traitsISG_E10value_typeEPNSM_ISH_E10value_typeEPSI_NS1_7vsmem_tEENKUlT_SG_SH_SI_E_clIS7_S7_PlSB_EESF_SV_SG_SH_SI_EUlSV_E0_NS1_11comp_targetILNS1_3genE2ELNS1_11target_archE906ELNS1_3gpuE6ELNS1_3repE0EEENS1_38merge_mergepath_config_static_selectorELNS0_4arch9wavefront6targetE1EEEvSH_,"axG",@progbits,_ZN7rocprim17ROCPRIM_400000_NS6detail17trampoline_kernelINS0_14default_configENS1_38merge_sort_block_merge_config_selectorIslEEZZNS1_27merge_sort_block_merge_implIS3_PsN6thrust23THRUST_200600_302600_NS10device_ptrIlEEjNS1_19radix_merge_compareILb0ELb0EsNS0_19identity_decomposerEEEEE10hipError_tT0_T1_T2_jT3_P12ihipStream_tbPNSt15iterator_traitsISG_E10value_typeEPNSM_ISH_E10value_typeEPSI_NS1_7vsmem_tEENKUlT_SG_SH_SI_E_clIS7_S7_PlSB_EESF_SV_SG_SH_SI_EUlSV_E0_NS1_11comp_targetILNS1_3genE2ELNS1_11target_archE906ELNS1_3gpuE6ELNS1_3repE0EEENS1_38merge_mergepath_config_static_selectorELNS0_4arch9wavefront6targetE1EEEvSH_,comdat
.Lfunc_end1289:
	.size	_ZN7rocprim17ROCPRIM_400000_NS6detail17trampoline_kernelINS0_14default_configENS1_38merge_sort_block_merge_config_selectorIslEEZZNS1_27merge_sort_block_merge_implIS3_PsN6thrust23THRUST_200600_302600_NS10device_ptrIlEEjNS1_19radix_merge_compareILb0ELb0EsNS0_19identity_decomposerEEEEE10hipError_tT0_T1_T2_jT3_P12ihipStream_tbPNSt15iterator_traitsISG_E10value_typeEPNSM_ISH_E10value_typeEPSI_NS1_7vsmem_tEENKUlT_SG_SH_SI_E_clIS7_S7_PlSB_EESF_SV_SG_SH_SI_EUlSV_E0_NS1_11comp_targetILNS1_3genE2ELNS1_11target_archE906ELNS1_3gpuE6ELNS1_3repE0EEENS1_38merge_mergepath_config_static_selectorELNS0_4arch9wavefront6targetE1EEEvSH_, .Lfunc_end1289-_ZN7rocprim17ROCPRIM_400000_NS6detail17trampoline_kernelINS0_14default_configENS1_38merge_sort_block_merge_config_selectorIslEEZZNS1_27merge_sort_block_merge_implIS3_PsN6thrust23THRUST_200600_302600_NS10device_ptrIlEEjNS1_19radix_merge_compareILb0ELb0EsNS0_19identity_decomposerEEEEE10hipError_tT0_T1_T2_jT3_P12ihipStream_tbPNSt15iterator_traitsISG_E10value_typeEPNSM_ISH_E10value_typeEPSI_NS1_7vsmem_tEENKUlT_SG_SH_SI_E_clIS7_S7_PlSB_EESF_SV_SG_SH_SI_EUlSV_E0_NS1_11comp_targetILNS1_3genE2ELNS1_11target_archE906ELNS1_3gpuE6ELNS1_3repE0EEENS1_38merge_mergepath_config_static_selectorELNS0_4arch9wavefront6targetE1EEEvSH_
                                        ; -- End function
	.set _ZN7rocprim17ROCPRIM_400000_NS6detail17trampoline_kernelINS0_14default_configENS1_38merge_sort_block_merge_config_selectorIslEEZZNS1_27merge_sort_block_merge_implIS3_PsN6thrust23THRUST_200600_302600_NS10device_ptrIlEEjNS1_19radix_merge_compareILb0ELb0EsNS0_19identity_decomposerEEEEE10hipError_tT0_T1_T2_jT3_P12ihipStream_tbPNSt15iterator_traitsISG_E10value_typeEPNSM_ISH_E10value_typeEPSI_NS1_7vsmem_tEENKUlT_SG_SH_SI_E_clIS7_S7_PlSB_EESF_SV_SG_SH_SI_EUlSV_E0_NS1_11comp_targetILNS1_3genE2ELNS1_11target_archE906ELNS1_3gpuE6ELNS1_3repE0EEENS1_38merge_mergepath_config_static_selectorELNS0_4arch9wavefront6targetE1EEEvSH_.num_vgpr, 35
	.set _ZN7rocprim17ROCPRIM_400000_NS6detail17trampoline_kernelINS0_14default_configENS1_38merge_sort_block_merge_config_selectorIslEEZZNS1_27merge_sort_block_merge_implIS3_PsN6thrust23THRUST_200600_302600_NS10device_ptrIlEEjNS1_19radix_merge_compareILb0ELb0EsNS0_19identity_decomposerEEEEE10hipError_tT0_T1_T2_jT3_P12ihipStream_tbPNSt15iterator_traitsISG_E10value_typeEPNSM_ISH_E10value_typeEPSI_NS1_7vsmem_tEENKUlT_SG_SH_SI_E_clIS7_S7_PlSB_EESF_SV_SG_SH_SI_EUlSV_E0_NS1_11comp_targetILNS1_3genE2ELNS1_11target_archE906ELNS1_3gpuE6ELNS1_3repE0EEENS1_38merge_mergepath_config_static_selectorELNS0_4arch9wavefront6targetE1EEEvSH_.num_agpr, 0
	.set _ZN7rocprim17ROCPRIM_400000_NS6detail17trampoline_kernelINS0_14default_configENS1_38merge_sort_block_merge_config_selectorIslEEZZNS1_27merge_sort_block_merge_implIS3_PsN6thrust23THRUST_200600_302600_NS10device_ptrIlEEjNS1_19radix_merge_compareILb0ELb0EsNS0_19identity_decomposerEEEEE10hipError_tT0_T1_T2_jT3_P12ihipStream_tbPNSt15iterator_traitsISG_E10value_typeEPNSM_ISH_E10value_typeEPSI_NS1_7vsmem_tEENKUlT_SG_SH_SI_E_clIS7_S7_PlSB_EESF_SV_SG_SH_SI_EUlSV_E0_NS1_11comp_targetILNS1_3genE2ELNS1_11target_archE906ELNS1_3gpuE6ELNS1_3repE0EEENS1_38merge_mergepath_config_static_selectorELNS0_4arch9wavefront6targetE1EEEvSH_.numbered_sgpr, 31
	.set _ZN7rocprim17ROCPRIM_400000_NS6detail17trampoline_kernelINS0_14default_configENS1_38merge_sort_block_merge_config_selectorIslEEZZNS1_27merge_sort_block_merge_implIS3_PsN6thrust23THRUST_200600_302600_NS10device_ptrIlEEjNS1_19radix_merge_compareILb0ELb0EsNS0_19identity_decomposerEEEEE10hipError_tT0_T1_T2_jT3_P12ihipStream_tbPNSt15iterator_traitsISG_E10value_typeEPNSM_ISH_E10value_typeEPSI_NS1_7vsmem_tEENKUlT_SG_SH_SI_E_clIS7_S7_PlSB_EESF_SV_SG_SH_SI_EUlSV_E0_NS1_11comp_targetILNS1_3genE2ELNS1_11target_archE906ELNS1_3gpuE6ELNS1_3repE0EEENS1_38merge_mergepath_config_static_selectorELNS0_4arch9wavefront6targetE1EEEvSH_.num_named_barrier, 0
	.set _ZN7rocprim17ROCPRIM_400000_NS6detail17trampoline_kernelINS0_14default_configENS1_38merge_sort_block_merge_config_selectorIslEEZZNS1_27merge_sort_block_merge_implIS3_PsN6thrust23THRUST_200600_302600_NS10device_ptrIlEEjNS1_19radix_merge_compareILb0ELb0EsNS0_19identity_decomposerEEEEE10hipError_tT0_T1_T2_jT3_P12ihipStream_tbPNSt15iterator_traitsISG_E10value_typeEPNSM_ISH_E10value_typeEPSI_NS1_7vsmem_tEENKUlT_SG_SH_SI_E_clIS7_S7_PlSB_EESF_SV_SG_SH_SI_EUlSV_E0_NS1_11comp_targetILNS1_3genE2ELNS1_11target_archE906ELNS1_3gpuE6ELNS1_3repE0EEENS1_38merge_mergepath_config_static_selectorELNS0_4arch9wavefront6targetE1EEEvSH_.private_seg_size, 0
	.set _ZN7rocprim17ROCPRIM_400000_NS6detail17trampoline_kernelINS0_14default_configENS1_38merge_sort_block_merge_config_selectorIslEEZZNS1_27merge_sort_block_merge_implIS3_PsN6thrust23THRUST_200600_302600_NS10device_ptrIlEEjNS1_19radix_merge_compareILb0ELb0EsNS0_19identity_decomposerEEEEE10hipError_tT0_T1_T2_jT3_P12ihipStream_tbPNSt15iterator_traitsISG_E10value_typeEPNSM_ISH_E10value_typeEPSI_NS1_7vsmem_tEENKUlT_SG_SH_SI_E_clIS7_S7_PlSB_EESF_SV_SG_SH_SI_EUlSV_E0_NS1_11comp_targetILNS1_3genE2ELNS1_11target_archE906ELNS1_3gpuE6ELNS1_3repE0EEENS1_38merge_mergepath_config_static_selectorELNS0_4arch9wavefront6targetE1EEEvSH_.uses_vcc, 1
	.set _ZN7rocprim17ROCPRIM_400000_NS6detail17trampoline_kernelINS0_14default_configENS1_38merge_sort_block_merge_config_selectorIslEEZZNS1_27merge_sort_block_merge_implIS3_PsN6thrust23THRUST_200600_302600_NS10device_ptrIlEEjNS1_19radix_merge_compareILb0ELb0EsNS0_19identity_decomposerEEEEE10hipError_tT0_T1_T2_jT3_P12ihipStream_tbPNSt15iterator_traitsISG_E10value_typeEPNSM_ISH_E10value_typeEPSI_NS1_7vsmem_tEENKUlT_SG_SH_SI_E_clIS7_S7_PlSB_EESF_SV_SG_SH_SI_EUlSV_E0_NS1_11comp_targetILNS1_3genE2ELNS1_11target_archE906ELNS1_3gpuE6ELNS1_3repE0EEENS1_38merge_mergepath_config_static_selectorELNS0_4arch9wavefront6targetE1EEEvSH_.uses_flat_scratch, 0
	.set _ZN7rocprim17ROCPRIM_400000_NS6detail17trampoline_kernelINS0_14default_configENS1_38merge_sort_block_merge_config_selectorIslEEZZNS1_27merge_sort_block_merge_implIS3_PsN6thrust23THRUST_200600_302600_NS10device_ptrIlEEjNS1_19radix_merge_compareILb0ELb0EsNS0_19identity_decomposerEEEEE10hipError_tT0_T1_T2_jT3_P12ihipStream_tbPNSt15iterator_traitsISG_E10value_typeEPNSM_ISH_E10value_typeEPSI_NS1_7vsmem_tEENKUlT_SG_SH_SI_E_clIS7_S7_PlSB_EESF_SV_SG_SH_SI_EUlSV_E0_NS1_11comp_targetILNS1_3genE2ELNS1_11target_archE906ELNS1_3gpuE6ELNS1_3repE0EEENS1_38merge_mergepath_config_static_selectorELNS0_4arch9wavefront6targetE1EEEvSH_.has_dyn_sized_stack, 0
	.set _ZN7rocprim17ROCPRIM_400000_NS6detail17trampoline_kernelINS0_14default_configENS1_38merge_sort_block_merge_config_selectorIslEEZZNS1_27merge_sort_block_merge_implIS3_PsN6thrust23THRUST_200600_302600_NS10device_ptrIlEEjNS1_19radix_merge_compareILb0ELb0EsNS0_19identity_decomposerEEEEE10hipError_tT0_T1_T2_jT3_P12ihipStream_tbPNSt15iterator_traitsISG_E10value_typeEPNSM_ISH_E10value_typeEPSI_NS1_7vsmem_tEENKUlT_SG_SH_SI_E_clIS7_S7_PlSB_EESF_SV_SG_SH_SI_EUlSV_E0_NS1_11comp_targetILNS1_3genE2ELNS1_11target_archE906ELNS1_3gpuE6ELNS1_3repE0EEENS1_38merge_mergepath_config_static_selectorELNS0_4arch9wavefront6targetE1EEEvSH_.has_recursion, 0
	.set _ZN7rocprim17ROCPRIM_400000_NS6detail17trampoline_kernelINS0_14default_configENS1_38merge_sort_block_merge_config_selectorIslEEZZNS1_27merge_sort_block_merge_implIS3_PsN6thrust23THRUST_200600_302600_NS10device_ptrIlEEjNS1_19radix_merge_compareILb0ELb0EsNS0_19identity_decomposerEEEEE10hipError_tT0_T1_T2_jT3_P12ihipStream_tbPNSt15iterator_traitsISG_E10value_typeEPNSM_ISH_E10value_typeEPSI_NS1_7vsmem_tEENKUlT_SG_SH_SI_E_clIS7_S7_PlSB_EESF_SV_SG_SH_SI_EUlSV_E0_NS1_11comp_targetILNS1_3genE2ELNS1_11target_archE906ELNS1_3gpuE6ELNS1_3repE0EEENS1_38merge_mergepath_config_static_selectorELNS0_4arch9wavefront6targetE1EEEvSH_.has_indirect_call, 0
	.section	.AMDGPU.csdata,"",@progbits
; Kernel info:
; codeLenInByte = 3672
; TotalNumSgprs: 35
; NumVgprs: 35
; ScratchSize: 0
; MemoryBound: 0
; FloatMode: 240
; IeeeMode: 1
; LDSByteSize: 8448 bytes/workgroup (compile time only)
; SGPRBlocks: 10
; VGPRBlocks: 8
; NumSGPRsForWavesPerEU: 81
; NumVGPRsForWavesPerEU: 35
; Occupancy: 7
; WaveLimiterHint : 1
; COMPUTE_PGM_RSRC2:SCRATCH_EN: 0
; COMPUTE_PGM_RSRC2:USER_SGPR: 6
; COMPUTE_PGM_RSRC2:TRAP_HANDLER: 0
; COMPUTE_PGM_RSRC2:TGID_X_EN: 1
; COMPUTE_PGM_RSRC2:TGID_Y_EN: 1
; COMPUTE_PGM_RSRC2:TGID_Z_EN: 1
; COMPUTE_PGM_RSRC2:TIDIG_COMP_CNT: 0
	.section	.text._ZN7rocprim17ROCPRIM_400000_NS6detail17trampoline_kernelINS0_14default_configENS1_38merge_sort_block_merge_config_selectorIslEEZZNS1_27merge_sort_block_merge_implIS3_PsN6thrust23THRUST_200600_302600_NS10device_ptrIlEEjNS1_19radix_merge_compareILb0ELb0EsNS0_19identity_decomposerEEEEE10hipError_tT0_T1_T2_jT3_P12ihipStream_tbPNSt15iterator_traitsISG_E10value_typeEPNSM_ISH_E10value_typeEPSI_NS1_7vsmem_tEENKUlT_SG_SH_SI_E_clIS7_S7_PlSB_EESF_SV_SG_SH_SI_EUlSV_E0_NS1_11comp_targetILNS1_3genE9ELNS1_11target_archE1100ELNS1_3gpuE3ELNS1_3repE0EEENS1_38merge_mergepath_config_static_selectorELNS0_4arch9wavefront6targetE1EEEvSH_,"axG",@progbits,_ZN7rocprim17ROCPRIM_400000_NS6detail17trampoline_kernelINS0_14default_configENS1_38merge_sort_block_merge_config_selectorIslEEZZNS1_27merge_sort_block_merge_implIS3_PsN6thrust23THRUST_200600_302600_NS10device_ptrIlEEjNS1_19radix_merge_compareILb0ELb0EsNS0_19identity_decomposerEEEEE10hipError_tT0_T1_T2_jT3_P12ihipStream_tbPNSt15iterator_traitsISG_E10value_typeEPNSM_ISH_E10value_typeEPSI_NS1_7vsmem_tEENKUlT_SG_SH_SI_E_clIS7_S7_PlSB_EESF_SV_SG_SH_SI_EUlSV_E0_NS1_11comp_targetILNS1_3genE9ELNS1_11target_archE1100ELNS1_3gpuE3ELNS1_3repE0EEENS1_38merge_mergepath_config_static_selectorELNS0_4arch9wavefront6targetE1EEEvSH_,comdat
	.protected	_ZN7rocprim17ROCPRIM_400000_NS6detail17trampoline_kernelINS0_14default_configENS1_38merge_sort_block_merge_config_selectorIslEEZZNS1_27merge_sort_block_merge_implIS3_PsN6thrust23THRUST_200600_302600_NS10device_ptrIlEEjNS1_19radix_merge_compareILb0ELb0EsNS0_19identity_decomposerEEEEE10hipError_tT0_T1_T2_jT3_P12ihipStream_tbPNSt15iterator_traitsISG_E10value_typeEPNSM_ISH_E10value_typeEPSI_NS1_7vsmem_tEENKUlT_SG_SH_SI_E_clIS7_S7_PlSB_EESF_SV_SG_SH_SI_EUlSV_E0_NS1_11comp_targetILNS1_3genE9ELNS1_11target_archE1100ELNS1_3gpuE3ELNS1_3repE0EEENS1_38merge_mergepath_config_static_selectorELNS0_4arch9wavefront6targetE1EEEvSH_ ; -- Begin function _ZN7rocprim17ROCPRIM_400000_NS6detail17trampoline_kernelINS0_14default_configENS1_38merge_sort_block_merge_config_selectorIslEEZZNS1_27merge_sort_block_merge_implIS3_PsN6thrust23THRUST_200600_302600_NS10device_ptrIlEEjNS1_19radix_merge_compareILb0ELb0EsNS0_19identity_decomposerEEEEE10hipError_tT0_T1_T2_jT3_P12ihipStream_tbPNSt15iterator_traitsISG_E10value_typeEPNSM_ISH_E10value_typeEPSI_NS1_7vsmem_tEENKUlT_SG_SH_SI_E_clIS7_S7_PlSB_EESF_SV_SG_SH_SI_EUlSV_E0_NS1_11comp_targetILNS1_3genE9ELNS1_11target_archE1100ELNS1_3gpuE3ELNS1_3repE0EEENS1_38merge_mergepath_config_static_selectorELNS0_4arch9wavefront6targetE1EEEvSH_
	.globl	_ZN7rocprim17ROCPRIM_400000_NS6detail17trampoline_kernelINS0_14default_configENS1_38merge_sort_block_merge_config_selectorIslEEZZNS1_27merge_sort_block_merge_implIS3_PsN6thrust23THRUST_200600_302600_NS10device_ptrIlEEjNS1_19radix_merge_compareILb0ELb0EsNS0_19identity_decomposerEEEEE10hipError_tT0_T1_T2_jT3_P12ihipStream_tbPNSt15iterator_traitsISG_E10value_typeEPNSM_ISH_E10value_typeEPSI_NS1_7vsmem_tEENKUlT_SG_SH_SI_E_clIS7_S7_PlSB_EESF_SV_SG_SH_SI_EUlSV_E0_NS1_11comp_targetILNS1_3genE9ELNS1_11target_archE1100ELNS1_3gpuE3ELNS1_3repE0EEENS1_38merge_mergepath_config_static_selectorELNS0_4arch9wavefront6targetE1EEEvSH_
	.p2align	8
	.type	_ZN7rocprim17ROCPRIM_400000_NS6detail17trampoline_kernelINS0_14default_configENS1_38merge_sort_block_merge_config_selectorIslEEZZNS1_27merge_sort_block_merge_implIS3_PsN6thrust23THRUST_200600_302600_NS10device_ptrIlEEjNS1_19radix_merge_compareILb0ELb0EsNS0_19identity_decomposerEEEEE10hipError_tT0_T1_T2_jT3_P12ihipStream_tbPNSt15iterator_traitsISG_E10value_typeEPNSM_ISH_E10value_typeEPSI_NS1_7vsmem_tEENKUlT_SG_SH_SI_E_clIS7_S7_PlSB_EESF_SV_SG_SH_SI_EUlSV_E0_NS1_11comp_targetILNS1_3genE9ELNS1_11target_archE1100ELNS1_3gpuE3ELNS1_3repE0EEENS1_38merge_mergepath_config_static_selectorELNS0_4arch9wavefront6targetE1EEEvSH_,@function
_ZN7rocprim17ROCPRIM_400000_NS6detail17trampoline_kernelINS0_14default_configENS1_38merge_sort_block_merge_config_selectorIslEEZZNS1_27merge_sort_block_merge_implIS3_PsN6thrust23THRUST_200600_302600_NS10device_ptrIlEEjNS1_19radix_merge_compareILb0ELb0EsNS0_19identity_decomposerEEEEE10hipError_tT0_T1_T2_jT3_P12ihipStream_tbPNSt15iterator_traitsISG_E10value_typeEPNSM_ISH_E10value_typeEPSI_NS1_7vsmem_tEENKUlT_SG_SH_SI_E_clIS7_S7_PlSB_EESF_SV_SG_SH_SI_EUlSV_E0_NS1_11comp_targetILNS1_3genE9ELNS1_11target_archE1100ELNS1_3gpuE3ELNS1_3repE0EEENS1_38merge_mergepath_config_static_selectorELNS0_4arch9wavefront6targetE1EEEvSH_: ; @_ZN7rocprim17ROCPRIM_400000_NS6detail17trampoline_kernelINS0_14default_configENS1_38merge_sort_block_merge_config_selectorIslEEZZNS1_27merge_sort_block_merge_implIS3_PsN6thrust23THRUST_200600_302600_NS10device_ptrIlEEjNS1_19radix_merge_compareILb0ELb0EsNS0_19identity_decomposerEEEEE10hipError_tT0_T1_T2_jT3_P12ihipStream_tbPNSt15iterator_traitsISG_E10value_typeEPNSM_ISH_E10value_typeEPSI_NS1_7vsmem_tEENKUlT_SG_SH_SI_E_clIS7_S7_PlSB_EESF_SV_SG_SH_SI_EUlSV_E0_NS1_11comp_targetILNS1_3genE9ELNS1_11target_archE1100ELNS1_3gpuE3ELNS1_3repE0EEENS1_38merge_mergepath_config_static_selectorELNS0_4arch9wavefront6targetE1EEEvSH_
; %bb.0:
	.section	.rodata,"a",@progbits
	.p2align	6, 0x0
	.amdhsa_kernel _ZN7rocprim17ROCPRIM_400000_NS6detail17trampoline_kernelINS0_14default_configENS1_38merge_sort_block_merge_config_selectorIslEEZZNS1_27merge_sort_block_merge_implIS3_PsN6thrust23THRUST_200600_302600_NS10device_ptrIlEEjNS1_19radix_merge_compareILb0ELb0EsNS0_19identity_decomposerEEEEE10hipError_tT0_T1_T2_jT3_P12ihipStream_tbPNSt15iterator_traitsISG_E10value_typeEPNSM_ISH_E10value_typeEPSI_NS1_7vsmem_tEENKUlT_SG_SH_SI_E_clIS7_S7_PlSB_EESF_SV_SG_SH_SI_EUlSV_E0_NS1_11comp_targetILNS1_3genE9ELNS1_11target_archE1100ELNS1_3gpuE3ELNS1_3repE0EEENS1_38merge_mergepath_config_static_selectorELNS0_4arch9wavefront6targetE1EEEvSH_
		.amdhsa_group_segment_fixed_size 0
		.amdhsa_private_segment_fixed_size 0
		.amdhsa_kernarg_size 64
		.amdhsa_user_sgpr_count 6
		.amdhsa_user_sgpr_private_segment_buffer 1
		.amdhsa_user_sgpr_dispatch_ptr 0
		.amdhsa_user_sgpr_queue_ptr 0
		.amdhsa_user_sgpr_kernarg_segment_ptr 1
		.amdhsa_user_sgpr_dispatch_id 0
		.amdhsa_user_sgpr_flat_scratch_init 0
		.amdhsa_user_sgpr_private_segment_size 0
		.amdhsa_uses_dynamic_stack 0
		.amdhsa_system_sgpr_private_segment_wavefront_offset 0
		.amdhsa_system_sgpr_workgroup_id_x 1
		.amdhsa_system_sgpr_workgroup_id_y 0
		.amdhsa_system_sgpr_workgroup_id_z 0
		.amdhsa_system_sgpr_workgroup_info 0
		.amdhsa_system_vgpr_workitem_id 0
		.amdhsa_next_free_vgpr 1
		.amdhsa_next_free_sgpr 0
		.amdhsa_reserve_vcc 0
		.amdhsa_reserve_flat_scratch 0
		.amdhsa_float_round_mode_32 0
		.amdhsa_float_round_mode_16_64 0
		.amdhsa_float_denorm_mode_32 3
		.amdhsa_float_denorm_mode_16_64 3
		.amdhsa_dx10_clamp 1
		.amdhsa_ieee_mode 1
		.amdhsa_fp16_overflow 0
		.amdhsa_exception_fp_ieee_invalid_op 0
		.amdhsa_exception_fp_denorm_src 0
		.amdhsa_exception_fp_ieee_div_zero 0
		.amdhsa_exception_fp_ieee_overflow 0
		.amdhsa_exception_fp_ieee_underflow 0
		.amdhsa_exception_fp_ieee_inexact 0
		.amdhsa_exception_int_div_zero 0
	.end_amdhsa_kernel
	.section	.text._ZN7rocprim17ROCPRIM_400000_NS6detail17trampoline_kernelINS0_14default_configENS1_38merge_sort_block_merge_config_selectorIslEEZZNS1_27merge_sort_block_merge_implIS3_PsN6thrust23THRUST_200600_302600_NS10device_ptrIlEEjNS1_19radix_merge_compareILb0ELb0EsNS0_19identity_decomposerEEEEE10hipError_tT0_T1_T2_jT3_P12ihipStream_tbPNSt15iterator_traitsISG_E10value_typeEPNSM_ISH_E10value_typeEPSI_NS1_7vsmem_tEENKUlT_SG_SH_SI_E_clIS7_S7_PlSB_EESF_SV_SG_SH_SI_EUlSV_E0_NS1_11comp_targetILNS1_3genE9ELNS1_11target_archE1100ELNS1_3gpuE3ELNS1_3repE0EEENS1_38merge_mergepath_config_static_selectorELNS0_4arch9wavefront6targetE1EEEvSH_,"axG",@progbits,_ZN7rocprim17ROCPRIM_400000_NS6detail17trampoline_kernelINS0_14default_configENS1_38merge_sort_block_merge_config_selectorIslEEZZNS1_27merge_sort_block_merge_implIS3_PsN6thrust23THRUST_200600_302600_NS10device_ptrIlEEjNS1_19radix_merge_compareILb0ELb0EsNS0_19identity_decomposerEEEEE10hipError_tT0_T1_T2_jT3_P12ihipStream_tbPNSt15iterator_traitsISG_E10value_typeEPNSM_ISH_E10value_typeEPSI_NS1_7vsmem_tEENKUlT_SG_SH_SI_E_clIS7_S7_PlSB_EESF_SV_SG_SH_SI_EUlSV_E0_NS1_11comp_targetILNS1_3genE9ELNS1_11target_archE1100ELNS1_3gpuE3ELNS1_3repE0EEENS1_38merge_mergepath_config_static_selectorELNS0_4arch9wavefront6targetE1EEEvSH_,comdat
.Lfunc_end1290:
	.size	_ZN7rocprim17ROCPRIM_400000_NS6detail17trampoline_kernelINS0_14default_configENS1_38merge_sort_block_merge_config_selectorIslEEZZNS1_27merge_sort_block_merge_implIS3_PsN6thrust23THRUST_200600_302600_NS10device_ptrIlEEjNS1_19radix_merge_compareILb0ELb0EsNS0_19identity_decomposerEEEEE10hipError_tT0_T1_T2_jT3_P12ihipStream_tbPNSt15iterator_traitsISG_E10value_typeEPNSM_ISH_E10value_typeEPSI_NS1_7vsmem_tEENKUlT_SG_SH_SI_E_clIS7_S7_PlSB_EESF_SV_SG_SH_SI_EUlSV_E0_NS1_11comp_targetILNS1_3genE9ELNS1_11target_archE1100ELNS1_3gpuE3ELNS1_3repE0EEENS1_38merge_mergepath_config_static_selectorELNS0_4arch9wavefront6targetE1EEEvSH_, .Lfunc_end1290-_ZN7rocprim17ROCPRIM_400000_NS6detail17trampoline_kernelINS0_14default_configENS1_38merge_sort_block_merge_config_selectorIslEEZZNS1_27merge_sort_block_merge_implIS3_PsN6thrust23THRUST_200600_302600_NS10device_ptrIlEEjNS1_19radix_merge_compareILb0ELb0EsNS0_19identity_decomposerEEEEE10hipError_tT0_T1_T2_jT3_P12ihipStream_tbPNSt15iterator_traitsISG_E10value_typeEPNSM_ISH_E10value_typeEPSI_NS1_7vsmem_tEENKUlT_SG_SH_SI_E_clIS7_S7_PlSB_EESF_SV_SG_SH_SI_EUlSV_E0_NS1_11comp_targetILNS1_3genE9ELNS1_11target_archE1100ELNS1_3gpuE3ELNS1_3repE0EEENS1_38merge_mergepath_config_static_selectorELNS0_4arch9wavefront6targetE1EEEvSH_
                                        ; -- End function
	.set _ZN7rocprim17ROCPRIM_400000_NS6detail17trampoline_kernelINS0_14default_configENS1_38merge_sort_block_merge_config_selectorIslEEZZNS1_27merge_sort_block_merge_implIS3_PsN6thrust23THRUST_200600_302600_NS10device_ptrIlEEjNS1_19radix_merge_compareILb0ELb0EsNS0_19identity_decomposerEEEEE10hipError_tT0_T1_T2_jT3_P12ihipStream_tbPNSt15iterator_traitsISG_E10value_typeEPNSM_ISH_E10value_typeEPSI_NS1_7vsmem_tEENKUlT_SG_SH_SI_E_clIS7_S7_PlSB_EESF_SV_SG_SH_SI_EUlSV_E0_NS1_11comp_targetILNS1_3genE9ELNS1_11target_archE1100ELNS1_3gpuE3ELNS1_3repE0EEENS1_38merge_mergepath_config_static_selectorELNS0_4arch9wavefront6targetE1EEEvSH_.num_vgpr, 0
	.set _ZN7rocprim17ROCPRIM_400000_NS6detail17trampoline_kernelINS0_14default_configENS1_38merge_sort_block_merge_config_selectorIslEEZZNS1_27merge_sort_block_merge_implIS3_PsN6thrust23THRUST_200600_302600_NS10device_ptrIlEEjNS1_19radix_merge_compareILb0ELb0EsNS0_19identity_decomposerEEEEE10hipError_tT0_T1_T2_jT3_P12ihipStream_tbPNSt15iterator_traitsISG_E10value_typeEPNSM_ISH_E10value_typeEPSI_NS1_7vsmem_tEENKUlT_SG_SH_SI_E_clIS7_S7_PlSB_EESF_SV_SG_SH_SI_EUlSV_E0_NS1_11comp_targetILNS1_3genE9ELNS1_11target_archE1100ELNS1_3gpuE3ELNS1_3repE0EEENS1_38merge_mergepath_config_static_selectorELNS0_4arch9wavefront6targetE1EEEvSH_.num_agpr, 0
	.set _ZN7rocprim17ROCPRIM_400000_NS6detail17trampoline_kernelINS0_14default_configENS1_38merge_sort_block_merge_config_selectorIslEEZZNS1_27merge_sort_block_merge_implIS3_PsN6thrust23THRUST_200600_302600_NS10device_ptrIlEEjNS1_19radix_merge_compareILb0ELb0EsNS0_19identity_decomposerEEEEE10hipError_tT0_T1_T2_jT3_P12ihipStream_tbPNSt15iterator_traitsISG_E10value_typeEPNSM_ISH_E10value_typeEPSI_NS1_7vsmem_tEENKUlT_SG_SH_SI_E_clIS7_S7_PlSB_EESF_SV_SG_SH_SI_EUlSV_E0_NS1_11comp_targetILNS1_3genE9ELNS1_11target_archE1100ELNS1_3gpuE3ELNS1_3repE0EEENS1_38merge_mergepath_config_static_selectorELNS0_4arch9wavefront6targetE1EEEvSH_.numbered_sgpr, 0
	.set _ZN7rocprim17ROCPRIM_400000_NS6detail17trampoline_kernelINS0_14default_configENS1_38merge_sort_block_merge_config_selectorIslEEZZNS1_27merge_sort_block_merge_implIS3_PsN6thrust23THRUST_200600_302600_NS10device_ptrIlEEjNS1_19radix_merge_compareILb0ELb0EsNS0_19identity_decomposerEEEEE10hipError_tT0_T1_T2_jT3_P12ihipStream_tbPNSt15iterator_traitsISG_E10value_typeEPNSM_ISH_E10value_typeEPSI_NS1_7vsmem_tEENKUlT_SG_SH_SI_E_clIS7_S7_PlSB_EESF_SV_SG_SH_SI_EUlSV_E0_NS1_11comp_targetILNS1_3genE9ELNS1_11target_archE1100ELNS1_3gpuE3ELNS1_3repE0EEENS1_38merge_mergepath_config_static_selectorELNS0_4arch9wavefront6targetE1EEEvSH_.num_named_barrier, 0
	.set _ZN7rocprim17ROCPRIM_400000_NS6detail17trampoline_kernelINS0_14default_configENS1_38merge_sort_block_merge_config_selectorIslEEZZNS1_27merge_sort_block_merge_implIS3_PsN6thrust23THRUST_200600_302600_NS10device_ptrIlEEjNS1_19radix_merge_compareILb0ELb0EsNS0_19identity_decomposerEEEEE10hipError_tT0_T1_T2_jT3_P12ihipStream_tbPNSt15iterator_traitsISG_E10value_typeEPNSM_ISH_E10value_typeEPSI_NS1_7vsmem_tEENKUlT_SG_SH_SI_E_clIS7_S7_PlSB_EESF_SV_SG_SH_SI_EUlSV_E0_NS1_11comp_targetILNS1_3genE9ELNS1_11target_archE1100ELNS1_3gpuE3ELNS1_3repE0EEENS1_38merge_mergepath_config_static_selectorELNS0_4arch9wavefront6targetE1EEEvSH_.private_seg_size, 0
	.set _ZN7rocprim17ROCPRIM_400000_NS6detail17trampoline_kernelINS0_14default_configENS1_38merge_sort_block_merge_config_selectorIslEEZZNS1_27merge_sort_block_merge_implIS3_PsN6thrust23THRUST_200600_302600_NS10device_ptrIlEEjNS1_19radix_merge_compareILb0ELb0EsNS0_19identity_decomposerEEEEE10hipError_tT0_T1_T2_jT3_P12ihipStream_tbPNSt15iterator_traitsISG_E10value_typeEPNSM_ISH_E10value_typeEPSI_NS1_7vsmem_tEENKUlT_SG_SH_SI_E_clIS7_S7_PlSB_EESF_SV_SG_SH_SI_EUlSV_E0_NS1_11comp_targetILNS1_3genE9ELNS1_11target_archE1100ELNS1_3gpuE3ELNS1_3repE0EEENS1_38merge_mergepath_config_static_selectorELNS0_4arch9wavefront6targetE1EEEvSH_.uses_vcc, 0
	.set _ZN7rocprim17ROCPRIM_400000_NS6detail17trampoline_kernelINS0_14default_configENS1_38merge_sort_block_merge_config_selectorIslEEZZNS1_27merge_sort_block_merge_implIS3_PsN6thrust23THRUST_200600_302600_NS10device_ptrIlEEjNS1_19radix_merge_compareILb0ELb0EsNS0_19identity_decomposerEEEEE10hipError_tT0_T1_T2_jT3_P12ihipStream_tbPNSt15iterator_traitsISG_E10value_typeEPNSM_ISH_E10value_typeEPSI_NS1_7vsmem_tEENKUlT_SG_SH_SI_E_clIS7_S7_PlSB_EESF_SV_SG_SH_SI_EUlSV_E0_NS1_11comp_targetILNS1_3genE9ELNS1_11target_archE1100ELNS1_3gpuE3ELNS1_3repE0EEENS1_38merge_mergepath_config_static_selectorELNS0_4arch9wavefront6targetE1EEEvSH_.uses_flat_scratch, 0
	.set _ZN7rocprim17ROCPRIM_400000_NS6detail17trampoline_kernelINS0_14default_configENS1_38merge_sort_block_merge_config_selectorIslEEZZNS1_27merge_sort_block_merge_implIS3_PsN6thrust23THRUST_200600_302600_NS10device_ptrIlEEjNS1_19radix_merge_compareILb0ELb0EsNS0_19identity_decomposerEEEEE10hipError_tT0_T1_T2_jT3_P12ihipStream_tbPNSt15iterator_traitsISG_E10value_typeEPNSM_ISH_E10value_typeEPSI_NS1_7vsmem_tEENKUlT_SG_SH_SI_E_clIS7_S7_PlSB_EESF_SV_SG_SH_SI_EUlSV_E0_NS1_11comp_targetILNS1_3genE9ELNS1_11target_archE1100ELNS1_3gpuE3ELNS1_3repE0EEENS1_38merge_mergepath_config_static_selectorELNS0_4arch9wavefront6targetE1EEEvSH_.has_dyn_sized_stack, 0
	.set _ZN7rocprim17ROCPRIM_400000_NS6detail17trampoline_kernelINS0_14default_configENS1_38merge_sort_block_merge_config_selectorIslEEZZNS1_27merge_sort_block_merge_implIS3_PsN6thrust23THRUST_200600_302600_NS10device_ptrIlEEjNS1_19radix_merge_compareILb0ELb0EsNS0_19identity_decomposerEEEEE10hipError_tT0_T1_T2_jT3_P12ihipStream_tbPNSt15iterator_traitsISG_E10value_typeEPNSM_ISH_E10value_typeEPSI_NS1_7vsmem_tEENKUlT_SG_SH_SI_E_clIS7_S7_PlSB_EESF_SV_SG_SH_SI_EUlSV_E0_NS1_11comp_targetILNS1_3genE9ELNS1_11target_archE1100ELNS1_3gpuE3ELNS1_3repE0EEENS1_38merge_mergepath_config_static_selectorELNS0_4arch9wavefront6targetE1EEEvSH_.has_recursion, 0
	.set _ZN7rocprim17ROCPRIM_400000_NS6detail17trampoline_kernelINS0_14default_configENS1_38merge_sort_block_merge_config_selectorIslEEZZNS1_27merge_sort_block_merge_implIS3_PsN6thrust23THRUST_200600_302600_NS10device_ptrIlEEjNS1_19radix_merge_compareILb0ELb0EsNS0_19identity_decomposerEEEEE10hipError_tT0_T1_T2_jT3_P12ihipStream_tbPNSt15iterator_traitsISG_E10value_typeEPNSM_ISH_E10value_typeEPSI_NS1_7vsmem_tEENKUlT_SG_SH_SI_E_clIS7_S7_PlSB_EESF_SV_SG_SH_SI_EUlSV_E0_NS1_11comp_targetILNS1_3genE9ELNS1_11target_archE1100ELNS1_3gpuE3ELNS1_3repE0EEENS1_38merge_mergepath_config_static_selectorELNS0_4arch9wavefront6targetE1EEEvSH_.has_indirect_call, 0
	.section	.AMDGPU.csdata,"",@progbits
; Kernel info:
; codeLenInByte = 0
; TotalNumSgprs: 4
; NumVgprs: 0
; ScratchSize: 0
; MemoryBound: 0
; FloatMode: 240
; IeeeMode: 1
; LDSByteSize: 0 bytes/workgroup (compile time only)
; SGPRBlocks: 0
; VGPRBlocks: 0
; NumSGPRsForWavesPerEU: 4
; NumVGPRsForWavesPerEU: 1
; Occupancy: 10
; WaveLimiterHint : 0
; COMPUTE_PGM_RSRC2:SCRATCH_EN: 0
; COMPUTE_PGM_RSRC2:USER_SGPR: 6
; COMPUTE_PGM_RSRC2:TRAP_HANDLER: 0
; COMPUTE_PGM_RSRC2:TGID_X_EN: 1
; COMPUTE_PGM_RSRC2:TGID_Y_EN: 0
; COMPUTE_PGM_RSRC2:TGID_Z_EN: 0
; COMPUTE_PGM_RSRC2:TIDIG_COMP_CNT: 0
	.section	.text._ZN7rocprim17ROCPRIM_400000_NS6detail17trampoline_kernelINS0_14default_configENS1_38merge_sort_block_merge_config_selectorIslEEZZNS1_27merge_sort_block_merge_implIS3_PsN6thrust23THRUST_200600_302600_NS10device_ptrIlEEjNS1_19radix_merge_compareILb0ELb0EsNS0_19identity_decomposerEEEEE10hipError_tT0_T1_T2_jT3_P12ihipStream_tbPNSt15iterator_traitsISG_E10value_typeEPNSM_ISH_E10value_typeEPSI_NS1_7vsmem_tEENKUlT_SG_SH_SI_E_clIS7_S7_PlSB_EESF_SV_SG_SH_SI_EUlSV_E0_NS1_11comp_targetILNS1_3genE8ELNS1_11target_archE1030ELNS1_3gpuE2ELNS1_3repE0EEENS1_38merge_mergepath_config_static_selectorELNS0_4arch9wavefront6targetE1EEEvSH_,"axG",@progbits,_ZN7rocprim17ROCPRIM_400000_NS6detail17trampoline_kernelINS0_14default_configENS1_38merge_sort_block_merge_config_selectorIslEEZZNS1_27merge_sort_block_merge_implIS3_PsN6thrust23THRUST_200600_302600_NS10device_ptrIlEEjNS1_19radix_merge_compareILb0ELb0EsNS0_19identity_decomposerEEEEE10hipError_tT0_T1_T2_jT3_P12ihipStream_tbPNSt15iterator_traitsISG_E10value_typeEPNSM_ISH_E10value_typeEPSI_NS1_7vsmem_tEENKUlT_SG_SH_SI_E_clIS7_S7_PlSB_EESF_SV_SG_SH_SI_EUlSV_E0_NS1_11comp_targetILNS1_3genE8ELNS1_11target_archE1030ELNS1_3gpuE2ELNS1_3repE0EEENS1_38merge_mergepath_config_static_selectorELNS0_4arch9wavefront6targetE1EEEvSH_,comdat
	.protected	_ZN7rocprim17ROCPRIM_400000_NS6detail17trampoline_kernelINS0_14default_configENS1_38merge_sort_block_merge_config_selectorIslEEZZNS1_27merge_sort_block_merge_implIS3_PsN6thrust23THRUST_200600_302600_NS10device_ptrIlEEjNS1_19radix_merge_compareILb0ELb0EsNS0_19identity_decomposerEEEEE10hipError_tT0_T1_T2_jT3_P12ihipStream_tbPNSt15iterator_traitsISG_E10value_typeEPNSM_ISH_E10value_typeEPSI_NS1_7vsmem_tEENKUlT_SG_SH_SI_E_clIS7_S7_PlSB_EESF_SV_SG_SH_SI_EUlSV_E0_NS1_11comp_targetILNS1_3genE8ELNS1_11target_archE1030ELNS1_3gpuE2ELNS1_3repE0EEENS1_38merge_mergepath_config_static_selectorELNS0_4arch9wavefront6targetE1EEEvSH_ ; -- Begin function _ZN7rocprim17ROCPRIM_400000_NS6detail17trampoline_kernelINS0_14default_configENS1_38merge_sort_block_merge_config_selectorIslEEZZNS1_27merge_sort_block_merge_implIS3_PsN6thrust23THRUST_200600_302600_NS10device_ptrIlEEjNS1_19radix_merge_compareILb0ELb0EsNS0_19identity_decomposerEEEEE10hipError_tT0_T1_T2_jT3_P12ihipStream_tbPNSt15iterator_traitsISG_E10value_typeEPNSM_ISH_E10value_typeEPSI_NS1_7vsmem_tEENKUlT_SG_SH_SI_E_clIS7_S7_PlSB_EESF_SV_SG_SH_SI_EUlSV_E0_NS1_11comp_targetILNS1_3genE8ELNS1_11target_archE1030ELNS1_3gpuE2ELNS1_3repE0EEENS1_38merge_mergepath_config_static_selectorELNS0_4arch9wavefront6targetE1EEEvSH_
	.globl	_ZN7rocprim17ROCPRIM_400000_NS6detail17trampoline_kernelINS0_14default_configENS1_38merge_sort_block_merge_config_selectorIslEEZZNS1_27merge_sort_block_merge_implIS3_PsN6thrust23THRUST_200600_302600_NS10device_ptrIlEEjNS1_19radix_merge_compareILb0ELb0EsNS0_19identity_decomposerEEEEE10hipError_tT0_T1_T2_jT3_P12ihipStream_tbPNSt15iterator_traitsISG_E10value_typeEPNSM_ISH_E10value_typeEPSI_NS1_7vsmem_tEENKUlT_SG_SH_SI_E_clIS7_S7_PlSB_EESF_SV_SG_SH_SI_EUlSV_E0_NS1_11comp_targetILNS1_3genE8ELNS1_11target_archE1030ELNS1_3gpuE2ELNS1_3repE0EEENS1_38merge_mergepath_config_static_selectorELNS0_4arch9wavefront6targetE1EEEvSH_
	.p2align	8
	.type	_ZN7rocprim17ROCPRIM_400000_NS6detail17trampoline_kernelINS0_14default_configENS1_38merge_sort_block_merge_config_selectorIslEEZZNS1_27merge_sort_block_merge_implIS3_PsN6thrust23THRUST_200600_302600_NS10device_ptrIlEEjNS1_19radix_merge_compareILb0ELb0EsNS0_19identity_decomposerEEEEE10hipError_tT0_T1_T2_jT3_P12ihipStream_tbPNSt15iterator_traitsISG_E10value_typeEPNSM_ISH_E10value_typeEPSI_NS1_7vsmem_tEENKUlT_SG_SH_SI_E_clIS7_S7_PlSB_EESF_SV_SG_SH_SI_EUlSV_E0_NS1_11comp_targetILNS1_3genE8ELNS1_11target_archE1030ELNS1_3gpuE2ELNS1_3repE0EEENS1_38merge_mergepath_config_static_selectorELNS0_4arch9wavefront6targetE1EEEvSH_,@function
_ZN7rocprim17ROCPRIM_400000_NS6detail17trampoline_kernelINS0_14default_configENS1_38merge_sort_block_merge_config_selectorIslEEZZNS1_27merge_sort_block_merge_implIS3_PsN6thrust23THRUST_200600_302600_NS10device_ptrIlEEjNS1_19radix_merge_compareILb0ELb0EsNS0_19identity_decomposerEEEEE10hipError_tT0_T1_T2_jT3_P12ihipStream_tbPNSt15iterator_traitsISG_E10value_typeEPNSM_ISH_E10value_typeEPSI_NS1_7vsmem_tEENKUlT_SG_SH_SI_E_clIS7_S7_PlSB_EESF_SV_SG_SH_SI_EUlSV_E0_NS1_11comp_targetILNS1_3genE8ELNS1_11target_archE1030ELNS1_3gpuE2ELNS1_3repE0EEENS1_38merge_mergepath_config_static_selectorELNS0_4arch9wavefront6targetE1EEEvSH_: ; @_ZN7rocprim17ROCPRIM_400000_NS6detail17trampoline_kernelINS0_14default_configENS1_38merge_sort_block_merge_config_selectorIslEEZZNS1_27merge_sort_block_merge_implIS3_PsN6thrust23THRUST_200600_302600_NS10device_ptrIlEEjNS1_19radix_merge_compareILb0ELb0EsNS0_19identity_decomposerEEEEE10hipError_tT0_T1_T2_jT3_P12ihipStream_tbPNSt15iterator_traitsISG_E10value_typeEPNSM_ISH_E10value_typeEPSI_NS1_7vsmem_tEENKUlT_SG_SH_SI_E_clIS7_S7_PlSB_EESF_SV_SG_SH_SI_EUlSV_E0_NS1_11comp_targetILNS1_3genE8ELNS1_11target_archE1030ELNS1_3gpuE2ELNS1_3repE0EEENS1_38merge_mergepath_config_static_selectorELNS0_4arch9wavefront6targetE1EEEvSH_
; %bb.0:
	.section	.rodata,"a",@progbits
	.p2align	6, 0x0
	.amdhsa_kernel _ZN7rocprim17ROCPRIM_400000_NS6detail17trampoline_kernelINS0_14default_configENS1_38merge_sort_block_merge_config_selectorIslEEZZNS1_27merge_sort_block_merge_implIS3_PsN6thrust23THRUST_200600_302600_NS10device_ptrIlEEjNS1_19radix_merge_compareILb0ELb0EsNS0_19identity_decomposerEEEEE10hipError_tT0_T1_T2_jT3_P12ihipStream_tbPNSt15iterator_traitsISG_E10value_typeEPNSM_ISH_E10value_typeEPSI_NS1_7vsmem_tEENKUlT_SG_SH_SI_E_clIS7_S7_PlSB_EESF_SV_SG_SH_SI_EUlSV_E0_NS1_11comp_targetILNS1_3genE8ELNS1_11target_archE1030ELNS1_3gpuE2ELNS1_3repE0EEENS1_38merge_mergepath_config_static_selectorELNS0_4arch9wavefront6targetE1EEEvSH_
		.amdhsa_group_segment_fixed_size 0
		.amdhsa_private_segment_fixed_size 0
		.amdhsa_kernarg_size 64
		.amdhsa_user_sgpr_count 6
		.amdhsa_user_sgpr_private_segment_buffer 1
		.amdhsa_user_sgpr_dispatch_ptr 0
		.amdhsa_user_sgpr_queue_ptr 0
		.amdhsa_user_sgpr_kernarg_segment_ptr 1
		.amdhsa_user_sgpr_dispatch_id 0
		.amdhsa_user_sgpr_flat_scratch_init 0
		.amdhsa_user_sgpr_private_segment_size 0
		.amdhsa_uses_dynamic_stack 0
		.amdhsa_system_sgpr_private_segment_wavefront_offset 0
		.amdhsa_system_sgpr_workgroup_id_x 1
		.amdhsa_system_sgpr_workgroup_id_y 0
		.amdhsa_system_sgpr_workgroup_id_z 0
		.amdhsa_system_sgpr_workgroup_info 0
		.amdhsa_system_vgpr_workitem_id 0
		.amdhsa_next_free_vgpr 1
		.amdhsa_next_free_sgpr 0
		.amdhsa_reserve_vcc 0
		.amdhsa_reserve_flat_scratch 0
		.amdhsa_float_round_mode_32 0
		.amdhsa_float_round_mode_16_64 0
		.amdhsa_float_denorm_mode_32 3
		.amdhsa_float_denorm_mode_16_64 3
		.amdhsa_dx10_clamp 1
		.amdhsa_ieee_mode 1
		.amdhsa_fp16_overflow 0
		.amdhsa_exception_fp_ieee_invalid_op 0
		.amdhsa_exception_fp_denorm_src 0
		.amdhsa_exception_fp_ieee_div_zero 0
		.amdhsa_exception_fp_ieee_overflow 0
		.amdhsa_exception_fp_ieee_underflow 0
		.amdhsa_exception_fp_ieee_inexact 0
		.amdhsa_exception_int_div_zero 0
	.end_amdhsa_kernel
	.section	.text._ZN7rocprim17ROCPRIM_400000_NS6detail17trampoline_kernelINS0_14default_configENS1_38merge_sort_block_merge_config_selectorIslEEZZNS1_27merge_sort_block_merge_implIS3_PsN6thrust23THRUST_200600_302600_NS10device_ptrIlEEjNS1_19radix_merge_compareILb0ELb0EsNS0_19identity_decomposerEEEEE10hipError_tT0_T1_T2_jT3_P12ihipStream_tbPNSt15iterator_traitsISG_E10value_typeEPNSM_ISH_E10value_typeEPSI_NS1_7vsmem_tEENKUlT_SG_SH_SI_E_clIS7_S7_PlSB_EESF_SV_SG_SH_SI_EUlSV_E0_NS1_11comp_targetILNS1_3genE8ELNS1_11target_archE1030ELNS1_3gpuE2ELNS1_3repE0EEENS1_38merge_mergepath_config_static_selectorELNS0_4arch9wavefront6targetE1EEEvSH_,"axG",@progbits,_ZN7rocprim17ROCPRIM_400000_NS6detail17trampoline_kernelINS0_14default_configENS1_38merge_sort_block_merge_config_selectorIslEEZZNS1_27merge_sort_block_merge_implIS3_PsN6thrust23THRUST_200600_302600_NS10device_ptrIlEEjNS1_19radix_merge_compareILb0ELb0EsNS0_19identity_decomposerEEEEE10hipError_tT0_T1_T2_jT3_P12ihipStream_tbPNSt15iterator_traitsISG_E10value_typeEPNSM_ISH_E10value_typeEPSI_NS1_7vsmem_tEENKUlT_SG_SH_SI_E_clIS7_S7_PlSB_EESF_SV_SG_SH_SI_EUlSV_E0_NS1_11comp_targetILNS1_3genE8ELNS1_11target_archE1030ELNS1_3gpuE2ELNS1_3repE0EEENS1_38merge_mergepath_config_static_selectorELNS0_4arch9wavefront6targetE1EEEvSH_,comdat
.Lfunc_end1291:
	.size	_ZN7rocprim17ROCPRIM_400000_NS6detail17trampoline_kernelINS0_14default_configENS1_38merge_sort_block_merge_config_selectorIslEEZZNS1_27merge_sort_block_merge_implIS3_PsN6thrust23THRUST_200600_302600_NS10device_ptrIlEEjNS1_19radix_merge_compareILb0ELb0EsNS0_19identity_decomposerEEEEE10hipError_tT0_T1_T2_jT3_P12ihipStream_tbPNSt15iterator_traitsISG_E10value_typeEPNSM_ISH_E10value_typeEPSI_NS1_7vsmem_tEENKUlT_SG_SH_SI_E_clIS7_S7_PlSB_EESF_SV_SG_SH_SI_EUlSV_E0_NS1_11comp_targetILNS1_3genE8ELNS1_11target_archE1030ELNS1_3gpuE2ELNS1_3repE0EEENS1_38merge_mergepath_config_static_selectorELNS0_4arch9wavefront6targetE1EEEvSH_, .Lfunc_end1291-_ZN7rocprim17ROCPRIM_400000_NS6detail17trampoline_kernelINS0_14default_configENS1_38merge_sort_block_merge_config_selectorIslEEZZNS1_27merge_sort_block_merge_implIS3_PsN6thrust23THRUST_200600_302600_NS10device_ptrIlEEjNS1_19radix_merge_compareILb0ELb0EsNS0_19identity_decomposerEEEEE10hipError_tT0_T1_T2_jT3_P12ihipStream_tbPNSt15iterator_traitsISG_E10value_typeEPNSM_ISH_E10value_typeEPSI_NS1_7vsmem_tEENKUlT_SG_SH_SI_E_clIS7_S7_PlSB_EESF_SV_SG_SH_SI_EUlSV_E0_NS1_11comp_targetILNS1_3genE8ELNS1_11target_archE1030ELNS1_3gpuE2ELNS1_3repE0EEENS1_38merge_mergepath_config_static_selectorELNS0_4arch9wavefront6targetE1EEEvSH_
                                        ; -- End function
	.set _ZN7rocprim17ROCPRIM_400000_NS6detail17trampoline_kernelINS0_14default_configENS1_38merge_sort_block_merge_config_selectorIslEEZZNS1_27merge_sort_block_merge_implIS3_PsN6thrust23THRUST_200600_302600_NS10device_ptrIlEEjNS1_19radix_merge_compareILb0ELb0EsNS0_19identity_decomposerEEEEE10hipError_tT0_T1_T2_jT3_P12ihipStream_tbPNSt15iterator_traitsISG_E10value_typeEPNSM_ISH_E10value_typeEPSI_NS1_7vsmem_tEENKUlT_SG_SH_SI_E_clIS7_S7_PlSB_EESF_SV_SG_SH_SI_EUlSV_E0_NS1_11comp_targetILNS1_3genE8ELNS1_11target_archE1030ELNS1_3gpuE2ELNS1_3repE0EEENS1_38merge_mergepath_config_static_selectorELNS0_4arch9wavefront6targetE1EEEvSH_.num_vgpr, 0
	.set _ZN7rocprim17ROCPRIM_400000_NS6detail17trampoline_kernelINS0_14default_configENS1_38merge_sort_block_merge_config_selectorIslEEZZNS1_27merge_sort_block_merge_implIS3_PsN6thrust23THRUST_200600_302600_NS10device_ptrIlEEjNS1_19radix_merge_compareILb0ELb0EsNS0_19identity_decomposerEEEEE10hipError_tT0_T1_T2_jT3_P12ihipStream_tbPNSt15iterator_traitsISG_E10value_typeEPNSM_ISH_E10value_typeEPSI_NS1_7vsmem_tEENKUlT_SG_SH_SI_E_clIS7_S7_PlSB_EESF_SV_SG_SH_SI_EUlSV_E0_NS1_11comp_targetILNS1_3genE8ELNS1_11target_archE1030ELNS1_3gpuE2ELNS1_3repE0EEENS1_38merge_mergepath_config_static_selectorELNS0_4arch9wavefront6targetE1EEEvSH_.num_agpr, 0
	.set _ZN7rocprim17ROCPRIM_400000_NS6detail17trampoline_kernelINS0_14default_configENS1_38merge_sort_block_merge_config_selectorIslEEZZNS1_27merge_sort_block_merge_implIS3_PsN6thrust23THRUST_200600_302600_NS10device_ptrIlEEjNS1_19radix_merge_compareILb0ELb0EsNS0_19identity_decomposerEEEEE10hipError_tT0_T1_T2_jT3_P12ihipStream_tbPNSt15iterator_traitsISG_E10value_typeEPNSM_ISH_E10value_typeEPSI_NS1_7vsmem_tEENKUlT_SG_SH_SI_E_clIS7_S7_PlSB_EESF_SV_SG_SH_SI_EUlSV_E0_NS1_11comp_targetILNS1_3genE8ELNS1_11target_archE1030ELNS1_3gpuE2ELNS1_3repE0EEENS1_38merge_mergepath_config_static_selectorELNS0_4arch9wavefront6targetE1EEEvSH_.numbered_sgpr, 0
	.set _ZN7rocprim17ROCPRIM_400000_NS6detail17trampoline_kernelINS0_14default_configENS1_38merge_sort_block_merge_config_selectorIslEEZZNS1_27merge_sort_block_merge_implIS3_PsN6thrust23THRUST_200600_302600_NS10device_ptrIlEEjNS1_19radix_merge_compareILb0ELb0EsNS0_19identity_decomposerEEEEE10hipError_tT0_T1_T2_jT3_P12ihipStream_tbPNSt15iterator_traitsISG_E10value_typeEPNSM_ISH_E10value_typeEPSI_NS1_7vsmem_tEENKUlT_SG_SH_SI_E_clIS7_S7_PlSB_EESF_SV_SG_SH_SI_EUlSV_E0_NS1_11comp_targetILNS1_3genE8ELNS1_11target_archE1030ELNS1_3gpuE2ELNS1_3repE0EEENS1_38merge_mergepath_config_static_selectorELNS0_4arch9wavefront6targetE1EEEvSH_.num_named_barrier, 0
	.set _ZN7rocprim17ROCPRIM_400000_NS6detail17trampoline_kernelINS0_14default_configENS1_38merge_sort_block_merge_config_selectorIslEEZZNS1_27merge_sort_block_merge_implIS3_PsN6thrust23THRUST_200600_302600_NS10device_ptrIlEEjNS1_19radix_merge_compareILb0ELb0EsNS0_19identity_decomposerEEEEE10hipError_tT0_T1_T2_jT3_P12ihipStream_tbPNSt15iterator_traitsISG_E10value_typeEPNSM_ISH_E10value_typeEPSI_NS1_7vsmem_tEENKUlT_SG_SH_SI_E_clIS7_S7_PlSB_EESF_SV_SG_SH_SI_EUlSV_E0_NS1_11comp_targetILNS1_3genE8ELNS1_11target_archE1030ELNS1_3gpuE2ELNS1_3repE0EEENS1_38merge_mergepath_config_static_selectorELNS0_4arch9wavefront6targetE1EEEvSH_.private_seg_size, 0
	.set _ZN7rocprim17ROCPRIM_400000_NS6detail17trampoline_kernelINS0_14default_configENS1_38merge_sort_block_merge_config_selectorIslEEZZNS1_27merge_sort_block_merge_implIS3_PsN6thrust23THRUST_200600_302600_NS10device_ptrIlEEjNS1_19radix_merge_compareILb0ELb0EsNS0_19identity_decomposerEEEEE10hipError_tT0_T1_T2_jT3_P12ihipStream_tbPNSt15iterator_traitsISG_E10value_typeEPNSM_ISH_E10value_typeEPSI_NS1_7vsmem_tEENKUlT_SG_SH_SI_E_clIS7_S7_PlSB_EESF_SV_SG_SH_SI_EUlSV_E0_NS1_11comp_targetILNS1_3genE8ELNS1_11target_archE1030ELNS1_3gpuE2ELNS1_3repE0EEENS1_38merge_mergepath_config_static_selectorELNS0_4arch9wavefront6targetE1EEEvSH_.uses_vcc, 0
	.set _ZN7rocprim17ROCPRIM_400000_NS6detail17trampoline_kernelINS0_14default_configENS1_38merge_sort_block_merge_config_selectorIslEEZZNS1_27merge_sort_block_merge_implIS3_PsN6thrust23THRUST_200600_302600_NS10device_ptrIlEEjNS1_19radix_merge_compareILb0ELb0EsNS0_19identity_decomposerEEEEE10hipError_tT0_T1_T2_jT3_P12ihipStream_tbPNSt15iterator_traitsISG_E10value_typeEPNSM_ISH_E10value_typeEPSI_NS1_7vsmem_tEENKUlT_SG_SH_SI_E_clIS7_S7_PlSB_EESF_SV_SG_SH_SI_EUlSV_E0_NS1_11comp_targetILNS1_3genE8ELNS1_11target_archE1030ELNS1_3gpuE2ELNS1_3repE0EEENS1_38merge_mergepath_config_static_selectorELNS0_4arch9wavefront6targetE1EEEvSH_.uses_flat_scratch, 0
	.set _ZN7rocprim17ROCPRIM_400000_NS6detail17trampoline_kernelINS0_14default_configENS1_38merge_sort_block_merge_config_selectorIslEEZZNS1_27merge_sort_block_merge_implIS3_PsN6thrust23THRUST_200600_302600_NS10device_ptrIlEEjNS1_19radix_merge_compareILb0ELb0EsNS0_19identity_decomposerEEEEE10hipError_tT0_T1_T2_jT3_P12ihipStream_tbPNSt15iterator_traitsISG_E10value_typeEPNSM_ISH_E10value_typeEPSI_NS1_7vsmem_tEENKUlT_SG_SH_SI_E_clIS7_S7_PlSB_EESF_SV_SG_SH_SI_EUlSV_E0_NS1_11comp_targetILNS1_3genE8ELNS1_11target_archE1030ELNS1_3gpuE2ELNS1_3repE0EEENS1_38merge_mergepath_config_static_selectorELNS0_4arch9wavefront6targetE1EEEvSH_.has_dyn_sized_stack, 0
	.set _ZN7rocprim17ROCPRIM_400000_NS6detail17trampoline_kernelINS0_14default_configENS1_38merge_sort_block_merge_config_selectorIslEEZZNS1_27merge_sort_block_merge_implIS3_PsN6thrust23THRUST_200600_302600_NS10device_ptrIlEEjNS1_19radix_merge_compareILb0ELb0EsNS0_19identity_decomposerEEEEE10hipError_tT0_T1_T2_jT3_P12ihipStream_tbPNSt15iterator_traitsISG_E10value_typeEPNSM_ISH_E10value_typeEPSI_NS1_7vsmem_tEENKUlT_SG_SH_SI_E_clIS7_S7_PlSB_EESF_SV_SG_SH_SI_EUlSV_E0_NS1_11comp_targetILNS1_3genE8ELNS1_11target_archE1030ELNS1_3gpuE2ELNS1_3repE0EEENS1_38merge_mergepath_config_static_selectorELNS0_4arch9wavefront6targetE1EEEvSH_.has_recursion, 0
	.set _ZN7rocprim17ROCPRIM_400000_NS6detail17trampoline_kernelINS0_14default_configENS1_38merge_sort_block_merge_config_selectorIslEEZZNS1_27merge_sort_block_merge_implIS3_PsN6thrust23THRUST_200600_302600_NS10device_ptrIlEEjNS1_19radix_merge_compareILb0ELb0EsNS0_19identity_decomposerEEEEE10hipError_tT0_T1_T2_jT3_P12ihipStream_tbPNSt15iterator_traitsISG_E10value_typeEPNSM_ISH_E10value_typeEPSI_NS1_7vsmem_tEENKUlT_SG_SH_SI_E_clIS7_S7_PlSB_EESF_SV_SG_SH_SI_EUlSV_E0_NS1_11comp_targetILNS1_3genE8ELNS1_11target_archE1030ELNS1_3gpuE2ELNS1_3repE0EEENS1_38merge_mergepath_config_static_selectorELNS0_4arch9wavefront6targetE1EEEvSH_.has_indirect_call, 0
	.section	.AMDGPU.csdata,"",@progbits
; Kernel info:
; codeLenInByte = 0
; TotalNumSgprs: 4
; NumVgprs: 0
; ScratchSize: 0
; MemoryBound: 0
; FloatMode: 240
; IeeeMode: 1
; LDSByteSize: 0 bytes/workgroup (compile time only)
; SGPRBlocks: 0
; VGPRBlocks: 0
; NumSGPRsForWavesPerEU: 4
; NumVGPRsForWavesPerEU: 1
; Occupancy: 10
; WaveLimiterHint : 0
; COMPUTE_PGM_RSRC2:SCRATCH_EN: 0
; COMPUTE_PGM_RSRC2:USER_SGPR: 6
; COMPUTE_PGM_RSRC2:TRAP_HANDLER: 0
; COMPUTE_PGM_RSRC2:TGID_X_EN: 1
; COMPUTE_PGM_RSRC2:TGID_Y_EN: 0
; COMPUTE_PGM_RSRC2:TGID_Z_EN: 0
; COMPUTE_PGM_RSRC2:TIDIG_COMP_CNT: 0
	.section	.text._ZN7rocprim17ROCPRIM_400000_NS6detail17trampoline_kernelINS0_14default_configENS1_38merge_sort_block_merge_config_selectorIslEEZZNS1_27merge_sort_block_merge_implIS3_PsN6thrust23THRUST_200600_302600_NS10device_ptrIlEEjNS1_19radix_merge_compareILb0ELb0EsNS0_19identity_decomposerEEEEE10hipError_tT0_T1_T2_jT3_P12ihipStream_tbPNSt15iterator_traitsISG_E10value_typeEPNSM_ISH_E10value_typeEPSI_NS1_7vsmem_tEENKUlT_SG_SH_SI_E_clIS7_S7_PlSB_EESF_SV_SG_SH_SI_EUlSV_E1_NS1_11comp_targetILNS1_3genE0ELNS1_11target_archE4294967295ELNS1_3gpuE0ELNS1_3repE0EEENS1_36merge_oddeven_config_static_selectorELNS0_4arch9wavefront6targetE1EEEvSH_,"axG",@progbits,_ZN7rocprim17ROCPRIM_400000_NS6detail17trampoline_kernelINS0_14default_configENS1_38merge_sort_block_merge_config_selectorIslEEZZNS1_27merge_sort_block_merge_implIS3_PsN6thrust23THRUST_200600_302600_NS10device_ptrIlEEjNS1_19radix_merge_compareILb0ELb0EsNS0_19identity_decomposerEEEEE10hipError_tT0_T1_T2_jT3_P12ihipStream_tbPNSt15iterator_traitsISG_E10value_typeEPNSM_ISH_E10value_typeEPSI_NS1_7vsmem_tEENKUlT_SG_SH_SI_E_clIS7_S7_PlSB_EESF_SV_SG_SH_SI_EUlSV_E1_NS1_11comp_targetILNS1_3genE0ELNS1_11target_archE4294967295ELNS1_3gpuE0ELNS1_3repE0EEENS1_36merge_oddeven_config_static_selectorELNS0_4arch9wavefront6targetE1EEEvSH_,comdat
	.protected	_ZN7rocprim17ROCPRIM_400000_NS6detail17trampoline_kernelINS0_14default_configENS1_38merge_sort_block_merge_config_selectorIslEEZZNS1_27merge_sort_block_merge_implIS3_PsN6thrust23THRUST_200600_302600_NS10device_ptrIlEEjNS1_19radix_merge_compareILb0ELb0EsNS0_19identity_decomposerEEEEE10hipError_tT0_T1_T2_jT3_P12ihipStream_tbPNSt15iterator_traitsISG_E10value_typeEPNSM_ISH_E10value_typeEPSI_NS1_7vsmem_tEENKUlT_SG_SH_SI_E_clIS7_S7_PlSB_EESF_SV_SG_SH_SI_EUlSV_E1_NS1_11comp_targetILNS1_3genE0ELNS1_11target_archE4294967295ELNS1_3gpuE0ELNS1_3repE0EEENS1_36merge_oddeven_config_static_selectorELNS0_4arch9wavefront6targetE1EEEvSH_ ; -- Begin function _ZN7rocprim17ROCPRIM_400000_NS6detail17trampoline_kernelINS0_14default_configENS1_38merge_sort_block_merge_config_selectorIslEEZZNS1_27merge_sort_block_merge_implIS3_PsN6thrust23THRUST_200600_302600_NS10device_ptrIlEEjNS1_19radix_merge_compareILb0ELb0EsNS0_19identity_decomposerEEEEE10hipError_tT0_T1_T2_jT3_P12ihipStream_tbPNSt15iterator_traitsISG_E10value_typeEPNSM_ISH_E10value_typeEPSI_NS1_7vsmem_tEENKUlT_SG_SH_SI_E_clIS7_S7_PlSB_EESF_SV_SG_SH_SI_EUlSV_E1_NS1_11comp_targetILNS1_3genE0ELNS1_11target_archE4294967295ELNS1_3gpuE0ELNS1_3repE0EEENS1_36merge_oddeven_config_static_selectorELNS0_4arch9wavefront6targetE1EEEvSH_
	.globl	_ZN7rocprim17ROCPRIM_400000_NS6detail17trampoline_kernelINS0_14default_configENS1_38merge_sort_block_merge_config_selectorIslEEZZNS1_27merge_sort_block_merge_implIS3_PsN6thrust23THRUST_200600_302600_NS10device_ptrIlEEjNS1_19radix_merge_compareILb0ELb0EsNS0_19identity_decomposerEEEEE10hipError_tT0_T1_T2_jT3_P12ihipStream_tbPNSt15iterator_traitsISG_E10value_typeEPNSM_ISH_E10value_typeEPSI_NS1_7vsmem_tEENKUlT_SG_SH_SI_E_clIS7_S7_PlSB_EESF_SV_SG_SH_SI_EUlSV_E1_NS1_11comp_targetILNS1_3genE0ELNS1_11target_archE4294967295ELNS1_3gpuE0ELNS1_3repE0EEENS1_36merge_oddeven_config_static_selectorELNS0_4arch9wavefront6targetE1EEEvSH_
	.p2align	8
	.type	_ZN7rocprim17ROCPRIM_400000_NS6detail17trampoline_kernelINS0_14default_configENS1_38merge_sort_block_merge_config_selectorIslEEZZNS1_27merge_sort_block_merge_implIS3_PsN6thrust23THRUST_200600_302600_NS10device_ptrIlEEjNS1_19radix_merge_compareILb0ELb0EsNS0_19identity_decomposerEEEEE10hipError_tT0_T1_T2_jT3_P12ihipStream_tbPNSt15iterator_traitsISG_E10value_typeEPNSM_ISH_E10value_typeEPSI_NS1_7vsmem_tEENKUlT_SG_SH_SI_E_clIS7_S7_PlSB_EESF_SV_SG_SH_SI_EUlSV_E1_NS1_11comp_targetILNS1_3genE0ELNS1_11target_archE4294967295ELNS1_3gpuE0ELNS1_3repE0EEENS1_36merge_oddeven_config_static_selectorELNS0_4arch9wavefront6targetE1EEEvSH_,@function
_ZN7rocprim17ROCPRIM_400000_NS6detail17trampoline_kernelINS0_14default_configENS1_38merge_sort_block_merge_config_selectorIslEEZZNS1_27merge_sort_block_merge_implIS3_PsN6thrust23THRUST_200600_302600_NS10device_ptrIlEEjNS1_19radix_merge_compareILb0ELb0EsNS0_19identity_decomposerEEEEE10hipError_tT0_T1_T2_jT3_P12ihipStream_tbPNSt15iterator_traitsISG_E10value_typeEPNSM_ISH_E10value_typeEPSI_NS1_7vsmem_tEENKUlT_SG_SH_SI_E_clIS7_S7_PlSB_EESF_SV_SG_SH_SI_EUlSV_E1_NS1_11comp_targetILNS1_3genE0ELNS1_11target_archE4294967295ELNS1_3gpuE0ELNS1_3repE0EEENS1_36merge_oddeven_config_static_selectorELNS0_4arch9wavefront6targetE1EEEvSH_: ; @_ZN7rocprim17ROCPRIM_400000_NS6detail17trampoline_kernelINS0_14default_configENS1_38merge_sort_block_merge_config_selectorIslEEZZNS1_27merge_sort_block_merge_implIS3_PsN6thrust23THRUST_200600_302600_NS10device_ptrIlEEjNS1_19radix_merge_compareILb0ELb0EsNS0_19identity_decomposerEEEEE10hipError_tT0_T1_T2_jT3_P12ihipStream_tbPNSt15iterator_traitsISG_E10value_typeEPNSM_ISH_E10value_typeEPSI_NS1_7vsmem_tEENKUlT_SG_SH_SI_E_clIS7_S7_PlSB_EESF_SV_SG_SH_SI_EUlSV_E1_NS1_11comp_targetILNS1_3genE0ELNS1_11target_archE4294967295ELNS1_3gpuE0ELNS1_3repE0EEENS1_36merge_oddeven_config_static_selectorELNS0_4arch9wavefront6targetE1EEEvSH_
; %bb.0:
	.section	.rodata,"a",@progbits
	.p2align	6, 0x0
	.amdhsa_kernel _ZN7rocprim17ROCPRIM_400000_NS6detail17trampoline_kernelINS0_14default_configENS1_38merge_sort_block_merge_config_selectorIslEEZZNS1_27merge_sort_block_merge_implIS3_PsN6thrust23THRUST_200600_302600_NS10device_ptrIlEEjNS1_19radix_merge_compareILb0ELb0EsNS0_19identity_decomposerEEEEE10hipError_tT0_T1_T2_jT3_P12ihipStream_tbPNSt15iterator_traitsISG_E10value_typeEPNSM_ISH_E10value_typeEPSI_NS1_7vsmem_tEENKUlT_SG_SH_SI_E_clIS7_S7_PlSB_EESF_SV_SG_SH_SI_EUlSV_E1_NS1_11comp_targetILNS1_3genE0ELNS1_11target_archE4294967295ELNS1_3gpuE0ELNS1_3repE0EEENS1_36merge_oddeven_config_static_selectorELNS0_4arch9wavefront6targetE1EEEvSH_
		.amdhsa_group_segment_fixed_size 0
		.amdhsa_private_segment_fixed_size 0
		.amdhsa_kernarg_size 48
		.amdhsa_user_sgpr_count 6
		.amdhsa_user_sgpr_private_segment_buffer 1
		.amdhsa_user_sgpr_dispatch_ptr 0
		.amdhsa_user_sgpr_queue_ptr 0
		.amdhsa_user_sgpr_kernarg_segment_ptr 1
		.amdhsa_user_sgpr_dispatch_id 0
		.amdhsa_user_sgpr_flat_scratch_init 0
		.amdhsa_user_sgpr_private_segment_size 0
		.amdhsa_uses_dynamic_stack 0
		.amdhsa_system_sgpr_private_segment_wavefront_offset 0
		.amdhsa_system_sgpr_workgroup_id_x 1
		.amdhsa_system_sgpr_workgroup_id_y 0
		.amdhsa_system_sgpr_workgroup_id_z 0
		.amdhsa_system_sgpr_workgroup_info 0
		.amdhsa_system_vgpr_workitem_id 0
		.amdhsa_next_free_vgpr 1
		.amdhsa_next_free_sgpr 0
		.amdhsa_reserve_vcc 0
		.amdhsa_reserve_flat_scratch 0
		.amdhsa_float_round_mode_32 0
		.amdhsa_float_round_mode_16_64 0
		.amdhsa_float_denorm_mode_32 3
		.amdhsa_float_denorm_mode_16_64 3
		.amdhsa_dx10_clamp 1
		.amdhsa_ieee_mode 1
		.amdhsa_fp16_overflow 0
		.amdhsa_exception_fp_ieee_invalid_op 0
		.amdhsa_exception_fp_denorm_src 0
		.amdhsa_exception_fp_ieee_div_zero 0
		.amdhsa_exception_fp_ieee_overflow 0
		.amdhsa_exception_fp_ieee_underflow 0
		.amdhsa_exception_fp_ieee_inexact 0
		.amdhsa_exception_int_div_zero 0
	.end_amdhsa_kernel
	.section	.text._ZN7rocprim17ROCPRIM_400000_NS6detail17trampoline_kernelINS0_14default_configENS1_38merge_sort_block_merge_config_selectorIslEEZZNS1_27merge_sort_block_merge_implIS3_PsN6thrust23THRUST_200600_302600_NS10device_ptrIlEEjNS1_19radix_merge_compareILb0ELb0EsNS0_19identity_decomposerEEEEE10hipError_tT0_T1_T2_jT3_P12ihipStream_tbPNSt15iterator_traitsISG_E10value_typeEPNSM_ISH_E10value_typeEPSI_NS1_7vsmem_tEENKUlT_SG_SH_SI_E_clIS7_S7_PlSB_EESF_SV_SG_SH_SI_EUlSV_E1_NS1_11comp_targetILNS1_3genE0ELNS1_11target_archE4294967295ELNS1_3gpuE0ELNS1_3repE0EEENS1_36merge_oddeven_config_static_selectorELNS0_4arch9wavefront6targetE1EEEvSH_,"axG",@progbits,_ZN7rocprim17ROCPRIM_400000_NS6detail17trampoline_kernelINS0_14default_configENS1_38merge_sort_block_merge_config_selectorIslEEZZNS1_27merge_sort_block_merge_implIS3_PsN6thrust23THRUST_200600_302600_NS10device_ptrIlEEjNS1_19radix_merge_compareILb0ELb0EsNS0_19identity_decomposerEEEEE10hipError_tT0_T1_T2_jT3_P12ihipStream_tbPNSt15iterator_traitsISG_E10value_typeEPNSM_ISH_E10value_typeEPSI_NS1_7vsmem_tEENKUlT_SG_SH_SI_E_clIS7_S7_PlSB_EESF_SV_SG_SH_SI_EUlSV_E1_NS1_11comp_targetILNS1_3genE0ELNS1_11target_archE4294967295ELNS1_3gpuE0ELNS1_3repE0EEENS1_36merge_oddeven_config_static_selectorELNS0_4arch9wavefront6targetE1EEEvSH_,comdat
.Lfunc_end1292:
	.size	_ZN7rocprim17ROCPRIM_400000_NS6detail17trampoline_kernelINS0_14default_configENS1_38merge_sort_block_merge_config_selectorIslEEZZNS1_27merge_sort_block_merge_implIS3_PsN6thrust23THRUST_200600_302600_NS10device_ptrIlEEjNS1_19radix_merge_compareILb0ELb0EsNS0_19identity_decomposerEEEEE10hipError_tT0_T1_T2_jT3_P12ihipStream_tbPNSt15iterator_traitsISG_E10value_typeEPNSM_ISH_E10value_typeEPSI_NS1_7vsmem_tEENKUlT_SG_SH_SI_E_clIS7_S7_PlSB_EESF_SV_SG_SH_SI_EUlSV_E1_NS1_11comp_targetILNS1_3genE0ELNS1_11target_archE4294967295ELNS1_3gpuE0ELNS1_3repE0EEENS1_36merge_oddeven_config_static_selectorELNS0_4arch9wavefront6targetE1EEEvSH_, .Lfunc_end1292-_ZN7rocprim17ROCPRIM_400000_NS6detail17trampoline_kernelINS0_14default_configENS1_38merge_sort_block_merge_config_selectorIslEEZZNS1_27merge_sort_block_merge_implIS3_PsN6thrust23THRUST_200600_302600_NS10device_ptrIlEEjNS1_19radix_merge_compareILb0ELb0EsNS0_19identity_decomposerEEEEE10hipError_tT0_T1_T2_jT3_P12ihipStream_tbPNSt15iterator_traitsISG_E10value_typeEPNSM_ISH_E10value_typeEPSI_NS1_7vsmem_tEENKUlT_SG_SH_SI_E_clIS7_S7_PlSB_EESF_SV_SG_SH_SI_EUlSV_E1_NS1_11comp_targetILNS1_3genE0ELNS1_11target_archE4294967295ELNS1_3gpuE0ELNS1_3repE0EEENS1_36merge_oddeven_config_static_selectorELNS0_4arch9wavefront6targetE1EEEvSH_
                                        ; -- End function
	.set _ZN7rocprim17ROCPRIM_400000_NS6detail17trampoline_kernelINS0_14default_configENS1_38merge_sort_block_merge_config_selectorIslEEZZNS1_27merge_sort_block_merge_implIS3_PsN6thrust23THRUST_200600_302600_NS10device_ptrIlEEjNS1_19radix_merge_compareILb0ELb0EsNS0_19identity_decomposerEEEEE10hipError_tT0_T1_T2_jT3_P12ihipStream_tbPNSt15iterator_traitsISG_E10value_typeEPNSM_ISH_E10value_typeEPSI_NS1_7vsmem_tEENKUlT_SG_SH_SI_E_clIS7_S7_PlSB_EESF_SV_SG_SH_SI_EUlSV_E1_NS1_11comp_targetILNS1_3genE0ELNS1_11target_archE4294967295ELNS1_3gpuE0ELNS1_3repE0EEENS1_36merge_oddeven_config_static_selectorELNS0_4arch9wavefront6targetE1EEEvSH_.num_vgpr, 0
	.set _ZN7rocprim17ROCPRIM_400000_NS6detail17trampoline_kernelINS0_14default_configENS1_38merge_sort_block_merge_config_selectorIslEEZZNS1_27merge_sort_block_merge_implIS3_PsN6thrust23THRUST_200600_302600_NS10device_ptrIlEEjNS1_19radix_merge_compareILb0ELb0EsNS0_19identity_decomposerEEEEE10hipError_tT0_T1_T2_jT3_P12ihipStream_tbPNSt15iterator_traitsISG_E10value_typeEPNSM_ISH_E10value_typeEPSI_NS1_7vsmem_tEENKUlT_SG_SH_SI_E_clIS7_S7_PlSB_EESF_SV_SG_SH_SI_EUlSV_E1_NS1_11comp_targetILNS1_3genE0ELNS1_11target_archE4294967295ELNS1_3gpuE0ELNS1_3repE0EEENS1_36merge_oddeven_config_static_selectorELNS0_4arch9wavefront6targetE1EEEvSH_.num_agpr, 0
	.set _ZN7rocprim17ROCPRIM_400000_NS6detail17trampoline_kernelINS0_14default_configENS1_38merge_sort_block_merge_config_selectorIslEEZZNS1_27merge_sort_block_merge_implIS3_PsN6thrust23THRUST_200600_302600_NS10device_ptrIlEEjNS1_19radix_merge_compareILb0ELb0EsNS0_19identity_decomposerEEEEE10hipError_tT0_T1_T2_jT3_P12ihipStream_tbPNSt15iterator_traitsISG_E10value_typeEPNSM_ISH_E10value_typeEPSI_NS1_7vsmem_tEENKUlT_SG_SH_SI_E_clIS7_S7_PlSB_EESF_SV_SG_SH_SI_EUlSV_E1_NS1_11comp_targetILNS1_3genE0ELNS1_11target_archE4294967295ELNS1_3gpuE0ELNS1_3repE0EEENS1_36merge_oddeven_config_static_selectorELNS0_4arch9wavefront6targetE1EEEvSH_.numbered_sgpr, 0
	.set _ZN7rocprim17ROCPRIM_400000_NS6detail17trampoline_kernelINS0_14default_configENS1_38merge_sort_block_merge_config_selectorIslEEZZNS1_27merge_sort_block_merge_implIS3_PsN6thrust23THRUST_200600_302600_NS10device_ptrIlEEjNS1_19radix_merge_compareILb0ELb0EsNS0_19identity_decomposerEEEEE10hipError_tT0_T1_T2_jT3_P12ihipStream_tbPNSt15iterator_traitsISG_E10value_typeEPNSM_ISH_E10value_typeEPSI_NS1_7vsmem_tEENKUlT_SG_SH_SI_E_clIS7_S7_PlSB_EESF_SV_SG_SH_SI_EUlSV_E1_NS1_11comp_targetILNS1_3genE0ELNS1_11target_archE4294967295ELNS1_3gpuE0ELNS1_3repE0EEENS1_36merge_oddeven_config_static_selectorELNS0_4arch9wavefront6targetE1EEEvSH_.num_named_barrier, 0
	.set _ZN7rocprim17ROCPRIM_400000_NS6detail17trampoline_kernelINS0_14default_configENS1_38merge_sort_block_merge_config_selectorIslEEZZNS1_27merge_sort_block_merge_implIS3_PsN6thrust23THRUST_200600_302600_NS10device_ptrIlEEjNS1_19radix_merge_compareILb0ELb0EsNS0_19identity_decomposerEEEEE10hipError_tT0_T1_T2_jT3_P12ihipStream_tbPNSt15iterator_traitsISG_E10value_typeEPNSM_ISH_E10value_typeEPSI_NS1_7vsmem_tEENKUlT_SG_SH_SI_E_clIS7_S7_PlSB_EESF_SV_SG_SH_SI_EUlSV_E1_NS1_11comp_targetILNS1_3genE0ELNS1_11target_archE4294967295ELNS1_3gpuE0ELNS1_3repE0EEENS1_36merge_oddeven_config_static_selectorELNS0_4arch9wavefront6targetE1EEEvSH_.private_seg_size, 0
	.set _ZN7rocprim17ROCPRIM_400000_NS6detail17trampoline_kernelINS0_14default_configENS1_38merge_sort_block_merge_config_selectorIslEEZZNS1_27merge_sort_block_merge_implIS3_PsN6thrust23THRUST_200600_302600_NS10device_ptrIlEEjNS1_19radix_merge_compareILb0ELb0EsNS0_19identity_decomposerEEEEE10hipError_tT0_T1_T2_jT3_P12ihipStream_tbPNSt15iterator_traitsISG_E10value_typeEPNSM_ISH_E10value_typeEPSI_NS1_7vsmem_tEENKUlT_SG_SH_SI_E_clIS7_S7_PlSB_EESF_SV_SG_SH_SI_EUlSV_E1_NS1_11comp_targetILNS1_3genE0ELNS1_11target_archE4294967295ELNS1_3gpuE0ELNS1_3repE0EEENS1_36merge_oddeven_config_static_selectorELNS0_4arch9wavefront6targetE1EEEvSH_.uses_vcc, 0
	.set _ZN7rocprim17ROCPRIM_400000_NS6detail17trampoline_kernelINS0_14default_configENS1_38merge_sort_block_merge_config_selectorIslEEZZNS1_27merge_sort_block_merge_implIS3_PsN6thrust23THRUST_200600_302600_NS10device_ptrIlEEjNS1_19radix_merge_compareILb0ELb0EsNS0_19identity_decomposerEEEEE10hipError_tT0_T1_T2_jT3_P12ihipStream_tbPNSt15iterator_traitsISG_E10value_typeEPNSM_ISH_E10value_typeEPSI_NS1_7vsmem_tEENKUlT_SG_SH_SI_E_clIS7_S7_PlSB_EESF_SV_SG_SH_SI_EUlSV_E1_NS1_11comp_targetILNS1_3genE0ELNS1_11target_archE4294967295ELNS1_3gpuE0ELNS1_3repE0EEENS1_36merge_oddeven_config_static_selectorELNS0_4arch9wavefront6targetE1EEEvSH_.uses_flat_scratch, 0
	.set _ZN7rocprim17ROCPRIM_400000_NS6detail17trampoline_kernelINS0_14default_configENS1_38merge_sort_block_merge_config_selectorIslEEZZNS1_27merge_sort_block_merge_implIS3_PsN6thrust23THRUST_200600_302600_NS10device_ptrIlEEjNS1_19radix_merge_compareILb0ELb0EsNS0_19identity_decomposerEEEEE10hipError_tT0_T1_T2_jT3_P12ihipStream_tbPNSt15iterator_traitsISG_E10value_typeEPNSM_ISH_E10value_typeEPSI_NS1_7vsmem_tEENKUlT_SG_SH_SI_E_clIS7_S7_PlSB_EESF_SV_SG_SH_SI_EUlSV_E1_NS1_11comp_targetILNS1_3genE0ELNS1_11target_archE4294967295ELNS1_3gpuE0ELNS1_3repE0EEENS1_36merge_oddeven_config_static_selectorELNS0_4arch9wavefront6targetE1EEEvSH_.has_dyn_sized_stack, 0
	.set _ZN7rocprim17ROCPRIM_400000_NS6detail17trampoline_kernelINS0_14default_configENS1_38merge_sort_block_merge_config_selectorIslEEZZNS1_27merge_sort_block_merge_implIS3_PsN6thrust23THRUST_200600_302600_NS10device_ptrIlEEjNS1_19radix_merge_compareILb0ELb0EsNS0_19identity_decomposerEEEEE10hipError_tT0_T1_T2_jT3_P12ihipStream_tbPNSt15iterator_traitsISG_E10value_typeEPNSM_ISH_E10value_typeEPSI_NS1_7vsmem_tEENKUlT_SG_SH_SI_E_clIS7_S7_PlSB_EESF_SV_SG_SH_SI_EUlSV_E1_NS1_11comp_targetILNS1_3genE0ELNS1_11target_archE4294967295ELNS1_3gpuE0ELNS1_3repE0EEENS1_36merge_oddeven_config_static_selectorELNS0_4arch9wavefront6targetE1EEEvSH_.has_recursion, 0
	.set _ZN7rocprim17ROCPRIM_400000_NS6detail17trampoline_kernelINS0_14default_configENS1_38merge_sort_block_merge_config_selectorIslEEZZNS1_27merge_sort_block_merge_implIS3_PsN6thrust23THRUST_200600_302600_NS10device_ptrIlEEjNS1_19radix_merge_compareILb0ELb0EsNS0_19identity_decomposerEEEEE10hipError_tT0_T1_T2_jT3_P12ihipStream_tbPNSt15iterator_traitsISG_E10value_typeEPNSM_ISH_E10value_typeEPSI_NS1_7vsmem_tEENKUlT_SG_SH_SI_E_clIS7_S7_PlSB_EESF_SV_SG_SH_SI_EUlSV_E1_NS1_11comp_targetILNS1_3genE0ELNS1_11target_archE4294967295ELNS1_3gpuE0ELNS1_3repE0EEENS1_36merge_oddeven_config_static_selectorELNS0_4arch9wavefront6targetE1EEEvSH_.has_indirect_call, 0
	.section	.AMDGPU.csdata,"",@progbits
; Kernel info:
; codeLenInByte = 0
; TotalNumSgprs: 4
; NumVgprs: 0
; ScratchSize: 0
; MemoryBound: 0
; FloatMode: 240
; IeeeMode: 1
; LDSByteSize: 0 bytes/workgroup (compile time only)
; SGPRBlocks: 0
; VGPRBlocks: 0
; NumSGPRsForWavesPerEU: 4
; NumVGPRsForWavesPerEU: 1
; Occupancy: 10
; WaveLimiterHint : 0
; COMPUTE_PGM_RSRC2:SCRATCH_EN: 0
; COMPUTE_PGM_RSRC2:USER_SGPR: 6
; COMPUTE_PGM_RSRC2:TRAP_HANDLER: 0
; COMPUTE_PGM_RSRC2:TGID_X_EN: 1
; COMPUTE_PGM_RSRC2:TGID_Y_EN: 0
; COMPUTE_PGM_RSRC2:TGID_Z_EN: 0
; COMPUTE_PGM_RSRC2:TIDIG_COMP_CNT: 0
	.section	.text._ZN7rocprim17ROCPRIM_400000_NS6detail17trampoline_kernelINS0_14default_configENS1_38merge_sort_block_merge_config_selectorIslEEZZNS1_27merge_sort_block_merge_implIS3_PsN6thrust23THRUST_200600_302600_NS10device_ptrIlEEjNS1_19radix_merge_compareILb0ELb0EsNS0_19identity_decomposerEEEEE10hipError_tT0_T1_T2_jT3_P12ihipStream_tbPNSt15iterator_traitsISG_E10value_typeEPNSM_ISH_E10value_typeEPSI_NS1_7vsmem_tEENKUlT_SG_SH_SI_E_clIS7_S7_PlSB_EESF_SV_SG_SH_SI_EUlSV_E1_NS1_11comp_targetILNS1_3genE10ELNS1_11target_archE1201ELNS1_3gpuE5ELNS1_3repE0EEENS1_36merge_oddeven_config_static_selectorELNS0_4arch9wavefront6targetE1EEEvSH_,"axG",@progbits,_ZN7rocprim17ROCPRIM_400000_NS6detail17trampoline_kernelINS0_14default_configENS1_38merge_sort_block_merge_config_selectorIslEEZZNS1_27merge_sort_block_merge_implIS3_PsN6thrust23THRUST_200600_302600_NS10device_ptrIlEEjNS1_19radix_merge_compareILb0ELb0EsNS0_19identity_decomposerEEEEE10hipError_tT0_T1_T2_jT3_P12ihipStream_tbPNSt15iterator_traitsISG_E10value_typeEPNSM_ISH_E10value_typeEPSI_NS1_7vsmem_tEENKUlT_SG_SH_SI_E_clIS7_S7_PlSB_EESF_SV_SG_SH_SI_EUlSV_E1_NS1_11comp_targetILNS1_3genE10ELNS1_11target_archE1201ELNS1_3gpuE5ELNS1_3repE0EEENS1_36merge_oddeven_config_static_selectorELNS0_4arch9wavefront6targetE1EEEvSH_,comdat
	.protected	_ZN7rocprim17ROCPRIM_400000_NS6detail17trampoline_kernelINS0_14default_configENS1_38merge_sort_block_merge_config_selectorIslEEZZNS1_27merge_sort_block_merge_implIS3_PsN6thrust23THRUST_200600_302600_NS10device_ptrIlEEjNS1_19radix_merge_compareILb0ELb0EsNS0_19identity_decomposerEEEEE10hipError_tT0_T1_T2_jT3_P12ihipStream_tbPNSt15iterator_traitsISG_E10value_typeEPNSM_ISH_E10value_typeEPSI_NS1_7vsmem_tEENKUlT_SG_SH_SI_E_clIS7_S7_PlSB_EESF_SV_SG_SH_SI_EUlSV_E1_NS1_11comp_targetILNS1_3genE10ELNS1_11target_archE1201ELNS1_3gpuE5ELNS1_3repE0EEENS1_36merge_oddeven_config_static_selectorELNS0_4arch9wavefront6targetE1EEEvSH_ ; -- Begin function _ZN7rocprim17ROCPRIM_400000_NS6detail17trampoline_kernelINS0_14default_configENS1_38merge_sort_block_merge_config_selectorIslEEZZNS1_27merge_sort_block_merge_implIS3_PsN6thrust23THRUST_200600_302600_NS10device_ptrIlEEjNS1_19radix_merge_compareILb0ELb0EsNS0_19identity_decomposerEEEEE10hipError_tT0_T1_T2_jT3_P12ihipStream_tbPNSt15iterator_traitsISG_E10value_typeEPNSM_ISH_E10value_typeEPSI_NS1_7vsmem_tEENKUlT_SG_SH_SI_E_clIS7_S7_PlSB_EESF_SV_SG_SH_SI_EUlSV_E1_NS1_11comp_targetILNS1_3genE10ELNS1_11target_archE1201ELNS1_3gpuE5ELNS1_3repE0EEENS1_36merge_oddeven_config_static_selectorELNS0_4arch9wavefront6targetE1EEEvSH_
	.globl	_ZN7rocprim17ROCPRIM_400000_NS6detail17trampoline_kernelINS0_14default_configENS1_38merge_sort_block_merge_config_selectorIslEEZZNS1_27merge_sort_block_merge_implIS3_PsN6thrust23THRUST_200600_302600_NS10device_ptrIlEEjNS1_19radix_merge_compareILb0ELb0EsNS0_19identity_decomposerEEEEE10hipError_tT0_T1_T2_jT3_P12ihipStream_tbPNSt15iterator_traitsISG_E10value_typeEPNSM_ISH_E10value_typeEPSI_NS1_7vsmem_tEENKUlT_SG_SH_SI_E_clIS7_S7_PlSB_EESF_SV_SG_SH_SI_EUlSV_E1_NS1_11comp_targetILNS1_3genE10ELNS1_11target_archE1201ELNS1_3gpuE5ELNS1_3repE0EEENS1_36merge_oddeven_config_static_selectorELNS0_4arch9wavefront6targetE1EEEvSH_
	.p2align	8
	.type	_ZN7rocprim17ROCPRIM_400000_NS6detail17trampoline_kernelINS0_14default_configENS1_38merge_sort_block_merge_config_selectorIslEEZZNS1_27merge_sort_block_merge_implIS3_PsN6thrust23THRUST_200600_302600_NS10device_ptrIlEEjNS1_19radix_merge_compareILb0ELb0EsNS0_19identity_decomposerEEEEE10hipError_tT0_T1_T2_jT3_P12ihipStream_tbPNSt15iterator_traitsISG_E10value_typeEPNSM_ISH_E10value_typeEPSI_NS1_7vsmem_tEENKUlT_SG_SH_SI_E_clIS7_S7_PlSB_EESF_SV_SG_SH_SI_EUlSV_E1_NS1_11comp_targetILNS1_3genE10ELNS1_11target_archE1201ELNS1_3gpuE5ELNS1_3repE0EEENS1_36merge_oddeven_config_static_selectorELNS0_4arch9wavefront6targetE1EEEvSH_,@function
_ZN7rocprim17ROCPRIM_400000_NS6detail17trampoline_kernelINS0_14default_configENS1_38merge_sort_block_merge_config_selectorIslEEZZNS1_27merge_sort_block_merge_implIS3_PsN6thrust23THRUST_200600_302600_NS10device_ptrIlEEjNS1_19radix_merge_compareILb0ELb0EsNS0_19identity_decomposerEEEEE10hipError_tT0_T1_T2_jT3_P12ihipStream_tbPNSt15iterator_traitsISG_E10value_typeEPNSM_ISH_E10value_typeEPSI_NS1_7vsmem_tEENKUlT_SG_SH_SI_E_clIS7_S7_PlSB_EESF_SV_SG_SH_SI_EUlSV_E1_NS1_11comp_targetILNS1_3genE10ELNS1_11target_archE1201ELNS1_3gpuE5ELNS1_3repE0EEENS1_36merge_oddeven_config_static_selectorELNS0_4arch9wavefront6targetE1EEEvSH_: ; @_ZN7rocprim17ROCPRIM_400000_NS6detail17trampoline_kernelINS0_14default_configENS1_38merge_sort_block_merge_config_selectorIslEEZZNS1_27merge_sort_block_merge_implIS3_PsN6thrust23THRUST_200600_302600_NS10device_ptrIlEEjNS1_19radix_merge_compareILb0ELb0EsNS0_19identity_decomposerEEEEE10hipError_tT0_T1_T2_jT3_P12ihipStream_tbPNSt15iterator_traitsISG_E10value_typeEPNSM_ISH_E10value_typeEPSI_NS1_7vsmem_tEENKUlT_SG_SH_SI_E_clIS7_S7_PlSB_EESF_SV_SG_SH_SI_EUlSV_E1_NS1_11comp_targetILNS1_3genE10ELNS1_11target_archE1201ELNS1_3gpuE5ELNS1_3repE0EEENS1_36merge_oddeven_config_static_selectorELNS0_4arch9wavefront6targetE1EEEvSH_
; %bb.0:
	.section	.rodata,"a",@progbits
	.p2align	6, 0x0
	.amdhsa_kernel _ZN7rocprim17ROCPRIM_400000_NS6detail17trampoline_kernelINS0_14default_configENS1_38merge_sort_block_merge_config_selectorIslEEZZNS1_27merge_sort_block_merge_implIS3_PsN6thrust23THRUST_200600_302600_NS10device_ptrIlEEjNS1_19radix_merge_compareILb0ELb0EsNS0_19identity_decomposerEEEEE10hipError_tT0_T1_T2_jT3_P12ihipStream_tbPNSt15iterator_traitsISG_E10value_typeEPNSM_ISH_E10value_typeEPSI_NS1_7vsmem_tEENKUlT_SG_SH_SI_E_clIS7_S7_PlSB_EESF_SV_SG_SH_SI_EUlSV_E1_NS1_11comp_targetILNS1_3genE10ELNS1_11target_archE1201ELNS1_3gpuE5ELNS1_3repE0EEENS1_36merge_oddeven_config_static_selectorELNS0_4arch9wavefront6targetE1EEEvSH_
		.amdhsa_group_segment_fixed_size 0
		.amdhsa_private_segment_fixed_size 0
		.amdhsa_kernarg_size 48
		.amdhsa_user_sgpr_count 6
		.amdhsa_user_sgpr_private_segment_buffer 1
		.amdhsa_user_sgpr_dispatch_ptr 0
		.amdhsa_user_sgpr_queue_ptr 0
		.amdhsa_user_sgpr_kernarg_segment_ptr 1
		.amdhsa_user_sgpr_dispatch_id 0
		.amdhsa_user_sgpr_flat_scratch_init 0
		.amdhsa_user_sgpr_private_segment_size 0
		.amdhsa_uses_dynamic_stack 0
		.amdhsa_system_sgpr_private_segment_wavefront_offset 0
		.amdhsa_system_sgpr_workgroup_id_x 1
		.amdhsa_system_sgpr_workgroup_id_y 0
		.amdhsa_system_sgpr_workgroup_id_z 0
		.amdhsa_system_sgpr_workgroup_info 0
		.amdhsa_system_vgpr_workitem_id 0
		.amdhsa_next_free_vgpr 1
		.amdhsa_next_free_sgpr 0
		.amdhsa_reserve_vcc 0
		.amdhsa_reserve_flat_scratch 0
		.amdhsa_float_round_mode_32 0
		.amdhsa_float_round_mode_16_64 0
		.amdhsa_float_denorm_mode_32 3
		.amdhsa_float_denorm_mode_16_64 3
		.amdhsa_dx10_clamp 1
		.amdhsa_ieee_mode 1
		.amdhsa_fp16_overflow 0
		.amdhsa_exception_fp_ieee_invalid_op 0
		.amdhsa_exception_fp_denorm_src 0
		.amdhsa_exception_fp_ieee_div_zero 0
		.amdhsa_exception_fp_ieee_overflow 0
		.amdhsa_exception_fp_ieee_underflow 0
		.amdhsa_exception_fp_ieee_inexact 0
		.amdhsa_exception_int_div_zero 0
	.end_amdhsa_kernel
	.section	.text._ZN7rocprim17ROCPRIM_400000_NS6detail17trampoline_kernelINS0_14default_configENS1_38merge_sort_block_merge_config_selectorIslEEZZNS1_27merge_sort_block_merge_implIS3_PsN6thrust23THRUST_200600_302600_NS10device_ptrIlEEjNS1_19radix_merge_compareILb0ELb0EsNS0_19identity_decomposerEEEEE10hipError_tT0_T1_T2_jT3_P12ihipStream_tbPNSt15iterator_traitsISG_E10value_typeEPNSM_ISH_E10value_typeEPSI_NS1_7vsmem_tEENKUlT_SG_SH_SI_E_clIS7_S7_PlSB_EESF_SV_SG_SH_SI_EUlSV_E1_NS1_11comp_targetILNS1_3genE10ELNS1_11target_archE1201ELNS1_3gpuE5ELNS1_3repE0EEENS1_36merge_oddeven_config_static_selectorELNS0_4arch9wavefront6targetE1EEEvSH_,"axG",@progbits,_ZN7rocprim17ROCPRIM_400000_NS6detail17trampoline_kernelINS0_14default_configENS1_38merge_sort_block_merge_config_selectorIslEEZZNS1_27merge_sort_block_merge_implIS3_PsN6thrust23THRUST_200600_302600_NS10device_ptrIlEEjNS1_19radix_merge_compareILb0ELb0EsNS0_19identity_decomposerEEEEE10hipError_tT0_T1_T2_jT3_P12ihipStream_tbPNSt15iterator_traitsISG_E10value_typeEPNSM_ISH_E10value_typeEPSI_NS1_7vsmem_tEENKUlT_SG_SH_SI_E_clIS7_S7_PlSB_EESF_SV_SG_SH_SI_EUlSV_E1_NS1_11comp_targetILNS1_3genE10ELNS1_11target_archE1201ELNS1_3gpuE5ELNS1_3repE0EEENS1_36merge_oddeven_config_static_selectorELNS0_4arch9wavefront6targetE1EEEvSH_,comdat
.Lfunc_end1293:
	.size	_ZN7rocprim17ROCPRIM_400000_NS6detail17trampoline_kernelINS0_14default_configENS1_38merge_sort_block_merge_config_selectorIslEEZZNS1_27merge_sort_block_merge_implIS3_PsN6thrust23THRUST_200600_302600_NS10device_ptrIlEEjNS1_19radix_merge_compareILb0ELb0EsNS0_19identity_decomposerEEEEE10hipError_tT0_T1_T2_jT3_P12ihipStream_tbPNSt15iterator_traitsISG_E10value_typeEPNSM_ISH_E10value_typeEPSI_NS1_7vsmem_tEENKUlT_SG_SH_SI_E_clIS7_S7_PlSB_EESF_SV_SG_SH_SI_EUlSV_E1_NS1_11comp_targetILNS1_3genE10ELNS1_11target_archE1201ELNS1_3gpuE5ELNS1_3repE0EEENS1_36merge_oddeven_config_static_selectorELNS0_4arch9wavefront6targetE1EEEvSH_, .Lfunc_end1293-_ZN7rocprim17ROCPRIM_400000_NS6detail17trampoline_kernelINS0_14default_configENS1_38merge_sort_block_merge_config_selectorIslEEZZNS1_27merge_sort_block_merge_implIS3_PsN6thrust23THRUST_200600_302600_NS10device_ptrIlEEjNS1_19radix_merge_compareILb0ELb0EsNS0_19identity_decomposerEEEEE10hipError_tT0_T1_T2_jT3_P12ihipStream_tbPNSt15iterator_traitsISG_E10value_typeEPNSM_ISH_E10value_typeEPSI_NS1_7vsmem_tEENKUlT_SG_SH_SI_E_clIS7_S7_PlSB_EESF_SV_SG_SH_SI_EUlSV_E1_NS1_11comp_targetILNS1_3genE10ELNS1_11target_archE1201ELNS1_3gpuE5ELNS1_3repE0EEENS1_36merge_oddeven_config_static_selectorELNS0_4arch9wavefront6targetE1EEEvSH_
                                        ; -- End function
	.set _ZN7rocprim17ROCPRIM_400000_NS6detail17trampoline_kernelINS0_14default_configENS1_38merge_sort_block_merge_config_selectorIslEEZZNS1_27merge_sort_block_merge_implIS3_PsN6thrust23THRUST_200600_302600_NS10device_ptrIlEEjNS1_19radix_merge_compareILb0ELb0EsNS0_19identity_decomposerEEEEE10hipError_tT0_T1_T2_jT3_P12ihipStream_tbPNSt15iterator_traitsISG_E10value_typeEPNSM_ISH_E10value_typeEPSI_NS1_7vsmem_tEENKUlT_SG_SH_SI_E_clIS7_S7_PlSB_EESF_SV_SG_SH_SI_EUlSV_E1_NS1_11comp_targetILNS1_3genE10ELNS1_11target_archE1201ELNS1_3gpuE5ELNS1_3repE0EEENS1_36merge_oddeven_config_static_selectorELNS0_4arch9wavefront6targetE1EEEvSH_.num_vgpr, 0
	.set _ZN7rocprim17ROCPRIM_400000_NS6detail17trampoline_kernelINS0_14default_configENS1_38merge_sort_block_merge_config_selectorIslEEZZNS1_27merge_sort_block_merge_implIS3_PsN6thrust23THRUST_200600_302600_NS10device_ptrIlEEjNS1_19radix_merge_compareILb0ELb0EsNS0_19identity_decomposerEEEEE10hipError_tT0_T1_T2_jT3_P12ihipStream_tbPNSt15iterator_traitsISG_E10value_typeEPNSM_ISH_E10value_typeEPSI_NS1_7vsmem_tEENKUlT_SG_SH_SI_E_clIS7_S7_PlSB_EESF_SV_SG_SH_SI_EUlSV_E1_NS1_11comp_targetILNS1_3genE10ELNS1_11target_archE1201ELNS1_3gpuE5ELNS1_3repE0EEENS1_36merge_oddeven_config_static_selectorELNS0_4arch9wavefront6targetE1EEEvSH_.num_agpr, 0
	.set _ZN7rocprim17ROCPRIM_400000_NS6detail17trampoline_kernelINS0_14default_configENS1_38merge_sort_block_merge_config_selectorIslEEZZNS1_27merge_sort_block_merge_implIS3_PsN6thrust23THRUST_200600_302600_NS10device_ptrIlEEjNS1_19radix_merge_compareILb0ELb0EsNS0_19identity_decomposerEEEEE10hipError_tT0_T1_T2_jT3_P12ihipStream_tbPNSt15iterator_traitsISG_E10value_typeEPNSM_ISH_E10value_typeEPSI_NS1_7vsmem_tEENKUlT_SG_SH_SI_E_clIS7_S7_PlSB_EESF_SV_SG_SH_SI_EUlSV_E1_NS1_11comp_targetILNS1_3genE10ELNS1_11target_archE1201ELNS1_3gpuE5ELNS1_3repE0EEENS1_36merge_oddeven_config_static_selectorELNS0_4arch9wavefront6targetE1EEEvSH_.numbered_sgpr, 0
	.set _ZN7rocprim17ROCPRIM_400000_NS6detail17trampoline_kernelINS0_14default_configENS1_38merge_sort_block_merge_config_selectorIslEEZZNS1_27merge_sort_block_merge_implIS3_PsN6thrust23THRUST_200600_302600_NS10device_ptrIlEEjNS1_19radix_merge_compareILb0ELb0EsNS0_19identity_decomposerEEEEE10hipError_tT0_T1_T2_jT3_P12ihipStream_tbPNSt15iterator_traitsISG_E10value_typeEPNSM_ISH_E10value_typeEPSI_NS1_7vsmem_tEENKUlT_SG_SH_SI_E_clIS7_S7_PlSB_EESF_SV_SG_SH_SI_EUlSV_E1_NS1_11comp_targetILNS1_3genE10ELNS1_11target_archE1201ELNS1_3gpuE5ELNS1_3repE0EEENS1_36merge_oddeven_config_static_selectorELNS0_4arch9wavefront6targetE1EEEvSH_.num_named_barrier, 0
	.set _ZN7rocprim17ROCPRIM_400000_NS6detail17trampoline_kernelINS0_14default_configENS1_38merge_sort_block_merge_config_selectorIslEEZZNS1_27merge_sort_block_merge_implIS3_PsN6thrust23THRUST_200600_302600_NS10device_ptrIlEEjNS1_19radix_merge_compareILb0ELb0EsNS0_19identity_decomposerEEEEE10hipError_tT0_T1_T2_jT3_P12ihipStream_tbPNSt15iterator_traitsISG_E10value_typeEPNSM_ISH_E10value_typeEPSI_NS1_7vsmem_tEENKUlT_SG_SH_SI_E_clIS7_S7_PlSB_EESF_SV_SG_SH_SI_EUlSV_E1_NS1_11comp_targetILNS1_3genE10ELNS1_11target_archE1201ELNS1_3gpuE5ELNS1_3repE0EEENS1_36merge_oddeven_config_static_selectorELNS0_4arch9wavefront6targetE1EEEvSH_.private_seg_size, 0
	.set _ZN7rocprim17ROCPRIM_400000_NS6detail17trampoline_kernelINS0_14default_configENS1_38merge_sort_block_merge_config_selectorIslEEZZNS1_27merge_sort_block_merge_implIS3_PsN6thrust23THRUST_200600_302600_NS10device_ptrIlEEjNS1_19radix_merge_compareILb0ELb0EsNS0_19identity_decomposerEEEEE10hipError_tT0_T1_T2_jT3_P12ihipStream_tbPNSt15iterator_traitsISG_E10value_typeEPNSM_ISH_E10value_typeEPSI_NS1_7vsmem_tEENKUlT_SG_SH_SI_E_clIS7_S7_PlSB_EESF_SV_SG_SH_SI_EUlSV_E1_NS1_11comp_targetILNS1_3genE10ELNS1_11target_archE1201ELNS1_3gpuE5ELNS1_3repE0EEENS1_36merge_oddeven_config_static_selectorELNS0_4arch9wavefront6targetE1EEEvSH_.uses_vcc, 0
	.set _ZN7rocprim17ROCPRIM_400000_NS6detail17trampoline_kernelINS0_14default_configENS1_38merge_sort_block_merge_config_selectorIslEEZZNS1_27merge_sort_block_merge_implIS3_PsN6thrust23THRUST_200600_302600_NS10device_ptrIlEEjNS1_19radix_merge_compareILb0ELb0EsNS0_19identity_decomposerEEEEE10hipError_tT0_T1_T2_jT3_P12ihipStream_tbPNSt15iterator_traitsISG_E10value_typeEPNSM_ISH_E10value_typeEPSI_NS1_7vsmem_tEENKUlT_SG_SH_SI_E_clIS7_S7_PlSB_EESF_SV_SG_SH_SI_EUlSV_E1_NS1_11comp_targetILNS1_3genE10ELNS1_11target_archE1201ELNS1_3gpuE5ELNS1_3repE0EEENS1_36merge_oddeven_config_static_selectorELNS0_4arch9wavefront6targetE1EEEvSH_.uses_flat_scratch, 0
	.set _ZN7rocprim17ROCPRIM_400000_NS6detail17trampoline_kernelINS0_14default_configENS1_38merge_sort_block_merge_config_selectorIslEEZZNS1_27merge_sort_block_merge_implIS3_PsN6thrust23THRUST_200600_302600_NS10device_ptrIlEEjNS1_19radix_merge_compareILb0ELb0EsNS0_19identity_decomposerEEEEE10hipError_tT0_T1_T2_jT3_P12ihipStream_tbPNSt15iterator_traitsISG_E10value_typeEPNSM_ISH_E10value_typeEPSI_NS1_7vsmem_tEENKUlT_SG_SH_SI_E_clIS7_S7_PlSB_EESF_SV_SG_SH_SI_EUlSV_E1_NS1_11comp_targetILNS1_3genE10ELNS1_11target_archE1201ELNS1_3gpuE5ELNS1_3repE0EEENS1_36merge_oddeven_config_static_selectorELNS0_4arch9wavefront6targetE1EEEvSH_.has_dyn_sized_stack, 0
	.set _ZN7rocprim17ROCPRIM_400000_NS6detail17trampoline_kernelINS0_14default_configENS1_38merge_sort_block_merge_config_selectorIslEEZZNS1_27merge_sort_block_merge_implIS3_PsN6thrust23THRUST_200600_302600_NS10device_ptrIlEEjNS1_19radix_merge_compareILb0ELb0EsNS0_19identity_decomposerEEEEE10hipError_tT0_T1_T2_jT3_P12ihipStream_tbPNSt15iterator_traitsISG_E10value_typeEPNSM_ISH_E10value_typeEPSI_NS1_7vsmem_tEENKUlT_SG_SH_SI_E_clIS7_S7_PlSB_EESF_SV_SG_SH_SI_EUlSV_E1_NS1_11comp_targetILNS1_3genE10ELNS1_11target_archE1201ELNS1_3gpuE5ELNS1_3repE0EEENS1_36merge_oddeven_config_static_selectorELNS0_4arch9wavefront6targetE1EEEvSH_.has_recursion, 0
	.set _ZN7rocprim17ROCPRIM_400000_NS6detail17trampoline_kernelINS0_14default_configENS1_38merge_sort_block_merge_config_selectorIslEEZZNS1_27merge_sort_block_merge_implIS3_PsN6thrust23THRUST_200600_302600_NS10device_ptrIlEEjNS1_19radix_merge_compareILb0ELb0EsNS0_19identity_decomposerEEEEE10hipError_tT0_T1_T2_jT3_P12ihipStream_tbPNSt15iterator_traitsISG_E10value_typeEPNSM_ISH_E10value_typeEPSI_NS1_7vsmem_tEENKUlT_SG_SH_SI_E_clIS7_S7_PlSB_EESF_SV_SG_SH_SI_EUlSV_E1_NS1_11comp_targetILNS1_3genE10ELNS1_11target_archE1201ELNS1_3gpuE5ELNS1_3repE0EEENS1_36merge_oddeven_config_static_selectorELNS0_4arch9wavefront6targetE1EEEvSH_.has_indirect_call, 0
	.section	.AMDGPU.csdata,"",@progbits
; Kernel info:
; codeLenInByte = 0
; TotalNumSgprs: 4
; NumVgprs: 0
; ScratchSize: 0
; MemoryBound: 0
; FloatMode: 240
; IeeeMode: 1
; LDSByteSize: 0 bytes/workgroup (compile time only)
; SGPRBlocks: 0
; VGPRBlocks: 0
; NumSGPRsForWavesPerEU: 4
; NumVGPRsForWavesPerEU: 1
; Occupancy: 10
; WaveLimiterHint : 0
; COMPUTE_PGM_RSRC2:SCRATCH_EN: 0
; COMPUTE_PGM_RSRC2:USER_SGPR: 6
; COMPUTE_PGM_RSRC2:TRAP_HANDLER: 0
; COMPUTE_PGM_RSRC2:TGID_X_EN: 1
; COMPUTE_PGM_RSRC2:TGID_Y_EN: 0
; COMPUTE_PGM_RSRC2:TGID_Z_EN: 0
; COMPUTE_PGM_RSRC2:TIDIG_COMP_CNT: 0
	.section	.text._ZN7rocprim17ROCPRIM_400000_NS6detail17trampoline_kernelINS0_14default_configENS1_38merge_sort_block_merge_config_selectorIslEEZZNS1_27merge_sort_block_merge_implIS3_PsN6thrust23THRUST_200600_302600_NS10device_ptrIlEEjNS1_19radix_merge_compareILb0ELb0EsNS0_19identity_decomposerEEEEE10hipError_tT0_T1_T2_jT3_P12ihipStream_tbPNSt15iterator_traitsISG_E10value_typeEPNSM_ISH_E10value_typeEPSI_NS1_7vsmem_tEENKUlT_SG_SH_SI_E_clIS7_S7_PlSB_EESF_SV_SG_SH_SI_EUlSV_E1_NS1_11comp_targetILNS1_3genE5ELNS1_11target_archE942ELNS1_3gpuE9ELNS1_3repE0EEENS1_36merge_oddeven_config_static_selectorELNS0_4arch9wavefront6targetE1EEEvSH_,"axG",@progbits,_ZN7rocprim17ROCPRIM_400000_NS6detail17trampoline_kernelINS0_14default_configENS1_38merge_sort_block_merge_config_selectorIslEEZZNS1_27merge_sort_block_merge_implIS3_PsN6thrust23THRUST_200600_302600_NS10device_ptrIlEEjNS1_19radix_merge_compareILb0ELb0EsNS0_19identity_decomposerEEEEE10hipError_tT0_T1_T2_jT3_P12ihipStream_tbPNSt15iterator_traitsISG_E10value_typeEPNSM_ISH_E10value_typeEPSI_NS1_7vsmem_tEENKUlT_SG_SH_SI_E_clIS7_S7_PlSB_EESF_SV_SG_SH_SI_EUlSV_E1_NS1_11comp_targetILNS1_3genE5ELNS1_11target_archE942ELNS1_3gpuE9ELNS1_3repE0EEENS1_36merge_oddeven_config_static_selectorELNS0_4arch9wavefront6targetE1EEEvSH_,comdat
	.protected	_ZN7rocprim17ROCPRIM_400000_NS6detail17trampoline_kernelINS0_14default_configENS1_38merge_sort_block_merge_config_selectorIslEEZZNS1_27merge_sort_block_merge_implIS3_PsN6thrust23THRUST_200600_302600_NS10device_ptrIlEEjNS1_19radix_merge_compareILb0ELb0EsNS0_19identity_decomposerEEEEE10hipError_tT0_T1_T2_jT3_P12ihipStream_tbPNSt15iterator_traitsISG_E10value_typeEPNSM_ISH_E10value_typeEPSI_NS1_7vsmem_tEENKUlT_SG_SH_SI_E_clIS7_S7_PlSB_EESF_SV_SG_SH_SI_EUlSV_E1_NS1_11comp_targetILNS1_3genE5ELNS1_11target_archE942ELNS1_3gpuE9ELNS1_3repE0EEENS1_36merge_oddeven_config_static_selectorELNS0_4arch9wavefront6targetE1EEEvSH_ ; -- Begin function _ZN7rocprim17ROCPRIM_400000_NS6detail17trampoline_kernelINS0_14default_configENS1_38merge_sort_block_merge_config_selectorIslEEZZNS1_27merge_sort_block_merge_implIS3_PsN6thrust23THRUST_200600_302600_NS10device_ptrIlEEjNS1_19radix_merge_compareILb0ELb0EsNS0_19identity_decomposerEEEEE10hipError_tT0_T1_T2_jT3_P12ihipStream_tbPNSt15iterator_traitsISG_E10value_typeEPNSM_ISH_E10value_typeEPSI_NS1_7vsmem_tEENKUlT_SG_SH_SI_E_clIS7_S7_PlSB_EESF_SV_SG_SH_SI_EUlSV_E1_NS1_11comp_targetILNS1_3genE5ELNS1_11target_archE942ELNS1_3gpuE9ELNS1_3repE0EEENS1_36merge_oddeven_config_static_selectorELNS0_4arch9wavefront6targetE1EEEvSH_
	.globl	_ZN7rocprim17ROCPRIM_400000_NS6detail17trampoline_kernelINS0_14default_configENS1_38merge_sort_block_merge_config_selectorIslEEZZNS1_27merge_sort_block_merge_implIS3_PsN6thrust23THRUST_200600_302600_NS10device_ptrIlEEjNS1_19radix_merge_compareILb0ELb0EsNS0_19identity_decomposerEEEEE10hipError_tT0_T1_T2_jT3_P12ihipStream_tbPNSt15iterator_traitsISG_E10value_typeEPNSM_ISH_E10value_typeEPSI_NS1_7vsmem_tEENKUlT_SG_SH_SI_E_clIS7_S7_PlSB_EESF_SV_SG_SH_SI_EUlSV_E1_NS1_11comp_targetILNS1_3genE5ELNS1_11target_archE942ELNS1_3gpuE9ELNS1_3repE0EEENS1_36merge_oddeven_config_static_selectorELNS0_4arch9wavefront6targetE1EEEvSH_
	.p2align	8
	.type	_ZN7rocprim17ROCPRIM_400000_NS6detail17trampoline_kernelINS0_14default_configENS1_38merge_sort_block_merge_config_selectorIslEEZZNS1_27merge_sort_block_merge_implIS3_PsN6thrust23THRUST_200600_302600_NS10device_ptrIlEEjNS1_19radix_merge_compareILb0ELb0EsNS0_19identity_decomposerEEEEE10hipError_tT0_T1_T2_jT3_P12ihipStream_tbPNSt15iterator_traitsISG_E10value_typeEPNSM_ISH_E10value_typeEPSI_NS1_7vsmem_tEENKUlT_SG_SH_SI_E_clIS7_S7_PlSB_EESF_SV_SG_SH_SI_EUlSV_E1_NS1_11comp_targetILNS1_3genE5ELNS1_11target_archE942ELNS1_3gpuE9ELNS1_3repE0EEENS1_36merge_oddeven_config_static_selectorELNS0_4arch9wavefront6targetE1EEEvSH_,@function
_ZN7rocprim17ROCPRIM_400000_NS6detail17trampoline_kernelINS0_14default_configENS1_38merge_sort_block_merge_config_selectorIslEEZZNS1_27merge_sort_block_merge_implIS3_PsN6thrust23THRUST_200600_302600_NS10device_ptrIlEEjNS1_19radix_merge_compareILb0ELb0EsNS0_19identity_decomposerEEEEE10hipError_tT0_T1_T2_jT3_P12ihipStream_tbPNSt15iterator_traitsISG_E10value_typeEPNSM_ISH_E10value_typeEPSI_NS1_7vsmem_tEENKUlT_SG_SH_SI_E_clIS7_S7_PlSB_EESF_SV_SG_SH_SI_EUlSV_E1_NS1_11comp_targetILNS1_3genE5ELNS1_11target_archE942ELNS1_3gpuE9ELNS1_3repE0EEENS1_36merge_oddeven_config_static_selectorELNS0_4arch9wavefront6targetE1EEEvSH_: ; @_ZN7rocprim17ROCPRIM_400000_NS6detail17trampoline_kernelINS0_14default_configENS1_38merge_sort_block_merge_config_selectorIslEEZZNS1_27merge_sort_block_merge_implIS3_PsN6thrust23THRUST_200600_302600_NS10device_ptrIlEEjNS1_19radix_merge_compareILb0ELb0EsNS0_19identity_decomposerEEEEE10hipError_tT0_T1_T2_jT3_P12ihipStream_tbPNSt15iterator_traitsISG_E10value_typeEPNSM_ISH_E10value_typeEPSI_NS1_7vsmem_tEENKUlT_SG_SH_SI_E_clIS7_S7_PlSB_EESF_SV_SG_SH_SI_EUlSV_E1_NS1_11comp_targetILNS1_3genE5ELNS1_11target_archE942ELNS1_3gpuE9ELNS1_3repE0EEENS1_36merge_oddeven_config_static_selectorELNS0_4arch9wavefront6targetE1EEEvSH_
; %bb.0:
	.section	.rodata,"a",@progbits
	.p2align	6, 0x0
	.amdhsa_kernel _ZN7rocprim17ROCPRIM_400000_NS6detail17trampoline_kernelINS0_14default_configENS1_38merge_sort_block_merge_config_selectorIslEEZZNS1_27merge_sort_block_merge_implIS3_PsN6thrust23THRUST_200600_302600_NS10device_ptrIlEEjNS1_19radix_merge_compareILb0ELb0EsNS0_19identity_decomposerEEEEE10hipError_tT0_T1_T2_jT3_P12ihipStream_tbPNSt15iterator_traitsISG_E10value_typeEPNSM_ISH_E10value_typeEPSI_NS1_7vsmem_tEENKUlT_SG_SH_SI_E_clIS7_S7_PlSB_EESF_SV_SG_SH_SI_EUlSV_E1_NS1_11comp_targetILNS1_3genE5ELNS1_11target_archE942ELNS1_3gpuE9ELNS1_3repE0EEENS1_36merge_oddeven_config_static_selectorELNS0_4arch9wavefront6targetE1EEEvSH_
		.amdhsa_group_segment_fixed_size 0
		.amdhsa_private_segment_fixed_size 0
		.amdhsa_kernarg_size 48
		.amdhsa_user_sgpr_count 6
		.amdhsa_user_sgpr_private_segment_buffer 1
		.amdhsa_user_sgpr_dispatch_ptr 0
		.amdhsa_user_sgpr_queue_ptr 0
		.amdhsa_user_sgpr_kernarg_segment_ptr 1
		.amdhsa_user_sgpr_dispatch_id 0
		.amdhsa_user_sgpr_flat_scratch_init 0
		.amdhsa_user_sgpr_private_segment_size 0
		.amdhsa_uses_dynamic_stack 0
		.amdhsa_system_sgpr_private_segment_wavefront_offset 0
		.amdhsa_system_sgpr_workgroup_id_x 1
		.amdhsa_system_sgpr_workgroup_id_y 0
		.amdhsa_system_sgpr_workgroup_id_z 0
		.amdhsa_system_sgpr_workgroup_info 0
		.amdhsa_system_vgpr_workitem_id 0
		.amdhsa_next_free_vgpr 1
		.amdhsa_next_free_sgpr 0
		.amdhsa_reserve_vcc 0
		.amdhsa_reserve_flat_scratch 0
		.amdhsa_float_round_mode_32 0
		.amdhsa_float_round_mode_16_64 0
		.amdhsa_float_denorm_mode_32 3
		.amdhsa_float_denorm_mode_16_64 3
		.amdhsa_dx10_clamp 1
		.amdhsa_ieee_mode 1
		.amdhsa_fp16_overflow 0
		.amdhsa_exception_fp_ieee_invalid_op 0
		.amdhsa_exception_fp_denorm_src 0
		.amdhsa_exception_fp_ieee_div_zero 0
		.amdhsa_exception_fp_ieee_overflow 0
		.amdhsa_exception_fp_ieee_underflow 0
		.amdhsa_exception_fp_ieee_inexact 0
		.amdhsa_exception_int_div_zero 0
	.end_amdhsa_kernel
	.section	.text._ZN7rocprim17ROCPRIM_400000_NS6detail17trampoline_kernelINS0_14default_configENS1_38merge_sort_block_merge_config_selectorIslEEZZNS1_27merge_sort_block_merge_implIS3_PsN6thrust23THRUST_200600_302600_NS10device_ptrIlEEjNS1_19radix_merge_compareILb0ELb0EsNS0_19identity_decomposerEEEEE10hipError_tT0_T1_T2_jT3_P12ihipStream_tbPNSt15iterator_traitsISG_E10value_typeEPNSM_ISH_E10value_typeEPSI_NS1_7vsmem_tEENKUlT_SG_SH_SI_E_clIS7_S7_PlSB_EESF_SV_SG_SH_SI_EUlSV_E1_NS1_11comp_targetILNS1_3genE5ELNS1_11target_archE942ELNS1_3gpuE9ELNS1_3repE0EEENS1_36merge_oddeven_config_static_selectorELNS0_4arch9wavefront6targetE1EEEvSH_,"axG",@progbits,_ZN7rocprim17ROCPRIM_400000_NS6detail17trampoline_kernelINS0_14default_configENS1_38merge_sort_block_merge_config_selectorIslEEZZNS1_27merge_sort_block_merge_implIS3_PsN6thrust23THRUST_200600_302600_NS10device_ptrIlEEjNS1_19radix_merge_compareILb0ELb0EsNS0_19identity_decomposerEEEEE10hipError_tT0_T1_T2_jT3_P12ihipStream_tbPNSt15iterator_traitsISG_E10value_typeEPNSM_ISH_E10value_typeEPSI_NS1_7vsmem_tEENKUlT_SG_SH_SI_E_clIS7_S7_PlSB_EESF_SV_SG_SH_SI_EUlSV_E1_NS1_11comp_targetILNS1_3genE5ELNS1_11target_archE942ELNS1_3gpuE9ELNS1_3repE0EEENS1_36merge_oddeven_config_static_selectorELNS0_4arch9wavefront6targetE1EEEvSH_,comdat
.Lfunc_end1294:
	.size	_ZN7rocprim17ROCPRIM_400000_NS6detail17trampoline_kernelINS0_14default_configENS1_38merge_sort_block_merge_config_selectorIslEEZZNS1_27merge_sort_block_merge_implIS3_PsN6thrust23THRUST_200600_302600_NS10device_ptrIlEEjNS1_19radix_merge_compareILb0ELb0EsNS0_19identity_decomposerEEEEE10hipError_tT0_T1_T2_jT3_P12ihipStream_tbPNSt15iterator_traitsISG_E10value_typeEPNSM_ISH_E10value_typeEPSI_NS1_7vsmem_tEENKUlT_SG_SH_SI_E_clIS7_S7_PlSB_EESF_SV_SG_SH_SI_EUlSV_E1_NS1_11comp_targetILNS1_3genE5ELNS1_11target_archE942ELNS1_3gpuE9ELNS1_3repE0EEENS1_36merge_oddeven_config_static_selectorELNS0_4arch9wavefront6targetE1EEEvSH_, .Lfunc_end1294-_ZN7rocprim17ROCPRIM_400000_NS6detail17trampoline_kernelINS0_14default_configENS1_38merge_sort_block_merge_config_selectorIslEEZZNS1_27merge_sort_block_merge_implIS3_PsN6thrust23THRUST_200600_302600_NS10device_ptrIlEEjNS1_19radix_merge_compareILb0ELb0EsNS0_19identity_decomposerEEEEE10hipError_tT0_T1_T2_jT3_P12ihipStream_tbPNSt15iterator_traitsISG_E10value_typeEPNSM_ISH_E10value_typeEPSI_NS1_7vsmem_tEENKUlT_SG_SH_SI_E_clIS7_S7_PlSB_EESF_SV_SG_SH_SI_EUlSV_E1_NS1_11comp_targetILNS1_3genE5ELNS1_11target_archE942ELNS1_3gpuE9ELNS1_3repE0EEENS1_36merge_oddeven_config_static_selectorELNS0_4arch9wavefront6targetE1EEEvSH_
                                        ; -- End function
	.set _ZN7rocprim17ROCPRIM_400000_NS6detail17trampoline_kernelINS0_14default_configENS1_38merge_sort_block_merge_config_selectorIslEEZZNS1_27merge_sort_block_merge_implIS3_PsN6thrust23THRUST_200600_302600_NS10device_ptrIlEEjNS1_19radix_merge_compareILb0ELb0EsNS0_19identity_decomposerEEEEE10hipError_tT0_T1_T2_jT3_P12ihipStream_tbPNSt15iterator_traitsISG_E10value_typeEPNSM_ISH_E10value_typeEPSI_NS1_7vsmem_tEENKUlT_SG_SH_SI_E_clIS7_S7_PlSB_EESF_SV_SG_SH_SI_EUlSV_E1_NS1_11comp_targetILNS1_3genE5ELNS1_11target_archE942ELNS1_3gpuE9ELNS1_3repE0EEENS1_36merge_oddeven_config_static_selectorELNS0_4arch9wavefront6targetE1EEEvSH_.num_vgpr, 0
	.set _ZN7rocprim17ROCPRIM_400000_NS6detail17trampoline_kernelINS0_14default_configENS1_38merge_sort_block_merge_config_selectorIslEEZZNS1_27merge_sort_block_merge_implIS3_PsN6thrust23THRUST_200600_302600_NS10device_ptrIlEEjNS1_19radix_merge_compareILb0ELb0EsNS0_19identity_decomposerEEEEE10hipError_tT0_T1_T2_jT3_P12ihipStream_tbPNSt15iterator_traitsISG_E10value_typeEPNSM_ISH_E10value_typeEPSI_NS1_7vsmem_tEENKUlT_SG_SH_SI_E_clIS7_S7_PlSB_EESF_SV_SG_SH_SI_EUlSV_E1_NS1_11comp_targetILNS1_3genE5ELNS1_11target_archE942ELNS1_3gpuE9ELNS1_3repE0EEENS1_36merge_oddeven_config_static_selectorELNS0_4arch9wavefront6targetE1EEEvSH_.num_agpr, 0
	.set _ZN7rocprim17ROCPRIM_400000_NS6detail17trampoline_kernelINS0_14default_configENS1_38merge_sort_block_merge_config_selectorIslEEZZNS1_27merge_sort_block_merge_implIS3_PsN6thrust23THRUST_200600_302600_NS10device_ptrIlEEjNS1_19radix_merge_compareILb0ELb0EsNS0_19identity_decomposerEEEEE10hipError_tT0_T1_T2_jT3_P12ihipStream_tbPNSt15iterator_traitsISG_E10value_typeEPNSM_ISH_E10value_typeEPSI_NS1_7vsmem_tEENKUlT_SG_SH_SI_E_clIS7_S7_PlSB_EESF_SV_SG_SH_SI_EUlSV_E1_NS1_11comp_targetILNS1_3genE5ELNS1_11target_archE942ELNS1_3gpuE9ELNS1_3repE0EEENS1_36merge_oddeven_config_static_selectorELNS0_4arch9wavefront6targetE1EEEvSH_.numbered_sgpr, 0
	.set _ZN7rocprim17ROCPRIM_400000_NS6detail17trampoline_kernelINS0_14default_configENS1_38merge_sort_block_merge_config_selectorIslEEZZNS1_27merge_sort_block_merge_implIS3_PsN6thrust23THRUST_200600_302600_NS10device_ptrIlEEjNS1_19radix_merge_compareILb0ELb0EsNS0_19identity_decomposerEEEEE10hipError_tT0_T1_T2_jT3_P12ihipStream_tbPNSt15iterator_traitsISG_E10value_typeEPNSM_ISH_E10value_typeEPSI_NS1_7vsmem_tEENKUlT_SG_SH_SI_E_clIS7_S7_PlSB_EESF_SV_SG_SH_SI_EUlSV_E1_NS1_11comp_targetILNS1_3genE5ELNS1_11target_archE942ELNS1_3gpuE9ELNS1_3repE0EEENS1_36merge_oddeven_config_static_selectorELNS0_4arch9wavefront6targetE1EEEvSH_.num_named_barrier, 0
	.set _ZN7rocprim17ROCPRIM_400000_NS6detail17trampoline_kernelINS0_14default_configENS1_38merge_sort_block_merge_config_selectorIslEEZZNS1_27merge_sort_block_merge_implIS3_PsN6thrust23THRUST_200600_302600_NS10device_ptrIlEEjNS1_19radix_merge_compareILb0ELb0EsNS0_19identity_decomposerEEEEE10hipError_tT0_T1_T2_jT3_P12ihipStream_tbPNSt15iterator_traitsISG_E10value_typeEPNSM_ISH_E10value_typeEPSI_NS1_7vsmem_tEENKUlT_SG_SH_SI_E_clIS7_S7_PlSB_EESF_SV_SG_SH_SI_EUlSV_E1_NS1_11comp_targetILNS1_3genE5ELNS1_11target_archE942ELNS1_3gpuE9ELNS1_3repE0EEENS1_36merge_oddeven_config_static_selectorELNS0_4arch9wavefront6targetE1EEEvSH_.private_seg_size, 0
	.set _ZN7rocprim17ROCPRIM_400000_NS6detail17trampoline_kernelINS0_14default_configENS1_38merge_sort_block_merge_config_selectorIslEEZZNS1_27merge_sort_block_merge_implIS3_PsN6thrust23THRUST_200600_302600_NS10device_ptrIlEEjNS1_19radix_merge_compareILb0ELb0EsNS0_19identity_decomposerEEEEE10hipError_tT0_T1_T2_jT3_P12ihipStream_tbPNSt15iterator_traitsISG_E10value_typeEPNSM_ISH_E10value_typeEPSI_NS1_7vsmem_tEENKUlT_SG_SH_SI_E_clIS7_S7_PlSB_EESF_SV_SG_SH_SI_EUlSV_E1_NS1_11comp_targetILNS1_3genE5ELNS1_11target_archE942ELNS1_3gpuE9ELNS1_3repE0EEENS1_36merge_oddeven_config_static_selectorELNS0_4arch9wavefront6targetE1EEEvSH_.uses_vcc, 0
	.set _ZN7rocprim17ROCPRIM_400000_NS6detail17trampoline_kernelINS0_14default_configENS1_38merge_sort_block_merge_config_selectorIslEEZZNS1_27merge_sort_block_merge_implIS3_PsN6thrust23THRUST_200600_302600_NS10device_ptrIlEEjNS1_19radix_merge_compareILb0ELb0EsNS0_19identity_decomposerEEEEE10hipError_tT0_T1_T2_jT3_P12ihipStream_tbPNSt15iterator_traitsISG_E10value_typeEPNSM_ISH_E10value_typeEPSI_NS1_7vsmem_tEENKUlT_SG_SH_SI_E_clIS7_S7_PlSB_EESF_SV_SG_SH_SI_EUlSV_E1_NS1_11comp_targetILNS1_3genE5ELNS1_11target_archE942ELNS1_3gpuE9ELNS1_3repE0EEENS1_36merge_oddeven_config_static_selectorELNS0_4arch9wavefront6targetE1EEEvSH_.uses_flat_scratch, 0
	.set _ZN7rocprim17ROCPRIM_400000_NS6detail17trampoline_kernelINS0_14default_configENS1_38merge_sort_block_merge_config_selectorIslEEZZNS1_27merge_sort_block_merge_implIS3_PsN6thrust23THRUST_200600_302600_NS10device_ptrIlEEjNS1_19radix_merge_compareILb0ELb0EsNS0_19identity_decomposerEEEEE10hipError_tT0_T1_T2_jT3_P12ihipStream_tbPNSt15iterator_traitsISG_E10value_typeEPNSM_ISH_E10value_typeEPSI_NS1_7vsmem_tEENKUlT_SG_SH_SI_E_clIS7_S7_PlSB_EESF_SV_SG_SH_SI_EUlSV_E1_NS1_11comp_targetILNS1_3genE5ELNS1_11target_archE942ELNS1_3gpuE9ELNS1_3repE0EEENS1_36merge_oddeven_config_static_selectorELNS0_4arch9wavefront6targetE1EEEvSH_.has_dyn_sized_stack, 0
	.set _ZN7rocprim17ROCPRIM_400000_NS6detail17trampoline_kernelINS0_14default_configENS1_38merge_sort_block_merge_config_selectorIslEEZZNS1_27merge_sort_block_merge_implIS3_PsN6thrust23THRUST_200600_302600_NS10device_ptrIlEEjNS1_19radix_merge_compareILb0ELb0EsNS0_19identity_decomposerEEEEE10hipError_tT0_T1_T2_jT3_P12ihipStream_tbPNSt15iterator_traitsISG_E10value_typeEPNSM_ISH_E10value_typeEPSI_NS1_7vsmem_tEENKUlT_SG_SH_SI_E_clIS7_S7_PlSB_EESF_SV_SG_SH_SI_EUlSV_E1_NS1_11comp_targetILNS1_3genE5ELNS1_11target_archE942ELNS1_3gpuE9ELNS1_3repE0EEENS1_36merge_oddeven_config_static_selectorELNS0_4arch9wavefront6targetE1EEEvSH_.has_recursion, 0
	.set _ZN7rocprim17ROCPRIM_400000_NS6detail17trampoline_kernelINS0_14default_configENS1_38merge_sort_block_merge_config_selectorIslEEZZNS1_27merge_sort_block_merge_implIS3_PsN6thrust23THRUST_200600_302600_NS10device_ptrIlEEjNS1_19radix_merge_compareILb0ELb0EsNS0_19identity_decomposerEEEEE10hipError_tT0_T1_T2_jT3_P12ihipStream_tbPNSt15iterator_traitsISG_E10value_typeEPNSM_ISH_E10value_typeEPSI_NS1_7vsmem_tEENKUlT_SG_SH_SI_E_clIS7_S7_PlSB_EESF_SV_SG_SH_SI_EUlSV_E1_NS1_11comp_targetILNS1_3genE5ELNS1_11target_archE942ELNS1_3gpuE9ELNS1_3repE0EEENS1_36merge_oddeven_config_static_selectorELNS0_4arch9wavefront6targetE1EEEvSH_.has_indirect_call, 0
	.section	.AMDGPU.csdata,"",@progbits
; Kernel info:
; codeLenInByte = 0
; TotalNumSgprs: 4
; NumVgprs: 0
; ScratchSize: 0
; MemoryBound: 0
; FloatMode: 240
; IeeeMode: 1
; LDSByteSize: 0 bytes/workgroup (compile time only)
; SGPRBlocks: 0
; VGPRBlocks: 0
; NumSGPRsForWavesPerEU: 4
; NumVGPRsForWavesPerEU: 1
; Occupancy: 10
; WaveLimiterHint : 0
; COMPUTE_PGM_RSRC2:SCRATCH_EN: 0
; COMPUTE_PGM_RSRC2:USER_SGPR: 6
; COMPUTE_PGM_RSRC2:TRAP_HANDLER: 0
; COMPUTE_PGM_RSRC2:TGID_X_EN: 1
; COMPUTE_PGM_RSRC2:TGID_Y_EN: 0
; COMPUTE_PGM_RSRC2:TGID_Z_EN: 0
; COMPUTE_PGM_RSRC2:TIDIG_COMP_CNT: 0
	.section	.text._ZN7rocprim17ROCPRIM_400000_NS6detail17trampoline_kernelINS0_14default_configENS1_38merge_sort_block_merge_config_selectorIslEEZZNS1_27merge_sort_block_merge_implIS3_PsN6thrust23THRUST_200600_302600_NS10device_ptrIlEEjNS1_19radix_merge_compareILb0ELb0EsNS0_19identity_decomposerEEEEE10hipError_tT0_T1_T2_jT3_P12ihipStream_tbPNSt15iterator_traitsISG_E10value_typeEPNSM_ISH_E10value_typeEPSI_NS1_7vsmem_tEENKUlT_SG_SH_SI_E_clIS7_S7_PlSB_EESF_SV_SG_SH_SI_EUlSV_E1_NS1_11comp_targetILNS1_3genE4ELNS1_11target_archE910ELNS1_3gpuE8ELNS1_3repE0EEENS1_36merge_oddeven_config_static_selectorELNS0_4arch9wavefront6targetE1EEEvSH_,"axG",@progbits,_ZN7rocprim17ROCPRIM_400000_NS6detail17trampoline_kernelINS0_14default_configENS1_38merge_sort_block_merge_config_selectorIslEEZZNS1_27merge_sort_block_merge_implIS3_PsN6thrust23THRUST_200600_302600_NS10device_ptrIlEEjNS1_19radix_merge_compareILb0ELb0EsNS0_19identity_decomposerEEEEE10hipError_tT0_T1_T2_jT3_P12ihipStream_tbPNSt15iterator_traitsISG_E10value_typeEPNSM_ISH_E10value_typeEPSI_NS1_7vsmem_tEENKUlT_SG_SH_SI_E_clIS7_S7_PlSB_EESF_SV_SG_SH_SI_EUlSV_E1_NS1_11comp_targetILNS1_3genE4ELNS1_11target_archE910ELNS1_3gpuE8ELNS1_3repE0EEENS1_36merge_oddeven_config_static_selectorELNS0_4arch9wavefront6targetE1EEEvSH_,comdat
	.protected	_ZN7rocprim17ROCPRIM_400000_NS6detail17trampoline_kernelINS0_14default_configENS1_38merge_sort_block_merge_config_selectorIslEEZZNS1_27merge_sort_block_merge_implIS3_PsN6thrust23THRUST_200600_302600_NS10device_ptrIlEEjNS1_19radix_merge_compareILb0ELb0EsNS0_19identity_decomposerEEEEE10hipError_tT0_T1_T2_jT3_P12ihipStream_tbPNSt15iterator_traitsISG_E10value_typeEPNSM_ISH_E10value_typeEPSI_NS1_7vsmem_tEENKUlT_SG_SH_SI_E_clIS7_S7_PlSB_EESF_SV_SG_SH_SI_EUlSV_E1_NS1_11comp_targetILNS1_3genE4ELNS1_11target_archE910ELNS1_3gpuE8ELNS1_3repE0EEENS1_36merge_oddeven_config_static_selectorELNS0_4arch9wavefront6targetE1EEEvSH_ ; -- Begin function _ZN7rocprim17ROCPRIM_400000_NS6detail17trampoline_kernelINS0_14default_configENS1_38merge_sort_block_merge_config_selectorIslEEZZNS1_27merge_sort_block_merge_implIS3_PsN6thrust23THRUST_200600_302600_NS10device_ptrIlEEjNS1_19radix_merge_compareILb0ELb0EsNS0_19identity_decomposerEEEEE10hipError_tT0_T1_T2_jT3_P12ihipStream_tbPNSt15iterator_traitsISG_E10value_typeEPNSM_ISH_E10value_typeEPSI_NS1_7vsmem_tEENKUlT_SG_SH_SI_E_clIS7_S7_PlSB_EESF_SV_SG_SH_SI_EUlSV_E1_NS1_11comp_targetILNS1_3genE4ELNS1_11target_archE910ELNS1_3gpuE8ELNS1_3repE0EEENS1_36merge_oddeven_config_static_selectorELNS0_4arch9wavefront6targetE1EEEvSH_
	.globl	_ZN7rocprim17ROCPRIM_400000_NS6detail17trampoline_kernelINS0_14default_configENS1_38merge_sort_block_merge_config_selectorIslEEZZNS1_27merge_sort_block_merge_implIS3_PsN6thrust23THRUST_200600_302600_NS10device_ptrIlEEjNS1_19radix_merge_compareILb0ELb0EsNS0_19identity_decomposerEEEEE10hipError_tT0_T1_T2_jT3_P12ihipStream_tbPNSt15iterator_traitsISG_E10value_typeEPNSM_ISH_E10value_typeEPSI_NS1_7vsmem_tEENKUlT_SG_SH_SI_E_clIS7_S7_PlSB_EESF_SV_SG_SH_SI_EUlSV_E1_NS1_11comp_targetILNS1_3genE4ELNS1_11target_archE910ELNS1_3gpuE8ELNS1_3repE0EEENS1_36merge_oddeven_config_static_selectorELNS0_4arch9wavefront6targetE1EEEvSH_
	.p2align	8
	.type	_ZN7rocprim17ROCPRIM_400000_NS6detail17trampoline_kernelINS0_14default_configENS1_38merge_sort_block_merge_config_selectorIslEEZZNS1_27merge_sort_block_merge_implIS3_PsN6thrust23THRUST_200600_302600_NS10device_ptrIlEEjNS1_19radix_merge_compareILb0ELb0EsNS0_19identity_decomposerEEEEE10hipError_tT0_T1_T2_jT3_P12ihipStream_tbPNSt15iterator_traitsISG_E10value_typeEPNSM_ISH_E10value_typeEPSI_NS1_7vsmem_tEENKUlT_SG_SH_SI_E_clIS7_S7_PlSB_EESF_SV_SG_SH_SI_EUlSV_E1_NS1_11comp_targetILNS1_3genE4ELNS1_11target_archE910ELNS1_3gpuE8ELNS1_3repE0EEENS1_36merge_oddeven_config_static_selectorELNS0_4arch9wavefront6targetE1EEEvSH_,@function
_ZN7rocprim17ROCPRIM_400000_NS6detail17trampoline_kernelINS0_14default_configENS1_38merge_sort_block_merge_config_selectorIslEEZZNS1_27merge_sort_block_merge_implIS3_PsN6thrust23THRUST_200600_302600_NS10device_ptrIlEEjNS1_19radix_merge_compareILb0ELb0EsNS0_19identity_decomposerEEEEE10hipError_tT0_T1_T2_jT3_P12ihipStream_tbPNSt15iterator_traitsISG_E10value_typeEPNSM_ISH_E10value_typeEPSI_NS1_7vsmem_tEENKUlT_SG_SH_SI_E_clIS7_S7_PlSB_EESF_SV_SG_SH_SI_EUlSV_E1_NS1_11comp_targetILNS1_3genE4ELNS1_11target_archE910ELNS1_3gpuE8ELNS1_3repE0EEENS1_36merge_oddeven_config_static_selectorELNS0_4arch9wavefront6targetE1EEEvSH_: ; @_ZN7rocprim17ROCPRIM_400000_NS6detail17trampoline_kernelINS0_14default_configENS1_38merge_sort_block_merge_config_selectorIslEEZZNS1_27merge_sort_block_merge_implIS3_PsN6thrust23THRUST_200600_302600_NS10device_ptrIlEEjNS1_19radix_merge_compareILb0ELb0EsNS0_19identity_decomposerEEEEE10hipError_tT0_T1_T2_jT3_P12ihipStream_tbPNSt15iterator_traitsISG_E10value_typeEPNSM_ISH_E10value_typeEPSI_NS1_7vsmem_tEENKUlT_SG_SH_SI_E_clIS7_S7_PlSB_EESF_SV_SG_SH_SI_EUlSV_E1_NS1_11comp_targetILNS1_3genE4ELNS1_11target_archE910ELNS1_3gpuE8ELNS1_3repE0EEENS1_36merge_oddeven_config_static_selectorELNS0_4arch9wavefront6targetE1EEEvSH_
; %bb.0:
	.section	.rodata,"a",@progbits
	.p2align	6, 0x0
	.amdhsa_kernel _ZN7rocprim17ROCPRIM_400000_NS6detail17trampoline_kernelINS0_14default_configENS1_38merge_sort_block_merge_config_selectorIslEEZZNS1_27merge_sort_block_merge_implIS3_PsN6thrust23THRUST_200600_302600_NS10device_ptrIlEEjNS1_19radix_merge_compareILb0ELb0EsNS0_19identity_decomposerEEEEE10hipError_tT0_T1_T2_jT3_P12ihipStream_tbPNSt15iterator_traitsISG_E10value_typeEPNSM_ISH_E10value_typeEPSI_NS1_7vsmem_tEENKUlT_SG_SH_SI_E_clIS7_S7_PlSB_EESF_SV_SG_SH_SI_EUlSV_E1_NS1_11comp_targetILNS1_3genE4ELNS1_11target_archE910ELNS1_3gpuE8ELNS1_3repE0EEENS1_36merge_oddeven_config_static_selectorELNS0_4arch9wavefront6targetE1EEEvSH_
		.amdhsa_group_segment_fixed_size 0
		.amdhsa_private_segment_fixed_size 0
		.amdhsa_kernarg_size 48
		.amdhsa_user_sgpr_count 6
		.amdhsa_user_sgpr_private_segment_buffer 1
		.amdhsa_user_sgpr_dispatch_ptr 0
		.amdhsa_user_sgpr_queue_ptr 0
		.amdhsa_user_sgpr_kernarg_segment_ptr 1
		.amdhsa_user_sgpr_dispatch_id 0
		.amdhsa_user_sgpr_flat_scratch_init 0
		.amdhsa_user_sgpr_private_segment_size 0
		.amdhsa_uses_dynamic_stack 0
		.amdhsa_system_sgpr_private_segment_wavefront_offset 0
		.amdhsa_system_sgpr_workgroup_id_x 1
		.amdhsa_system_sgpr_workgroup_id_y 0
		.amdhsa_system_sgpr_workgroup_id_z 0
		.amdhsa_system_sgpr_workgroup_info 0
		.amdhsa_system_vgpr_workitem_id 0
		.amdhsa_next_free_vgpr 1
		.amdhsa_next_free_sgpr 0
		.amdhsa_reserve_vcc 0
		.amdhsa_reserve_flat_scratch 0
		.amdhsa_float_round_mode_32 0
		.amdhsa_float_round_mode_16_64 0
		.amdhsa_float_denorm_mode_32 3
		.amdhsa_float_denorm_mode_16_64 3
		.amdhsa_dx10_clamp 1
		.amdhsa_ieee_mode 1
		.amdhsa_fp16_overflow 0
		.amdhsa_exception_fp_ieee_invalid_op 0
		.amdhsa_exception_fp_denorm_src 0
		.amdhsa_exception_fp_ieee_div_zero 0
		.amdhsa_exception_fp_ieee_overflow 0
		.amdhsa_exception_fp_ieee_underflow 0
		.amdhsa_exception_fp_ieee_inexact 0
		.amdhsa_exception_int_div_zero 0
	.end_amdhsa_kernel
	.section	.text._ZN7rocprim17ROCPRIM_400000_NS6detail17trampoline_kernelINS0_14default_configENS1_38merge_sort_block_merge_config_selectorIslEEZZNS1_27merge_sort_block_merge_implIS3_PsN6thrust23THRUST_200600_302600_NS10device_ptrIlEEjNS1_19radix_merge_compareILb0ELb0EsNS0_19identity_decomposerEEEEE10hipError_tT0_T1_T2_jT3_P12ihipStream_tbPNSt15iterator_traitsISG_E10value_typeEPNSM_ISH_E10value_typeEPSI_NS1_7vsmem_tEENKUlT_SG_SH_SI_E_clIS7_S7_PlSB_EESF_SV_SG_SH_SI_EUlSV_E1_NS1_11comp_targetILNS1_3genE4ELNS1_11target_archE910ELNS1_3gpuE8ELNS1_3repE0EEENS1_36merge_oddeven_config_static_selectorELNS0_4arch9wavefront6targetE1EEEvSH_,"axG",@progbits,_ZN7rocprim17ROCPRIM_400000_NS6detail17trampoline_kernelINS0_14default_configENS1_38merge_sort_block_merge_config_selectorIslEEZZNS1_27merge_sort_block_merge_implIS3_PsN6thrust23THRUST_200600_302600_NS10device_ptrIlEEjNS1_19radix_merge_compareILb0ELb0EsNS0_19identity_decomposerEEEEE10hipError_tT0_T1_T2_jT3_P12ihipStream_tbPNSt15iterator_traitsISG_E10value_typeEPNSM_ISH_E10value_typeEPSI_NS1_7vsmem_tEENKUlT_SG_SH_SI_E_clIS7_S7_PlSB_EESF_SV_SG_SH_SI_EUlSV_E1_NS1_11comp_targetILNS1_3genE4ELNS1_11target_archE910ELNS1_3gpuE8ELNS1_3repE0EEENS1_36merge_oddeven_config_static_selectorELNS0_4arch9wavefront6targetE1EEEvSH_,comdat
.Lfunc_end1295:
	.size	_ZN7rocprim17ROCPRIM_400000_NS6detail17trampoline_kernelINS0_14default_configENS1_38merge_sort_block_merge_config_selectorIslEEZZNS1_27merge_sort_block_merge_implIS3_PsN6thrust23THRUST_200600_302600_NS10device_ptrIlEEjNS1_19radix_merge_compareILb0ELb0EsNS0_19identity_decomposerEEEEE10hipError_tT0_T1_T2_jT3_P12ihipStream_tbPNSt15iterator_traitsISG_E10value_typeEPNSM_ISH_E10value_typeEPSI_NS1_7vsmem_tEENKUlT_SG_SH_SI_E_clIS7_S7_PlSB_EESF_SV_SG_SH_SI_EUlSV_E1_NS1_11comp_targetILNS1_3genE4ELNS1_11target_archE910ELNS1_3gpuE8ELNS1_3repE0EEENS1_36merge_oddeven_config_static_selectorELNS0_4arch9wavefront6targetE1EEEvSH_, .Lfunc_end1295-_ZN7rocprim17ROCPRIM_400000_NS6detail17trampoline_kernelINS0_14default_configENS1_38merge_sort_block_merge_config_selectorIslEEZZNS1_27merge_sort_block_merge_implIS3_PsN6thrust23THRUST_200600_302600_NS10device_ptrIlEEjNS1_19radix_merge_compareILb0ELb0EsNS0_19identity_decomposerEEEEE10hipError_tT0_T1_T2_jT3_P12ihipStream_tbPNSt15iterator_traitsISG_E10value_typeEPNSM_ISH_E10value_typeEPSI_NS1_7vsmem_tEENKUlT_SG_SH_SI_E_clIS7_S7_PlSB_EESF_SV_SG_SH_SI_EUlSV_E1_NS1_11comp_targetILNS1_3genE4ELNS1_11target_archE910ELNS1_3gpuE8ELNS1_3repE0EEENS1_36merge_oddeven_config_static_selectorELNS0_4arch9wavefront6targetE1EEEvSH_
                                        ; -- End function
	.set _ZN7rocprim17ROCPRIM_400000_NS6detail17trampoline_kernelINS0_14default_configENS1_38merge_sort_block_merge_config_selectorIslEEZZNS1_27merge_sort_block_merge_implIS3_PsN6thrust23THRUST_200600_302600_NS10device_ptrIlEEjNS1_19radix_merge_compareILb0ELb0EsNS0_19identity_decomposerEEEEE10hipError_tT0_T1_T2_jT3_P12ihipStream_tbPNSt15iterator_traitsISG_E10value_typeEPNSM_ISH_E10value_typeEPSI_NS1_7vsmem_tEENKUlT_SG_SH_SI_E_clIS7_S7_PlSB_EESF_SV_SG_SH_SI_EUlSV_E1_NS1_11comp_targetILNS1_3genE4ELNS1_11target_archE910ELNS1_3gpuE8ELNS1_3repE0EEENS1_36merge_oddeven_config_static_selectorELNS0_4arch9wavefront6targetE1EEEvSH_.num_vgpr, 0
	.set _ZN7rocprim17ROCPRIM_400000_NS6detail17trampoline_kernelINS0_14default_configENS1_38merge_sort_block_merge_config_selectorIslEEZZNS1_27merge_sort_block_merge_implIS3_PsN6thrust23THRUST_200600_302600_NS10device_ptrIlEEjNS1_19radix_merge_compareILb0ELb0EsNS0_19identity_decomposerEEEEE10hipError_tT0_T1_T2_jT3_P12ihipStream_tbPNSt15iterator_traitsISG_E10value_typeEPNSM_ISH_E10value_typeEPSI_NS1_7vsmem_tEENKUlT_SG_SH_SI_E_clIS7_S7_PlSB_EESF_SV_SG_SH_SI_EUlSV_E1_NS1_11comp_targetILNS1_3genE4ELNS1_11target_archE910ELNS1_3gpuE8ELNS1_3repE0EEENS1_36merge_oddeven_config_static_selectorELNS0_4arch9wavefront6targetE1EEEvSH_.num_agpr, 0
	.set _ZN7rocprim17ROCPRIM_400000_NS6detail17trampoline_kernelINS0_14default_configENS1_38merge_sort_block_merge_config_selectorIslEEZZNS1_27merge_sort_block_merge_implIS3_PsN6thrust23THRUST_200600_302600_NS10device_ptrIlEEjNS1_19radix_merge_compareILb0ELb0EsNS0_19identity_decomposerEEEEE10hipError_tT0_T1_T2_jT3_P12ihipStream_tbPNSt15iterator_traitsISG_E10value_typeEPNSM_ISH_E10value_typeEPSI_NS1_7vsmem_tEENKUlT_SG_SH_SI_E_clIS7_S7_PlSB_EESF_SV_SG_SH_SI_EUlSV_E1_NS1_11comp_targetILNS1_3genE4ELNS1_11target_archE910ELNS1_3gpuE8ELNS1_3repE0EEENS1_36merge_oddeven_config_static_selectorELNS0_4arch9wavefront6targetE1EEEvSH_.numbered_sgpr, 0
	.set _ZN7rocprim17ROCPRIM_400000_NS6detail17trampoline_kernelINS0_14default_configENS1_38merge_sort_block_merge_config_selectorIslEEZZNS1_27merge_sort_block_merge_implIS3_PsN6thrust23THRUST_200600_302600_NS10device_ptrIlEEjNS1_19radix_merge_compareILb0ELb0EsNS0_19identity_decomposerEEEEE10hipError_tT0_T1_T2_jT3_P12ihipStream_tbPNSt15iterator_traitsISG_E10value_typeEPNSM_ISH_E10value_typeEPSI_NS1_7vsmem_tEENKUlT_SG_SH_SI_E_clIS7_S7_PlSB_EESF_SV_SG_SH_SI_EUlSV_E1_NS1_11comp_targetILNS1_3genE4ELNS1_11target_archE910ELNS1_3gpuE8ELNS1_3repE0EEENS1_36merge_oddeven_config_static_selectorELNS0_4arch9wavefront6targetE1EEEvSH_.num_named_barrier, 0
	.set _ZN7rocprim17ROCPRIM_400000_NS6detail17trampoline_kernelINS0_14default_configENS1_38merge_sort_block_merge_config_selectorIslEEZZNS1_27merge_sort_block_merge_implIS3_PsN6thrust23THRUST_200600_302600_NS10device_ptrIlEEjNS1_19radix_merge_compareILb0ELb0EsNS0_19identity_decomposerEEEEE10hipError_tT0_T1_T2_jT3_P12ihipStream_tbPNSt15iterator_traitsISG_E10value_typeEPNSM_ISH_E10value_typeEPSI_NS1_7vsmem_tEENKUlT_SG_SH_SI_E_clIS7_S7_PlSB_EESF_SV_SG_SH_SI_EUlSV_E1_NS1_11comp_targetILNS1_3genE4ELNS1_11target_archE910ELNS1_3gpuE8ELNS1_3repE0EEENS1_36merge_oddeven_config_static_selectorELNS0_4arch9wavefront6targetE1EEEvSH_.private_seg_size, 0
	.set _ZN7rocprim17ROCPRIM_400000_NS6detail17trampoline_kernelINS0_14default_configENS1_38merge_sort_block_merge_config_selectorIslEEZZNS1_27merge_sort_block_merge_implIS3_PsN6thrust23THRUST_200600_302600_NS10device_ptrIlEEjNS1_19radix_merge_compareILb0ELb0EsNS0_19identity_decomposerEEEEE10hipError_tT0_T1_T2_jT3_P12ihipStream_tbPNSt15iterator_traitsISG_E10value_typeEPNSM_ISH_E10value_typeEPSI_NS1_7vsmem_tEENKUlT_SG_SH_SI_E_clIS7_S7_PlSB_EESF_SV_SG_SH_SI_EUlSV_E1_NS1_11comp_targetILNS1_3genE4ELNS1_11target_archE910ELNS1_3gpuE8ELNS1_3repE0EEENS1_36merge_oddeven_config_static_selectorELNS0_4arch9wavefront6targetE1EEEvSH_.uses_vcc, 0
	.set _ZN7rocprim17ROCPRIM_400000_NS6detail17trampoline_kernelINS0_14default_configENS1_38merge_sort_block_merge_config_selectorIslEEZZNS1_27merge_sort_block_merge_implIS3_PsN6thrust23THRUST_200600_302600_NS10device_ptrIlEEjNS1_19radix_merge_compareILb0ELb0EsNS0_19identity_decomposerEEEEE10hipError_tT0_T1_T2_jT3_P12ihipStream_tbPNSt15iterator_traitsISG_E10value_typeEPNSM_ISH_E10value_typeEPSI_NS1_7vsmem_tEENKUlT_SG_SH_SI_E_clIS7_S7_PlSB_EESF_SV_SG_SH_SI_EUlSV_E1_NS1_11comp_targetILNS1_3genE4ELNS1_11target_archE910ELNS1_3gpuE8ELNS1_3repE0EEENS1_36merge_oddeven_config_static_selectorELNS0_4arch9wavefront6targetE1EEEvSH_.uses_flat_scratch, 0
	.set _ZN7rocprim17ROCPRIM_400000_NS6detail17trampoline_kernelINS0_14default_configENS1_38merge_sort_block_merge_config_selectorIslEEZZNS1_27merge_sort_block_merge_implIS3_PsN6thrust23THRUST_200600_302600_NS10device_ptrIlEEjNS1_19radix_merge_compareILb0ELb0EsNS0_19identity_decomposerEEEEE10hipError_tT0_T1_T2_jT3_P12ihipStream_tbPNSt15iterator_traitsISG_E10value_typeEPNSM_ISH_E10value_typeEPSI_NS1_7vsmem_tEENKUlT_SG_SH_SI_E_clIS7_S7_PlSB_EESF_SV_SG_SH_SI_EUlSV_E1_NS1_11comp_targetILNS1_3genE4ELNS1_11target_archE910ELNS1_3gpuE8ELNS1_3repE0EEENS1_36merge_oddeven_config_static_selectorELNS0_4arch9wavefront6targetE1EEEvSH_.has_dyn_sized_stack, 0
	.set _ZN7rocprim17ROCPRIM_400000_NS6detail17trampoline_kernelINS0_14default_configENS1_38merge_sort_block_merge_config_selectorIslEEZZNS1_27merge_sort_block_merge_implIS3_PsN6thrust23THRUST_200600_302600_NS10device_ptrIlEEjNS1_19radix_merge_compareILb0ELb0EsNS0_19identity_decomposerEEEEE10hipError_tT0_T1_T2_jT3_P12ihipStream_tbPNSt15iterator_traitsISG_E10value_typeEPNSM_ISH_E10value_typeEPSI_NS1_7vsmem_tEENKUlT_SG_SH_SI_E_clIS7_S7_PlSB_EESF_SV_SG_SH_SI_EUlSV_E1_NS1_11comp_targetILNS1_3genE4ELNS1_11target_archE910ELNS1_3gpuE8ELNS1_3repE0EEENS1_36merge_oddeven_config_static_selectorELNS0_4arch9wavefront6targetE1EEEvSH_.has_recursion, 0
	.set _ZN7rocprim17ROCPRIM_400000_NS6detail17trampoline_kernelINS0_14default_configENS1_38merge_sort_block_merge_config_selectorIslEEZZNS1_27merge_sort_block_merge_implIS3_PsN6thrust23THRUST_200600_302600_NS10device_ptrIlEEjNS1_19radix_merge_compareILb0ELb0EsNS0_19identity_decomposerEEEEE10hipError_tT0_T1_T2_jT3_P12ihipStream_tbPNSt15iterator_traitsISG_E10value_typeEPNSM_ISH_E10value_typeEPSI_NS1_7vsmem_tEENKUlT_SG_SH_SI_E_clIS7_S7_PlSB_EESF_SV_SG_SH_SI_EUlSV_E1_NS1_11comp_targetILNS1_3genE4ELNS1_11target_archE910ELNS1_3gpuE8ELNS1_3repE0EEENS1_36merge_oddeven_config_static_selectorELNS0_4arch9wavefront6targetE1EEEvSH_.has_indirect_call, 0
	.section	.AMDGPU.csdata,"",@progbits
; Kernel info:
; codeLenInByte = 0
; TotalNumSgprs: 4
; NumVgprs: 0
; ScratchSize: 0
; MemoryBound: 0
; FloatMode: 240
; IeeeMode: 1
; LDSByteSize: 0 bytes/workgroup (compile time only)
; SGPRBlocks: 0
; VGPRBlocks: 0
; NumSGPRsForWavesPerEU: 4
; NumVGPRsForWavesPerEU: 1
; Occupancy: 10
; WaveLimiterHint : 0
; COMPUTE_PGM_RSRC2:SCRATCH_EN: 0
; COMPUTE_PGM_RSRC2:USER_SGPR: 6
; COMPUTE_PGM_RSRC2:TRAP_HANDLER: 0
; COMPUTE_PGM_RSRC2:TGID_X_EN: 1
; COMPUTE_PGM_RSRC2:TGID_Y_EN: 0
; COMPUTE_PGM_RSRC2:TGID_Z_EN: 0
; COMPUTE_PGM_RSRC2:TIDIG_COMP_CNT: 0
	.section	.text._ZN7rocprim17ROCPRIM_400000_NS6detail17trampoline_kernelINS0_14default_configENS1_38merge_sort_block_merge_config_selectorIslEEZZNS1_27merge_sort_block_merge_implIS3_PsN6thrust23THRUST_200600_302600_NS10device_ptrIlEEjNS1_19radix_merge_compareILb0ELb0EsNS0_19identity_decomposerEEEEE10hipError_tT0_T1_T2_jT3_P12ihipStream_tbPNSt15iterator_traitsISG_E10value_typeEPNSM_ISH_E10value_typeEPSI_NS1_7vsmem_tEENKUlT_SG_SH_SI_E_clIS7_S7_PlSB_EESF_SV_SG_SH_SI_EUlSV_E1_NS1_11comp_targetILNS1_3genE3ELNS1_11target_archE908ELNS1_3gpuE7ELNS1_3repE0EEENS1_36merge_oddeven_config_static_selectorELNS0_4arch9wavefront6targetE1EEEvSH_,"axG",@progbits,_ZN7rocprim17ROCPRIM_400000_NS6detail17trampoline_kernelINS0_14default_configENS1_38merge_sort_block_merge_config_selectorIslEEZZNS1_27merge_sort_block_merge_implIS3_PsN6thrust23THRUST_200600_302600_NS10device_ptrIlEEjNS1_19radix_merge_compareILb0ELb0EsNS0_19identity_decomposerEEEEE10hipError_tT0_T1_T2_jT3_P12ihipStream_tbPNSt15iterator_traitsISG_E10value_typeEPNSM_ISH_E10value_typeEPSI_NS1_7vsmem_tEENKUlT_SG_SH_SI_E_clIS7_S7_PlSB_EESF_SV_SG_SH_SI_EUlSV_E1_NS1_11comp_targetILNS1_3genE3ELNS1_11target_archE908ELNS1_3gpuE7ELNS1_3repE0EEENS1_36merge_oddeven_config_static_selectorELNS0_4arch9wavefront6targetE1EEEvSH_,comdat
	.protected	_ZN7rocprim17ROCPRIM_400000_NS6detail17trampoline_kernelINS0_14default_configENS1_38merge_sort_block_merge_config_selectorIslEEZZNS1_27merge_sort_block_merge_implIS3_PsN6thrust23THRUST_200600_302600_NS10device_ptrIlEEjNS1_19radix_merge_compareILb0ELb0EsNS0_19identity_decomposerEEEEE10hipError_tT0_T1_T2_jT3_P12ihipStream_tbPNSt15iterator_traitsISG_E10value_typeEPNSM_ISH_E10value_typeEPSI_NS1_7vsmem_tEENKUlT_SG_SH_SI_E_clIS7_S7_PlSB_EESF_SV_SG_SH_SI_EUlSV_E1_NS1_11comp_targetILNS1_3genE3ELNS1_11target_archE908ELNS1_3gpuE7ELNS1_3repE0EEENS1_36merge_oddeven_config_static_selectorELNS0_4arch9wavefront6targetE1EEEvSH_ ; -- Begin function _ZN7rocprim17ROCPRIM_400000_NS6detail17trampoline_kernelINS0_14default_configENS1_38merge_sort_block_merge_config_selectorIslEEZZNS1_27merge_sort_block_merge_implIS3_PsN6thrust23THRUST_200600_302600_NS10device_ptrIlEEjNS1_19radix_merge_compareILb0ELb0EsNS0_19identity_decomposerEEEEE10hipError_tT0_T1_T2_jT3_P12ihipStream_tbPNSt15iterator_traitsISG_E10value_typeEPNSM_ISH_E10value_typeEPSI_NS1_7vsmem_tEENKUlT_SG_SH_SI_E_clIS7_S7_PlSB_EESF_SV_SG_SH_SI_EUlSV_E1_NS1_11comp_targetILNS1_3genE3ELNS1_11target_archE908ELNS1_3gpuE7ELNS1_3repE0EEENS1_36merge_oddeven_config_static_selectorELNS0_4arch9wavefront6targetE1EEEvSH_
	.globl	_ZN7rocprim17ROCPRIM_400000_NS6detail17trampoline_kernelINS0_14default_configENS1_38merge_sort_block_merge_config_selectorIslEEZZNS1_27merge_sort_block_merge_implIS3_PsN6thrust23THRUST_200600_302600_NS10device_ptrIlEEjNS1_19radix_merge_compareILb0ELb0EsNS0_19identity_decomposerEEEEE10hipError_tT0_T1_T2_jT3_P12ihipStream_tbPNSt15iterator_traitsISG_E10value_typeEPNSM_ISH_E10value_typeEPSI_NS1_7vsmem_tEENKUlT_SG_SH_SI_E_clIS7_S7_PlSB_EESF_SV_SG_SH_SI_EUlSV_E1_NS1_11comp_targetILNS1_3genE3ELNS1_11target_archE908ELNS1_3gpuE7ELNS1_3repE0EEENS1_36merge_oddeven_config_static_selectorELNS0_4arch9wavefront6targetE1EEEvSH_
	.p2align	8
	.type	_ZN7rocprim17ROCPRIM_400000_NS6detail17trampoline_kernelINS0_14default_configENS1_38merge_sort_block_merge_config_selectorIslEEZZNS1_27merge_sort_block_merge_implIS3_PsN6thrust23THRUST_200600_302600_NS10device_ptrIlEEjNS1_19radix_merge_compareILb0ELb0EsNS0_19identity_decomposerEEEEE10hipError_tT0_T1_T2_jT3_P12ihipStream_tbPNSt15iterator_traitsISG_E10value_typeEPNSM_ISH_E10value_typeEPSI_NS1_7vsmem_tEENKUlT_SG_SH_SI_E_clIS7_S7_PlSB_EESF_SV_SG_SH_SI_EUlSV_E1_NS1_11comp_targetILNS1_3genE3ELNS1_11target_archE908ELNS1_3gpuE7ELNS1_3repE0EEENS1_36merge_oddeven_config_static_selectorELNS0_4arch9wavefront6targetE1EEEvSH_,@function
_ZN7rocprim17ROCPRIM_400000_NS6detail17trampoline_kernelINS0_14default_configENS1_38merge_sort_block_merge_config_selectorIslEEZZNS1_27merge_sort_block_merge_implIS3_PsN6thrust23THRUST_200600_302600_NS10device_ptrIlEEjNS1_19radix_merge_compareILb0ELb0EsNS0_19identity_decomposerEEEEE10hipError_tT0_T1_T2_jT3_P12ihipStream_tbPNSt15iterator_traitsISG_E10value_typeEPNSM_ISH_E10value_typeEPSI_NS1_7vsmem_tEENKUlT_SG_SH_SI_E_clIS7_S7_PlSB_EESF_SV_SG_SH_SI_EUlSV_E1_NS1_11comp_targetILNS1_3genE3ELNS1_11target_archE908ELNS1_3gpuE7ELNS1_3repE0EEENS1_36merge_oddeven_config_static_selectorELNS0_4arch9wavefront6targetE1EEEvSH_: ; @_ZN7rocprim17ROCPRIM_400000_NS6detail17trampoline_kernelINS0_14default_configENS1_38merge_sort_block_merge_config_selectorIslEEZZNS1_27merge_sort_block_merge_implIS3_PsN6thrust23THRUST_200600_302600_NS10device_ptrIlEEjNS1_19radix_merge_compareILb0ELb0EsNS0_19identity_decomposerEEEEE10hipError_tT0_T1_T2_jT3_P12ihipStream_tbPNSt15iterator_traitsISG_E10value_typeEPNSM_ISH_E10value_typeEPSI_NS1_7vsmem_tEENKUlT_SG_SH_SI_E_clIS7_S7_PlSB_EESF_SV_SG_SH_SI_EUlSV_E1_NS1_11comp_targetILNS1_3genE3ELNS1_11target_archE908ELNS1_3gpuE7ELNS1_3repE0EEENS1_36merge_oddeven_config_static_selectorELNS0_4arch9wavefront6targetE1EEEvSH_
; %bb.0:
	.section	.rodata,"a",@progbits
	.p2align	6, 0x0
	.amdhsa_kernel _ZN7rocprim17ROCPRIM_400000_NS6detail17trampoline_kernelINS0_14default_configENS1_38merge_sort_block_merge_config_selectorIslEEZZNS1_27merge_sort_block_merge_implIS3_PsN6thrust23THRUST_200600_302600_NS10device_ptrIlEEjNS1_19radix_merge_compareILb0ELb0EsNS0_19identity_decomposerEEEEE10hipError_tT0_T1_T2_jT3_P12ihipStream_tbPNSt15iterator_traitsISG_E10value_typeEPNSM_ISH_E10value_typeEPSI_NS1_7vsmem_tEENKUlT_SG_SH_SI_E_clIS7_S7_PlSB_EESF_SV_SG_SH_SI_EUlSV_E1_NS1_11comp_targetILNS1_3genE3ELNS1_11target_archE908ELNS1_3gpuE7ELNS1_3repE0EEENS1_36merge_oddeven_config_static_selectorELNS0_4arch9wavefront6targetE1EEEvSH_
		.amdhsa_group_segment_fixed_size 0
		.amdhsa_private_segment_fixed_size 0
		.amdhsa_kernarg_size 48
		.amdhsa_user_sgpr_count 6
		.amdhsa_user_sgpr_private_segment_buffer 1
		.amdhsa_user_sgpr_dispatch_ptr 0
		.amdhsa_user_sgpr_queue_ptr 0
		.amdhsa_user_sgpr_kernarg_segment_ptr 1
		.amdhsa_user_sgpr_dispatch_id 0
		.amdhsa_user_sgpr_flat_scratch_init 0
		.amdhsa_user_sgpr_private_segment_size 0
		.amdhsa_uses_dynamic_stack 0
		.amdhsa_system_sgpr_private_segment_wavefront_offset 0
		.amdhsa_system_sgpr_workgroup_id_x 1
		.amdhsa_system_sgpr_workgroup_id_y 0
		.amdhsa_system_sgpr_workgroup_id_z 0
		.amdhsa_system_sgpr_workgroup_info 0
		.amdhsa_system_vgpr_workitem_id 0
		.amdhsa_next_free_vgpr 1
		.amdhsa_next_free_sgpr 0
		.amdhsa_reserve_vcc 0
		.amdhsa_reserve_flat_scratch 0
		.amdhsa_float_round_mode_32 0
		.amdhsa_float_round_mode_16_64 0
		.amdhsa_float_denorm_mode_32 3
		.amdhsa_float_denorm_mode_16_64 3
		.amdhsa_dx10_clamp 1
		.amdhsa_ieee_mode 1
		.amdhsa_fp16_overflow 0
		.amdhsa_exception_fp_ieee_invalid_op 0
		.amdhsa_exception_fp_denorm_src 0
		.amdhsa_exception_fp_ieee_div_zero 0
		.amdhsa_exception_fp_ieee_overflow 0
		.amdhsa_exception_fp_ieee_underflow 0
		.amdhsa_exception_fp_ieee_inexact 0
		.amdhsa_exception_int_div_zero 0
	.end_amdhsa_kernel
	.section	.text._ZN7rocprim17ROCPRIM_400000_NS6detail17trampoline_kernelINS0_14default_configENS1_38merge_sort_block_merge_config_selectorIslEEZZNS1_27merge_sort_block_merge_implIS3_PsN6thrust23THRUST_200600_302600_NS10device_ptrIlEEjNS1_19radix_merge_compareILb0ELb0EsNS0_19identity_decomposerEEEEE10hipError_tT0_T1_T2_jT3_P12ihipStream_tbPNSt15iterator_traitsISG_E10value_typeEPNSM_ISH_E10value_typeEPSI_NS1_7vsmem_tEENKUlT_SG_SH_SI_E_clIS7_S7_PlSB_EESF_SV_SG_SH_SI_EUlSV_E1_NS1_11comp_targetILNS1_3genE3ELNS1_11target_archE908ELNS1_3gpuE7ELNS1_3repE0EEENS1_36merge_oddeven_config_static_selectorELNS0_4arch9wavefront6targetE1EEEvSH_,"axG",@progbits,_ZN7rocprim17ROCPRIM_400000_NS6detail17trampoline_kernelINS0_14default_configENS1_38merge_sort_block_merge_config_selectorIslEEZZNS1_27merge_sort_block_merge_implIS3_PsN6thrust23THRUST_200600_302600_NS10device_ptrIlEEjNS1_19radix_merge_compareILb0ELb0EsNS0_19identity_decomposerEEEEE10hipError_tT0_T1_T2_jT3_P12ihipStream_tbPNSt15iterator_traitsISG_E10value_typeEPNSM_ISH_E10value_typeEPSI_NS1_7vsmem_tEENKUlT_SG_SH_SI_E_clIS7_S7_PlSB_EESF_SV_SG_SH_SI_EUlSV_E1_NS1_11comp_targetILNS1_3genE3ELNS1_11target_archE908ELNS1_3gpuE7ELNS1_3repE0EEENS1_36merge_oddeven_config_static_selectorELNS0_4arch9wavefront6targetE1EEEvSH_,comdat
.Lfunc_end1296:
	.size	_ZN7rocprim17ROCPRIM_400000_NS6detail17trampoline_kernelINS0_14default_configENS1_38merge_sort_block_merge_config_selectorIslEEZZNS1_27merge_sort_block_merge_implIS3_PsN6thrust23THRUST_200600_302600_NS10device_ptrIlEEjNS1_19radix_merge_compareILb0ELb0EsNS0_19identity_decomposerEEEEE10hipError_tT0_T1_T2_jT3_P12ihipStream_tbPNSt15iterator_traitsISG_E10value_typeEPNSM_ISH_E10value_typeEPSI_NS1_7vsmem_tEENKUlT_SG_SH_SI_E_clIS7_S7_PlSB_EESF_SV_SG_SH_SI_EUlSV_E1_NS1_11comp_targetILNS1_3genE3ELNS1_11target_archE908ELNS1_3gpuE7ELNS1_3repE0EEENS1_36merge_oddeven_config_static_selectorELNS0_4arch9wavefront6targetE1EEEvSH_, .Lfunc_end1296-_ZN7rocprim17ROCPRIM_400000_NS6detail17trampoline_kernelINS0_14default_configENS1_38merge_sort_block_merge_config_selectorIslEEZZNS1_27merge_sort_block_merge_implIS3_PsN6thrust23THRUST_200600_302600_NS10device_ptrIlEEjNS1_19radix_merge_compareILb0ELb0EsNS0_19identity_decomposerEEEEE10hipError_tT0_T1_T2_jT3_P12ihipStream_tbPNSt15iterator_traitsISG_E10value_typeEPNSM_ISH_E10value_typeEPSI_NS1_7vsmem_tEENKUlT_SG_SH_SI_E_clIS7_S7_PlSB_EESF_SV_SG_SH_SI_EUlSV_E1_NS1_11comp_targetILNS1_3genE3ELNS1_11target_archE908ELNS1_3gpuE7ELNS1_3repE0EEENS1_36merge_oddeven_config_static_selectorELNS0_4arch9wavefront6targetE1EEEvSH_
                                        ; -- End function
	.set _ZN7rocprim17ROCPRIM_400000_NS6detail17trampoline_kernelINS0_14default_configENS1_38merge_sort_block_merge_config_selectorIslEEZZNS1_27merge_sort_block_merge_implIS3_PsN6thrust23THRUST_200600_302600_NS10device_ptrIlEEjNS1_19radix_merge_compareILb0ELb0EsNS0_19identity_decomposerEEEEE10hipError_tT0_T1_T2_jT3_P12ihipStream_tbPNSt15iterator_traitsISG_E10value_typeEPNSM_ISH_E10value_typeEPSI_NS1_7vsmem_tEENKUlT_SG_SH_SI_E_clIS7_S7_PlSB_EESF_SV_SG_SH_SI_EUlSV_E1_NS1_11comp_targetILNS1_3genE3ELNS1_11target_archE908ELNS1_3gpuE7ELNS1_3repE0EEENS1_36merge_oddeven_config_static_selectorELNS0_4arch9wavefront6targetE1EEEvSH_.num_vgpr, 0
	.set _ZN7rocprim17ROCPRIM_400000_NS6detail17trampoline_kernelINS0_14default_configENS1_38merge_sort_block_merge_config_selectorIslEEZZNS1_27merge_sort_block_merge_implIS3_PsN6thrust23THRUST_200600_302600_NS10device_ptrIlEEjNS1_19radix_merge_compareILb0ELb0EsNS0_19identity_decomposerEEEEE10hipError_tT0_T1_T2_jT3_P12ihipStream_tbPNSt15iterator_traitsISG_E10value_typeEPNSM_ISH_E10value_typeEPSI_NS1_7vsmem_tEENKUlT_SG_SH_SI_E_clIS7_S7_PlSB_EESF_SV_SG_SH_SI_EUlSV_E1_NS1_11comp_targetILNS1_3genE3ELNS1_11target_archE908ELNS1_3gpuE7ELNS1_3repE0EEENS1_36merge_oddeven_config_static_selectorELNS0_4arch9wavefront6targetE1EEEvSH_.num_agpr, 0
	.set _ZN7rocprim17ROCPRIM_400000_NS6detail17trampoline_kernelINS0_14default_configENS1_38merge_sort_block_merge_config_selectorIslEEZZNS1_27merge_sort_block_merge_implIS3_PsN6thrust23THRUST_200600_302600_NS10device_ptrIlEEjNS1_19radix_merge_compareILb0ELb0EsNS0_19identity_decomposerEEEEE10hipError_tT0_T1_T2_jT3_P12ihipStream_tbPNSt15iterator_traitsISG_E10value_typeEPNSM_ISH_E10value_typeEPSI_NS1_7vsmem_tEENKUlT_SG_SH_SI_E_clIS7_S7_PlSB_EESF_SV_SG_SH_SI_EUlSV_E1_NS1_11comp_targetILNS1_3genE3ELNS1_11target_archE908ELNS1_3gpuE7ELNS1_3repE0EEENS1_36merge_oddeven_config_static_selectorELNS0_4arch9wavefront6targetE1EEEvSH_.numbered_sgpr, 0
	.set _ZN7rocprim17ROCPRIM_400000_NS6detail17trampoline_kernelINS0_14default_configENS1_38merge_sort_block_merge_config_selectorIslEEZZNS1_27merge_sort_block_merge_implIS3_PsN6thrust23THRUST_200600_302600_NS10device_ptrIlEEjNS1_19radix_merge_compareILb0ELb0EsNS0_19identity_decomposerEEEEE10hipError_tT0_T1_T2_jT3_P12ihipStream_tbPNSt15iterator_traitsISG_E10value_typeEPNSM_ISH_E10value_typeEPSI_NS1_7vsmem_tEENKUlT_SG_SH_SI_E_clIS7_S7_PlSB_EESF_SV_SG_SH_SI_EUlSV_E1_NS1_11comp_targetILNS1_3genE3ELNS1_11target_archE908ELNS1_3gpuE7ELNS1_3repE0EEENS1_36merge_oddeven_config_static_selectorELNS0_4arch9wavefront6targetE1EEEvSH_.num_named_barrier, 0
	.set _ZN7rocprim17ROCPRIM_400000_NS6detail17trampoline_kernelINS0_14default_configENS1_38merge_sort_block_merge_config_selectorIslEEZZNS1_27merge_sort_block_merge_implIS3_PsN6thrust23THRUST_200600_302600_NS10device_ptrIlEEjNS1_19radix_merge_compareILb0ELb0EsNS0_19identity_decomposerEEEEE10hipError_tT0_T1_T2_jT3_P12ihipStream_tbPNSt15iterator_traitsISG_E10value_typeEPNSM_ISH_E10value_typeEPSI_NS1_7vsmem_tEENKUlT_SG_SH_SI_E_clIS7_S7_PlSB_EESF_SV_SG_SH_SI_EUlSV_E1_NS1_11comp_targetILNS1_3genE3ELNS1_11target_archE908ELNS1_3gpuE7ELNS1_3repE0EEENS1_36merge_oddeven_config_static_selectorELNS0_4arch9wavefront6targetE1EEEvSH_.private_seg_size, 0
	.set _ZN7rocprim17ROCPRIM_400000_NS6detail17trampoline_kernelINS0_14default_configENS1_38merge_sort_block_merge_config_selectorIslEEZZNS1_27merge_sort_block_merge_implIS3_PsN6thrust23THRUST_200600_302600_NS10device_ptrIlEEjNS1_19radix_merge_compareILb0ELb0EsNS0_19identity_decomposerEEEEE10hipError_tT0_T1_T2_jT3_P12ihipStream_tbPNSt15iterator_traitsISG_E10value_typeEPNSM_ISH_E10value_typeEPSI_NS1_7vsmem_tEENKUlT_SG_SH_SI_E_clIS7_S7_PlSB_EESF_SV_SG_SH_SI_EUlSV_E1_NS1_11comp_targetILNS1_3genE3ELNS1_11target_archE908ELNS1_3gpuE7ELNS1_3repE0EEENS1_36merge_oddeven_config_static_selectorELNS0_4arch9wavefront6targetE1EEEvSH_.uses_vcc, 0
	.set _ZN7rocprim17ROCPRIM_400000_NS6detail17trampoline_kernelINS0_14default_configENS1_38merge_sort_block_merge_config_selectorIslEEZZNS1_27merge_sort_block_merge_implIS3_PsN6thrust23THRUST_200600_302600_NS10device_ptrIlEEjNS1_19radix_merge_compareILb0ELb0EsNS0_19identity_decomposerEEEEE10hipError_tT0_T1_T2_jT3_P12ihipStream_tbPNSt15iterator_traitsISG_E10value_typeEPNSM_ISH_E10value_typeEPSI_NS1_7vsmem_tEENKUlT_SG_SH_SI_E_clIS7_S7_PlSB_EESF_SV_SG_SH_SI_EUlSV_E1_NS1_11comp_targetILNS1_3genE3ELNS1_11target_archE908ELNS1_3gpuE7ELNS1_3repE0EEENS1_36merge_oddeven_config_static_selectorELNS0_4arch9wavefront6targetE1EEEvSH_.uses_flat_scratch, 0
	.set _ZN7rocprim17ROCPRIM_400000_NS6detail17trampoline_kernelINS0_14default_configENS1_38merge_sort_block_merge_config_selectorIslEEZZNS1_27merge_sort_block_merge_implIS3_PsN6thrust23THRUST_200600_302600_NS10device_ptrIlEEjNS1_19radix_merge_compareILb0ELb0EsNS0_19identity_decomposerEEEEE10hipError_tT0_T1_T2_jT3_P12ihipStream_tbPNSt15iterator_traitsISG_E10value_typeEPNSM_ISH_E10value_typeEPSI_NS1_7vsmem_tEENKUlT_SG_SH_SI_E_clIS7_S7_PlSB_EESF_SV_SG_SH_SI_EUlSV_E1_NS1_11comp_targetILNS1_3genE3ELNS1_11target_archE908ELNS1_3gpuE7ELNS1_3repE0EEENS1_36merge_oddeven_config_static_selectorELNS0_4arch9wavefront6targetE1EEEvSH_.has_dyn_sized_stack, 0
	.set _ZN7rocprim17ROCPRIM_400000_NS6detail17trampoline_kernelINS0_14default_configENS1_38merge_sort_block_merge_config_selectorIslEEZZNS1_27merge_sort_block_merge_implIS3_PsN6thrust23THRUST_200600_302600_NS10device_ptrIlEEjNS1_19radix_merge_compareILb0ELb0EsNS0_19identity_decomposerEEEEE10hipError_tT0_T1_T2_jT3_P12ihipStream_tbPNSt15iterator_traitsISG_E10value_typeEPNSM_ISH_E10value_typeEPSI_NS1_7vsmem_tEENKUlT_SG_SH_SI_E_clIS7_S7_PlSB_EESF_SV_SG_SH_SI_EUlSV_E1_NS1_11comp_targetILNS1_3genE3ELNS1_11target_archE908ELNS1_3gpuE7ELNS1_3repE0EEENS1_36merge_oddeven_config_static_selectorELNS0_4arch9wavefront6targetE1EEEvSH_.has_recursion, 0
	.set _ZN7rocprim17ROCPRIM_400000_NS6detail17trampoline_kernelINS0_14default_configENS1_38merge_sort_block_merge_config_selectorIslEEZZNS1_27merge_sort_block_merge_implIS3_PsN6thrust23THRUST_200600_302600_NS10device_ptrIlEEjNS1_19radix_merge_compareILb0ELb0EsNS0_19identity_decomposerEEEEE10hipError_tT0_T1_T2_jT3_P12ihipStream_tbPNSt15iterator_traitsISG_E10value_typeEPNSM_ISH_E10value_typeEPSI_NS1_7vsmem_tEENKUlT_SG_SH_SI_E_clIS7_S7_PlSB_EESF_SV_SG_SH_SI_EUlSV_E1_NS1_11comp_targetILNS1_3genE3ELNS1_11target_archE908ELNS1_3gpuE7ELNS1_3repE0EEENS1_36merge_oddeven_config_static_selectorELNS0_4arch9wavefront6targetE1EEEvSH_.has_indirect_call, 0
	.section	.AMDGPU.csdata,"",@progbits
; Kernel info:
; codeLenInByte = 0
; TotalNumSgprs: 4
; NumVgprs: 0
; ScratchSize: 0
; MemoryBound: 0
; FloatMode: 240
; IeeeMode: 1
; LDSByteSize: 0 bytes/workgroup (compile time only)
; SGPRBlocks: 0
; VGPRBlocks: 0
; NumSGPRsForWavesPerEU: 4
; NumVGPRsForWavesPerEU: 1
; Occupancy: 10
; WaveLimiterHint : 0
; COMPUTE_PGM_RSRC2:SCRATCH_EN: 0
; COMPUTE_PGM_RSRC2:USER_SGPR: 6
; COMPUTE_PGM_RSRC2:TRAP_HANDLER: 0
; COMPUTE_PGM_RSRC2:TGID_X_EN: 1
; COMPUTE_PGM_RSRC2:TGID_Y_EN: 0
; COMPUTE_PGM_RSRC2:TGID_Z_EN: 0
; COMPUTE_PGM_RSRC2:TIDIG_COMP_CNT: 0
	.section	.text._ZN7rocprim17ROCPRIM_400000_NS6detail17trampoline_kernelINS0_14default_configENS1_38merge_sort_block_merge_config_selectorIslEEZZNS1_27merge_sort_block_merge_implIS3_PsN6thrust23THRUST_200600_302600_NS10device_ptrIlEEjNS1_19radix_merge_compareILb0ELb0EsNS0_19identity_decomposerEEEEE10hipError_tT0_T1_T2_jT3_P12ihipStream_tbPNSt15iterator_traitsISG_E10value_typeEPNSM_ISH_E10value_typeEPSI_NS1_7vsmem_tEENKUlT_SG_SH_SI_E_clIS7_S7_PlSB_EESF_SV_SG_SH_SI_EUlSV_E1_NS1_11comp_targetILNS1_3genE2ELNS1_11target_archE906ELNS1_3gpuE6ELNS1_3repE0EEENS1_36merge_oddeven_config_static_selectorELNS0_4arch9wavefront6targetE1EEEvSH_,"axG",@progbits,_ZN7rocprim17ROCPRIM_400000_NS6detail17trampoline_kernelINS0_14default_configENS1_38merge_sort_block_merge_config_selectorIslEEZZNS1_27merge_sort_block_merge_implIS3_PsN6thrust23THRUST_200600_302600_NS10device_ptrIlEEjNS1_19radix_merge_compareILb0ELb0EsNS0_19identity_decomposerEEEEE10hipError_tT0_T1_T2_jT3_P12ihipStream_tbPNSt15iterator_traitsISG_E10value_typeEPNSM_ISH_E10value_typeEPSI_NS1_7vsmem_tEENKUlT_SG_SH_SI_E_clIS7_S7_PlSB_EESF_SV_SG_SH_SI_EUlSV_E1_NS1_11comp_targetILNS1_3genE2ELNS1_11target_archE906ELNS1_3gpuE6ELNS1_3repE0EEENS1_36merge_oddeven_config_static_selectorELNS0_4arch9wavefront6targetE1EEEvSH_,comdat
	.protected	_ZN7rocprim17ROCPRIM_400000_NS6detail17trampoline_kernelINS0_14default_configENS1_38merge_sort_block_merge_config_selectorIslEEZZNS1_27merge_sort_block_merge_implIS3_PsN6thrust23THRUST_200600_302600_NS10device_ptrIlEEjNS1_19radix_merge_compareILb0ELb0EsNS0_19identity_decomposerEEEEE10hipError_tT0_T1_T2_jT3_P12ihipStream_tbPNSt15iterator_traitsISG_E10value_typeEPNSM_ISH_E10value_typeEPSI_NS1_7vsmem_tEENKUlT_SG_SH_SI_E_clIS7_S7_PlSB_EESF_SV_SG_SH_SI_EUlSV_E1_NS1_11comp_targetILNS1_3genE2ELNS1_11target_archE906ELNS1_3gpuE6ELNS1_3repE0EEENS1_36merge_oddeven_config_static_selectorELNS0_4arch9wavefront6targetE1EEEvSH_ ; -- Begin function _ZN7rocprim17ROCPRIM_400000_NS6detail17trampoline_kernelINS0_14default_configENS1_38merge_sort_block_merge_config_selectorIslEEZZNS1_27merge_sort_block_merge_implIS3_PsN6thrust23THRUST_200600_302600_NS10device_ptrIlEEjNS1_19radix_merge_compareILb0ELb0EsNS0_19identity_decomposerEEEEE10hipError_tT0_T1_T2_jT3_P12ihipStream_tbPNSt15iterator_traitsISG_E10value_typeEPNSM_ISH_E10value_typeEPSI_NS1_7vsmem_tEENKUlT_SG_SH_SI_E_clIS7_S7_PlSB_EESF_SV_SG_SH_SI_EUlSV_E1_NS1_11comp_targetILNS1_3genE2ELNS1_11target_archE906ELNS1_3gpuE6ELNS1_3repE0EEENS1_36merge_oddeven_config_static_selectorELNS0_4arch9wavefront6targetE1EEEvSH_
	.globl	_ZN7rocprim17ROCPRIM_400000_NS6detail17trampoline_kernelINS0_14default_configENS1_38merge_sort_block_merge_config_selectorIslEEZZNS1_27merge_sort_block_merge_implIS3_PsN6thrust23THRUST_200600_302600_NS10device_ptrIlEEjNS1_19radix_merge_compareILb0ELb0EsNS0_19identity_decomposerEEEEE10hipError_tT0_T1_T2_jT3_P12ihipStream_tbPNSt15iterator_traitsISG_E10value_typeEPNSM_ISH_E10value_typeEPSI_NS1_7vsmem_tEENKUlT_SG_SH_SI_E_clIS7_S7_PlSB_EESF_SV_SG_SH_SI_EUlSV_E1_NS1_11comp_targetILNS1_3genE2ELNS1_11target_archE906ELNS1_3gpuE6ELNS1_3repE0EEENS1_36merge_oddeven_config_static_selectorELNS0_4arch9wavefront6targetE1EEEvSH_
	.p2align	8
	.type	_ZN7rocprim17ROCPRIM_400000_NS6detail17trampoline_kernelINS0_14default_configENS1_38merge_sort_block_merge_config_selectorIslEEZZNS1_27merge_sort_block_merge_implIS3_PsN6thrust23THRUST_200600_302600_NS10device_ptrIlEEjNS1_19radix_merge_compareILb0ELb0EsNS0_19identity_decomposerEEEEE10hipError_tT0_T1_T2_jT3_P12ihipStream_tbPNSt15iterator_traitsISG_E10value_typeEPNSM_ISH_E10value_typeEPSI_NS1_7vsmem_tEENKUlT_SG_SH_SI_E_clIS7_S7_PlSB_EESF_SV_SG_SH_SI_EUlSV_E1_NS1_11comp_targetILNS1_3genE2ELNS1_11target_archE906ELNS1_3gpuE6ELNS1_3repE0EEENS1_36merge_oddeven_config_static_selectorELNS0_4arch9wavefront6targetE1EEEvSH_,@function
_ZN7rocprim17ROCPRIM_400000_NS6detail17trampoline_kernelINS0_14default_configENS1_38merge_sort_block_merge_config_selectorIslEEZZNS1_27merge_sort_block_merge_implIS3_PsN6thrust23THRUST_200600_302600_NS10device_ptrIlEEjNS1_19radix_merge_compareILb0ELb0EsNS0_19identity_decomposerEEEEE10hipError_tT0_T1_T2_jT3_P12ihipStream_tbPNSt15iterator_traitsISG_E10value_typeEPNSM_ISH_E10value_typeEPSI_NS1_7vsmem_tEENKUlT_SG_SH_SI_E_clIS7_S7_PlSB_EESF_SV_SG_SH_SI_EUlSV_E1_NS1_11comp_targetILNS1_3genE2ELNS1_11target_archE906ELNS1_3gpuE6ELNS1_3repE0EEENS1_36merge_oddeven_config_static_selectorELNS0_4arch9wavefront6targetE1EEEvSH_: ; @_ZN7rocprim17ROCPRIM_400000_NS6detail17trampoline_kernelINS0_14default_configENS1_38merge_sort_block_merge_config_selectorIslEEZZNS1_27merge_sort_block_merge_implIS3_PsN6thrust23THRUST_200600_302600_NS10device_ptrIlEEjNS1_19radix_merge_compareILb0ELb0EsNS0_19identity_decomposerEEEEE10hipError_tT0_T1_T2_jT3_P12ihipStream_tbPNSt15iterator_traitsISG_E10value_typeEPNSM_ISH_E10value_typeEPSI_NS1_7vsmem_tEENKUlT_SG_SH_SI_E_clIS7_S7_PlSB_EESF_SV_SG_SH_SI_EUlSV_E1_NS1_11comp_targetILNS1_3genE2ELNS1_11target_archE906ELNS1_3gpuE6ELNS1_3repE0EEENS1_36merge_oddeven_config_static_selectorELNS0_4arch9wavefront6targetE1EEEvSH_
; %bb.0:
	s_load_dword s7, s[4:5], 0x20
	s_waitcnt lgkmcnt(0)
	s_lshr_b32 s0, s7, 8
	s_cmp_eq_u32 s6, s0
	s_cselect_b64 s[16:17], -1, 0
	s_cmp_lg_u32 s6, s0
	s_cselect_b64 s[0:1], -1, 0
	s_lshl_b32 s18, s6, 8
	s_sub_i32 s2, s7, s18
	v_cmp_gt_u32_e64 s[2:3], s2, v0
	s_or_b64 s[0:1], s[0:1], s[2:3]
	s_and_saveexec_b64 s[8:9], s[0:1]
	s_cbranch_execz .LBB1297_24
; %bb.1:
	s_load_dwordx8 s[8:15], s[4:5], 0x0
	s_mov_b32 s19, 0
	s_lshl_b64 s[0:1], s[18:19], 1
	v_lshlrev_b32_e32 v4, 3, v0
	v_lshlrev_b32_e32 v3, 1, v0
	s_waitcnt lgkmcnt(0)
	s_add_u32 s0, s8, s0
	s_addc_u32 s1, s9, s1
	s_lshl_b64 s[20:21], s[18:19], 3
	s_add_u32 s12, s12, s20
	s_addc_u32 s13, s13, s21
	global_load_dwordx2 v[1:2], v4, s[12:13]
	global_load_ushort v5, v3, s[0:1]
	s_load_dword s13, s[4:5], 0x24
	v_add_u32_e32 v3, s18, v0
	s_waitcnt lgkmcnt(0)
	s_lshr_b32 s0, s13, 8
	s_sub_i32 s1, 0, s0
	s_and_b32 s1, s6, s1
	s_and_b32 s0, s1, s0
	s_lshl_b32 s19, s1, 8
	s_sub_i32 s6, 0, s13
	s_cmp_eq_u32 s0, 0
	s_cselect_b64 s[0:1], -1, 0
	s_and_b64 s[4:5], s[0:1], exec
	s_cselect_b32 s6, s13, s6
	s_add_i32 s6, s6, s19
	s_mov_b64 s[4:5], -1
	s_cmp_gt_u32 s7, s6
	s_cbranch_scc1 .LBB1297_9
; %bb.2:
	s_and_b64 vcc, exec, s[16:17]
	s_cbranch_vccz .LBB1297_6
; %bb.3:
	v_cmp_gt_u32_e32 vcc, s7, v3
	s_and_saveexec_b64 s[4:5], vcc
	s_cbranch_execz .LBB1297_5
; %bb.4:
	v_mov_b32_e32 v4, 0
	v_lshlrev_b64 v[6:7], 1, v[3:4]
	v_mov_b32_e32 v0, s11
	v_add_co_u32_e32 v6, vcc, s10, v6
	v_lshlrev_b64 v[8:9], 3, v[3:4]
	v_addc_co_u32_e32 v7, vcc, v0, v7, vcc
	v_mov_b32_e32 v0, s15
	v_add_co_u32_e32 v8, vcc, s14, v8
	v_addc_co_u32_e32 v9, vcc, v0, v9, vcc
	s_waitcnt vmcnt(0)
	global_store_short v[6:7], v5, off
	global_store_dwordx2 v[8:9], v[1:2], off
.LBB1297_5:
	s_or_b64 exec, exec, s[4:5]
	s_mov_b64 s[4:5], 0
.LBB1297_6:
	s_andn2_b64 vcc, exec, s[4:5]
	s_cbranch_vccnz .LBB1297_8
; %bb.7:
	v_mov_b32_e32 v4, 0
	v_lshlrev_b64 v[6:7], 1, v[3:4]
	v_mov_b32_e32 v0, s11
	v_add_co_u32_e32 v6, vcc, s10, v6
	v_lshlrev_b64 v[8:9], 3, v[3:4]
	v_addc_co_u32_e32 v7, vcc, v0, v7, vcc
	v_mov_b32_e32 v0, s15
	v_add_co_u32_e32 v8, vcc, s14, v8
	v_addc_co_u32_e32 v9, vcc, v0, v9, vcc
	s_waitcnt vmcnt(0)
	global_store_short v[6:7], v5, off
	global_store_dwordx2 v[8:9], v[1:2], off
.LBB1297_8:
	s_mov_b64 s[4:5], 0
.LBB1297_9:
	s_andn2_b64 vcc, exec, s[4:5]
	s_cbranch_vccnz .LBB1297_24
; %bb.10:
	s_min_u32 s12, s6, s7
	s_add_i32 s4, s12, s13
	s_min_u32 s7, s4, s7
	s_min_u32 s4, s19, s12
	s_add_i32 s19, s19, s12
	v_subrev_u32_e32 v0, s19, v3
	v_add_u32_e32 v0, s4, v0
	s_andn2_b64 vcc, exec, s[16:17]
	s_mov_b64 s[4:5], -1
	s_cbranch_vccnz .LBB1297_18
; %bb.11:
	s_and_saveexec_b64 s[4:5], s[2:3]
	s_cbranch_execz .LBB1297_17
; %bb.12:
	s_cmp_ge_u32 s6, s7
	v_mov_b32_e32 v3, s12
	s_cbranch_scc1 .LBB1297_16
; %bb.13:
	s_mov_b64 s[2:3], 0
	v_mov_b32_e32 v4, s7
	v_mov_b32_e32 v3, s12
.LBB1297_14:                            ; =>This Inner Loop Header: Depth=1
	v_add_u32_e32 v6, v3, v4
	v_and_b32_e32 v7, -2, v6
	global_load_ushort v7, v7, s[8:9]
	v_lshrrev_b32_e32 v6, 1, v6
	v_add_u32_e32 v8, 1, v6
	s_waitcnt vmcnt(0)
	v_cmp_gt_i16_e32 vcc, v5, v7
	v_cndmask_b32_e64 v9, 0, 1, vcc
	v_cmp_le_i16_e32 vcc, v7, v5
	v_cndmask_b32_e64 v7, 0, 1, vcc
	v_cndmask_b32_e64 v7, v7, v9, s[0:1]
	v_and_b32_e32 v7, 1, v7
	v_cmp_eq_u32_e32 vcc, 1, v7
	v_cndmask_b32_e32 v4, v6, v4, vcc
	v_cndmask_b32_e32 v3, v3, v8, vcc
	v_cmp_ge_u32_e32 vcc, v3, v4
	s_or_b64 s[2:3], vcc, s[2:3]
	s_andn2_b64 exec, exec, s[2:3]
	s_cbranch_execnz .LBB1297_14
; %bb.15:
	s_or_b64 exec, exec, s[2:3]
.LBB1297_16:
	v_add_u32_e32 v3, v3, v0
	v_mov_b32_e32 v4, 0
	v_lshlrev_b64 v[6:7], 1, v[3:4]
	v_mov_b32_e32 v8, s11
	v_add_co_u32_e32 v6, vcc, s10, v6
	v_lshlrev_b64 v[3:4], 3, v[3:4]
	v_addc_co_u32_e32 v7, vcc, v8, v7, vcc
	s_waitcnt vmcnt(0)
	global_store_short v[6:7], v5, off
	v_mov_b32_e32 v6, s15
	v_add_co_u32_e32 v3, vcc, s14, v3
	v_addc_co_u32_e32 v4, vcc, v6, v4, vcc
	global_store_dwordx2 v[3:4], v[1:2], off
.LBB1297_17:
	s_or_b64 exec, exec, s[4:5]
	s_mov_b64 s[4:5], 0
.LBB1297_18:
	s_andn2_b64 vcc, exec, s[4:5]
	s_cbranch_vccnz .LBB1297_24
; %bb.19:
	s_cmp_ge_u32 s6, s7
	v_mov_b32_e32 v3, s12
	s_cbranch_scc1 .LBB1297_23
; %bb.20:
	s_mov_b64 s[2:3], 0
	v_mov_b32_e32 v4, s7
	v_mov_b32_e32 v3, s12
.LBB1297_21:                            ; =>This Inner Loop Header: Depth=1
	v_add_u32_e32 v6, v3, v4
	v_and_b32_e32 v7, -2, v6
	global_load_ushort v7, v7, s[8:9]
	v_lshrrev_b32_e32 v6, 1, v6
	v_add_u32_e32 v8, 1, v6
	s_waitcnt vmcnt(0)
	v_cmp_gt_i16_e32 vcc, v5, v7
	v_cndmask_b32_e64 v9, 0, 1, vcc
	v_cmp_le_i16_e32 vcc, v7, v5
	v_cndmask_b32_e64 v7, 0, 1, vcc
	v_cndmask_b32_e64 v7, v7, v9, s[0:1]
	v_and_b32_e32 v7, 1, v7
	v_cmp_eq_u32_e32 vcc, 1, v7
	v_cndmask_b32_e32 v4, v6, v4, vcc
	v_cndmask_b32_e32 v3, v3, v8, vcc
	v_cmp_ge_u32_e32 vcc, v3, v4
	s_or_b64 s[2:3], vcc, s[2:3]
	s_andn2_b64 exec, exec, s[2:3]
	s_cbranch_execnz .LBB1297_21
; %bb.22:
	s_or_b64 exec, exec, s[2:3]
.LBB1297_23:
	v_add_u32_e32 v3, v3, v0
	v_mov_b32_e32 v4, 0
	v_lshlrev_b64 v[6:7], 1, v[3:4]
	v_mov_b32_e32 v0, s11
	v_add_co_u32_e32 v6, vcc, s10, v6
	v_lshlrev_b64 v[3:4], 3, v[3:4]
	v_addc_co_u32_e32 v7, vcc, v0, v7, vcc
	v_mov_b32_e32 v0, s15
	v_add_co_u32_e32 v3, vcc, s14, v3
	v_addc_co_u32_e32 v4, vcc, v0, v4, vcc
	s_waitcnt vmcnt(0)
	global_store_short v[6:7], v5, off
	global_store_dwordx2 v[3:4], v[1:2], off
.LBB1297_24:
	s_endpgm
	.section	.rodata,"a",@progbits
	.p2align	6, 0x0
	.amdhsa_kernel _ZN7rocprim17ROCPRIM_400000_NS6detail17trampoline_kernelINS0_14default_configENS1_38merge_sort_block_merge_config_selectorIslEEZZNS1_27merge_sort_block_merge_implIS3_PsN6thrust23THRUST_200600_302600_NS10device_ptrIlEEjNS1_19radix_merge_compareILb0ELb0EsNS0_19identity_decomposerEEEEE10hipError_tT0_T1_T2_jT3_P12ihipStream_tbPNSt15iterator_traitsISG_E10value_typeEPNSM_ISH_E10value_typeEPSI_NS1_7vsmem_tEENKUlT_SG_SH_SI_E_clIS7_S7_PlSB_EESF_SV_SG_SH_SI_EUlSV_E1_NS1_11comp_targetILNS1_3genE2ELNS1_11target_archE906ELNS1_3gpuE6ELNS1_3repE0EEENS1_36merge_oddeven_config_static_selectorELNS0_4arch9wavefront6targetE1EEEvSH_
		.amdhsa_group_segment_fixed_size 0
		.amdhsa_private_segment_fixed_size 0
		.amdhsa_kernarg_size 48
		.amdhsa_user_sgpr_count 6
		.amdhsa_user_sgpr_private_segment_buffer 1
		.amdhsa_user_sgpr_dispatch_ptr 0
		.amdhsa_user_sgpr_queue_ptr 0
		.amdhsa_user_sgpr_kernarg_segment_ptr 1
		.amdhsa_user_sgpr_dispatch_id 0
		.amdhsa_user_sgpr_flat_scratch_init 0
		.amdhsa_user_sgpr_private_segment_size 0
		.amdhsa_uses_dynamic_stack 0
		.amdhsa_system_sgpr_private_segment_wavefront_offset 0
		.amdhsa_system_sgpr_workgroup_id_x 1
		.amdhsa_system_sgpr_workgroup_id_y 0
		.amdhsa_system_sgpr_workgroup_id_z 0
		.amdhsa_system_sgpr_workgroup_info 0
		.amdhsa_system_vgpr_workitem_id 0
		.amdhsa_next_free_vgpr 10
		.amdhsa_next_free_sgpr 22
		.amdhsa_reserve_vcc 1
		.amdhsa_reserve_flat_scratch 0
		.amdhsa_float_round_mode_32 0
		.amdhsa_float_round_mode_16_64 0
		.amdhsa_float_denorm_mode_32 3
		.amdhsa_float_denorm_mode_16_64 3
		.amdhsa_dx10_clamp 1
		.amdhsa_ieee_mode 1
		.amdhsa_fp16_overflow 0
		.amdhsa_exception_fp_ieee_invalid_op 0
		.amdhsa_exception_fp_denorm_src 0
		.amdhsa_exception_fp_ieee_div_zero 0
		.amdhsa_exception_fp_ieee_overflow 0
		.amdhsa_exception_fp_ieee_underflow 0
		.amdhsa_exception_fp_ieee_inexact 0
		.amdhsa_exception_int_div_zero 0
	.end_amdhsa_kernel
	.section	.text._ZN7rocprim17ROCPRIM_400000_NS6detail17trampoline_kernelINS0_14default_configENS1_38merge_sort_block_merge_config_selectorIslEEZZNS1_27merge_sort_block_merge_implIS3_PsN6thrust23THRUST_200600_302600_NS10device_ptrIlEEjNS1_19radix_merge_compareILb0ELb0EsNS0_19identity_decomposerEEEEE10hipError_tT0_T1_T2_jT3_P12ihipStream_tbPNSt15iterator_traitsISG_E10value_typeEPNSM_ISH_E10value_typeEPSI_NS1_7vsmem_tEENKUlT_SG_SH_SI_E_clIS7_S7_PlSB_EESF_SV_SG_SH_SI_EUlSV_E1_NS1_11comp_targetILNS1_3genE2ELNS1_11target_archE906ELNS1_3gpuE6ELNS1_3repE0EEENS1_36merge_oddeven_config_static_selectorELNS0_4arch9wavefront6targetE1EEEvSH_,"axG",@progbits,_ZN7rocprim17ROCPRIM_400000_NS6detail17trampoline_kernelINS0_14default_configENS1_38merge_sort_block_merge_config_selectorIslEEZZNS1_27merge_sort_block_merge_implIS3_PsN6thrust23THRUST_200600_302600_NS10device_ptrIlEEjNS1_19radix_merge_compareILb0ELb0EsNS0_19identity_decomposerEEEEE10hipError_tT0_T1_T2_jT3_P12ihipStream_tbPNSt15iterator_traitsISG_E10value_typeEPNSM_ISH_E10value_typeEPSI_NS1_7vsmem_tEENKUlT_SG_SH_SI_E_clIS7_S7_PlSB_EESF_SV_SG_SH_SI_EUlSV_E1_NS1_11comp_targetILNS1_3genE2ELNS1_11target_archE906ELNS1_3gpuE6ELNS1_3repE0EEENS1_36merge_oddeven_config_static_selectorELNS0_4arch9wavefront6targetE1EEEvSH_,comdat
.Lfunc_end1297:
	.size	_ZN7rocprim17ROCPRIM_400000_NS6detail17trampoline_kernelINS0_14default_configENS1_38merge_sort_block_merge_config_selectorIslEEZZNS1_27merge_sort_block_merge_implIS3_PsN6thrust23THRUST_200600_302600_NS10device_ptrIlEEjNS1_19radix_merge_compareILb0ELb0EsNS0_19identity_decomposerEEEEE10hipError_tT0_T1_T2_jT3_P12ihipStream_tbPNSt15iterator_traitsISG_E10value_typeEPNSM_ISH_E10value_typeEPSI_NS1_7vsmem_tEENKUlT_SG_SH_SI_E_clIS7_S7_PlSB_EESF_SV_SG_SH_SI_EUlSV_E1_NS1_11comp_targetILNS1_3genE2ELNS1_11target_archE906ELNS1_3gpuE6ELNS1_3repE0EEENS1_36merge_oddeven_config_static_selectorELNS0_4arch9wavefront6targetE1EEEvSH_, .Lfunc_end1297-_ZN7rocprim17ROCPRIM_400000_NS6detail17trampoline_kernelINS0_14default_configENS1_38merge_sort_block_merge_config_selectorIslEEZZNS1_27merge_sort_block_merge_implIS3_PsN6thrust23THRUST_200600_302600_NS10device_ptrIlEEjNS1_19radix_merge_compareILb0ELb0EsNS0_19identity_decomposerEEEEE10hipError_tT0_T1_T2_jT3_P12ihipStream_tbPNSt15iterator_traitsISG_E10value_typeEPNSM_ISH_E10value_typeEPSI_NS1_7vsmem_tEENKUlT_SG_SH_SI_E_clIS7_S7_PlSB_EESF_SV_SG_SH_SI_EUlSV_E1_NS1_11comp_targetILNS1_3genE2ELNS1_11target_archE906ELNS1_3gpuE6ELNS1_3repE0EEENS1_36merge_oddeven_config_static_selectorELNS0_4arch9wavefront6targetE1EEEvSH_
                                        ; -- End function
	.set _ZN7rocprim17ROCPRIM_400000_NS6detail17trampoline_kernelINS0_14default_configENS1_38merge_sort_block_merge_config_selectorIslEEZZNS1_27merge_sort_block_merge_implIS3_PsN6thrust23THRUST_200600_302600_NS10device_ptrIlEEjNS1_19radix_merge_compareILb0ELb0EsNS0_19identity_decomposerEEEEE10hipError_tT0_T1_T2_jT3_P12ihipStream_tbPNSt15iterator_traitsISG_E10value_typeEPNSM_ISH_E10value_typeEPSI_NS1_7vsmem_tEENKUlT_SG_SH_SI_E_clIS7_S7_PlSB_EESF_SV_SG_SH_SI_EUlSV_E1_NS1_11comp_targetILNS1_3genE2ELNS1_11target_archE906ELNS1_3gpuE6ELNS1_3repE0EEENS1_36merge_oddeven_config_static_selectorELNS0_4arch9wavefront6targetE1EEEvSH_.num_vgpr, 10
	.set _ZN7rocprim17ROCPRIM_400000_NS6detail17trampoline_kernelINS0_14default_configENS1_38merge_sort_block_merge_config_selectorIslEEZZNS1_27merge_sort_block_merge_implIS3_PsN6thrust23THRUST_200600_302600_NS10device_ptrIlEEjNS1_19radix_merge_compareILb0ELb0EsNS0_19identity_decomposerEEEEE10hipError_tT0_T1_T2_jT3_P12ihipStream_tbPNSt15iterator_traitsISG_E10value_typeEPNSM_ISH_E10value_typeEPSI_NS1_7vsmem_tEENKUlT_SG_SH_SI_E_clIS7_S7_PlSB_EESF_SV_SG_SH_SI_EUlSV_E1_NS1_11comp_targetILNS1_3genE2ELNS1_11target_archE906ELNS1_3gpuE6ELNS1_3repE0EEENS1_36merge_oddeven_config_static_selectorELNS0_4arch9wavefront6targetE1EEEvSH_.num_agpr, 0
	.set _ZN7rocprim17ROCPRIM_400000_NS6detail17trampoline_kernelINS0_14default_configENS1_38merge_sort_block_merge_config_selectorIslEEZZNS1_27merge_sort_block_merge_implIS3_PsN6thrust23THRUST_200600_302600_NS10device_ptrIlEEjNS1_19radix_merge_compareILb0ELb0EsNS0_19identity_decomposerEEEEE10hipError_tT0_T1_T2_jT3_P12ihipStream_tbPNSt15iterator_traitsISG_E10value_typeEPNSM_ISH_E10value_typeEPSI_NS1_7vsmem_tEENKUlT_SG_SH_SI_E_clIS7_S7_PlSB_EESF_SV_SG_SH_SI_EUlSV_E1_NS1_11comp_targetILNS1_3genE2ELNS1_11target_archE906ELNS1_3gpuE6ELNS1_3repE0EEENS1_36merge_oddeven_config_static_selectorELNS0_4arch9wavefront6targetE1EEEvSH_.numbered_sgpr, 22
	.set _ZN7rocprim17ROCPRIM_400000_NS6detail17trampoline_kernelINS0_14default_configENS1_38merge_sort_block_merge_config_selectorIslEEZZNS1_27merge_sort_block_merge_implIS3_PsN6thrust23THRUST_200600_302600_NS10device_ptrIlEEjNS1_19radix_merge_compareILb0ELb0EsNS0_19identity_decomposerEEEEE10hipError_tT0_T1_T2_jT3_P12ihipStream_tbPNSt15iterator_traitsISG_E10value_typeEPNSM_ISH_E10value_typeEPSI_NS1_7vsmem_tEENKUlT_SG_SH_SI_E_clIS7_S7_PlSB_EESF_SV_SG_SH_SI_EUlSV_E1_NS1_11comp_targetILNS1_3genE2ELNS1_11target_archE906ELNS1_3gpuE6ELNS1_3repE0EEENS1_36merge_oddeven_config_static_selectorELNS0_4arch9wavefront6targetE1EEEvSH_.num_named_barrier, 0
	.set _ZN7rocprim17ROCPRIM_400000_NS6detail17trampoline_kernelINS0_14default_configENS1_38merge_sort_block_merge_config_selectorIslEEZZNS1_27merge_sort_block_merge_implIS3_PsN6thrust23THRUST_200600_302600_NS10device_ptrIlEEjNS1_19radix_merge_compareILb0ELb0EsNS0_19identity_decomposerEEEEE10hipError_tT0_T1_T2_jT3_P12ihipStream_tbPNSt15iterator_traitsISG_E10value_typeEPNSM_ISH_E10value_typeEPSI_NS1_7vsmem_tEENKUlT_SG_SH_SI_E_clIS7_S7_PlSB_EESF_SV_SG_SH_SI_EUlSV_E1_NS1_11comp_targetILNS1_3genE2ELNS1_11target_archE906ELNS1_3gpuE6ELNS1_3repE0EEENS1_36merge_oddeven_config_static_selectorELNS0_4arch9wavefront6targetE1EEEvSH_.private_seg_size, 0
	.set _ZN7rocprim17ROCPRIM_400000_NS6detail17trampoline_kernelINS0_14default_configENS1_38merge_sort_block_merge_config_selectorIslEEZZNS1_27merge_sort_block_merge_implIS3_PsN6thrust23THRUST_200600_302600_NS10device_ptrIlEEjNS1_19radix_merge_compareILb0ELb0EsNS0_19identity_decomposerEEEEE10hipError_tT0_T1_T2_jT3_P12ihipStream_tbPNSt15iterator_traitsISG_E10value_typeEPNSM_ISH_E10value_typeEPSI_NS1_7vsmem_tEENKUlT_SG_SH_SI_E_clIS7_S7_PlSB_EESF_SV_SG_SH_SI_EUlSV_E1_NS1_11comp_targetILNS1_3genE2ELNS1_11target_archE906ELNS1_3gpuE6ELNS1_3repE0EEENS1_36merge_oddeven_config_static_selectorELNS0_4arch9wavefront6targetE1EEEvSH_.uses_vcc, 1
	.set _ZN7rocprim17ROCPRIM_400000_NS6detail17trampoline_kernelINS0_14default_configENS1_38merge_sort_block_merge_config_selectorIslEEZZNS1_27merge_sort_block_merge_implIS3_PsN6thrust23THRUST_200600_302600_NS10device_ptrIlEEjNS1_19radix_merge_compareILb0ELb0EsNS0_19identity_decomposerEEEEE10hipError_tT0_T1_T2_jT3_P12ihipStream_tbPNSt15iterator_traitsISG_E10value_typeEPNSM_ISH_E10value_typeEPSI_NS1_7vsmem_tEENKUlT_SG_SH_SI_E_clIS7_S7_PlSB_EESF_SV_SG_SH_SI_EUlSV_E1_NS1_11comp_targetILNS1_3genE2ELNS1_11target_archE906ELNS1_3gpuE6ELNS1_3repE0EEENS1_36merge_oddeven_config_static_selectorELNS0_4arch9wavefront6targetE1EEEvSH_.uses_flat_scratch, 0
	.set _ZN7rocprim17ROCPRIM_400000_NS6detail17trampoline_kernelINS0_14default_configENS1_38merge_sort_block_merge_config_selectorIslEEZZNS1_27merge_sort_block_merge_implIS3_PsN6thrust23THRUST_200600_302600_NS10device_ptrIlEEjNS1_19radix_merge_compareILb0ELb0EsNS0_19identity_decomposerEEEEE10hipError_tT0_T1_T2_jT3_P12ihipStream_tbPNSt15iterator_traitsISG_E10value_typeEPNSM_ISH_E10value_typeEPSI_NS1_7vsmem_tEENKUlT_SG_SH_SI_E_clIS7_S7_PlSB_EESF_SV_SG_SH_SI_EUlSV_E1_NS1_11comp_targetILNS1_3genE2ELNS1_11target_archE906ELNS1_3gpuE6ELNS1_3repE0EEENS1_36merge_oddeven_config_static_selectorELNS0_4arch9wavefront6targetE1EEEvSH_.has_dyn_sized_stack, 0
	.set _ZN7rocprim17ROCPRIM_400000_NS6detail17trampoline_kernelINS0_14default_configENS1_38merge_sort_block_merge_config_selectorIslEEZZNS1_27merge_sort_block_merge_implIS3_PsN6thrust23THRUST_200600_302600_NS10device_ptrIlEEjNS1_19radix_merge_compareILb0ELb0EsNS0_19identity_decomposerEEEEE10hipError_tT0_T1_T2_jT3_P12ihipStream_tbPNSt15iterator_traitsISG_E10value_typeEPNSM_ISH_E10value_typeEPSI_NS1_7vsmem_tEENKUlT_SG_SH_SI_E_clIS7_S7_PlSB_EESF_SV_SG_SH_SI_EUlSV_E1_NS1_11comp_targetILNS1_3genE2ELNS1_11target_archE906ELNS1_3gpuE6ELNS1_3repE0EEENS1_36merge_oddeven_config_static_selectorELNS0_4arch9wavefront6targetE1EEEvSH_.has_recursion, 0
	.set _ZN7rocprim17ROCPRIM_400000_NS6detail17trampoline_kernelINS0_14default_configENS1_38merge_sort_block_merge_config_selectorIslEEZZNS1_27merge_sort_block_merge_implIS3_PsN6thrust23THRUST_200600_302600_NS10device_ptrIlEEjNS1_19radix_merge_compareILb0ELb0EsNS0_19identity_decomposerEEEEE10hipError_tT0_T1_T2_jT3_P12ihipStream_tbPNSt15iterator_traitsISG_E10value_typeEPNSM_ISH_E10value_typeEPSI_NS1_7vsmem_tEENKUlT_SG_SH_SI_E_clIS7_S7_PlSB_EESF_SV_SG_SH_SI_EUlSV_E1_NS1_11comp_targetILNS1_3genE2ELNS1_11target_archE906ELNS1_3gpuE6ELNS1_3repE0EEENS1_36merge_oddeven_config_static_selectorELNS0_4arch9wavefront6targetE1EEEvSH_.has_indirect_call, 0
	.section	.AMDGPU.csdata,"",@progbits
; Kernel info:
; codeLenInByte = 816
; TotalNumSgprs: 26
; NumVgprs: 10
; ScratchSize: 0
; MemoryBound: 0
; FloatMode: 240
; IeeeMode: 1
; LDSByteSize: 0 bytes/workgroup (compile time only)
; SGPRBlocks: 3
; VGPRBlocks: 2
; NumSGPRsForWavesPerEU: 26
; NumVGPRsForWavesPerEU: 10
; Occupancy: 10
; WaveLimiterHint : 0
; COMPUTE_PGM_RSRC2:SCRATCH_EN: 0
; COMPUTE_PGM_RSRC2:USER_SGPR: 6
; COMPUTE_PGM_RSRC2:TRAP_HANDLER: 0
; COMPUTE_PGM_RSRC2:TGID_X_EN: 1
; COMPUTE_PGM_RSRC2:TGID_Y_EN: 0
; COMPUTE_PGM_RSRC2:TGID_Z_EN: 0
; COMPUTE_PGM_RSRC2:TIDIG_COMP_CNT: 0
	.section	.text._ZN7rocprim17ROCPRIM_400000_NS6detail17trampoline_kernelINS0_14default_configENS1_38merge_sort_block_merge_config_selectorIslEEZZNS1_27merge_sort_block_merge_implIS3_PsN6thrust23THRUST_200600_302600_NS10device_ptrIlEEjNS1_19radix_merge_compareILb0ELb0EsNS0_19identity_decomposerEEEEE10hipError_tT0_T1_T2_jT3_P12ihipStream_tbPNSt15iterator_traitsISG_E10value_typeEPNSM_ISH_E10value_typeEPSI_NS1_7vsmem_tEENKUlT_SG_SH_SI_E_clIS7_S7_PlSB_EESF_SV_SG_SH_SI_EUlSV_E1_NS1_11comp_targetILNS1_3genE9ELNS1_11target_archE1100ELNS1_3gpuE3ELNS1_3repE0EEENS1_36merge_oddeven_config_static_selectorELNS0_4arch9wavefront6targetE1EEEvSH_,"axG",@progbits,_ZN7rocprim17ROCPRIM_400000_NS6detail17trampoline_kernelINS0_14default_configENS1_38merge_sort_block_merge_config_selectorIslEEZZNS1_27merge_sort_block_merge_implIS3_PsN6thrust23THRUST_200600_302600_NS10device_ptrIlEEjNS1_19radix_merge_compareILb0ELb0EsNS0_19identity_decomposerEEEEE10hipError_tT0_T1_T2_jT3_P12ihipStream_tbPNSt15iterator_traitsISG_E10value_typeEPNSM_ISH_E10value_typeEPSI_NS1_7vsmem_tEENKUlT_SG_SH_SI_E_clIS7_S7_PlSB_EESF_SV_SG_SH_SI_EUlSV_E1_NS1_11comp_targetILNS1_3genE9ELNS1_11target_archE1100ELNS1_3gpuE3ELNS1_3repE0EEENS1_36merge_oddeven_config_static_selectorELNS0_4arch9wavefront6targetE1EEEvSH_,comdat
	.protected	_ZN7rocprim17ROCPRIM_400000_NS6detail17trampoline_kernelINS0_14default_configENS1_38merge_sort_block_merge_config_selectorIslEEZZNS1_27merge_sort_block_merge_implIS3_PsN6thrust23THRUST_200600_302600_NS10device_ptrIlEEjNS1_19radix_merge_compareILb0ELb0EsNS0_19identity_decomposerEEEEE10hipError_tT0_T1_T2_jT3_P12ihipStream_tbPNSt15iterator_traitsISG_E10value_typeEPNSM_ISH_E10value_typeEPSI_NS1_7vsmem_tEENKUlT_SG_SH_SI_E_clIS7_S7_PlSB_EESF_SV_SG_SH_SI_EUlSV_E1_NS1_11comp_targetILNS1_3genE9ELNS1_11target_archE1100ELNS1_3gpuE3ELNS1_3repE0EEENS1_36merge_oddeven_config_static_selectorELNS0_4arch9wavefront6targetE1EEEvSH_ ; -- Begin function _ZN7rocprim17ROCPRIM_400000_NS6detail17trampoline_kernelINS0_14default_configENS1_38merge_sort_block_merge_config_selectorIslEEZZNS1_27merge_sort_block_merge_implIS3_PsN6thrust23THRUST_200600_302600_NS10device_ptrIlEEjNS1_19radix_merge_compareILb0ELb0EsNS0_19identity_decomposerEEEEE10hipError_tT0_T1_T2_jT3_P12ihipStream_tbPNSt15iterator_traitsISG_E10value_typeEPNSM_ISH_E10value_typeEPSI_NS1_7vsmem_tEENKUlT_SG_SH_SI_E_clIS7_S7_PlSB_EESF_SV_SG_SH_SI_EUlSV_E1_NS1_11comp_targetILNS1_3genE9ELNS1_11target_archE1100ELNS1_3gpuE3ELNS1_3repE0EEENS1_36merge_oddeven_config_static_selectorELNS0_4arch9wavefront6targetE1EEEvSH_
	.globl	_ZN7rocprim17ROCPRIM_400000_NS6detail17trampoline_kernelINS0_14default_configENS1_38merge_sort_block_merge_config_selectorIslEEZZNS1_27merge_sort_block_merge_implIS3_PsN6thrust23THRUST_200600_302600_NS10device_ptrIlEEjNS1_19radix_merge_compareILb0ELb0EsNS0_19identity_decomposerEEEEE10hipError_tT0_T1_T2_jT3_P12ihipStream_tbPNSt15iterator_traitsISG_E10value_typeEPNSM_ISH_E10value_typeEPSI_NS1_7vsmem_tEENKUlT_SG_SH_SI_E_clIS7_S7_PlSB_EESF_SV_SG_SH_SI_EUlSV_E1_NS1_11comp_targetILNS1_3genE9ELNS1_11target_archE1100ELNS1_3gpuE3ELNS1_3repE0EEENS1_36merge_oddeven_config_static_selectorELNS0_4arch9wavefront6targetE1EEEvSH_
	.p2align	8
	.type	_ZN7rocprim17ROCPRIM_400000_NS6detail17trampoline_kernelINS0_14default_configENS1_38merge_sort_block_merge_config_selectorIslEEZZNS1_27merge_sort_block_merge_implIS3_PsN6thrust23THRUST_200600_302600_NS10device_ptrIlEEjNS1_19radix_merge_compareILb0ELb0EsNS0_19identity_decomposerEEEEE10hipError_tT0_T1_T2_jT3_P12ihipStream_tbPNSt15iterator_traitsISG_E10value_typeEPNSM_ISH_E10value_typeEPSI_NS1_7vsmem_tEENKUlT_SG_SH_SI_E_clIS7_S7_PlSB_EESF_SV_SG_SH_SI_EUlSV_E1_NS1_11comp_targetILNS1_3genE9ELNS1_11target_archE1100ELNS1_3gpuE3ELNS1_3repE0EEENS1_36merge_oddeven_config_static_selectorELNS0_4arch9wavefront6targetE1EEEvSH_,@function
_ZN7rocprim17ROCPRIM_400000_NS6detail17trampoline_kernelINS0_14default_configENS1_38merge_sort_block_merge_config_selectorIslEEZZNS1_27merge_sort_block_merge_implIS3_PsN6thrust23THRUST_200600_302600_NS10device_ptrIlEEjNS1_19radix_merge_compareILb0ELb0EsNS0_19identity_decomposerEEEEE10hipError_tT0_T1_T2_jT3_P12ihipStream_tbPNSt15iterator_traitsISG_E10value_typeEPNSM_ISH_E10value_typeEPSI_NS1_7vsmem_tEENKUlT_SG_SH_SI_E_clIS7_S7_PlSB_EESF_SV_SG_SH_SI_EUlSV_E1_NS1_11comp_targetILNS1_3genE9ELNS1_11target_archE1100ELNS1_3gpuE3ELNS1_3repE0EEENS1_36merge_oddeven_config_static_selectorELNS0_4arch9wavefront6targetE1EEEvSH_: ; @_ZN7rocprim17ROCPRIM_400000_NS6detail17trampoline_kernelINS0_14default_configENS1_38merge_sort_block_merge_config_selectorIslEEZZNS1_27merge_sort_block_merge_implIS3_PsN6thrust23THRUST_200600_302600_NS10device_ptrIlEEjNS1_19radix_merge_compareILb0ELb0EsNS0_19identity_decomposerEEEEE10hipError_tT0_T1_T2_jT3_P12ihipStream_tbPNSt15iterator_traitsISG_E10value_typeEPNSM_ISH_E10value_typeEPSI_NS1_7vsmem_tEENKUlT_SG_SH_SI_E_clIS7_S7_PlSB_EESF_SV_SG_SH_SI_EUlSV_E1_NS1_11comp_targetILNS1_3genE9ELNS1_11target_archE1100ELNS1_3gpuE3ELNS1_3repE0EEENS1_36merge_oddeven_config_static_selectorELNS0_4arch9wavefront6targetE1EEEvSH_
; %bb.0:
	.section	.rodata,"a",@progbits
	.p2align	6, 0x0
	.amdhsa_kernel _ZN7rocprim17ROCPRIM_400000_NS6detail17trampoline_kernelINS0_14default_configENS1_38merge_sort_block_merge_config_selectorIslEEZZNS1_27merge_sort_block_merge_implIS3_PsN6thrust23THRUST_200600_302600_NS10device_ptrIlEEjNS1_19radix_merge_compareILb0ELb0EsNS0_19identity_decomposerEEEEE10hipError_tT0_T1_T2_jT3_P12ihipStream_tbPNSt15iterator_traitsISG_E10value_typeEPNSM_ISH_E10value_typeEPSI_NS1_7vsmem_tEENKUlT_SG_SH_SI_E_clIS7_S7_PlSB_EESF_SV_SG_SH_SI_EUlSV_E1_NS1_11comp_targetILNS1_3genE9ELNS1_11target_archE1100ELNS1_3gpuE3ELNS1_3repE0EEENS1_36merge_oddeven_config_static_selectorELNS0_4arch9wavefront6targetE1EEEvSH_
		.amdhsa_group_segment_fixed_size 0
		.amdhsa_private_segment_fixed_size 0
		.amdhsa_kernarg_size 48
		.amdhsa_user_sgpr_count 6
		.amdhsa_user_sgpr_private_segment_buffer 1
		.amdhsa_user_sgpr_dispatch_ptr 0
		.amdhsa_user_sgpr_queue_ptr 0
		.amdhsa_user_sgpr_kernarg_segment_ptr 1
		.amdhsa_user_sgpr_dispatch_id 0
		.amdhsa_user_sgpr_flat_scratch_init 0
		.amdhsa_user_sgpr_private_segment_size 0
		.amdhsa_uses_dynamic_stack 0
		.amdhsa_system_sgpr_private_segment_wavefront_offset 0
		.amdhsa_system_sgpr_workgroup_id_x 1
		.amdhsa_system_sgpr_workgroup_id_y 0
		.amdhsa_system_sgpr_workgroup_id_z 0
		.amdhsa_system_sgpr_workgroup_info 0
		.amdhsa_system_vgpr_workitem_id 0
		.amdhsa_next_free_vgpr 1
		.amdhsa_next_free_sgpr 0
		.amdhsa_reserve_vcc 0
		.amdhsa_reserve_flat_scratch 0
		.amdhsa_float_round_mode_32 0
		.amdhsa_float_round_mode_16_64 0
		.amdhsa_float_denorm_mode_32 3
		.amdhsa_float_denorm_mode_16_64 3
		.amdhsa_dx10_clamp 1
		.amdhsa_ieee_mode 1
		.amdhsa_fp16_overflow 0
		.amdhsa_exception_fp_ieee_invalid_op 0
		.amdhsa_exception_fp_denorm_src 0
		.amdhsa_exception_fp_ieee_div_zero 0
		.amdhsa_exception_fp_ieee_overflow 0
		.amdhsa_exception_fp_ieee_underflow 0
		.amdhsa_exception_fp_ieee_inexact 0
		.amdhsa_exception_int_div_zero 0
	.end_amdhsa_kernel
	.section	.text._ZN7rocprim17ROCPRIM_400000_NS6detail17trampoline_kernelINS0_14default_configENS1_38merge_sort_block_merge_config_selectorIslEEZZNS1_27merge_sort_block_merge_implIS3_PsN6thrust23THRUST_200600_302600_NS10device_ptrIlEEjNS1_19radix_merge_compareILb0ELb0EsNS0_19identity_decomposerEEEEE10hipError_tT0_T1_T2_jT3_P12ihipStream_tbPNSt15iterator_traitsISG_E10value_typeEPNSM_ISH_E10value_typeEPSI_NS1_7vsmem_tEENKUlT_SG_SH_SI_E_clIS7_S7_PlSB_EESF_SV_SG_SH_SI_EUlSV_E1_NS1_11comp_targetILNS1_3genE9ELNS1_11target_archE1100ELNS1_3gpuE3ELNS1_3repE0EEENS1_36merge_oddeven_config_static_selectorELNS0_4arch9wavefront6targetE1EEEvSH_,"axG",@progbits,_ZN7rocprim17ROCPRIM_400000_NS6detail17trampoline_kernelINS0_14default_configENS1_38merge_sort_block_merge_config_selectorIslEEZZNS1_27merge_sort_block_merge_implIS3_PsN6thrust23THRUST_200600_302600_NS10device_ptrIlEEjNS1_19radix_merge_compareILb0ELb0EsNS0_19identity_decomposerEEEEE10hipError_tT0_T1_T2_jT3_P12ihipStream_tbPNSt15iterator_traitsISG_E10value_typeEPNSM_ISH_E10value_typeEPSI_NS1_7vsmem_tEENKUlT_SG_SH_SI_E_clIS7_S7_PlSB_EESF_SV_SG_SH_SI_EUlSV_E1_NS1_11comp_targetILNS1_3genE9ELNS1_11target_archE1100ELNS1_3gpuE3ELNS1_3repE0EEENS1_36merge_oddeven_config_static_selectorELNS0_4arch9wavefront6targetE1EEEvSH_,comdat
.Lfunc_end1298:
	.size	_ZN7rocprim17ROCPRIM_400000_NS6detail17trampoline_kernelINS0_14default_configENS1_38merge_sort_block_merge_config_selectorIslEEZZNS1_27merge_sort_block_merge_implIS3_PsN6thrust23THRUST_200600_302600_NS10device_ptrIlEEjNS1_19radix_merge_compareILb0ELb0EsNS0_19identity_decomposerEEEEE10hipError_tT0_T1_T2_jT3_P12ihipStream_tbPNSt15iterator_traitsISG_E10value_typeEPNSM_ISH_E10value_typeEPSI_NS1_7vsmem_tEENKUlT_SG_SH_SI_E_clIS7_S7_PlSB_EESF_SV_SG_SH_SI_EUlSV_E1_NS1_11comp_targetILNS1_3genE9ELNS1_11target_archE1100ELNS1_3gpuE3ELNS1_3repE0EEENS1_36merge_oddeven_config_static_selectorELNS0_4arch9wavefront6targetE1EEEvSH_, .Lfunc_end1298-_ZN7rocprim17ROCPRIM_400000_NS6detail17trampoline_kernelINS0_14default_configENS1_38merge_sort_block_merge_config_selectorIslEEZZNS1_27merge_sort_block_merge_implIS3_PsN6thrust23THRUST_200600_302600_NS10device_ptrIlEEjNS1_19radix_merge_compareILb0ELb0EsNS0_19identity_decomposerEEEEE10hipError_tT0_T1_T2_jT3_P12ihipStream_tbPNSt15iterator_traitsISG_E10value_typeEPNSM_ISH_E10value_typeEPSI_NS1_7vsmem_tEENKUlT_SG_SH_SI_E_clIS7_S7_PlSB_EESF_SV_SG_SH_SI_EUlSV_E1_NS1_11comp_targetILNS1_3genE9ELNS1_11target_archE1100ELNS1_3gpuE3ELNS1_3repE0EEENS1_36merge_oddeven_config_static_selectorELNS0_4arch9wavefront6targetE1EEEvSH_
                                        ; -- End function
	.set _ZN7rocprim17ROCPRIM_400000_NS6detail17trampoline_kernelINS0_14default_configENS1_38merge_sort_block_merge_config_selectorIslEEZZNS1_27merge_sort_block_merge_implIS3_PsN6thrust23THRUST_200600_302600_NS10device_ptrIlEEjNS1_19radix_merge_compareILb0ELb0EsNS0_19identity_decomposerEEEEE10hipError_tT0_T1_T2_jT3_P12ihipStream_tbPNSt15iterator_traitsISG_E10value_typeEPNSM_ISH_E10value_typeEPSI_NS1_7vsmem_tEENKUlT_SG_SH_SI_E_clIS7_S7_PlSB_EESF_SV_SG_SH_SI_EUlSV_E1_NS1_11comp_targetILNS1_3genE9ELNS1_11target_archE1100ELNS1_3gpuE3ELNS1_3repE0EEENS1_36merge_oddeven_config_static_selectorELNS0_4arch9wavefront6targetE1EEEvSH_.num_vgpr, 0
	.set _ZN7rocprim17ROCPRIM_400000_NS6detail17trampoline_kernelINS0_14default_configENS1_38merge_sort_block_merge_config_selectorIslEEZZNS1_27merge_sort_block_merge_implIS3_PsN6thrust23THRUST_200600_302600_NS10device_ptrIlEEjNS1_19radix_merge_compareILb0ELb0EsNS0_19identity_decomposerEEEEE10hipError_tT0_T1_T2_jT3_P12ihipStream_tbPNSt15iterator_traitsISG_E10value_typeEPNSM_ISH_E10value_typeEPSI_NS1_7vsmem_tEENKUlT_SG_SH_SI_E_clIS7_S7_PlSB_EESF_SV_SG_SH_SI_EUlSV_E1_NS1_11comp_targetILNS1_3genE9ELNS1_11target_archE1100ELNS1_3gpuE3ELNS1_3repE0EEENS1_36merge_oddeven_config_static_selectorELNS0_4arch9wavefront6targetE1EEEvSH_.num_agpr, 0
	.set _ZN7rocprim17ROCPRIM_400000_NS6detail17trampoline_kernelINS0_14default_configENS1_38merge_sort_block_merge_config_selectorIslEEZZNS1_27merge_sort_block_merge_implIS3_PsN6thrust23THRUST_200600_302600_NS10device_ptrIlEEjNS1_19radix_merge_compareILb0ELb0EsNS0_19identity_decomposerEEEEE10hipError_tT0_T1_T2_jT3_P12ihipStream_tbPNSt15iterator_traitsISG_E10value_typeEPNSM_ISH_E10value_typeEPSI_NS1_7vsmem_tEENKUlT_SG_SH_SI_E_clIS7_S7_PlSB_EESF_SV_SG_SH_SI_EUlSV_E1_NS1_11comp_targetILNS1_3genE9ELNS1_11target_archE1100ELNS1_3gpuE3ELNS1_3repE0EEENS1_36merge_oddeven_config_static_selectorELNS0_4arch9wavefront6targetE1EEEvSH_.numbered_sgpr, 0
	.set _ZN7rocprim17ROCPRIM_400000_NS6detail17trampoline_kernelINS0_14default_configENS1_38merge_sort_block_merge_config_selectorIslEEZZNS1_27merge_sort_block_merge_implIS3_PsN6thrust23THRUST_200600_302600_NS10device_ptrIlEEjNS1_19radix_merge_compareILb0ELb0EsNS0_19identity_decomposerEEEEE10hipError_tT0_T1_T2_jT3_P12ihipStream_tbPNSt15iterator_traitsISG_E10value_typeEPNSM_ISH_E10value_typeEPSI_NS1_7vsmem_tEENKUlT_SG_SH_SI_E_clIS7_S7_PlSB_EESF_SV_SG_SH_SI_EUlSV_E1_NS1_11comp_targetILNS1_3genE9ELNS1_11target_archE1100ELNS1_3gpuE3ELNS1_3repE0EEENS1_36merge_oddeven_config_static_selectorELNS0_4arch9wavefront6targetE1EEEvSH_.num_named_barrier, 0
	.set _ZN7rocprim17ROCPRIM_400000_NS6detail17trampoline_kernelINS0_14default_configENS1_38merge_sort_block_merge_config_selectorIslEEZZNS1_27merge_sort_block_merge_implIS3_PsN6thrust23THRUST_200600_302600_NS10device_ptrIlEEjNS1_19radix_merge_compareILb0ELb0EsNS0_19identity_decomposerEEEEE10hipError_tT0_T1_T2_jT3_P12ihipStream_tbPNSt15iterator_traitsISG_E10value_typeEPNSM_ISH_E10value_typeEPSI_NS1_7vsmem_tEENKUlT_SG_SH_SI_E_clIS7_S7_PlSB_EESF_SV_SG_SH_SI_EUlSV_E1_NS1_11comp_targetILNS1_3genE9ELNS1_11target_archE1100ELNS1_3gpuE3ELNS1_3repE0EEENS1_36merge_oddeven_config_static_selectorELNS0_4arch9wavefront6targetE1EEEvSH_.private_seg_size, 0
	.set _ZN7rocprim17ROCPRIM_400000_NS6detail17trampoline_kernelINS0_14default_configENS1_38merge_sort_block_merge_config_selectorIslEEZZNS1_27merge_sort_block_merge_implIS3_PsN6thrust23THRUST_200600_302600_NS10device_ptrIlEEjNS1_19radix_merge_compareILb0ELb0EsNS0_19identity_decomposerEEEEE10hipError_tT0_T1_T2_jT3_P12ihipStream_tbPNSt15iterator_traitsISG_E10value_typeEPNSM_ISH_E10value_typeEPSI_NS1_7vsmem_tEENKUlT_SG_SH_SI_E_clIS7_S7_PlSB_EESF_SV_SG_SH_SI_EUlSV_E1_NS1_11comp_targetILNS1_3genE9ELNS1_11target_archE1100ELNS1_3gpuE3ELNS1_3repE0EEENS1_36merge_oddeven_config_static_selectorELNS0_4arch9wavefront6targetE1EEEvSH_.uses_vcc, 0
	.set _ZN7rocprim17ROCPRIM_400000_NS6detail17trampoline_kernelINS0_14default_configENS1_38merge_sort_block_merge_config_selectorIslEEZZNS1_27merge_sort_block_merge_implIS3_PsN6thrust23THRUST_200600_302600_NS10device_ptrIlEEjNS1_19radix_merge_compareILb0ELb0EsNS0_19identity_decomposerEEEEE10hipError_tT0_T1_T2_jT3_P12ihipStream_tbPNSt15iterator_traitsISG_E10value_typeEPNSM_ISH_E10value_typeEPSI_NS1_7vsmem_tEENKUlT_SG_SH_SI_E_clIS7_S7_PlSB_EESF_SV_SG_SH_SI_EUlSV_E1_NS1_11comp_targetILNS1_3genE9ELNS1_11target_archE1100ELNS1_3gpuE3ELNS1_3repE0EEENS1_36merge_oddeven_config_static_selectorELNS0_4arch9wavefront6targetE1EEEvSH_.uses_flat_scratch, 0
	.set _ZN7rocprim17ROCPRIM_400000_NS6detail17trampoline_kernelINS0_14default_configENS1_38merge_sort_block_merge_config_selectorIslEEZZNS1_27merge_sort_block_merge_implIS3_PsN6thrust23THRUST_200600_302600_NS10device_ptrIlEEjNS1_19radix_merge_compareILb0ELb0EsNS0_19identity_decomposerEEEEE10hipError_tT0_T1_T2_jT3_P12ihipStream_tbPNSt15iterator_traitsISG_E10value_typeEPNSM_ISH_E10value_typeEPSI_NS1_7vsmem_tEENKUlT_SG_SH_SI_E_clIS7_S7_PlSB_EESF_SV_SG_SH_SI_EUlSV_E1_NS1_11comp_targetILNS1_3genE9ELNS1_11target_archE1100ELNS1_3gpuE3ELNS1_3repE0EEENS1_36merge_oddeven_config_static_selectorELNS0_4arch9wavefront6targetE1EEEvSH_.has_dyn_sized_stack, 0
	.set _ZN7rocprim17ROCPRIM_400000_NS6detail17trampoline_kernelINS0_14default_configENS1_38merge_sort_block_merge_config_selectorIslEEZZNS1_27merge_sort_block_merge_implIS3_PsN6thrust23THRUST_200600_302600_NS10device_ptrIlEEjNS1_19radix_merge_compareILb0ELb0EsNS0_19identity_decomposerEEEEE10hipError_tT0_T1_T2_jT3_P12ihipStream_tbPNSt15iterator_traitsISG_E10value_typeEPNSM_ISH_E10value_typeEPSI_NS1_7vsmem_tEENKUlT_SG_SH_SI_E_clIS7_S7_PlSB_EESF_SV_SG_SH_SI_EUlSV_E1_NS1_11comp_targetILNS1_3genE9ELNS1_11target_archE1100ELNS1_3gpuE3ELNS1_3repE0EEENS1_36merge_oddeven_config_static_selectorELNS0_4arch9wavefront6targetE1EEEvSH_.has_recursion, 0
	.set _ZN7rocprim17ROCPRIM_400000_NS6detail17trampoline_kernelINS0_14default_configENS1_38merge_sort_block_merge_config_selectorIslEEZZNS1_27merge_sort_block_merge_implIS3_PsN6thrust23THRUST_200600_302600_NS10device_ptrIlEEjNS1_19radix_merge_compareILb0ELb0EsNS0_19identity_decomposerEEEEE10hipError_tT0_T1_T2_jT3_P12ihipStream_tbPNSt15iterator_traitsISG_E10value_typeEPNSM_ISH_E10value_typeEPSI_NS1_7vsmem_tEENKUlT_SG_SH_SI_E_clIS7_S7_PlSB_EESF_SV_SG_SH_SI_EUlSV_E1_NS1_11comp_targetILNS1_3genE9ELNS1_11target_archE1100ELNS1_3gpuE3ELNS1_3repE0EEENS1_36merge_oddeven_config_static_selectorELNS0_4arch9wavefront6targetE1EEEvSH_.has_indirect_call, 0
	.section	.AMDGPU.csdata,"",@progbits
; Kernel info:
; codeLenInByte = 0
; TotalNumSgprs: 4
; NumVgprs: 0
; ScratchSize: 0
; MemoryBound: 0
; FloatMode: 240
; IeeeMode: 1
; LDSByteSize: 0 bytes/workgroup (compile time only)
; SGPRBlocks: 0
; VGPRBlocks: 0
; NumSGPRsForWavesPerEU: 4
; NumVGPRsForWavesPerEU: 1
; Occupancy: 10
; WaveLimiterHint : 0
; COMPUTE_PGM_RSRC2:SCRATCH_EN: 0
; COMPUTE_PGM_RSRC2:USER_SGPR: 6
; COMPUTE_PGM_RSRC2:TRAP_HANDLER: 0
; COMPUTE_PGM_RSRC2:TGID_X_EN: 1
; COMPUTE_PGM_RSRC2:TGID_Y_EN: 0
; COMPUTE_PGM_RSRC2:TGID_Z_EN: 0
; COMPUTE_PGM_RSRC2:TIDIG_COMP_CNT: 0
	.section	.text._ZN7rocprim17ROCPRIM_400000_NS6detail17trampoline_kernelINS0_14default_configENS1_38merge_sort_block_merge_config_selectorIslEEZZNS1_27merge_sort_block_merge_implIS3_PsN6thrust23THRUST_200600_302600_NS10device_ptrIlEEjNS1_19radix_merge_compareILb0ELb0EsNS0_19identity_decomposerEEEEE10hipError_tT0_T1_T2_jT3_P12ihipStream_tbPNSt15iterator_traitsISG_E10value_typeEPNSM_ISH_E10value_typeEPSI_NS1_7vsmem_tEENKUlT_SG_SH_SI_E_clIS7_S7_PlSB_EESF_SV_SG_SH_SI_EUlSV_E1_NS1_11comp_targetILNS1_3genE8ELNS1_11target_archE1030ELNS1_3gpuE2ELNS1_3repE0EEENS1_36merge_oddeven_config_static_selectorELNS0_4arch9wavefront6targetE1EEEvSH_,"axG",@progbits,_ZN7rocprim17ROCPRIM_400000_NS6detail17trampoline_kernelINS0_14default_configENS1_38merge_sort_block_merge_config_selectorIslEEZZNS1_27merge_sort_block_merge_implIS3_PsN6thrust23THRUST_200600_302600_NS10device_ptrIlEEjNS1_19radix_merge_compareILb0ELb0EsNS0_19identity_decomposerEEEEE10hipError_tT0_T1_T2_jT3_P12ihipStream_tbPNSt15iterator_traitsISG_E10value_typeEPNSM_ISH_E10value_typeEPSI_NS1_7vsmem_tEENKUlT_SG_SH_SI_E_clIS7_S7_PlSB_EESF_SV_SG_SH_SI_EUlSV_E1_NS1_11comp_targetILNS1_3genE8ELNS1_11target_archE1030ELNS1_3gpuE2ELNS1_3repE0EEENS1_36merge_oddeven_config_static_selectorELNS0_4arch9wavefront6targetE1EEEvSH_,comdat
	.protected	_ZN7rocprim17ROCPRIM_400000_NS6detail17trampoline_kernelINS0_14default_configENS1_38merge_sort_block_merge_config_selectorIslEEZZNS1_27merge_sort_block_merge_implIS3_PsN6thrust23THRUST_200600_302600_NS10device_ptrIlEEjNS1_19radix_merge_compareILb0ELb0EsNS0_19identity_decomposerEEEEE10hipError_tT0_T1_T2_jT3_P12ihipStream_tbPNSt15iterator_traitsISG_E10value_typeEPNSM_ISH_E10value_typeEPSI_NS1_7vsmem_tEENKUlT_SG_SH_SI_E_clIS7_S7_PlSB_EESF_SV_SG_SH_SI_EUlSV_E1_NS1_11comp_targetILNS1_3genE8ELNS1_11target_archE1030ELNS1_3gpuE2ELNS1_3repE0EEENS1_36merge_oddeven_config_static_selectorELNS0_4arch9wavefront6targetE1EEEvSH_ ; -- Begin function _ZN7rocprim17ROCPRIM_400000_NS6detail17trampoline_kernelINS0_14default_configENS1_38merge_sort_block_merge_config_selectorIslEEZZNS1_27merge_sort_block_merge_implIS3_PsN6thrust23THRUST_200600_302600_NS10device_ptrIlEEjNS1_19radix_merge_compareILb0ELb0EsNS0_19identity_decomposerEEEEE10hipError_tT0_T1_T2_jT3_P12ihipStream_tbPNSt15iterator_traitsISG_E10value_typeEPNSM_ISH_E10value_typeEPSI_NS1_7vsmem_tEENKUlT_SG_SH_SI_E_clIS7_S7_PlSB_EESF_SV_SG_SH_SI_EUlSV_E1_NS1_11comp_targetILNS1_3genE8ELNS1_11target_archE1030ELNS1_3gpuE2ELNS1_3repE0EEENS1_36merge_oddeven_config_static_selectorELNS0_4arch9wavefront6targetE1EEEvSH_
	.globl	_ZN7rocprim17ROCPRIM_400000_NS6detail17trampoline_kernelINS0_14default_configENS1_38merge_sort_block_merge_config_selectorIslEEZZNS1_27merge_sort_block_merge_implIS3_PsN6thrust23THRUST_200600_302600_NS10device_ptrIlEEjNS1_19radix_merge_compareILb0ELb0EsNS0_19identity_decomposerEEEEE10hipError_tT0_T1_T2_jT3_P12ihipStream_tbPNSt15iterator_traitsISG_E10value_typeEPNSM_ISH_E10value_typeEPSI_NS1_7vsmem_tEENKUlT_SG_SH_SI_E_clIS7_S7_PlSB_EESF_SV_SG_SH_SI_EUlSV_E1_NS1_11comp_targetILNS1_3genE8ELNS1_11target_archE1030ELNS1_3gpuE2ELNS1_3repE0EEENS1_36merge_oddeven_config_static_selectorELNS0_4arch9wavefront6targetE1EEEvSH_
	.p2align	8
	.type	_ZN7rocprim17ROCPRIM_400000_NS6detail17trampoline_kernelINS0_14default_configENS1_38merge_sort_block_merge_config_selectorIslEEZZNS1_27merge_sort_block_merge_implIS3_PsN6thrust23THRUST_200600_302600_NS10device_ptrIlEEjNS1_19radix_merge_compareILb0ELb0EsNS0_19identity_decomposerEEEEE10hipError_tT0_T1_T2_jT3_P12ihipStream_tbPNSt15iterator_traitsISG_E10value_typeEPNSM_ISH_E10value_typeEPSI_NS1_7vsmem_tEENKUlT_SG_SH_SI_E_clIS7_S7_PlSB_EESF_SV_SG_SH_SI_EUlSV_E1_NS1_11comp_targetILNS1_3genE8ELNS1_11target_archE1030ELNS1_3gpuE2ELNS1_3repE0EEENS1_36merge_oddeven_config_static_selectorELNS0_4arch9wavefront6targetE1EEEvSH_,@function
_ZN7rocprim17ROCPRIM_400000_NS6detail17trampoline_kernelINS0_14default_configENS1_38merge_sort_block_merge_config_selectorIslEEZZNS1_27merge_sort_block_merge_implIS3_PsN6thrust23THRUST_200600_302600_NS10device_ptrIlEEjNS1_19radix_merge_compareILb0ELb0EsNS0_19identity_decomposerEEEEE10hipError_tT0_T1_T2_jT3_P12ihipStream_tbPNSt15iterator_traitsISG_E10value_typeEPNSM_ISH_E10value_typeEPSI_NS1_7vsmem_tEENKUlT_SG_SH_SI_E_clIS7_S7_PlSB_EESF_SV_SG_SH_SI_EUlSV_E1_NS1_11comp_targetILNS1_3genE8ELNS1_11target_archE1030ELNS1_3gpuE2ELNS1_3repE0EEENS1_36merge_oddeven_config_static_selectorELNS0_4arch9wavefront6targetE1EEEvSH_: ; @_ZN7rocprim17ROCPRIM_400000_NS6detail17trampoline_kernelINS0_14default_configENS1_38merge_sort_block_merge_config_selectorIslEEZZNS1_27merge_sort_block_merge_implIS3_PsN6thrust23THRUST_200600_302600_NS10device_ptrIlEEjNS1_19radix_merge_compareILb0ELb0EsNS0_19identity_decomposerEEEEE10hipError_tT0_T1_T2_jT3_P12ihipStream_tbPNSt15iterator_traitsISG_E10value_typeEPNSM_ISH_E10value_typeEPSI_NS1_7vsmem_tEENKUlT_SG_SH_SI_E_clIS7_S7_PlSB_EESF_SV_SG_SH_SI_EUlSV_E1_NS1_11comp_targetILNS1_3genE8ELNS1_11target_archE1030ELNS1_3gpuE2ELNS1_3repE0EEENS1_36merge_oddeven_config_static_selectorELNS0_4arch9wavefront6targetE1EEEvSH_
; %bb.0:
	.section	.rodata,"a",@progbits
	.p2align	6, 0x0
	.amdhsa_kernel _ZN7rocprim17ROCPRIM_400000_NS6detail17trampoline_kernelINS0_14default_configENS1_38merge_sort_block_merge_config_selectorIslEEZZNS1_27merge_sort_block_merge_implIS3_PsN6thrust23THRUST_200600_302600_NS10device_ptrIlEEjNS1_19radix_merge_compareILb0ELb0EsNS0_19identity_decomposerEEEEE10hipError_tT0_T1_T2_jT3_P12ihipStream_tbPNSt15iterator_traitsISG_E10value_typeEPNSM_ISH_E10value_typeEPSI_NS1_7vsmem_tEENKUlT_SG_SH_SI_E_clIS7_S7_PlSB_EESF_SV_SG_SH_SI_EUlSV_E1_NS1_11comp_targetILNS1_3genE8ELNS1_11target_archE1030ELNS1_3gpuE2ELNS1_3repE0EEENS1_36merge_oddeven_config_static_selectorELNS0_4arch9wavefront6targetE1EEEvSH_
		.amdhsa_group_segment_fixed_size 0
		.amdhsa_private_segment_fixed_size 0
		.amdhsa_kernarg_size 48
		.amdhsa_user_sgpr_count 6
		.amdhsa_user_sgpr_private_segment_buffer 1
		.amdhsa_user_sgpr_dispatch_ptr 0
		.amdhsa_user_sgpr_queue_ptr 0
		.amdhsa_user_sgpr_kernarg_segment_ptr 1
		.amdhsa_user_sgpr_dispatch_id 0
		.amdhsa_user_sgpr_flat_scratch_init 0
		.amdhsa_user_sgpr_private_segment_size 0
		.amdhsa_uses_dynamic_stack 0
		.amdhsa_system_sgpr_private_segment_wavefront_offset 0
		.amdhsa_system_sgpr_workgroup_id_x 1
		.amdhsa_system_sgpr_workgroup_id_y 0
		.amdhsa_system_sgpr_workgroup_id_z 0
		.amdhsa_system_sgpr_workgroup_info 0
		.amdhsa_system_vgpr_workitem_id 0
		.amdhsa_next_free_vgpr 1
		.amdhsa_next_free_sgpr 0
		.amdhsa_reserve_vcc 0
		.amdhsa_reserve_flat_scratch 0
		.amdhsa_float_round_mode_32 0
		.amdhsa_float_round_mode_16_64 0
		.amdhsa_float_denorm_mode_32 3
		.amdhsa_float_denorm_mode_16_64 3
		.amdhsa_dx10_clamp 1
		.amdhsa_ieee_mode 1
		.amdhsa_fp16_overflow 0
		.amdhsa_exception_fp_ieee_invalid_op 0
		.amdhsa_exception_fp_denorm_src 0
		.amdhsa_exception_fp_ieee_div_zero 0
		.amdhsa_exception_fp_ieee_overflow 0
		.amdhsa_exception_fp_ieee_underflow 0
		.amdhsa_exception_fp_ieee_inexact 0
		.amdhsa_exception_int_div_zero 0
	.end_amdhsa_kernel
	.section	.text._ZN7rocprim17ROCPRIM_400000_NS6detail17trampoline_kernelINS0_14default_configENS1_38merge_sort_block_merge_config_selectorIslEEZZNS1_27merge_sort_block_merge_implIS3_PsN6thrust23THRUST_200600_302600_NS10device_ptrIlEEjNS1_19radix_merge_compareILb0ELb0EsNS0_19identity_decomposerEEEEE10hipError_tT0_T1_T2_jT3_P12ihipStream_tbPNSt15iterator_traitsISG_E10value_typeEPNSM_ISH_E10value_typeEPSI_NS1_7vsmem_tEENKUlT_SG_SH_SI_E_clIS7_S7_PlSB_EESF_SV_SG_SH_SI_EUlSV_E1_NS1_11comp_targetILNS1_3genE8ELNS1_11target_archE1030ELNS1_3gpuE2ELNS1_3repE0EEENS1_36merge_oddeven_config_static_selectorELNS0_4arch9wavefront6targetE1EEEvSH_,"axG",@progbits,_ZN7rocprim17ROCPRIM_400000_NS6detail17trampoline_kernelINS0_14default_configENS1_38merge_sort_block_merge_config_selectorIslEEZZNS1_27merge_sort_block_merge_implIS3_PsN6thrust23THRUST_200600_302600_NS10device_ptrIlEEjNS1_19radix_merge_compareILb0ELb0EsNS0_19identity_decomposerEEEEE10hipError_tT0_T1_T2_jT3_P12ihipStream_tbPNSt15iterator_traitsISG_E10value_typeEPNSM_ISH_E10value_typeEPSI_NS1_7vsmem_tEENKUlT_SG_SH_SI_E_clIS7_S7_PlSB_EESF_SV_SG_SH_SI_EUlSV_E1_NS1_11comp_targetILNS1_3genE8ELNS1_11target_archE1030ELNS1_3gpuE2ELNS1_3repE0EEENS1_36merge_oddeven_config_static_selectorELNS0_4arch9wavefront6targetE1EEEvSH_,comdat
.Lfunc_end1299:
	.size	_ZN7rocprim17ROCPRIM_400000_NS6detail17trampoline_kernelINS0_14default_configENS1_38merge_sort_block_merge_config_selectorIslEEZZNS1_27merge_sort_block_merge_implIS3_PsN6thrust23THRUST_200600_302600_NS10device_ptrIlEEjNS1_19radix_merge_compareILb0ELb0EsNS0_19identity_decomposerEEEEE10hipError_tT0_T1_T2_jT3_P12ihipStream_tbPNSt15iterator_traitsISG_E10value_typeEPNSM_ISH_E10value_typeEPSI_NS1_7vsmem_tEENKUlT_SG_SH_SI_E_clIS7_S7_PlSB_EESF_SV_SG_SH_SI_EUlSV_E1_NS1_11comp_targetILNS1_3genE8ELNS1_11target_archE1030ELNS1_3gpuE2ELNS1_3repE0EEENS1_36merge_oddeven_config_static_selectorELNS0_4arch9wavefront6targetE1EEEvSH_, .Lfunc_end1299-_ZN7rocprim17ROCPRIM_400000_NS6detail17trampoline_kernelINS0_14default_configENS1_38merge_sort_block_merge_config_selectorIslEEZZNS1_27merge_sort_block_merge_implIS3_PsN6thrust23THRUST_200600_302600_NS10device_ptrIlEEjNS1_19radix_merge_compareILb0ELb0EsNS0_19identity_decomposerEEEEE10hipError_tT0_T1_T2_jT3_P12ihipStream_tbPNSt15iterator_traitsISG_E10value_typeEPNSM_ISH_E10value_typeEPSI_NS1_7vsmem_tEENKUlT_SG_SH_SI_E_clIS7_S7_PlSB_EESF_SV_SG_SH_SI_EUlSV_E1_NS1_11comp_targetILNS1_3genE8ELNS1_11target_archE1030ELNS1_3gpuE2ELNS1_3repE0EEENS1_36merge_oddeven_config_static_selectorELNS0_4arch9wavefront6targetE1EEEvSH_
                                        ; -- End function
	.set _ZN7rocprim17ROCPRIM_400000_NS6detail17trampoline_kernelINS0_14default_configENS1_38merge_sort_block_merge_config_selectorIslEEZZNS1_27merge_sort_block_merge_implIS3_PsN6thrust23THRUST_200600_302600_NS10device_ptrIlEEjNS1_19radix_merge_compareILb0ELb0EsNS0_19identity_decomposerEEEEE10hipError_tT0_T1_T2_jT3_P12ihipStream_tbPNSt15iterator_traitsISG_E10value_typeEPNSM_ISH_E10value_typeEPSI_NS1_7vsmem_tEENKUlT_SG_SH_SI_E_clIS7_S7_PlSB_EESF_SV_SG_SH_SI_EUlSV_E1_NS1_11comp_targetILNS1_3genE8ELNS1_11target_archE1030ELNS1_3gpuE2ELNS1_3repE0EEENS1_36merge_oddeven_config_static_selectorELNS0_4arch9wavefront6targetE1EEEvSH_.num_vgpr, 0
	.set _ZN7rocprim17ROCPRIM_400000_NS6detail17trampoline_kernelINS0_14default_configENS1_38merge_sort_block_merge_config_selectorIslEEZZNS1_27merge_sort_block_merge_implIS3_PsN6thrust23THRUST_200600_302600_NS10device_ptrIlEEjNS1_19radix_merge_compareILb0ELb0EsNS0_19identity_decomposerEEEEE10hipError_tT0_T1_T2_jT3_P12ihipStream_tbPNSt15iterator_traitsISG_E10value_typeEPNSM_ISH_E10value_typeEPSI_NS1_7vsmem_tEENKUlT_SG_SH_SI_E_clIS7_S7_PlSB_EESF_SV_SG_SH_SI_EUlSV_E1_NS1_11comp_targetILNS1_3genE8ELNS1_11target_archE1030ELNS1_3gpuE2ELNS1_3repE0EEENS1_36merge_oddeven_config_static_selectorELNS0_4arch9wavefront6targetE1EEEvSH_.num_agpr, 0
	.set _ZN7rocprim17ROCPRIM_400000_NS6detail17trampoline_kernelINS0_14default_configENS1_38merge_sort_block_merge_config_selectorIslEEZZNS1_27merge_sort_block_merge_implIS3_PsN6thrust23THRUST_200600_302600_NS10device_ptrIlEEjNS1_19radix_merge_compareILb0ELb0EsNS0_19identity_decomposerEEEEE10hipError_tT0_T1_T2_jT3_P12ihipStream_tbPNSt15iterator_traitsISG_E10value_typeEPNSM_ISH_E10value_typeEPSI_NS1_7vsmem_tEENKUlT_SG_SH_SI_E_clIS7_S7_PlSB_EESF_SV_SG_SH_SI_EUlSV_E1_NS1_11comp_targetILNS1_3genE8ELNS1_11target_archE1030ELNS1_3gpuE2ELNS1_3repE0EEENS1_36merge_oddeven_config_static_selectorELNS0_4arch9wavefront6targetE1EEEvSH_.numbered_sgpr, 0
	.set _ZN7rocprim17ROCPRIM_400000_NS6detail17trampoline_kernelINS0_14default_configENS1_38merge_sort_block_merge_config_selectorIslEEZZNS1_27merge_sort_block_merge_implIS3_PsN6thrust23THRUST_200600_302600_NS10device_ptrIlEEjNS1_19radix_merge_compareILb0ELb0EsNS0_19identity_decomposerEEEEE10hipError_tT0_T1_T2_jT3_P12ihipStream_tbPNSt15iterator_traitsISG_E10value_typeEPNSM_ISH_E10value_typeEPSI_NS1_7vsmem_tEENKUlT_SG_SH_SI_E_clIS7_S7_PlSB_EESF_SV_SG_SH_SI_EUlSV_E1_NS1_11comp_targetILNS1_3genE8ELNS1_11target_archE1030ELNS1_3gpuE2ELNS1_3repE0EEENS1_36merge_oddeven_config_static_selectorELNS0_4arch9wavefront6targetE1EEEvSH_.num_named_barrier, 0
	.set _ZN7rocprim17ROCPRIM_400000_NS6detail17trampoline_kernelINS0_14default_configENS1_38merge_sort_block_merge_config_selectorIslEEZZNS1_27merge_sort_block_merge_implIS3_PsN6thrust23THRUST_200600_302600_NS10device_ptrIlEEjNS1_19radix_merge_compareILb0ELb0EsNS0_19identity_decomposerEEEEE10hipError_tT0_T1_T2_jT3_P12ihipStream_tbPNSt15iterator_traitsISG_E10value_typeEPNSM_ISH_E10value_typeEPSI_NS1_7vsmem_tEENKUlT_SG_SH_SI_E_clIS7_S7_PlSB_EESF_SV_SG_SH_SI_EUlSV_E1_NS1_11comp_targetILNS1_3genE8ELNS1_11target_archE1030ELNS1_3gpuE2ELNS1_3repE0EEENS1_36merge_oddeven_config_static_selectorELNS0_4arch9wavefront6targetE1EEEvSH_.private_seg_size, 0
	.set _ZN7rocprim17ROCPRIM_400000_NS6detail17trampoline_kernelINS0_14default_configENS1_38merge_sort_block_merge_config_selectorIslEEZZNS1_27merge_sort_block_merge_implIS3_PsN6thrust23THRUST_200600_302600_NS10device_ptrIlEEjNS1_19radix_merge_compareILb0ELb0EsNS0_19identity_decomposerEEEEE10hipError_tT0_T1_T2_jT3_P12ihipStream_tbPNSt15iterator_traitsISG_E10value_typeEPNSM_ISH_E10value_typeEPSI_NS1_7vsmem_tEENKUlT_SG_SH_SI_E_clIS7_S7_PlSB_EESF_SV_SG_SH_SI_EUlSV_E1_NS1_11comp_targetILNS1_3genE8ELNS1_11target_archE1030ELNS1_3gpuE2ELNS1_3repE0EEENS1_36merge_oddeven_config_static_selectorELNS0_4arch9wavefront6targetE1EEEvSH_.uses_vcc, 0
	.set _ZN7rocprim17ROCPRIM_400000_NS6detail17trampoline_kernelINS0_14default_configENS1_38merge_sort_block_merge_config_selectorIslEEZZNS1_27merge_sort_block_merge_implIS3_PsN6thrust23THRUST_200600_302600_NS10device_ptrIlEEjNS1_19radix_merge_compareILb0ELb0EsNS0_19identity_decomposerEEEEE10hipError_tT0_T1_T2_jT3_P12ihipStream_tbPNSt15iterator_traitsISG_E10value_typeEPNSM_ISH_E10value_typeEPSI_NS1_7vsmem_tEENKUlT_SG_SH_SI_E_clIS7_S7_PlSB_EESF_SV_SG_SH_SI_EUlSV_E1_NS1_11comp_targetILNS1_3genE8ELNS1_11target_archE1030ELNS1_3gpuE2ELNS1_3repE0EEENS1_36merge_oddeven_config_static_selectorELNS0_4arch9wavefront6targetE1EEEvSH_.uses_flat_scratch, 0
	.set _ZN7rocprim17ROCPRIM_400000_NS6detail17trampoline_kernelINS0_14default_configENS1_38merge_sort_block_merge_config_selectorIslEEZZNS1_27merge_sort_block_merge_implIS3_PsN6thrust23THRUST_200600_302600_NS10device_ptrIlEEjNS1_19radix_merge_compareILb0ELb0EsNS0_19identity_decomposerEEEEE10hipError_tT0_T1_T2_jT3_P12ihipStream_tbPNSt15iterator_traitsISG_E10value_typeEPNSM_ISH_E10value_typeEPSI_NS1_7vsmem_tEENKUlT_SG_SH_SI_E_clIS7_S7_PlSB_EESF_SV_SG_SH_SI_EUlSV_E1_NS1_11comp_targetILNS1_3genE8ELNS1_11target_archE1030ELNS1_3gpuE2ELNS1_3repE0EEENS1_36merge_oddeven_config_static_selectorELNS0_4arch9wavefront6targetE1EEEvSH_.has_dyn_sized_stack, 0
	.set _ZN7rocprim17ROCPRIM_400000_NS6detail17trampoline_kernelINS0_14default_configENS1_38merge_sort_block_merge_config_selectorIslEEZZNS1_27merge_sort_block_merge_implIS3_PsN6thrust23THRUST_200600_302600_NS10device_ptrIlEEjNS1_19radix_merge_compareILb0ELb0EsNS0_19identity_decomposerEEEEE10hipError_tT0_T1_T2_jT3_P12ihipStream_tbPNSt15iterator_traitsISG_E10value_typeEPNSM_ISH_E10value_typeEPSI_NS1_7vsmem_tEENKUlT_SG_SH_SI_E_clIS7_S7_PlSB_EESF_SV_SG_SH_SI_EUlSV_E1_NS1_11comp_targetILNS1_3genE8ELNS1_11target_archE1030ELNS1_3gpuE2ELNS1_3repE0EEENS1_36merge_oddeven_config_static_selectorELNS0_4arch9wavefront6targetE1EEEvSH_.has_recursion, 0
	.set _ZN7rocprim17ROCPRIM_400000_NS6detail17trampoline_kernelINS0_14default_configENS1_38merge_sort_block_merge_config_selectorIslEEZZNS1_27merge_sort_block_merge_implIS3_PsN6thrust23THRUST_200600_302600_NS10device_ptrIlEEjNS1_19radix_merge_compareILb0ELb0EsNS0_19identity_decomposerEEEEE10hipError_tT0_T1_T2_jT3_P12ihipStream_tbPNSt15iterator_traitsISG_E10value_typeEPNSM_ISH_E10value_typeEPSI_NS1_7vsmem_tEENKUlT_SG_SH_SI_E_clIS7_S7_PlSB_EESF_SV_SG_SH_SI_EUlSV_E1_NS1_11comp_targetILNS1_3genE8ELNS1_11target_archE1030ELNS1_3gpuE2ELNS1_3repE0EEENS1_36merge_oddeven_config_static_selectorELNS0_4arch9wavefront6targetE1EEEvSH_.has_indirect_call, 0
	.section	.AMDGPU.csdata,"",@progbits
; Kernel info:
; codeLenInByte = 0
; TotalNumSgprs: 4
; NumVgprs: 0
; ScratchSize: 0
; MemoryBound: 0
; FloatMode: 240
; IeeeMode: 1
; LDSByteSize: 0 bytes/workgroup (compile time only)
; SGPRBlocks: 0
; VGPRBlocks: 0
; NumSGPRsForWavesPerEU: 4
; NumVGPRsForWavesPerEU: 1
; Occupancy: 10
; WaveLimiterHint : 0
; COMPUTE_PGM_RSRC2:SCRATCH_EN: 0
; COMPUTE_PGM_RSRC2:USER_SGPR: 6
; COMPUTE_PGM_RSRC2:TRAP_HANDLER: 0
; COMPUTE_PGM_RSRC2:TGID_X_EN: 1
; COMPUTE_PGM_RSRC2:TGID_Y_EN: 0
; COMPUTE_PGM_RSRC2:TGID_Z_EN: 0
; COMPUTE_PGM_RSRC2:TIDIG_COMP_CNT: 0
	.section	.text._ZN7rocprim17ROCPRIM_400000_NS6detail17trampoline_kernelINS0_14default_configENS1_38merge_sort_block_merge_config_selectorIslEEZZNS1_27merge_sort_block_merge_implIS3_PsN6thrust23THRUST_200600_302600_NS10device_ptrIlEEjNS1_19radix_merge_compareILb0ELb0EsNS0_19identity_decomposerEEEEE10hipError_tT0_T1_T2_jT3_P12ihipStream_tbPNSt15iterator_traitsISG_E10value_typeEPNSM_ISH_E10value_typeEPSI_NS1_7vsmem_tEENKUlT_SG_SH_SI_E_clIS7_S7_SB_PlEESF_SV_SG_SH_SI_EUlSV_E_NS1_11comp_targetILNS1_3genE0ELNS1_11target_archE4294967295ELNS1_3gpuE0ELNS1_3repE0EEENS1_48merge_mergepath_partition_config_static_selectorELNS0_4arch9wavefront6targetE1EEEvSH_,"axG",@progbits,_ZN7rocprim17ROCPRIM_400000_NS6detail17trampoline_kernelINS0_14default_configENS1_38merge_sort_block_merge_config_selectorIslEEZZNS1_27merge_sort_block_merge_implIS3_PsN6thrust23THRUST_200600_302600_NS10device_ptrIlEEjNS1_19radix_merge_compareILb0ELb0EsNS0_19identity_decomposerEEEEE10hipError_tT0_T1_T2_jT3_P12ihipStream_tbPNSt15iterator_traitsISG_E10value_typeEPNSM_ISH_E10value_typeEPSI_NS1_7vsmem_tEENKUlT_SG_SH_SI_E_clIS7_S7_SB_PlEESF_SV_SG_SH_SI_EUlSV_E_NS1_11comp_targetILNS1_3genE0ELNS1_11target_archE4294967295ELNS1_3gpuE0ELNS1_3repE0EEENS1_48merge_mergepath_partition_config_static_selectorELNS0_4arch9wavefront6targetE1EEEvSH_,comdat
	.protected	_ZN7rocprim17ROCPRIM_400000_NS6detail17trampoline_kernelINS0_14default_configENS1_38merge_sort_block_merge_config_selectorIslEEZZNS1_27merge_sort_block_merge_implIS3_PsN6thrust23THRUST_200600_302600_NS10device_ptrIlEEjNS1_19radix_merge_compareILb0ELb0EsNS0_19identity_decomposerEEEEE10hipError_tT0_T1_T2_jT3_P12ihipStream_tbPNSt15iterator_traitsISG_E10value_typeEPNSM_ISH_E10value_typeEPSI_NS1_7vsmem_tEENKUlT_SG_SH_SI_E_clIS7_S7_SB_PlEESF_SV_SG_SH_SI_EUlSV_E_NS1_11comp_targetILNS1_3genE0ELNS1_11target_archE4294967295ELNS1_3gpuE0ELNS1_3repE0EEENS1_48merge_mergepath_partition_config_static_selectorELNS0_4arch9wavefront6targetE1EEEvSH_ ; -- Begin function _ZN7rocprim17ROCPRIM_400000_NS6detail17trampoline_kernelINS0_14default_configENS1_38merge_sort_block_merge_config_selectorIslEEZZNS1_27merge_sort_block_merge_implIS3_PsN6thrust23THRUST_200600_302600_NS10device_ptrIlEEjNS1_19radix_merge_compareILb0ELb0EsNS0_19identity_decomposerEEEEE10hipError_tT0_T1_T2_jT3_P12ihipStream_tbPNSt15iterator_traitsISG_E10value_typeEPNSM_ISH_E10value_typeEPSI_NS1_7vsmem_tEENKUlT_SG_SH_SI_E_clIS7_S7_SB_PlEESF_SV_SG_SH_SI_EUlSV_E_NS1_11comp_targetILNS1_3genE0ELNS1_11target_archE4294967295ELNS1_3gpuE0ELNS1_3repE0EEENS1_48merge_mergepath_partition_config_static_selectorELNS0_4arch9wavefront6targetE1EEEvSH_
	.globl	_ZN7rocprim17ROCPRIM_400000_NS6detail17trampoline_kernelINS0_14default_configENS1_38merge_sort_block_merge_config_selectorIslEEZZNS1_27merge_sort_block_merge_implIS3_PsN6thrust23THRUST_200600_302600_NS10device_ptrIlEEjNS1_19radix_merge_compareILb0ELb0EsNS0_19identity_decomposerEEEEE10hipError_tT0_T1_T2_jT3_P12ihipStream_tbPNSt15iterator_traitsISG_E10value_typeEPNSM_ISH_E10value_typeEPSI_NS1_7vsmem_tEENKUlT_SG_SH_SI_E_clIS7_S7_SB_PlEESF_SV_SG_SH_SI_EUlSV_E_NS1_11comp_targetILNS1_3genE0ELNS1_11target_archE4294967295ELNS1_3gpuE0ELNS1_3repE0EEENS1_48merge_mergepath_partition_config_static_selectorELNS0_4arch9wavefront6targetE1EEEvSH_
	.p2align	8
	.type	_ZN7rocprim17ROCPRIM_400000_NS6detail17trampoline_kernelINS0_14default_configENS1_38merge_sort_block_merge_config_selectorIslEEZZNS1_27merge_sort_block_merge_implIS3_PsN6thrust23THRUST_200600_302600_NS10device_ptrIlEEjNS1_19radix_merge_compareILb0ELb0EsNS0_19identity_decomposerEEEEE10hipError_tT0_T1_T2_jT3_P12ihipStream_tbPNSt15iterator_traitsISG_E10value_typeEPNSM_ISH_E10value_typeEPSI_NS1_7vsmem_tEENKUlT_SG_SH_SI_E_clIS7_S7_SB_PlEESF_SV_SG_SH_SI_EUlSV_E_NS1_11comp_targetILNS1_3genE0ELNS1_11target_archE4294967295ELNS1_3gpuE0ELNS1_3repE0EEENS1_48merge_mergepath_partition_config_static_selectorELNS0_4arch9wavefront6targetE1EEEvSH_,@function
_ZN7rocprim17ROCPRIM_400000_NS6detail17trampoline_kernelINS0_14default_configENS1_38merge_sort_block_merge_config_selectorIslEEZZNS1_27merge_sort_block_merge_implIS3_PsN6thrust23THRUST_200600_302600_NS10device_ptrIlEEjNS1_19radix_merge_compareILb0ELb0EsNS0_19identity_decomposerEEEEE10hipError_tT0_T1_T2_jT3_P12ihipStream_tbPNSt15iterator_traitsISG_E10value_typeEPNSM_ISH_E10value_typeEPSI_NS1_7vsmem_tEENKUlT_SG_SH_SI_E_clIS7_S7_SB_PlEESF_SV_SG_SH_SI_EUlSV_E_NS1_11comp_targetILNS1_3genE0ELNS1_11target_archE4294967295ELNS1_3gpuE0ELNS1_3repE0EEENS1_48merge_mergepath_partition_config_static_selectorELNS0_4arch9wavefront6targetE1EEEvSH_: ; @_ZN7rocprim17ROCPRIM_400000_NS6detail17trampoline_kernelINS0_14default_configENS1_38merge_sort_block_merge_config_selectorIslEEZZNS1_27merge_sort_block_merge_implIS3_PsN6thrust23THRUST_200600_302600_NS10device_ptrIlEEjNS1_19radix_merge_compareILb0ELb0EsNS0_19identity_decomposerEEEEE10hipError_tT0_T1_T2_jT3_P12ihipStream_tbPNSt15iterator_traitsISG_E10value_typeEPNSM_ISH_E10value_typeEPSI_NS1_7vsmem_tEENKUlT_SG_SH_SI_E_clIS7_S7_SB_PlEESF_SV_SG_SH_SI_EUlSV_E_NS1_11comp_targetILNS1_3genE0ELNS1_11target_archE4294967295ELNS1_3gpuE0ELNS1_3repE0EEENS1_48merge_mergepath_partition_config_static_selectorELNS0_4arch9wavefront6targetE1EEEvSH_
; %bb.0:
	.section	.rodata,"a",@progbits
	.p2align	6, 0x0
	.amdhsa_kernel _ZN7rocprim17ROCPRIM_400000_NS6detail17trampoline_kernelINS0_14default_configENS1_38merge_sort_block_merge_config_selectorIslEEZZNS1_27merge_sort_block_merge_implIS3_PsN6thrust23THRUST_200600_302600_NS10device_ptrIlEEjNS1_19radix_merge_compareILb0ELb0EsNS0_19identity_decomposerEEEEE10hipError_tT0_T1_T2_jT3_P12ihipStream_tbPNSt15iterator_traitsISG_E10value_typeEPNSM_ISH_E10value_typeEPSI_NS1_7vsmem_tEENKUlT_SG_SH_SI_E_clIS7_S7_SB_PlEESF_SV_SG_SH_SI_EUlSV_E_NS1_11comp_targetILNS1_3genE0ELNS1_11target_archE4294967295ELNS1_3gpuE0ELNS1_3repE0EEENS1_48merge_mergepath_partition_config_static_selectorELNS0_4arch9wavefront6targetE1EEEvSH_
		.amdhsa_group_segment_fixed_size 0
		.amdhsa_private_segment_fixed_size 0
		.amdhsa_kernarg_size 40
		.amdhsa_user_sgpr_count 6
		.amdhsa_user_sgpr_private_segment_buffer 1
		.amdhsa_user_sgpr_dispatch_ptr 0
		.amdhsa_user_sgpr_queue_ptr 0
		.amdhsa_user_sgpr_kernarg_segment_ptr 1
		.amdhsa_user_sgpr_dispatch_id 0
		.amdhsa_user_sgpr_flat_scratch_init 0
		.amdhsa_user_sgpr_private_segment_size 0
		.amdhsa_uses_dynamic_stack 0
		.amdhsa_system_sgpr_private_segment_wavefront_offset 0
		.amdhsa_system_sgpr_workgroup_id_x 1
		.amdhsa_system_sgpr_workgroup_id_y 0
		.amdhsa_system_sgpr_workgroup_id_z 0
		.amdhsa_system_sgpr_workgroup_info 0
		.amdhsa_system_vgpr_workitem_id 0
		.amdhsa_next_free_vgpr 1
		.amdhsa_next_free_sgpr 0
		.amdhsa_reserve_vcc 0
		.amdhsa_reserve_flat_scratch 0
		.amdhsa_float_round_mode_32 0
		.amdhsa_float_round_mode_16_64 0
		.amdhsa_float_denorm_mode_32 3
		.amdhsa_float_denorm_mode_16_64 3
		.amdhsa_dx10_clamp 1
		.amdhsa_ieee_mode 1
		.amdhsa_fp16_overflow 0
		.amdhsa_exception_fp_ieee_invalid_op 0
		.amdhsa_exception_fp_denorm_src 0
		.amdhsa_exception_fp_ieee_div_zero 0
		.amdhsa_exception_fp_ieee_overflow 0
		.amdhsa_exception_fp_ieee_underflow 0
		.amdhsa_exception_fp_ieee_inexact 0
		.amdhsa_exception_int_div_zero 0
	.end_amdhsa_kernel
	.section	.text._ZN7rocprim17ROCPRIM_400000_NS6detail17trampoline_kernelINS0_14default_configENS1_38merge_sort_block_merge_config_selectorIslEEZZNS1_27merge_sort_block_merge_implIS3_PsN6thrust23THRUST_200600_302600_NS10device_ptrIlEEjNS1_19radix_merge_compareILb0ELb0EsNS0_19identity_decomposerEEEEE10hipError_tT0_T1_T2_jT3_P12ihipStream_tbPNSt15iterator_traitsISG_E10value_typeEPNSM_ISH_E10value_typeEPSI_NS1_7vsmem_tEENKUlT_SG_SH_SI_E_clIS7_S7_SB_PlEESF_SV_SG_SH_SI_EUlSV_E_NS1_11comp_targetILNS1_3genE0ELNS1_11target_archE4294967295ELNS1_3gpuE0ELNS1_3repE0EEENS1_48merge_mergepath_partition_config_static_selectorELNS0_4arch9wavefront6targetE1EEEvSH_,"axG",@progbits,_ZN7rocprim17ROCPRIM_400000_NS6detail17trampoline_kernelINS0_14default_configENS1_38merge_sort_block_merge_config_selectorIslEEZZNS1_27merge_sort_block_merge_implIS3_PsN6thrust23THRUST_200600_302600_NS10device_ptrIlEEjNS1_19radix_merge_compareILb0ELb0EsNS0_19identity_decomposerEEEEE10hipError_tT0_T1_T2_jT3_P12ihipStream_tbPNSt15iterator_traitsISG_E10value_typeEPNSM_ISH_E10value_typeEPSI_NS1_7vsmem_tEENKUlT_SG_SH_SI_E_clIS7_S7_SB_PlEESF_SV_SG_SH_SI_EUlSV_E_NS1_11comp_targetILNS1_3genE0ELNS1_11target_archE4294967295ELNS1_3gpuE0ELNS1_3repE0EEENS1_48merge_mergepath_partition_config_static_selectorELNS0_4arch9wavefront6targetE1EEEvSH_,comdat
.Lfunc_end1300:
	.size	_ZN7rocprim17ROCPRIM_400000_NS6detail17trampoline_kernelINS0_14default_configENS1_38merge_sort_block_merge_config_selectorIslEEZZNS1_27merge_sort_block_merge_implIS3_PsN6thrust23THRUST_200600_302600_NS10device_ptrIlEEjNS1_19radix_merge_compareILb0ELb0EsNS0_19identity_decomposerEEEEE10hipError_tT0_T1_T2_jT3_P12ihipStream_tbPNSt15iterator_traitsISG_E10value_typeEPNSM_ISH_E10value_typeEPSI_NS1_7vsmem_tEENKUlT_SG_SH_SI_E_clIS7_S7_SB_PlEESF_SV_SG_SH_SI_EUlSV_E_NS1_11comp_targetILNS1_3genE0ELNS1_11target_archE4294967295ELNS1_3gpuE0ELNS1_3repE0EEENS1_48merge_mergepath_partition_config_static_selectorELNS0_4arch9wavefront6targetE1EEEvSH_, .Lfunc_end1300-_ZN7rocprim17ROCPRIM_400000_NS6detail17trampoline_kernelINS0_14default_configENS1_38merge_sort_block_merge_config_selectorIslEEZZNS1_27merge_sort_block_merge_implIS3_PsN6thrust23THRUST_200600_302600_NS10device_ptrIlEEjNS1_19radix_merge_compareILb0ELb0EsNS0_19identity_decomposerEEEEE10hipError_tT0_T1_T2_jT3_P12ihipStream_tbPNSt15iterator_traitsISG_E10value_typeEPNSM_ISH_E10value_typeEPSI_NS1_7vsmem_tEENKUlT_SG_SH_SI_E_clIS7_S7_SB_PlEESF_SV_SG_SH_SI_EUlSV_E_NS1_11comp_targetILNS1_3genE0ELNS1_11target_archE4294967295ELNS1_3gpuE0ELNS1_3repE0EEENS1_48merge_mergepath_partition_config_static_selectorELNS0_4arch9wavefront6targetE1EEEvSH_
                                        ; -- End function
	.set _ZN7rocprim17ROCPRIM_400000_NS6detail17trampoline_kernelINS0_14default_configENS1_38merge_sort_block_merge_config_selectorIslEEZZNS1_27merge_sort_block_merge_implIS3_PsN6thrust23THRUST_200600_302600_NS10device_ptrIlEEjNS1_19radix_merge_compareILb0ELb0EsNS0_19identity_decomposerEEEEE10hipError_tT0_T1_T2_jT3_P12ihipStream_tbPNSt15iterator_traitsISG_E10value_typeEPNSM_ISH_E10value_typeEPSI_NS1_7vsmem_tEENKUlT_SG_SH_SI_E_clIS7_S7_SB_PlEESF_SV_SG_SH_SI_EUlSV_E_NS1_11comp_targetILNS1_3genE0ELNS1_11target_archE4294967295ELNS1_3gpuE0ELNS1_3repE0EEENS1_48merge_mergepath_partition_config_static_selectorELNS0_4arch9wavefront6targetE1EEEvSH_.num_vgpr, 0
	.set _ZN7rocprim17ROCPRIM_400000_NS6detail17trampoline_kernelINS0_14default_configENS1_38merge_sort_block_merge_config_selectorIslEEZZNS1_27merge_sort_block_merge_implIS3_PsN6thrust23THRUST_200600_302600_NS10device_ptrIlEEjNS1_19radix_merge_compareILb0ELb0EsNS0_19identity_decomposerEEEEE10hipError_tT0_T1_T2_jT3_P12ihipStream_tbPNSt15iterator_traitsISG_E10value_typeEPNSM_ISH_E10value_typeEPSI_NS1_7vsmem_tEENKUlT_SG_SH_SI_E_clIS7_S7_SB_PlEESF_SV_SG_SH_SI_EUlSV_E_NS1_11comp_targetILNS1_3genE0ELNS1_11target_archE4294967295ELNS1_3gpuE0ELNS1_3repE0EEENS1_48merge_mergepath_partition_config_static_selectorELNS0_4arch9wavefront6targetE1EEEvSH_.num_agpr, 0
	.set _ZN7rocprim17ROCPRIM_400000_NS6detail17trampoline_kernelINS0_14default_configENS1_38merge_sort_block_merge_config_selectorIslEEZZNS1_27merge_sort_block_merge_implIS3_PsN6thrust23THRUST_200600_302600_NS10device_ptrIlEEjNS1_19radix_merge_compareILb0ELb0EsNS0_19identity_decomposerEEEEE10hipError_tT0_T1_T2_jT3_P12ihipStream_tbPNSt15iterator_traitsISG_E10value_typeEPNSM_ISH_E10value_typeEPSI_NS1_7vsmem_tEENKUlT_SG_SH_SI_E_clIS7_S7_SB_PlEESF_SV_SG_SH_SI_EUlSV_E_NS1_11comp_targetILNS1_3genE0ELNS1_11target_archE4294967295ELNS1_3gpuE0ELNS1_3repE0EEENS1_48merge_mergepath_partition_config_static_selectorELNS0_4arch9wavefront6targetE1EEEvSH_.numbered_sgpr, 0
	.set _ZN7rocprim17ROCPRIM_400000_NS6detail17trampoline_kernelINS0_14default_configENS1_38merge_sort_block_merge_config_selectorIslEEZZNS1_27merge_sort_block_merge_implIS3_PsN6thrust23THRUST_200600_302600_NS10device_ptrIlEEjNS1_19radix_merge_compareILb0ELb0EsNS0_19identity_decomposerEEEEE10hipError_tT0_T1_T2_jT3_P12ihipStream_tbPNSt15iterator_traitsISG_E10value_typeEPNSM_ISH_E10value_typeEPSI_NS1_7vsmem_tEENKUlT_SG_SH_SI_E_clIS7_S7_SB_PlEESF_SV_SG_SH_SI_EUlSV_E_NS1_11comp_targetILNS1_3genE0ELNS1_11target_archE4294967295ELNS1_3gpuE0ELNS1_3repE0EEENS1_48merge_mergepath_partition_config_static_selectorELNS0_4arch9wavefront6targetE1EEEvSH_.num_named_barrier, 0
	.set _ZN7rocprim17ROCPRIM_400000_NS6detail17trampoline_kernelINS0_14default_configENS1_38merge_sort_block_merge_config_selectorIslEEZZNS1_27merge_sort_block_merge_implIS3_PsN6thrust23THRUST_200600_302600_NS10device_ptrIlEEjNS1_19radix_merge_compareILb0ELb0EsNS0_19identity_decomposerEEEEE10hipError_tT0_T1_T2_jT3_P12ihipStream_tbPNSt15iterator_traitsISG_E10value_typeEPNSM_ISH_E10value_typeEPSI_NS1_7vsmem_tEENKUlT_SG_SH_SI_E_clIS7_S7_SB_PlEESF_SV_SG_SH_SI_EUlSV_E_NS1_11comp_targetILNS1_3genE0ELNS1_11target_archE4294967295ELNS1_3gpuE0ELNS1_3repE0EEENS1_48merge_mergepath_partition_config_static_selectorELNS0_4arch9wavefront6targetE1EEEvSH_.private_seg_size, 0
	.set _ZN7rocprim17ROCPRIM_400000_NS6detail17trampoline_kernelINS0_14default_configENS1_38merge_sort_block_merge_config_selectorIslEEZZNS1_27merge_sort_block_merge_implIS3_PsN6thrust23THRUST_200600_302600_NS10device_ptrIlEEjNS1_19radix_merge_compareILb0ELb0EsNS0_19identity_decomposerEEEEE10hipError_tT0_T1_T2_jT3_P12ihipStream_tbPNSt15iterator_traitsISG_E10value_typeEPNSM_ISH_E10value_typeEPSI_NS1_7vsmem_tEENKUlT_SG_SH_SI_E_clIS7_S7_SB_PlEESF_SV_SG_SH_SI_EUlSV_E_NS1_11comp_targetILNS1_3genE0ELNS1_11target_archE4294967295ELNS1_3gpuE0ELNS1_3repE0EEENS1_48merge_mergepath_partition_config_static_selectorELNS0_4arch9wavefront6targetE1EEEvSH_.uses_vcc, 0
	.set _ZN7rocprim17ROCPRIM_400000_NS6detail17trampoline_kernelINS0_14default_configENS1_38merge_sort_block_merge_config_selectorIslEEZZNS1_27merge_sort_block_merge_implIS3_PsN6thrust23THRUST_200600_302600_NS10device_ptrIlEEjNS1_19radix_merge_compareILb0ELb0EsNS0_19identity_decomposerEEEEE10hipError_tT0_T1_T2_jT3_P12ihipStream_tbPNSt15iterator_traitsISG_E10value_typeEPNSM_ISH_E10value_typeEPSI_NS1_7vsmem_tEENKUlT_SG_SH_SI_E_clIS7_S7_SB_PlEESF_SV_SG_SH_SI_EUlSV_E_NS1_11comp_targetILNS1_3genE0ELNS1_11target_archE4294967295ELNS1_3gpuE0ELNS1_3repE0EEENS1_48merge_mergepath_partition_config_static_selectorELNS0_4arch9wavefront6targetE1EEEvSH_.uses_flat_scratch, 0
	.set _ZN7rocprim17ROCPRIM_400000_NS6detail17trampoline_kernelINS0_14default_configENS1_38merge_sort_block_merge_config_selectorIslEEZZNS1_27merge_sort_block_merge_implIS3_PsN6thrust23THRUST_200600_302600_NS10device_ptrIlEEjNS1_19radix_merge_compareILb0ELb0EsNS0_19identity_decomposerEEEEE10hipError_tT0_T1_T2_jT3_P12ihipStream_tbPNSt15iterator_traitsISG_E10value_typeEPNSM_ISH_E10value_typeEPSI_NS1_7vsmem_tEENKUlT_SG_SH_SI_E_clIS7_S7_SB_PlEESF_SV_SG_SH_SI_EUlSV_E_NS1_11comp_targetILNS1_3genE0ELNS1_11target_archE4294967295ELNS1_3gpuE0ELNS1_3repE0EEENS1_48merge_mergepath_partition_config_static_selectorELNS0_4arch9wavefront6targetE1EEEvSH_.has_dyn_sized_stack, 0
	.set _ZN7rocprim17ROCPRIM_400000_NS6detail17trampoline_kernelINS0_14default_configENS1_38merge_sort_block_merge_config_selectorIslEEZZNS1_27merge_sort_block_merge_implIS3_PsN6thrust23THRUST_200600_302600_NS10device_ptrIlEEjNS1_19radix_merge_compareILb0ELb0EsNS0_19identity_decomposerEEEEE10hipError_tT0_T1_T2_jT3_P12ihipStream_tbPNSt15iterator_traitsISG_E10value_typeEPNSM_ISH_E10value_typeEPSI_NS1_7vsmem_tEENKUlT_SG_SH_SI_E_clIS7_S7_SB_PlEESF_SV_SG_SH_SI_EUlSV_E_NS1_11comp_targetILNS1_3genE0ELNS1_11target_archE4294967295ELNS1_3gpuE0ELNS1_3repE0EEENS1_48merge_mergepath_partition_config_static_selectorELNS0_4arch9wavefront6targetE1EEEvSH_.has_recursion, 0
	.set _ZN7rocprim17ROCPRIM_400000_NS6detail17trampoline_kernelINS0_14default_configENS1_38merge_sort_block_merge_config_selectorIslEEZZNS1_27merge_sort_block_merge_implIS3_PsN6thrust23THRUST_200600_302600_NS10device_ptrIlEEjNS1_19radix_merge_compareILb0ELb0EsNS0_19identity_decomposerEEEEE10hipError_tT0_T1_T2_jT3_P12ihipStream_tbPNSt15iterator_traitsISG_E10value_typeEPNSM_ISH_E10value_typeEPSI_NS1_7vsmem_tEENKUlT_SG_SH_SI_E_clIS7_S7_SB_PlEESF_SV_SG_SH_SI_EUlSV_E_NS1_11comp_targetILNS1_3genE0ELNS1_11target_archE4294967295ELNS1_3gpuE0ELNS1_3repE0EEENS1_48merge_mergepath_partition_config_static_selectorELNS0_4arch9wavefront6targetE1EEEvSH_.has_indirect_call, 0
	.section	.AMDGPU.csdata,"",@progbits
; Kernel info:
; codeLenInByte = 0
; TotalNumSgprs: 4
; NumVgprs: 0
; ScratchSize: 0
; MemoryBound: 0
; FloatMode: 240
; IeeeMode: 1
; LDSByteSize: 0 bytes/workgroup (compile time only)
; SGPRBlocks: 0
; VGPRBlocks: 0
; NumSGPRsForWavesPerEU: 4
; NumVGPRsForWavesPerEU: 1
; Occupancy: 10
; WaveLimiterHint : 0
; COMPUTE_PGM_RSRC2:SCRATCH_EN: 0
; COMPUTE_PGM_RSRC2:USER_SGPR: 6
; COMPUTE_PGM_RSRC2:TRAP_HANDLER: 0
; COMPUTE_PGM_RSRC2:TGID_X_EN: 1
; COMPUTE_PGM_RSRC2:TGID_Y_EN: 0
; COMPUTE_PGM_RSRC2:TGID_Z_EN: 0
; COMPUTE_PGM_RSRC2:TIDIG_COMP_CNT: 0
	.section	.text._ZN7rocprim17ROCPRIM_400000_NS6detail17trampoline_kernelINS0_14default_configENS1_38merge_sort_block_merge_config_selectorIslEEZZNS1_27merge_sort_block_merge_implIS3_PsN6thrust23THRUST_200600_302600_NS10device_ptrIlEEjNS1_19radix_merge_compareILb0ELb0EsNS0_19identity_decomposerEEEEE10hipError_tT0_T1_T2_jT3_P12ihipStream_tbPNSt15iterator_traitsISG_E10value_typeEPNSM_ISH_E10value_typeEPSI_NS1_7vsmem_tEENKUlT_SG_SH_SI_E_clIS7_S7_SB_PlEESF_SV_SG_SH_SI_EUlSV_E_NS1_11comp_targetILNS1_3genE10ELNS1_11target_archE1201ELNS1_3gpuE5ELNS1_3repE0EEENS1_48merge_mergepath_partition_config_static_selectorELNS0_4arch9wavefront6targetE1EEEvSH_,"axG",@progbits,_ZN7rocprim17ROCPRIM_400000_NS6detail17trampoline_kernelINS0_14default_configENS1_38merge_sort_block_merge_config_selectorIslEEZZNS1_27merge_sort_block_merge_implIS3_PsN6thrust23THRUST_200600_302600_NS10device_ptrIlEEjNS1_19radix_merge_compareILb0ELb0EsNS0_19identity_decomposerEEEEE10hipError_tT0_T1_T2_jT3_P12ihipStream_tbPNSt15iterator_traitsISG_E10value_typeEPNSM_ISH_E10value_typeEPSI_NS1_7vsmem_tEENKUlT_SG_SH_SI_E_clIS7_S7_SB_PlEESF_SV_SG_SH_SI_EUlSV_E_NS1_11comp_targetILNS1_3genE10ELNS1_11target_archE1201ELNS1_3gpuE5ELNS1_3repE0EEENS1_48merge_mergepath_partition_config_static_selectorELNS0_4arch9wavefront6targetE1EEEvSH_,comdat
	.protected	_ZN7rocprim17ROCPRIM_400000_NS6detail17trampoline_kernelINS0_14default_configENS1_38merge_sort_block_merge_config_selectorIslEEZZNS1_27merge_sort_block_merge_implIS3_PsN6thrust23THRUST_200600_302600_NS10device_ptrIlEEjNS1_19radix_merge_compareILb0ELb0EsNS0_19identity_decomposerEEEEE10hipError_tT0_T1_T2_jT3_P12ihipStream_tbPNSt15iterator_traitsISG_E10value_typeEPNSM_ISH_E10value_typeEPSI_NS1_7vsmem_tEENKUlT_SG_SH_SI_E_clIS7_S7_SB_PlEESF_SV_SG_SH_SI_EUlSV_E_NS1_11comp_targetILNS1_3genE10ELNS1_11target_archE1201ELNS1_3gpuE5ELNS1_3repE0EEENS1_48merge_mergepath_partition_config_static_selectorELNS0_4arch9wavefront6targetE1EEEvSH_ ; -- Begin function _ZN7rocprim17ROCPRIM_400000_NS6detail17trampoline_kernelINS0_14default_configENS1_38merge_sort_block_merge_config_selectorIslEEZZNS1_27merge_sort_block_merge_implIS3_PsN6thrust23THRUST_200600_302600_NS10device_ptrIlEEjNS1_19radix_merge_compareILb0ELb0EsNS0_19identity_decomposerEEEEE10hipError_tT0_T1_T2_jT3_P12ihipStream_tbPNSt15iterator_traitsISG_E10value_typeEPNSM_ISH_E10value_typeEPSI_NS1_7vsmem_tEENKUlT_SG_SH_SI_E_clIS7_S7_SB_PlEESF_SV_SG_SH_SI_EUlSV_E_NS1_11comp_targetILNS1_3genE10ELNS1_11target_archE1201ELNS1_3gpuE5ELNS1_3repE0EEENS1_48merge_mergepath_partition_config_static_selectorELNS0_4arch9wavefront6targetE1EEEvSH_
	.globl	_ZN7rocprim17ROCPRIM_400000_NS6detail17trampoline_kernelINS0_14default_configENS1_38merge_sort_block_merge_config_selectorIslEEZZNS1_27merge_sort_block_merge_implIS3_PsN6thrust23THRUST_200600_302600_NS10device_ptrIlEEjNS1_19radix_merge_compareILb0ELb0EsNS0_19identity_decomposerEEEEE10hipError_tT0_T1_T2_jT3_P12ihipStream_tbPNSt15iterator_traitsISG_E10value_typeEPNSM_ISH_E10value_typeEPSI_NS1_7vsmem_tEENKUlT_SG_SH_SI_E_clIS7_S7_SB_PlEESF_SV_SG_SH_SI_EUlSV_E_NS1_11comp_targetILNS1_3genE10ELNS1_11target_archE1201ELNS1_3gpuE5ELNS1_3repE0EEENS1_48merge_mergepath_partition_config_static_selectorELNS0_4arch9wavefront6targetE1EEEvSH_
	.p2align	8
	.type	_ZN7rocprim17ROCPRIM_400000_NS6detail17trampoline_kernelINS0_14default_configENS1_38merge_sort_block_merge_config_selectorIslEEZZNS1_27merge_sort_block_merge_implIS3_PsN6thrust23THRUST_200600_302600_NS10device_ptrIlEEjNS1_19radix_merge_compareILb0ELb0EsNS0_19identity_decomposerEEEEE10hipError_tT0_T1_T2_jT3_P12ihipStream_tbPNSt15iterator_traitsISG_E10value_typeEPNSM_ISH_E10value_typeEPSI_NS1_7vsmem_tEENKUlT_SG_SH_SI_E_clIS7_S7_SB_PlEESF_SV_SG_SH_SI_EUlSV_E_NS1_11comp_targetILNS1_3genE10ELNS1_11target_archE1201ELNS1_3gpuE5ELNS1_3repE0EEENS1_48merge_mergepath_partition_config_static_selectorELNS0_4arch9wavefront6targetE1EEEvSH_,@function
_ZN7rocprim17ROCPRIM_400000_NS6detail17trampoline_kernelINS0_14default_configENS1_38merge_sort_block_merge_config_selectorIslEEZZNS1_27merge_sort_block_merge_implIS3_PsN6thrust23THRUST_200600_302600_NS10device_ptrIlEEjNS1_19radix_merge_compareILb0ELb0EsNS0_19identity_decomposerEEEEE10hipError_tT0_T1_T2_jT3_P12ihipStream_tbPNSt15iterator_traitsISG_E10value_typeEPNSM_ISH_E10value_typeEPSI_NS1_7vsmem_tEENKUlT_SG_SH_SI_E_clIS7_S7_SB_PlEESF_SV_SG_SH_SI_EUlSV_E_NS1_11comp_targetILNS1_3genE10ELNS1_11target_archE1201ELNS1_3gpuE5ELNS1_3repE0EEENS1_48merge_mergepath_partition_config_static_selectorELNS0_4arch9wavefront6targetE1EEEvSH_: ; @_ZN7rocprim17ROCPRIM_400000_NS6detail17trampoline_kernelINS0_14default_configENS1_38merge_sort_block_merge_config_selectorIslEEZZNS1_27merge_sort_block_merge_implIS3_PsN6thrust23THRUST_200600_302600_NS10device_ptrIlEEjNS1_19radix_merge_compareILb0ELb0EsNS0_19identity_decomposerEEEEE10hipError_tT0_T1_T2_jT3_P12ihipStream_tbPNSt15iterator_traitsISG_E10value_typeEPNSM_ISH_E10value_typeEPSI_NS1_7vsmem_tEENKUlT_SG_SH_SI_E_clIS7_S7_SB_PlEESF_SV_SG_SH_SI_EUlSV_E_NS1_11comp_targetILNS1_3genE10ELNS1_11target_archE1201ELNS1_3gpuE5ELNS1_3repE0EEENS1_48merge_mergepath_partition_config_static_selectorELNS0_4arch9wavefront6targetE1EEEvSH_
; %bb.0:
	.section	.rodata,"a",@progbits
	.p2align	6, 0x0
	.amdhsa_kernel _ZN7rocprim17ROCPRIM_400000_NS6detail17trampoline_kernelINS0_14default_configENS1_38merge_sort_block_merge_config_selectorIslEEZZNS1_27merge_sort_block_merge_implIS3_PsN6thrust23THRUST_200600_302600_NS10device_ptrIlEEjNS1_19radix_merge_compareILb0ELb0EsNS0_19identity_decomposerEEEEE10hipError_tT0_T1_T2_jT3_P12ihipStream_tbPNSt15iterator_traitsISG_E10value_typeEPNSM_ISH_E10value_typeEPSI_NS1_7vsmem_tEENKUlT_SG_SH_SI_E_clIS7_S7_SB_PlEESF_SV_SG_SH_SI_EUlSV_E_NS1_11comp_targetILNS1_3genE10ELNS1_11target_archE1201ELNS1_3gpuE5ELNS1_3repE0EEENS1_48merge_mergepath_partition_config_static_selectorELNS0_4arch9wavefront6targetE1EEEvSH_
		.amdhsa_group_segment_fixed_size 0
		.amdhsa_private_segment_fixed_size 0
		.amdhsa_kernarg_size 40
		.amdhsa_user_sgpr_count 6
		.amdhsa_user_sgpr_private_segment_buffer 1
		.amdhsa_user_sgpr_dispatch_ptr 0
		.amdhsa_user_sgpr_queue_ptr 0
		.amdhsa_user_sgpr_kernarg_segment_ptr 1
		.amdhsa_user_sgpr_dispatch_id 0
		.amdhsa_user_sgpr_flat_scratch_init 0
		.amdhsa_user_sgpr_private_segment_size 0
		.amdhsa_uses_dynamic_stack 0
		.amdhsa_system_sgpr_private_segment_wavefront_offset 0
		.amdhsa_system_sgpr_workgroup_id_x 1
		.amdhsa_system_sgpr_workgroup_id_y 0
		.amdhsa_system_sgpr_workgroup_id_z 0
		.amdhsa_system_sgpr_workgroup_info 0
		.amdhsa_system_vgpr_workitem_id 0
		.amdhsa_next_free_vgpr 1
		.amdhsa_next_free_sgpr 0
		.amdhsa_reserve_vcc 0
		.amdhsa_reserve_flat_scratch 0
		.amdhsa_float_round_mode_32 0
		.amdhsa_float_round_mode_16_64 0
		.amdhsa_float_denorm_mode_32 3
		.amdhsa_float_denorm_mode_16_64 3
		.amdhsa_dx10_clamp 1
		.amdhsa_ieee_mode 1
		.amdhsa_fp16_overflow 0
		.amdhsa_exception_fp_ieee_invalid_op 0
		.amdhsa_exception_fp_denorm_src 0
		.amdhsa_exception_fp_ieee_div_zero 0
		.amdhsa_exception_fp_ieee_overflow 0
		.amdhsa_exception_fp_ieee_underflow 0
		.amdhsa_exception_fp_ieee_inexact 0
		.amdhsa_exception_int_div_zero 0
	.end_amdhsa_kernel
	.section	.text._ZN7rocprim17ROCPRIM_400000_NS6detail17trampoline_kernelINS0_14default_configENS1_38merge_sort_block_merge_config_selectorIslEEZZNS1_27merge_sort_block_merge_implIS3_PsN6thrust23THRUST_200600_302600_NS10device_ptrIlEEjNS1_19radix_merge_compareILb0ELb0EsNS0_19identity_decomposerEEEEE10hipError_tT0_T1_T2_jT3_P12ihipStream_tbPNSt15iterator_traitsISG_E10value_typeEPNSM_ISH_E10value_typeEPSI_NS1_7vsmem_tEENKUlT_SG_SH_SI_E_clIS7_S7_SB_PlEESF_SV_SG_SH_SI_EUlSV_E_NS1_11comp_targetILNS1_3genE10ELNS1_11target_archE1201ELNS1_3gpuE5ELNS1_3repE0EEENS1_48merge_mergepath_partition_config_static_selectorELNS0_4arch9wavefront6targetE1EEEvSH_,"axG",@progbits,_ZN7rocprim17ROCPRIM_400000_NS6detail17trampoline_kernelINS0_14default_configENS1_38merge_sort_block_merge_config_selectorIslEEZZNS1_27merge_sort_block_merge_implIS3_PsN6thrust23THRUST_200600_302600_NS10device_ptrIlEEjNS1_19radix_merge_compareILb0ELb0EsNS0_19identity_decomposerEEEEE10hipError_tT0_T1_T2_jT3_P12ihipStream_tbPNSt15iterator_traitsISG_E10value_typeEPNSM_ISH_E10value_typeEPSI_NS1_7vsmem_tEENKUlT_SG_SH_SI_E_clIS7_S7_SB_PlEESF_SV_SG_SH_SI_EUlSV_E_NS1_11comp_targetILNS1_3genE10ELNS1_11target_archE1201ELNS1_3gpuE5ELNS1_3repE0EEENS1_48merge_mergepath_partition_config_static_selectorELNS0_4arch9wavefront6targetE1EEEvSH_,comdat
.Lfunc_end1301:
	.size	_ZN7rocprim17ROCPRIM_400000_NS6detail17trampoline_kernelINS0_14default_configENS1_38merge_sort_block_merge_config_selectorIslEEZZNS1_27merge_sort_block_merge_implIS3_PsN6thrust23THRUST_200600_302600_NS10device_ptrIlEEjNS1_19radix_merge_compareILb0ELb0EsNS0_19identity_decomposerEEEEE10hipError_tT0_T1_T2_jT3_P12ihipStream_tbPNSt15iterator_traitsISG_E10value_typeEPNSM_ISH_E10value_typeEPSI_NS1_7vsmem_tEENKUlT_SG_SH_SI_E_clIS7_S7_SB_PlEESF_SV_SG_SH_SI_EUlSV_E_NS1_11comp_targetILNS1_3genE10ELNS1_11target_archE1201ELNS1_3gpuE5ELNS1_3repE0EEENS1_48merge_mergepath_partition_config_static_selectorELNS0_4arch9wavefront6targetE1EEEvSH_, .Lfunc_end1301-_ZN7rocprim17ROCPRIM_400000_NS6detail17trampoline_kernelINS0_14default_configENS1_38merge_sort_block_merge_config_selectorIslEEZZNS1_27merge_sort_block_merge_implIS3_PsN6thrust23THRUST_200600_302600_NS10device_ptrIlEEjNS1_19radix_merge_compareILb0ELb0EsNS0_19identity_decomposerEEEEE10hipError_tT0_T1_T2_jT3_P12ihipStream_tbPNSt15iterator_traitsISG_E10value_typeEPNSM_ISH_E10value_typeEPSI_NS1_7vsmem_tEENKUlT_SG_SH_SI_E_clIS7_S7_SB_PlEESF_SV_SG_SH_SI_EUlSV_E_NS1_11comp_targetILNS1_3genE10ELNS1_11target_archE1201ELNS1_3gpuE5ELNS1_3repE0EEENS1_48merge_mergepath_partition_config_static_selectorELNS0_4arch9wavefront6targetE1EEEvSH_
                                        ; -- End function
	.set _ZN7rocprim17ROCPRIM_400000_NS6detail17trampoline_kernelINS0_14default_configENS1_38merge_sort_block_merge_config_selectorIslEEZZNS1_27merge_sort_block_merge_implIS3_PsN6thrust23THRUST_200600_302600_NS10device_ptrIlEEjNS1_19radix_merge_compareILb0ELb0EsNS0_19identity_decomposerEEEEE10hipError_tT0_T1_T2_jT3_P12ihipStream_tbPNSt15iterator_traitsISG_E10value_typeEPNSM_ISH_E10value_typeEPSI_NS1_7vsmem_tEENKUlT_SG_SH_SI_E_clIS7_S7_SB_PlEESF_SV_SG_SH_SI_EUlSV_E_NS1_11comp_targetILNS1_3genE10ELNS1_11target_archE1201ELNS1_3gpuE5ELNS1_3repE0EEENS1_48merge_mergepath_partition_config_static_selectorELNS0_4arch9wavefront6targetE1EEEvSH_.num_vgpr, 0
	.set _ZN7rocprim17ROCPRIM_400000_NS6detail17trampoline_kernelINS0_14default_configENS1_38merge_sort_block_merge_config_selectorIslEEZZNS1_27merge_sort_block_merge_implIS3_PsN6thrust23THRUST_200600_302600_NS10device_ptrIlEEjNS1_19radix_merge_compareILb0ELb0EsNS0_19identity_decomposerEEEEE10hipError_tT0_T1_T2_jT3_P12ihipStream_tbPNSt15iterator_traitsISG_E10value_typeEPNSM_ISH_E10value_typeEPSI_NS1_7vsmem_tEENKUlT_SG_SH_SI_E_clIS7_S7_SB_PlEESF_SV_SG_SH_SI_EUlSV_E_NS1_11comp_targetILNS1_3genE10ELNS1_11target_archE1201ELNS1_3gpuE5ELNS1_3repE0EEENS1_48merge_mergepath_partition_config_static_selectorELNS0_4arch9wavefront6targetE1EEEvSH_.num_agpr, 0
	.set _ZN7rocprim17ROCPRIM_400000_NS6detail17trampoline_kernelINS0_14default_configENS1_38merge_sort_block_merge_config_selectorIslEEZZNS1_27merge_sort_block_merge_implIS3_PsN6thrust23THRUST_200600_302600_NS10device_ptrIlEEjNS1_19radix_merge_compareILb0ELb0EsNS0_19identity_decomposerEEEEE10hipError_tT0_T1_T2_jT3_P12ihipStream_tbPNSt15iterator_traitsISG_E10value_typeEPNSM_ISH_E10value_typeEPSI_NS1_7vsmem_tEENKUlT_SG_SH_SI_E_clIS7_S7_SB_PlEESF_SV_SG_SH_SI_EUlSV_E_NS1_11comp_targetILNS1_3genE10ELNS1_11target_archE1201ELNS1_3gpuE5ELNS1_3repE0EEENS1_48merge_mergepath_partition_config_static_selectorELNS0_4arch9wavefront6targetE1EEEvSH_.numbered_sgpr, 0
	.set _ZN7rocprim17ROCPRIM_400000_NS6detail17trampoline_kernelINS0_14default_configENS1_38merge_sort_block_merge_config_selectorIslEEZZNS1_27merge_sort_block_merge_implIS3_PsN6thrust23THRUST_200600_302600_NS10device_ptrIlEEjNS1_19radix_merge_compareILb0ELb0EsNS0_19identity_decomposerEEEEE10hipError_tT0_T1_T2_jT3_P12ihipStream_tbPNSt15iterator_traitsISG_E10value_typeEPNSM_ISH_E10value_typeEPSI_NS1_7vsmem_tEENKUlT_SG_SH_SI_E_clIS7_S7_SB_PlEESF_SV_SG_SH_SI_EUlSV_E_NS1_11comp_targetILNS1_3genE10ELNS1_11target_archE1201ELNS1_3gpuE5ELNS1_3repE0EEENS1_48merge_mergepath_partition_config_static_selectorELNS0_4arch9wavefront6targetE1EEEvSH_.num_named_barrier, 0
	.set _ZN7rocprim17ROCPRIM_400000_NS6detail17trampoline_kernelINS0_14default_configENS1_38merge_sort_block_merge_config_selectorIslEEZZNS1_27merge_sort_block_merge_implIS3_PsN6thrust23THRUST_200600_302600_NS10device_ptrIlEEjNS1_19radix_merge_compareILb0ELb0EsNS0_19identity_decomposerEEEEE10hipError_tT0_T1_T2_jT3_P12ihipStream_tbPNSt15iterator_traitsISG_E10value_typeEPNSM_ISH_E10value_typeEPSI_NS1_7vsmem_tEENKUlT_SG_SH_SI_E_clIS7_S7_SB_PlEESF_SV_SG_SH_SI_EUlSV_E_NS1_11comp_targetILNS1_3genE10ELNS1_11target_archE1201ELNS1_3gpuE5ELNS1_3repE0EEENS1_48merge_mergepath_partition_config_static_selectorELNS0_4arch9wavefront6targetE1EEEvSH_.private_seg_size, 0
	.set _ZN7rocprim17ROCPRIM_400000_NS6detail17trampoline_kernelINS0_14default_configENS1_38merge_sort_block_merge_config_selectorIslEEZZNS1_27merge_sort_block_merge_implIS3_PsN6thrust23THRUST_200600_302600_NS10device_ptrIlEEjNS1_19radix_merge_compareILb0ELb0EsNS0_19identity_decomposerEEEEE10hipError_tT0_T1_T2_jT3_P12ihipStream_tbPNSt15iterator_traitsISG_E10value_typeEPNSM_ISH_E10value_typeEPSI_NS1_7vsmem_tEENKUlT_SG_SH_SI_E_clIS7_S7_SB_PlEESF_SV_SG_SH_SI_EUlSV_E_NS1_11comp_targetILNS1_3genE10ELNS1_11target_archE1201ELNS1_3gpuE5ELNS1_3repE0EEENS1_48merge_mergepath_partition_config_static_selectorELNS0_4arch9wavefront6targetE1EEEvSH_.uses_vcc, 0
	.set _ZN7rocprim17ROCPRIM_400000_NS6detail17trampoline_kernelINS0_14default_configENS1_38merge_sort_block_merge_config_selectorIslEEZZNS1_27merge_sort_block_merge_implIS3_PsN6thrust23THRUST_200600_302600_NS10device_ptrIlEEjNS1_19radix_merge_compareILb0ELb0EsNS0_19identity_decomposerEEEEE10hipError_tT0_T1_T2_jT3_P12ihipStream_tbPNSt15iterator_traitsISG_E10value_typeEPNSM_ISH_E10value_typeEPSI_NS1_7vsmem_tEENKUlT_SG_SH_SI_E_clIS7_S7_SB_PlEESF_SV_SG_SH_SI_EUlSV_E_NS1_11comp_targetILNS1_3genE10ELNS1_11target_archE1201ELNS1_3gpuE5ELNS1_3repE0EEENS1_48merge_mergepath_partition_config_static_selectorELNS0_4arch9wavefront6targetE1EEEvSH_.uses_flat_scratch, 0
	.set _ZN7rocprim17ROCPRIM_400000_NS6detail17trampoline_kernelINS0_14default_configENS1_38merge_sort_block_merge_config_selectorIslEEZZNS1_27merge_sort_block_merge_implIS3_PsN6thrust23THRUST_200600_302600_NS10device_ptrIlEEjNS1_19radix_merge_compareILb0ELb0EsNS0_19identity_decomposerEEEEE10hipError_tT0_T1_T2_jT3_P12ihipStream_tbPNSt15iterator_traitsISG_E10value_typeEPNSM_ISH_E10value_typeEPSI_NS1_7vsmem_tEENKUlT_SG_SH_SI_E_clIS7_S7_SB_PlEESF_SV_SG_SH_SI_EUlSV_E_NS1_11comp_targetILNS1_3genE10ELNS1_11target_archE1201ELNS1_3gpuE5ELNS1_3repE0EEENS1_48merge_mergepath_partition_config_static_selectorELNS0_4arch9wavefront6targetE1EEEvSH_.has_dyn_sized_stack, 0
	.set _ZN7rocprim17ROCPRIM_400000_NS6detail17trampoline_kernelINS0_14default_configENS1_38merge_sort_block_merge_config_selectorIslEEZZNS1_27merge_sort_block_merge_implIS3_PsN6thrust23THRUST_200600_302600_NS10device_ptrIlEEjNS1_19radix_merge_compareILb0ELb0EsNS0_19identity_decomposerEEEEE10hipError_tT0_T1_T2_jT3_P12ihipStream_tbPNSt15iterator_traitsISG_E10value_typeEPNSM_ISH_E10value_typeEPSI_NS1_7vsmem_tEENKUlT_SG_SH_SI_E_clIS7_S7_SB_PlEESF_SV_SG_SH_SI_EUlSV_E_NS1_11comp_targetILNS1_3genE10ELNS1_11target_archE1201ELNS1_3gpuE5ELNS1_3repE0EEENS1_48merge_mergepath_partition_config_static_selectorELNS0_4arch9wavefront6targetE1EEEvSH_.has_recursion, 0
	.set _ZN7rocprim17ROCPRIM_400000_NS6detail17trampoline_kernelINS0_14default_configENS1_38merge_sort_block_merge_config_selectorIslEEZZNS1_27merge_sort_block_merge_implIS3_PsN6thrust23THRUST_200600_302600_NS10device_ptrIlEEjNS1_19radix_merge_compareILb0ELb0EsNS0_19identity_decomposerEEEEE10hipError_tT0_T1_T2_jT3_P12ihipStream_tbPNSt15iterator_traitsISG_E10value_typeEPNSM_ISH_E10value_typeEPSI_NS1_7vsmem_tEENKUlT_SG_SH_SI_E_clIS7_S7_SB_PlEESF_SV_SG_SH_SI_EUlSV_E_NS1_11comp_targetILNS1_3genE10ELNS1_11target_archE1201ELNS1_3gpuE5ELNS1_3repE0EEENS1_48merge_mergepath_partition_config_static_selectorELNS0_4arch9wavefront6targetE1EEEvSH_.has_indirect_call, 0
	.section	.AMDGPU.csdata,"",@progbits
; Kernel info:
; codeLenInByte = 0
; TotalNumSgprs: 4
; NumVgprs: 0
; ScratchSize: 0
; MemoryBound: 0
; FloatMode: 240
; IeeeMode: 1
; LDSByteSize: 0 bytes/workgroup (compile time only)
; SGPRBlocks: 0
; VGPRBlocks: 0
; NumSGPRsForWavesPerEU: 4
; NumVGPRsForWavesPerEU: 1
; Occupancy: 10
; WaveLimiterHint : 0
; COMPUTE_PGM_RSRC2:SCRATCH_EN: 0
; COMPUTE_PGM_RSRC2:USER_SGPR: 6
; COMPUTE_PGM_RSRC2:TRAP_HANDLER: 0
; COMPUTE_PGM_RSRC2:TGID_X_EN: 1
; COMPUTE_PGM_RSRC2:TGID_Y_EN: 0
; COMPUTE_PGM_RSRC2:TGID_Z_EN: 0
; COMPUTE_PGM_RSRC2:TIDIG_COMP_CNT: 0
	.section	.text._ZN7rocprim17ROCPRIM_400000_NS6detail17trampoline_kernelINS0_14default_configENS1_38merge_sort_block_merge_config_selectorIslEEZZNS1_27merge_sort_block_merge_implIS3_PsN6thrust23THRUST_200600_302600_NS10device_ptrIlEEjNS1_19radix_merge_compareILb0ELb0EsNS0_19identity_decomposerEEEEE10hipError_tT0_T1_T2_jT3_P12ihipStream_tbPNSt15iterator_traitsISG_E10value_typeEPNSM_ISH_E10value_typeEPSI_NS1_7vsmem_tEENKUlT_SG_SH_SI_E_clIS7_S7_SB_PlEESF_SV_SG_SH_SI_EUlSV_E_NS1_11comp_targetILNS1_3genE5ELNS1_11target_archE942ELNS1_3gpuE9ELNS1_3repE0EEENS1_48merge_mergepath_partition_config_static_selectorELNS0_4arch9wavefront6targetE1EEEvSH_,"axG",@progbits,_ZN7rocprim17ROCPRIM_400000_NS6detail17trampoline_kernelINS0_14default_configENS1_38merge_sort_block_merge_config_selectorIslEEZZNS1_27merge_sort_block_merge_implIS3_PsN6thrust23THRUST_200600_302600_NS10device_ptrIlEEjNS1_19radix_merge_compareILb0ELb0EsNS0_19identity_decomposerEEEEE10hipError_tT0_T1_T2_jT3_P12ihipStream_tbPNSt15iterator_traitsISG_E10value_typeEPNSM_ISH_E10value_typeEPSI_NS1_7vsmem_tEENKUlT_SG_SH_SI_E_clIS7_S7_SB_PlEESF_SV_SG_SH_SI_EUlSV_E_NS1_11comp_targetILNS1_3genE5ELNS1_11target_archE942ELNS1_3gpuE9ELNS1_3repE0EEENS1_48merge_mergepath_partition_config_static_selectorELNS0_4arch9wavefront6targetE1EEEvSH_,comdat
	.protected	_ZN7rocprim17ROCPRIM_400000_NS6detail17trampoline_kernelINS0_14default_configENS1_38merge_sort_block_merge_config_selectorIslEEZZNS1_27merge_sort_block_merge_implIS3_PsN6thrust23THRUST_200600_302600_NS10device_ptrIlEEjNS1_19radix_merge_compareILb0ELb0EsNS0_19identity_decomposerEEEEE10hipError_tT0_T1_T2_jT3_P12ihipStream_tbPNSt15iterator_traitsISG_E10value_typeEPNSM_ISH_E10value_typeEPSI_NS1_7vsmem_tEENKUlT_SG_SH_SI_E_clIS7_S7_SB_PlEESF_SV_SG_SH_SI_EUlSV_E_NS1_11comp_targetILNS1_3genE5ELNS1_11target_archE942ELNS1_3gpuE9ELNS1_3repE0EEENS1_48merge_mergepath_partition_config_static_selectorELNS0_4arch9wavefront6targetE1EEEvSH_ ; -- Begin function _ZN7rocprim17ROCPRIM_400000_NS6detail17trampoline_kernelINS0_14default_configENS1_38merge_sort_block_merge_config_selectorIslEEZZNS1_27merge_sort_block_merge_implIS3_PsN6thrust23THRUST_200600_302600_NS10device_ptrIlEEjNS1_19radix_merge_compareILb0ELb0EsNS0_19identity_decomposerEEEEE10hipError_tT0_T1_T2_jT3_P12ihipStream_tbPNSt15iterator_traitsISG_E10value_typeEPNSM_ISH_E10value_typeEPSI_NS1_7vsmem_tEENKUlT_SG_SH_SI_E_clIS7_S7_SB_PlEESF_SV_SG_SH_SI_EUlSV_E_NS1_11comp_targetILNS1_3genE5ELNS1_11target_archE942ELNS1_3gpuE9ELNS1_3repE0EEENS1_48merge_mergepath_partition_config_static_selectorELNS0_4arch9wavefront6targetE1EEEvSH_
	.globl	_ZN7rocprim17ROCPRIM_400000_NS6detail17trampoline_kernelINS0_14default_configENS1_38merge_sort_block_merge_config_selectorIslEEZZNS1_27merge_sort_block_merge_implIS3_PsN6thrust23THRUST_200600_302600_NS10device_ptrIlEEjNS1_19radix_merge_compareILb0ELb0EsNS0_19identity_decomposerEEEEE10hipError_tT0_T1_T2_jT3_P12ihipStream_tbPNSt15iterator_traitsISG_E10value_typeEPNSM_ISH_E10value_typeEPSI_NS1_7vsmem_tEENKUlT_SG_SH_SI_E_clIS7_S7_SB_PlEESF_SV_SG_SH_SI_EUlSV_E_NS1_11comp_targetILNS1_3genE5ELNS1_11target_archE942ELNS1_3gpuE9ELNS1_3repE0EEENS1_48merge_mergepath_partition_config_static_selectorELNS0_4arch9wavefront6targetE1EEEvSH_
	.p2align	8
	.type	_ZN7rocprim17ROCPRIM_400000_NS6detail17trampoline_kernelINS0_14default_configENS1_38merge_sort_block_merge_config_selectorIslEEZZNS1_27merge_sort_block_merge_implIS3_PsN6thrust23THRUST_200600_302600_NS10device_ptrIlEEjNS1_19radix_merge_compareILb0ELb0EsNS0_19identity_decomposerEEEEE10hipError_tT0_T1_T2_jT3_P12ihipStream_tbPNSt15iterator_traitsISG_E10value_typeEPNSM_ISH_E10value_typeEPSI_NS1_7vsmem_tEENKUlT_SG_SH_SI_E_clIS7_S7_SB_PlEESF_SV_SG_SH_SI_EUlSV_E_NS1_11comp_targetILNS1_3genE5ELNS1_11target_archE942ELNS1_3gpuE9ELNS1_3repE0EEENS1_48merge_mergepath_partition_config_static_selectorELNS0_4arch9wavefront6targetE1EEEvSH_,@function
_ZN7rocprim17ROCPRIM_400000_NS6detail17trampoline_kernelINS0_14default_configENS1_38merge_sort_block_merge_config_selectorIslEEZZNS1_27merge_sort_block_merge_implIS3_PsN6thrust23THRUST_200600_302600_NS10device_ptrIlEEjNS1_19radix_merge_compareILb0ELb0EsNS0_19identity_decomposerEEEEE10hipError_tT0_T1_T2_jT3_P12ihipStream_tbPNSt15iterator_traitsISG_E10value_typeEPNSM_ISH_E10value_typeEPSI_NS1_7vsmem_tEENKUlT_SG_SH_SI_E_clIS7_S7_SB_PlEESF_SV_SG_SH_SI_EUlSV_E_NS1_11comp_targetILNS1_3genE5ELNS1_11target_archE942ELNS1_3gpuE9ELNS1_3repE0EEENS1_48merge_mergepath_partition_config_static_selectorELNS0_4arch9wavefront6targetE1EEEvSH_: ; @_ZN7rocprim17ROCPRIM_400000_NS6detail17trampoline_kernelINS0_14default_configENS1_38merge_sort_block_merge_config_selectorIslEEZZNS1_27merge_sort_block_merge_implIS3_PsN6thrust23THRUST_200600_302600_NS10device_ptrIlEEjNS1_19radix_merge_compareILb0ELb0EsNS0_19identity_decomposerEEEEE10hipError_tT0_T1_T2_jT3_P12ihipStream_tbPNSt15iterator_traitsISG_E10value_typeEPNSM_ISH_E10value_typeEPSI_NS1_7vsmem_tEENKUlT_SG_SH_SI_E_clIS7_S7_SB_PlEESF_SV_SG_SH_SI_EUlSV_E_NS1_11comp_targetILNS1_3genE5ELNS1_11target_archE942ELNS1_3gpuE9ELNS1_3repE0EEENS1_48merge_mergepath_partition_config_static_selectorELNS0_4arch9wavefront6targetE1EEEvSH_
; %bb.0:
	.section	.rodata,"a",@progbits
	.p2align	6, 0x0
	.amdhsa_kernel _ZN7rocprim17ROCPRIM_400000_NS6detail17trampoline_kernelINS0_14default_configENS1_38merge_sort_block_merge_config_selectorIslEEZZNS1_27merge_sort_block_merge_implIS3_PsN6thrust23THRUST_200600_302600_NS10device_ptrIlEEjNS1_19radix_merge_compareILb0ELb0EsNS0_19identity_decomposerEEEEE10hipError_tT0_T1_T2_jT3_P12ihipStream_tbPNSt15iterator_traitsISG_E10value_typeEPNSM_ISH_E10value_typeEPSI_NS1_7vsmem_tEENKUlT_SG_SH_SI_E_clIS7_S7_SB_PlEESF_SV_SG_SH_SI_EUlSV_E_NS1_11comp_targetILNS1_3genE5ELNS1_11target_archE942ELNS1_3gpuE9ELNS1_3repE0EEENS1_48merge_mergepath_partition_config_static_selectorELNS0_4arch9wavefront6targetE1EEEvSH_
		.amdhsa_group_segment_fixed_size 0
		.amdhsa_private_segment_fixed_size 0
		.amdhsa_kernarg_size 40
		.amdhsa_user_sgpr_count 6
		.amdhsa_user_sgpr_private_segment_buffer 1
		.amdhsa_user_sgpr_dispatch_ptr 0
		.amdhsa_user_sgpr_queue_ptr 0
		.amdhsa_user_sgpr_kernarg_segment_ptr 1
		.amdhsa_user_sgpr_dispatch_id 0
		.amdhsa_user_sgpr_flat_scratch_init 0
		.amdhsa_user_sgpr_private_segment_size 0
		.amdhsa_uses_dynamic_stack 0
		.amdhsa_system_sgpr_private_segment_wavefront_offset 0
		.amdhsa_system_sgpr_workgroup_id_x 1
		.amdhsa_system_sgpr_workgroup_id_y 0
		.amdhsa_system_sgpr_workgroup_id_z 0
		.amdhsa_system_sgpr_workgroup_info 0
		.amdhsa_system_vgpr_workitem_id 0
		.amdhsa_next_free_vgpr 1
		.amdhsa_next_free_sgpr 0
		.amdhsa_reserve_vcc 0
		.amdhsa_reserve_flat_scratch 0
		.amdhsa_float_round_mode_32 0
		.amdhsa_float_round_mode_16_64 0
		.amdhsa_float_denorm_mode_32 3
		.amdhsa_float_denorm_mode_16_64 3
		.amdhsa_dx10_clamp 1
		.amdhsa_ieee_mode 1
		.amdhsa_fp16_overflow 0
		.amdhsa_exception_fp_ieee_invalid_op 0
		.amdhsa_exception_fp_denorm_src 0
		.amdhsa_exception_fp_ieee_div_zero 0
		.amdhsa_exception_fp_ieee_overflow 0
		.amdhsa_exception_fp_ieee_underflow 0
		.amdhsa_exception_fp_ieee_inexact 0
		.amdhsa_exception_int_div_zero 0
	.end_amdhsa_kernel
	.section	.text._ZN7rocprim17ROCPRIM_400000_NS6detail17trampoline_kernelINS0_14default_configENS1_38merge_sort_block_merge_config_selectorIslEEZZNS1_27merge_sort_block_merge_implIS3_PsN6thrust23THRUST_200600_302600_NS10device_ptrIlEEjNS1_19radix_merge_compareILb0ELb0EsNS0_19identity_decomposerEEEEE10hipError_tT0_T1_T2_jT3_P12ihipStream_tbPNSt15iterator_traitsISG_E10value_typeEPNSM_ISH_E10value_typeEPSI_NS1_7vsmem_tEENKUlT_SG_SH_SI_E_clIS7_S7_SB_PlEESF_SV_SG_SH_SI_EUlSV_E_NS1_11comp_targetILNS1_3genE5ELNS1_11target_archE942ELNS1_3gpuE9ELNS1_3repE0EEENS1_48merge_mergepath_partition_config_static_selectorELNS0_4arch9wavefront6targetE1EEEvSH_,"axG",@progbits,_ZN7rocprim17ROCPRIM_400000_NS6detail17trampoline_kernelINS0_14default_configENS1_38merge_sort_block_merge_config_selectorIslEEZZNS1_27merge_sort_block_merge_implIS3_PsN6thrust23THRUST_200600_302600_NS10device_ptrIlEEjNS1_19radix_merge_compareILb0ELb0EsNS0_19identity_decomposerEEEEE10hipError_tT0_T1_T2_jT3_P12ihipStream_tbPNSt15iterator_traitsISG_E10value_typeEPNSM_ISH_E10value_typeEPSI_NS1_7vsmem_tEENKUlT_SG_SH_SI_E_clIS7_S7_SB_PlEESF_SV_SG_SH_SI_EUlSV_E_NS1_11comp_targetILNS1_3genE5ELNS1_11target_archE942ELNS1_3gpuE9ELNS1_3repE0EEENS1_48merge_mergepath_partition_config_static_selectorELNS0_4arch9wavefront6targetE1EEEvSH_,comdat
.Lfunc_end1302:
	.size	_ZN7rocprim17ROCPRIM_400000_NS6detail17trampoline_kernelINS0_14default_configENS1_38merge_sort_block_merge_config_selectorIslEEZZNS1_27merge_sort_block_merge_implIS3_PsN6thrust23THRUST_200600_302600_NS10device_ptrIlEEjNS1_19radix_merge_compareILb0ELb0EsNS0_19identity_decomposerEEEEE10hipError_tT0_T1_T2_jT3_P12ihipStream_tbPNSt15iterator_traitsISG_E10value_typeEPNSM_ISH_E10value_typeEPSI_NS1_7vsmem_tEENKUlT_SG_SH_SI_E_clIS7_S7_SB_PlEESF_SV_SG_SH_SI_EUlSV_E_NS1_11comp_targetILNS1_3genE5ELNS1_11target_archE942ELNS1_3gpuE9ELNS1_3repE0EEENS1_48merge_mergepath_partition_config_static_selectorELNS0_4arch9wavefront6targetE1EEEvSH_, .Lfunc_end1302-_ZN7rocprim17ROCPRIM_400000_NS6detail17trampoline_kernelINS0_14default_configENS1_38merge_sort_block_merge_config_selectorIslEEZZNS1_27merge_sort_block_merge_implIS3_PsN6thrust23THRUST_200600_302600_NS10device_ptrIlEEjNS1_19radix_merge_compareILb0ELb0EsNS0_19identity_decomposerEEEEE10hipError_tT0_T1_T2_jT3_P12ihipStream_tbPNSt15iterator_traitsISG_E10value_typeEPNSM_ISH_E10value_typeEPSI_NS1_7vsmem_tEENKUlT_SG_SH_SI_E_clIS7_S7_SB_PlEESF_SV_SG_SH_SI_EUlSV_E_NS1_11comp_targetILNS1_3genE5ELNS1_11target_archE942ELNS1_3gpuE9ELNS1_3repE0EEENS1_48merge_mergepath_partition_config_static_selectorELNS0_4arch9wavefront6targetE1EEEvSH_
                                        ; -- End function
	.set _ZN7rocprim17ROCPRIM_400000_NS6detail17trampoline_kernelINS0_14default_configENS1_38merge_sort_block_merge_config_selectorIslEEZZNS1_27merge_sort_block_merge_implIS3_PsN6thrust23THRUST_200600_302600_NS10device_ptrIlEEjNS1_19radix_merge_compareILb0ELb0EsNS0_19identity_decomposerEEEEE10hipError_tT0_T1_T2_jT3_P12ihipStream_tbPNSt15iterator_traitsISG_E10value_typeEPNSM_ISH_E10value_typeEPSI_NS1_7vsmem_tEENKUlT_SG_SH_SI_E_clIS7_S7_SB_PlEESF_SV_SG_SH_SI_EUlSV_E_NS1_11comp_targetILNS1_3genE5ELNS1_11target_archE942ELNS1_3gpuE9ELNS1_3repE0EEENS1_48merge_mergepath_partition_config_static_selectorELNS0_4arch9wavefront6targetE1EEEvSH_.num_vgpr, 0
	.set _ZN7rocprim17ROCPRIM_400000_NS6detail17trampoline_kernelINS0_14default_configENS1_38merge_sort_block_merge_config_selectorIslEEZZNS1_27merge_sort_block_merge_implIS3_PsN6thrust23THRUST_200600_302600_NS10device_ptrIlEEjNS1_19radix_merge_compareILb0ELb0EsNS0_19identity_decomposerEEEEE10hipError_tT0_T1_T2_jT3_P12ihipStream_tbPNSt15iterator_traitsISG_E10value_typeEPNSM_ISH_E10value_typeEPSI_NS1_7vsmem_tEENKUlT_SG_SH_SI_E_clIS7_S7_SB_PlEESF_SV_SG_SH_SI_EUlSV_E_NS1_11comp_targetILNS1_3genE5ELNS1_11target_archE942ELNS1_3gpuE9ELNS1_3repE0EEENS1_48merge_mergepath_partition_config_static_selectorELNS0_4arch9wavefront6targetE1EEEvSH_.num_agpr, 0
	.set _ZN7rocprim17ROCPRIM_400000_NS6detail17trampoline_kernelINS0_14default_configENS1_38merge_sort_block_merge_config_selectorIslEEZZNS1_27merge_sort_block_merge_implIS3_PsN6thrust23THRUST_200600_302600_NS10device_ptrIlEEjNS1_19radix_merge_compareILb0ELb0EsNS0_19identity_decomposerEEEEE10hipError_tT0_T1_T2_jT3_P12ihipStream_tbPNSt15iterator_traitsISG_E10value_typeEPNSM_ISH_E10value_typeEPSI_NS1_7vsmem_tEENKUlT_SG_SH_SI_E_clIS7_S7_SB_PlEESF_SV_SG_SH_SI_EUlSV_E_NS1_11comp_targetILNS1_3genE5ELNS1_11target_archE942ELNS1_3gpuE9ELNS1_3repE0EEENS1_48merge_mergepath_partition_config_static_selectorELNS0_4arch9wavefront6targetE1EEEvSH_.numbered_sgpr, 0
	.set _ZN7rocprim17ROCPRIM_400000_NS6detail17trampoline_kernelINS0_14default_configENS1_38merge_sort_block_merge_config_selectorIslEEZZNS1_27merge_sort_block_merge_implIS3_PsN6thrust23THRUST_200600_302600_NS10device_ptrIlEEjNS1_19radix_merge_compareILb0ELb0EsNS0_19identity_decomposerEEEEE10hipError_tT0_T1_T2_jT3_P12ihipStream_tbPNSt15iterator_traitsISG_E10value_typeEPNSM_ISH_E10value_typeEPSI_NS1_7vsmem_tEENKUlT_SG_SH_SI_E_clIS7_S7_SB_PlEESF_SV_SG_SH_SI_EUlSV_E_NS1_11comp_targetILNS1_3genE5ELNS1_11target_archE942ELNS1_3gpuE9ELNS1_3repE0EEENS1_48merge_mergepath_partition_config_static_selectorELNS0_4arch9wavefront6targetE1EEEvSH_.num_named_barrier, 0
	.set _ZN7rocprim17ROCPRIM_400000_NS6detail17trampoline_kernelINS0_14default_configENS1_38merge_sort_block_merge_config_selectorIslEEZZNS1_27merge_sort_block_merge_implIS3_PsN6thrust23THRUST_200600_302600_NS10device_ptrIlEEjNS1_19radix_merge_compareILb0ELb0EsNS0_19identity_decomposerEEEEE10hipError_tT0_T1_T2_jT3_P12ihipStream_tbPNSt15iterator_traitsISG_E10value_typeEPNSM_ISH_E10value_typeEPSI_NS1_7vsmem_tEENKUlT_SG_SH_SI_E_clIS7_S7_SB_PlEESF_SV_SG_SH_SI_EUlSV_E_NS1_11comp_targetILNS1_3genE5ELNS1_11target_archE942ELNS1_3gpuE9ELNS1_3repE0EEENS1_48merge_mergepath_partition_config_static_selectorELNS0_4arch9wavefront6targetE1EEEvSH_.private_seg_size, 0
	.set _ZN7rocprim17ROCPRIM_400000_NS6detail17trampoline_kernelINS0_14default_configENS1_38merge_sort_block_merge_config_selectorIslEEZZNS1_27merge_sort_block_merge_implIS3_PsN6thrust23THRUST_200600_302600_NS10device_ptrIlEEjNS1_19radix_merge_compareILb0ELb0EsNS0_19identity_decomposerEEEEE10hipError_tT0_T1_T2_jT3_P12ihipStream_tbPNSt15iterator_traitsISG_E10value_typeEPNSM_ISH_E10value_typeEPSI_NS1_7vsmem_tEENKUlT_SG_SH_SI_E_clIS7_S7_SB_PlEESF_SV_SG_SH_SI_EUlSV_E_NS1_11comp_targetILNS1_3genE5ELNS1_11target_archE942ELNS1_3gpuE9ELNS1_3repE0EEENS1_48merge_mergepath_partition_config_static_selectorELNS0_4arch9wavefront6targetE1EEEvSH_.uses_vcc, 0
	.set _ZN7rocprim17ROCPRIM_400000_NS6detail17trampoline_kernelINS0_14default_configENS1_38merge_sort_block_merge_config_selectorIslEEZZNS1_27merge_sort_block_merge_implIS3_PsN6thrust23THRUST_200600_302600_NS10device_ptrIlEEjNS1_19radix_merge_compareILb0ELb0EsNS0_19identity_decomposerEEEEE10hipError_tT0_T1_T2_jT3_P12ihipStream_tbPNSt15iterator_traitsISG_E10value_typeEPNSM_ISH_E10value_typeEPSI_NS1_7vsmem_tEENKUlT_SG_SH_SI_E_clIS7_S7_SB_PlEESF_SV_SG_SH_SI_EUlSV_E_NS1_11comp_targetILNS1_3genE5ELNS1_11target_archE942ELNS1_3gpuE9ELNS1_3repE0EEENS1_48merge_mergepath_partition_config_static_selectorELNS0_4arch9wavefront6targetE1EEEvSH_.uses_flat_scratch, 0
	.set _ZN7rocprim17ROCPRIM_400000_NS6detail17trampoline_kernelINS0_14default_configENS1_38merge_sort_block_merge_config_selectorIslEEZZNS1_27merge_sort_block_merge_implIS3_PsN6thrust23THRUST_200600_302600_NS10device_ptrIlEEjNS1_19radix_merge_compareILb0ELb0EsNS0_19identity_decomposerEEEEE10hipError_tT0_T1_T2_jT3_P12ihipStream_tbPNSt15iterator_traitsISG_E10value_typeEPNSM_ISH_E10value_typeEPSI_NS1_7vsmem_tEENKUlT_SG_SH_SI_E_clIS7_S7_SB_PlEESF_SV_SG_SH_SI_EUlSV_E_NS1_11comp_targetILNS1_3genE5ELNS1_11target_archE942ELNS1_3gpuE9ELNS1_3repE0EEENS1_48merge_mergepath_partition_config_static_selectorELNS0_4arch9wavefront6targetE1EEEvSH_.has_dyn_sized_stack, 0
	.set _ZN7rocprim17ROCPRIM_400000_NS6detail17trampoline_kernelINS0_14default_configENS1_38merge_sort_block_merge_config_selectorIslEEZZNS1_27merge_sort_block_merge_implIS3_PsN6thrust23THRUST_200600_302600_NS10device_ptrIlEEjNS1_19radix_merge_compareILb0ELb0EsNS0_19identity_decomposerEEEEE10hipError_tT0_T1_T2_jT3_P12ihipStream_tbPNSt15iterator_traitsISG_E10value_typeEPNSM_ISH_E10value_typeEPSI_NS1_7vsmem_tEENKUlT_SG_SH_SI_E_clIS7_S7_SB_PlEESF_SV_SG_SH_SI_EUlSV_E_NS1_11comp_targetILNS1_3genE5ELNS1_11target_archE942ELNS1_3gpuE9ELNS1_3repE0EEENS1_48merge_mergepath_partition_config_static_selectorELNS0_4arch9wavefront6targetE1EEEvSH_.has_recursion, 0
	.set _ZN7rocprim17ROCPRIM_400000_NS6detail17trampoline_kernelINS0_14default_configENS1_38merge_sort_block_merge_config_selectorIslEEZZNS1_27merge_sort_block_merge_implIS3_PsN6thrust23THRUST_200600_302600_NS10device_ptrIlEEjNS1_19radix_merge_compareILb0ELb0EsNS0_19identity_decomposerEEEEE10hipError_tT0_T1_T2_jT3_P12ihipStream_tbPNSt15iterator_traitsISG_E10value_typeEPNSM_ISH_E10value_typeEPSI_NS1_7vsmem_tEENKUlT_SG_SH_SI_E_clIS7_S7_SB_PlEESF_SV_SG_SH_SI_EUlSV_E_NS1_11comp_targetILNS1_3genE5ELNS1_11target_archE942ELNS1_3gpuE9ELNS1_3repE0EEENS1_48merge_mergepath_partition_config_static_selectorELNS0_4arch9wavefront6targetE1EEEvSH_.has_indirect_call, 0
	.section	.AMDGPU.csdata,"",@progbits
; Kernel info:
; codeLenInByte = 0
; TotalNumSgprs: 4
; NumVgprs: 0
; ScratchSize: 0
; MemoryBound: 0
; FloatMode: 240
; IeeeMode: 1
; LDSByteSize: 0 bytes/workgroup (compile time only)
; SGPRBlocks: 0
; VGPRBlocks: 0
; NumSGPRsForWavesPerEU: 4
; NumVGPRsForWavesPerEU: 1
; Occupancy: 10
; WaveLimiterHint : 0
; COMPUTE_PGM_RSRC2:SCRATCH_EN: 0
; COMPUTE_PGM_RSRC2:USER_SGPR: 6
; COMPUTE_PGM_RSRC2:TRAP_HANDLER: 0
; COMPUTE_PGM_RSRC2:TGID_X_EN: 1
; COMPUTE_PGM_RSRC2:TGID_Y_EN: 0
; COMPUTE_PGM_RSRC2:TGID_Z_EN: 0
; COMPUTE_PGM_RSRC2:TIDIG_COMP_CNT: 0
	.section	.text._ZN7rocprim17ROCPRIM_400000_NS6detail17trampoline_kernelINS0_14default_configENS1_38merge_sort_block_merge_config_selectorIslEEZZNS1_27merge_sort_block_merge_implIS3_PsN6thrust23THRUST_200600_302600_NS10device_ptrIlEEjNS1_19radix_merge_compareILb0ELb0EsNS0_19identity_decomposerEEEEE10hipError_tT0_T1_T2_jT3_P12ihipStream_tbPNSt15iterator_traitsISG_E10value_typeEPNSM_ISH_E10value_typeEPSI_NS1_7vsmem_tEENKUlT_SG_SH_SI_E_clIS7_S7_SB_PlEESF_SV_SG_SH_SI_EUlSV_E_NS1_11comp_targetILNS1_3genE4ELNS1_11target_archE910ELNS1_3gpuE8ELNS1_3repE0EEENS1_48merge_mergepath_partition_config_static_selectorELNS0_4arch9wavefront6targetE1EEEvSH_,"axG",@progbits,_ZN7rocprim17ROCPRIM_400000_NS6detail17trampoline_kernelINS0_14default_configENS1_38merge_sort_block_merge_config_selectorIslEEZZNS1_27merge_sort_block_merge_implIS3_PsN6thrust23THRUST_200600_302600_NS10device_ptrIlEEjNS1_19radix_merge_compareILb0ELb0EsNS0_19identity_decomposerEEEEE10hipError_tT0_T1_T2_jT3_P12ihipStream_tbPNSt15iterator_traitsISG_E10value_typeEPNSM_ISH_E10value_typeEPSI_NS1_7vsmem_tEENKUlT_SG_SH_SI_E_clIS7_S7_SB_PlEESF_SV_SG_SH_SI_EUlSV_E_NS1_11comp_targetILNS1_3genE4ELNS1_11target_archE910ELNS1_3gpuE8ELNS1_3repE0EEENS1_48merge_mergepath_partition_config_static_selectorELNS0_4arch9wavefront6targetE1EEEvSH_,comdat
	.protected	_ZN7rocprim17ROCPRIM_400000_NS6detail17trampoline_kernelINS0_14default_configENS1_38merge_sort_block_merge_config_selectorIslEEZZNS1_27merge_sort_block_merge_implIS3_PsN6thrust23THRUST_200600_302600_NS10device_ptrIlEEjNS1_19radix_merge_compareILb0ELb0EsNS0_19identity_decomposerEEEEE10hipError_tT0_T1_T2_jT3_P12ihipStream_tbPNSt15iterator_traitsISG_E10value_typeEPNSM_ISH_E10value_typeEPSI_NS1_7vsmem_tEENKUlT_SG_SH_SI_E_clIS7_S7_SB_PlEESF_SV_SG_SH_SI_EUlSV_E_NS1_11comp_targetILNS1_3genE4ELNS1_11target_archE910ELNS1_3gpuE8ELNS1_3repE0EEENS1_48merge_mergepath_partition_config_static_selectorELNS0_4arch9wavefront6targetE1EEEvSH_ ; -- Begin function _ZN7rocprim17ROCPRIM_400000_NS6detail17trampoline_kernelINS0_14default_configENS1_38merge_sort_block_merge_config_selectorIslEEZZNS1_27merge_sort_block_merge_implIS3_PsN6thrust23THRUST_200600_302600_NS10device_ptrIlEEjNS1_19radix_merge_compareILb0ELb0EsNS0_19identity_decomposerEEEEE10hipError_tT0_T1_T2_jT3_P12ihipStream_tbPNSt15iterator_traitsISG_E10value_typeEPNSM_ISH_E10value_typeEPSI_NS1_7vsmem_tEENKUlT_SG_SH_SI_E_clIS7_S7_SB_PlEESF_SV_SG_SH_SI_EUlSV_E_NS1_11comp_targetILNS1_3genE4ELNS1_11target_archE910ELNS1_3gpuE8ELNS1_3repE0EEENS1_48merge_mergepath_partition_config_static_selectorELNS0_4arch9wavefront6targetE1EEEvSH_
	.globl	_ZN7rocprim17ROCPRIM_400000_NS6detail17trampoline_kernelINS0_14default_configENS1_38merge_sort_block_merge_config_selectorIslEEZZNS1_27merge_sort_block_merge_implIS3_PsN6thrust23THRUST_200600_302600_NS10device_ptrIlEEjNS1_19radix_merge_compareILb0ELb0EsNS0_19identity_decomposerEEEEE10hipError_tT0_T1_T2_jT3_P12ihipStream_tbPNSt15iterator_traitsISG_E10value_typeEPNSM_ISH_E10value_typeEPSI_NS1_7vsmem_tEENKUlT_SG_SH_SI_E_clIS7_S7_SB_PlEESF_SV_SG_SH_SI_EUlSV_E_NS1_11comp_targetILNS1_3genE4ELNS1_11target_archE910ELNS1_3gpuE8ELNS1_3repE0EEENS1_48merge_mergepath_partition_config_static_selectorELNS0_4arch9wavefront6targetE1EEEvSH_
	.p2align	8
	.type	_ZN7rocprim17ROCPRIM_400000_NS6detail17trampoline_kernelINS0_14default_configENS1_38merge_sort_block_merge_config_selectorIslEEZZNS1_27merge_sort_block_merge_implIS3_PsN6thrust23THRUST_200600_302600_NS10device_ptrIlEEjNS1_19radix_merge_compareILb0ELb0EsNS0_19identity_decomposerEEEEE10hipError_tT0_T1_T2_jT3_P12ihipStream_tbPNSt15iterator_traitsISG_E10value_typeEPNSM_ISH_E10value_typeEPSI_NS1_7vsmem_tEENKUlT_SG_SH_SI_E_clIS7_S7_SB_PlEESF_SV_SG_SH_SI_EUlSV_E_NS1_11comp_targetILNS1_3genE4ELNS1_11target_archE910ELNS1_3gpuE8ELNS1_3repE0EEENS1_48merge_mergepath_partition_config_static_selectorELNS0_4arch9wavefront6targetE1EEEvSH_,@function
_ZN7rocprim17ROCPRIM_400000_NS6detail17trampoline_kernelINS0_14default_configENS1_38merge_sort_block_merge_config_selectorIslEEZZNS1_27merge_sort_block_merge_implIS3_PsN6thrust23THRUST_200600_302600_NS10device_ptrIlEEjNS1_19radix_merge_compareILb0ELb0EsNS0_19identity_decomposerEEEEE10hipError_tT0_T1_T2_jT3_P12ihipStream_tbPNSt15iterator_traitsISG_E10value_typeEPNSM_ISH_E10value_typeEPSI_NS1_7vsmem_tEENKUlT_SG_SH_SI_E_clIS7_S7_SB_PlEESF_SV_SG_SH_SI_EUlSV_E_NS1_11comp_targetILNS1_3genE4ELNS1_11target_archE910ELNS1_3gpuE8ELNS1_3repE0EEENS1_48merge_mergepath_partition_config_static_selectorELNS0_4arch9wavefront6targetE1EEEvSH_: ; @_ZN7rocprim17ROCPRIM_400000_NS6detail17trampoline_kernelINS0_14default_configENS1_38merge_sort_block_merge_config_selectorIslEEZZNS1_27merge_sort_block_merge_implIS3_PsN6thrust23THRUST_200600_302600_NS10device_ptrIlEEjNS1_19radix_merge_compareILb0ELb0EsNS0_19identity_decomposerEEEEE10hipError_tT0_T1_T2_jT3_P12ihipStream_tbPNSt15iterator_traitsISG_E10value_typeEPNSM_ISH_E10value_typeEPSI_NS1_7vsmem_tEENKUlT_SG_SH_SI_E_clIS7_S7_SB_PlEESF_SV_SG_SH_SI_EUlSV_E_NS1_11comp_targetILNS1_3genE4ELNS1_11target_archE910ELNS1_3gpuE8ELNS1_3repE0EEENS1_48merge_mergepath_partition_config_static_selectorELNS0_4arch9wavefront6targetE1EEEvSH_
; %bb.0:
	.section	.rodata,"a",@progbits
	.p2align	6, 0x0
	.amdhsa_kernel _ZN7rocprim17ROCPRIM_400000_NS6detail17trampoline_kernelINS0_14default_configENS1_38merge_sort_block_merge_config_selectorIslEEZZNS1_27merge_sort_block_merge_implIS3_PsN6thrust23THRUST_200600_302600_NS10device_ptrIlEEjNS1_19radix_merge_compareILb0ELb0EsNS0_19identity_decomposerEEEEE10hipError_tT0_T1_T2_jT3_P12ihipStream_tbPNSt15iterator_traitsISG_E10value_typeEPNSM_ISH_E10value_typeEPSI_NS1_7vsmem_tEENKUlT_SG_SH_SI_E_clIS7_S7_SB_PlEESF_SV_SG_SH_SI_EUlSV_E_NS1_11comp_targetILNS1_3genE4ELNS1_11target_archE910ELNS1_3gpuE8ELNS1_3repE0EEENS1_48merge_mergepath_partition_config_static_selectorELNS0_4arch9wavefront6targetE1EEEvSH_
		.amdhsa_group_segment_fixed_size 0
		.amdhsa_private_segment_fixed_size 0
		.amdhsa_kernarg_size 40
		.amdhsa_user_sgpr_count 6
		.amdhsa_user_sgpr_private_segment_buffer 1
		.amdhsa_user_sgpr_dispatch_ptr 0
		.amdhsa_user_sgpr_queue_ptr 0
		.amdhsa_user_sgpr_kernarg_segment_ptr 1
		.amdhsa_user_sgpr_dispatch_id 0
		.amdhsa_user_sgpr_flat_scratch_init 0
		.amdhsa_user_sgpr_private_segment_size 0
		.amdhsa_uses_dynamic_stack 0
		.amdhsa_system_sgpr_private_segment_wavefront_offset 0
		.amdhsa_system_sgpr_workgroup_id_x 1
		.amdhsa_system_sgpr_workgroup_id_y 0
		.amdhsa_system_sgpr_workgroup_id_z 0
		.amdhsa_system_sgpr_workgroup_info 0
		.amdhsa_system_vgpr_workitem_id 0
		.amdhsa_next_free_vgpr 1
		.amdhsa_next_free_sgpr 0
		.amdhsa_reserve_vcc 0
		.amdhsa_reserve_flat_scratch 0
		.amdhsa_float_round_mode_32 0
		.amdhsa_float_round_mode_16_64 0
		.amdhsa_float_denorm_mode_32 3
		.amdhsa_float_denorm_mode_16_64 3
		.amdhsa_dx10_clamp 1
		.amdhsa_ieee_mode 1
		.amdhsa_fp16_overflow 0
		.amdhsa_exception_fp_ieee_invalid_op 0
		.amdhsa_exception_fp_denorm_src 0
		.amdhsa_exception_fp_ieee_div_zero 0
		.amdhsa_exception_fp_ieee_overflow 0
		.amdhsa_exception_fp_ieee_underflow 0
		.amdhsa_exception_fp_ieee_inexact 0
		.amdhsa_exception_int_div_zero 0
	.end_amdhsa_kernel
	.section	.text._ZN7rocprim17ROCPRIM_400000_NS6detail17trampoline_kernelINS0_14default_configENS1_38merge_sort_block_merge_config_selectorIslEEZZNS1_27merge_sort_block_merge_implIS3_PsN6thrust23THRUST_200600_302600_NS10device_ptrIlEEjNS1_19radix_merge_compareILb0ELb0EsNS0_19identity_decomposerEEEEE10hipError_tT0_T1_T2_jT3_P12ihipStream_tbPNSt15iterator_traitsISG_E10value_typeEPNSM_ISH_E10value_typeEPSI_NS1_7vsmem_tEENKUlT_SG_SH_SI_E_clIS7_S7_SB_PlEESF_SV_SG_SH_SI_EUlSV_E_NS1_11comp_targetILNS1_3genE4ELNS1_11target_archE910ELNS1_3gpuE8ELNS1_3repE0EEENS1_48merge_mergepath_partition_config_static_selectorELNS0_4arch9wavefront6targetE1EEEvSH_,"axG",@progbits,_ZN7rocprim17ROCPRIM_400000_NS6detail17trampoline_kernelINS0_14default_configENS1_38merge_sort_block_merge_config_selectorIslEEZZNS1_27merge_sort_block_merge_implIS3_PsN6thrust23THRUST_200600_302600_NS10device_ptrIlEEjNS1_19radix_merge_compareILb0ELb0EsNS0_19identity_decomposerEEEEE10hipError_tT0_T1_T2_jT3_P12ihipStream_tbPNSt15iterator_traitsISG_E10value_typeEPNSM_ISH_E10value_typeEPSI_NS1_7vsmem_tEENKUlT_SG_SH_SI_E_clIS7_S7_SB_PlEESF_SV_SG_SH_SI_EUlSV_E_NS1_11comp_targetILNS1_3genE4ELNS1_11target_archE910ELNS1_3gpuE8ELNS1_3repE0EEENS1_48merge_mergepath_partition_config_static_selectorELNS0_4arch9wavefront6targetE1EEEvSH_,comdat
.Lfunc_end1303:
	.size	_ZN7rocprim17ROCPRIM_400000_NS6detail17trampoline_kernelINS0_14default_configENS1_38merge_sort_block_merge_config_selectorIslEEZZNS1_27merge_sort_block_merge_implIS3_PsN6thrust23THRUST_200600_302600_NS10device_ptrIlEEjNS1_19radix_merge_compareILb0ELb0EsNS0_19identity_decomposerEEEEE10hipError_tT0_T1_T2_jT3_P12ihipStream_tbPNSt15iterator_traitsISG_E10value_typeEPNSM_ISH_E10value_typeEPSI_NS1_7vsmem_tEENKUlT_SG_SH_SI_E_clIS7_S7_SB_PlEESF_SV_SG_SH_SI_EUlSV_E_NS1_11comp_targetILNS1_3genE4ELNS1_11target_archE910ELNS1_3gpuE8ELNS1_3repE0EEENS1_48merge_mergepath_partition_config_static_selectorELNS0_4arch9wavefront6targetE1EEEvSH_, .Lfunc_end1303-_ZN7rocprim17ROCPRIM_400000_NS6detail17trampoline_kernelINS0_14default_configENS1_38merge_sort_block_merge_config_selectorIslEEZZNS1_27merge_sort_block_merge_implIS3_PsN6thrust23THRUST_200600_302600_NS10device_ptrIlEEjNS1_19radix_merge_compareILb0ELb0EsNS0_19identity_decomposerEEEEE10hipError_tT0_T1_T2_jT3_P12ihipStream_tbPNSt15iterator_traitsISG_E10value_typeEPNSM_ISH_E10value_typeEPSI_NS1_7vsmem_tEENKUlT_SG_SH_SI_E_clIS7_S7_SB_PlEESF_SV_SG_SH_SI_EUlSV_E_NS1_11comp_targetILNS1_3genE4ELNS1_11target_archE910ELNS1_3gpuE8ELNS1_3repE0EEENS1_48merge_mergepath_partition_config_static_selectorELNS0_4arch9wavefront6targetE1EEEvSH_
                                        ; -- End function
	.set _ZN7rocprim17ROCPRIM_400000_NS6detail17trampoline_kernelINS0_14default_configENS1_38merge_sort_block_merge_config_selectorIslEEZZNS1_27merge_sort_block_merge_implIS3_PsN6thrust23THRUST_200600_302600_NS10device_ptrIlEEjNS1_19radix_merge_compareILb0ELb0EsNS0_19identity_decomposerEEEEE10hipError_tT0_T1_T2_jT3_P12ihipStream_tbPNSt15iterator_traitsISG_E10value_typeEPNSM_ISH_E10value_typeEPSI_NS1_7vsmem_tEENKUlT_SG_SH_SI_E_clIS7_S7_SB_PlEESF_SV_SG_SH_SI_EUlSV_E_NS1_11comp_targetILNS1_3genE4ELNS1_11target_archE910ELNS1_3gpuE8ELNS1_3repE0EEENS1_48merge_mergepath_partition_config_static_selectorELNS0_4arch9wavefront6targetE1EEEvSH_.num_vgpr, 0
	.set _ZN7rocprim17ROCPRIM_400000_NS6detail17trampoline_kernelINS0_14default_configENS1_38merge_sort_block_merge_config_selectorIslEEZZNS1_27merge_sort_block_merge_implIS3_PsN6thrust23THRUST_200600_302600_NS10device_ptrIlEEjNS1_19radix_merge_compareILb0ELb0EsNS0_19identity_decomposerEEEEE10hipError_tT0_T1_T2_jT3_P12ihipStream_tbPNSt15iterator_traitsISG_E10value_typeEPNSM_ISH_E10value_typeEPSI_NS1_7vsmem_tEENKUlT_SG_SH_SI_E_clIS7_S7_SB_PlEESF_SV_SG_SH_SI_EUlSV_E_NS1_11comp_targetILNS1_3genE4ELNS1_11target_archE910ELNS1_3gpuE8ELNS1_3repE0EEENS1_48merge_mergepath_partition_config_static_selectorELNS0_4arch9wavefront6targetE1EEEvSH_.num_agpr, 0
	.set _ZN7rocprim17ROCPRIM_400000_NS6detail17trampoline_kernelINS0_14default_configENS1_38merge_sort_block_merge_config_selectorIslEEZZNS1_27merge_sort_block_merge_implIS3_PsN6thrust23THRUST_200600_302600_NS10device_ptrIlEEjNS1_19radix_merge_compareILb0ELb0EsNS0_19identity_decomposerEEEEE10hipError_tT0_T1_T2_jT3_P12ihipStream_tbPNSt15iterator_traitsISG_E10value_typeEPNSM_ISH_E10value_typeEPSI_NS1_7vsmem_tEENKUlT_SG_SH_SI_E_clIS7_S7_SB_PlEESF_SV_SG_SH_SI_EUlSV_E_NS1_11comp_targetILNS1_3genE4ELNS1_11target_archE910ELNS1_3gpuE8ELNS1_3repE0EEENS1_48merge_mergepath_partition_config_static_selectorELNS0_4arch9wavefront6targetE1EEEvSH_.numbered_sgpr, 0
	.set _ZN7rocprim17ROCPRIM_400000_NS6detail17trampoline_kernelINS0_14default_configENS1_38merge_sort_block_merge_config_selectorIslEEZZNS1_27merge_sort_block_merge_implIS3_PsN6thrust23THRUST_200600_302600_NS10device_ptrIlEEjNS1_19radix_merge_compareILb0ELb0EsNS0_19identity_decomposerEEEEE10hipError_tT0_T1_T2_jT3_P12ihipStream_tbPNSt15iterator_traitsISG_E10value_typeEPNSM_ISH_E10value_typeEPSI_NS1_7vsmem_tEENKUlT_SG_SH_SI_E_clIS7_S7_SB_PlEESF_SV_SG_SH_SI_EUlSV_E_NS1_11comp_targetILNS1_3genE4ELNS1_11target_archE910ELNS1_3gpuE8ELNS1_3repE0EEENS1_48merge_mergepath_partition_config_static_selectorELNS0_4arch9wavefront6targetE1EEEvSH_.num_named_barrier, 0
	.set _ZN7rocprim17ROCPRIM_400000_NS6detail17trampoline_kernelINS0_14default_configENS1_38merge_sort_block_merge_config_selectorIslEEZZNS1_27merge_sort_block_merge_implIS3_PsN6thrust23THRUST_200600_302600_NS10device_ptrIlEEjNS1_19radix_merge_compareILb0ELb0EsNS0_19identity_decomposerEEEEE10hipError_tT0_T1_T2_jT3_P12ihipStream_tbPNSt15iterator_traitsISG_E10value_typeEPNSM_ISH_E10value_typeEPSI_NS1_7vsmem_tEENKUlT_SG_SH_SI_E_clIS7_S7_SB_PlEESF_SV_SG_SH_SI_EUlSV_E_NS1_11comp_targetILNS1_3genE4ELNS1_11target_archE910ELNS1_3gpuE8ELNS1_3repE0EEENS1_48merge_mergepath_partition_config_static_selectorELNS0_4arch9wavefront6targetE1EEEvSH_.private_seg_size, 0
	.set _ZN7rocprim17ROCPRIM_400000_NS6detail17trampoline_kernelINS0_14default_configENS1_38merge_sort_block_merge_config_selectorIslEEZZNS1_27merge_sort_block_merge_implIS3_PsN6thrust23THRUST_200600_302600_NS10device_ptrIlEEjNS1_19radix_merge_compareILb0ELb0EsNS0_19identity_decomposerEEEEE10hipError_tT0_T1_T2_jT3_P12ihipStream_tbPNSt15iterator_traitsISG_E10value_typeEPNSM_ISH_E10value_typeEPSI_NS1_7vsmem_tEENKUlT_SG_SH_SI_E_clIS7_S7_SB_PlEESF_SV_SG_SH_SI_EUlSV_E_NS1_11comp_targetILNS1_3genE4ELNS1_11target_archE910ELNS1_3gpuE8ELNS1_3repE0EEENS1_48merge_mergepath_partition_config_static_selectorELNS0_4arch9wavefront6targetE1EEEvSH_.uses_vcc, 0
	.set _ZN7rocprim17ROCPRIM_400000_NS6detail17trampoline_kernelINS0_14default_configENS1_38merge_sort_block_merge_config_selectorIslEEZZNS1_27merge_sort_block_merge_implIS3_PsN6thrust23THRUST_200600_302600_NS10device_ptrIlEEjNS1_19radix_merge_compareILb0ELb0EsNS0_19identity_decomposerEEEEE10hipError_tT0_T1_T2_jT3_P12ihipStream_tbPNSt15iterator_traitsISG_E10value_typeEPNSM_ISH_E10value_typeEPSI_NS1_7vsmem_tEENKUlT_SG_SH_SI_E_clIS7_S7_SB_PlEESF_SV_SG_SH_SI_EUlSV_E_NS1_11comp_targetILNS1_3genE4ELNS1_11target_archE910ELNS1_3gpuE8ELNS1_3repE0EEENS1_48merge_mergepath_partition_config_static_selectorELNS0_4arch9wavefront6targetE1EEEvSH_.uses_flat_scratch, 0
	.set _ZN7rocprim17ROCPRIM_400000_NS6detail17trampoline_kernelINS0_14default_configENS1_38merge_sort_block_merge_config_selectorIslEEZZNS1_27merge_sort_block_merge_implIS3_PsN6thrust23THRUST_200600_302600_NS10device_ptrIlEEjNS1_19radix_merge_compareILb0ELb0EsNS0_19identity_decomposerEEEEE10hipError_tT0_T1_T2_jT3_P12ihipStream_tbPNSt15iterator_traitsISG_E10value_typeEPNSM_ISH_E10value_typeEPSI_NS1_7vsmem_tEENKUlT_SG_SH_SI_E_clIS7_S7_SB_PlEESF_SV_SG_SH_SI_EUlSV_E_NS1_11comp_targetILNS1_3genE4ELNS1_11target_archE910ELNS1_3gpuE8ELNS1_3repE0EEENS1_48merge_mergepath_partition_config_static_selectorELNS0_4arch9wavefront6targetE1EEEvSH_.has_dyn_sized_stack, 0
	.set _ZN7rocprim17ROCPRIM_400000_NS6detail17trampoline_kernelINS0_14default_configENS1_38merge_sort_block_merge_config_selectorIslEEZZNS1_27merge_sort_block_merge_implIS3_PsN6thrust23THRUST_200600_302600_NS10device_ptrIlEEjNS1_19radix_merge_compareILb0ELb0EsNS0_19identity_decomposerEEEEE10hipError_tT0_T1_T2_jT3_P12ihipStream_tbPNSt15iterator_traitsISG_E10value_typeEPNSM_ISH_E10value_typeEPSI_NS1_7vsmem_tEENKUlT_SG_SH_SI_E_clIS7_S7_SB_PlEESF_SV_SG_SH_SI_EUlSV_E_NS1_11comp_targetILNS1_3genE4ELNS1_11target_archE910ELNS1_3gpuE8ELNS1_3repE0EEENS1_48merge_mergepath_partition_config_static_selectorELNS0_4arch9wavefront6targetE1EEEvSH_.has_recursion, 0
	.set _ZN7rocprim17ROCPRIM_400000_NS6detail17trampoline_kernelINS0_14default_configENS1_38merge_sort_block_merge_config_selectorIslEEZZNS1_27merge_sort_block_merge_implIS3_PsN6thrust23THRUST_200600_302600_NS10device_ptrIlEEjNS1_19radix_merge_compareILb0ELb0EsNS0_19identity_decomposerEEEEE10hipError_tT0_T1_T2_jT3_P12ihipStream_tbPNSt15iterator_traitsISG_E10value_typeEPNSM_ISH_E10value_typeEPSI_NS1_7vsmem_tEENKUlT_SG_SH_SI_E_clIS7_S7_SB_PlEESF_SV_SG_SH_SI_EUlSV_E_NS1_11comp_targetILNS1_3genE4ELNS1_11target_archE910ELNS1_3gpuE8ELNS1_3repE0EEENS1_48merge_mergepath_partition_config_static_selectorELNS0_4arch9wavefront6targetE1EEEvSH_.has_indirect_call, 0
	.section	.AMDGPU.csdata,"",@progbits
; Kernel info:
; codeLenInByte = 0
; TotalNumSgprs: 4
; NumVgprs: 0
; ScratchSize: 0
; MemoryBound: 0
; FloatMode: 240
; IeeeMode: 1
; LDSByteSize: 0 bytes/workgroup (compile time only)
; SGPRBlocks: 0
; VGPRBlocks: 0
; NumSGPRsForWavesPerEU: 4
; NumVGPRsForWavesPerEU: 1
; Occupancy: 10
; WaveLimiterHint : 0
; COMPUTE_PGM_RSRC2:SCRATCH_EN: 0
; COMPUTE_PGM_RSRC2:USER_SGPR: 6
; COMPUTE_PGM_RSRC2:TRAP_HANDLER: 0
; COMPUTE_PGM_RSRC2:TGID_X_EN: 1
; COMPUTE_PGM_RSRC2:TGID_Y_EN: 0
; COMPUTE_PGM_RSRC2:TGID_Z_EN: 0
; COMPUTE_PGM_RSRC2:TIDIG_COMP_CNT: 0
	.section	.text._ZN7rocprim17ROCPRIM_400000_NS6detail17trampoline_kernelINS0_14default_configENS1_38merge_sort_block_merge_config_selectorIslEEZZNS1_27merge_sort_block_merge_implIS3_PsN6thrust23THRUST_200600_302600_NS10device_ptrIlEEjNS1_19radix_merge_compareILb0ELb0EsNS0_19identity_decomposerEEEEE10hipError_tT0_T1_T2_jT3_P12ihipStream_tbPNSt15iterator_traitsISG_E10value_typeEPNSM_ISH_E10value_typeEPSI_NS1_7vsmem_tEENKUlT_SG_SH_SI_E_clIS7_S7_SB_PlEESF_SV_SG_SH_SI_EUlSV_E_NS1_11comp_targetILNS1_3genE3ELNS1_11target_archE908ELNS1_3gpuE7ELNS1_3repE0EEENS1_48merge_mergepath_partition_config_static_selectorELNS0_4arch9wavefront6targetE1EEEvSH_,"axG",@progbits,_ZN7rocprim17ROCPRIM_400000_NS6detail17trampoline_kernelINS0_14default_configENS1_38merge_sort_block_merge_config_selectorIslEEZZNS1_27merge_sort_block_merge_implIS3_PsN6thrust23THRUST_200600_302600_NS10device_ptrIlEEjNS1_19radix_merge_compareILb0ELb0EsNS0_19identity_decomposerEEEEE10hipError_tT0_T1_T2_jT3_P12ihipStream_tbPNSt15iterator_traitsISG_E10value_typeEPNSM_ISH_E10value_typeEPSI_NS1_7vsmem_tEENKUlT_SG_SH_SI_E_clIS7_S7_SB_PlEESF_SV_SG_SH_SI_EUlSV_E_NS1_11comp_targetILNS1_3genE3ELNS1_11target_archE908ELNS1_3gpuE7ELNS1_3repE0EEENS1_48merge_mergepath_partition_config_static_selectorELNS0_4arch9wavefront6targetE1EEEvSH_,comdat
	.protected	_ZN7rocprim17ROCPRIM_400000_NS6detail17trampoline_kernelINS0_14default_configENS1_38merge_sort_block_merge_config_selectorIslEEZZNS1_27merge_sort_block_merge_implIS3_PsN6thrust23THRUST_200600_302600_NS10device_ptrIlEEjNS1_19radix_merge_compareILb0ELb0EsNS0_19identity_decomposerEEEEE10hipError_tT0_T1_T2_jT3_P12ihipStream_tbPNSt15iterator_traitsISG_E10value_typeEPNSM_ISH_E10value_typeEPSI_NS1_7vsmem_tEENKUlT_SG_SH_SI_E_clIS7_S7_SB_PlEESF_SV_SG_SH_SI_EUlSV_E_NS1_11comp_targetILNS1_3genE3ELNS1_11target_archE908ELNS1_3gpuE7ELNS1_3repE0EEENS1_48merge_mergepath_partition_config_static_selectorELNS0_4arch9wavefront6targetE1EEEvSH_ ; -- Begin function _ZN7rocprim17ROCPRIM_400000_NS6detail17trampoline_kernelINS0_14default_configENS1_38merge_sort_block_merge_config_selectorIslEEZZNS1_27merge_sort_block_merge_implIS3_PsN6thrust23THRUST_200600_302600_NS10device_ptrIlEEjNS1_19radix_merge_compareILb0ELb0EsNS0_19identity_decomposerEEEEE10hipError_tT0_T1_T2_jT3_P12ihipStream_tbPNSt15iterator_traitsISG_E10value_typeEPNSM_ISH_E10value_typeEPSI_NS1_7vsmem_tEENKUlT_SG_SH_SI_E_clIS7_S7_SB_PlEESF_SV_SG_SH_SI_EUlSV_E_NS1_11comp_targetILNS1_3genE3ELNS1_11target_archE908ELNS1_3gpuE7ELNS1_3repE0EEENS1_48merge_mergepath_partition_config_static_selectorELNS0_4arch9wavefront6targetE1EEEvSH_
	.globl	_ZN7rocprim17ROCPRIM_400000_NS6detail17trampoline_kernelINS0_14default_configENS1_38merge_sort_block_merge_config_selectorIslEEZZNS1_27merge_sort_block_merge_implIS3_PsN6thrust23THRUST_200600_302600_NS10device_ptrIlEEjNS1_19radix_merge_compareILb0ELb0EsNS0_19identity_decomposerEEEEE10hipError_tT0_T1_T2_jT3_P12ihipStream_tbPNSt15iterator_traitsISG_E10value_typeEPNSM_ISH_E10value_typeEPSI_NS1_7vsmem_tEENKUlT_SG_SH_SI_E_clIS7_S7_SB_PlEESF_SV_SG_SH_SI_EUlSV_E_NS1_11comp_targetILNS1_3genE3ELNS1_11target_archE908ELNS1_3gpuE7ELNS1_3repE0EEENS1_48merge_mergepath_partition_config_static_selectorELNS0_4arch9wavefront6targetE1EEEvSH_
	.p2align	8
	.type	_ZN7rocprim17ROCPRIM_400000_NS6detail17trampoline_kernelINS0_14default_configENS1_38merge_sort_block_merge_config_selectorIslEEZZNS1_27merge_sort_block_merge_implIS3_PsN6thrust23THRUST_200600_302600_NS10device_ptrIlEEjNS1_19radix_merge_compareILb0ELb0EsNS0_19identity_decomposerEEEEE10hipError_tT0_T1_T2_jT3_P12ihipStream_tbPNSt15iterator_traitsISG_E10value_typeEPNSM_ISH_E10value_typeEPSI_NS1_7vsmem_tEENKUlT_SG_SH_SI_E_clIS7_S7_SB_PlEESF_SV_SG_SH_SI_EUlSV_E_NS1_11comp_targetILNS1_3genE3ELNS1_11target_archE908ELNS1_3gpuE7ELNS1_3repE0EEENS1_48merge_mergepath_partition_config_static_selectorELNS0_4arch9wavefront6targetE1EEEvSH_,@function
_ZN7rocprim17ROCPRIM_400000_NS6detail17trampoline_kernelINS0_14default_configENS1_38merge_sort_block_merge_config_selectorIslEEZZNS1_27merge_sort_block_merge_implIS3_PsN6thrust23THRUST_200600_302600_NS10device_ptrIlEEjNS1_19radix_merge_compareILb0ELb0EsNS0_19identity_decomposerEEEEE10hipError_tT0_T1_T2_jT3_P12ihipStream_tbPNSt15iterator_traitsISG_E10value_typeEPNSM_ISH_E10value_typeEPSI_NS1_7vsmem_tEENKUlT_SG_SH_SI_E_clIS7_S7_SB_PlEESF_SV_SG_SH_SI_EUlSV_E_NS1_11comp_targetILNS1_3genE3ELNS1_11target_archE908ELNS1_3gpuE7ELNS1_3repE0EEENS1_48merge_mergepath_partition_config_static_selectorELNS0_4arch9wavefront6targetE1EEEvSH_: ; @_ZN7rocprim17ROCPRIM_400000_NS6detail17trampoline_kernelINS0_14default_configENS1_38merge_sort_block_merge_config_selectorIslEEZZNS1_27merge_sort_block_merge_implIS3_PsN6thrust23THRUST_200600_302600_NS10device_ptrIlEEjNS1_19radix_merge_compareILb0ELb0EsNS0_19identity_decomposerEEEEE10hipError_tT0_T1_T2_jT3_P12ihipStream_tbPNSt15iterator_traitsISG_E10value_typeEPNSM_ISH_E10value_typeEPSI_NS1_7vsmem_tEENKUlT_SG_SH_SI_E_clIS7_S7_SB_PlEESF_SV_SG_SH_SI_EUlSV_E_NS1_11comp_targetILNS1_3genE3ELNS1_11target_archE908ELNS1_3gpuE7ELNS1_3repE0EEENS1_48merge_mergepath_partition_config_static_selectorELNS0_4arch9wavefront6targetE1EEEvSH_
; %bb.0:
	.section	.rodata,"a",@progbits
	.p2align	6, 0x0
	.amdhsa_kernel _ZN7rocprim17ROCPRIM_400000_NS6detail17trampoline_kernelINS0_14default_configENS1_38merge_sort_block_merge_config_selectorIslEEZZNS1_27merge_sort_block_merge_implIS3_PsN6thrust23THRUST_200600_302600_NS10device_ptrIlEEjNS1_19radix_merge_compareILb0ELb0EsNS0_19identity_decomposerEEEEE10hipError_tT0_T1_T2_jT3_P12ihipStream_tbPNSt15iterator_traitsISG_E10value_typeEPNSM_ISH_E10value_typeEPSI_NS1_7vsmem_tEENKUlT_SG_SH_SI_E_clIS7_S7_SB_PlEESF_SV_SG_SH_SI_EUlSV_E_NS1_11comp_targetILNS1_3genE3ELNS1_11target_archE908ELNS1_3gpuE7ELNS1_3repE0EEENS1_48merge_mergepath_partition_config_static_selectorELNS0_4arch9wavefront6targetE1EEEvSH_
		.amdhsa_group_segment_fixed_size 0
		.amdhsa_private_segment_fixed_size 0
		.amdhsa_kernarg_size 40
		.amdhsa_user_sgpr_count 6
		.amdhsa_user_sgpr_private_segment_buffer 1
		.amdhsa_user_sgpr_dispatch_ptr 0
		.amdhsa_user_sgpr_queue_ptr 0
		.amdhsa_user_sgpr_kernarg_segment_ptr 1
		.amdhsa_user_sgpr_dispatch_id 0
		.amdhsa_user_sgpr_flat_scratch_init 0
		.amdhsa_user_sgpr_private_segment_size 0
		.amdhsa_uses_dynamic_stack 0
		.amdhsa_system_sgpr_private_segment_wavefront_offset 0
		.amdhsa_system_sgpr_workgroup_id_x 1
		.amdhsa_system_sgpr_workgroup_id_y 0
		.amdhsa_system_sgpr_workgroup_id_z 0
		.amdhsa_system_sgpr_workgroup_info 0
		.amdhsa_system_vgpr_workitem_id 0
		.amdhsa_next_free_vgpr 1
		.amdhsa_next_free_sgpr 0
		.amdhsa_reserve_vcc 0
		.amdhsa_reserve_flat_scratch 0
		.amdhsa_float_round_mode_32 0
		.amdhsa_float_round_mode_16_64 0
		.amdhsa_float_denorm_mode_32 3
		.amdhsa_float_denorm_mode_16_64 3
		.amdhsa_dx10_clamp 1
		.amdhsa_ieee_mode 1
		.amdhsa_fp16_overflow 0
		.amdhsa_exception_fp_ieee_invalid_op 0
		.amdhsa_exception_fp_denorm_src 0
		.amdhsa_exception_fp_ieee_div_zero 0
		.amdhsa_exception_fp_ieee_overflow 0
		.amdhsa_exception_fp_ieee_underflow 0
		.amdhsa_exception_fp_ieee_inexact 0
		.amdhsa_exception_int_div_zero 0
	.end_amdhsa_kernel
	.section	.text._ZN7rocprim17ROCPRIM_400000_NS6detail17trampoline_kernelINS0_14default_configENS1_38merge_sort_block_merge_config_selectorIslEEZZNS1_27merge_sort_block_merge_implIS3_PsN6thrust23THRUST_200600_302600_NS10device_ptrIlEEjNS1_19radix_merge_compareILb0ELb0EsNS0_19identity_decomposerEEEEE10hipError_tT0_T1_T2_jT3_P12ihipStream_tbPNSt15iterator_traitsISG_E10value_typeEPNSM_ISH_E10value_typeEPSI_NS1_7vsmem_tEENKUlT_SG_SH_SI_E_clIS7_S7_SB_PlEESF_SV_SG_SH_SI_EUlSV_E_NS1_11comp_targetILNS1_3genE3ELNS1_11target_archE908ELNS1_3gpuE7ELNS1_3repE0EEENS1_48merge_mergepath_partition_config_static_selectorELNS0_4arch9wavefront6targetE1EEEvSH_,"axG",@progbits,_ZN7rocprim17ROCPRIM_400000_NS6detail17trampoline_kernelINS0_14default_configENS1_38merge_sort_block_merge_config_selectorIslEEZZNS1_27merge_sort_block_merge_implIS3_PsN6thrust23THRUST_200600_302600_NS10device_ptrIlEEjNS1_19radix_merge_compareILb0ELb0EsNS0_19identity_decomposerEEEEE10hipError_tT0_T1_T2_jT3_P12ihipStream_tbPNSt15iterator_traitsISG_E10value_typeEPNSM_ISH_E10value_typeEPSI_NS1_7vsmem_tEENKUlT_SG_SH_SI_E_clIS7_S7_SB_PlEESF_SV_SG_SH_SI_EUlSV_E_NS1_11comp_targetILNS1_3genE3ELNS1_11target_archE908ELNS1_3gpuE7ELNS1_3repE0EEENS1_48merge_mergepath_partition_config_static_selectorELNS0_4arch9wavefront6targetE1EEEvSH_,comdat
.Lfunc_end1304:
	.size	_ZN7rocprim17ROCPRIM_400000_NS6detail17trampoline_kernelINS0_14default_configENS1_38merge_sort_block_merge_config_selectorIslEEZZNS1_27merge_sort_block_merge_implIS3_PsN6thrust23THRUST_200600_302600_NS10device_ptrIlEEjNS1_19radix_merge_compareILb0ELb0EsNS0_19identity_decomposerEEEEE10hipError_tT0_T1_T2_jT3_P12ihipStream_tbPNSt15iterator_traitsISG_E10value_typeEPNSM_ISH_E10value_typeEPSI_NS1_7vsmem_tEENKUlT_SG_SH_SI_E_clIS7_S7_SB_PlEESF_SV_SG_SH_SI_EUlSV_E_NS1_11comp_targetILNS1_3genE3ELNS1_11target_archE908ELNS1_3gpuE7ELNS1_3repE0EEENS1_48merge_mergepath_partition_config_static_selectorELNS0_4arch9wavefront6targetE1EEEvSH_, .Lfunc_end1304-_ZN7rocprim17ROCPRIM_400000_NS6detail17trampoline_kernelINS0_14default_configENS1_38merge_sort_block_merge_config_selectorIslEEZZNS1_27merge_sort_block_merge_implIS3_PsN6thrust23THRUST_200600_302600_NS10device_ptrIlEEjNS1_19radix_merge_compareILb0ELb0EsNS0_19identity_decomposerEEEEE10hipError_tT0_T1_T2_jT3_P12ihipStream_tbPNSt15iterator_traitsISG_E10value_typeEPNSM_ISH_E10value_typeEPSI_NS1_7vsmem_tEENKUlT_SG_SH_SI_E_clIS7_S7_SB_PlEESF_SV_SG_SH_SI_EUlSV_E_NS1_11comp_targetILNS1_3genE3ELNS1_11target_archE908ELNS1_3gpuE7ELNS1_3repE0EEENS1_48merge_mergepath_partition_config_static_selectorELNS0_4arch9wavefront6targetE1EEEvSH_
                                        ; -- End function
	.set _ZN7rocprim17ROCPRIM_400000_NS6detail17trampoline_kernelINS0_14default_configENS1_38merge_sort_block_merge_config_selectorIslEEZZNS1_27merge_sort_block_merge_implIS3_PsN6thrust23THRUST_200600_302600_NS10device_ptrIlEEjNS1_19radix_merge_compareILb0ELb0EsNS0_19identity_decomposerEEEEE10hipError_tT0_T1_T2_jT3_P12ihipStream_tbPNSt15iterator_traitsISG_E10value_typeEPNSM_ISH_E10value_typeEPSI_NS1_7vsmem_tEENKUlT_SG_SH_SI_E_clIS7_S7_SB_PlEESF_SV_SG_SH_SI_EUlSV_E_NS1_11comp_targetILNS1_3genE3ELNS1_11target_archE908ELNS1_3gpuE7ELNS1_3repE0EEENS1_48merge_mergepath_partition_config_static_selectorELNS0_4arch9wavefront6targetE1EEEvSH_.num_vgpr, 0
	.set _ZN7rocprim17ROCPRIM_400000_NS6detail17trampoline_kernelINS0_14default_configENS1_38merge_sort_block_merge_config_selectorIslEEZZNS1_27merge_sort_block_merge_implIS3_PsN6thrust23THRUST_200600_302600_NS10device_ptrIlEEjNS1_19radix_merge_compareILb0ELb0EsNS0_19identity_decomposerEEEEE10hipError_tT0_T1_T2_jT3_P12ihipStream_tbPNSt15iterator_traitsISG_E10value_typeEPNSM_ISH_E10value_typeEPSI_NS1_7vsmem_tEENKUlT_SG_SH_SI_E_clIS7_S7_SB_PlEESF_SV_SG_SH_SI_EUlSV_E_NS1_11comp_targetILNS1_3genE3ELNS1_11target_archE908ELNS1_3gpuE7ELNS1_3repE0EEENS1_48merge_mergepath_partition_config_static_selectorELNS0_4arch9wavefront6targetE1EEEvSH_.num_agpr, 0
	.set _ZN7rocprim17ROCPRIM_400000_NS6detail17trampoline_kernelINS0_14default_configENS1_38merge_sort_block_merge_config_selectorIslEEZZNS1_27merge_sort_block_merge_implIS3_PsN6thrust23THRUST_200600_302600_NS10device_ptrIlEEjNS1_19radix_merge_compareILb0ELb0EsNS0_19identity_decomposerEEEEE10hipError_tT0_T1_T2_jT3_P12ihipStream_tbPNSt15iterator_traitsISG_E10value_typeEPNSM_ISH_E10value_typeEPSI_NS1_7vsmem_tEENKUlT_SG_SH_SI_E_clIS7_S7_SB_PlEESF_SV_SG_SH_SI_EUlSV_E_NS1_11comp_targetILNS1_3genE3ELNS1_11target_archE908ELNS1_3gpuE7ELNS1_3repE0EEENS1_48merge_mergepath_partition_config_static_selectorELNS0_4arch9wavefront6targetE1EEEvSH_.numbered_sgpr, 0
	.set _ZN7rocprim17ROCPRIM_400000_NS6detail17trampoline_kernelINS0_14default_configENS1_38merge_sort_block_merge_config_selectorIslEEZZNS1_27merge_sort_block_merge_implIS3_PsN6thrust23THRUST_200600_302600_NS10device_ptrIlEEjNS1_19radix_merge_compareILb0ELb0EsNS0_19identity_decomposerEEEEE10hipError_tT0_T1_T2_jT3_P12ihipStream_tbPNSt15iterator_traitsISG_E10value_typeEPNSM_ISH_E10value_typeEPSI_NS1_7vsmem_tEENKUlT_SG_SH_SI_E_clIS7_S7_SB_PlEESF_SV_SG_SH_SI_EUlSV_E_NS1_11comp_targetILNS1_3genE3ELNS1_11target_archE908ELNS1_3gpuE7ELNS1_3repE0EEENS1_48merge_mergepath_partition_config_static_selectorELNS0_4arch9wavefront6targetE1EEEvSH_.num_named_barrier, 0
	.set _ZN7rocprim17ROCPRIM_400000_NS6detail17trampoline_kernelINS0_14default_configENS1_38merge_sort_block_merge_config_selectorIslEEZZNS1_27merge_sort_block_merge_implIS3_PsN6thrust23THRUST_200600_302600_NS10device_ptrIlEEjNS1_19radix_merge_compareILb0ELb0EsNS0_19identity_decomposerEEEEE10hipError_tT0_T1_T2_jT3_P12ihipStream_tbPNSt15iterator_traitsISG_E10value_typeEPNSM_ISH_E10value_typeEPSI_NS1_7vsmem_tEENKUlT_SG_SH_SI_E_clIS7_S7_SB_PlEESF_SV_SG_SH_SI_EUlSV_E_NS1_11comp_targetILNS1_3genE3ELNS1_11target_archE908ELNS1_3gpuE7ELNS1_3repE0EEENS1_48merge_mergepath_partition_config_static_selectorELNS0_4arch9wavefront6targetE1EEEvSH_.private_seg_size, 0
	.set _ZN7rocprim17ROCPRIM_400000_NS6detail17trampoline_kernelINS0_14default_configENS1_38merge_sort_block_merge_config_selectorIslEEZZNS1_27merge_sort_block_merge_implIS3_PsN6thrust23THRUST_200600_302600_NS10device_ptrIlEEjNS1_19radix_merge_compareILb0ELb0EsNS0_19identity_decomposerEEEEE10hipError_tT0_T1_T2_jT3_P12ihipStream_tbPNSt15iterator_traitsISG_E10value_typeEPNSM_ISH_E10value_typeEPSI_NS1_7vsmem_tEENKUlT_SG_SH_SI_E_clIS7_S7_SB_PlEESF_SV_SG_SH_SI_EUlSV_E_NS1_11comp_targetILNS1_3genE3ELNS1_11target_archE908ELNS1_3gpuE7ELNS1_3repE0EEENS1_48merge_mergepath_partition_config_static_selectorELNS0_4arch9wavefront6targetE1EEEvSH_.uses_vcc, 0
	.set _ZN7rocprim17ROCPRIM_400000_NS6detail17trampoline_kernelINS0_14default_configENS1_38merge_sort_block_merge_config_selectorIslEEZZNS1_27merge_sort_block_merge_implIS3_PsN6thrust23THRUST_200600_302600_NS10device_ptrIlEEjNS1_19radix_merge_compareILb0ELb0EsNS0_19identity_decomposerEEEEE10hipError_tT0_T1_T2_jT3_P12ihipStream_tbPNSt15iterator_traitsISG_E10value_typeEPNSM_ISH_E10value_typeEPSI_NS1_7vsmem_tEENKUlT_SG_SH_SI_E_clIS7_S7_SB_PlEESF_SV_SG_SH_SI_EUlSV_E_NS1_11comp_targetILNS1_3genE3ELNS1_11target_archE908ELNS1_3gpuE7ELNS1_3repE0EEENS1_48merge_mergepath_partition_config_static_selectorELNS0_4arch9wavefront6targetE1EEEvSH_.uses_flat_scratch, 0
	.set _ZN7rocprim17ROCPRIM_400000_NS6detail17trampoline_kernelINS0_14default_configENS1_38merge_sort_block_merge_config_selectorIslEEZZNS1_27merge_sort_block_merge_implIS3_PsN6thrust23THRUST_200600_302600_NS10device_ptrIlEEjNS1_19radix_merge_compareILb0ELb0EsNS0_19identity_decomposerEEEEE10hipError_tT0_T1_T2_jT3_P12ihipStream_tbPNSt15iterator_traitsISG_E10value_typeEPNSM_ISH_E10value_typeEPSI_NS1_7vsmem_tEENKUlT_SG_SH_SI_E_clIS7_S7_SB_PlEESF_SV_SG_SH_SI_EUlSV_E_NS1_11comp_targetILNS1_3genE3ELNS1_11target_archE908ELNS1_3gpuE7ELNS1_3repE0EEENS1_48merge_mergepath_partition_config_static_selectorELNS0_4arch9wavefront6targetE1EEEvSH_.has_dyn_sized_stack, 0
	.set _ZN7rocprim17ROCPRIM_400000_NS6detail17trampoline_kernelINS0_14default_configENS1_38merge_sort_block_merge_config_selectorIslEEZZNS1_27merge_sort_block_merge_implIS3_PsN6thrust23THRUST_200600_302600_NS10device_ptrIlEEjNS1_19radix_merge_compareILb0ELb0EsNS0_19identity_decomposerEEEEE10hipError_tT0_T1_T2_jT3_P12ihipStream_tbPNSt15iterator_traitsISG_E10value_typeEPNSM_ISH_E10value_typeEPSI_NS1_7vsmem_tEENKUlT_SG_SH_SI_E_clIS7_S7_SB_PlEESF_SV_SG_SH_SI_EUlSV_E_NS1_11comp_targetILNS1_3genE3ELNS1_11target_archE908ELNS1_3gpuE7ELNS1_3repE0EEENS1_48merge_mergepath_partition_config_static_selectorELNS0_4arch9wavefront6targetE1EEEvSH_.has_recursion, 0
	.set _ZN7rocprim17ROCPRIM_400000_NS6detail17trampoline_kernelINS0_14default_configENS1_38merge_sort_block_merge_config_selectorIslEEZZNS1_27merge_sort_block_merge_implIS3_PsN6thrust23THRUST_200600_302600_NS10device_ptrIlEEjNS1_19radix_merge_compareILb0ELb0EsNS0_19identity_decomposerEEEEE10hipError_tT0_T1_T2_jT3_P12ihipStream_tbPNSt15iterator_traitsISG_E10value_typeEPNSM_ISH_E10value_typeEPSI_NS1_7vsmem_tEENKUlT_SG_SH_SI_E_clIS7_S7_SB_PlEESF_SV_SG_SH_SI_EUlSV_E_NS1_11comp_targetILNS1_3genE3ELNS1_11target_archE908ELNS1_3gpuE7ELNS1_3repE0EEENS1_48merge_mergepath_partition_config_static_selectorELNS0_4arch9wavefront6targetE1EEEvSH_.has_indirect_call, 0
	.section	.AMDGPU.csdata,"",@progbits
; Kernel info:
; codeLenInByte = 0
; TotalNumSgprs: 4
; NumVgprs: 0
; ScratchSize: 0
; MemoryBound: 0
; FloatMode: 240
; IeeeMode: 1
; LDSByteSize: 0 bytes/workgroup (compile time only)
; SGPRBlocks: 0
; VGPRBlocks: 0
; NumSGPRsForWavesPerEU: 4
; NumVGPRsForWavesPerEU: 1
; Occupancy: 10
; WaveLimiterHint : 0
; COMPUTE_PGM_RSRC2:SCRATCH_EN: 0
; COMPUTE_PGM_RSRC2:USER_SGPR: 6
; COMPUTE_PGM_RSRC2:TRAP_HANDLER: 0
; COMPUTE_PGM_RSRC2:TGID_X_EN: 1
; COMPUTE_PGM_RSRC2:TGID_Y_EN: 0
; COMPUTE_PGM_RSRC2:TGID_Z_EN: 0
; COMPUTE_PGM_RSRC2:TIDIG_COMP_CNT: 0
	.section	.text._ZN7rocprim17ROCPRIM_400000_NS6detail17trampoline_kernelINS0_14default_configENS1_38merge_sort_block_merge_config_selectorIslEEZZNS1_27merge_sort_block_merge_implIS3_PsN6thrust23THRUST_200600_302600_NS10device_ptrIlEEjNS1_19radix_merge_compareILb0ELb0EsNS0_19identity_decomposerEEEEE10hipError_tT0_T1_T2_jT3_P12ihipStream_tbPNSt15iterator_traitsISG_E10value_typeEPNSM_ISH_E10value_typeEPSI_NS1_7vsmem_tEENKUlT_SG_SH_SI_E_clIS7_S7_SB_PlEESF_SV_SG_SH_SI_EUlSV_E_NS1_11comp_targetILNS1_3genE2ELNS1_11target_archE906ELNS1_3gpuE6ELNS1_3repE0EEENS1_48merge_mergepath_partition_config_static_selectorELNS0_4arch9wavefront6targetE1EEEvSH_,"axG",@progbits,_ZN7rocprim17ROCPRIM_400000_NS6detail17trampoline_kernelINS0_14default_configENS1_38merge_sort_block_merge_config_selectorIslEEZZNS1_27merge_sort_block_merge_implIS3_PsN6thrust23THRUST_200600_302600_NS10device_ptrIlEEjNS1_19radix_merge_compareILb0ELb0EsNS0_19identity_decomposerEEEEE10hipError_tT0_T1_T2_jT3_P12ihipStream_tbPNSt15iterator_traitsISG_E10value_typeEPNSM_ISH_E10value_typeEPSI_NS1_7vsmem_tEENKUlT_SG_SH_SI_E_clIS7_S7_SB_PlEESF_SV_SG_SH_SI_EUlSV_E_NS1_11comp_targetILNS1_3genE2ELNS1_11target_archE906ELNS1_3gpuE6ELNS1_3repE0EEENS1_48merge_mergepath_partition_config_static_selectorELNS0_4arch9wavefront6targetE1EEEvSH_,comdat
	.protected	_ZN7rocprim17ROCPRIM_400000_NS6detail17trampoline_kernelINS0_14default_configENS1_38merge_sort_block_merge_config_selectorIslEEZZNS1_27merge_sort_block_merge_implIS3_PsN6thrust23THRUST_200600_302600_NS10device_ptrIlEEjNS1_19radix_merge_compareILb0ELb0EsNS0_19identity_decomposerEEEEE10hipError_tT0_T1_T2_jT3_P12ihipStream_tbPNSt15iterator_traitsISG_E10value_typeEPNSM_ISH_E10value_typeEPSI_NS1_7vsmem_tEENKUlT_SG_SH_SI_E_clIS7_S7_SB_PlEESF_SV_SG_SH_SI_EUlSV_E_NS1_11comp_targetILNS1_3genE2ELNS1_11target_archE906ELNS1_3gpuE6ELNS1_3repE0EEENS1_48merge_mergepath_partition_config_static_selectorELNS0_4arch9wavefront6targetE1EEEvSH_ ; -- Begin function _ZN7rocprim17ROCPRIM_400000_NS6detail17trampoline_kernelINS0_14default_configENS1_38merge_sort_block_merge_config_selectorIslEEZZNS1_27merge_sort_block_merge_implIS3_PsN6thrust23THRUST_200600_302600_NS10device_ptrIlEEjNS1_19radix_merge_compareILb0ELb0EsNS0_19identity_decomposerEEEEE10hipError_tT0_T1_T2_jT3_P12ihipStream_tbPNSt15iterator_traitsISG_E10value_typeEPNSM_ISH_E10value_typeEPSI_NS1_7vsmem_tEENKUlT_SG_SH_SI_E_clIS7_S7_SB_PlEESF_SV_SG_SH_SI_EUlSV_E_NS1_11comp_targetILNS1_3genE2ELNS1_11target_archE906ELNS1_3gpuE6ELNS1_3repE0EEENS1_48merge_mergepath_partition_config_static_selectorELNS0_4arch9wavefront6targetE1EEEvSH_
	.globl	_ZN7rocprim17ROCPRIM_400000_NS6detail17trampoline_kernelINS0_14default_configENS1_38merge_sort_block_merge_config_selectorIslEEZZNS1_27merge_sort_block_merge_implIS3_PsN6thrust23THRUST_200600_302600_NS10device_ptrIlEEjNS1_19radix_merge_compareILb0ELb0EsNS0_19identity_decomposerEEEEE10hipError_tT0_T1_T2_jT3_P12ihipStream_tbPNSt15iterator_traitsISG_E10value_typeEPNSM_ISH_E10value_typeEPSI_NS1_7vsmem_tEENKUlT_SG_SH_SI_E_clIS7_S7_SB_PlEESF_SV_SG_SH_SI_EUlSV_E_NS1_11comp_targetILNS1_3genE2ELNS1_11target_archE906ELNS1_3gpuE6ELNS1_3repE0EEENS1_48merge_mergepath_partition_config_static_selectorELNS0_4arch9wavefront6targetE1EEEvSH_
	.p2align	8
	.type	_ZN7rocprim17ROCPRIM_400000_NS6detail17trampoline_kernelINS0_14default_configENS1_38merge_sort_block_merge_config_selectorIslEEZZNS1_27merge_sort_block_merge_implIS3_PsN6thrust23THRUST_200600_302600_NS10device_ptrIlEEjNS1_19radix_merge_compareILb0ELb0EsNS0_19identity_decomposerEEEEE10hipError_tT0_T1_T2_jT3_P12ihipStream_tbPNSt15iterator_traitsISG_E10value_typeEPNSM_ISH_E10value_typeEPSI_NS1_7vsmem_tEENKUlT_SG_SH_SI_E_clIS7_S7_SB_PlEESF_SV_SG_SH_SI_EUlSV_E_NS1_11comp_targetILNS1_3genE2ELNS1_11target_archE906ELNS1_3gpuE6ELNS1_3repE0EEENS1_48merge_mergepath_partition_config_static_selectorELNS0_4arch9wavefront6targetE1EEEvSH_,@function
_ZN7rocprim17ROCPRIM_400000_NS6detail17trampoline_kernelINS0_14default_configENS1_38merge_sort_block_merge_config_selectorIslEEZZNS1_27merge_sort_block_merge_implIS3_PsN6thrust23THRUST_200600_302600_NS10device_ptrIlEEjNS1_19radix_merge_compareILb0ELb0EsNS0_19identity_decomposerEEEEE10hipError_tT0_T1_T2_jT3_P12ihipStream_tbPNSt15iterator_traitsISG_E10value_typeEPNSM_ISH_E10value_typeEPSI_NS1_7vsmem_tEENKUlT_SG_SH_SI_E_clIS7_S7_SB_PlEESF_SV_SG_SH_SI_EUlSV_E_NS1_11comp_targetILNS1_3genE2ELNS1_11target_archE906ELNS1_3gpuE6ELNS1_3repE0EEENS1_48merge_mergepath_partition_config_static_selectorELNS0_4arch9wavefront6targetE1EEEvSH_: ; @_ZN7rocprim17ROCPRIM_400000_NS6detail17trampoline_kernelINS0_14default_configENS1_38merge_sort_block_merge_config_selectorIslEEZZNS1_27merge_sort_block_merge_implIS3_PsN6thrust23THRUST_200600_302600_NS10device_ptrIlEEjNS1_19radix_merge_compareILb0ELb0EsNS0_19identity_decomposerEEEEE10hipError_tT0_T1_T2_jT3_P12ihipStream_tbPNSt15iterator_traitsISG_E10value_typeEPNSM_ISH_E10value_typeEPSI_NS1_7vsmem_tEENKUlT_SG_SH_SI_E_clIS7_S7_SB_PlEESF_SV_SG_SH_SI_EUlSV_E_NS1_11comp_targetILNS1_3genE2ELNS1_11target_archE906ELNS1_3gpuE6ELNS1_3repE0EEENS1_48merge_mergepath_partition_config_static_selectorELNS0_4arch9wavefront6targetE1EEEvSH_
; %bb.0:
	s_load_dword s0, s[4:5], 0x0
	v_lshl_or_b32 v0, s6, 7, v0
	s_waitcnt lgkmcnt(0)
	v_cmp_gt_u32_e32 vcc, s0, v0
	s_and_saveexec_b64 s[0:1], vcc
	s_cbranch_execz .LBB1305_6
; %bb.1:
	s_load_dwordx2 s[2:3], s[4:5], 0x4
	s_load_dwordx2 s[0:1], s[4:5], 0x20
	s_waitcnt lgkmcnt(0)
	s_lshr_b32 s6, s2, 9
	s_and_b32 s6, s6, 0x7ffffe
	s_add_i32 s7, s6, -1
	s_sub_i32 s6, 0, s6
	v_and_b32_e32 v1, s6, v0
	v_lshlrev_b32_e32 v3, 10, v1
	v_min_u32_e32 v1, s3, v3
	v_add_u32_e32 v3, s2, v3
	v_min_u32_e32 v3, s3, v3
	v_add_u32_e32 v4, s2, v3
	v_and_b32_e32 v2, s7, v0
	v_min_u32_e32 v4, s3, v4
	v_sub_u32_e32 v5, v4, v1
	v_lshlrev_b32_e32 v2, 10, v2
	v_min_u32_e32 v6, v5, v2
	v_sub_u32_e32 v2, v3, v1
	v_sub_u32_e32 v4, v4, v3
	v_sub_u32_e64 v5, v6, v4 clamp
	v_min_u32_e32 v7, v6, v2
	v_cmp_lt_u32_e32 vcc, v5, v7
	s_and_saveexec_b64 s[2:3], vcc
	s_cbranch_execz .LBB1305_5
; %bb.2:
	s_load_dwordx2 s[4:5], s[4:5], 0x10
	v_mov_b32_e32 v4, 0
	v_mov_b32_e32 v2, v4
	v_lshlrev_b64 v[8:9], 1, v[1:2]
	s_waitcnt lgkmcnt(0)
	v_mov_b32_e32 v11, s5
	v_add_co_u32_e32 v2, vcc, s4, v8
	v_addc_co_u32_e32 v8, vcc, v11, v9, vcc
	v_lshlrev_b64 v[9:10], 1, v[3:4]
	v_add_co_u32_e32 v9, vcc, s4, v9
	v_addc_co_u32_e32 v10, vcc, v11, v10, vcc
	s_mov_b64 s[4:5], 0
.LBB1305_3:                             ; =>This Inner Loop Header: Depth=1
	v_add_u32_e32 v3, v7, v5
	v_and_b32_e32 v11, -2, v3
	v_lshrrev_b32_e32 v13, 1, v3
	v_add_co_u32_e32 v11, vcc, v2, v11
	v_xad_u32 v3, v13, -1, v6
	v_addc_co_u32_e32 v12, vcc, 0, v8, vcc
	global_load_ushort v14, v[11:12], off
	v_lshlrev_b64 v[11:12], 1, v[3:4]
	v_add_co_u32_e32 v11, vcc, v9, v11
	v_addc_co_u32_e32 v12, vcc, v10, v12, vcc
	global_load_ushort v3, v[11:12], off
	v_add_u32_e32 v11, 1, v13
	s_waitcnt vmcnt(0)
	v_cmp_gt_i16_e32 vcc, v14, v3
	v_cndmask_b32_e32 v7, v7, v13, vcc
	v_cndmask_b32_e32 v5, v11, v5, vcc
	v_cmp_ge_u32_e32 vcc, v5, v7
	s_or_b64 s[4:5], vcc, s[4:5]
	s_andn2_b64 exec, exec, s[4:5]
	s_cbranch_execnz .LBB1305_3
; %bb.4:
	s_or_b64 exec, exec, s[4:5]
.LBB1305_5:
	s_or_b64 exec, exec, s[2:3]
	v_add_u32_e32 v2, v5, v1
	v_mov_b32_e32 v1, 0
	v_lshlrev_b64 v[0:1], 2, v[0:1]
	v_mov_b32_e32 v3, s1
	v_add_co_u32_e32 v0, vcc, s0, v0
	v_addc_co_u32_e32 v1, vcc, v3, v1, vcc
	global_store_dword v[0:1], v2, off
.LBB1305_6:
	s_endpgm
	.section	.rodata,"a",@progbits
	.p2align	6, 0x0
	.amdhsa_kernel _ZN7rocprim17ROCPRIM_400000_NS6detail17trampoline_kernelINS0_14default_configENS1_38merge_sort_block_merge_config_selectorIslEEZZNS1_27merge_sort_block_merge_implIS3_PsN6thrust23THRUST_200600_302600_NS10device_ptrIlEEjNS1_19radix_merge_compareILb0ELb0EsNS0_19identity_decomposerEEEEE10hipError_tT0_T1_T2_jT3_P12ihipStream_tbPNSt15iterator_traitsISG_E10value_typeEPNSM_ISH_E10value_typeEPSI_NS1_7vsmem_tEENKUlT_SG_SH_SI_E_clIS7_S7_SB_PlEESF_SV_SG_SH_SI_EUlSV_E_NS1_11comp_targetILNS1_3genE2ELNS1_11target_archE906ELNS1_3gpuE6ELNS1_3repE0EEENS1_48merge_mergepath_partition_config_static_selectorELNS0_4arch9wavefront6targetE1EEEvSH_
		.amdhsa_group_segment_fixed_size 0
		.amdhsa_private_segment_fixed_size 0
		.amdhsa_kernarg_size 40
		.amdhsa_user_sgpr_count 6
		.amdhsa_user_sgpr_private_segment_buffer 1
		.amdhsa_user_sgpr_dispatch_ptr 0
		.amdhsa_user_sgpr_queue_ptr 0
		.amdhsa_user_sgpr_kernarg_segment_ptr 1
		.amdhsa_user_sgpr_dispatch_id 0
		.amdhsa_user_sgpr_flat_scratch_init 0
		.amdhsa_user_sgpr_private_segment_size 0
		.amdhsa_uses_dynamic_stack 0
		.amdhsa_system_sgpr_private_segment_wavefront_offset 0
		.amdhsa_system_sgpr_workgroup_id_x 1
		.amdhsa_system_sgpr_workgroup_id_y 0
		.amdhsa_system_sgpr_workgroup_id_z 0
		.amdhsa_system_sgpr_workgroup_info 0
		.amdhsa_system_vgpr_workitem_id 0
		.amdhsa_next_free_vgpr 15
		.amdhsa_next_free_sgpr 8
		.amdhsa_reserve_vcc 1
		.amdhsa_reserve_flat_scratch 0
		.amdhsa_float_round_mode_32 0
		.amdhsa_float_round_mode_16_64 0
		.amdhsa_float_denorm_mode_32 3
		.amdhsa_float_denorm_mode_16_64 3
		.amdhsa_dx10_clamp 1
		.amdhsa_ieee_mode 1
		.amdhsa_fp16_overflow 0
		.amdhsa_exception_fp_ieee_invalid_op 0
		.amdhsa_exception_fp_denorm_src 0
		.amdhsa_exception_fp_ieee_div_zero 0
		.amdhsa_exception_fp_ieee_overflow 0
		.amdhsa_exception_fp_ieee_underflow 0
		.amdhsa_exception_fp_ieee_inexact 0
		.amdhsa_exception_int_div_zero 0
	.end_amdhsa_kernel
	.section	.text._ZN7rocprim17ROCPRIM_400000_NS6detail17trampoline_kernelINS0_14default_configENS1_38merge_sort_block_merge_config_selectorIslEEZZNS1_27merge_sort_block_merge_implIS3_PsN6thrust23THRUST_200600_302600_NS10device_ptrIlEEjNS1_19radix_merge_compareILb0ELb0EsNS0_19identity_decomposerEEEEE10hipError_tT0_T1_T2_jT3_P12ihipStream_tbPNSt15iterator_traitsISG_E10value_typeEPNSM_ISH_E10value_typeEPSI_NS1_7vsmem_tEENKUlT_SG_SH_SI_E_clIS7_S7_SB_PlEESF_SV_SG_SH_SI_EUlSV_E_NS1_11comp_targetILNS1_3genE2ELNS1_11target_archE906ELNS1_3gpuE6ELNS1_3repE0EEENS1_48merge_mergepath_partition_config_static_selectorELNS0_4arch9wavefront6targetE1EEEvSH_,"axG",@progbits,_ZN7rocprim17ROCPRIM_400000_NS6detail17trampoline_kernelINS0_14default_configENS1_38merge_sort_block_merge_config_selectorIslEEZZNS1_27merge_sort_block_merge_implIS3_PsN6thrust23THRUST_200600_302600_NS10device_ptrIlEEjNS1_19radix_merge_compareILb0ELb0EsNS0_19identity_decomposerEEEEE10hipError_tT0_T1_T2_jT3_P12ihipStream_tbPNSt15iterator_traitsISG_E10value_typeEPNSM_ISH_E10value_typeEPSI_NS1_7vsmem_tEENKUlT_SG_SH_SI_E_clIS7_S7_SB_PlEESF_SV_SG_SH_SI_EUlSV_E_NS1_11comp_targetILNS1_3genE2ELNS1_11target_archE906ELNS1_3gpuE6ELNS1_3repE0EEENS1_48merge_mergepath_partition_config_static_selectorELNS0_4arch9wavefront6targetE1EEEvSH_,comdat
.Lfunc_end1305:
	.size	_ZN7rocprim17ROCPRIM_400000_NS6detail17trampoline_kernelINS0_14default_configENS1_38merge_sort_block_merge_config_selectorIslEEZZNS1_27merge_sort_block_merge_implIS3_PsN6thrust23THRUST_200600_302600_NS10device_ptrIlEEjNS1_19radix_merge_compareILb0ELb0EsNS0_19identity_decomposerEEEEE10hipError_tT0_T1_T2_jT3_P12ihipStream_tbPNSt15iterator_traitsISG_E10value_typeEPNSM_ISH_E10value_typeEPSI_NS1_7vsmem_tEENKUlT_SG_SH_SI_E_clIS7_S7_SB_PlEESF_SV_SG_SH_SI_EUlSV_E_NS1_11comp_targetILNS1_3genE2ELNS1_11target_archE906ELNS1_3gpuE6ELNS1_3repE0EEENS1_48merge_mergepath_partition_config_static_selectorELNS0_4arch9wavefront6targetE1EEEvSH_, .Lfunc_end1305-_ZN7rocprim17ROCPRIM_400000_NS6detail17trampoline_kernelINS0_14default_configENS1_38merge_sort_block_merge_config_selectorIslEEZZNS1_27merge_sort_block_merge_implIS3_PsN6thrust23THRUST_200600_302600_NS10device_ptrIlEEjNS1_19radix_merge_compareILb0ELb0EsNS0_19identity_decomposerEEEEE10hipError_tT0_T1_T2_jT3_P12ihipStream_tbPNSt15iterator_traitsISG_E10value_typeEPNSM_ISH_E10value_typeEPSI_NS1_7vsmem_tEENKUlT_SG_SH_SI_E_clIS7_S7_SB_PlEESF_SV_SG_SH_SI_EUlSV_E_NS1_11comp_targetILNS1_3genE2ELNS1_11target_archE906ELNS1_3gpuE6ELNS1_3repE0EEENS1_48merge_mergepath_partition_config_static_selectorELNS0_4arch9wavefront6targetE1EEEvSH_
                                        ; -- End function
	.set _ZN7rocprim17ROCPRIM_400000_NS6detail17trampoline_kernelINS0_14default_configENS1_38merge_sort_block_merge_config_selectorIslEEZZNS1_27merge_sort_block_merge_implIS3_PsN6thrust23THRUST_200600_302600_NS10device_ptrIlEEjNS1_19radix_merge_compareILb0ELb0EsNS0_19identity_decomposerEEEEE10hipError_tT0_T1_T2_jT3_P12ihipStream_tbPNSt15iterator_traitsISG_E10value_typeEPNSM_ISH_E10value_typeEPSI_NS1_7vsmem_tEENKUlT_SG_SH_SI_E_clIS7_S7_SB_PlEESF_SV_SG_SH_SI_EUlSV_E_NS1_11comp_targetILNS1_3genE2ELNS1_11target_archE906ELNS1_3gpuE6ELNS1_3repE0EEENS1_48merge_mergepath_partition_config_static_selectorELNS0_4arch9wavefront6targetE1EEEvSH_.num_vgpr, 15
	.set _ZN7rocprim17ROCPRIM_400000_NS6detail17trampoline_kernelINS0_14default_configENS1_38merge_sort_block_merge_config_selectorIslEEZZNS1_27merge_sort_block_merge_implIS3_PsN6thrust23THRUST_200600_302600_NS10device_ptrIlEEjNS1_19radix_merge_compareILb0ELb0EsNS0_19identity_decomposerEEEEE10hipError_tT0_T1_T2_jT3_P12ihipStream_tbPNSt15iterator_traitsISG_E10value_typeEPNSM_ISH_E10value_typeEPSI_NS1_7vsmem_tEENKUlT_SG_SH_SI_E_clIS7_S7_SB_PlEESF_SV_SG_SH_SI_EUlSV_E_NS1_11comp_targetILNS1_3genE2ELNS1_11target_archE906ELNS1_3gpuE6ELNS1_3repE0EEENS1_48merge_mergepath_partition_config_static_selectorELNS0_4arch9wavefront6targetE1EEEvSH_.num_agpr, 0
	.set _ZN7rocprim17ROCPRIM_400000_NS6detail17trampoline_kernelINS0_14default_configENS1_38merge_sort_block_merge_config_selectorIslEEZZNS1_27merge_sort_block_merge_implIS3_PsN6thrust23THRUST_200600_302600_NS10device_ptrIlEEjNS1_19radix_merge_compareILb0ELb0EsNS0_19identity_decomposerEEEEE10hipError_tT0_T1_T2_jT3_P12ihipStream_tbPNSt15iterator_traitsISG_E10value_typeEPNSM_ISH_E10value_typeEPSI_NS1_7vsmem_tEENKUlT_SG_SH_SI_E_clIS7_S7_SB_PlEESF_SV_SG_SH_SI_EUlSV_E_NS1_11comp_targetILNS1_3genE2ELNS1_11target_archE906ELNS1_3gpuE6ELNS1_3repE0EEENS1_48merge_mergepath_partition_config_static_selectorELNS0_4arch9wavefront6targetE1EEEvSH_.numbered_sgpr, 8
	.set _ZN7rocprim17ROCPRIM_400000_NS6detail17trampoline_kernelINS0_14default_configENS1_38merge_sort_block_merge_config_selectorIslEEZZNS1_27merge_sort_block_merge_implIS3_PsN6thrust23THRUST_200600_302600_NS10device_ptrIlEEjNS1_19radix_merge_compareILb0ELb0EsNS0_19identity_decomposerEEEEE10hipError_tT0_T1_T2_jT3_P12ihipStream_tbPNSt15iterator_traitsISG_E10value_typeEPNSM_ISH_E10value_typeEPSI_NS1_7vsmem_tEENKUlT_SG_SH_SI_E_clIS7_S7_SB_PlEESF_SV_SG_SH_SI_EUlSV_E_NS1_11comp_targetILNS1_3genE2ELNS1_11target_archE906ELNS1_3gpuE6ELNS1_3repE0EEENS1_48merge_mergepath_partition_config_static_selectorELNS0_4arch9wavefront6targetE1EEEvSH_.num_named_barrier, 0
	.set _ZN7rocprim17ROCPRIM_400000_NS6detail17trampoline_kernelINS0_14default_configENS1_38merge_sort_block_merge_config_selectorIslEEZZNS1_27merge_sort_block_merge_implIS3_PsN6thrust23THRUST_200600_302600_NS10device_ptrIlEEjNS1_19radix_merge_compareILb0ELb0EsNS0_19identity_decomposerEEEEE10hipError_tT0_T1_T2_jT3_P12ihipStream_tbPNSt15iterator_traitsISG_E10value_typeEPNSM_ISH_E10value_typeEPSI_NS1_7vsmem_tEENKUlT_SG_SH_SI_E_clIS7_S7_SB_PlEESF_SV_SG_SH_SI_EUlSV_E_NS1_11comp_targetILNS1_3genE2ELNS1_11target_archE906ELNS1_3gpuE6ELNS1_3repE0EEENS1_48merge_mergepath_partition_config_static_selectorELNS0_4arch9wavefront6targetE1EEEvSH_.private_seg_size, 0
	.set _ZN7rocprim17ROCPRIM_400000_NS6detail17trampoline_kernelINS0_14default_configENS1_38merge_sort_block_merge_config_selectorIslEEZZNS1_27merge_sort_block_merge_implIS3_PsN6thrust23THRUST_200600_302600_NS10device_ptrIlEEjNS1_19radix_merge_compareILb0ELb0EsNS0_19identity_decomposerEEEEE10hipError_tT0_T1_T2_jT3_P12ihipStream_tbPNSt15iterator_traitsISG_E10value_typeEPNSM_ISH_E10value_typeEPSI_NS1_7vsmem_tEENKUlT_SG_SH_SI_E_clIS7_S7_SB_PlEESF_SV_SG_SH_SI_EUlSV_E_NS1_11comp_targetILNS1_3genE2ELNS1_11target_archE906ELNS1_3gpuE6ELNS1_3repE0EEENS1_48merge_mergepath_partition_config_static_selectorELNS0_4arch9wavefront6targetE1EEEvSH_.uses_vcc, 1
	.set _ZN7rocprim17ROCPRIM_400000_NS6detail17trampoline_kernelINS0_14default_configENS1_38merge_sort_block_merge_config_selectorIslEEZZNS1_27merge_sort_block_merge_implIS3_PsN6thrust23THRUST_200600_302600_NS10device_ptrIlEEjNS1_19radix_merge_compareILb0ELb0EsNS0_19identity_decomposerEEEEE10hipError_tT0_T1_T2_jT3_P12ihipStream_tbPNSt15iterator_traitsISG_E10value_typeEPNSM_ISH_E10value_typeEPSI_NS1_7vsmem_tEENKUlT_SG_SH_SI_E_clIS7_S7_SB_PlEESF_SV_SG_SH_SI_EUlSV_E_NS1_11comp_targetILNS1_3genE2ELNS1_11target_archE906ELNS1_3gpuE6ELNS1_3repE0EEENS1_48merge_mergepath_partition_config_static_selectorELNS0_4arch9wavefront6targetE1EEEvSH_.uses_flat_scratch, 0
	.set _ZN7rocprim17ROCPRIM_400000_NS6detail17trampoline_kernelINS0_14default_configENS1_38merge_sort_block_merge_config_selectorIslEEZZNS1_27merge_sort_block_merge_implIS3_PsN6thrust23THRUST_200600_302600_NS10device_ptrIlEEjNS1_19radix_merge_compareILb0ELb0EsNS0_19identity_decomposerEEEEE10hipError_tT0_T1_T2_jT3_P12ihipStream_tbPNSt15iterator_traitsISG_E10value_typeEPNSM_ISH_E10value_typeEPSI_NS1_7vsmem_tEENKUlT_SG_SH_SI_E_clIS7_S7_SB_PlEESF_SV_SG_SH_SI_EUlSV_E_NS1_11comp_targetILNS1_3genE2ELNS1_11target_archE906ELNS1_3gpuE6ELNS1_3repE0EEENS1_48merge_mergepath_partition_config_static_selectorELNS0_4arch9wavefront6targetE1EEEvSH_.has_dyn_sized_stack, 0
	.set _ZN7rocprim17ROCPRIM_400000_NS6detail17trampoline_kernelINS0_14default_configENS1_38merge_sort_block_merge_config_selectorIslEEZZNS1_27merge_sort_block_merge_implIS3_PsN6thrust23THRUST_200600_302600_NS10device_ptrIlEEjNS1_19radix_merge_compareILb0ELb0EsNS0_19identity_decomposerEEEEE10hipError_tT0_T1_T2_jT3_P12ihipStream_tbPNSt15iterator_traitsISG_E10value_typeEPNSM_ISH_E10value_typeEPSI_NS1_7vsmem_tEENKUlT_SG_SH_SI_E_clIS7_S7_SB_PlEESF_SV_SG_SH_SI_EUlSV_E_NS1_11comp_targetILNS1_3genE2ELNS1_11target_archE906ELNS1_3gpuE6ELNS1_3repE0EEENS1_48merge_mergepath_partition_config_static_selectorELNS0_4arch9wavefront6targetE1EEEvSH_.has_recursion, 0
	.set _ZN7rocprim17ROCPRIM_400000_NS6detail17trampoline_kernelINS0_14default_configENS1_38merge_sort_block_merge_config_selectorIslEEZZNS1_27merge_sort_block_merge_implIS3_PsN6thrust23THRUST_200600_302600_NS10device_ptrIlEEjNS1_19radix_merge_compareILb0ELb0EsNS0_19identity_decomposerEEEEE10hipError_tT0_T1_T2_jT3_P12ihipStream_tbPNSt15iterator_traitsISG_E10value_typeEPNSM_ISH_E10value_typeEPSI_NS1_7vsmem_tEENKUlT_SG_SH_SI_E_clIS7_S7_SB_PlEESF_SV_SG_SH_SI_EUlSV_E_NS1_11comp_targetILNS1_3genE2ELNS1_11target_archE906ELNS1_3gpuE6ELNS1_3repE0EEENS1_48merge_mergepath_partition_config_static_selectorELNS0_4arch9wavefront6targetE1EEEvSH_.has_indirect_call, 0
	.section	.AMDGPU.csdata,"",@progbits
; Kernel info:
; codeLenInByte = 352
; TotalNumSgprs: 12
; NumVgprs: 15
; ScratchSize: 0
; MemoryBound: 0
; FloatMode: 240
; IeeeMode: 1
; LDSByteSize: 0 bytes/workgroup (compile time only)
; SGPRBlocks: 1
; VGPRBlocks: 3
; NumSGPRsForWavesPerEU: 12
; NumVGPRsForWavesPerEU: 15
; Occupancy: 10
; WaveLimiterHint : 0
; COMPUTE_PGM_RSRC2:SCRATCH_EN: 0
; COMPUTE_PGM_RSRC2:USER_SGPR: 6
; COMPUTE_PGM_RSRC2:TRAP_HANDLER: 0
; COMPUTE_PGM_RSRC2:TGID_X_EN: 1
; COMPUTE_PGM_RSRC2:TGID_Y_EN: 0
; COMPUTE_PGM_RSRC2:TGID_Z_EN: 0
; COMPUTE_PGM_RSRC2:TIDIG_COMP_CNT: 0
	.section	.text._ZN7rocprim17ROCPRIM_400000_NS6detail17trampoline_kernelINS0_14default_configENS1_38merge_sort_block_merge_config_selectorIslEEZZNS1_27merge_sort_block_merge_implIS3_PsN6thrust23THRUST_200600_302600_NS10device_ptrIlEEjNS1_19radix_merge_compareILb0ELb0EsNS0_19identity_decomposerEEEEE10hipError_tT0_T1_T2_jT3_P12ihipStream_tbPNSt15iterator_traitsISG_E10value_typeEPNSM_ISH_E10value_typeEPSI_NS1_7vsmem_tEENKUlT_SG_SH_SI_E_clIS7_S7_SB_PlEESF_SV_SG_SH_SI_EUlSV_E_NS1_11comp_targetILNS1_3genE9ELNS1_11target_archE1100ELNS1_3gpuE3ELNS1_3repE0EEENS1_48merge_mergepath_partition_config_static_selectorELNS0_4arch9wavefront6targetE1EEEvSH_,"axG",@progbits,_ZN7rocprim17ROCPRIM_400000_NS6detail17trampoline_kernelINS0_14default_configENS1_38merge_sort_block_merge_config_selectorIslEEZZNS1_27merge_sort_block_merge_implIS3_PsN6thrust23THRUST_200600_302600_NS10device_ptrIlEEjNS1_19radix_merge_compareILb0ELb0EsNS0_19identity_decomposerEEEEE10hipError_tT0_T1_T2_jT3_P12ihipStream_tbPNSt15iterator_traitsISG_E10value_typeEPNSM_ISH_E10value_typeEPSI_NS1_7vsmem_tEENKUlT_SG_SH_SI_E_clIS7_S7_SB_PlEESF_SV_SG_SH_SI_EUlSV_E_NS1_11comp_targetILNS1_3genE9ELNS1_11target_archE1100ELNS1_3gpuE3ELNS1_3repE0EEENS1_48merge_mergepath_partition_config_static_selectorELNS0_4arch9wavefront6targetE1EEEvSH_,comdat
	.protected	_ZN7rocprim17ROCPRIM_400000_NS6detail17trampoline_kernelINS0_14default_configENS1_38merge_sort_block_merge_config_selectorIslEEZZNS1_27merge_sort_block_merge_implIS3_PsN6thrust23THRUST_200600_302600_NS10device_ptrIlEEjNS1_19radix_merge_compareILb0ELb0EsNS0_19identity_decomposerEEEEE10hipError_tT0_T1_T2_jT3_P12ihipStream_tbPNSt15iterator_traitsISG_E10value_typeEPNSM_ISH_E10value_typeEPSI_NS1_7vsmem_tEENKUlT_SG_SH_SI_E_clIS7_S7_SB_PlEESF_SV_SG_SH_SI_EUlSV_E_NS1_11comp_targetILNS1_3genE9ELNS1_11target_archE1100ELNS1_3gpuE3ELNS1_3repE0EEENS1_48merge_mergepath_partition_config_static_selectorELNS0_4arch9wavefront6targetE1EEEvSH_ ; -- Begin function _ZN7rocprim17ROCPRIM_400000_NS6detail17trampoline_kernelINS0_14default_configENS1_38merge_sort_block_merge_config_selectorIslEEZZNS1_27merge_sort_block_merge_implIS3_PsN6thrust23THRUST_200600_302600_NS10device_ptrIlEEjNS1_19radix_merge_compareILb0ELb0EsNS0_19identity_decomposerEEEEE10hipError_tT0_T1_T2_jT3_P12ihipStream_tbPNSt15iterator_traitsISG_E10value_typeEPNSM_ISH_E10value_typeEPSI_NS1_7vsmem_tEENKUlT_SG_SH_SI_E_clIS7_S7_SB_PlEESF_SV_SG_SH_SI_EUlSV_E_NS1_11comp_targetILNS1_3genE9ELNS1_11target_archE1100ELNS1_3gpuE3ELNS1_3repE0EEENS1_48merge_mergepath_partition_config_static_selectorELNS0_4arch9wavefront6targetE1EEEvSH_
	.globl	_ZN7rocprim17ROCPRIM_400000_NS6detail17trampoline_kernelINS0_14default_configENS1_38merge_sort_block_merge_config_selectorIslEEZZNS1_27merge_sort_block_merge_implIS3_PsN6thrust23THRUST_200600_302600_NS10device_ptrIlEEjNS1_19radix_merge_compareILb0ELb0EsNS0_19identity_decomposerEEEEE10hipError_tT0_T1_T2_jT3_P12ihipStream_tbPNSt15iterator_traitsISG_E10value_typeEPNSM_ISH_E10value_typeEPSI_NS1_7vsmem_tEENKUlT_SG_SH_SI_E_clIS7_S7_SB_PlEESF_SV_SG_SH_SI_EUlSV_E_NS1_11comp_targetILNS1_3genE9ELNS1_11target_archE1100ELNS1_3gpuE3ELNS1_3repE0EEENS1_48merge_mergepath_partition_config_static_selectorELNS0_4arch9wavefront6targetE1EEEvSH_
	.p2align	8
	.type	_ZN7rocprim17ROCPRIM_400000_NS6detail17trampoline_kernelINS0_14default_configENS1_38merge_sort_block_merge_config_selectorIslEEZZNS1_27merge_sort_block_merge_implIS3_PsN6thrust23THRUST_200600_302600_NS10device_ptrIlEEjNS1_19radix_merge_compareILb0ELb0EsNS0_19identity_decomposerEEEEE10hipError_tT0_T1_T2_jT3_P12ihipStream_tbPNSt15iterator_traitsISG_E10value_typeEPNSM_ISH_E10value_typeEPSI_NS1_7vsmem_tEENKUlT_SG_SH_SI_E_clIS7_S7_SB_PlEESF_SV_SG_SH_SI_EUlSV_E_NS1_11comp_targetILNS1_3genE9ELNS1_11target_archE1100ELNS1_3gpuE3ELNS1_3repE0EEENS1_48merge_mergepath_partition_config_static_selectorELNS0_4arch9wavefront6targetE1EEEvSH_,@function
_ZN7rocprim17ROCPRIM_400000_NS6detail17trampoline_kernelINS0_14default_configENS1_38merge_sort_block_merge_config_selectorIslEEZZNS1_27merge_sort_block_merge_implIS3_PsN6thrust23THRUST_200600_302600_NS10device_ptrIlEEjNS1_19radix_merge_compareILb0ELb0EsNS0_19identity_decomposerEEEEE10hipError_tT0_T1_T2_jT3_P12ihipStream_tbPNSt15iterator_traitsISG_E10value_typeEPNSM_ISH_E10value_typeEPSI_NS1_7vsmem_tEENKUlT_SG_SH_SI_E_clIS7_S7_SB_PlEESF_SV_SG_SH_SI_EUlSV_E_NS1_11comp_targetILNS1_3genE9ELNS1_11target_archE1100ELNS1_3gpuE3ELNS1_3repE0EEENS1_48merge_mergepath_partition_config_static_selectorELNS0_4arch9wavefront6targetE1EEEvSH_: ; @_ZN7rocprim17ROCPRIM_400000_NS6detail17trampoline_kernelINS0_14default_configENS1_38merge_sort_block_merge_config_selectorIslEEZZNS1_27merge_sort_block_merge_implIS3_PsN6thrust23THRUST_200600_302600_NS10device_ptrIlEEjNS1_19radix_merge_compareILb0ELb0EsNS0_19identity_decomposerEEEEE10hipError_tT0_T1_T2_jT3_P12ihipStream_tbPNSt15iterator_traitsISG_E10value_typeEPNSM_ISH_E10value_typeEPSI_NS1_7vsmem_tEENKUlT_SG_SH_SI_E_clIS7_S7_SB_PlEESF_SV_SG_SH_SI_EUlSV_E_NS1_11comp_targetILNS1_3genE9ELNS1_11target_archE1100ELNS1_3gpuE3ELNS1_3repE0EEENS1_48merge_mergepath_partition_config_static_selectorELNS0_4arch9wavefront6targetE1EEEvSH_
; %bb.0:
	.section	.rodata,"a",@progbits
	.p2align	6, 0x0
	.amdhsa_kernel _ZN7rocprim17ROCPRIM_400000_NS6detail17trampoline_kernelINS0_14default_configENS1_38merge_sort_block_merge_config_selectorIslEEZZNS1_27merge_sort_block_merge_implIS3_PsN6thrust23THRUST_200600_302600_NS10device_ptrIlEEjNS1_19radix_merge_compareILb0ELb0EsNS0_19identity_decomposerEEEEE10hipError_tT0_T1_T2_jT3_P12ihipStream_tbPNSt15iterator_traitsISG_E10value_typeEPNSM_ISH_E10value_typeEPSI_NS1_7vsmem_tEENKUlT_SG_SH_SI_E_clIS7_S7_SB_PlEESF_SV_SG_SH_SI_EUlSV_E_NS1_11comp_targetILNS1_3genE9ELNS1_11target_archE1100ELNS1_3gpuE3ELNS1_3repE0EEENS1_48merge_mergepath_partition_config_static_selectorELNS0_4arch9wavefront6targetE1EEEvSH_
		.amdhsa_group_segment_fixed_size 0
		.amdhsa_private_segment_fixed_size 0
		.amdhsa_kernarg_size 40
		.amdhsa_user_sgpr_count 6
		.amdhsa_user_sgpr_private_segment_buffer 1
		.amdhsa_user_sgpr_dispatch_ptr 0
		.amdhsa_user_sgpr_queue_ptr 0
		.amdhsa_user_sgpr_kernarg_segment_ptr 1
		.amdhsa_user_sgpr_dispatch_id 0
		.amdhsa_user_sgpr_flat_scratch_init 0
		.amdhsa_user_sgpr_private_segment_size 0
		.amdhsa_uses_dynamic_stack 0
		.amdhsa_system_sgpr_private_segment_wavefront_offset 0
		.amdhsa_system_sgpr_workgroup_id_x 1
		.amdhsa_system_sgpr_workgroup_id_y 0
		.amdhsa_system_sgpr_workgroup_id_z 0
		.amdhsa_system_sgpr_workgroup_info 0
		.amdhsa_system_vgpr_workitem_id 0
		.amdhsa_next_free_vgpr 1
		.amdhsa_next_free_sgpr 0
		.amdhsa_reserve_vcc 0
		.amdhsa_reserve_flat_scratch 0
		.amdhsa_float_round_mode_32 0
		.amdhsa_float_round_mode_16_64 0
		.amdhsa_float_denorm_mode_32 3
		.amdhsa_float_denorm_mode_16_64 3
		.amdhsa_dx10_clamp 1
		.amdhsa_ieee_mode 1
		.amdhsa_fp16_overflow 0
		.amdhsa_exception_fp_ieee_invalid_op 0
		.amdhsa_exception_fp_denorm_src 0
		.amdhsa_exception_fp_ieee_div_zero 0
		.amdhsa_exception_fp_ieee_overflow 0
		.amdhsa_exception_fp_ieee_underflow 0
		.amdhsa_exception_fp_ieee_inexact 0
		.amdhsa_exception_int_div_zero 0
	.end_amdhsa_kernel
	.section	.text._ZN7rocprim17ROCPRIM_400000_NS6detail17trampoline_kernelINS0_14default_configENS1_38merge_sort_block_merge_config_selectorIslEEZZNS1_27merge_sort_block_merge_implIS3_PsN6thrust23THRUST_200600_302600_NS10device_ptrIlEEjNS1_19radix_merge_compareILb0ELb0EsNS0_19identity_decomposerEEEEE10hipError_tT0_T1_T2_jT3_P12ihipStream_tbPNSt15iterator_traitsISG_E10value_typeEPNSM_ISH_E10value_typeEPSI_NS1_7vsmem_tEENKUlT_SG_SH_SI_E_clIS7_S7_SB_PlEESF_SV_SG_SH_SI_EUlSV_E_NS1_11comp_targetILNS1_3genE9ELNS1_11target_archE1100ELNS1_3gpuE3ELNS1_3repE0EEENS1_48merge_mergepath_partition_config_static_selectorELNS0_4arch9wavefront6targetE1EEEvSH_,"axG",@progbits,_ZN7rocprim17ROCPRIM_400000_NS6detail17trampoline_kernelINS0_14default_configENS1_38merge_sort_block_merge_config_selectorIslEEZZNS1_27merge_sort_block_merge_implIS3_PsN6thrust23THRUST_200600_302600_NS10device_ptrIlEEjNS1_19radix_merge_compareILb0ELb0EsNS0_19identity_decomposerEEEEE10hipError_tT0_T1_T2_jT3_P12ihipStream_tbPNSt15iterator_traitsISG_E10value_typeEPNSM_ISH_E10value_typeEPSI_NS1_7vsmem_tEENKUlT_SG_SH_SI_E_clIS7_S7_SB_PlEESF_SV_SG_SH_SI_EUlSV_E_NS1_11comp_targetILNS1_3genE9ELNS1_11target_archE1100ELNS1_3gpuE3ELNS1_3repE0EEENS1_48merge_mergepath_partition_config_static_selectorELNS0_4arch9wavefront6targetE1EEEvSH_,comdat
.Lfunc_end1306:
	.size	_ZN7rocprim17ROCPRIM_400000_NS6detail17trampoline_kernelINS0_14default_configENS1_38merge_sort_block_merge_config_selectorIslEEZZNS1_27merge_sort_block_merge_implIS3_PsN6thrust23THRUST_200600_302600_NS10device_ptrIlEEjNS1_19radix_merge_compareILb0ELb0EsNS0_19identity_decomposerEEEEE10hipError_tT0_T1_T2_jT3_P12ihipStream_tbPNSt15iterator_traitsISG_E10value_typeEPNSM_ISH_E10value_typeEPSI_NS1_7vsmem_tEENKUlT_SG_SH_SI_E_clIS7_S7_SB_PlEESF_SV_SG_SH_SI_EUlSV_E_NS1_11comp_targetILNS1_3genE9ELNS1_11target_archE1100ELNS1_3gpuE3ELNS1_3repE0EEENS1_48merge_mergepath_partition_config_static_selectorELNS0_4arch9wavefront6targetE1EEEvSH_, .Lfunc_end1306-_ZN7rocprim17ROCPRIM_400000_NS6detail17trampoline_kernelINS0_14default_configENS1_38merge_sort_block_merge_config_selectorIslEEZZNS1_27merge_sort_block_merge_implIS3_PsN6thrust23THRUST_200600_302600_NS10device_ptrIlEEjNS1_19radix_merge_compareILb0ELb0EsNS0_19identity_decomposerEEEEE10hipError_tT0_T1_T2_jT3_P12ihipStream_tbPNSt15iterator_traitsISG_E10value_typeEPNSM_ISH_E10value_typeEPSI_NS1_7vsmem_tEENKUlT_SG_SH_SI_E_clIS7_S7_SB_PlEESF_SV_SG_SH_SI_EUlSV_E_NS1_11comp_targetILNS1_3genE9ELNS1_11target_archE1100ELNS1_3gpuE3ELNS1_3repE0EEENS1_48merge_mergepath_partition_config_static_selectorELNS0_4arch9wavefront6targetE1EEEvSH_
                                        ; -- End function
	.set _ZN7rocprim17ROCPRIM_400000_NS6detail17trampoline_kernelINS0_14default_configENS1_38merge_sort_block_merge_config_selectorIslEEZZNS1_27merge_sort_block_merge_implIS3_PsN6thrust23THRUST_200600_302600_NS10device_ptrIlEEjNS1_19radix_merge_compareILb0ELb0EsNS0_19identity_decomposerEEEEE10hipError_tT0_T1_T2_jT3_P12ihipStream_tbPNSt15iterator_traitsISG_E10value_typeEPNSM_ISH_E10value_typeEPSI_NS1_7vsmem_tEENKUlT_SG_SH_SI_E_clIS7_S7_SB_PlEESF_SV_SG_SH_SI_EUlSV_E_NS1_11comp_targetILNS1_3genE9ELNS1_11target_archE1100ELNS1_3gpuE3ELNS1_3repE0EEENS1_48merge_mergepath_partition_config_static_selectorELNS0_4arch9wavefront6targetE1EEEvSH_.num_vgpr, 0
	.set _ZN7rocprim17ROCPRIM_400000_NS6detail17trampoline_kernelINS0_14default_configENS1_38merge_sort_block_merge_config_selectorIslEEZZNS1_27merge_sort_block_merge_implIS3_PsN6thrust23THRUST_200600_302600_NS10device_ptrIlEEjNS1_19radix_merge_compareILb0ELb0EsNS0_19identity_decomposerEEEEE10hipError_tT0_T1_T2_jT3_P12ihipStream_tbPNSt15iterator_traitsISG_E10value_typeEPNSM_ISH_E10value_typeEPSI_NS1_7vsmem_tEENKUlT_SG_SH_SI_E_clIS7_S7_SB_PlEESF_SV_SG_SH_SI_EUlSV_E_NS1_11comp_targetILNS1_3genE9ELNS1_11target_archE1100ELNS1_3gpuE3ELNS1_3repE0EEENS1_48merge_mergepath_partition_config_static_selectorELNS0_4arch9wavefront6targetE1EEEvSH_.num_agpr, 0
	.set _ZN7rocprim17ROCPRIM_400000_NS6detail17trampoline_kernelINS0_14default_configENS1_38merge_sort_block_merge_config_selectorIslEEZZNS1_27merge_sort_block_merge_implIS3_PsN6thrust23THRUST_200600_302600_NS10device_ptrIlEEjNS1_19radix_merge_compareILb0ELb0EsNS0_19identity_decomposerEEEEE10hipError_tT0_T1_T2_jT3_P12ihipStream_tbPNSt15iterator_traitsISG_E10value_typeEPNSM_ISH_E10value_typeEPSI_NS1_7vsmem_tEENKUlT_SG_SH_SI_E_clIS7_S7_SB_PlEESF_SV_SG_SH_SI_EUlSV_E_NS1_11comp_targetILNS1_3genE9ELNS1_11target_archE1100ELNS1_3gpuE3ELNS1_3repE0EEENS1_48merge_mergepath_partition_config_static_selectorELNS0_4arch9wavefront6targetE1EEEvSH_.numbered_sgpr, 0
	.set _ZN7rocprim17ROCPRIM_400000_NS6detail17trampoline_kernelINS0_14default_configENS1_38merge_sort_block_merge_config_selectorIslEEZZNS1_27merge_sort_block_merge_implIS3_PsN6thrust23THRUST_200600_302600_NS10device_ptrIlEEjNS1_19radix_merge_compareILb0ELb0EsNS0_19identity_decomposerEEEEE10hipError_tT0_T1_T2_jT3_P12ihipStream_tbPNSt15iterator_traitsISG_E10value_typeEPNSM_ISH_E10value_typeEPSI_NS1_7vsmem_tEENKUlT_SG_SH_SI_E_clIS7_S7_SB_PlEESF_SV_SG_SH_SI_EUlSV_E_NS1_11comp_targetILNS1_3genE9ELNS1_11target_archE1100ELNS1_3gpuE3ELNS1_3repE0EEENS1_48merge_mergepath_partition_config_static_selectorELNS0_4arch9wavefront6targetE1EEEvSH_.num_named_barrier, 0
	.set _ZN7rocprim17ROCPRIM_400000_NS6detail17trampoline_kernelINS0_14default_configENS1_38merge_sort_block_merge_config_selectorIslEEZZNS1_27merge_sort_block_merge_implIS3_PsN6thrust23THRUST_200600_302600_NS10device_ptrIlEEjNS1_19radix_merge_compareILb0ELb0EsNS0_19identity_decomposerEEEEE10hipError_tT0_T1_T2_jT3_P12ihipStream_tbPNSt15iterator_traitsISG_E10value_typeEPNSM_ISH_E10value_typeEPSI_NS1_7vsmem_tEENKUlT_SG_SH_SI_E_clIS7_S7_SB_PlEESF_SV_SG_SH_SI_EUlSV_E_NS1_11comp_targetILNS1_3genE9ELNS1_11target_archE1100ELNS1_3gpuE3ELNS1_3repE0EEENS1_48merge_mergepath_partition_config_static_selectorELNS0_4arch9wavefront6targetE1EEEvSH_.private_seg_size, 0
	.set _ZN7rocprim17ROCPRIM_400000_NS6detail17trampoline_kernelINS0_14default_configENS1_38merge_sort_block_merge_config_selectorIslEEZZNS1_27merge_sort_block_merge_implIS3_PsN6thrust23THRUST_200600_302600_NS10device_ptrIlEEjNS1_19radix_merge_compareILb0ELb0EsNS0_19identity_decomposerEEEEE10hipError_tT0_T1_T2_jT3_P12ihipStream_tbPNSt15iterator_traitsISG_E10value_typeEPNSM_ISH_E10value_typeEPSI_NS1_7vsmem_tEENKUlT_SG_SH_SI_E_clIS7_S7_SB_PlEESF_SV_SG_SH_SI_EUlSV_E_NS1_11comp_targetILNS1_3genE9ELNS1_11target_archE1100ELNS1_3gpuE3ELNS1_3repE0EEENS1_48merge_mergepath_partition_config_static_selectorELNS0_4arch9wavefront6targetE1EEEvSH_.uses_vcc, 0
	.set _ZN7rocprim17ROCPRIM_400000_NS6detail17trampoline_kernelINS0_14default_configENS1_38merge_sort_block_merge_config_selectorIslEEZZNS1_27merge_sort_block_merge_implIS3_PsN6thrust23THRUST_200600_302600_NS10device_ptrIlEEjNS1_19radix_merge_compareILb0ELb0EsNS0_19identity_decomposerEEEEE10hipError_tT0_T1_T2_jT3_P12ihipStream_tbPNSt15iterator_traitsISG_E10value_typeEPNSM_ISH_E10value_typeEPSI_NS1_7vsmem_tEENKUlT_SG_SH_SI_E_clIS7_S7_SB_PlEESF_SV_SG_SH_SI_EUlSV_E_NS1_11comp_targetILNS1_3genE9ELNS1_11target_archE1100ELNS1_3gpuE3ELNS1_3repE0EEENS1_48merge_mergepath_partition_config_static_selectorELNS0_4arch9wavefront6targetE1EEEvSH_.uses_flat_scratch, 0
	.set _ZN7rocprim17ROCPRIM_400000_NS6detail17trampoline_kernelINS0_14default_configENS1_38merge_sort_block_merge_config_selectorIslEEZZNS1_27merge_sort_block_merge_implIS3_PsN6thrust23THRUST_200600_302600_NS10device_ptrIlEEjNS1_19radix_merge_compareILb0ELb0EsNS0_19identity_decomposerEEEEE10hipError_tT0_T1_T2_jT3_P12ihipStream_tbPNSt15iterator_traitsISG_E10value_typeEPNSM_ISH_E10value_typeEPSI_NS1_7vsmem_tEENKUlT_SG_SH_SI_E_clIS7_S7_SB_PlEESF_SV_SG_SH_SI_EUlSV_E_NS1_11comp_targetILNS1_3genE9ELNS1_11target_archE1100ELNS1_3gpuE3ELNS1_3repE0EEENS1_48merge_mergepath_partition_config_static_selectorELNS0_4arch9wavefront6targetE1EEEvSH_.has_dyn_sized_stack, 0
	.set _ZN7rocprim17ROCPRIM_400000_NS6detail17trampoline_kernelINS0_14default_configENS1_38merge_sort_block_merge_config_selectorIslEEZZNS1_27merge_sort_block_merge_implIS3_PsN6thrust23THRUST_200600_302600_NS10device_ptrIlEEjNS1_19radix_merge_compareILb0ELb0EsNS0_19identity_decomposerEEEEE10hipError_tT0_T1_T2_jT3_P12ihipStream_tbPNSt15iterator_traitsISG_E10value_typeEPNSM_ISH_E10value_typeEPSI_NS1_7vsmem_tEENKUlT_SG_SH_SI_E_clIS7_S7_SB_PlEESF_SV_SG_SH_SI_EUlSV_E_NS1_11comp_targetILNS1_3genE9ELNS1_11target_archE1100ELNS1_3gpuE3ELNS1_3repE0EEENS1_48merge_mergepath_partition_config_static_selectorELNS0_4arch9wavefront6targetE1EEEvSH_.has_recursion, 0
	.set _ZN7rocprim17ROCPRIM_400000_NS6detail17trampoline_kernelINS0_14default_configENS1_38merge_sort_block_merge_config_selectorIslEEZZNS1_27merge_sort_block_merge_implIS3_PsN6thrust23THRUST_200600_302600_NS10device_ptrIlEEjNS1_19radix_merge_compareILb0ELb0EsNS0_19identity_decomposerEEEEE10hipError_tT0_T1_T2_jT3_P12ihipStream_tbPNSt15iterator_traitsISG_E10value_typeEPNSM_ISH_E10value_typeEPSI_NS1_7vsmem_tEENKUlT_SG_SH_SI_E_clIS7_S7_SB_PlEESF_SV_SG_SH_SI_EUlSV_E_NS1_11comp_targetILNS1_3genE9ELNS1_11target_archE1100ELNS1_3gpuE3ELNS1_3repE0EEENS1_48merge_mergepath_partition_config_static_selectorELNS0_4arch9wavefront6targetE1EEEvSH_.has_indirect_call, 0
	.section	.AMDGPU.csdata,"",@progbits
; Kernel info:
; codeLenInByte = 0
; TotalNumSgprs: 4
; NumVgprs: 0
; ScratchSize: 0
; MemoryBound: 0
; FloatMode: 240
; IeeeMode: 1
; LDSByteSize: 0 bytes/workgroup (compile time only)
; SGPRBlocks: 0
; VGPRBlocks: 0
; NumSGPRsForWavesPerEU: 4
; NumVGPRsForWavesPerEU: 1
; Occupancy: 10
; WaveLimiterHint : 0
; COMPUTE_PGM_RSRC2:SCRATCH_EN: 0
; COMPUTE_PGM_RSRC2:USER_SGPR: 6
; COMPUTE_PGM_RSRC2:TRAP_HANDLER: 0
; COMPUTE_PGM_RSRC2:TGID_X_EN: 1
; COMPUTE_PGM_RSRC2:TGID_Y_EN: 0
; COMPUTE_PGM_RSRC2:TGID_Z_EN: 0
; COMPUTE_PGM_RSRC2:TIDIG_COMP_CNT: 0
	.section	.text._ZN7rocprim17ROCPRIM_400000_NS6detail17trampoline_kernelINS0_14default_configENS1_38merge_sort_block_merge_config_selectorIslEEZZNS1_27merge_sort_block_merge_implIS3_PsN6thrust23THRUST_200600_302600_NS10device_ptrIlEEjNS1_19radix_merge_compareILb0ELb0EsNS0_19identity_decomposerEEEEE10hipError_tT0_T1_T2_jT3_P12ihipStream_tbPNSt15iterator_traitsISG_E10value_typeEPNSM_ISH_E10value_typeEPSI_NS1_7vsmem_tEENKUlT_SG_SH_SI_E_clIS7_S7_SB_PlEESF_SV_SG_SH_SI_EUlSV_E_NS1_11comp_targetILNS1_3genE8ELNS1_11target_archE1030ELNS1_3gpuE2ELNS1_3repE0EEENS1_48merge_mergepath_partition_config_static_selectorELNS0_4arch9wavefront6targetE1EEEvSH_,"axG",@progbits,_ZN7rocprim17ROCPRIM_400000_NS6detail17trampoline_kernelINS0_14default_configENS1_38merge_sort_block_merge_config_selectorIslEEZZNS1_27merge_sort_block_merge_implIS3_PsN6thrust23THRUST_200600_302600_NS10device_ptrIlEEjNS1_19radix_merge_compareILb0ELb0EsNS0_19identity_decomposerEEEEE10hipError_tT0_T1_T2_jT3_P12ihipStream_tbPNSt15iterator_traitsISG_E10value_typeEPNSM_ISH_E10value_typeEPSI_NS1_7vsmem_tEENKUlT_SG_SH_SI_E_clIS7_S7_SB_PlEESF_SV_SG_SH_SI_EUlSV_E_NS1_11comp_targetILNS1_3genE8ELNS1_11target_archE1030ELNS1_3gpuE2ELNS1_3repE0EEENS1_48merge_mergepath_partition_config_static_selectorELNS0_4arch9wavefront6targetE1EEEvSH_,comdat
	.protected	_ZN7rocprim17ROCPRIM_400000_NS6detail17trampoline_kernelINS0_14default_configENS1_38merge_sort_block_merge_config_selectorIslEEZZNS1_27merge_sort_block_merge_implIS3_PsN6thrust23THRUST_200600_302600_NS10device_ptrIlEEjNS1_19radix_merge_compareILb0ELb0EsNS0_19identity_decomposerEEEEE10hipError_tT0_T1_T2_jT3_P12ihipStream_tbPNSt15iterator_traitsISG_E10value_typeEPNSM_ISH_E10value_typeEPSI_NS1_7vsmem_tEENKUlT_SG_SH_SI_E_clIS7_S7_SB_PlEESF_SV_SG_SH_SI_EUlSV_E_NS1_11comp_targetILNS1_3genE8ELNS1_11target_archE1030ELNS1_3gpuE2ELNS1_3repE0EEENS1_48merge_mergepath_partition_config_static_selectorELNS0_4arch9wavefront6targetE1EEEvSH_ ; -- Begin function _ZN7rocprim17ROCPRIM_400000_NS6detail17trampoline_kernelINS0_14default_configENS1_38merge_sort_block_merge_config_selectorIslEEZZNS1_27merge_sort_block_merge_implIS3_PsN6thrust23THRUST_200600_302600_NS10device_ptrIlEEjNS1_19radix_merge_compareILb0ELb0EsNS0_19identity_decomposerEEEEE10hipError_tT0_T1_T2_jT3_P12ihipStream_tbPNSt15iterator_traitsISG_E10value_typeEPNSM_ISH_E10value_typeEPSI_NS1_7vsmem_tEENKUlT_SG_SH_SI_E_clIS7_S7_SB_PlEESF_SV_SG_SH_SI_EUlSV_E_NS1_11comp_targetILNS1_3genE8ELNS1_11target_archE1030ELNS1_3gpuE2ELNS1_3repE0EEENS1_48merge_mergepath_partition_config_static_selectorELNS0_4arch9wavefront6targetE1EEEvSH_
	.globl	_ZN7rocprim17ROCPRIM_400000_NS6detail17trampoline_kernelINS0_14default_configENS1_38merge_sort_block_merge_config_selectorIslEEZZNS1_27merge_sort_block_merge_implIS3_PsN6thrust23THRUST_200600_302600_NS10device_ptrIlEEjNS1_19radix_merge_compareILb0ELb0EsNS0_19identity_decomposerEEEEE10hipError_tT0_T1_T2_jT3_P12ihipStream_tbPNSt15iterator_traitsISG_E10value_typeEPNSM_ISH_E10value_typeEPSI_NS1_7vsmem_tEENKUlT_SG_SH_SI_E_clIS7_S7_SB_PlEESF_SV_SG_SH_SI_EUlSV_E_NS1_11comp_targetILNS1_3genE8ELNS1_11target_archE1030ELNS1_3gpuE2ELNS1_3repE0EEENS1_48merge_mergepath_partition_config_static_selectorELNS0_4arch9wavefront6targetE1EEEvSH_
	.p2align	8
	.type	_ZN7rocprim17ROCPRIM_400000_NS6detail17trampoline_kernelINS0_14default_configENS1_38merge_sort_block_merge_config_selectorIslEEZZNS1_27merge_sort_block_merge_implIS3_PsN6thrust23THRUST_200600_302600_NS10device_ptrIlEEjNS1_19radix_merge_compareILb0ELb0EsNS0_19identity_decomposerEEEEE10hipError_tT0_T1_T2_jT3_P12ihipStream_tbPNSt15iterator_traitsISG_E10value_typeEPNSM_ISH_E10value_typeEPSI_NS1_7vsmem_tEENKUlT_SG_SH_SI_E_clIS7_S7_SB_PlEESF_SV_SG_SH_SI_EUlSV_E_NS1_11comp_targetILNS1_3genE8ELNS1_11target_archE1030ELNS1_3gpuE2ELNS1_3repE0EEENS1_48merge_mergepath_partition_config_static_selectorELNS0_4arch9wavefront6targetE1EEEvSH_,@function
_ZN7rocprim17ROCPRIM_400000_NS6detail17trampoline_kernelINS0_14default_configENS1_38merge_sort_block_merge_config_selectorIslEEZZNS1_27merge_sort_block_merge_implIS3_PsN6thrust23THRUST_200600_302600_NS10device_ptrIlEEjNS1_19radix_merge_compareILb0ELb0EsNS0_19identity_decomposerEEEEE10hipError_tT0_T1_T2_jT3_P12ihipStream_tbPNSt15iterator_traitsISG_E10value_typeEPNSM_ISH_E10value_typeEPSI_NS1_7vsmem_tEENKUlT_SG_SH_SI_E_clIS7_S7_SB_PlEESF_SV_SG_SH_SI_EUlSV_E_NS1_11comp_targetILNS1_3genE8ELNS1_11target_archE1030ELNS1_3gpuE2ELNS1_3repE0EEENS1_48merge_mergepath_partition_config_static_selectorELNS0_4arch9wavefront6targetE1EEEvSH_: ; @_ZN7rocprim17ROCPRIM_400000_NS6detail17trampoline_kernelINS0_14default_configENS1_38merge_sort_block_merge_config_selectorIslEEZZNS1_27merge_sort_block_merge_implIS3_PsN6thrust23THRUST_200600_302600_NS10device_ptrIlEEjNS1_19radix_merge_compareILb0ELb0EsNS0_19identity_decomposerEEEEE10hipError_tT0_T1_T2_jT3_P12ihipStream_tbPNSt15iterator_traitsISG_E10value_typeEPNSM_ISH_E10value_typeEPSI_NS1_7vsmem_tEENKUlT_SG_SH_SI_E_clIS7_S7_SB_PlEESF_SV_SG_SH_SI_EUlSV_E_NS1_11comp_targetILNS1_3genE8ELNS1_11target_archE1030ELNS1_3gpuE2ELNS1_3repE0EEENS1_48merge_mergepath_partition_config_static_selectorELNS0_4arch9wavefront6targetE1EEEvSH_
; %bb.0:
	.section	.rodata,"a",@progbits
	.p2align	6, 0x0
	.amdhsa_kernel _ZN7rocprim17ROCPRIM_400000_NS6detail17trampoline_kernelINS0_14default_configENS1_38merge_sort_block_merge_config_selectorIslEEZZNS1_27merge_sort_block_merge_implIS3_PsN6thrust23THRUST_200600_302600_NS10device_ptrIlEEjNS1_19radix_merge_compareILb0ELb0EsNS0_19identity_decomposerEEEEE10hipError_tT0_T1_T2_jT3_P12ihipStream_tbPNSt15iterator_traitsISG_E10value_typeEPNSM_ISH_E10value_typeEPSI_NS1_7vsmem_tEENKUlT_SG_SH_SI_E_clIS7_S7_SB_PlEESF_SV_SG_SH_SI_EUlSV_E_NS1_11comp_targetILNS1_3genE8ELNS1_11target_archE1030ELNS1_3gpuE2ELNS1_3repE0EEENS1_48merge_mergepath_partition_config_static_selectorELNS0_4arch9wavefront6targetE1EEEvSH_
		.amdhsa_group_segment_fixed_size 0
		.amdhsa_private_segment_fixed_size 0
		.amdhsa_kernarg_size 40
		.amdhsa_user_sgpr_count 6
		.amdhsa_user_sgpr_private_segment_buffer 1
		.amdhsa_user_sgpr_dispatch_ptr 0
		.amdhsa_user_sgpr_queue_ptr 0
		.amdhsa_user_sgpr_kernarg_segment_ptr 1
		.amdhsa_user_sgpr_dispatch_id 0
		.amdhsa_user_sgpr_flat_scratch_init 0
		.amdhsa_user_sgpr_private_segment_size 0
		.amdhsa_uses_dynamic_stack 0
		.amdhsa_system_sgpr_private_segment_wavefront_offset 0
		.amdhsa_system_sgpr_workgroup_id_x 1
		.amdhsa_system_sgpr_workgroup_id_y 0
		.amdhsa_system_sgpr_workgroup_id_z 0
		.amdhsa_system_sgpr_workgroup_info 0
		.amdhsa_system_vgpr_workitem_id 0
		.amdhsa_next_free_vgpr 1
		.amdhsa_next_free_sgpr 0
		.amdhsa_reserve_vcc 0
		.amdhsa_reserve_flat_scratch 0
		.amdhsa_float_round_mode_32 0
		.amdhsa_float_round_mode_16_64 0
		.amdhsa_float_denorm_mode_32 3
		.amdhsa_float_denorm_mode_16_64 3
		.amdhsa_dx10_clamp 1
		.amdhsa_ieee_mode 1
		.amdhsa_fp16_overflow 0
		.amdhsa_exception_fp_ieee_invalid_op 0
		.amdhsa_exception_fp_denorm_src 0
		.amdhsa_exception_fp_ieee_div_zero 0
		.amdhsa_exception_fp_ieee_overflow 0
		.amdhsa_exception_fp_ieee_underflow 0
		.amdhsa_exception_fp_ieee_inexact 0
		.amdhsa_exception_int_div_zero 0
	.end_amdhsa_kernel
	.section	.text._ZN7rocprim17ROCPRIM_400000_NS6detail17trampoline_kernelINS0_14default_configENS1_38merge_sort_block_merge_config_selectorIslEEZZNS1_27merge_sort_block_merge_implIS3_PsN6thrust23THRUST_200600_302600_NS10device_ptrIlEEjNS1_19radix_merge_compareILb0ELb0EsNS0_19identity_decomposerEEEEE10hipError_tT0_T1_T2_jT3_P12ihipStream_tbPNSt15iterator_traitsISG_E10value_typeEPNSM_ISH_E10value_typeEPSI_NS1_7vsmem_tEENKUlT_SG_SH_SI_E_clIS7_S7_SB_PlEESF_SV_SG_SH_SI_EUlSV_E_NS1_11comp_targetILNS1_3genE8ELNS1_11target_archE1030ELNS1_3gpuE2ELNS1_3repE0EEENS1_48merge_mergepath_partition_config_static_selectorELNS0_4arch9wavefront6targetE1EEEvSH_,"axG",@progbits,_ZN7rocprim17ROCPRIM_400000_NS6detail17trampoline_kernelINS0_14default_configENS1_38merge_sort_block_merge_config_selectorIslEEZZNS1_27merge_sort_block_merge_implIS3_PsN6thrust23THRUST_200600_302600_NS10device_ptrIlEEjNS1_19radix_merge_compareILb0ELb0EsNS0_19identity_decomposerEEEEE10hipError_tT0_T1_T2_jT3_P12ihipStream_tbPNSt15iterator_traitsISG_E10value_typeEPNSM_ISH_E10value_typeEPSI_NS1_7vsmem_tEENKUlT_SG_SH_SI_E_clIS7_S7_SB_PlEESF_SV_SG_SH_SI_EUlSV_E_NS1_11comp_targetILNS1_3genE8ELNS1_11target_archE1030ELNS1_3gpuE2ELNS1_3repE0EEENS1_48merge_mergepath_partition_config_static_selectorELNS0_4arch9wavefront6targetE1EEEvSH_,comdat
.Lfunc_end1307:
	.size	_ZN7rocprim17ROCPRIM_400000_NS6detail17trampoline_kernelINS0_14default_configENS1_38merge_sort_block_merge_config_selectorIslEEZZNS1_27merge_sort_block_merge_implIS3_PsN6thrust23THRUST_200600_302600_NS10device_ptrIlEEjNS1_19radix_merge_compareILb0ELb0EsNS0_19identity_decomposerEEEEE10hipError_tT0_T1_T2_jT3_P12ihipStream_tbPNSt15iterator_traitsISG_E10value_typeEPNSM_ISH_E10value_typeEPSI_NS1_7vsmem_tEENKUlT_SG_SH_SI_E_clIS7_S7_SB_PlEESF_SV_SG_SH_SI_EUlSV_E_NS1_11comp_targetILNS1_3genE8ELNS1_11target_archE1030ELNS1_3gpuE2ELNS1_3repE0EEENS1_48merge_mergepath_partition_config_static_selectorELNS0_4arch9wavefront6targetE1EEEvSH_, .Lfunc_end1307-_ZN7rocprim17ROCPRIM_400000_NS6detail17trampoline_kernelINS0_14default_configENS1_38merge_sort_block_merge_config_selectorIslEEZZNS1_27merge_sort_block_merge_implIS3_PsN6thrust23THRUST_200600_302600_NS10device_ptrIlEEjNS1_19radix_merge_compareILb0ELb0EsNS0_19identity_decomposerEEEEE10hipError_tT0_T1_T2_jT3_P12ihipStream_tbPNSt15iterator_traitsISG_E10value_typeEPNSM_ISH_E10value_typeEPSI_NS1_7vsmem_tEENKUlT_SG_SH_SI_E_clIS7_S7_SB_PlEESF_SV_SG_SH_SI_EUlSV_E_NS1_11comp_targetILNS1_3genE8ELNS1_11target_archE1030ELNS1_3gpuE2ELNS1_3repE0EEENS1_48merge_mergepath_partition_config_static_selectorELNS0_4arch9wavefront6targetE1EEEvSH_
                                        ; -- End function
	.set _ZN7rocprim17ROCPRIM_400000_NS6detail17trampoline_kernelINS0_14default_configENS1_38merge_sort_block_merge_config_selectorIslEEZZNS1_27merge_sort_block_merge_implIS3_PsN6thrust23THRUST_200600_302600_NS10device_ptrIlEEjNS1_19radix_merge_compareILb0ELb0EsNS0_19identity_decomposerEEEEE10hipError_tT0_T1_T2_jT3_P12ihipStream_tbPNSt15iterator_traitsISG_E10value_typeEPNSM_ISH_E10value_typeEPSI_NS1_7vsmem_tEENKUlT_SG_SH_SI_E_clIS7_S7_SB_PlEESF_SV_SG_SH_SI_EUlSV_E_NS1_11comp_targetILNS1_3genE8ELNS1_11target_archE1030ELNS1_3gpuE2ELNS1_3repE0EEENS1_48merge_mergepath_partition_config_static_selectorELNS0_4arch9wavefront6targetE1EEEvSH_.num_vgpr, 0
	.set _ZN7rocprim17ROCPRIM_400000_NS6detail17trampoline_kernelINS0_14default_configENS1_38merge_sort_block_merge_config_selectorIslEEZZNS1_27merge_sort_block_merge_implIS3_PsN6thrust23THRUST_200600_302600_NS10device_ptrIlEEjNS1_19radix_merge_compareILb0ELb0EsNS0_19identity_decomposerEEEEE10hipError_tT0_T1_T2_jT3_P12ihipStream_tbPNSt15iterator_traitsISG_E10value_typeEPNSM_ISH_E10value_typeEPSI_NS1_7vsmem_tEENKUlT_SG_SH_SI_E_clIS7_S7_SB_PlEESF_SV_SG_SH_SI_EUlSV_E_NS1_11comp_targetILNS1_3genE8ELNS1_11target_archE1030ELNS1_3gpuE2ELNS1_3repE0EEENS1_48merge_mergepath_partition_config_static_selectorELNS0_4arch9wavefront6targetE1EEEvSH_.num_agpr, 0
	.set _ZN7rocprim17ROCPRIM_400000_NS6detail17trampoline_kernelINS0_14default_configENS1_38merge_sort_block_merge_config_selectorIslEEZZNS1_27merge_sort_block_merge_implIS3_PsN6thrust23THRUST_200600_302600_NS10device_ptrIlEEjNS1_19radix_merge_compareILb0ELb0EsNS0_19identity_decomposerEEEEE10hipError_tT0_T1_T2_jT3_P12ihipStream_tbPNSt15iterator_traitsISG_E10value_typeEPNSM_ISH_E10value_typeEPSI_NS1_7vsmem_tEENKUlT_SG_SH_SI_E_clIS7_S7_SB_PlEESF_SV_SG_SH_SI_EUlSV_E_NS1_11comp_targetILNS1_3genE8ELNS1_11target_archE1030ELNS1_3gpuE2ELNS1_3repE0EEENS1_48merge_mergepath_partition_config_static_selectorELNS0_4arch9wavefront6targetE1EEEvSH_.numbered_sgpr, 0
	.set _ZN7rocprim17ROCPRIM_400000_NS6detail17trampoline_kernelINS0_14default_configENS1_38merge_sort_block_merge_config_selectorIslEEZZNS1_27merge_sort_block_merge_implIS3_PsN6thrust23THRUST_200600_302600_NS10device_ptrIlEEjNS1_19radix_merge_compareILb0ELb0EsNS0_19identity_decomposerEEEEE10hipError_tT0_T1_T2_jT3_P12ihipStream_tbPNSt15iterator_traitsISG_E10value_typeEPNSM_ISH_E10value_typeEPSI_NS1_7vsmem_tEENKUlT_SG_SH_SI_E_clIS7_S7_SB_PlEESF_SV_SG_SH_SI_EUlSV_E_NS1_11comp_targetILNS1_3genE8ELNS1_11target_archE1030ELNS1_3gpuE2ELNS1_3repE0EEENS1_48merge_mergepath_partition_config_static_selectorELNS0_4arch9wavefront6targetE1EEEvSH_.num_named_barrier, 0
	.set _ZN7rocprim17ROCPRIM_400000_NS6detail17trampoline_kernelINS0_14default_configENS1_38merge_sort_block_merge_config_selectorIslEEZZNS1_27merge_sort_block_merge_implIS3_PsN6thrust23THRUST_200600_302600_NS10device_ptrIlEEjNS1_19radix_merge_compareILb0ELb0EsNS0_19identity_decomposerEEEEE10hipError_tT0_T1_T2_jT3_P12ihipStream_tbPNSt15iterator_traitsISG_E10value_typeEPNSM_ISH_E10value_typeEPSI_NS1_7vsmem_tEENKUlT_SG_SH_SI_E_clIS7_S7_SB_PlEESF_SV_SG_SH_SI_EUlSV_E_NS1_11comp_targetILNS1_3genE8ELNS1_11target_archE1030ELNS1_3gpuE2ELNS1_3repE0EEENS1_48merge_mergepath_partition_config_static_selectorELNS0_4arch9wavefront6targetE1EEEvSH_.private_seg_size, 0
	.set _ZN7rocprim17ROCPRIM_400000_NS6detail17trampoline_kernelINS0_14default_configENS1_38merge_sort_block_merge_config_selectorIslEEZZNS1_27merge_sort_block_merge_implIS3_PsN6thrust23THRUST_200600_302600_NS10device_ptrIlEEjNS1_19radix_merge_compareILb0ELb0EsNS0_19identity_decomposerEEEEE10hipError_tT0_T1_T2_jT3_P12ihipStream_tbPNSt15iterator_traitsISG_E10value_typeEPNSM_ISH_E10value_typeEPSI_NS1_7vsmem_tEENKUlT_SG_SH_SI_E_clIS7_S7_SB_PlEESF_SV_SG_SH_SI_EUlSV_E_NS1_11comp_targetILNS1_3genE8ELNS1_11target_archE1030ELNS1_3gpuE2ELNS1_3repE0EEENS1_48merge_mergepath_partition_config_static_selectorELNS0_4arch9wavefront6targetE1EEEvSH_.uses_vcc, 0
	.set _ZN7rocprim17ROCPRIM_400000_NS6detail17trampoline_kernelINS0_14default_configENS1_38merge_sort_block_merge_config_selectorIslEEZZNS1_27merge_sort_block_merge_implIS3_PsN6thrust23THRUST_200600_302600_NS10device_ptrIlEEjNS1_19radix_merge_compareILb0ELb0EsNS0_19identity_decomposerEEEEE10hipError_tT0_T1_T2_jT3_P12ihipStream_tbPNSt15iterator_traitsISG_E10value_typeEPNSM_ISH_E10value_typeEPSI_NS1_7vsmem_tEENKUlT_SG_SH_SI_E_clIS7_S7_SB_PlEESF_SV_SG_SH_SI_EUlSV_E_NS1_11comp_targetILNS1_3genE8ELNS1_11target_archE1030ELNS1_3gpuE2ELNS1_3repE0EEENS1_48merge_mergepath_partition_config_static_selectorELNS0_4arch9wavefront6targetE1EEEvSH_.uses_flat_scratch, 0
	.set _ZN7rocprim17ROCPRIM_400000_NS6detail17trampoline_kernelINS0_14default_configENS1_38merge_sort_block_merge_config_selectorIslEEZZNS1_27merge_sort_block_merge_implIS3_PsN6thrust23THRUST_200600_302600_NS10device_ptrIlEEjNS1_19radix_merge_compareILb0ELb0EsNS0_19identity_decomposerEEEEE10hipError_tT0_T1_T2_jT3_P12ihipStream_tbPNSt15iterator_traitsISG_E10value_typeEPNSM_ISH_E10value_typeEPSI_NS1_7vsmem_tEENKUlT_SG_SH_SI_E_clIS7_S7_SB_PlEESF_SV_SG_SH_SI_EUlSV_E_NS1_11comp_targetILNS1_3genE8ELNS1_11target_archE1030ELNS1_3gpuE2ELNS1_3repE0EEENS1_48merge_mergepath_partition_config_static_selectorELNS0_4arch9wavefront6targetE1EEEvSH_.has_dyn_sized_stack, 0
	.set _ZN7rocprim17ROCPRIM_400000_NS6detail17trampoline_kernelINS0_14default_configENS1_38merge_sort_block_merge_config_selectorIslEEZZNS1_27merge_sort_block_merge_implIS3_PsN6thrust23THRUST_200600_302600_NS10device_ptrIlEEjNS1_19radix_merge_compareILb0ELb0EsNS0_19identity_decomposerEEEEE10hipError_tT0_T1_T2_jT3_P12ihipStream_tbPNSt15iterator_traitsISG_E10value_typeEPNSM_ISH_E10value_typeEPSI_NS1_7vsmem_tEENKUlT_SG_SH_SI_E_clIS7_S7_SB_PlEESF_SV_SG_SH_SI_EUlSV_E_NS1_11comp_targetILNS1_3genE8ELNS1_11target_archE1030ELNS1_3gpuE2ELNS1_3repE0EEENS1_48merge_mergepath_partition_config_static_selectorELNS0_4arch9wavefront6targetE1EEEvSH_.has_recursion, 0
	.set _ZN7rocprim17ROCPRIM_400000_NS6detail17trampoline_kernelINS0_14default_configENS1_38merge_sort_block_merge_config_selectorIslEEZZNS1_27merge_sort_block_merge_implIS3_PsN6thrust23THRUST_200600_302600_NS10device_ptrIlEEjNS1_19radix_merge_compareILb0ELb0EsNS0_19identity_decomposerEEEEE10hipError_tT0_T1_T2_jT3_P12ihipStream_tbPNSt15iterator_traitsISG_E10value_typeEPNSM_ISH_E10value_typeEPSI_NS1_7vsmem_tEENKUlT_SG_SH_SI_E_clIS7_S7_SB_PlEESF_SV_SG_SH_SI_EUlSV_E_NS1_11comp_targetILNS1_3genE8ELNS1_11target_archE1030ELNS1_3gpuE2ELNS1_3repE0EEENS1_48merge_mergepath_partition_config_static_selectorELNS0_4arch9wavefront6targetE1EEEvSH_.has_indirect_call, 0
	.section	.AMDGPU.csdata,"",@progbits
; Kernel info:
; codeLenInByte = 0
; TotalNumSgprs: 4
; NumVgprs: 0
; ScratchSize: 0
; MemoryBound: 0
; FloatMode: 240
; IeeeMode: 1
; LDSByteSize: 0 bytes/workgroup (compile time only)
; SGPRBlocks: 0
; VGPRBlocks: 0
; NumSGPRsForWavesPerEU: 4
; NumVGPRsForWavesPerEU: 1
; Occupancy: 10
; WaveLimiterHint : 0
; COMPUTE_PGM_RSRC2:SCRATCH_EN: 0
; COMPUTE_PGM_RSRC2:USER_SGPR: 6
; COMPUTE_PGM_RSRC2:TRAP_HANDLER: 0
; COMPUTE_PGM_RSRC2:TGID_X_EN: 1
; COMPUTE_PGM_RSRC2:TGID_Y_EN: 0
; COMPUTE_PGM_RSRC2:TGID_Z_EN: 0
; COMPUTE_PGM_RSRC2:TIDIG_COMP_CNT: 0
	.section	.text._ZN7rocprim17ROCPRIM_400000_NS6detail17trampoline_kernelINS0_14default_configENS1_38merge_sort_block_merge_config_selectorIslEEZZNS1_27merge_sort_block_merge_implIS3_PsN6thrust23THRUST_200600_302600_NS10device_ptrIlEEjNS1_19radix_merge_compareILb0ELb0EsNS0_19identity_decomposerEEEEE10hipError_tT0_T1_T2_jT3_P12ihipStream_tbPNSt15iterator_traitsISG_E10value_typeEPNSM_ISH_E10value_typeEPSI_NS1_7vsmem_tEENKUlT_SG_SH_SI_E_clIS7_S7_SB_PlEESF_SV_SG_SH_SI_EUlSV_E0_NS1_11comp_targetILNS1_3genE0ELNS1_11target_archE4294967295ELNS1_3gpuE0ELNS1_3repE0EEENS1_38merge_mergepath_config_static_selectorELNS0_4arch9wavefront6targetE1EEEvSH_,"axG",@progbits,_ZN7rocprim17ROCPRIM_400000_NS6detail17trampoline_kernelINS0_14default_configENS1_38merge_sort_block_merge_config_selectorIslEEZZNS1_27merge_sort_block_merge_implIS3_PsN6thrust23THRUST_200600_302600_NS10device_ptrIlEEjNS1_19radix_merge_compareILb0ELb0EsNS0_19identity_decomposerEEEEE10hipError_tT0_T1_T2_jT3_P12ihipStream_tbPNSt15iterator_traitsISG_E10value_typeEPNSM_ISH_E10value_typeEPSI_NS1_7vsmem_tEENKUlT_SG_SH_SI_E_clIS7_S7_SB_PlEESF_SV_SG_SH_SI_EUlSV_E0_NS1_11comp_targetILNS1_3genE0ELNS1_11target_archE4294967295ELNS1_3gpuE0ELNS1_3repE0EEENS1_38merge_mergepath_config_static_selectorELNS0_4arch9wavefront6targetE1EEEvSH_,comdat
	.protected	_ZN7rocprim17ROCPRIM_400000_NS6detail17trampoline_kernelINS0_14default_configENS1_38merge_sort_block_merge_config_selectorIslEEZZNS1_27merge_sort_block_merge_implIS3_PsN6thrust23THRUST_200600_302600_NS10device_ptrIlEEjNS1_19radix_merge_compareILb0ELb0EsNS0_19identity_decomposerEEEEE10hipError_tT0_T1_T2_jT3_P12ihipStream_tbPNSt15iterator_traitsISG_E10value_typeEPNSM_ISH_E10value_typeEPSI_NS1_7vsmem_tEENKUlT_SG_SH_SI_E_clIS7_S7_SB_PlEESF_SV_SG_SH_SI_EUlSV_E0_NS1_11comp_targetILNS1_3genE0ELNS1_11target_archE4294967295ELNS1_3gpuE0ELNS1_3repE0EEENS1_38merge_mergepath_config_static_selectorELNS0_4arch9wavefront6targetE1EEEvSH_ ; -- Begin function _ZN7rocprim17ROCPRIM_400000_NS6detail17trampoline_kernelINS0_14default_configENS1_38merge_sort_block_merge_config_selectorIslEEZZNS1_27merge_sort_block_merge_implIS3_PsN6thrust23THRUST_200600_302600_NS10device_ptrIlEEjNS1_19radix_merge_compareILb0ELb0EsNS0_19identity_decomposerEEEEE10hipError_tT0_T1_T2_jT3_P12ihipStream_tbPNSt15iterator_traitsISG_E10value_typeEPNSM_ISH_E10value_typeEPSI_NS1_7vsmem_tEENKUlT_SG_SH_SI_E_clIS7_S7_SB_PlEESF_SV_SG_SH_SI_EUlSV_E0_NS1_11comp_targetILNS1_3genE0ELNS1_11target_archE4294967295ELNS1_3gpuE0ELNS1_3repE0EEENS1_38merge_mergepath_config_static_selectorELNS0_4arch9wavefront6targetE1EEEvSH_
	.globl	_ZN7rocprim17ROCPRIM_400000_NS6detail17trampoline_kernelINS0_14default_configENS1_38merge_sort_block_merge_config_selectorIslEEZZNS1_27merge_sort_block_merge_implIS3_PsN6thrust23THRUST_200600_302600_NS10device_ptrIlEEjNS1_19radix_merge_compareILb0ELb0EsNS0_19identity_decomposerEEEEE10hipError_tT0_T1_T2_jT3_P12ihipStream_tbPNSt15iterator_traitsISG_E10value_typeEPNSM_ISH_E10value_typeEPSI_NS1_7vsmem_tEENKUlT_SG_SH_SI_E_clIS7_S7_SB_PlEESF_SV_SG_SH_SI_EUlSV_E0_NS1_11comp_targetILNS1_3genE0ELNS1_11target_archE4294967295ELNS1_3gpuE0ELNS1_3repE0EEENS1_38merge_mergepath_config_static_selectorELNS0_4arch9wavefront6targetE1EEEvSH_
	.p2align	8
	.type	_ZN7rocprim17ROCPRIM_400000_NS6detail17trampoline_kernelINS0_14default_configENS1_38merge_sort_block_merge_config_selectorIslEEZZNS1_27merge_sort_block_merge_implIS3_PsN6thrust23THRUST_200600_302600_NS10device_ptrIlEEjNS1_19radix_merge_compareILb0ELb0EsNS0_19identity_decomposerEEEEE10hipError_tT0_T1_T2_jT3_P12ihipStream_tbPNSt15iterator_traitsISG_E10value_typeEPNSM_ISH_E10value_typeEPSI_NS1_7vsmem_tEENKUlT_SG_SH_SI_E_clIS7_S7_SB_PlEESF_SV_SG_SH_SI_EUlSV_E0_NS1_11comp_targetILNS1_3genE0ELNS1_11target_archE4294967295ELNS1_3gpuE0ELNS1_3repE0EEENS1_38merge_mergepath_config_static_selectorELNS0_4arch9wavefront6targetE1EEEvSH_,@function
_ZN7rocprim17ROCPRIM_400000_NS6detail17trampoline_kernelINS0_14default_configENS1_38merge_sort_block_merge_config_selectorIslEEZZNS1_27merge_sort_block_merge_implIS3_PsN6thrust23THRUST_200600_302600_NS10device_ptrIlEEjNS1_19radix_merge_compareILb0ELb0EsNS0_19identity_decomposerEEEEE10hipError_tT0_T1_T2_jT3_P12ihipStream_tbPNSt15iterator_traitsISG_E10value_typeEPNSM_ISH_E10value_typeEPSI_NS1_7vsmem_tEENKUlT_SG_SH_SI_E_clIS7_S7_SB_PlEESF_SV_SG_SH_SI_EUlSV_E0_NS1_11comp_targetILNS1_3genE0ELNS1_11target_archE4294967295ELNS1_3gpuE0ELNS1_3repE0EEENS1_38merge_mergepath_config_static_selectorELNS0_4arch9wavefront6targetE1EEEvSH_: ; @_ZN7rocprim17ROCPRIM_400000_NS6detail17trampoline_kernelINS0_14default_configENS1_38merge_sort_block_merge_config_selectorIslEEZZNS1_27merge_sort_block_merge_implIS3_PsN6thrust23THRUST_200600_302600_NS10device_ptrIlEEjNS1_19radix_merge_compareILb0ELb0EsNS0_19identity_decomposerEEEEE10hipError_tT0_T1_T2_jT3_P12ihipStream_tbPNSt15iterator_traitsISG_E10value_typeEPNSM_ISH_E10value_typeEPSI_NS1_7vsmem_tEENKUlT_SG_SH_SI_E_clIS7_S7_SB_PlEESF_SV_SG_SH_SI_EUlSV_E0_NS1_11comp_targetILNS1_3genE0ELNS1_11target_archE4294967295ELNS1_3gpuE0ELNS1_3repE0EEENS1_38merge_mergepath_config_static_selectorELNS0_4arch9wavefront6targetE1EEEvSH_
; %bb.0:
	.section	.rodata,"a",@progbits
	.p2align	6, 0x0
	.amdhsa_kernel _ZN7rocprim17ROCPRIM_400000_NS6detail17trampoline_kernelINS0_14default_configENS1_38merge_sort_block_merge_config_selectorIslEEZZNS1_27merge_sort_block_merge_implIS3_PsN6thrust23THRUST_200600_302600_NS10device_ptrIlEEjNS1_19radix_merge_compareILb0ELb0EsNS0_19identity_decomposerEEEEE10hipError_tT0_T1_T2_jT3_P12ihipStream_tbPNSt15iterator_traitsISG_E10value_typeEPNSM_ISH_E10value_typeEPSI_NS1_7vsmem_tEENKUlT_SG_SH_SI_E_clIS7_S7_SB_PlEESF_SV_SG_SH_SI_EUlSV_E0_NS1_11comp_targetILNS1_3genE0ELNS1_11target_archE4294967295ELNS1_3gpuE0ELNS1_3repE0EEENS1_38merge_mergepath_config_static_selectorELNS0_4arch9wavefront6targetE1EEEvSH_
		.amdhsa_group_segment_fixed_size 0
		.amdhsa_private_segment_fixed_size 0
		.amdhsa_kernarg_size 64
		.amdhsa_user_sgpr_count 6
		.amdhsa_user_sgpr_private_segment_buffer 1
		.amdhsa_user_sgpr_dispatch_ptr 0
		.amdhsa_user_sgpr_queue_ptr 0
		.amdhsa_user_sgpr_kernarg_segment_ptr 1
		.amdhsa_user_sgpr_dispatch_id 0
		.amdhsa_user_sgpr_flat_scratch_init 0
		.amdhsa_user_sgpr_private_segment_size 0
		.amdhsa_uses_dynamic_stack 0
		.amdhsa_system_sgpr_private_segment_wavefront_offset 0
		.amdhsa_system_sgpr_workgroup_id_x 1
		.amdhsa_system_sgpr_workgroup_id_y 0
		.amdhsa_system_sgpr_workgroup_id_z 0
		.amdhsa_system_sgpr_workgroup_info 0
		.amdhsa_system_vgpr_workitem_id 0
		.amdhsa_next_free_vgpr 1
		.amdhsa_next_free_sgpr 0
		.amdhsa_reserve_vcc 0
		.amdhsa_reserve_flat_scratch 0
		.amdhsa_float_round_mode_32 0
		.amdhsa_float_round_mode_16_64 0
		.amdhsa_float_denorm_mode_32 3
		.amdhsa_float_denorm_mode_16_64 3
		.amdhsa_dx10_clamp 1
		.amdhsa_ieee_mode 1
		.amdhsa_fp16_overflow 0
		.amdhsa_exception_fp_ieee_invalid_op 0
		.amdhsa_exception_fp_denorm_src 0
		.amdhsa_exception_fp_ieee_div_zero 0
		.amdhsa_exception_fp_ieee_overflow 0
		.amdhsa_exception_fp_ieee_underflow 0
		.amdhsa_exception_fp_ieee_inexact 0
		.amdhsa_exception_int_div_zero 0
	.end_amdhsa_kernel
	.section	.text._ZN7rocprim17ROCPRIM_400000_NS6detail17trampoline_kernelINS0_14default_configENS1_38merge_sort_block_merge_config_selectorIslEEZZNS1_27merge_sort_block_merge_implIS3_PsN6thrust23THRUST_200600_302600_NS10device_ptrIlEEjNS1_19radix_merge_compareILb0ELb0EsNS0_19identity_decomposerEEEEE10hipError_tT0_T1_T2_jT3_P12ihipStream_tbPNSt15iterator_traitsISG_E10value_typeEPNSM_ISH_E10value_typeEPSI_NS1_7vsmem_tEENKUlT_SG_SH_SI_E_clIS7_S7_SB_PlEESF_SV_SG_SH_SI_EUlSV_E0_NS1_11comp_targetILNS1_3genE0ELNS1_11target_archE4294967295ELNS1_3gpuE0ELNS1_3repE0EEENS1_38merge_mergepath_config_static_selectorELNS0_4arch9wavefront6targetE1EEEvSH_,"axG",@progbits,_ZN7rocprim17ROCPRIM_400000_NS6detail17trampoline_kernelINS0_14default_configENS1_38merge_sort_block_merge_config_selectorIslEEZZNS1_27merge_sort_block_merge_implIS3_PsN6thrust23THRUST_200600_302600_NS10device_ptrIlEEjNS1_19radix_merge_compareILb0ELb0EsNS0_19identity_decomposerEEEEE10hipError_tT0_T1_T2_jT3_P12ihipStream_tbPNSt15iterator_traitsISG_E10value_typeEPNSM_ISH_E10value_typeEPSI_NS1_7vsmem_tEENKUlT_SG_SH_SI_E_clIS7_S7_SB_PlEESF_SV_SG_SH_SI_EUlSV_E0_NS1_11comp_targetILNS1_3genE0ELNS1_11target_archE4294967295ELNS1_3gpuE0ELNS1_3repE0EEENS1_38merge_mergepath_config_static_selectorELNS0_4arch9wavefront6targetE1EEEvSH_,comdat
.Lfunc_end1308:
	.size	_ZN7rocprim17ROCPRIM_400000_NS6detail17trampoline_kernelINS0_14default_configENS1_38merge_sort_block_merge_config_selectorIslEEZZNS1_27merge_sort_block_merge_implIS3_PsN6thrust23THRUST_200600_302600_NS10device_ptrIlEEjNS1_19radix_merge_compareILb0ELb0EsNS0_19identity_decomposerEEEEE10hipError_tT0_T1_T2_jT3_P12ihipStream_tbPNSt15iterator_traitsISG_E10value_typeEPNSM_ISH_E10value_typeEPSI_NS1_7vsmem_tEENKUlT_SG_SH_SI_E_clIS7_S7_SB_PlEESF_SV_SG_SH_SI_EUlSV_E0_NS1_11comp_targetILNS1_3genE0ELNS1_11target_archE4294967295ELNS1_3gpuE0ELNS1_3repE0EEENS1_38merge_mergepath_config_static_selectorELNS0_4arch9wavefront6targetE1EEEvSH_, .Lfunc_end1308-_ZN7rocprim17ROCPRIM_400000_NS6detail17trampoline_kernelINS0_14default_configENS1_38merge_sort_block_merge_config_selectorIslEEZZNS1_27merge_sort_block_merge_implIS3_PsN6thrust23THRUST_200600_302600_NS10device_ptrIlEEjNS1_19radix_merge_compareILb0ELb0EsNS0_19identity_decomposerEEEEE10hipError_tT0_T1_T2_jT3_P12ihipStream_tbPNSt15iterator_traitsISG_E10value_typeEPNSM_ISH_E10value_typeEPSI_NS1_7vsmem_tEENKUlT_SG_SH_SI_E_clIS7_S7_SB_PlEESF_SV_SG_SH_SI_EUlSV_E0_NS1_11comp_targetILNS1_3genE0ELNS1_11target_archE4294967295ELNS1_3gpuE0ELNS1_3repE0EEENS1_38merge_mergepath_config_static_selectorELNS0_4arch9wavefront6targetE1EEEvSH_
                                        ; -- End function
	.set _ZN7rocprim17ROCPRIM_400000_NS6detail17trampoline_kernelINS0_14default_configENS1_38merge_sort_block_merge_config_selectorIslEEZZNS1_27merge_sort_block_merge_implIS3_PsN6thrust23THRUST_200600_302600_NS10device_ptrIlEEjNS1_19radix_merge_compareILb0ELb0EsNS0_19identity_decomposerEEEEE10hipError_tT0_T1_T2_jT3_P12ihipStream_tbPNSt15iterator_traitsISG_E10value_typeEPNSM_ISH_E10value_typeEPSI_NS1_7vsmem_tEENKUlT_SG_SH_SI_E_clIS7_S7_SB_PlEESF_SV_SG_SH_SI_EUlSV_E0_NS1_11comp_targetILNS1_3genE0ELNS1_11target_archE4294967295ELNS1_3gpuE0ELNS1_3repE0EEENS1_38merge_mergepath_config_static_selectorELNS0_4arch9wavefront6targetE1EEEvSH_.num_vgpr, 0
	.set _ZN7rocprim17ROCPRIM_400000_NS6detail17trampoline_kernelINS0_14default_configENS1_38merge_sort_block_merge_config_selectorIslEEZZNS1_27merge_sort_block_merge_implIS3_PsN6thrust23THRUST_200600_302600_NS10device_ptrIlEEjNS1_19radix_merge_compareILb0ELb0EsNS0_19identity_decomposerEEEEE10hipError_tT0_T1_T2_jT3_P12ihipStream_tbPNSt15iterator_traitsISG_E10value_typeEPNSM_ISH_E10value_typeEPSI_NS1_7vsmem_tEENKUlT_SG_SH_SI_E_clIS7_S7_SB_PlEESF_SV_SG_SH_SI_EUlSV_E0_NS1_11comp_targetILNS1_3genE0ELNS1_11target_archE4294967295ELNS1_3gpuE0ELNS1_3repE0EEENS1_38merge_mergepath_config_static_selectorELNS0_4arch9wavefront6targetE1EEEvSH_.num_agpr, 0
	.set _ZN7rocprim17ROCPRIM_400000_NS6detail17trampoline_kernelINS0_14default_configENS1_38merge_sort_block_merge_config_selectorIslEEZZNS1_27merge_sort_block_merge_implIS3_PsN6thrust23THRUST_200600_302600_NS10device_ptrIlEEjNS1_19radix_merge_compareILb0ELb0EsNS0_19identity_decomposerEEEEE10hipError_tT0_T1_T2_jT3_P12ihipStream_tbPNSt15iterator_traitsISG_E10value_typeEPNSM_ISH_E10value_typeEPSI_NS1_7vsmem_tEENKUlT_SG_SH_SI_E_clIS7_S7_SB_PlEESF_SV_SG_SH_SI_EUlSV_E0_NS1_11comp_targetILNS1_3genE0ELNS1_11target_archE4294967295ELNS1_3gpuE0ELNS1_3repE0EEENS1_38merge_mergepath_config_static_selectorELNS0_4arch9wavefront6targetE1EEEvSH_.numbered_sgpr, 0
	.set _ZN7rocprim17ROCPRIM_400000_NS6detail17trampoline_kernelINS0_14default_configENS1_38merge_sort_block_merge_config_selectorIslEEZZNS1_27merge_sort_block_merge_implIS3_PsN6thrust23THRUST_200600_302600_NS10device_ptrIlEEjNS1_19radix_merge_compareILb0ELb0EsNS0_19identity_decomposerEEEEE10hipError_tT0_T1_T2_jT3_P12ihipStream_tbPNSt15iterator_traitsISG_E10value_typeEPNSM_ISH_E10value_typeEPSI_NS1_7vsmem_tEENKUlT_SG_SH_SI_E_clIS7_S7_SB_PlEESF_SV_SG_SH_SI_EUlSV_E0_NS1_11comp_targetILNS1_3genE0ELNS1_11target_archE4294967295ELNS1_3gpuE0ELNS1_3repE0EEENS1_38merge_mergepath_config_static_selectorELNS0_4arch9wavefront6targetE1EEEvSH_.num_named_barrier, 0
	.set _ZN7rocprim17ROCPRIM_400000_NS6detail17trampoline_kernelINS0_14default_configENS1_38merge_sort_block_merge_config_selectorIslEEZZNS1_27merge_sort_block_merge_implIS3_PsN6thrust23THRUST_200600_302600_NS10device_ptrIlEEjNS1_19radix_merge_compareILb0ELb0EsNS0_19identity_decomposerEEEEE10hipError_tT0_T1_T2_jT3_P12ihipStream_tbPNSt15iterator_traitsISG_E10value_typeEPNSM_ISH_E10value_typeEPSI_NS1_7vsmem_tEENKUlT_SG_SH_SI_E_clIS7_S7_SB_PlEESF_SV_SG_SH_SI_EUlSV_E0_NS1_11comp_targetILNS1_3genE0ELNS1_11target_archE4294967295ELNS1_3gpuE0ELNS1_3repE0EEENS1_38merge_mergepath_config_static_selectorELNS0_4arch9wavefront6targetE1EEEvSH_.private_seg_size, 0
	.set _ZN7rocprim17ROCPRIM_400000_NS6detail17trampoline_kernelINS0_14default_configENS1_38merge_sort_block_merge_config_selectorIslEEZZNS1_27merge_sort_block_merge_implIS3_PsN6thrust23THRUST_200600_302600_NS10device_ptrIlEEjNS1_19radix_merge_compareILb0ELb0EsNS0_19identity_decomposerEEEEE10hipError_tT0_T1_T2_jT3_P12ihipStream_tbPNSt15iterator_traitsISG_E10value_typeEPNSM_ISH_E10value_typeEPSI_NS1_7vsmem_tEENKUlT_SG_SH_SI_E_clIS7_S7_SB_PlEESF_SV_SG_SH_SI_EUlSV_E0_NS1_11comp_targetILNS1_3genE0ELNS1_11target_archE4294967295ELNS1_3gpuE0ELNS1_3repE0EEENS1_38merge_mergepath_config_static_selectorELNS0_4arch9wavefront6targetE1EEEvSH_.uses_vcc, 0
	.set _ZN7rocprim17ROCPRIM_400000_NS6detail17trampoline_kernelINS0_14default_configENS1_38merge_sort_block_merge_config_selectorIslEEZZNS1_27merge_sort_block_merge_implIS3_PsN6thrust23THRUST_200600_302600_NS10device_ptrIlEEjNS1_19radix_merge_compareILb0ELb0EsNS0_19identity_decomposerEEEEE10hipError_tT0_T1_T2_jT3_P12ihipStream_tbPNSt15iterator_traitsISG_E10value_typeEPNSM_ISH_E10value_typeEPSI_NS1_7vsmem_tEENKUlT_SG_SH_SI_E_clIS7_S7_SB_PlEESF_SV_SG_SH_SI_EUlSV_E0_NS1_11comp_targetILNS1_3genE0ELNS1_11target_archE4294967295ELNS1_3gpuE0ELNS1_3repE0EEENS1_38merge_mergepath_config_static_selectorELNS0_4arch9wavefront6targetE1EEEvSH_.uses_flat_scratch, 0
	.set _ZN7rocprim17ROCPRIM_400000_NS6detail17trampoline_kernelINS0_14default_configENS1_38merge_sort_block_merge_config_selectorIslEEZZNS1_27merge_sort_block_merge_implIS3_PsN6thrust23THRUST_200600_302600_NS10device_ptrIlEEjNS1_19radix_merge_compareILb0ELb0EsNS0_19identity_decomposerEEEEE10hipError_tT0_T1_T2_jT3_P12ihipStream_tbPNSt15iterator_traitsISG_E10value_typeEPNSM_ISH_E10value_typeEPSI_NS1_7vsmem_tEENKUlT_SG_SH_SI_E_clIS7_S7_SB_PlEESF_SV_SG_SH_SI_EUlSV_E0_NS1_11comp_targetILNS1_3genE0ELNS1_11target_archE4294967295ELNS1_3gpuE0ELNS1_3repE0EEENS1_38merge_mergepath_config_static_selectorELNS0_4arch9wavefront6targetE1EEEvSH_.has_dyn_sized_stack, 0
	.set _ZN7rocprim17ROCPRIM_400000_NS6detail17trampoline_kernelINS0_14default_configENS1_38merge_sort_block_merge_config_selectorIslEEZZNS1_27merge_sort_block_merge_implIS3_PsN6thrust23THRUST_200600_302600_NS10device_ptrIlEEjNS1_19radix_merge_compareILb0ELb0EsNS0_19identity_decomposerEEEEE10hipError_tT0_T1_T2_jT3_P12ihipStream_tbPNSt15iterator_traitsISG_E10value_typeEPNSM_ISH_E10value_typeEPSI_NS1_7vsmem_tEENKUlT_SG_SH_SI_E_clIS7_S7_SB_PlEESF_SV_SG_SH_SI_EUlSV_E0_NS1_11comp_targetILNS1_3genE0ELNS1_11target_archE4294967295ELNS1_3gpuE0ELNS1_3repE0EEENS1_38merge_mergepath_config_static_selectorELNS0_4arch9wavefront6targetE1EEEvSH_.has_recursion, 0
	.set _ZN7rocprim17ROCPRIM_400000_NS6detail17trampoline_kernelINS0_14default_configENS1_38merge_sort_block_merge_config_selectorIslEEZZNS1_27merge_sort_block_merge_implIS3_PsN6thrust23THRUST_200600_302600_NS10device_ptrIlEEjNS1_19radix_merge_compareILb0ELb0EsNS0_19identity_decomposerEEEEE10hipError_tT0_T1_T2_jT3_P12ihipStream_tbPNSt15iterator_traitsISG_E10value_typeEPNSM_ISH_E10value_typeEPSI_NS1_7vsmem_tEENKUlT_SG_SH_SI_E_clIS7_S7_SB_PlEESF_SV_SG_SH_SI_EUlSV_E0_NS1_11comp_targetILNS1_3genE0ELNS1_11target_archE4294967295ELNS1_3gpuE0ELNS1_3repE0EEENS1_38merge_mergepath_config_static_selectorELNS0_4arch9wavefront6targetE1EEEvSH_.has_indirect_call, 0
	.section	.AMDGPU.csdata,"",@progbits
; Kernel info:
; codeLenInByte = 0
; TotalNumSgprs: 4
; NumVgprs: 0
; ScratchSize: 0
; MemoryBound: 0
; FloatMode: 240
; IeeeMode: 1
; LDSByteSize: 0 bytes/workgroup (compile time only)
; SGPRBlocks: 0
; VGPRBlocks: 0
; NumSGPRsForWavesPerEU: 4
; NumVGPRsForWavesPerEU: 1
; Occupancy: 10
; WaveLimiterHint : 0
; COMPUTE_PGM_RSRC2:SCRATCH_EN: 0
; COMPUTE_PGM_RSRC2:USER_SGPR: 6
; COMPUTE_PGM_RSRC2:TRAP_HANDLER: 0
; COMPUTE_PGM_RSRC2:TGID_X_EN: 1
; COMPUTE_PGM_RSRC2:TGID_Y_EN: 0
; COMPUTE_PGM_RSRC2:TGID_Z_EN: 0
; COMPUTE_PGM_RSRC2:TIDIG_COMP_CNT: 0
	.section	.text._ZN7rocprim17ROCPRIM_400000_NS6detail17trampoline_kernelINS0_14default_configENS1_38merge_sort_block_merge_config_selectorIslEEZZNS1_27merge_sort_block_merge_implIS3_PsN6thrust23THRUST_200600_302600_NS10device_ptrIlEEjNS1_19radix_merge_compareILb0ELb0EsNS0_19identity_decomposerEEEEE10hipError_tT0_T1_T2_jT3_P12ihipStream_tbPNSt15iterator_traitsISG_E10value_typeEPNSM_ISH_E10value_typeEPSI_NS1_7vsmem_tEENKUlT_SG_SH_SI_E_clIS7_S7_SB_PlEESF_SV_SG_SH_SI_EUlSV_E0_NS1_11comp_targetILNS1_3genE10ELNS1_11target_archE1201ELNS1_3gpuE5ELNS1_3repE0EEENS1_38merge_mergepath_config_static_selectorELNS0_4arch9wavefront6targetE1EEEvSH_,"axG",@progbits,_ZN7rocprim17ROCPRIM_400000_NS6detail17trampoline_kernelINS0_14default_configENS1_38merge_sort_block_merge_config_selectorIslEEZZNS1_27merge_sort_block_merge_implIS3_PsN6thrust23THRUST_200600_302600_NS10device_ptrIlEEjNS1_19radix_merge_compareILb0ELb0EsNS0_19identity_decomposerEEEEE10hipError_tT0_T1_T2_jT3_P12ihipStream_tbPNSt15iterator_traitsISG_E10value_typeEPNSM_ISH_E10value_typeEPSI_NS1_7vsmem_tEENKUlT_SG_SH_SI_E_clIS7_S7_SB_PlEESF_SV_SG_SH_SI_EUlSV_E0_NS1_11comp_targetILNS1_3genE10ELNS1_11target_archE1201ELNS1_3gpuE5ELNS1_3repE0EEENS1_38merge_mergepath_config_static_selectorELNS0_4arch9wavefront6targetE1EEEvSH_,comdat
	.protected	_ZN7rocprim17ROCPRIM_400000_NS6detail17trampoline_kernelINS0_14default_configENS1_38merge_sort_block_merge_config_selectorIslEEZZNS1_27merge_sort_block_merge_implIS3_PsN6thrust23THRUST_200600_302600_NS10device_ptrIlEEjNS1_19radix_merge_compareILb0ELb0EsNS0_19identity_decomposerEEEEE10hipError_tT0_T1_T2_jT3_P12ihipStream_tbPNSt15iterator_traitsISG_E10value_typeEPNSM_ISH_E10value_typeEPSI_NS1_7vsmem_tEENKUlT_SG_SH_SI_E_clIS7_S7_SB_PlEESF_SV_SG_SH_SI_EUlSV_E0_NS1_11comp_targetILNS1_3genE10ELNS1_11target_archE1201ELNS1_3gpuE5ELNS1_3repE0EEENS1_38merge_mergepath_config_static_selectorELNS0_4arch9wavefront6targetE1EEEvSH_ ; -- Begin function _ZN7rocprim17ROCPRIM_400000_NS6detail17trampoline_kernelINS0_14default_configENS1_38merge_sort_block_merge_config_selectorIslEEZZNS1_27merge_sort_block_merge_implIS3_PsN6thrust23THRUST_200600_302600_NS10device_ptrIlEEjNS1_19radix_merge_compareILb0ELb0EsNS0_19identity_decomposerEEEEE10hipError_tT0_T1_T2_jT3_P12ihipStream_tbPNSt15iterator_traitsISG_E10value_typeEPNSM_ISH_E10value_typeEPSI_NS1_7vsmem_tEENKUlT_SG_SH_SI_E_clIS7_S7_SB_PlEESF_SV_SG_SH_SI_EUlSV_E0_NS1_11comp_targetILNS1_3genE10ELNS1_11target_archE1201ELNS1_3gpuE5ELNS1_3repE0EEENS1_38merge_mergepath_config_static_selectorELNS0_4arch9wavefront6targetE1EEEvSH_
	.globl	_ZN7rocprim17ROCPRIM_400000_NS6detail17trampoline_kernelINS0_14default_configENS1_38merge_sort_block_merge_config_selectorIslEEZZNS1_27merge_sort_block_merge_implIS3_PsN6thrust23THRUST_200600_302600_NS10device_ptrIlEEjNS1_19radix_merge_compareILb0ELb0EsNS0_19identity_decomposerEEEEE10hipError_tT0_T1_T2_jT3_P12ihipStream_tbPNSt15iterator_traitsISG_E10value_typeEPNSM_ISH_E10value_typeEPSI_NS1_7vsmem_tEENKUlT_SG_SH_SI_E_clIS7_S7_SB_PlEESF_SV_SG_SH_SI_EUlSV_E0_NS1_11comp_targetILNS1_3genE10ELNS1_11target_archE1201ELNS1_3gpuE5ELNS1_3repE0EEENS1_38merge_mergepath_config_static_selectorELNS0_4arch9wavefront6targetE1EEEvSH_
	.p2align	8
	.type	_ZN7rocprim17ROCPRIM_400000_NS6detail17trampoline_kernelINS0_14default_configENS1_38merge_sort_block_merge_config_selectorIslEEZZNS1_27merge_sort_block_merge_implIS3_PsN6thrust23THRUST_200600_302600_NS10device_ptrIlEEjNS1_19radix_merge_compareILb0ELb0EsNS0_19identity_decomposerEEEEE10hipError_tT0_T1_T2_jT3_P12ihipStream_tbPNSt15iterator_traitsISG_E10value_typeEPNSM_ISH_E10value_typeEPSI_NS1_7vsmem_tEENKUlT_SG_SH_SI_E_clIS7_S7_SB_PlEESF_SV_SG_SH_SI_EUlSV_E0_NS1_11comp_targetILNS1_3genE10ELNS1_11target_archE1201ELNS1_3gpuE5ELNS1_3repE0EEENS1_38merge_mergepath_config_static_selectorELNS0_4arch9wavefront6targetE1EEEvSH_,@function
_ZN7rocprim17ROCPRIM_400000_NS6detail17trampoline_kernelINS0_14default_configENS1_38merge_sort_block_merge_config_selectorIslEEZZNS1_27merge_sort_block_merge_implIS3_PsN6thrust23THRUST_200600_302600_NS10device_ptrIlEEjNS1_19radix_merge_compareILb0ELb0EsNS0_19identity_decomposerEEEEE10hipError_tT0_T1_T2_jT3_P12ihipStream_tbPNSt15iterator_traitsISG_E10value_typeEPNSM_ISH_E10value_typeEPSI_NS1_7vsmem_tEENKUlT_SG_SH_SI_E_clIS7_S7_SB_PlEESF_SV_SG_SH_SI_EUlSV_E0_NS1_11comp_targetILNS1_3genE10ELNS1_11target_archE1201ELNS1_3gpuE5ELNS1_3repE0EEENS1_38merge_mergepath_config_static_selectorELNS0_4arch9wavefront6targetE1EEEvSH_: ; @_ZN7rocprim17ROCPRIM_400000_NS6detail17trampoline_kernelINS0_14default_configENS1_38merge_sort_block_merge_config_selectorIslEEZZNS1_27merge_sort_block_merge_implIS3_PsN6thrust23THRUST_200600_302600_NS10device_ptrIlEEjNS1_19radix_merge_compareILb0ELb0EsNS0_19identity_decomposerEEEEE10hipError_tT0_T1_T2_jT3_P12ihipStream_tbPNSt15iterator_traitsISG_E10value_typeEPNSM_ISH_E10value_typeEPSI_NS1_7vsmem_tEENKUlT_SG_SH_SI_E_clIS7_S7_SB_PlEESF_SV_SG_SH_SI_EUlSV_E0_NS1_11comp_targetILNS1_3genE10ELNS1_11target_archE1201ELNS1_3gpuE5ELNS1_3repE0EEENS1_38merge_mergepath_config_static_selectorELNS0_4arch9wavefront6targetE1EEEvSH_
; %bb.0:
	.section	.rodata,"a",@progbits
	.p2align	6, 0x0
	.amdhsa_kernel _ZN7rocprim17ROCPRIM_400000_NS6detail17trampoline_kernelINS0_14default_configENS1_38merge_sort_block_merge_config_selectorIslEEZZNS1_27merge_sort_block_merge_implIS3_PsN6thrust23THRUST_200600_302600_NS10device_ptrIlEEjNS1_19radix_merge_compareILb0ELb0EsNS0_19identity_decomposerEEEEE10hipError_tT0_T1_T2_jT3_P12ihipStream_tbPNSt15iterator_traitsISG_E10value_typeEPNSM_ISH_E10value_typeEPSI_NS1_7vsmem_tEENKUlT_SG_SH_SI_E_clIS7_S7_SB_PlEESF_SV_SG_SH_SI_EUlSV_E0_NS1_11comp_targetILNS1_3genE10ELNS1_11target_archE1201ELNS1_3gpuE5ELNS1_3repE0EEENS1_38merge_mergepath_config_static_selectorELNS0_4arch9wavefront6targetE1EEEvSH_
		.amdhsa_group_segment_fixed_size 0
		.amdhsa_private_segment_fixed_size 0
		.amdhsa_kernarg_size 64
		.amdhsa_user_sgpr_count 6
		.amdhsa_user_sgpr_private_segment_buffer 1
		.amdhsa_user_sgpr_dispatch_ptr 0
		.amdhsa_user_sgpr_queue_ptr 0
		.amdhsa_user_sgpr_kernarg_segment_ptr 1
		.amdhsa_user_sgpr_dispatch_id 0
		.amdhsa_user_sgpr_flat_scratch_init 0
		.amdhsa_user_sgpr_private_segment_size 0
		.amdhsa_uses_dynamic_stack 0
		.amdhsa_system_sgpr_private_segment_wavefront_offset 0
		.amdhsa_system_sgpr_workgroup_id_x 1
		.amdhsa_system_sgpr_workgroup_id_y 0
		.amdhsa_system_sgpr_workgroup_id_z 0
		.amdhsa_system_sgpr_workgroup_info 0
		.amdhsa_system_vgpr_workitem_id 0
		.amdhsa_next_free_vgpr 1
		.amdhsa_next_free_sgpr 0
		.amdhsa_reserve_vcc 0
		.amdhsa_reserve_flat_scratch 0
		.amdhsa_float_round_mode_32 0
		.amdhsa_float_round_mode_16_64 0
		.amdhsa_float_denorm_mode_32 3
		.amdhsa_float_denorm_mode_16_64 3
		.amdhsa_dx10_clamp 1
		.amdhsa_ieee_mode 1
		.amdhsa_fp16_overflow 0
		.amdhsa_exception_fp_ieee_invalid_op 0
		.amdhsa_exception_fp_denorm_src 0
		.amdhsa_exception_fp_ieee_div_zero 0
		.amdhsa_exception_fp_ieee_overflow 0
		.amdhsa_exception_fp_ieee_underflow 0
		.amdhsa_exception_fp_ieee_inexact 0
		.amdhsa_exception_int_div_zero 0
	.end_amdhsa_kernel
	.section	.text._ZN7rocprim17ROCPRIM_400000_NS6detail17trampoline_kernelINS0_14default_configENS1_38merge_sort_block_merge_config_selectorIslEEZZNS1_27merge_sort_block_merge_implIS3_PsN6thrust23THRUST_200600_302600_NS10device_ptrIlEEjNS1_19radix_merge_compareILb0ELb0EsNS0_19identity_decomposerEEEEE10hipError_tT0_T1_T2_jT3_P12ihipStream_tbPNSt15iterator_traitsISG_E10value_typeEPNSM_ISH_E10value_typeEPSI_NS1_7vsmem_tEENKUlT_SG_SH_SI_E_clIS7_S7_SB_PlEESF_SV_SG_SH_SI_EUlSV_E0_NS1_11comp_targetILNS1_3genE10ELNS1_11target_archE1201ELNS1_3gpuE5ELNS1_3repE0EEENS1_38merge_mergepath_config_static_selectorELNS0_4arch9wavefront6targetE1EEEvSH_,"axG",@progbits,_ZN7rocprim17ROCPRIM_400000_NS6detail17trampoline_kernelINS0_14default_configENS1_38merge_sort_block_merge_config_selectorIslEEZZNS1_27merge_sort_block_merge_implIS3_PsN6thrust23THRUST_200600_302600_NS10device_ptrIlEEjNS1_19radix_merge_compareILb0ELb0EsNS0_19identity_decomposerEEEEE10hipError_tT0_T1_T2_jT3_P12ihipStream_tbPNSt15iterator_traitsISG_E10value_typeEPNSM_ISH_E10value_typeEPSI_NS1_7vsmem_tEENKUlT_SG_SH_SI_E_clIS7_S7_SB_PlEESF_SV_SG_SH_SI_EUlSV_E0_NS1_11comp_targetILNS1_3genE10ELNS1_11target_archE1201ELNS1_3gpuE5ELNS1_3repE0EEENS1_38merge_mergepath_config_static_selectorELNS0_4arch9wavefront6targetE1EEEvSH_,comdat
.Lfunc_end1309:
	.size	_ZN7rocprim17ROCPRIM_400000_NS6detail17trampoline_kernelINS0_14default_configENS1_38merge_sort_block_merge_config_selectorIslEEZZNS1_27merge_sort_block_merge_implIS3_PsN6thrust23THRUST_200600_302600_NS10device_ptrIlEEjNS1_19radix_merge_compareILb0ELb0EsNS0_19identity_decomposerEEEEE10hipError_tT0_T1_T2_jT3_P12ihipStream_tbPNSt15iterator_traitsISG_E10value_typeEPNSM_ISH_E10value_typeEPSI_NS1_7vsmem_tEENKUlT_SG_SH_SI_E_clIS7_S7_SB_PlEESF_SV_SG_SH_SI_EUlSV_E0_NS1_11comp_targetILNS1_3genE10ELNS1_11target_archE1201ELNS1_3gpuE5ELNS1_3repE0EEENS1_38merge_mergepath_config_static_selectorELNS0_4arch9wavefront6targetE1EEEvSH_, .Lfunc_end1309-_ZN7rocprim17ROCPRIM_400000_NS6detail17trampoline_kernelINS0_14default_configENS1_38merge_sort_block_merge_config_selectorIslEEZZNS1_27merge_sort_block_merge_implIS3_PsN6thrust23THRUST_200600_302600_NS10device_ptrIlEEjNS1_19radix_merge_compareILb0ELb0EsNS0_19identity_decomposerEEEEE10hipError_tT0_T1_T2_jT3_P12ihipStream_tbPNSt15iterator_traitsISG_E10value_typeEPNSM_ISH_E10value_typeEPSI_NS1_7vsmem_tEENKUlT_SG_SH_SI_E_clIS7_S7_SB_PlEESF_SV_SG_SH_SI_EUlSV_E0_NS1_11comp_targetILNS1_3genE10ELNS1_11target_archE1201ELNS1_3gpuE5ELNS1_3repE0EEENS1_38merge_mergepath_config_static_selectorELNS0_4arch9wavefront6targetE1EEEvSH_
                                        ; -- End function
	.set _ZN7rocprim17ROCPRIM_400000_NS6detail17trampoline_kernelINS0_14default_configENS1_38merge_sort_block_merge_config_selectorIslEEZZNS1_27merge_sort_block_merge_implIS3_PsN6thrust23THRUST_200600_302600_NS10device_ptrIlEEjNS1_19radix_merge_compareILb0ELb0EsNS0_19identity_decomposerEEEEE10hipError_tT0_T1_T2_jT3_P12ihipStream_tbPNSt15iterator_traitsISG_E10value_typeEPNSM_ISH_E10value_typeEPSI_NS1_7vsmem_tEENKUlT_SG_SH_SI_E_clIS7_S7_SB_PlEESF_SV_SG_SH_SI_EUlSV_E0_NS1_11comp_targetILNS1_3genE10ELNS1_11target_archE1201ELNS1_3gpuE5ELNS1_3repE0EEENS1_38merge_mergepath_config_static_selectorELNS0_4arch9wavefront6targetE1EEEvSH_.num_vgpr, 0
	.set _ZN7rocprim17ROCPRIM_400000_NS6detail17trampoline_kernelINS0_14default_configENS1_38merge_sort_block_merge_config_selectorIslEEZZNS1_27merge_sort_block_merge_implIS3_PsN6thrust23THRUST_200600_302600_NS10device_ptrIlEEjNS1_19radix_merge_compareILb0ELb0EsNS0_19identity_decomposerEEEEE10hipError_tT0_T1_T2_jT3_P12ihipStream_tbPNSt15iterator_traitsISG_E10value_typeEPNSM_ISH_E10value_typeEPSI_NS1_7vsmem_tEENKUlT_SG_SH_SI_E_clIS7_S7_SB_PlEESF_SV_SG_SH_SI_EUlSV_E0_NS1_11comp_targetILNS1_3genE10ELNS1_11target_archE1201ELNS1_3gpuE5ELNS1_3repE0EEENS1_38merge_mergepath_config_static_selectorELNS0_4arch9wavefront6targetE1EEEvSH_.num_agpr, 0
	.set _ZN7rocprim17ROCPRIM_400000_NS6detail17trampoline_kernelINS0_14default_configENS1_38merge_sort_block_merge_config_selectorIslEEZZNS1_27merge_sort_block_merge_implIS3_PsN6thrust23THRUST_200600_302600_NS10device_ptrIlEEjNS1_19radix_merge_compareILb0ELb0EsNS0_19identity_decomposerEEEEE10hipError_tT0_T1_T2_jT3_P12ihipStream_tbPNSt15iterator_traitsISG_E10value_typeEPNSM_ISH_E10value_typeEPSI_NS1_7vsmem_tEENKUlT_SG_SH_SI_E_clIS7_S7_SB_PlEESF_SV_SG_SH_SI_EUlSV_E0_NS1_11comp_targetILNS1_3genE10ELNS1_11target_archE1201ELNS1_3gpuE5ELNS1_3repE0EEENS1_38merge_mergepath_config_static_selectorELNS0_4arch9wavefront6targetE1EEEvSH_.numbered_sgpr, 0
	.set _ZN7rocprim17ROCPRIM_400000_NS6detail17trampoline_kernelINS0_14default_configENS1_38merge_sort_block_merge_config_selectorIslEEZZNS1_27merge_sort_block_merge_implIS3_PsN6thrust23THRUST_200600_302600_NS10device_ptrIlEEjNS1_19radix_merge_compareILb0ELb0EsNS0_19identity_decomposerEEEEE10hipError_tT0_T1_T2_jT3_P12ihipStream_tbPNSt15iterator_traitsISG_E10value_typeEPNSM_ISH_E10value_typeEPSI_NS1_7vsmem_tEENKUlT_SG_SH_SI_E_clIS7_S7_SB_PlEESF_SV_SG_SH_SI_EUlSV_E0_NS1_11comp_targetILNS1_3genE10ELNS1_11target_archE1201ELNS1_3gpuE5ELNS1_3repE0EEENS1_38merge_mergepath_config_static_selectorELNS0_4arch9wavefront6targetE1EEEvSH_.num_named_barrier, 0
	.set _ZN7rocprim17ROCPRIM_400000_NS6detail17trampoline_kernelINS0_14default_configENS1_38merge_sort_block_merge_config_selectorIslEEZZNS1_27merge_sort_block_merge_implIS3_PsN6thrust23THRUST_200600_302600_NS10device_ptrIlEEjNS1_19radix_merge_compareILb0ELb0EsNS0_19identity_decomposerEEEEE10hipError_tT0_T1_T2_jT3_P12ihipStream_tbPNSt15iterator_traitsISG_E10value_typeEPNSM_ISH_E10value_typeEPSI_NS1_7vsmem_tEENKUlT_SG_SH_SI_E_clIS7_S7_SB_PlEESF_SV_SG_SH_SI_EUlSV_E0_NS1_11comp_targetILNS1_3genE10ELNS1_11target_archE1201ELNS1_3gpuE5ELNS1_3repE0EEENS1_38merge_mergepath_config_static_selectorELNS0_4arch9wavefront6targetE1EEEvSH_.private_seg_size, 0
	.set _ZN7rocprim17ROCPRIM_400000_NS6detail17trampoline_kernelINS0_14default_configENS1_38merge_sort_block_merge_config_selectorIslEEZZNS1_27merge_sort_block_merge_implIS3_PsN6thrust23THRUST_200600_302600_NS10device_ptrIlEEjNS1_19radix_merge_compareILb0ELb0EsNS0_19identity_decomposerEEEEE10hipError_tT0_T1_T2_jT3_P12ihipStream_tbPNSt15iterator_traitsISG_E10value_typeEPNSM_ISH_E10value_typeEPSI_NS1_7vsmem_tEENKUlT_SG_SH_SI_E_clIS7_S7_SB_PlEESF_SV_SG_SH_SI_EUlSV_E0_NS1_11comp_targetILNS1_3genE10ELNS1_11target_archE1201ELNS1_3gpuE5ELNS1_3repE0EEENS1_38merge_mergepath_config_static_selectorELNS0_4arch9wavefront6targetE1EEEvSH_.uses_vcc, 0
	.set _ZN7rocprim17ROCPRIM_400000_NS6detail17trampoline_kernelINS0_14default_configENS1_38merge_sort_block_merge_config_selectorIslEEZZNS1_27merge_sort_block_merge_implIS3_PsN6thrust23THRUST_200600_302600_NS10device_ptrIlEEjNS1_19radix_merge_compareILb0ELb0EsNS0_19identity_decomposerEEEEE10hipError_tT0_T1_T2_jT3_P12ihipStream_tbPNSt15iterator_traitsISG_E10value_typeEPNSM_ISH_E10value_typeEPSI_NS1_7vsmem_tEENKUlT_SG_SH_SI_E_clIS7_S7_SB_PlEESF_SV_SG_SH_SI_EUlSV_E0_NS1_11comp_targetILNS1_3genE10ELNS1_11target_archE1201ELNS1_3gpuE5ELNS1_3repE0EEENS1_38merge_mergepath_config_static_selectorELNS0_4arch9wavefront6targetE1EEEvSH_.uses_flat_scratch, 0
	.set _ZN7rocprim17ROCPRIM_400000_NS6detail17trampoline_kernelINS0_14default_configENS1_38merge_sort_block_merge_config_selectorIslEEZZNS1_27merge_sort_block_merge_implIS3_PsN6thrust23THRUST_200600_302600_NS10device_ptrIlEEjNS1_19radix_merge_compareILb0ELb0EsNS0_19identity_decomposerEEEEE10hipError_tT0_T1_T2_jT3_P12ihipStream_tbPNSt15iterator_traitsISG_E10value_typeEPNSM_ISH_E10value_typeEPSI_NS1_7vsmem_tEENKUlT_SG_SH_SI_E_clIS7_S7_SB_PlEESF_SV_SG_SH_SI_EUlSV_E0_NS1_11comp_targetILNS1_3genE10ELNS1_11target_archE1201ELNS1_3gpuE5ELNS1_3repE0EEENS1_38merge_mergepath_config_static_selectorELNS0_4arch9wavefront6targetE1EEEvSH_.has_dyn_sized_stack, 0
	.set _ZN7rocprim17ROCPRIM_400000_NS6detail17trampoline_kernelINS0_14default_configENS1_38merge_sort_block_merge_config_selectorIslEEZZNS1_27merge_sort_block_merge_implIS3_PsN6thrust23THRUST_200600_302600_NS10device_ptrIlEEjNS1_19radix_merge_compareILb0ELb0EsNS0_19identity_decomposerEEEEE10hipError_tT0_T1_T2_jT3_P12ihipStream_tbPNSt15iterator_traitsISG_E10value_typeEPNSM_ISH_E10value_typeEPSI_NS1_7vsmem_tEENKUlT_SG_SH_SI_E_clIS7_S7_SB_PlEESF_SV_SG_SH_SI_EUlSV_E0_NS1_11comp_targetILNS1_3genE10ELNS1_11target_archE1201ELNS1_3gpuE5ELNS1_3repE0EEENS1_38merge_mergepath_config_static_selectorELNS0_4arch9wavefront6targetE1EEEvSH_.has_recursion, 0
	.set _ZN7rocprim17ROCPRIM_400000_NS6detail17trampoline_kernelINS0_14default_configENS1_38merge_sort_block_merge_config_selectorIslEEZZNS1_27merge_sort_block_merge_implIS3_PsN6thrust23THRUST_200600_302600_NS10device_ptrIlEEjNS1_19radix_merge_compareILb0ELb0EsNS0_19identity_decomposerEEEEE10hipError_tT0_T1_T2_jT3_P12ihipStream_tbPNSt15iterator_traitsISG_E10value_typeEPNSM_ISH_E10value_typeEPSI_NS1_7vsmem_tEENKUlT_SG_SH_SI_E_clIS7_S7_SB_PlEESF_SV_SG_SH_SI_EUlSV_E0_NS1_11comp_targetILNS1_3genE10ELNS1_11target_archE1201ELNS1_3gpuE5ELNS1_3repE0EEENS1_38merge_mergepath_config_static_selectorELNS0_4arch9wavefront6targetE1EEEvSH_.has_indirect_call, 0
	.section	.AMDGPU.csdata,"",@progbits
; Kernel info:
; codeLenInByte = 0
; TotalNumSgprs: 4
; NumVgprs: 0
; ScratchSize: 0
; MemoryBound: 0
; FloatMode: 240
; IeeeMode: 1
; LDSByteSize: 0 bytes/workgroup (compile time only)
; SGPRBlocks: 0
; VGPRBlocks: 0
; NumSGPRsForWavesPerEU: 4
; NumVGPRsForWavesPerEU: 1
; Occupancy: 10
; WaveLimiterHint : 0
; COMPUTE_PGM_RSRC2:SCRATCH_EN: 0
; COMPUTE_PGM_RSRC2:USER_SGPR: 6
; COMPUTE_PGM_RSRC2:TRAP_HANDLER: 0
; COMPUTE_PGM_RSRC2:TGID_X_EN: 1
; COMPUTE_PGM_RSRC2:TGID_Y_EN: 0
; COMPUTE_PGM_RSRC2:TGID_Z_EN: 0
; COMPUTE_PGM_RSRC2:TIDIG_COMP_CNT: 0
	.section	.text._ZN7rocprim17ROCPRIM_400000_NS6detail17trampoline_kernelINS0_14default_configENS1_38merge_sort_block_merge_config_selectorIslEEZZNS1_27merge_sort_block_merge_implIS3_PsN6thrust23THRUST_200600_302600_NS10device_ptrIlEEjNS1_19radix_merge_compareILb0ELb0EsNS0_19identity_decomposerEEEEE10hipError_tT0_T1_T2_jT3_P12ihipStream_tbPNSt15iterator_traitsISG_E10value_typeEPNSM_ISH_E10value_typeEPSI_NS1_7vsmem_tEENKUlT_SG_SH_SI_E_clIS7_S7_SB_PlEESF_SV_SG_SH_SI_EUlSV_E0_NS1_11comp_targetILNS1_3genE5ELNS1_11target_archE942ELNS1_3gpuE9ELNS1_3repE0EEENS1_38merge_mergepath_config_static_selectorELNS0_4arch9wavefront6targetE1EEEvSH_,"axG",@progbits,_ZN7rocprim17ROCPRIM_400000_NS6detail17trampoline_kernelINS0_14default_configENS1_38merge_sort_block_merge_config_selectorIslEEZZNS1_27merge_sort_block_merge_implIS3_PsN6thrust23THRUST_200600_302600_NS10device_ptrIlEEjNS1_19radix_merge_compareILb0ELb0EsNS0_19identity_decomposerEEEEE10hipError_tT0_T1_T2_jT3_P12ihipStream_tbPNSt15iterator_traitsISG_E10value_typeEPNSM_ISH_E10value_typeEPSI_NS1_7vsmem_tEENKUlT_SG_SH_SI_E_clIS7_S7_SB_PlEESF_SV_SG_SH_SI_EUlSV_E0_NS1_11comp_targetILNS1_3genE5ELNS1_11target_archE942ELNS1_3gpuE9ELNS1_3repE0EEENS1_38merge_mergepath_config_static_selectorELNS0_4arch9wavefront6targetE1EEEvSH_,comdat
	.protected	_ZN7rocprim17ROCPRIM_400000_NS6detail17trampoline_kernelINS0_14default_configENS1_38merge_sort_block_merge_config_selectorIslEEZZNS1_27merge_sort_block_merge_implIS3_PsN6thrust23THRUST_200600_302600_NS10device_ptrIlEEjNS1_19radix_merge_compareILb0ELb0EsNS0_19identity_decomposerEEEEE10hipError_tT0_T1_T2_jT3_P12ihipStream_tbPNSt15iterator_traitsISG_E10value_typeEPNSM_ISH_E10value_typeEPSI_NS1_7vsmem_tEENKUlT_SG_SH_SI_E_clIS7_S7_SB_PlEESF_SV_SG_SH_SI_EUlSV_E0_NS1_11comp_targetILNS1_3genE5ELNS1_11target_archE942ELNS1_3gpuE9ELNS1_3repE0EEENS1_38merge_mergepath_config_static_selectorELNS0_4arch9wavefront6targetE1EEEvSH_ ; -- Begin function _ZN7rocprim17ROCPRIM_400000_NS6detail17trampoline_kernelINS0_14default_configENS1_38merge_sort_block_merge_config_selectorIslEEZZNS1_27merge_sort_block_merge_implIS3_PsN6thrust23THRUST_200600_302600_NS10device_ptrIlEEjNS1_19radix_merge_compareILb0ELb0EsNS0_19identity_decomposerEEEEE10hipError_tT0_T1_T2_jT3_P12ihipStream_tbPNSt15iterator_traitsISG_E10value_typeEPNSM_ISH_E10value_typeEPSI_NS1_7vsmem_tEENKUlT_SG_SH_SI_E_clIS7_S7_SB_PlEESF_SV_SG_SH_SI_EUlSV_E0_NS1_11comp_targetILNS1_3genE5ELNS1_11target_archE942ELNS1_3gpuE9ELNS1_3repE0EEENS1_38merge_mergepath_config_static_selectorELNS0_4arch9wavefront6targetE1EEEvSH_
	.globl	_ZN7rocprim17ROCPRIM_400000_NS6detail17trampoline_kernelINS0_14default_configENS1_38merge_sort_block_merge_config_selectorIslEEZZNS1_27merge_sort_block_merge_implIS3_PsN6thrust23THRUST_200600_302600_NS10device_ptrIlEEjNS1_19radix_merge_compareILb0ELb0EsNS0_19identity_decomposerEEEEE10hipError_tT0_T1_T2_jT3_P12ihipStream_tbPNSt15iterator_traitsISG_E10value_typeEPNSM_ISH_E10value_typeEPSI_NS1_7vsmem_tEENKUlT_SG_SH_SI_E_clIS7_S7_SB_PlEESF_SV_SG_SH_SI_EUlSV_E0_NS1_11comp_targetILNS1_3genE5ELNS1_11target_archE942ELNS1_3gpuE9ELNS1_3repE0EEENS1_38merge_mergepath_config_static_selectorELNS0_4arch9wavefront6targetE1EEEvSH_
	.p2align	8
	.type	_ZN7rocprim17ROCPRIM_400000_NS6detail17trampoline_kernelINS0_14default_configENS1_38merge_sort_block_merge_config_selectorIslEEZZNS1_27merge_sort_block_merge_implIS3_PsN6thrust23THRUST_200600_302600_NS10device_ptrIlEEjNS1_19radix_merge_compareILb0ELb0EsNS0_19identity_decomposerEEEEE10hipError_tT0_T1_T2_jT3_P12ihipStream_tbPNSt15iterator_traitsISG_E10value_typeEPNSM_ISH_E10value_typeEPSI_NS1_7vsmem_tEENKUlT_SG_SH_SI_E_clIS7_S7_SB_PlEESF_SV_SG_SH_SI_EUlSV_E0_NS1_11comp_targetILNS1_3genE5ELNS1_11target_archE942ELNS1_3gpuE9ELNS1_3repE0EEENS1_38merge_mergepath_config_static_selectorELNS0_4arch9wavefront6targetE1EEEvSH_,@function
_ZN7rocprim17ROCPRIM_400000_NS6detail17trampoline_kernelINS0_14default_configENS1_38merge_sort_block_merge_config_selectorIslEEZZNS1_27merge_sort_block_merge_implIS3_PsN6thrust23THRUST_200600_302600_NS10device_ptrIlEEjNS1_19radix_merge_compareILb0ELb0EsNS0_19identity_decomposerEEEEE10hipError_tT0_T1_T2_jT3_P12ihipStream_tbPNSt15iterator_traitsISG_E10value_typeEPNSM_ISH_E10value_typeEPSI_NS1_7vsmem_tEENKUlT_SG_SH_SI_E_clIS7_S7_SB_PlEESF_SV_SG_SH_SI_EUlSV_E0_NS1_11comp_targetILNS1_3genE5ELNS1_11target_archE942ELNS1_3gpuE9ELNS1_3repE0EEENS1_38merge_mergepath_config_static_selectorELNS0_4arch9wavefront6targetE1EEEvSH_: ; @_ZN7rocprim17ROCPRIM_400000_NS6detail17trampoline_kernelINS0_14default_configENS1_38merge_sort_block_merge_config_selectorIslEEZZNS1_27merge_sort_block_merge_implIS3_PsN6thrust23THRUST_200600_302600_NS10device_ptrIlEEjNS1_19radix_merge_compareILb0ELb0EsNS0_19identity_decomposerEEEEE10hipError_tT0_T1_T2_jT3_P12ihipStream_tbPNSt15iterator_traitsISG_E10value_typeEPNSM_ISH_E10value_typeEPSI_NS1_7vsmem_tEENKUlT_SG_SH_SI_E_clIS7_S7_SB_PlEESF_SV_SG_SH_SI_EUlSV_E0_NS1_11comp_targetILNS1_3genE5ELNS1_11target_archE942ELNS1_3gpuE9ELNS1_3repE0EEENS1_38merge_mergepath_config_static_selectorELNS0_4arch9wavefront6targetE1EEEvSH_
; %bb.0:
	.section	.rodata,"a",@progbits
	.p2align	6, 0x0
	.amdhsa_kernel _ZN7rocprim17ROCPRIM_400000_NS6detail17trampoline_kernelINS0_14default_configENS1_38merge_sort_block_merge_config_selectorIslEEZZNS1_27merge_sort_block_merge_implIS3_PsN6thrust23THRUST_200600_302600_NS10device_ptrIlEEjNS1_19radix_merge_compareILb0ELb0EsNS0_19identity_decomposerEEEEE10hipError_tT0_T1_T2_jT3_P12ihipStream_tbPNSt15iterator_traitsISG_E10value_typeEPNSM_ISH_E10value_typeEPSI_NS1_7vsmem_tEENKUlT_SG_SH_SI_E_clIS7_S7_SB_PlEESF_SV_SG_SH_SI_EUlSV_E0_NS1_11comp_targetILNS1_3genE5ELNS1_11target_archE942ELNS1_3gpuE9ELNS1_3repE0EEENS1_38merge_mergepath_config_static_selectorELNS0_4arch9wavefront6targetE1EEEvSH_
		.amdhsa_group_segment_fixed_size 0
		.amdhsa_private_segment_fixed_size 0
		.amdhsa_kernarg_size 64
		.amdhsa_user_sgpr_count 6
		.amdhsa_user_sgpr_private_segment_buffer 1
		.amdhsa_user_sgpr_dispatch_ptr 0
		.amdhsa_user_sgpr_queue_ptr 0
		.amdhsa_user_sgpr_kernarg_segment_ptr 1
		.amdhsa_user_sgpr_dispatch_id 0
		.amdhsa_user_sgpr_flat_scratch_init 0
		.amdhsa_user_sgpr_private_segment_size 0
		.amdhsa_uses_dynamic_stack 0
		.amdhsa_system_sgpr_private_segment_wavefront_offset 0
		.amdhsa_system_sgpr_workgroup_id_x 1
		.amdhsa_system_sgpr_workgroup_id_y 0
		.amdhsa_system_sgpr_workgroup_id_z 0
		.amdhsa_system_sgpr_workgroup_info 0
		.amdhsa_system_vgpr_workitem_id 0
		.amdhsa_next_free_vgpr 1
		.amdhsa_next_free_sgpr 0
		.amdhsa_reserve_vcc 0
		.amdhsa_reserve_flat_scratch 0
		.amdhsa_float_round_mode_32 0
		.amdhsa_float_round_mode_16_64 0
		.amdhsa_float_denorm_mode_32 3
		.amdhsa_float_denorm_mode_16_64 3
		.amdhsa_dx10_clamp 1
		.amdhsa_ieee_mode 1
		.amdhsa_fp16_overflow 0
		.amdhsa_exception_fp_ieee_invalid_op 0
		.amdhsa_exception_fp_denorm_src 0
		.amdhsa_exception_fp_ieee_div_zero 0
		.amdhsa_exception_fp_ieee_overflow 0
		.amdhsa_exception_fp_ieee_underflow 0
		.amdhsa_exception_fp_ieee_inexact 0
		.amdhsa_exception_int_div_zero 0
	.end_amdhsa_kernel
	.section	.text._ZN7rocprim17ROCPRIM_400000_NS6detail17trampoline_kernelINS0_14default_configENS1_38merge_sort_block_merge_config_selectorIslEEZZNS1_27merge_sort_block_merge_implIS3_PsN6thrust23THRUST_200600_302600_NS10device_ptrIlEEjNS1_19radix_merge_compareILb0ELb0EsNS0_19identity_decomposerEEEEE10hipError_tT0_T1_T2_jT3_P12ihipStream_tbPNSt15iterator_traitsISG_E10value_typeEPNSM_ISH_E10value_typeEPSI_NS1_7vsmem_tEENKUlT_SG_SH_SI_E_clIS7_S7_SB_PlEESF_SV_SG_SH_SI_EUlSV_E0_NS1_11comp_targetILNS1_3genE5ELNS1_11target_archE942ELNS1_3gpuE9ELNS1_3repE0EEENS1_38merge_mergepath_config_static_selectorELNS0_4arch9wavefront6targetE1EEEvSH_,"axG",@progbits,_ZN7rocprim17ROCPRIM_400000_NS6detail17trampoline_kernelINS0_14default_configENS1_38merge_sort_block_merge_config_selectorIslEEZZNS1_27merge_sort_block_merge_implIS3_PsN6thrust23THRUST_200600_302600_NS10device_ptrIlEEjNS1_19radix_merge_compareILb0ELb0EsNS0_19identity_decomposerEEEEE10hipError_tT0_T1_T2_jT3_P12ihipStream_tbPNSt15iterator_traitsISG_E10value_typeEPNSM_ISH_E10value_typeEPSI_NS1_7vsmem_tEENKUlT_SG_SH_SI_E_clIS7_S7_SB_PlEESF_SV_SG_SH_SI_EUlSV_E0_NS1_11comp_targetILNS1_3genE5ELNS1_11target_archE942ELNS1_3gpuE9ELNS1_3repE0EEENS1_38merge_mergepath_config_static_selectorELNS0_4arch9wavefront6targetE1EEEvSH_,comdat
.Lfunc_end1310:
	.size	_ZN7rocprim17ROCPRIM_400000_NS6detail17trampoline_kernelINS0_14default_configENS1_38merge_sort_block_merge_config_selectorIslEEZZNS1_27merge_sort_block_merge_implIS3_PsN6thrust23THRUST_200600_302600_NS10device_ptrIlEEjNS1_19radix_merge_compareILb0ELb0EsNS0_19identity_decomposerEEEEE10hipError_tT0_T1_T2_jT3_P12ihipStream_tbPNSt15iterator_traitsISG_E10value_typeEPNSM_ISH_E10value_typeEPSI_NS1_7vsmem_tEENKUlT_SG_SH_SI_E_clIS7_S7_SB_PlEESF_SV_SG_SH_SI_EUlSV_E0_NS1_11comp_targetILNS1_3genE5ELNS1_11target_archE942ELNS1_3gpuE9ELNS1_3repE0EEENS1_38merge_mergepath_config_static_selectorELNS0_4arch9wavefront6targetE1EEEvSH_, .Lfunc_end1310-_ZN7rocprim17ROCPRIM_400000_NS6detail17trampoline_kernelINS0_14default_configENS1_38merge_sort_block_merge_config_selectorIslEEZZNS1_27merge_sort_block_merge_implIS3_PsN6thrust23THRUST_200600_302600_NS10device_ptrIlEEjNS1_19radix_merge_compareILb0ELb0EsNS0_19identity_decomposerEEEEE10hipError_tT0_T1_T2_jT3_P12ihipStream_tbPNSt15iterator_traitsISG_E10value_typeEPNSM_ISH_E10value_typeEPSI_NS1_7vsmem_tEENKUlT_SG_SH_SI_E_clIS7_S7_SB_PlEESF_SV_SG_SH_SI_EUlSV_E0_NS1_11comp_targetILNS1_3genE5ELNS1_11target_archE942ELNS1_3gpuE9ELNS1_3repE0EEENS1_38merge_mergepath_config_static_selectorELNS0_4arch9wavefront6targetE1EEEvSH_
                                        ; -- End function
	.set _ZN7rocprim17ROCPRIM_400000_NS6detail17trampoline_kernelINS0_14default_configENS1_38merge_sort_block_merge_config_selectorIslEEZZNS1_27merge_sort_block_merge_implIS3_PsN6thrust23THRUST_200600_302600_NS10device_ptrIlEEjNS1_19radix_merge_compareILb0ELb0EsNS0_19identity_decomposerEEEEE10hipError_tT0_T1_T2_jT3_P12ihipStream_tbPNSt15iterator_traitsISG_E10value_typeEPNSM_ISH_E10value_typeEPSI_NS1_7vsmem_tEENKUlT_SG_SH_SI_E_clIS7_S7_SB_PlEESF_SV_SG_SH_SI_EUlSV_E0_NS1_11comp_targetILNS1_3genE5ELNS1_11target_archE942ELNS1_3gpuE9ELNS1_3repE0EEENS1_38merge_mergepath_config_static_selectorELNS0_4arch9wavefront6targetE1EEEvSH_.num_vgpr, 0
	.set _ZN7rocprim17ROCPRIM_400000_NS6detail17trampoline_kernelINS0_14default_configENS1_38merge_sort_block_merge_config_selectorIslEEZZNS1_27merge_sort_block_merge_implIS3_PsN6thrust23THRUST_200600_302600_NS10device_ptrIlEEjNS1_19radix_merge_compareILb0ELb0EsNS0_19identity_decomposerEEEEE10hipError_tT0_T1_T2_jT3_P12ihipStream_tbPNSt15iterator_traitsISG_E10value_typeEPNSM_ISH_E10value_typeEPSI_NS1_7vsmem_tEENKUlT_SG_SH_SI_E_clIS7_S7_SB_PlEESF_SV_SG_SH_SI_EUlSV_E0_NS1_11comp_targetILNS1_3genE5ELNS1_11target_archE942ELNS1_3gpuE9ELNS1_3repE0EEENS1_38merge_mergepath_config_static_selectorELNS0_4arch9wavefront6targetE1EEEvSH_.num_agpr, 0
	.set _ZN7rocprim17ROCPRIM_400000_NS6detail17trampoline_kernelINS0_14default_configENS1_38merge_sort_block_merge_config_selectorIslEEZZNS1_27merge_sort_block_merge_implIS3_PsN6thrust23THRUST_200600_302600_NS10device_ptrIlEEjNS1_19radix_merge_compareILb0ELb0EsNS0_19identity_decomposerEEEEE10hipError_tT0_T1_T2_jT3_P12ihipStream_tbPNSt15iterator_traitsISG_E10value_typeEPNSM_ISH_E10value_typeEPSI_NS1_7vsmem_tEENKUlT_SG_SH_SI_E_clIS7_S7_SB_PlEESF_SV_SG_SH_SI_EUlSV_E0_NS1_11comp_targetILNS1_3genE5ELNS1_11target_archE942ELNS1_3gpuE9ELNS1_3repE0EEENS1_38merge_mergepath_config_static_selectorELNS0_4arch9wavefront6targetE1EEEvSH_.numbered_sgpr, 0
	.set _ZN7rocprim17ROCPRIM_400000_NS6detail17trampoline_kernelINS0_14default_configENS1_38merge_sort_block_merge_config_selectorIslEEZZNS1_27merge_sort_block_merge_implIS3_PsN6thrust23THRUST_200600_302600_NS10device_ptrIlEEjNS1_19radix_merge_compareILb0ELb0EsNS0_19identity_decomposerEEEEE10hipError_tT0_T1_T2_jT3_P12ihipStream_tbPNSt15iterator_traitsISG_E10value_typeEPNSM_ISH_E10value_typeEPSI_NS1_7vsmem_tEENKUlT_SG_SH_SI_E_clIS7_S7_SB_PlEESF_SV_SG_SH_SI_EUlSV_E0_NS1_11comp_targetILNS1_3genE5ELNS1_11target_archE942ELNS1_3gpuE9ELNS1_3repE0EEENS1_38merge_mergepath_config_static_selectorELNS0_4arch9wavefront6targetE1EEEvSH_.num_named_barrier, 0
	.set _ZN7rocprim17ROCPRIM_400000_NS6detail17trampoline_kernelINS0_14default_configENS1_38merge_sort_block_merge_config_selectorIslEEZZNS1_27merge_sort_block_merge_implIS3_PsN6thrust23THRUST_200600_302600_NS10device_ptrIlEEjNS1_19radix_merge_compareILb0ELb0EsNS0_19identity_decomposerEEEEE10hipError_tT0_T1_T2_jT3_P12ihipStream_tbPNSt15iterator_traitsISG_E10value_typeEPNSM_ISH_E10value_typeEPSI_NS1_7vsmem_tEENKUlT_SG_SH_SI_E_clIS7_S7_SB_PlEESF_SV_SG_SH_SI_EUlSV_E0_NS1_11comp_targetILNS1_3genE5ELNS1_11target_archE942ELNS1_3gpuE9ELNS1_3repE0EEENS1_38merge_mergepath_config_static_selectorELNS0_4arch9wavefront6targetE1EEEvSH_.private_seg_size, 0
	.set _ZN7rocprim17ROCPRIM_400000_NS6detail17trampoline_kernelINS0_14default_configENS1_38merge_sort_block_merge_config_selectorIslEEZZNS1_27merge_sort_block_merge_implIS3_PsN6thrust23THRUST_200600_302600_NS10device_ptrIlEEjNS1_19radix_merge_compareILb0ELb0EsNS0_19identity_decomposerEEEEE10hipError_tT0_T1_T2_jT3_P12ihipStream_tbPNSt15iterator_traitsISG_E10value_typeEPNSM_ISH_E10value_typeEPSI_NS1_7vsmem_tEENKUlT_SG_SH_SI_E_clIS7_S7_SB_PlEESF_SV_SG_SH_SI_EUlSV_E0_NS1_11comp_targetILNS1_3genE5ELNS1_11target_archE942ELNS1_3gpuE9ELNS1_3repE0EEENS1_38merge_mergepath_config_static_selectorELNS0_4arch9wavefront6targetE1EEEvSH_.uses_vcc, 0
	.set _ZN7rocprim17ROCPRIM_400000_NS6detail17trampoline_kernelINS0_14default_configENS1_38merge_sort_block_merge_config_selectorIslEEZZNS1_27merge_sort_block_merge_implIS3_PsN6thrust23THRUST_200600_302600_NS10device_ptrIlEEjNS1_19radix_merge_compareILb0ELb0EsNS0_19identity_decomposerEEEEE10hipError_tT0_T1_T2_jT3_P12ihipStream_tbPNSt15iterator_traitsISG_E10value_typeEPNSM_ISH_E10value_typeEPSI_NS1_7vsmem_tEENKUlT_SG_SH_SI_E_clIS7_S7_SB_PlEESF_SV_SG_SH_SI_EUlSV_E0_NS1_11comp_targetILNS1_3genE5ELNS1_11target_archE942ELNS1_3gpuE9ELNS1_3repE0EEENS1_38merge_mergepath_config_static_selectorELNS0_4arch9wavefront6targetE1EEEvSH_.uses_flat_scratch, 0
	.set _ZN7rocprim17ROCPRIM_400000_NS6detail17trampoline_kernelINS0_14default_configENS1_38merge_sort_block_merge_config_selectorIslEEZZNS1_27merge_sort_block_merge_implIS3_PsN6thrust23THRUST_200600_302600_NS10device_ptrIlEEjNS1_19radix_merge_compareILb0ELb0EsNS0_19identity_decomposerEEEEE10hipError_tT0_T1_T2_jT3_P12ihipStream_tbPNSt15iterator_traitsISG_E10value_typeEPNSM_ISH_E10value_typeEPSI_NS1_7vsmem_tEENKUlT_SG_SH_SI_E_clIS7_S7_SB_PlEESF_SV_SG_SH_SI_EUlSV_E0_NS1_11comp_targetILNS1_3genE5ELNS1_11target_archE942ELNS1_3gpuE9ELNS1_3repE0EEENS1_38merge_mergepath_config_static_selectorELNS0_4arch9wavefront6targetE1EEEvSH_.has_dyn_sized_stack, 0
	.set _ZN7rocprim17ROCPRIM_400000_NS6detail17trampoline_kernelINS0_14default_configENS1_38merge_sort_block_merge_config_selectorIslEEZZNS1_27merge_sort_block_merge_implIS3_PsN6thrust23THRUST_200600_302600_NS10device_ptrIlEEjNS1_19radix_merge_compareILb0ELb0EsNS0_19identity_decomposerEEEEE10hipError_tT0_T1_T2_jT3_P12ihipStream_tbPNSt15iterator_traitsISG_E10value_typeEPNSM_ISH_E10value_typeEPSI_NS1_7vsmem_tEENKUlT_SG_SH_SI_E_clIS7_S7_SB_PlEESF_SV_SG_SH_SI_EUlSV_E0_NS1_11comp_targetILNS1_3genE5ELNS1_11target_archE942ELNS1_3gpuE9ELNS1_3repE0EEENS1_38merge_mergepath_config_static_selectorELNS0_4arch9wavefront6targetE1EEEvSH_.has_recursion, 0
	.set _ZN7rocprim17ROCPRIM_400000_NS6detail17trampoline_kernelINS0_14default_configENS1_38merge_sort_block_merge_config_selectorIslEEZZNS1_27merge_sort_block_merge_implIS3_PsN6thrust23THRUST_200600_302600_NS10device_ptrIlEEjNS1_19radix_merge_compareILb0ELb0EsNS0_19identity_decomposerEEEEE10hipError_tT0_T1_T2_jT3_P12ihipStream_tbPNSt15iterator_traitsISG_E10value_typeEPNSM_ISH_E10value_typeEPSI_NS1_7vsmem_tEENKUlT_SG_SH_SI_E_clIS7_S7_SB_PlEESF_SV_SG_SH_SI_EUlSV_E0_NS1_11comp_targetILNS1_3genE5ELNS1_11target_archE942ELNS1_3gpuE9ELNS1_3repE0EEENS1_38merge_mergepath_config_static_selectorELNS0_4arch9wavefront6targetE1EEEvSH_.has_indirect_call, 0
	.section	.AMDGPU.csdata,"",@progbits
; Kernel info:
; codeLenInByte = 0
; TotalNumSgprs: 4
; NumVgprs: 0
; ScratchSize: 0
; MemoryBound: 0
; FloatMode: 240
; IeeeMode: 1
; LDSByteSize: 0 bytes/workgroup (compile time only)
; SGPRBlocks: 0
; VGPRBlocks: 0
; NumSGPRsForWavesPerEU: 4
; NumVGPRsForWavesPerEU: 1
; Occupancy: 10
; WaveLimiterHint : 0
; COMPUTE_PGM_RSRC2:SCRATCH_EN: 0
; COMPUTE_PGM_RSRC2:USER_SGPR: 6
; COMPUTE_PGM_RSRC2:TRAP_HANDLER: 0
; COMPUTE_PGM_RSRC2:TGID_X_EN: 1
; COMPUTE_PGM_RSRC2:TGID_Y_EN: 0
; COMPUTE_PGM_RSRC2:TGID_Z_EN: 0
; COMPUTE_PGM_RSRC2:TIDIG_COMP_CNT: 0
	.section	.text._ZN7rocprim17ROCPRIM_400000_NS6detail17trampoline_kernelINS0_14default_configENS1_38merge_sort_block_merge_config_selectorIslEEZZNS1_27merge_sort_block_merge_implIS3_PsN6thrust23THRUST_200600_302600_NS10device_ptrIlEEjNS1_19radix_merge_compareILb0ELb0EsNS0_19identity_decomposerEEEEE10hipError_tT0_T1_T2_jT3_P12ihipStream_tbPNSt15iterator_traitsISG_E10value_typeEPNSM_ISH_E10value_typeEPSI_NS1_7vsmem_tEENKUlT_SG_SH_SI_E_clIS7_S7_SB_PlEESF_SV_SG_SH_SI_EUlSV_E0_NS1_11comp_targetILNS1_3genE4ELNS1_11target_archE910ELNS1_3gpuE8ELNS1_3repE0EEENS1_38merge_mergepath_config_static_selectorELNS0_4arch9wavefront6targetE1EEEvSH_,"axG",@progbits,_ZN7rocprim17ROCPRIM_400000_NS6detail17trampoline_kernelINS0_14default_configENS1_38merge_sort_block_merge_config_selectorIslEEZZNS1_27merge_sort_block_merge_implIS3_PsN6thrust23THRUST_200600_302600_NS10device_ptrIlEEjNS1_19radix_merge_compareILb0ELb0EsNS0_19identity_decomposerEEEEE10hipError_tT0_T1_T2_jT3_P12ihipStream_tbPNSt15iterator_traitsISG_E10value_typeEPNSM_ISH_E10value_typeEPSI_NS1_7vsmem_tEENKUlT_SG_SH_SI_E_clIS7_S7_SB_PlEESF_SV_SG_SH_SI_EUlSV_E0_NS1_11comp_targetILNS1_3genE4ELNS1_11target_archE910ELNS1_3gpuE8ELNS1_3repE0EEENS1_38merge_mergepath_config_static_selectorELNS0_4arch9wavefront6targetE1EEEvSH_,comdat
	.protected	_ZN7rocprim17ROCPRIM_400000_NS6detail17trampoline_kernelINS0_14default_configENS1_38merge_sort_block_merge_config_selectorIslEEZZNS1_27merge_sort_block_merge_implIS3_PsN6thrust23THRUST_200600_302600_NS10device_ptrIlEEjNS1_19radix_merge_compareILb0ELb0EsNS0_19identity_decomposerEEEEE10hipError_tT0_T1_T2_jT3_P12ihipStream_tbPNSt15iterator_traitsISG_E10value_typeEPNSM_ISH_E10value_typeEPSI_NS1_7vsmem_tEENKUlT_SG_SH_SI_E_clIS7_S7_SB_PlEESF_SV_SG_SH_SI_EUlSV_E0_NS1_11comp_targetILNS1_3genE4ELNS1_11target_archE910ELNS1_3gpuE8ELNS1_3repE0EEENS1_38merge_mergepath_config_static_selectorELNS0_4arch9wavefront6targetE1EEEvSH_ ; -- Begin function _ZN7rocprim17ROCPRIM_400000_NS6detail17trampoline_kernelINS0_14default_configENS1_38merge_sort_block_merge_config_selectorIslEEZZNS1_27merge_sort_block_merge_implIS3_PsN6thrust23THRUST_200600_302600_NS10device_ptrIlEEjNS1_19radix_merge_compareILb0ELb0EsNS0_19identity_decomposerEEEEE10hipError_tT0_T1_T2_jT3_P12ihipStream_tbPNSt15iterator_traitsISG_E10value_typeEPNSM_ISH_E10value_typeEPSI_NS1_7vsmem_tEENKUlT_SG_SH_SI_E_clIS7_S7_SB_PlEESF_SV_SG_SH_SI_EUlSV_E0_NS1_11comp_targetILNS1_3genE4ELNS1_11target_archE910ELNS1_3gpuE8ELNS1_3repE0EEENS1_38merge_mergepath_config_static_selectorELNS0_4arch9wavefront6targetE1EEEvSH_
	.globl	_ZN7rocprim17ROCPRIM_400000_NS6detail17trampoline_kernelINS0_14default_configENS1_38merge_sort_block_merge_config_selectorIslEEZZNS1_27merge_sort_block_merge_implIS3_PsN6thrust23THRUST_200600_302600_NS10device_ptrIlEEjNS1_19radix_merge_compareILb0ELb0EsNS0_19identity_decomposerEEEEE10hipError_tT0_T1_T2_jT3_P12ihipStream_tbPNSt15iterator_traitsISG_E10value_typeEPNSM_ISH_E10value_typeEPSI_NS1_7vsmem_tEENKUlT_SG_SH_SI_E_clIS7_S7_SB_PlEESF_SV_SG_SH_SI_EUlSV_E0_NS1_11comp_targetILNS1_3genE4ELNS1_11target_archE910ELNS1_3gpuE8ELNS1_3repE0EEENS1_38merge_mergepath_config_static_selectorELNS0_4arch9wavefront6targetE1EEEvSH_
	.p2align	8
	.type	_ZN7rocprim17ROCPRIM_400000_NS6detail17trampoline_kernelINS0_14default_configENS1_38merge_sort_block_merge_config_selectorIslEEZZNS1_27merge_sort_block_merge_implIS3_PsN6thrust23THRUST_200600_302600_NS10device_ptrIlEEjNS1_19radix_merge_compareILb0ELb0EsNS0_19identity_decomposerEEEEE10hipError_tT0_T1_T2_jT3_P12ihipStream_tbPNSt15iterator_traitsISG_E10value_typeEPNSM_ISH_E10value_typeEPSI_NS1_7vsmem_tEENKUlT_SG_SH_SI_E_clIS7_S7_SB_PlEESF_SV_SG_SH_SI_EUlSV_E0_NS1_11comp_targetILNS1_3genE4ELNS1_11target_archE910ELNS1_3gpuE8ELNS1_3repE0EEENS1_38merge_mergepath_config_static_selectorELNS0_4arch9wavefront6targetE1EEEvSH_,@function
_ZN7rocprim17ROCPRIM_400000_NS6detail17trampoline_kernelINS0_14default_configENS1_38merge_sort_block_merge_config_selectorIslEEZZNS1_27merge_sort_block_merge_implIS3_PsN6thrust23THRUST_200600_302600_NS10device_ptrIlEEjNS1_19radix_merge_compareILb0ELb0EsNS0_19identity_decomposerEEEEE10hipError_tT0_T1_T2_jT3_P12ihipStream_tbPNSt15iterator_traitsISG_E10value_typeEPNSM_ISH_E10value_typeEPSI_NS1_7vsmem_tEENKUlT_SG_SH_SI_E_clIS7_S7_SB_PlEESF_SV_SG_SH_SI_EUlSV_E0_NS1_11comp_targetILNS1_3genE4ELNS1_11target_archE910ELNS1_3gpuE8ELNS1_3repE0EEENS1_38merge_mergepath_config_static_selectorELNS0_4arch9wavefront6targetE1EEEvSH_: ; @_ZN7rocprim17ROCPRIM_400000_NS6detail17trampoline_kernelINS0_14default_configENS1_38merge_sort_block_merge_config_selectorIslEEZZNS1_27merge_sort_block_merge_implIS3_PsN6thrust23THRUST_200600_302600_NS10device_ptrIlEEjNS1_19radix_merge_compareILb0ELb0EsNS0_19identity_decomposerEEEEE10hipError_tT0_T1_T2_jT3_P12ihipStream_tbPNSt15iterator_traitsISG_E10value_typeEPNSM_ISH_E10value_typeEPSI_NS1_7vsmem_tEENKUlT_SG_SH_SI_E_clIS7_S7_SB_PlEESF_SV_SG_SH_SI_EUlSV_E0_NS1_11comp_targetILNS1_3genE4ELNS1_11target_archE910ELNS1_3gpuE8ELNS1_3repE0EEENS1_38merge_mergepath_config_static_selectorELNS0_4arch9wavefront6targetE1EEEvSH_
; %bb.0:
	.section	.rodata,"a",@progbits
	.p2align	6, 0x0
	.amdhsa_kernel _ZN7rocprim17ROCPRIM_400000_NS6detail17trampoline_kernelINS0_14default_configENS1_38merge_sort_block_merge_config_selectorIslEEZZNS1_27merge_sort_block_merge_implIS3_PsN6thrust23THRUST_200600_302600_NS10device_ptrIlEEjNS1_19radix_merge_compareILb0ELb0EsNS0_19identity_decomposerEEEEE10hipError_tT0_T1_T2_jT3_P12ihipStream_tbPNSt15iterator_traitsISG_E10value_typeEPNSM_ISH_E10value_typeEPSI_NS1_7vsmem_tEENKUlT_SG_SH_SI_E_clIS7_S7_SB_PlEESF_SV_SG_SH_SI_EUlSV_E0_NS1_11comp_targetILNS1_3genE4ELNS1_11target_archE910ELNS1_3gpuE8ELNS1_3repE0EEENS1_38merge_mergepath_config_static_selectorELNS0_4arch9wavefront6targetE1EEEvSH_
		.amdhsa_group_segment_fixed_size 0
		.amdhsa_private_segment_fixed_size 0
		.amdhsa_kernarg_size 64
		.amdhsa_user_sgpr_count 6
		.amdhsa_user_sgpr_private_segment_buffer 1
		.amdhsa_user_sgpr_dispatch_ptr 0
		.amdhsa_user_sgpr_queue_ptr 0
		.amdhsa_user_sgpr_kernarg_segment_ptr 1
		.amdhsa_user_sgpr_dispatch_id 0
		.amdhsa_user_sgpr_flat_scratch_init 0
		.amdhsa_user_sgpr_private_segment_size 0
		.amdhsa_uses_dynamic_stack 0
		.amdhsa_system_sgpr_private_segment_wavefront_offset 0
		.amdhsa_system_sgpr_workgroup_id_x 1
		.amdhsa_system_sgpr_workgroup_id_y 0
		.amdhsa_system_sgpr_workgroup_id_z 0
		.amdhsa_system_sgpr_workgroup_info 0
		.amdhsa_system_vgpr_workitem_id 0
		.amdhsa_next_free_vgpr 1
		.amdhsa_next_free_sgpr 0
		.amdhsa_reserve_vcc 0
		.amdhsa_reserve_flat_scratch 0
		.amdhsa_float_round_mode_32 0
		.amdhsa_float_round_mode_16_64 0
		.amdhsa_float_denorm_mode_32 3
		.amdhsa_float_denorm_mode_16_64 3
		.amdhsa_dx10_clamp 1
		.amdhsa_ieee_mode 1
		.amdhsa_fp16_overflow 0
		.amdhsa_exception_fp_ieee_invalid_op 0
		.amdhsa_exception_fp_denorm_src 0
		.amdhsa_exception_fp_ieee_div_zero 0
		.amdhsa_exception_fp_ieee_overflow 0
		.amdhsa_exception_fp_ieee_underflow 0
		.amdhsa_exception_fp_ieee_inexact 0
		.amdhsa_exception_int_div_zero 0
	.end_amdhsa_kernel
	.section	.text._ZN7rocprim17ROCPRIM_400000_NS6detail17trampoline_kernelINS0_14default_configENS1_38merge_sort_block_merge_config_selectorIslEEZZNS1_27merge_sort_block_merge_implIS3_PsN6thrust23THRUST_200600_302600_NS10device_ptrIlEEjNS1_19radix_merge_compareILb0ELb0EsNS0_19identity_decomposerEEEEE10hipError_tT0_T1_T2_jT3_P12ihipStream_tbPNSt15iterator_traitsISG_E10value_typeEPNSM_ISH_E10value_typeEPSI_NS1_7vsmem_tEENKUlT_SG_SH_SI_E_clIS7_S7_SB_PlEESF_SV_SG_SH_SI_EUlSV_E0_NS1_11comp_targetILNS1_3genE4ELNS1_11target_archE910ELNS1_3gpuE8ELNS1_3repE0EEENS1_38merge_mergepath_config_static_selectorELNS0_4arch9wavefront6targetE1EEEvSH_,"axG",@progbits,_ZN7rocprim17ROCPRIM_400000_NS6detail17trampoline_kernelINS0_14default_configENS1_38merge_sort_block_merge_config_selectorIslEEZZNS1_27merge_sort_block_merge_implIS3_PsN6thrust23THRUST_200600_302600_NS10device_ptrIlEEjNS1_19radix_merge_compareILb0ELb0EsNS0_19identity_decomposerEEEEE10hipError_tT0_T1_T2_jT3_P12ihipStream_tbPNSt15iterator_traitsISG_E10value_typeEPNSM_ISH_E10value_typeEPSI_NS1_7vsmem_tEENKUlT_SG_SH_SI_E_clIS7_S7_SB_PlEESF_SV_SG_SH_SI_EUlSV_E0_NS1_11comp_targetILNS1_3genE4ELNS1_11target_archE910ELNS1_3gpuE8ELNS1_3repE0EEENS1_38merge_mergepath_config_static_selectorELNS0_4arch9wavefront6targetE1EEEvSH_,comdat
.Lfunc_end1311:
	.size	_ZN7rocprim17ROCPRIM_400000_NS6detail17trampoline_kernelINS0_14default_configENS1_38merge_sort_block_merge_config_selectorIslEEZZNS1_27merge_sort_block_merge_implIS3_PsN6thrust23THRUST_200600_302600_NS10device_ptrIlEEjNS1_19radix_merge_compareILb0ELb0EsNS0_19identity_decomposerEEEEE10hipError_tT0_T1_T2_jT3_P12ihipStream_tbPNSt15iterator_traitsISG_E10value_typeEPNSM_ISH_E10value_typeEPSI_NS1_7vsmem_tEENKUlT_SG_SH_SI_E_clIS7_S7_SB_PlEESF_SV_SG_SH_SI_EUlSV_E0_NS1_11comp_targetILNS1_3genE4ELNS1_11target_archE910ELNS1_3gpuE8ELNS1_3repE0EEENS1_38merge_mergepath_config_static_selectorELNS0_4arch9wavefront6targetE1EEEvSH_, .Lfunc_end1311-_ZN7rocprim17ROCPRIM_400000_NS6detail17trampoline_kernelINS0_14default_configENS1_38merge_sort_block_merge_config_selectorIslEEZZNS1_27merge_sort_block_merge_implIS3_PsN6thrust23THRUST_200600_302600_NS10device_ptrIlEEjNS1_19radix_merge_compareILb0ELb0EsNS0_19identity_decomposerEEEEE10hipError_tT0_T1_T2_jT3_P12ihipStream_tbPNSt15iterator_traitsISG_E10value_typeEPNSM_ISH_E10value_typeEPSI_NS1_7vsmem_tEENKUlT_SG_SH_SI_E_clIS7_S7_SB_PlEESF_SV_SG_SH_SI_EUlSV_E0_NS1_11comp_targetILNS1_3genE4ELNS1_11target_archE910ELNS1_3gpuE8ELNS1_3repE0EEENS1_38merge_mergepath_config_static_selectorELNS0_4arch9wavefront6targetE1EEEvSH_
                                        ; -- End function
	.set _ZN7rocprim17ROCPRIM_400000_NS6detail17trampoline_kernelINS0_14default_configENS1_38merge_sort_block_merge_config_selectorIslEEZZNS1_27merge_sort_block_merge_implIS3_PsN6thrust23THRUST_200600_302600_NS10device_ptrIlEEjNS1_19radix_merge_compareILb0ELb0EsNS0_19identity_decomposerEEEEE10hipError_tT0_T1_T2_jT3_P12ihipStream_tbPNSt15iterator_traitsISG_E10value_typeEPNSM_ISH_E10value_typeEPSI_NS1_7vsmem_tEENKUlT_SG_SH_SI_E_clIS7_S7_SB_PlEESF_SV_SG_SH_SI_EUlSV_E0_NS1_11comp_targetILNS1_3genE4ELNS1_11target_archE910ELNS1_3gpuE8ELNS1_3repE0EEENS1_38merge_mergepath_config_static_selectorELNS0_4arch9wavefront6targetE1EEEvSH_.num_vgpr, 0
	.set _ZN7rocprim17ROCPRIM_400000_NS6detail17trampoline_kernelINS0_14default_configENS1_38merge_sort_block_merge_config_selectorIslEEZZNS1_27merge_sort_block_merge_implIS3_PsN6thrust23THRUST_200600_302600_NS10device_ptrIlEEjNS1_19radix_merge_compareILb0ELb0EsNS0_19identity_decomposerEEEEE10hipError_tT0_T1_T2_jT3_P12ihipStream_tbPNSt15iterator_traitsISG_E10value_typeEPNSM_ISH_E10value_typeEPSI_NS1_7vsmem_tEENKUlT_SG_SH_SI_E_clIS7_S7_SB_PlEESF_SV_SG_SH_SI_EUlSV_E0_NS1_11comp_targetILNS1_3genE4ELNS1_11target_archE910ELNS1_3gpuE8ELNS1_3repE0EEENS1_38merge_mergepath_config_static_selectorELNS0_4arch9wavefront6targetE1EEEvSH_.num_agpr, 0
	.set _ZN7rocprim17ROCPRIM_400000_NS6detail17trampoline_kernelINS0_14default_configENS1_38merge_sort_block_merge_config_selectorIslEEZZNS1_27merge_sort_block_merge_implIS3_PsN6thrust23THRUST_200600_302600_NS10device_ptrIlEEjNS1_19radix_merge_compareILb0ELb0EsNS0_19identity_decomposerEEEEE10hipError_tT0_T1_T2_jT3_P12ihipStream_tbPNSt15iterator_traitsISG_E10value_typeEPNSM_ISH_E10value_typeEPSI_NS1_7vsmem_tEENKUlT_SG_SH_SI_E_clIS7_S7_SB_PlEESF_SV_SG_SH_SI_EUlSV_E0_NS1_11comp_targetILNS1_3genE4ELNS1_11target_archE910ELNS1_3gpuE8ELNS1_3repE0EEENS1_38merge_mergepath_config_static_selectorELNS0_4arch9wavefront6targetE1EEEvSH_.numbered_sgpr, 0
	.set _ZN7rocprim17ROCPRIM_400000_NS6detail17trampoline_kernelINS0_14default_configENS1_38merge_sort_block_merge_config_selectorIslEEZZNS1_27merge_sort_block_merge_implIS3_PsN6thrust23THRUST_200600_302600_NS10device_ptrIlEEjNS1_19radix_merge_compareILb0ELb0EsNS0_19identity_decomposerEEEEE10hipError_tT0_T1_T2_jT3_P12ihipStream_tbPNSt15iterator_traitsISG_E10value_typeEPNSM_ISH_E10value_typeEPSI_NS1_7vsmem_tEENKUlT_SG_SH_SI_E_clIS7_S7_SB_PlEESF_SV_SG_SH_SI_EUlSV_E0_NS1_11comp_targetILNS1_3genE4ELNS1_11target_archE910ELNS1_3gpuE8ELNS1_3repE0EEENS1_38merge_mergepath_config_static_selectorELNS0_4arch9wavefront6targetE1EEEvSH_.num_named_barrier, 0
	.set _ZN7rocprim17ROCPRIM_400000_NS6detail17trampoline_kernelINS0_14default_configENS1_38merge_sort_block_merge_config_selectorIslEEZZNS1_27merge_sort_block_merge_implIS3_PsN6thrust23THRUST_200600_302600_NS10device_ptrIlEEjNS1_19radix_merge_compareILb0ELb0EsNS0_19identity_decomposerEEEEE10hipError_tT0_T1_T2_jT3_P12ihipStream_tbPNSt15iterator_traitsISG_E10value_typeEPNSM_ISH_E10value_typeEPSI_NS1_7vsmem_tEENKUlT_SG_SH_SI_E_clIS7_S7_SB_PlEESF_SV_SG_SH_SI_EUlSV_E0_NS1_11comp_targetILNS1_3genE4ELNS1_11target_archE910ELNS1_3gpuE8ELNS1_3repE0EEENS1_38merge_mergepath_config_static_selectorELNS0_4arch9wavefront6targetE1EEEvSH_.private_seg_size, 0
	.set _ZN7rocprim17ROCPRIM_400000_NS6detail17trampoline_kernelINS0_14default_configENS1_38merge_sort_block_merge_config_selectorIslEEZZNS1_27merge_sort_block_merge_implIS3_PsN6thrust23THRUST_200600_302600_NS10device_ptrIlEEjNS1_19radix_merge_compareILb0ELb0EsNS0_19identity_decomposerEEEEE10hipError_tT0_T1_T2_jT3_P12ihipStream_tbPNSt15iterator_traitsISG_E10value_typeEPNSM_ISH_E10value_typeEPSI_NS1_7vsmem_tEENKUlT_SG_SH_SI_E_clIS7_S7_SB_PlEESF_SV_SG_SH_SI_EUlSV_E0_NS1_11comp_targetILNS1_3genE4ELNS1_11target_archE910ELNS1_3gpuE8ELNS1_3repE0EEENS1_38merge_mergepath_config_static_selectorELNS0_4arch9wavefront6targetE1EEEvSH_.uses_vcc, 0
	.set _ZN7rocprim17ROCPRIM_400000_NS6detail17trampoline_kernelINS0_14default_configENS1_38merge_sort_block_merge_config_selectorIslEEZZNS1_27merge_sort_block_merge_implIS3_PsN6thrust23THRUST_200600_302600_NS10device_ptrIlEEjNS1_19radix_merge_compareILb0ELb0EsNS0_19identity_decomposerEEEEE10hipError_tT0_T1_T2_jT3_P12ihipStream_tbPNSt15iterator_traitsISG_E10value_typeEPNSM_ISH_E10value_typeEPSI_NS1_7vsmem_tEENKUlT_SG_SH_SI_E_clIS7_S7_SB_PlEESF_SV_SG_SH_SI_EUlSV_E0_NS1_11comp_targetILNS1_3genE4ELNS1_11target_archE910ELNS1_3gpuE8ELNS1_3repE0EEENS1_38merge_mergepath_config_static_selectorELNS0_4arch9wavefront6targetE1EEEvSH_.uses_flat_scratch, 0
	.set _ZN7rocprim17ROCPRIM_400000_NS6detail17trampoline_kernelINS0_14default_configENS1_38merge_sort_block_merge_config_selectorIslEEZZNS1_27merge_sort_block_merge_implIS3_PsN6thrust23THRUST_200600_302600_NS10device_ptrIlEEjNS1_19radix_merge_compareILb0ELb0EsNS0_19identity_decomposerEEEEE10hipError_tT0_T1_T2_jT3_P12ihipStream_tbPNSt15iterator_traitsISG_E10value_typeEPNSM_ISH_E10value_typeEPSI_NS1_7vsmem_tEENKUlT_SG_SH_SI_E_clIS7_S7_SB_PlEESF_SV_SG_SH_SI_EUlSV_E0_NS1_11comp_targetILNS1_3genE4ELNS1_11target_archE910ELNS1_3gpuE8ELNS1_3repE0EEENS1_38merge_mergepath_config_static_selectorELNS0_4arch9wavefront6targetE1EEEvSH_.has_dyn_sized_stack, 0
	.set _ZN7rocprim17ROCPRIM_400000_NS6detail17trampoline_kernelINS0_14default_configENS1_38merge_sort_block_merge_config_selectorIslEEZZNS1_27merge_sort_block_merge_implIS3_PsN6thrust23THRUST_200600_302600_NS10device_ptrIlEEjNS1_19radix_merge_compareILb0ELb0EsNS0_19identity_decomposerEEEEE10hipError_tT0_T1_T2_jT3_P12ihipStream_tbPNSt15iterator_traitsISG_E10value_typeEPNSM_ISH_E10value_typeEPSI_NS1_7vsmem_tEENKUlT_SG_SH_SI_E_clIS7_S7_SB_PlEESF_SV_SG_SH_SI_EUlSV_E0_NS1_11comp_targetILNS1_3genE4ELNS1_11target_archE910ELNS1_3gpuE8ELNS1_3repE0EEENS1_38merge_mergepath_config_static_selectorELNS0_4arch9wavefront6targetE1EEEvSH_.has_recursion, 0
	.set _ZN7rocprim17ROCPRIM_400000_NS6detail17trampoline_kernelINS0_14default_configENS1_38merge_sort_block_merge_config_selectorIslEEZZNS1_27merge_sort_block_merge_implIS3_PsN6thrust23THRUST_200600_302600_NS10device_ptrIlEEjNS1_19radix_merge_compareILb0ELb0EsNS0_19identity_decomposerEEEEE10hipError_tT0_T1_T2_jT3_P12ihipStream_tbPNSt15iterator_traitsISG_E10value_typeEPNSM_ISH_E10value_typeEPSI_NS1_7vsmem_tEENKUlT_SG_SH_SI_E_clIS7_S7_SB_PlEESF_SV_SG_SH_SI_EUlSV_E0_NS1_11comp_targetILNS1_3genE4ELNS1_11target_archE910ELNS1_3gpuE8ELNS1_3repE0EEENS1_38merge_mergepath_config_static_selectorELNS0_4arch9wavefront6targetE1EEEvSH_.has_indirect_call, 0
	.section	.AMDGPU.csdata,"",@progbits
; Kernel info:
; codeLenInByte = 0
; TotalNumSgprs: 4
; NumVgprs: 0
; ScratchSize: 0
; MemoryBound: 0
; FloatMode: 240
; IeeeMode: 1
; LDSByteSize: 0 bytes/workgroup (compile time only)
; SGPRBlocks: 0
; VGPRBlocks: 0
; NumSGPRsForWavesPerEU: 4
; NumVGPRsForWavesPerEU: 1
; Occupancy: 10
; WaveLimiterHint : 0
; COMPUTE_PGM_RSRC2:SCRATCH_EN: 0
; COMPUTE_PGM_RSRC2:USER_SGPR: 6
; COMPUTE_PGM_RSRC2:TRAP_HANDLER: 0
; COMPUTE_PGM_RSRC2:TGID_X_EN: 1
; COMPUTE_PGM_RSRC2:TGID_Y_EN: 0
; COMPUTE_PGM_RSRC2:TGID_Z_EN: 0
; COMPUTE_PGM_RSRC2:TIDIG_COMP_CNT: 0
	.section	.text._ZN7rocprim17ROCPRIM_400000_NS6detail17trampoline_kernelINS0_14default_configENS1_38merge_sort_block_merge_config_selectorIslEEZZNS1_27merge_sort_block_merge_implIS3_PsN6thrust23THRUST_200600_302600_NS10device_ptrIlEEjNS1_19radix_merge_compareILb0ELb0EsNS0_19identity_decomposerEEEEE10hipError_tT0_T1_T2_jT3_P12ihipStream_tbPNSt15iterator_traitsISG_E10value_typeEPNSM_ISH_E10value_typeEPSI_NS1_7vsmem_tEENKUlT_SG_SH_SI_E_clIS7_S7_SB_PlEESF_SV_SG_SH_SI_EUlSV_E0_NS1_11comp_targetILNS1_3genE3ELNS1_11target_archE908ELNS1_3gpuE7ELNS1_3repE0EEENS1_38merge_mergepath_config_static_selectorELNS0_4arch9wavefront6targetE1EEEvSH_,"axG",@progbits,_ZN7rocprim17ROCPRIM_400000_NS6detail17trampoline_kernelINS0_14default_configENS1_38merge_sort_block_merge_config_selectorIslEEZZNS1_27merge_sort_block_merge_implIS3_PsN6thrust23THRUST_200600_302600_NS10device_ptrIlEEjNS1_19radix_merge_compareILb0ELb0EsNS0_19identity_decomposerEEEEE10hipError_tT0_T1_T2_jT3_P12ihipStream_tbPNSt15iterator_traitsISG_E10value_typeEPNSM_ISH_E10value_typeEPSI_NS1_7vsmem_tEENKUlT_SG_SH_SI_E_clIS7_S7_SB_PlEESF_SV_SG_SH_SI_EUlSV_E0_NS1_11comp_targetILNS1_3genE3ELNS1_11target_archE908ELNS1_3gpuE7ELNS1_3repE0EEENS1_38merge_mergepath_config_static_selectorELNS0_4arch9wavefront6targetE1EEEvSH_,comdat
	.protected	_ZN7rocprim17ROCPRIM_400000_NS6detail17trampoline_kernelINS0_14default_configENS1_38merge_sort_block_merge_config_selectorIslEEZZNS1_27merge_sort_block_merge_implIS3_PsN6thrust23THRUST_200600_302600_NS10device_ptrIlEEjNS1_19radix_merge_compareILb0ELb0EsNS0_19identity_decomposerEEEEE10hipError_tT0_T1_T2_jT3_P12ihipStream_tbPNSt15iterator_traitsISG_E10value_typeEPNSM_ISH_E10value_typeEPSI_NS1_7vsmem_tEENKUlT_SG_SH_SI_E_clIS7_S7_SB_PlEESF_SV_SG_SH_SI_EUlSV_E0_NS1_11comp_targetILNS1_3genE3ELNS1_11target_archE908ELNS1_3gpuE7ELNS1_3repE0EEENS1_38merge_mergepath_config_static_selectorELNS0_4arch9wavefront6targetE1EEEvSH_ ; -- Begin function _ZN7rocprim17ROCPRIM_400000_NS6detail17trampoline_kernelINS0_14default_configENS1_38merge_sort_block_merge_config_selectorIslEEZZNS1_27merge_sort_block_merge_implIS3_PsN6thrust23THRUST_200600_302600_NS10device_ptrIlEEjNS1_19radix_merge_compareILb0ELb0EsNS0_19identity_decomposerEEEEE10hipError_tT0_T1_T2_jT3_P12ihipStream_tbPNSt15iterator_traitsISG_E10value_typeEPNSM_ISH_E10value_typeEPSI_NS1_7vsmem_tEENKUlT_SG_SH_SI_E_clIS7_S7_SB_PlEESF_SV_SG_SH_SI_EUlSV_E0_NS1_11comp_targetILNS1_3genE3ELNS1_11target_archE908ELNS1_3gpuE7ELNS1_3repE0EEENS1_38merge_mergepath_config_static_selectorELNS0_4arch9wavefront6targetE1EEEvSH_
	.globl	_ZN7rocprim17ROCPRIM_400000_NS6detail17trampoline_kernelINS0_14default_configENS1_38merge_sort_block_merge_config_selectorIslEEZZNS1_27merge_sort_block_merge_implIS3_PsN6thrust23THRUST_200600_302600_NS10device_ptrIlEEjNS1_19radix_merge_compareILb0ELb0EsNS0_19identity_decomposerEEEEE10hipError_tT0_T1_T2_jT3_P12ihipStream_tbPNSt15iterator_traitsISG_E10value_typeEPNSM_ISH_E10value_typeEPSI_NS1_7vsmem_tEENKUlT_SG_SH_SI_E_clIS7_S7_SB_PlEESF_SV_SG_SH_SI_EUlSV_E0_NS1_11comp_targetILNS1_3genE3ELNS1_11target_archE908ELNS1_3gpuE7ELNS1_3repE0EEENS1_38merge_mergepath_config_static_selectorELNS0_4arch9wavefront6targetE1EEEvSH_
	.p2align	8
	.type	_ZN7rocprim17ROCPRIM_400000_NS6detail17trampoline_kernelINS0_14default_configENS1_38merge_sort_block_merge_config_selectorIslEEZZNS1_27merge_sort_block_merge_implIS3_PsN6thrust23THRUST_200600_302600_NS10device_ptrIlEEjNS1_19radix_merge_compareILb0ELb0EsNS0_19identity_decomposerEEEEE10hipError_tT0_T1_T2_jT3_P12ihipStream_tbPNSt15iterator_traitsISG_E10value_typeEPNSM_ISH_E10value_typeEPSI_NS1_7vsmem_tEENKUlT_SG_SH_SI_E_clIS7_S7_SB_PlEESF_SV_SG_SH_SI_EUlSV_E0_NS1_11comp_targetILNS1_3genE3ELNS1_11target_archE908ELNS1_3gpuE7ELNS1_3repE0EEENS1_38merge_mergepath_config_static_selectorELNS0_4arch9wavefront6targetE1EEEvSH_,@function
_ZN7rocprim17ROCPRIM_400000_NS6detail17trampoline_kernelINS0_14default_configENS1_38merge_sort_block_merge_config_selectorIslEEZZNS1_27merge_sort_block_merge_implIS3_PsN6thrust23THRUST_200600_302600_NS10device_ptrIlEEjNS1_19radix_merge_compareILb0ELb0EsNS0_19identity_decomposerEEEEE10hipError_tT0_T1_T2_jT3_P12ihipStream_tbPNSt15iterator_traitsISG_E10value_typeEPNSM_ISH_E10value_typeEPSI_NS1_7vsmem_tEENKUlT_SG_SH_SI_E_clIS7_S7_SB_PlEESF_SV_SG_SH_SI_EUlSV_E0_NS1_11comp_targetILNS1_3genE3ELNS1_11target_archE908ELNS1_3gpuE7ELNS1_3repE0EEENS1_38merge_mergepath_config_static_selectorELNS0_4arch9wavefront6targetE1EEEvSH_: ; @_ZN7rocprim17ROCPRIM_400000_NS6detail17trampoline_kernelINS0_14default_configENS1_38merge_sort_block_merge_config_selectorIslEEZZNS1_27merge_sort_block_merge_implIS3_PsN6thrust23THRUST_200600_302600_NS10device_ptrIlEEjNS1_19radix_merge_compareILb0ELb0EsNS0_19identity_decomposerEEEEE10hipError_tT0_T1_T2_jT3_P12ihipStream_tbPNSt15iterator_traitsISG_E10value_typeEPNSM_ISH_E10value_typeEPSI_NS1_7vsmem_tEENKUlT_SG_SH_SI_E_clIS7_S7_SB_PlEESF_SV_SG_SH_SI_EUlSV_E0_NS1_11comp_targetILNS1_3genE3ELNS1_11target_archE908ELNS1_3gpuE7ELNS1_3repE0EEENS1_38merge_mergepath_config_static_selectorELNS0_4arch9wavefront6targetE1EEEvSH_
; %bb.0:
	.section	.rodata,"a",@progbits
	.p2align	6, 0x0
	.amdhsa_kernel _ZN7rocprim17ROCPRIM_400000_NS6detail17trampoline_kernelINS0_14default_configENS1_38merge_sort_block_merge_config_selectorIslEEZZNS1_27merge_sort_block_merge_implIS3_PsN6thrust23THRUST_200600_302600_NS10device_ptrIlEEjNS1_19radix_merge_compareILb0ELb0EsNS0_19identity_decomposerEEEEE10hipError_tT0_T1_T2_jT3_P12ihipStream_tbPNSt15iterator_traitsISG_E10value_typeEPNSM_ISH_E10value_typeEPSI_NS1_7vsmem_tEENKUlT_SG_SH_SI_E_clIS7_S7_SB_PlEESF_SV_SG_SH_SI_EUlSV_E0_NS1_11comp_targetILNS1_3genE3ELNS1_11target_archE908ELNS1_3gpuE7ELNS1_3repE0EEENS1_38merge_mergepath_config_static_selectorELNS0_4arch9wavefront6targetE1EEEvSH_
		.amdhsa_group_segment_fixed_size 0
		.amdhsa_private_segment_fixed_size 0
		.amdhsa_kernarg_size 64
		.amdhsa_user_sgpr_count 6
		.amdhsa_user_sgpr_private_segment_buffer 1
		.amdhsa_user_sgpr_dispatch_ptr 0
		.amdhsa_user_sgpr_queue_ptr 0
		.amdhsa_user_sgpr_kernarg_segment_ptr 1
		.amdhsa_user_sgpr_dispatch_id 0
		.amdhsa_user_sgpr_flat_scratch_init 0
		.amdhsa_user_sgpr_private_segment_size 0
		.amdhsa_uses_dynamic_stack 0
		.amdhsa_system_sgpr_private_segment_wavefront_offset 0
		.amdhsa_system_sgpr_workgroup_id_x 1
		.amdhsa_system_sgpr_workgroup_id_y 0
		.amdhsa_system_sgpr_workgroup_id_z 0
		.amdhsa_system_sgpr_workgroup_info 0
		.amdhsa_system_vgpr_workitem_id 0
		.amdhsa_next_free_vgpr 1
		.amdhsa_next_free_sgpr 0
		.amdhsa_reserve_vcc 0
		.amdhsa_reserve_flat_scratch 0
		.amdhsa_float_round_mode_32 0
		.amdhsa_float_round_mode_16_64 0
		.amdhsa_float_denorm_mode_32 3
		.amdhsa_float_denorm_mode_16_64 3
		.amdhsa_dx10_clamp 1
		.amdhsa_ieee_mode 1
		.amdhsa_fp16_overflow 0
		.amdhsa_exception_fp_ieee_invalid_op 0
		.amdhsa_exception_fp_denorm_src 0
		.amdhsa_exception_fp_ieee_div_zero 0
		.amdhsa_exception_fp_ieee_overflow 0
		.amdhsa_exception_fp_ieee_underflow 0
		.amdhsa_exception_fp_ieee_inexact 0
		.amdhsa_exception_int_div_zero 0
	.end_amdhsa_kernel
	.section	.text._ZN7rocprim17ROCPRIM_400000_NS6detail17trampoline_kernelINS0_14default_configENS1_38merge_sort_block_merge_config_selectorIslEEZZNS1_27merge_sort_block_merge_implIS3_PsN6thrust23THRUST_200600_302600_NS10device_ptrIlEEjNS1_19radix_merge_compareILb0ELb0EsNS0_19identity_decomposerEEEEE10hipError_tT0_T1_T2_jT3_P12ihipStream_tbPNSt15iterator_traitsISG_E10value_typeEPNSM_ISH_E10value_typeEPSI_NS1_7vsmem_tEENKUlT_SG_SH_SI_E_clIS7_S7_SB_PlEESF_SV_SG_SH_SI_EUlSV_E0_NS1_11comp_targetILNS1_3genE3ELNS1_11target_archE908ELNS1_3gpuE7ELNS1_3repE0EEENS1_38merge_mergepath_config_static_selectorELNS0_4arch9wavefront6targetE1EEEvSH_,"axG",@progbits,_ZN7rocprim17ROCPRIM_400000_NS6detail17trampoline_kernelINS0_14default_configENS1_38merge_sort_block_merge_config_selectorIslEEZZNS1_27merge_sort_block_merge_implIS3_PsN6thrust23THRUST_200600_302600_NS10device_ptrIlEEjNS1_19radix_merge_compareILb0ELb0EsNS0_19identity_decomposerEEEEE10hipError_tT0_T1_T2_jT3_P12ihipStream_tbPNSt15iterator_traitsISG_E10value_typeEPNSM_ISH_E10value_typeEPSI_NS1_7vsmem_tEENKUlT_SG_SH_SI_E_clIS7_S7_SB_PlEESF_SV_SG_SH_SI_EUlSV_E0_NS1_11comp_targetILNS1_3genE3ELNS1_11target_archE908ELNS1_3gpuE7ELNS1_3repE0EEENS1_38merge_mergepath_config_static_selectorELNS0_4arch9wavefront6targetE1EEEvSH_,comdat
.Lfunc_end1312:
	.size	_ZN7rocprim17ROCPRIM_400000_NS6detail17trampoline_kernelINS0_14default_configENS1_38merge_sort_block_merge_config_selectorIslEEZZNS1_27merge_sort_block_merge_implIS3_PsN6thrust23THRUST_200600_302600_NS10device_ptrIlEEjNS1_19radix_merge_compareILb0ELb0EsNS0_19identity_decomposerEEEEE10hipError_tT0_T1_T2_jT3_P12ihipStream_tbPNSt15iterator_traitsISG_E10value_typeEPNSM_ISH_E10value_typeEPSI_NS1_7vsmem_tEENKUlT_SG_SH_SI_E_clIS7_S7_SB_PlEESF_SV_SG_SH_SI_EUlSV_E0_NS1_11comp_targetILNS1_3genE3ELNS1_11target_archE908ELNS1_3gpuE7ELNS1_3repE0EEENS1_38merge_mergepath_config_static_selectorELNS0_4arch9wavefront6targetE1EEEvSH_, .Lfunc_end1312-_ZN7rocprim17ROCPRIM_400000_NS6detail17trampoline_kernelINS0_14default_configENS1_38merge_sort_block_merge_config_selectorIslEEZZNS1_27merge_sort_block_merge_implIS3_PsN6thrust23THRUST_200600_302600_NS10device_ptrIlEEjNS1_19radix_merge_compareILb0ELb0EsNS0_19identity_decomposerEEEEE10hipError_tT0_T1_T2_jT3_P12ihipStream_tbPNSt15iterator_traitsISG_E10value_typeEPNSM_ISH_E10value_typeEPSI_NS1_7vsmem_tEENKUlT_SG_SH_SI_E_clIS7_S7_SB_PlEESF_SV_SG_SH_SI_EUlSV_E0_NS1_11comp_targetILNS1_3genE3ELNS1_11target_archE908ELNS1_3gpuE7ELNS1_3repE0EEENS1_38merge_mergepath_config_static_selectorELNS0_4arch9wavefront6targetE1EEEvSH_
                                        ; -- End function
	.set _ZN7rocprim17ROCPRIM_400000_NS6detail17trampoline_kernelINS0_14default_configENS1_38merge_sort_block_merge_config_selectorIslEEZZNS1_27merge_sort_block_merge_implIS3_PsN6thrust23THRUST_200600_302600_NS10device_ptrIlEEjNS1_19radix_merge_compareILb0ELb0EsNS0_19identity_decomposerEEEEE10hipError_tT0_T1_T2_jT3_P12ihipStream_tbPNSt15iterator_traitsISG_E10value_typeEPNSM_ISH_E10value_typeEPSI_NS1_7vsmem_tEENKUlT_SG_SH_SI_E_clIS7_S7_SB_PlEESF_SV_SG_SH_SI_EUlSV_E0_NS1_11comp_targetILNS1_3genE3ELNS1_11target_archE908ELNS1_3gpuE7ELNS1_3repE0EEENS1_38merge_mergepath_config_static_selectorELNS0_4arch9wavefront6targetE1EEEvSH_.num_vgpr, 0
	.set _ZN7rocprim17ROCPRIM_400000_NS6detail17trampoline_kernelINS0_14default_configENS1_38merge_sort_block_merge_config_selectorIslEEZZNS1_27merge_sort_block_merge_implIS3_PsN6thrust23THRUST_200600_302600_NS10device_ptrIlEEjNS1_19radix_merge_compareILb0ELb0EsNS0_19identity_decomposerEEEEE10hipError_tT0_T1_T2_jT3_P12ihipStream_tbPNSt15iterator_traitsISG_E10value_typeEPNSM_ISH_E10value_typeEPSI_NS1_7vsmem_tEENKUlT_SG_SH_SI_E_clIS7_S7_SB_PlEESF_SV_SG_SH_SI_EUlSV_E0_NS1_11comp_targetILNS1_3genE3ELNS1_11target_archE908ELNS1_3gpuE7ELNS1_3repE0EEENS1_38merge_mergepath_config_static_selectorELNS0_4arch9wavefront6targetE1EEEvSH_.num_agpr, 0
	.set _ZN7rocprim17ROCPRIM_400000_NS6detail17trampoline_kernelINS0_14default_configENS1_38merge_sort_block_merge_config_selectorIslEEZZNS1_27merge_sort_block_merge_implIS3_PsN6thrust23THRUST_200600_302600_NS10device_ptrIlEEjNS1_19radix_merge_compareILb0ELb0EsNS0_19identity_decomposerEEEEE10hipError_tT0_T1_T2_jT3_P12ihipStream_tbPNSt15iterator_traitsISG_E10value_typeEPNSM_ISH_E10value_typeEPSI_NS1_7vsmem_tEENKUlT_SG_SH_SI_E_clIS7_S7_SB_PlEESF_SV_SG_SH_SI_EUlSV_E0_NS1_11comp_targetILNS1_3genE3ELNS1_11target_archE908ELNS1_3gpuE7ELNS1_3repE0EEENS1_38merge_mergepath_config_static_selectorELNS0_4arch9wavefront6targetE1EEEvSH_.numbered_sgpr, 0
	.set _ZN7rocprim17ROCPRIM_400000_NS6detail17trampoline_kernelINS0_14default_configENS1_38merge_sort_block_merge_config_selectorIslEEZZNS1_27merge_sort_block_merge_implIS3_PsN6thrust23THRUST_200600_302600_NS10device_ptrIlEEjNS1_19radix_merge_compareILb0ELb0EsNS0_19identity_decomposerEEEEE10hipError_tT0_T1_T2_jT3_P12ihipStream_tbPNSt15iterator_traitsISG_E10value_typeEPNSM_ISH_E10value_typeEPSI_NS1_7vsmem_tEENKUlT_SG_SH_SI_E_clIS7_S7_SB_PlEESF_SV_SG_SH_SI_EUlSV_E0_NS1_11comp_targetILNS1_3genE3ELNS1_11target_archE908ELNS1_3gpuE7ELNS1_3repE0EEENS1_38merge_mergepath_config_static_selectorELNS0_4arch9wavefront6targetE1EEEvSH_.num_named_barrier, 0
	.set _ZN7rocprim17ROCPRIM_400000_NS6detail17trampoline_kernelINS0_14default_configENS1_38merge_sort_block_merge_config_selectorIslEEZZNS1_27merge_sort_block_merge_implIS3_PsN6thrust23THRUST_200600_302600_NS10device_ptrIlEEjNS1_19radix_merge_compareILb0ELb0EsNS0_19identity_decomposerEEEEE10hipError_tT0_T1_T2_jT3_P12ihipStream_tbPNSt15iterator_traitsISG_E10value_typeEPNSM_ISH_E10value_typeEPSI_NS1_7vsmem_tEENKUlT_SG_SH_SI_E_clIS7_S7_SB_PlEESF_SV_SG_SH_SI_EUlSV_E0_NS1_11comp_targetILNS1_3genE3ELNS1_11target_archE908ELNS1_3gpuE7ELNS1_3repE0EEENS1_38merge_mergepath_config_static_selectorELNS0_4arch9wavefront6targetE1EEEvSH_.private_seg_size, 0
	.set _ZN7rocprim17ROCPRIM_400000_NS6detail17trampoline_kernelINS0_14default_configENS1_38merge_sort_block_merge_config_selectorIslEEZZNS1_27merge_sort_block_merge_implIS3_PsN6thrust23THRUST_200600_302600_NS10device_ptrIlEEjNS1_19radix_merge_compareILb0ELb0EsNS0_19identity_decomposerEEEEE10hipError_tT0_T1_T2_jT3_P12ihipStream_tbPNSt15iterator_traitsISG_E10value_typeEPNSM_ISH_E10value_typeEPSI_NS1_7vsmem_tEENKUlT_SG_SH_SI_E_clIS7_S7_SB_PlEESF_SV_SG_SH_SI_EUlSV_E0_NS1_11comp_targetILNS1_3genE3ELNS1_11target_archE908ELNS1_3gpuE7ELNS1_3repE0EEENS1_38merge_mergepath_config_static_selectorELNS0_4arch9wavefront6targetE1EEEvSH_.uses_vcc, 0
	.set _ZN7rocprim17ROCPRIM_400000_NS6detail17trampoline_kernelINS0_14default_configENS1_38merge_sort_block_merge_config_selectorIslEEZZNS1_27merge_sort_block_merge_implIS3_PsN6thrust23THRUST_200600_302600_NS10device_ptrIlEEjNS1_19radix_merge_compareILb0ELb0EsNS0_19identity_decomposerEEEEE10hipError_tT0_T1_T2_jT3_P12ihipStream_tbPNSt15iterator_traitsISG_E10value_typeEPNSM_ISH_E10value_typeEPSI_NS1_7vsmem_tEENKUlT_SG_SH_SI_E_clIS7_S7_SB_PlEESF_SV_SG_SH_SI_EUlSV_E0_NS1_11comp_targetILNS1_3genE3ELNS1_11target_archE908ELNS1_3gpuE7ELNS1_3repE0EEENS1_38merge_mergepath_config_static_selectorELNS0_4arch9wavefront6targetE1EEEvSH_.uses_flat_scratch, 0
	.set _ZN7rocprim17ROCPRIM_400000_NS6detail17trampoline_kernelINS0_14default_configENS1_38merge_sort_block_merge_config_selectorIslEEZZNS1_27merge_sort_block_merge_implIS3_PsN6thrust23THRUST_200600_302600_NS10device_ptrIlEEjNS1_19radix_merge_compareILb0ELb0EsNS0_19identity_decomposerEEEEE10hipError_tT0_T1_T2_jT3_P12ihipStream_tbPNSt15iterator_traitsISG_E10value_typeEPNSM_ISH_E10value_typeEPSI_NS1_7vsmem_tEENKUlT_SG_SH_SI_E_clIS7_S7_SB_PlEESF_SV_SG_SH_SI_EUlSV_E0_NS1_11comp_targetILNS1_3genE3ELNS1_11target_archE908ELNS1_3gpuE7ELNS1_3repE0EEENS1_38merge_mergepath_config_static_selectorELNS0_4arch9wavefront6targetE1EEEvSH_.has_dyn_sized_stack, 0
	.set _ZN7rocprim17ROCPRIM_400000_NS6detail17trampoline_kernelINS0_14default_configENS1_38merge_sort_block_merge_config_selectorIslEEZZNS1_27merge_sort_block_merge_implIS3_PsN6thrust23THRUST_200600_302600_NS10device_ptrIlEEjNS1_19radix_merge_compareILb0ELb0EsNS0_19identity_decomposerEEEEE10hipError_tT0_T1_T2_jT3_P12ihipStream_tbPNSt15iterator_traitsISG_E10value_typeEPNSM_ISH_E10value_typeEPSI_NS1_7vsmem_tEENKUlT_SG_SH_SI_E_clIS7_S7_SB_PlEESF_SV_SG_SH_SI_EUlSV_E0_NS1_11comp_targetILNS1_3genE3ELNS1_11target_archE908ELNS1_3gpuE7ELNS1_3repE0EEENS1_38merge_mergepath_config_static_selectorELNS0_4arch9wavefront6targetE1EEEvSH_.has_recursion, 0
	.set _ZN7rocprim17ROCPRIM_400000_NS6detail17trampoline_kernelINS0_14default_configENS1_38merge_sort_block_merge_config_selectorIslEEZZNS1_27merge_sort_block_merge_implIS3_PsN6thrust23THRUST_200600_302600_NS10device_ptrIlEEjNS1_19radix_merge_compareILb0ELb0EsNS0_19identity_decomposerEEEEE10hipError_tT0_T1_T2_jT3_P12ihipStream_tbPNSt15iterator_traitsISG_E10value_typeEPNSM_ISH_E10value_typeEPSI_NS1_7vsmem_tEENKUlT_SG_SH_SI_E_clIS7_S7_SB_PlEESF_SV_SG_SH_SI_EUlSV_E0_NS1_11comp_targetILNS1_3genE3ELNS1_11target_archE908ELNS1_3gpuE7ELNS1_3repE0EEENS1_38merge_mergepath_config_static_selectorELNS0_4arch9wavefront6targetE1EEEvSH_.has_indirect_call, 0
	.section	.AMDGPU.csdata,"",@progbits
; Kernel info:
; codeLenInByte = 0
; TotalNumSgprs: 4
; NumVgprs: 0
; ScratchSize: 0
; MemoryBound: 0
; FloatMode: 240
; IeeeMode: 1
; LDSByteSize: 0 bytes/workgroup (compile time only)
; SGPRBlocks: 0
; VGPRBlocks: 0
; NumSGPRsForWavesPerEU: 4
; NumVGPRsForWavesPerEU: 1
; Occupancy: 10
; WaveLimiterHint : 0
; COMPUTE_PGM_RSRC2:SCRATCH_EN: 0
; COMPUTE_PGM_RSRC2:USER_SGPR: 6
; COMPUTE_PGM_RSRC2:TRAP_HANDLER: 0
; COMPUTE_PGM_RSRC2:TGID_X_EN: 1
; COMPUTE_PGM_RSRC2:TGID_Y_EN: 0
; COMPUTE_PGM_RSRC2:TGID_Z_EN: 0
; COMPUTE_PGM_RSRC2:TIDIG_COMP_CNT: 0
	.section	.text._ZN7rocprim17ROCPRIM_400000_NS6detail17trampoline_kernelINS0_14default_configENS1_38merge_sort_block_merge_config_selectorIslEEZZNS1_27merge_sort_block_merge_implIS3_PsN6thrust23THRUST_200600_302600_NS10device_ptrIlEEjNS1_19radix_merge_compareILb0ELb0EsNS0_19identity_decomposerEEEEE10hipError_tT0_T1_T2_jT3_P12ihipStream_tbPNSt15iterator_traitsISG_E10value_typeEPNSM_ISH_E10value_typeEPSI_NS1_7vsmem_tEENKUlT_SG_SH_SI_E_clIS7_S7_SB_PlEESF_SV_SG_SH_SI_EUlSV_E0_NS1_11comp_targetILNS1_3genE2ELNS1_11target_archE906ELNS1_3gpuE6ELNS1_3repE0EEENS1_38merge_mergepath_config_static_selectorELNS0_4arch9wavefront6targetE1EEEvSH_,"axG",@progbits,_ZN7rocprim17ROCPRIM_400000_NS6detail17trampoline_kernelINS0_14default_configENS1_38merge_sort_block_merge_config_selectorIslEEZZNS1_27merge_sort_block_merge_implIS3_PsN6thrust23THRUST_200600_302600_NS10device_ptrIlEEjNS1_19radix_merge_compareILb0ELb0EsNS0_19identity_decomposerEEEEE10hipError_tT0_T1_T2_jT3_P12ihipStream_tbPNSt15iterator_traitsISG_E10value_typeEPNSM_ISH_E10value_typeEPSI_NS1_7vsmem_tEENKUlT_SG_SH_SI_E_clIS7_S7_SB_PlEESF_SV_SG_SH_SI_EUlSV_E0_NS1_11comp_targetILNS1_3genE2ELNS1_11target_archE906ELNS1_3gpuE6ELNS1_3repE0EEENS1_38merge_mergepath_config_static_selectorELNS0_4arch9wavefront6targetE1EEEvSH_,comdat
	.protected	_ZN7rocprim17ROCPRIM_400000_NS6detail17trampoline_kernelINS0_14default_configENS1_38merge_sort_block_merge_config_selectorIslEEZZNS1_27merge_sort_block_merge_implIS3_PsN6thrust23THRUST_200600_302600_NS10device_ptrIlEEjNS1_19radix_merge_compareILb0ELb0EsNS0_19identity_decomposerEEEEE10hipError_tT0_T1_T2_jT3_P12ihipStream_tbPNSt15iterator_traitsISG_E10value_typeEPNSM_ISH_E10value_typeEPSI_NS1_7vsmem_tEENKUlT_SG_SH_SI_E_clIS7_S7_SB_PlEESF_SV_SG_SH_SI_EUlSV_E0_NS1_11comp_targetILNS1_3genE2ELNS1_11target_archE906ELNS1_3gpuE6ELNS1_3repE0EEENS1_38merge_mergepath_config_static_selectorELNS0_4arch9wavefront6targetE1EEEvSH_ ; -- Begin function _ZN7rocprim17ROCPRIM_400000_NS6detail17trampoline_kernelINS0_14default_configENS1_38merge_sort_block_merge_config_selectorIslEEZZNS1_27merge_sort_block_merge_implIS3_PsN6thrust23THRUST_200600_302600_NS10device_ptrIlEEjNS1_19radix_merge_compareILb0ELb0EsNS0_19identity_decomposerEEEEE10hipError_tT0_T1_T2_jT3_P12ihipStream_tbPNSt15iterator_traitsISG_E10value_typeEPNSM_ISH_E10value_typeEPSI_NS1_7vsmem_tEENKUlT_SG_SH_SI_E_clIS7_S7_SB_PlEESF_SV_SG_SH_SI_EUlSV_E0_NS1_11comp_targetILNS1_3genE2ELNS1_11target_archE906ELNS1_3gpuE6ELNS1_3repE0EEENS1_38merge_mergepath_config_static_selectorELNS0_4arch9wavefront6targetE1EEEvSH_
	.globl	_ZN7rocprim17ROCPRIM_400000_NS6detail17trampoline_kernelINS0_14default_configENS1_38merge_sort_block_merge_config_selectorIslEEZZNS1_27merge_sort_block_merge_implIS3_PsN6thrust23THRUST_200600_302600_NS10device_ptrIlEEjNS1_19radix_merge_compareILb0ELb0EsNS0_19identity_decomposerEEEEE10hipError_tT0_T1_T2_jT3_P12ihipStream_tbPNSt15iterator_traitsISG_E10value_typeEPNSM_ISH_E10value_typeEPSI_NS1_7vsmem_tEENKUlT_SG_SH_SI_E_clIS7_S7_SB_PlEESF_SV_SG_SH_SI_EUlSV_E0_NS1_11comp_targetILNS1_3genE2ELNS1_11target_archE906ELNS1_3gpuE6ELNS1_3repE0EEENS1_38merge_mergepath_config_static_selectorELNS0_4arch9wavefront6targetE1EEEvSH_
	.p2align	8
	.type	_ZN7rocprim17ROCPRIM_400000_NS6detail17trampoline_kernelINS0_14default_configENS1_38merge_sort_block_merge_config_selectorIslEEZZNS1_27merge_sort_block_merge_implIS3_PsN6thrust23THRUST_200600_302600_NS10device_ptrIlEEjNS1_19radix_merge_compareILb0ELb0EsNS0_19identity_decomposerEEEEE10hipError_tT0_T1_T2_jT3_P12ihipStream_tbPNSt15iterator_traitsISG_E10value_typeEPNSM_ISH_E10value_typeEPSI_NS1_7vsmem_tEENKUlT_SG_SH_SI_E_clIS7_S7_SB_PlEESF_SV_SG_SH_SI_EUlSV_E0_NS1_11comp_targetILNS1_3genE2ELNS1_11target_archE906ELNS1_3gpuE6ELNS1_3repE0EEENS1_38merge_mergepath_config_static_selectorELNS0_4arch9wavefront6targetE1EEEvSH_,@function
_ZN7rocprim17ROCPRIM_400000_NS6detail17trampoline_kernelINS0_14default_configENS1_38merge_sort_block_merge_config_selectorIslEEZZNS1_27merge_sort_block_merge_implIS3_PsN6thrust23THRUST_200600_302600_NS10device_ptrIlEEjNS1_19radix_merge_compareILb0ELb0EsNS0_19identity_decomposerEEEEE10hipError_tT0_T1_T2_jT3_P12ihipStream_tbPNSt15iterator_traitsISG_E10value_typeEPNSM_ISH_E10value_typeEPSI_NS1_7vsmem_tEENKUlT_SG_SH_SI_E_clIS7_S7_SB_PlEESF_SV_SG_SH_SI_EUlSV_E0_NS1_11comp_targetILNS1_3genE2ELNS1_11target_archE906ELNS1_3gpuE6ELNS1_3repE0EEENS1_38merge_mergepath_config_static_selectorELNS0_4arch9wavefront6targetE1EEEvSH_: ; @_ZN7rocprim17ROCPRIM_400000_NS6detail17trampoline_kernelINS0_14default_configENS1_38merge_sort_block_merge_config_selectorIslEEZZNS1_27merge_sort_block_merge_implIS3_PsN6thrust23THRUST_200600_302600_NS10device_ptrIlEEjNS1_19radix_merge_compareILb0ELb0EsNS0_19identity_decomposerEEEEE10hipError_tT0_T1_T2_jT3_P12ihipStream_tbPNSt15iterator_traitsISG_E10value_typeEPNSM_ISH_E10value_typeEPSI_NS1_7vsmem_tEENKUlT_SG_SH_SI_E_clIS7_S7_SB_PlEESF_SV_SG_SH_SI_EUlSV_E0_NS1_11comp_targetILNS1_3genE2ELNS1_11target_archE906ELNS1_3gpuE6ELNS1_3repE0EEENS1_38merge_mergepath_config_static_selectorELNS0_4arch9wavefront6targetE1EEEvSH_
; %bb.0:
	s_load_dwordx2 s[22:23], s[4:5], 0x40
	s_load_dword s1, s[4:5], 0x30
	s_add_u32 s20, s4, 64
	s_addc_u32 s21, s5, 0
	s_waitcnt lgkmcnt(0)
	s_mul_i32 s0, s23, s8
	s_add_i32 s0, s0, s7
	s_mul_i32 s0, s0, s22
	s_add_i32 s0, s0, s6
	s_cmp_ge_u32 s0, s1
	s_cbranch_scc1 .LBB1313_46
; %bb.1:
	s_load_dwordx8 s[8:15], s[4:5], 0x10
	s_load_dwordx2 s[26:27], s[4:5], 0x8
	s_load_dwordx2 s[2:3], s[4:5], 0x38
	s_mov_b32 s1, 0
	v_mov_b32_e32 v2, 0
	s_waitcnt lgkmcnt(0)
	s_lshr_b32 s30, s14, 10
	s_cmp_lg_u32 s0, s30
	s_cselect_b64 s[18:19], -1, 0
	s_lshl_b64 s[4:5], s[0:1], 2
	s_add_u32 s4, s2, s4
	s_addc_u32 s5, s3, s5
	s_load_dwordx2 s[2:3], s[4:5], 0x0
	s_lshr_b32 s4, s15, 9
	s_and_b32 s4, s4, 0x7ffffe
	s_sub_i32 s5, 0, s4
	s_and_b32 s4, s0, s5
	s_lshl_b32 s7, s4, 10
	s_lshl_b32 s16, s0, 10
	;; [unrolled: 1-line block ×3, first 2 shown]
	s_sub_i32 s17, s16, s7
	s_add_i32 s23, s4, s15
	s_add_i32 s17, s23, s17
	s_waitcnt lgkmcnt(0)
	s_sub_i32 s4, s17, s2
	s_sub_i32 s17, s17, s3
	s_sub_i32 s7, s23, s7
	s_min_u32 s4, s14, s4
	s_addk_i32 s17, 0x400
	s_or_b32 s5, s0, s5
	s_min_u32 s23, s14, s7
	s_add_i32 s7, s7, s15
	s_cmp_eq_u32 s5, -1
	s_cselect_b32 s3, s23, s3
	s_cselect_b32 s5, s7, s17
	s_sub_i32 s15, s3, s2
	s_mov_b32 s3, s1
	s_min_u32 s17, s5, s14
	s_lshl_b64 s[24:25], s[2:3], 1
	s_add_u32 s24, s26, s24
	s_mov_b32 s5, s1
	s_addc_u32 s25, s27, s25
	s_lshl_b64 s[28:29], s[4:5], 1
	s_add_u32 s23, s26, s28
	global_load_dword v1, v2, s[20:21] offset:14
	s_addc_u32 s26, s27, s29
	s_cmp_lt_u32 s6, s22
	s_cselect_b32 s1, 12, 18
	s_add_u32 s6, s20, s1
	s_addc_u32 s7, s21, 0
	global_load_ushort v3, v2, s[6:7]
	s_cmp_eq_u32 s0, s30
	v_lshlrev_b32_e32 v15, 1, v0
	s_waitcnt vmcnt(1)
	v_lshrrev_b32_e32 v4, 16, v1
	v_and_b32_e32 v1, 0xffff, v1
	v_mul_lo_u32 v1, v1, v4
	s_waitcnt vmcnt(0)
	v_mul_lo_u32 v17, v1, v3
	v_add_u32_e32 v13, v17, v0
	v_add_u32_e32 v11, v13, v17
	s_cbranch_scc1 .LBB1313_3
; %bb.2:
	v_mov_b32_e32 v1, s25
	v_add_co_u32_e32 v5, vcc, s24, v15
	v_addc_co_u32_e32 v6, vcc, 0, v1, vcc
	v_subrev_co_u32_e32 v1, vcc, s15, v0
	v_lshlrev_b64 v[3:4], 1, v[1:2]
	v_mov_b32_e32 v1, s26
	v_add_co_u32_e64 v3, s[0:1], s23, v3
	v_addc_co_u32_e64 v1, s[0:1], v1, v4, s[0:1]
	v_cndmask_b32_e32 v4, v1, v6, vcc
	v_cndmask_b32_e32 v3, v3, v5, vcc
	v_mov_b32_e32 v14, v2
	global_load_ushort v5, v[3:4], off
	v_lshlrev_b64 v[3:4], 1, v[13:14]
	v_mov_b32_e32 v1, s25
	v_add_co_u32_e32 v6, vcc, s24, v3
	v_addc_co_u32_e32 v7, vcc, v1, v4, vcc
	v_subrev_co_u32_e32 v1, vcc, s15, v13
	v_lshlrev_b64 v[3:4], 1, v[1:2]
	v_mov_b32_e32 v1, s26
	v_add_co_u32_e64 v3, s[0:1], s23, v3
	v_addc_co_u32_e64 v1, s[0:1], v1, v4, s[0:1]
	v_cndmask_b32_e32 v4, v1, v7, vcc
	v_cndmask_b32_e32 v3, v3, v6, vcc
	v_mov_b32_e32 v12, v2
	global_load_ushort v6, v[3:4], off
	v_lshlrev_b64 v[3:4], 1, v[11:12]
	v_mov_b32_e32 v1, s25
	v_add_co_u32_e32 v3, vcc, s24, v3
	v_addc_co_u32_e32 v4, vcc, v1, v4, vcc
	v_subrev_co_u32_e32 v1, vcc, s15, v11
	v_lshlrev_b64 v[1:2], 1, v[1:2]
	v_mov_b32_e32 v7, s26
	v_add_co_u32_e64 v1, s[0:1], s23, v1
	v_addc_co_u32_e64 v2, s[0:1], v7, v2, s[0:1]
	v_cndmask_b32_e32 v2, v2, v4, vcc
	v_cndmask_b32_e32 v1, v1, v3, vcc
	global_load_ushort v10, v[1:2], off
	s_mov_b32 s0, 0x5040100
	v_add_u32_e32 v1, v11, v17
	s_waitcnt vmcnt(1)
	v_perm_b32 v9, v6, v5, s0
	s_mov_b64 s[0:1], -1
	s_sub_i32 s17, s17, s4
	s_cbranch_execz .LBB1313_4
	s_branch .LBB1313_9
.LBB1313_3:
	s_mov_b64 s[0:1], 0
                                        ; implicit-def: $vgpr1
                                        ; implicit-def: $vgpr9_vgpr10
	s_sub_i32 s17, s17, s4
.LBB1313_4:
	s_add_i32 s20, s17, s15
	v_mov_b32_e32 v9, 0
	v_cmp_gt_u32_e32 vcc, s20, v0
	s_waitcnt vmcnt(0)
	v_mov_b32_e32 v10, v9
	s_and_saveexec_b64 s[6:7], vcc
	s_cbranch_execnz .LBB1313_47
; %bb.5:
	s_or_b64 exec, exec, s[6:7]
	v_cmp_gt_u32_e32 vcc, s20, v13
	s_and_saveexec_b64 s[6:7], vcc
	s_cbranch_execnz .LBB1313_48
.LBB1313_6:
	s_or_b64 exec, exec, s[6:7]
	v_cmp_gt_u32_e32 vcc, s20, v11
	s_and_saveexec_b64 s[6:7], vcc
	s_cbranch_execz .LBB1313_8
.LBB1313_7:
	v_mov_b32_e32 v12, 0
	v_lshlrev_b64 v[1:2], 1, v[11:12]
	v_mov_b32_e32 v3, s25
	v_add_co_u32_e32 v4, vcc, s24, v1
	v_addc_co_u32_e32 v3, vcc, v3, v2, vcc
	v_subrev_co_u32_e32 v1, vcc, s15, v11
	v_mov_b32_e32 v2, v12
	v_lshlrev_b64 v[1:2], 1, v[1:2]
	v_mov_b32_e32 v5, s26
	v_add_co_u32_e64 v1, s[0:1], s23, v1
	v_addc_co_u32_e64 v2, s[0:1], v5, v2, s[0:1]
	v_cndmask_b32_e32 v2, v2, v3, vcc
	v_cndmask_b32_e32 v1, v1, v4, vcc
	global_load_ushort v1, v[1:2], off
	s_mov_b32 s0, 0xffff
	s_waitcnt vmcnt(0)
	v_bfi_b32 v10, s0, v1, v10
.LBB1313_8:
	s_or_b64 exec, exec, s[6:7]
	v_add_u32_e32 v1, v11, v17
	v_cmp_gt_u32_e64 s[0:1], s20, v1
.LBB1313_9:
	s_and_saveexec_b64 s[6:7], s[0:1]
	s_cbranch_execz .LBB1313_11
; %bb.10:
	v_mov_b32_e32 v2, 0
	v_lshlrev_b64 v[3:4], 1, v[1:2]
	v_mov_b32_e32 v5, s25
	v_add_co_u32_e32 v3, vcc, s24, v3
	v_addc_co_u32_e32 v4, vcc, v5, v4, vcc
	v_subrev_co_u32_e32 v1, vcc, s15, v1
	v_lshlrev_b64 v[1:2], 1, v[1:2]
	v_mov_b32_e32 v5, s26
	v_add_co_u32_e64 v1, s[0:1], s23, v1
	v_addc_co_u32_e64 v2, s[0:1], v5, v2, s[0:1]
	v_cndmask_b32_e32 v2, v2, v4, vcc
	v_cndmask_b32_e32 v1, v1, v3, vcc
	global_load_ushort v1, v[1:2], off
	s_mov_b32 s0, 0x5040100
	s_waitcnt vmcnt(0)
	v_perm_b32 v10, v1, v10, s0
.LBB1313_11:
	s_or_b64 exec, exec, s[6:7]
	s_lshl_b64 s[0:1], s[2:3], 3
	s_add_u32 s6, s10, s0
	s_addc_u32 s7, s11, s1
	s_lshl_b64 s[0:1], s[4:5], 3
	s_add_u32 s4, s10, s0
	v_mov_b32_e32 v7, 0
	v_lshrrev_b32_e32 v18, 16, v9
	s_waitcnt vmcnt(0)
	v_lshrrev_b32_e32 v19, 16, v10
	s_addc_u32 s5, s11, s1
	s_andn2_b64 vcc, exec, s[18:19]
	v_lshlrev_b32_e32 v16, 3, v0
	ds_write_b16 v15, v9
	ds_write_b16 v15, v18 offset:512
	ds_write_b16 v15, v10 offset:1024
	;; [unrolled: 1-line block ×3, first 2 shown]
	s_cbranch_vccnz .LBB1313_13
; %bb.12:
	v_mov_b32_e32 v1, s7
	v_add_co_u32_e32 v3, vcc, s6, v16
	v_addc_co_u32_e32 v4, vcc, 0, v1, vcc
	v_subrev_co_u32_e32 v6, vcc, s15, v0
	v_lshlrev_b64 v[1:2], 3, v[6:7]
	v_mov_b32_e32 v5, s5
	v_add_co_u32_e64 v1, s[0:1], s4, v1
	v_addc_co_u32_e64 v2, s[0:1], v5, v2, s[0:1]
	v_mov_b32_e32 v14, v7
	v_cndmask_b32_e32 v2, v2, v4, vcc
	v_cndmask_b32_e32 v1, v1, v3, vcc
	v_lshlrev_b64 v[3:4], 3, v[13:14]
	v_mov_b32_e32 v5, s7
	v_add_co_u32_e32 v8, vcc, s6, v3
	v_addc_co_u32_e32 v5, vcc, v5, v4, vcc
	v_subrev_co_u32_e32 v6, vcc, s15, v13
	v_lshlrev_b64 v[3:4], 3, v[6:7]
	v_mov_b32_e32 v6, s5
	v_add_co_u32_e64 v3, s[0:1], s4, v3
	v_addc_co_u32_e64 v4, s[0:1], v6, v4, s[0:1]
	v_mov_b32_e32 v12, v7
	v_cndmask_b32_e32 v4, v4, v5, vcc
	v_lshlrev_b64 v[5:6], 3, v[11:12]
	v_cndmask_b32_e32 v3, v3, v8, vcc
	v_mov_b32_e32 v8, s7
	v_add_co_u32_e32 v12, vcc, s6, v5
	v_addc_co_u32_e32 v8, vcc, v8, v6, vcc
	v_subrev_co_u32_e32 v6, vcc, s15, v11
	v_lshlrev_b64 v[5:6], 3, v[6:7]
	v_mov_b32_e32 v14, s5
	v_add_co_u32_e64 v5, s[0:1], s4, v5
	v_addc_co_u32_e64 v6, s[0:1], v14, v6, s[0:1]
	v_cndmask_b32_e32 v6, v6, v8, vcc
	v_cndmask_b32_e32 v5, v5, v12, vcc
	global_load_dwordx2 v[1:2], v[1:2], off
	s_add_i32 s10, s17, s15
	global_load_dwordx2 v[3:4], v[3:4], off
	v_mov_b32_e32 v8, v7
	global_load_dwordx2 v[5:6], v[5:6], off
	v_add_u32_e32 v12, v11, v17
	s_mov_b64 s[0:1], -1
	v_mov_b32_e32 v14, s10
	s_cbranch_execz .LBB1313_14
	s_branch .LBB1313_19
.LBB1313_13:
	s_mov_b64 s[0:1], 0
                                        ; implicit-def: $vgpr12
                                        ; implicit-def: $vgpr1_vgpr2_vgpr3_vgpr4_vgpr5_vgpr6_vgpr7_vgpr8
                                        ; implicit-def: $vgpr14
.LBB1313_14:
	s_add_i32 s10, s17, s15
	s_waitcnt vmcnt(2)
	v_mov_b32_e32 v1, 0
	v_cmp_gt_u32_e32 vcc, s10, v0
	v_mov_b32_e32 v2, v1
	s_waitcnt vmcnt(1)
	v_mov_b32_e32 v3, v1
	v_mov_b32_e32 v4, v1
	s_waitcnt vmcnt(0)
	v_mov_b32_e32 v5, v1
	v_mov_b32_e32 v6, v1
	;; [unrolled: 1-line block ×4, first 2 shown]
	s_and_saveexec_b64 s[2:3], vcc
	s_cbranch_execnz .LBB1313_49
; %bb.15:
	s_or_b64 exec, exec, s[2:3]
	v_cmp_gt_u32_e32 vcc, s10, v13
	s_and_saveexec_b64 s[2:3], vcc
	s_cbranch_execnz .LBB1313_50
.LBB1313_16:
	s_or_b64 exec, exec, s[2:3]
	v_cmp_gt_u32_e32 vcc, s10, v11
	s_and_saveexec_b64 s[2:3], vcc
	s_cbranch_execz .LBB1313_18
.LBB1313_17:
	v_mov_b32_e32 v12, 0
	v_lshlrev_b64 v[5:6], 3, v[11:12]
	v_mov_b32_e32 v13, s7
	v_add_co_u32_e32 v14, vcc, s6, v5
	v_addc_co_u32_e32 v13, vcc, v13, v6, vcc
	v_subrev_co_u32_e32 v5, vcc, s15, v11
	v_mov_b32_e32 v6, v12
	v_lshlrev_b64 v[5:6], 3, v[5:6]
	v_mov_b32_e32 v12, s5
	v_add_co_u32_e64 v5, s[0:1], s4, v5
	v_addc_co_u32_e64 v6, s[0:1], v12, v6, s[0:1]
	v_cndmask_b32_e32 v6, v6, v13, vcc
	v_cndmask_b32_e32 v5, v5, v14, vcc
	global_load_dwordx2 v[5:6], v[5:6], off
.LBB1313_18:
	s_or_b64 exec, exec, s[2:3]
	v_add_u32_e32 v12, v11, v17
	v_cmp_gt_u32_e64 s[0:1], s10, v12
	v_mov_b32_e32 v14, s10
.LBB1313_19:
	s_and_saveexec_b64 s[2:3], s[0:1]
	s_cbranch_execz .LBB1313_21
; %bb.20:
	v_mov_b32_e32 v8, 0
	v_mov_b32_e32 v13, v8
	v_lshlrev_b64 v[20:21], 3, v[12:13]
	v_mov_b32_e32 v7, s7
	v_add_co_u32_e32 v11, vcc, s6, v20
	v_addc_co_u32_e32 v13, vcc, v7, v21, vcc
	v_subrev_co_u32_e32 v7, vcc, s15, v12
	v_lshlrev_b64 v[7:8], 3, v[7:8]
	v_mov_b32_e32 v12, s5
	v_add_co_u32_e64 v7, s[0:1], s4, v7
	v_addc_co_u32_e64 v8, s[0:1], v12, v8, s[0:1]
	v_cndmask_b32_e32 v8, v8, v13, vcc
	v_cndmask_b32_e32 v7, v7, v11, vcc
	global_load_dwordx2 v[7:8], v[7:8], off
.LBB1313_21:
	s_or_b64 exec, exec, s[2:3]
	v_lshlrev_b32_e32 v11, 2, v0
	v_min_u32_e32 v13, v14, v11
	v_sub_u32_e64 v12, v13, s17 clamp
	v_min_u32_e32 v17, s15, v13
	v_cmp_lt_u32_e32 vcc, v12, v17
	s_waitcnt vmcnt(0) lgkmcnt(0)
	s_barrier
	s_and_saveexec_b64 s[0:1], vcc
	s_cbranch_execz .LBB1313_25
; %bb.22:
	v_lshlrev_b32_e32 v20, 1, v13
	v_lshl_add_u32 v20, s15, 1, v20
	s_mov_b64 s[2:3], 0
.LBB1313_23:                            ; =>This Inner Loop Header: Depth=1
	v_add_u32_e32 v21, v17, v12
	v_lshrrev_b32_e32 v22, 1, v21
	v_not_b32_e32 v23, v22
	v_and_b32_e32 v21, -2, v21
	v_lshl_add_u32 v23, v23, 1, v20
	ds_read_u16 v21, v21
	ds_read_u16 v23, v23
	v_add_u32_e32 v24, 1, v22
	s_waitcnt lgkmcnt(0)
	v_cmp_gt_i16_e32 vcc, v21, v23
	v_cndmask_b32_e32 v17, v17, v22, vcc
	v_cndmask_b32_e32 v12, v24, v12, vcc
	v_cmp_ge_u32_e32 vcc, v12, v17
	s_or_b64 s[2:3], vcc, s[2:3]
	s_andn2_b64 exec, exec, s[2:3]
	s_cbranch_execnz .LBB1313_23
; %bb.24:
	s_or_b64 exec, exec, s[2:3]
.LBB1313_25:
	s_or_b64 exec, exec, s[0:1]
	v_sub_u32_e32 v13, v13, v12
	v_add_u32_e32 v21, s15, v13
	v_cmp_ge_u32_e32 vcc, s15, v12
	v_cmp_le_u32_e64 s[0:1], v21, v14
	s_or_b64 s[0:1], vcc, s[0:1]
	v_mov_b32_e32 v22, 0
	v_mov_b32_e32 v20, 0
	;; [unrolled: 1-line block ×4, first 2 shown]
	s_and_saveexec_b64 s[10:11], s[0:1]
	s_cbranch_execz .LBB1313_31
; %bb.26:
	v_cmp_gt_u32_e32 vcc, s15, v12
                                        ; implicit-def: $vgpr9
	s_and_saveexec_b64 s[0:1], vcc
; %bb.27:
	v_lshlrev_b32_e32 v9, 1, v12
	ds_read_u16 v9, v9
; %bb.28:
	s_or_b64 exec, exec, s[0:1]
	v_cmp_ge_u32_e64 s[0:1], v21, v14
	v_cmp_lt_u32_e64 s[2:3], v21, v14
                                        ; implicit-def: $vgpr10
	s_and_saveexec_b64 s[4:5], s[2:3]
; %bb.29:
	v_lshlrev_b32_e32 v10, 1, v21
	ds_read_u16 v10, v10
; %bb.30:
	s_or_b64 exec, exec, s[4:5]
	s_waitcnt lgkmcnt(0)
	v_cmp_le_i16_e64 s[2:3], v9, v10
	s_and_b64 s[2:3], vcc, s[2:3]
	s_or_b64 vcc, s[0:1], s[2:3]
	v_mov_b32_e32 v18, s15
	v_cndmask_b32_e32 v13, v21, v12, vcc
	v_cndmask_b32_e32 v17, v14, v18, vcc
	v_add_u32_e32 v19, 1, v13
	v_add_u32_e32 v17, -1, v17
	v_min_u32_e32 v17, v19, v17
	v_lshlrev_b32_e32 v17, 1, v17
	ds_read_u16 v17, v17
	v_cndmask_b32_e32 v12, v12, v19, vcc
	v_cndmask_b32_e32 v20, v19, v21, vcc
	v_cmp_gt_u32_e64 s[2:3], s15, v12
	v_cmp_ge_u32_e64 s[0:1], v20, v14
	s_waitcnt lgkmcnt(0)
	v_cndmask_b32_e32 v22, v17, v10, vcc
	v_cndmask_b32_e32 v23, v9, v17, vcc
	v_cmp_le_i16_e64 s[4:5], v23, v22
	s_and_b64 s[2:3], s[2:3], s[4:5]
	s_or_b64 s[0:1], s[0:1], s[2:3]
	v_cndmask_b32_e64 v17, v20, v12, s[0:1]
	v_cndmask_b32_e64 v19, v14, v18, s[0:1]
	v_add_u32_e32 v21, 1, v17
	v_add_u32_e32 v19, -1, v19
	v_min_u32_e32 v19, v21, v19
	v_lshlrev_b32_e32 v19, 1, v19
	ds_read_u16 v19, v19
	v_cndmask_b32_e64 v12, v12, v21, s[0:1]
	v_cndmask_b32_e64 v25, v21, v20, s[0:1]
	v_cmp_gt_u32_e64 s[4:5], s15, v12
	v_cmp_ge_u32_e64 s[2:3], v25, v14
	s_waitcnt lgkmcnt(0)
	v_cndmask_b32_e64 v24, v19, v22, s[0:1]
	v_cndmask_b32_e64 v19, v23, v19, s[0:1]
	v_cmp_le_i16_e64 s[6:7], v19, v24
	s_and_b64 s[4:5], s[4:5], s[6:7]
	s_or_b64 s[2:3], s[2:3], s[4:5]
	v_cndmask_b32_e64 v20, v25, v12, s[2:3]
	v_cndmask_b32_e64 v18, v14, v18, s[2:3]
	v_add_u32_e32 v21, 1, v20
	v_add_u32_e32 v18, -1, v18
	v_min_u32_e32 v18, v21, v18
	v_lshlrev_b32_e32 v18, 1, v18
	ds_read_u16 v26, v18
	v_cndmask_b32_e32 v9, v10, v9, vcc
	v_cndmask_b32_e64 v18, v22, v23, s[0:1]
	v_cndmask_b32_e64 v10, v24, v19, s[2:3]
	v_cndmask_b32_e64 v12, v12, v21, s[2:3]
	s_waitcnt lgkmcnt(0)
	v_cndmask_b32_e64 v23, v26, v24, s[2:3]
	v_cndmask_b32_e64 v19, v19, v26, s[2:3]
	;; [unrolled: 1-line block ×3, first 2 shown]
	v_cmp_gt_u32_e64 s[0:1], s15, v12
	v_cmp_le_i16_e64 s[2:3], v19, v23
	v_cmp_ge_u32_e32 vcc, v22, v14
	s_and_b64 s[0:1], s[0:1], s[2:3]
	s_or_b64 vcc, vcc, s[0:1]
	v_cndmask_b32_e32 v22, v22, v12, vcc
	v_cndmask_b32_e32 v19, v23, v19, vcc
.LBB1313_31:
	s_or_b64 exec, exec, s[10:11]
	v_mad_u32_u24 v12, v0, 6, v15
	s_barrier
	ds_write2st64_b64 v12, v[1:2], v[3:4] offset1:4
	ds_write2st64_b64 v12, v[5:6], v[7:8] offset0:8 offset1:12
	v_lshrrev_b32_e32 v12, 2, v0
	v_and_b32_e32 v12, 60, v12
	s_mov_b32 s2, 0x5040100
	v_lshlrev_b32_e32 v1, 3, v13
	v_lshlrev_b32_e32 v2, 3, v17
	;; [unrolled: 1-line block ×4, first 2 shown]
	v_lshl_add_u32 v12, v11, 1, v12
	v_perm_b32 v10, v19, v10, s2
	v_perm_b32 v9, v18, v9, s2
	s_waitcnt lgkmcnt(0)
	s_barrier
	ds_read_b64 v[5:6], v1
	ds_read_b64 v[7:8], v2
	;; [unrolled: 1-line block ×4, first 2 shown]
	s_waitcnt lgkmcnt(0)
	s_barrier
	s_barrier
	ds_write2_b32 v12, v9, v10 offset1:1
	v_lshrrev_b32_e32 v9, 4, v0
	v_and_b32_e32 v9, 12, v9
	v_or_b32_e32 v22, 0x100, v0
	v_add_u32_e32 v23, v9, v15
	v_lshrrev_b32_e32 v9, 4, v22
	v_and_b32_e32 v9, 28, v9
	v_or_b32_e32 v21, 0x200, v0
	s_mov_b32 s17, 0
	v_add_u32_e32 v24, v9, v15
	v_lshrrev_b32_e32 v9, 4, v21
	s_lshl_b64 s[0:1], s[16:17], 1
	v_and_b32_e32 v9, 44, v9
	v_or_b32_e32 v20, 0x300, v0
	s_add_u32 s0, s8, s0
	v_add_u32_e32 v25, v9, v15
	v_lshrrev_b32_e32 v9, 4, v20
	s_addc_u32 s1, s9, s1
	v_and_b32_e32 v9, 60, v9
	v_add_u32_e32 v26, v9, v15
	v_mov_b32_e32 v10, s1
	v_add_co_u32_e32 v9, vcc, s0, v15
	v_addc_co_u32_e32 v10, vcc, 0, v10, vcc
	v_lshrrev_b32_e32 v14, 3, v0
	v_lshrrev_b32_e32 v13, 5, v0
	v_lshrrev_b32_e32 v17, 5, v22
	v_lshrrev_b32_e32 v18, 5, v21
	v_lshrrev_b32_e32 v19, 5, v20
	s_and_b64 vcc, exec, s[18:19]
	v_lshlrev_b32_e32 v15, 3, v11
	s_waitcnt lgkmcnt(0)
	s_cbranch_vccz .LBB1313_33
; %bb.32:
	s_barrier
	ds_read_u16 v11, v23
	ds_read_u16 v12, v24 offset:512
	ds_read_u16 v27, v25 offset:1024
	;; [unrolled: 1-line block ×3, first 2 shown]
	s_lshl_b64 s[0:1], s[16:17], 3
	s_add_u32 s0, s12, s0
	s_waitcnt lgkmcnt(3)
	global_store_short v[9:10], v11, off
	s_waitcnt lgkmcnt(2)
	global_store_short v[9:10], v12, off offset:512
	s_waitcnt lgkmcnt(1)
	global_store_short v[9:10], v27, off offset:1024
	;; [unrolled: 2-line block ×3, first 2 shown]
	v_lshl_add_u32 v11, v14, 3, v15
	s_waitcnt vmcnt(0)
	s_barrier
	ds_write2_b64 v11, v[5:6], v[7:8] offset1:1
	ds_write2_b64 v11, v[1:2], v[3:4] offset0:2 offset1:3
	v_lshl_add_u32 v11, v13, 3, v16
	v_lshl_add_u32 v12, v17, 3, v16
	;; [unrolled: 1-line block ×3, first 2 shown]
	s_addc_u32 s1, s13, s1
	s_waitcnt lgkmcnt(0)
	s_barrier
	v_lshl_add_u32 v33, v19, 3, v16
	ds_read_b64 v[27:28], v11
	ds_read_b64 v[29:30], v12 offset:2048
	ds_read_b64 v[31:32], v31 offset:4096
	;; [unrolled: 1-line block ×3, first 2 shown]
	v_mov_b32_e32 v33, s1
	v_add_co_u32_e32 v34, vcc, s0, v16
	v_addc_co_u32_e32 v33, vcc, 0, v33, vcc
	s_waitcnt lgkmcnt(3)
	global_store_dwordx2 v16, v[27:28], s[0:1]
	s_waitcnt lgkmcnt(2)
	global_store_dwordx2 v16, v[29:30], s[0:1] offset:2048
	v_add_co_u32_e32 v27, vcc, 0x1000, v34
	v_addc_co_u32_e32 v28, vcc, 0, v33, vcc
	s_waitcnt lgkmcnt(1)
	global_store_dwordx2 v[27:28], v[31:32], off
	s_mov_b64 s[6:7], -1
	s_cbranch_execz .LBB1313_34
	s_branch .LBB1313_44
.LBB1313_33:
	s_mov_b64 s[6:7], 0
                                        ; implicit-def: $vgpr11_vgpr12
.LBB1313_34:
	s_waitcnt vmcnt(0) lgkmcnt(0)
	s_barrier
	ds_read_u16 v24, v24 offset:512
	ds_read_u16 v12, v25 offset:1024
	;; [unrolled: 1-line block ×3, first 2 shown]
	s_sub_i32 s6, s14, s16
	v_cmp_gt_u32_e32 vcc, s6, v0
	s_and_saveexec_b64 s[0:1], vcc
	s_cbranch_execnz .LBB1313_51
; %bb.35:
	s_or_b64 exec, exec, s[0:1]
	v_cmp_gt_u32_e64 s[0:1], s6, v22
	s_and_saveexec_b64 s[2:3], s[0:1]
	s_cbranch_execnz .LBB1313_52
.LBB1313_36:
	s_or_b64 exec, exec, s[2:3]
	v_cmp_gt_u32_e64 s[2:3], s6, v21
	s_and_saveexec_b64 s[4:5], s[2:3]
	s_cbranch_execnz .LBB1313_53
.LBB1313_37:
	s_or_b64 exec, exec, s[4:5]
	v_cmp_gt_u32_e64 s[6:7], s6, v20
	s_and_saveexec_b64 s[4:5], s[6:7]
	s_cbranch_execz .LBB1313_39
.LBB1313_38:
	s_waitcnt lgkmcnt(0)
	global_store_short v[9:10], v11, off offset:1536
.LBB1313_39:
	s_or_b64 exec, exec, s[4:5]
	v_lshl_add_u32 v0, v14, 3, v15
	s_waitcnt vmcnt(0) lgkmcnt(0)
	s_barrier
	ds_write2_b64 v0, v[5:6], v[7:8] offset1:1
	ds_write2_b64 v0, v[1:2], v[3:4] offset0:2 offset1:3
	v_lshl_add_u32 v0, v17, 3, v16
	v_lshl_add_u32 v1, v18, 3, v16
	s_waitcnt lgkmcnt(0)
	s_barrier
	v_lshl_add_u32 v2, v19, 3, v16
	ds_read_b64 v[4:5], v0 offset:2048
	ds_read_b64 v[0:1], v1 offset:4096
	;; [unrolled: 1-line block ×3, first 2 shown]
	s_lshl_b64 s[4:5], s[16:17], 3
	s_add_u32 s4, s12, s4
	s_addc_u32 s5, s13, s5
	v_mov_b32_e32 v3, s5
	v_add_co_u32_e64 v2, s[4:5], s4, v16
	v_addc_co_u32_e64 v3, s[4:5], 0, v3, s[4:5]
	s_and_saveexec_b64 s[4:5], vcc
	s_cbranch_execnz .LBB1313_54
; %bb.40:
	s_or_b64 exec, exec, s[4:5]
	s_and_saveexec_b64 s[4:5], s[0:1]
	s_cbranch_execnz .LBB1313_55
.LBB1313_41:
	s_or_b64 exec, exec, s[4:5]
	s_and_saveexec_b64 s[0:1], s[2:3]
	s_cbranch_execz .LBB1313_43
.LBB1313_42:
	v_add_co_u32_e32 v2, vcc, 0x1000, v2
	v_addc_co_u32_e32 v3, vcc, 0, v3, vcc
	s_waitcnt lgkmcnt(1)
	global_store_dwordx2 v[2:3], v[0:1], off
.LBB1313_43:
	s_or_b64 exec, exec, s[0:1]
.LBB1313_44:
	s_and_saveexec_b64 s[0:1], s[6:7]
	s_cbranch_execz .LBB1313_46
; %bb.45:
	s_lshl_b64 s[0:1], s[16:17], 3
	s_add_u32 s0, s12, s0
	s_addc_u32 s1, s13, s1
	s_waitcnt lgkmcnt(1)
	v_mov_b32_e32 v0, s1
	v_add_co_u32_e32 v1, vcc, s0, v16
	v_addc_co_u32_e32 v2, vcc, 0, v0, vcc
	v_add_co_u32_e32 v0, vcc, 0x1000, v1
	v_addc_co_u32_e32 v1, vcc, 0, v2, vcc
	s_waitcnt lgkmcnt(0)
	global_store_dwordx2 v[0:1], v[11:12], off offset:2048
.LBB1313_46:
	s_endpgm
.LBB1313_47:
	v_mov_b32_e32 v1, s25
	v_add_co_u32_e32 v3, vcc, s24, v15
	v_addc_co_u32_e32 v4, vcc, 0, v1, vcc
	v_subrev_co_u32_e32 v1, vcc, s15, v0
	v_mov_b32_e32 v2, v9
	v_lshlrev_b64 v[1:2], 1, v[1:2]
	v_mov_b32_e32 v5, s26
	v_add_co_u32_e64 v1, s[0:1], s23, v1
	v_addc_co_u32_e64 v2, s[0:1], v5, v2, s[0:1]
	v_cndmask_b32_e32 v2, v2, v4, vcc
	v_cndmask_b32_e32 v1, v1, v3, vcc
	global_load_ushort v1, v[1:2], off
	v_mov_b32_e32 v2, v9
	s_waitcnt vmcnt(0)
	v_and_b32_e32 v1, 0xffff, v1
	v_mov_b32_e32 v10, v2
	v_mov_b32_e32 v9, v1
	s_or_b64 exec, exec, s[6:7]
	v_cmp_gt_u32_e32 vcc, s20, v13
	s_and_saveexec_b64 s[6:7], vcc
	s_cbranch_execz .LBB1313_6
.LBB1313_48:
	v_mov_b32_e32 v14, 0
	v_lshlrev_b64 v[1:2], 1, v[13:14]
	v_mov_b32_e32 v3, s25
	v_add_co_u32_e32 v4, vcc, s24, v1
	v_addc_co_u32_e32 v3, vcc, v3, v2, vcc
	v_subrev_co_u32_e32 v1, vcc, s15, v13
	v_mov_b32_e32 v2, v14
	v_lshlrev_b64 v[1:2], 1, v[1:2]
	v_mov_b32_e32 v5, s26
	v_add_co_u32_e64 v1, s[0:1], s23, v1
	v_addc_co_u32_e64 v2, s[0:1], v5, v2, s[0:1]
	v_cndmask_b32_e32 v2, v2, v3, vcc
	v_cndmask_b32_e32 v1, v1, v4, vcc
	global_load_ushort v1, v[1:2], off
	s_mov_b32 s0, 0x5040100
	s_waitcnt vmcnt(0)
	v_perm_b32 v9, v1, v9, s0
	s_or_b64 exec, exec, s[6:7]
	v_cmp_gt_u32_e32 vcc, s20, v11
	s_and_saveexec_b64 s[6:7], vcc
	s_cbranch_execnz .LBB1313_7
	s_branch .LBB1313_8
.LBB1313_49:
	v_mov_b32_e32 v2, s7
	v_add_co_u32_e32 v4, vcc, s6, v16
	v_addc_co_u32_e32 v5, vcc, 0, v2, vcc
	v_subrev_co_u32_e32 v2, vcc, s15, v0
	v_mov_b32_e32 v3, v1
	v_lshlrev_b64 v[2:3], 3, v[2:3]
	v_mov_b32_e32 v6, s5
	v_add_co_u32_e64 v2, s[0:1], s4, v2
	v_addc_co_u32_e64 v3, s[0:1], v6, v3, s[0:1]
	v_cndmask_b32_e32 v3, v3, v5, vcc
	v_cndmask_b32_e32 v2, v2, v4, vcc
	global_load_dwordx2 v[20:21], v[2:3], off
	v_mov_b32_e32 v22, v1
	v_mov_b32_e32 v23, v1
	;; [unrolled: 1-line block ×6, first 2 shown]
	s_waitcnt vmcnt(0)
	v_mov_b32_e32 v1, v20
	v_mov_b32_e32 v2, v21
	;; [unrolled: 1-line block ×8, first 2 shown]
	s_or_b64 exec, exec, s[2:3]
	v_cmp_gt_u32_e32 vcc, s10, v13
	s_and_saveexec_b64 s[2:3], vcc
	s_cbranch_execz .LBB1313_16
.LBB1313_50:
	v_mov_b32_e32 v14, 0
	v_lshlrev_b64 v[3:4], 3, v[13:14]
	v_mov_b32_e32 v12, s7
	v_add_co_u32_e32 v20, vcc, s6, v3
	v_addc_co_u32_e32 v12, vcc, v12, v4, vcc
	v_subrev_co_u32_e32 v13, vcc, s15, v13
	v_lshlrev_b64 v[3:4], 3, v[13:14]
	v_mov_b32_e32 v13, s5
	v_add_co_u32_e64 v3, s[0:1], s4, v3
	v_addc_co_u32_e64 v4, s[0:1], v13, v4, s[0:1]
	v_cndmask_b32_e32 v4, v4, v12, vcc
	v_cndmask_b32_e32 v3, v3, v20, vcc
	global_load_dwordx2 v[3:4], v[3:4], off
	s_or_b64 exec, exec, s[2:3]
	v_cmp_gt_u32_e32 vcc, s10, v11
	s_and_saveexec_b64 s[2:3], vcc
	s_cbranch_execnz .LBB1313_17
	s_branch .LBB1313_18
.LBB1313_51:
	ds_read_u16 v0, v23
	s_waitcnt lgkmcnt(0)
	global_store_short v[9:10], v0, off
	s_or_b64 exec, exec, s[0:1]
	v_cmp_gt_u32_e64 s[0:1], s6, v22
	s_and_saveexec_b64 s[2:3], s[0:1]
	s_cbranch_execz .LBB1313_36
.LBB1313_52:
	s_waitcnt lgkmcnt(2)
	global_store_short v[9:10], v24, off offset:512
	s_or_b64 exec, exec, s[2:3]
	v_cmp_gt_u32_e64 s[2:3], s6, v21
	s_and_saveexec_b64 s[4:5], s[2:3]
	s_cbranch_execz .LBB1313_37
.LBB1313_53:
	s_waitcnt lgkmcnt(1)
	global_store_short v[9:10], v12, off offset:1024
	s_or_b64 exec, exec, s[4:5]
	v_cmp_gt_u32_e64 s[6:7], s6, v20
	s_and_saveexec_b64 s[4:5], s[6:7]
	s_cbranch_execnz .LBB1313_38
	s_branch .LBB1313_39
.LBB1313_54:
	v_lshl_add_u32 v6, v13, 3, v16
	ds_read_b64 v[6:7], v6
	s_waitcnt lgkmcnt(0)
	global_store_dwordx2 v[2:3], v[6:7], off
	s_or_b64 exec, exec, s[4:5]
	s_and_saveexec_b64 s[4:5], s[0:1]
	s_cbranch_execz .LBB1313_41
.LBB1313_55:
	s_waitcnt lgkmcnt(2)
	global_store_dwordx2 v[2:3], v[4:5], off offset:2048
	s_or_b64 exec, exec, s[4:5]
	s_and_saveexec_b64 s[0:1], s[2:3]
	s_cbranch_execnz .LBB1313_42
	s_branch .LBB1313_43
	.section	.rodata,"a",@progbits
	.p2align	6, 0x0
	.amdhsa_kernel _ZN7rocprim17ROCPRIM_400000_NS6detail17trampoline_kernelINS0_14default_configENS1_38merge_sort_block_merge_config_selectorIslEEZZNS1_27merge_sort_block_merge_implIS3_PsN6thrust23THRUST_200600_302600_NS10device_ptrIlEEjNS1_19radix_merge_compareILb0ELb0EsNS0_19identity_decomposerEEEEE10hipError_tT0_T1_T2_jT3_P12ihipStream_tbPNSt15iterator_traitsISG_E10value_typeEPNSM_ISH_E10value_typeEPSI_NS1_7vsmem_tEENKUlT_SG_SH_SI_E_clIS7_S7_SB_PlEESF_SV_SG_SH_SI_EUlSV_E0_NS1_11comp_targetILNS1_3genE2ELNS1_11target_archE906ELNS1_3gpuE6ELNS1_3repE0EEENS1_38merge_mergepath_config_static_selectorELNS0_4arch9wavefront6targetE1EEEvSH_
		.amdhsa_group_segment_fixed_size 8448
		.amdhsa_private_segment_fixed_size 0
		.amdhsa_kernarg_size 320
		.amdhsa_user_sgpr_count 6
		.amdhsa_user_sgpr_private_segment_buffer 1
		.amdhsa_user_sgpr_dispatch_ptr 0
		.amdhsa_user_sgpr_queue_ptr 0
		.amdhsa_user_sgpr_kernarg_segment_ptr 1
		.amdhsa_user_sgpr_dispatch_id 0
		.amdhsa_user_sgpr_flat_scratch_init 0
		.amdhsa_user_sgpr_private_segment_size 0
		.amdhsa_uses_dynamic_stack 0
		.amdhsa_system_sgpr_private_segment_wavefront_offset 0
		.amdhsa_system_sgpr_workgroup_id_x 1
		.amdhsa_system_sgpr_workgroup_id_y 1
		.amdhsa_system_sgpr_workgroup_id_z 1
		.amdhsa_system_sgpr_workgroup_info 0
		.amdhsa_system_vgpr_workitem_id 0
		.amdhsa_next_free_vgpr 35
		.amdhsa_next_free_sgpr 77
		.amdhsa_reserve_vcc 1
		.amdhsa_reserve_flat_scratch 0
		.amdhsa_float_round_mode_32 0
		.amdhsa_float_round_mode_16_64 0
		.amdhsa_float_denorm_mode_32 3
		.amdhsa_float_denorm_mode_16_64 3
		.amdhsa_dx10_clamp 1
		.amdhsa_ieee_mode 1
		.amdhsa_fp16_overflow 0
		.amdhsa_exception_fp_ieee_invalid_op 0
		.amdhsa_exception_fp_denorm_src 0
		.amdhsa_exception_fp_ieee_div_zero 0
		.amdhsa_exception_fp_ieee_overflow 0
		.amdhsa_exception_fp_ieee_underflow 0
		.amdhsa_exception_fp_ieee_inexact 0
		.amdhsa_exception_int_div_zero 0
	.end_amdhsa_kernel
	.section	.text._ZN7rocprim17ROCPRIM_400000_NS6detail17trampoline_kernelINS0_14default_configENS1_38merge_sort_block_merge_config_selectorIslEEZZNS1_27merge_sort_block_merge_implIS3_PsN6thrust23THRUST_200600_302600_NS10device_ptrIlEEjNS1_19radix_merge_compareILb0ELb0EsNS0_19identity_decomposerEEEEE10hipError_tT0_T1_T2_jT3_P12ihipStream_tbPNSt15iterator_traitsISG_E10value_typeEPNSM_ISH_E10value_typeEPSI_NS1_7vsmem_tEENKUlT_SG_SH_SI_E_clIS7_S7_SB_PlEESF_SV_SG_SH_SI_EUlSV_E0_NS1_11comp_targetILNS1_3genE2ELNS1_11target_archE906ELNS1_3gpuE6ELNS1_3repE0EEENS1_38merge_mergepath_config_static_selectorELNS0_4arch9wavefront6targetE1EEEvSH_,"axG",@progbits,_ZN7rocprim17ROCPRIM_400000_NS6detail17trampoline_kernelINS0_14default_configENS1_38merge_sort_block_merge_config_selectorIslEEZZNS1_27merge_sort_block_merge_implIS3_PsN6thrust23THRUST_200600_302600_NS10device_ptrIlEEjNS1_19radix_merge_compareILb0ELb0EsNS0_19identity_decomposerEEEEE10hipError_tT0_T1_T2_jT3_P12ihipStream_tbPNSt15iterator_traitsISG_E10value_typeEPNSM_ISH_E10value_typeEPSI_NS1_7vsmem_tEENKUlT_SG_SH_SI_E_clIS7_S7_SB_PlEESF_SV_SG_SH_SI_EUlSV_E0_NS1_11comp_targetILNS1_3genE2ELNS1_11target_archE906ELNS1_3gpuE6ELNS1_3repE0EEENS1_38merge_mergepath_config_static_selectorELNS0_4arch9wavefront6targetE1EEEvSH_,comdat
.Lfunc_end1313:
	.size	_ZN7rocprim17ROCPRIM_400000_NS6detail17trampoline_kernelINS0_14default_configENS1_38merge_sort_block_merge_config_selectorIslEEZZNS1_27merge_sort_block_merge_implIS3_PsN6thrust23THRUST_200600_302600_NS10device_ptrIlEEjNS1_19radix_merge_compareILb0ELb0EsNS0_19identity_decomposerEEEEE10hipError_tT0_T1_T2_jT3_P12ihipStream_tbPNSt15iterator_traitsISG_E10value_typeEPNSM_ISH_E10value_typeEPSI_NS1_7vsmem_tEENKUlT_SG_SH_SI_E_clIS7_S7_SB_PlEESF_SV_SG_SH_SI_EUlSV_E0_NS1_11comp_targetILNS1_3genE2ELNS1_11target_archE906ELNS1_3gpuE6ELNS1_3repE0EEENS1_38merge_mergepath_config_static_selectorELNS0_4arch9wavefront6targetE1EEEvSH_, .Lfunc_end1313-_ZN7rocprim17ROCPRIM_400000_NS6detail17trampoline_kernelINS0_14default_configENS1_38merge_sort_block_merge_config_selectorIslEEZZNS1_27merge_sort_block_merge_implIS3_PsN6thrust23THRUST_200600_302600_NS10device_ptrIlEEjNS1_19radix_merge_compareILb0ELb0EsNS0_19identity_decomposerEEEEE10hipError_tT0_T1_T2_jT3_P12ihipStream_tbPNSt15iterator_traitsISG_E10value_typeEPNSM_ISH_E10value_typeEPSI_NS1_7vsmem_tEENKUlT_SG_SH_SI_E_clIS7_S7_SB_PlEESF_SV_SG_SH_SI_EUlSV_E0_NS1_11comp_targetILNS1_3genE2ELNS1_11target_archE906ELNS1_3gpuE6ELNS1_3repE0EEENS1_38merge_mergepath_config_static_selectorELNS0_4arch9wavefront6targetE1EEEvSH_
                                        ; -- End function
	.set _ZN7rocprim17ROCPRIM_400000_NS6detail17trampoline_kernelINS0_14default_configENS1_38merge_sort_block_merge_config_selectorIslEEZZNS1_27merge_sort_block_merge_implIS3_PsN6thrust23THRUST_200600_302600_NS10device_ptrIlEEjNS1_19radix_merge_compareILb0ELb0EsNS0_19identity_decomposerEEEEE10hipError_tT0_T1_T2_jT3_P12ihipStream_tbPNSt15iterator_traitsISG_E10value_typeEPNSM_ISH_E10value_typeEPSI_NS1_7vsmem_tEENKUlT_SG_SH_SI_E_clIS7_S7_SB_PlEESF_SV_SG_SH_SI_EUlSV_E0_NS1_11comp_targetILNS1_3genE2ELNS1_11target_archE906ELNS1_3gpuE6ELNS1_3repE0EEENS1_38merge_mergepath_config_static_selectorELNS0_4arch9wavefront6targetE1EEEvSH_.num_vgpr, 35
	.set _ZN7rocprim17ROCPRIM_400000_NS6detail17trampoline_kernelINS0_14default_configENS1_38merge_sort_block_merge_config_selectorIslEEZZNS1_27merge_sort_block_merge_implIS3_PsN6thrust23THRUST_200600_302600_NS10device_ptrIlEEjNS1_19radix_merge_compareILb0ELb0EsNS0_19identity_decomposerEEEEE10hipError_tT0_T1_T2_jT3_P12ihipStream_tbPNSt15iterator_traitsISG_E10value_typeEPNSM_ISH_E10value_typeEPSI_NS1_7vsmem_tEENKUlT_SG_SH_SI_E_clIS7_S7_SB_PlEESF_SV_SG_SH_SI_EUlSV_E0_NS1_11comp_targetILNS1_3genE2ELNS1_11target_archE906ELNS1_3gpuE6ELNS1_3repE0EEENS1_38merge_mergepath_config_static_selectorELNS0_4arch9wavefront6targetE1EEEvSH_.num_agpr, 0
	.set _ZN7rocprim17ROCPRIM_400000_NS6detail17trampoline_kernelINS0_14default_configENS1_38merge_sort_block_merge_config_selectorIslEEZZNS1_27merge_sort_block_merge_implIS3_PsN6thrust23THRUST_200600_302600_NS10device_ptrIlEEjNS1_19radix_merge_compareILb0ELb0EsNS0_19identity_decomposerEEEEE10hipError_tT0_T1_T2_jT3_P12ihipStream_tbPNSt15iterator_traitsISG_E10value_typeEPNSM_ISH_E10value_typeEPSI_NS1_7vsmem_tEENKUlT_SG_SH_SI_E_clIS7_S7_SB_PlEESF_SV_SG_SH_SI_EUlSV_E0_NS1_11comp_targetILNS1_3genE2ELNS1_11target_archE906ELNS1_3gpuE6ELNS1_3repE0EEENS1_38merge_mergepath_config_static_selectorELNS0_4arch9wavefront6targetE1EEEvSH_.numbered_sgpr, 31
	.set _ZN7rocprim17ROCPRIM_400000_NS6detail17trampoline_kernelINS0_14default_configENS1_38merge_sort_block_merge_config_selectorIslEEZZNS1_27merge_sort_block_merge_implIS3_PsN6thrust23THRUST_200600_302600_NS10device_ptrIlEEjNS1_19radix_merge_compareILb0ELb0EsNS0_19identity_decomposerEEEEE10hipError_tT0_T1_T2_jT3_P12ihipStream_tbPNSt15iterator_traitsISG_E10value_typeEPNSM_ISH_E10value_typeEPSI_NS1_7vsmem_tEENKUlT_SG_SH_SI_E_clIS7_S7_SB_PlEESF_SV_SG_SH_SI_EUlSV_E0_NS1_11comp_targetILNS1_3genE2ELNS1_11target_archE906ELNS1_3gpuE6ELNS1_3repE0EEENS1_38merge_mergepath_config_static_selectorELNS0_4arch9wavefront6targetE1EEEvSH_.num_named_barrier, 0
	.set _ZN7rocprim17ROCPRIM_400000_NS6detail17trampoline_kernelINS0_14default_configENS1_38merge_sort_block_merge_config_selectorIslEEZZNS1_27merge_sort_block_merge_implIS3_PsN6thrust23THRUST_200600_302600_NS10device_ptrIlEEjNS1_19radix_merge_compareILb0ELb0EsNS0_19identity_decomposerEEEEE10hipError_tT0_T1_T2_jT3_P12ihipStream_tbPNSt15iterator_traitsISG_E10value_typeEPNSM_ISH_E10value_typeEPSI_NS1_7vsmem_tEENKUlT_SG_SH_SI_E_clIS7_S7_SB_PlEESF_SV_SG_SH_SI_EUlSV_E0_NS1_11comp_targetILNS1_3genE2ELNS1_11target_archE906ELNS1_3gpuE6ELNS1_3repE0EEENS1_38merge_mergepath_config_static_selectorELNS0_4arch9wavefront6targetE1EEEvSH_.private_seg_size, 0
	.set _ZN7rocprim17ROCPRIM_400000_NS6detail17trampoline_kernelINS0_14default_configENS1_38merge_sort_block_merge_config_selectorIslEEZZNS1_27merge_sort_block_merge_implIS3_PsN6thrust23THRUST_200600_302600_NS10device_ptrIlEEjNS1_19radix_merge_compareILb0ELb0EsNS0_19identity_decomposerEEEEE10hipError_tT0_T1_T2_jT3_P12ihipStream_tbPNSt15iterator_traitsISG_E10value_typeEPNSM_ISH_E10value_typeEPSI_NS1_7vsmem_tEENKUlT_SG_SH_SI_E_clIS7_S7_SB_PlEESF_SV_SG_SH_SI_EUlSV_E0_NS1_11comp_targetILNS1_3genE2ELNS1_11target_archE906ELNS1_3gpuE6ELNS1_3repE0EEENS1_38merge_mergepath_config_static_selectorELNS0_4arch9wavefront6targetE1EEEvSH_.uses_vcc, 1
	.set _ZN7rocprim17ROCPRIM_400000_NS6detail17trampoline_kernelINS0_14default_configENS1_38merge_sort_block_merge_config_selectorIslEEZZNS1_27merge_sort_block_merge_implIS3_PsN6thrust23THRUST_200600_302600_NS10device_ptrIlEEjNS1_19radix_merge_compareILb0ELb0EsNS0_19identity_decomposerEEEEE10hipError_tT0_T1_T2_jT3_P12ihipStream_tbPNSt15iterator_traitsISG_E10value_typeEPNSM_ISH_E10value_typeEPSI_NS1_7vsmem_tEENKUlT_SG_SH_SI_E_clIS7_S7_SB_PlEESF_SV_SG_SH_SI_EUlSV_E0_NS1_11comp_targetILNS1_3genE2ELNS1_11target_archE906ELNS1_3gpuE6ELNS1_3repE0EEENS1_38merge_mergepath_config_static_selectorELNS0_4arch9wavefront6targetE1EEEvSH_.uses_flat_scratch, 0
	.set _ZN7rocprim17ROCPRIM_400000_NS6detail17trampoline_kernelINS0_14default_configENS1_38merge_sort_block_merge_config_selectorIslEEZZNS1_27merge_sort_block_merge_implIS3_PsN6thrust23THRUST_200600_302600_NS10device_ptrIlEEjNS1_19radix_merge_compareILb0ELb0EsNS0_19identity_decomposerEEEEE10hipError_tT0_T1_T2_jT3_P12ihipStream_tbPNSt15iterator_traitsISG_E10value_typeEPNSM_ISH_E10value_typeEPSI_NS1_7vsmem_tEENKUlT_SG_SH_SI_E_clIS7_S7_SB_PlEESF_SV_SG_SH_SI_EUlSV_E0_NS1_11comp_targetILNS1_3genE2ELNS1_11target_archE906ELNS1_3gpuE6ELNS1_3repE0EEENS1_38merge_mergepath_config_static_selectorELNS0_4arch9wavefront6targetE1EEEvSH_.has_dyn_sized_stack, 0
	.set _ZN7rocprim17ROCPRIM_400000_NS6detail17trampoline_kernelINS0_14default_configENS1_38merge_sort_block_merge_config_selectorIslEEZZNS1_27merge_sort_block_merge_implIS3_PsN6thrust23THRUST_200600_302600_NS10device_ptrIlEEjNS1_19radix_merge_compareILb0ELb0EsNS0_19identity_decomposerEEEEE10hipError_tT0_T1_T2_jT3_P12ihipStream_tbPNSt15iterator_traitsISG_E10value_typeEPNSM_ISH_E10value_typeEPSI_NS1_7vsmem_tEENKUlT_SG_SH_SI_E_clIS7_S7_SB_PlEESF_SV_SG_SH_SI_EUlSV_E0_NS1_11comp_targetILNS1_3genE2ELNS1_11target_archE906ELNS1_3gpuE6ELNS1_3repE0EEENS1_38merge_mergepath_config_static_selectorELNS0_4arch9wavefront6targetE1EEEvSH_.has_recursion, 0
	.set _ZN7rocprim17ROCPRIM_400000_NS6detail17trampoline_kernelINS0_14default_configENS1_38merge_sort_block_merge_config_selectorIslEEZZNS1_27merge_sort_block_merge_implIS3_PsN6thrust23THRUST_200600_302600_NS10device_ptrIlEEjNS1_19radix_merge_compareILb0ELb0EsNS0_19identity_decomposerEEEEE10hipError_tT0_T1_T2_jT3_P12ihipStream_tbPNSt15iterator_traitsISG_E10value_typeEPNSM_ISH_E10value_typeEPSI_NS1_7vsmem_tEENKUlT_SG_SH_SI_E_clIS7_S7_SB_PlEESF_SV_SG_SH_SI_EUlSV_E0_NS1_11comp_targetILNS1_3genE2ELNS1_11target_archE906ELNS1_3gpuE6ELNS1_3repE0EEENS1_38merge_mergepath_config_static_selectorELNS0_4arch9wavefront6targetE1EEEvSH_.has_indirect_call, 0
	.section	.AMDGPU.csdata,"",@progbits
; Kernel info:
; codeLenInByte = 3616
; TotalNumSgprs: 35
; NumVgprs: 35
; ScratchSize: 0
; MemoryBound: 0
; FloatMode: 240
; IeeeMode: 1
; LDSByteSize: 8448 bytes/workgroup (compile time only)
; SGPRBlocks: 10
; VGPRBlocks: 8
; NumSGPRsForWavesPerEU: 81
; NumVGPRsForWavesPerEU: 35
; Occupancy: 7
; WaveLimiterHint : 1
; COMPUTE_PGM_RSRC2:SCRATCH_EN: 0
; COMPUTE_PGM_RSRC2:USER_SGPR: 6
; COMPUTE_PGM_RSRC2:TRAP_HANDLER: 0
; COMPUTE_PGM_RSRC2:TGID_X_EN: 1
; COMPUTE_PGM_RSRC2:TGID_Y_EN: 1
; COMPUTE_PGM_RSRC2:TGID_Z_EN: 1
; COMPUTE_PGM_RSRC2:TIDIG_COMP_CNT: 0
	.section	.text._ZN7rocprim17ROCPRIM_400000_NS6detail17trampoline_kernelINS0_14default_configENS1_38merge_sort_block_merge_config_selectorIslEEZZNS1_27merge_sort_block_merge_implIS3_PsN6thrust23THRUST_200600_302600_NS10device_ptrIlEEjNS1_19radix_merge_compareILb0ELb0EsNS0_19identity_decomposerEEEEE10hipError_tT0_T1_T2_jT3_P12ihipStream_tbPNSt15iterator_traitsISG_E10value_typeEPNSM_ISH_E10value_typeEPSI_NS1_7vsmem_tEENKUlT_SG_SH_SI_E_clIS7_S7_SB_PlEESF_SV_SG_SH_SI_EUlSV_E0_NS1_11comp_targetILNS1_3genE9ELNS1_11target_archE1100ELNS1_3gpuE3ELNS1_3repE0EEENS1_38merge_mergepath_config_static_selectorELNS0_4arch9wavefront6targetE1EEEvSH_,"axG",@progbits,_ZN7rocprim17ROCPRIM_400000_NS6detail17trampoline_kernelINS0_14default_configENS1_38merge_sort_block_merge_config_selectorIslEEZZNS1_27merge_sort_block_merge_implIS3_PsN6thrust23THRUST_200600_302600_NS10device_ptrIlEEjNS1_19radix_merge_compareILb0ELb0EsNS0_19identity_decomposerEEEEE10hipError_tT0_T1_T2_jT3_P12ihipStream_tbPNSt15iterator_traitsISG_E10value_typeEPNSM_ISH_E10value_typeEPSI_NS1_7vsmem_tEENKUlT_SG_SH_SI_E_clIS7_S7_SB_PlEESF_SV_SG_SH_SI_EUlSV_E0_NS1_11comp_targetILNS1_3genE9ELNS1_11target_archE1100ELNS1_3gpuE3ELNS1_3repE0EEENS1_38merge_mergepath_config_static_selectorELNS0_4arch9wavefront6targetE1EEEvSH_,comdat
	.protected	_ZN7rocprim17ROCPRIM_400000_NS6detail17trampoline_kernelINS0_14default_configENS1_38merge_sort_block_merge_config_selectorIslEEZZNS1_27merge_sort_block_merge_implIS3_PsN6thrust23THRUST_200600_302600_NS10device_ptrIlEEjNS1_19radix_merge_compareILb0ELb0EsNS0_19identity_decomposerEEEEE10hipError_tT0_T1_T2_jT3_P12ihipStream_tbPNSt15iterator_traitsISG_E10value_typeEPNSM_ISH_E10value_typeEPSI_NS1_7vsmem_tEENKUlT_SG_SH_SI_E_clIS7_S7_SB_PlEESF_SV_SG_SH_SI_EUlSV_E0_NS1_11comp_targetILNS1_3genE9ELNS1_11target_archE1100ELNS1_3gpuE3ELNS1_3repE0EEENS1_38merge_mergepath_config_static_selectorELNS0_4arch9wavefront6targetE1EEEvSH_ ; -- Begin function _ZN7rocprim17ROCPRIM_400000_NS6detail17trampoline_kernelINS0_14default_configENS1_38merge_sort_block_merge_config_selectorIslEEZZNS1_27merge_sort_block_merge_implIS3_PsN6thrust23THRUST_200600_302600_NS10device_ptrIlEEjNS1_19radix_merge_compareILb0ELb0EsNS0_19identity_decomposerEEEEE10hipError_tT0_T1_T2_jT3_P12ihipStream_tbPNSt15iterator_traitsISG_E10value_typeEPNSM_ISH_E10value_typeEPSI_NS1_7vsmem_tEENKUlT_SG_SH_SI_E_clIS7_S7_SB_PlEESF_SV_SG_SH_SI_EUlSV_E0_NS1_11comp_targetILNS1_3genE9ELNS1_11target_archE1100ELNS1_3gpuE3ELNS1_3repE0EEENS1_38merge_mergepath_config_static_selectorELNS0_4arch9wavefront6targetE1EEEvSH_
	.globl	_ZN7rocprim17ROCPRIM_400000_NS6detail17trampoline_kernelINS0_14default_configENS1_38merge_sort_block_merge_config_selectorIslEEZZNS1_27merge_sort_block_merge_implIS3_PsN6thrust23THRUST_200600_302600_NS10device_ptrIlEEjNS1_19radix_merge_compareILb0ELb0EsNS0_19identity_decomposerEEEEE10hipError_tT0_T1_T2_jT3_P12ihipStream_tbPNSt15iterator_traitsISG_E10value_typeEPNSM_ISH_E10value_typeEPSI_NS1_7vsmem_tEENKUlT_SG_SH_SI_E_clIS7_S7_SB_PlEESF_SV_SG_SH_SI_EUlSV_E0_NS1_11comp_targetILNS1_3genE9ELNS1_11target_archE1100ELNS1_3gpuE3ELNS1_3repE0EEENS1_38merge_mergepath_config_static_selectorELNS0_4arch9wavefront6targetE1EEEvSH_
	.p2align	8
	.type	_ZN7rocprim17ROCPRIM_400000_NS6detail17trampoline_kernelINS0_14default_configENS1_38merge_sort_block_merge_config_selectorIslEEZZNS1_27merge_sort_block_merge_implIS3_PsN6thrust23THRUST_200600_302600_NS10device_ptrIlEEjNS1_19radix_merge_compareILb0ELb0EsNS0_19identity_decomposerEEEEE10hipError_tT0_T1_T2_jT3_P12ihipStream_tbPNSt15iterator_traitsISG_E10value_typeEPNSM_ISH_E10value_typeEPSI_NS1_7vsmem_tEENKUlT_SG_SH_SI_E_clIS7_S7_SB_PlEESF_SV_SG_SH_SI_EUlSV_E0_NS1_11comp_targetILNS1_3genE9ELNS1_11target_archE1100ELNS1_3gpuE3ELNS1_3repE0EEENS1_38merge_mergepath_config_static_selectorELNS0_4arch9wavefront6targetE1EEEvSH_,@function
_ZN7rocprim17ROCPRIM_400000_NS6detail17trampoline_kernelINS0_14default_configENS1_38merge_sort_block_merge_config_selectorIslEEZZNS1_27merge_sort_block_merge_implIS3_PsN6thrust23THRUST_200600_302600_NS10device_ptrIlEEjNS1_19radix_merge_compareILb0ELb0EsNS0_19identity_decomposerEEEEE10hipError_tT0_T1_T2_jT3_P12ihipStream_tbPNSt15iterator_traitsISG_E10value_typeEPNSM_ISH_E10value_typeEPSI_NS1_7vsmem_tEENKUlT_SG_SH_SI_E_clIS7_S7_SB_PlEESF_SV_SG_SH_SI_EUlSV_E0_NS1_11comp_targetILNS1_3genE9ELNS1_11target_archE1100ELNS1_3gpuE3ELNS1_3repE0EEENS1_38merge_mergepath_config_static_selectorELNS0_4arch9wavefront6targetE1EEEvSH_: ; @_ZN7rocprim17ROCPRIM_400000_NS6detail17trampoline_kernelINS0_14default_configENS1_38merge_sort_block_merge_config_selectorIslEEZZNS1_27merge_sort_block_merge_implIS3_PsN6thrust23THRUST_200600_302600_NS10device_ptrIlEEjNS1_19radix_merge_compareILb0ELb0EsNS0_19identity_decomposerEEEEE10hipError_tT0_T1_T2_jT3_P12ihipStream_tbPNSt15iterator_traitsISG_E10value_typeEPNSM_ISH_E10value_typeEPSI_NS1_7vsmem_tEENKUlT_SG_SH_SI_E_clIS7_S7_SB_PlEESF_SV_SG_SH_SI_EUlSV_E0_NS1_11comp_targetILNS1_3genE9ELNS1_11target_archE1100ELNS1_3gpuE3ELNS1_3repE0EEENS1_38merge_mergepath_config_static_selectorELNS0_4arch9wavefront6targetE1EEEvSH_
; %bb.0:
	.section	.rodata,"a",@progbits
	.p2align	6, 0x0
	.amdhsa_kernel _ZN7rocprim17ROCPRIM_400000_NS6detail17trampoline_kernelINS0_14default_configENS1_38merge_sort_block_merge_config_selectorIslEEZZNS1_27merge_sort_block_merge_implIS3_PsN6thrust23THRUST_200600_302600_NS10device_ptrIlEEjNS1_19radix_merge_compareILb0ELb0EsNS0_19identity_decomposerEEEEE10hipError_tT0_T1_T2_jT3_P12ihipStream_tbPNSt15iterator_traitsISG_E10value_typeEPNSM_ISH_E10value_typeEPSI_NS1_7vsmem_tEENKUlT_SG_SH_SI_E_clIS7_S7_SB_PlEESF_SV_SG_SH_SI_EUlSV_E0_NS1_11comp_targetILNS1_3genE9ELNS1_11target_archE1100ELNS1_3gpuE3ELNS1_3repE0EEENS1_38merge_mergepath_config_static_selectorELNS0_4arch9wavefront6targetE1EEEvSH_
		.amdhsa_group_segment_fixed_size 0
		.amdhsa_private_segment_fixed_size 0
		.amdhsa_kernarg_size 64
		.amdhsa_user_sgpr_count 6
		.amdhsa_user_sgpr_private_segment_buffer 1
		.amdhsa_user_sgpr_dispatch_ptr 0
		.amdhsa_user_sgpr_queue_ptr 0
		.amdhsa_user_sgpr_kernarg_segment_ptr 1
		.amdhsa_user_sgpr_dispatch_id 0
		.amdhsa_user_sgpr_flat_scratch_init 0
		.amdhsa_user_sgpr_private_segment_size 0
		.amdhsa_uses_dynamic_stack 0
		.amdhsa_system_sgpr_private_segment_wavefront_offset 0
		.amdhsa_system_sgpr_workgroup_id_x 1
		.amdhsa_system_sgpr_workgroup_id_y 0
		.amdhsa_system_sgpr_workgroup_id_z 0
		.amdhsa_system_sgpr_workgroup_info 0
		.amdhsa_system_vgpr_workitem_id 0
		.amdhsa_next_free_vgpr 1
		.amdhsa_next_free_sgpr 0
		.amdhsa_reserve_vcc 0
		.amdhsa_reserve_flat_scratch 0
		.amdhsa_float_round_mode_32 0
		.amdhsa_float_round_mode_16_64 0
		.amdhsa_float_denorm_mode_32 3
		.amdhsa_float_denorm_mode_16_64 3
		.amdhsa_dx10_clamp 1
		.amdhsa_ieee_mode 1
		.amdhsa_fp16_overflow 0
		.amdhsa_exception_fp_ieee_invalid_op 0
		.amdhsa_exception_fp_denorm_src 0
		.amdhsa_exception_fp_ieee_div_zero 0
		.amdhsa_exception_fp_ieee_overflow 0
		.amdhsa_exception_fp_ieee_underflow 0
		.amdhsa_exception_fp_ieee_inexact 0
		.amdhsa_exception_int_div_zero 0
	.end_amdhsa_kernel
	.section	.text._ZN7rocprim17ROCPRIM_400000_NS6detail17trampoline_kernelINS0_14default_configENS1_38merge_sort_block_merge_config_selectorIslEEZZNS1_27merge_sort_block_merge_implIS3_PsN6thrust23THRUST_200600_302600_NS10device_ptrIlEEjNS1_19radix_merge_compareILb0ELb0EsNS0_19identity_decomposerEEEEE10hipError_tT0_T1_T2_jT3_P12ihipStream_tbPNSt15iterator_traitsISG_E10value_typeEPNSM_ISH_E10value_typeEPSI_NS1_7vsmem_tEENKUlT_SG_SH_SI_E_clIS7_S7_SB_PlEESF_SV_SG_SH_SI_EUlSV_E0_NS1_11comp_targetILNS1_3genE9ELNS1_11target_archE1100ELNS1_3gpuE3ELNS1_3repE0EEENS1_38merge_mergepath_config_static_selectorELNS0_4arch9wavefront6targetE1EEEvSH_,"axG",@progbits,_ZN7rocprim17ROCPRIM_400000_NS6detail17trampoline_kernelINS0_14default_configENS1_38merge_sort_block_merge_config_selectorIslEEZZNS1_27merge_sort_block_merge_implIS3_PsN6thrust23THRUST_200600_302600_NS10device_ptrIlEEjNS1_19radix_merge_compareILb0ELb0EsNS0_19identity_decomposerEEEEE10hipError_tT0_T1_T2_jT3_P12ihipStream_tbPNSt15iterator_traitsISG_E10value_typeEPNSM_ISH_E10value_typeEPSI_NS1_7vsmem_tEENKUlT_SG_SH_SI_E_clIS7_S7_SB_PlEESF_SV_SG_SH_SI_EUlSV_E0_NS1_11comp_targetILNS1_3genE9ELNS1_11target_archE1100ELNS1_3gpuE3ELNS1_3repE0EEENS1_38merge_mergepath_config_static_selectorELNS0_4arch9wavefront6targetE1EEEvSH_,comdat
.Lfunc_end1314:
	.size	_ZN7rocprim17ROCPRIM_400000_NS6detail17trampoline_kernelINS0_14default_configENS1_38merge_sort_block_merge_config_selectorIslEEZZNS1_27merge_sort_block_merge_implIS3_PsN6thrust23THRUST_200600_302600_NS10device_ptrIlEEjNS1_19radix_merge_compareILb0ELb0EsNS0_19identity_decomposerEEEEE10hipError_tT0_T1_T2_jT3_P12ihipStream_tbPNSt15iterator_traitsISG_E10value_typeEPNSM_ISH_E10value_typeEPSI_NS1_7vsmem_tEENKUlT_SG_SH_SI_E_clIS7_S7_SB_PlEESF_SV_SG_SH_SI_EUlSV_E0_NS1_11comp_targetILNS1_3genE9ELNS1_11target_archE1100ELNS1_3gpuE3ELNS1_3repE0EEENS1_38merge_mergepath_config_static_selectorELNS0_4arch9wavefront6targetE1EEEvSH_, .Lfunc_end1314-_ZN7rocprim17ROCPRIM_400000_NS6detail17trampoline_kernelINS0_14default_configENS1_38merge_sort_block_merge_config_selectorIslEEZZNS1_27merge_sort_block_merge_implIS3_PsN6thrust23THRUST_200600_302600_NS10device_ptrIlEEjNS1_19radix_merge_compareILb0ELb0EsNS0_19identity_decomposerEEEEE10hipError_tT0_T1_T2_jT3_P12ihipStream_tbPNSt15iterator_traitsISG_E10value_typeEPNSM_ISH_E10value_typeEPSI_NS1_7vsmem_tEENKUlT_SG_SH_SI_E_clIS7_S7_SB_PlEESF_SV_SG_SH_SI_EUlSV_E0_NS1_11comp_targetILNS1_3genE9ELNS1_11target_archE1100ELNS1_3gpuE3ELNS1_3repE0EEENS1_38merge_mergepath_config_static_selectorELNS0_4arch9wavefront6targetE1EEEvSH_
                                        ; -- End function
	.set _ZN7rocprim17ROCPRIM_400000_NS6detail17trampoline_kernelINS0_14default_configENS1_38merge_sort_block_merge_config_selectorIslEEZZNS1_27merge_sort_block_merge_implIS3_PsN6thrust23THRUST_200600_302600_NS10device_ptrIlEEjNS1_19radix_merge_compareILb0ELb0EsNS0_19identity_decomposerEEEEE10hipError_tT0_T1_T2_jT3_P12ihipStream_tbPNSt15iterator_traitsISG_E10value_typeEPNSM_ISH_E10value_typeEPSI_NS1_7vsmem_tEENKUlT_SG_SH_SI_E_clIS7_S7_SB_PlEESF_SV_SG_SH_SI_EUlSV_E0_NS1_11comp_targetILNS1_3genE9ELNS1_11target_archE1100ELNS1_3gpuE3ELNS1_3repE0EEENS1_38merge_mergepath_config_static_selectorELNS0_4arch9wavefront6targetE1EEEvSH_.num_vgpr, 0
	.set _ZN7rocprim17ROCPRIM_400000_NS6detail17trampoline_kernelINS0_14default_configENS1_38merge_sort_block_merge_config_selectorIslEEZZNS1_27merge_sort_block_merge_implIS3_PsN6thrust23THRUST_200600_302600_NS10device_ptrIlEEjNS1_19radix_merge_compareILb0ELb0EsNS0_19identity_decomposerEEEEE10hipError_tT0_T1_T2_jT3_P12ihipStream_tbPNSt15iterator_traitsISG_E10value_typeEPNSM_ISH_E10value_typeEPSI_NS1_7vsmem_tEENKUlT_SG_SH_SI_E_clIS7_S7_SB_PlEESF_SV_SG_SH_SI_EUlSV_E0_NS1_11comp_targetILNS1_3genE9ELNS1_11target_archE1100ELNS1_3gpuE3ELNS1_3repE0EEENS1_38merge_mergepath_config_static_selectorELNS0_4arch9wavefront6targetE1EEEvSH_.num_agpr, 0
	.set _ZN7rocprim17ROCPRIM_400000_NS6detail17trampoline_kernelINS0_14default_configENS1_38merge_sort_block_merge_config_selectorIslEEZZNS1_27merge_sort_block_merge_implIS3_PsN6thrust23THRUST_200600_302600_NS10device_ptrIlEEjNS1_19radix_merge_compareILb0ELb0EsNS0_19identity_decomposerEEEEE10hipError_tT0_T1_T2_jT3_P12ihipStream_tbPNSt15iterator_traitsISG_E10value_typeEPNSM_ISH_E10value_typeEPSI_NS1_7vsmem_tEENKUlT_SG_SH_SI_E_clIS7_S7_SB_PlEESF_SV_SG_SH_SI_EUlSV_E0_NS1_11comp_targetILNS1_3genE9ELNS1_11target_archE1100ELNS1_3gpuE3ELNS1_3repE0EEENS1_38merge_mergepath_config_static_selectorELNS0_4arch9wavefront6targetE1EEEvSH_.numbered_sgpr, 0
	.set _ZN7rocprim17ROCPRIM_400000_NS6detail17trampoline_kernelINS0_14default_configENS1_38merge_sort_block_merge_config_selectorIslEEZZNS1_27merge_sort_block_merge_implIS3_PsN6thrust23THRUST_200600_302600_NS10device_ptrIlEEjNS1_19radix_merge_compareILb0ELb0EsNS0_19identity_decomposerEEEEE10hipError_tT0_T1_T2_jT3_P12ihipStream_tbPNSt15iterator_traitsISG_E10value_typeEPNSM_ISH_E10value_typeEPSI_NS1_7vsmem_tEENKUlT_SG_SH_SI_E_clIS7_S7_SB_PlEESF_SV_SG_SH_SI_EUlSV_E0_NS1_11comp_targetILNS1_3genE9ELNS1_11target_archE1100ELNS1_3gpuE3ELNS1_3repE0EEENS1_38merge_mergepath_config_static_selectorELNS0_4arch9wavefront6targetE1EEEvSH_.num_named_barrier, 0
	.set _ZN7rocprim17ROCPRIM_400000_NS6detail17trampoline_kernelINS0_14default_configENS1_38merge_sort_block_merge_config_selectorIslEEZZNS1_27merge_sort_block_merge_implIS3_PsN6thrust23THRUST_200600_302600_NS10device_ptrIlEEjNS1_19radix_merge_compareILb0ELb0EsNS0_19identity_decomposerEEEEE10hipError_tT0_T1_T2_jT3_P12ihipStream_tbPNSt15iterator_traitsISG_E10value_typeEPNSM_ISH_E10value_typeEPSI_NS1_7vsmem_tEENKUlT_SG_SH_SI_E_clIS7_S7_SB_PlEESF_SV_SG_SH_SI_EUlSV_E0_NS1_11comp_targetILNS1_3genE9ELNS1_11target_archE1100ELNS1_3gpuE3ELNS1_3repE0EEENS1_38merge_mergepath_config_static_selectorELNS0_4arch9wavefront6targetE1EEEvSH_.private_seg_size, 0
	.set _ZN7rocprim17ROCPRIM_400000_NS6detail17trampoline_kernelINS0_14default_configENS1_38merge_sort_block_merge_config_selectorIslEEZZNS1_27merge_sort_block_merge_implIS3_PsN6thrust23THRUST_200600_302600_NS10device_ptrIlEEjNS1_19radix_merge_compareILb0ELb0EsNS0_19identity_decomposerEEEEE10hipError_tT0_T1_T2_jT3_P12ihipStream_tbPNSt15iterator_traitsISG_E10value_typeEPNSM_ISH_E10value_typeEPSI_NS1_7vsmem_tEENKUlT_SG_SH_SI_E_clIS7_S7_SB_PlEESF_SV_SG_SH_SI_EUlSV_E0_NS1_11comp_targetILNS1_3genE9ELNS1_11target_archE1100ELNS1_3gpuE3ELNS1_3repE0EEENS1_38merge_mergepath_config_static_selectorELNS0_4arch9wavefront6targetE1EEEvSH_.uses_vcc, 0
	.set _ZN7rocprim17ROCPRIM_400000_NS6detail17trampoline_kernelINS0_14default_configENS1_38merge_sort_block_merge_config_selectorIslEEZZNS1_27merge_sort_block_merge_implIS3_PsN6thrust23THRUST_200600_302600_NS10device_ptrIlEEjNS1_19radix_merge_compareILb0ELb0EsNS0_19identity_decomposerEEEEE10hipError_tT0_T1_T2_jT3_P12ihipStream_tbPNSt15iterator_traitsISG_E10value_typeEPNSM_ISH_E10value_typeEPSI_NS1_7vsmem_tEENKUlT_SG_SH_SI_E_clIS7_S7_SB_PlEESF_SV_SG_SH_SI_EUlSV_E0_NS1_11comp_targetILNS1_3genE9ELNS1_11target_archE1100ELNS1_3gpuE3ELNS1_3repE0EEENS1_38merge_mergepath_config_static_selectorELNS0_4arch9wavefront6targetE1EEEvSH_.uses_flat_scratch, 0
	.set _ZN7rocprim17ROCPRIM_400000_NS6detail17trampoline_kernelINS0_14default_configENS1_38merge_sort_block_merge_config_selectorIslEEZZNS1_27merge_sort_block_merge_implIS3_PsN6thrust23THRUST_200600_302600_NS10device_ptrIlEEjNS1_19radix_merge_compareILb0ELb0EsNS0_19identity_decomposerEEEEE10hipError_tT0_T1_T2_jT3_P12ihipStream_tbPNSt15iterator_traitsISG_E10value_typeEPNSM_ISH_E10value_typeEPSI_NS1_7vsmem_tEENKUlT_SG_SH_SI_E_clIS7_S7_SB_PlEESF_SV_SG_SH_SI_EUlSV_E0_NS1_11comp_targetILNS1_3genE9ELNS1_11target_archE1100ELNS1_3gpuE3ELNS1_3repE0EEENS1_38merge_mergepath_config_static_selectorELNS0_4arch9wavefront6targetE1EEEvSH_.has_dyn_sized_stack, 0
	.set _ZN7rocprim17ROCPRIM_400000_NS6detail17trampoline_kernelINS0_14default_configENS1_38merge_sort_block_merge_config_selectorIslEEZZNS1_27merge_sort_block_merge_implIS3_PsN6thrust23THRUST_200600_302600_NS10device_ptrIlEEjNS1_19radix_merge_compareILb0ELb0EsNS0_19identity_decomposerEEEEE10hipError_tT0_T1_T2_jT3_P12ihipStream_tbPNSt15iterator_traitsISG_E10value_typeEPNSM_ISH_E10value_typeEPSI_NS1_7vsmem_tEENKUlT_SG_SH_SI_E_clIS7_S7_SB_PlEESF_SV_SG_SH_SI_EUlSV_E0_NS1_11comp_targetILNS1_3genE9ELNS1_11target_archE1100ELNS1_3gpuE3ELNS1_3repE0EEENS1_38merge_mergepath_config_static_selectorELNS0_4arch9wavefront6targetE1EEEvSH_.has_recursion, 0
	.set _ZN7rocprim17ROCPRIM_400000_NS6detail17trampoline_kernelINS0_14default_configENS1_38merge_sort_block_merge_config_selectorIslEEZZNS1_27merge_sort_block_merge_implIS3_PsN6thrust23THRUST_200600_302600_NS10device_ptrIlEEjNS1_19radix_merge_compareILb0ELb0EsNS0_19identity_decomposerEEEEE10hipError_tT0_T1_T2_jT3_P12ihipStream_tbPNSt15iterator_traitsISG_E10value_typeEPNSM_ISH_E10value_typeEPSI_NS1_7vsmem_tEENKUlT_SG_SH_SI_E_clIS7_S7_SB_PlEESF_SV_SG_SH_SI_EUlSV_E0_NS1_11comp_targetILNS1_3genE9ELNS1_11target_archE1100ELNS1_3gpuE3ELNS1_3repE0EEENS1_38merge_mergepath_config_static_selectorELNS0_4arch9wavefront6targetE1EEEvSH_.has_indirect_call, 0
	.section	.AMDGPU.csdata,"",@progbits
; Kernel info:
; codeLenInByte = 0
; TotalNumSgprs: 4
; NumVgprs: 0
; ScratchSize: 0
; MemoryBound: 0
; FloatMode: 240
; IeeeMode: 1
; LDSByteSize: 0 bytes/workgroup (compile time only)
; SGPRBlocks: 0
; VGPRBlocks: 0
; NumSGPRsForWavesPerEU: 4
; NumVGPRsForWavesPerEU: 1
; Occupancy: 10
; WaveLimiterHint : 0
; COMPUTE_PGM_RSRC2:SCRATCH_EN: 0
; COMPUTE_PGM_RSRC2:USER_SGPR: 6
; COMPUTE_PGM_RSRC2:TRAP_HANDLER: 0
; COMPUTE_PGM_RSRC2:TGID_X_EN: 1
; COMPUTE_PGM_RSRC2:TGID_Y_EN: 0
; COMPUTE_PGM_RSRC2:TGID_Z_EN: 0
; COMPUTE_PGM_RSRC2:TIDIG_COMP_CNT: 0
	.section	.text._ZN7rocprim17ROCPRIM_400000_NS6detail17trampoline_kernelINS0_14default_configENS1_38merge_sort_block_merge_config_selectorIslEEZZNS1_27merge_sort_block_merge_implIS3_PsN6thrust23THRUST_200600_302600_NS10device_ptrIlEEjNS1_19radix_merge_compareILb0ELb0EsNS0_19identity_decomposerEEEEE10hipError_tT0_T1_T2_jT3_P12ihipStream_tbPNSt15iterator_traitsISG_E10value_typeEPNSM_ISH_E10value_typeEPSI_NS1_7vsmem_tEENKUlT_SG_SH_SI_E_clIS7_S7_SB_PlEESF_SV_SG_SH_SI_EUlSV_E0_NS1_11comp_targetILNS1_3genE8ELNS1_11target_archE1030ELNS1_3gpuE2ELNS1_3repE0EEENS1_38merge_mergepath_config_static_selectorELNS0_4arch9wavefront6targetE1EEEvSH_,"axG",@progbits,_ZN7rocprim17ROCPRIM_400000_NS6detail17trampoline_kernelINS0_14default_configENS1_38merge_sort_block_merge_config_selectorIslEEZZNS1_27merge_sort_block_merge_implIS3_PsN6thrust23THRUST_200600_302600_NS10device_ptrIlEEjNS1_19radix_merge_compareILb0ELb0EsNS0_19identity_decomposerEEEEE10hipError_tT0_T1_T2_jT3_P12ihipStream_tbPNSt15iterator_traitsISG_E10value_typeEPNSM_ISH_E10value_typeEPSI_NS1_7vsmem_tEENKUlT_SG_SH_SI_E_clIS7_S7_SB_PlEESF_SV_SG_SH_SI_EUlSV_E0_NS1_11comp_targetILNS1_3genE8ELNS1_11target_archE1030ELNS1_3gpuE2ELNS1_3repE0EEENS1_38merge_mergepath_config_static_selectorELNS0_4arch9wavefront6targetE1EEEvSH_,comdat
	.protected	_ZN7rocprim17ROCPRIM_400000_NS6detail17trampoline_kernelINS0_14default_configENS1_38merge_sort_block_merge_config_selectorIslEEZZNS1_27merge_sort_block_merge_implIS3_PsN6thrust23THRUST_200600_302600_NS10device_ptrIlEEjNS1_19radix_merge_compareILb0ELb0EsNS0_19identity_decomposerEEEEE10hipError_tT0_T1_T2_jT3_P12ihipStream_tbPNSt15iterator_traitsISG_E10value_typeEPNSM_ISH_E10value_typeEPSI_NS1_7vsmem_tEENKUlT_SG_SH_SI_E_clIS7_S7_SB_PlEESF_SV_SG_SH_SI_EUlSV_E0_NS1_11comp_targetILNS1_3genE8ELNS1_11target_archE1030ELNS1_3gpuE2ELNS1_3repE0EEENS1_38merge_mergepath_config_static_selectorELNS0_4arch9wavefront6targetE1EEEvSH_ ; -- Begin function _ZN7rocprim17ROCPRIM_400000_NS6detail17trampoline_kernelINS0_14default_configENS1_38merge_sort_block_merge_config_selectorIslEEZZNS1_27merge_sort_block_merge_implIS3_PsN6thrust23THRUST_200600_302600_NS10device_ptrIlEEjNS1_19radix_merge_compareILb0ELb0EsNS0_19identity_decomposerEEEEE10hipError_tT0_T1_T2_jT3_P12ihipStream_tbPNSt15iterator_traitsISG_E10value_typeEPNSM_ISH_E10value_typeEPSI_NS1_7vsmem_tEENKUlT_SG_SH_SI_E_clIS7_S7_SB_PlEESF_SV_SG_SH_SI_EUlSV_E0_NS1_11comp_targetILNS1_3genE8ELNS1_11target_archE1030ELNS1_3gpuE2ELNS1_3repE0EEENS1_38merge_mergepath_config_static_selectorELNS0_4arch9wavefront6targetE1EEEvSH_
	.globl	_ZN7rocprim17ROCPRIM_400000_NS6detail17trampoline_kernelINS0_14default_configENS1_38merge_sort_block_merge_config_selectorIslEEZZNS1_27merge_sort_block_merge_implIS3_PsN6thrust23THRUST_200600_302600_NS10device_ptrIlEEjNS1_19radix_merge_compareILb0ELb0EsNS0_19identity_decomposerEEEEE10hipError_tT0_T1_T2_jT3_P12ihipStream_tbPNSt15iterator_traitsISG_E10value_typeEPNSM_ISH_E10value_typeEPSI_NS1_7vsmem_tEENKUlT_SG_SH_SI_E_clIS7_S7_SB_PlEESF_SV_SG_SH_SI_EUlSV_E0_NS1_11comp_targetILNS1_3genE8ELNS1_11target_archE1030ELNS1_3gpuE2ELNS1_3repE0EEENS1_38merge_mergepath_config_static_selectorELNS0_4arch9wavefront6targetE1EEEvSH_
	.p2align	8
	.type	_ZN7rocprim17ROCPRIM_400000_NS6detail17trampoline_kernelINS0_14default_configENS1_38merge_sort_block_merge_config_selectorIslEEZZNS1_27merge_sort_block_merge_implIS3_PsN6thrust23THRUST_200600_302600_NS10device_ptrIlEEjNS1_19radix_merge_compareILb0ELb0EsNS0_19identity_decomposerEEEEE10hipError_tT0_T1_T2_jT3_P12ihipStream_tbPNSt15iterator_traitsISG_E10value_typeEPNSM_ISH_E10value_typeEPSI_NS1_7vsmem_tEENKUlT_SG_SH_SI_E_clIS7_S7_SB_PlEESF_SV_SG_SH_SI_EUlSV_E0_NS1_11comp_targetILNS1_3genE8ELNS1_11target_archE1030ELNS1_3gpuE2ELNS1_3repE0EEENS1_38merge_mergepath_config_static_selectorELNS0_4arch9wavefront6targetE1EEEvSH_,@function
_ZN7rocprim17ROCPRIM_400000_NS6detail17trampoline_kernelINS0_14default_configENS1_38merge_sort_block_merge_config_selectorIslEEZZNS1_27merge_sort_block_merge_implIS3_PsN6thrust23THRUST_200600_302600_NS10device_ptrIlEEjNS1_19radix_merge_compareILb0ELb0EsNS0_19identity_decomposerEEEEE10hipError_tT0_T1_T2_jT3_P12ihipStream_tbPNSt15iterator_traitsISG_E10value_typeEPNSM_ISH_E10value_typeEPSI_NS1_7vsmem_tEENKUlT_SG_SH_SI_E_clIS7_S7_SB_PlEESF_SV_SG_SH_SI_EUlSV_E0_NS1_11comp_targetILNS1_3genE8ELNS1_11target_archE1030ELNS1_3gpuE2ELNS1_3repE0EEENS1_38merge_mergepath_config_static_selectorELNS0_4arch9wavefront6targetE1EEEvSH_: ; @_ZN7rocprim17ROCPRIM_400000_NS6detail17trampoline_kernelINS0_14default_configENS1_38merge_sort_block_merge_config_selectorIslEEZZNS1_27merge_sort_block_merge_implIS3_PsN6thrust23THRUST_200600_302600_NS10device_ptrIlEEjNS1_19radix_merge_compareILb0ELb0EsNS0_19identity_decomposerEEEEE10hipError_tT0_T1_T2_jT3_P12ihipStream_tbPNSt15iterator_traitsISG_E10value_typeEPNSM_ISH_E10value_typeEPSI_NS1_7vsmem_tEENKUlT_SG_SH_SI_E_clIS7_S7_SB_PlEESF_SV_SG_SH_SI_EUlSV_E0_NS1_11comp_targetILNS1_3genE8ELNS1_11target_archE1030ELNS1_3gpuE2ELNS1_3repE0EEENS1_38merge_mergepath_config_static_selectorELNS0_4arch9wavefront6targetE1EEEvSH_
; %bb.0:
	.section	.rodata,"a",@progbits
	.p2align	6, 0x0
	.amdhsa_kernel _ZN7rocprim17ROCPRIM_400000_NS6detail17trampoline_kernelINS0_14default_configENS1_38merge_sort_block_merge_config_selectorIslEEZZNS1_27merge_sort_block_merge_implIS3_PsN6thrust23THRUST_200600_302600_NS10device_ptrIlEEjNS1_19radix_merge_compareILb0ELb0EsNS0_19identity_decomposerEEEEE10hipError_tT0_T1_T2_jT3_P12ihipStream_tbPNSt15iterator_traitsISG_E10value_typeEPNSM_ISH_E10value_typeEPSI_NS1_7vsmem_tEENKUlT_SG_SH_SI_E_clIS7_S7_SB_PlEESF_SV_SG_SH_SI_EUlSV_E0_NS1_11comp_targetILNS1_3genE8ELNS1_11target_archE1030ELNS1_3gpuE2ELNS1_3repE0EEENS1_38merge_mergepath_config_static_selectorELNS0_4arch9wavefront6targetE1EEEvSH_
		.amdhsa_group_segment_fixed_size 0
		.amdhsa_private_segment_fixed_size 0
		.amdhsa_kernarg_size 64
		.amdhsa_user_sgpr_count 6
		.amdhsa_user_sgpr_private_segment_buffer 1
		.amdhsa_user_sgpr_dispatch_ptr 0
		.amdhsa_user_sgpr_queue_ptr 0
		.amdhsa_user_sgpr_kernarg_segment_ptr 1
		.amdhsa_user_sgpr_dispatch_id 0
		.amdhsa_user_sgpr_flat_scratch_init 0
		.amdhsa_user_sgpr_private_segment_size 0
		.amdhsa_uses_dynamic_stack 0
		.amdhsa_system_sgpr_private_segment_wavefront_offset 0
		.amdhsa_system_sgpr_workgroup_id_x 1
		.amdhsa_system_sgpr_workgroup_id_y 0
		.amdhsa_system_sgpr_workgroup_id_z 0
		.amdhsa_system_sgpr_workgroup_info 0
		.amdhsa_system_vgpr_workitem_id 0
		.amdhsa_next_free_vgpr 1
		.amdhsa_next_free_sgpr 0
		.amdhsa_reserve_vcc 0
		.amdhsa_reserve_flat_scratch 0
		.amdhsa_float_round_mode_32 0
		.amdhsa_float_round_mode_16_64 0
		.amdhsa_float_denorm_mode_32 3
		.amdhsa_float_denorm_mode_16_64 3
		.amdhsa_dx10_clamp 1
		.amdhsa_ieee_mode 1
		.amdhsa_fp16_overflow 0
		.amdhsa_exception_fp_ieee_invalid_op 0
		.amdhsa_exception_fp_denorm_src 0
		.amdhsa_exception_fp_ieee_div_zero 0
		.amdhsa_exception_fp_ieee_overflow 0
		.amdhsa_exception_fp_ieee_underflow 0
		.amdhsa_exception_fp_ieee_inexact 0
		.amdhsa_exception_int_div_zero 0
	.end_amdhsa_kernel
	.section	.text._ZN7rocprim17ROCPRIM_400000_NS6detail17trampoline_kernelINS0_14default_configENS1_38merge_sort_block_merge_config_selectorIslEEZZNS1_27merge_sort_block_merge_implIS3_PsN6thrust23THRUST_200600_302600_NS10device_ptrIlEEjNS1_19radix_merge_compareILb0ELb0EsNS0_19identity_decomposerEEEEE10hipError_tT0_T1_T2_jT3_P12ihipStream_tbPNSt15iterator_traitsISG_E10value_typeEPNSM_ISH_E10value_typeEPSI_NS1_7vsmem_tEENKUlT_SG_SH_SI_E_clIS7_S7_SB_PlEESF_SV_SG_SH_SI_EUlSV_E0_NS1_11comp_targetILNS1_3genE8ELNS1_11target_archE1030ELNS1_3gpuE2ELNS1_3repE0EEENS1_38merge_mergepath_config_static_selectorELNS0_4arch9wavefront6targetE1EEEvSH_,"axG",@progbits,_ZN7rocprim17ROCPRIM_400000_NS6detail17trampoline_kernelINS0_14default_configENS1_38merge_sort_block_merge_config_selectorIslEEZZNS1_27merge_sort_block_merge_implIS3_PsN6thrust23THRUST_200600_302600_NS10device_ptrIlEEjNS1_19radix_merge_compareILb0ELb0EsNS0_19identity_decomposerEEEEE10hipError_tT0_T1_T2_jT3_P12ihipStream_tbPNSt15iterator_traitsISG_E10value_typeEPNSM_ISH_E10value_typeEPSI_NS1_7vsmem_tEENKUlT_SG_SH_SI_E_clIS7_S7_SB_PlEESF_SV_SG_SH_SI_EUlSV_E0_NS1_11comp_targetILNS1_3genE8ELNS1_11target_archE1030ELNS1_3gpuE2ELNS1_3repE0EEENS1_38merge_mergepath_config_static_selectorELNS0_4arch9wavefront6targetE1EEEvSH_,comdat
.Lfunc_end1315:
	.size	_ZN7rocprim17ROCPRIM_400000_NS6detail17trampoline_kernelINS0_14default_configENS1_38merge_sort_block_merge_config_selectorIslEEZZNS1_27merge_sort_block_merge_implIS3_PsN6thrust23THRUST_200600_302600_NS10device_ptrIlEEjNS1_19radix_merge_compareILb0ELb0EsNS0_19identity_decomposerEEEEE10hipError_tT0_T1_T2_jT3_P12ihipStream_tbPNSt15iterator_traitsISG_E10value_typeEPNSM_ISH_E10value_typeEPSI_NS1_7vsmem_tEENKUlT_SG_SH_SI_E_clIS7_S7_SB_PlEESF_SV_SG_SH_SI_EUlSV_E0_NS1_11comp_targetILNS1_3genE8ELNS1_11target_archE1030ELNS1_3gpuE2ELNS1_3repE0EEENS1_38merge_mergepath_config_static_selectorELNS0_4arch9wavefront6targetE1EEEvSH_, .Lfunc_end1315-_ZN7rocprim17ROCPRIM_400000_NS6detail17trampoline_kernelINS0_14default_configENS1_38merge_sort_block_merge_config_selectorIslEEZZNS1_27merge_sort_block_merge_implIS3_PsN6thrust23THRUST_200600_302600_NS10device_ptrIlEEjNS1_19radix_merge_compareILb0ELb0EsNS0_19identity_decomposerEEEEE10hipError_tT0_T1_T2_jT3_P12ihipStream_tbPNSt15iterator_traitsISG_E10value_typeEPNSM_ISH_E10value_typeEPSI_NS1_7vsmem_tEENKUlT_SG_SH_SI_E_clIS7_S7_SB_PlEESF_SV_SG_SH_SI_EUlSV_E0_NS1_11comp_targetILNS1_3genE8ELNS1_11target_archE1030ELNS1_3gpuE2ELNS1_3repE0EEENS1_38merge_mergepath_config_static_selectorELNS0_4arch9wavefront6targetE1EEEvSH_
                                        ; -- End function
	.set _ZN7rocprim17ROCPRIM_400000_NS6detail17trampoline_kernelINS0_14default_configENS1_38merge_sort_block_merge_config_selectorIslEEZZNS1_27merge_sort_block_merge_implIS3_PsN6thrust23THRUST_200600_302600_NS10device_ptrIlEEjNS1_19radix_merge_compareILb0ELb0EsNS0_19identity_decomposerEEEEE10hipError_tT0_T1_T2_jT3_P12ihipStream_tbPNSt15iterator_traitsISG_E10value_typeEPNSM_ISH_E10value_typeEPSI_NS1_7vsmem_tEENKUlT_SG_SH_SI_E_clIS7_S7_SB_PlEESF_SV_SG_SH_SI_EUlSV_E0_NS1_11comp_targetILNS1_3genE8ELNS1_11target_archE1030ELNS1_3gpuE2ELNS1_3repE0EEENS1_38merge_mergepath_config_static_selectorELNS0_4arch9wavefront6targetE1EEEvSH_.num_vgpr, 0
	.set _ZN7rocprim17ROCPRIM_400000_NS6detail17trampoline_kernelINS0_14default_configENS1_38merge_sort_block_merge_config_selectorIslEEZZNS1_27merge_sort_block_merge_implIS3_PsN6thrust23THRUST_200600_302600_NS10device_ptrIlEEjNS1_19radix_merge_compareILb0ELb0EsNS0_19identity_decomposerEEEEE10hipError_tT0_T1_T2_jT3_P12ihipStream_tbPNSt15iterator_traitsISG_E10value_typeEPNSM_ISH_E10value_typeEPSI_NS1_7vsmem_tEENKUlT_SG_SH_SI_E_clIS7_S7_SB_PlEESF_SV_SG_SH_SI_EUlSV_E0_NS1_11comp_targetILNS1_3genE8ELNS1_11target_archE1030ELNS1_3gpuE2ELNS1_3repE0EEENS1_38merge_mergepath_config_static_selectorELNS0_4arch9wavefront6targetE1EEEvSH_.num_agpr, 0
	.set _ZN7rocprim17ROCPRIM_400000_NS6detail17trampoline_kernelINS0_14default_configENS1_38merge_sort_block_merge_config_selectorIslEEZZNS1_27merge_sort_block_merge_implIS3_PsN6thrust23THRUST_200600_302600_NS10device_ptrIlEEjNS1_19radix_merge_compareILb0ELb0EsNS0_19identity_decomposerEEEEE10hipError_tT0_T1_T2_jT3_P12ihipStream_tbPNSt15iterator_traitsISG_E10value_typeEPNSM_ISH_E10value_typeEPSI_NS1_7vsmem_tEENKUlT_SG_SH_SI_E_clIS7_S7_SB_PlEESF_SV_SG_SH_SI_EUlSV_E0_NS1_11comp_targetILNS1_3genE8ELNS1_11target_archE1030ELNS1_3gpuE2ELNS1_3repE0EEENS1_38merge_mergepath_config_static_selectorELNS0_4arch9wavefront6targetE1EEEvSH_.numbered_sgpr, 0
	.set _ZN7rocprim17ROCPRIM_400000_NS6detail17trampoline_kernelINS0_14default_configENS1_38merge_sort_block_merge_config_selectorIslEEZZNS1_27merge_sort_block_merge_implIS3_PsN6thrust23THRUST_200600_302600_NS10device_ptrIlEEjNS1_19radix_merge_compareILb0ELb0EsNS0_19identity_decomposerEEEEE10hipError_tT0_T1_T2_jT3_P12ihipStream_tbPNSt15iterator_traitsISG_E10value_typeEPNSM_ISH_E10value_typeEPSI_NS1_7vsmem_tEENKUlT_SG_SH_SI_E_clIS7_S7_SB_PlEESF_SV_SG_SH_SI_EUlSV_E0_NS1_11comp_targetILNS1_3genE8ELNS1_11target_archE1030ELNS1_3gpuE2ELNS1_3repE0EEENS1_38merge_mergepath_config_static_selectorELNS0_4arch9wavefront6targetE1EEEvSH_.num_named_barrier, 0
	.set _ZN7rocprim17ROCPRIM_400000_NS6detail17trampoline_kernelINS0_14default_configENS1_38merge_sort_block_merge_config_selectorIslEEZZNS1_27merge_sort_block_merge_implIS3_PsN6thrust23THRUST_200600_302600_NS10device_ptrIlEEjNS1_19radix_merge_compareILb0ELb0EsNS0_19identity_decomposerEEEEE10hipError_tT0_T1_T2_jT3_P12ihipStream_tbPNSt15iterator_traitsISG_E10value_typeEPNSM_ISH_E10value_typeEPSI_NS1_7vsmem_tEENKUlT_SG_SH_SI_E_clIS7_S7_SB_PlEESF_SV_SG_SH_SI_EUlSV_E0_NS1_11comp_targetILNS1_3genE8ELNS1_11target_archE1030ELNS1_3gpuE2ELNS1_3repE0EEENS1_38merge_mergepath_config_static_selectorELNS0_4arch9wavefront6targetE1EEEvSH_.private_seg_size, 0
	.set _ZN7rocprim17ROCPRIM_400000_NS6detail17trampoline_kernelINS0_14default_configENS1_38merge_sort_block_merge_config_selectorIslEEZZNS1_27merge_sort_block_merge_implIS3_PsN6thrust23THRUST_200600_302600_NS10device_ptrIlEEjNS1_19radix_merge_compareILb0ELb0EsNS0_19identity_decomposerEEEEE10hipError_tT0_T1_T2_jT3_P12ihipStream_tbPNSt15iterator_traitsISG_E10value_typeEPNSM_ISH_E10value_typeEPSI_NS1_7vsmem_tEENKUlT_SG_SH_SI_E_clIS7_S7_SB_PlEESF_SV_SG_SH_SI_EUlSV_E0_NS1_11comp_targetILNS1_3genE8ELNS1_11target_archE1030ELNS1_3gpuE2ELNS1_3repE0EEENS1_38merge_mergepath_config_static_selectorELNS0_4arch9wavefront6targetE1EEEvSH_.uses_vcc, 0
	.set _ZN7rocprim17ROCPRIM_400000_NS6detail17trampoline_kernelINS0_14default_configENS1_38merge_sort_block_merge_config_selectorIslEEZZNS1_27merge_sort_block_merge_implIS3_PsN6thrust23THRUST_200600_302600_NS10device_ptrIlEEjNS1_19radix_merge_compareILb0ELb0EsNS0_19identity_decomposerEEEEE10hipError_tT0_T1_T2_jT3_P12ihipStream_tbPNSt15iterator_traitsISG_E10value_typeEPNSM_ISH_E10value_typeEPSI_NS1_7vsmem_tEENKUlT_SG_SH_SI_E_clIS7_S7_SB_PlEESF_SV_SG_SH_SI_EUlSV_E0_NS1_11comp_targetILNS1_3genE8ELNS1_11target_archE1030ELNS1_3gpuE2ELNS1_3repE0EEENS1_38merge_mergepath_config_static_selectorELNS0_4arch9wavefront6targetE1EEEvSH_.uses_flat_scratch, 0
	.set _ZN7rocprim17ROCPRIM_400000_NS6detail17trampoline_kernelINS0_14default_configENS1_38merge_sort_block_merge_config_selectorIslEEZZNS1_27merge_sort_block_merge_implIS3_PsN6thrust23THRUST_200600_302600_NS10device_ptrIlEEjNS1_19radix_merge_compareILb0ELb0EsNS0_19identity_decomposerEEEEE10hipError_tT0_T1_T2_jT3_P12ihipStream_tbPNSt15iterator_traitsISG_E10value_typeEPNSM_ISH_E10value_typeEPSI_NS1_7vsmem_tEENKUlT_SG_SH_SI_E_clIS7_S7_SB_PlEESF_SV_SG_SH_SI_EUlSV_E0_NS1_11comp_targetILNS1_3genE8ELNS1_11target_archE1030ELNS1_3gpuE2ELNS1_3repE0EEENS1_38merge_mergepath_config_static_selectorELNS0_4arch9wavefront6targetE1EEEvSH_.has_dyn_sized_stack, 0
	.set _ZN7rocprim17ROCPRIM_400000_NS6detail17trampoline_kernelINS0_14default_configENS1_38merge_sort_block_merge_config_selectorIslEEZZNS1_27merge_sort_block_merge_implIS3_PsN6thrust23THRUST_200600_302600_NS10device_ptrIlEEjNS1_19radix_merge_compareILb0ELb0EsNS0_19identity_decomposerEEEEE10hipError_tT0_T1_T2_jT3_P12ihipStream_tbPNSt15iterator_traitsISG_E10value_typeEPNSM_ISH_E10value_typeEPSI_NS1_7vsmem_tEENKUlT_SG_SH_SI_E_clIS7_S7_SB_PlEESF_SV_SG_SH_SI_EUlSV_E0_NS1_11comp_targetILNS1_3genE8ELNS1_11target_archE1030ELNS1_3gpuE2ELNS1_3repE0EEENS1_38merge_mergepath_config_static_selectorELNS0_4arch9wavefront6targetE1EEEvSH_.has_recursion, 0
	.set _ZN7rocprim17ROCPRIM_400000_NS6detail17trampoline_kernelINS0_14default_configENS1_38merge_sort_block_merge_config_selectorIslEEZZNS1_27merge_sort_block_merge_implIS3_PsN6thrust23THRUST_200600_302600_NS10device_ptrIlEEjNS1_19radix_merge_compareILb0ELb0EsNS0_19identity_decomposerEEEEE10hipError_tT0_T1_T2_jT3_P12ihipStream_tbPNSt15iterator_traitsISG_E10value_typeEPNSM_ISH_E10value_typeEPSI_NS1_7vsmem_tEENKUlT_SG_SH_SI_E_clIS7_S7_SB_PlEESF_SV_SG_SH_SI_EUlSV_E0_NS1_11comp_targetILNS1_3genE8ELNS1_11target_archE1030ELNS1_3gpuE2ELNS1_3repE0EEENS1_38merge_mergepath_config_static_selectorELNS0_4arch9wavefront6targetE1EEEvSH_.has_indirect_call, 0
	.section	.AMDGPU.csdata,"",@progbits
; Kernel info:
; codeLenInByte = 0
; TotalNumSgprs: 4
; NumVgprs: 0
; ScratchSize: 0
; MemoryBound: 0
; FloatMode: 240
; IeeeMode: 1
; LDSByteSize: 0 bytes/workgroup (compile time only)
; SGPRBlocks: 0
; VGPRBlocks: 0
; NumSGPRsForWavesPerEU: 4
; NumVGPRsForWavesPerEU: 1
; Occupancy: 10
; WaveLimiterHint : 0
; COMPUTE_PGM_RSRC2:SCRATCH_EN: 0
; COMPUTE_PGM_RSRC2:USER_SGPR: 6
; COMPUTE_PGM_RSRC2:TRAP_HANDLER: 0
; COMPUTE_PGM_RSRC2:TGID_X_EN: 1
; COMPUTE_PGM_RSRC2:TGID_Y_EN: 0
; COMPUTE_PGM_RSRC2:TGID_Z_EN: 0
; COMPUTE_PGM_RSRC2:TIDIG_COMP_CNT: 0
	.section	.text._ZN7rocprim17ROCPRIM_400000_NS6detail17trampoline_kernelINS0_14default_configENS1_38merge_sort_block_merge_config_selectorIslEEZZNS1_27merge_sort_block_merge_implIS3_PsN6thrust23THRUST_200600_302600_NS10device_ptrIlEEjNS1_19radix_merge_compareILb0ELb0EsNS0_19identity_decomposerEEEEE10hipError_tT0_T1_T2_jT3_P12ihipStream_tbPNSt15iterator_traitsISG_E10value_typeEPNSM_ISH_E10value_typeEPSI_NS1_7vsmem_tEENKUlT_SG_SH_SI_E_clIS7_S7_SB_PlEESF_SV_SG_SH_SI_EUlSV_E1_NS1_11comp_targetILNS1_3genE0ELNS1_11target_archE4294967295ELNS1_3gpuE0ELNS1_3repE0EEENS1_36merge_oddeven_config_static_selectorELNS0_4arch9wavefront6targetE1EEEvSH_,"axG",@progbits,_ZN7rocprim17ROCPRIM_400000_NS6detail17trampoline_kernelINS0_14default_configENS1_38merge_sort_block_merge_config_selectorIslEEZZNS1_27merge_sort_block_merge_implIS3_PsN6thrust23THRUST_200600_302600_NS10device_ptrIlEEjNS1_19radix_merge_compareILb0ELb0EsNS0_19identity_decomposerEEEEE10hipError_tT0_T1_T2_jT3_P12ihipStream_tbPNSt15iterator_traitsISG_E10value_typeEPNSM_ISH_E10value_typeEPSI_NS1_7vsmem_tEENKUlT_SG_SH_SI_E_clIS7_S7_SB_PlEESF_SV_SG_SH_SI_EUlSV_E1_NS1_11comp_targetILNS1_3genE0ELNS1_11target_archE4294967295ELNS1_3gpuE0ELNS1_3repE0EEENS1_36merge_oddeven_config_static_selectorELNS0_4arch9wavefront6targetE1EEEvSH_,comdat
	.protected	_ZN7rocprim17ROCPRIM_400000_NS6detail17trampoline_kernelINS0_14default_configENS1_38merge_sort_block_merge_config_selectorIslEEZZNS1_27merge_sort_block_merge_implIS3_PsN6thrust23THRUST_200600_302600_NS10device_ptrIlEEjNS1_19radix_merge_compareILb0ELb0EsNS0_19identity_decomposerEEEEE10hipError_tT0_T1_T2_jT3_P12ihipStream_tbPNSt15iterator_traitsISG_E10value_typeEPNSM_ISH_E10value_typeEPSI_NS1_7vsmem_tEENKUlT_SG_SH_SI_E_clIS7_S7_SB_PlEESF_SV_SG_SH_SI_EUlSV_E1_NS1_11comp_targetILNS1_3genE0ELNS1_11target_archE4294967295ELNS1_3gpuE0ELNS1_3repE0EEENS1_36merge_oddeven_config_static_selectorELNS0_4arch9wavefront6targetE1EEEvSH_ ; -- Begin function _ZN7rocprim17ROCPRIM_400000_NS6detail17trampoline_kernelINS0_14default_configENS1_38merge_sort_block_merge_config_selectorIslEEZZNS1_27merge_sort_block_merge_implIS3_PsN6thrust23THRUST_200600_302600_NS10device_ptrIlEEjNS1_19radix_merge_compareILb0ELb0EsNS0_19identity_decomposerEEEEE10hipError_tT0_T1_T2_jT3_P12ihipStream_tbPNSt15iterator_traitsISG_E10value_typeEPNSM_ISH_E10value_typeEPSI_NS1_7vsmem_tEENKUlT_SG_SH_SI_E_clIS7_S7_SB_PlEESF_SV_SG_SH_SI_EUlSV_E1_NS1_11comp_targetILNS1_3genE0ELNS1_11target_archE4294967295ELNS1_3gpuE0ELNS1_3repE0EEENS1_36merge_oddeven_config_static_selectorELNS0_4arch9wavefront6targetE1EEEvSH_
	.globl	_ZN7rocprim17ROCPRIM_400000_NS6detail17trampoline_kernelINS0_14default_configENS1_38merge_sort_block_merge_config_selectorIslEEZZNS1_27merge_sort_block_merge_implIS3_PsN6thrust23THRUST_200600_302600_NS10device_ptrIlEEjNS1_19radix_merge_compareILb0ELb0EsNS0_19identity_decomposerEEEEE10hipError_tT0_T1_T2_jT3_P12ihipStream_tbPNSt15iterator_traitsISG_E10value_typeEPNSM_ISH_E10value_typeEPSI_NS1_7vsmem_tEENKUlT_SG_SH_SI_E_clIS7_S7_SB_PlEESF_SV_SG_SH_SI_EUlSV_E1_NS1_11comp_targetILNS1_3genE0ELNS1_11target_archE4294967295ELNS1_3gpuE0ELNS1_3repE0EEENS1_36merge_oddeven_config_static_selectorELNS0_4arch9wavefront6targetE1EEEvSH_
	.p2align	8
	.type	_ZN7rocprim17ROCPRIM_400000_NS6detail17trampoline_kernelINS0_14default_configENS1_38merge_sort_block_merge_config_selectorIslEEZZNS1_27merge_sort_block_merge_implIS3_PsN6thrust23THRUST_200600_302600_NS10device_ptrIlEEjNS1_19radix_merge_compareILb0ELb0EsNS0_19identity_decomposerEEEEE10hipError_tT0_T1_T2_jT3_P12ihipStream_tbPNSt15iterator_traitsISG_E10value_typeEPNSM_ISH_E10value_typeEPSI_NS1_7vsmem_tEENKUlT_SG_SH_SI_E_clIS7_S7_SB_PlEESF_SV_SG_SH_SI_EUlSV_E1_NS1_11comp_targetILNS1_3genE0ELNS1_11target_archE4294967295ELNS1_3gpuE0ELNS1_3repE0EEENS1_36merge_oddeven_config_static_selectorELNS0_4arch9wavefront6targetE1EEEvSH_,@function
_ZN7rocprim17ROCPRIM_400000_NS6detail17trampoline_kernelINS0_14default_configENS1_38merge_sort_block_merge_config_selectorIslEEZZNS1_27merge_sort_block_merge_implIS3_PsN6thrust23THRUST_200600_302600_NS10device_ptrIlEEjNS1_19radix_merge_compareILb0ELb0EsNS0_19identity_decomposerEEEEE10hipError_tT0_T1_T2_jT3_P12ihipStream_tbPNSt15iterator_traitsISG_E10value_typeEPNSM_ISH_E10value_typeEPSI_NS1_7vsmem_tEENKUlT_SG_SH_SI_E_clIS7_S7_SB_PlEESF_SV_SG_SH_SI_EUlSV_E1_NS1_11comp_targetILNS1_3genE0ELNS1_11target_archE4294967295ELNS1_3gpuE0ELNS1_3repE0EEENS1_36merge_oddeven_config_static_selectorELNS0_4arch9wavefront6targetE1EEEvSH_: ; @_ZN7rocprim17ROCPRIM_400000_NS6detail17trampoline_kernelINS0_14default_configENS1_38merge_sort_block_merge_config_selectorIslEEZZNS1_27merge_sort_block_merge_implIS3_PsN6thrust23THRUST_200600_302600_NS10device_ptrIlEEjNS1_19radix_merge_compareILb0ELb0EsNS0_19identity_decomposerEEEEE10hipError_tT0_T1_T2_jT3_P12ihipStream_tbPNSt15iterator_traitsISG_E10value_typeEPNSM_ISH_E10value_typeEPSI_NS1_7vsmem_tEENKUlT_SG_SH_SI_E_clIS7_S7_SB_PlEESF_SV_SG_SH_SI_EUlSV_E1_NS1_11comp_targetILNS1_3genE0ELNS1_11target_archE4294967295ELNS1_3gpuE0ELNS1_3repE0EEENS1_36merge_oddeven_config_static_selectorELNS0_4arch9wavefront6targetE1EEEvSH_
; %bb.0:
	.section	.rodata,"a",@progbits
	.p2align	6, 0x0
	.amdhsa_kernel _ZN7rocprim17ROCPRIM_400000_NS6detail17trampoline_kernelINS0_14default_configENS1_38merge_sort_block_merge_config_selectorIslEEZZNS1_27merge_sort_block_merge_implIS3_PsN6thrust23THRUST_200600_302600_NS10device_ptrIlEEjNS1_19radix_merge_compareILb0ELb0EsNS0_19identity_decomposerEEEEE10hipError_tT0_T1_T2_jT3_P12ihipStream_tbPNSt15iterator_traitsISG_E10value_typeEPNSM_ISH_E10value_typeEPSI_NS1_7vsmem_tEENKUlT_SG_SH_SI_E_clIS7_S7_SB_PlEESF_SV_SG_SH_SI_EUlSV_E1_NS1_11comp_targetILNS1_3genE0ELNS1_11target_archE4294967295ELNS1_3gpuE0ELNS1_3repE0EEENS1_36merge_oddeven_config_static_selectorELNS0_4arch9wavefront6targetE1EEEvSH_
		.amdhsa_group_segment_fixed_size 0
		.amdhsa_private_segment_fixed_size 0
		.amdhsa_kernarg_size 48
		.amdhsa_user_sgpr_count 6
		.amdhsa_user_sgpr_private_segment_buffer 1
		.amdhsa_user_sgpr_dispatch_ptr 0
		.amdhsa_user_sgpr_queue_ptr 0
		.amdhsa_user_sgpr_kernarg_segment_ptr 1
		.amdhsa_user_sgpr_dispatch_id 0
		.amdhsa_user_sgpr_flat_scratch_init 0
		.amdhsa_user_sgpr_private_segment_size 0
		.amdhsa_uses_dynamic_stack 0
		.amdhsa_system_sgpr_private_segment_wavefront_offset 0
		.amdhsa_system_sgpr_workgroup_id_x 1
		.amdhsa_system_sgpr_workgroup_id_y 0
		.amdhsa_system_sgpr_workgroup_id_z 0
		.amdhsa_system_sgpr_workgroup_info 0
		.amdhsa_system_vgpr_workitem_id 0
		.amdhsa_next_free_vgpr 1
		.amdhsa_next_free_sgpr 0
		.amdhsa_reserve_vcc 0
		.amdhsa_reserve_flat_scratch 0
		.amdhsa_float_round_mode_32 0
		.amdhsa_float_round_mode_16_64 0
		.amdhsa_float_denorm_mode_32 3
		.amdhsa_float_denorm_mode_16_64 3
		.amdhsa_dx10_clamp 1
		.amdhsa_ieee_mode 1
		.amdhsa_fp16_overflow 0
		.amdhsa_exception_fp_ieee_invalid_op 0
		.amdhsa_exception_fp_denorm_src 0
		.amdhsa_exception_fp_ieee_div_zero 0
		.amdhsa_exception_fp_ieee_overflow 0
		.amdhsa_exception_fp_ieee_underflow 0
		.amdhsa_exception_fp_ieee_inexact 0
		.amdhsa_exception_int_div_zero 0
	.end_amdhsa_kernel
	.section	.text._ZN7rocprim17ROCPRIM_400000_NS6detail17trampoline_kernelINS0_14default_configENS1_38merge_sort_block_merge_config_selectorIslEEZZNS1_27merge_sort_block_merge_implIS3_PsN6thrust23THRUST_200600_302600_NS10device_ptrIlEEjNS1_19radix_merge_compareILb0ELb0EsNS0_19identity_decomposerEEEEE10hipError_tT0_T1_T2_jT3_P12ihipStream_tbPNSt15iterator_traitsISG_E10value_typeEPNSM_ISH_E10value_typeEPSI_NS1_7vsmem_tEENKUlT_SG_SH_SI_E_clIS7_S7_SB_PlEESF_SV_SG_SH_SI_EUlSV_E1_NS1_11comp_targetILNS1_3genE0ELNS1_11target_archE4294967295ELNS1_3gpuE0ELNS1_3repE0EEENS1_36merge_oddeven_config_static_selectorELNS0_4arch9wavefront6targetE1EEEvSH_,"axG",@progbits,_ZN7rocprim17ROCPRIM_400000_NS6detail17trampoline_kernelINS0_14default_configENS1_38merge_sort_block_merge_config_selectorIslEEZZNS1_27merge_sort_block_merge_implIS3_PsN6thrust23THRUST_200600_302600_NS10device_ptrIlEEjNS1_19radix_merge_compareILb0ELb0EsNS0_19identity_decomposerEEEEE10hipError_tT0_T1_T2_jT3_P12ihipStream_tbPNSt15iterator_traitsISG_E10value_typeEPNSM_ISH_E10value_typeEPSI_NS1_7vsmem_tEENKUlT_SG_SH_SI_E_clIS7_S7_SB_PlEESF_SV_SG_SH_SI_EUlSV_E1_NS1_11comp_targetILNS1_3genE0ELNS1_11target_archE4294967295ELNS1_3gpuE0ELNS1_3repE0EEENS1_36merge_oddeven_config_static_selectorELNS0_4arch9wavefront6targetE1EEEvSH_,comdat
.Lfunc_end1316:
	.size	_ZN7rocprim17ROCPRIM_400000_NS6detail17trampoline_kernelINS0_14default_configENS1_38merge_sort_block_merge_config_selectorIslEEZZNS1_27merge_sort_block_merge_implIS3_PsN6thrust23THRUST_200600_302600_NS10device_ptrIlEEjNS1_19radix_merge_compareILb0ELb0EsNS0_19identity_decomposerEEEEE10hipError_tT0_T1_T2_jT3_P12ihipStream_tbPNSt15iterator_traitsISG_E10value_typeEPNSM_ISH_E10value_typeEPSI_NS1_7vsmem_tEENKUlT_SG_SH_SI_E_clIS7_S7_SB_PlEESF_SV_SG_SH_SI_EUlSV_E1_NS1_11comp_targetILNS1_3genE0ELNS1_11target_archE4294967295ELNS1_3gpuE0ELNS1_3repE0EEENS1_36merge_oddeven_config_static_selectorELNS0_4arch9wavefront6targetE1EEEvSH_, .Lfunc_end1316-_ZN7rocprim17ROCPRIM_400000_NS6detail17trampoline_kernelINS0_14default_configENS1_38merge_sort_block_merge_config_selectorIslEEZZNS1_27merge_sort_block_merge_implIS3_PsN6thrust23THRUST_200600_302600_NS10device_ptrIlEEjNS1_19radix_merge_compareILb0ELb0EsNS0_19identity_decomposerEEEEE10hipError_tT0_T1_T2_jT3_P12ihipStream_tbPNSt15iterator_traitsISG_E10value_typeEPNSM_ISH_E10value_typeEPSI_NS1_7vsmem_tEENKUlT_SG_SH_SI_E_clIS7_S7_SB_PlEESF_SV_SG_SH_SI_EUlSV_E1_NS1_11comp_targetILNS1_3genE0ELNS1_11target_archE4294967295ELNS1_3gpuE0ELNS1_3repE0EEENS1_36merge_oddeven_config_static_selectorELNS0_4arch9wavefront6targetE1EEEvSH_
                                        ; -- End function
	.set _ZN7rocprim17ROCPRIM_400000_NS6detail17trampoline_kernelINS0_14default_configENS1_38merge_sort_block_merge_config_selectorIslEEZZNS1_27merge_sort_block_merge_implIS3_PsN6thrust23THRUST_200600_302600_NS10device_ptrIlEEjNS1_19radix_merge_compareILb0ELb0EsNS0_19identity_decomposerEEEEE10hipError_tT0_T1_T2_jT3_P12ihipStream_tbPNSt15iterator_traitsISG_E10value_typeEPNSM_ISH_E10value_typeEPSI_NS1_7vsmem_tEENKUlT_SG_SH_SI_E_clIS7_S7_SB_PlEESF_SV_SG_SH_SI_EUlSV_E1_NS1_11comp_targetILNS1_3genE0ELNS1_11target_archE4294967295ELNS1_3gpuE0ELNS1_3repE0EEENS1_36merge_oddeven_config_static_selectorELNS0_4arch9wavefront6targetE1EEEvSH_.num_vgpr, 0
	.set _ZN7rocprim17ROCPRIM_400000_NS6detail17trampoline_kernelINS0_14default_configENS1_38merge_sort_block_merge_config_selectorIslEEZZNS1_27merge_sort_block_merge_implIS3_PsN6thrust23THRUST_200600_302600_NS10device_ptrIlEEjNS1_19radix_merge_compareILb0ELb0EsNS0_19identity_decomposerEEEEE10hipError_tT0_T1_T2_jT3_P12ihipStream_tbPNSt15iterator_traitsISG_E10value_typeEPNSM_ISH_E10value_typeEPSI_NS1_7vsmem_tEENKUlT_SG_SH_SI_E_clIS7_S7_SB_PlEESF_SV_SG_SH_SI_EUlSV_E1_NS1_11comp_targetILNS1_3genE0ELNS1_11target_archE4294967295ELNS1_3gpuE0ELNS1_3repE0EEENS1_36merge_oddeven_config_static_selectorELNS0_4arch9wavefront6targetE1EEEvSH_.num_agpr, 0
	.set _ZN7rocprim17ROCPRIM_400000_NS6detail17trampoline_kernelINS0_14default_configENS1_38merge_sort_block_merge_config_selectorIslEEZZNS1_27merge_sort_block_merge_implIS3_PsN6thrust23THRUST_200600_302600_NS10device_ptrIlEEjNS1_19radix_merge_compareILb0ELb0EsNS0_19identity_decomposerEEEEE10hipError_tT0_T1_T2_jT3_P12ihipStream_tbPNSt15iterator_traitsISG_E10value_typeEPNSM_ISH_E10value_typeEPSI_NS1_7vsmem_tEENKUlT_SG_SH_SI_E_clIS7_S7_SB_PlEESF_SV_SG_SH_SI_EUlSV_E1_NS1_11comp_targetILNS1_3genE0ELNS1_11target_archE4294967295ELNS1_3gpuE0ELNS1_3repE0EEENS1_36merge_oddeven_config_static_selectorELNS0_4arch9wavefront6targetE1EEEvSH_.numbered_sgpr, 0
	.set _ZN7rocprim17ROCPRIM_400000_NS6detail17trampoline_kernelINS0_14default_configENS1_38merge_sort_block_merge_config_selectorIslEEZZNS1_27merge_sort_block_merge_implIS3_PsN6thrust23THRUST_200600_302600_NS10device_ptrIlEEjNS1_19radix_merge_compareILb0ELb0EsNS0_19identity_decomposerEEEEE10hipError_tT0_T1_T2_jT3_P12ihipStream_tbPNSt15iterator_traitsISG_E10value_typeEPNSM_ISH_E10value_typeEPSI_NS1_7vsmem_tEENKUlT_SG_SH_SI_E_clIS7_S7_SB_PlEESF_SV_SG_SH_SI_EUlSV_E1_NS1_11comp_targetILNS1_3genE0ELNS1_11target_archE4294967295ELNS1_3gpuE0ELNS1_3repE0EEENS1_36merge_oddeven_config_static_selectorELNS0_4arch9wavefront6targetE1EEEvSH_.num_named_barrier, 0
	.set _ZN7rocprim17ROCPRIM_400000_NS6detail17trampoline_kernelINS0_14default_configENS1_38merge_sort_block_merge_config_selectorIslEEZZNS1_27merge_sort_block_merge_implIS3_PsN6thrust23THRUST_200600_302600_NS10device_ptrIlEEjNS1_19radix_merge_compareILb0ELb0EsNS0_19identity_decomposerEEEEE10hipError_tT0_T1_T2_jT3_P12ihipStream_tbPNSt15iterator_traitsISG_E10value_typeEPNSM_ISH_E10value_typeEPSI_NS1_7vsmem_tEENKUlT_SG_SH_SI_E_clIS7_S7_SB_PlEESF_SV_SG_SH_SI_EUlSV_E1_NS1_11comp_targetILNS1_3genE0ELNS1_11target_archE4294967295ELNS1_3gpuE0ELNS1_3repE0EEENS1_36merge_oddeven_config_static_selectorELNS0_4arch9wavefront6targetE1EEEvSH_.private_seg_size, 0
	.set _ZN7rocprim17ROCPRIM_400000_NS6detail17trampoline_kernelINS0_14default_configENS1_38merge_sort_block_merge_config_selectorIslEEZZNS1_27merge_sort_block_merge_implIS3_PsN6thrust23THRUST_200600_302600_NS10device_ptrIlEEjNS1_19radix_merge_compareILb0ELb0EsNS0_19identity_decomposerEEEEE10hipError_tT0_T1_T2_jT3_P12ihipStream_tbPNSt15iterator_traitsISG_E10value_typeEPNSM_ISH_E10value_typeEPSI_NS1_7vsmem_tEENKUlT_SG_SH_SI_E_clIS7_S7_SB_PlEESF_SV_SG_SH_SI_EUlSV_E1_NS1_11comp_targetILNS1_3genE0ELNS1_11target_archE4294967295ELNS1_3gpuE0ELNS1_3repE0EEENS1_36merge_oddeven_config_static_selectorELNS0_4arch9wavefront6targetE1EEEvSH_.uses_vcc, 0
	.set _ZN7rocprim17ROCPRIM_400000_NS6detail17trampoline_kernelINS0_14default_configENS1_38merge_sort_block_merge_config_selectorIslEEZZNS1_27merge_sort_block_merge_implIS3_PsN6thrust23THRUST_200600_302600_NS10device_ptrIlEEjNS1_19radix_merge_compareILb0ELb0EsNS0_19identity_decomposerEEEEE10hipError_tT0_T1_T2_jT3_P12ihipStream_tbPNSt15iterator_traitsISG_E10value_typeEPNSM_ISH_E10value_typeEPSI_NS1_7vsmem_tEENKUlT_SG_SH_SI_E_clIS7_S7_SB_PlEESF_SV_SG_SH_SI_EUlSV_E1_NS1_11comp_targetILNS1_3genE0ELNS1_11target_archE4294967295ELNS1_3gpuE0ELNS1_3repE0EEENS1_36merge_oddeven_config_static_selectorELNS0_4arch9wavefront6targetE1EEEvSH_.uses_flat_scratch, 0
	.set _ZN7rocprim17ROCPRIM_400000_NS6detail17trampoline_kernelINS0_14default_configENS1_38merge_sort_block_merge_config_selectorIslEEZZNS1_27merge_sort_block_merge_implIS3_PsN6thrust23THRUST_200600_302600_NS10device_ptrIlEEjNS1_19radix_merge_compareILb0ELb0EsNS0_19identity_decomposerEEEEE10hipError_tT0_T1_T2_jT3_P12ihipStream_tbPNSt15iterator_traitsISG_E10value_typeEPNSM_ISH_E10value_typeEPSI_NS1_7vsmem_tEENKUlT_SG_SH_SI_E_clIS7_S7_SB_PlEESF_SV_SG_SH_SI_EUlSV_E1_NS1_11comp_targetILNS1_3genE0ELNS1_11target_archE4294967295ELNS1_3gpuE0ELNS1_3repE0EEENS1_36merge_oddeven_config_static_selectorELNS0_4arch9wavefront6targetE1EEEvSH_.has_dyn_sized_stack, 0
	.set _ZN7rocprim17ROCPRIM_400000_NS6detail17trampoline_kernelINS0_14default_configENS1_38merge_sort_block_merge_config_selectorIslEEZZNS1_27merge_sort_block_merge_implIS3_PsN6thrust23THRUST_200600_302600_NS10device_ptrIlEEjNS1_19radix_merge_compareILb0ELb0EsNS0_19identity_decomposerEEEEE10hipError_tT0_T1_T2_jT3_P12ihipStream_tbPNSt15iterator_traitsISG_E10value_typeEPNSM_ISH_E10value_typeEPSI_NS1_7vsmem_tEENKUlT_SG_SH_SI_E_clIS7_S7_SB_PlEESF_SV_SG_SH_SI_EUlSV_E1_NS1_11comp_targetILNS1_3genE0ELNS1_11target_archE4294967295ELNS1_3gpuE0ELNS1_3repE0EEENS1_36merge_oddeven_config_static_selectorELNS0_4arch9wavefront6targetE1EEEvSH_.has_recursion, 0
	.set _ZN7rocprim17ROCPRIM_400000_NS6detail17trampoline_kernelINS0_14default_configENS1_38merge_sort_block_merge_config_selectorIslEEZZNS1_27merge_sort_block_merge_implIS3_PsN6thrust23THRUST_200600_302600_NS10device_ptrIlEEjNS1_19radix_merge_compareILb0ELb0EsNS0_19identity_decomposerEEEEE10hipError_tT0_T1_T2_jT3_P12ihipStream_tbPNSt15iterator_traitsISG_E10value_typeEPNSM_ISH_E10value_typeEPSI_NS1_7vsmem_tEENKUlT_SG_SH_SI_E_clIS7_S7_SB_PlEESF_SV_SG_SH_SI_EUlSV_E1_NS1_11comp_targetILNS1_3genE0ELNS1_11target_archE4294967295ELNS1_3gpuE0ELNS1_3repE0EEENS1_36merge_oddeven_config_static_selectorELNS0_4arch9wavefront6targetE1EEEvSH_.has_indirect_call, 0
	.section	.AMDGPU.csdata,"",@progbits
; Kernel info:
; codeLenInByte = 0
; TotalNumSgprs: 4
; NumVgprs: 0
; ScratchSize: 0
; MemoryBound: 0
; FloatMode: 240
; IeeeMode: 1
; LDSByteSize: 0 bytes/workgroup (compile time only)
; SGPRBlocks: 0
; VGPRBlocks: 0
; NumSGPRsForWavesPerEU: 4
; NumVGPRsForWavesPerEU: 1
; Occupancy: 10
; WaveLimiterHint : 0
; COMPUTE_PGM_RSRC2:SCRATCH_EN: 0
; COMPUTE_PGM_RSRC2:USER_SGPR: 6
; COMPUTE_PGM_RSRC2:TRAP_HANDLER: 0
; COMPUTE_PGM_RSRC2:TGID_X_EN: 1
; COMPUTE_PGM_RSRC2:TGID_Y_EN: 0
; COMPUTE_PGM_RSRC2:TGID_Z_EN: 0
; COMPUTE_PGM_RSRC2:TIDIG_COMP_CNT: 0
	.section	.text._ZN7rocprim17ROCPRIM_400000_NS6detail17trampoline_kernelINS0_14default_configENS1_38merge_sort_block_merge_config_selectorIslEEZZNS1_27merge_sort_block_merge_implIS3_PsN6thrust23THRUST_200600_302600_NS10device_ptrIlEEjNS1_19radix_merge_compareILb0ELb0EsNS0_19identity_decomposerEEEEE10hipError_tT0_T1_T2_jT3_P12ihipStream_tbPNSt15iterator_traitsISG_E10value_typeEPNSM_ISH_E10value_typeEPSI_NS1_7vsmem_tEENKUlT_SG_SH_SI_E_clIS7_S7_SB_PlEESF_SV_SG_SH_SI_EUlSV_E1_NS1_11comp_targetILNS1_3genE10ELNS1_11target_archE1201ELNS1_3gpuE5ELNS1_3repE0EEENS1_36merge_oddeven_config_static_selectorELNS0_4arch9wavefront6targetE1EEEvSH_,"axG",@progbits,_ZN7rocprim17ROCPRIM_400000_NS6detail17trampoline_kernelINS0_14default_configENS1_38merge_sort_block_merge_config_selectorIslEEZZNS1_27merge_sort_block_merge_implIS3_PsN6thrust23THRUST_200600_302600_NS10device_ptrIlEEjNS1_19radix_merge_compareILb0ELb0EsNS0_19identity_decomposerEEEEE10hipError_tT0_T1_T2_jT3_P12ihipStream_tbPNSt15iterator_traitsISG_E10value_typeEPNSM_ISH_E10value_typeEPSI_NS1_7vsmem_tEENKUlT_SG_SH_SI_E_clIS7_S7_SB_PlEESF_SV_SG_SH_SI_EUlSV_E1_NS1_11comp_targetILNS1_3genE10ELNS1_11target_archE1201ELNS1_3gpuE5ELNS1_3repE0EEENS1_36merge_oddeven_config_static_selectorELNS0_4arch9wavefront6targetE1EEEvSH_,comdat
	.protected	_ZN7rocprim17ROCPRIM_400000_NS6detail17trampoline_kernelINS0_14default_configENS1_38merge_sort_block_merge_config_selectorIslEEZZNS1_27merge_sort_block_merge_implIS3_PsN6thrust23THRUST_200600_302600_NS10device_ptrIlEEjNS1_19radix_merge_compareILb0ELb0EsNS0_19identity_decomposerEEEEE10hipError_tT0_T1_T2_jT3_P12ihipStream_tbPNSt15iterator_traitsISG_E10value_typeEPNSM_ISH_E10value_typeEPSI_NS1_7vsmem_tEENKUlT_SG_SH_SI_E_clIS7_S7_SB_PlEESF_SV_SG_SH_SI_EUlSV_E1_NS1_11comp_targetILNS1_3genE10ELNS1_11target_archE1201ELNS1_3gpuE5ELNS1_3repE0EEENS1_36merge_oddeven_config_static_selectorELNS0_4arch9wavefront6targetE1EEEvSH_ ; -- Begin function _ZN7rocprim17ROCPRIM_400000_NS6detail17trampoline_kernelINS0_14default_configENS1_38merge_sort_block_merge_config_selectorIslEEZZNS1_27merge_sort_block_merge_implIS3_PsN6thrust23THRUST_200600_302600_NS10device_ptrIlEEjNS1_19radix_merge_compareILb0ELb0EsNS0_19identity_decomposerEEEEE10hipError_tT0_T1_T2_jT3_P12ihipStream_tbPNSt15iterator_traitsISG_E10value_typeEPNSM_ISH_E10value_typeEPSI_NS1_7vsmem_tEENKUlT_SG_SH_SI_E_clIS7_S7_SB_PlEESF_SV_SG_SH_SI_EUlSV_E1_NS1_11comp_targetILNS1_3genE10ELNS1_11target_archE1201ELNS1_3gpuE5ELNS1_3repE0EEENS1_36merge_oddeven_config_static_selectorELNS0_4arch9wavefront6targetE1EEEvSH_
	.globl	_ZN7rocprim17ROCPRIM_400000_NS6detail17trampoline_kernelINS0_14default_configENS1_38merge_sort_block_merge_config_selectorIslEEZZNS1_27merge_sort_block_merge_implIS3_PsN6thrust23THRUST_200600_302600_NS10device_ptrIlEEjNS1_19radix_merge_compareILb0ELb0EsNS0_19identity_decomposerEEEEE10hipError_tT0_T1_T2_jT3_P12ihipStream_tbPNSt15iterator_traitsISG_E10value_typeEPNSM_ISH_E10value_typeEPSI_NS1_7vsmem_tEENKUlT_SG_SH_SI_E_clIS7_S7_SB_PlEESF_SV_SG_SH_SI_EUlSV_E1_NS1_11comp_targetILNS1_3genE10ELNS1_11target_archE1201ELNS1_3gpuE5ELNS1_3repE0EEENS1_36merge_oddeven_config_static_selectorELNS0_4arch9wavefront6targetE1EEEvSH_
	.p2align	8
	.type	_ZN7rocprim17ROCPRIM_400000_NS6detail17trampoline_kernelINS0_14default_configENS1_38merge_sort_block_merge_config_selectorIslEEZZNS1_27merge_sort_block_merge_implIS3_PsN6thrust23THRUST_200600_302600_NS10device_ptrIlEEjNS1_19radix_merge_compareILb0ELb0EsNS0_19identity_decomposerEEEEE10hipError_tT0_T1_T2_jT3_P12ihipStream_tbPNSt15iterator_traitsISG_E10value_typeEPNSM_ISH_E10value_typeEPSI_NS1_7vsmem_tEENKUlT_SG_SH_SI_E_clIS7_S7_SB_PlEESF_SV_SG_SH_SI_EUlSV_E1_NS1_11comp_targetILNS1_3genE10ELNS1_11target_archE1201ELNS1_3gpuE5ELNS1_3repE0EEENS1_36merge_oddeven_config_static_selectorELNS0_4arch9wavefront6targetE1EEEvSH_,@function
_ZN7rocprim17ROCPRIM_400000_NS6detail17trampoline_kernelINS0_14default_configENS1_38merge_sort_block_merge_config_selectorIslEEZZNS1_27merge_sort_block_merge_implIS3_PsN6thrust23THRUST_200600_302600_NS10device_ptrIlEEjNS1_19radix_merge_compareILb0ELb0EsNS0_19identity_decomposerEEEEE10hipError_tT0_T1_T2_jT3_P12ihipStream_tbPNSt15iterator_traitsISG_E10value_typeEPNSM_ISH_E10value_typeEPSI_NS1_7vsmem_tEENKUlT_SG_SH_SI_E_clIS7_S7_SB_PlEESF_SV_SG_SH_SI_EUlSV_E1_NS1_11comp_targetILNS1_3genE10ELNS1_11target_archE1201ELNS1_3gpuE5ELNS1_3repE0EEENS1_36merge_oddeven_config_static_selectorELNS0_4arch9wavefront6targetE1EEEvSH_: ; @_ZN7rocprim17ROCPRIM_400000_NS6detail17trampoline_kernelINS0_14default_configENS1_38merge_sort_block_merge_config_selectorIslEEZZNS1_27merge_sort_block_merge_implIS3_PsN6thrust23THRUST_200600_302600_NS10device_ptrIlEEjNS1_19radix_merge_compareILb0ELb0EsNS0_19identity_decomposerEEEEE10hipError_tT0_T1_T2_jT3_P12ihipStream_tbPNSt15iterator_traitsISG_E10value_typeEPNSM_ISH_E10value_typeEPSI_NS1_7vsmem_tEENKUlT_SG_SH_SI_E_clIS7_S7_SB_PlEESF_SV_SG_SH_SI_EUlSV_E1_NS1_11comp_targetILNS1_3genE10ELNS1_11target_archE1201ELNS1_3gpuE5ELNS1_3repE0EEENS1_36merge_oddeven_config_static_selectorELNS0_4arch9wavefront6targetE1EEEvSH_
; %bb.0:
	.section	.rodata,"a",@progbits
	.p2align	6, 0x0
	.amdhsa_kernel _ZN7rocprim17ROCPRIM_400000_NS6detail17trampoline_kernelINS0_14default_configENS1_38merge_sort_block_merge_config_selectorIslEEZZNS1_27merge_sort_block_merge_implIS3_PsN6thrust23THRUST_200600_302600_NS10device_ptrIlEEjNS1_19radix_merge_compareILb0ELb0EsNS0_19identity_decomposerEEEEE10hipError_tT0_T1_T2_jT3_P12ihipStream_tbPNSt15iterator_traitsISG_E10value_typeEPNSM_ISH_E10value_typeEPSI_NS1_7vsmem_tEENKUlT_SG_SH_SI_E_clIS7_S7_SB_PlEESF_SV_SG_SH_SI_EUlSV_E1_NS1_11comp_targetILNS1_3genE10ELNS1_11target_archE1201ELNS1_3gpuE5ELNS1_3repE0EEENS1_36merge_oddeven_config_static_selectorELNS0_4arch9wavefront6targetE1EEEvSH_
		.amdhsa_group_segment_fixed_size 0
		.amdhsa_private_segment_fixed_size 0
		.amdhsa_kernarg_size 48
		.amdhsa_user_sgpr_count 6
		.amdhsa_user_sgpr_private_segment_buffer 1
		.amdhsa_user_sgpr_dispatch_ptr 0
		.amdhsa_user_sgpr_queue_ptr 0
		.amdhsa_user_sgpr_kernarg_segment_ptr 1
		.amdhsa_user_sgpr_dispatch_id 0
		.amdhsa_user_sgpr_flat_scratch_init 0
		.amdhsa_user_sgpr_private_segment_size 0
		.amdhsa_uses_dynamic_stack 0
		.amdhsa_system_sgpr_private_segment_wavefront_offset 0
		.amdhsa_system_sgpr_workgroup_id_x 1
		.amdhsa_system_sgpr_workgroup_id_y 0
		.amdhsa_system_sgpr_workgroup_id_z 0
		.amdhsa_system_sgpr_workgroup_info 0
		.amdhsa_system_vgpr_workitem_id 0
		.amdhsa_next_free_vgpr 1
		.amdhsa_next_free_sgpr 0
		.amdhsa_reserve_vcc 0
		.amdhsa_reserve_flat_scratch 0
		.amdhsa_float_round_mode_32 0
		.amdhsa_float_round_mode_16_64 0
		.amdhsa_float_denorm_mode_32 3
		.amdhsa_float_denorm_mode_16_64 3
		.amdhsa_dx10_clamp 1
		.amdhsa_ieee_mode 1
		.amdhsa_fp16_overflow 0
		.amdhsa_exception_fp_ieee_invalid_op 0
		.amdhsa_exception_fp_denorm_src 0
		.amdhsa_exception_fp_ieee_div_zero 0
		.amdhsa_exception_fp_ieee_overflow 0
		.amdhsa_exception_fp_ieee_underflow 0
		.amdhsa_exception_fp_ieee_inexact 0
		.amdhsa_exception_int_div_zero 0
	.end_amdhsa_kernel
	.section	.text._ZN7rocprim17ROCPRIM_400000_NS6detail17trampoline_kernelINS0_14default_configENS1_38merge_sort_block_merge_config_selectorIslEEZZNS1_27merge_sort_block_merge_implIS3_PsN6thrust23THRUST_200600_302600_NS10device_ptrIlEEjNS1_19radix_merge_compareILb0ELb0EsNS0_19identity_decomposerEEEEE10hipError_tT0_T1_T2_jT3_P12ihipStream_tbPNSt15iterator_traitsISG_E10value_typeEPNSM_ISH_E10value_typeEPSI_NS1_7vsmem_tEENKUlT_SG_SH_SI_E_clIS7_S7_SB_PlEESF_SV_SG_SH_SI_EUlSV_E1_NS1_11comp_targetILNS1_3genE10ELNS1_11target_archE1201ELNS1_3gpuE5ELNS1_3repE0EEENS1_36merge_oddeven_config_static_selectorELNS0_4arch9wavefront6targetE1EEEvSH_,"axG",@progbits,_ZN7rocprim17ROCPRIM_400000_NS6detail17trampoline_kernelINS0_14default_configENS1_38merge_sort_block_merge_config_selectorIslEEZZNS1_27merge_sort_block_merge_implIS3_PsN6thrust23THRUST_200600_302600_NS10device_ptrIlEEjNS1_19radix_merge_compareILb0ELb0EsNS0_19identity_decomposerEEEEE10hipError_tT0_T1_T2_jT3_P12ihipStream_tbPNSt15iterator_traitsISG_E10value_typeEPNSM_ISH_E10value_typeEPSI_NS1_7vsmem_tEENKUlT_SG_SH_SI_E_clIS7_S7_SB_PlEESF_SV_SG_SH_SI_EUlSV_E1_NS1_11comp_targetILNS1_3genE10ELNS1_11target_archE1201ELNS1_3gpuE5ELNS1_3repE0EEENS1_36merge_oddeven_config_static_selectorELNS0_4arch9wavefront6targetE1EEEvSH_,comdat
.Lfunc_end1317:
	.size	_ZN7rocprim17ROCPRIM_400000_NS6detail17trampoline_kernelINS0_14default_configENS1_38merge_sort_block_merge_config_selectorIslEEZZNS1_27merge_sort_block_merge_implIS3_PsN6thrust23THRUST_200600_302600_NS10device_ptrIlEEjNS1_19radix_merge_compareILb0ELb0EsNS0_19identity_decomposerEEEEE10hipError_tT0_T1_T2_jT3_P12ihipStream_tbPNSt15iterator_traitsISG_E10value_typeEPNSM_ISH_E10value_typeEPSI_NS1_7vsmem_tEENKUlT_SG_SH_SI_E_clIS7_S7_SB_PlEESF_SV_SG_SH_SI_EUlSV_E1_NS1_11comp_targetILNS1_3genE10ELNS1_11target_archE1201ELNS1_3gpuE5ELNS1_3repE0EEENS1_36merge_oddeven_config_static_selectorELNS0_4arch9wavefront6targetE1EEEvSH_, .Lfunc_end1317-_ZN7rocprim17ROCPRIM_400000_NS6detail17trampoline_kernelINS0_14default_configENS1_38merge_sort_block_merge_config_selectorIslEEZZNS1_27merge_sort_block_merge_implIS3_PsN6thrust23THRUST_200600_302600_NS10device_ptrIlEEjNS1_19radix_merge_compareILb0ELb0EsNS0_19identity_decomposerEEEEE10hipError_tT0_T1_T2_jT3_P12ihipStream_tbPNSt15iterator_traitsISG_E10value_typeEPNSM_ISH_E10value_typeEPSI_NS1_7vsmem_tEENKUlT_SG_SH_SI_E_clIS7_S7_SB_PlEESF_SV_SG_SH_SI_EUlSV_E1_NS1_11comp_targetILNS1_3genE10ELNS1_11target_archE1201ELNS1_3gpuE5ELNS1_3repE0EEENS1_36merge_oddeven_config_static_selectorELNS0_4arch9wavefront6targetE1EEEvSH_
                                        ; -- End function
	.set _ZN7rocprim17ROCPRIM_400000_NS6detail17trampoline_kernelINS0_14default_configENS1_38merge_sort_block_merge_config_selectorIslEEZZNS1_27merge_sort_block_merge_implIS3_PsN6thrust23THRUST_200600_302600_NS10device_ptrIlEEjNS1_19radix_merge_compareILb0ELb0EsNS0_19identity_decomposerEEEEE10hipError_tT0_T1_T2_jT3_P12ihipStream_tbPNSt15iterator_traitsISG_E10value_typeEPNSM_ISH_E10value_typeEPSI_NS1_7vsmem_tEENKUlT_SG_SH_SI_E_clIS7_S7_SB_PlEESF_SV_SG_SH_SI_EUlSV_E1_NS1_11comp_targetILNS1_3genE10ELNS1_11target_archE1201ELNS1_3gpuE5ELNS1_3repE0EEENS1_36merge_oddeven_config_static_selectorELNS0_4arch9wavefront6targetE1EEEvSH_.num_vgpr, 0
	.set _ZN7rocprim17ROCPRIM_400000_NS6detail17trampoline_kernelINS0_14default_configENS1_38merge_sort_block_merge_config_selectorIslEEZZNS1_27merge_sort_block_merge_implIS3_PsN6thrust23THRUST_200600_302600_NS10device_ptrIlEEjNS1_19radix_merge_compareILb0ELb0EsNS0_19identity_decomposerEEEEE10hipError_tT0_T1_T2_jT3_P12ihipStream_tbPNSt15iterator_traitsISG_E10value_typeEPNSM_ISH_E10value_typeEPSI_NS1_7vsmem_tEENKUlT_SG_SH_SI_E_clIS7_S7_SB_PlEESF_SV_SG_SH_SI_EUlSV_E1_NS1_11comp_targetILNS1_3genE10ELNS1_11target_archE1201ELNS1_3gpuE5ELNS1_3repE0EEENS1_36merge_oddeven_config_static_selectorELNS0_4arch9wavefront6targetE1EEEvSH_.num_agpr, 0
	.set _ZN7rocprim17ROCPRIM_400000_NS6detail17trampoline_kernelINS0_14default_configENS1_38merge_sort_block_merge_config_selectorIslEEZZNS1_27merge_sort_block_merge_implIS3_PsN6thrust23THRUST_200600_302600_NS10device_ptrIlEEjNS1_19radix_merge_compareILb0ELb0EsNS0_19identity_decomposerEEEEE10hipError_tT0_T1_T2_jT3_P12ihipStream_tbPNSt15iterator_traitsISG_E10value_typeEPNSM_ISH_E10value_typeEPSI_NS1_7vsmem_tEENKUlT_SG_SH_SI_E_clIS7_S7_SB_PlEESF_SV_SG_SH_SI_EUlSV_E1_NS1_11comp_targetILNS1_3genE10ELNS1_11target_archE1201ELNS1_3gpuE5ELNS1_3repE0EEENS1_36merge_oddeven_config_static_selectorELNS0_4arch9wavefront6targetE1EEEvSH_.numbered_sgpr, 0
	.set _ZN7rocprim17ROCPRIM_400000_NS6detail17trampoline_kernelINS0_14default_configENS1_38merge_sort_block_merge_config_selectorIslEEZZNS1_27merge_sort_block_merge_implIS3_PsN6thrust23THRUST_200600_302600_NS10device_ptrIlEEjNS1_19radix_merge_compareILb0ELb0EsNS0_19identity_decomposerEEEEE10hipError_tT0_T1_T2_jT3_P12ihipStream_tbPNSt15iterator_traitsISG_E10value_typeEPNSM_ISH_E10value_typeEPSI_NS1_7vsmem_tEENKUlT_SG_SH_SI_E_clIS7_S7_SB_PlEESF_SV_SG_SH_SI_EUlSV_E1_NS1_11comp_targetILNS1_3genE10ELNS1_11target_archE1201ELNS1_3gpuE5ELNS1_3repE0EEENS1_36merge_oddeven_config_static_selectorELNS0_4arch9wavefront6targetE1EEEvSH_.num_named_barrier, 0
	.set _ZN7rocprim17ROCPRIM_400000_NS6detail17trampoline_kernelINS0_14default_configENS1_38merge_sort_block_merge_config_selectorIslEEZZNS1_27merge_sort_block_merge_implIS3_PsN6thrust23THRUST_200600_302600_NS10device_ptrIlEEjNS1_19radix_merge_compareILb0ELb0EsNS0_19identity_decomposerEEEEE10hipError_tT0_T1_T2_jT3_P12ihipStream_tbPNSt15iterator_traitsISG_E10value_typeEPNSM_ISH_E10value_typeEPSI_NS1_7vsmem_tEENKUlT_SG_SH_SI_E_clIS7_S7_SB_PlEESF_SV_SG_SH_SI_EUlSV_E1_NS1_11comp_targetILNS1_3genE10ELNS1_11target_archE1201ELNS1_3gpuE5ELNS1_3repE0EEENS1_36merge_oddeven_config_static_selectorELNS0_4arch9wavefront6targetE1EEEvSH_.private_seg_size, 0
	.set _ZN7rocprim17ROCPRIM_400000_NS6detail17trampoline_kernelINS0_14default_configENS1_38merge_sort_block_merge_config_selectorIslEEZZNS1_27merge_sort_block_merge_implIS3_PsN6thrust23THRUST_200600_302600_NS10device_ptrIlEEjNS1_19radix_merge_compareILb0ELb0EsNS0_19identity_decomposerEEEEE10hipError_tT0_T1_T2_jT3_P12ihipStream_tbPNSt15iterator_traitsISG_E10value_typeEPNSM_ISH_E10value_typeEPSI_NS1_7vsmem_tEENKUlT_SG_SH_SI_E_clIS7_S7_SB_PlEESF_SV_SG_SH_SI_EUlSV_E1_NS1_11comp_targetILNS1_3genE10ELNS1_11target_archE1201ELNS1_3gpuE5ELNS1_3repE0EEENS1_36merge_oddeven_config_static_selectorELNS0_4arch9wavefront6targetE1EEEvSH_.uses_vcc, 0
	.set _ZN7rocprim17ROCPRIM_400000_NS6detail17trampoline_kernelINS0_14default_configENS1_38merge_sort_block_merge_config_selectorIslEEZZNS1_27merge_sort_block_merge_implIS3_PsN6thrust23THRUST_200600_302600_NS10device_ptrIlEEjNS1_19radix_merge_compareILb0ELb0EsNS0_19identity_decomposerEEEEE10hipError_tT0_T1_T2_jT3_P12ihipStream_tbPNSt15iterator_traitsISG_E10value_typeEPNSM_ISH_E10value_typeEPSI_NS1_7vsmem_tEENKUlT_SG_SH_SI_E_clIS7_S7_SB_PlEESF_SV_SG_SH_SI_EUlSV_E1_NS1_11comp_targetILNS1_3genE10ELNS1_11target_archE1201ELNS1_3gpuE5ELNS1_3repE0EEENS1_36merge_oddeven_config_static_selectorELNS0_4arch9wavefront6targetE1EEEvSH_.uses_flat_scratch, 0
	.set _ZN7rocprim17ROCPRIM_400000_NS6detail17trampoline_kernelINS0_14default_configENS1_38merge_sort_block_merge_config_selectorIslEEZZNS1_27merge_sort_block_merge_implIS3_PsN6thrust23THRUST_200600_302600_NS10device_ptrIlEEjNS1_19radix_merge_compareILb0ELb0EsNS0_19identity_decomposerEEEEE10hipError_tT0_T1_T2_jT3_P12ihipStream_tbPNSt15iterator_traitsISG_E10value_typeEPNSM_ISH_E10value_typeEPSI_NS1_7vsmem_tEENKUlT_SG_SH_SI_E_clIS7_S7_SB_PlEESF_SV_SG_SH_SI_EUlSV_E1_NS1_11comp_targetILNS1_3genE10ELNS1_11target_archE1201ELNS1_3gpuE5ELNS1_3repE0EEENS1_36merge_oddeven_config_static_selectorELNS0_4arch9wavefront6targetE1EEEvSH_.has_dyn_sized_stack, 0
	.set _ZN7rocprim17ROCPRIM_400000_NS6detail17trampoline_kernelINS0_14default_configENS1_38merge_sort_block_merge_config_selectorIslEEZZNS1_27merge_sort_block_merge_implIS3_PsN6thrust23THRUST_200600_302600_NS10device_ptrIlEEjNS1_19radix_merge_compareILb0ELb0EsNS0_19identity_decomposerEEEEE10hipError_tT0_T1_T2_jT3_P12ihipStream_tbPNSt15iterator_traitsISG_E10value_typeEPNSM_ISH_E10value_typeEPSI_NS1_7vsmem_tEENKUlT_SG_SH_SI_E_clIS7_S7_SB_PlEESF_SV_SG_SH_SI_EUlSV_E1_NS1_11comp_targetILNS1_3genE10ELNS1_11target_archE1201ELNS1_3gpuE5ELNS1_3repE0EEENS1_36merge_oddeven_config_static_selectorELNS0_4arch9wavefront6targetE1EEEvSH_.has_recursion, 0
	.set _ZN7rocprim17ROCPRIM_400000_NS6detail17trampoline_kernelINS0_14default_configENS1_38merge_sort_block_merge_config_selectorIslEEZZNS1_27merge_sort_block_merge_implIS3_PsN6thrust23THRUST_200600_302600_NS10device_ptrIlEEjNS1_19radix_merge_compareILb0ELb0EsNS0_19identity_decomposerEEEEE10hipError_tT0_T1_T2_jT3_P12ihipStream_tbPNSt15iterator_traitsISG_E10value_typeEPNSM_ISH_E10value_typeEPSI_NS1_7vsmem_tEENKUlT_SG_SH_SI_E_clIS7_S7_SB_PlEESF_SV_SG_SH_SI_EUlSV_E1_NS1_11comp_targetILNS1_3genE10ELNS1_11target_archE1201ELNS1_3gpuE5ELNS1_3repE0EEENS1_36merge_oddeven_config_static_selectorELNS0_4arch9wavefront6targetE1EEEvSH_.has_indirect_call, 0
	.section	.AMDGPU.csdata,"",@progbits
; Kernel info:
; codeLenInByte = 0
; TotalNumSgprs: 4
; NumVgprs: 0
; ScratchSize: 0
; MemoryBound: 0
; FloatMode: 240
; IeeeMode: 1
; LDSByteSize: 0 bytes/workgroup (compile time only)
; SGPRBlocks: 0
; VGPRBlocks: 0
; NumSGPRsForWavesPerEU: 4
; NumVGPRsForWavesPerEU: 1
; Occupancy: 10
; WaveLimiterHint : 0
; COMPUTE_PGM_RSRC2:SCRATCH_EN: 0
; COMPUTE_PGM_RSRC2:USER_SGPR: 6
; COMPUTE_PGM_RSRC2:TRAP_HANDLER: 0
; COMPUTE_PGM_RSRC2:TGID_X_EN: 1
; COMPUTE_PGM_RSRC2:TGID_Y_EN: 0
; COMPUTE_PGM_RSRC2:TGID_Z_EN: 0
; COMPUTE_PGM_RSRC2:TIDIG_COMP_CNT: 0
	.section	.text._ZN7rocprim17ROCPRIM_400000_NS6detail17trampoline_kernelINS0_14default_configENS1_38merge_sort_block_merge_config_selectorIslEEZZNS1_27merge_sort_block_merge_implIS3_PsN6thrust23THRUST_200600_302600_NS10device_ptrIlEEjNS1_19radix_merge_compareILb0ELb0EsNS0_19identity_decomposerEEEEE10hipError_tT0_T1_T2_jT3_P12ihipStream_tbPNSt15iterator_traitsISG_E10value_typeEPNSM_ISH_E10value_typeEPSI_NS1_7vsmem_tEENKUlT_SG_SH_SI_E_clIS7_S7_SB_PlEESF_SV_SG_SH_SI_EUlSV_E1_NS1_11comp_targetILNS1_3genE5ELNS1_11target_archE942ELNS1_3gpuE9ELNS1_3repE0EEENS1_36merge_oddeven_config_static_selectorELNS0_4arch9wavefront6targetE1EEEvSH_,"axG",@progbits,_ZN7rocprim17ROCPRIM_400000_NS6detail17trampoline_kernelINS0_14default_configENS1_38merge_sort_block_merge_config_selectorIslEEZZNS1_27merge_sort_block_merge_implIS3_PsN6thrust23THRUST_200600_302600_NS10device_ptrIlEEjNS1_19radix_merge_compareILb0ELb0EsNS0_19identity_decomposerEEEEE10hipError_tT0_T1_T2_jT3_P12ihipStream_tbPNSt15iterator_traitsISG_E10value_typeEPNSM_ISH_E10value_typeEPSI_NS1_7vsmem_tEENKUlT_SG_SH_SI_E_clIS7_S7_SB_PlEESF_SV_SG_SH_SI_EUlSV_E1_NS1_11comp_targetILNS1_3genE5ELNS1_11target_archE942ELNS1_3gpuE9ELNS1_3repE0EEENS1_36merge_oddeven_config_static_selectorELNS0_4arch9wavefront6targetE1EEEvSH_,comdat
	.protected	_ZN7rocprim17ROCPRIM_400000_NS6detail17trampoline_kernelINS0_14default_configENS1_38merge_sort_block_merge_config_selectorIslEEZZNS1_27merge_sort_block_merge_implIS3_PsN6thrust23THRUST_200600_302600_NS10device_ptrIlEEjNS1_19radix_merge_compareILb0ELb0EsNS0_19identity_decomposerEEEEE10hipError_tT0_T1_T2_jT3_P12ihipStream_tbPNSt15iterator_traitsISG_E10value_typeEPNSM_ISH_E10value_typeEPSI_NS1_7vsmem_tEENKUlT_SG_SH_SI_E_clIS7_S7_SB_PlEESF_SV_SG_SH_SI_EUlSV_E1_NS1_11comp_targetILNS1_3genE5ELNS1_11target_archE942ELNS1_3gpuE9ELNS1_3repE0EEENS1_36merge_oddeven_config_static_selectorELNS0_4arch9wavefront6targetE1EEEvSH_ ; -- Begin function _ZN7rocprim17ROCPRIM_400000_NS6detail17trampoline_kernelINS0_14default_configENS1_38merge_sort_block_merge_config_selectorIslEEZZNS1_27merge_sort_block_merge_implIS3_PsN6thrust23THRUST_200600_302600_NS10device_ptrIlEEjNS1_19radix_merge_compareILb0ELb0EsNS0_19identity_decomposerEEEEE10hipError_tT0_T1_T2_jT3_P12ihipStream_tbPNSt15iterator_traitsISG_E10value_typeEPNSM_ISH_E10value_typeEPSI_NS1_7vsmem_tEENKUlT_SG_SH_SI_E_clIS7_S7_SB_PlEESF_SV_SG_SH_SI_EUlSV_E1_NS1_11comp_targetILNS1_3genE5ELNS1_11target_archE942ELNS1_3gpuE9ELNS1_3repE0EEENS1_36merge_oddeven_config_static_selectorELNS0_4arch9wavefront6targetE1EEEvSH_
	.globl	_ZN7rocprim17ROCPRIM_400000_NS6detail17trampoline_kernelINS0_14default_configENS1_38merge_sort_block_merge_config_selectorIslEEZZNS1_27merge_sort_block_merge_implIS3_PsN6thrust23THRUST_200600_302600_NS10device_ptrIlEEjNS1_19radix_merge_compareILb0ELb0EsNS0_19identity_decomposerEEEEE10hipError_tT0_T1_T2_jT3_P12ihipStream_tbPNSt15iterator_traitsISG_E10value_typeEPNSM_ISH_E10value_typeEPSI_NS1_7vsmem_tEENKUlT_SG_SH_SI_E_clIS7_S7_SB_PlEESF_SV_SG_SH_SI_EUlSV_E1_NS1_11comp_targetILNS1_3genE5ELNS1_11target_archE942ELNS1_3gpuE9ELNS1_3repE0EEENS1_36merge_oddeven_config_static_selectorELNS0_4arch9wavefront6targetE1EEEvSH_
	.p2align	8
	.type	_ZN7rocprim17ROCPRIM_400000_NS6detail17trampoline_kernelINS0_14default_configENS1_38merge_sort_block_merge_config_selectorIslEEZZNS1_27merge_sort_block_merge_implIS3_PsN6thrust23THRUST_200600_302600_NS10device_ptrIlEEjNS1_19radix_merge_compareILb0ELb0EsNS0_19identity_decomposerEEEEE10hipError_tT0_T1_T2_jT3_P12ihipStream_tbPNSt15iterator_traitsISG_E10value_typeEPNSM_ISH_E10value_typeEPSI_NS1_7vsmem_tEENKUlT_SG_SH_SI_E_clIS7_S7_SB_PlEESF_SV_SG_SH_SI_EUlSV_E1_NS1_11comp_targetILNS1_3genE5ELNS1_11target_archE942ELNS1_3gpuE9ELNS1_3repE0EEENS1_36merge_oddeven_config_static_selectorELNS0_4arch9wavefront6targetE1EEEvSH_,@function
_ZN7rocprim17ROCPRIM_400000_NS6detail17trampoline_kernelINS0_14default_configENS1_38merge_sort_block_merge_config_selectorIslEEZZNS1_27merge_sort_block_merge_implIS3_PsN6thrust23THRUST_200600_302600_NS10device_ptrIlEEjNS1_19radix_merge_compareILb0ELb0EsNS0_19identity_decomposerEEEEE10hipError_tT0_T1_T2_jT3_P12ihipStream_tbPNSt15iterator_traitsISG_E10value_typeEPNSM_ISH_E10value_typeEPSI_NS1_7vsmem_tEENKUlT_SG_SH_SI_E_clIS7_S7_SB_PlEESF_SV_SG_SH_SI_EUlSV_E1_NS1_11comp_targetILNS1_3genE5ELNS1_11target_archE942ELNS1_3gpuE9ELNS1_3repE0EEENS1_36merge_oddeven_config_static_selectorELNS0_4arch9wavefront6targetE1EEEvSH_: ; @_ZN7rocprim17ROCPRIM_400000_NS6detail17trampoline_kernelINS0_14default_configENS1_38merge_sort_block_merge_config_selectorIslEEZZNS1_27merge_sort_block_merge_implIS3_PsN6thrust23THRUST_200600_302600_NS10device_ptrIlEEjNS1_19radix_merge_compareILb0ELb0EsNS0_19identity_decomposerEEEEE10hipError_tT0_T1_T2_jT3_P12ihipStream_tbPNSt15iterator_traitsISG_E10value_typeEPNSM_ISH_E10value_typeEPSI_NS1_7vsmem_tEENKUlT_SG_SH_SI_E_clIS7_S7_SB_PlEESF_SV_SG_SH_SI_EUlSV_E1_NS1_11comp_targetILNS1_3genE5ELNS1_11target_archE942ELNS1_3gpuE9ELNS1_3repE0EEENS1_36merge_oddeven_config_static_selectorELNS0_4arch9wavefront6targetE1EEEvSH_
; %bb.0:
	.section	.rodata,"a",@progbits
	.p2align	6, 0x0
	.amdhsa_kernel _ZN7rocprim17ROCPRIM_400000_NS6detail17trampoline_kernelINS0_14default_configENS1_38merge_sort_block_merge_config_selectorIslEEZZNS1_27merge_sort_block_merge_implIS3_PsN6thrust23THRUST_200600_302600_NS10device_ptrIlEEjNS1_19radix_merge_compareILb0ELb0EsNS0_19identity_decomposerEEEEE10hipError_tT0_T1_T2_jT3_P12ihipStream_tbPNSt15iterator_traitsISG_E10value_typeEPNSM_ISH_E10value_typeEPSI_NS1_7vsmem_tEENKUlT_SG_SH_SI_E_clIS7_S7_SB_PlEESF_SV_SG_SH_SI_EUlSV_E1_NS1_11comp_targetILNS1_3genE5ELNS1_11target_archE942ELNS1_3gpuE9ELNS1_3repE0EEENS1_36merge_oddeven_config_static_selectorELNS0_4arch9wavefront6targetE1EEEvSH_
		.amdhsa_group_segment_fixed_size 0
		.amdhsa_private_segment_fixed_size 0
		.amdhsa_kernarg_size 48
		.amdhsa_user_sgpr_count 6
		.amdhsa_user_sgpr_private_segment_buffer 1
		.amdhsa_user_sgpr_dispatch_ptr 0
		.amdhsa_user_sgpr_queue_ptr 0
		.amdhsa_user_sgpr_kernarg_segment_ptr 1
		.amdhsa_user_sgpr_dispatch_id 0
		.amdhsa_user_sgpr_flat_scratch_init 0
		.amdhsa_user_sgpr_private_segment_size 0
		.amdhsa_uses_dynamic_stack 0
		.amdhsa_system_sgpr_private_segment_wavefront_offset 0
		.amdhsa_system_sgpr_workgroup_id_x 1
		.amdhsa_system_sgpr_workgroup_id_y 0
		.amdhsa_system_sgpr_workgroup_id_z 0
		.amdhsa_system_sgpr_workgroup_info 0
		.amdhsa_system_vgpr_workitem_id 0
		.amdhsa_next_free_vgpr 1
		.amdhsa_next_free_sgpr 0
		.amdhsa_reserve_vcc 0
		.amdhsa_reserve_flat_scratch 0
		.amdhsa_float_round_mode_32 0
		.amdhsa_float_round_mode_16_64 0
		.amdhsa_float_denorm_mode_32 3
		.amdhsa_float_denorm_mode_16_64 3
		.amdhsa_dx10_clamp 1
		.amdhsa_ieee_mode 1
		.amdhsa_fp16_overflow 0
		.amdhsa_exception_fp_ieee_invalid_op 0
		.amdhsa_exception_fp_denorm_src 0
		.amdhsa_exception_fp_ieee_div_zero 0
		.amdhsa_exception_fp_ieee_overflow 0
		.amdhsa_exception_fp_ieee_underflow 0
		.amdhsa_exception_fp_ieee_inexact 0
		.amdhsa_exception_int_div_zero 0
	.end_amdhsa_kernel
	.section	.text._ZN7rocprim17ROCPRIM_400000_NS6detail17trampoline_kernelINS0_14default_configENS1_38merge_sort_block_merge_config_selectorIslEEZZNS1_27merge_sort_block_merge_implIS3_PsN6thrust23THRUST_200600_302600_NS10device_ptrIlEEjNS1_19radix_merge_compareILb0ELb0EsNS0_19identity_decomposerEEEEE10hipError_tT0_T1_T2_jT3_P12ihipStream_tbPNSt15iterator_traitsISG_E10value_typeEPNSM_ISH_E10value_typeEPSI_NS1_7vsmem_tEENKUlT_SG_SH_SI_E_clIS7_S7_SB_PlEESF_SV_SG_SH_SI_EUlSV_E1_NS1_11comp_targetILNS1_3genE5ELNS1_11target_archE942ELNS1_3gpuE9ELNS1_3repE0EEENS1_36merge_oddeven_config_static_selectorELNS0_4arch9wavefront6targetE1EEEvSH_,"axG",@progbits,_ZN7rocprim17ROCPRIM_400000_NS6detail17trampoline_kernelINS0_14default_configENS1_38merge_sort_block_merge_config_selectorIslEEZZNS1_27merge_sort_block_merge_implIS3_PsN6thrust23THRUST_200600_302600_NS10device_ptrIlEEjNS1_19radix_merge_compareILb0ELb0EsNS0_19identity_decomposerEEEEE10hipError_tT0_T1_T2_jT3_P12ihipStream_tbPNSt15iterator_traitsISG_E10value_typeEPNSM_ISH_E10value_typeEPSI_NS1_7vsmem_tEENKUlT_SG_SH_SI_E_clIS7_S7_SB_PlEESF_SV_SG_SH_SI_EUlSV_E1_NS1_11comp_targetILNS1_3genE5ELNS1_11target_archE942ELNS1_3gpuE9ELNS1_3repE0EEENS1_36merge_oddeven_config_static_selectorELNS0_4arch9wavefront6targetE1EEEvSH_,comdat
.Lfunc_end1318:
	.size	_ZN7rocprim17ROCPRIM_400000_NS6detail17trampoline_kernelINS0_14default_configENS1_38merge_sort_block_merge_config_selectorIslEEZZNS1_27merge_sort_block_merge_implIS3_PsN6thrust23THRUST_200600_302600_NS10device_ptrIlEEjNS1_19radix_merge_compareILb0ELb0EsNS0_19identity_decomposerEEEEE10hipError_tT0_T1_T2_jT3_P12ihipStream_tbPNSt15iterator_traitsISG_E10value_typeEPNSM_ISH_E10value_typeEPSI_NS1_7vsmem_tEENKUlT_SG_SH_SI_E_clIS7_S7_SB_PlEESF_SV_SG_SH_SI_EUlSV_E1_NS1_11comp_targetILNS1_3genE5ELNS1_11target_archE942ELNS1_3gpuE9ELNS1_3repE0EEENS1_36merge_oddeven_config_static_selectorELNS0_4arch9wavefront6targetE1EEEvSH_, .Lfunc_end1318-_ZN7rocprim17ROCPRIM_400000_NS6detail17trampoline_kernelINS0_14default_configENS1_38merge_sort_block_merge_config_selectorIslEEZZNS1_27merge_sort_block_merge_implIS3_PsN6thrust23THRUST_200600_302600_NS10device_ptrIlEEjNS1_19radix_merge_compareILb0ELb0EsNS0_19identity_decomposerEEEEE10hipError_tT0_T1_T2_jT3_P12ihipStream_tbPNSt15iterator_traitsISG_E10value_typeEPNSM_ISH_E10value_typeEPSI_NS1_7vsmem_tEENKUlT_SG_SH_SI_E_clIS7_S7_SB_PlEESF_SV_SG_SH_SI_EUlSV_E1_NS1_11comp_targetILNS1_3genE5ELNS1_11target_archE942ELNS1_3gpuE9ELNS1_3repE0EEENS1_36merge_oddeven_config_static_selectorELNS0_4arch9wavefront6targetE1EEEvSH_
                                        ; -- End function
	.set _ZN7rocprim17ROCPRIM_400000_NS6detail17trampoline_kernelINS0_14default_configENS1_38merge_sort_block_merge_config_selectorIslEEZZNS1_27merge_sort_block_merge_implIS3_PsN6thrust23THRUST_200600_302600_NS10device_ptrIlEEjNS1_19radix_merge_compareILb0ELb0EsNS0_19identity_decomposerEEEEE10hipError_tT0_T1_T2_jT3_P12ihipStream_tbPNSt15iterator_traitsISG_E10value_typeEPNSM_ISH_E10value_typeEPSI_NS1_7vsmem_tEENKUlT_SG_SH_SI_E_clIS7_S7_SB_PlEESF_SV_SG_SH_SI_EUlSV_E1_NS1_11comp_targetILNS1_3genE5ELNS1_11target_archE942ELNS1_3gpuE9ELNS1_3repE0EEENS1_36merge_oddeven_config_static_selectorELNS0_4arch9wavefront6targetE1EEEvSH_.num_vgpr, 0
	.set _ZN7rocprim17ROCPRIM_400000_NS6detail17trampoline_kernelINS0_14default_configENS1_38merge_sort_block_merge_config_selectorIslEEZZNS1_27merge_sort_block_merge_implIS3_PsN6thrust23THRUST_200600_302600_NS10device_ptrIlEEjNS1_19radix_merge_compareILb0ELb0EsNS0_19identity_decomposerEEEEE10hipError_tT0_T1_T2_jT3_P12ihipStream_tbPNSt15iterator_traitsISG_E10value_typeEPNSM_ISH_E10value_typeEPSI_NS1_7vsmem_tEENKUlT_SG_SH_SI_E_clIS7_S7_SB_PlEESF_SV_SG_SH_SI_EUlSV_E1_NS1_11comp_targetILNS1_3genE5ELNS1_11target_archE942ELNS1_3gpuE9ELNS1_3repE0EEENS1_36merge_oddeven_config_static_selectorELNS0_4arch9wavefront6targetE1EEEvSH_.num_agpr, 0
	.set _ZN7rocprim17ROCPRIM_400000_NS6detail17trampoline_kernelINS0_14default_configENS1_38merge_sort_block_merge_config_selectorIslEEZZNS1_27merge_sort_block_merge_implIS3_PsN6thrust23THRUST_200600_302600_NS10device_ptrIlEEjNS1_19radix_merge_compareILb0ELb0EsNS0_19identity_decomposerEEEEE10hipError_tT0_T1_T2_jT3_P12ihipStream_tbPNSt15iterator_traitsISG_E10value_typeEPNSM_ISH_E10value_typeEPSI_NS1_7vsmem_tEENKUlT_SG_SH_SI_E_clIS7_S7_SB_PlEESF_SV_SG_SH_SI_EUlSV_E1_NS1_11comp_targetILNS1_3genE5ELNS1_11target_archE942ELNS1_3gpuE9ELNS1_3repE0EEENS1_36merge_oddeven_config_static_selectorELNS0_4arch9wavefront6targetE1EEEvSH_.numbered_sgpr, 0
	.set _ZN7rocprim17ROCPRIM_400000_NS6detail17trampoline_kernelINS0_14default_configENS1_38merge_sort_block_merge_config_selectorIslEEZZNS1_27merge_sort_block_merge_implIS3_PsN6thrust23THRUST_200600_302600_NS10device_ptrIlEEjNS1_19radix_merge_compareILb0ELb0EsNS0_19identity_decomposerEEEEE10hipError_tT0_T1_T2_jT3_P12ihipStream_tbPNSt15iterator_traitsISG_E10value_typeEPNSM_ISH_E10value_typeEPSI_NS1_7vsmem_tEENKUlT_SG_SH_SI_E_clIS7_S7_SB_PlEESF_SV_SG_SH_SI_EUlSV_E1_NS1_11comp_targetILNS1_3genE5ELNS1_11target_archE942ELNS1_3gpuE9ELNS1_3repE0EEENS1_36merge_oddeven_config_static_selectorELNS0_4arch9wavefront6targetE1EEEvSH_.num_named_barrier, 0
	.set _ZN7rocprim17ROCPRIM_400000_NS6detail17trampoline_kernelINS0_14default_configENS1_38merge_sort_block_merge_config_selectorIslEEZZNS1_27merge_sort_block_merge_implIS3_PsN6thrust23THRUST_200600_302600_NS10device_ptrIlEEjNS1_19radix_merge_compareILb0ELb0EsNS0_19identity_decomposerEEEEE10hipError_tT0_T1_T2_jT3_P12ihipStream_tbPNSt15iterator_traitsISG_E10value_typeEPNSM_ISH_E10value_typeEPSI_NS1_7vsmem_tEENKUlT_SG_SH_SI_E_clIS7_S7_SB_PlEESF_SV_SG_SH_SI_EUlSV_E1_NS1_11comp_targetILNS1_3genE5ELNS1_11target_archE942ELNS1_3gpuE9ELNS1_3repE0EEENS1_36merge_oddeven_config_static_selectorELNS0_4arch9wavefront6targetE1EEEvSH_.private_seg_size, 0
	.set _ZN7rocprim17ROCPRIM_400000_NS6detail17trampoline_kernelINS0_14default_configENS1_38merge_sort_block_merge_config_selectorIslEEZZNS1_27merge_sort_block_merge_implIS3_PsN6thrust23THRUST_200600_302600_NS10device_ptrIlEEjNS1_19radix_merge_compareILb0ELb0EsNS0_19identity_decomposerEEEEE10hipError_tT0_T1_T2_jT3_P12ihipStream_tbPNSt15iterator_traitsISG_E10value_typeEPNSM_ISH_E10value_typeEPSI_NS1_7vsmem_tEENKUlT_SG_SH_SI_E_clIS7_S7_SB_PlEESF_SV_SG_SH_SI_EUlSV_E1_NS1_11comp_targetILNS1_3genE5ELNS1_11target_archE942ELNS1_3gpuE9ELNS1_3repE0EEENS1_36merge_oddeven_config_static_selectorELNS0_4arch9wavefront6targetE1EEEvSH_.uses_vcc, 0
	.set _ZN7rocprim17ROCPRIM_400000_NS6detail17trampoline_kernelINS0_14default_configENS1_38merge_sort_block_merge_config_selectorIslEEZZNS1_27merge_sort_block_merge_implIS3_PsN6thrust23THRUST_200600_302600_NS10device_ptrIlEEjNS1_19radix_merge_compareILb0ELb0EsNS0_19identity_decomposerEEEEE10hipError_tT0_T1_T2_jT3_P12ihipStream_tbPNSt15iterator_traitsISG_E10value_typeEPNSM_ISH_E10value_typeEPSI_NS1_7vsmem_tEENKUlT_SG_SH_SI_E_clIS7_S7_SB_PlEESF_SV_SG_SH_SI_EUlSV_E1_NS1_11comp_targetILNS1_3genE5ELNS1_11target_archE942ELNS1_3gpuE9ELNS1_3repE0EEENS1_36merge_oddeven_config_static_selectorELNS0_4arch9wavefront6targetE1EEEvSH_.uses_flat_scratch, 0
	.set _ZN7rocprim17ROCPRIM_400000_NS6detail17trampoline_kernelINS0_14default_configENS1_38merge_sort_block_merge_config_selectorIslEEZZNS1_27merge_sort_block_merge_implIS3_PsN6thrust23THRUST_200600_302600_NS10device_ptrIlEEjNS1_19radix_merge_compareILb0ELb0EsNS0_19identity_decomposerEEEEE10hipError_tT0_T1_T2_jT3_P12ihipStream_tbPNSt15iterator_traitsISG_E10value_typeEPNSM_ISH_E10value_typeEPSI_NS1_7vsmem_tEENKUlT_SG_SH_SI_E_clIS7_S7_SB_PlEESF_SV_SG_SH_SI_EUlSV_E1_NS1_11comp_targetILNS1_3genE5ELNS1_11target_archE942ELNS1_3gpuE9ELNS1_3repE0EEENS1_36merge_oddeven_config_static_selectorELNS0_4arch9wavefront6targetE1EEEvSH_.has_dyn_sized_stack, 0
	.set _ZN7rocprim17ROCPRIM_400000_NS6detail17trampoline_kernelINS0_14default_configENS1_38merge_sort_block_merge_config_selectorIslEEZZNS1_27merge_sort_block_merge_implIS3_PsN6thrust23THRUST_200600_302600_NS10device_ptrIlEEjNS1_19radix_merge_compareILb0ELb0EsNS0_19identity_decomposerEEEEE10hipError_tT0_T1_T2_jT3_P12ihipStream_tbPNSt15iterator_traitsISG_E10value_typeEPNSM_ISH_E10value_typeEPSI_NS1_7vsmem_tEENKUlT_SG_SH_SI_E_clIS7_S7_SB_PlEESF_SV_SG_SH_SI_EUlSV_E1_NS1_11comp_targetILNS1_3genE5ELNS1_11target_archE942ELNS1_3gpuE9ELNS1_3repE0EEENS1_36merge_oddeven_config_static_selectorELNS0_4arch9wavefront6targetE1EEEvSH_.has_recursion, 0
	.set _ZN7rocprim17ROCPRIM_400000_NS6detail17trampoline_kernelINS0_14default_configENS1_38merge_sort_block_merge_config_selectorIslEEZZNS1_27merge_sort_block_merge_implIS3_PsN6thrust23THRUST_200600_302600_NS10device_ptrIlEEjNS1_19radix_merge_compareILb0ELb0EsNS0_19identity_decomposerEEEEE10hipError_tT0_T1_T2_jT3_P12ihipStream_tbPNSt15iterator_traitsISG_E10value_typeEPNSM_ISH_E10value_typeEPSI_NS1_7vsmem_tEENKUlT_SG_SH_SI_E_clIS7_S7_SB_PlEESF_SV_SG_SH_SI_EUlSV_E1_NS1_11comp_targetILNS1_3genE5ELNS1_11target_archE942ELNS1_3gpuE9ELNS1_3repE0EEENS1_36merge_oddeven_config_static_selectorELNS0_4arch9wavefront6targetE1EEEvSH_.has_indirect_call, 0
	.section	.AMDGPU.csdata,"",@progbits
; Kernel info:
; codeLenInByte = 0
; TotalNumSgprs: 4
; NumVgprs: 0
; ScratchSize: 0
; MemoryBound: 0
; FloatMode: 240
; IeeeMode: 1
; LDSByteSize: 0 bytes/workgroup (compile time only)
; SGPRBlocks: 0
; VGPRBlocks: 0
; NumSGPRsForWavesPerEU: 4
; NumVGPRsForWavesPerEU: 1
; Occupancy: 10
; WaveLimiterHint : 0
; COMPUTE_PGM_RSRC2:SCRATCH_EN: 0
; COMPUTE_PGM_RSRC2:USER_SGPR: 6
; COMPUTE_PGM_RSRC2:TRAP_HANDLER: 0
; COMPUTE_PGM_RSRC2:TGID_X_EN: 1
; COMPUTE_PGM_RSRC2:TGID_Y_EN: 0
; COMPUTE_PGM_RSRC2:TGID_Z_EN: 0
; COMPUTE_PGM_RSRC2:TIDIG_COMP_CNT: 0
	.section	.text._ZN7rocprim17ROCPRIM_400000_NS6detail17trampoline_kernelINS0_14default_configENS1_38merge_sort_block_merge_config_selectorIslEEZZNS1_27merge_sort_block_merge_implIS3_PsN6thrust23THRUST_200600_302600_NS10device_ptrIlEEjNS1_19radix_merge_compareILb0ELb0EsNS0_19identity_decomposerEEEEE10hipError_tT0_T1_T2_jT3_P12ihipStream_tbPNSt15iterator_traitsISG_E10value_typeEPNSM_ISH_E10value_typeEPSI_NS1_7vsmem_tEENKUlT_SG_SH_SI_E_clIS7_S7_SB_PlEESF_SV_SG_SH_SI_EUlSV_E1_NS1_11comp_targetILNS1_3genE4ELNS1_11target_archE910ELNS1_3gpuE8ELNS1_3repE0EEENS1_36merge_oddeven_config_static_selectorELNS0_4arch9wavefront6targetE1EEEvSH_,"axG",@progbits,_ZN7rocprim17ROCPRIM_400000_NS6detail17trampoline_kernelINS0_14default_configENS1_38merge_sort_block_merge_config_selectorIslEEZZNS1_27merge_sort_block_merge_implIS3_PsN6thrust23THRUST_200600_302600_NS10device_ptrIlEEjNS1_19radix_merge_compareILb0ELb0EsNS0_19identity_decomposerEEEEE10hipError_tT0_T1_T2_jT3_P12ihipStream_tbPNSt15iterator_traitsISG_E10value_typeEPNSM_ISH_E10value_typeEPSI_NS1_7vsmem_tEENKUlT_SG_SH_SI_E_clIS7_S7_SB_PlEESF_SV_SG_SH_SI_EUlSV_E1_NS1_11comp_targetILNS1_3genE4ELNS1_11target_archE910ELNS1_3gpuE8ELNS1_3repE0EEENS1_36merge_oddeven_config_static_selectorELNS0_4arch9wavefront6targetE1EEEvSH_,comdat
	.protected	_ZN7rocprim17ROCPRIM_400000_NS6detail17trampoline_kernelINS0_14default_configENS1_38merge_sort_block_merge_config_selectorIslEEZZNS1_27merge_sort_block_merge_implIS3_PsN6thrust23THRUST_200600_302600_NS10device_ptrIlEEjNS1_19radix_merge_compareILb0ELb0EsNS0_19identity_decomposerEEEEE10hipError_tT0_T1_T2_jT3_P12ihipStream_tbPNSt15iterator_traitsISG_E10value_typeEPNSM_ISH_E10value_typeEPSI_NS1_7vsmem_tEENKUlT_SG_SH_SI_E_clIS7_S7_SB_PlEESF_SV_SG_SH_SI_EUlSV_E1_NS1_11comp_targetILNS1_3genE4ELNS1_11target_archE910ELNS1_3gpuE8ELNS1_3repE0EEENS1_36merge_oddeven_config_static_selectorELNS0_4arch9wavefront6targetE1EEEvSH_ ; -- Begin function _ZN7rocprim17ROCPRIM_400000_NS6detail17trampoline_kernelINS0_14default_configENS1_38merge_sort_block_merge_config_selectorIslEEZZNS1_27merge_sort_block_merge_implIS3_PsN6thrust23THRUST_200600_302600_NS10device_ptrIlEEjNS1_19radix_merge_compareILb0ELb0EsNS0_19identity_decomposerEEEEE10hipError_tT0_T1_T2_jT3_P12ihipStream_tbPNSt15iterator_traitsISG_E10value_typeEPNSM_ISH_E10value_typeEPSI_NS1_7vsmem_tEENKUlT_SG_SH_SI_E_clIS7_S7_SB_PlEESF_SV_SG_SH_SI_EUlSV_E1_NS1_11comp_targetILNS1_3genE4ELNS1_11target_archE910ELNS1_3gpuE8ELNS1_3repE0EEENS1_36merge_oddeven_config_static_selectorELNS0_4arch9wavefront6targetE1EEEvSH_
	.globl	_ZN7rocprim17ROCPRIM_400000_NS6detail17trampoline_kernelINS0_14default_configENS1_38merge_sort_block_merge_config_selectorIslEEZZNS1_27merge_sort_block_merge_implIS3_PsN6thrust23THRUST_200600_302600_NS10device_ptrIlEEjNS1_19radix_merge_compareILb0ELb0EsNS0_19identity_decomposerEEEEE10hipError_tT0_T1_T2_jT3_P12ihipStream_tbPNSt15iterator_traitsISG_E10value_typeEPNSM_ISH_E10value_typeEPSI_NS1_7vsmem_tEENKUlT_SG_SH_SI_E_clIS7_S7_SB_PlEESF_SV_SG_SH_SI_EUlSV_E1_NS1_11comp_targetILNS1_3genE4ELNS1_11target_archE910ELNS1_3gpuE8ELNS1_3repE0EEENS1_36merge_oddeven_config_static_selectorELNS0_4arch9wavefront6targetE1EEEvSH_
	.p2align	8
	.type	_ZN7rocprim17ROCPRIM_400000_NS6detail17trampoline_kernelINS0_14default_configENS1_38merge_sort_block_merge_config_selectorIslEEZZNS1_27merge_sort_block_merge_implIS3_PsN6thrust23THRUST_200600_302600_NS10device_ptrIlEEjNS1_19radix_merge_compareILb0ELb0EsNS0_19identity_decomposerEEEEE10hipError_tT0_T1_T2_jT3_P12ihipStream_tbPNSt15iterator_traitsISG_E10value_typeEPNSM_ISH_E10value_typeEPSI_NS1_7vsmem_tEENKUlT_SG_SH_SI_E_clIS7_S7_SB_PlEESF_SV_SG_SH_SI_EUlSV_E1_NS1_11comp_targetILNS1_3genE4ELNS1_11target_archE910ELNS1_3gpuE8ELNS1_3repE0EEENS1_36merge_oddeven_config_static_selectorELNS0_4arch9wavefront6targetE1EEEvSH_,@function
_ZN7rocprim17ROCPRIM_400000_NS6detail17trampoline_kernelINS0_14default_configENS1_38merge_sort_block_merge_config_selectorIslEEZZNS1_27merge_sort_block_merge_implIS3_PsN6thrust23THRUST_200600_302600_NS10device_ptrIlEEjNS1_19radix_merge_compareILb0ELb0EsNS0_19identity_decomposerEEEEE10hipError_tT0_T1_T2_jT3_P12ihipStream_tbPNSt15iterator_traitsISG_E10value_typeEPNSM_ISH_E10value_typeEPSI_NS1_7vsmem_tEENKUlT_SG_SH_SI_E_clIS7_S7_SB_PlEESF_SV_SG_SH_SI_EUlSV_E1_NS1_11comp_targetILNS1_3genE4ELNS1_11target_archE910ELNS1_3gpuE8ELNS1_3repE0EEENS1_36merge_oddeven_config_static_selectorELNS0_4arch9wavefront6targetE1EEEvSH_: ; @_ZN7rocprim17ROCPRIM_400000_NS6detail17trampoline_kernelINS0_14default_configENS1_38merge_sort_block_merge_config_selectorIslEEZZNS1_27merge_sort_block_merge_implIS3_PsN6thrust23THRUST_200600_302600_NS10device_ptrIlEEjNS1_19radix_merge_compareILb0ELb0EsNS0_19identity_decomposerEEEEE10hipError_tT0_T1_T2_jT3_P12ihipStream_tbPNSt15iterator_traitsISG_E10value_typeEPNSM_ISH_E10value_typeEPSI_NS1_7vsmem_tEENKUlT_SG_SH_SI_E_clIS7_S7_SB_PlEESF_SV_SG_SH_SI_EUlSV_E1_NS1_11comp_targetILNS1_3genE4ELNS1_11target_archE910ELNS1_3gpuE8ELNS1_3repE0EEENS1_36merge_oddeven_config_static_selectorELNS0_4arch9wavefront6targetE1EEEvSH_
; %bb.0:
	.section	.rodata,"a",@progbits
	.p2align	6, 0x0
	.amdhsa_kernel _ZN7rocprim17ROCPRIM_400000_NS6detail17trampoline_kernelINS0_14default_configENS1_38merge_sort_block_merge_config_selectorIslEEZZNS1_27merge_sort_block_merge_implIS3_PsN6thrust23THRUST_200600_302600_NS10device_ptrIlEEjNS1_19radix_merge_compareILb0ELb0EsNS0_19identity_decomposerEEEEE10hipError_tT0_T1_T2_jT3_P12ihipStream_tbPNSt15iterator_traitsISG_E10value_typeEPNSM_ISH_E10value_typeEPSI_NS1_7vsmem_tEENKUlT_SG_SH_SI_E_clIS7_S7_SB_PlEESF_SV_SG_SH_SI_EUlSV_E1_NS1_11comp_targetILNS1_3genE4ELNS1_11target_archE910ELNS1_3gpuE8ELNS1_3repE0EEENS1_36merge_oddeven_config_static_selectorELNS0_4arch9wavefront6targetE1EEEvSH_
		.amdhsa_group_segment_fixed_size 0
		.amdhsa_private_segment_fixed_size 0
		.amdhsa_kernarg_size 48
		.amdhsa_user_sgpr_count 6
		.amdhsa_user_sgpr_private_segment_buffer 1
		.amdhsa_user_sgpr_dispatch_ptr 0
		.amdhsa_user_sgpr_queue_ptr 0
		.amdhsa_user_sgpr_kernarg_segment_ptr 1
		.amdhsa_user_sgpr_dispatch_id 0
		.amdhsa_user_sgpr_flat_scratch_init 0
		.amdhsa_user_sgpr_private_segment_size 0
		.amdhsa_uses_dynamic_stack 0
		.amdhsa_system_sgpr_private_segment_wavefront_offset 0
		.amdhsa_system_sgpr_workgroup_id_x 1
		.amdhsa_system_sgpr_workgroup_id_y 0
		.amdhsa_system_sgpr_workgroup_id_z 0
		.amdhsa_system_sgpr_workgroup_info 0
		.amdhsa_system_vgpr_workitem_id 0
		.amdhsa_next_free_vgpr 1
		.amdhsa_next_free_sgpr 0
		.amdhsa_reserve_vcc 0
		.amdhsa_reserve_flat_scratch 0
		.amdhsa_float_round_mode_32 0
		.amdhsa_float_round_mode_16_64 0
		.amdhsa_float_denorm_mode_32 3
		.amdhsa_float_denorm_mode_16_64 3
		.amdhsa_dx10_clamp 1
		.amdhsa_ieee_mode 1
		.amdhsa_fp16_overflow 0
		.amdhsa_exception_fp_ieee_invalid_op 0
		.amdhsa_exception_fp_denorm_src 0
		.amdhsa_exception_fp_ieee_div_zero 0
		.amdhsa_exception_fp_ieee_overflow 0
		.amdhsa_exception_fp_ieee_underflow 0
		.amdhsa_exception_fp_ieee_inexact 0
		.amdhsa_exception_int_div_zero 0
	.end_amdhsa_kernel
	.section	.text._ZN7rocprim17ROCPRIM_400000_NS6detail17trampoline_kernelINS0_14default_configENS1_38merge_sort_block_merge_config_selectorIslEEZZNS1_27merge_sort_block_merge_implIS3_PsN6thrust23THRUST_200600_302600_NS10device_ptrIlEEjNS1_19radix_merge_compareILb0ELb0EsNS0_19identity_decomposerEEEEE10hipError_tT0_T1_T2_jT3_P12ihipStream_tbPNSt15iterator_traitsISG_E10value_typeEPNSM_ISH_E10value_typeEPSI_NS1_7vsmem_tEENKUlT_SG_SH_SI_E_clIS7_S7_SB_PlEESF_SV_SG_SH_SI_EUlSV_E1_NS1_11comp_targetILNS1_3genE4ELNS1_11target_archE910ELNS1_3gpuE8ELNS1_3repE0EEENS1_36merge_oddeven_config_static_selectorELNS0_4arch9wavefront6targetE1EEEvSH_,"axG",@progbits,_ZN7rocprim17ROCPRIM_400000_NS6detail17trampoline_kernelINS0_14default_configENS1_38merge_sort_block_merge_config_selectorIslEEZZNS1_27merge_sort_block_merge_implIS3_PsN6thrust23THRUST_200600_302600_NS10device_ptrIlEEjNS1_19radix_merge_compareILb0ELb0EsNS0_19identity_decomposerEEEEE10hipError_tT0_T1_T2_jT3_P12ihipStream_tbPNSt15iterator_traitsISG_E10value_typeEPNSM_ISH_E10value_typeEPSI_NS1_7vsmem_tEENKUlT_SG_SH_SI_E_clIS7_S7_SB_PlEESF_SV_SG_SH_SI_EUlSV_E1_NS1_11comp_targetILNS1_3genE4ELNS1_11target_archE910ELNS1_3gpuE8ELNS1_3repE0EEENS1_36merge_oddeven_config_static_selectorELNS0_4arch9wavefront6targetE1EEEvSH_,comdat
.Lfunc_end1319:
	.size	_ZN7rocprim17ROCPRIM_400000_NS6detail17trampoline_kernelINS0_14default_configENS1_38merge_sort_block_merge_config_selectorIslEEZZNS1_27merge_sort_block_merge_implIS3_PsN6thrust23THRUST_200600_302600_NS10device_ptrIlEEjNS1_19radix_merge_compareILb0ELb0EsNS0_19identity_decomposerEEEEE10hipError_tT0_T1_T2_jT3_P12ihipStream_tbPNSt15iterator_traitsISG_E10value_typeEPNSM_ISH_E10value_typeEPSI_NS1_7vsmem_tEENKUlT_SG_SH_SI_E_clIS7_S7_SB_PlEESF_SV_SG_SH_SI_EUlSV_E1_NS1_11comp_targetILNS1_3genE4ELNS1_11target_archE910ELNS1_3gpuE8ELNS1_3repE0EEENS1_36merge_oddeven_config_static_selectorELNS0_4arch9wavefront6targetE1EEEvSH_, .Lfunc_end1319-_ZN7rocprim17ROCPRIM_400000_NS6detail17trampoline_kernelINS0_14default_configENS1_38merge_sort_block_merge_config_selectorIslEEZZNS1_27merge_sort_block_merge_implIS3_PsN6thrust23THRUST_200600_302600_NS10device_ptrIlEEjNS1_19radix_merge_compareILb0ELb0EsNS0_19identity_decomposerEEEEE10hipError_tT0_T1_T2_jT3_P12ihipStream_tbPNSt15iterator_traitsISG_E10value_typeEPNSM_ISH_E10value_typeEPSI_NS1_7vsmem_tEENKUlT_SG_SH_SI_E_clIS7_S7_SB_PlEESF_SV_SG_SH_SI_EUlSV_E1_NS1_11comp_targetILNS1_3genE4ELNS1_11target_archE910ELNS1_3gpuE8ELNS1_3repE0EEENS1_36merge_oddeven_config_static_selectorELNS0_4arch9wavefront6targetE1EEEvSH_
                                        ; -- End function
	.set _ZN7rocprim17ROCPRIM_400000_NS6detail17trampoline_kernelINS0_14default_configENS1_38merge_sort_block_merge_config_selectorIslEEZZNS1_27merge_sort_block_merge_implIS3_PsN6thrust23THRUST_200600_302600_NS10device_ptrIlEEjNS1_19radix_merge_compareILb0ELb0EsNS0_19identity_decomposerEEEEE10hipError_tT0_T1_T2_jT3_P12ihipStream_tbPNSt15iterator_traitsISG_E10value_typeEPNSM_ISH_E10value_typeEPSI_NS1_7vsmem_tEENKUlT_SG_SH_SI_E_clIS7_S7_SB_PlEESF_SV_SG_SH_SI_EUlSV_E1_NS1_11comp_targetILNS1_3genE4ELNS1_11target_archE910ELNS1_3gpuE8ELNS1_3repE0EEENS1_36merge_oddeven_config_static_selectorELNS0_4arch9wavefront6targetE1EEEvSH_.num_vgpr, 0
	.set _ZN7rocprim17ROCPRIM_400000_NS6detail17trampoline_kernelINS0_14default_configENS1_38merge_sort_block_merge_config_selectorIslEEZZNS1_27merge_sort_block_merge_implIS3_PsN6thrust23THRUST_200600_302600_NS10device_ptrIlEEjNS1_19radix_merge_compareILb0ELb0EsNS0_19identity_decomposerEEEEE10hipError_tT0_T1_T2_jT3_P12ihipStream_tbPNSt15iterator_traitsISG_E10value_typeEPNSM_ISH_E10value_typeEPSI_NS1_7vsmem_tEENKUlT_SG_SH_SI_E_clIS7_S7_SB_PlEESF_SV_SG_SH_SI_EUlSV_E1_NS1_11comp_targetILNS1_3genE4ELNS1_11target_archE910ELNS1_3gpuE8ELNS1_3repE0EEENS1_36merge_oddeven_config_static_selectorELNS0_4arch9wavefront6targetE1EEEvSH_.num_agpr, 0
	.set _ZN7rocprim17ROCPRIM_400000_NS6detail17trampoline_kernelINS0_14default_configENS1_38merge_sort_block_merge_config_selectorIslEEZZNS1_27merge_sort_block_merge_implIS3_PsN6thrust23THRUST_200600_302600_NS10device_ptrIlEEjNS1_19radix_merge_compareILb0ELb0EsNS0_19identity_decomposerEEEEE10hipError_tT0_T1_T2_jT3_P12ihipStream_tbPNSt15iterator_traitsISG_E10value_typeEPNSM_ISH_E10value_typeEPSI_NS1_7vsmem_tEENKUlT_SG_SH_SI_E_clIS7_S7_SB_PlEESF_SV_SG_SH_SI_EUlSV_E1_NS1_11comp_targetILNS1_3genE4ELNS1_11target_archE910ELNS1_3gpuE8ELNS1_3repE0EEENS1_36merge_oddeven_config_static_selectorELNS0_4arch9wavefront6targetE1EEEvSH_.numbered_sgpr, 0
	.set _ZN7rocprim17ROCPRIM_400000_NS6detail17trampoline_kernelINS0_14default_configENS1_38merge_sort_block_merge_config_selectorIslEEZZNS1_27merge_sort_block_merge_implIS3_PsN6thrust23THRUST_200600_302600_NS10device_ptrIlEEjNS1_19radix_merge_compareILb0ELb0EsNS0_19identity_decomposerEEEEE10hipError_tT0_T1_T2_jT3_P12ihipStream_tbPNSt15iterator_traitsISG_E10value_typeEPNSM_ISH_E10value_typeEPSI_NS1_7vsmem_tEENKUlT_SG_SH_SI_E_clIS7_S7_SB_PlEESF_SV_SG_SH_SI_EUlSV_E1_NS1_11comp_targetILNS1_3genE4ELNS1_11target_archE910ELNS1_3gpuE8ELNS1_3repE0EEENS1_36merge_oddeven_config_static_selectorELNS0_4arch9wavefront6targetE1EEEvSH_.num_named_barrier, 0
	.set _ZN7rocprim17ROCPRIM_400000_NS6detail17trampoline_kernelINS0_14default_configENS1_38merge_sort_block_merge_config_selectorIslEEZZNS1_27merge_sort_block_merge_implIS3_PsN6thrust23THRUST_200600_302600_NS10device_ptrIlEEjNS1_19radix_merge_compareILb0ELb0EsNS0_19identity_decomposerEEEEE10hipError_tT0_T1_T2_jT3_P12ihipStream_tbPNSt15iterator_traitsISG_E10value_typeEPNSM_ISH_E10value_typeEPSI_NS1_7vsmem_tEENKUlT_SG_SH_SI_E_clIS7_S7_SB_PlEESF_SV_SG_SH_SI_EUlSV_E1_NS1_11comp_targetILNS1_3genE4ELNS1_11target_archE910ELNS1_3gpuE8ELNS1_3repE0EEENS1_36merge_oddeven_config_static_selectorELNS0_4arch9wavefront6targetE1EEEvSH_.private_seg_size, 0
	.set _ZN7rocprim17ROCPRIM_400000_NS6detail17trampoline_kernelINS0_14default_configENS1_38merge_sort_block_merge_config_selectorIslEEZZNS1_27merge_sort_block_merge_implIS3_PsN6thrust23THRUST_200600_302600_NS10device_ptrIlEEjNS1_19radix_merge_compareILb0ELb0EsNS0_19identity_decomposerEEEEE10hipError_tT0_T1_T2_jT3_P12ihipStream_tbPNSt15iterator_traitsISG_E10value_typeEPNSM_ISH_E10value_typeEPSI_NS1_7vsmem_tEENKUlT_SG_SH_SI_E_clIS7_S7_SB_PlEESF_SV_SG_SH_SI_EUlSV_E1_NS1_11comp_targetILNS1_3genE4ELNS1_11target_archE910ELNS1_3gpuE8ELNS1_3repE0EEENS1_36merge_oddeven_config_static_selectorELNS0_4arch9wavefront6targetE1EEEvSH_.uses_vcc, 0
	.set _ZN7rocprim17ROCPRIM_400000_NS6detail17trampoline_kernelINS0_14default_configENS1_38merge_sort_block_merge_config_selectorIslEEZZNS1_27merge_sort_block_merge_implIS3_PsN6thrust23THRUST_200600_302600_NS10device_ptrIlEEjNS1_19radix_merge_compareILb0ELb0EsNS0_19identity_decomposerEEEEE10hipError_tT0_T1_T2_jT3_P12ihipStream_tbPNSt15iterator_traitsISG_E10value_typeEPNSM_ISH_E10value_typeEPSI_NS1_7vsmem_tEENKUlT_SG_SH_SI_E_clIS7_S7_SB_PlEESF_SV_SG_SH_SI_EUlSV_E1_NS1_11comp_targetILNS1_3genE4ELNS1_11target_archE910ELNS1_3gpuE8ELNS1_3repE0EEENS1_36merge_oddeven_config_static_selectorELNS0_4arch9wavefront6targetE1EEEvSH_.uses_flat_scratch, 0
	.set _ZN7rocprim17ROCPRIM_400000_NS6detail17trampoline_kernelINS0_14default_configENS1_38merge_sort_block_merge_config_selectorIslEEZZNS1_27merge_sort_block_merge_implIS3_PsN6thrust23THRUST_200600_302600_NS10device_ptrIlEEjNS1_19radix_merge_compareILb0ELb0EsNS0_19identity_decomposerEEEEE10hipError_tT0_T1_T2_jT3_P12ihipStream_tbPNSt15iterator_traitsISG_E10value_typeEPNSM_ISH_E10value_typeEPSI_NS1_7vsmem_tEENKUlT_SG_SH_SI_E_clIS7_S7_SB_PlEESF_SV_SG_SH_SI_EUlSV_E1_NS1_11comp_targetILNS1_3genE4ELNS1_11target_archE910ELNS1_3gpuE8ELNS1_3repE0EEENS1_36merge_oddeven_config_static_selectorELNS0_4arch9wavefront6targetE1EEEvSH_.has_dyn_sized_stack, 0
	.set _ZN7rocprim17ROCPRIM_400000_NS6detail17trampoline_kernelINS0_14default_configENS1_38merge_sort_block_merge_config_selectorIslEEZZNS1_27merge_sort_block_merge_implIS3_PsN6thrust23THRUST_200600_302600_NS10device_ptrIlEEjNS1_19radix_merge_compareILb0ELb0EsNS0_19identity_decomposerEEEEE10hipError_tT0_T1_T2_jT3_P12ihipStream_tbPNSt15iterator_traitsISG_E10value_typeEPNSM_ISH_E10value_typeEPSI_NS1_7vsmem_tEENKUlT_SG_SH_SI_E_clIS7_S7_SB_PlEESF_SV_SG_SH_SI_EUlSV_E1_NS1_11comp_targetILNS1_3genE4ELNS1_11target_archE910ELNS1_3gpuE8ELNS1_3repE0EEENS1_36merge_oddeven_config_static_selectorELNS0_4arch9wavefront6targetE1EEEvSH_.has_recursion, 0
	.set _ZN7rocprim17ROCPRIM_400000_NS6detail17trampoline_kernelINS0_14default_configENS1_38merge_sort_block_merge_config_selectorIslEEZZNS1_27merge_sort_block_merge_implIS3_PsN6thrust23THRUST_200600_302600_NS10device_ptrIlEEjNS1_19radix_merge_compareILb0ELb0EsNS0_19identity_decomposerEEEEE10hipError_tT0_T1_T2_jT3_P12ihipStream_tbPNSt15iterator_traitsISG_E10value_typeEPNSM_ISH_E10value_typeEPSI_NS1_7vsmem_tEENKUlT_SG_SH_SI_E_clIS7_S7_SB_PlEESF_SV_SG_SH_SI_EUlSV_E1_NS1_11comp_targetILNS1_3genE4ELNS1_11target_archE910ELNS1_3gpuE8ELNS1_3repE0EEENS1_36merge_oddeven_config_static_selectorELNS0_4arch9wavefront6targetE1EEEvSH_.has_indirect_call, 0
	.section	.AMDGPU.csdata,"",@progbits
; Kernel info:
; codeLenInByte = 0
; TotalNumSgprs: 4
; NumVgprs: 0
; ScratchSize: 0
; MemoryBound: 0
; FloatMode: 240
; IeeeMode: 1
; LDSByteSize: 0 bytes/workgroup (compile time only)
; SGPRBlocks: 0
; VGPRBlocks: 0
; NumSGPRsForWavesPerEU: 4
; NumVGPRsForWavesPerEU: 1
; Occupancy: 10
; WaveLimiterHint : 0
; COMPUTE_PGM_RSRC2:SCRATCH_EN: 0
; COMPUTE_PGM_RSRC2:USER_SGPR: 6
; COMPUTE_PGM_RSRC2:TRAP_HANDLER: 0
; COMPUTE_PGM_RSRC2:TGID_X_EN: 1
; COMPUTE_PGM_RSRC2:TGID_Y_EN: 0
; COMPUTE_PGM_RSRC2:TGID_Z_EN: 0
; COMPUTE_PGM_RSRC2:TIDIG_COMP_CNT: 0
	.section	.text._ZN7rocprim17ROCPRIM_400000_NS6detail17trampoline_kernelINS0_14default_configENS1_38merge_sort_block_merge_config_selectorIslEEZZNS1_27merge_sort_block_merge_implIS3_PsN6thrust23THRUST_200600_302600_NS10device_ptrIlEEjNS1_19radix_merge_compareILb0ELb0EsNS0_19identity_decomposerEEEEE10hipError_tT0_T1_T2_jT3_P12ihipStream_tbPNSt15iterator_traitsISG_E10value_typeEPNSM_ISH_E10value_typeEPSI_NS1_7vsmem_tEENKUlT_SG_SH_SI_E_clIS7_S7_SB_PlEESF_SV_SG_SH_SI_EUlSV_E1_NS1_11comp_targetILNS1_3genE3ELNS1_11target_archE908ELNS1_3gpuE7ELNS1_3repE0EEENS1_36merge_oddeven_config_static_selectorELNS0_4arch9wavefront6targetE1EEEvSH_,"axG",@progbits,_ZN7rocprim17ROCPRIM_400000_NS6detail17trampoline_kernelINS0_14default_configENS1_38merge_sort_block_merge_config_selectorIslEEZZNS1_27merge_sort_block_merge_implIS3_PsN6thrust23THRUST_200600_302600_NS10device_ptrIlEEjNS1_19radix_merge_compareILb0ELb0EsNS0_19identity_decomposerEEEEE10hipError_tT0_T1_T2_jT3_P12ihipStream_tbPNSt15iterator_traitsISG_E10value_typeEPNSM_ISH_E10value_typeEPSI_NS1_7vsmem_tEENKUlT_SG_SH_SI_E_clIS7_S7_SB_PlEESF_SV_SG_SH_SI_EUlSV_E1_NS1_11comp_targetILNS1_3genE3ELNS1_11target_archE908ELNS1_3gpuE7ELNS1_3repE0EEENS1_36merge_oddeven_config_static_selectorELNS0_4arch9wavefront6targetE1EEEvSH_,comdat
	.protected	_ZN7rocprim17ROCPRIM_400000_NS6detail17trampoline_kernelINS0_14default_configENS1_38merge_sort_block_merge_config_selectorIslEEZZNS1_27merge_sort_block_merge_implIS3_PsN6thrust23THRUST_200600_302600_NS10device_ptrIlEEjNS1_19radix_merge_compareILb0ELb0EsNS0_19identity_decomposerEEEEE10hipError_tT0_T1_T2_jT3_P12ihipStream_tbPNSt15iterator_traitsISG_E10value_typeEPNSM_ISH_E10value_typeEPSI_NS1_7vsmem_tEENKUlT_SG_SH_SI_E_clIS7_S7_SB_PlEESF_SV_SG_SH_SI_EUlSV_E1_NS1_11comp_targetILNS1_3genE3ELNS1_11target_archE908ELNS1_3gpuE7ELNS1_3repE0EEENS1_36merge_oddeven_config_static_selectorELNS0_4arch9wavefront6targetE1EEEvSH_ ; -- Begin function _ZN7rocprim17ROCPRIM_400000_NS6detail17trampoline_kernelINS0_14default_configENS1_38merge_sort_block_merge_config_selectorIslEEZZNS1_27merge_sort_block_merge_implIS3_PsN6thrust23THRUST_200600_302600_NS10device_ptrIlEEjNS1_19radix_merge_compareILb0ELb0EsNS0_19identity_decomposerEEEEE10hipError_tT0_T1_T2_jT3_P12ihipStream_tbPNSt15iterator_traitsISG_E10value_typeEPNSM_ISH_E10value_typeEPSI_NS1_7vsmem_tEENKUlT_SG_SH_SI_E_clIS7_S7_SB_PlEESF_SV_SG_SH_SI_EUlSV_E1_NS1_11comp_targetILNS1_3genE3ELNS1_11target_archE908ELNS1_3gpuE7ELNS1_3repE0EEENS1_36merge_oddeven_config_static_selectorELNS0_4arch9wavefront6targetE1EEEvSH_
	.globl	_ZN7rocprim17ROCPRIM_400000_NS6detail17trampoline_kernelINS0_14default_configENS1_38merge_sort_block_merge_config_selectorIslEEZZNS1_27merge_sort_block_merge_implIS3_PsN6thrust23THRUST_200600_302600_NS10device_ptrIlEEjNS1_19radix_merge_compareILb0ELb0EsNS0_19identity_decomposerEEEEE10hipError_tT0_T1_T2_jT3_P12ihipStream_tbPNSt15iterator_traitsISG_E10value_typeEPNSM_ISH_E10value_typeEPSI_NS1_7vsmem_tEENKUlT_SG_SH_SI_E_clIS7_S7_SB_PlEESF_SV_SG_SH_SI_EUlSV_E1_NS1_11comp_targetILNS1_3genE3ELNS1_11target_archE908ELNS1_3gpuE7ELNS1_3repE0EEENS1_36merge_oddeven_config_static_selectorELNS0_4arch9wavefront6targetE1EEEvSH_
	.p2align	8
	.type	_ZN7rocprim17ROCPRIM_400000_NS6detail17trampoline_kernelINS0_14default_configENS1_38merge_sort_block_merge_config_selectorIslEEZZNS1_27merge_sort_block_merge_implIS3_PsN6thrust23THRUST_200600_302600_NS10device_ptrIlEEjNS1_19radix_merge_compareILb0ELb0EsNS0_19identity_decomposerEEEEE10hipError_tT0_T1_T2_jT3_P12ihipStream_tbPNSt15iterator_traitsISG_E10value_typeEPNSM_ISH_E10value_typeEPSI_NS1_7vsmem_tEENKUlT_SG_SH_SI_E_clIS7_S7_SB_PlEESF_SV_SG_SH_SI_EUlSV_E1_NS1_11comp_targetILNS1_3genE3ELNS1_11target_archE908ELNS1_3gpuE7ELNS1_3repE0EEENS1_36merge_oddeven_config_static_selectorELNS0_4arch9wavefront6targetE1EEEvSH_,@function
_ZN7rocprim17ROCPRIM_400000_NS6detail17trampoline_kernelINS0_14default_configENS1_38merge_sort_block_merge_config_selectorIslEEZZNS1_27merge_sort_block_merge_implIS3_PsN6thrust23THRUST_200600_302600_NS10device_ptrIlEEjNS1_19radix_merge_compareILb0ELb0EsNS0_19identity_decomposerEEEEE10hipError_tT0_T1_T2_jT3_P12ihipStream_tbPNSt15iterator_traitsISG_E10value_typeEPNSM_ISH_E10value_typeEPSI_NS1_7vsmem_tEENKUlT_SG_SH_SI_E_clIS7_S7_SB_PlEESF_SV_SG_SH_SI_EUlSV_E1_NS1_11comp_targetILNS1_3genE3ELNS1_11target_archE908ELNS1_3gpuE7ELNS1_3repE0EEENS1_36merge_oddeven_config_static_selectorELNS0_4arch9wavefront6targetE1EEEvSH_: ; @_ZN7rocprim17ROCPRIM_400000_NS6detail17trampoline_kernelINS0_14default_configENS1_38merge_sort_block_merge_config_selectorIslEEZZNS1_27merge_sort_block_merge_implIS3_PsN6thrust23THRUST_200600_302600_NS10device_ptrIlEEjNS1_19radix_merge_compareILb0ELb0EsNS0_19identity_decomposerEEEEE10hipError_tT0_T1_T2_jT3_P12ihipStream_tbPNSt15iterator_traitsISG_E10value_typeEPNSM_ISH_E10value_typeEPSI_NS1_7vsmem_tEENKUlT_SG_SH_SI_E_clIS7_S7_SB_PlEESF_SV_SG_SH_SI_EUlSV_E1_NS1_11comp_targetILNS1_3genE3ELNS1_11target_archE908ELNS1_3gpuE7ELNS1_3repE0EEENS1_36merge_oddeven_config_static_selectorELNS0_4arch9wavefront6targetE1EEEvSH_
; %bb.0:
	.section	.rodata,"a",@progbits
	.p2align	6, 0x0
	.amdhsa_kernel _ZN7rocprim17ROCPRIM_400000_NS6detail17trampoline_kernelINS0_14default_configENS1_38merge_sort_block_merge_config_selectorIslEEZZNS1_27merge_sort_block_merge_implIS3_PsN6thrust23THRUST_200600_302600_NS10device_ptrIlEEjNS1_19radix_merge_compareILb0ELb0EsNS0_19identity_decomposerEEEEE10hipError_tT0_T1_T2_jT3_P12ihipStream_tbPNSt15iterator_traitsISG_E10value_typeEPNSM_ISH_E10value_typeEPSI_NS1_7vsmem_tEENKUlT_SG_SH_SI_E_clIS7_S7_SB_PlEESF_SV_SG_SH_SI_EUlSV_E1_NS1_11comp_targetILNS1_3genE3ELNS1_11target_archE908ELNS1_3gpuE7ELNS1_3repE0EEENS1_36merge_oddeven_config_static_selectorELNS0_4arch9wavefront6targetE1EEEvSH_
		.amdhsa_group_segment_fixed_size 0
		.amdhsa_private_segment_fixed_size 0
		.amdhsa_kernarg_size 48
		.amdhsa_user_sgpr_count 6
		.amdhsa_user_sgpr_private_segment_buffer 1
		.amdhsa_user_sgpr_dispatch_ptr 0
		.amdhsa_user_sgpr_queue_ptr 0
		.amdhsa_user_sgpr_kernarg_segment_ptr 1
		.amdhsa_user_sgpr_dispatch_id 0
		.amdhsa_user_sgpr_flat_scratch_init 0
		.amdhsa_user_sgpr_private_segment_size 0
		.amdhsa_uses_dynamic_stack 0
		.amdhsa_system_sgpr_private_segment_wavefront_offset 0
		.amdhsa_system_sgpr_workgroup_id_x 1
		.amdhsa_system_sgpr_workgroup_id_y 0
		.amdhsa_system_sgpr_workgroup_id_z 0
		.amdhsa_system_sgpr_workgroup_info 0
		.amdhsa_system_vgpr_workitem_id 0
		.amdhsa_next_free_vgpr 1
		.amdhsa_next_free_sgpr 0
		.amdhsa_reserve_vcc 0
		.amdhsa_reserve_flat_scratch 0
		.amdhsa_float_round_mode_32 0
		.amdhsa_float_round_mode_16_64 0
		.amdhsa_float_denorm_mode_32 3
		.amdhsa_float_denorm_mode_16_64 3
		.amdhsa_dx10_clamp 1
		.amdhsa_ieee_mode 1
		.amdhsa_fp16_overflow 0
		.amdhsa_exception_fp_ieee_invalid_op 0
		.amdhsa_exception_fp_denorm_src 0
		.amdhsa_exception_fp_ieee_div_zero 0
		.amdhsa_exception_fp_ieee_overflow 0
		.amdhsa_exception_fp_ieee_underflow 0
		.amdhsa_exception_fp_ieee_inexact 0
		.amdhsa_exception_int_div_zero 0
	.end_amdhsa_kernel
	.section	.text._ZN7rocprim17ROCPRIM_400000_NS6detail17trampoline_kernelINS0_14default_configENS1_38merge_sort_block_merge_config_selectorIslEEZZNS1_27merge_sort_block_merge_implIS3_PsN6thrust23THRUST_200600_302600_NS10device_ptrIlEEjNS1_19radix_merge_compareILb0ELb0EsNS0_19identity_decomposerEEEEE10hipError_tT0_T1_T2_jT3_P12ihipStream_tbPNSt15iterator_traitsISG_E10value_typeEPNSM_ISH_E10value_typeEPSI_NS1_7vsmem_tEENKUlT_SG_SH_SI_E_clIS7_S7_SB_PlEESF_SV_SG_SH_SI_EUlSV_E1_NS1_11comp_targetILNS1_3genE3ELNS1_11target_archE908ELNS1_3gpuE7ELNS1_3repE0EEENS1_36merge_oddeven_config_static_selectorELNS0_4arch9wavefront6targetE1EEEvSH_,"axG",@progbits,_ZN7rocprim17ROCPRIM_400000_NS6detail17trampoline_kernelINS0_14default_configENS1_38merge_sort_block_merge_config_selectorIslEEZZNS1_27merge_sort_block_merge_implIS3_PsN6thrust23THRUST_200600_302600_NS10device_ptrIlEEjNS1_19radix_merge_compareILb0ELb0EsNS0_19identity_decomposerEEEEE10hipError_tT0_T1_T2_jT3_P12ihipStream_tbPNSt15iterator_traitsISG_E10value_typeEPNSM_ISH_E10value_typeEPSI_NS1_7vsmem_tEENKUlT_SG_SH_SI_E_clIS7_S7_SB_PlEESF_SV_SG_SH_SI_EUlSV_E1_NS1_11comp_targetILNS1_3genE3ELNS1_11target_archE908ELNS1_3gpuE7ELNS1_3repE0EEENS1_36merge_oddeven_config_static_selectorELNS0_4arch9wavefront6targetE1EEEvSH_,comdat
.Lfunc_end1320:
	.size	_ZN7rocprim17ROCPRIM_400000_NS6detail17trampoline_kernelINS0_14default_configENS1_38merge_sort_block_merge_config_selectorIslEEZZNS1_27merge_sort_block_merge_implIS3_PsN6thrust23THRUST_200600_302600_NS10device_ptrIlEEjNS1_19radix_merge_compareILb0ELb0EsNS0_19identity_decomposerEEEEE10hipError_tT0_T1_T2_jT3_P12ihipStream_tbPNSt15iterator_traitsISG_E10value_typeEPNSM_ISH_E10value_typeEPSI_NS1_7vsmem_tEENKUlT_SG_SH_SI_E_clIS7_S7_SB_PlEESF_SV_SG_SH_SI_EUlSV_E1_NS1_11comp_targetILNS1_3genE3ELNS1_11target_archE908ELNS1_3gpuE7ELNS1_3repE0EEENS1_36merge_oddeven_config_static_selectorELNS0_4arch9wavefront6targetE1EEEvSH_, .Lfunc_end1320-_ZN7rocprim17ROCPRIM_400000_NS6detail17trampoline_kernelINS0_14default_configENS1_38merge_sort_block_merge_config_selectorIslEEZZNS1_27merge_sort_block_merge_implIS3_PsN6thrust23THRUST_200600_302600_NS10device_ptrIlEEjNS1_19radix_merge_compareILb0ELb0EsNS0_19identity_decomposerEEEEE10hipError_tT0_T1_T2_jT3_P12ihipStream_tbPNSt15iterator_traitsISG_E10value_typeEPNSM_ISH_E10value_typeEPSI_NS1_7vsmem_tEENKUlT_SG_SH_SI_E_clIS7_S7_SB_PlEESF_SV_SG_SH_SI_EUlSV_E1_NS1_11comp_targetILNS1_3genE3ELNS1_11target_archE908ELNS1_3gpuE7ELNS1_3repE0EEENS1_36merge_oddeven_config_static_selectorELNS0_4arch9wavefront6targetE1EEEvSH_
                                        ; -- End function
	.set _ZN7rocprim17ROCPRIM_400000_NS6detail17trampoline_kernelINS0_14default_configENS1_38merge_sort_block_merge_config_selectorIslEEZZNS1_27merge_sort_block_merge_implIS3_PsN6thrust23THRUST_200600_302600_NS10device_ptrIlEEjNS1_19radix_merge_compareILb0ELb0EsNS0_19identity_decomposerEEEEE10hipError_tT0_T1_T2_jT3_P12ihipStream_tbPNSt15iterator_traitsISG_E10value_typeEPNSM_ISH_E10value_typeEPSI_NS1_7vsmem_tEENKUlT_SG_SH_SI_E_clIS7_S7_SB_PlEESF_SV_SG_SH_SI_EUlSV_E1_NS1_11comp_targetILNS1_3genE3ELNS1_11target_archE908ELNS1_3gpuE7ELNS1_3repE0EEENS1_36merge_oddeven_config_static_selectorELNS0_4arch9wavefront6targetE1EEEvSH_.num_vgpr, 0
	.set _ZN7rocprim17ROCPRIM_400000_NS6detail17trampoline_kernelINS0_14default_configENS1_38merge_sort_block_merge_config_selectorIslEEZZNS1_27merge_sort_block_merge_implIS3_PsN6thrust23THRUST_200600_302600_NS10device_ptrIlEEjNS1_19radix_merge_compareILb0ELb0EsNS0_19identity_decomposerEEEEE10hipError_tT0_T1_T2_jT3_P12ihipStream_tbPNSt15iterator_traitsISG_E10value_typeEPNSM_ISH_E10value_typeEPSI_NS1_7vsmem_tEENKUlT_SG_SH_SI_E_clIS7_S7_SB_PlEESF_SV_SG_SH_SI_EUlSV_E1_NS1_11comp_targetILNS1_3genE3ELNS1_11target_archE908ELNS1_3gpuE7ELNS1_3repE0EEENS1_36merge_oddeven_config_static_selectorELNS0_4arch9wavefront6targetE1EEEvSH_.num_agpr, 0
	.set _ZN7rocprim17ROCPRIM_400000_NS6detail17trampoline_kernelINS0_14default_configENS1_38merge_sort_block_merge_config_selectorIslEEZZNS1_27merge_sort_block_merge_implIS3_PsN6thrust23THRUST_200600_302600_NS10device_ptrIlEEjNS1_19radix_merge_compareILb0ELb0EsNS0_19identity_decomposerEEEEE10hipError_tT0_T1_T2_jT3_P12ihipStream_tbPNSt15iterator_traitsISG_E10value_typeEPNSM_ISH_E10value_typeEPSI_NS1_7vsmem_tEENKUlT_SG_SH_SI_E_clIS7_S7_SB_PlEESF_SV_SG_SH_SI_EUlSV_E1_NS1_11comp_targetILNS1_3genE3ELNS1_11target_archE908ELNS1_3gpuE7ELNS1_3repE0EEENS1_36merge_oddeven_config_static_selectorELNS0_4arch9wavefront6targetE1EEEvSH_.numbered_sgpr, 0
	.set _ZN7rocprim17ROCPRIM_400000_NS6detail17trampoline_kernelINS0_14default_configENS1_38merge_sort_block_merge_config_selectorIslEEZZNS1_27merge_sort_block_merge_implIS3_PsN6thrust23THRUST_200600_302600_NS10device_ptrIlEEjNS1_19radix_merge_compareILb0ELb0EsNS0_19identity_decomposerEEEEE10hipError_tT0_T1_T2_jT3_P12ihipStream_tbPNSt15iterator_traitsISG_E10value_typeEPNSM_ISH_E10value_typeEPSI_NS1_7vsmem_tEENKUlT_SG_SH_SI_E_clIS7_S7_SB_PlEESF_SV_SG_SH_SI_EUlSV_E1_NS1_11comp_targetILNS1_3genE3ELNS1_11target_archE908ELNS1_3gpuE7ELNS1_3repE0EEENS1_36merge_oddeven_config_static_selectorELNS0_4arch9wavefront6targetE1EEEvSH_.num_named_barrier, 0
	.set _ZN7rocprim17ROCPRIM_400000_NS6detail17trampoline_kernelINS0_14default_configENS1_38merge_sort_block_merge_config_selectorIslEEZZNS1_27merge_sort_block_merge_implIS3_PsN6thrust23THRUST_200600_302600_NS10device_ptrIlEEjNS1_19radix_merge_compareILb0ELb0EsNS0_19identity_decomposerEEEEE10hipError_tT0_T1_T2_jT3_P12ihipStream_tbPNSt15iterator_traitsISG_E10value_typeEPNSM_ISH_E10value_typeEPSI_NS1_7vsmem_tEENKUlT_SG_SH_SI_E_clIS7_S7_SB_PlEESF_SV_SG_SH_SI_EUlSV_E1_NS1_11comp_targetILNS1_3genE3ELNS1_11target_archE908ELNS1_3gpuE7ELNS1_3repE0EEENS1_36merge_oddeven_config_static_selectorELNS0_4arch9wavefront6targetE1EEEvSH_.private_seg_size, 0
	.set _ZN7rocprim17ROCPRIM_400000_NS6detail17trampoline_kernelINS0_14default_configENS1_38merge_sort_block_merge_config_selectorIslEEZZNS1_27merge_sort_block_merge_implIS3_PsN6thrust23THRUST_200600_302600_NS10device_ptrIlEEjNS1_19radix_merge_compareILb0ELb0EsNS0_19identity_decomposerEEEEE10hipError_tT0_T1_T2_jT3_P12ihipStream_tbPNSt15iterator_traitsISG_E10value_typeEPNSM_ISH_E10value_typeEPSI_NS1_7vsmem_tEENKUlT_SG_SH_SI_E_clIS7_S7_SB_PlEESF_SV_SG_SH_SI_EUlSV_E1_NS1_11comp_targetILNS1_3genE3ELNS1_11target_archE908ELNS1_3gpuE7ELNS1_3repE0EEENS1_36merge_oddeven_config_static_selectorELNS0_4arch9wavefront6targetE1EEEvSH_.uses_vcc, 0
	.set _ZN7rocprim17ROCPRIM_400000_NS6detail17trampoline_kernelINS0_14default_configENS1_38merge_sort_block_merge_config_selectorIslEEZZNS1_27merge_sort_block_merge_implIS3_PsN6thrust23THRUST_200600_302600_NS10device_ptrIlEEjNS1_19radix_merge_compareILb0ELb0EsNS0_19identity_decomposerEEEEE10hipError_tT0_T1_T2_jT3_P12ihipStream_tbPNSt15iterator_traitsISG_E10value_typeEPNSM_ISH_E10value_typeEPSI_NS1_7vsmem_tEENKUlT_SG_SH_SI_E_clIS7_S7_SB_PlEESF_SV_SG_SH_SI_EUlSV_E1_NS1_11comp_targetILNS1_3genE3ELNS1_11target_archE908ELNS1_3gpuE7ELNS1_3repE0EEENS1_36merge_oddeven_config_static_selectorELNS0_4arch9wavefront6targetE1EEEvSH_.uses_flat_scratch, 0
	.set _ZN7rocprim17ROCPRIM_400000_NS6detail17trampoline_kernelINS0_14default_configENS1_38merge_sort_block_merge_config_selectorIslEEZZNS1_27merge_sort_block_merge_implIS3_PsN6thrust23THRUST_200600_302600_NS10device_ptrIlEEjNS1_19radix_merge_compareILb0ELb0EsNS0_19identity_decomposerEEEEE10hipError_tT0_T1_T2_jT3_P12ihipStream_tbPNSt15iterator_traitsISG_E10value_typeEPNSM_ISH_E10value_typeEPSI_NS1_7vsmem_tEENKUlT_SG_SH_SI_E_clIS7_S7_SB_PlEESF_SV_SG_SH_SI_EUlSV_E1_NS1_11comp_targetILNS1_3genE3ELNS1_11target_archE908ELNS1_3gpuE7ELNS1_3repE0EEENS1_36merge_oddeven_config_static_selectorELNS0_4arch9wavefront6targetE1EEEvSH_.has_dyn_sized_stack, 0
	.set _ZN7rocprim17ROCPRIM_400000_NS6detail17trampoline_kernelINS0_14default_configENS1_38merge_sort_block_merge_config_selectorIslEEZZNS1_27merge_sort_block_merge_implIS3_PsN6thrust23THRUST_200600_302600_NS10device_ptrIlEEjNS1_19radix_merge_compareILb0ELb0EsNS0_19identity_decomposerEEEEE10hipError_tT0_T1_T2_jT3_P12ihipStream_tbPNSt15iterator_traitsISG_E10value_typeEPNSM_ISH_E10value_typeEPSI_NS1_7vsmem_tEENKUlT_SG_SH_SI_E_clIS7_S7_SB_PlEESF_SV_SG_SH_SI_EUlSV_E1_NS1_11comp_targetILNS1_3genE3ELNS1_11target_archE908ELNS1_3gpuE7ELNS1_3repE0EEENS1_36merge_oddeven_config_static_selectorELNS0_4arch9wavefront6targetE1EEEvSH_.has_recursion, 0
	.set _ZN7rocprim17ROCPRIM_400000_NS6detail17trampoline_kernelINS0_14default_configENS1_38merge_sort_block_merge_config_selectorIslEEZZNS1_27merge_sort_block_merge_implIS3_PsN6thrust23THRUST_200600_302600_NS10device_ptrIlEEjNS1_19radix_merge_compareILb0ELb0EsNS0_19identity_decomposerEEEEE10hipError_tT0_T1_T2_jT3_P12ihipStream_tbPNSt15iterator_traitsISG_E10value_typeEPNSM_ISH_E10value_typeEPSI_NS1_7vsmem_tEENKUlT_SG_SH_SI_E_clIS7_S7_SB_PlEESF_SV_SG_SH_SI_EUlSV_E1_NS1_11comp_targetILNS1_3genE3ELNS1_11target_archE908ELNS1_3gpuE7ELNS1_3repE0EEENS1_36merge_oddeven_config_static_selectorELNS0_4arch9wavefront6targetE1EEEvSH_.has_indirect_call, 0
	.section	.AMDGPU.csdata,"",@progbits
; Kernel info:
; codeLenInByte = 0
; TotalNumSgprs: 4
; NumVgprs: 0
; ScratchSize: 0
; MemoryBound: 0
; FloatMode: 240
; IeeeMode: 1
; LDSByteSize: 0 bytes/workgroup (compile time only)
; SGPRBlocks: 0
; VGPRBlocks: 0
; NumSGPRsForWavesPerEU: 4
; NumVGPRsForWavesPerEU: 1
; Occupancy: 10
; WaveLimiterHint : 0
; COMPUTE_PGM_RSRC2:SCRATCH_EN: 0
; COMPUTE_PGM_RSRC2:USER_SGPR: 6
; COMPUTE_PGM_RSRC2:TRAP_HANDLER: 0
; COMPUTE_PGM_RSRC2:TGID_X_EN: 1
; COMPUTE_PGM_RSRC2:TGID_Y_EN: 0
; COMPUTE_PGM_RSRC2:TGID_Z_EN: 0
; COMPUTE_PGM_RSRC2:TIDIG_COMP_CNT: 0
	.section	.text._ZN7rocprim17ROCPRIM_400000_NS6detail17trampoline_kernelINS0_14default_configENS1_38merge_sort_block_merge_config_selectorIslEEZZNS1_27merge_sort_block_merge_implIS3_PsN6thrust23THRUST_200600_302600_NS10device_ptrIlEEjNS1_19radix_merge_compareILb0ELb0EsNS0_19identity_decomposerEEEEE10hipError_tT0_T1_T2_jT3_P12ihipStream_tbPNSt15iterator_traitsISG_E10value_typeEPNSM_ISH_E10value_typeEPSI_NS1_7vsmem_tEENKUlT_SG_SH_SI_E_clIS7_S7_SB_PlEESF_SV_SG_SH_SI_EUlSV_E1_NS1_11comp_targetILNS1_3genE2ELNS1_11target_archE906ELNS1_3gpuE6ELNS1_3repE0EEENS1_36merge_oddeven_config_static_selectorELNS0_4arch9wavefront6targetE1EEEvSH_,"axG",@progbits,_ZN7rocprim17ROCPRIM_400000_NS6detail17trampoline_kernelINS0_14default_configENS1_38merge_sort_block_merge_config_selectorIslEEZZNS1_27merge_sort_block_merge_implIS3_PsN6thrust23THRUST_200600_302600_NS10device_ptrIlEEjNS1_19radix_merge_compareILb0ELb0EsNS0_19identity_decomposerEEEEE10hipError_tT0_T1_T2_jT3_P12ihipStream_tbPNSt15iterator_traitsISG_E10value_typeEPNSM_ISH_E10value_typeEPSI_NS1_7vsmem_tEENKUlT_SG_SH_SI_E_clIS7_S7_SB_PlEESF_SV_SG_SH_SI_EUlSV_E1_NS1_11comp_targetILNS1_3genE2ELNS1_11target_archE906ELNS1_3gpuE6ELNS1_3repE0EEENS1_36merge_oddeven_config_static_selectorELNS0_4arch9wavefront6targetE1EEEvSH_,comdat
	.protected	_ZN7rocprim17ROCPRIM_400000_NS6detail17trampoline_kernelINS0_14default_configENS1_38merge_sort_block_merge_config_selectorIslEEZZNS1_27merge_sort_block_merge_implIS3_PsN6thrust23THRUST_200600_302600_NS10device_ptrIlEEjNS1_19radix_merge_compareILb0ELb0EsNS0_19identity_decomposerEEEEE10hipError_tT0_T1_T2_jT3_P12ihipStream_tbPNSt15iterator_traitsISG_E10value_typeEPNSM_ISH_E10value_typeEPSI_NS1_7vsmem_tEENKUlT_SG_SH_SI_E_clIS7_S7_SB_PlEESF_SV_SG_SH_SI_EUlSV_E1_NS1_11comp_targetILNS1_3genE2ELNS1_11target_archE906ELNS1_3gpuE6ELNS1_3repE0EEENS1_36merge_oddeven_config_static_selectorELNS0_4arch9wavefront6targetE1EEEvSH_ ; -- Begin function _ZN7rocprim17ROCPRIM_400000_NS6detail17trampoline_kernelINS0_14default_configENS1_38merge_sort_block_merge_config_selectorIslEEZZNS1_27merge_sort_block_merge_implIS3_PsN6thrust23THRUST_200600_302600_NS10device_ptrIlEEjNS1_19radix_merge_compareILb0ELb0EsNS0_19identity_decomposerEEEEE10hipError_tT0_T1_T2_jT3_P12ihipStream_tbPNSt15iterator_traitsISG_E10value_typeEPNSM_ISH_E10value_typeEPSI_NS1_7vsmem_tEENKUlT_SG_SH_SI_E_clIS7_S7_SB_PlEESF_SV_SG_SH_SI_EUlSV_E1_NS1_11comp_targetILNS1_3genE2ELNS1_11target_archE906ELNS1_3gpuE6ELNS1_3repE0EEENS1_36merge_oddeven_config_static_selectorELNS0_4arch9wavefront6targetE1EEEvSH_
	.globl	_ZN7rocprim17ROCPRIM_400000_NS6detail17trampoline_kernelINS0_14default_configENS1_38merge_sort_block_merge_config_selectorIslEEZZNS1_27merge_sort_block_merge_implIS3_PsN6thrust23THRUST_200600_302600_NS10device_ptrIlEEjNS1_19radix_merge_compareILb0ELb0EsNS0_19identity_decomposerEEEEE10hipError_tT0_T1_T2_jT3_P12ihipStream_tbPNSt15iterator_traitsISG_E10value_typeEPNSM_ISH_E10value_typeEPSI_NS1_7vsmem_tEENKUlT_SG_SH_SI_E_clIS7_S7_SB_PlEESF_SV_SG_SH_SI_EUlSV_E1_NS1_11comp_targetILNS1_3genE2ELNS1_11target_archE906ELNS1_3gpuE6ELNS1_3repE0EEENS1_36merge_oddeven_config_static_selectorELNS0_4arch9wavefront6targetE1EEEvSH_
	.p2align	8
	.type	_ZN7rocprim17ROCPRIM_400000_NS6detail17trampoline_kernelINS0_14default_configENS1_38merge_sort_block_merge_config_selectorIslEEZZNS1_27merge_sort_block_merge_implIS3_PsN6thrust23THRUST_200600_302600_NS10device_ptrIlEEjNS1_19radix_merge_compareILb0ELb0EsNS0_19identity_decomposerEEEEE10hipError_tT0_T1_T2_jT3_P12ihipStream_tbPNSt15iterator_traitsISG_E10value_typeEPNSM_ISH_E10value_typeEPSI_NS1_7vsmem_tEENKUlT_SG_SH_SI_E_clIS7_S7_SB_PlEESF_SV_SG_SH_SI_EUlSV_E1_NS1_11comp_targetILNS1_3genE2ELNS1_11target_archE906ELNS1_3gpuE6ELNS1_3repE0EEENS1_36merge_oddeven_config_static_selectorELNS0_4arch9wavefront6targetE1EEEvSH_,@function
_ZN7rocprim17ROCPRIM_400000_NS6detail17trampoline_kernelINS0_14default_configENS1_38merge_sort_block_merge_config_selectorIslEEZZNS1_27merge_sort_block_merge_implIS3_PsN6thrust23THRUST_200600_302600_NS10device_ptrIlEEjNS1_19radix_merge_compareILb0ELb0EsNS0_19identity_decomposerEEEEE10hipError_tT0_T1_T2_jT3_P12ihipStream_tbPNSt15iterator_traitsISG_E10value_typeEPNSM_ISH_E10value_typeEPSI_NS1_7vsmem_tEENKUlT_SG_SH_SI_E_clIS7_S7_SB_PlEESF_SV_SG_SH_SI_EUlSV_E1_NS1_11comp_targetILNS1_3genE2ELNS1_11target_archE906ELNS1_3gpuE6ELNS1_3repE0EEENS1_36merge_oddeven_config_static_selectorELNS0_4arch9wavefront6targetE1EEEvSH_: ; @_ZN7rocprim17ROCPRIM_400000_NS6detail17trampoline_kernelINS0_14default_configENS1_38merge_sort_block_merge_config_selectorIslEEZZNS1_27merge_sort_block_merge_implIS3_PsN6thrust23THRUST_200600_302600_NS10device_ptrIlEEjNS1_19radix_merge_compareILb0ELb0EsNS0_19identity_decomposerEEEEE10hipError_tT0_T1_T2_jT3_P12ihipStream_tbPNSt15iterator_traitsISG_E10value_typeEPNSM_ISH_E10value_typeEPSI_NS1_7vsmem_tEENKUlT_SG_SH_SI_E_clIS7_S7_SB_PlEESF_SV_SG_SH_SI_EUlSV_E1_NS1_11comp_targetILNS1_3genE2ELNS1_11target_archE906ELNS1_3gpuE6ELNS1_3repE0EEENS1_36merge_oddeven_config_static_selectorELNS0_4arch9wavefront6targetE1EEEvSH_
; %bb.0:
	s_load_dword s7, s[4:5], 0x20
	s_waitcnt lgkmcnt(0)
	s_lshr_b32 s0, s7, 8
	s_cmp_eq_u32 s6, s0
	s_cselect_b64 s[16:17], -1, 0
	s_cmp_lg_u32 s6, s0
	s_cselect_b64 s[0:1], -1, 0
	s_lshl_b32 s18, s6, 8
	s_sub_i32 s2, s7, s18
	v_cmp_gt_u32_e64 s[2:3], s2, v0
	s_or_b64 s[0:1], s[0:1], s[2:3]
	s_and_saveexec_b64 s[8:9], s[0:1]
	s_cbranch_execz .LBB1321_24
; %bb.1:
	s_load_dwordx8 s[8:15], s[4:5], 0x0
	s_mov_b32 s19, 0
	s_lshl_b64 s[0:1], s[18:19], 1
	v_lshlrev_b32_e32 v4, 3, v0
	v_lshlrev_b32_e32 v3, 1, v0
	s_waitcnt lgkmcnt(0)
	s_add_u32 s0, s8, s0
	s_addc_u32 s1, s9, s1
	s_lshl_b64 s[20:21], s[18:19], 3
	s_add_u32 s12, s12, s20
	s_addc_u32 s13, s13, s21
	global_load_dwordx2 v[1:2], v4, s[12:13]
	global_load_ushort v5, v3, s[0:1]
	s_load_dword s13, s[4:5], 0x24
	v_add_u32_e32 v3, s18, v0
	s_waitcnt lgkmcnt(0)
	s_lshr_b32 s0, s13, 8
	s_sub_i32 s1, 0, s0
	s_and_b32 s1, s6, s1
	s_and_b32 s0, s1, s0
	s_lshl_b32 s19, s1, 8
	s_sub_i32 s6, 0, s13
	s_cmp_eq_u32 s0, 0
	s_cselect_b64 s[0:1], -1, 0
	s_and_b64 s[4:5], s[0:1], exec
	s_cselect_b32 s6, s13, s6
	s_add_i32 s6, s6, s19
	s_mov_b64 s[4:5], -1
	s_cmp_gt_u32 s7, s6
	s_cbranch_scc1 .LBB1321_9
; %bb.2:
	s_and_b64 vcc, exec, s[16:17]
	s_cbranch_vccz .LBB1321_6
; %bb.3:
	v_cmp_gt_u32_e32 vcc, s7, v3
	s_and_saveexec_b64 s[4:5], vcc
	s_cbranch_execz .LBB1321_5
; %bb.4:
	v_mov_b32_e32 v4, 0
	v_lshlrev_b64 v[6:7], 1, v[3:4]
	v_mov_b32_e32 v0, s11
	v_add_co_u32_e32 v6, vcc, s10, v6
	v_lshlrev_b64 v[8:9], 3, v[3:4]
	v_addc_co_u32_e32 v7, vcc, v0, v7, vcc
	v_mov_b32_e32 v0, s15
	v_add_co_u32_e32 v8, vcc, s14, v8
	v_addc_co_u32_e32 v9, vcc, v0, v9, vcc
	s_waitcnt vmcnt(0)
	global_store_short v[6:7], v5, off
	global_store_dwordx2 v[8:9], v[1:2], off
.LBB1321_5:
	s_or_b64 exec, exec, s[4:5]
	s_mov_b64 s[4:5], 0
.LBB1321_6:
	s_andn2_b64 vcc, exec, s[4:5]
	s_cbranch_vccnz .LBB1321_8
; %bb.7:
	v_mov_b32_e32 v4, 0
	v_lshlrev_b64 v[6:7], 1, v[3:4]
	v_mov_b32_e32 v0, s11
	v_add_co_u32_e32 v6, vcc, s10, v6
	v_lshlrev_b64 v[8:9], 3, v[3:4]
	v_addc_co_u32_e32 v7, vcc, v0, v7, vcc
	v_mov_b32_e32 v0, s15
	v_add_co_u32_e32 v8, vcc, s14, v8
	v_addc_co_u32_e32 v9, vcc, v0, v9, vcc
	s_waitcnt vmcnt(0)
	global_store_short v[6:7], v5, off
	global_store_dwordx2 v[8:9], v[1:2], off
.LBB1321_8:
	s_mov_b64 s[4:5], 0
.LBB1321_9:
	s_andn2_b64 vcc, exec, s[4:5]
	s_cbranch_vccnz .LBB1321_24
; %bb.10:
	s_min_u32 s12, s6, s7
	s_add_i32 s4, s12, s13
	s_min_u32 s7, s4, s7
	s_min_u32 s4, s19, s12
	s_add_i32 s19, s19, s12
	v_subrev_u32_e32 v0, s19, v3
	v_add_u32_e32 v0, s4, v0
	s_andn2_b64 vcc, exec, s[16:17]
	s_mov_b64 s[4:5], -1
	s_cbranch_vccnz .LBB1321_18
; %bb.11:
	s_and_saveexec_b64 s[4:5], s[2:3]
	s_cbranch_execz .LBB1321_17
; %bb.12:
	s_cmp_ge_u32 s6, s7
	v_mov_b32_e32 v3, s12
	s_cbranch_scc1 .LBB1321_16
; %bb.13:
	s_mov_b64 s[2:3], 0
	v_mov_b32_e32 v4, s7
	v_mov_b32_e32 v3, s12
.LBB1321_14:                            ; =>This Inner Loop Header: Depth=1
	v_add_u32_e32 v6, v3, v4
	v_and_b32_e32 v7, -2, v6
	global_load_ushort v7, v7, s[8:9]
	v_lshrrev_b32_e32 v6, 1, v6
	v_add_u32_e32 v8, 1, v6
	s_waitcnt vmcnt(0)
	v_cmp_gt_i16_e32 vcc, v5, v7
	v_cndmask_b32_e64 v9, 0, 1, vcc
	v_cmp_le_i16_e32 vcc, v7, v5
	v_cndmask_b32_e64 v7, 0, 1, vcc
	v_cndmask_b32_e64 v7, v7, v9, s[0:1]
	v_and_b32_e32 v7, 1, v7
	v_cmp_eq_u32_e32 vcc, 1, v7
	v_cndmask_b32_e32 v4, v6, v4, vcc
	v_cndmask_b32_e32 v3, v3, v8, vcc
	v_cmp_ge_u32_e32 vcc, v3, v4
	s_or_b64 s[2:3], vcc, s[2:3]
	s_andn2_b64 exec, exec, s[2:3]
	s_cbranch_execnz .LBB1321_14
; %bb.15:
	s_or_b64 exec, exec, s[2:3]
.LBB1321_16:
	v_add_u32_e32 v3, v3, v0
	v_mov_b32_e32 v4, 0
	v_lshlrev_b64 v[6:7], 1, v[3:4]
	v_mov_b32_e32 v8, s11
	v_add_co_u32_e32 v6, vcc, s10, v6
	v_lshlrev_b64 v[3:4], 3, v[3:4]
	v_addc_co_u32_e32 v7, vcc, v8, v7, vcc
	s_waitcnt vmcnt(0)
	global_store_short v[6:7], v5, off
	v_mov_b32_e32 v6, s15
	v_add_co_u32_e32 v3, vcc, s14, v3
	v_addc_co_u32_e32 v4, vcc, v6, v4, vcc
	global_store_dwordx2 v[3:4], v[1:2], off
.LBB1321_17:
	s_or_b64 exec, exec, s[4:5]
	s_mov_b64 s[4:5], 0
.LBB1321_18:
	s_andn2_b64 vcc, exec, s[4:5]
	s_cbranch_vccnz .LBB1321_24
; %bb.19:
	s_cmp_ge_u32 s6, s7
	v_mov_b32_e32 v3, s12
	s_cbranch_scc1 .LBB1321_23
; %bb.20:
	s_mov_b64 s[2:3], 0
	v_mov_b32_e32 v4, s7
	v_mov_b32_e32 v3, s12
.LBB1321_21:                            ; =>This Inner Loop Header: Depth=1
	v_add_u32_e32 v6, v3, v4
	v_and_b32_e32 v7, -2, v6
	global_load_ushort v7, v7, s[8:9]
	v_lshrrev_b32_e32 v6, 1, v6
	v_add_u32_e32 v8, 1, v6
	s_waitcnt vmcnt(0)
	v_cmp_gt_i16_e32 vcc, v5, v7
	v_cndmask_b32_e64 v9, 0, 1, vcc
	v_cmp_le_i16_e32 vcc, v7, v5
	v_cndmask_b32_e64 v7, 0, 1, vcc
	v_cndmask_b32_e64 v7, v7, v9, s[0:1]
	v_and_b32_e32 v7, 1, v7
	v_cmp_eq_u32_e32 vcc, 1, v7
	v_cndmask_b32_e32 v4, v6, v4, vcc
	v_cndmask_b32_e32 v3, v3, v8, vcc
	v_cmp_ge_u32_e32 vcc, v3, v4
	s_or_b64 s[2:3], vcc, s[2:3]
	s_andn2_b64 exec, exec, s[2:3]
	s_cbranch_execnz .LBB1321_21
; %bb.22:
	s_or_b64 exec, exec, s[2:3]
.LBB1321_23:
	v_add_u32_e32 v3, v3, v0
	v_mov_b32_e32 v4, 0
	v_lshlrev_b64 v[6:7], 1, v[3:4]
	v_mov_b32_e32 v0, s11
	v_add_co_u32_e32 v6, vcc, s10, v6
	v_lshlrev_b64 v[3:4], 3, v[3:4]
	v_addc_co_u32_e32 v7, vcc, v0, v7, vcc
	v_mov_b32_e32 v0, s15
	v_add_co_u32_e32 v3, vcc, s14, v3
	v_addc_co_u32_e32 v4, vcc, v0, v4, vcc
	s_waitcnt vmcnt(0)
	global_store_short v[6:7], v5, off
	global_store_dwordx2 v[3:4], v[1:2], off
.LBB1321_24:
	s_endpgm
	.section	.rodata,"a",@progbits
	.p2align	6, 0x0
	.amdhsa_kernel _ZN7rocprim17ROCPRIM_400000_NS6detail17trampoline_kernelINS0_14default_configENS1_38merge_sort_block_merge_config_selectorIslEEZZNS1_27merge_sort_block_merge_implIS3_PsN6thrust23THRUST_200600_302600_NS10device_ptrIlEEjNS1_19radix_merge_compareILb0ELb0EsNS0_19identity_decomposerEEEEE10hipError_tT0_T1_T2_jT3_P12ihipStream_tbPNSt15iterator_traitsISG_E10value_typeEPNSM_ISH_E10value_typeEPSI_NS1_7vsmem_tEENKUlT_SG_SH_SI_E_clIS7_S7_SB_PlEESF_SV_SG_SH_SI_EUlSV_E1_NS1_11comp_targetILNS1_3genE2ELNS1_11target_archE906ELNS1_3gpuE6ELNS1_3repE0EEENS1_36merge_oddeven_config_static_selectorELNS0_4arch9wavefront6targetE1EEEvSH_
		.amdhsa_group_segment_fixed_size 0
		.amdhsa_private_segment_fixed_size 0
		.amdhsa_kernarg_size 48
		.amdhsa_user_sgpr_count 6
		.amdhsa_user_sgpr_private_segment_buffer 1
		.amdhsa_user_sgpr_dispatch_ptr 0
		.amdhsa_user_sgpr_queue_ptr 0
		.amdhsa_user_sgpr_kernarg_segment_ptr 1
		.amdhsa_user_sgpr_dispatch_id 0
		.amdhsa_user_sgpr_flat_scratch_init 0
		.amdhsa_user_sgpr_private_segment_size 0
		.amdhsa_uses_dynamic_stack 0
		.amdhsa_system_sgpr_private_segment_wavefront_offset 0
		.amdhsa_system_sgpr_workgroup_id_x 1
		.amdhsa_system_sgpr_workgroup_id_y 0
		.amdhsa_system_sgpr_workgroup_id_z 0
		.amdhsa_system_sgpr_workgroup_info 0
		.amdhsa_system_vgpr_workitem_id 0
		.amdhsa_next_free_vgpr 10
		.amdhsa_next_free_sgpr 22
		.amdhsa_reserve_vcc 1
		.amdhsa_reserve_flat_scratch 0
		.amdhsa_float_round_mode_32 0
		.amdhsa_float_round_mode_16_64 0
		.amdhsa_float_denorm_mode_32 3
		.amdhsa_float_denorm_mode_16_64 3
		.amdhsa_dx10_clamp 1
		.amdhsa_ieee_mode 1
		.amdhsa_fp16_overflow 0
		.amdhsa_exception_fp_ieee_invalid_op 0
		.amdhsa_exception_fp_denorm_src 0
		.amdhsa_exception_fp_ieee_div_zero 0
		.amdhsa_exception_fp_ieee_overflow 0
		.amdhsa_exception_fp_ieee_underflow 0
		.amdhsa_exception_fp_ieee_inexact 0
		.amdhsa_exception_int_div_zero 0
	.end_amdhsa_kernel
	.section	.text._ZN7rocprim17ROCPRIM_400000_NS6detail17trampoline_kernelINS0_14default_configENS1_38merge_sort_block_merge_config_selectorIslEEZZNS1_27merge_sort_block_merge_implIS3_PsN6thrust23THRUST_200600_302600_NS10device_ptrIlEEjNS1_19radix_merge_compareILb0ELb0EsNS0_19identity_decomposerEEEEE10hipError_tT0_T1_T2_jT3_P12ihipStream_tbPNSt15iterator_traitsISG_E10value_typeEPNSM_ISH_E10value_typeEPSI_NS1_7vsmem_tEENKUlT_SG_SH_SI_E_clIS7_S7_SB_PlEESF_SV_SG_SH_SI_EUlSV_E1_NS1_11comp_targetILNS1_3genE2ELNS1_11target_archE906ELNS1_3gpuE6ELNS1_3repE0EEENS1_36merge_oddeven_config_static_selectorELNS0_4arch9wavefront6targetE1EEEvSH_,"axG",@progbits,_ZN7rocprim17ROCPRIM_400000_NS6detail17trampoline_kernelINS0_14default_configENS1_38merge_sort_block_merge_config_selectorIslEEZZNS1_27merge_sort_block_merge_implIS3_PsN6thrust23THRUST_200600_302600_NS10device_ptrIlEEjNS1_19radix_merge_compareILb0ELb0EsNS0_19identity_decomposerEEEEE10hipError_tT0_T1_T2_jT3_P12ihipStream_tbPNSt15iterator_traitsISG_E10value_typeEPNSM_ISH_E10value_typeEPSI_NS1_7vsmem_tEENKUlT_SG_SH_SI_E_clIS7_S7_SB_PlEESF_SV_SG_SH_SI_EUlSV_E1_NS1_11comp_targetILNS1_3genE2ELNS1_11target_archE906ELNS1_3gpuE6ELNS1_3repE0EEENS1_36merge_oddeven_config_static_selectorELNS0_4arch9wavefront6targetE1EEEvSH_,comdat
.Lfunc_end1321:
	.size	_ZN7rocprim17ROCPRIM_400000_NS6detail17trampoline_kernelINS0_14default_configENS1_38merge_sort_block_merge_config_selectorIslEEZZNS1_27merge_sort_block_merge_implIS3_PsN6thrust23THRUST_200600_302600_NS10device_ptrIlEEjNS1_19radix_merge_compareILb0ELb0EsNS0_19identity_decomposerEEEEE10hipError_tT0_T1_T2_jT3_P12ihipStream_tbPNSt15iterator_traitsISG_E10value_typeEPNSM_ISH_E10value_typeEPSI_NS1_7vsmem_tEENKUlT_SG_SH_SI_E_clIS7_S7_SB_PlEESF_SV_SG_SH_SI_EUlSV_E1_NS1_11comp_targetILNS1_3genE2ELNS1_11target_archE906ELNS1_3gpuE6ELNS1_3repE0EEENS1_36merge_oddeven_config_static_selectorELNS0_4arch9wavefront6targetE1EEEvSH_, .Lfunc_end1321-_ZN7rocprim17ROCPRIM_400000_NS6detail17trampoline_kernelINS0_14default_configENS1_38merge_sort_block_merge_config_selectorIslEEZZNS1_27merge_sort_block_merge_implIS3_PsN6thrust23THRUST_200600_302600_NS10device_ptrIlEEjNS1_19radix_merge_compareILb0ELb0EsNS0_19identity_decomposerEEEEE10hipError_tT0_T1_T2_jT3_P12ihipStream_tbPNSt15iterator_traitsISG_E10value_typeEPNSM_ISH_E10value_typeEPSI_NS1_7vsmem_tEENKUlT_SG_SH_SI_E_clIS7_S7_SB_PlEESF_SV_SG_SH_SI_EUlSV_E1_NS1_11comp_targetILNS1_3genE2ELNS1_11target_archE906ELNS1_3gpuE6ELNS1_3repE0EEENS1_36merge_oddeven_config_static_selectorELNS0_4arch9wavefront6targetE1EEEvSH_
                                        ; -- End function
	.set _ZN7rocprim17ROCPRIM_400000_NS6detail17trampoline_kernelINS0_14default_configENS1_38merge_sort_block_merge_config_selectorIslEEZZNS1_27merge_sort_block_merge_implIS3_PsN6thrust23THRUST_200600_302600_NS10device_ptrIlEEjNS1_19radix_merge_compareILb0ELb0EsNS0_19identity_decomposerEEEEE10hipError_tT0_T1_T2_jT3_P12ihipStream_tbPNSt15iterator_traitsISG_E10value_typeEPNSM_ISH_E10value_typeEPSI_NS1_7vsmem_tEENKUlT_SG_SH_SI_E_clIS7_S7_SB_PlEESF_SV_SG_SH_SI_EUlSV_E1_NS1_11comp_targetILNS1_3genE2ELNS1_11target_archE906ELNS1_3gpuE6ELNS1_3repE0EEENS1_36merge_oddeven_config_static_selectorELNS0_4arch9wavefront6targetE1EEEvSH_.num_vgpr, 10
	.set _ZN7rocprim17ROCPRIM_400000_NS6detail17trampoline_kernelINS0_14default_configENS1_38merge_sort_block_merge_config_selectorIslEEZZNS1_27merge_sort_block_merge_implIS3_PsN6thrust23THRUST_200600_302600_NS10device_ptrIlEEjNS1_19radix_merge_compareILb0ELb0EsNS0_19identity_decomposerEEEEE10hipError_tT0_T1_T2_jT3_P12ihipStream_tbPNSt15iterator_traitsISG_E10value_typeEPNSM_ISH_E10value_typeEPSI_NS1_7vsmem_tEENKUlT_SG_SH_SI_E_clIS7_S7_SB_PlEESF_SV_SG_SH_SI_EUlSV_E1_NS1_11comp_targetILNS1_3genE2ELNS1_11target_archE906ELNS1_3gpuE6ELNS1_3repE0EEENS1_36merge_oddeven_config_static_selectorELNS0_4arch9wavefront6targetE1EEEvSH_.num_agpr, 0
	.set _ZN7rocprim17ROCPRIM_400000_NS6detail17trampoline_kernelINS0_14default_configENS1_38merge_sort_block_merge_config_selectorIslEEZZNS1_27merge_sort_block_merge_implIS3_PsN6thrust23THRUST_200600_302600_NS10device_ptrIlEEjNS1_19radix_merge_compareILb0ELb0EsNS0_19identity_decomposerEEEEE10hipError_tT0_T1_T2_jT3_P12ihipStream_tbPNSt15iterator_traitsISG_E10value_typeEPNSM_ISH_E10value_typeEPSI_NS1_7vsmem_tEENKUlT_SG_SH_SI_E_clIS7_S7_SB_PlEESF_SV_SG_SH_SI_EUlSV_E1_NS1_11comp_targetILNS1_3genE2ELNS1_11target_archE906ELNS1_3gpuE6ELNS1_3repE0EEENS1_36merge_oddeven_config_static_selectorELNS0_4arch9wavefront6targetE1EEEvSH_.numbered_sgpr, 22
	.set _ZN7rocprim17ROCPRIM_400000_NS6detail17trampoline_kernelINS0_14default_configENS1_38merge_sort_block_merge_config_selectorIslEEZZNS1_27merge_sort_block_merge_implIS3_PsN6thrust23THRUST_200600_302600_NS10device_ptrIlEEjNS1_19radix_merge_compareILb0ELb0EsNS0_19identity_decomposerEEEEE10hipError_tT0_T1_T2_jT3_P12ihipStream_tbPNSt15iterator_traitsISG_E10value_typeEPNSM_ISH_E10value_typeEPSI_NS1_7vsmem_tEENKUlT_SG_SH_SI_E_clIS7_S7_SB_PlEESF_SV_SG_SH_SI_EUlSV_E1_NS1_11comp_targetILNS1_3genE2ELNS1_11target_archE906ELNS1_3gpuE6ELNS1_3repE0EEENS1_36merge_oddeven_config_static_selectorELNS0_4arch9wavefront6targetE1EEEvSH_.num_named_barrier, 0
	.set _ZN7rocprim17ROCPRIM_400000_NS6detail17trampoline_kernelINS0_14default_configENS1_38merge_sort_block_merge_config_selectorIslEEZZNS1_27merge_sort_block_merge_implIS3_PsN6thrust23THRUST_200600_302600_NS10device_ptrIlEEjNS1_19radix_merge_compareILb0ELb0EsNS0_19identity_decomposerEEEEE10hipError_tT0_T1_T2_jT3_P12ihipStream_tbPNSt15iterator_traitsISG_E10value_typeEPNSM_ISH_E10value_typeEPSI_NS1_7vsmem_tEENKUlT_SG_SH_SI_E_clIS7_S7_SB_PlEESF_SV_SG_SH_SI_EUlSV_E1_NS1_11comp_targetILNS1_3genE2ELNS1_11target_archE906ELNS1_3gpuE6ELNS1_3repE0EEENS1_36merge_oddeven_config_static_selectorELNS0_4arch9wavefront6targetE1EEEvSH_.private_seg_size, 0
	.set _ZN7rocprim17ROCPRIM_400000_NS6detail17trampoline_kernelINS0_14default_configENS1_38merge_sort_block_merge_config_selectorIslEEZZNS1_27merge_sort_block_merge_implIS3_PsN6thrust23THRUST_200600_302600_NS10device_ptrIlEEjNS1_19radix_merge_compareILb0ELb0EsNS0_19identity_decomposerEEEEE10hipError_tT0_T1_T2_jT3_P12ihipStream_tbPNSt15iterator_traitsISG_E10value_typeEPNSM_ISH_E10value_typeEPSI_NS1_7vsmem_tEENKUlT_SG_SH_SI_E_clIS7_S7_SB_PlEESF_SV_SG_SH_SI_EUlSV_E1_NS1_11comp_targetILNS1_3genE2ELNS1_11target_archE906ELNS1_3gpuE6ELNS1_3repE0EEENS1_36merge_oddeven_config_static_selectorELNS0_4arch9wavefront6targetE1EEEvSH_.uses_vcc, 1
	.set _ZN7rocprim17ROCPRIM_400000_NS6detail17trampoline_kernelINS0_14default_configENS1_38merge_sort_block_merge_config_selectorIslEEZZNS1_27merge_sort_block_merge_implIS3_PsN6thrust23THRUST_200600_302600_NS10device_ptrIlEEjNS1_19radix_merge_compareILb0ELb0EsNS0_19identity_decomposerEEEEE10hipError_tT0_T1_T2_jT3_P12ihipStream_tbPNSt15iterator_traitsISG_E10value_typeEPNSM_ISH_E10value_typeEPSI_NS1_7vsmem_tEENKUlT_SG_SH_SI_E_clIS7_S7_SB_PlEESF_SV_SG_SH_SI_EUlSV_E1_NS1_11comp_targetILNS1_3genE2ELNS1_11target_archE906ELNS1_3gpuE6ELNS1_3repE0EEENS1_36merge_oddeven_config_static_selectorELNS0_4arch9wavefront6targetE1EEEvSH_.uses_flat_scratch, 0
	.set _ZN7rocprim17ROCPRIM_400000_NS6detail17trampoline_kernelINS0_14default_configENS1_38merge_sort_block_merge_config_selectorIslEEZZNS1_27merge_sort_block_merge_implIS3_PsN6thrust23THRUST_200600_302600_NS10device_ptrIlEEjNS1_19radix_merge_compareILb0ELb0EsNS0_19identity_decomposerEEEEE10hipError_tT0_T1_T2_jT3_P12ihipStream_tbPNSt15iterator_traitsISG_E10value_typeEPNSM_ISH_E10value_typeEPSI_NS1_7vsmem_tEENKUlT_SG_SH_SI_E_clIS7_S7_SB_PlEESF_SV_SG_SH_SI_EUlSV_E1_NS1_11comp_targetILNS1_3genE2ELNS1_11target_archE906ELNS1_3gpuE6ELNS1_3repE0EEENS1_36merge_oddeven_config_static_selectorELNS0_4arch9wavefront6targetE1EEEvSH_.has_dyn_sized_stack, 0
	.set _ZN7rocprim17ROCPRIM_400000_NS6detail17trampoline_kernelINS0_14default_configENS1_38merge_sort_block_merge_config_selectorIslEEZZNS1_27merge_sort_block_merge_implIS3_PsN6thrust23THRUST_200600_302600_NS10device_ptrIlEEjNS1_19radix_merge_compareILb0ELb0EsNS0_19identity_decomposerEEEEE10hipError_tT0_T1_T2_jT3_P12ihipStream_tbPNSt15iterator_traitsISG_E10value_typeEPNSM_ISH_E10value_typeEPSI_NS1_7vsmem_tEENKUlT_SG_SH_SI_E_clIS7_S7_SB_PlEESF_SV_SG_SH_SI_EUlSV_E1_NS1_11comp_targetILNS1_3genE2ELNS1_11target_archE906ELNS1_3gpuE6ELNS1_3repE0EEENS1_36merge_oddeven_config_static_selectorELNS0_4arch9wavefront6targetE1EEEvSH_.has_recursion, 0
	.set _ZN7rocprim17ROCPRIM_400000_NS6detail17trampoline_kernelINS0_14default_configENS1_38merge_sort_block_merge_config_selectorIslEEZZNS1_27merge_sort_block_merge_implIS3_PsN6thrust23THRUST_200600_302600_NS10device_ptrIlEEjNS1_19radix_merge_compareILb0ELb0EsNS0_19identity_decomposerEEEEE10hipError_tT0_T1_T2_jT3_P12ihipStream_tbPNSt15iterator_traitsISG_E10value_typeEPNSM_ISH_E10value_typeEPSI_NS1_7vsmem_tEENKUlT_SG_SH_SI_E_clIS7_S7_SB_PlEESF_SV_SG_SH_SI_EUlSV_E1_NS1_11comp_targetILNS1_3genE2ELNS1_11target_archE906ELNS1_3gpuE6ELNS1_3repE0EEENS1_36merge_oddeven_config_static_selectorELNS0_4arch9wavefront6targetE1EEEvSH_.has_indirect_call, 0
	.section	.AMDGPU.csdata,"",@progbits
; Kernel info:
; codeLenInByte = 816
; TotalNumSgprs: 26
; NumVgprs: 10
; ScratchSize: 0
; MemoryBound: 0
; FloatMode: 240
; IeeeMode: 1
; LDSByteSize: 0 bytes/workgroup (compile time only)
; SGPRBlocks: 3
; VGPRBlocks: 2
; NumSGPRsForWavesPerEU: 26
; NumVGPRsForWavesPerEU: 10
; Occupancy: 10
; WaveLimiterHint : 0
; COMPUTE_PGM_RSRC2:SCRATCH_EN: 0
; COMPUTE_PGM_RSRC2:USER_SGPR: 6
; COMPUTE_PGM_RSRC2:TRAP_HANDLER: 0
; COMPUTE_PGM_RSRC2:TGID_X_EN: 1
; COMPUTE_PGM_RSRC2:TGID_Y_EN: 0
; COMPUTE_PGM_RSRC2:TGID_Z_EN: 0
; COMPUTE_PGM_RSRC2:TIDIG_COMP_CNT: 0
	.section	.text._ZN7rocprim17ROCPRIM_400000_NS6detail17trampoline_kernelINS0_14default_configENS1_38merge_sort_block_merge_config_selectorIslEEZZNS1_27merge_sort_block_merge_implIS3_PsN6thrust23THRUST_200600_302600_NS10device_ptrIlEEjNS1_19radix_merge_compareILb0ELb0EsNS0_19identity_decomposerEEEEE10hipError_tT0_T1_T2_jT3_P12ihipStream_tbPNSt15iterator_traitsISG_E10value_typeEPNSM_ISH_E10value_typeEPSI_NS1_7vsmem_tEENKUlT_SG_SH_SI_E_clIS7_S7_SB_PlEESF_SV_SG_SH_SI_EUlSV_E1_NS1_11comp_targetILNS1_3genE9ELNS1_11target_archE1100ELNS1_3gpuE3ELNS1_3repE0EEENS1_36merge_oddeven_config_static_selectorELNS0_4arch9wavefront6targetE1EEEvSH_,"axG",@progbits,_ZN7rocprim17ROCPRIM_400000_NS6detail17trampoline_kernelINS0_14default_configENS1_38merge_sort_block_merge_config_selectorIslEEZZNS1_27merge_sort_block_merge_implIS3_PsN6thrust23THRUST_200600_302600_NS10device_ptrIlEEjNS1_19radix_merge_compareILb0ELb0EsNS0_19identity_decomposerEEEEE10hipError_tT0_T1_T2_jT3_P12ihipStream_tbPNSt15iterator_traitsISG_E10value_typeEPNSM_ISH_E10value_typeEPSI_NS1_7vsmem_tEENKUlT_SG_SH_SI_E_clIS7_S7_SB_PlEESF_SV_SG_SH_SI_EUlSV_E1_NS1_11comp_targetILNS1_3genE9ELNS1_11target_archE1100ELNS1_3gpuE3ELNS1_3repE0EEENS1_36merge_oddeven_config_static_selectorELNS0_4arch9wavefront6targetE1EEEvSH_,comdat
	.protected	_ZN7rocprim17ROCPRIM_400000_NS6detail17trampoline_kernelINS0_14default_configENS1_38merge_sort_block_merge_config_selectorIslEEZZNS1_27merge_sort_block_merge_implIS3_PsN6thrust23THRUST_200600_302600_NS10device_ptrIlEEjNS1_19radix_merge_compareILb0ELb0EsNS0_19identity_decomposerEEEEE10hipError_tT0_T1_T2_jT3_P12ihipStream_tbPNSt15iterator_traitsISG_E10value_typeEPNSM_ISH_E10value_typeEPSI_NS1_7vsmem_tEENKUlT_SG_SH_SI_E_clIS7_S7_SB_PlEESF_SV_SG_SH_SI_EUlSV_E1_NS1_11comp_targetILNS1_3genE9ELNS1_11target_archE1100ELNS1_3gpuE3ELNS1_3repE0EEENS1_36merge_oddeven_config_static_selectorELNS0_4arch9wavefront6targetE1EEEvSH_ ; -- Begin function _ZN7rocprim17ROCPRIM_400000_NS6detail17trampoline_kernelINS0_14default_configENS1_38merge_sort_block_merge_config_selectorIslEEZZNS1_27merge_sort_block_merge_implIS3_PsN6thrust23THRUST_200600_302600_NS10device_ptrIlEEjNS1_19radix_merge_compareILb0ELb0EsNS0_19identity_decomposerEEEEE10hipError_tT0_T1_T2_jT3_P12ihipStream_tbPNSt15iterator_traitsISG_E10value_typeEPNSM_ISH_E10value_typeEPSI_NS1_7vsmem_tEENKUlT_SG_SH_SI_E_clIS7_S7_SB_PlEESF_SV_SG_SH_SI_EUlSV_E1_NS1_11comp_targetILNS1_3genE9ELNS1_11target_archE1100ELNS1_3gpuE3ELNS1_3repE0EEENS1_36merge_oddeven_config_static_selectorELNS0_4arch9wavefront6targetE1EEEvSH_
	.globl	_ZN7rocprim17ROCPRIM_400000_NS6detail17trampoline_kernelINS0_14default_configENS1_38merge_sort_block_merge_config_selectorIslEEZZNS1_27merge_sort_block_merge_implIS3_PsN6thrust23THRUST_200600_302600_NS10device_ptrIlEEjNS1_19radix_merge_compareILb0ELb0EsNS0_19identity_decomposerEEEEE10hipError_tT0_T1_T2_jT3_P12ihipStream_tbPNSt15iterator_traitsISG_E10value_typeEPNSM_ISH_E10value_typeEPSI_NS1_7vsmem_tEENKUlT_SG_SH_SI_E_clIS7_S7_SB_PlEESF_SV_SG_SH_SI_EUlSV_E1_NS1_11comp_targetILNS1_3genE9ELNS1_11target_archE1100ELNS1_3gpuE3ELNS1_3repE0EEENS1_36merge_oddeven_config_static_selectorELNS0_4arch9wavefront6targetE1EEEvSH_
	.p2align	8
	.type	_ZN7rocprim17ROCPRIM_400000_NS6detail17trampoline_kernelINS0_14default_configENS1_38merge_sort_block_merge_config_selectorIslEEZZNS1_27merge_sort_block_merge_implIS3_PsN6thrust23THRUST_200600_302600_NS10device_ptrIlEEjNS1_19radix_merge_compareILb0ELb0EsNS0_19identity_decomposerEEEEE10hipError_tT0_T1_T2_jT3_P12ihipStream_tbPNSt15iterator_traitsISG_E10value_typeEPNSM_ISH_E10value_typeEPSI_NS1_7vsmem_tEENKUlT_SG_SH_SI_E_clIS7_S7_SB_PlEESF_SV_SG_SH_SI_EUlSV_E1_NS1_11comp_targetILNS1_3genE9ELNS1_11target_archE1100ELNS1_3gpuE3ELNS1_3repE0EEENS1_36merge_oddeven_config_static_selectorELNS0_4arch9wavefront6targetE1EEEvSH_,@function
_ZN7rocprim17ROCPRIM_400000_NS6detail17trampoline_kernelINS0_14default_configENS1_38merge_sort_block_merge_config_selectorIslEEZZNS1_27merge_sort_block_merge_implIS3_PsN6thrust23THRUST_200600_302600_NS10device_ptrIlEEjNS1_19radix_merge_compareILb0ELb0EsNS0_19identity_decomposerEEEEE10hipError_tT0_T1_T2_jT3_P12ihipStream_tbPNSt15iterator_traitsISG_E10value_typeEPNSM_ISH_E10value_typeEPSI_NS1_7vsmem_tEENKUlT_SG_SH_SI_E_clIS7_S7_SB_PlEESF_SV_SG_SH_SI_EUlSV_E1_NS1_11comp_targetILNS1_3genE9ELNS1_11target_archE1100ELNS1_3gpuE3ELNS1_3repE0EEENS1_36merge_oddeven_config_static_selectorELNS0_4arch9wavefront6targetE1EEEvSH_: ; @_ZN7rocprim17ROCPRIM_400000_NS6detail17trampoline_kernelINS0_14default_configENS1_38merge_sort_block_merge_config_selectorIslEEZZNS1_27merge_sort_block_merge_implIS3_PsN6thrust23THRUST_200600_302600_NS10device_ptrIlEEjNS1_19radix_merge_compareILb0ELb0EsNS0_19identity_decomposerEEEEE10hipError_tT0_T1_T2_jT3_P12ihipStream_tbPNSt15iterator_traitsISG_E10value_typeEPNSM_ISH_E10value_typeEPSI_NS1_7vsmem_tEENKUlT_SG_SH_SI_E_clIS7_S7_SB_PlEESF_SV_SG_SH_SI_EUlSV_E1_NS1_11comp_targetILNS1_3genE9ELNS1_11target_archE1100ELNS1_3gpuE3ELNS1_3repE0EEENS1_36merge_oddeven_config_static_selectorELNS0_4arch9wavefront6targetE1EEEvSH_
; %bb.0:
	.section	.rodata,"a",@progbits
	.p2align	6, 0x0
	.amdhsa_kernel _ZN7rocprim17ROCPRIM_400000_NS6detail17trampoline_kernelINS0_14default_configENS1_38merge_sort_block_merge_config_selectorIslEEZZNS1_27merge_sort_block_merge_implIS3_PsN6thrust23THRUST_200600_302600_NS10device_ptrIlEEjNS1_19radix_merge_compareILb0ELb0EsNS0_19identity_decomposerEEEEE10hipError_tT0_T1_T2_jT3_P12ihipStream_tbPNSt15iterator_traitsISG_E10value_typeEPNSM_ISH_E10value_typeEPSI_NS1_7vsmem_tEENKUlT_SG_SH_SI_E_clIS7_S7_SB_PlEESF_SV_SG_SH_SI_EUlSV_E1_NS1_11comp_targetILNS1_3genE9ELNS1_11target_archE1100ELNS1_3gpuE3ELNS1_3repE0EEENS1_36merge_oddeven_config_static_selectorELNS0_4arch9wavefront6targetE1EEEvSH_
		.amdhsa_group_segment_fixed_size 0
		.amdhsa_private_segment_fixed_size 0
		.amdhsa_kernarg_size 48
		.amdhsa_user_sgpr_count 6
		.amdhsa_user_sgpr_private_segment_buffer 1
		.amdhsa_user_sgpr_dispatch_ptr 0
		.amdhsa_user_sgpr_queue_ptr 0
		.amdhsa_user_sgpr_kernarg_segment_ptr 1
		.amdhsa_user_sgpr_dispatch_id 0
		.amdhsa_user_sgpr_flat_scratch_init 0
		.amdhsa_user_sgpr_private_segment_size 0
		.amdhsa_uses_dynamic_stack 0
		.amdhsa_system_sgpr_private_segment_wavefront_offset 0
		.amdhsa_system_sgpr_workgroup_id_x 1
		.amdhsa_system_sgpr_workgroup_id_y 0
		.amdhsa_system_sgpr_workgroup_id_z 0
		.amdhsa_system_sgpr_workgroup_info 0
		.amdhsa_system_vgpr_workitem_id 0
		.amdhsa_next_free_vgpr 1
		.amdhsa_next_free_sgpr 0
		.amdhsa_reserve_vcc 0
		.amdhsa_reserve_flat_scratch 0
		.amdhsa_float_round_mode_32 0
		.amdhsa_float_round_mode_16_64 0
		.amdhsa_float_denorm_mode_32 3
		.amdhsa_float_denorm_mode_16_64 3
		.amdhsa_dx10_clamp 1
		.amdhsa_ieee_mode 1
		.amdhsa_fp16_overflow 0
		.amdhsa_exception_fp_ieee_invalid_op 0
		.amdhsa_exception_fp_denorm_src 0
		.amdhsa_exception_fp_ieee_div_zero 0
		.amdhsa_exception_fp_ieee_overflow 0
		.amdhsa_exception_fp_ieee_underflow 0
		.amdhsa_exception_fp_ieee_inexact 0
		.amdhsa_exception_int_div_zero 0
	.end_amdhsa_kernel
	.section	.text._ZN7rocprim17ROCPRIM_400000_NS6detail17trampoline_kernelINS0_14default_configENS1_38merge_sort_block_merge_config_selectorIslEEZZNS1_27merge_sort_block_merge_implIS3_PsN6thrust23THRUST_200600_302600_NS10device_ptrIlEEjNS1_19radix_merge_compareILb0ELb0EsNS0_19identity_decomposerEEEEE10hipError_tT0_T1_T2_jT3_P12ihipStream_tbPNSt15iterator_traitsISG_E10value_typeEPNSM_ISH_E10value_typeEPSI_NS1_7vsmem_tEENKUlT_SG_SH_SI_E_clIS7_S7_SB_PlEESF_SV_SG_SH_SI_EUlSV_E1_NS1_11comp_targetILNS1_3genE9ELNS1_11target_archE1100ELNS1_3gpuE3ELNS1_3repE0EEENS1_36merge_oddeven_config_static_selectorELNS0_4arch9wavefront6targetE1EEEvSH_,"axG",@progbits,_ZN7rocprim17ROCPRIM_400000_NS6detail17trampoline_kernelINS0_14default_configENS1_38merge_sort_block_merge_config_selectorIslEEZZNS1_27merge_sort_block_merge_implIS3_PsN6thrust23THRUST_200600_302600_NS10device_ptrIlEEjNS1_19radix_merge_compareILb0ELb0EsNS0_19identity_decomposerEEEEE10hipError_tT0_T1_T2_jT3_P12ihipStream_tbPNSt15iterator_traitsISG_E10value_typeEPNSM_ISH_E10value_typeEPSI_NS1_7vsmem_tEENKUlT_SG_SH_SI_E_clIS7_S7_SB_PlEESF_SV_SG_SH_SI_EUlSV_E1_NS1_11comp_targetILNS1_3genE9ELNS1_11target_archE1100ELNS1_3gpuE3ELNS1_3repE0EEENS1_36merge_oddeven_config_static_selectorELNS0_4arch9wavefront6targetE1EEEvSH_,comdat
.Lfunc_end1322:
	.size	_ZN7rocprim17ROCPRIM_400000_NS6detail17trampoline_kernelINS0_14default_configENS1_38merge_sort_block_merge_config_selectorIslEEZZNS1_27merge_sort_block_merge_implIS3_PsN6thrust23THRUST_200600_302600_NS10device_ptrIlEEjNS1_19radix_merge_compareILb0ELb0EsNS0_19identity_decomposerEEEEE10hipError_tT0_T1_T2_jT3_P12ihipStream_tbPNSt15iterator_traitsISG_E10value_typeEPNSM_ISH_E10value_typeEPSI_NS1_7vsmem_tEENKUlT_SG_SH_SI_E_clIS7_S7_SB_PlEESF_SV_SG_SH_SI_EUlSV_E1_NS1_11comp_targetILNS1_3genE9ELNS1_11target_archE1100ELNS1_3gpuE3ELNS1_3repE0EEENS1_36merge_oddeven_config_static_selectorELNS0_4arch9wavefront6targetE1EEEvSH_, .Lfunc_end1322-_ZN7rocprim17ROCPRIM_400000_NS6detail17trampoline_kernelINS0_14default_configENS1_38merge_sort_block_merge_config_selectorIslEEZZNS1_27merge_sort_block_merge_implIS3_PsN6thrust23THRUST_200600_302600_NS10device_ptrIlEEjNS1_19radix_merge_compareILb0ELb0EsNS0_19identity_decomposerEEEEE10hipError_tT0_T1_T2_jT3_P12ihipStream_tbPNSt15iterator_traitsISG_E10value_typeEPNSM_ISH_E10value_typeEPSI_NS1_7vsmem_tEENKUlT_SG_SH_SI_E_clIS7_S7_SB_PlEESF_SV_SG_SH_SI_EUlSV_E1_NS1_11comp_targetILNS1_3genE9ELNS1_11target_archE1100ELNS1_3gpuE3ELNS1_3repE0EEENS1_36merge_oddeven_config_static_selectorELNS0_4arch9wavefront6targetE1EEEvSH_
                                        ; -- End function
	.set _ZN7rocprim17ROCPRIM_400000_NS6detail17trampoline_kernelINS0_14default_configENS1_38merge_sort_block_merge_config_selectorIslEEZZNS1_27merge_sort_block_merge_implIS3_PsN6thrust23THRUST_200600_302600_NS10device_ptrIlEEjNS1_19radix_merge_compareILb0ELb0EsNS0_19identity_decomposerEEEEE10hipError_tT0_T1_T2_jT3_P12ihipStream_tbPNSt15iterator_traitsISG_E10value_typeEPNSM_ISH_E10value_typeEPSI_NS1_7vsmem_tEENKUlT_SG_SH_SI_E_clIS7_S7_SB_PlEESF_SV_SG_SH_SI_EUlSV_E1_NS1_11comp_targetILNS1_3genE9ELNS1_11target_archE1100ELNS1_3gpuE3ELNS1_3repE0EEENS1_36merge_oddeven_config_static_selectorELNS0_4arch9wavefront6targetE1EEEvSH_.num_vgpr, 0
	.set _ZN7rocprim17ROCPRIM_400000_NS6detail17trampoline_kernelINS0_14default_configENS1_38merge_sort_block_merge_config_selectorIslEEZZNS1_27merge_sort_block_merge_implIS3_PsN6thrust23THRUST_200600_302600_NS10device_ptrIlEEjNS1_19radix_merge_compareILb0ELb0EsNS0_19identity_decomposerEEEEE10hipError_tT0_T1_T2_jT3_P12ihipStream_tbPNSt15iterator_traitsISG_E10value_typeEPNSM_ISH_E10value_typeEPSI_NS1_7vsmem_tEENKUlT_SG_SH_SI_E_clIS7_S7_SB_PlEESF_SV_SG_SH_SI_EUlSV_E1_NS1_11comp_targetILNS1_3genE9ELNS1_11target_archE1100ELNS1_3gpuE3ELNS1_3repE0EEENS1_36merge_oddeven_config_static_selectorELNS0_4arch9wavefront6targetE1EEEvSH_.num_agpr, 0
	.set _ZN7rocprim17ROCPRIM_400000_NS6detail17trampoline_kernelINS0_14default_configENS1_38merge_sort_block_merge_config_selectorIslEEZZNS1_27merge_sort_block_merge_implIS3_PsN6thrust23THRUST_200600_302600_NS10device_ptrIlEEjNS1_19radix_merge_compareILb0ELb0EsNS0_19identity_decomposerEEEEE10hipError_tT0_T1_T2_jT3_P12ihipStream_tbPNSt15iterator_traitsISG_E10value_typeEPNSM_ISH_E10value_typeEPSI_NS1_7vsmem_tEENKUlT_SG_SH_SI_E_clIS7_S7_SB_PlEESF_SV_SG_SH_SI_EUlSV_E1_NS1_11comp_targetILNS1_3genE9ELNS1_11target_archE1100ELNS1_3gpuE3ELNS1_3repE0EEENS1_36merge_oddeven_config_static_selectorELNS0_4arch9wavefront6targetE1EEEvSH_.numbered_sgpr, 0
	.set _ZN7rocprim17ROCPRIM_400000_NS6detail17trampoline_kernelINS0_14default_configENS1_38merge_sort_block_merge_config_selectorIslEEZZNS1_27merge_sort_block_merge_implIS3_PsN6thrust23THRUST_200600_302600_NS10device_ptrIlEEjNS1_19radix_merge_compareILb0ELb0EsNS0_19identity_decomposerEEEEE10hipError_tT0_T1_T2_jT3_P12ihipStream_tbPNSt15iterator_traitsISG_E10value_typeEPNSM_ISH_E10value_typeEPSI_NS1_7vsmem_tEENKUlT_SG_SH_SI_E_clIS7_S7_SB_PlEESF_SV_SG_SH_SI_EUlSV_E1_NS1_11comp_targetILNS1_3genE9ELNS1_11target_archE1100ELNS1_3gpuE3ELNS1_3repE0EEENS1_36merge_oddeven_config_static_selectorELNS0_4arch9wavefront6targetE1EEEvSH_.num_named_barrier, 0
	.set _ZN7rocprim17ROCPRIM_400000_NS6detail17trampoline_kernelINS0_14default_configENS1_38merge_sort_block_merge_config_selectorIslEEZZNS1_27merge_sort_block_merge_implIS3_PsN6thrust23THRUST_200600_302600_NS10device_ptrIlEEjNS1_19radix_merge_compareILb0ELb0EsNS0_19identity_decomposerEEEEE10hipError_tT0_T1_T2_jT3_P12ihipStream_tbPNSt15iterator_traitsISG_E10value_typeEPNSM_ISH_E10value_typeEPSI_NS1_7vsmem_tEENKUlT_SG_SH_SI_E_clIS7_S7_SB_PlEESF_SV_SG_SH_SI_EUlSV_E1_NS1_11comp_targetILNS1_3genE9ELNS1_11target_archE1100ELNS1_3gpuE3ELNS1_3repE0EEENS1_36merge_oddeven_config_static_selectorELNS0_4arch9wavefront6targetE1EEEvSH_.private_seg_size, 0
	.set _ZN7rocprim17ROCPRIM_400000_NS6detail17trampoline_kernelINS0_14default_configENS1_38merge_sort_block_merge_config_selectorIslEEZZNS1_27merge_sort_block_merge_implIS3_PsN6thrust23THRUST_200600_302600_NS10device_ptrIlEEjNS1_19radix_merge_compareILb0ELb0EsNS0_19identity_decomposerEEEEE10hipError_tT0_T1_T2_jT3_P12ihipStream_tbPNSt15iterator_traitsISG_E10value_typeEPNSM_ISH_E10value_typeEPSI_NS1_7vsmem_tEENKUlT_SG_SH_SI_E_clIS7_S7_SB_PlEESF_SV_SG_SH_SI_EUlSV_E1_NS1_11comp_targetILNS1_3genE9ELNS1_11target_archE1100ELNS1_3gpuE3ELNS1_3repE0EEENS1_36merge_oddeven_config_static_selectorELNS0_4arch9wavefront6targetE1EEEvSH_.uses_vcc, 0
	.set _ZN7rocprim17ROCPRIM_400000_NS6detail17trampoline_kernelINS0_14default_configENS1_38merge_sort_block_merge_config_selectorIslEEZZNS1_27merge_sort_block_merge_implIS3_PsN6thrust23THRUST_200600_302600_NS10device_ptrIlEEjNS1_19radix_merge_compareILb0ELb0EsNS0_19identity_decomposerEEEEE10hipError_tT0_T1_T2_jT3_P12ihipStream_tbPNSt15iterator_traitsISG_E10value_typeEPNSM_ISH_E10value_typeEPSI_NS1_7vsmem_tEENKUlT_SG_SH_SI_E_clIS7_S7_SB_PlEESF_SV_SG_SH_SI_EUlSV_E1_NS1_11comp_targetILNS1_3genE9ELNS1_11target_archE1100ELNS1_3gpuE3ELNS1_3repE0EEENS1_36merge_oddeven_config_static_selectorELNS0_4arch9wavefront6targetE1EEEvSH_.uses_flat_scratch, 0
	.set _ZN7rocprim17ROCPRIM_400000_NS6detail17trampoline_kernelINS0_14default_configENS1_38merge_sort_block_merge_config_selectorIslEEZZNS1_27merge_sort_block_merge_implIS3_PsN6thrust23THRUST_200600_302600_NS10device_ptrIlEEjNS1_19radix_merge_compareILb0ELb0EsNS0_19identity_decomposerEEEEE10hipError_tT0_T1_T2_jT3_P12ihipStream_tbPNSt15iterator_traitsISG_E10value_typeEPNSM_ISH_E10value_typeEPSI_NS1_7vsmem_tEENKUlT_SG_SH_SI_E_clIS7_S7_SB_PlEESF_SV_SG_SH_SI_EUlSV_E1_NS1_11comp_targetILNS1_3genE9ELNS1_11target_archE1100ELNS1_3gpuE3ELNS1_3repE0EEENS1_36merge_oddeven_config_static_selectorELNS0_4arch9wavefront6targetE1EEEvSH_.has_dyn_sized_stack, 0
	.set _ZN7rocprim17ROCPRIM_400000_NS6detail17trampoline_kernelINS0_14default_configENS1_38merge_sort_block_merge_config_selectorIslEEZZNS1_27merge_sort_block_merge_implIS3_PsN6thrust23THRUST_200600_302600_NS10device_ptrIlEEjNS1_19radix_merge_compareILb0ELb0EsNS0_19identity_decomposerEEEEE10hipError_tT0_T1_T2_jT3_P12ihipStream_tbPNSt15iterator_traitsISG_E10value_typeEPNSM_ISH_E10value_typeEPSI_NS1_7vsmem_tEENKUlT_SG_SH_SI_E_clIS7_S7_SB_PlEESF_SV_SG_SH_SI_EUlSV_E1_NS1_11comp_targetILNS1_3genE9ELNS1_11target_archE1100ELNS1_3gpuE3ELNS1_3repE0EEENS1_36merge_oddeven_config_static_selectorELNS0_4arch9wavefront6targetE1EEEvSH_.has_recursion, 0
	.set _ZN7rocprim17ROCPRIM_400000_NS6detail17trampoline_kernelINS0_14default_configENS1_38merge_sort_block_merge_config_selectorIslEEZZNS1_27merge_sort_block_merge_implIS3_PsN6thrust23THRUST_200600_302600_NS10device_ptrIlEEjNS1_19radix_merge_compareILb0ELb0EsNS0_19identity_decomposerEEEEE10hipError_tT0_T1_T2_jT3_P12ihipStream_tbPNSt15iterator_traitsISG_E10value_typeEPNSM_ISH_E10value_typeEPSI_NS1_7vsmem_tEENKUlT_SG_SH_SI_E_clIS7_S7_SB_PlEESF_SV_SG_SH_SI_EUlSV_E1_NS1_11comp_targetILNS1_3genE9ELNS1_11target_archE1100ELNS1_3gpuE3ELNS1_3repE0EEENS1_36merge_oddeven_config_static_selectorELNS0_4arch9wavefront6targetE1EEEvSH_.has_indirect_call, 0
	.section	.AMDGPU.csdata,"",@progbits
; Kernel info:
; codeLenInByte = 0
; TotalNumSgprs: 4
; NumVgprs: 0
; ScratchSize: 0
; MemoryBound: 0
; FloatMode: 240
; IeeeMode: 1
; LDSByteSize: 0 bytes/workgroup (compile time only)
; SGPRBlocks: 0
; VGPRBlocks: 0
; NumSGPRsForWavesPerEU: 4
; NumVGPRsForWavesPerEU: 1
; Occupancy: 10
; WaveLimiterHint : 0
; COMPUTE_PGM_RSRC2:SCRATCH_EN: 0
; COMPUTE_PGM_RSRC2:USER_SGPR: 6
; COMPUTE_PGM_RSRC2:TRAP_HANDLER: 0
; COMPUTE_PGM_RSRC2:TGID_X_EN: 1
; COMPUTE_PGM_RSRC2:TGID_Y_EN: 0
; COMPUTE_PGM_RSRC2:TGID_Z_EN: 0
; COMPUTE_PGM_RSRC2:TIDIG_COMP_CNT: 0
	.section	.text._ZN7rocprim17ROCPRIM_400000_NS6detail17trampoline_kernelINS0_14default_configENS1_38merge_sort_block_merge_config_selectorIslEEZZNS1_27merge_sort_block_merge_implIS3_PsN6thrust23THRUST_200600_302600_NS10device_ptrIlEEjNS1_19radix_merge_compareILb0ELb0EsNS0_19identity_decomposerEEEEE10hipError_tT0_T1_T2_jT3_P12ihipStream_tbPNSt15iterator_traitsISG_E10value_typeEPNSM_ISH_E10value_typeEPSI_NS1_7vsmem_tEENKUlT_SG_SH_SI_E_clIS7_S7_SB_PlEESF_SV_SG_SH_SI_EUlSV_E1_NS1_11comp_targetILNS1_3genE8ELNS1_11target_archE1030ELNS1_3gpuE2ELNS1_3repE0EEENS1_36merge_oddeven_config_static_selectorELNS0_4arch9wavefront6targetE1EEEvSH_,"axG",@progbits,_ZN7rocprim17ROCPRIM_400000_NS6detail17trampoline_kernelINS0_14default_configENS1_38merge_sort_block_merge_config_selectorIslEEZZNS1_27merge_sort_block_merge_implIS3_PsN6thrust23THRUST_200600_302600_NS10device_ptrIlEEjNS1_19radix_merge_compareILb0ELb0EsNS0_19identity_decomposerEEEEE10hipError_tT0_T1_T2_jT3_P12ihipStream_tbPNSt15iterator_traitsISG_E10value_typeEPNSM_ISH_E10value_typeEPSI_NS1_7vsmem_tEENKUlT_SG_SH_SI_E_clIS7_S7_SB_PlEESF_SV_SG_SH_SI_EUlSV_E1_NS1_11comp_targetILNS1_3genE8ELNS1_11target_archE1030ELNS1_3gpuE2ELNS1_3repE0EEENS1_36merge_oddeven_config_static_selectorELNS0_4arch9wavefront6targetE1EEEvSH_,comdat
	.protected	_ZN7rocprim17ROCPRIM_400000_NS6detail17trampoline_kernelINS0_14default_configENS1_38merge_sort_block_merge_config_selectorIslEEZZNS1_27merge_sort_block_merge_implIS3_PsN6thrust23THRUST_200600_302600_NS10device_ptrIlEEjNS1_19radix_merge_compareILb0ELb0EsNS0_19identity_decomposerEEEEE10hipError_tT0_T1_T2_jT3_P12ihipStream_tbPNSt15iterator_traitsISG_E10value_typeEPNSM_ISH_E10value_typeEPSI_NS1_7vsmem_tEENKUlT_SG_SH_SI_E_clIS7_S7_SB_PlEESF_SV_SG_SH_SI_EUlSV_E1_NS1_11comp_targetILNS1_3genE8ELNS1_11target_archE1030ELNS1_3gpuE2ELNS1_3repE0EEENS1_36merge_oddeven_config_static_selectorELNS0_4arch9wavefront6targetE1EEEvSH_ ; -- Begin function _ZN7rocprim17ROCPRIM_400000_NS6detail17trampoline_kernelINS0_14default_configENS1_38merge_sort_block_merge_config_selectorIslEEZZNS1_27merge_sort_block_merge_implIS3_PsN6thrust23THRUST_200600_302600_NS10device_ptrIlEEjNS1_19radix_merge_compareILb0ELb0EsNS0_19identity_decomposerEEEEE10hipError_tT0_T1_T2_jT3_P12ihipStream_tbPNSt15iterator_traitsISG_E10value_typeEPNSM_ISH_E10value_typeEPSI_NS1_7vsmem_tEENKUlT_SG_SH_SI_E_clIS7_S7_SB_PlEESF_SV_SG_SH_SI_EUlSV_E1_NS1_11comp_targetILNS1_3genE8ELNS1_11target_archE1030ELNS1_3gpuE2ELNS1_3repE0EEENS1_36merge_oddeven_config_static_selectorELNS0_4arch9wavefront6targetE1EEEvSH_
	.globl	_ZN7rocprim17ROCPRIM_400000_NS6detail17trampoline_kernelINS0_14default_configENS1_38merge_sort_block_merge_config_selectorIslEEZZNS1_27merge_sort_block_merge_implIS3_PsN6thrust23THRUST_200600_302600_NS10device_ptrIlEEjNS1_19radix_merge_compareILb0ELb0EsNS0_19identity_decomposerEEEEE10hipError_tT0_T1_T2_jT3_P12ihipStream_tbPNSt15iterator_traitsISG_E10value_typeEPNSM_ISH_E10value_typeEPSI_NS1_7vsmem_tEENKUlT_SG_SH_SI_E_clIS7_S7_SB_PlEESF_SV_SG_SH_SI_EUlSV_E1_NS1_11comp_targetILNS1_3genE8ELNS1_11target_archE1030ELNS1_3gpuE2ELNS1_3repE0EEENS1_36merge_oddeven_config_static_selectorELNS0_4arch9wavefront6targetE1EEEvSH_
	.p2align	8
	.type	_ZN7rocprim17ROCPRIM_400000_NS6detail17trampoline_kernelINS0_14default_configENS1_38merge_sort_block_merge_config_selectorIslEEZZNS1_27merge_sort_block_merge_implIS3_PsN6thrust23THRUST_200600_302600_NS10device_ptrIlEEjNS1_19radix_merge_compareILb0ELb0EsNS0_19identity_decomposerEEEEE10hipError_tT0_T1_T2_jT3_P12ihipStream_tbPNSt15iterator_traitsISG_E10value_typeEPNSM_ISH_E10value_typeEPSI_NS1_7vsmem_tEENKUlT_SG_SH_SI_E_clIS7_S7_SB_PlEESF_SV_SG_SH_SI_EUlSV_E1_NS1_11comp_targetILNS1_3genE8ELNS1_11target_archE1030ELNS1_3gpuE2ELNS1_3repE0EEENS1_36merge_oddeven_config_static_selectorELNS0_4arch9wavefront6targetE1EEEvSH_,@function
_ZN7rocprim17ROCPRIM_400000_NS6detail17trampoline_kernelINS0_14default_configENS1_38merge_sort_block_merge_config_selectorIslEEZZNS1_27merge_sort_block_merge_implIS3_PsN6thrust23THRUST_200600_302600_NS10device_ptrIlEEjNS1_19radix_merge_compareILb0ELb0EsNS0_19identity_decomposerEEEEE10hipError_tT0_T1_T2_jT3_P12ihipStream_tbPNSt15iterator_traitsISG_E10value_typeEPNSM_ISH_E10value_typeEPSI_NS1_7vsmem_tEENKUlT_SG_SH_SI_E_clIS7_S7_SB_PlEESF_SV_SG_SH_SI_EUlSV_E1_NS1_11comp_targetILNS1_3genE8ELNS1_11target_archE1030ELNS1_3gpuE2ELNS1_3repE0EEENS1_36merge_oddeven_config_static_selectorELNS0_4arch9wavefront6targetE1EEEvSH_: ; @_ZN7rocprim17ROCPRIM_400000_NS6detail17trampoline_kernelINS0_14default_configENS1_38merge_sort_block_merge_config_selectorIslEEZZNS1_27merge_sort_block_merge_implIS3_PsN6thrust23THRUST_200600_302600_NS10device_ptrIlEEjNS1_19radix_merge_compareILb0ELb0EsNS0_19identity_decomposerEEEEE10hipError_tT0_T1_T2_jT3_P12ihipStream_tbPNSt15iterator_traitsISG_E10value_typeEPNSM_ISH_E10value_typeEPSI_NS1_7vsmem_tEENKUlT_SG_SH_SI_E_clIS7_S7_SB_PlEESF_SV_SG_SH_SI_EUlSV_E1_NS1_11comp_targetILNS1_3genE8ELNS1_11target_archE1030ELNS1_3gpuE2ELNS1_3repE0EEENS1_36merge_oddeven_config_static_selectorELNS0_4arch9wavefront6targetE1EEEvSH_
; %bb.0:
	.section	.rodata,"a",@progbits
	.p2align	6, 0x0
	.amdhsa_kernel _ZN7rocprim17ROCPRIM_400000_NS6detail17trampoline_kernelINS0_14default_configENS1_38merge_sort_block_merge_config_selectorIslEEZZNS1_27merge_sort_block_merge_implIS3_PsN6thrust23THRUST_200600_302600_NS10device_ptrIlEEjNS1_19radix_merge_compareILb0ELb0EsNS0_19identity_decomposerEEEEE10hipError_tT0_T1_T2_jT3_P12ihipStream_tbPNSt15iterator_traitsISG_E10value_typeEPNSM_ISH_E10value_typeEPSI_NS1_7vsmem_tEENKUlT_SG_SH_SI_E_clIS7_S7_SB_PlEESF_SV_SG_SH_SI_EUlSV_E1_NS1_11comp_targetILNS1_3genE8ELNS1_11target_archE1030ELNS1_3gpuE2ELNS1_3repE0EEENS1_36merge_oddeven_config_static_selectorELNS0_4arch9wavefront6targetE1EEEvSH_
		.amdhsa_group_segment_fixed_size 0
		.amdhsa_private_segment_fixed_size 0
		.amdhsa_kernarg_size 48
		.amdhsa_user_sgpr_count 6
		.amdhsa_user_sgpr_private_segment_buffer 1
		.amdhsa_user_sgpr_dispatch_ptr 0
		.amdhsa_user_sgpr_queue_ptr 0
		.amdhsa_user_sgpr_kernarg_segment_ptr 1
		.amdhsa_user_sgpr_dispatch_id 0
		.amdhsa_user_sgpr_flat_scratch_init 0
		.amdhsa_user_sgpr_private_segment_size 0
		.amdhsa_uses_dynamic_stack 0
		.amdhsa_system_sgpr_private_segment_wavefront_offset 0
		.amdhsa_system_sgpr_workgroup_id_x 1
		.amdhsa_system_sgpr_workgroup_id_y 0
		.amdhsa_system_sgpr_workgroup_id_z 0
		.amdhsa_system_sgpr_workgroup_info 0
		.amdhsa_system_vgpr_workitem_id 0
		.amdhsa_next_free_vgpr 1
		.amdhsa_next_free_sgpr 0
		.amdhsa_reserve_vcc 0
		.amdhsa_reserve_flat_scratch 0
		.amdhsa_float_round_mode_32 0
		.amdhsa_float_round_mode_16_64 0
		.amdhsa_float_denorm_mode_32 3
		.amdhsa_float_denorm_mode_16_64 3
		.amdhsa_dx10_clamp 1
		.amdhsa_ieee_mode 1
		.amdhsa_fp16_overflow 0
		.amdhsa_exception_fp_ieee_invalid_op 0
		.amdhsa_exception_fp_denorm_src 0
		.amdhsa_exception_fp_ieee_div_zero 0
		.amdhsa_exception_fp_ieee_overflow 0
		.amdhsa_exception_fp_ieee_underflow 0
		.amdhsa_exception_fp_ieee_inexact 0
		.amdhsa_exception_int_div_zero 0
	.end_amdhsa_kernel
	.section	.text._ZN7rocprim17ROCPRIM_400000_NS6detail17trampoline_kernelINS0_14default_configENS1_38merge_sort_block_merge_config_selectorIslEEZZNS1_27merge_sort_block_merge_implIS3_PsN6thrust23THRUST_200600_302600_NS10device_ptrIlEEjNS1_19radix_merge_compareILb0ELb0EsNS0_19identity_decomposerEEEEE10hipError_tT0_T1_T2_jT3_P12ihipStream_tbPNSt15iterator_traitsISG_E10value_typeEPNSM_ISH_E10value_typeEPSI_NS1_7vsmem_tEENKUlT_SG_SH_SI_E_clIS7_S7_SB_PlEESF_SV_SG_SH_SI_EUlSV_E1_NS1_11comp_targetILNS1_3genE8ELNS1_11target_archE1030ELNS1_3gpuE2ELNS1_3repE0EEENS1_36merge_oddeven_config_static_selectorELNS0_4arch9wavefront6targetE1EEEvSH_,"axG",@progbits,_ZN7rocprim17ROCPRIM_400000_NS6detail17trampoline_kernelINS0_14default_configENS1_38merge_sort_block_merge_config_selectorIslEEZZNS1_27merge_sort_block_merge_implIS3_PsN6thrust23THRUST_200600_302600_NS10device_ptrIlEEjNS1_19radix_merge_compareILb0ELb0EsNS0_19identity_decomposerEEEEE10hipError_tT0_T1_T2_jT3_P12ihipStream_tbPNSt15iterator_traitsISG_E10value_typeEPNSM_ISH_E10value_typeEPSI_NS1_7vsmem_tEENKUlT_SG_SH_SI_E_clIS7_S7_SB_PlEESF_SV_SG_SH_SI_EUlSV_E1_NS1_11comp_targetILNS1_3genE8ELNS1_11target_archE1030ELNS1_3gpuE2ELNS1_3repE0EEENS1_36merge_oddeven_config_static_selectorELNS0_4arch9wavefront6targetE1EEEvSH_,comdat
.Lfunc_end1323:
	.size	_ZN7rocprim17ROCPRIM_400000_NS6detail17trampoline_kernelINS0_14default_configENS1_38merge_sort_block_merge_config_selectorIslEEZZNS1_27merge_sort_block_merge_implIS3_PsN6thrust23THRUST_200600_302600_NS10device_ptrIlEEjNS1_19radix_merge_compareILb0ELb0EsNS0_19identity_decomposerEEEEE10hipError_tT0_T1_T2_jT3_P12ihipStream_tbPNSt15iterator_traitsISG_E10value_typeEPNSM_ISH_E10value_typeEPSI_NS1_7vsmem_tEENKUlT_SG_SH_SI_E_clIS7_S7_SB_PlEESF_SV_SG_SH_SI_EUlSV_E1_NS1_11comp_targetILNS1_3genE8ELNS1_11target_archE1030ELNS1_3gpuE2ELNS1_3repE0EEENS1_36merge_oddeven_config_static_selectorELNS0_4arch9wavefront6targetE1EEEvSH_, .Lfunc_end1323-_ZN7rocprim17ROCPRIM_400000_NS6detail17trampoline_kernelINS0_14default_configENS1_38merge_sort_block_merge_config_selectorIslEEZZNS1_27merge_sort_block_merge_implIS3_PsN6thrust23THRUST_200600_302600_NS10device_ptrIlEEjNS1_19radix_merge_compareILb0ELb0EsNS0_19identity_decomposerEEEEE10hipError_tT0_T1_T2_jT3_P12ihipStream_tbPNSt15iterator_traitsISG_E10value_typeEPNSM_ISH_E10value_typeEPSI_NS1_7vsmem_tEENKUlT_SG_SH_SI_E_clIS7_S7_SB_PlEESF_SV_SG_SH_SI_EUlSV_E1_NS1_11comp_targetILNS1_3genE8ELNS1_11target_archE1030ELNS1_3gpuE2ELNS1_3repE0EEENS1_36merge_oddeven_config_static_selectorELNS0_4arch9wavefront6targetE1EEEvSH_
                                        ; -- End function
	.set _ZN7rocprim17ROCPRIM_400000_NS6detail17trampoline_kernelINS0_14default_configENS1_38merge_sort_block_merge_config_selectorIslEEZZNS1_27merge_sort_block_merge_implIS3_PsN6thrust23THRUST_200600_302600_NS10device_ptrIlEEjNS1_19radix_merge_compareILb0ELb0EsNS0_19identity_decomposerEEEEE10hipError_tT0_T1_T2_jT3_P12ihipStream_tbPNSt15iterator_traitsISG_E10value_typeEPNSM_ISH_E10value_typeEPSI_NS1_7vsmem_tEENKUlT_SG_SH_SI_E_clIS7_S7_SB_PlEESF_SV_SG_SH_SI_EUlSV_E1_NS1_11comp_targetILNS1_3genE8ELNS1_11target_archE1030ELNS1_3gpuE2ELNS1_3repE0EEENS1_36merge_oddeven_config_static_selectorELNS0_4arch9wavefront6targetE1EEEvSH_.num_vgpr, 0
	.set _ZN7rocprim17ROCPRIM_400000_NS6detail17trampoline_kernelINS0_14default_configENS1_38merge_sort_block_merge_config_selectorIslEEZZNS1_27merge_sort_block_merge_implIS3_PsN6thrust23THRUST_200600_302600_NS10device_ptrIlEEjNS1_19radix_merge_compareILb0ELb0EsNS0_19identity_decomposerEEEEE10hipError_tT0_T1_T2_jT3_P12ihipStream_tbPNSt15iterator_traitsISG_E10value_typeEPNSM_ISH_E10value_typeEPSI_NS1_7vsmem_tEENKUlT_SG_SH_SI_E_clIS7_S7_SB_PlEESF_SV_SG_SH_SI_EUlSV_E1_NS1_11comp_targetILNS1_3genE8ELNS1_11target_archE1030ELNS1_3gpuE2ELNS1_3repE0EEENS1_36merge_oddeven_config_static_selectorELNS0_4arch9wavefront6targetE1EEEvSH_.num_agpr, 0
	.set _ZN7rocprim17ROCPRIM_400000_NS6detail17trampoline_kernelINS0_14default_configENS1_38merge_sort_block_merge_config_selectorIslEEZZNS1_27merge_sort_block_merge_implIS3_PsN6thrust23THRUST_200600_302600_NS10device_ptrIlEEjNS1_19radix_merge_compareILb0ELb0EsNS0_19identity_decomposerEEEEE10hipError_tT0_T1_T2_jT3_P12ihipStream_tbPNSt15iterator_traitsISG_E10value_typeEPNSM_ISH_E10value_typeEPSI_NS1_7vsmem_tEENKUlT_SG_SH_SI_E_clIS7_S7_SB_PlEESF_SV_SG_SH_SI_EUlSV_E1_NS1_11comp_targetILNS1_3genE8ELNS1_11target_archE1030ELNS1_3gpuE2ELNS1_3repE0EEENS1_36merge_oddeven_config_static_selectorELNS0_4arch9wavefront6targetE1EEEvSH_.numbered_sgpr, 0
	.set _ZN7rocprim17ROCPRIM_400000_NS6detail17trampoline_kernelINS0_14default_configENS1_38merge_sort_block_merge_config_selectorIslEEZZNS1_27merge_sort_block_merge_implIS3_PsN6thrust23THRUST_200600_302600_NS10device_ptrIlEEjNS1_19radix_merge_compareILb0ELb0EsNS0_19identity_decomposerEEEEE10hipError_tT0_T1_T2_jT3_P12ihipStream_tbPNSt15iterator_traitsISG_E10value_typeEPNSM_ISH_E10value_typeEPSI_NS1_7vsmem_tEENKUlT_SG_SH_SI_E_clIS7_S7_SB_PlEESF_SV_SG_SH_SI_EUlSV_E1_NS1_11comp_targetILNS1_3genE8ELNS1_11target_archE1030ELNS1_3gpuE2ELNS1_3repE0EEENS1_36merge_oddeven_config_static_selectorELNS0_4arch9wavefront6targetE1EEEvSH_.num_named_barrier, 0
	.set _ZN7rocprim17ROCPRIM_400000_NS6detail17trampoline_kernelINS0_14default_configENS1_38merge_sort_block_merge_config_selectorIslEEZZNS1_27merge_sort_block_merge_implIS3_PsN6thrust23THRUST_200600_302600_NS10device_ptrIlEEjNS1_19radix_merge_compareILb0ELb0EsNS0_19identity_decomposerEEEEE10hipError_tT0_T1_T2_jT3_P12ihipStream_tbPNSt15iterator_traitsISG_E10value_typeEPNSM_ISH_E10value_typeEPSI_NS1_7vsmem_tEENKUlT_SG_SH_SI_E_clIS7_S7_SB_PlEESF_SV_SG_SH_SI_EUlSV_E1_NS1_11comp_targetILNS1_3genE8ELNS1_11target_archE1030ELNS1_3gpuE2ELNS1_3repE0EEENS1_36merge_oddeven_config_static_selectorELNS0_4arch9wavefront6targetE1EEEvSH_.private_seg_size, 0
	.set _ZN7rocprim17ROCPRIM_400000_NS6detail17trampoline_kernelINS0_14default_configENS1_38merge_sort_block_merge_config_selectorIslEEZZNS1_27merge_sort_block_merge_implIS3_PsN6thrust23THRUST_200600_302600_NS10device_ptrIlEEjNS1_19radix_merge_compareILb0ELb0EsNS0_19identity_decomposerEEEEE10hipError_tT0_T1_T2_jT3_P12ihipStream_tbPNSt15iterator_traitsISG_E10value_typeEPNSM_ISH_E10value_typeEPSI_NS1_7vsmem_tEENKUlT_SG_SH_SI_E_clIS7_S7_SB_PlEESF_SV_SG_SH_SI_EUlSV_E1_NS1_11comp_targetILNS1_3genE8ELNS1_11target_archE1030ELNS1_3gpuE2ELNS1_3repE0EEENS1_36merge_oddeven_config_static_selectorELNS0_4arch9wavefront6targetE1EEEvSH_.uses_vcc, 0
	.set _ZN7rocprim17ROCPRIM_400000_NS6detail17trampoline_kernelINS0_14default_configENS1_38merge_sort_block_merge_config_selectorIslEEZZNS1_27merge_sort_block_merge_implIS3_PsN6thrust23THRUST_200600_302600_NS10device_ptrIlEEjNS1_19radix_merge_compareILb0ELb0EsNS0_19identity_decomposerEEEEE10hipError_tT0_T1_T2_jT3_P12ihipStream_tbPNSt15iterator_traitsISG_E10value_typeEPNSM_ISH_E10value_typeEPSI_NS1_7vsmem_tEENKUlT_SG_SH_SI_E_clIS7_S7_SB_PlEESF_SV_SG_SH_SI_EUlSV_E1_NS1_11comp_targetILNS1_3genE8ELNS1_11target_archE1030ELNS1_3gpuE2ELNS1_3repE0EEENS1_36merge_oddeven_config_static_selectorELNS0_4arch9wavefront6targetE1EEEvSH_.uses_flat_scratch, 0
	.set _ZN7rocprim17ROCPRIM_400000_NS6detail17trampoline_kernelINS0_14default_configENS1_38merge_sort_block_merge_config_selectorIslEEZZNS1_27merge_sort_block_merge_implIS3_PsN6thrust23THRUST_200600_302600_NS10device_ptrIlEEjNS1_19radix_merge_compareILb0ELb0EsNS0_19identity_decomposerEEEEE10hipError_tT0_T1_T2_jT3_P12ihipStream_tbPNSt15iterator_traitsISG_E10value_typeEPNSM_ISH_E10value_typeEPSI_NS1_7vsmem_tEENKUlT_SG_SH_SI_E_clIS7_S7_SB_PlEESF_SV_SG_SH_SI_EUlSV_E1_NS1_11comp_targetILNS1_3genE8ELNS1_11target_archE1030ELNS1_3gpuE2ELNS1_3repE0EEENS1_36merge_oddeven_config_static_selectorELNS0_4arch9wavefront6targetE1EEEvSH_.has_dyn_sized_stack, 0
	.set _ZN7rocprim17ROCPRIM_400000_NS6detail17trampoline_kernelINS0_14default_configENS1_38merge_sort_block_merge_config_selectorIslEEZZNS1_27merge_sort_block_merge_implIS3_PsN6thrust23THRUST_200600_302600_NS10device_ptrIlEEjNS1_19radix_merge_compareILb0ELb0EsNS0_19identity_decomposerEEEEE10hipError_tT0_T1_T2_jT3_P12ihipStream_tbPNSt15iterator_traitsISG_E10value_typeEPNSM_ISH_E10value_typeEPSI_NS1_7vsmem_tEENKUlT_SG_SH_SI_E_clIS7_S7_SB_PlEESF_SV_SG_SH_SI_EUlSV_E1_NS1_11comp_targetILNS1_3genE8ELNS1_11target_archE1030ELNS1_3gpuE2ELNS1_3repE0EEENS1_36merge_oddeven_config_static_selectorELNS0_4arch9wavefront6targetE1EEEvSH_.has_recursion, 0
	.set _ZN7rocprim17ROCPRIM_400000_NS6detail17trampoline_kernelINS0_14default_configENS1_38merge_sort_block_merge_config_selectorIslEEZZNS1_27merge_sort_block_merge_implIS3_PsN6thrust23THRUST_200600_302600_NS10device_ptrIlEEjNS1_19radix_merge_compareILb0ELb0EsNS0_19identity_decomposerEEEEE10hipError_tT0_T1_T2_jT3_P12ihipStream_tbPNSt15iterator_traitsISG_E10value_typeEPNSM_ISH_E10value_typeEPSI_NS1_7vsmem_tEENKUlT_SG_SH_SI_E_clIS7_S7_SB_PlEESF_SV_SG_SH_SI_EUlSV_E1_NS1_11comp_targetILNS1_3genE8ELNS1_11target_archE1030ELNS1_3gpuE2ELNS1_3repE0EEENS1_36merge_oddeven_config_static_selectorELNS0_4arch9wavefront6targetE1EEEvSH_.has_indirect_call, 0
	.section	.AMDGPU.csdata,"",@progbits
; Kernel info:
; codeLenInByte = 0
; TotalNumSgprs: 4
; NumVgprs: 0
; ScratchSize: 0
; MemoryBound: 0
; FloatMode: 240
; IeeeMode: 1
; LDSByteSize: 0 bytes/workgroup (compile time only)
; SGPRBlocks: 0
; VGPRBlocks: 0
; NumSGPRsForWavesPerEU: 4
; NumVGPRsForWavesPerEU: 1
; Occupancy: 10
; WaveLimiterHint : 0
; COMPUTE_PGM_RSRC2:SCRATCH_EN: 0
; COMPUTE_PGM_RSRC2:USER_SGPR: 6
; COMPUTE_PGM_RSRC2:TRAP_HANDLER: 0
; COMPUTE_PGM_RSRC2:TGID_X_EN: 1
; COMPUTE_PGM_RSRC2:TGID_Y_EN: 0
; COMPUTE_PGM_RSRC2:TGID_Z_EN: 0
; COMPUTE_PGM_RSRC2:TIDIG_COMP_CNT: 0
	.section	.text._ZN7rocprim17ROCPRIM_400000_NS6detail17trampoline_kernelINS0_14default_configENS1_25transform_config_selectorIsLb1EEEZNS1_14transform_implILb1ES3_S5_PsS7_NS0_8identityIsEEEE10hipError_tT2_T3_mT4_P12ihipStream_tbEUlT_E_NS1_11comp_targetILNS1_3genE0ELNS1_11target_archE4294967295ELNS1_3gpuE0ELNS1_3repE0EEENS1_30default_config_static_selectorELNS0_4arch9wavefront6targetE1EEEvT1_,"axG",@progbits,_ZN7rocprim17ROCPRIM_400000_NS6detail17trampoline_kernelINS0_14default_configENS1_25transform_config_selectorIsLb1EEEZNS1_14transform_implILb1ES3_S5_PsS7_NS0_8identityIsEEEE10hipError_tT2_T3_mT4_P12ihipStream_tbEUlT_E_NS1_11comp_targetILNS1_3genE0ELNS1_11target_archE4294967295ELNS1_3gpuE0ELNS1_3repE0EEENS1_30default_config_static_selectorELNS0_4arch9wavefront6targetE1EEEvT1_,comdat
	.protected	_ZN7rocprim17ROCPRIM_400000_NS6detail17trampoline_kernelINS0_14default_configENS1_25transform_config_selectorIsLb1EEEZNS1_14transform_implILb1ES3_S5_PsS7_NS0_8identityIsEEEE10hipError_tT2_T3_mT4_P12ihipStream_tbEUlT_E_NS1_11comp_targetILNS1_3genE0ELNS1_11target_archE4294967295ELNS1_3gpuE0ELNS1_3repE0EEENS1_30default_config_static_selectorELNS0_4arch9wavefront6targetE1EEEvT1_ ; -- Begin function _ZN7rocprim17ROCPRIM_400000_NS6detail17trampoline_kernelINS0_14default_configENS1_25transform_config_selectorIsLb1EEEZNS1_14transform_implILb1ES3_S5_PsS7_NS0_8identityIsEEEE10hipError_tT2_T3_mT4_P12ihipStream_tbEUlT_E_NS1_11comp_targetILNS1_3genE0ELNS1_11target_archE4294967295ELNS1_3gpuE0ELNS1_3repE0EEENS1_30default_config_static_selectorELNS0_4arch9wavefront6targetE1EEEvT1_
	.globl	_ZN7rocprim17ROCPRIM_400000_NS6detail17trampoline_kernelINS0_14default_configENS1_25transform_config_selectorIsLb1EEEZNS1_14transform_implILb1ES3_S5_PsS7_NS0_8identityIsEEEE10hipError_tT2_T3_mT4_P12ihipStream_tbEUlT_E_NS1_11comp_targetILNS1_3genE0ELNS1_11target_archE4294967295ELNS1_3gpuE0ELNS1_3repE0EEENS1_30default_config_static_selectorELNS0_4arch9wavefront6targetE1EEEvT1_
	.p2align	8
	.type	_ZN7rocprim17ROCPRIM_400000_NS6detail17trampoline_kernelINS0_14default_configENS1_25transform_config_selectorIsLb1EEEZNS1_14transform_implILb1ES3_S5_PsS7_NS0_8identityIsEEEE10hipError_tT2_T3_mT4_P12ihipStream_tbEUlT_E_NS1_11comp_targetILNS1_3genE0ELNS1_11target_archE4294967295ELNS1_3gpuE0ELNS1_3repE0EEENS1_30default_config_static_selectorELNS0_4arch9wavefront6targetE1EEEvT1_,@function
_ZN7rocprim17ROCPRIM_400000_NS6detail17trampoline_kernelINS0_14default_configENS1_25transform_config_selectorIsLb1EEEZNS1_14transform_implILb1ES3_S5_PsS7_NS0_8identityIsEEEE10hipError_tT2_T3_mT4_P12ihipStream_tbEUlT_E_NS1_11comp_targetILNS1_3genE0ELNS1_11target_archE4294967295ELNS1_3gpuE0ELNS1_3repE0EEENS1_30default_config_static_selectorELNS0_4arch9wavefront6targetE1EEEvT1_: ; @_ZN7rocprim17ROCPRIM_400000_NS6detail17trampoline_kernelINS0_14default_configENS1_25transform_config_selectorIsLb1EEEZNS1_14transform_implILb1ES3_S5_PsS7_NS0_8identityIsEEEE10hipError_tT2_T3_mT4_P12ihipStream_tbEUlT_E_NS1_11comp_targetILNS1_3genE0ELNS1_11target_archE4294967295ELNS1_3gpuE0ELNS1_3repE0EEENS1_30default_config_static_selectorELNS0_4arch9wavefront6targetE1EEEvT1_
; %bb.0:
	.section	.rodata,"a",@progbits
	.p2align	6, 0x0
	.amdhsa_kernel _ZN7rocprim17ROCPRIM_400000_NS6detail17trampoline_kernelINS0_14default_configENS1_25transform_config_selectorIsLb1EEEZNS1_14transform_implILb1ES3_S5_PsS7_NS0_8identityIsEEEE10hipError_tT2_T3_mT4_P12ihipStream_tbEUlT_E_NS1_11comp_targetILNS1_3genE0ELNS1_11target_archE4294967295ELNS1_3gpuE0ELNS1_3repE0EEENS1_30default_config_static_selectorELNS0_4arch9wavefront6targetE1EEEvT1_
		.amdhsa_group_segment_fixed_size 0
		.amdhsa_private_segment_fixed_size 0
		.amdhsa_kernarg_size 40
		.amdhsa_user_sgpr_count 6
		.amdhsa_user_sgpr_private_segment_buffer 1
		.amdhsa_user_sgpr_dispatch_ptr 0
		.amdhsa_user_sgpr_queue_ptr 0
		.amdhsa_user_sgpr_kernarg_segment_ptr 1
		.amdhsa_user_sgpr_dispatch_id 0
		.amdhsa_user_sgpr_flat_scratch_init 0
		.amdhsa_user_sgpr_private_segment_size 0
		.amdhsa_uses_dynamic_stack 0
		.amdhsa_system_sgpr_private_segment_wavefront_offset 0
		.amdhsa_system_sgpr_workgroup_id_x 1
		.amdhsa_system_sgpr_workgroup_id_y 0
		.amdhsa_system_sgpr_workgroup_id_z 0
		.amdhsa_system_sgpr_workgroup_info 0
		.amdhsa_system_vgpr_workitem_id 0
		.amdhsa_next_free_vgpr 1
		.amdhsa_next_free_sgpr 0
		.amdhsa_reserve_vcc 0
		.amdhsa_reserve_flat_scratch 0
		.amdhsa_float_round_mode_32 0
		.amdhsa_float_round_mode_16_64 0
		.amdhsa_float_denorm_mode_32 3
		.amdhsa_float_denorm_mode_16_64 3
		.amdhsa_dx10_clamp 1
		.amdhsa_ieee_mode 1
		.amdhsa_fp16_overflow 0
		.amdhsa_exception_fp_ieee_invalid_op 0
		.amdhsa_exception_fp_denorm_src 0
		.amdhsa_exception_fp_ieee_div_zero 0
		.amdhsa_exception_fp_ieee_overflow 0
		.amdhsa_exception_fp_ieee_underflow 0
		.amdhsa_exception_fp_ieee_inexact 0
		.amdhsa_exception_int_div_zero 0
	.end_amdhsa_kernel
	.section	.text._ZN7rocprim17ROCPRIM_400000_NS6detail17trampoline_kernelINS0_14default_configENS1_25transform_config_selectorIsLb1EEEZNS1_14transform_implILb1ES3_S5_PsS7_NS0_8identityIsEEEE10hipError_tT2_T3_mT4_P12ihipStream_tbEUlT_E_NS1_11comp_targetILNS1_3genE0ELNS1_11target_archE4294967295ELNS1_3gpuE0ELNS1_3repE0EEENS1_30default_config_static_selectorELNS0_4arch9wavefront6targetE1EEEvT1_,"axG",@progbits,_ZN7rocprim17ROCPRIM_400000_NS6detail17trampoline_kernelINS0_14default_configENS1_25transform_config_selectorIsLb1EEEZNS1_14transform_implILb1ES3_S5_PsS7_NS0_8identityIsEEEE10hipError_tT2_T3_mT4_P12ihipStream_tbEUlT_E_NS1_11comp_targetILNS1_3genE0ELNS1_11target_archE4294967295ELNS1_3gpuE0ELNS1_3repE0EEENS1_30default_config_static_selectorELNS0_4arch9wavefront6targetE1EEEvT1_,comdat
.Lfunc_end1324:
	.size	_ZN7rocprim17ROCPRIM_400000_NS6detail17trampoline_kernelINS0_14default_configENS1_25transform_config_selectorIsLb1EEEZNS1_14transform_implILb1ES3_S5_PsS7_NS0_8identityIsEEEE10hipError_tT2_T3_mT4_P12ihipStream_tbEUlT_E_NS1_11comp_targetILNS1_3genE0ELNS1_11target_archE4294967295ELNS1_3gpuE0ELNS1_3repE0EEENS1_30default_config_static_selectorELNS0_4arch9wavefront6targetE1EEEvT1_, .Lfunc_end1324-_ZN7rocprim17ROCPRIM_400000_NS6detail17trampoline_kernelINS0_14default_configENS1_25transform_config_selectorIsLb1EEEZNS1_14transform_implILb1ES3_S5_PsS7_NS0_8identityIsEEEE10hipError_tT2_T3_mT4_P12ihipStream_tbEUlT_E_NS1_11comp_targetILNS1_3genE0ELNS1_11target_archE4294967295ELNS1_3gpuE0ELNS1_3repE0EEENS1_30default_config_static_selectorELNS0_4arch9wavefront6targetE1EEEvT1_
                                        ; -- End function
	.set _ZN7rocprim17ROCPRIM_400000_NS6detail17trampoline_kernelINS0_14default_configENS1_25transform_config_selectorIsLb1EEEZNS1_14transform_implILb1ES3_S5_PsS7_NS0_8identityIsEEEE10hipError_tT2_T3_mT4_P12ihipStream_tbEUlT_E_NS1_11comp_targetILNS1_3genE0ELNS1_11target_archE4294967295ELNS1_3gpuE0ELNS1_3repE0EEENS1_30default_config_static_selectorELNS0_4arch9wavefront6targetE1EEEvT1_.num_vgpr, 0
	.set _ZN7rocprim17ROCPRIM_400000_NS6detail17trampoline_kernelINS0_14default_configENS1_25transform_config_selectorIsLb1EEEZNS1_14transform_implILb1ES3_S5_PsS7_NS0_8identityIsEEEE10hipError_tT2_T3_mT4_P12ihipStream_tbEUlT_E_NS1_11comp_targetILNS1_3genE0ELNS1_11target_archE4294967295ELNS1_3gpuE0ELNS1_3repE0EEENS1_30default_config_static_selectorELNS0_4arch9wavefront6targetE1EEEvT1_.num_agpr, 0
	.set _ZN7rocprim17ROCPRIM_400000_NS6detail17trampoline_kernelINS0_14default_configENS1_25transform_config_selectorIsLb1EEEZNS1_14transform_implILb1ES3_S5_PsS7_NS0_8identityIsEEEE10hipError_tT2_T3_mT4_P12ihipStream_tbEUlT_E_NS1_11comp_targetILNS1_3genE0ELNS1_11target_archE4294967295ELNS1_3gpuE0ELNS1_3repE0EEENS1_30default_config_static_selectorELNS0_4arch9wavefront6targetE1EEEvT1_.numbered_sgpr, 0
	.set _ZN7rocprim17ROCPRIM_400000_NS6detail17trampoline_kernelINS0_14default_configENS1_25transform_config_selectorIsLb1EEEZNS1_14transform_implILb1ES3_S5_PsS7_NS0_8identityIsEEEE10hipError_tT2_T3_mT4_P12ihipStream_tbEUlT_E_NS1_11comp_targetILNS1_3genE0ELNS1_11target_archE4294967295ELNS1_3gpuE0ELNS1_3repE0EEENS1_30default_config_static_selectorELNS0_4arch9wavefront6targetE1EEEvT1_.num_named_barrier, 0
	.set _ZN7rocprim17ROCPRIM_400000_NS6detail17trampoline_kernelINS0_14default_configENS1_25transform_config_selectorIsLb1EEEZNS1_14transform_implILb1ES3_S5_PsS7_NS0_8identityIsEEEE10hipError_tT2_T3_mT4_P12ihipStream_tbEUlT_E_NS1_11comp_targetILNS1_3genE0ELNS1_11target_archE4294967295ELNS1_3gpuE0ELNS1_3repE0EEENS1_30default_config_static_selectorELNS0_4arch9wavefront6targetE1EEEvT1_.private_seg_size, 0
	.set _ZN7rocprim17ROCPRIM_400000_NS6detail17trampoline_kernelINS0_14default_configENS1_25transform_config_selectorIsLb1EEEZNS1_14transform_implILb1ES3_S5_PsS7_NS0_8identityIsEEEE10hipError_tT2_T3_mT4_P12ihipStream_tbEUlT_E_NS1_11comp_targetILNS1_3genE0ELNS1_11target_archE4294967295ELNS1_3gpuE0ELNS1_3repE0EEENS1_30default_config_static_selectorELNS0_4arch9wavefront6targetE1EEEvT1_.uses_vcc, 0
	.set _ZN7rocprim17ROCPRIM_400000_NS6detail17trampoline_kernelINS0_14default_configENS1_25transform_config_selectorIsLb1EEEZNS1_14transform_implILb1ES3_S5_PsS7_NS0_8identityIsEEEE10hipError_tT2_T3_mT4_P12ihipStream_tbEUlT_E_NS1_11comp_targetILNS1_3genE0ELNS1_11target_archE4294967295ELNS1_3gpuE0ELNS1_3repE0EEENS1_30default_config_static_selectorELNS0_4arch9wavefront6targetE1EEEvT1_.uses_flat_scratch, 0
	.set _ZN7rocprim17ROCPRIM_400000_NS6detail17trampoline_kernelINS0_14default_configENS1_25transform_config_selectorIsLb1EEEZNS1_14transform_implILb1ES3_S5_PsS7_NS0_8identityIsEEEE10hipError_tT2_T3_mT4_P12ihipStream_tbEUlT_E_NS1_11comp_targetILNS1_3genE0ELNS1_11target_archE4294967295ELNS1_3gpuE0ELNS1_3repE0EEENS1_30default_config_static_selectorELNS0_4arch9wavefront6targetE1EEEvT1_.has_dyn_sized_stack, 0
	.set _ZN7rocprim17ROCPRIM_400000_NS6detail17trampoline_kernelINS0_14default_configENS1_25transform_config_selectorIsLb1EEEZNS1_14transform_implILb1ES3_S5_PsS7_NS0_8identityIsEEEE10hipError_tT2_T3_mT4_P12ihipStream_tbEUlT_E_NS1_11comp_targetILNS1_3genE0ELNS1_11target_archE4294967295ELNS1_3gpuE0ELNS1_3repE0EEENS1_30default_config_static_selectorELNS0_4arch9wavefront6targetE1EEEvT1_.has_recursion, 0
	.set _ZN7rocprim17ROCPRIM_400000_NS6detail17trampoline_kernelINS0_14default_configENS1_25transform_config_selectorIsLb1EEEZNS1_14transform_implILb1ES3_S5_PsS7_NS0_8identityIsEEEE10hipError_tT2_T3_mT4_P12ihipStream_tbEUlT_E_NS1_11comp_targetILNS1_3genE0ELNS1_11target_archE4294967295ELNS1_3gpuE0ELNS1_3repE0EEENS1_30default_config_static_selectorELNS0_4arch9wavefront6targetE1EEEvT1_.has_indirect_call, 0
	.section	.AMDGPU.csdata,"",@progbits
; Kernel info:
; codeLenInByte = 0
; TotalNumSgprs: 4
; NumVgprs: 0
; ScratchSize: 0
; MemoryBound: 0
; FloatMode: 240
; IeeeMode: 1
; LDSByteSize: 0 bytes/workgroup (compile time only)
; SGPRBlocks: 0
; VGPRBlocks: 0
; NumSGPRsForWavesPerEU: 4
; NumVGPRsForWavesPerEU: 1
; Occupancy: 10
; WaveLimiterHint : 0
; COMPUTE_PGM_RSRC2:SCRATCH_EN: 0
; COMPUTE_PGM_RSRC2:USER_SGPR: 6
; COMPUTE_PGM_RSRC2:TRAP_HANDLER: 0
; COMPUTE_PGM_RSRC2:TGID_X_EN: 1
; COMPUTE_PGM_RSRC2:TGID_Y_EN: 0
; COMPUTE_PGM_RSRC2:TGID_Z_EN: 0
; COMPUTE_PGM_RSRC2:TIDIG_COMP_CNT: 0
	.section	.text._ZN7rocprim17ROCPRIM_400000_NS6detail17trampoline_kernelINS0_14default_configENS1_25transform_config_selectorIsLb1EEEZNS1_14transform_implILb1ES3_S5_PsS7_NS0_8identityIsEEEE10hipError_tT2_T3_mT4_P12ihipStream_tbEUlT_E_NS1_11comp_targetILNS1_3genE10ELNS1_11target_archE1201ELNS1_3gpuE5ELNS1_3repE0EEENS1_30default_config_static_selectorELNS0_4arch9wavefront6targetE1EEEvT1_,"axG",@progbits,_ZN7rocprim17ROCPRIM_400000_NS6detail17trampoline_kernelINS0_14default_configENS1_25transform_config_selectorIsLb1EEEZNS1_14transform_implILb1ES3_S5_PsS7_NS0_8identityIsEEEE10hipError_tT2_T3_mT4_P12ihipStream_tbEUlT_E_NS1_11comp_targetILNS1_3genE10ELNS1_11target_archE1201ELNS1_3gpuE5ELNS1_3repE0EEENS1_30default_config_static_selectorELNS0_4arch9wavefront6targetE1EEEvT1_,comdat
	.protected	_ZN7rocprim17ROCPRIM_400000_NS6detail17trampoline_kernelINS0_14default_configENS1_25transform_config_selectorIsLb1EEEZNS1_14transform_implILb1ES3_S5_PsS7_NS0_8identityIsEEEE10hipError_tT2_T3_mT4_P12ihipStream_tbEUlT_E_NS1_11comp_targetILNS1_3genE10ELNS1_11target_archE1201ELNS1_3gpuE5ELNS1_3repE0EEENS1_30default_config_static_selectorELNS0_4arch9wavefront6targetE1EEEvT1_ ; -- Begin function _ZN7rocprim17ROCPRIM_400000_NS6detail17trampoline_kernelINS0_14default_configENS1_25transform_config_selectorIsLb1EEEZNS1_14transform_implILb1ES3_S5_PsS7_NS0_8identityIsEEEE10hipError_tT2_T3_mT4_P12ihipStream_tbEUlT_E_NS1_11comp_targetILNS1_3genE10ELNS1_11target_archE1201ELNS1_3gpuE5ELNS1_3repE0EEENS1_30default_config_static_selectorELNS0_4arch9wavefront6targetE1EEEvT1_
	.globl	_ZN7rocprim17ROCPRIM_400000_NS6detail17trampoline_kernelINS0_14default_configENS1_25transform_config_selectorIsLb1EEEZNS1_14transform_implILb1ES3_S5_PsS7_NS0_8identityIsEEEE10hipError_tT2_T3_mT4_P12ihipStream_tbEUlT_E_NS1_11comp_targetILNS1_3genE10ELNS1_11target_archE1201ELNS1_3gpuE5ELNS1_3repE0EEENS1_30default_config_static_selectorELNS0_4arch9wavefront6targetE1EEEvT1_
	.p2align	8
	.type	_ZN7rocprim17ROCPRIM_400000_NS6detail17trampoline_kernelINS0_14default_configENS1_25transform_config_selectorIsLb1EEEZNS1_14transform_implILb1ES3_S5_PsS7_NS0_8identityIsEEEE10hipError_tT2_T3_mT4_P12ihipStream_tbEUlT_E_NS1_11comp_targetILNS1_3genE10ELNS1_11target_archE1201ELNS1_3gpuE5ELNS1_3repE0EEENS1_30default_config_static_selectorELNS0_4arch9wavefront6targetE1EEEvT1_,@function
_ZN7rocprim17ROCPRIM_400000_NS6detail17trampoline_kernelINS0_14default_configENS1_25transform_config_selectorIsLb1EEEZNS1_14transform_implILb1ES3_S5_PsS7_NS0_8identityIsEEEE10hipError_tT2_T3_mT4_P12ihipStream_tbEUlT_E_NS1_11comp_targetILNS1_3genE10ELNS1_11target_archE1201ELNS1_3gpuE5ELNS1_3repE0EEENS1_30default_config_static_selectorELNS0_4arch9wavefront6targetE1EEEvT1_: ; @_ZN7rocprim17ROCPRIM_400000_NS6detail17trampoline_kernelINS0_14default_configENS1_25transform_config_selectorIsLb1EEEZNS1_14transform_implILb1ES3_S5_PsS7_NS0_8identityIsEEEE10hipError_tT2_T3_mT4_P12ihipStream_tbEUlT_E_NS1_11comp_targetILNS1_3genE10ELNS1_11target_archE1201ELNS1_3gpuE5ELNS1_3repE0EEENS1_30default_config_static_selectorELNS0_4arch9wavefront6targetE1EEEvT1_
; %bb.0:
	.section	.rodata,"a",@progbits
	.p2align	6, 0x0
	.amdhsa_kernel _ZN7rocprim17ROCPRIM_400000_NS6detail17trampoline_kernelINS0_14default_configENS1_25transform_config_selectorIsLb1EEEZNS1_14transform_implILb1ES3_S5_PsS7_NS0_8identityIsEEEE10hipError_tT2_T3_mT4_P12ihipStream_tbEUlT_E_NS1_11comp_targetILNS1_3genE10ELNS1_11target_archE1201ELNS1_3gpuE5ELNS1_3repE0EEENS1_30default_config_static_selectorELNS0_4arch9wavefront6targetE1EEEvT1_
		.amdhsa_group_segment_fixed_size 0
		.amdhsa_private_segment_fixed_size 0
		.amdhsa_kernarg_size 40
		.amdhsa_user_sgpr_count 6
		.amdhsa_user_sgpr_private_segment_buffer 1
		.amdhsa_user_sgpr_dispatch_ptr 0
		.amdhsa_user_sgpr_queue_ptr 0
		.amdhsa_user_sgpr_kernarg_segment_ptr 1
		.amdhsa_user_sgpr_dispatch_id 0
		.amdhsa_user_sgpr_flat_scratch_init 0
		.amdhsa_user_sgpr_private_segment_size 0
		.amdhsa_uses_dynamic_stack 0
		.amdhsa_system_sgpr_private_segment_wavefront_offset 0
		.amdhsa_system_sgpr_workgroup_id_x 1
		.amdhsa_system_sgpr_workgroup_id_y 0
		.amdhsa_system_sgpr_workgroup_id_z 0
		.amdhsa_system_sgpr_workgroup_info 0
		.amdhsa_system_vgpr_workitem_id 0
		.amdhsa_next_free_vgpr 1
		.amdhsa_next_free_sgpr 0
		.amdhsa_reserve_vcc 0
		.amdhsa_reserve_flat_scratch 0
		.amdhsa_float_round_mode_32 0
		.amdhsa_float_round_mode_16_64 0
		.amdhsa_float_denorm_mode_32 3
		.amdhsa_float_denorm_mode_16_64 3
		.amdhsa_dx10_clamp 1
		.amdhsa_ieee_mode 1
		.amdhsa_fp16_overflow 0
		.amdhsa_exception_fp_ieee_invalid_op 0
		.amdhsa_exception_fp_denorm_src 0
		.amdhsa_exception_fp_ieee_div_zero 0
		.amdhsa_exception_fp_ieee_overflow 0
		.amdhsa_exception_fp_ieee_underflow 0
		.amdhsa_exception_fp_ieee_inexact 0
		.amdhsa_exception_int_div_zero 0
	.end_amdhsa_kernel
	.section	.text._ZN7rocprim17ROCPRIM_400000_NS6detail17trampoline_kernelINS0_14default_configENS1_25transform_config_selectorIsLb1EEEZNS1_14transform_implILb1ES3_S5_PsS7_NS0_8identityIsEEEE10hipError_tT2_T3_mT4_P12ihipStream_tbEUlT_E_NS1_11comp_targetILNS1_3genE10ELNS1_11target_archE1201ELNS1_3gpuE5ELNS1_3repE0EEENS1_30default_config_static_selectorELNS0_4arch9wavefront6targetE1EEEvT1_,"axG",@progbits,_ZN7rocprim17ROCPRIM_400000_NS6detail17trampoline_kernelINS0_14default_configENS1_25transform_config_selectorIsLb1EEEZNS1_14transform_implILb1ES3_S5_PsS7_NS0_8identityIsEEEE10hipError_tT2_T3_mT4_P12ihipStream_tbEUlT_E_NS1_11comp_targetILNS1_3genE10ELNS1_11target_archE1201ELNS1_3gpuE5ELNS1_3repE0EEENS1_30default_config_static_selectorELNS0_4arch9wavefront6targetE1EEEvT1_,comdat
.Lfunc_end1325:
	.size	_ZN7rocprim17ROCPRIM_400000_NS6detail17trampoline_kernelINS0_14default_configENS1_25transform_config_selectorIsLb1EEEZNS1_14transform_implILb1ES3_S5_PsS7_NS0_8identityIsEEEE10hipError_tT2_T3_mT4_P12ihipStream_tbEUlT_E_NS1_11comp_targetILNS1_3genE10ELNS1_11target_archE1201ELNS1_3gpuE5ELNS1_3repE0EEENS1_30default_config_static_selectorELNS0_4arch9wavefront6targetE1EEEvT1_, .Lfunc_end1325-_ZN7rocprim17ROCPRIM_400000_NS6detail17trampoline_kernelINS0_14default_configENS1_25transform_config_selectorIsLb1EEEZNS1_14transform_implILb1ES3_S5_PsS7_NS0_8identityIsEEEE10hipError_tT2_T3_mT4_P12ihipStream_tbEUlT_E_NS1_11comp_targetILNS1_3genE10ELNS1_11target_archE1201ELNS1_3gpuE5ELNS1_3repE0EEENS1_30default_config_static_selectorELNS0_4arch9wavefront6targetE1EEEvT1_
                                        ; -- End function
	.set _ZN7rocprim17ROCPRIM_400000_NS6detail17trampoline_kernelINS0_14default_configENS1_25transform_config_selectorIsLb1EEEZNS1_14transform_implILb1ES3_S5_PsS7_NS0_8identityIsEEEE10hipError_tT2_T3_mT4_P12ihipStream_tbEUlT_E_NS1_11comp_targetILNS1_3genE10ELNS1_11target_archE1201ELNS1_3gpuE5ELNS1_3repE0EEENS1_30default_config_static_selectorELNS0_4arch9wavefront6targetE1EEEvT1_.num_vgpr, 0
	.set _ZN7rocprim17ROCPRIM_400000_NS6detail17trampoline_kernelINS0_14default_configENS1_25transform_config_selectorIsLb1EEEZNS1_14transform_implILb1ES3_S5_PsS7_NS0_8identityIsEEEE10hipError_tT2_T3_mT4_P12ihipStream_tbEUlT_E_NS1_11comp_targetILNS1_3genE10ELNS1_11target_archE1201ELNS1_3gpuE5ELNS1_3repE0EEENS1_30default_config_static_selectorELNS0_4arch9wavefront6targetE1EEEvT1_.num_agpr, 0
	.set _ZN7rocprim17ROCPRIM_400000_NS6detail17trampoline_kernelINS0_14default_configENS1_25transform_config_selectorIsLb1EEEZNS1_14transform_implILb1ES3_S5_PsS7_NS0_8identityIsEEEE10hipError_tT2_T3_mT4_P12ihipStream_tbEUlT_E_NS1_11comp_targetILNS1_3genE10ELNS1_11target_archE1201ELNS1_3gpuE5ELNS1_3repE0EEENS1_30default_config_static_selectorELNS0_4arch9wavefront6targetE1EEEvT1_.numbered_sgpr, 0
	.set _ZN7rocprim17ROCPRIM_400000_NS6detail17trampoline_kernelINS0_14default_configENS1_25transform_config_selectorIsLb1EEEZNS1_14transform_implILb1ES3_S5_PsS7_NS0_8identityIsEEEE10hipError_tT2_T3_mT4_P12ihipStream_tbEUlT_E_NS1_11comp_targetILNS1_3genE10ELNS1_11target_archE1201ELNS1_3gpuE5ELNS1_3repE0EEENS1_30default_config_static_selectorELNS0_4arch9wavefront6targetE1EEEvT1_.num_named_barrier, 0
	.set _ZN7rocprim17ROCPRIM_400000_NS6detail17trampoline_kernelINS0_14default_configENS1_25transform_config_selectorIsLb1EEEZNS1_14transform_implILb1ES3_S5_PsS7_NS0_8identityIsEEEE10hipError_tT2_T3_mT4_P12ihipStream_tbEUlT_E_NS1_11comp_targetILNS1_3genE10ELNS1_11target_archE1201ELNS1_3gpuE5ELNS1_3repE0EEENS1_30default_config_static_selectorELNS0_4arch9wavefront6targetE1EEEvT1_.private_seg_size, 0
	.set _ZN7rocprim17ROCPRIM_400000_NS6detail17trampoline_kernelINS0_14default_configENS1_25transform_config_selectorIsLb1EEEZNS1_14transform_implILb1ES3_S5_PsS7_NS0_8identityIsEEEE10hipError_tT2_T3_mT4_P12ihipStream_tbEUlT_E_NS1_11comp_targetILNS1_3genE10ELNS1_11target_archE1201ELNS1_3gpuE5ELNS1_3repE0EEENS1_30default_config_static_selectorELNS0_4arch9wavefront6targetE1EEEvT1_.uses_vcc, 0
	.set _ZN7rocprim17ROCPRIM_400000_NS6detail17trampoline_kernelINS0_14default_configENS1_25transform_config_selectorIsLb1EEEZNS1_14transform_implILb1ES3_S5_PsS7_NS0_8identityIsEEEE10hipError_tT2_T3_mT4_P12ihipStream_tbEUlT_E_NS1_11comp_targetILNS1_3genE10ELNS1_11target_archE1201ELNS1_3gpuE5ELNS1_3repE0EEENS1_30default_config_static_selectorELNS0_4arch9wavefront6targetE1EEEvT1_.uses_flat_scratch, 0
	.set _ZN7rocprim17ROCPRIM_400000_NS6detail17trampoline_kernelINS0_14default_configENS1_25transform_config_selectorIsLb1EEEZNS1_14transform_implILb1ES3_S5_PsS7_NS0_8identityIsEEEE10hipError_tT2_T3_mT4_P12ihipStream_tbEUlT_E_NS1_11comp_targetILNS1_3genE10ELNS1_11target_archE1201ELNS1_3gpuE5ELNS1_3repE0EEENS1_30default_config_static_selectorELNS0_4arch9wavefront6targetE1EEEvT1_.has_dyn_sized_stack, 0
	.set _ZN7rocprim17ROCPRIM_400000_NS6detail17trampoline_kernelINS0_14default_configENS1_25transform_config_selectorIsLb1EEEZNS1_14transform_implILb1ES3_S5_PsS7_NS0_8identityIsEEEE10hipError_tT2_T3_mT4_P12ihipStream_tbEUlT_E_NS1_11comp_targetILNS1_3genE10ELNS1_11target_archE1201ELNS1_3gpuE5ELNS1_3repE0EEENS1_30default_config_static_selectorELNS0_4arch9wavefront6targetE1EEEvT1_.has_recursion, 0
	.set _ZN7rocprim17ROCPRIM_400000_NS6detail17trampoline_kernelINS0_14default_configENS1_25transform_config_selectorIsLb1EEEZNS1_14transform_implILb1ES3_S5_PsS7_NS0_8identityIsEEEE10hipError_tT2_T3_mT4_P12ihipStream_tbEUlT_E_NS1_11comp_targetILNS1_3genE10ELNS1_11target_archE1201ELNS1_3gpuE5ELNS1_3repE0EEENS1_30default_config_static_selectorELNS0_4arch9wavefront6targetE1EEEvT1_.has_indirect_call, 0
	.section	.AMDGPU.csdata,"",@progbits
; Kernel info:
; codeLenInByte = 0
; TotalNumSgprs: 4
; NumVgprs: 0
; ScratchSize: 0
; MemoryBound: 0
; FloatMode: 240
; IeeeMode: 1
; LDSByteSize: 0 bytes/workgroup (compile time only)
; SGPRBlocks: 0
; VGPRBlocks: 0
; NumSGPRsForWavesPerEU: 4
; NumVGPRsForWavesPerEU: 1
; Occupancy: 10
; WaveLimiterHint : 0
; COMPUTE_PGM_RSRC2:SCRATCH_EN: 0
; COMPUTE_PGM_RSRC2:USER_SGPR: 6
; COMPUTE_PGM_RSRC2:TRAP_HANDLER: 0
; COMPUTE_PGM_RSRC2:TGID_X_EN: 1
; COMPUTE_PGM_RSRC2:TGID_Y_EN: 0
; COMPUTE_PGM_RSRC2:TGID_Z_EN: 0
; COMPUTE_PGM_RSRC2:TIDIG_COMP_CNT: 0
	.section	.text._ZN7rocprim17ROCPRIM_400000_NS6detail17trampoline_kernelINS0_14default_configENS1_25transform_config_selectorIsLb1EEEZNS1_14transform_implILb1ES3_S5_PsS7_NS0_8identityIsEEEE10hipError_tT2_T3_mT4_P12ihipStream_tbEUlT_E_NS1_11comp_targetILNS1_3genE5ELNS1_11target_archE942ELNS1_3gpuE9ELNS1_3repE0EEENS1_30default_config_static_selectorELNS0_4arch9wavefront6targetE1EEEvT1_,"axG",@progbits,_ZN7rocprim17ROCPRIM_400000_NS6detail17trampoline_kernelINS0_14default_configENS1_25transform_config_selectorIsLb1EEEZNS1_14transform_implILb1ES3_S5_PsS7_NS0_8identityIsEEEE10hipError_tT2_T3_mT4_P12ihipStream_tbEUlT_E_NS1_11comp_targetILNS1_3genE5ELNS1_11target_archE942ELNS1_3gpuE9ELNS1_3repE0EEENS1_30default_config_static_selectorELNS0_4arch9wavefront6targetE1EEEvT1_,comdat
	.protected	_ZN7rocprim17ROCPRIM_400000_NS6detail17trampoline_kernelINS0_14default_configENS1_25transform_config_selectorIsLb1EEEZNS1_14transform_implILb1ES3_S5_PsS7_NS0_8identityIsEEEE10hipError_tT2_T3_mT4_P12ihipStream_tbEUlT_E_NS1_11comp_targetILNS1_3genE5ELNS1_11target_archE942ELNS1_3gpuE9ELNS1_3repE0EEENS1_30default_config_static_selectorELNS0_4arch9wavefront6targetE1EEEvT1_ ; -- Begin function _ZN7rocprim17ROCPRIM_400000_NS6detail17trampoline_kernelINS0_14default_configENS1_25transform_config_selectorIsLb1EEEZNS1_14transform_implILb1ES3_S5_PsS7_NS0_8identityIsEEEE10hipError_tT2_T3_mT4_P12ihipStream_tbEUlT_E_NS1_11comp_targetILNS1_3genE5ELNS1_11target_archE942ELNS1_3gpuE9ELNS1_3repE0EEENS1_30default_config_static_selectorELNS0_4arch9wavefront6targetE1EEEvT1_
	.globl	_ZN7rocprim17ROCPRIM_400000_NS6detail17trampoline_kernelINS0_14default_configENS1_25transform_config_selectorIsLb1EEEZNS1_14transform_implILb1ES3_S5_PsS7_NS0_8identityIsEEEE10hipError_tT2_T3_mT4_P12ihipStream_tbEUlT_E_NS1_11comp_targetILNS1_3genE5ELNS1_11target_archE942ELNS1_3gpuE9ELNS1_3repE0EEENS1_30default_config_static_selectorELNS0_4arch9wavefront6targetE1EEEvT1_
	.p2align	8
	.type	_ZN7rocprim17ROCPRIM_400000_NS6detail17trampoline_kernelINS0_14default_configENS1_25transform_config_selectorIsLb1EEEZNS1_14transform_implILb1ES3_S5_PsS7_NS0_8identityIsEEEE10hipError_tT2_T3_mT4_P12ihipStream_tbEUlT_E_NS1_11comp_targetILNS1_3genE5ELNS1_11target_archE942ELNS1_3gpuE9ELNS1_3repE0EEENS1_30default_config_static_selectorELNS0_4arch9wavefront6targetE1EEEvT1_,@function
_ZN7rocprim17ROCPRIM_400000_NS6detail17trampoline_kernelINS0_14default_configENS1_25transform_config_selectorIsLb1EEEZNS1_14transform_implILb1ES3_S5_PsS7_NS0_8identityIsEEEE10hipError_tT2_T3_mT4_P12ihipStream_tbEUlT_E_NS1_11comp_targetILNS1_3genE5ELNS1_11target_archE942ELNS1_3gpuE9ELNS1_3repE0EEENS1_30default_config_static_selectorELNS0_4arch9wavefront6targetE1EEEvT1_: ; @_ZN7rocprim17ROCPRIM_400000_NS6detail17trampoline_kernelINS0_14default_configENS1_25transform_config_selectorIsLb1EEEZNS1_14transform_implILb1ES3_S5_PsS7_NS0_8identityIsEEEE10hipError_tT2_T3_mT4_P12ihipStream_tbEUlT_E_NS1_11comp_targetILNS1_3genE5ELNS1_11target_archE942ELNS1_3gpuE9ELNS1_3repE0EEENS1_30default_config_static_selectorELNS0_4arch9wavefront6targetE1EEEvT1_
; %bb.0:
	.section	.rodata,"a",@progbits
	.p2align	6, 0x0
	.amdhsa_kernel _ZN7rocprim17ROCPRIM_400000_NS6detail17trampoline_kernelINS0_14default_configENS1_25transform_config_selectorIsLb1EEEZNS1_14transform_implILb1ES3_S5_PsS7_NS0_8identityIsEEEE10hipError_tT2_T3_mT4_P12ihipStream_tbEUlT_E_NS1_11comp_targetILNS1_3genE5ELNS1_11target_archE942ELNS1_3gpuE9ELNS1_3repE0EEENS1_30default_config_static_selectorELNS0_4arch9wavefront6targetE1EEEvT1_
		.amdhsa_group_segment_fixed_size 0
		.amdhsa_private_segment_fixed_size 0
		.amdhsa_kernarg_size 40
		.amdhsa_user_sgpr_count 6
		.amdhsa_user_sgpr_private_segment_buffer 1
		.amdhsa_user_sgpr_dispatch_ptr 0
		.amdhsa_user_sgpr_queue_ptr 0
		.amdhsa_user_sgpr_kernarg_segment_ptr 1
		.amdhsa_user_sgpr_dispatch_id 0
		.amdhsa_user_sgpr_flat_scratch_init 0
		.amdhsa_user_sgpr_private_segment_size 0
		.amdhsa_uses_dynamic_stack 0
		.amdhsa_system_sgpr_private_segment_wavefront_offset 0
		.amdhsa_system_sgpr_workgroup_id_x 1
		.amdhsa_system_sgpr_workgroup_id_y 0
		.amdhsa_system_sgpr_workgroup_id_z 0
		.amdhsa_system_sgpr_workgroup_info 0
		.amdhsa_system_vgpr_workitem_id 0
		.amdhsa_next_free_vgpr 1
		.amdhsa_next_free_sgpr 0
		.amdhsa_reserve_vcc 0
		.amdhsa_reserve_flat_scratch 0
		.amdhsa_float_round_mode_32 0
		.amdhsa_float_round_mode_16_64 0
		.amdhsa_float_denorm_mode_32 3
		.amdhsa_float_denorm_mode_16_64 3
		.amdhsa_dx10_clamp 1
		.amdhsa_ieee_mode 1
		.amdhsa_fp16_overflow 0
		.amdhsa_exception_fp_ieee_invalid_op 0
		.amdhsa_exception_fp_denorm_src 0
		.amdhsa_exception_fp_ieee_div_zero 0
		.amdhsa_exception_fp_ieee_overflow 0
		.amdhsa_exception_fp_ieee_underflow 0
		.amdhsa_exception_fp_ieee_inexact 0
		.amdhsa_exception_int_div_zero 0
	.end_amdhsa_kernel
	.section	.text._ZN7rocprim17ROCPRIM_400000_NS6detail17trampoline_kernelINS0_14default_configENS1_25transform_config_selectorIsLb1EEEZNS1_14transform_implILb1ES3_S5_PsS7_NS0_8identityIsEEEE10hipError_tT2_T3_mT4_P12ihipStream_tbEUlT_E_NS1_11comp_targetILNS1_3genE5ELNS1_11target_archE942ELNS1_3gpuE9ELNS1_3repE0EEENS1_30default_config_static_selectorELNS0_4arch9wavefront6targetE1EEEvT1_,"axG",@progbits,_ZN7rocprim17ROCPRIM_400000_NS6detail17trampoline_kernelINS0_14default_configENS1_25transform_config_selectorIsLb1EEEZNS1_14transform_implILb1ES3_S5_PsS7_NS0_8identityIsEEEE10hipError_tT2_T3_mT4_P12ihipStream_tbEUlT_E_NS1_11comp_targetILNS1_3genE5ELNS1_11target_archE942ELNS1_3gpuE9ELNS1_3repE0EEENS1_30default_config_static_selectorELNS0_4arch9wavefront6targetE1EEEvT1_,comdat
.Lfunc_end1326:
	.size	_ZN7rocprim17ROCPRIM_400000_NS6detail17trampoline_kernelINS0_14default_configENS1_25transform_config_selectorIsLb1EEEZNS1_14transform_implILb1ES3_S5_PsS7_NS0_8identityIsEEEE10hipError_tT2_T3_mT4_P12ihipStream_tbEUlT_E_NS1_11comp_targetILNS1_3genE5ELNS1_11target_archE942ELNS1_3gpuE9ELNS1_3repE0EEENS1_30default_config_static_selectorELNS0_4arch9wavefront6targetE1EEEvT1_, .Lfunc_end1326-_ZN7rocprim17ROCPRIM_400000_NS6detail17trampoline_kernelINS0_14default_configENS1_25transform_config_selectorIsLb1EEEZNS1_14transform_implILb1ES3_S5_PsS7_NS0_8identityIsEEEE10hipError_tT2_T3_mT4_P12ihipStream_tbEUlT_E_NS1_11comp_targetILNS1_3genE5ELNS1_11target_archE942ELNS1_3gpuE9ELNS1_3repE0EEENS1_30default_config_static_selectorELNS0_4arch9wavefront6targetE1EEEvT1_
                                        ; -- End function
	.set _ZN7rocprim17ROCPRIM_400000_NS6detail17trampoline_kernelINS0_14default_configENS1_25transform_config_selectorIsLb1EEEZNS1_14transform_implILb1ES3_S5_PsS7_NS0_8identityIsEEEE10hipError_tT2_T3_mT4_P12ihipStream_tbEUlT_E_NS1_11comp_targetILNS1_3genE5ELNS1_11target_archE942ELNS1_3gpuE9ELNS1_3repE0EEENS1_30default_config_static_selectorELNS0_4arch9wavefront6targetE1EEEvT1_.num_vgpr, 0
	.set _ZN7rocprim17ROCPRIM_400000_NS6detail17trampoline_kernelINS0_14default_configENS1_25transform_config_selectorIsLb1EEEZNS1_14transform_implILb1ES3_S5_PsS7_NS0_8identityIsEEEE10hipError_tT2_T3_mT4_P12ihipStream_tbEUlT_E_NS1_11comp_targetILNS1_3genE5ELNS1_11target_archE942ELNS1_3gpuE9ELNS1_3repE0EEENS1_30default_config_static_selectorELNS0_4arch9wavefront6targetE1EEEvT1_.num_agpr, 0
	.set _ZN7rocprim17ROCPRIM_400000_NS6detail17trampoline_kernelINS0_14default_configENS1_25transform_config_selectorIsLb1EEEZNS1_14transform_implILb1ES3_S5_PsS7_NS0_8identityIsEEEE10hipError_tT2_T3_mT4_P12ihipStream_tbEUlT_E_NS1_11comp_targetILNS1_3genE5ELNS1_11target_archE942ELNS1_3gpuE9ELNS1_3repE0EEENS1_30default_config_static_selectorELNS0_4arch9wavefront6targetE1EEEvT1_.numbered_sgpr, 0
	.set _ZN7rocprim17ROCPRIM_400000_NS6detail17trampoline_kernelINS0_14default_configENS1_25transform_config_selectorIsLb1EEEZNS1_14transform_implILb1ES3_S5_PsS7_NS0_8identityIsEEEE10hipError_tT2_T3_mT4_P12ihipStream_tbEUlT_E_NS1_11comp_targetILNS1_3genE5ELNS1_11target_archE942ELNS1_3gpuE9ELNS1_3repE0EEENS1_30default_config_static_selectorELNS0_4arch9wavefront6targetE1EEEvT1_.num_named_barrier, 0
	.set _ZN7rocprim17ROCPRIM_400000_NS6detail17trampoline_kernelINS0_14default_configENS1_25transform_config_selectorIsLb1EEEZNS1_14transform_implILb1ES3_S5_PsS7_NS0_8identityIsEEEE10hipError_tT2_T3_mT4_P12ihipStream_tbEUlT_E_NS1_11comp_targetILNS1_3genE5ELNS1_11target_archE942ELNS1_3gpuE9ELNS1_3repE0EEENS1_30default_config_static_selectorELNS0_4arch9wavefront6targetE1EEEvT1_.private_seg_size, 0
	.set _ZN7rocprim17ROCPRIM_400000_NS6detail17trampoline_kernelINS0_14default_configENS1_25transform_config_selectorIsLb1EEEZNS1_14transform_implILb1ES3_S5_PsS7_NS0_8identityIsEEEE10hipError_tT2_T3_mT4_P12ihipStream_tbEUlT_E_NS1_11comp_targetILNS1_3genE5ELNS1_11target_archE942ELNS1_3gpuE9ELNS1_3repE0EEENS1_30default_config_static_selectorELNS0_4arch9wavefront6targetE1EEEvT1_.uses_vcc, 0
	.set _ZN7rocprim17ROCPRIM_400000_NS6detail17trampoline_kernelINS0_14default_configENS1_25transform_config_selectorIsLb1EEEZNS1_14transform_implILb1ES3_S5_PsS7_NS0_8identityIsEEEE10hipError_tT2_T3_mT4_P12ihipStream_tbEUlT_E_NS1_11comp_targetILNS1_3genE5ELNS1_11target_archE942ELNS1_3gpuE9ELNS1_3repE0EEENS1_30default_config_static_selectorELNS0_4arch9wavefront6targetE1EEEvT1_.uses_flat_scratch, 0
	.set _ZN7rocprim17ROCPRIM_400000_NS6detail17trampoline_kernelINS0_14default_configENS1_25transform_config_selectorIsLb1EEEZNS1_14transform_implILb1ES3_S5_PsS7_NS0_8identityIsEEEE10hipError_tT2_T3_mT4_P12ihipStream_tbEUlT_E_NS1_11comp_targetILNS1_3genE5ELNS1_11target_archE942ELNS1_3gpuE9ELNS1_3repE0EEENS1_30default_config_static_selectorELNS0_4arch9wavefront6targetE1EEEvT1_.has_dyn_sized_stack, 0
	.set _ZN7rocprim17ROCPRIM_400000_NS6detail17trampoline_kernelINS0_14default_configENS1_25transform_config_selectorIsLb1EEEZNS1_14transform_implILb1ES3_S5_PsS7_NS0_8identityIsEEEE10hipError_tT2_T3_mT4_P12ihipStream_tbEUlT_E_NS1_11comp_targetILNS1_3genE5ELNS1_11target_archE942ELNS1_3gpuE9ELNS1_3repE0EEENS1_30default_config_static_selectorELNS0_4arch9wavefront6targetE1EEEvT1_.has_recursion, 0
	.set _ZN7rocprim17ROCPRIM_400000_NS6detail17trampoline_kernelINS0_14default_configENS1_25transform_config_selectorIsLb1EEEZNS1_14transform_implILb1ES3_S5_PsS7_NS0_8identityIsEEEE10hipError_tT2_T3_mT4_P12ihipStream_tbEUlT_E_NS1_11comp_targetILNS1_3genE5ELNS1_11target_archE942ELNS1_3gpuE9ELNS1_3repE0EEENS1_30default_config_static_selectorELNS0_4arch9wavefront6targetE1EEEvT1_.has_indirect_call, 0
	.section	.AMDGPU.csdata,"",@progbits
; Kernel info:
; codeLenInByte = 0
; TotalNumSgprs: 4
; NumVgprs: 0
; ScratchSize: 0
; MemoryBound: 0
; FloatMode: 240
; IeeeMode: 1
; LDSByteSize: 0 bytes/workgroup (compile time only)
; SGPRBlocks: 0
; VGPRBlocks: 0
; NumSGPRsForWavesPerEU: 4
; NumVGPRsForWavesPerEU: 1
; Occupancy: 10
; WaveLimiterHint : 0
; COMPUTE_PGM_RSRC2:SCRATCH_EN: 0
; COMPUTE_PGM_RSRC2:USER_SGPR: 6
; COMPUTE_PGM_RSRC2:TRAP_HANDLER: 0
; COMPUTE_PGM_RSRC2:TGID_X_EN: 1
; COMPUTE_PGM_RSRC2:TGID_Y_EN: 0
; COMPUTE_PGM_RSRC2:TGID_Z_EN: 0
; COMPUTE_PGM_RSRC2:TIDIG_COMP_CNT: 0
	.section	.text._ZN7rocprim17ROCPRIM_400000_NS6detail17trampoline_kernelINS0_14default_configENS1_25transform_config_selectorIsLb1EEEZNS1_14transform_implILb1ES3_S5_PsS7_NS0_8identityIsEEEE10hipError_tT2_T3_mT4_P12ihipStream_tbEUlT_E_NS1_11comp_targetILNS1_3genE4ELNS1_11target_archE910ELNS1_3gpuE8ELNS1_3repE0EEENS1_30default_config_static_selectorELNS0_4arch9wavefront6targetE1EEEvT1_,"axG",@progbits,_ZN7rocprim17ROCPRIM_400000_NS6detail17trampoline_kernelINS0_14default_configENS1_25transform_config_selectorIsLb1EEEZNS1_14transform_implILb1ES3_S5_PsS7_NS0_8identityIsEEEE10hipError_tT2_T3_mT4_P12ihipStream_tbEUlT_E_NS1_11comp_targetILNS1_3genE4ELNS1_11target_archE910ELNS1_3gpuE8ELNS1_3repE0EEENS1_30default_config_static_selectorELNS0_4arch9wavefront6targetE1EEEvT1_,comdat
	.protected	_ZN7rocprim17ROCPRIM_400000_NS6detail17trampoline_kernelINS0_14default_configENS1_25transform_config_selectorIsLb1EEEZNS1_14transform_implILb1ES3_S5_PsS7_NS0_8identityIsEEEE10hipError_tT2_T3_mT4_P12ihipStream_tbEUlT_E_NS1_11comp_targetILNS1_3genE4ELNS1_11target_archE910ELNS1_3gpuE8ELNS1_3repE0EEENS1_30default_config_static_selectorELNS0_4arch9wavefront6targetE1EEEvT1_ ; -- Begin function _ZN7rocprim17ROCPRIM_400000_NS6detail17trampoline_kernelINS0_14default_configENS1_25transform_config_selectorIsLb1EEEZNS1_14transform_implILb1ES3_S5_PsS7_NS0_8identityIsEEEE10hipError_tT2_T3_mT4_P12ihipStream_tbEUlT_E_NS1_11comp_targetILNS1_3genE4ELNS1_11target_archE910ELNS1_3gpuE8ELNS1_3repE0EEENS1_30default_config_static_selectorELNS0_4arch9wavefront6targetE1EEEvT1_
	.globl	_ZN7rocprim17ROCPRIM_400000_NS6detail17trampoline_kernelINS0_14default_configENS1_25transform_config_selectorIsLb1EEEZNS1_14transform_implILb1ES3_S5_PsS7_NS0_8identityIsEEEE10hipError_tT2_T3_mT4_P12ihipStream_tbEUlT_E_NS1_11comp_targetILNS1_3genE4ELNS1_11target_archE910ELNS1_3gpuE8ELNS1_3repE0EEENS1_30default_config_static_selectorELNS0_4arch9wavefront6targetE1EEEvT1_
	.p2align	8
	.type	_ZN7rocprim17ROCPRIM_400000_NS6detail17trampoline_kernelINS0_14default_configENS1_25transform_config_selectorIsLb1EEEZNS1_14transform_implILb1ES3_S5_PsS7_NS0_8identityIsEEEE10hipError_tT2_T3_mT4_P12ihipStream_tbEUlT_E_NS1_11comp_targetILNS1_3genE4ELNS1_11target_archE910ELNS1_3gpuE8ELNS1_3repE0EEENS1_30default_config_static_selectorELNS0_4arch9wavefront6targetE1EEEvT1_,@function
_ZN7rocprim17ROCPRIM_400000_NS6detail17trampoline_kernelINS0_14default_configENS1_25transform_config_selectorIsLb1EEEZNS1_14transform_implILb1ES3_S5_PsS7_NS0_8identityIsEEEE10hipError_tT2_T3_mT4_P12ihipStream_tbEUlT_E_NS1_11comp_targetILNS1_3genE4ELNS1_11target_archE910ELNS1_3gpuE8ELNS1_3repE0EEENS1_30default_config_static_selectorELNS0_4arch9wavefront6targetE1EEEvT1_: ; @_ZN7rocprim17ROCPRIM_400000_NS6detail17trampoline_kernelINS0_14default_configENS1_25transform_config_selectorIsLb1EEEZNS1_14transform_implILb1ES3_S5_PsS7_NS0_8identityIsEEEE10hipError_tT2_T3_mT4_P12ihipStream_tbEUlT_E_NS1_11comp_targetILNS1_3genE4ELNS1_11target_archE910ELNS1_3gpuE8ELNS1_3repE0EEENS1_30default_config_static_selectorELNS0_4arch9wavefront6targetE1EEEvT1_
; %bb.0:
	.section	.rodata,"a",@progbits
	.p2align	6, 0x0
	.amdhsa_kernel _ZN7rocprim17ROCPRIM_400000_NS6detail17trampoline_kernelINS0_14default_configENS1_25transform_config_selectorIsLb1EEEZNS1_14transform_implILb1ES3_S5_PsS7_NS0_8identityIsEEEE10hipError_tT2_T3_mT4_P12ihipStream_tbEUlT_E_NS1_11comp_targetILNS1_3genE4ELNS1_11target_archE910ELNS1_3gpuE8ELNS1_3repE0EEENS1_30default_config_static_selectorELNS0_4arch9wavefront6targetE1EEEvT1_
		.amdhsa_group_segment_fixed_size 0
		.amdhsa_private_segment_fixed_size 0
		.amdhsa_kernarg_size 40
		.amdhsa_user_sgpr_count 6
		.amdhsa_user_sgpr_private_segment_buffer 1
		.amdhsa_user_sgpr_dispatch_ptr 0
		.amdhsa_user_sgpr_queue_ptr 0
		.amdhsa_user_sgpr_kernarg_segment_ptr 1
		.amdhsa_user_sgpr_dispatch_id 0
		.amdhsa_user_sgpr_flat_scratch_init 0
		.amdhsa_user_sgpr_private_segment_size 0
		.amdhsa_uses_dynamic_stack 0
		.amdhsa_system_sgpr_private_segment_wavefront_offset 0
		.amdhsa_system_sgpr_workgroup_id_x 1
		.amdhsa_system_sgpr_workgroup_id_y 0
		.amdhsa_system_sgpr_workgroup_id_z 0
		.amdhsa_system_sgpr_workgroup_info 0
		.amdhsa_system_vgpr_workitem_id 0
		.amdhsa_next_free_vgpr 1
		.amdhsa_next_free_sgpr 0
		.amdhsa_reserve_vcc 0
		.amdhsa_reserve_flat_scratch 0
		.amdhsa_float_round_mode_32 0
		.amdhsa_float_round_mode_16_64 0
		.amdhsa_float_denorm_mode_32 3
		.amdhsa_float_denorm_mode_16_64 3
		.amdhsa_dx10_clamp 1
		.amdhsa_ieee_mode 1
		.amdhsa_fp16_overflow 0
		.amdhsa_exception_fp_ieee_invalid_op 0
		.amdhsa_exception_fp_denorm_src 0
		.amdhsa_exception_fp_ieee_div_zero 0
		.amdhsa_exception_fp_ieee_overflow 0
		.amdhsa_exception_fp_ieee_underflow 0
		.amdhsa_exception_fp_ieee_inexact 0
		.amdhsa_exception_int_div_zero 0
	.end_amdhsa_kernel
	.section	.text._ZN7rocprim17ROCPRIM_400000_NS6detail17trampoline_kernelINS0_14default_configENS1_25transform_config_selectorIsLb1EEEZNS1_14transform_implILb1ES3_S5_PsS7_NS0_8identityIsEEEE10hipError_tT2_T3_mT4_P12ihipStream_tbEUlT_E_NS1_11comp_targetILNS1_3genE4ELNS1_11target_archE910ELNS1_3gpuE8ELNS1_3repE0EEENS1_30default_config_static_selectorELNS0_4arch9wavefront6targetE1EEEvT1_,"axG",@progbits,_ZN7rocprim17ROCPRIM_400000_NS6detail17trampoline_kernelINS0_14default_configENS1_25transform_config_selectorIsLb1EEEZNS1_14transform_implILb1ES3_S5_PsS7_NS0_8identityIsEEEE10hipError_tT2_T3_mT4_P12ihipStream_tbEUlT_E_NS1_11comp_targetILNS1_3genE4ELNS1_11target_archE910ELNS1_3gpuE8ELNS1_3repE0EEENS1_30default_config_static_selectorELNS0_4arch9wavefront6targetE1EEEvT1_,comdat
.Lfunc_end1327:
	.size	_ZN7rocprim17ROCPRIM_400000_NS6detail17trampoline_kernelINS0_14default_configENS1_25transform_config_selectorIsLb1EEEZNS1_14transform_implILb1ES3_S5_PsS7_NS0_8identityIsEEEE10hipError_tT2_T3_mT4_P12ihipStream_tbEUlT_E_NS1_11comp_targetILNS1_3genE4ELNS1_11target_archE910ELNS1_3gpuE8ELNS1_3repE0EEENS1_30default_config_static_selectorELNS0_4arch9wavefront6targetE1EEEvT1_, .Lfunc_end1327-_ZN7rocprim17ROCPRIM_400000_NS6detail17trampoline_kernelINS0_14default_configENS1_25transform_config_selectorIsLb1EEEZNS1_14transform_implILb1ES3_S5_PsS7_NS0_8identityIsEEEE10hipError_tT2_T3_mT4_P12ihipStream_tbEUlT_E_NS1_11comp_targetILNS1_3genE4ELNS1_11target_archE910ELNS1_3gpuE8ELNS1_3repE0EEENS1_30default_config_static_selectorELNS0_4arch9wavefront6targetE1EEEvT1_
                                        ; -- End function
	.set _ZN7rocprim17ROCPRIM_400000_NS6detail17trampoline_kernelINS0_14default_configENS1_25transform_config_selectorIsLb1EEEZNS1_14transform_implILb1ES3_S5_PsS7_NS0_8identityIsEEEE10hipError_tT2_T3_mT4_P12ihipStream_tbEUlT_E_NS1_11comp_targetILNS1_3genE4ELNS1_11target_archE910ELNS1_3gpuE8ELNS1_3repE0EEENS1_30default_config_static_selectorELNS0_4arch9wavefront6targetE1EEEvT1_.num_vgpr, 0
	.set _ZN7rocprim17ROCPRIM_400000_NS6detail17trampoline_kernelINS0_14default_configENS1_25transform_config_selectorIsLb1EEEZNS1_14transform_implILb1ES3_S5_PsS7_NS0_8identityIsEEEE10hipError_tT2_T3_mT4_P12ihipStream_tbEUlT_E_NS1_11comp_targetILNS1_3genE4ELNS1_11target_archE910ELNS1_3gpuE8ELNS1_3repE0EEENS1_30default_config_static_selectorELNS0_4arch9wavefront6targetE1EEEvT1_.num_agpr, 0
	.set _ZN7rocprim17ROCPRIM_400000_NS6detail17trampoline_kernelINS0_14default_configENS1_25transform_config_selectorIsLb1EEEZNS1_14transform_implILb1ES3_S5_PsS7_NS0_8identityIsEEEE10hipError_tT2_T3_mT4_P12ihipStream_tbEUlT_E_NS1_11comp_targetILNS1_3genE4ELNS1_11target_archE910ELNS1_3gpuE8ELNS1_3repE0EEENS1_30default_config_static_selectorELNS0_4arch9wavefront6targetE1EEEvT1_.numbered_sgpr, 0
	.set _ZN7rocprim17ROCPRIM_400000_NS6detail17trampoline_kernelINS0_14default_configENS1_25transform_config_selectorIsLb1EEEZNS1_14transform_implILb1ES3_S5_PsS7_NS0_8identityIsEEEE10hipError_tT2_T3_mT4_P12ihipStream_tbEUlT_E_NS1_11comp_targetILNS1_3genE4ELNS1_11target_archE910ELNS1_3gpuE8ELNS1_3repE0EEENS1_30default_config_static_selectorELNS0_4arch9wavefront6targetE1EEEvT1_.num_named_barrier, 0
	.set _ZN7rocprim17ROCPRIM_400000_NS6detail17trampoline_kernelINS0_14default_configENS1_25transform_config_selectorIsLb1EEEZNS1_14transform_implILb1ES3_S5_PsS7_NS0_8identityIsEEEE10hipError_tT2_T3_mT4_P12ihipStream_tbEUlT_E_NS1_11comp_targetILNS1_3genE4ELNS1_11target_archE910ELNS1_3gpuE8ELNS1_3repE0EEENS1_30default_config_static_selectorELNS0_4arch9wavefront6targetE1EEEvT1_.private_seg_size, 0
	.set _ZN7rocprim17ROCPRIM_400000_NS6detail17trampoline_kernelINS0_14default_configENS1_25transform_config_selectorIsLb1EEEZNS1_14transform_implILb1ES3_S5_PsS7_NS0_8identityIsEEEE10hipError_tT2_T3_mT4_P12ihipStream_tbEUlT_E_NS1_11comp_targetILNS1_3genE4ELNS1_11target_archE910ELNS1_3gpuE8ELNS1_3repE0EEENS1_30default_config_static_selectorELNS0_4arch9wavefront6targetE1EEEvT1_.uses_vcc, 0
	.set _ZN7rocprim17ROCPRIM_400000_NS6detail17trampoline_kernelINS0_14default_configENS1_25transform_config_selectorIsLb1EEEZNS1_14transform_implILb1ES3_S5_PsS7_NS0_8identityIsEEEE10hipError_tT2_T3_mT4_P12ihipStream_tbEUlT_E_NS1_11comp_targetILNS1_3genE4ELNS1_11target_archE910ELNS1_3gpuE8ELNS1_3repE0EEENS1_30default_config_static_selectorELNS0_4arch9wavefront6targetE1EEEvT1_.uses_flat_scratch, 0
	.set _ZN7rocprim17ROCPRIM_400000_NS6detail17trampoline_kernelINS0_14default_configENS1_25transform_config_selectorIsLb1EEEZNS1_14transform_implILb1ES3_S5_PsS7_NS0_8identityIsEEEE10hipError_tT2_T3_mT4_P12ihipStream_tbEUlT_E_NS1_11comp_targetILNS1_3genE4ELNS1_11target_archE910ELNS1_3gpuE8ELNS1_3repE0EEENS1_30default_config_static_selectorELNS0_4arch9wavefront6targetE1EEEvT1_.has_dyn_sized_stack, 0
	.set _ZN7rocprim17ROCPRIM_400000_NS6detail17trampoline_kernelINS0_14default_configENS1_25transform_config_selectorIsLb1EEEZNS1_14transform_implILb1ES3_S5_PsS7_NS0_8identityIsEEEE10hipError_tT2_T3_mT4_P12ihipStream_tbEUlT_E_NS1_11comp_targetILNS1_3genE4ELNS1_11target_archE910ELNS1_3gpuE8ELNS1_3repE0EEENS1_30default_config_static_selectorELNS0_4arch9wavefront6targetE1EEEvT1_.has_recursion, 0
	.set _ZN7rocprim17ROCPRIM_400000_NS6detail17trampoline_kernelINS0_14default_configENS1_25transform_config_selectorIsLb1EEEZNS1_14transform_implILb1ES3_S5_PsS7_NS0_8identityIsEEEE10hipError_tT2_T3_mT4_P12ihipStream_tbEUlT_E_NS1_11comp_targetILNS1_3genE4ELNS1_11target_archE910ELNS1_3gpuE8ELNS1_3repE0EEENS1_30default_config_static_selectorELNS0_4arch9wavefront6targetE1EEEvT1_.has_indirect_call, 0
	.section	.AMDGPU.csdata,"",@progbits
; Kernel info:
; codeLenInByte = 0
; TotalNumSgprs: 4
; NumVgprs: 0
; ScratchSize: 0
; MemoryBound: 0
; FloatMode: 240
; IeeeMode: 1
; LDSByteSize: 0 bytes/workgroup (compile time only)
; SGPRBlocks: 0
; VGPRBlocks: 0
; NumSGPRsForWavesPerEU: 4
; NumVGPRsForWavesPerEU: 1
; Occupancy: 10
; WaveLimiterHint : 0
; COMPUTE_PGM_RSRC2:SCRATCH_EN: 0
; COMPUTE_PGM_RSRC2:USER_SGPR: 6
; COMPUTE_PGM_RSRC2:TRAP_HANDLER: 0
; COMPUTE_PGM_RSRC2:TGID_X_EN: 1
; COMPUTE_PGM_RSRC2:TGID_Y_EN: 0
; COMPUTE_PGM_RSRC2:TGID_Z_EN: 0
; COMPUTE_PGM_RSRC2:TIDIG_COMP_CNT: 0
	.section	.text._ZN7rocprim17ROCPRIM_400000_NS6detail17trampoline_kernelINS0_14default_configENS1_25transform_config_selectorIsLb1EEEZNS1_14transform_implILb1ES3_S5_PsS7_NS0_8identityIsEEEE10hipError_tT2_T3_mT4_P12ihipStream_tbEUlT_E_NS1_11comp_targetILNS1_3genE3ELNS1_11target_archE908ELNS1_3gpuE7ELNS1_3repE0EEENS1_30default_config_static_selectorELNS0_4arch9wavefront6targetE1EEEvT1_,"axG",@progbits,_ZN7rocprim17ROCPRIM_400000_NS6detail17trampoline_kernelINS0_14default_configENS1_25transform_config_selectorIsLb1EEEZNS1_14transform_implILb1ES3_S5_PsS7_NS0_8identityIsEEEE10hipError_tT2_T3_mT4_P12ihipStream_tbEUlT_E_NS1_11comp_targetILNS1_3genE3ELNS1_11target_archE908ELNS1_3gpuE7ELNS1_3repE0EEENS1_30default_config_static_selectorELNS0_4arch9wavefront6targetE1EEEvT1_,comdat
	.protected	_ZN7rocprim17ROCPRIM_400000_NS6detail17trampoline_kernelINS0_14default_configENS1_25transform_config_selectorIsLb1EEEZNS1_14transform_implILb1ES3_S5_PsS7_NS0_8identityIsEEEE10hipError_tT2_T3_mT4_P12ihipStream_tbEUlT_E_NS1_11comp_targetILNS1_3genE3ELNS1_11target_archE908ELNS1_3gpuE7ELNS1_3repE0EEENS1_30default_config_static_selectorELNS0_4arch9wavefront6targetE1EEEvT1_ ; -- Begin function _ZN7rocprim17ROCPRIM_400000_NS6detail17trampoline_kernelINS0_14default_configENS1_25transform_config_selectorIsLb1EEEZNS1_14transform_implILb1ES3_S5_PsS7_NS0_8identityIsEEEE10hipError_tT2_T3_mT4_P12ihipStream_tbEUlT_E_NS1_11comp_targetILNS1_3genE3ELNS1_11target_archE908ELNS1_3gpuE7ELNS1_3repE0EEENS1_30default_config_static_selectorELNS0_4arch9wavefront6targetE1EEEvT1_
	.globl	_ZN7rocprim17ROCPRIM_400000_NS6detail17trampoline_kernelINS0_14default_configENS1_25transform_config_selectorIsLb1EEEZNS1_14transform_implILb1ES3_S5_PsS7_NS0_8identityIsEEEE10hipError_tT2_T3_mT4_P12ihipStream_tbEUlT_E_NS1_11comp_targetILNS1_3genE3ELNS1_11target_archE908ELNS1_3gpuE7ELNS1_3repE0EEENS1_30default_config_static_selectorELNS0_4arch9wavefront6targetE1EEEvT1_
	.p2align	8
	.type	_ZN7rocprim17ROCPRIM_400000_NS6detail17trampoline_kernelINS0_14default_configENS1_25transform_config_selectorIsLb1EEEZNS1_14transform_implILb1ES3_S5_PsS7_NS0_8identityIsEEEE10hipError_tT2_T3_mT4_P12ihipStream_tbEUlT_E_NS1_11comp_targetILNS1_3genE3ELNS1_11target_archE908ELNS1_3gpuE7ELNS1_3repE0EEENS1_30default_config_static_selectorELNS0_4arch9wavefront6targetE1EEEvT1_,@function
_ZN7rocprim17ROCPRIM_400000_NS6detail17trampoline_kernelINS0_14default_configENS1_25transform_config_selectorIsLb1EEEZNS1_14transform_implILb1ES3_S5_PsS7_NS0_8identityIsEEEE10hipError_tT2_T3_mT4_P12ihipStream_tbEUlT_E_NS1_11comp_targetILNS1_3genE3ELNS1_11target_archE908ELNS1_3gpuE7ELNS1_3repE0EEENS1_30default_config_static_selectorELNS0_4arch9wavefront6targetE1EEEvT1_: ; @_ZN7rocprim17ROCPRIM_400000_NS6detail17trampoline_kernelINS0_14default_configENS1_25transform_config_selectorIsLb1EEEZNS1_14transform_implILb1ES3_S5_PsS7_NS0_8identityIsEEEE10hipError_tT2_T3_mT4_P12ihipStream_tbEUlT_E_NS1_11comp_targetILNS1_3genE3ELNS1_11target_archE908ELNS1_3gpuE7ELNS1_3repE0EEENS1_30default_config_static_selectorELNS0_4arch9wavefront6targetE1EEEvT1_
; %bb.0:
	.section	.rodata,"a",@progbits
	.p2align	6, 0x0
	.amdhsa_kernel _ZN7rocprim17ROCPRIM_400000_NS6detail17trampoline_kernelINS0_14default_configENS1_25transform_config_selectorIsLb1EEEZNS1_14transform_implILb1ES3_S5_PsS7_NS0_8identityIsEEEE10hipError_tT2_T3_mT4_P12ihipStream_tbEUlT_E_NS1_11comp_targetILNS1_3genE3ELNS1_11target_archE908ELNS1_3gpuE7ELNS1_3repE0EEENS1_30default_config_static_selectorELNS0_4arch9wavefront6targetE1EEEvT1_
		.amdhsa_group_segment_fixed_size 0
		.amdhsa_private_segment_fixed_size 0
		.amdhsa_kernarg_size 40
		.amdhsa_user_sgpr_count 6
		.amdhsa_user_sgpr_private_segment_buffer 1
		.amdhsa_user_sgpr_dispatch_ptr 0
		.amdhsa_user_sgpr_queue_ptr 0
		.amdhsa_user_sgpr_kernarg_segment_ptr 1
		.amdhsa_user_sgpr_dispatch_id 0
		.amdhsa_user_sgpr_flat_scratch_init 0
		.amdhsa_user_sgpr_private_segment_size 0
		.amdhsa_uses_dynamic_stack 0
		.amdhsa_system_sgpr_private_segment_wavefront_offset 0
		.amdhsa_system_sgpr_workgroup_id_x 1
		.amdhsa_system_sgpr_workgroup_id_y 0
		.amdhsa_system_sgpr_workgroup_id_z 0
		.amdhsa_system_sgpr_workgroup_info 0
		.amdhsa_system_vgpr_workitem_id 0
		.amdhsa_next_free_vgpr 1
		.amdhsa_next_free_sgpr 0
		.amdhsa_reserve_vcc 0
		.amdhsa_reserve_flat_scratch 0
		.amdhsa_float_round_mode_32 0
		.amdhsa_float_round_mode_16_64 0
		.amdhsa_float_denorm_mode_32 3
		.amdhsa_float_denorm_mode_16_64 3
		.amdhsa_dx10_clamp 1
		.amdhsa_ieee_mode 1
		.amdhsa_fp16_overflow 0
		.amdhsa_exception_fp_ieee_invalid_op 0
		.amdhsa_exception_fp_denorm_src 0
		.amdhsa_exception_fp_ieee_div_zero 0
		.amdhsa_exception_fp_ieee_overflow 0
		.amdhsa_exception_fp_ieee_underflow 0
		.amdhsa_exception_fp_ieee_inexact 0
		.amdhsa_exception_int_div_zero 0
	.end_amdhsa_kernel
	.section	.text._ZN7rocprim17ROCPRIM_400000_NS6detail17trampoline_kernelINS0_14default_configENS1_25transform_config_selectorIsLb1EEEZNS1_14transform_implILb1ES3_S5_PsS7_NS0_8identityIsEEEE10hipError_tT2_T3_mT4_P12ihipStream_tbEUlT_E_NS1_11comp_targetILNS1_3genE3ELNS1_11target_archE908ELNS1_3gpuE7ELNS1_3repE0EEENS1_30default_config_static_selectorELNS0_4arch9wavefront6targetE1EEEvT1_,"axG",@progbits,_ZN7rocprim17ROCPRIM_400000_NS6detail17trampoline_kernelINS0_14default_configENS1_25transform_config_selectorIsLb1EEEZNS1_14transform_implILb1ES3_S5_PsS7_NS0_8identityIsEEEE10hipError_tT2_T3_mT4_P12ihipStream_tbEUlT_E_NS1_11comp_targetILNS1_3genE3ELNS1_11target_archE908ELNS1_3gpuE7ELNS1_3repE0EEENS1_30default_config_static_selectorELNS0_4arch9wavefront6targetE1EEEvT1_,comdat
.Lfunc_end1328:
	.size	_ZN7rocprim17ROCPRIM_400000_NS6detail17trampoline_kernelINS0_14default_configENS1_25transform_config_selectorIsLb1EEEZNS1_14transform_implILb1ES3_S5_PsS7_NS0_8identityIsEEEE10hipError_tT2_T3_mT4_P12ihipStream_tbEUlT_E_NS1_11comp_targetILNS1_3genE3ELNS1_11target_archE908ELNS1_3gpuE7ELNS1_3repE0EEENS1_30default_config_static_selectorELNS0_4arch9wavefront6targetE1EEEvT1_, .Lfunc_end1328-_ZN7rocprim17ROCPRIM_400000_NS6detail17trampoline_kernelINS0_14default_configENS1_25transform_config_selectorIsLb1EEEZNS1_14transform_implILb1ES3_S5_PsS7_NS0_8identityIsEEEE10hipError_tT2_T3_mT4_P12ihipStream_tbEUlT_E_NS1_11comp_targetILNS1_3genE3ELNS1_11target_archE908ELNS1_3gpuE7ELNS1_3repE0EEENS1_30default_config_static_selectorELNS0_4arch9wavefront6targetE1EEEvT1_
                                        ; -- End function
	.set _ZN7rocprim17ROCPRIM_400000_NS6detail17trampoline_kernelINS0_14default_configENS1_25transform_config_selectorIsLb1EEEZNS1_14transform_implILb1ES3_S5_PsS7_NS0_8identityIsEEEE10hipError_tT2_T3_mT4_P12ihipStream_tbEUlT_E_NS1_11comp_targetILNS1_3genE3ELNS1_11target_archE908ELNS1_3gpuE7ELNS1_3repE0EEENS1_30default_config_static_selectorELNS0_4arch9wavefront6targetE1EEEvT1_.num_vgpr, 0
	.set _ZN7rocprim17ROCPRIM_400000_NS6detail17trampoline_kernelINS0_14default_configENS1_25transform_config_selectorIsLb1EEEZNS1_14transform_implILb1ES3_S5_PsS7_NS0_8identityIsEEEE10hipError_tT2_T3_mT4_P12ihipStream_tbEUlT_E_NS1_11comp_targetILNS1_3genE3ELNS1_11target_archE908ELNS1_3gpuE7ELNS1_3repE0EEENS1_30default_config_static_selectorELNS0_4arch9wavefront6targetE1EEEvT1_.num_agpr, 0
	.set _ZN7rocprim17ROCPRIM_400000_NS6detail17trampoline_kernelINS0_14default_configENS1_25transform_config_selectorIsLb1EEEZNS1_14transform_implILb1ES3_S5_PsS7_NS0_8identityIsEEEE10hipError_tT2_T3_mT4_P12ihipStream_tbEUlT_E_NS1_11comp_targetILNS1_3genE3ELNS1_11target_archE908ELNS1_3gpuE7ELNS1_3repE0EEENS1_30default_config_static_selectorELNS0_4arch9wavefront6targetE1EEEvT1_.numbered_sgpr, 0
	.set _ZN7rocprim17ROCPRIM_400000_NS6detail17trampoline_kernelINS0_14default_configENS1_25transform_config_selectorIsLb1EEEZNS1_14transform_implILb1ES3_S5_PsS7_NS0_8identityIsEEEE10hipError_tT2_T3_mT4_P12ihipStream_tbEUlT_E_NS1_11comp_targetILNS1_3genE3ELNS1_11target_archE908ELNS1_3gpuE7ELNS1_3repE0EEENS1_30default_config_static_selectorELNS0_4arch9wavefront6targetE1EEEvT1_.num_named_barrier, 0
	.set _ZN7rocprim17ROCPRIM_400000_NS6detail17trampoline_kernelINS0_14default_configENS1_25transform_config_selectorIsLb1EEEZNS1_14transform_implILb1ES3_S5_PsS7_NS0_8identityIsEEEE10hipError_tT2_T3_mT4_P12ihipStream_tbEUlT_E_NS1_11comp_targetILNS1_3genE3ELNS1_11target_archE908ELNS1_3gpuE7ELNS1_3repE0EEENS1_30default_config_static_selectorELNS0_4arch9wavefront6targetE1EEEvT1_.private_seg_size, 0
	.set _ZN7rocprim17ROCPRIM_400000_NS6detail17trampoline_kernelINS0_14default_configENS1_25transform_config_selectorIsLb1EEEZNS1_14transform_implILb1ES3_S5_PsS7_NS0_8identityIsEEEE10hipError_tT2_T3_mT4_P12ihipStream_tbEUlT_E_NS1_11comp_targetILNS1_3genE3ELNS1_11target_archE908ELNS1_3gpuE7ELNS1_3repE0EEENS1_30default_config_static_selectorELNS0_4arch9wavefront6targetE1EEEvT1_.uses_vcc, 0
	.set _ZN7rocprim17ROCPRIM_400000_NS6detail17trampoline_kernelINS0_14default_configENS1_25transform_config_selectorIsLb1EEEZNS1_14transform_implILb1ES3_S5_PsS7_NS0_8identityIsEEEE10hipError_tT2_T3_mT4_P12ihipStream_tbEUlT_E_NS1_11comp_targetILNS1_3genE3ELNS1_11target_archE908ELNS1_3gpuE7ELNS1_3repE0EEENS1_30default_config_static_selectorELNS0_4arch9wavefront6targetE1EEEvT1_.uses_flat_scratch, 0
	.set _ZN7rocprim17ROCPRIM_400000_NS6detail17trampoline_kernelINS0_14default_configENS1_25transform_config_selectorIsLb1EEEZNS1_14transform_implILb1ES3_S5_PsS7_NS0_8identityIsEEEE10hipError_tT2_T3_mT4_P12ihipStream_tbEUlT_E_NS1_11comp_targetILNS1_3genE3ELNS1_11target_archE908ELNS1_3gpuE7ELNS1_3repE0EEENS1_30default_config_static_selectorELNS0_4arch9wavefront6targetE1EEEvT1_.has_dyn_sized_stack, 0
	.set _ZN7rocprim17ROCPRIM_400000_NS6detail17trampoline_kernelINS0_14default_configENS1_25transform_config_selectorIsLb1EEEZNS1_14transform_implILb1ES3_S5_PsS7_NS0_8identityIsEEEE10hipError_tT2_T3_mT4_P12ihipStream_tbEUlT_E_NS1_11comp_targetILNS1_3genE3ELNS1_11target_archE908ELNS1_3gpuE7ELNS1_3repE0EEENS1_30default_config_static_selectorELNS0_4arch9wavefront6targetE1EEEvT1_.has_recursion, 0
	.set _ZN7rocprim17ROCPRIM_400000_NS6detail17trampoline_kernelINS0_14default_configENS1_25transform_config_selectorIsLb1EEEZNS1_14transform_implILb1ES3_S5_PsS7_NS0_8identityIsEEEE10hipError_tT2_T3_mT4_P12ihipStream_tbEUlT_E_NS1_11comp_targetILNS1_3genE3ELNS1_11target_archE908ELNS1_3gpuE7ELNS1_3repE0EEENS1_30default_config_static_selectorELNS0_4arch9wavefront6targetE1EEEvT1_.has_indirect_call, 0
	.section	.AMDGPU.csdata,"",@progbits
; Kernel info:
; codeLenInByte = 0
; TotalNumSgprs: 4
; NumVgprs: 0
; ScratchSize: 0
; MemoryBound: 0
; FloatMode: 240
; IeeeMode: 1
; LDSByteSize: 0 bytes/workgroup (compile time only)
; SGPRBlocks: 0
; VGPRBlocks: 0
; NumSGPRsForWavesPerEU: 4
; NumVGPRsForWavesPerEU: 1
; Occupancy: 10
; WaveLimiterHint : 0
; COMPUTE_PGM_RSRC2:SCRATCH_EN: 0
; COMPUTE_PGM_RSRC2:USER_SGPR: 6
; COMPUTE_PGM_RSRC2:TRAP_HANDLER: 0
; COMPUTE_PGM_RSRC2:TGID_X_EN: 1
; COMPUTE_PGM_RSRC2:TGID_Y_EN: 0
; COMPUTE_PGM_RSRC2:TGID_Z_EN: 0
; COMPUTE_PGM_RSRC2:TIDIG_COMP_CNT: 0
	.section	.text._ZN7rocprim17ROCPRIM_400000_NS6detail17trampoline_kernelINS0_14default_configENS1_25transform_config_selectorIsLb1EEEZNS1_14transform_implILb1ES3_S5_PsS7_NS0_8identityIsEEEE10hipError_tT2_T3_mT4_P12ihipStream_tbEUlT_E_NS1_11comp_targetILNS1_3genE2ELNS1_11target_archE906ELNS1_3gpuE6ELNS1_3repE0EEENS1_30default_config_static_selectorELNS0_4arch9wavefront6targetE1EEEvT1_,"axG",@progbits,_ZN7rocprim17ROCPRIM_400000_NS6detail17trampoline_kernelINS0_14default_configENS1_25transform_config_selectorIsLb1EEEZNS1_14transform_implILb1ES3_S5_PsS7_NS0_8identityIsEEEE10hipError_tT2_T3_mT4_P12ihipStream_tbEUlT_E_NS1_11comp_targetILNS1_3genE2ELNS1_11target_archE906ELNS1_3gpuE6ELNS1_3repE0EEENS1_30default_config_static_selectorELNS0_4arch9wavefront6targetE1EEEvT1_,comdat
	.protected	_ZN7rocprim17ROCPRIM_400000_NS6detail17trampoline_kernelINS0_14default_configENS1_25transform_config_selectorIsLb1EEEZNS1_14transform_implILb1ES3_S5_PsS7_NS0_8identityIsEEEE10hipError_tT2_T3_mT4_P12ihipStream_tbEUlT_E_NS1_11comp_targetILNS1_3genE2ELNS1_11target_archE906ELNS1_3gpuE6ELNS1_3repE0EEENS1_30default_config_static_selectorELNS0_4arch9wavefront6targetE1EEEvT1_ ; -- Begin function _ZN7rocprim17ROCPRIM_400000_NS6detail17trampoline_kernelINS0_14default_configENS1_25transform_config_selectorIsLb1EEEZNS1_14transform_implILb1ES3_S5_PsS7_NS0_8identityIsEEEE10hipError_tT2_T3_mT4_P12ihipStream_tbEUlT_E_NS1_11comp_targetILNS1_3genE2ELNS1_11target_archE906ELNS1_3gpuE6ELNS1_3repE0EEENS1_30default_config_static_selectorELNS0_4arch9wavefront6targetE1EEEvT1_
	.globl	_ZN7rocprim17ROCPRIM_400000_NS6detail17trampoline_kernelINS0_14default_configENS1_25transform_config_selectorIsLb1EEEZNS1_14transform_implILb1ES3_S5_PsS7_NS0_8identityIsEEEE10hipError_tT2_T3_mT4_P12ihipStream_tbEUlT_E_NS1_11comp_targetILNS1_3genE2ELNS1_11target_archE906ELNS1_3gpuE6ELNS1_3repE0EEENS1_30default_config_static_selectorELNS0_4arch9wavefront6targetE1EEEvT1_
	.p2align	8
	.type	_ZN7rocprim17ROCPRIM_400000_NS6detail17trampoline_kernelINS0_14default_configENS1_25transform_config_selectorIsLb1EEEZNS1_14transform_implILb1ES3_S5_PsS7_NS0_8identityIsEEEE10hipError_tT2_T3_mT4_P12ihipStream_tbEUlT_E_NS1_11comp_targetILNS1_3genE2ELNS1_11target_archE906ELNS1_3gpuE6ELNS1_3repE0EEENS1_30default_config_static_selectorELNS0_4arch9wavefront6targetE1EEEvT1_,@function
_ZN7rocprim17ROCPRIM_400000_NS6detail17trampoline_kernelINS0_14default_configENS1_25transform_config_selectorIsLb1EEEZNS1_14transform_implILb1ES3_S5_PsS7_NS0_8identityIsEEEE10hipError_tT2_T3_mT4_P12ihipStream_tbEUlT_E_NS1_11comp_targetILNS1_3genE2ELNS1_11target_archE906ELNS1_3gpuE6ELNS1_3repE0EEENS1_30default_config_static_selectorELNS0_4arch9wavefront6targetE1EEEvT1_: ; @_ZN7rocprim17ROCPRIM_400000_NS6detail17trampoline_kernelINS0_14default_configENS1_25transform_config_selectorIsLb1EEEZNS1_14transform_implILb1ES3_S5_PsS7_NS0_8identityIsEEEE10hipError_tT2_T3_mT4_P12ihipStream_tbEUlT_E_NS1_11comp_targetILNS1_3genE2ELNS1_11target_archE906ELNS1_3gpuE6ELNS1_3repE0EEENS1_30default_config_static_selectorELNS0_4arch9wavefront6targetE1EEEvT1_
; %bb.0:
	s_load_dwordx8 s[8:15], s[4:5], 0x0
	s_load_dword s2, s[4:5], 0x28
	s_waitcnt lgkmcnt(0)
	s_lshl_b64 s[0:1], s[10:11], 1
	s_add_u32 s3, s8, s0
	s_addc_u32 s4, s9, s1
	s_add_u32 s20, s14, s0
	s_addc_u32 s21, s15, s1
	s_lshl_b32 s0, s6, 13
	s_mov_b32 s1, 0
	s_add_i32 s2, s2, -1
	s_lshl_b64 s[14:15], s[0:1], 1
	s_add_u32 s16, s3, s14
	s_addc_u32 s17, s4, s15
	s_cmp_lg_u32 s6, s2
	s_mov_b64 s[2:3], -1
	s_cbranch_scc0 .LBB1329_2
; %bb.1:
	v_lshlrev_b32_e32 v5, 4, v0
	global_load_dwordx4 v[1:4], v5, s[16:17]
	s_add_u32 s2, s20, s14
	s_addc_u32 s3, s21, s15
	s_waitcnt vmcnt(0)
	global_store_dwordx4 v5, v[1:4], s[2:3]
	s_mov_b64 s[2:3], 0
.LBB1329_2:
	s_andn2_b64 vcc, exec, s[2:3]
	s_cbranch_vccnz .LBB1329_33
; %bb.3:
	s_sub_i32 s18, s12, s0
	v_mov_b32_e32 v1, 0
	v_cmp_gt_u32_e32 vcc, s18, v0
	v_mov_b32_e32 v2, v1
	v_mov_b32_e32 v3, v1
	;; [unrolled: 1-line block ×3, first 2 shown]
	v_lshlrev_b32_e32 v5, 1, v0
	s_and_saveexec_b64 s[0:1], vcc
	s_cbranch_execz .LBB1329_5
; %bb.4:
	global_load_ushort v2, v5, s[16:17]
	v_mov_b32_e32 v7, v1
	v_mov_b32_e32 v8, v1
	;; [unrolled: 1-line block ×3, first 2 shown]
	s_waitcnt vmcnt(0)
	v_and_b32_e32 v6, 0xffff, v2
	v_mov_b32_e32 v1, v6
	v_mov_b32_e32 v2, v7
	;; [unrolled: 1-line block ×4, first 2 shown]
.LBB1329_5:
	s_or_b64 exec, exec, s[0:1]
	v_or_b32_e32 v6, 0x400, v0
	v_cmp_gt_u32_e64 s[0:1], s18, v6
	s_and_saveexec_b64 s[2:3], s[0:1]
	s_cbranch_execz .LBB1329_7
; %bb.6:
	global_load_ushort v6, v5, s[16:17] offset:2048
	s_mov_b32 s4, 0x5040100
	s_waitcnt vmcnt(0)
	v_perm_b32 v1, v6, v1, s4
.LBB1329_7:
	s_or_b64 exec, exec, s[2:3]
	v_or_b32_e32 v6, 0x800, v0
	v_cmp_gt_u32_e64 s[2:3], s18, v6
	s_and_saveexec_b64 s[4:5], s[2:3]
	s_cbranch_execz .LBB1329_9
; %bb.8:
	v_lshlrev_b32_e32 v6, 1, v6
	global_load_ushort v6, v6, s[16:17]
	s_mov_b32 s6, 0xffff
	s_waitcnt vmcnt(0)
	v_bfi_b32 v2, s6, v6, v2
.LBB1329_9:
	s_or_b64 exec, exec, s[4:5]
	v_or_b32_e32 v6, 0xc00, v0
	v_cmp_gt_u32_e64 s[4:5], s18, v6
	s_and_saveexec_b64 s[6:7], s[4:5]
	s_cbranch_execz .LBB1329_11
; %bb.10:
	v_lshlrev_b32_e32 v6, 1, v6
	global_load_ushort v6, v6, s[16:17]
	s_mov_b32 s8, 0x5040100
	s_waitcnt vmcnt(0)
	v_perm_b32 v2, v6, v2, s8
.LBB1329_11:
	s_or_b64 exec, exec, s[6:7]
	v_or_b32_e32 v6, 0x1000, v0
	v_cmp_gt_u32_e64 s[6:7], s18, v6
	s_and_saveexec_b64 s[8:9], s[6:7]
	s_cbranch_execz .LBB1329_13
; %bb.12:
	v_lshlrev_b32_e32 v6, 1, v6
	global_load_ushort v6, v6, s[16:17]
	s_mov_b32 s10, 0xffff
	s_waitcnt vmcnt(0)
	v_bfi_b32 v3, s10, v6, v3
.LBB1329_13:
	s_or_b64 exec, exec, s[8:9]
	v_or_b32_e32 v6, 0x1400, v0
	v_cmp_gt_u32_e64 s[8:9], s18, v6
	s_and_saveexec_b64 s[10:11], s[8:9]
	s_cbranch_execz .LBB1329_15
; %bb.14:
	v_lshlrev_b32_e32 v6, 1, v6
	global_load_ushort v6, v6, s[16:17]
	s_mov_b32 s12, 0x5040100
	s_waitcnt vmcnt(0)
	v_perm_b32 v3, v6, v3, s12
.LBB1329_15:
	s_or_b64 exec, exec, s[10:11]
	v_or_b32_e32 v6, 0x1800, v0
	v_cmp_gt_u32_e64 s[10:11], s18, v6
	s_and_saveexec_b64 s[12:13], s[10:11]
	s_cbranch_execz .LBB1329_17
; %bb.16:
	v_lshlrev_b32_e32 v6, 1, v6
	global_load_ushort v6, v6, s[16:17]
	s_mov_b32 s19, 0xffff
	s_waitcnt vmcnt(0)
	v_bfi_b32 v4, s19, v6, v4
.LBB1329_17:
	s_or_b64 exec, exec, s[12:13]
	v_or_b32_e32 v0, 0x1c00, v0
	v_cmp_gt_u32_e64 s[12:13], s18, v0
	s_and_saveexec_b64 s[18:19], s[12:13]
	s_cbranch_execz .LBB1329_19
; %bb.18:
	v_lshlrev_b32_e32 v0, 1, v0
	global_load_ushort v0, v0, s[16:17]
	s_mov_b32 s16, 0x5040100
	s_waitcnt vmcnt(0)
	v_perm_b32 v4, v0, v4, s16
.LBB1329_19:
	s_or_b64 exec, exec, s[18:19]
	s_add_u32 s14, s20, s14
	s_addc_u32 s15, s21, s15
	v_mov_b32_e32 v0, 0
	v_mov_b32_e32 v6, s15
	v_add_co_u32_e64 v5, s[14:15], s14, v5
	v_cndmask_b32_sdwa v0, v0, v1, vcc dst_sel:DWORD dst_unused:UNUSED_PAD src0_sel:DWORD src1_sel:WORD_0
	v_addc_co_u32_e64 v6, s[14:15], 0, v6, s[14:15]
	s_and_saveexec_b64 s[14:15], vcc
	s_cbranch_execz .LBB1329_21
; %bb.20:
	global_store_short v[5:6], v0, off
.LBB1329_21:
	s_or_b64 exec, exec, s[14:15]
	v_cndmask_b32_e64 v0, v0, v1, s[0:1]
	s_and_saveexec_b64 s[14:15], s[0:1]
	s_cbranch_execz .LBB1329_23
; %bb.22:
	global_store_short_d16_hi v[5:6], v0, off offset:2048
.LBB1329_23:
	s_or_b64 exec, exec, s[14:15]
	s_mov_b32 s14, 0xffff
	v_cndmask_b32_e64 v0, 0, v2, s[2:3]
	s_and_saveexec_b64 s[0:1], s[2:3]
	s_cbranch_execz .LBB1329_25
; %bb.24:
	v_add_co_u32_e32 v7, vcc, 0x1000, v5
	v_addc_co_u32_e32 v8, vcc, 0, v6, vcc
	global_store_short v[7:8], v0, off
.LBB1329_25:
	s_or_b64 exec, exec, s[0:1]
	v_bfi_b32 v0, s14, v0, 0
	v_cndmask_b32_e64 v0, v0, v2, s[4:5]
	s_and_saveexec_b64 s[0:1], s[4:5]
	s_cbranch_execz .LBB1329_27
; %bb.26:
	v_add_co_u32_e32 v1, vcc, 0x1000, v5
	v_addc_co_u32_e32 v2, vcc, 0, v6, vcc
	global_store_short_d16_hi v[1:2], v0, off offset:2048
.LBB1329_27:
	s_or_b64 exec, exec, s[0:1]
	s_mov_b32 s2, 0xffff
	v_cndmask_b32_e64 v0, 0, v3, s[6:7]
	s_and_saveexec_b64 s[0:1], s[6:7]
	s_cbranch_execz .LBB1329_29
; %bb.28:
	v_add_co_u32_e32 v1, vcc, 0x2000, v5
	v_addc_co_u32_e32 v2, vcc, 0, v6, vcc
	global_store_short v[1:2], v0, off
.LBB1329_29:
	s_or_b64 exec, exec, s[0:1]
	v_bfi_b32 v0, s2, v0, 0
	v_cndmask_b32_e64 v0, v0, v3, s[8:9]
	s_and_saveexec_b64 s[0:1], s[8:9]
	s_cbranch_execnz .LBB1329_34
; %bb.30:
	s_or_b64 exec, exec, s[0:1]
	s_and_saveexec_b64 s[0:1], s[10:11]
	s_cbranch_execnz .LBB1329_35
.LBB1329_31:
	s_or_b64 exec, exec, s[0:1]
	s_and_saveexec_b64 s[0:1], s[12:13]
	s_cbranch_execz .LBB1329_33
.LBB1329_32:
	v_add_co_u32_e32 v0, vcc, 0x3000, v5
	v_cndmask_b32_e64 v2, 0, v4, s[12:13]
	v_addc_co_u32_e32 v1, vcc, 0, v6, vcc
	global_store_short_d16_hi v[0:1], v2, off offset:2048
.LBB1329_33:
	s_endpgm
.LBB1329_34:
	v_add_co_u32_e32 v1, vcc, 0x2000, v5
	v_addc_co_u32_e32 v2, vcc, 0, v6, vcc
	global_store_short_d16_hi v[1:2], v0, off offset:2048
	s_or_b64 exec, exec, s[0:1]
	s_and_saveexec_b64 s[0:1], s[10:11]
	s_cbranch_execz .LBB1329_31
.LBB1329_35:
	v_add_co_u32_e32 v0, vcc, 0x3000, v5
	v_cndmask_b32_e64 v2, 0, v4, s[10:11]
	v_addc_co_u32_e32 v1, vcc, 0, v6, vcc
	global_store_short v[0:1], v2, off
	s_or_b64 exec, exec, s[0:1]
	s_and_saveexec_b64 s[0:1], s[12:13]
	s_cbranch_execnz .LBB1329_32
	s_branch .LBB1329_33
	.section	.rodata,"a",@progbits
	.p2align	6, 0x0
	.amdhsa_kernel _ZN7rocprim17ROCPRIM_400000_NS6detail17trampoline_kernelINS0_14default_configENS1_25transform_config_selectorIsLb1EEEZNS1_14transform_implILb1ES3_S5_PsS7_NS0_8identityIsEEEE10hipError_tT2_T3_mT4_P12ihipStream_tbEUlT_E_NS1_11comp_targetILNS1_3genE2ELNS1_11target_archE906ELNS1_3gpuE6ELNS1_3repE0EEENS1_30default_config_static_selectorELNS0_4arch9wavefront6targetE1EEEvT1_
		.amdhsa_group_segment_fixed_size 0
		.amdhsa_private_segment_fixed_size 0
		.amdhsa_kernarg_size 296
		.amdhsa_user_sgpr_count 6
		.amdhsa_user_sgpr_private_segment_buffer 1
		.amdhsa_user_sgpr_dispatch_ptr 0
		.amdhsa_user_sgpr_queue_ptr 0
		.amdhsa_user_sgpr_kernarg_segment_ptr 1
		.amdhsa_user_sgpr_dispatch_id 0
		.amdhsa_user_sgpr_flat_scratch_init 0
		.amdhsa_user_sgpr_private_segment_size 0
		.amdhsa_uses_dynamic_stack 0
		.amdhsa_system_sgpr_private_segment_wavefront_offset 0
		.amdhsa_system_sgpr_workgroup_id_x 1
		.amdhsa_system_sgpr_workgroup_id_y 0
		.amdhsa_system_sgpr_workgroup_id_z 0
		.amdhsa_system_sgpr_workgroup_info 0
		.amdhsa_system_vgpr_workitem_id 0
		.amdhsa_next_free_vgpr 10
		.amdhsa_next_free_sgpr 22
		.amdhsa_reserve_vcc 1
		.amdhsa_reserve_flat_scratch 0
		.amdhsa_float_round_mode_32 0
		.amdhsa_float_round_mode_16_64 0
		.amdhsa_float_denorm_mode_32 3
		.amdhsa_float_denorm_mode_16_64 3
		.amdhsa_dx10_clamp 1
		.amdhsa_ieee_mode 1
		.amdhsa_fp16_overflow 0
		.amdhsa_exception_fp_ieee_invalid_op 0
		.amdhsa_exception_fp_denorm_src 0
		.amdhsa_exception_fp_ieee_div_zero 0
		.amdhsa_exception_fp_ieee_overflow 0
		.amdhsa_exception_fp_ieee_underflow 0
		.amdhsa_exception_fp_ieee_inexact 0
		.amdhsa_exception_int_div_zero 0
	.end_amdhsa_kernel
	.section	.text._ZN7rocprim17ROCPRIM_400000_NS6detail17trampoline_kernelINS0_14default_configENS1_25transform_config_selectorIsLb1EEEZNS1_14transform_implILb1ES3_S5_PsS7_NS0_8identityIsEEEE10hipError_tT2_T3_mT4_P12ihipStream_tbEUlT_E_NS1_11comp_targetILNS1_3genE2ELNS1_11target_archE906ELNS1_3gpuE6ELNS1_3repE0EEENS1_30default_config_static_selectorELNS0_4arch9wavefront6targetE1EEEvT1_,"axG",@progbits,_ZN7rocprim17ROCPRIM_400000_NS6detail17trampoline_kernelINS0_14default_configENS1_25transform_config_selectorIsLb1EEEZNS1_14transform_implILb1ES3_S5_PsS7_NS0_8identityIsEEEE10hipError_tT2_T3_mT4_P12ihipStream_tbEUlT_E_NS1_11comp_targetILNS1_3genE2ELNS1_11target_archE906ELNS1_3gpuE6ELNS1_3repE0EEENS1_30default_config_static_selectorELNS0_4arch9wavefront6targetE1EEEvT1_,comdat
.Lfunc_end1329:
	.size	_ZN7rocprim17ROCPRIM_400000_NS6detail17trampoline_kernelINS0_14default_configENS1_25transform_config_selectorIsLb1EEEZNS1_14transform_implILb1ES3_S5_PsS7_NS0_8identityIsEEEE10hipError_tT2_T3_mT4_P12ihipStream_tbEUlT_E_NS1_11comp_targetILNS1_3genE2ELNS1_11target_archE906ELNS1_3gpuE6ELNS1_3repE0EEENS1_30default_config_static_selectorELNS0_4arch9wavefront6targetE1EEEvT1_, .Lfunc_end1329-_ZN7rocprim17ROCPRIM_400000_NS6detail17trampoline_kernelINS0_14default_configENS1_25transform_config_selectorIsLb1EEEZNS1_14transform_implILb1ES3_S5_PsS7_NS0_8identityIsEEEE10hipError_tT2_T3_mT4_P12ihipStream_tbEUlT_E_NS1_11comp_targetILNS1_3genE2ELNS1_11target_archE906ELNS1_3gpuE6ELNS1_3repE0EEENS1_30default_config_static_selectorELNS0_4arch9wavefront6targetE1EEEvT1_
                                        ; -- End function
	.set _ZN7rocprim17ROCPRIM_400000_NS6detail17trampoline_kernelINS0_14default_configENS1_25transform_config_selectorIsLb1EEEZNS1_14transform_implILb1ES3_S5_PsS7_NS0_8identityIsEEEE10hipError_tT2_T3_mT4_P12ihipStream_tbEUlT_E_NS1_11comp_targetILNS1_3genE2ELNS1_11target_archE906ELNS1_3gpuE6ELNS1_3repE0EEENS1_30default_config_static_selectorELNS0_4arch9wavefront6targetE1EEEvT1_.num_vgpr, 10
	.set _ZN7rocprim17ROCPRIM_400000_NS6detail17trampoline_kernelINS0_14default_configENS1_25transform_config_selectorIsLb1EEEZNS1_14transform_implILb1ES3_S5_PsS7_NS0_8identityIsEEEE10hipError_tT2_T3_mT4_P12ihipStream_tbEUlT_E_NS1_11comp_targetILNS1_3genE2ELNS1_11target_archE906ELNS1_3gpuE6ELNS1_3repE0EEENS1_30default_config_static_selectorELNS0_4arch9wavefront6targetE1EEEvT1_.num_agpr, 0
	.set _ZN7rocprim17ROCPRIM_400000_NS6detail17trampoline_kernelINS0_14default_configENS1_25transform_config_selectorIsLb1EEEZNS1_14transform_implILb1ES3_S5_PsS7_NS0_8identityIsEEEE10hipError_tT2_T3_mT4_P12ihipStream_tbEUlT_E_NS1_11comp_targetILNS1_3genE2ELNS1_11target_archE906ELNS1_3gpuE6ELNS1_3repE0EEENS1_30default_config_static_selectorELNS0_4arch9wavefront6targetE1EEEvT1_.numbered_sgpr, 22
	.set _ZN7rocprim17ROCPRIM_400000_NS6detail17trampoline_kernelINS0_14default_configENS1_25transform_config_selectorIsLb1EEEZNS1_14transform_implILb1ES3_S5_PsS7_NS0_8identityIsEEEE10hipError_tT2_T3_mT4_P12ihipStream_tbEUlT_E_NS1_11comp_targetILNS1_3genE2ELNS1_11target_archE906ELNS1_3gpuE6ELNS1_3repE0EEENS1_30default_config_static_selectorELNS0_4arch9wavefront6targetE1EEEvT1_.num_named_barrier, 0
	.set _ZN7rocprim17ROCPRIM_400000_NS6detail17trampoline_kernelINS0_14default_configENS1_25transform_config_selectorIsLb1EEEZNS1_14transform_implILb1ES3_S5_PsS7_NS0_8identityIsEEEE10hipError_tT2_T3_mT4_P12ihipStream_tbEUlT_E_NS1_11comp_targetILNS1_3genE2ELNS1_11target_archE906ELNS1_3gpuE6ELNS1_3repE0EEENS1_30default_config_static_selectorELNS0_4arch9wavefront6targetE1EEEvT1_.private_seg_size, 0
	.set _ZN7rocprim17ROCPRIM_400000_NS6detail17trampoline_kernelINS0_14default_configENS1_25transform_config_selectorIsLb1EEEZNS1_14transform_implILb1ES3_S5_PsS7_NS0_8identityIsEEEE10hipError_tT2_T3_mT4_P12ihipStream_tbEUlT_E_NS1_11comp_targetILNS1_3genE2ELNS1_11target_archE906ELNS1_3gpuE6ELNS1_3repE0EEENS1_30default_config_static_selectorELNS0_4arch9wavefront6targetE1EEEvT1_.uses_vcc, 1
	.set _ZN7rocprim17ROCPRIM_400000_NS6detail17trampoline_kernelINS0_14default_configENS1_25transform_config_selectorIsLb1EEEZNS1_14transform_implILb1ES3_S5_PsS7_NS0_8identityIsEEEE10hipError_tT2_T3_mT4_P12ihipStream_tbEUlT_E_NS1_11comp_targetILNS1_3genE2ELNS1_11target_archE906ELNS1_3gpuE6ELNS1_3repE0EEENS1_30default_config_static_selectorELNS0_4arch9wavefront6targetE1EEEvT1_.uses_flat_scratch, 0
	.set _ZN7rocprim17ROCPRIM_400000_NS6detail17trampoline_kernelINS0_14default_configENS1_25transform_config_selectorIsLb1EEEZNS1_14transform_implILb1ES3_S5_PsS7_NS0_8identityIsEEEE10hipError_tT2_T3_mT4_P12ihipStream_tbEUlT_E_NS1_11comp_targetILNS1_3genE2ELNS1_11target_archE906ELNS1_3gpuE6ELNS1_3repE0EEENS1_30default_config_static_selectorELNS0_4arch9wavefront6targetE1EEEvT1_.has_dyn_sized_stack, 0
	.set _ZN7rocprim17ROCPRIM_400000_NS6detail17trampoline_kernelINS0_14default_configENS1_25transform_config_selectorIsLb1EEEZNS1_14transform_implILb1ES3_S5_PsS7_NS0_8identityIsEEEE10hipError_tT2_T3_mT4_P12ihipStream_tbEUlT_E_NS1_11comp_targetILNS1_3genE2ELNS1_11target_archE906ELNS1_3gpuE6ELNS1_3repE0EEENS1_30default_config_static_selectorELNS0_4arch9wavefront6targetE1EEEvT1_.has_recursion, 0
	.set _ZN7rocprim17ROCPRIM_400000_NS6detail17trampoline_kernelINS0_14default_configENS1_25transform_config_selectorIsLb1EEEZNS1_14transform_implILb1ES3_S5_PsS7_NS0_8identityIsEEEE10hipError_tT2_T3_mT4_P12ihipStream_tbEUlT_E_NS1_11comp_targetILNS1_3genE2ELNS1_11target_archE906ELNS1_3gpuE6ELNS1_3repE0EEENS1_30default_config_static_selectorELNS0_4arch9wavefront6targetE1EEEvT1_.has_indirect_call, 0
	.section	.AMDGPU.csdata,"",@progbits
; Kernel info:
; codeLenInByte = 1012
; TotalNumSgprs: 26
; NumVgprs: 10
; ScratchSize: 0
; MemoryBound: 1
; FloatMode: 240
; IeeeMode: 1
; LDSByteSize: 0 bytes/workgroup (compile time only)
; SGPRBlocks: 3
; VGPRBlocks: 2
; NumSGPRsForWavesPerEU: 26
; NumVGPRsForWavesPerEU: 10
; Occupancy: 10
; WaveLimiterHint : 0
; COMPUTE_PGM_RSRC2:SCRATCH_EN: 0
; COMPUTE_PGM_RSRC2:USER_SGPR: 6
; COMPUTE_PGM_RSRC2:TRAP_HANDLER: 0
; COMPUTE_PGM_RSRC2:TGID_X_EN: 1
; COMPUTE_PGM_RSRC2:TGID_Y_EN: 0
; COMPUTE_PGM_RSRC2:TGID_Z_EN: 0
; COMPUTE_PGM_RSRC2:TIDIG_COMP_CNT: 0
	.section	.text._ZN7rocprim17ROCPRIM_400000_NS6detail17trampoline_kernelINS0_14default_configENS1_25transform_config_selectorIsLb1EEEZNS1_14transform_implILb1ES3_S5_PsS7_NS0_8identityIsEEEE10hipError_tT2_T3_mT4_P12ihipStream_tbEUlT_E_NS1_11comp_targetILNS1_3genE9ELNS1_11target_archE1100ELNS1_3gpuE3ELNS1_3repE0EEENS1_30default_config_static_selectorELNS0_4arch9wavefront6targetE1EEEvT1_,"axG",@progbits,_ZN7rocprim17ROCPRIM_400000_NS6detail17trampoline_kernelINS0_14default_configENS1_25transform_config_selectorIsLb1EEEZNS1_14transform_implILb1ES3_S5_PsS7_NS0_8identityIsEEEE10hipError_tT2_T3_mT4_P12ihipStream_tbEUlT_E_NS1_11comp_targetILNS1_3genE9ELNS1_11target_archE1100ELNS1_3gpuE3ELNS1_3repE0EEENS1_30default_config_static_selectorELNS0_4arch9wavefront6targetE1EEEvT1_,comdat
	.protected	_ZN7rocprim17ROCPRIM_400000_NS6detail17trampoline_kernelINS0_14default_configENS1_25transform_config_selectorIsLb1EEEZNS1_14transform_implILb1ES3_S5_PsS7_NS0_8identityIsEEEE10hipError_tT2_T3_mT4_P12ihipStream_tbEUlT_E_NS1_11comp_targetILNS1_3genE9ELNS1_11target_archE1100ELNS1_3gpuE3ELNS1_3repE0EEENS1_30default_config_static_selectorELNS0_4arch9wavefront6targetE1EEEvT1_ ; -- Begin function _ZN7rocprim17ROCPRIM_400000_NS6detail17trampoline_kernelINS0_14default_configENS1_25transform_config_selectorIsLb1EEEZNS1_14transform_implILb1ES3_S5_PsS7_NS0_8identityIsEEEE10hipError_tT2_T3_mT4_P12ihipStream_tbEUlT_E_NS1_11comp_targetILNS1_3genE9ELNS1_11target_archE1100ELNS1_3gpuE3ELNS1_3repE0EEENS1_30default_config_static_selectorELNS0_4arch9wavefront6targetE1EEEvT1_
	.globl	_ZN7rocprim17ROCPRIM_400000_NS6detail17trampoline_kernelINS0_14default_configENS1_25transform_config_selectorIsLb1EEEZNS1_14transform_implILb1ES3_S5_PsS7_NS0_8identityIsEEEE10hipError_tT2_T3_mT4_P12ihipStream_tbEUlT_E_NS1_11comp_targetILNS1_3genE9ELNS1_11target_archE1100ELNS1_3gpuE3ELNS1_3repE0EEENS1_30default_config_static_selectorELNS0_4arch9wavefront6targetE1EEEvT1_
	.p2align	8
	.type	_ZN7rocprim17ROCPRIM_400000_NS6detail17trampoline_kernelINS0_14default_configENS1_25transform_config_selectorIsLb1EEEZNS1_14transform_implILb1ES3_S5_PsS7_NS0_8identityIsEEEE10hipError_tT2_T3_mT4_P12ihipStream_tbEUlT_E_NS1_11comp_targetILNS1_3genE9ELNS1_11target_archE1100ELNS1_3gpuE3ELNS1_3repE0EEENS1_30default_config_static_selectorELNS0_4arch9wavefront6targetE1EEEvT1_,@function
_ZN7rocprim17ROCPRIM_400000_NS6detail17trampoline_kernelINS0_14default_configENS1_25transform_config_selectorIsLb1EEEZNS1_14transform_implILb1ES3_S5_PsS7_NS0_8identityIsEEEE10hipError_tT2_T3_mT4_P12ihipStream_tbEUlT_E_NS1_11comp_targetILNS1_3genE9ELNS1_11target_archE1100ELNS1_3gpuE3ELNS1_3repE0EEENS1_30default_config_static_selectorELNS0_4arch9wavefront6targetE1EEEvT1_: ; @_ZN7rocprim17ROCPRIM_400000_NS6detail17trampoline_kernelINS0_14default_configENS1_25transform_config_selectorIsLb1EEEZNS1_14transform_implILb1ES3_S5_PsS7_NS0_8identityIsEEEE10hipError_tT2_T3_mT4_P12ihipStream_tbEUlT_E_NS1_11comp_targetILNS1_3genE9ELNS1_11target_archE1100ELNS1_3gpuE3ELNS1_3repE0EEENS1_30default_config_static_selectorELNS0_4arch9wavefront6targetE1EEEvT1_
; %bb.0:
	.section	.rodata,"a",@progbits
	.p2align	6, 0x0
	.amdhsa_kernel _ZN7rocprim17ROCPRIM_400000_NS6detail17trampoline_kernelINS0_14default_configENS1_25transform_config_selectorIsLb1EEEZNS1_14transform_implILb1ES3_S5_PsS7_NS0_8identityIsEEEE10hipError_tT2_T3_mT4_P12ihipStream_tbEUlT_E_NS1_11comp_targetILNS1_3genE9ELNS1_11target_archE1100ELNS1_3gpuE3ELNS1_3repE0EEENS1_30default_config_static_selectorELNS0_4arch9wavefront6targetE1EEEvT1_
		.amdhsa_group_segment_fixed_size 0
		.amdhsa_private_segment_fixed_size 0
		.amdhsa_kernarg_size 40
		.amdhsa_user_sgpr_count 6
		.amdhsa_user_sgpr_private_segment_buffer 1
		.amdhsa_user_sgpr_dispatch_ptr 0
		.amdhsa_user_sgpr_queue_ptr 0
		.amdhsa_user_sgpr_kernarg_segment_ptr 1
		.amdhsa_user_sgpr_dispatch_id 0
		.amdhsa_user_sgpr_flat_scratch_init 0
		.amdhsa_user_sgpr_private_segment_size 0
		.amdhsa_uses_dynamic_stack 0
		.amdhsa_system_sgpr_private_segment_wavefront_offset 0
		.amdhsa_system_sgpr_workgroup_id_x 1
		.amdhsa_system_sgpr_workgroup_id_y 0
		.amdhsa_system_sgpr_workgroup_id_z 0
		.amdhsa_system_sgpr_workgroup_info 0
		.amdhsa_system_vgpr_workitem_id 0
		.amdhsa_next_free_vgpr 1
		.amdhsa_next_free_sgpr 0
		.amdhsa_reserve_vcc 0
		.amdhsa_reserve_flat_scratch 0
		.amdhsa_float_round_mode_32 0
		.amdhsa_float_round_mode_16_64 0
		.amdhsa_float_denorm_mode_32 3
		.amdhsa_float_denorm_mode_16_64 3
		.amdhsa_dx10_clamp 1
		.amdhsa_ieee_mode 1
		.amdhsa_fp16_overflow 0
		.amdhsa_exception_fp_ieee_invalid_op 0
		.amdhsa_exception_fp_denorm_src 0
		.amdhsa_exception_fp_ieee_div_zero 0
		.amdhsa_exception_fp_ieee_overflow 0
		.amdhsa_exception_fp_ieee_underflow 0
		.amdhsa_exception_fp_ieee_inexact 0
		.amdhsa_exception_int_div_zero 0
	.end_amdhsa_kernel
	.section	.text._ZN7rocprim17ROCPRIM_400000_NS6detail17trampoline_kernelINS0_14default_configENS1_25transform_config_selectorIsLb1EEEZNS1_14transform_implILb1ES3_S5_PsS7_NS0_8identityIsEEEE10hipError_tT2_T3_mT4_P12ihipStream_tbEUlT_E_NS1_11comp_targetILNS1_3genE9ELNS1_11target_archE1100ELNS1_3gpuE3ELNS1_3repE0EEENS1_30default_config_static_selectorELNS0_4arch9wavefront6targetE1EEEvT1_,"axG",@progbits,_ZN7rocprim17ROCPRIM_400000_NS6detail17trampoline_kernelINS0_14default_configENS1_25transform_config_selectorIsLb1EEEZNS1_14transform_implILb1ES3_S5_PsS7_NS0_8identityIsEEEE10hipError_tT2_T3_mT4_P12ihipStream_tbEUlT_E_NS1_11comp_targetILNS1_3genE9ELNS1_11target_archE1100ELNS1_3gpuE3ELNS1_3repE0EEENS1_30default_config_static_selectorELNS0_4arch9wavefront6targetE1EEEvT1_,comdat
.Lfunc_end1330:
	.size	_ZN7rocprim17ROCPRIM_400000_NS6detail17trampoline_kernelINS0_14default_configENS1_25transform_config_selectorIsLb1EEEZNS1_14transform_implILb1ES3_S5_PsS7_NS0_8identityIsEEEE10hipError_tT2_T3_mT4_P12ihipStream_tbEUlT_E_NS1_11comp_targetILNS1_3genE9ELNS1_11target_archE1100ELNS1_3gpuE3ELNS1_3repE0EEENS1_30default_config_static_selectorELNS0_4arch9wavefront6targetE1EEEvT1_, .Lfunc_end1330-_ZN7rocprim17ROCPRIM_400000_NS6detail17trampoline_kernelINS0_14default_configENS1_25transform_config_selectorIsLb1EEEZNS1_14transform_implILb1ES3_S5_PsS7_NS0_8identityIsEEEE10hipError_tT2_T3_mT4_P12ihipStream_tbEUlT_E_NS1_11comp_targetILNS1_3genE9ELNS1_11target_archE1100ELNS1_3gpuE3ELNS1_3repE0EEENS1_30default_config_static_selectorELNS0_4arch9wavefront6targetE1EEEvT1_
                                        ; -- End function
	.set _ZN7rocprim17ROCPRIM_400000_NS6detail17trampoline_kernelINS0_14default_configENS1_25transform_config_selectorIsLb1EEEZNS1_14transform_implILb1ES3_S5_PsS7_NS0_8identityIsEEEE10hipError_tT2_T3_mT4_P12ihipStream_tbEUlT_E_NS1_11comp_targetILNS1_3genE9ELNS1_11target_archE1100ELNS1_3gpuE3ELNS1_3repE0EEENS1_30default_config_static_selectorELNS0_4arch9wavefront6targetE1EEEvT1_.num_vgpr, 0
	.set _ZN7rocprim17ROCPRIM_400000_NS6detail17trampoline_kernelINS0_14default_configENS1_25transform_config_selectorIsLb1EEEZNS1_14transform_implILb1ES3_S5_PsS7_NS0_8identityIsEEEE10hipError_tT2_T3_mT4_P12ihipStream_tbEUlT_E_NS1_11comp_targetILNS1_3genE9ELNS1_11target_archE1100ELNS1_3gpuE3ELNS1_3repE0EEENS1_30default_config_static_selectorELNS0_4arch9wavefront6targetE1EEEvT1_.num_agpr, 0
	.set _ZN7rocprim17ROCPRIM_400000_NS6detail17trampoline_kernelINS0_14default_configENS1_25transform_config_selectorIsLb1EEEZNS1_14transform_implILb1ES3_S5_PsS7_NS0_8identityIsEEEE10hipError_tT2_T3_mT4_P12ihipStream_tbEUlT_E_NS1_11comp_targetILNS1_3genE9ELNS1_11target_archE1100ELNS1_3gpuE3ELNS1_3repE0EEENS1_30default_config_static_selectorELNS0_4arch9wavefront6targetE1EEEvT1_.numbered_sgpr, 0
	.set _ZN7rocprim17ROCPRIM_400000_NS6detail17trampoline_kernelINS0_14default_configENS1_25transform_config_selectorIsLb1EEEZNS1_14transform_implILb1ES3_S5_PsS7_NS0_8identityIsEEEE10hipError_tT2_T3_mT4_P12ihipStream_tbEUlT_E_NS1_11comp_targetILNS1_3genE9ELNS1_11target_archE1100ELNS1_3gpuE3ELNS1_3repE0EEENS1_30default_config_static_selectorELNS0_4arch9wavefront6targetE1EEEvT1_.num_named_barrier, 0
	.set _ZN7rocprim17ROCPRIM_400000_NS6detail17trampoline_kernelINS0_14default_configENS1_25transform_config_selectorIsLb1EEEZNS1_14transform_implILb1ES3_S5_PsS7_NS0_8identityIsEEEE10hipError_tT2_T3_mT4_P12ihipStream_tbEUlT_E_NS1_11comp_targetILNS1_3genE9ELNS1_11target_archE1100ELNS1_3gpuE3ELNS1_3repE0EEENS1_30default_config_static_selectorELNS0_4arch9wavefront6targetE1EEEvT1_.private_seg_size, 0
	.set _ZN7rocprim17ROCPRIM_400000_NS6detail17trampoline_kernelINS0_14default_configENS1_25transform_config_selectorIsLb1EEEZNS1_14transform_implILb1ES3_S5_PsS7_NS0_8identityIsEEEE10hipError_tT2_T3_mT4_P12ihipStream_tbEUlT_E_NS1_11comp_targetILNS1_3genE9ELNS1_11target_archE1100ELNS1_3gpuE3ELNS1_3repE0EEENS1_30default_config_static_selectorELNS0_4arch9wavefront6targetE1EEEvT1_.uses_vcc, 0
	.set _ZN7rocprim17ROCPRIM_400000_NS6detail17trampoline_kernelINS0_14default_configENS1_25transform_config_selectorIsLb1EEEZNS1_14transform_implILb1ES3_S5_PsS7_NS0_8identityIsEEEE10hipError_tT2_T3_mT4_P12ihipStream_tbEUlT_E_NS1_11comp_targetILNS1_3genE9ELNS1_11target_archE1100ELNS1_3gpuE3ELNS1_3repE0EEENS1_30default_config_static_selectorELNS0_4arch9wavefront6targetE1EEEvT1_.uses_flat_scratch, 0
	.set _ZN7rocprim17ROCPRIM_400000_NS6detail17trampoline_kernelINS0_14default_configENS1_25transform_config_selectorIsLb1EEEZNS1_14transform_implILb1ES3_S5_PsS7_NS0_8identityIsEEEE10hipError_tT2_T3_mT4_P12ihipStream_tbEUlT_E_NS1_11comp_targetILNS1_3genE9ELNS1_11target_archE1100ELNS1_3gpuE3ELNS1_3repE0EEENS1_30default_config_static_selectorELNS0_4arch9wavefront6targetE1EEEvT1_.has_dyn_sized_stack, 0
	.set _ZN7rocprim17ROCPRIM_400000_NS6detail17trampoline_kernelINS0_14default_configENS1_25transform_config_selectorIsLb1EEEZNS1_14transform_implILb1ES3_S5_PsS7_NS0_8identityIsEEEE10hipError_tT2_T3_mT4_P12ihipStream_tbEUlT_E_NS1_11comp_targetILNS1_3genE9ELNS1_11target_archE1100ELNS1_3gpuE3ELNS1_3repE0EEENS1_30default_config_static_selectorELNS0_4arch9wavefront6targetE1EEEvT1_.has_recursion, 0
	.set _ZN7rocprim17ROCPRIM_400000_NS6detail17trampoline_kernelINS0_14default_configENS1_25transform_config_selectorIsLb1EEEZNS1_14transform_implILb1ES3_S5_PsS7_NS0_8identityIsEEEE10hipError_tT2_T3_mT4_P12ihipStream_tbEUlT_E_NS1_11comp_targetILNS1_3genE9ELNS1_11target_archE1100ELNS1_3gpuE3ELNS1_3repE0EEENS1_30default_config_static_selectorELNS0_4arch9wavefront6targetE1EEEvT1_.has_indirect_call, 0
	.section	.AMDGPU.csdata,"",@progbits
; Kernel info:
; codeLenInByte = 0
; TotalNumSgprs: 4
; NumVgprs: 0
; ScratchSize: 0
; MemoryBound: 0
; FloatMode: 240
; IeeeMode: 1
; LDSByteSize: 0 bytes/workgroup (compile time only)
; SGPRBlocks: 0
; VGPRBlocks: 0
; NumSGPRsForWavesPerEU: 4
; NumVGPRsForWavesPerEU: 1
; Occupancy: 10
; WaveLimiterHint : 0
; COMPUTE_PGM_RSRC2:SCRATCH_EN: 0
; COMPUTE_PGM_RSRC2:USER_SGPR: 6
; COMPUTE_PGM_RSRC2:TRAP_HANDLER: 0
; COMPUTE_PGM_RSRC2:TGID_X_EN: 1
; COMPUTE_PGM_RSRC2:TGID_Y_EN: 0
; COMPUTE_PGM_RSRC2:TGID_Z_EN: 0
; COMPUTE_PGM_RSRC2:TIDIG_COMP_CNT: 0
	.section	.text._ZN7rocprim17ROCPRIM_400000_NS6detail17trampoline_kernelINS0_14default_configENS1_25transform_config_selectorIsLb1EEEZNS1_14transform_implILb1ES3_S5_PsS7_NS0_8identityIsEEEE10hipError_tT2_T3_mT4_P12ihipStream_tbEUlT_E_NS1_11comp_targetILNS1_3genE8ELNS1_11target_archE1030ELNS1_3gpuE2ELNS1_3repE0EEENS1_30default_config_static_selectorELNS0_4arch9wavefront6targetE1EEEvT1_,"axG",@progbits,_ZN7rocprim17ROCPRIM_400000_NS6detail17trampoline_kernelINS0_14default_configENS1_25transform_config_selectorIsLb1EEEZNS1_14transform_implILb1ES3_S5_PsS7_NS0_8identityIsEEEE10hipError_tT2_T3_mT4_P12ihipStream_tbEUlT_E_NS1_11comp_targetILNS1_3genE8ELNS1_11target_archE1030ELNS1_3gpuE2ELNS1_3repE0EEENS1_30default_config_static_selectorELNS0_4arch9wavefront6targetE1EEEvT1_,comdat
	.protected	_ZN7rocprim17ROCPRIM_400000_NS6detail17trampoline_kernelINS0_14default_configENS1_25transform_config_selectorIsLb1EEEZNS1_14transform_implILb1ES3_S5_PsS7_NS0_8identityIsEEEE10hipError_tT2_T3_mT4_P12ihipStream_tbEUlT_E_NS1_11comp_targetILNS1_3genE8ELNS1_11target_archE1030ELNS1_3gpuE2ELNS1_3repE0EEENS1_30default_config_static_selectorELNS0_4arch9wavefront6targetE1EEEvT1_ ; -- Begin function _ZN7rocprim17ROCPRIM_400000_NS6detail17trampoline_kernelINS0_14default_configENS1_25transform_config_selectorIsLb1EEEZNS1_14transform_implILb1ES3_S5_PsS7_NS0_8identityIsEEEE10hipError_tT2_T3_mT4_P12ihipStream_tbEUlT_E_NS1_11comp_targetILNS1_3genE8ELNS1_11target_archE1030ELNS1_3gpuE2ELNS1_3repE0EEENS1_30default_config_static_selectorELNS0_4arch9wavefront6targetE1EEEvT1_
	.globl	_ZN7rocprim17ROCPRIM_400000_NS6detail17trampoline_kernelINS0_14default_configENS1_25transform_config_selectorIsLb1EEEZNS1_14transform_implILb1ES3_S5_PsS7_NS0_8identityIsEEEE10hipError_tT2_T3_mT4_P12ihipStream_tbEUlT_E_NS1_11comp_targetILNS1_3genE8ELNS1_11target_archE1030ELNS1_3gpuE2ELNS1_3repE0EEENS1_30default_config_static_selectorELNS0_4arch9wavefront6targetE1EEEvT1_
	.p2align	8
	.type	_ZN7rocprim17ROCPRIM_400000_NS6detail17trampoline_kernelINS0_14default_configENS1_25transform_config_selectorIsLb1EEEZNS1_14transform_implILb1ES3_S5_PsS7_NS0_8identityIsEEEE10hipError_tT2_T3_mT4_P12ihipStream_tbEUlT_E_NS1_11comp_targetILNS1_3genE8ELNS1_11target_archE1030ELNS1_3gpuE2ELNS1_3repE0EEENS1_30default_config_static_selectorELNS0_4arch9wavefront6targetE1EEEvT1_,@function
_ZN7rocprim17ROCPRIM_400000_NS6detail17trampoline_kernelINS0_14default_configENS1_25transform_config_selectorIsLb1EEEZNS1_14transform_implILb1ES3_S5_PsS7_NS0_8identityIsEEEE10hipError_tT2_T3_mT4_P12ihipStream_tbEUlT_E_NS1_11comp_targetILNS1_3genE8ELNS1_11target_archE1030ELNS1_3gpuE2ELNS1_3repE0EEENS1_30default_config_static_selectorELNS0_4arch9wavefront6targetE1EEEvT1_: ; @_ZN7rocprim17ROCPRIM_400000_NS6detail17trampoline_kernelINS0_14default_configENS1_25transform_config_selectorIsLb1EEEZNS1_14transform_implILb1ES3_S5_PsS7_NS0_8identityIsEEEE10hipError_tT2_T3_mT4_P12ihipStream_tbEUlT_E_NS1_11comp_targetILNS1_3genE8ELNS1_11target_archE1030ELNS1_3gpuE2ELNS1_3repE0EEENS1_30default_config_static_selectorELNS0_4arch9wavefront6targetE1EEEvT1_
; %bb.0:
	.section	.rodata,"a",@progbits
	.p2align	6, 0x0
	.amdhsa_kernel _ZN7rocprim17ROCPRIM_400000_NS6detail17trampoline_kernelINS0_14default_configENS1_25transform_config_selectorIsLb1EEEZNS1_14transform_implILb1ES3_S5_PsS7_NS0_8identityIsEEEE10hipError_tT2_T3_mT4_P12ihipStream_tbEUlT_E_NS1_11comp_targetILNS1_3genE8ELNS1_11target_archE1030ELNS1_3gpuE2ELNS1_3repE0EEENS1_30default_config_static_selectorELNS0_4arch9wavefront6targetE1EEEvT1_
		.amdhsa_group_segment_fixed_size 0
		.amdhsa_private_segment_fixed_size 0
		.amdhsa_kernarg_size 40
		.amdhsa_user_sgpr_count 6
		.amdhsa_user_sgpr_private_segment_buffer 1
		.amdhsa_user_sgpr_dispatch_ptr 0
		.amdhsa_user_sgpr_queue_ptr 0
		.amdhsa_user_sgpr_kernarg_segment_ptr 1
		.amdhsa_user_sgpr_dispatch_id 0
		.amdhsa_user_sgpr_flat_scratch_init 0
		.amdhsa_user_sgpr_private_segment_size 0
		.amdhsa_uses_dynamic_stack 0
		.amdhsa_system_sgpr_private_segment_wavefront_offset 0
		.amdhsa_system_sgpr_workgroup_id_x 1
		.amdhsa_system_sgpr_workgroup_id_y 0
		.amdhsa_system_sgpr_workgroup_id_z 0
		.amdhsa_system_sgpr_workgroup_info 0
		.amdhsa_system_vgpr_workitem_id 0
		.amdhsa_next_free_vgpr 1
		.amdhsa_next_free_sgpr 0
		.amdhsa_reserve_vcc 0
		.amdhsa_reserve_flat_scratch 0
		.amdhsa_float_round_mode_32 0
		.amdhsa_float_round_mode_16_64 0
		.amdhsa_float_denorm_mode_32 3
		.amdhsa_float_denorm_mode_16_64 3
		.amdhsa_dx10_clamp 1
		.amdhsa_ieee_mode 1
		.amdhsa_fp16_overflow 0
		.amdhsa_exception_fp_ieee_invalid_op 0
		.amdhsa_exception_fp_denorm_src 0
		.amdhsa_exception_fp_ieee_div_zero 0
		.amdhsa_exception_fp_ieee_overflow 0
		.amdhsa_exception_fp_ieee_underflow 0
		.amdhsa_exception_fp_ieee_inexact 0
		.amdhsa_exception_int_div_zero 0
	.end_amdhsa_kernel
	.section	.text._ZN7rocprim17ROCPRIM_400000_NS6detail17trampoline_kernelINS0_14default_configENS1_25transform_config_selectorIsLb1EEEZNS1_14transform_implILb1ES3_S5_PsS7_NS0_8identityIsEEEE10hipError_tT2_T3_mT4_P12ihipStream_tbEUlT_E_NS1_11comp_targetILNS1_3genE8ELNS1_11target_archE1030ELNS1_3gpuE2ELNS1_3repE0EEENS1_30default_config_static_selectorELNS0_4arch9wavefront6targetE1EEEvT1_,"axG",@progbits,_ZN7rocprim17ROCPRIM_400000_NS6detail17trampoline_kernelINS0_14default_configENS1_25transform_config_selectorIsLb1EEEZNS1_14transform_implILb1ES3_S5_PsS7_NS0_8identityIsEEEE10hipError_tT2_T3_mT4_P12ihipStream_tbEUlT_E_NS1_11comp_targetILNS1_3genE8ELNS1_11target_archE1030ELNS1_3gpuE2ELNS1_3repE0EEENS1_30default_config_static_selectorELNS0_4arch9wavefront6targetE1EEEvT1_,comdat
.Lfunc_end1331:
	.size	_ZN7rocprim17ROCPRIM_400000_NS6detail17trampoline_kernelINS0_14default_configENS1_25transform_config_selectorIsLb1EEEZNS1_14transform_implILb1ES3_S5_PsS7_NS0_8identityIsEEEE10hipError_tT2_T3_mT4_P12ihipStream_tbEUlT_E_NS1_11comp_targetILNS1_3genE8ELNS1_11target_archE1030ELNS1_3gpuE2ELNS1_3repE0EEENS1_30default_config_static_selectorELNS0_4arch9wavefront6targetE1EEEvT1_, .Lfunc_end1331-_ZN7rocprim17ROCPRIM_400000_NS6detail17trampoline_kernelINS0_14default_configENS1_25transform_config_selectorIsLb1EEEZNS1_14transform_implILb1ES3_S5_PsS7_NS0_8identityIsEEEE10hipError_tT2_T3_mT4_P12ihipStream_tbEUlT_E_NS1_11comp_targetILNS1_3genE8ELNS1_11target_archE1030ELNS1_3gpuE2ELNS1_3repE0EEENS1_30default_config_static_selectorELNS0_4arch9wavefront6targetE1EEEvT1_
                                        ; -- End function
	.set _ZN7rocprim17ROCPRIM_400000_NS6detail17trampoline_kernelINS0_14default_configENS1_25transform_config_selectorIsLb1EEEZNS1_14transform_implILb1ES3_S5_PsS7_NS0_8identityIsEEEE10hipError_tT2_T3_mT4_P12ihipStream_tbEUlT_E_NS1_11comp_targetILNS1_3genE8ELNS1_11target_archE1030ELNS1_3gpuE2ELNS1_3repE0EEENS1_30default_config_static_selectorELNS0_4arch9wavefront6targetE1EEEvT1_.num_vgpr, 0
	.set _ZN7rocprim17ROCPRIM_400000_NS6detail17trampoline_kernelINS0_14default_configENS1_25transform_config_selectorIsLb1EEEZNS1_14transform_implILb1ES3_S5_PsS7_NS0_8identityIsEEEE10hipError_tT2_T3_mT4_P12ihipStream_tbEUlT_E_NS1_11comp_targetILNS1_3genE8ELNS1_11target_archE1030ELNS1_3gpuE2ELNS1_3repE0EEENS1_30default_config_static_selectorELNS0_4arch9wavefront6targetE1EEEvT1_.num_agpr, 0
	.set _ZN7rocprim17ROCPRIM_400000_NS6detail17trampoline_kernelINS0_14default_configENS1_25transform_config_selectorIsLb1EEEZNS1_14transform_implILb1ES3_S5_PsS7_NS0_8identityIsEEEE10hipError_tT2_T3_mT4_P12ihipStream_tbEUlT_E_NS1_11comp_targetILNS1_3genE8ELNS1_11target_archE1030ELNS1_3gpuE2ELNS1_3repE0EEENS1_30default_config_static_selectorELNS0_4arch9wavefront6targetE1EEEvT1_.numbered_sgpr, 0
	.set _ZN7rocprim17ROCPRIM_400000_NS6detail17trampoline_kernelINS0_14default_configENS1_25transform_config_selectorIsLb1EEEZNS1_14transform_implILb1ES3_S5_PsS7_NS0_8identityIsEEEE10hipError_tT2_T3_mT4_P12ihipStream_tbEUlT_E_NS1_11comp_targetILNS1_3genE8ELNS1_11target_archE1030ELNS1_3gpuE2ELNS1_3repE0EEENS1_30default_config_static_selectorELNS0_4arch9wavefront6targetE1EEEvT1_.num_named_barrier, 0
	.set _ZN7rocprim17ROCPRIM_400000_NS6detail17trampoline_kernelINS0_14default_configENS1_25transform_config_selectorIsLb1EEEZNS1_14transform_implILb1ES3_S5_PsS7_NS0_8identityIsEEEE10hipError_tT2_T3_mT4_P12ihipStream_tbEUlT_E_NS1_11comp_targetILNS1_3genE8ELNS1_11target_archE1030ELNS1_3gpuE2ELNS1_3repE0EEENS1_30default_config_static_selectorELNS0_4arch9wavefront6targetE1EEEvT1_.private_seg_size, 0
	.set _ZN7rocprim17ROCPRIM_400000_NS6detail17trampoline_kernelINS0_14default_configENS1_25transform_config_selectorIsLb1EEEZNS1_14transform_implILb1ES3_S5_PsS7_NS0_8identityIsEEEE10hipError_tT2_T3_mT4_P12ihipStream_tbEUlT_E_NS1_11comp_targetILNS1_3genE8ELNS1_11target_archE1030ELNS1_3gpuE2ELNS1_3repE0EEENS1_30default_config_static_selectorELNS0_4arch9wavefront6targetE1EEEvT1_.uses_vcc, 0
	.set _ZN7rocprim17ROCPRIM_400000_NS6detail17trampoline_kernelINS0_14default_configENS1_25transform_config_selectorIsLb1EEEZNS1_14transform_implILb1ES3_S5_PsS7_NS0_8identityIsEEEE10hipError_tT2_T3_mT4_P12ihipStream_tbEUlT_E_NS1_11comp_targetILNS1_3genE8ELNS1_11target_archE1030ELNS1_3gpuE2ELNS1_3repE0EEENS1_30default_config_static_selectorELNS0_4arch9wavefront6targetE1EEEvT1_.uses_flat_scratch, 0
	.set _ZN7rocprim17ROCPRIM_400000_NS6detail17trampoline_kernelINS0_14default_configENS1_25transform_config_selectorIsLb1EEEZNS1_14transform_implILb1ES3_S5_PsS7_NS0_8identityIsEEEE10hipError_tT2_T3_mT4_P12ihipStream_tbEUlT_E_NS1_11comp_targetILNS1_3genE8ELNS1_11target_archE1030ELNS1_3gpuE2ELNS1_3repE0EEENS1_30default_config_static_selectorELNS0_4arch9wavefront6targetE1EEEvT1_.has_dyn_sized_stack, 0
	.set _ZN7rocprim17ROCPRIM_400000_NS6detail17trampoline_kernelINS0_14default_configENS1_25transform_config_selectorIsLb1EEEZNS1_14transform_implILb1ES3_S5_PsS7_NS0_8identityIsEEEE10hipError_tT2_T3_mT4_P12ihipStream_tbEUlT_E_NS1_11comp_targetILNS1_3genE8ELNS1_11target_archE1030ELNS1_3gpuE2ELNS1_3repE0EEENS1_30default_config_static_selectorELNS0_4arch9wavefront6targetE1EEEvT1_.has_recursion, 0
	.set _ZN7rocprim17ROCPRIM_400000_NS6detail17trampoline_kernelINS0_14default_configENS1_25transform_config_selectorIsLb1EEEZNS1_14transform_implILb1ES3_S5_PsS7_NS0_8identityIsEEEE10hipError_tT2_T3_mT4_P12ihipStream_tbEUlT_E_NS1_11comp_targetILNS1_3genE8ELNS1_11target_archE1030ELNS1_3gpuE2ELNS1_3repE0EEENS1_30default_config_static_selectorELNS0_4arch9wavefront6targetE1EEEvT1_.has_indirect_call, 0
	.section	.AMDGPU.csdata,"",@progbits
; Kernel info:
; codeLenInByte = 0
; TotalNumSgprs: 4
; NumVgprs: 0
; ScratchSize: 0
; MemoryBound: 0
; FloatMode: 240
; IeeeMode: 1
; LDSByteSize: 0 bytes/workgroup (compile time only)
; SGPRBlocks: 0
; VGPRBlocks: 0
; NumSGPRsForWavesPerEU: 4
; NumVGPRsForWavesPerEU: 1
; Occupancy: 10
; WaveLimiterHint : 0
; COMPUTE_PGM_RSRC2:SCRATCH_EN: 0
; COMPUTE_PGM_RSRC2:USER_SGPR: 6
; COMPUTE_PGM_RSRC2:TRAP_HANDLER: 0
; COMPUTE_PGM_RSRC2:TGID_X_EN: 1
; COMPUTE_PGM_RSRC2:TGID_Y_EN: 0
; COMPUTE_PGM_RSRC2:TGID_Z_EN: 0
; COMPUTE_PGM_RSRC2:TIDIG_COMP_CNT: 0
	.section	.text._ZN7rocprim17ROCPRIM_400000_NS6detail17trampoline_kernelINS0_14default_configENS1_38merge_sort_block_merge_config_selectorIslEEZZNS1_27merge_sort_block_merge_implIS3_PsN6thrust23THRUST_200600_302600_NS10device_ptrIlEEjNS1_19radix_merge_compareILb0ELb1EsNS0_19identity_decomposerEEEEE10hipError_tT0_T1_T2_jT3_P12ihipStream_tbPNSt15iterator_traitsISG_E10value_typeEPNSM_ISH_E10value_typeEPSI_NS1_7vsmem_tEENKUlT_SG_SH_SI_E_clIS7_S7_PlSB_EESF_SV_SG_SH_SI_EUlSV_E_NS1_11comp_targetILNS1_3genE0ELNS1_11target_archE4294967295ELNS1_3gpuE0ELNS1_3repE0EEENS1_48merge_mergepath_partition_config_static_selectorELNS0_4arch9wavefront6targetE1EEEvSH_,"axG",@progbits,_ZN7rocprim17ROCPRIM_400000_NS6detail17trampoline_kernelINS0_14default_configENS1_38merge_sort_block_merge_config_selectorIslEEZZNS1_27merge_sort_block_merge_implIS3_PsN6thrust23THRUST_200600_302600_NS10device_ptrIlEEjNS1_19radix_merge_compareILb0ELb1EsNS0_19identity_decomposerEEEEE10hipError_tT0_T1_T2_jT3_P12ihipStream_tbPNSt15iterator_traitsISG_E10value_typeEPNSM_ISH_E10value_typeEPSI_NS1_7vsmem_tEENKUlT_SG_SH_SI_E_clIS7_S7_PlSB_EESF_SV_SG_SH_SI_EUlSV_E_NS1_11comp_targetILNS1_3genE0ELNS1_11target_archE4294967295ELNS1_3gpuE0ELNS1_3repE0EEENS1_48merge_mergepath_partition_config_static_selectorELNS0_4arch9wavefront6targetE1EEEvSH_,comdat
	.protected	_ZN7rocprim17ROCPRIM_400000_NS6detail17trampoline_kernelINS0_14default_configENS1_38merge_sort_block_merge_config_selectorIslEEZZNS1_27merge_sort_block_merge_implIS3_PsN6thrust23THRUST_200600_302600_NS10device_ptrIlEEjNS1_19radix_merge_compareILb0ELb1EsNS0_19identity_decomposerEEEEE10hipError_tT0_T1_T2_jT3_P12ihipStream_tbPNSt15iterator_traitsISG_E10value_typeEPNSM_ISH_E10value_typeEPSI_NS1_7vsmem_tEENKUlT_SG_SH_SI_E_clIS7_S7_PlSB_EESF_SV_SG_SH_SI_EUlSV_E_NS1_11comp_targetILNS1_3genE0ELNS1_11target_archE4294967295ELNS1_3gpuE0ELNS1_3repE0EEENS1_48merge_mergepath_partition_config_static_selectorELNS0_4arch9wavefront6targetE1EEEvSH_ ; -- Begin function _ZN7rocprim17ROCPRIM_400000_NS6detail17trampoline_kernelINS0_14default_configENS1_38merge_sort_block_merge_config_selectorIslEEZZNS1_27merge_sort_block_merge_implIS3_PsN6thrust23THRUST_200600_302600_NS10device_ptrIlEEjNS1_19radix_merge_compareILb0ELb1EsNS0_19identity_decomposerEEEEE10hipError_tT0_T1_T2_jT3_P12ihipStream_tbPNSt15iterator_traitsISG_E10value_typeEPNSM_ISH_E10value_typeEPSI_NS1_7vsmem_tEENKUlT_SG_SH_SI_E_clIS7_S7_PlSB_EESF_SV_SG_SH_SI_EUlSV_E_NS1_11comp_targetILNS1_3genE0ELNS1_11target_archE4294967295ELNS1_3gpuE0ELNS1_3repE0EEENS1_48merge_mergepath_partition_config_static_selectorELNS0_4arch9wavefront6targetE1EEEvSH_
	.globl	_ZN7rocprim17ROCPRIM_400000_NS6detail17trampoline_kernelINS0_14default_configENS1_38merge_sort_block_merge_config_selectorIslEEZZNS1_27merge_sort_block_merge_implIS3_PsN6thrust23THRUST_200600_302600_NS10device_ptrIlEEjNS1_19radix_merge_compareILb0ELb1EsNS0_19identity_decomposerEEEEE10hipError_tT0_T1_T2_jT3_P12ihipStream_tbPNSt15iterator_traitsISG_E10value_typeEPNSM_ISH_E10value_typeEPSI_NS1_7vsmem_tEENKUlT_SG_SH_SI_E_clIS7_S7_PlSB_EESF_SV_SG_SH_SI_EUlSV_E_NS1_11comp_targetILNS1_3genE0ELNS1_11target_archE4294967295ELNS1_3gpuE0ELNS1_3repE0EEENS1_48merge_mergepath_partition_config_static_selectorELNS0_4arch9wavefront6targetE1EEEvSH_
	.p2align	8
	.type	_ZN7rocprim17ROCPRIM_400000_NS6detail17trampoline_kernelINS0_14default_configENS1_38merge_sort_block_merge_config_selectorIslEEZZNS1_27merge_sort_block_merge_implIS3_PsN6thrust23THRUST_200600_302600_NS10device_ptrIlEEjNS1_19radix_merge_compareILb0ELb1EsNS0_19identity_decomposerEEEEE10hipError_tT0_T1_T2_jT3_P12ihipStream_tbPNSt15iterator_traitsISG_E10value_typeEPNSM_ISH_E10value_typeEPSI_NS1_7vsmem_tEENKUlT_SG_SH_SI_E_clIS7_S7_PlSB_EESF_SV_SG_SH_SI_EUlSV_E_NS1_11comp_targetILNS1_3genE0ELNS1_11target_archE4294967295ELNS1_3gpuE0ELNS1_3repE0EEENS1_48merge_mergepath_partition_config_static_selectorELNS0_4arch9wavefront6targetE1EEEvSH_,@function
_ZN7rocprim17ROCPRIM_400000_NS6detail17trampoline_kernelINS0_14default_configENS1_38merge_sort_block_merge_config_selectorIslEEZZNS1_27merge_sort_block_merge_implIS3_PsN6thrust23THRUST_200600_302600_NS10device_ptrIlEEjNS1_19radix_merge_compareILb0ELb1EsNS0_19identity_decomposerEEEEE10hipError_tT0_T1_T2_jT3_P12ihipStream_tbPNSt15iterator_traitsISG_E10value_typeEPNSM_ISH_E10value_typeEPSI_NS1_7vsmem_tEENKUlT_SG_SH_SI_E_clIS7_S7_PlSB_EESF_SV_SG_SH_SI_EUlSV_E_NS1_11comp_targetILNS1_3genE0ELNS1_11target_archE4294967295ELNS1_3gpuE0ELNS1_3repE0EEENS1_48merge_mergepath_partition_config_static_selectorELNS0_4arch9wavefront6targetE1EEEvSH_: ; @_ZN7rocprim17ROCPRIM_400000_NS6detail17trampoline_kernelINS0_14default_configENS1_38merge_sort_block_merge_config_selectorIslEEZZNS1_27merge_sort_block_merge_implIS3_PsN6thrust23THRUST_200600_302600_NS10device_ptrIlEEjNS1_19radix_merge_compareILb0ELb1EsNS0_19identity_decomposerEEEEE10hipError_tT0_T1_T2_jT3_P12ihipStream_tbPNSt15iterator_traitsISG_E10value_typeEPNSM_ISH_E10value_typeEPSI_NS1_7vsmem_tEENKUlT_SG_SH_SI_E_clIS7_S7_PlSB_EESF_SV_SG_SH_SI_EUlSV_E_NS1_11comp_targetILNS1_3genE0ELNS1_11target_archE4294967295ELNS1_3gpuE0ELNS1_3repE0EEENS1_48merge_mergepath_partition_config_static_selectorELNS0_4arch9wavefront6targetE1EEEvSH_
; %bb.0:
	.section	.rodata,"a",@progbits
	.p2align	6, 0x0
	.amdhsa_kernel _ZN7rocprim17ROCPRIM_400000_NS6detail17trampoline_kernelINS0_14default_configENS1_38merge_sort_block_merge_config_selectorIslEEZZNS1_27merge_sort_block_merge_implIS3_PsN6thrust23THRUST_200600_302600_NS10device_ptrIlEEjNS1_19radix_merge_compareILb0ELb1EsNS0_19identity_decomposerEEEEE10hipError_tT0_T1_T2_jT3_P12ihipStream_tbPNSt15iterator_traitsISG_E10value_typeEPNSM_ISH_E10value_typeEPSI_NS1_7vsmem_tEENKUlT_SG_SH_SI_E_clIS7_S7_PlSB_EESF_SV_SG_SH_SI_EUlSV_E_NS1_11comp_targetILNS1_3genE0ELNS1_11target_archE4294967295ELNS1_3gpuE0ELNS1_3repE0EEENS1_48merge_mergepath_partition_config_static_selectorELNS0_4arch9wavefront6targetE1EEEvSH_
		.amdhsa_group_segment_fixed_size 0
		.amdhsa_private_segment_fixed_size 0
		.amdhsa_kernarg_size 40
		.amdhsa_user_sgpr_count 6
		.amdhsa_user_sgpr_private_segment_buffer 1
		.amdhsa_user_sgpr_dispatch_ptr 0
		.amdhsa_user_sgpr_queue_ptr 0
		.amdhsa_user_sgpr_kernarg_segment_ptr 1
		.amdhsa_user_sgpr_dispatch_id 0
		.amdhsa_user_sgpr_flat_scratch_init 0
		.amdhsa_user_sgpr_private_segment_size 0
		.amdhsa_uses_dynamic_stack 0
		.amdhsa_system_sgpr_private_segment_wavefront_offset 0
		.amdhsa_system_sgpr_workgroup_id_x 1
		.amdhsa_system_sgpr_workgroup_id_y 0
		.amdhsa_system_sgpr_workgroup_id_z 0
		.amdhsa_system_sgpr_workgroup_info 0
		.amdhsa_system_vgpr_workitem_id 0
		.amdhsa_next_free_vgpr 1
		.amdhsa_next_free_sgpr 0
		.amdhsa_reserve_vcc 0
		.amdhsa_reserve_flat_scratch 0
		.amdhsa_float_round_mode_32 0
		.amdhsa_float_round_mode_16_64 0
		.amdhsa_float_denorm_mode_32 3
		.amdhsa_float_denorm_mode_16_64 3
		.amdhsa_dx10_clamp 1
		.amdhsa_ieee_mode 1
		.amdhsa_fp16_overflow 0
		.amdhsa_exception_fp_ieee_invalid_op 0
		.amdhsa_exception_fp_denorm_src 0
		.amdhsa_exception_fp_ieee_div_zero 0
		.amdhsa_exception_fp_ieee_overflow 0
		.amdhsa_exception_fp_ieee_underflow 0
		.amdhsa_exception_fp_ieee_inexact 0
		.amdhsa_exception_int_div_zero 0
	.end_amdhsa_kernel
	.section	.text._ZN7rocprim17ROCPRIM_400000_NS6detail17trampoline_kernelINS0_14default_configENS1_38merge_sort_block_merge_config_selectorIslEEZZNS1_27merge_sort_block_merge_implIS3_PsN6thrust23THRUST_200600_302600_NS10device_ptrIlEEjNS1_19radix_merge_compareILb0ELb1EsNS0_19identity_decomposerEEEEE10hipError_tT0_T1_T2_jT3_P12ihipStream_tbPNSt15iterator_traitsISG_E10value_typeEPNSM_ISH_E10value_typeEPSI_NS1_7vsmem_tEENKUlT_SG_SH_SI_E_clIS7_S7_PlSB_EESF_SV_SG_SH_SI_EUlSV_E_NS1_11comp_targetILNS1_3genE0ELNS1_11target_archE4294967295ELNS1_3gpuE0ELNS1_3repE0EEENS1_48merge_mergepath_partition_config_static_selectorELNS0_4arch9wavefront6targetE1EEEvSH_,"axG",@progbits,_ZN7rocprim17ROCPRIM_400000_NS6detail17trampoline_kernelINS0_14default_configENS1_38merge_sort_block_merge_config_selectorIslEEZZNS1_27merge_sort_block_merge_implIS3_PsN6thrust23THRUST_200600_302600_NS10device_ptrIlEEjNS1_19radix_merge_compareILb0ELb1EsNS0_19identity_decomposerEEEEE10hipError_tT0_T1_T2_jT3_P12ihipStream_tbPNSt15iterator_traitsISG_E10value_typeEPNSM_ISH_E10value_typeEPSI_NS1_7vsmem_tEENKUlT_SG_SH_SI_E_clIS7_S7_PlSB_EESF_SV_SG_SH_SI_EUlSV_E_NS1_11comp_targetILNS1_3genE0ELNS1_11target_archE4294967295ELNS1_3gpuE0ELNS1_3repE0EEENS1_48merge_mergepath_partition_config_static_selectorELNS0_4arch9wavefront6targetE1EEEvSH_,comdat
.Lfunc_end1332:
	.size	_ZN7rocprim17ROCPRIM_400000_NS6detail17trampoline_kernelINS0_14default_configENS1_38merge_sort_block_merge_config_selectorIslEEZZNS1_27merge_sort_block_merge_implIS3_PsN6thrust23THRUST_200600_302600_NS10device_ptrIlEEjNS1_19radix_merge_compareILb0ELb1EsNS0_19identity_decomposerEEEEE10hipError_tT0_T1_T2_jT3_P12ihipStream_tbPNSt15iterator_traitsISG_E10value_typeEPNSM_ISH_E10value_typeEPSI_NS1_7vsmem_tEENKUlT_SG_SH_SI_E_clIS7_S7_PlSB_EESF_SV_SG_SH_SI_EUlSV_E_NS1_11comp_targetILNS1_3genE0ELNS1_11target_archE4294967295ELNS1_3gpuE0ELNS1_3repE0EEENS1_48merge_mergepath_partition_config_static_selectorELNS0_4arch9wavefront6targetE1EEEvSH_, .Lfunc_end1332-_ZN7rocprim17ROCPRIM_400000_NS6detail17trampoline_kernelINS0_14default_configENS1_38merge_sort_block_merge_config_selectorIslEEZZNS1_27merge_sort_block_merge_implIS3_PsN6thrust23THRUST_200600_302600_NS10device_ptrIlEEjNS1_19radix_merge_compareILb0ELb1EsNS0_19identity_decomposerEEEEE10hipError_tT0_T1_T2_jT3_P12ihipStream_tbPNSt15iterator_traitsISG_E10value_typeEPNSM_ISH_E10value_typeEPSI_NS1_7vsmem_tEENKUlT_SG_SH_SI_E_clIS7_S7_PlSB_EESF_SV_SG_SH_SI_EUlSV_E_NS1_11comp_targetILNS1_3genE0ELNS1_11target_archE4294967295ELNS1_3gpuE0ELNS1_3repE0EEENS1_48merge_mergepath_partition_config_static_selectorELNS0_4arch9wavefront6targetE1EEEvSH_
                                        ; -- End function
	.set _ZN7rocprim17ROCPRIM_400000_NS6detail17trampoline_kernelINS0_14default_configENS1_38merge_sort_block_merge_config_selectorIslEEZZNS1_27merge_sort_block_merge_implIS3_PsN6thrust23THRUST_200600_302600_NS10device_ptrIlEEjNS1_19radix_merge_compareILb0ELb1EsNS0_19identity_decomposerEEEEE10hipError_tT0_T1_T2_jT3_P12ihipStream_tbPNSt15iterator_traitsISG_E10value_typeEPNSM_ISH_E10value_typeEPSI_NS1_7vsmem_tEENKUlT_SG_SH_SI_E_clIS7_S7_PlSB_EESF_SV_SG_SH_SI_EUlSV_E_NS1_11comp_targetILNS1_3genE0ELNS1_11target_archE4294967295ELNS1_3gpuE0ELNS1_3repE0EEENS1_48merge_mergepath_partition_config_static_selectorELNS0_4arch9wavefront6targetE1EEEvSH_.num_vgpr, 0
	.set _ZN7rocprim17ROCPRIM_400000_NS6detail17trampoline_kernelINS0_14default_configENS1_38merge_sort_block_merge_config_selectorIslEEZZNS1_27merge_sort_block_merge_implIS3_PsN6thrust23THRUST_200600_302600_NS10device_ptrIlEEjNS1_19radix_merge_compareILb0ELb1EsNS0_19identity_decomposerEEEEE10hipError_tT0_T1_T2_jT3_P12ihipStream_tbPNSt15iterator_traitsISG_E10value_typeEPNSM_ISH_E10value_typeEPSI_NS1_7vsmem_tEENKUlT_SG_SH_SI_E_clIS7_S7_PlSB_EESF_SV_SG_SH_SI_EUlSV_E_NS1_11comp_targetILNS1_3genE0ELNS1_11target_archE4294967295ELNS1_3gpuE0ELNS1_3repE0EEENS1_48merge_mergepath_partition_config_static_selectorELNS0_4arch9wavefront6targetE1EEEvSH_.num_agpr, 0
	.set _ZN7rocprim17ROCPRIM_400000_NS6detail17trampoline_kernelINS0_14default_configENS1_38merge_sort_block_merge_config_selectorIslEEZZNS1_27merge_sort_block_merge_implIS3_PsN6thrust23THRUST_200600_302600_NS10device_ptrIlEEjNS1_19radix_merge_compareILb0ELb1EsNS0_19identity_decomposerEEEEE10hipError_tT0_T1_T2_jT3_P12ihipStream_tbPNSt15iterator_traitsISG_E10value_typeEPNSM_ISH_E10value_typeEPSI_NS1_7vsmem_tEENKUlT_SG_SH_SI_E_clIS7_S7_PlSB_EESF_SV_SG_SH_SI_EUlSV_E_NS1_11comp_targetILNS1_3genE0ELNS1_11target_archE4294967295ELNS1_3gpuE0ELNS1_3repE0EEENS1_48merge_mergepath_partition_config_static_selectorELNS0_4arch9wavefront6targetE1EEEvSH_.numbered_sgpr, 0
	.set _ZN7rocprim17ROCPRIM_400000_NS6detail17trampoline_kernelINS0_14default_configENS1_38merge_sort_block_merge_config_selectorIslEEZZNS1_27merge_sort_block_merge_implIS3_PsN6thrust23THRUST_200600_302600_NS10device_ptrIlEEjNS1_19radix_merge_compareILb0ELb1EsNS0_19identity_decomposerEEEEE10hipError_tT0_T1_T2_jT3_P12ihipStream_tbPNSt15iterator_traitsISG_E10value_typeEPNSM_ISH_E10value_typeEPSI_NS1_7vsmem_tEENKUlT_SG_SH_SI_E_clIS7_S7_PlSB_EESF_SV_SG_SH_SI_EUlSV_E_NS1_11comp_targetILNS1_3genE0ELNS1_11target_archE4294967295ELNS1_3gpuE0ELNS1_3repE0EEENS1_48merge_mergepath_partition_config_static_selectorELNS0_4arch9wavefront6targetE1EEEvSH_.num_named_barrier, 0
	.set _ZN7rocprim17ROCPRIM_400000_NS6detail17trampoline_kernelINS0_14default_configENS1_38merge_sort_block_merge_config_selectorIslEEZZNS1_27merge_sort_block_merge_implIS3_PsN6thrust23THRUST_200600_302600_NS10device_ptrIlEEjNS1_19radix_merge_compareILb0ELb1EsNS0_19identity_decomposerEEEEE10hipError_tT0_T1_T2_jT3_P12ihipStream_tbPNSt15iterator_traitsISG_E10value_typeEPNSM_ISH_E10value_typeEPSI_NS1_7vsmem_tEENKUlT_SG_SH_SI_E_clIS7_S7_PlSB_EESF_SV_SG_SH_SI_EUlSV_E_NS1_11comp_targetILNS1_3genE0ELNS1_11target_archE4294967295ELNS1_3gpuE0ELNS1_3repE0EEENS1_48merge_mergepath_partition_config_static_selectorELNS0_4arch9wavefront6targetE1EEEvSH_.private_seg_size, 0
	.set _ZN7rocprim17ROCPRIM_400000_NS6detail17trampoline_kernelINS0_14default_configENS1_38merge_sort_block_merge_config_selectorIslEEZZNS1_27merge_sort_block_merge_implIS3_PsN6thrust23THRUST_200600_302600_NS10device_ptrIlEEjNS1_19radix_merge_compareILb0ELb1EsNS0_19identity_decomposerEEEEE10hipError_tT0_T1_T2_jT3_P12ihipStream_tbPNSt15iterator_traitsISG_E10value_typeEPNSM_ISH_E10value_typeEPSI_NS1_7vsmem_tEENKUlT_SG_SH_SI_E_clIS7_S7_PlSB_EESF_SV_SG_SH_SI_EUlSV_E_NS1_11comp_targetILNS1_3genE0ELNS1_11target_archE4294967295ELNS1_3gpuE0ELNS1_3repE0EEENS1_48merge_mergepath_partition_config_static_selectorELNS0_4arch9wavefront6targetE1EEEvSH_.uses_vcc, 0
	.set _ZN7rocprim17ROCPRIM_400000_NS6detail17trampoline_kernelINS0_14default_configENS1_38merge_sort_block_merge_config_selectorIslEEZZNS1_27merge_sort_block_merge_implIS3_PsN6thrust23THRUST_200600_302600_NS10device_ptrIlEEjNS1_19radix_merge_compareILb0ELb1EsNS0_19identity_decomposerEEEEE10hipError_tT0_T1_T2_jT3_P12ihipStream_tbPNSt15iterator_traitsISG_E10value_typeEPNSM_ISH_E10value_typeEPSI_NS1_7vsmem_tEENKUlT_SG_SH_SI_E_clIS7_S7_PlSB_EESF_SV_SG_SH_SI_EUlSV_E_NS1_11comp_targetILNS1_3genE0ELNS1_11target_archE4294967295ELNS1_3gpuE0ELNS1_3repE0EEENS1_48merge_mergepath_partition_config_static_selectorELNS0_4arch9wavefront6targetE1EEEvSH_.uses_flat_scratch, 0
	.set _ZN7rocprim17ROCPRIM_400000_NS6detail17trampoline_kernelINS0_14default_configENS1_38merge_sort_block_merge_config_selectorIslEEZZNS1_27merge_sort_block_merge_implIS3_PsN6thrust23THRUST_200600_302600_NS10device_ptrIlEEjNS1_19radix_merge_compareILb0ELb1EsNS0_19identity_decomposerEEEEE10hipError_tT0_T1_T2_jT3_P12ihipStream_tbPNSt15iterator_traitsISG_E10value_typeEPNSM_ISH_E10value_typeEPSI_NS1_7vsmem_tEENKUlT_SG_SH_SI_E_clIS7_S7_PlSB_EESF_SV_SG_SH_SI_EUlSV_E_NS1_11comp_targetILNS1_3genE0ELNS1_11target_archE4294967295ELNS1_3gpuE0ELNS1_3repE0EEENS1_48merge_mergepath_partition_config_static_selectorELNS0_4arch9wavefront6targetE1EEEvSH_.has_dyn_sized_stack, 0
	.set _ZN7rocprim17ROCPRIM_400000_NS6detail17trampoline_kernelINS0_14default_configENS1_38merge_sort_block_merge_config_selectorIslEEZZNS1_27merge_sort_block_merge_implIS3_PsN6thrust23THRUST_200600_302600_NS10device_ptrIlEEjNS1_19radix_merge_compareILb0ELb1EsNS0_19identity_decomposerEEEEE10hipError_tT0_T1_T2_jT3_P12ihipStream_tbPNSt15iterator_traitsISG_E10value_typeEPNSM_ISH_E10value_typeEPSI_NS1_7vsmem_tEENKUlT_SG_SH_SI_E_clIS7_S7_PlSB_EESF_SV_SG_SH_SI_EUlSV_E_NS1_11comp_targetILNS1_3genE0ELNS1_11target_archE4294967295ELNS1_3gpuE0ELNS1_3repE0EEENS1_48merge_mergepath_partition_config_static_selectorELNS0_4arch9wavefront6targetE1EEEvSH_.has_recursion, 0
	.set _ZN7rocprim17ROCPRIM_400000_NS6detail17trampoline_kernelINS0_14default_configENS1_38merge_sort_block_merge_config_selectorIslEEZZNS1_27merge_sort_block_merge_implIS3_PsN6thrust23THRUST_200600_302600_NS10device_ptrIlEEjNS1_19radix_merge_compareILb0ELb1EsNS0_19identity_decomposerEEEEE10hipError_tT0_T1_T2_jT3_P12ihipStream_tbPNSt15iterator_traitsISG_E10value_typeEPNSM_ISH_E10value_typeEPSI_NS1_7vsmem_tEENKUlT_SG_SH_SI_E_clIS7_S7_PlSB_EESF_SV_SG_SH_SI_EUlSV_E_NS1_11comp_targetILNS1_3genE0ELNS1_11target_archE4294967295ELNS1_3gpuE0ELNS1_3repE0EEENS1_48merge_mergepath_partition_config_static_selectorELNS0_4arch9wavefront6targetE1EEEvSH_.has_indirect_call, 0
	.section	.AMDGPU.csdata,"",@progbits
; Kernel info:
; codeLenInByte = 0
; TotalNumSgprs: 4
; NumVgprs: 0
; ScratchSize: 0
; MemoryBound: 0
; FloatMode: 240
; IeeeMode: 1
; LDSByteSize: 0 bytes/workgroup (compile time only)
; SGPRBlocks: 0
; VGPRBlocks: 0
; NumSGPRsForWavesPerEU: 4
; NumVGPRsForWavesPerEU: 1
; Occupancy: 10
; WaveLimiterHint : 0
; COMPUTE_PGM_RSRC2:SCRATCH_EN: 0
; COMPUTE_PGM_RSRC2:USER_SGPR: 6
; COMPUTE_PGM_RSRC2:TRAP_HANDLER: 0
; COMPUTE_PGM_RSRC2:TGID_X_EN: 1
; COMPUTE_PGM_RSRC2:TGID_Y_EN: 0
; COMPUTE_PGM_RSRC2:TGID_Z_EN: 0
; COMPUTE_PGM_RSRC2:TIDIG_COMP_CNT: 0
	.section	.text._ZN7rocprim17ROCPRIM_400000_NS6detail17trampoline_kernelINS0_14default_configENS1_38merge_sort_block_merge_config_selectorIslEEZZNS1_27merge_sort_block_merge_implIS3_PsN6thrust23THRUST_200600_302600_NS10device_ptrIlEEjNS1_19radix_merge_compareILb0ELb1EsNS0_19identity_decomposerEEEEE10hipError_tT0_T1_T2_jT3_P12ihipStream_tbPNSt15iterator_traitsISG_E10value_typeEPNSM_ISH_E10value_typeEPSI_NS1_7vsmem_tEENKUlT_SG_SH_SI_E_clIS7_S7_PlSB_EESF_SV_SG_SH_SI_EUlSV_E_NS1_11comp_targetILNS1_3genE10ELNS1_11target_archE1201ELNS1_3gpuE5ELNS1_3repE0EEENS1_48merge_mergepath_partition_config_static_selectorELNS0_4arch9wavefront6targetE1EEEvSH_,"axG",@progbits,_ZN7rocprim17ROCPRIM_400000_NS6detail17trampoline_kernelINS0_14default_configENS1_38merge_sort_block_merge_config_selectorIslEEZZNS1_27merge_sort_block_merge_implIS3_PsN6thrust23THRUST_200600_302600_NS10device_ptrIlEEjNS1_19radix_merge_compareILb0ELb1EsNS0_19identity_decomposerEEEEE10hipError_tT0_T1_T2_jT3_P12ihipStream_tbPNSt15iterator_traitsISG_E10value_typeEPNSM_ISH_E10value_typeEPSI_NS1_7vsmem_tEENKUlT_SG_SH_SI_E_clIS7_S7_PlSB_EESF_SV_SG_SH_SI_EUlSV_E_NS1_11comp_targetILNS1_3genE10ELNS1_11target_archE1201ELNS1_3gpuE5ELNS1_3repE0EEENS1_48merge_mergepath_partition_config_static_selectorELNS0_4arch9wavefront6targetE1EEEvSH_,comdat
	.protected	_ZN7rocprim17ROCPRIM_400000_NS6detail17trampoline_kernelINS0_14default_configENS1_38merge_sort_block_merge_config_selectorIslEEZZNS1_27merge_sort_block_merge_implIS3_PsN6thrust23THRUST_200600_302600_NS10device_ptrIlEEjNS1_19radix_merge_compareILb0ELb1EsNS0_19identity_decomposerEEEEE10hipError_tT0_T1_T2_jT3_P12ihipStream_tbPNSt15iterator_traitsISG_E10value_typeEPNSM_ISH_E10value_typeEPSI_NS1_7vsmem_tEENKUlT_SG_SH_SI_E_clIS7_S7_PlSB_EESF_SV_SG_SH_SI_EUlSV_E_NS1_11comp_targetILNS1_3genE10ELNS1_11target_archE1201ELNS1_3gpuE5ELNS1_3repE0EEENS1_48merge_mergepath_partition_config_static_selectorELNS0_4arch9wavefront6targetE1EEEvSH_ ; -- Begin function _ZN7rocprim17ROCPRIM_400000_NS6detail17trampoline_kernelINS0_14default_configENS1_38merge_sort_block_merge_config_selectorIslEEZZNS1_27merge_sort_block_merge_implIS3_PsN6thrust23THRUST_200600_302600_NS10device_ptrIlEEjNS1_19radix_merge_compareILb0ELb1EsNS0_19identity_decomposerEEEEE10hipError_tT0_T1_T2_jT3_P12ihipStream_tbPNSt15iterator_traitsISG_E10value_typeEPNSM_ISH_E10value_typeEPSI_NS1_7vsmem_tEENKUlT_SG_SH_SI_E_clIS7_S7_PlSB_EESF_SV_SG_SH_SI_EUlSV_E_NS1_11comp_targetILNS1_3genE10ELNS1_11target_archE1201ELNS1_3gpuE5ELNS1_3repE0EEENS1_48merge_mergepath_partition_config_static_selectorELNS0_4arch9wavefront6targetE1EEEvSH_
	.globl	_ZN7rocprim17ROCPRIM_400000_NS6detail17trampoline_kernelINS0_14default_configENS1_38merge_sort_block_merge_config_selectorIslEEZZNS1_27merge_sort_block_merge_implIS3_PsN6thrust23THRUST_200600_302600_NS10device_ptrIlEEjNS1_19radix_merge_compareILb0ELb1EsNS0_19identity_decomposerEEEEE10hipError_tT0_T1_T2_jT3_P12ihipStream_tbPNSt15iterator_traitsISG_E10value_typeEPNSM_ISH_E10value_typeEPSI_NS1_7vsmem_tEENKUlT_SG_SH_SI_E_clIS7_S7_PlSB_EESF_SV_SG_SH_SI_EUlSV_E_NS1_11comp_targetILNS1_3genE10ELNS1_11target_archE1201ELNS1_3gpuE5ELNS1_3repE0EEENS1_48merge_mergepath_partition_config_static_selectorELNS0_4arch9wavefront6targetE1EEEvSH_
	.p2align	8
	.type	_ZN7rocprim17ROCPRIM_400000_NS6detail17trampoline_kernelINS0_14default_configENS1_38merge_sort_block_merge_config_selectorIslEEZZNS1_27merge_sort_block_merge_implIS3_PsN6thrust23THRUST_200600_302600_NS10device_ptrIlEEjNS1_19radix_merge_compareILb0ELb1EsNS0_19identity_decomposerEEEEE10hipError_tT0_T1_T2_jT3_P12ihipStream_tbPNSt15iterator_traitsISG_E10value_typeEPNSM_ISH_E10value_typeEPSI_NS1_7vsmem_tEENKUlT_SG_SH_SI_E_clIS7_S7_PlSB_EESF_SV_SG_SH_SI_EUlSV_E_NS1_11comp_targetILNS1_3genE10ELNS1_11target_archE1201ELNS1_3gpuE5ELNS1_3repE0EEENS1_48merge_mergepath_partition_config_static_selectorELNS0_4arch9wavefront6targetE1EEEvSH_,@function
_ZN7rocprim17ROCPRIM_400000_NS6detail17trampoline_kernelINS0_14default_configENS1_38merge_sort_block_merge_config_selectorIslEEZZNS1_27merge_sort_block_merge_implIS3_PsN6thrust23THRUST_200600_302600_NS10device_ptrIlEEjNS1_19radix_merge_compareILb0ELb1EsNS0_19identity_decomposerEEEEE10hipError_tT0_T1_T2_jT3_P12ihipStream_tbPNSt15iterator_traitsISG_E10value_typeEPNSM_ISH_E10value_typeEPSI_NS1_7vsmem_tEENKUlT_SG_SH_SI_E_clIS7_S7_PlSB_EESF_SV_SG_SH_SI_EUlSV_E_NS1_11comp_targetILNS1_3genE10ELNS1_11target_archE1201ELNS1_3gpuE5ELNS1_3repE0EEENS1_48merge_mergepath_partition_config_static_selectorELNS0_4arch9wavefront6targetE1EEEvSH_: ; @_ZN7rocprim17ROCPRIM_400000_NS6detail17trampoline_kernelINS0_14default_configENS1_38merge_sort_block_merge_config_selectorIslEEZZNS1_27merge_sort_block_merge_implIS3_PsN6thrust23THRUST_200600_302600_NS10device_ptrIlEEjNS1_19radix_merge_compareILb0ELb1EsNS0_19identity_decomposerEEEEE10hipError_tT0_T1_T2_jT3_P12ihipStream_tbPNSt15iterator_traitsISG_E10value_typeEPNSM_ISH_E10value_typeEPSI_NS1_7vsmem_tEENKUlT_SG_SH_SI_E_clIS7_S7_PlSB_EESF_SV_SG_SH_SI_EUlSV_E_NS1_11comp_targetILNS1_3genE10ELNS1_11target_archE1201ELNS1_3gpuE5ELNS1_3repE0EEENS1_48merge_mergepath_partition_config_static_selectorELNS0_4arch9wavefront6targetE1EEEvSH_
; %bb.0:
	.section	.rodata,"a",@progbits
	.p2align	6, 0x0
	.amdhsa_kernel _ZN7rocprim17ROCPRIM_400000_NS6detail17trampoline_kernelINS0_14default_configENS1_38merge_sort_block_merge_config_selectorIslEEZZNS1_27merge_sort_block_merge_implIS3_PsN6thrust23THRUST_200600_302600_NS10device_ptrIlEEjNS1_19radix_merge_compareILb0ELb1EsNS0_19identity_decomposerEEEEE10hipError_tT0_T1_T2_jT3_P12ihipStream_tbPNSt15iterator_traitsISG_E10value_typeEPNSM_ISH_E10value_typeEPSI_NS1_7vsmem_tEENKUlT_SG_SH_SI_E_clIS7_S7_PlSB_EESF_SV_SG_SH_SI_EUlSV_E_NS1_11comp_targetILNS1_3genE10ELNS1_11target_archE1201ELNS1_3gpuE5ELNS1_3repE0EEENS1_48merge_mergepath_partition_config_static_selectorELNS0_4arch9wavefront6targetE1EEEvSH_
		.amdhsa_group_segment_fixed_size 0
		.amdhsa_private_segment_fixed_size 0
		.amdhsa_kernarg_size 40
		.amdhsa_user_sgpr_count 6
		.amdhsa_user_sgpr_private_segment_buffer 1
		.amdhsa_user_sgpr_dispatch_ptr 0
		.amdhsa_user_sgpr_queue_ptr 0
		.amdhsa_user_sgpr_kernarg_segment_ptr 1
		.amdhsa_user_sgpr_dispatch_id 0
		.amdhsa_user_sgpr_flat_scratch_init 0
		.amdhsa_user_sgpr_private_segment_size 0
		.amdhsa_uses_dynamic_stack 0
		.amdhsa_system_sgpr_private_segment_wavefront_offset 0
		.amdhsa_system_sgpr_workgroup_id_x 1
		.amdhsa_system_sgpr_workgroup_id_y 0
		.amdhsa_system_sgpr_workgroup_id_z 0
		.amdhsa_system_sgpr_workgroup_info 0
		.amdhsa_system_vgpr_workitem_id 0
		.amdhsa_next_free_vgpr 1
		.amdhsa_next_free_sgpr 0
		.amdhsa_reserve_vcc 0
		.amdhsa_reserve_flat_scratch 0
		.amdhsa_float_round_mode_32 0
		.amdhsa_float_round_mode_16_64 0
		.amdhsa_float_denorm_mode_32 3
		.amdhsa_float_denorm_mode_16_64 3
		.amdhsa_dx10_clamp 1
		.amdhsa_ieee_mode 1
		.amdhsa_fp16_overflow 0
		.amdhsa_exception_fp_ieee_invalid_op 0
		.amdhsa_exception_fp_denorm_src 0
		.amdhsa_exception_fp_ieee_div_zero 0
		.amdhsa_exception_fp_ieee_overflow 0
		.amdhsa_exception_fp_ieee_underflow 0
		.amdhsa_exception_fp_ieee_inexact 0
		.amdhsa_exception_int_div_zero 0
	.end_amdhsa_kernel
	.section	.text._ZN7rocprim17ROCPRIM_400000_NS6detail17trampoline_kernelINS0_14default_configENS1_38merge_sort_block_merge_config_selectorIslEEZZNS1_27merge_sort_block_merge_implIS3_PsN6thrust23THRUST_200600_302600_NS10device_ptrIlEEjNS1_19radix_merge_compareILb0ELb1EsNS0_19identity_decomposerEEEEE10hipError_tT0_T1_T2_jT3_P12ihipStream_tbPNSt15iterator_traitsISG_E10value_typeEPNSM_ISH_E10value_typeEPSI_NS1_7vsmem_tEENKUlT_SG_SH_SI_E_clIS7_S7_PlSB_EESF_SV_SG_SH_SI_EUlSV_E_NS1_11comp_targetILNS1_3genE10ELNS1_11target_archE1201ELNS1_3gpuE5ELNS1_3repE0EEENS1_48merge_mergepath_partition_config_static_selectorELNS0_4arch9wavefront6targetE1EEEvSH_,"axG",@progbits,_ZN7rocprim17ROCPRIM_400000_NS6detail17trampoline_kernelINS0_14default_configENS1_38merge_sort_block_merge_config_selectorIslEEZZNS1_27merge_sort_block_merge_implIS3_PsN6thrust23THRUST_200600_302600_NS10device_ptrIlEEjNS1_19radix_merge_compareILb0ELb1EsNS0_19identity_decomposerEEEEE10hipError_tT0_T1_T2_jT3_P12ihipStream_tbPNSt15iterator_traitsISG_E10value_typeEPNSM_ISH_E10value_typeEPSI_NS1_7vsmem_tEENKUlT_SG_SH_SI_E_clIS7_S7_PlSB_EESF_SV_SG_SH_SI_EUlSV_E_NS1_11comp_targetILNS1_3genE10ELNS1_11target_archE1201ELNS1_3gpuE5ELNS1_3repE0EEENS1_48merge_mergepath_partition_config_static_selectorELNS0_4arch9wavefront6targetE1EEEvSH_,comdat
.Lfunc_end1333:
	.size	_ZN7rocprim17ROCPRIM_400000_NS6detail17trampoline_kernelINS0_14default_configENS1_38merge_sort_block_merge_config_selectorIslEEZZNS1_27merge_sort_block_merge_implIS3_PsN6thrust23THRUST_200600_302600_NS10device_ptrIlEEjNS1_19radix_merge_compareILb0ELb1EsNS0_19identity_decomposerEEEEE10hipError_tT0_T1_T2_jT3_P12ihipStream_tbPNSt15iterator_traitsISG_E10value_typeEPNSM_ISH_E10value_typeEPSI_NS1_7vsmem_tEENKUlT_SG_SH_SI_E_clIS7_S7_PlSB_EESF_SV_SG_SH_SI_EUlSV_E_NS1_11comp_targetILNS1_3genE10ELNS1_11target_archE1201ELNS1_3gpuE5ELNS1_3repE0EEENS1_48merge_mergepath_partition_config_static_selectorELNS0_4arch9wavefront6targetE1EEEvSH_, .Lfunc_end1333-_ZN7rocprim17ROCPRIM_400000_NS6detail17trampoline_kernelINS0_14default_configENS1_38merge_sort_block_merge_config_selectorIslEEZZNS1_27merge_sort_block_merge_implIS3_PsN6thrust23THRUST_200600_302600_NS10device_ptrIlEEjNS1_19radix_merge_compareILb0ELb1EsNS0_19identity_decomposerEEEEE10hipError_tT0_T1_T2_jT3_P12ihipStream_tbPNSt15iterator_traitsISG_E10value_typeEPNSM_ISH_E10value_typeEPSI_NS1_7vsmem_tEENKUlT_SG_SH_SI_E_clIS7_S7_PlSB_EESF_SV_SG_SH_SI_EUlSV_E_NS1_11comp_targetILNS1_3genE10ELNS1_11target_archE1201ELNS1_3gpuE5ELNS1_3repE0EEENS1_48merge_mergepath_partition_config_static_selectorELNS0_4arch9wavefront6targetE1EEEvSH_
                                        ; -- End function
	.set _ZN7rocprim17ROCPRIM_400000_NS6detail17trampoline_kernelINS0_14default_configENS1_38merge_sort_block_merge_config_selectorIslEEZZNS1_27merge_sort_block_merge_implIS3_PsN6thrust23THRUST_200600_302600_NS10device_ptrIlEEjNS1_19radix_merge_compareILb0ELb1EsNS0_19identity_decomposerEEEEE10hipError_tT0_T1_T2_jT3_P12ihipStream_tbPNSt15iterator_traitsISG_E10value_typeEPNSM_ISH_E10value_typeEPSI_NS1_7vsmem_tEENKUlT_SG_SH_SI_E_clIS7_S7_PlSB_EESF_SV_SG_SH_SI_EUlSV_E_NS1_11comp_targetILNS1_3genE10ELNS1_11target_archE1201ELNS1_3gpuE5ELNS1_3repE0EEENS1_48merge_mergepath_partition_config_static_selectorELNS0_4arch9wavefront6targetE1EEEvSH_.num_vgpr, 0
	.set _ZN7rocprim17ROCPRIM_400000_NS6detail17trampoline_kernelINS0_14default_configENS1_38merge_sort_block_merge_config_selectorIslEEZZNS1_27merge_sort_block_merge_implIS3_PsN6thrust23THRUST_200600_302600_NS10device_ptrIlEEjNS1_19radix_merge_compareILb0ELb1EsNS0_19identity_decomposerEEEEE10hipError_tT0_T1_T2_jT3_P12ihipStream_tbPNSt15iterator_traitsISG_E10value_typeEPNSM_ISH_E10value_typeEPSI_NS1_7vsmem_tEENKUlT_SG_SH_SI_E_clIS7_S7_PlSB_EESF_SV_SG_SH_SI_EUlSV_E_NS1_11comp_targetILNS1_3genE10ELNS1_11target_archE1201ELNS1_3gpuE5ELNS1_3repE0EEENS1_48merge_mergepath_partition_config_static_selectorELNS0_4arch9wavefront6targetE1EEEvSH_.num_agpr, 0
	.set _ZN7rocprim17ROCPRIM_400000_NS6detail17trampoline_kernelINS0_14default_configENS1_38merge_sort_block_merge_config_selectorIslEEZZNS1_27merge_sort_block_merge_implIS3_PsN6thrust23THRUST_200600_302600_NS10device_ptrIlEEjNS1_19radix_merge_compareILb0ELb1EsNS0_19identity_decomposerEEEEE10hipError_tT0_T1_T2_jT3_P12ihipStream_tbPNSt15iterator_traitsISG_E10value_typeEPNSM_ISH_E10value_typeEPSI_NS1_7vsmem_tEENKUlT_SG_SH_SI_E_clIS7_S7_PlSB_EESF_SV_SG_SH_SI_EUlSV_E_NS1_11comp_targetILNS1_3genE10ELNS1_11target_archE1201ELNS1_3gpuE5ELNS1_3repE0EEENS1_48merge_mergepath_partition_config_static_selectorELNS0_4arch9wavefront6targetE1EEEvSH_.numbered_sgpr, 0
	.set _ZN7rocprim17ROCPRIM_400000_NS6detail17trampoline_kernelINS0_14default_configENS1_38merge_sort_block_merge_config_selectorIslEEZZNS1_27merge_sort_block_merge_implIS3_PsN6thrust23THRUST_200600_302600_NS10device_ptrIlEEjNS1_19radix_merge_compareILb0ELb1EsNS0_19identity_decomposerEEEEE10hipError_tT0_T1_T2_jT3_P12ihipStream_tbPNSt15iterator_traitsISG_E10value_typeEPNSM_ISH_E10value_typeEPSI_NS1_7vsmem_tEENKUlT_SG_SH_SI_E_clIS7_S7_PlSB_EESF_SV_SG_SH_SI_EUlSV_E_NS1_11comp_targetILNS1_3genE10ELNS1_11target_archE1201ELNS1_3gpuE5ELNS1_3repE0EEENS1_48merge_mergepath_partition_config_static_selectorELNS0_4arch9wavefront6targetE1EEEvSH_.num_named_barrier, 0
	.set _ZN7rocprim17ROCPRIM_400000_NS6detail17trampoline_kernelINS0_14default_configENS1_38merge_sort_block_merge_config_selectorIslEEZZNS1_27merge_sort_block_merge_implIS3_PsN6thrust23THRUST_200600_302600_NS10device_ptrIlEEjNS1_19radix_merge_compareILb0ELb1EsNS0_19identity_decomposerEEEEE10hipError_tT0_T1_T2_jT3_P12ihipStream_tbPNSt15iterator_traitsISG_E10value_typeEPNSM_ISH_E10value_typeEPSI_NS1_7vsmem_tEENKUlT_SG_SH_SI_E_clIS7_S7_PlSB_EESF_SV_SG_SH_SI_EUlSV_E_NS1_11comp_targetILNS1_3genE10ELNS1_11target_archE1201ELNS1_3gpuE5ELNS1_3repE0EEENS1_48merge_mergepath_partition_config_static_selectorELNS0_4arch9wavefront6targetE1EEEvSH_.private_seg_size, 0
	.set _ZN7rocprim17ROCPRIM_400000_NS6detail17trampoline_kernelINS0_14default_configENS1_38merge_sort_block_merge_config_selectorIslEEZZNS1_27merge_sort_block_merge_implIS3_PsN6thrust23THRUST_200600_302600_NS10device_ptrIlEEjNS1_19radix_merge_compareILb0ELb1EsNS0_19identity_decomposerEEEEE10hipError_tT0_T1_T2_jT3_P12ihipStream_tbPNSt15iterator_traitsISG_E10value_typeEPNSM_ISH_E10value_typeEPSI_NS1_7vsmem_tEENKUlT_SG_SH_SI_E_clIS7_S7_PlSB_EESF_SV_SG_SH_SI_EUlSV_E_NS1_11comp_targetILNS1_3genE10ELNS1_11target_archE1201ELNS1_3gpuE5ELNS1_3repE0EEENS1_48merge_mergepath_partition_config_static_selectorELNS0_4arch9wavefront6targetE1EEEvSH_.uses_vcc, 0
	.set _ZN7rocprim17ROCPRIM_400000_NS6detail17trampoline_kernelINS0_14default_configENS1_38merge_sort_block_merge_config_selectorIslEEZZNS1_27merge_sort_block_merge_implIS3_PsN6thrust23THRUST_200600_302600_NS10device_ptrIlEEjNS1_19radix_merge_compareILb0ELb1EsNS0_19identity_decomposerEEEEE10hipError_tT0_T1_T2_jT3_P12ihipStream_tbPNSt15iterator_traitsISG_E10value_typeEPNSM_ISH_E10value_typeEPSI_NS1_7vsmem_tEENKUlT_SG_SH_SI_E_clIS7_S7_PlSB_EESF_SV_SG_SH_SI_EUlSV_E_NS1_11comp_targetILNS1_3genE10ELNS1_11target_archE1201ELNS1_3gpuE5ELNS1_3repE0EEENS1_48merge_mergepath_partition_config_static_selectorELNS0_4arch9wavefront6targetE1EEEvSH_.uses_flat_scratch, 0
	.set _ZN7rocprim17ROCPRIM_400000_NS6detail17trampoline_kernelINS0_14default_configENS1_38merge_sort_block_merge_config_selectorIslEEZZNS1_27merge_sort_block_merge_implIS3_PsN6thrust23THRUST_200600_302600_NS10device_ptrIlEEjNS1_19radix_merge_compareILb0ELb1EsNS0_19identity_decomposerEEEEE10hipError_tT0_T1_T2_jT3_P12ihipStream_tbPNSt15iterator_traitsISG_E10value_typeEPNSM_ISH_E10value_typeEPSI_NS1_7vsmem_tEENKUlT_SG_SH_SI_E_clIS7_S7_PlSB_EESF_SV_SG_SH_SI_EUlSV_E_NS1_11comp_targetILNS1_3genE10ELNS1_11target_archE1201ELNS1_3gpuE5ELNS1_3repE0EEENS1_48merge_mergepath_partition_config_static_selectorELNS0_4arch9wavefront6targetE1EEEvSH_.has_dyn_sized_stack, 0
	.set _ZN7rocprim17ROCPRIM_400000_NS6detail17trampoline_kernelINS0_14default_configENS1_38merge_sort_block_merge_config_selectorIslEEZZNS1_27merge_sort_block_merge_implIS3_PsN6thrust23THRUST_200600_302600_NS10device_ptrIlEEjNS1_19radix_merge_compareILb0ELb1EsNS0_19identity_decomposerEEEEE10hipError_tT0_T1_T2_jT3_P12ihipStream_tbPNSt15iterator_traitsISG_E10value_typeEPNSM_ISH_E10value_typeEPSI_NS1_7vsmem_tEENKUlT_SG_SH_SI_E_clIS7_S7_PlSB_EESF_SV_SG_SH_SI_EUlSV_E_NS1_11comp_targetILNS1_3genE10ELNS1_11target_archE1201ELNS1_3gpuE5ELNS1_3repE0EEENS1_48merge_mergepath_partition_config_static_selectorELNS0_4arch9wavefront6targetE1EEEvSH_.has_recursion, 0
	.set _ZN7rocprim17ROCPRIM_400000_NS6detail17trampoline_kernelINS0_14default_configENS1_38merge_sort_block_merge_config_selectorIslEEZZNS1_27merge_sort_block_merge_implIS3_PsN6thrust23THRUST_200600_302600_NS10device_ptrIlEEjNS1_19radix_merge_compareILb0ELb1EsNS0_19identity_decomposerEEEEE10hipError_tT0_T1_T2_jT3_P12ihipStream_tbPNSt15iterator_traitsISG_E10value_typeEPNSM_ISH_E10value_typeEPSI_NS1_7vsmem_tEENKUlT_SG_SH_SI_E_clIS7_S7_PlSB_EESF_SV_SG_SH_SI_EUlSV_E_NS1_11comp_targetILNS1_3genE10ELNS1_11target_archE1201ELNS1_3gpuE5ELNS1_3repE0EEENS1_48merge_mergepath_partition_config_static_selectorELNS0_4arch9wavefront6targetE1EEEvSH_.has_indirect_call, 0
	.section	.AMDGPU.csdata,"",@progbits
; Kernel info:
; codeLenInByte = 0
; TotalNumSgprs: 4
; NumVgprs: 0
; ScratchSize: 0
; MemoryBound: 0
; FloatMode: 240
; IeeeMode: 1
; LDSByteSize: 0 bytes/workgroup (compile time only)
; SGPRBlocks: 0
; VGPRBlocks: 0
; NumSGPRsForWavesPerEU: 4
; NumVGPRsForWavesPerEU: 1
; Occupancy: 10
; WaveLimiterHint : 0
; COMPUTE_PGM_RSRC2:SCRATCH_EN: 0
; COMPUTE_PGM_RSRC2:USER_SGPR: 6
; COMPUTE_PGM_RSRC2:TRAP_HANDLER: 0
; COMPUTE_PGM_RSRC2:TGID_X_EN: 1
; COMPUTE_PGM_RSRC2:TGID_Y_EN: 0
; COMPUTE_PGM_RSRC2:TGID_Z_EN: 0
; COMPUTE_PGM_RSRC2:TIDIG_COMP_CNT: 0
	.section	.text._ZN7rocprim17ROCPRIM_400000_NS6detail17trampoline_kernelINS0_14default_configENS1_38merge_sort_block_merge_config_selectorIslEEZZNS1_27merge_sort_block_merge_implIS3_PsN6thrust23THRUST_200600_302600_NS10device_ptrIlEEjNS1_19radix_merge_compareILb0ELb1EsNS0_19identity_decomposerEEEEE10hipError_tT0_T1_T2_jT3_P12ihipStream_tbPNSt15iterator_traitsISG_E10value_typeEPNSM_ISH_E10value_typeEPSI_NS1_7vsmem_tEENKUlT_SG_SH_SI_E_clIS7_S7_PlSB_EESF_SV_SG_SH_SI_EUlSV_E_NS1_11comp_targetILNS1_3genE5ELNS1_11target_archE942ELNS1_3gpuE9ELNS1_3repE0EEENS1_48merge_mergepath_partition_config_static_selectorELNS0_4arch9wavefront6targetE1EEEvSH_,"axG",@progbits,_ZN7rocprim17ROCPRIM_400000_NS6detail17trampoline_kernelINS0_14default_configENS1_38merge_sort_block_merge_config_selectorIslEEZZNS1_27merge_sort_block_merge_implIS3_PsN6thrust23THRUST_200600_302600_NS10device_ptrIlEEjNS1_19radix_merge_compareILb0ELb1EsNS0_19identity_decomposerEEEEE10hipError_tT0_T1_T2_jT3_P12ihipStream_tbPNSt15iterator_traitsISG_E10value_typeEPNSM_ISH_E10value_typeEPSI_NS1_7vsmem_tEENKUlT_SG_SH_SI_E_clIS7_S7_PlSB_EESF_SV_SG_SH_SI_EUlSV_E_NS1_11comp_targetILNS1_3genE5ELNS1_11target_archE942ELNS1_3gpuE9ELNS1_3repE0EEENS1_48merge_mergepath_partition_config_static_selectorELNS0_4arch9wavefront6targetE1EEEvSH_,comdat
	.protected	_ZN7rocprim17ROCPRIM_400000_NS6detail17trampoline_kernelINS0_14default_configENS1_38merge_sort_block_merge_config_selectorIslEEZZNS1_27merge_sort_block_merge_implIS3_PsN6thrust23THRUST_200600_302600_NS10device_ptrIlEEjNS1_19radix_merge_compareILb0ELb1EsNS0_19identity_decomposerEEEEE10hipError_tT0_T1_T2_jT3_P12ihipStream_tbPNSt15iterator_traitsISG_E10value_typeEPNSM_ISH_E10value_typeEPSI_NS1_7vsmem_tEENKUlT_SG_SH_SI_E_clIS7_S7_PlSB_EESF_SV_SG_SH_SI_EUlSV_E_NS1_11comp_targetILNS1_3genE5ELNS1_11target_archE942ELNS1_3gpuE9ELNS1_3repE0EEENS1_48merge_mergepath_partition_config_static_selectorELNS0_4arch9wavefront6targetE1EEEvSH_ ; -- Begin function _ZN7rocprim17ROCPRIM_400000_NS6detail17trampoline_kernelINS0_14default_configENS1_38merge_sort_block_merge_config_selectorIslEEZZNS1_27merge_sort_block_merge_implIS3_PsN6thrust23THRUST_200600_302600_NS10device_ptrIlEEjNS1_19radix_merge_compareILb0ELb1EsNS0_19identity_decomposerEEEEE10hipError_tT0_T1_T2_jT3_P12ihipStream_tbPNSt15iterator_traitsISG_E10value_typeEPNSM_ISH_E10value_typeEPSI_NS1_7vsmem_tEENKUlT_SG_SH_SI_E_clIS7_S7_PlSB_EESF_SV_SG_SH_SI_EUlSV_E_NS1_11comp_targetILNS1_3genE5ELNS1_11target_archE942ELNS1_3gpuE9ELNS1_3repE0EEENS1_48merge_mergepath_partition_config_static_selectorELNS0_4arch9wavefront6targetE1EEEvSH_
	.globl	_ZN7rocprim17ROCPRIM_400000_NS6detail17trampoline_kernelINS0_14default_configENS1_38merge_sort_block_merge_config_selectorIslEEZZNS1_27merge_sort_block_merge_implIS3_PsN6thrust23THRUST_200600_302600_NS10device_ptrIlEEjNS1_19radix_merge_compareILb0ELb1EsNS0_19identity_decomposerEEEEE10hipError_tT0_T1_T2_jT3_P12ihipStream_tbPNSt15iterator_traitsISG_E10value_typeEPNSM_ISH_E10value_typeEPSI_NS1_7vsmem_tEENKUlT_SG_SH_SI_E_clIS7_S7_PlSB_EESF_SV_SG_SH_SI_EUlSV_E_NS1_11comp_targetILNS1_3genE5ELNS1_11target_archE942ELNS1_3gpuE9ELNS1_3repE0EEENS1_48merge_mergepath_partition_config_static_selectorELNS0_4arch9wavefront6targetE1EEEvSH_
	.p2align	8
	.type	_ZN7rocprim17ROCPRIM_400000_NS6detail17trampoline_kernelINS0_14default_configENS1_38merge_sort_block_merge_config_selectorIslEEZZNS1_27merge_sort_block_merge_implIS3_PsN6thrust23THRUST_200600_302600_NS10device_ptrIlEEjNS1_19radix_merge_compareILb0ELb1EsNS0_19identity_decomposerEEEEE10hipError_tT0_T1_T2_jT3_P12ihipStream_tbPNSt15iterator_traitsISG_E10value_typeEPNSM_ISH_E10value_typeEPSI_NS1_7vsmem_tEENKUlT_SG_SH_SI_E_clIS7_S7_PlSB_EESF_SV_SG_SH_SI_EUlSV_E_NS1_11comp_targetILNS1_3genE5ELNS1_11target_archE942ELNS1_3gpuE9ELNS1_3repE0EEENS1_48merge_mergepath_partition_config_static_selectorELNS0_4arch9wavefront6targetE1EEEvSH_,@function
_ZN7rocprim17ROCPRIM_400000_NS6detail17trampoline_kernelINS0_14default_configENS1_38merge_sort_block_merge_config_selectorIslEEZZNS1_27merge_sort_block_merge_implIS3_PsN6thrust23THRUST_200600_302600_NS10device_ptrIlEEjNS1_19radix_merge_compareILb0ELb1EsNS0_19identity_decomposerEEEEE10hipError_tT0_T1_T2_jT3_P12ihipStream_tbPNSt15iterator_traitsISG_E10value_typeEPNSM_ISH_E10value_typeEPSI_NS1_7vsmem_tEENKUlT_SG_SH_SI_E_clIS7_S7_PlSB_EESF_SV_SG_SH_SI_EUlSV_E_NS1_11comp_targetILNS1_3genE5ELNS1_11target_archE942ELNS1_3gpuE9ELNS1_3repE0EEENS1_48merge_mergepath_partition_config_static_selectorELNS0_4arch9wavefront6targetE1EEEvSH_: ; @_ZN7rocprim17ROCPRIM_400000_NS6detail17trampoline_kernelINS0_14default_configENS1_38merge_sort_block_merge_config_selectorIslEEZZNS1_27merge_sort_block_merge_implIS3_PsN6thrust23THRUST_200600_302600_NS10device_ptrIlEEjNS1_19radix_merge_compareILb0ELb1EsNS0_19identity_decomposerEEEEE10hipError_tT0_T1_T2_jT3_P12ihipStream_tbPNSt15iterator_traitsISG_E10value_typeEPNSM_ISH_E10value_typeEPSI_NS1_7vsmem_tEENKUlT_SG_SH_SI_E_clIS7_S7_PlSB_EESF_SV_SG_SH_SI_EUlSV_E_NS1_11comp_targetILNS1_3genE5ELNS1_11target_archE942ELNS1_3gpuE9ELNS1_3repE0EEENS1_48merge_mergepath_partition_config_static_selectorELNS0_4arch9wavefront6targetE1EEEvSH_
; %bb.0:
	.section	.rodata,"a",@progbits
	.p2align	6, 0x0
	.amdhsa_kernel _ZN7rocprim17ROCPRIM_400000_NS6detail17trampoline_kernelINS0_14default_configENS1_38merge_sort_block_merge_config_selectorIslEEZZNS1_27merge_sort_block_merge_implIS3_PsN6thrust23THRUST_200600_302600_NS10device_ptrIlEEjNS1_19radix_merge_compareILb0ELb1EsNS0_19identity_decomposerEEEEE10hipError_tT0_T1_T2_jT3_P12ihipStream_tbPNSt15iterator_traitsISG_E10value_typeEPNSM_ISH_E10value_typeEPSI_NS1_7vsmem_tEENKUlT_SG_SH_SI_E_clIS7_S7_PlSB_EESF_SV_SG_SH_SI_EUlSV_E_NS1_11comp_targetILNS1_3genE5ELNS1_11target_archE942ELNS1_3gpuE9ELNS1_3repE0EEENS1_48merge_mergepath_partition_config_static_selectorELNS0_4arch9wavefront6targetE1EEEvSH_
		.amdhsa_group_segment_fixed_size 0
		.amdhsa_private_segment_fixed_size 0
		.amdhsa_kernarg_size 40
		.amdhsa_user_sgpr_count 6
		.amdhsa_user_sgpr_private_segment_buffer 1
		.amdhsa_user_sgpr_dispatch_ptr 0
		.amdhsa_user_sgpr_queue_ptr 0
		.amdhsa_user_sgpr_kernarg_segment_ptr 1
		.amdhsa_user_sgpr_dispatch_id 0
		.amdhsa_user_sgpr_flat_scratch_init 0
		.amdhsa_user_sgpr_private_segment_size 0
		.amdhsa_uses_dynamic_stack 0
		.amdhsa_system_sgpr_private_segment_wavefront_offset 0
		.amdhsa_system_sgpr_workgroup_id_x 1
		.amdhsa_system_sgpr_workgroup_id_y 0
		.amdhsa_system_sgpr_workgroup_id_z 0
		.amdhsa_system_sgpr_workgroup_info 0
		.amdhsa_system_vgpr_workitem_id 0
		.amdhsa_next_free_vgpr 1
		.amdhsa_next_free_sgpr 0
		.amdhsa_reserve_vcc 0
		.amdhsa_reserve_flat_scratch 0
		.amdhsa_float_round_mode_32 0
		.amdhsa_float_round_mode_16_64 0
		.amdhsa_float_denorm_mode_32 3
		.amdhsa_float_denorm_mode_16_64 3
		.amdhsa_dx10_clamp 1
		.amdhsa_ieee_mode 1
		.amdhsa_fp16_overflow 0
		.amdhsa_exception_fp_ieee_invalid_op 0
		.amdhsa_exception_fp_denorm_src 0
		.amdhsa_exception_fp_ieee_div_zero 0
		.amdhsa_exception_fp_ieee_overflow 0
		.amdhsa_exception_fp_ieee_underflow 0
		.amdhsa_exception_fp_ieee_inexact 0
		.amdhsa_exception_int_div_zero 0
	.end_amdhsa_kernel
	.section	.text._ZN7rocprim17ROCPRIM_400000_NS6detail17trampoline_kernelINS0_14default_configENS1_38merge_sort_block_merge_config_selectorIslEEZZNS1_27merge_sort_block_merge_implIS3_PsN6thrust23THRUST_200600_302600_NS10device_ptrIlEEjNS1_19radix_merge_compareILb0ELb1EsNS0_19identity_decomposerEEEEE10hipError_tT0_T1_T2_jT3_P12ihipStream_tbPNSt15iterator_traitsISG_E10value_typeEPNSM_ISH_E10value_typeEPSI_NS1_7vsmem_tEENKUlT_SG_SH_SI_E_clIS7_S7_PlSB_EESF_SV_SG_SH_SI_EUlSV_E_NS1_11comp_targetILNS1_3genE5ELNS1_11target_archE942ELNS1_3gpuE9ELNS1_3repE0EEENS1_48merge_mergepath_partition_config_static_selectorELNS0_4arch9wavefront6targetE1EEEvSH_,"axG",@progbits,_ZN7rocprim17ROCPRIM_400000_NS6detail17trampoline_kernelINS0_14default_configENS1_38merge_sort_block_merge_config_selectorIslEEZZNS1_27merge_sort_block_merge_implIS3_PsN6thrust23THRUST_200600_302600_NS10device_ptrIlEEjNS1_19radix_merge_compareILb0ELb1EsNS0_19identity_decomposerEEEEE10hipError_tT0_T1_T2_jT3_P12ihipStream_tbPNSt15iterator_traitsISG_E10value_typeEPNSM_ISH_E10value_typeEPSI_NS1_7vsmem_tEENKUlT_SG_SH_SI_E_clIS7_S7_PlSB_EESF_SV_SG_SH_SI_EUlSV_E_NS1_11comp_targetILNS1_3genE5ELNS1_11target_archE942ELNS1_3gpuE9ELNS1_3repE0EEENS1_48merge_mergepath_partition_config_static_selectorELNS0_4arch9wavefront6targetE1EEEvSH_,comdat
.Lfunc_end1334:
	.size	_ZN7rocprim17ROCPRIM_400000_NS6detail17trampoline_kernelINS0_14default_configENS1_38merge_sort_block_merge_config_selectorIslEEZZNS1_27merge_sort_block_merge_implIS3_PsN6thrust23THRUST_200600_302600_NS10device_ptrIlEEjNS1_19radix_merge_compareILb0ELb1EsNS0_19identity_decomposerEEEEE10hipError_tT0_T1_T2_jT3_P12ihipStream_tbPNSt15iterator_traitsISG_E10value_typeEPNSM_ISH_E10value_typeEPSI_NS1_7vsmem_tEENKUlT_SG_SH_SI_E_clIS7_S7_PlSB_EESF_SV_SG_SH_SI_EUlSV_E_NS1_11comp_targetILNS1_3genE5ELNS1_11target_archE942ELNS1_3gpuE9ELNS1_3repE0EEENS1_48merge_mergepath_partition_config_static_selectorELNS0_4arch9wavefront6targetE1EEEvSH_, .Lfunc_end1334-_ZN7rocprim17ROCPRIM_400000_NS6detail17trampoline_kernelINS0_14default_configENS1_38merge_sort_block_merge_config_selectorIslEEZZNS1_27merge_sort_block_merge_implIS3_PsN6thrust23THRUST_200600_302600_NS10device_ptrIlEEjNS1_19radix_merge_compareILb0ELb1EsNS0_19identity_decomposerEEEEE10hipError_tT0_T1_T2_jT3_P12ihipStream_tbPNSt15iterator_traitsISG_E10value_typeEPNSM_ISH_E10value_typeEPSI_NS1_7vsmem_tEENKUlT_SG_SH_SI_E_clIS7_S7_PlSB_EESF_SV_SG_SH_SI_EUlSV_E_NS1_11comp_targetILNS1_3genE5ELNS1_11target_archE942ELNS1_3gpuE9ELNS1_3repE0EEENS1_48merge_mergepath_partition_config_static_selectorELNS0_4arch9wavefront6targetE1EEEvSH_
                                        ; -- End function
	.set _ZN7rocprim17ROCPRIM_400000_NS6detail17trampoline_kernelINS0_14default_configENS1_38merge_sort_block_merge_config_selectorIslEEZZNS1_27merge_sort_block_merge_implIS3_PsN6thrust23THRUST_200600_302600_NS10device_ptrIlEEjNS1_19radix_merge_compareILb0ELb1EsNS0_19identity_decomposerEEEEE10hipError_tT0_T1_T2_jT3_P12ihipStream_tbPNSt15iterator_traitsISG_E10value_typeEPNSM_ISH_E10value_typeEPSI_NS1_7vsmem_tEENKUlT_SG_SH_SI_E_clIS7_S7_PlSB_EESF_SV_SG_SH_SI_EUlSV_E_NS1_11comp_targetILNS1_3genE5ELNS1_11target_archE942ELNS1_3gpuE9ELNS1_3repE0EEENS1_48merge_mergepath_partition_config_static_selectorELNS0_4arch9wavefront6targetE1EEEvSH_.num_vgpr, 0
	.set _ZN7rocprim17ROCPRIM_400000_NS6detail17trampoline_kernelINS0_14default_configENS1_38merge_sort_block_merge_config_selectorIslEEZZNS1_27merge_sort_block_merge_implIS3_PsN6thrust23THRUST_200600_302600_NS10device_ptrIlEEjNS1_19radix_merge_compareILb0ELb1EsNS0_19identity_decomposerEEEEE10hipError_tT0_T1_T2_jT3_P12ihipStream_tbPNSt15iterator_traitsISG_E10value_typeEPNSM_ISH_E10value_typeEPSI_NS1_7vsmem_tEENKUlT_SG_SH_SI_E_clIS7_S7_PlSB_EESF_SV_SG_SH_SI_EUlSV_E_NS1_11comp_targetILNS1_3genE5ELNS1_11target_archE942ELNS1_3gpuE9ELNS1_3repE0EEENS1_48merge_mergepath_partition_config_static_selectorELNS0_4arch9wavefront6targetE1EEEvSH_.num_agpr, 0
	.set _ZN7rocprim17ROCPRIM_400000_NS6detail17trampoline_kernelINS0_14default_configENS1_38merge_sort_block_merge_config_selectorIslEEZZNS1_27merge_sort_block_merge_implIS3_PsN6thrust23THRUST_200600_302600_NS10device_ptrIlEEjNS1_19radix_merge_compareILb0ELb1EsNS0_19identity_decomposerEEEEE10hipError_tT0_T1_T2_jT3_P12ihipStream_tbPNSt15iterator_traitsISG_E10value_typeEPNSM_ISH_E10value_typeEPSI_NS1_7vsmem_tEENKUlT_SG_SH_SI_E_clIS7_S7_PlSB_EESF_SV_SG_SH_SI_EUlSV_E_NS1_11comp_targetILNS1_3genE5ELNS1_11target_archE942ELNS1_3gpuE9ELNS1_3repE0EEENS1_48merge_mergepath_partition_config_static_selectorELNS0_4arch9wavefront6targetE1EEEvSH_.numbered_sgpr, 0
	.set _ZN7rocprim17ROCPRIM_400000_NS6detail17trampoline_kernelINS0_14default_configENS1_38merge_sort_block_merge_config_selectorIslEEZZNS1_27merge_sort_block_merge_implIS3_PsN6thrust23THRUST_200600_302600_NS10device_ptrIlEEjNS1_19radix_merge_compareILb0ELb1EsNS0_19identity_decomposerEEEEE10hipError_tT0_T1_T2_jT3_P12ihipStream_tbPNSt15iterator_traitsISG_E10value_typeEPNSM_ISH_E10value_typeEPSI_NS1_7vsmem_tEENKUlT_SG_SH_SI_E_clIS7_S7_PlSB_EESF_SV_SG_SH_SI_EUlSV_E_NS1_11comp_targetILNS1_3genE5ELNS1_11target_archE942ELNS1_3gpuE9ELNS1_3repE0EEENS1_48merge_mergepath_partition_config_static_selectorELNS0_4arch9wavefront6targetE1EEEvSH_.num_named_barrier, 0
	.set _ZN7rocprim17ROCPRIM_400000_NS6detail17trampoline_kernelINS0_14default_configENS1_38merge_sort_block_merge_config_selectorIslEEZZNS1_27merge_sort_block_merge_implIS3_PsN6thrust23THRUST_200600_302600_NS10device_ptrIlEEjNS1_19radix_merge_compareILb0ELb1EsNS0_19identity_decomposerEEEEE10hipError_tT0_T1_T2_jT3_P12ihipStream_tbPNSt15iterator_traitsISG_E10value_typeEPNSM_ISH_E10value_typeEPSI_NS1_7vsmem_tEENKUlT_SG_SH_SI_E_clIS7_S7_PlSB_EESF_SV_SG_SH_SI_EUlSV_E_NS1_11comp_targetILNS1_3genE5ELNS1_11target_archE942ELNS1_3gpuE9ELNS1_3repE0EEENS1_48merge_mergepath_partition_config_static_selectorELNS0_4arch9wavefront6targetE1EEEvSH_.private_seg_size, 0
	.set _ZN7rocprim17ROCPRIM_400000_NS6detail17trampoline_kernelINS0_14default_configENS1_38merge_sort_block_merge_config_selectorIslEEZZNS1_27merge_sort_block_merge_implIS3_PsN6thrust23THRUST_200600_302600_NS10device_ptrIlEEjNS1_19radix_merge_compareILb0ELb1EsNS0_19identity_decomposerEEEEE10hipError_tT0_T1_T2_jT3_P12ihipStream_tbPNSt15iterator_traitsISG_E10value_typeEPNSM_ISH_E10value_typeEPSI_NS1_7vsmem_tEENKUlT_SG_SH_SI_E_clIS7_S7_PlSB_EESF_SV_SG_SH_SI_EUlSV_E_NS1_11comp_targetILNS1_3genE5ELNS1_11target_archE942ELNS1_3gpuE9ELNS1_3repE0EEENS1_48merge_mergepath_partition_config_static_selectorELNS0_4arch9wavefront6targetE1EEEvSH_.uses_vcc, 0
	.set _ZN7rocprim17ROCPRIM_400000_NS6detail17trampoline_kernelINS0_14default_configENS1_38merge_sort_block_merge_config_selectorIslEEZZNS1_27merge_sort_block_merge_implIS3_PsN6thrust23THRUST_200600_302600_NS10device_ptrIlEEjNS1_19radix_merge_compareILb0ELb1EsNS0_19identity_decomposerEEEEE10hipError_tT0_T1_T2_jT3_P12ihipStream_tbPNSt15iterator_traitsISG_E10value_typeEPNSM_ISH_E10value_typeEPSI_NS1_7vsmem_tEENKUlT_SG_SH_SI_E_clIS7_S7_PlSB_EESF_SV_SG_SH_SI_EUlSV_E_NS1_11comp_targetILNS1_3genE5ELNS1_11target_archE942ELNS1_3gpuE9ELNS1_3repE0EEENS1_48merge_mergepath_partition_config_static_selectorELNS0_4arch9wavefront6targetE1EEEvSH_.uses_flat_scratch, 0
	.set _ZN7rocprim17ROCPRIM_400000_NS6detail17trampoline_kernelINS0_14default_configENS1_38merge_sort_block_merge_config_selectorIslEEZZNS1_27merge_sort_block_merge_implIS3_PsN6thrust23THRUST_200600_302600_NS10device_ptrIlEEjNS1_19radix_merge_compareILb0ELb1EsNS0_19identity_decomposerEEEEE10hipError_tT0_T1_T2_jT3_P12ihipStream_tbPNSt15iterator_traitsISG_E10value_typeEPNSM_ISH_E10value_typeEPSI_NS1_7vsmem_tEENKUlT_SG_SH_SI_E_clIS7_S7_PlSB_EESF_SV_SG_SH_SI_EUlSV_E_NS1_11comp_targetILNS1_3genE5ELNS1_11target_archE942ELNS1_3gpuE9ELNS1_3repE0EEENS1_48merge_mergepath_partition_config_static_selectorELNS0_4arch9wavefront6targetE1EEEvSH_.has_dyn_sized_stack, 0
	.set _ZN7rocprim17ROCPRIM_400000_NS6detail17trampoline_kernelINS0_14default_configENS1_38merge_sort_block_merge_config_selectorIslEEZZNS1_27merge_sort_block_merge_implIS3_PsN6thrust23THRUST_200600_302600_NS10device_ptrIlEEjNS1_19radix_merge_compareILb0ELb1EsNS0_19identity_decomposerEEEEE10hipError_tT0_T1_T2_jT3_P12ihipStream_tbPNSt15iterator_traitsISG_E10value_typeEPNSM_ISH_E10value_typeEPSI_NS1_7vsmem_tEENKUlT_SG_SH_SI_E_clIS7_S7_PlSB_EESF_SV_SG_SH_SI_EUlSV_E_NS1_11comp_targetILNS1_3genE5ELNS1_11target_archE942ELNS1_3gpuE9ELNS1_3repE0EEENS1_48merge_mergepath_partition_config_static_selectorELNS0_4arch9wavefront6targetE1EEEvSH_.has_recursion, 0
	.set _ZN7rocprim17ROCPRIM_400000_NS6detail17trampoline_kernelINS0_14default_configENS1_38merge_sort_block_merge_config_selectorIslEEZZNS1_27merge_sort_block_merge_implIS3_PsN6thrust23THRUST_200600_302600_NS10device_ptrIlEEjNS1_19radix_merge_compareILb0ELb1EsNS0_19identity_decomposerEEEEE10hipError_tT0_T1_T2_jT3_P12ihipStream_tbPNSt15iterator_traitsISG_E10value_typeEPNSM_ISH_E10value_typeEPSI_NS1_7vsmem_tEENKUlT_SG_SH_SI_E_clIS7_S7_PlSB_EESF_SV_SG_SH_SI_EUlSV_E_NS1_11comp_targetILNS1_3genE5ELNS1_11target_archE942ELNS1_3gpuE9ELNS1_3repE0EEENS1_48merge_mergepath_partition_config_static_selectorELNS0_4arch9wavefront6targetE1EEEvSH_.has_indirect_call, 0
	.section	.AMDGPU.csdata,"",@progbits
; Kernel info:
; codeLenInByte = 0
; TotalNumSgprs: 4
; NumVgprs: 0
; ScratchSize: 0
; MemoryBound: 0
; FloatMode: 240
; IeeeMode: 1
; LDSByteSize: 0 bytes/workgroup (compile time only)
; SGPRBlocks: 0
; VGPRBlocks: 0
; NumSGPRsForWavesPerEU: 4
; NumVGPRsForWavesPerEU: 1
; Occupancy: 10
; WaveLimiterHint : 0
; COMPUTE_PGM_RSRC2:SCRATCH_EN: 0
; COMPUTE_PGM_RSRC2:USER_SGPR: 6
; COMPUTE_PGM_RSRC2:TRAP_HANDLER: 0
; COMPUTE_PGM_RSRC2:TGID_X_EN: 1
; COMPUTE_PGM_RSRC2:TGID_Y_EN: 0
; COMPUTE_PGM_RSRC2:TGID_Z_EN: 0
; COMPUTE_PGM_RSRC2:TIDIG_COMP_CNT: 0
	.section	.text._ZN7rocprim17ROCPRIM_400000_NS6detail17trampoline_kernelINS0_14default_configENS1_38merge_sort_block_merge_config_selectorIslEEZZNS1_27merge_sort_block_merge_implIS3_PsN6thrust23THRUST_200600_302600_NS10device_ptrIlEEjNS1_19radix_merge_compareILb0ELb1EsNS0_19identity_decomposerEEEEE10hipError_tT0_T1_T2_jT3_P12ihipStream_tbPNSt15iterator_traitsISG_E10value_typeEPNSM_ISH_E10value_typeEPSI_NS1_7vsmem_tEENKUlT_SG_SH_SI_E_clIS7_S7_PlSB_EESF_SV_SG_SH_SI_EUlSV_E_NS1_11comp_targetILNS1_3genE4ELNS1_11target_archE910ELNS1_3gpuE8ELNS1_3repE0EEENS1_48merge_mergepath_partition_config_static_selectorELNS0_4arch9wavefront6targetE1EEEvSH_,"axG",@progbits,_ZN7rocprim17ROCPRIM_400000_NS6detail17trampoline_kernelINS0_14default_configENS1_38merge_sort_block_merge_config_selectorIslEEZZNS1_27merge_sort_block_merge_implIS3_PsN6thrust23THRUST_200600_302600_NS10device_ptrIlEEjNS1_19radix_merge_compareILb0ELb1EsNS0_19identity_decomposerEEEEE10hipError_tT0_T1_T2_jT3_P12ihipStream_tbPNSt15iterator_traitsISG_E10value_typeEPNSM_ISH_E10value_typeEPSI_NS1_7vsmem_tEENKUlT_SG_SH_SI_E_clIS7_S7_PlSB_EESF_SV_SG_SH_SI_EUlSV_E_NS1_11comp_targetILNS1_3genE4ELNS1_11target_archE910ELNS1_3gpuE8ELNS1_3repE0EEENS1_48merge_mergepath_partition_config_static_selectorELNS0_4arch9wavefront6targetE1EEEvSH_,comdat
	.protected	_ZN7rocprim17ROCPRIM_400000_NS6detail17trampoline_kernelINS0_14default_configENS1_38merge_sort_block_merge_config_selectorIslEEZZNS1_27merge_sort_block_merge_implIS3_PsN6thrust23THRUST_200600_302600_NS10device_ptrIlEEjNS1_19radix_merge_compareILb0ELb1EsNS0_19identity_decomposerEEEEE10hipError_tT0_T1_T2_jT3_P12ihipStream_tbPNSt15iterator_traitsISG_E10value_typeEPNSM_ISH_E10value_typeEPSI_NS1_7vsmem_tEENKUlT_SG_SH_SI_E_clIS7_S7_PlSB_EESF_SV_SG_SH_SI_EUlSV_E_NS1_11comp_targetILNS1_3genE4ELNS1_11target_archE910ELNS1_3gpuE8ELNS1_3repE0EEENS1_48merge_mergepath_partition_config_static_selectorELNS0_4arch9wavefront6targetE1EEEvSH_ ; -- Begin function _ZN7rocprim17ROCPRIM_400000_NS6detail17trampoline_kernelINS0_14default_configENS1_38merge_sort_block_merge_config_selectorIslEEZZNS1_27merge_sort_block_merge_implIS3_PsN6thrust23THRUST_200600_302600_NS10device_ptrIlEEjNS1_19radix_merge_compareILb0ELb1EsNS0_19identity_decomposerEEEEE10hipError_tT0_T1_T2_jT3_P12ihipStream_tbPNSt15iterator_traitsISG_E10value_typeEPNSM_ISH_E10value_typeEPSI_NS1_7vsmem_tEENKUlT_SG_SH_SI_E_clIS7_S7_PlSB_EESF_SV_SG_SH_SI_EUlSV_E_NS1_11comp_targetILNS1_3genE4ELNS1_11target_archE910ELNS1_3gpuE8ELNS1_3repE0EEENS1_48merge_mergepath_partition_config_static_selectorELNS0_4arch9wavefront6targetE1EEEvSH_
	.globl	_ZN7rocprim17ROCPRIM_400000_NS6detail17trampoline_kernelINS0_14default_configENS1_38merge_sort_block_merge_config_selectorIslEEZZNS1_27merge_sort_block_merge_implIS3_PsN6thrust23THRUST_200600_302600_NS10device_ptrIlEEjNS1_19radix_merge_compareILb0ELb1EsNS0_19identity_decomposerEEEEE10hipError_tT0_T1_T2_jT3_P12ihipStream_tbPNSt15iterator_traitsISG_E10value_typeEPNSM_ISH_E10value_typeEPSI_NS1_7vsmem_tEENKUlT_SG_SH_SI_E_clIS7_S7_PlSB_EESF_SV_SG_SH_SI_EUlSV_E_NS1_11comp_targetILNS1_3genE4ELNS1_11target_archE910ELNS1_3gpuE8ELNS1_3repE0EEENS1_48merge_mergepath_partition_config_static_selectorELNS0_4arch9wavefront6targetE1EEEvSH_
	.p2align	8
	.type	_ZN7rocprim17ROCPRIM_400000_NS6detail17trampoline_kernelINS0_14default_configENS1_38merge_sort_block_merge_config_selectorIslEEZZNS1_27merge_sort_block_merge_implIS3_PsN6thrust23THRUST_200600_302600_NS10device_ptrIlEEjNS1_19radix_merge_compareILb0ELb1EsNS0_19identity_decomposerEEEEE10hipError_tT0_T1_T2_jT3_P12ihipStream_tbPNSt15iterator_traitsISG_E10value_typeEPNSM_ISH_E10value_typeEPSI_NS1_7vsmem_tEENKUlT_SG_SH_SI_E_clIS7_S7_PlSB_EESF_SV_SG_SH_SI_EUlSV_E_NS1_11comp_targetILNS1_3genE4ELNS1_11target_archE910ELNS1_3gpuE8ELNS1_3repE0EEENS1_48merge_mergepath_partition_config_static_selectorELNS0_4arch9wavefront6targetE1EEEvSH_,@function
_ZN7rocprim17ROCPRIM_400000_NS6detail17trampoline_kernelINS0_14default_configENS1_38merge_sort_block_merge_config_selectorIslEEZZNS1_27merge_sort_block_merge_implIS3_PsN6thrust23THRUST_200600_302600_NS10device_ptrIlEEjNS1_19radix_merge_compareILb0ELb1EsNS0_19identity_decomposerEEEEE10hipError_tT0_T1_T2_jT3_P12ihipStream_tbPNSt15iterator_traitsISG_E10value_typeEPNSM_ISH_E10value_typeEPSI_NS1_7vsmem_tEENKUlT_SG_SH_SI_E_clIS7_S7_PlSB_EESF_SV_SG_SH_SI_EUlSV_E_NS1_11comp_targetILNS1_3genE4ELNS1_11target_archE910ELNS1_3gpuE8ELNS1_3repE0EEENS1_48merge_mergepath_partition_config_static_selectorELNS0_4arch9wavefront6targetE1EEEvSH_: ; @_ZN7rocprim17ROCPRIM_400000_NS6detail17trampoline_kernelINS0_14default_configENS1_38merge_sort_block_merge_config_selectorIslEEZZNS1_27merge_sort_block_merge_implIS3_PsN6thrust23THRUST_200600_302600_NS10device_ptrIlEEjNS1_19radix_merge_compareILb0ELb1EsNS0_19identity_decomposerEEEEE10hipError_tT0_T1_T2_jT3_P12ihipStream_tbPNSt15iterator_traitsISG_E10value_typeEPNSM_ISH_E10value_typeEPSI_NS1_7vsmem_tEENKUlT_SG_SH_SI_E_clIS7_S7_PlSB_EESF_SV_SG_SH_SI_EUlSV_E_NS1_11comp_targetILNS1_3genE4ELNS1_11target_archE910ELNS1_3gpuE8ELNS1_3repE0EEENS1_48merge_mergepath_partition_config_static_selectorELNS0_4arch9wavefront6targetE1EEEvSH_
; %bb.0:
	.section	.rodata,"a",@progbits
	.p2align	6, 0x0
	.amdhsa_kernel _ZN7rocprim17ROCPRIM_400000_NS6detail17trampoline_kernelINS0_14default_configENS1_38merge_sort_block_merge_config_selectorIslEEZZNS1_27merge_sort_block_merge_implIS3_PsN6thrust23THRUST_200600_302600_NS10device_ptrIlEEjNS1_19radix_merge_compareILb0ELb1EsNS0_19identity_decomposerEEEEE10hipError_tT0_T1_T2_jT3_P12ihipStream_tbPNSt15iterator_traitsISG_E10value_typeEPNSM_ISH_E10value_typeEPSI_NS1_7vsmem_tEENKUlT_SG_SH_SI_E_clIS7_S7_PlSB_EESF_SV_SG_SH_SI_EUlSV_E_NS1_11comp_targetILNS1_3genE4ELNS1_11target_archE910ELNS1_3gpuE8ELNS1_3repE0EEENS1_48merge_mergepath_partition_config_static_selectorELNS0_4arch9wavefront6targetE1EEEvSH_
		.amdhsa_group_segment_fixed_size 0
		.amdhsa_private_segment_fixed_size 0
		.amdhsa_kernarg_size 40
		.amdhsa_user_sgpr_count 6
		.amdhsa_user_sgpr_private_segment_buffer 1
		.amdhsa_user_sgpr_dispatch_ptr 0
		.amdhsa_user_sgpr_queue_ptr 0
		.amdhsa_user_sgpr_kernarg_segment_ptr 1
		.amdhsa_user_sgpr_dispatch_id 0
		.amdhsa_user_sgpr_flat_scratch_init 0
		.amdhsa_user_sgpr_private_segment_size 0
		.amdhsa_uses_dynamic_stack 0
		.amdhsa_system_sgpr_private_segment_wavefront_offset 0
		.amdhsa_system_sgpr_workgroup_id_x 1
		.amdhsa_system_sgpr_workgroup_id_y 0
		.amdhsa_system_sgpr_workgroup_id_z 0
		.amdhsa_system_sgpr_workgroup_info 0
		.amdhsa_system_vgpr_workitem_id 0
		.amdhsa_next_free_vgpr 1
		.amdhsa_next_free_sgpr 0
		.amdhsa_reserve_vcc 0
		.amdhsa_reserve_flat_scratch 0
		.amdhsa_float_round_mode_32 0
		.amdhsa_float_round_mode_16_64 0
		.amdhsa_float_denorm_mode_32 3
		.amdhsa_float_denorm_mode_16_64 3
		.amdhsa_dx10_clamp 1
		.amdhsa_ieee_mode 1
		.amdhsa_fp16_overflow 0
		.amdhsa_exception_fp_ieee_invalid_op 0
		.amdhsa_exception_fp_denorm_src 0
		.amdhsa_exception_fp_ieee_div_zero 0
		.amdhsa_exception_fp_ieee_overflow 0
		.amdhsa_exception_fp_ieee_underflow 0
		.amdhsa_exception_fp_ieee_inexact 0
		.amdhsa_exception_int_div_zero 0
	.end_amdhsa_kernel
	.section	.text._ZN7rocprim17ROCPRIM_400000_NS6detail17trampoline_kernelINS0_14default_configENS1_38merge_sort_block_merge_config_selectorIslEEZZNS1_27merge_sort_block_merge_implIS3_PsN6thrust23THRUST_200600_302600_NS10device_ptrIlEEjNS1_19radix_merge_compareILb0ELb1EsNS0_19identity_decomposerEEEEE10hipError_tT0_T1_T2_jT3_P12ihipStream_tbPNSt15iterator_traitsISG_E10value_typeEPNSM_ISH_E10value_typeEPSI_NS1_7vsmem_tEENKUlT_SG_SH_SI_E_clIS7_S7_PlSB_EESF_SV_SG_SH_SI_EUlSV_E_NS1_11comp_targetILNS1_3genE4ELNS1_11target_archE910ELNS1_3gpuE8ELNS1_3repE0EEENS1_48merge_mergepath_partition_config_static_selectorELNS0_4arch9wavefront6targetE1EEEvSH_,"axG",@progbits,_ZN7rocprim17ROCPRIM_400000_NS6detail17trampoline_kernelINS0_14default_configENS1_38merge_sort_block_merge_config_selectorIslEEZZNS1_27merge_sort_block_merge_implIS3_PsN6thrust23THRUST_200600_302600_NS10device_ptrIlEEjNS1_19radix_merge_compareILb0ELb1EsNS0_19identity_decomposerEEEEE10hipError_tT0_T1_T2_jT3_P12ihipStream_tbPNSt15iterator_traitsISG_E10value_typeEPNSM_ISH_E10value_typeEPSI_NS1_7vsmem_tEENKUlT_SG_SH_SI_E_clIS7_S7_PlSB_EESF_SV_SG_SH_SI_EUlSV_E_NS1_11comp_targetILNS1_3genE4ELNS1_11target_archE910ELNS1_3gpuE8ELNS1_3repE0EEENS1_48merge_mergepath_partition_config_static_selectorELNS0_4arch9wavefront6targetE1EEEvSH_,comdat
.Lfunc_end1335:
	.size	_ZN7rocprim17ROCPRIM_400000_NS6detail17trampoline_kernelINS0_14default_configENS1_38merge_sort_block_merge_config_selectorIslEEZZNS1_27merge_sort_block_merge_implIS3_PsN6thrust23THRUST_200600_302600_NS10device_ptrIlEEjNS1_19radix_merge_compareILb0ELb1EsNS0_19identity_decomposerEEEEE10hipError_tT0_T1_T2_jT3_P12ihipStream_tbPNSt15iterator_traitsISG_E10value_typeEPNSM_ISH_E10value_typeEPSI_NS1_7vsmem_tEENKUlT_SG_SH_SI_E_clIS7_S7_PlSB_EESF_SV_SG_SH_SI_EUlSV_E_NS1_11comp_targetILNS1_3genE4ELNS1_11target_archE910ELNS1_3gpuE8ELNS1_3repE0EEENS1_48merge_mergepath_partition_config_static_selectorELNS0_4arch9wavefront6targetE1EEEvSH_, .Lfunc_end1335-_ZN7rocprim17ROCPRIM_400000_NS6detail17trampoline_kernelINS0_14default_configENS1_38merge_sort_block_merge_config_selectorIslEEZZNS1_27merge_sort_block_merge_implIS3_PsN6thrust23THRUST_200600_302600_NS10device_ptrIlEEjNS1_19radix_merge_compareILb0ELb1EsNS0_19identity_decomposerEEEEE10hipError_tT0_T1_T2_jT3_P12ihipStream_tbPNSt15iterator_traitsISG_E10value_typeEPNSM_ISH_E10value_typeEPSI_NS1_7vsmem_tEENKUlT_SG_SH_SI_E_clIS7_S7_PlSB_EESF_SV_SG_SH_SI_EUlSV_E_NS1_11comp_targetILNS1_3genE4ELNS1_11target_archE910ELNS1_3gpuE8ELNS1_3repE0EEENS1_48merge_mergepath_partition_config_static_selectorELNS0_4arch9wavefront6targetE1EEEvSH_
                                        ; -- End function
	.set _ZN7rocprim17ROCPRIM_400000_NS6detail17trampoline_kernelINS0_14default_configENS1_38merge_sort_block_merge_config_selectorIslEEZZNS1_27merge_sort_block_merge_implIS3_PsN6thrust23THRUST_200600_302600_NS10device_ptrIlEEjNS1_19radix_merge_compareILb0ELb1EsNS0_19identity_decomposerEEEEE10hipError_tT0_T1_T2_jT3_P12ihipStream_tbPNSt15iterator_traitsISG_E10value_typeEPNSM_ISH_E10value_typeEPSI_NS1_7vsmem_tEENKUlT_SG_SH_SI_E_clIS7_S7_PlSB_EESF_SV_SG_SH_SI_EUlSV_E_NS1_11comp_targetILNS1_3genE4ELNS1_11target_archE910ELNS1_3gpuE8ELNS1_3repE0EEENS1_48merge_mergepath_partition_config_static_selectorELNS0_4arch9wavefront6targetE1EEEvSH_.num_vgpr, 0
	.set _ZN7rocprim17ROCPRIM_400000_NS6detail17trampoline_kernelINS0_14default_configENS1_38merge_sort_block_merge_config_selectorIslEEZZNS1_27merge_sort_block_merge_implIS3_PsN6thrust23THRUST_200600_302600_NS10device_ptrIlEEjNS1_19radix_merge_compareILb0ELb1EsNS0_19identity_decomposerEEEEE10hipError_tT0_T1_T2_jT3_P12ihipStream_tbPNSt15iterator_traitsISG_E10value_typeEPNSM_ISH_E10value_typeEPSI_NS1_7vsmem_tEENKUlT_SG_SH_SI_E_clIS7_S7_PlSB_EESF_SV_SG_SH_SI_EUlSV_E_NS1_11comp_targetILNS1_3genE4ELNS1_11target_archE910ELNS1_3gpuE8ELNS1_3repE0EEENS1_48merge_mergepath_partition_config_static_selectorELNS0_4arch9wavefront6targetE1EEEvSH_.num_agpr, 0
	.set _ZN7rocprim17ROCPRIM_400000_NS6detail17trampoline_kernelINS0_14default_configENS1_38merge_sort_block_merge_config_selectorIslEEZZNS1_27merge_sort_block_merge_implIS3_PsN6thrust23THRUST_200600_302600_NS10device_ptrIlEEjNS1_19radix_merge_compareILb0ELb1EsNS0_19identity_decomposerEEEEE10hipError_tT0_T1_T2_jT3_P12ihipStream_tbPNSt15iterator_traitsISG_E10value_typeEPNSM_ISH_E10value_typeEPSI_NS1_7vsmem_tEENKUlT_SG_SH_SI_E_clIS7_S7_PlSB_EESF_SV_SG_SH_SI_EUlSV_E_NS1_11comp_targetILNS1_3genE4ELNS1_11target_archE910ELNS1_3gpuE8ELNS1_3repE0EEENS1_48merge_mergepath_partition_config_static_selectorELNS0_4arch9wavefront6targetE1EEEvSH_.numbered_sgpr, 0
	.set _ZN7rocprim17ROCPRIM_400000_NS6detail17trampoline_kernelINS0_14default_configENS1_38merge_sort_block_merge_config_selectorIslEEZZNS1_27merge_sort_block_merge_implIS3_PsN6thrust23THRUST_200600_302600_NS10device_ptrIlEEjNS1_19radix_merge_compareILb0ELb1EsNS0_19identity_decomposerEEEEE10hipError_tT0_T1_T2_jT3_P12ihipStream_tbPNSt15iterator_traitsISG_E10value_typeEPNSM_ISH_E10value_typeEPSI_NS1_7vsmem_tEENKUlT_SG_SH_SI_E_clIS7_S7_PlSB_EESF_SV_SG_SH_SI_EUlSV_E_NS1_11comp_targetILNS1_3genE4ELNS1_11target_archE910ELNS1_3gpuE8ELNS1_3repE0EEENS1_48merge_mergepath_partition_config_static_selectorELNS0_4arch9wavefront6targetE1EEEvSH_.num_named_barrier, 0
	.set _ZN7rocprim17ROCPRIM_400000_NS6detail17trampoline_kernelINS0_14default_configENS1_38merge_sort_block_merge_config_selectorIslEEZZNS1_27merge_sort_block_merge_implIS3_PsN6thrust23THRUST_200600_302600_NS10device_ptrIlEEjNS1_19radix_merge_compareILb0ELb1EsNS0_19identity_decomposerEEEEE10hipError_tT0_T1_T2_jT3_P12ihipStream_tbPNSt15iterator_traitsISG_E10value_typeEPNSM_ISH_E10value_typeEPSI_NS1_7vsmem_tEENKUlT_SG_SH_SI_E_clIS7_S7_PlSB_EESF_SV_SG_SH_SI_EUlSV_E_NS1_11comp_targetILNS1_3genE4ELNS1_11target_archE910ELNS1_3gpuE8ELNS1_3repE0EEENS1_48merge_mergepath_partition_config_static_selectorELNS0_4arch9wavefront6targetE1EEEvSH_.private_seg_size, 0
	.set _ZN7rocprim17ROCPRIM_400000_NS6detail17trampoline_kernelINS0_14default_configENS1_38merge_sort_block_merge_config_selectorIslEEZZNS1_27merge_sort_block_merge_implIS3_PsN6thrust23THRUST_200600_302600_NS10device_ptrIlEEjNS1_19radix_merge_compareILb0ELb1EsNS0_19identity_decomposerEEEEE10hipError_tT0_T1_T2_jT3_P12ihipStream_tbPNSt15iterator_traitsISG_E10value_typeEPNSM_ISH_E10value_typeEPSI_NS1_7vsmem_tEENKUlT_SG_SH_SI_E_clIS7_S7_PlSB_EESF_SV_SG_SH_SI_EUlSV_E_NS1_11comp_targetILNS1_3genE4ELNS1_11target_archE910ELNS1_3gpuE8ELNS1_3repE0EEENS1_48merge_mergepath_partition_config_static_selectorELNS0_4arch9wavefront6targetE1EEEvSH_.uses_vcc, 0
	.set _ZN7rocprim17ROCPRIM_400000_NS6detail17trampoline_kernelINS0_14default_configENS1_38merge_sort_block_merge_config_selectorIslEEZZNS1_27merge_sort_block_merge_implIS3_PsN6thrust23THRUST_200600_302600_NS10device_ptrIlEEjNS1_19radix_merge_compareILb0ELb1EsNS0_19identity_decomposerEEEEE10hipError_tT0_T1_T2_jT3_P12ihipStream_tbPNSt15iterator_traitsISG_E10value_typeEPNSM_ISH_E10value_typeEPSI_NS1_7vsmem_tEENKUlT_SG_SH_SI_E_clIS7_S7_PlSB_EESF_SV_SG_SH_SI_EUlSV_E_NS1_11comp_targetILNS1_3genE4ELNS1_11target_archE910ELNS1_3gpuE8ELNS1_3repE0EEENS1_48merge_mergepath_partition_config_static_selectorELNS0_4arch9wavefront6targetE1EEEvSH_.uses_flat_scratch, 0
	.set _ZN7rocprim17ROCPRIM_400000_NS6detail17trampoline_kernelINS0_14default_configENS1_38merge_sort_block_merge_config_selectorIslEEZZNS1_27merge_sort_block_merge_implIS3_PsN6thrust23THRUST_200600_302600_NS10device_ptrIlEEjNS1_19radix_merge_compareILb0ELb1EsNS0_19identity_decomposerEEEEE10hipError_tT0_T1_T2_jT3_P12ihipStream_tbPNSt15iterator_traitsISG_E10value_typeEPNSM_ISH_E10value_typeEPSI_NS1_7vsmem_tEENKUlT_SG_SH_SI_E_clIS7_S7_PlSB_EESF_SV_SG_SH_SI_EUlSV_E_NS1_11comp_targetILNS1_3genE4ELNS1_11target_archE910ELNS1_3gpuE8ELNS1_3repE0EEENS1_48merge_mergepath_partition_config_static_selectorELNS0_4arch9wavefront6targetE1EEEvSH_.has_dyn_sized_stack, 0
	.set _ZN7rocprim17ROCPRIM_400000_NS6detail17trampoline_kernelINS0_14default_configENS1_38merge_sort_block_merge_config_selectorIslEEZZNS1_27merge_sort_block_merge_implIS3_PsN6thrust23THRUST_200600_302600_NS10device_ptrIlEEjNS1_19radix_merge_compareILb0ELb1EsNS0_19identity_decomposerEEEEE10hipError_tT0_T1_T2_jT3_P12ihipStream_tbPNSt15iterator_traitsISG_E10value_typeEPNSM_ISH_E10value_typeEPSI_NS1_7vsmem_tEENKUlT_SG_SH_SI_E_clIS7_S7_PlSB_EESF_SV_SG_SH_SI_EUlSV_E_NS1_11comp_targetILNS1_3genE4ELNS1_11target_archE910ELNS1_3gpuE8ELNS1_3repE0EEENS1_48merge_mergepath_partition_config_static_selectorELNS0_4arch9wavefront6targetE1EEEvSH_.has_recursion, 0
	.set _ZN7rocprim17ROCPRIM_400000_NS6detail17trampoline_kernelINS0_14default_configENS1_38merge_sort_block_merge_config_selectorIslEEZZNS1_27merge_sort_block_merge_implIS3_PsN6thrust23THRUST_200600_302600_NS10device_ptrIlEEjNS1_19radix_merge_compareILb0ELb1EsNS0_19identity_decomposerEEEEE10hipError_tT0_T1_T2_jT3_P12ihipStream_tbPNSt15iterator_traitsISG_E10value_typeEPNSM_ISH_E10value_typeEPSI_NS1_7vsmem_tEENKUlT_SG_SH_SI_E_clIS7_S7_PlSB_EESF_SV_SG_SH_SI_EUlSV_E_NS1_11comp_targetILNS1_3genE4ELNS1_11target_archE910ELNS1_3gpuE8ELNS1_3repE0EEENS1_48merge_mergepath_partition_config_static_selectorELNS0_4arch9wavefront6targetE1EEEvSH_.has_indirect_call, 0
	.section	.AMDGPU.csdata,"",@progbits
; Kernel info:
; codeLenInByte = 0
; TotalNumSgprs: 4
; NumVgprs: 0
; ScratchSize: 0
; MemoryBound: 0
; FloatMode: 240
; IeeeMode: 1
; LDSByteSize: 0 bytes/workgroup (compile time only)
; SGPRBlocks: 0
; VGPRBlocks: 0
; NumSGPRsForWavesPerEU: 4
; NumVGPRsForWavesPerEU: 1
; Occupancy: 10
; WaveLimiterHint : 0
; COMPUTE_PGM_RSRC2:SCRATCH_EN: 0
; COMPUTE_PGM_RSRC2:USER_SGPR: 6
; COMPUTE_PGM_RSRC2:TRAP_HANDLER: 0
; COMPUTE_PGM_RSRC2:TGID_X_EN: 1
; COMPUTE_PGM_RSRC2:TGID_Y_EN: 0
; COMPUTE_PGM_RSRC2:TGID_Z_EN: 0
; COMPUTE_PGM_RSRC2:TIDIG_COMP_CNT: 0
	.section	.text._ZN7rocprim17ROCPRIM_400000_NS6detail17trampoline_kernelINS0_14default_configENS1_38merge_sort_block_merge_config_selectorIslEEZZNS1_27merge_sort_block_merge_implIS3_PsN6thrust23THRUST_200600_302600_NS10device_ptrIlEEjNS1_19radix_merge_compareILb0ELb1EsNS0_19identity_decomposerEEEEE10hipError_tT0_T1_T2_jT3_P12ihipStream_tbPNSt15iterator_traitsISG_E10value_typeEPNSM_ISH_E10value_typeEPSI_NS1_7vsmem_tEENKUlT_SG_SH_SI_E_clIS7_S7_PlSB_EESF_SV_SG_SH_SI_EUlSV_E_NS1_11comp_targetILNS1_3genE3ELNS1_11target_archE908ELNS1_3gpuE7ELNS1_3repE0EEENS1_48merge_mergepath_partition_config_static_selectorELNS0_4arch9wavefront6targetE1EEEvSH_,"axG",@progbits,_ZN7rocprim17ROCPRIM_400000_NS6detail17trampoline_kernelINS0_14default_configENS1_38merge_sort_block_merge_config_selectorIslEEZZNS1_27merge_sort_block_merge_implIS3_PsN6thrust23THRUST_200600_302600_NS10device_ptrIlEEjNS1_19radix_merge_compareILb0ELb1EsNS0_19identity_decomposerEEEEE10hipError_tT0_T1_T2_jT3_P12ihipStream_tbPNSt15iterator_traitsISG_E10value_typeEPNSM_ISH_E10value_typeEPSI_NS1_7vsmem_tEENKUlT_SG_SH_SI_E_clIS7_S7_PlSB_EESF_SV_SG_SH_SI_EUlSV_E_NS1_11comp_targetILNS1_3genE3ELNS1_11target_archE908ELNS1_3gpuE7ELNS1_3repE0EEENS1_48merge_mergepath_partition_config_static_selectorELNS0_4arch9wavefront6targetE1EEEvSH_,comdat
	.protected	_ZN7rocprim17ROCPRIM_400000_NS6detail17trampoline_kernelINS0_14default_configENS1_38merge_sort_block_merge_config_selectorIslEEZZNS1_27merge_sort_block_merge_implIS3_PsN6thrust23THRUST_200600_302600_NS10device_ptrIlEEjNS1_19radix_merge_compareILb0ELb1EsNS0_19identity_decomposerEEEEE10hipError_tT0_T1_T2_jT3_P12ihipStream_tbPNSt15iterator_traitsISG_E10value_typeEPNSM_ISH_E10value_typeEPSI_NS1_7vsmem_tEENKUlT_SG_SH_SI_E_clIS7_S7_PlSB_EESF_SV_SG_SH_SI_EUlSV_E_NS1_11comp_targetILNS1_3genE3ELNS1_11target_archE908ELNS1_3gpuE7ELNS1_3repE0EEENS1_48merge_mergepath_partition_config_static_selectorELNS0_4arch9wavefront6targetE1EEEvSH_ ; -- Begin function _ZN7rocprim17ROCPRIM_400000_NS6detail17trampoline_kernelINS0_14default_configENS1_38merge_sort_block_merge_config_selectorIslEEZZNS1_27merge_sort_block_merge_implIS3_PsN6thrust23THRUST_200600_302600_NS10device_ptrIlEEjNS1_19radix_merge_compareILb0ELb1EsNS0_19identity_decomposerEEEEE10hipError_tT0_T1_T2_jT3_P12ihipStream_tbPNSt15iterator_traitsISG_E10value_typeEPNSM_ISH_E10value_typeEPSI_NS1_7vsmem_tEENKUlT_SG_SH_SI_E_clIS7_S7_PlSB_EESF_SV_SG_SH_SI_EUlSV_E_NS1_11comp_targetILNS1_3genE3ELNS1_11target_archE908ELNS1_3gpuE7ELNS1_3repE0EEENS1_48merge_mergepath_partition_config_static_selectorELNS0_4arch9wavefront6targetE1EEEvSH_
	.globl	_ZN7rocprim17ROCPRIM_400000_NS6detail17trampoline_kernelINS0_14default_configENS1_38merge_sort_block_merge_config_selectorIslEEZZNS1_27merge_sort_block_merge_implIS3_PsN6thrust23THRUST_200600_302600_NS10device_ptrIlEEjNS1_19radix_merge_compareILb0ELb1EsNS0_19identity_decomposerEEEEE10hipError_tT0_T1_T2_jT3_P12ihipStream_tbPNSt15iterator_traitsISG_E10value_typeEPNSM_ISH_E10value_typeEPSI_NS1_7vsmem_tEENKUlT_SG_SH_SI_E_clIS7_S7_PlSB_EESF_SV_SG_SH_SI_EUlSV_E_NS1_11comp_targetILNS1_3genE3ELNS1_11target_archE908ELNS1_3gpuE7ELNS1_3repE0EEENS1_48merge_mergepath_partition_config_static_selectorELNS0_4arch9wavefront6targetE1EEEvSH_
	.p2align	8
	.type	_ZN7rocprim17ROCPRIM_400000_NS6detail17trampoline_kernelINS0_14default_configENS1_38merge_sort_block_merge_config_selectorIslEEZZNS1_27merge_sort_block_merge_implIS3_PsN6thrust23THRUST_200600_302600_NS10device_ptrIlEEjNS1_19radix_merge_compareILb0ELb1EsNS0_19identity_decomposerEEEEE10hipError_tT0_T1_T2_jT3_P12ihipStream_tbPNSt15iterator_traitsISG_E10value_typeEPNSM_ISH_E10value_typeEPSI_NS1_7vsmem_tEENKUlT_SG_SH_SI_E_clIS7_S7_PlSB_EESF_SV_SG_SH_SI_EUlSV_E_NS1_11comp_targetILNS1_3genE3ELNS1_11target_archE908ELNS1_3gpuE7ELNS1_3repE0EEENS1_48merge_mergepath_partition_config_static_selectorELNS0_4arch9wavefront6targetE1EEEvSH_,@function
_ZN7rocprim17ROCPRIM_400000_NS6detail17trampoline_kernelINS0_14default_configENS1_38merge_sort_block_merge_config_selectorIslEEZZNS1_27merge_sort_block_merge_implIS3_PsN6thrust23THRUST_200600_302600_NS10device_ptrIlEEjNS1_19radix_merge_compareILb0ELb1EsNS0_19identity_decomposerEEEEE10hipError_tT0_T1_T2_jT3_P12ihipStream_tbPNSt15iterator_traitsISG_E10value_typeEPNSM_ISH_E10value_typeEPSI_NS1_7vsmem_tEENKUlT_SG_SH_SI_E_clIS7_S7_PlSB_EESF_SV_SG_SH_SI_EUlSV_E_NS1_11comp_targetILNS1_3genE3ELNS1_11target_archE908ELNS1_3gpuE7ELNS1_3repE0EEENS1_48merge_mergepath_partition_config_static_selectorELNS0_4arch9wavefront6targetE1EEEvSH_: ; @_ZN7rocprim17ROCPRIM_400000_NS6detail17trampoline_kernelINS0_14default_configENS1_38merge_sort_block_merge_config_selectorIslEEZZNS1_27merge_sort_block_merge_implIS3_PsN6thrust23THRUST_200600_302600_NS10device_ptrIlEEjNS1_19radix_merge_compareILb0ELb1EsNS0_19identity_decomposerEEEEE10hipError_tT0_T1_T2_jT3_P12ihipStream_tbPNSt15iterator_traitsISG_E10value_typeEPNSM_ISH_E10value_typeEPSI_NS1_7vsmem_tEENKUlT_SG_SH_SI_E_clIS7_S7_PlSB_EESF_SV_SG_SH_SI_EUlSV_E_NS1_11comp_targetILNS1_3genE3ELNS1_11target_archE908ELNS1_3gpuE7ELNS1_3repE0EEENS1_48merge_mergepath_partition_config_static_selectorELNS0_4arch9wavefront6targetE1EEEvSH_
; %bb.0:
	.section	.rodata,"a",@progbits
	.p2align	6, 0x0
	.amdhsa_kernel _ZN7rocprim17ROCPRIM_400000_NS6detail17trampoline_kernelINS0_14default_configENS1_38merge_sort_block_merge_config_selectorIslEEZZNS1_27merge_sort_block_merge_implIS3_PsN6thrust23THRUST_200600_302600_NS10device_ptrIlEEjNS1_19radix_merge_compareILb0ELb1EsNS0_19identity_decomposerEEEEE10hipError_tT0_T1_T2_jT3_P12ihipStream_tbPNSt15iterator_traitsISG_E10value_typeEPNSM_ISH_E10value_typeEPSI_NS1_7vsmem_tEENKUlT_SG_SH_SI_E_clIS7_S7_PlSB_EESF_SV_SG_SH_SI_EUlSV_E_NS1_11comp_targetILNS1_3genE3ELNS1_11target_archE908ELNS1_3gpuE7ELNS1_3repE0EEENS1_48merge_mergepath_partition_config_static_selectorELNS0_4arch9wavefront6targetE1EEEvSH_
		.amdhsa_group_segment_fixed_size 0
		.amdhsa_private_segment_fixed_size 0
		.amdhsa_kernarg_size 40
		.amdhsa_user_sgpr_count 6
		.amdhsa_user_sgpr_private_segment_buffer 1
		.amdhsa_user_sgpr_dispatch_ptr 0
		.amdhsa_user_sgpr_queue_ptr 0
		.amdhsa_user_sgpr_kernarg_segment_ptr 1
		.amdhsa_user_sgpr_dispatch_id 0
		.amdhsa_user_sgpr_flat_scratch_init 0
		.amdhsa_user_sgpr_private_segment_size 0
		.amdhsa_uses_dynamic_stack 0
		.amdhsa_system_sgpr_private_segment_wavefront_offset 0
		.amdhsa_system_sgpr_workgroup_id_x 1
		.amdhsa_system_sgpr_workgroup_id_y 0
		.amdhsa_system_sgpr_workgroup_id_z 0
		.amdhsa_system_sgpr_workgroup_info 0
		.amdhsa_system_vgpr_workitem_id 0
		.amdhsa_next_free_vgpr 1
		.amdhsa_next_free_sgpr 0
		.amdhsa_reserve_vcc 0
		.amdhsa_reserve_flat_scratch 0
		.amdhsa_float_round_mode_32 0
		.amdhsa_float_round_mode_16_64 0
		.amdhsa_float_denorm_mode_32 3
		.amdhsa_float_denorm_mode_16_64 3
		.amdhsa_dx10_clamp 1
		.amdhsa_ieee_mode 1
		.amdhsa_fp16_overflow 0
		.amdhsa_exception_fp_ieee_invalid_op 0
		.amdhsa_exception_fp_denorm_src 0
		.amdhsa_exception_fp_ieee_div_zero 0
		.amdhsa_exception_fp_ieee_overflow 0
		.amdhsa_exception_fp_ieee_underflow 0
		.amdhsa_exception_fp_ieee_inexact 0
		.amdhsa_exception_int_div_zero 0
	.end_amdhsa_kernel
	.section	.text._ZN7rocprim17ROCPRIM_400000_NS6detail17trampoline_kernelINS0_14default_configENS1_38merge_sort_block_merge_config_selectorIslEEZZNS1_27merge_sort_block_merge_implIS3_PsN6thrust23THRUST_200600_302600_NS10device_ptrIlEEjNS1_19radix_merge_compareILb0ELb1EsNS0_19identity_decomposerEEEEE10hipError_tT0_T1_T2_jT3_P12ihipStream_tbPNSt15iterator_traitsISG_E10value_typeEPNSM_ISH_E10value_typeEPSI_NS1_7vsmem_tEENKUlT_SG_SH_SI_E_clIS7_S7_PlSB_EESF_SV_SG_SH_SI_EUlSV_E_NS1_11comp_targetILNS1_3genE3ELNS1_11target_archE908ELNS1_3gpuE7ELNS1_3repE0EEENS1_48merge_mergepath_partition_config_static_selectorELNS0_4arch9wavefront6targetE1EEEvSH_,"axG",@progbits,_ZN7rocprim17ROCPRIM_400000_NS6detail17trampoline_kernelINS0_14default_configENS1_38merge_sort_block_merge_config_selectorIslEEZZNS1_27merge_sort_block_merge_implIS3_PsN6thrust23THRUST_200600_302600_NS10device_ptrIlEEjNS1_19radix_merge_compareILb0ELb1EsNS0_19identity_decomposerEEEEE10hipError_tT0_T1_T2_jT3_P12ihipStream_tbPNSt15iterator_traitsISG_E10value_typeEPNSM_ISH_E10value_typeEPSI_NS1_7vsmem_tEENKUlT_SG_SH_SI_E_clIS7_S7_PlSB_EESF_SV_SG_SH_SI_EUlSV_E_NS1_11comp_targetILNS1_3genE3ELNS1_11target_archE908ELNS1_3gpuE7ELNS1_3repE0EEENS1_48merge_mergepath_partition_config_static_selectorELNS0_4arch9wavefront6targetE1EEEvSH_,comdat
.Lfunc_end1336:
	.size	_ZN7rocprim17ROCPRIM_400000_NS6detail17trampoline_kernelINS0_14default_configENS1_38merge_sort_block_merge_config_selectorIslEEZZNS1_27merge_sort_block_merge_implIS3_PsN6thrust23THRUST_200600_302600_NS10device_ptrIlEEjNS1_19radix_merge_compareILb0ELb1EsNS0_19identity_decomposerEEEEE10hipError_tT0_T1_T2_jT3_P12ihipStream_tbPNSt15iterator_traitsISG_E10value_typeEPNSM_ISH_E10value_typeEPSI_NS1_7vsmem_tEENKUlT_SG_SH_SI_E_clIS7_S7_PlSB_EESF_SV_SG_SH_SI_EUlSV_E_NS1_11comp_targetILNS1_3genE3ELNS1_11target_archE908ELNS1_3gpuE7ELNS1_3repE0EEENS1_48merge_mergepath_partition_config_static_selectorELNS0_4arch9wavefront6targetE1EEEvSH_, .Lfunc_end1336-_ZN7rocprim17ROCPRIM_400000_NS6detail17trampoline_kernelINS0_14default_configENS1_38merge_sort_block_merge_config_selectorIslEEZZNS1_27merge_sort_block_merge_implIS3_PsN6thrust23THRUST_200600_302600_NS10device_ptrIlEEjNS1_19radix_merge_compareILb0ELb1EsNS0_19identity_decomposerEEEEE10hipError_tT0_T1_T2_jT3_P12ihipStream_tbPNSt15iterator_traitsISG_E10value_typeEPNSM_ISH_E10value_typeEPSI_NS1_7vsmem_tEENKUlT_SG_SH_SI_E_clIS7_S7_PlSB_EESF_SV_SG_SH_SI_EUlSV_E_NS1_11comp_targetILNS1_3genE3ELNS1_11target_archE908ELNS1_3gpuE7ELNS1_3repE0EEENS1_48merge_mergepath_partition_config_static_selectorELNS0_4arch9wavefront6targetE1EEEvSH_
                                        ; -- End function
	.set _ZN7rocprim17ROCPRIM_400000_NS6detail17trampoline_kernelINS0_14default_configENS1_38merge_sort_block_merge_config_selectorIslEEZZNS1_27merge_sort_block_merge_implIS3_PsN6thrust23THRUST_200600_302600_NS10device_ptrIlEEjNS1_19radix_merge_compareILb0ELb1EsNS0_19identity_decomposerEEEEE10hipError_tT0_T1_T2_jT3_P12ihipStream_tbPNSt15iterator_traitsISG_E10value_typeEPNSM_ISH_E10value_typeEPSI_NS1_7vsmem_tEENKUlT_SG_SH_SI_E_clIS7_S7_PlSB_EESF_SV_SG_SH_SI_EUlSV_E_NS1_11comp_targetILNS1_3genE3ELNS1_11target_archE908ELNS1_3gpuE7ELNS1_3repE0EEENS1_48merge_mergepath_partition_config_static_selectorELNS0_4arch9wavefront6targetE1EEEvSH_.num_vgpr, 0
	.set _ZN7rocprim17ROCPRIM_400000_NS6detail17trampoline_kernelINS0_14default_configENS1_38merge_sort_block_merge_config_selectorIslEEZZNS1_27merge_sort_block_merge_implIS3_PsN6thrust23THRUST_200600_302600_NS10device_ptrIlEEjNS1_19radix_merge_compareILb0ELb1EsNS0_19identity_decomposerEEEEE10hipError_tT0_T1_T2_jT3_P12ihipStream_tbPNSt15iterator_traitsISG_E10value_typeEPNSM_ISH_E10value_typeEPSI_NS1_7vsmem_tEENKUlT_SG_SH_SI_E_clIS7_S7_PlSB_EESF_SV_SG_SH_SI_EUlSV_E_NS1_11comp_targetILNS1_3genE3ELNS1_11target_archE908ELNS1_3gpuE7ELNS1_3repE0EEENS1_48merge_mergepath_partition_config_static_selectorELNS0_4arch9wavefront6targetE1EEEvSH_.num_agpr, 0
	.set _ZN7rocprim17ROCPRIM_400000_NS6detail17trampoline_kernelINS0_14default_configENS1_38merge_sort_block_merge_config_selectorIslEEZZNS1_27merge_sort_block_merge_implIS3_PsN6thrust23THRUST_200600_302600_NS10device_ptrIlEEjNS1_19radix_merge_compareILb0ELb1EsNS0_19identity_decomposerEEEEE10hipError_tT0_T1_T2_jT3_P12ihipStream_tbPNSt15iterator_traitsISG_E10value_typeEPNSM_ISH_E10value_typeEPSI_NS1_7vsmem_tEENKUlT_SG_SH_SI_E_clIS7_S7_PlSB_EESF_SV_SG_SH_SI_EUlSV_E_NS1_11comp_targetILNS1_3genE3ELNS1_11target_archE908ELNS1_3gpuE7ELNS1_3repE0EEENS1_48merge_mergepath_partition_config_static_selectorELNS0_4arch9wavefront6targetE1EEEvSH_.numbered_sgpr, 0
	.set _ZN7rocprim17ROCPRIM_400000_NS6detail17trampoline_kernelINS0_14default_configENS1_38merge_sort_block_merge_config_selectorIslEEZZNS1_27merge_sort_block_merge_implIS3_PsN6thrust23THRUST_200600_302600_NS10device_ptrIlEEjNS1_19radix_merge_compareILb0ELb1EsNS0_19identity_decomposerEEEEE10hipError_tT0_T1_T2_jT3_P12ihipStream_tbPNSt15iterator_traitsISG_E10value_typeEPNSM_ISH_E10value_typeEPSI_NS1_7vsmem_tEENKUlT_SG_SH_SI_E_clIS7_S7_PlSB_EESF_SV_SG_SH_SI_EUlSV_E_NS1_11comp_targetILNS1_3genE3ELNS1_11target_archE908ELNS1_3gpuE7ELNS1_3repE0EEENS1_48merge_mergepath_partition_config_static_selectorELNS0_4arch9wavefront6targetE1EEEvSH_.num_named_barrier, 0
	.set _ZN7rocprim17ROCPRIM_400000_NS6detail17trampoline_kernelINS0_14default_configENS1_38merge_sort_block_merge_config_selectorIslEEZZNS1_27merge_sort_block_merge_implIS3_PsN6thrust23THRUST_200600_302600_NS10device_ptrIlEEjNS1_19radix_merge_compareILb0ELb1EsNS0_19identity_decomposerEEEEE10hipError_tT0_T1_T2_jT3_P12ihipStream_tbPNSt15iterator_traitsISG_E10value_typeEPNSM_ISH_E10value_typeEPSI_NS1_7vsmem_tEENKUlT_SG_SH_SI_E_clIS7_S7_PlSB_EESF_SV_SG_SH_SI_EUlSV_E_NS1_11comp_targetILNS1_3genE3ELNS1_11target_archE908ELNS1_3gpuE7ELNS1_3repE0EEENS1_48merge_mergepath_partition_config_static_selectorELNS0_4arch9wavefront6targetE1EEEvSH_.private_seg_size, 0
	.set _ZN7rocprim17ROCPRIM_400000_NS6detail17trampoline_kernelINS0_14default_configENS1_38merge_sort_block_merge_config_selectorIslEEZZNS1_27merge_sort_block_merge_implIS3_PsN6thrust23THRUST_200600_302600_NS10device_ptrIlEEjNS1_19radix_merge_compareILb0ELb1EsNS0_19identity_decomposerEEEEE10hipError_tT0_T1_T2_jT3_P12ihipStream_tbPNSt15iterator_traitsISG_E10value_typeEPNSM_ISH_E10value_typeEPSI_NS1_7vsmem_tEENKUlT_SG_SH_SI_E_clIS7_S7_PlSB_EESF_SV_SG_SH_SI_EUlSV_E_NS1_11comp_targetILNS1_3genE3ELNS1_11target_archE908ELNS1_3gpuE7ELNS1_3repE0EEENS1_48merge_mergepath_partition_config_static_selectorELNS0_4arch9wavefront6targetE1EEEvSH_.uses_vcc, 0
	.set _ZN7rocprim17ROCPRIM_400000_NS6detail17trampoline_kernelINS0_14default_configENS1_38merge_sort_block_merge_config_selectorIslEEZZNS1_27merge_sort_block_merge_implIS3_PsN6thrust23THRUST_200600_302600_NS10device_ptrIlEEjNS1_19radix_merge_compareILb0ELb1EsNS0_19identity_decomposerEEEEE10hipError_tT0_T1_T2_jT3_P12ihipStream_tbPNSt15iterator_traitsISG_E10value_typeEPNSM_ISH_E10value_typeEPSI_NS1_7vsmem_tEENKUlT_SG_SH_SI_E_clIS7_S7_PlSB_EESF_SV_SG_SH_SI_EUlSV_E_NS1_11comp_targetILNS1_3genE3ELNS1_11target_archE908ELNS1_3gpuE7ELNS1_3repE0EEENS1_48merge_mergepath_partition_config_static_selectorELNS0_4arch9wavefront6targetE1EEEvSH_.uses_flat_scratch, 0
	.set _ZN7rocprim17ROCPRIM_400000_NS6detail17trampoline_kernelINS0_14default_configENS1_38merge_sort_block_merge_config_selectorIslEEZZNS1_27merge_sort_block_merge_implIS3_PsN6thrust23THRUST_200600_302600_NS10device_ptrIlEEjNS1_19radix_merge_compareILb0ELb1EsNS0_19identity_decomposerEEEEE10hipError_tT0_T1_T2_jT3_P12ihipStream_tbPNSt15iterator_traitsISG_E10value_typeEPNSM_ISH_E10value_typeEPSI_NS1_7vsmem_tEENKUlT_SG_SH_SI_E_clIS7_S7_PlSB_EESF_SV_SG_SH_SI_EUlSV_E_NS1_11comp_targetILNS1_3genE3ELNS1_11target_archE908ELNS1_3gpuE7ELNS1_3repE0EEENS1_48merge_mergepath_partition_config_static_selectorELNS0_4arch9wavefront6targetE1EEEvSH_.has_dyn_sized_stack, 0
	.set _ZN7rocprim17ROCPRIM_400000_NS6detail17trampoline_kernelINS0_14default_configENS1_38merge_sort_block_merge_config_selectorIslEEZZNS1_27merge_sort_block_merge_implIS3_PsN6thrust23THRUST_200600_302600_NS10device_ptrIlEEjNS1_19radix_merge_compareILb0ELb1EsNS0_19identity_decomposerEEEEE10hipError_tT0_T1_T2_jT3_P12ihipStream_tbPNSt15iterator_traitsISG_E10value_typeEPNSM_ISH_E10value_typeEPSI_NS1_7vsmem_tEENKUlT_SG_SH_SI_E_clIS7_S7_PlSB_EESF_SV_SG_SH_SI_EUlSV_E_NS1_11comp_targetILNS1_3genE3ELNS1_11target_archE908ELNS1_3gpuE7ELNS1_3repE0EEENS1_48merge_mergepath_partition_config_static_selectorELNS0_4arch9wavefront6targetE1EEEvSH_.has_recursion, 0
	.set _ZN7rocprim17ROCPRIM_400000_NS6detail17trampoline_kernelINS0_14default_configENS1_38merge_sort_block_merge_config_selectorIslEEZZNS1_27merge_sort_block_merge_implIS3_PsN6thrust23THRUST_200600_302600_NS10device_ptrIlEEjNS1_19radix_merge_compareILb0ELb1EsNS0_19identity_decomposerEEEEE10hipError_tT0_T1_T2_jT3_P12ihipStream_tbPNSt15iterator_traitsISG_E10value_typeEPNSM_ISH_E10value_typeEPSI_NS1_7vsmem_tEENKUlT_SG_SH_SI_E_clIS7_S7_PlSB_EESF_SV_SG_SH_SI_EUlSV_E_NS1_11comp_targetILNS1_3genE3ELNS1_11target_archE908ELNS1_3gpuE7ELNS1_3repE0EEENS1_48merge_mergepath_partition_config_static_selectorELNS0_4arch9wavefront6targetE1EEEvSH_.has_indirect_call, 0
	.section	.AMDGPU.csdata,"",@progbits
; Kernel info:
; codeLenInByte = 0
; TotalNumSgprs: 4
; NumVgprs: 0
; ScratchSize: 0
; MemoryBound: 0
; FloatMode: 240
; IeeeMode: 1
; LDSByteSize: 0 bytes/workgroup (compile time only)
; SGPRBlocks: 0
; VGPRBlocks: 0
; NumSGPRsForWavesPerEU: 4
; NumVGPRsForWavesPerEU: 1
; Occupancy: 10
; WaveLimiterHint : 0
; COMPUTE_PGM_RSRC2:SCRATCH_EN: 0
; COMPUTE_PGM_RSRC2:USER_SGPR: 6
; COMPUTE_PGM_RSRC2:TRAP_HANDLER: 0
; COMPUTE_PGM_RSRC2:TGID_X_EN: 1
; COMPUTE_PGM_RSRC2:TGID_Y_EN: 0
; COMPUTE_PGM_RSRC2:TGID_Z_EN: 0
; COMPUTE_PGM_RSRC2:TIDIG_COMP_CNT: 0
	.section	.text._ZN7rocprim17ROCPRIM_400000_NS6detail17trampoline_kernelINS0_14default_configENS1_38merge_sort_block_merge_config_selectorIslEEZZNS1_27merge_sort_block_merge_implIS3_PsN6thrust23THRUST_200600_302600_NS10device_ptrIlEEjNS1_19radix_merge_compareILb0ELb1EsNS0_19identity_decomposerEEEEE10hipError_tT0_T1_T2_jT3_P12ihipStream_tbPNSt15iterator_traitsISG_E10value_typeEPNSM_ISH_E10value_typeEPSI_NS1_7vsmem_tEENKUlT_SG_SH_SI_E_clIS7_S7_PlSB_EESF_SV_SG_SH_SI_EUlSV_E_NS1_11comp_targetILNS1_3genE2ELNS1_11target_archE906ELNS1_3gpuE6ELNS1_3repE0EEENS1_48merge_mergepath_partition_config_static_selectorELNS0_4arch9wavefront6targetE1EEEvSH_,"axG",@progbits,_ZN7rocprim17ROCPRIM_400000_NS6detail17trampoline_kernelINS0_14default_configENS1_38merge_sort_block_merge_config_selectorIslEEZZNS1_27merge_sort_block_merge_implIS3_PsN6thrust23THRUST_200600_302600_NS10device_ptrIlEEjNS1_19radix_merge_compareILb0ELb1EsNS0_19identity_decomposerEEEEE10hipError_tT0_T1_T2_jT3_P12ihipStream_tbPNSt15iterator_traitsISG_E10value_typeEPNSM_ISH_E10value_typeEPSI_NS1_7vsmem_tEENKUlT_SG_SH_SI_E_clIS7_S7_PlSB_EESF_SV_SG_SH_SI_EUlSV_E_NS1_11comp_targetILNS1_3genE2ELNS1_11target_archE906ELNS1_3gpuE6ELNS1_3repE0EEENS1_48merge_mergepath_partition_config_static_selectorELNS0_4arch9wavefront6targetE1EEEvSH_,comdat
	.protected	_ZN7rocprim17ROCPRIM_400000_NS6detail17trampoline_kernelINS0_14default_configENS1_38merge_sort_block_merge_config_selectorIslEEZZNS1_27merge_sort_block_merge_implIS3_PsN6thrust23THRUST_200600_302600_NS10device_ptrIlEEjNS1_19radix_merge_compareILb0ELb1EsNS0_19identity_decomposerEEEEE10hipError_tT0_T1_T2_jT3_P12ihipStream_tbPNSt15iterator_traitsISG_E10value_typeEPNSM_ISH_E10value_typeEPSI_NS1_7vsmem_tEENKUlT_SG_SH_SI_E_clIS7_S7_PlSB_EESF_SV_SG_SH_SI_EUlSV_E_NS1_11comp_targetILNS1_3genE2ELNS1_11target_archE906ELNS1_3gpuE6ELNS1_3repE0EEENS1_48merge_mergepath_partition_config_static_selectorELNS0_4arch9wavefront6targetE1EEEvSH_ ; -- Begin function _ZN7rocprim17ROCPRIM_400000_NS6detail17trampoline_kernelINS0_14default_configENS1_38merge_sort_block_merge_config_selectorIslEEZZNS1_27merge_sort_block_merge_implIS3_PsN6thrust23THRUST_200600_302600_NS10device_ptrIlEEjNS1_19radix_merge_compareILb0ELb1EsNS0_19identity_decomposerEEEEE10hipError_tT0_T1_T2_jT3_P12ihipStream_tbPNSt15iterator_traitsISG_E10value_typeEPNSM_ISH_E10value_typeEPSI_NS1_7vsmem_tEENKUlT_SG_SH_SI_E_clIS7_S7_PlSB_EESF_SV_SG_SH_SI_EUlSV_E_NS1_11comp_targetILNS1_3genE2ELNS1_11target_archE906ELNS1_3gpuE6ELNS1_3repE0EEENS1_48merge_mergepath_partition_config_static_selectorELNS0_4arch9wavefront6targetE1EEEvSH_
	.globl	_ZN7rocprim17ROCPRIM_400000_NS6detail17trampoline_kernelINS0_14default_configENS1_38merge_sort_block_merge_config_selectorIslEEZZNS1_27merge_sort_block_merge_implIS3_PsN6thrust23THRUST_200600_302600_NS10device_ptrIlEEjNS1_19radix_merge_compareILb0ELb1EsNS0_19identity_decomposerEEEEE10hipError_tT0_T1_T2_jT3_P12ihipStream_tbPNSt15iterator_traitsISG_E10value_typeEPNSM_ISH_E10value_typeEPSI_NS1_7vsmem_tEENKUlT_SG_SH_SI_E_clIS7_S7_PlSB_EESF_SV_SG_SH_SI_EUlSV_E_NS1_11comp_targetILNS1_3genE2ELNS1_11target_archE906ELNS1_3gpuE6ELNS1_3repE0EEENS1_48merge_mergepath_partition_config_static_selectorELNS0_4arch9wavefront6targetE1EEEvSH_
	.p2align	8
	.type	_ZN7rocprim17ROCPRIM_400000_NS6detail17trampoline_kernelINS0_14default_configENS1_38merge_sort_block_merge_config_selectorIslEEZZNS1_27merge_sort_block_merge_implIS3_PsN6thrust23THRUST_200600_302600_NS10device_ptrIlEEjNS1_19radix_merge_compareILb0ELb1EsNS0_19identity_decomposerEEEEE10hipError_tT0_T1_T2_jT3_P12ihipStream_tbPNSt15iterator_traitsISG_E10value_typeEPNSM_ISH_E10value_typeEPSI_NS1_7vsmem_tEENKUlT_SG_SH_SI_E_clIS7_S7_PlSB_EESF_SV_SG_SH_SI_EUlSV_E_NS1_11comp_targetILNS1_3genE2ELNS1_11target_archE906ELNS1_3gpuE6ELNS1_3repE0EEENS1_48merge_mergepath_partition_config_static_selectorELNS0_4arch9wavefront6targetE1EEEvSH_,@function
_ZN7rocprim17ROCPRIM_400000_NS6detail17trampoline_kernelINS0_14default_configENS1_38merge_sort_block_merge_config_selectorIslEEZZNS1_27merge_sort_block_merge_implIS3_PsN6thrust23THRUST_200600_302600_NS10device_ptrIlEEjNS1_19radix_merge_compareILb0ELb1EsNS0_19identity_decomposerEEEEE10hipError_tT0_T1_T2_jT3_P12ihipStream_tbPNSt15iterator_traitsISG_E10value_typeEPNSM_ISH_E10value_typeEPSI_NS1_7vsmem_tEENKUlT_SG_SH_SI_E_clIS7_S7_PlSB_EESF_SV_SG_SH_SI_EUlSV_E_NS1_11comp_targetILNS1_3genE2ELNS1_11target_archE906ELNS1_3gpuE6ELNS1_3repE0EEENS1_48merge_mergepath_partition_config_static_selectorELNS0_4arch9wavefront6targetE1EEEvSH_: ; @_ZN7rocprim17ROCPRIM_400000_NS6detail17trampoline_kernelINS0_14default_configENS1_38merge_sort_block_merge_config_selectorIslEEZZNS1_27merge_sort_block_merge_implIS3_PsN6thrust23THRUST_200600_302600_NS10device_ptrIlEEjNS1_19radix_merge_compareILb0ELb1EsNS0_19identity_decomposerEEEEE10hipError_tT0_T1_T2_jT3_P12ihipStream_tbPNSt15iterator_traitsISG_E10value_typeEPNSM_ISH_E10value_typeEPSI_NS1_7vsmem_tEENKUlT_SG_SH_SI_E_clIS7_S7_PlSB_EESF_SV_SG_SH_SI_EUlSV_E_NS1_11comp_targetILNS1_3genE2ELNS1_11target_archE906ELNS1_3gpuE6ELNS1_3repE0EEENS1_48merge_mergepath_partition_config_static_selectorELNS0_4arch9wavefront6targetE1EEEvSH_
; %bb.0:
	s_load_dword s0, s[4:5], 0x0
	v_lshl_or_b32 v0, s6, 7, v0
	s_waitcnt lgkmcnt(0)
	v_cmp_gt_u32_e32 vcc, s0, v0
	s_and_saveexec_b64 s[0:1], vcc
	s_cbranch_execz .LBB1337_6
; %bb.1:
	s_load_dwordx2 s[2:3], s[4:5], 0x4
	s_load_dwordx2 s[0:1], s[4:5], 0x20
	s_waitcnt lgkmcnt(0)
	s_lshr_b32 s6, s2, 9
	s_and_b32 s6, s6, 0x7ffffe
	s_add_i32 s7, s6, -1
	s_sub_i32 s6, 0, s6
	v_and_b32_e32 v1, s6, v0
	v_lshlrev_b32_e32 v3, 10, v1
	v_min_u32_e32 v1, s3, v3
	v_add_u32_e32 v3, s2, v3
	v_min_u32_e32 v3, s3, v3
	v_add_u32_e32 v4, s2, v3
	v_and_b32_e32 v2, s7, v0
	v_min_u32_e32 v4, s3, v4
	v_sub_u32_e32 v5, v4, v1
	v_lshlrev_b32_e32 v2, 10, v2
	v_min_u32_e32 v6, v5, v2
	v_sub_u32_e32 v2, v3, v1
	v_sub_u32_e32 v4, v4, v3
	v_sub_u32_e64 v5, v6, v4 clamp
	v_min_u32_e32 v7, v6, v2
	v_cmp_lt_u32_e32 vcc, v5, v7
	s_and_saveexec_b64 s[2:3], vcc
	s_cbranch_execz .LBB1337_5
; %bb.2:
	s_load_dwordx2 s[8:9], s[4:5], 0x10
	s_load_dword s6, s[4:5], 0x18
	v_mov_b32_e32 v4, 0
	v_mov_b32_e32 v2, v4
	v_lshlrev_b64 v[8:9], 1, v[1:2]
	s_waitcnt lgkmcnt(0)
	v_mov_b32_e32 v11, s9
	v_add_co_u32_e32 v2, vcc, s8, v8
	v_addc_co_u32_e32 v8, vcc, v11, v9, vcc
	v_lshlrev_b64 v[9:10], 1, v[3:4]
	s_mov_b64 s[4:5], 0
	v_add_co_u32_e32 v9, vcc, s8, v9
	v_addc_co_u32_e32 v10, vcc, v11, v10, vcc
.LBB1337_3:                             ; =>This Inner Loop Header: Depth=1
	v_add_u32_e32 v3, v7, v5
	v_and_b32_e32 v11, -2, v3
	v_lshrrev_b32_e32 v13, 1, v3
	v_add_co_u32_e32 v11, vcc, v2, v11
	v_xad_u32 v3, v13, -1, v6
	v_addc_co_u32_e32 v12, vcc, 0, v8, vcc
	global_load_ushort v14, v[11:12], off
	v_lshlrev_b64 v[11:12], 1, v[3:4]
	v_add_co_u32_e32 v11, vcc, v9, v11
	v_addc_co_u32_e32 v12, vcc, v10, v12, vcc
	global_load_ushort v3, v[11:12], off
	v_add_u32_e32 v11, 1, v13
	s_waitcnt vmcnt(1)
	v_and_b32_e32 v12, s6, v14
	s_waitcnt vmcnt(0)
	v_and_b32_e32 v3, s6, v3
	v_cmp_gt_i16_e32 vcc, v12, v3
	v_cndmask_b32_e32 v7, v7, v13, vcc
	v_cndmask_b32_e32 v5, v11, v5, vcc
	v_cmp_ge_u32_e32 vcc, v5, v7
	s_or_b64 s[4:5], vcc, s[4:5]
	s_andn2_b64 exec, exec, s[4:5]
	s_cbranch_execnz .LBB1337_3
; %bb.4:
	s_or_b64 exec, exec, s[4:5]
.LBB1337_5:
	s_or_b64 exec, exec, s[2:3]
	v_add_u32_e32 v2, v5, v1
	v_mov_b32_e32 v1, 0
	v_lshlrev_b64 v[0:1], 2, v[0:1]
	v_mov_b32_e32 v3, s1
	v_add_co_u32_e32 v0, vcc, s0, v0
	v_addc_co_u32_e32 v1, vcc, v3, v1, vcc
	global_store_dword v[0:1], v2, off
.LBB1337_6:
	s_endpgm
	.section	.rodata,"a",@progbits
	.p2align	6, 0x0
	.amdhsa_kernel _ZN7rocprim17ROCPRIM_400000_NS6detail17trampoline_kernelINS0_14default_configENS1_38merge_sort_block_merge_config_selectorIslEEZZNS1_27merge_sort_block_merge_implIS3_PsN6thrust23THRUST_200600_302600_NS10device_ptrIlEEjNS1_19radix_merge_compareILb0ELb1EsNS0_19identity_decomposerEEEEE10hipError_tT0_T1_T2_jT3_P12ihipStream_tbPNSt15iterator_traitsISG_E10value_typeEPNSM_ISH_E10value_typeEPSI_NS1_7vsmem_tEENKUlT_SG_SH_SI_E_clIS7_S7_PlSB_EESF_SV_SG_SH_SI_EUlSV_E_NS1_11comp_targetILNS1_3genE2ELNS1_11target_archE906ELNS1_3gpuE6ELNS1_3repE0EEENS1_48merge_mergepath_partition_config_static_selectorELNS0_4arch9wavefront6targetE1EEEvSH_
		.amdhsa_group_segment_fixed_size 0
		.amdhsa_private_segment_fixed_size 0
		.amdhsa_kernarg_size 40
		.amdhsa_user_sgpr_count 6
		.amdhsa_user_sgpr_private_segment_buffer 1
		.amdhsa_user_sgpr_dispatch_ptr 0
		.amdhsa_user_sgpr_queue_ptr 0
		.amdhsa_user_sgpr_kernarg_segment_ptr 1
		.amdhsa_user_sgpr_dispatch_id 0
		.amdhsa_user_sgpr_flat_scratch_init 0
		.amdhsa_user_sgpr_private_segment_size 0
		.amdhsa_uses_dynamic_stack 0
		.amdhsa_system_sgpr_private_segment_wavefront_offset 0
		.amdhsa_system_sgpr_workgroup_id_x 1
		.amdhsa_system_sgpr_workgroup_id_y 0
		.amdhsa_system_sgpr_workgroup_id_z 0
		.amdhsa_system_sgpr_workgroup_info 0
		.amdhsa_system_vgpr_workitem_id 0
		.amdhsa_next_free_vgpr 15
		.amdhsa_next_free_sgpr 10
		.amdhsa_reserve_vcc 1
		.amdhsa_reserve_flat_scratch 0
		.amdhsa_float_round_mode_32 0
		.amdhsa_float_round_mode_16_64 0
		.amdhsa_float_denorm_mode_32 3
		.amdhsa_float_denorm_mode_16_64 3
		.amdhsa_dx10_clamp 1
		.amdhsa_ieee_mode 1
		.amdhsa_fp16_overflow 0
		.amdhsa_exception_fp_ieee_invalid_op 0
		.amdhsa_exception_fp_denorm_src 0
		.amdhsa_exception_fp_ieee_div_zero 0
		.amdhsa_exception_fp_ieee_overflow 0
		.amdhsa_exception_fp_ieee_underflow 0
		.amdhsa_exception_fp_ieee_inexact 0
		.amdhsa_exception_int_div_zero 0
	.end_amdhsa_kernel
	.section	.text._ZN7rocprim17ROCPRIM_400000_NS6detail17trampoline_kernelINS0_14default_configENS1_38merge_sort_block_merge_config_selectorIslEEZZNS1_27merge_sort_block_merge_implIS3_PsN6thrust23THRUST_200600_302600_NS10device_ptrIlEEjNS1_19radix_merge_compareILb0ELb1EsNS0_19identity_decomposerEEEEE10hipError_tT0_T1_T2_jT3_P12ihipStream_tbPNSt15iterator_traitsISG_E10value_typeEPNSM_ISH_E10value_typeEPSI_NS1_7vsmem_tEENKUlT_SG_SH_SI_E_clIS7_S7_PlSB_EESF_SV_SG_SH_SI_EUlSV_E_NS1_11comp_targetILNS1_3genE2ELNS1_11target_archE906ELNS1_3gpuE6ELNS1_3repE0EEENS1_48merge_mergepath_partition_config_static_selectorELNS0_4arch9wavefront6targetE1EEEvSH_,"axG",@progbits,_ZN7rocprim17ROCPRIM_400000_NS6detail17trampoline_kernelINS0_14default_configENS1_38merge_sort_block_merge_config_selectorIslEEZZNS1_27merge_sort_block_merge_implIS3_PsN6thrust23THRUST_200600_302600_NS10device_ptrIlEEjNS1_19radix_merge_compareILb0ELb1EsNS0_19identity_decomposerEEEEE10hipError_tT0_T1_T2_jT3_P12ihipStream_tbPNSt15iterator_traitsISG_E10value_typeEPNSM_ISH_E10value_typeEPSI_NS1_7vsmem_tEENKUlT_SG_SH_SI_E_clIS7_S7_PlSB_EESF_SV_SG_SH_SI_EUlSV_E_NS1_11comp_targetILNS1_3genE2ELNS1_11target_archE906ELNS1_3gpuE6ELNS1_3repE0EEENS1_48merge_mergepath_partition_config_static_selectorELNS0_4arch9wavefront6targetE1EEEvSH_,comdat
.Lfunc_end1337:
	.size	_ZN7rocprim17ROCPRIM_400000_NS6detail17trampoline_kernelINS0_14default_configENS1_38merge_sort_block_merge_config_selectorIslEEZZNS1_27merge_sort_block_merge_implIS3_PsN6thrust23THRUST_200600_302600_NS10device_ptrIlEEjNS1_19radix_merge_compareILb0ELb1EsNS0_19identity_decomposerEEEEE10hipError_tT0_T1_T2_jT3_P12ihipStream_tbPNSt15iterator_traitsISG_E10value_typeEPNSM_ISH_E10value_typeEPSI_NS1_7vsmem_tEENKUlT_SG_SH_SI_E_clIS7_S7_PlSB_EESF_SV_SG_SH_SI_EUlSV_E_NS1_11comp_targetILNS1_3genE2ELNS1_11target_archE906ELNS1_3gpuE6ELNS1_3repE0EEENS1_48merge_mergepath_partition_config_static_selectorELNS0_4arch9wavefront6targetE1EEEvSH_, .Lfunc_end1337-_ZN7rocprim17ROCPRIM_400000_NS6detail17trampoline_kernelINS0_14default_configENS1_38merge_sort_block_merge_config_selectorIslEEZZNS1_27merge_sort_block_merge_implIS3_PsN6thrust23THRUST_200600_302600_NS10device_ptrIlEEjNS1_19radix_merge_compareILb0ELb1EsNS0_19identity_decomposerEEEEE10hipError_tT0_T1_T2_jT3_P12ihipStream_tbPNSt15iterator_traitsISG_E10value_typeEPNSM_ISH_E10value_typeEPSI_NS1_7vsmem_tEENKUlT_SG_SH_SI_E_clIS7_S7_PlSB_EESF_SV_SG_SH_SI_EUlSV_E_NS1_11comp_targetILNS1_3genE2ELNS1_11target_archE906ELNS1_3gpuE6ELNS1_3repE0EEENS1_48merge_mergepath_partition_config_static_selectorELNS0_4arch9wavefront6targetE1EEEvSH_
                                        ; -- End function
	.set _ZN7rocprim17ROCPRIM_400000_NS6detail17trampoline_kernelINS0_14default_configENS1_38merge_sort_block_merge_config_selectorIslEEZZNS1_27merge_sort_block_merge_implIS3_PsN6thrust23THRUST_200600_302600_NS10device_ptrIlEEjNS1_19radix_merge_compareILb0ELb1EsNS0_19identity_decomposerEEEEE10hipError_tT0_T1_T2_jT3_P12ihipStream_tbPNSt15iterator_traitsISG_E10value_typeEPNSM_ISH_E10value_typeEPSI_NS1_7vsmem_tEENKUlT_SG_SH_SI_E_clIS7_S7_PlSB_EESF_SV_SG_SH_SI_EUlSV_E_NS1_11comp_targetILNS1_3genE2ELNS1_11target_archE906ELNS1_3gpuE6ELNS1_3repE0EEENS1_48merge_mergepath_partition_config_static_selectorELNS0_4arch9wavefront6targetE1EEEvSH_.num_vgpr, 15
	.set _ZN7rocprim17ROCPRIM_400000_NS6detail17trampoline_kernelINS0_14default_configENS1_38merge_sort_block_merge_config_selectorIslEEZZNS1_27merge_sort_block_merge_implIS3_PsN6thrust23THRUST_200600_302600_NS10device_ptrIlEEjNS1_19radix_merge_compareILb0ELb1EsNS0_19identity_decomposerEEEEE10hipError_tT0_T1_T2_jT3_P12ihipStream_tbPNSt15iterator_traitsISG_E10value_typeEPNSM_ISH_E10value_typeEPSI_NS1_7vsmem_tEENKUlT_SG_SH_SI_E_clIS7_S7_PlSB_EESF_SV_SG_SH_SI_EUlSV_E_NS1_11comp_targetILNS1_3genE2ELNS1_11target_archE906ELNS1_3gpuE6ELNS1_3repE0EEENS1_48merge_mergepath_partition_config_static_selectorELNS0_4arch9wavefront6targetE1EEEvSH_.num_agpr, 0
	.set _ZN7rocprim17ROCPRIM_400000_NS6detail17trampoline_kernelINS0_14default_configENS1_38merge_sort_block_merge_config_selectorIslEEZZNS1_27merge_sort_block_merge_implIS3_PsN6thrust23THRUST_200600_302600_NS10device_ptrIlEEjNS1_19radix_merge_compareILb0ELb1EsNS0_19identity_decomposerEEEEE10hipError_tT0_T1_T2_jT3_P12ihipStream_tbPNSt15iterator_traitsISG_E10value_typeEPNSM_ISH_E10value_typeEPSI_NS1_7vsmem_tEENKUlT_SG_SH_SI_E_clIS7_S7_PlSB_EESF_SV_SG_SH_SI_EUlSV_E_NS1_11comp_targetILNS1_3genE2ELNS1_11target_archE906ELNS1_3gpuE6ELNS1_3repE0EEENS1_48merge_mergepath_partition_config_static_selectorELNS0_4arch9wavefront6targetE1EEEvSH_.numbered_sgpr, 10
	.set _ZN7rocprim17ROCPRIM_400000_NS6detail17trampoline_kernelINS0_14default_configENS1_38merge_sort_block_merge_config_selectorIslEEZZNS1_27merge_sort_block_merge_implIS3_PsN6thrust23THRUST_200600_302600_NS10device_ptrIlEEjNS1_19radix_merge_compareILb0ELb1EsNS0_19identity_decomposerEEEEE10hipError_tT0_T1_T2_jT3_P12ihipStream_tbPNSt15iterator_traitsISG_E10value_typeEPNSM_ISH_E10value_typeEPSI_NS1_7vsmem_tEENKUlT_SG_SH_SI_E_clIS7_S7_PlSB_EESF_SV_SG_SH_SI_EUlSV_E_NS1_11comp_targetILNS1_3genE2ELNS1_11target_archE906ELNS1_3gpuE6ELNS1_3repE0EEENS1_48merge_mergepath_partition_config_static_selectorELNS0_4arch9wavefront6targetE1EEEvSH_.num_named_barrier, 0
	.set _ZN7rocprim17ROCPRIM_400000_NS6detail17trampoline_kernelINS0_14default_configENS1_38merge_sort_block_merge_config_selectorIslEEZZNS1_27merge_sort_block_merge_implIS3_PsN6thrust23THRUST_200600_302600_NS10device_ptrIlEEjNS1_19radix_merge_compareILb0ELb1EsNS0_19identity_decomposerEEEEE10hipError_tT0_T1_T2_jT3_P12ihipStream_tbPNSt15iterator_traitsISG_E10value_typeEPNSM_ISH_E10value_typeEPSI_NS1_7vsmem_tEENKUlT_SG_SH_SI_E_clIS7_S7_PlSB_EESF_SV_SG_SH_SI_EUlSV_E_NS1_11comp_targetILNS1_3genE2ELNS1_11target_archE906ELNS1_3gpuE6ELNS1_3repE0EEENS1_48merge_mergepath_partition_config_static_selectorELNS0_4arch9wavefront6targetE1EEEvSH_.private_seg_size, 0
	.set _ZN7rocprim17ROCPRIM_400000_NS6detail17trampoline_kernelINS0_14default_configENS1_38merge_sort_block_merge_config_selectorIslEEZZNS1_27merge_sort_block_merge_implIS3_PsN6thrust23THRUST_200600_302600_NS10device_ptrIlEEjNS1_19radix_merge_compareILb0ELb1EsNS0_19identity_decomposerEEEEE10hipError_tT0_T1_T2_jT3_P12ihipStream_tbPNSt15iterator_traitsISG_E10value_typeEPNSM_ISH_E10value_typeEPSI_NS1_7vsmem_tEENKUlT_SG_SH_SI_E_clIS7_S7_PlSB_EESF_SV_SG_SH_SI_EUlSV_E_NS1_11comp_targetILNS1_3genE2ELNS1_11target_archE906ELNS1_3gpuE6ELNS1_3repE0EEENS1_48merge_mergepath_partition_config_static_selectorELNS0_4arch9wavefront6targetE1EEEvSH_.uses_vcc, 1
	.set _ZN7rocprim17ROCPRIM_400000_NS6detail17trampoline_kernelINS0_14default_configENS1_38merge_sort_block_merge_config_selectorIslEEZZNS1_27merge_sort_block_merge_implIS3_PsN6thrust23THRUST_200600_302600_NS10device_ptrIlEEjNS1_19radix_merge_compareILb0ELb1EsNS0_19identity_decomposerEEEEE10hipError_tT0_T1_T2_jT3_P12ihipStream_tbPNSt15iterator_traitsISG_E10value_typeEPNSM_ISH_E10value_typeEPSI_NS1_7vsmem_tEENKUlT_SG_SH_SI_E_clIS7_S7_PlSB_EESF_SV_SG_SH_SI_EUlSV_E_NS1_11comp_targetILNS1_3genE2ELNS1_11target_archE906ELNS1_3gpuE6ELNS1_3repE0EEENS1_48merge_mergepath_partition_config_static_selectorELNS0_4arch9wavefront6targetE1EEEvSH_.uses_flat_scratch, 0
	.set _ZN7rocprim17ROCPRIM_400000_NS6detail17trampoline_kernelINS0_14default_configENS1_38merge_sort_block_merge_config_selectorIslEEZZNS1_27merge_sort_block_merge_implIS3_PsN6thrust23THRUST_200600_302600_NS10device_ptrIlEEjNS1_19radix_merge_compareILb0ELb1EsNS0_19identity_decomposerEEEEE10hipError_tT0_T1_T2_jT3_P12ihipStream_tbPNSt15iterator_traitsISG_E10value_typeEPNSM_ISH_E10value_typeEPSI_NS1_7vsmem_tEENKUlT_SG_SH_SI_E_clIS7_S7_PlSB_EESF_SV_SG_SH_SI_EUlSV_E_NS1_11comp_targetILNS1_3genE2ELNS1_11target_archE906ELNS1_3gpuE6ELNS1_3repE0EEENS1_48merge_mergepath_partition_config_static_selectorELNS0_4arch9wavefront6targetE1EEEvSH_.has_dyn_sized_stack, 0
	.set _ZN7rocprim17ROCPRIM_400000_NS6detail17trampoline_kernelINS0_14default_configENS1_38merge_sort_block_merge_config_selectorIslEEZZNS1_27merge_sort_block_merge_implIS3_PsN6thrust23THRUST_200600_302600_NS10device_ptrIlEEjNS1_19radix_merge_compareILb0ELb1EsNS0_19identity_decomposerEEEEE10hipError_tT0_T1_T2_jT3_P12ihipStream_tbPNSt15iterator_traitsISG_E10value_typeEPNSM_ISH_E10value_typeEPSI_NS1_7vsmem_tEENKUlT_SG_SH_SI_E_clIS7_S7_PlSB_EESF_SV_SG_SH_SI_EUlSV_E_NS1_11comp_targetILNS1_3genE2ELNS1_11target_archE906ELNS1_3gpuE6ELNS1_3repE0EEENS1_48merge_mergepath_partition_config_static_selectorELNS0_4arch9wavefront6targetE1EEEvSH_.has_recursion, 0
	.set _ZN7rocprim17ROCPRIM_400000_NS6detail17trampoline_kernelINS0_14default_configENS1_38merge_sort_block_merge_config_selectorIslEEZZNS1_27merge_sort_block_merge_implIS3_PsN6thrust23THRUST_200600_302600_NS10device_ptrIlEEjNS1_19radix_merge_compareILb0ELb1EsNS0_19identity_decomposerEEEEE10hipError_tT0_T1_T2_jT3_P12ihipStream_tbPNSt15iterator_traitsISG_E10value_typeEPNSM_ISH_E10value_typeEPSI_NS1_7vsmem_tEENKUlT_SG_SH_SI_E_clIS7_S7_PlSB_EESF_SV_SG_SH_SI_EUlSV_E_NS1_11comp_targetILNS1_3genE2ELNS1_11target_archE906ELNS1_3gpuE6ELNS1_3repE0EEENS1_48merge_mergepath_partition_config_static_selectorELNS0_4arch9wavefront6targetE1EEEvSH_.has_indirect_call, 0
	.section	.AMDGPU.csdata,"",@progbits
; Kernel info:
; codeLenInByte = 372
; TotalNumSgprs: 14
; NumVgprs: 15
; ScratchSize: 0
; MemoryBound: 0
; FloatMode: 240
; IeeeMode: 1
; LDSByteSize: 0 bytes/workgroup (compile time only)
; SGPRBlocks: 1
; VGPRBlocks: 3
; NumSGPRsForWavesPerEU: 14
; NumVGPRsForWavesPerEU: 15
; Occupancy: 10
; WaveLimiterHint : 0
; COMPUTE_PGM_RSRC2:SCRATCH_EN: 0
; COMPUTE_PGM_RSRC2:USER_SGPR: 6
; COMPUTE_PGM_RSRC2:TRAP_HANDLER: 0
; COMPUTE_PGM_RSRC2:TGID_X_EN: 1
; COMPUTE_PGM_RSRC2:TGID_Y_EN: 0
; COMPUTE_PGM_RSRC2:TGID_Z_EN: 0
; COMPUTE_PGM_RSRC2:TIDIG_COMP_CNT: 0
	.section	.text._ZN7rocprim17ROCPRIM_400000_NS6detail17trampoline_kernelINS0_14default_configENS1_38merge_sort_block_merge_config_selectorIslEEZZNS1_27merge_sort_block_merge_implIS3_PsN6thrust23THRUST_200600_302600_NS10device_ptrIlEEjNS1_19radix_merge_compareILb0ELb1EsNS0_19identity_decomposerEEEEE10hipError_tT0_T1_T2_jT3_P12ihipStream_tbPNSt15iterator_traitsISG_E10value_typeEPNSM_ISH_E10value_typeEPSI_NS1_7vsmem_tEENKUlT_SG_SH_SI_E_clIS7_S7_PlSB_EESF_SV_SG_SH_SI_EUlSV_E_NS1_11comp_targetILNS1_3genE9ELNS1_11target_archE1100ELNS1_3gpuE3ELNS1_3repE0EEENS1_48merge_mergepath_partition_config_static_selectorELNS0_4arch9wavefront6targetE1EEEvSH_,"axG",@progbits,_ZN7rocprim17ROCPRIM_400000_NS6detail17trampoline_kernelINS0_14default_configENS1_38merge_sort_block_merge_config_selectorIslEEZZNS1_27merge_sort_block_merge_implIS3_PsN6thrust23THRUST_200600_302600_NS10device_ptrIlEEjNS1_19radix_merge_compareILb0ELb1EsNS0_19identity_decomposerEEEEE10hipError_tT0_T1_T2_jT3_P12ihipStream_tbPNSt15iterator_traitsISG_E10value_typeEPNSM_ISH_E10value_typeEPSI_NS1_7vsmem_tEENKUlT_SG_SH_SI_E_clIS7_S7_PlSB_EESF_SV_SG_SH_SI_EUlSV_E_NS1_11comp_targetILNS1_3genE9ELNS1_11target_archE1100ELNS1_3gpuE3ELNS1_3repE0EEENS1_48merge_mergepath_partition_config_static_selectorELNS0_4arch9wavefront6targetE1EEEvSH_,comdat
	.protected	_ZN7rocprim17ROCPRIM_400000_NS6detail17trampoline_kernelINS0_14default_configENS1_38merge_sort_block_merge_config_selectorIslEEZZNS1_27merge_sort_block_merge_implIS3_PsN6thrust23THRUST_200600_302600_NS10device_ptrIlEEjNS1_19radix_merge_compareILb0ELb1EsNS0_19identity_decomposerEEEEE10hipError_tT0_T1_T2_jT3_P12ihipStream_tbPNSt15iterator_traitsISG_E10value_typeEPNSM_ISH_E10value_typeEPSI_NS1_7vsmem_tEENKUlT_SG_SH_SI_E_clIS7_S7_PlSB_EESF_SV_SG_SH_SI_EUlSV_E_NS1_11comp_targetILNS1_3genE9ELNS1_11target_archE1100ELNS1_3gpuE3ELNS1_3repE0EEENS1_48merge_mergepath_partition_config_static_selectorELNS0_4arch9wavefront6targetE1EEEvSH_ ; -- Begin function _ZN7rocprim17ROCPRIM_400000_NS6detail17trampoline_kernelINS0_14default_configENS1_38merge_sort_block_merge_config_selectorIslEEZZNS1_27merge_sort_block_merge_implIS3_PsN6thrust23THRUST_200600_302600_NS10device_ptrIlEEjNS1_19radix_merge_compareILb0ELb1EsNS0_19identity_decomposerEEEEE10hipError_tT0_T1_T2_jT3_P12ihipStream_tbPNSt15iterator_traitsISG_E10value_typeEPNSM_ISH_E10value_typeEPSI_NS1_7vsmem_tEENKUlT_SG_SH_SI_E_clIS7_S7_PlSB_EESF_SV_SG_SH_SI_EUlSV_E_NS1_11comp_targetILNS1_3genE9ELNS1_11target_archE1100ELNS1_3gpuE3ELNS1_3repE0EEENS1_48merge_mergepath_partition_config_static_selectorELNS0_4arch9wavefront6targetE1EEEvSH_
	.globl	_ZN7rocprim17ROCPRIM_400000_NS6detail17trampoline_kernelINS0_14default_configENS1_38merge_sort_block_merge_config_selectorIslEEZZNS1_27merge_sort_block_merge_implIS3_PsN6thrust23THRUST_200600_302600_NS10device_ptrIlEEjNS1_19radix_merge_compareILb0ELb1EsNS0_19identity_decomposerEEEEE10hipError_tT0_T1_T2_jT3_P12ihipStream_tbPNSt15iterator_traitsISG_E10value_typeEPNSM_ISH_E10value_typeEPSI_NS1_7vsmem_tEENKUlT_SG_SH_SI_E_clIS7_S7_PlSB_EESF_SV_SG_SH_SI_EUlSV_E_NS1_11comp_targetILNS1_3genE9ELNS1_11target_archE1100ELNS1_3gpuE3ELNS1_3repE0EEENS1_48merge_mergepath_partition_config_static_selectorELNS0_4arch9wavefront6targetE1EEEvSH_
	.p2align	8
	.type	_ZN7rocprim17ROCPRIM_400000_NS6detail17trampoline_kernelINS0_14default_configENS1_38merge_sort_block_merge_config_selectorIslEEZZNS1_27merge_sort_block_merge_implIS3_PsN6thrust23THRUST_200600_302600_NS10device_ptrIlEEjNS1_19radix_merge_compareILb0ELb1EsNS0_19identity_decomposerEEEEE10hipError_tT0_T1_T2_jT3_P12ihipStream_tbPNSt15iterator_traitsISG_E10value_typeEPNSM_ISH_E10value_typeEPSI_NS1_7vsmem_tEENKUlT_SG_SH_SI_E_clIS7_S7_PlSB_EESF_SV_SG_SH_SI_EUlSV_E_NS1_11comp_targetILNS1_3genE9ELNS1_11target_archE1100ELNS1_3gpuE3ELNS1_3repE0EEENS1_48merge_mergepath_partition_config_static_selectorELNS0_4arch9wavefront6targetE1EEEvSH_,@function
_ZN7rocprim17ROCPRIM_400000_NS6detail17trampoline_kernelINS0_14default_configENS1_38merge_sort_block_merge_config_selectorIslEEZZNS1_27merge_sort_block_merge_implIS3_PsN6thrust23THRUST_200600_302600_NS10device_ptrIlEEjNS1_19radix_merge_compareILb0ELb1EsNS0_19identity_decomposerEEEEE10hipError_tT0_T1_T2_jT3_P12ihipStream_tbPNSt15iterator_traitsISG_E10value_typeEPNSM_ISH_E10value_typeEPSI_NS1_7vsmem_tEENKUlT_SG_SH_SI_E_clIS7_S7_PlSB_EESF_SV_SG_SH_SI_EUlSV_E_NS1_11comp_targetILNS1_3genE9ELNS1_11target_archE1100ELNS1_3gpuE3ELNS1_3repE0EEENS1_48merge_mergepath_partition_config_static_selectorELNS0_4arch9wavefront6targetE1EEEvSH_: ; @_ZN7rocprim17ROCPRIM_400000_NS6detail17trampoline_kernelINS0_14default_configENS1_38merge_sort_block_merge_config_selectorIslEEZZNS1_27merge_sort_block_merge_implIS3_PsN6thrust23THRUST_200600_302600_NS10device_ptrIlEEjNS1_19radix_merge_compareILb0ELb1EsNS0_19identity_decomposerEEEEE10hipError_tT0_T1_T2_jT3_P12ihipStream_tbPNSt15iterator_traitsISG_E10value_typeEPNSM_ISH_E10value_typeEPSI_NS1_7vsmem_tEENKUlT_SG_SH_SI_E_clIS7_S7_PlSB_EESF_SV_SG_SH_SI_EUlSV_E_NS1_11comp_targetILNS1_3genE9ELNS1_11target_archE1100ELNS1_3gpuE3ELNS1_3repE0EEENS1_48merge_mergepath_partition_config_static_selectorELNS0_4arch9wavefront6targetE1EEEvSH_
; %bb.0:
	.section	.rodata,"a",@progbits
	.p2align	6, 0x0
	.amdhsa_kernel _ZN7rocprim17ROCPRIM_400000_NS6detail17trampoline_kernelINS0_14default_configENS1_38merge_sort_block_merge_config_selectorIslEEZZNS1_27merge_sort_block_merge_implIS3_PsN6thrust23THRUST_200600_302600_NS10device_ptrIlEEjNS1_19radix_merge_compareILb0ELb1EsNS0_19identity_decomposerEEEEE10hipError_tT0_T1_T2_jT3_P12ihipStream_tbPNSt15iterator_traitsISG_E10value_typeEPNSM_ISH_E10value_typeEPSI_NS1_7vsmem_tEENKUlT_SG_SH_SI_E_clIS7_S7_PlSB_EESF_SV_SG_SH_SI_EUlSV_E_NS1_11comp_targetILNS1_3genE9ELNS1_11target_archE1100ELNS1_3gpuE3ELNS1_3repE0EEENS1_48merge_mergepath_partition_config_static_selectorELNS0_4arch9wavefront6targetE1EEEvSH_
		.amdhsa_group_segment_fixed_size 0
		.amdhsa_private_segment_fixed_size 0
		.amdhsa_kernarg_size 40
		.amdhsa_user_sgpr_count 6
		.amdhsa_user_sgpr_private_segment_buffer 1
		.amdhsa_user_sgpr_dispatch_ptr 0
		.amdhsa_user_sgpr_queue_ptr 0
		.amdhsa_user_sgpr_kernarg_segment_ptr 1
		.amdhsa_user_sgpr_dispatch_id 0
		.amdhsa_user_sgpr_flat_scratch_init 0
		.amdhsa_user_sgpr_private_segment_size 0
		.amdhsa_uses_dynamic_stack 0
		.amdhsa_system_sgpr_private_segment_wavefront_offset 0
		.amdhsa_system_sgpr_workgroup_id_x 1
		.amdhsa_system_sgpr_workgroup_id_y 0
		.amdhsa_system_sgpr_workgroup_id_z 0
		.amdhsa_system_sgpr_workgroup_info 0
		.amdhsa_system_vgpr_workitem_id 0
		.amdhsa_next_free_vgpr 1
		.amdhsa_next_free_sgpr 0
		.amdhsa_reserve_vcc 0
		.amdhsa_reserve_flat_scratch 0
		.amdhsa_float_round_mode_32 0
		.amdhsa_float_round_mode_16_64 0
		.amdhsa_float_denorm_mode_32 3
		.amdhsa_float_denorm_mode_16_64 3
		.amdhsa_dx10_clamp 1
		.amdhsa_ieee_mode 1
		.amdhsa_fp16_overflow 0
		.amdhsa_exception_fp_ieee_invalid_op 0
		.amdhsa_exception_fp_denorm_src 0
		.amdhsa_exception_fp_ieee_div_zero 0
		.amdhsa_exception_fp_ieee_overflow 0
		.amdhsa_exception_fp_ieee_underflow 0
		.amdhsa_exception_fp_ieee_inexact 0
		.amdhsa_exception_int_div_zero 0
	.end_amdhsa_kernel
	.section	.text._ZN7rocprim17ROCPRIM_400000_NS6detail17trampoline_kernelINS0_14default_configENS1_38merge_sort_block_merge_config_selectorIslEEZZNS1_27merge_sort_block_merge_implIS3_PsN6thrust23THRUST_200600_302600_NS10device_ptrIlEEjNS1_19radix_merge_compareILb0ELb1EsNS0_19identity_decomposerEEEEE10hipError_tT0_T1_T2_jT3_P12ihipStream_tbPNSt15iterator_traitsISG_E10value_typeEPNSM_ISH_E10value_typeEPSI_NS1_7vsmem_tEENKUlT_SG_SH_SI_E_clIS7_S7_PlSB_EESF_SV_SG_SH_SI_EUlSV_E_NS1_11comp_targetILNS1_3genE9ELNS1_11target_archE1100ELNS1_3gpuE3ELNS1_3repE0EEENS1_48merge_mergepath_partition_config_static_selectorELNS0_4arch9wavefront6targetE1EEEvSH_,"axG",@progbits,_ZN7rocprim17ROCPRIM_400000_NS6detail17trampoline_kernelINS0_14default_configENS1_38merge_sort_block_merge_config_selectorIslEEZZNS1_27merge_sort_block_merge_implIS3_PsN6thrust23THRUST_200600_302600_NS10device_ptrIlEEjNS1_19radix_merge_compareILb0ELb1EsNS0_19identity_decomposerEEEEE10hipError_tT0_T1_T2_jT3_P12ihipStream_tbPNSt15iterator_traitsISG_E10value_typeEPNSM_ISH_E10value_typeEPSI_NS1_7vsmem_tEENKUlT_SG_SH_SI_E_clIS7_S7_PlSB_EESF_SV_SG_SH_SI_EUlSV_E_NS1_11comp_targetILNS1_3genE9ELNS1_11target_archE1100ELNS1_3gpuE3ELNS1_3repE0EEENS1_48merge_mergepath_partition_config_static_selectorELNS0_4arch9wavefront6targetE1EEEvSH_,comdat
.Lfunc_end1338:
	.size	_ZN7rocprim17ROCPRIM_400000_NS6detail17trampoline_kernelINS0_14default_configENS1_38merge_sort_block_merge_config_selectorIslEEZZNS1_27merge_sort_block_merge_implIS3_PsN6thrust23THRUST_200600_302600_NS10device_ptrIlEEjNS1_19radix_merge_compareILb0ELb1EsNS0_19identity_decomposerEEEEE10hipError_tT0_T1_T2_jT3_P12ihipStream_tbPNSt15iterator_traitsISG_E10value_typeEPNSM_ISH_E10value_typeEPSI_NS1_7vsmem_tEENKUlT_SG_SH_SI_E_clIS7_S7_PlSB_EESF_SV_SG_SH_SI_EUlSV_E_NS1_11comp_targetILNS1_3genE9ELNS1_11target_archE1100ELNS1_3gpuE3ELNS1_3repE0EEENS1_48merge_mergepath_partition_config_static_selectorELNS0_4arch9wavefront6targetE1EEEvSH_, .Lfunc_end1338-_ZN7rocprim17ROCPRIM_400000_NS6detail17trampoline_kernelINS0_14default_configENS1_38merge_sort_block_merge_config_selectorIslEEZZNS1_27merge_sort_block_merge_implIS3_PsN6thrust23THRUST_200600_302600_NS10device_ptrIlEEjNS1_19radix_merge_compareILb0ELb1EsNS0_19identity_decomposerEEEEE10hipError_tT0_T1_T2_jT3_P12ihipStream_tbPNSt15iterator_traitsISG_E10value_typeEPNSM_ISH_E10value_typeEPSI_NS1_7vsmem_tEENKUlT_SG_SH_SI_E_clIS7_S7_PlSB_EESF_SV_SG_SH_SI_EUlSV_E_NS1_11comp_targetILNS1_3genE9ELNS1_11target_archE1100ELNS1_3gpuE3ELNS1_3repE0EEENS1_48merge_mergepath_partition_config_static_selectorELNS0_4arch9wavefront6targetE1EEEvSH_
                                        ; -- End function
	.set _ZN7rocprim17ROCPRIM_400000_NS6detail17trampoline_kernelINS0_14default_configENS1_38merge_sort_block_merge_config_selectorIslEEZZNS1_27merge_sort_block_merge_implIS3_PsN6thrust23THRUST_200600_302600_NS10device_ptrIlEEjNS1_19radix_merge_compareILb0ELb1EsNS0_19identity_decomposerEEEEE10hipError_tT0_T1_T2_jT3_P12ihipStream_tbPNSt15iterator_traitsISG_E10value_typeEPNSM_ISH_E10value_typeEPSI_NS1_7vsmem_tEENKUlT_SG_SH_SI_E_clIS7_S7_PlSB_EESF_SV_SG_SH_SI_EUlSV_E_NS1_11comp_targetILNS1_3genE9ELNS1_11target_archE1100ELNS1_3gpuE3ELNS1_3repE0EEENS1_48merge_mergepath_partition_config_static_selectorELNS0_4arch9wavefront6targetE1EEEvSH_.num_vgpr, 0
	.set _ZN7rocprim17ROCPRIM_400000_NS6detail17trampoline_kernelINS0_14default_configENS1_38merge_sort_block_merge_config_selectorIslEEZZNS1_27merge_sort_block_merge_implIS3_PsN6thrust23THRUST_200600_302600_NS10device_ptrIlEEjNS1_19radix_merge_compareILb0ELb1EsNS0_19identity_decomposerEEEEE10hipError_tT0_T1_T2_jT3_P12ihipStream_tbPNSt15iterator_traitsISG_E10value_typeEPNSM_ISH_E10value_typeEPSI_NS1_7vsmem_tEENKUlT_SG_SH_SI_E_clIS7_S7_PlSB_EESF_SV_SG_SH_SI_EUlSV_E_NS1_11comp_targetILNS1_3genE9ELNS1_11target_archE1100ELNS1_3gpuE3ELNS1_3repE0EEENS1_48merge_mergepath_partition_config_static_selectorELNS0_4arch9wavefront6targetE1EEEvSH_.num_agpr, 0
	.set _ZN7rocprim17ROCPRIM_400000_NS6detail17trampoline_kernelINS0_14default_configENS1_38merge_sort_block_merge_config_selectorIslEEZZNS1_27merge_sort_block_merge_implIS3_PsN6thrust23THRUST_200600_302600_NS10device_ptrIlEEjNS1_19radix_merge_compareILb0ELb1EsNS0_19identity_decomposerEEEEE10hipError_tT0_T1_T2_jT3_P12ihipStream_tbPNSt15iterator_traitsISG_E10value_typeEPNSM_ISH_E10value_typeEPSI_NS1_7vsmem_tEENKUlT_SG_SH_SI_E_clIS7_S7_PlSB_EESF_SV_SG_SH_SI_EUlSV_E_NS1_11comp_targetILNS1_3genE9ELNS1_11target_archE1100ELNS1_3gpuE3ELNS1_3repE0EEENS1_48merge_mergepath_partition_config_static_selectorELNS0_4arch9wavefront6targetE1EEEvSH_.numbered_sgpr, 0
	.set _ZN7rocprim17ROCPRIM_400000_NS6detail17trampoline_kernelINS0_14default_configENS1_38merge_sort_block_merge_config_selectorIslEEZZNS1_27merge_sort_block_merge_implIS3_PsN6thrust23THRUST_200600_302600_NS10device_ptrIlEEjNS1_19radix_merge_compareILb0ELb1EsNS0_19identity_decomposerEEEEE10hipError_tT0_T1_T2_jT3_P12ihipStream_tbPNSt15iterator_traitsISG_E10value_typeEPNSM_ISH_E10value_typeEPSI_NS1_7vsmem_tEENKUlT_SG_SH_SI_E_clIS7_S7_PlSB_EESF_SV_SG_SH_SI_EUlSV_E_NS1_11comp_targetILNS1_3genE9ELNS1_11target_archE1100ELNS1_3gpuE3ELNS1_3repE0EEENS1_48merge_mergepath_partition_config_static_selectorELNS0_4arch9wavefront6targetE1EEEvSH_.num_named_barrier, 0
	.set _ZN7rocprim17ROCPRIM_400000_NS6detail17trampoline_kernelINS0_14default_configENS1_38merge_sort_block_merge_config_selectorIslEEZZNS1_27merge_sort_block_merge_implIS3_PsN6thrust23THRUST_200600_302600_NS10device_ptrIlEEjNS1_19radix_merge_compareILb0ELb1EsNS0_19identity_decomposerEEEEE10hipError_tT0_T1_T2_jT3_P12ihipStream_tbPNSt15iterator_traitsISG_E10value_typeEPNSM_ISH_E10value_typeEPSI_NS1_7vsmem_tEENKUlT_SG_SH_SI_E_clIS7_S7_PlSB_EESF_SV_SG_SH_SI_EUlSV_E_NS1_11comp_targetILNS1_3genE9ELNS1_11target_archE1100ELNS1_3gpuE3ELNS1_3repE0EEENS1_48merge_mergepath_partition_config_static_selectorELNS0_4arch9wavefront6targetE1EEEvSH_.private_seg_size, 0
	.set _ZN7rocprim17ROCPRIM_400000_NS6detail17trampoline_kernelINS0_14default_configENS1_38merge_sort_block_merge_config_selectorIslEEZZNS1_27merge_sort_block_merge_implIS3_PsN6thrust23THRUST_200600_302600_NS10device_ptrIlEEjNS1_19radix_merge_compareILb0ELb1EsNS0_19identity_decomposerEEEEE10hipError_tT0_T1_T2_jT3_P12ihipStream_tbPNSt15iterator_traitsISG_E10value_typeEPNSM_ISH_E10value_typeEPSI_NS1_7vsmem_tEENKUlT_SG_SH_SI_E_clIS7_S7_PlSB_EESF_SV_SG_SH_SI_EUlSV_E_NS1_11comp_targetILNS1_3genE9ELNS1_11target_archE1100ELNS1_3gpuE3ELNS1_3repE0EEENS1_48merge_mergepath_partition_config_static_selectorELNS0_4arch9wavefront6targetE1EEEvSH_.uses_vcc, 0
	.set _ZN7rocprim17ROCPRIM_400000_NS6detail17trampoline_kernelINS0_14default_configENS1_38merge_sort_block_merge_config_selectorIslEEZZNS1_27merge_sort_block_merge_implIS3_PsN6thrust23THRUST_200600_302600_NS10device_ptrIlEEjNS1_19radix_merge_compareILb0ELb1EsNS0_19identity_decomposerEEEEE10hipError_tT0_T1_T2_jT3_P12ihipStream_tbPNSt15iterator_traitsISG_E10value_typeEPNSM_ISH_E10value_typeEPSI_NS1_7vsmem_tEENKUlT_SG_SH_SI_E_clIS7_S7_PlSB_EESF_SV_SG_SH_SI_EUlSV_E_NS1_11comp_targetILNS1_3genE9ELNS1_11target_archE1100ELNS1_3gpuE3ELNS1_3repE0EEENS1_48merge_mergepath_partition_config_static_selectorELNS0_4arch9wavefront6targetE1EEEvSH_.uses_flat_scratch, 0
	.set _ZN7rocprim17ROCPRIM_400000_NS6detail17trampoline_kernelINS0_14default_configENS1_38merge_sort_block_merge_config_selectorIslEEZZNS1_27merge_sort_block_merge_implIS3_PsN6thrust23THRUST_200600_302600_NS10device_ptrIlEEjNS1_19radix_merge_compareILb0ELb1EsNS0_19identity_decomposerEEEEE10hipError_tT0_T1_T2_jT3_P12ihipStream_tbPNSt15iterator_traitsISG_E10value_typeEPNSM_ISH_E10value_typeEPSI_NS1_7vsmem_tEENKUlT_SG_SH_SI_E_clIS7_S7_PlSB_EESF_SV_SG_SH_SI_EUlSV_E_NS1_11comp_targetILNS1_3genE9ELNS1_11target_archE1100ELNS1_3gpuE3ELNS1_3repE0EEENS1_48merge_mergepath_partition_config_static_selectorELNS0_4arch9wavefront6targetE1EEEvSH_.has_dyn_sized_stack, 0
	.set _ZN7rocprim17ROCPRIM_400000_NS6detail17trampoline_kernelINS0_14default_configENS1_38merge_sort_block_merge_config_selectorIslEEZZNS1_27merge_sort_block_merge_implIS3_PsN6thrust23THRUST_200600_302600_NS10device_ptrIlEEjNS1_19radix_merge_compareILb0ELb1EsNS0_19identity_decomposerEEEEE10hipError_tT0_T1_T2_jT3_P12ihipStream_tbPNSt15iterator_traitsISG_E10value_typeEPNSM_ISH_E10value_typeEPSI_NS1_7vsmem_tEENKUlT_SG_SH_SI_E_clIS7_S7_PlSB_EESF_SV_SG_SH_SI_EUlSV_E_NS1_11comp_targetILNS1_3genE9ELNS1_11target_archE1100ELNS1_3gpuE3ELNS1_3repE0EEENS1_48merge_mergepath_partition_config_static_selectorELNS0_4arch9wavefront6targetE1EEEvSH_.has_recursion, 0
	.set _ZN7rocprim17ROCPRIM_400000_NS6detail17trampoline_kernelINS0_14default_configENS1_38merge_sort_block_merge_config_selectorIslEEZZNS1_27merge_sort_block_merge_implIS3_PsN6thrust23THRUST_200600_302600_NS10device_ptrIlEEjNS1_19radix_merge_compareILb0ELb1EsNS0_19identity_decomposerEEEEE10hipError_tT0_T1_T2_jT3_P12ihipStream_tbPNSt15iterator_traitsISG_E10value_typeEPNSM_ISH_E10value_typeEPSI_NS1_7vsmem_tEENKUlT_SG_SH_SI_E_clIS7_S7_PlSB_EESF_SV_SG_SH_SI_EUlSV_E_NS1_11comp_targetILNS1_3genE9ELNS1_11target_archE1100ELNS1_3gpuE3ELNS1_3repE0EEENS1_48merge_mergepath_partition_config_static_selectorELNS0_4arch9wavefront6targetE1EEEvSH_.has_indirect_call, 0
	.section	.AMDGPU.csdata,"",@progbits
; Kernel info:
; codeLenInByte = 0
; TotalNumSgprs: 4
; NumVgprs: 0
; ScratchSize: 0
; MemoryBound: 0
; FloatMode: 240
; IeeeMode: 1
; LDSByteSize: 0 bytes/workgroup (compile time only)
; SGPRBlocks: 0
; VGPRBlocks: 0
; NumSGPRsForWavesPerEU: 4
; NumVGPRsForWavesPerEU: 1
; Occupancy: 10
; WaveLimiterHint : 0
; COMPUTE_PGM_RSRC2:SCRATCH_EN: 0
; COMPUTE_PGM_RSRC2:USER_SGPR: 6
; COMPUTE_PGM_RSRC2:TRAP_HANDLER: 0
; COMPUTE_PGM_RSRC2:TGID_X_EN: 1
; COMPUTE_PGM_RSRC2:TGID_Y_EN: 0
; COMPUTE_PGM_RSRC2:TGID_Z_EN: 0
; COMPUTE_PGM_RSRC2:TIDIG_COMP_CNT: 0
	.section	.text._ZN7rocprim17ROCPRIM_400000_NS6detail17trampoline_kernelINS0_14default_configENS1_38merge_sort_block_merge_config_selectorIslEEZZNS1_27merge_sort_block_merge_implIS3_PsN6thrust23THRUST_200600_302600_NS10device_ptrIlEEjNS1_19radix_merge_compareILb0ELb1EsNS0_19identity_decomposerEEEEE10hipError_tT0_T1_T2_jT3_P12ihipStream_tbPNSt15iterator_traitsISG_E10value_typeEPNSM_ISH_E10value_typeEPSI_NS1_7vsmem_tEENKUlT_SG_SH_SI_E_clIS7_S7_PlSB_EESF_SV_SG_SH_SI_EUlSV_E_NS1_11comp_targetILNS1_3genE8ELNS1_11target_archE1030ELNS1_3gpuE2ELNS1_3repE0EEENS1_48merge_mergepath_partition_config_static_selectorELNS0_4arch9wavefront6targetE1EEEvSH_,"axG",@progbits,_ZN7rocprim17ROCPRIM_400000_NS6detail17trampoline_kernelINS0_14default_configENS1_38merge_sort_block_merge_config_selectorIslEEZZNS1_27merge_sort_block_merge_implIS3_PsN6thrust23THRUST_200600_302600_NS10device_ptrIlEEjNS1_19radix_merge_compareILb0ELb1EsNS0_19identity_decomposerEEEEE10hipError_tT0_T1_T2_jT3_P12ihipStream_tbPNSt15iterator_traitsISG_E10value_typeEPNSM_ISH_E10value_typeEPSI_NS1_7vsmem_tEENKUlT_SG_SH_SI_E_clIS7_S7_PlSB_EESF_SV_SG_SH_SI_EUlSV_E_NS1_11comp_targetILNS1_3genE8ELNS1_11target_archE1030ELNS1_3gpuE2ELNS1_3repE0EEENS1_48merge_mergepath_partition_config_static_selectorELNS0_4arch9wavefront6targetE1EEEvSH_,comdat
	.protected	_ZN7rocprim17ROCPRIM_400000_NS6detail17trampoline_kernelINS0_14default_configENS1_38merge_sort_block_merge_config_selectorIslEEZZNS1_27merge_sort_block_merge_implIS3_PsN6thrust23THRUST_200600_302600_NS10device_ptrIlEEjNS1_19radix_merge_compareILb0ELb1EsNS0_19identity_decomposerEEEEE10hipError_tT0_T1_T2_jT3_P12ihipStream_tbPNSt15iterator_traitsISG_E10value_typeEPNSM_ISH_E10value_typeEPSI_NS1_7vsmem_tEENKUlT_SG_SH_SI_E_clIS7_S7_PlSB_EESF_SV_SG_SH_SI_EUlSV_E_NS1_11comp_targetILNS1_3genE8ELNS1_11target_archE1030ELNS1_3gpuE2ELNS1_3repE0EEENS1_48merge_mergepath_partition_config_static_selectorELNS0_4arch9wavefront6targetE1EEEvSH_ ; -- Begin function _ZN7rocprim17ROCPRIM_400000_NS6detail17trampoline_kernelINS0_14default_configENS1_38merge_sort_block_merge_config_selectorIslEEZZNS1_27merge_sort_block_merge_implIS3_PsN6thrust23THRUST_200600_302600_NS10device_ptrIlEEjNS1_19radix_merge_compareILb0ELb1EsNS0_19identity_decomposerEEEEE10hipError_tT0_T1_T2_jT3_P12ihipStream_tbPNSt15iterator_traitsISG_E10value_typeEPNSM_ISH_E10value_typeEPSI_NS1_7vsmem_tEENKUlT_SG_SH_SI_E_clIS7_S7_PlSB_EESF_SV_SG_SH_SI_EUlSV_E_NS1_11comp_targetILNS1_3genE8ELNS1_11target_archE1030ELNS1_3gpuE2ELNS1_3repE0EEENS1_48merge_mergepath_partition_config_static_selectorELNS0_4arch9wavefront6targetE1EEEvSH_
	.globl	_ZN7rocprim17ROCPRIM_400000_NS6detail17trampoline_kernelINS0_14default_configENS1_38merge_sort_block_merge_config_selectorIslEEZZNS1_27merge_sort_block_merge_implIS3_PsN6thrust23THRUST_200600_302600_NS10device_ptrIlEEjNS1_19radix_merge_compareILb0ELb1EsNS0_19identity_decomposerEEEEE10hipError_tT0_T1_T2_jT3_P12ihipStream_tbPNSt15iterator_traitsISG_E10value_typeEPNSM_ISH_E10value_typeEPSI_NS1_7vsmem_tEENKUlT_SG_SH_SI_E_clIS7_S7_PlSB_EESF_SV_SG_SH_SI_EUlSV_E_NS1_11comp_targetILNS1_3genE8ELNS1_11target_archE1030ELNS1_3gpuE2ELNS1_3repE0EEENS1_48merge_mergepath_partition_config_static_selectorELNS0_4arch9wavefront6targetE1EEEvSH_
	.p2align	8
	.type	_ZN7rocprim17ROCPRIM_400000_NS6detail17trampoline_kernelINS0_14default_configENS1_38merge_sort_block_merge_config_selectorIslEEZZNS1_27merge_sort_block_merge_implIS3_PsN6thrust23THRUST_200600_302600_NS10device_ptrIlEEjNS1_19radix_merge_compareILb0ELb1EsNS0_19identity_decomposerEEEEE10hipError_tT0_T1_T2_jT3_P12ihipStream_tbPNSt15iterator_traitsISG_E10value_typeEPNSM_ISH_E10value_typeEPSI_NS1_7vsmem_tEENKUlT_SG_SH_SI_E_clIS7_S7_PlSB_EESF_SV_SG_SH_SI_EUlSV_E_NS1_11comp_targetILNS1_3genE8ELNS1_11target_archE1030ELNS1_3gpuE2ELNS1_3repE0EEENS1_48merge_mergepath_partition_config_static_selectorELNS0_4arch9wavefront6targetE1EEEvSH_,@function
_ZN7rocprim17ROCPRIM_400000_NS6detail17trampoline_kernelINS0_14default_configENS1_38merge_sort_block_merge_config_selectorIslEEZZNS1_27merge_sort_block_merge_implIS3_PsN6thrust23THRUST_200600_302600_NS10device_ptrIlEEjNS1_19radix_merge_compareILb0ELb1EsNS0_19identity_decomposerEEEEE10hipError_tT0_T1_T2_jT3_P12ihipStream_tbPNSt15iterator_traitsISG_E10value_typeEPNSM_ISH_E10value_typeEPSI_NS1_7vsmem_tEENKUlT_SG_SH_SI_E_clIS7_S7_PlSB_EESF_SV_SG_SH_SI_EUlSV_E_NS1_11comp_targetILNS1_3genE8ELNS1_11target_archE1030ELNS1_3gpuE2ELNS1_3repE0EEENS1_48merge_mergepath_partition_config_static_selectorELNS0_4arch9wavefront6targetE1EEEvSH_: ; @_ZN7rocprim17ROCPRIM_400000_NS6detail17trampoline_kernelINS0_14default_configENS1_38merge_sort_block_merge_config_selectorIslEEZZNS1_27merge_sort_block_merge_implIS3_PsN6thrust23THRUST_200600_302600_NS10device_ptrIlEEjNS1_19radix_merge_compareILb0ELb1EsNS0_19identity_decomposerEEEEE10hipError_tT0_T1_T2_jT3_P12ihipStream_tbPNSt15iterator_traitsISG_E10value_typeEPNSM_ISH_E10value_typeEPSI_NS1_7vsmem_tEENKUlT_SG_SH_SI_E_clIS7_S7_PlSB_EESF_SV_SG_SH_SI_EUlSV_E_NS1_11comp_targetILNS1_3genE8ELNS1_11target_archE1030ELNS1_3gpuE2ELNS1_3repE0EEENS1_48merge_mergepath_partition_config_static_selectorELNS0_4arch9wavefront6targetE1EEEvSH_
; %bb.0:
	.section	.rodata,"a",@progbits
	.p2align	6, 0x0
	.amdhsa_kernel _ZN7rocprim17ROCPRIM_400000_NS6detail17trampoline_kernelINS0_14default_configENS1_38merge_sort_block_merge_config_selectorIslEEZZNS1_27merge_sort_block_merge_implIS3_PsN6thrust23THRUST_200600_302600_NS10device_ptrIlEEjNS1_19radix_merge_compareILb0ELb1EsNS0_19identity_decomposerEEEEE10hipError_tT0_T1_T2_jT3_P12ihipStream_tbPNSt15iterator_traitsISG_E10value_typeEPNSM_ISH_E10value_typeEPSI_NS1_7vsmem_tEENKUlT_SG_SH_SI_E_clIS7_S7_PlSB_EESF_SV_SG_SH_SI_EUlSV_E_NS1_11comp_targetILNS1_3genE8ELNS1_11target_archE1030ELNS1_3gpuE2ELNS1_3repE0EEENS1_48merge_mergepath_partition_config_static_selectorELNS0_4arch9wavefront6targetE1EEEvSH_
		.amdhsa_group_segment_fixed_size 0
		.amdhsa_private_segment_fixed_size 0
		.amdhsa_kernarg_size 40
		.amdhsa_user_sgpr_count 6
		.amdhsa_user_sgpr_private_segment_buffer 1
		.amdhsa_user_sgpr_dispatch_ptr 0
		.amdhsa_user_sgpr_queue_ptr 0
		.amdhsa_user_sgpr_kernarg_segment_ptr 1
		.amdhsa_user_sgpr_dispatch_id 0
		.amdhsa_user_sgpr_flat_scratch_init 0
		.amdhsa_user_sgpr_private_segment_size 0
		.amdhsa_uses_dynamic_stack 0
		.amdhsa_system_sgpr_private_segment_wavefront_offset 0
		.amdhsa_system_sgpr_workgroup_id_x 1
		.amdhsa_system_sgpr_workgroup_id_y 0
		.amdhsa_system_sgpr_workgroup_id_z 0
		.amdhsa_system_sgpr_workgroup_info 0
		.amdhsa_system_vgpr_workitem_id 0
		.amdhsa_next_free_vgpr 1
		.amdhsa_next_free_sgpr 0
		.amdhsa_reserve_vcc 0
		.amdhsa_reserve_flat_scratch 0
		.amdhsa_float_round_mode_32 0
		.amdhsa_float_round_mode_16_64 0
		.amdhsa_float_denorm_mode_32 3
		.amdhsa_float_denorm_mode_16_64 3
		.amdhsa_dx10_clamp 1
		.amdhsa_ieee_mode 1
		.amdhsa_fp16_overflow 0
		.amdhsa_exception_fp_ieee_invalid_op 0
		.amdhsa_exception_fp_denorm_src 0
		.amdhsa_exception_fp_ieee_div_zero 0
		.amdhsa_exception_fp_ieee_overflow 0
		.amdhsa_exception_fp_ieee_underflow 0
		.amdhsa_exception_fp_ieee_inexact 0
		.amdhsa_exception_int_div_zero 0
	.end_amdhsa_kernel
	.section	.text._ZN7rocprim17ROCPRIM_400000_NS6detail17trampoline_kernelINS0_14default_configENS1_38merge_sort_block_merge_config_selectorIslEEZZNS1_27merge_sort_block_merge_implIS3_PsN6thrust23THRUST_200600_302600_NS10device_ptrIlEEjNS1_19radix_merge_compareILb0ELb1EsNS0_19identity_decomposerEEEEE10hipError_tT0_T1_T2_jT3_P12ihipStream_tbPNSt15iterator_traitsISG_E10value_typeEPNSM_ISH_E10value_typeEPSI_NS1_7vsmem_tEENKUlT_SG_SH_SI_E_clIS7_S7_PlSB_EESF_SV_SG_SH_SI_EUlSV_E_NS1_11comp_targetILNS1_3genE8ELNS1_11target_archE1030ELNS1_3gpuE2ELNS1_3repE0EEENS1_48merge_mergepath_partition_config_static_selectorELNS0_4arch9wavefront6targetE1EEEvSH_,"axG",@progbits,_ZN7rocprim17ROCPRIM_400000_NS6detail17trampoline_kernelINS0_14default_configENS1_38merge_sort_block_merge_config_selectorIslEEZZNS1_27merge_sort_block_merge_implIS3_PsN6thrust23THRUST_200600_302600_NS10device_ptrIlEEjNS1_19radix_merge_compareILb0ELb1EsNS0_19identity_decomposerEEEEE10hipError_tT0_T1_T2_jT3_P12ihipStream_tbPNSt15iterator_traitsISG_E10value_typeEPNSM_ISH_E10value_typeEPSI_NS1_7vsmem_tEENKUlT_SG_SH_SI_E_clIS7_S7_PlSB_EESF_SV_SG_SH_SI_EUlSV_E_NS1_11comp_targetILNS1_3genE8ELNS1_11target_archE1030ELNS1_3gpuE2ELNS1_3repE0EEENS1_48merge_mergepath_partition_config_static_selectorELNS0_4arch9wavefront6targetE1EEEvSH_,comdat
.Lfunc_end1339:
	.size	_ZN7rocprim17ROCPRIM_400000_NS6detail17trampoline_kernelINS0_14default_configENS1_38merge_sort_block_merge_config_selectorIslEEZZNS1_27merge_sort_block_merge_implIS3_PsN6thrust23THRUST_200600_302600_NS10device_ptrIlEEjNS1_19radix_merge_compareILb0ELb1EsNS0_19identity_decomposerEEEEE10hipError_tT0_T1_T2_jT3_P12ihipStream_tbPNSt15iterator_traitsISG_E10value_typeEPNSM_ISH_E10value_typeEPSI_NS1_7vsmem_tEENKUlT_SG_SH_SI_E_clIS7_S7_PlSB_EESF_SV_SG_SH_SI_EUlSV_E_NS1_11comp_targetILNS1_3genE8ELNS1_11target_archE1030ELNS1_3gpuE2ELNS1_3repE0EEENS1_48merge_mergepath_partition_config_static_selectorELNS0_4arch9wavefront6targetE1EEEvSH_, .Lfunc_end1339-_ZN7rocprim17ROCPRIM_400000_NS6detail17trampoline_kernelINS0_14default_configENS1_38merge_sort_block_merge_config_selectorIslEEZZNS1_27merge_sort_block_merge_implIS3_PsN6thrust23THRUST_200600_302600_NS10device_ptrIlEEjNS1_19radix_merge_compareILb0ELb1EsNS0_19identity_decomposerEEEEE10hipError_tT0_T1_T2_jT3_P12ihipStream_tbPNSt15iterator_traitsISG_E10value_typeEPNSM_ISH_E10value_typeEPSI_NS1_7vsmem_tEENKUlT_SG_SH_SI_E_clIS7_S7_PlSB_EESF_SV_SG_SH_SI_EUlSV_E_NS1_11comp_targetILNS1_3genE8ELNS1_11target_archE1030ELNS1_3gpuE2ELNS1_3repE0EEENS1_48merge_mergepath_partition_config_static_selectorELNS0_4arch9wavefront6targetE1EEEvSH_
                                        ; -- End function
	.set _ZN7rocprim17ROCPRIM_400000_NS6detail17trampoline_kernelINS0_14default_configENS1_38merge_sort_block_merge_config_selectorIslEEZZNS1_27merge_sort_block_merge_implIS3_PsN6thrust23THRUST_200600_302600_NS10device_ptrIlEEjNS1_19radix_merge_compareILb0ELb1EsNS0_19identity_decomposerEEEEE10hipError_tT0_T1_T2_jT3_P12ihipStream_tbPNSt15iterator_traitsISG_E10value_typeEPNSM_ISH_E10value_typeEPSI_NS1_7vsmem_tEENKUlT_SG_SH_SI_E_clIS7_S7_PlSB_EESF_SV_SG_SH_SI_EUlSV_E_NS1_11comp_targetILNS1_3genE8ELNS1_11target_archE1030ELNS1_3gpuE2ELNS1_3repE0EEENS1_48merge_mergepath_partition_config_static_selectorELNS0_4arch9wavefront6targetE1EEEvSH_.num_vgpr, 0
	.set _ZN7rocprim17ROCPRIM_400000_NS6detail17trampoline_kernelINS0_14default_configENS1_38merge_sort_block_merge_config_selectorIslEEZZNS1_27merge_sort_block_merge_implIS3_PsN6thrust23THRUST_200600_302600_NS10device_ptrIlEEjNS1_19radix_merge_compareILb0ELb1EsNS0_19identity_decomposerEEEEE10hipError_tT0_T1_T2_jT3_P12ihipStream_tbPNSt15iterator_traitsISG_E10value_typeEPNSM_ISH_E10value_typeEPSI_NS1_7vsmem_tEENKUlT_SG_SH_SI_E_clIS7_S7_PlSB_EESF_SV_SG_SH_SI_EUlSV_E_NS1_11comp_targetILNS1_3genE8ELNS1_11target_archE1030ELNS1_3gpuE2ELNS1_3repE0EEENS1_48merge_mergepath_partition_config_static_selectorELNS0_4arch9wavefront6targetE1EEEvSH_.num_agpr, 0
	.set _ZN7rocprim17ROCPRIM_400000_NS6detail17trampoline_kernelINS0_14default_configENS1_38merge_sort_block_merge_config_selectorIslEEZZNS1_27merge_sort_block_merge_implIS3_PsN6thrust23THRUST_200600_302600_NS10device_ptrIlEEjNS1_19radix_merge_compareILb0ELb1EsNS0_19identity_decomposerEEEEE10hipError_tT0_T1_T2_jT3_P12ihipStream_tbPNSt15iterator_traitsISG_E10value_typeEPNSM_ISH_E10value_typeEPSI_NS1_7vsmem_tEENKUlT_SG_SH_SI_E_clIS7_S7_PlSB_EESF_SV_SG_SH_SI_EUlSV_E_NS1_11comp_targetILNS1_3genE8ELNS1_11target_archE1030ELNS1_3gpuE2ELNS1_3repE0EEENS1_48merge_mergepath_partition_config_static_selectorELNS0_4arch9wavefront6targetE1EEEvSH_.numbered_sgpr, 0
	.set _ZN7rocprim17ROCPRIM_400000_NS6detail17trampoline_kernelINS0_14default_configENS1_38merge_sort_block_merge_config_selectorIslEEZZNS1_27merge_sort_block_merge_implIS3_PsN6thrust23THRUST_200600_302600_NS10device_ptrIlEEjNS1_19radix_merge_compareILb0ELb1EsNS0_19identity_decomposerEEEEE10hipError_tT0_T1_T2_jT3_P12ihipStream_tbPNSt15iterator_traitsISG_E10value_typeEPNSM_ISH_E10value_typeEPSI_NS1_7vsmem_tEENKUlT_SG_SH_SI_E_clIS7_S7_PlSB_EESF_SV_SG_SH_SI_EUlSV_E_NS1_11comp_targetILNS1_3genE8ELNS1_11target_archE1030ELNS1_3gpuE2ELNS1_3repE0EEENS1_48merge_mergepath_partition_config_static_selectorELNS0_4arch9wavefront6targetE1EEEvSH_.num_named_barrier, 0
	.set _ZN7rocprim17ROCPRIM_400000_NS6detail17trampoline_kernelINS0_14default_configENS1_38merge_sort_block_merge_config_selectorIslEEZZNS1_27merge_sort_block_merge_implIS3_PsN6thrust23THRUST_200600_302600_NS10device_ptrIlEEjNS1_19radix_merge_compareILb0ELb1EsNS0_19identity_decomposerEEEEE10hipError_tT0_T1_T2_jT3_P12ihipStream_tbPNSt15iterator_traitsISG_E10value_typeEPNSM_ISH_E10value_typeEPSI_NS1_7vsmem_tEENKUlT_SG_SH_SI_E_clIS7_S7_PlSB_EESF_SV_SG_SH_SI_EUlSV_E_NS1_11comp_targetILNS1_3genE8ELNS1_11target_archE1030ELNS1_3gpuE2ELNS1_3repE0EEENS1_48merge_mergepath_partition_config_static_selectorELNS0_4arch9wavefront6targetE1EEEvSH_.private_seg_size, 0
	.set _ZN7rocprim17ROCPRIM_400000_NS6detail17trampoline_kernelINS0_14default_configENS1_38merge_sort_block_merge_config_selectorIslEEZZNS1_27merge_sort_block_merge_implIS3_PsN6thrust23THRUST_200600_302600_NS10device_ptrIlEEjNS1_19radix_merge_compareILb0ELb1EsNS0_19identity_decomposerEEEEE10hipError_tT0_T1_T2_jT3_P12ihipStream_tbPNSt15iterator_traitsISG_E10value_typeEPNSM_ISH_E10value_typeEPSI_NS1_7vsmem_tEENKUlT_SG_SH_SI_E_clIS7_S7_PlSB_EESF_SV_SG_SH_SI_EUlSV_E_NS1_11comp_targetILNS1_3genE8ELNS1_11target_archE1030ELNS1_3gpuE2ELNS1_3repE0EEENS1_48merge_mergepath_partition_config_static_selectorELNS0_4arch9wavefront6targetE1EEEvSH_.uses_vcc, 0
	.set _ZN7rocprim17ROCPRIM_400000_NS6detail17trampoline_kernelINS0_14default_configENS1_38merge_sort_block_merge_config_selectorIslEEZZNS1_27merge_sort_block_merge_implIS3_PsN6thrust23THRUST_200600_302600_NS10device_ptrIlEEjNS1_19radix_merge_compareILb0ELb1EsNS0_19identity_decomposerEEEEE10hipError_tT0_T1_T2_jT3_P12ihipStream_tbPNSt15iterator_traitsISG_E10value_typeEPNSM_ISH_E10value_typeEPSI_NS1_7vsmem_tEENKUlT_SG_SH_SI_E_clIS7_S7_PlSB_EESF_SV_SG_SH_SI_EUlSV_E_NS1_11comp_targetILNS1_3genE8ELNS1_11target_archE1030ELNS1_3gpuE2ELNS1_3repE0EEENS1_48merge_mergepath_partition_config_static_selectorELNS0_4arch9wavefront6targetE1EEEvSH_.uses_flat_scratch, 0
	.set _ZN7rocprim17ROCPRIM_400000_NS6detail17trampoline_kernelINS0_14default_configENS1_38merge_sort_block_merge_config_selectorIslEEZZNS1_27merge_sort_block_merge_implIS3_PsN6thrust23THRUST_200600_302600_NS10device_ptrIlEEjNS1_19radix_merge_compareILb0ELb1EsNS0_19identity_decomposerEEEEE10hipError_tT0_T1_T2_jT3_P12ihipStream_tbPNSt15iterator_traitsISG_E10value_typeEPNSM_ISH_E10value_typeEPSI_NS1_7vsmem_tEENKUlT_SG_SH_SI_E_clIS7_S7_PlSB_EESF_SV_SG_SH_SI_EUlSV_E_NS1_11comp_targetILNS1_3genE8ELNS1_11target_archE1030ELNS1_3gpuE2ELNS1_3repE0EEENS1_48merge_mergepath_partition_config_static_selectorELNS0_4arch9wavefront6targetE1EEEvSH_.has_dyn_sized_stack, 0
	.set _ZN7rocprim17ROCPRIM_400000_NS6detail17trampoline_kernelINS0_14default_configENS1_38merge_sort_block_merge_config_selectorIslEEZZNS1_27merge_sort_block_merge_implIS3_PsN6thrust23THRUST_200600_302600_NS10device_ptrIlEEjNS1_19radix_merge_compareILb0ELb1EsNS0_19identity_decomposerEEEEE10hipError_tT0_T1_T2_jT3_P12ihipStream_tbPNSt15iterator_traitsISG_E10value_typeEPNSM_ISH_E10value_typeEPSI_NS1_7vsmem_tEENKUlT_SG_SH_SI_E_clIS7_S7_PlSB_EESF_SV_SG_SH_SI_EUlSV_E_NS1_11comp_targetILNS1_3genE8ELNS1_11target_archE1030ELNS1_3gpuE2ELNS1_3repE0EEENS1_48merge_mergepath_partition_config_static_selectorELNS0_4arch9wavefront6targetE1EEEvSH_.has_recursion, 0
	.set _ZN7rocprim17ROCPRIM_400000_NS6detail17trampoline_kernelINS0_14default_configENS1_38merge_sort_block_merge_config_selectorIslEEZZNS1_27merge_sort_block_merge_implIS3_PsN6thrust23THRUST_200600_302600_NS10device_ptrIlEEjNS1_19radix_merge_compareILb0ELb1EsNS0_19identity_decomposerEEEEE10hipError_tT0_T1_T2_jT3_P12ihipStream_tbPNSt15iterator_traitsISG_E10value_typeEPNSM_ISH_E10value_typeEPSI_NS1_7vsmem_tEENKUlT_SG_SH_SI_E_clIS7_S7_PlSB_EESF_SV_SG_SH_SI_EUlSV_E_NS1_11comp_targetILNS1_3genE8ELNS1_11target_archE1030ELNS1_3gpuE2ELNS1_3repE0EEENS1_48merge_mergepath_partition_config_static_selectorELNS0_4arch9wavefront6targetE1EEEvSH_.has_indirect_call, 0
	.section	.AMDGPU.csdata,"",@progbits
; Kernel info:
; codeLenInByte = 0
; TotalNumSgprs: 4
; NumVgprs: 0
; ScratchSize: 0
; MemoryBound: 0
; FloatMode: 240
; IeeeMode: 1
; LDSByteSize: 0 bytes/workgroup (compile time only)
; SGPRBlocks: 0
; VGPRBlocks: 0
; NumSGPRsForWavesPerEU: 4
; NumVGPRsForWavesPerEU: 1
; Occupancy: 10
; WaveLimiterHint : 0
; COMPUTE_PGM_RSRC2:SCRATCH_EN: 0
; COMPUTE_PGM_RSRC2:USER_SGPR: 6
; COMPUTE_PGM_RSRC2:TRAP_HANDLER: 0
; COMPUTE_PGM_RSRC2:TGID_X_EN: 1
; COMPUTE_PGM_RSRC2:TGID_Y_EN: 0
; COMPUTE_PGM_RSRC2:TGID_Z_EN: 0
; COMPUTE_PGM_RSRC2:TIDIG_COMP_CNT: 0
	.section	.text._ZN7rocprim17ROCPRIM_400000_NS6detail17trampoline_kernelINS0_14default_configENS1_38merge_sort_block_merge_config_selectorIslEEZZNS1_27merge_sort_block_merge_implIS3_PsN6thrust23THRUST_200600_302600_NS10device_ptrIlEEjNS1_19radix_merge_compareILb0ELb1EsNS0_19identity_decomposerEEEEE10hipError_tT0_T1_T2_jT3_P12ihipStream_tbPNSt15iterator_traitsISG_E10value_typeEPNSM_ISH_E10value_typeEPSI_NS1_7vsmem_tEENKUlT_SG_SH_SI_E_clIS7_S7_PlSB_EESF_SV_SG_SH_SI_EUlSV_E0_NS1_11comp_targetILNS1_3genE0ELNS1_11target_archE4294967295ELNS1_3gpuE0ELNS1_3repE0EEENS1_38merge_mergepath_config_static_selectorELNS0_4arch9wavefront6targetE1EEEvSH_,"axG",@progbits,_ZN7rocprim17ROCPRIM_400000_NS6detail17trampoline_kernelINS0_14default_configENS1_38merge_sort_block_merge_config_selectorIslEEZZNS1_27merge_sort_block_merge_implIS3_PsN6thrust23THRUST_200600_302600_NS10device_ptrIlEEjNS1_19radix_merge_compareILb0ELb1EsNS0_19identity_decomposerEEEEE10hipError_tT0_T1_T2_jT3_P12ihipStream_tbPNSt15iterator_traitsISG_E10value_typeEPNSM_ISH_E10value_typeEPSI_NS1_7vsmem_tEENKUlT_SG_SH_SI_E_clIS7_S7_PlSB_EESF_SV_SG_SH_SI_EUlSV_E0_NS1_11comp_targetILNS1_3genE0ELNS1_11target_archE4294967295ELNS1_3gpuE0ELNS1_3repE0EEENS1_38merge_mergepath_config_static_selectorELNS0_4arch9wavefront6targetE1EEEvSH_,comdat
	.protected	_ZN7rocprim17ROCPRIM_400000_NS6detail17trampoline_kernelINS0_14default_configENS1_38merge_sort_block_merge_config_selectorIslEEZZNS1_27merge_sort_block_merge_implIS3_PsN6thrust23THRUST_200600_302600_NS10device_ptrIlEEjNS1_19radix_merge_compareILb0ELb1EsNS0_19identity_decomposerEEEEE10hipError_tT0_T1_T2_jT3_P12ihipStream_tbPNSt15iterator_traitsISG_E10value_typeEPNSM_ISH_E10value_typeEPSI_NS1_7vsmem_tEENKUlT_SG_SH_SI_E_clIS7_S7_PlSB_EESF_SV_SG_SH_SI_EUlSV_E0_NS1_11comp_targetILNS1_3genE0ELNS1_11target_archE4294967295ELNS1_3gpuE0ELNS1_3repE0EEENS1_38merge_mergepath_config_static_selectorELNS0_4arch9wavefront6targetE1EEEvSH_ ; -- Begin function _ZN7rocprim17ROCPRIM_400000_NS6detail17trampoline_kernelINS0_14default_configENS1_38merge_sort_block_merge_config_selectorIslEEZZNS1_27merge_sort_block_merge_implIS3_PsN6thrust23THRUST_200600_302600_NS10device_ptrIlEEjNS1_19radix_merge_compareILb0ELb1EsNS0_19identity_decomposerEEEEE10hipError_tT0_T1_T2_jT3_P12ihipStream_tbPNSt15iterator_traitsISG_E10value_typeEPNSM_ISH_E10value_typeEPSI_NS1_7vsmem_tEENKUlT_SG_SH_SI_E_clIS7_S7_PlSB_EESF_SV_SG_SH_SI_EUlSV_E0_NS1_11comp_targetILNS1_3genE0ELNS1_11target_archE4294967295ELNS1_3gpuE0ELNS1_3repE0EEENS1_38merge_mergepath_config_static_selectorELNS0_4arch9wavefront6targetE1EEEvSH_
	.globl	_ZN7rocprim17ROCPRIM_400000_NS6detail17trampoline_kernelINS0_14default_configENS1_38merge_sort_block_merge_config_selectorIslEEZZNS1_27merge_sort_block_merge_implIS3_PsN6thrust23THRUST_200600_302600_NS10device_ptrIlEEjNS1_19radix_merge_compareILb0ELb1EsNS0_19identity_decomposerEEEEE10hipError_tT0_T1_T2_jT3_P12ihipStream_tbPNSt15iterator_traitsISG_E10value_typeEPNSM_ISH_E10value_typeEPSI_NS1_7vsmem_tEENKUlT_SG_SH_SI_E_clIS7_S7_PlSB_EESF_SV_SG_SH_SI_EUlSV_E0_NS1_11comp_targetILNS1_3genE0ELNS1_11target_archE4294967295ELNS1_3gpuE0ELNS1_3repE0EEENS1_38merge_mergepath_config_static_selectorELNS0_4arch9wavefront6targetE1EEEvSH_
	.p2align	8
	.type	_ZN7rocprim17ROCPRIM_400000_NS6detail17trampoline_kernelINS0_14default_configENS1_38merge_sort_block_merge_config_selectorIslEEZZNS1_27merge_sort_block_merge_implIS3_PsN6thrust23THRUST_200600_302600_NS10device_ptrIlEEjNS1_19radix_merge_compareILb0ELb1EsNS0_19identity_decomposerEEEEE10hipError_tT0_T1_T2_jT3_P12ihipStream_tbPNSt15iterator_traitsISG_E10value_typeEPNSM_ISH_E10value_typeEPSI_NS1_7vsmem_tEENKUlT_SG_SH_SI_E_clIS7_S7_PlSB_EESF_SV_SG_SH_SI_EUlSV_E0_NS1_11comp_targetILNS1_3genE0ELNS1_11target_archE4294967295ELNS1_3gpuE0ELNS1_3repE0EEENS1_38merge_mergepath_config_static_selectorELNS0_4arch9wavefront6targetE1EEEvSH_,@function
_ZN7rocprim17ROCPRIM_400000_NS6detail17trampoline_kernelINS0_14default_configENS1_38merge_sort_block_merge_config_selectorIslEEZZNS1_27merge_sort_block_merge_implIS3_PsN6thrust23THRUST_200600_302600_NS10device_ptrIlEEjNS1_19radix_merge_compareILb0ELb1EsNS0_19identity_decomposerEEEEE10hipError_tT0_T1_T2_jT3_P12ihipStream_tbPNSt15iterator_traitsISG_E10value_typeEPNSM_ISH_E10value_typeEPSI_NS1_7vsmem_tEENKUlT_SG_SH_SI_E_clIS7_S7_PlSB_EESF_SV_SG_SH_SI_EUlSV_E0_NS1_11comp_targetILNS1_3genE0ELNS1_11target_archE4294967295ELNS1_3gpuE0ELNS1_3repE0EEENS1_38merge_mergepath_config_static_selectorELNS0_4arch9wavefront6targetE1EEEvSH_: ; @_ZN7rocprim17ROCPRIM_400000_NS6detail17trampoline_kernelINS0_14default_configENS1_38merge_sort_block_merge_config_selectorIslEEZZNS1_27merge_sort_block_merge_implIS3_PsN6thrust23THRUST_200600_302600_NS10device_ptrIlEEjNS1_19radix_merge_compareILb0ELb1EsNS0_19identity_decomposerEEEEE10hipError_tT0_T1_T2_jT3_P12ihipStream_tbPNSt15iterator_traitsISG_E10value_typeEPNSM_ISH_E10value_typeEPSI_NS1_7vsmem_tEENKUlT_SG_SH_SI_E_clIS7_S7_PlSB_EESF_SV_SG_SH_SI_EUlSV_E0_NS1_11comp_targetILNS1_3genE0ELNS1_11target_archE4294967295ELNS1_3gpuE0ELNS1_3repE0EEENS1_38merge_mergepath_config_static_selectorELNS0_4arch9wavefront6targetE1EEEvSH_
; %bb.0:
	.section	.rodata,"a",@progbits
	.p2align	6, 0x0
	.amdhsa_kernel _ZN7rocprim17ROCPRIM_400000_NS6detail17trampoline_kernelINS0_14default_configENS1_38merge_sort_block_merge_config_selectorIslEEZZNS1_27merge_sort_block_merge_implIS3_PsN6thrust23THRUST_200600_302600_NS10device_ptrIlEEjNS1_19radix_merge_compareILb0ELb1EsNS0_19identity_decomposerEEEEE10hipError_tT0_T1_T2_jT3_P12ihipStream_tbPNSt15iterator_traitsISG_E10value_typeEPNSM_ISH_E10value_typeEPSI_NS1_7vsmem_tEENKUlT_SG_SH_SI_E_clIS7_S7_PlSB_EESF_SV_SG_SH_SI_EUlSV_E0_NS1_11comp_targetILNS1_3genE0ELNS1_11target_archE4294967295ELNS1_3gpuE0ELNS1_3repE0EEENS1_38merge_mergepath_config_static_selectorELNS0_4arch9wavefront6targetE1EEEvSH_
		.amdhsa_group_segment_fixed_size 0
		.amdhsa_private_segment_fixed_size 0
		.amdhsa_kernarg_size 64
		.amdhsa_user_sgpr_count 6
		.amdhsa_user_sgpr_private_segment_buffer 1
		.amdhsa_user_sgpr_dispatch_ptr 0
		.amdhsa_user_sgpr_queue_ptr 0
		.amdhsa_user_sgpr_kernarg_segment_ptr 1
		.amdhsa_user_sgpr_dispatch_id 0
		.amdhsa_user_sgpr_flat_scratch_init 0
		.amdhsa_user_sgpr_private_segment_size 0
		.amdhsa_uses_dynamic_stack 0
		.amdhsa_system_sgpr_private_segment_wavefront_offset 0
		.amdhsa_system_sgpr_workgroup_id_x 1
		.amdhsa_system_sgpr_workgroup_id_y 0
		.amdhsa_system_sgpr_workgroup_id_z 0
		.amdhsa_system_sgpr_workgroup_info 0
		.amdhsa_system_vgpr_workitem_id 0
		.amdhsa_next_free_vgpr 1
		.amdhsa_next_free_sgpr 0
		.amdhsa_reserve_vcc 0
		.amdhsa_reserve_flat_scratch 0
		.amdhsa_float_round_mode_32 0
		.amdhsa_float_round_mode_16_64 0
		.amdhsa_float_denorm_mode_32 3
		.amdhsa_float_denorm_mode_16_64 3
		.amdhsa_dx10_clamp 1
		.amdhsa_ieee_mode 1
		.amdhsa_fp16_overflow 0
		.amdhsa_exception_fp_ieee_invalid_op 0
		.amdhsa_exception_fp_denorm_src 0
		.amdhsa_exception_fp_ieee_div_zero 0
		.amdhsa_exception_fp_ieee_overflow 0
		.amdhsa_exception_fp_ieee_underflow 0
		.amdhsa_exception_fp_ieee_inexact 0
		.amdhsa_exception_int_div_zero 0
	.end_amdhsa_kernel
	.section	.text._ZN7rocprim17ROCPRIM_400000_NS6detail17trampoline_kernelINS0_14default_configENS1_38merge_sort_block_merge_config_selectorIslEEZZNS1_27merge_sort_block_merge_implIS3_PsN6thrust23THRUST_200600_302600_NS10device_ptrIlEEjNS1_19radix_merge_compareILb0ELb1EsNS0_19identity_decomposerEEEEE10hipError_tT0_T1_T2_jT3_P12ihipStream_tbPNSt15iterator_traitsISG_E10value_typeEPNSM_ISH_E10value_typeEPSI_NS1_7vsmem_tEENKUlT_SG_SH_SI_E_clIS7_S7_PlSB_EESF_SV_SG_SH_SI_EUlSV_E0_NS1_11comp_targetILNS1_3genE0ELNS1_11target_archE4294967295ELNS1_3gpuE0ELNS1_3repE0EEENS1_38merge_mergepath_config_static_selectorELNS0_4arch9wavefront6targetE1EEEvSH_,"axG",@progbits,_ZN7rocprim17ROCPRIM_400000_NS6detail17trampoline_kernelINS0_14default_configENS1_38merge_sort_block_merge_config_selectorIslEEZZNS1_27merge_sort_block_merge_implIS3_PsN6thrust23THRUST_200600_302600_NS10device_ptrIlEEjNS1_19radix_merge_compareILb0ELb1EsNS0_19identity_decomposerEEEEE10hipError_tT0_T1_T2_jT3_P12ihipStream_tbPNSt15iterator_traitsISG_E10value_typeEPNSM_ISH_E10value_typeEPSI_NS1_7vsmem_tEENKUlT_SG_SH_SI_E_clIS7_S7_PlSB_EESF_SV_SG_SH_SI_EUlSV_E0_NS1_11comp_targetILNS1_3genE0ELNS1_11target_archE4294967295ELNS1_3gpuE0ELNS1_3repE0EEENS1_38merge_mergepath_config_static_selectorELNS0_4arch9wavefront6targetE1EEEvSH_,comdat
.Lfunc_end1340:
	.size	_ZN7rocprim17ROCPRIM_400000_NS6detail17trampoline_kernelINS0_14default_configENS1_38merge_sort_block_merge_config_selectorIslEEZZNS1_27merge_sort_block_merge_implIS3_PsN6thrust23THRUST_200600_302600_NS10device_ptrIlEEjNS1_19radix_merge_compareILb0ELb1EsNS0_19identity_decomposerEEEEE10hipError_tT0_T1_T2_jT3_P12ihipStream_tbPNSt15iterator_traitsISG_E10value_typeEPNSM_ISH_E10value_typeEPSI_NS1_7vsmem_tEENKUlT_SG_SH_SI_E_clIS7_S7_PlSB_EESF_SV_SG_SH_SI_EUlSV_E0_NS1_11comp_targetILNS1_3genE0ELNS1_11target_archE4294967295ELNS1_3gpuE0ELNS1_3repE0EEENS1_38merge_mergepath_config_static_selectorELNS0_4arch9wavefront6targetE1EEEvSH_, .Lfunc_end1340-_ZN7rocprim17ROCPRIM_400000_NS6detail17trampoline_kernelINS0_14default_configENS1_38merge_sort_block_merge_config_selectorIslEEZZNS1_27merge_sort_block_merge_implIS3_PsN6thrust23THRUST_200600_302600_NS10device_ptrIlEEjNS1_19radix_merge_compareILb0ELb1EsNS0_19identity_decomposerEEEEE10hipError_tT0_T1_T2_jT3_P12ihipStream_tbPNSt15iterator_traitsISG_E10value_typeEPNSM_ISH_E10value_typeEPSI_NS1_7vsmem_tEENKUlT_SG_SH_SI_E_clIS7_S7_PlSB_EESF_SV_SG_SH_SI_EUlSV_E0_NS1_11comp_targetILNS1_3genE0ELNS1_11target_archE4294967295ELNS1_3gpuE0ELNS1_3repE0EEENS1_38merge_mergepath_config_static_selectorELNS0_4arch9wavefront6targetE1EEEvSH_
                                        ; -- End function
	.set _ZN7rocprim17ROCPRIM_400000_NS6detail17trampoline_kernelINS0_14default_configENS1_38merge_sort_block_merge_config_selectorIslEEZZNS1_27merge_sort_block_merge_implIS3_PsN6thrust23THRUST_200600_302600_NS10device_ptrIlEEjNS1_19radix_merge_compareILb0ELb1EsNS0_19identity_decomposerEEEEE10hipError_tT0_T1_T2_jT3_P12ihipStream_tbPNSt15iterator_traitsISG_E10value_typeEPNSM_ISH_E10value_typeEPSI_NS1_7vsmem_tEENKUlT_SG_SH_SI_E_clIS7_S7_PlSB_EESF_SV_SG_SH_SI_EUlSV_E0_NS1_11comp_targetILNS1_3genE0ELNS1_11target_archE4294967295ELNS1_3gpuE0ELNS1_3repE0EEENS1_38merge_mergepath_config_static_selectorELNS0_4arch9wavefront6targetE1EEEvSH_.num_vgpr, 0
	.set _ZN7rocprim17ROCPRIM_400000_NS6detail17trampoline_kernelINS0_14default_configENS1_38merge_sort_block_merge_config_selectorIslEEZZNS1_27merge_sort_block_merge_implIS3_PsN6thrust23THRUST_200600_302600_NS10device_ptrIlEEjNS1_19radix_merge_compareILb0ELb1EsNS0_19identity_decomposerEEEEE10hipError_tT0_T1_T2_jT3_P12ihipStream_tbPNSt15iterator_traitsISG_E10value_typeEPNSM_ISH_E10value_typeEPSI_NS1_7vsmem_tEENKUlT_SG_SH_SI_E_clIS7_S7_PlSB_EESF_SV_SG_SH_SI_EUlSV_E0_NS1_11comp_targetILNS1_3genE0ELNS1_11target_archE4294967295ELNS1_3gpuE0ELNS1_3repE0EEENS1_38merge_mergepath_config_static_selectorELNS0_4arch9wavefront6targetE1EEEvSH_.num_agpr, 0
	.set _ZN7rocprim17ROCPRIM_400000_NS6detail17trampoline_kernelINS0_14default_configENS1_38merge_sort_block_merge_config_selectorIslEEZZNS1_27merge_sort_block_merge_implIS3_PsN6thrust23THRUST_200600_302600_NS10device_ptrIlEEjNS1_19radix_merge_compareILb0ELb1EsNS0_19identity_decomposerEEEEE10hipError_tT0_T1_T2_jT3_P12ihipStream_tbPNSt15iterator_traitsISG_E10value_typeEPNSM_ISH_E10value_typeEPSI_NS1_7vsmem_tEENKUlT_SG_SH_SI_E_clIS7_S7_PlSB_EESF_SV_SG_SH_SI_EUlSV_E0_NS1_11comp_targetILNS1_3genE0ELNS1_11target_archE4294967295ELNS1_3gpuE0ELNS1_3repE0EEENS1_38merge_mergepath_config_static_selectorELNS0_4arch9wavefront6targetE1EEEvSH_.numbered_sgpr, 0
	.set _ZN7rocprim17ROCPRIM_400000_NS6detail17trampoline_kernelINS0_14default_configENS1_38merge_sort_block_merge_config_selectorIslEEZZNS1_27merge_sort_block_merge_implIS3_PsN6thrust23THRUST_200600_302600_NS10device_ptrIlEEjNS1_19radix_merge_compareILb0ELb1EsNS0_19identity_decomposerEEEEE10hipError_tT0_T1_T2_jT3_P12ihipStream_tbPNSt15iterator_traitsISG_E10value_typeEPNSM_ISH_E10value_typeEPSI_NS1_7vsmem_tEENKUlT_SG_SH_SI_E_clIS7_S7_PlSB_EESF_SV_SG_SH_SI_EUlSV_E0_NS1_11comp_targetILNS1_3genE0ELNS1_11target_archE4294967295ELNS1_3gpuE0ELNS1_3repE0EEENS1_38merge_mergepath_config_static_selectorELNS0_4arch9wavefront6targetE1EEEvSH_.num_named_barrier, 0
	.set _ZN7rocprim17ROCPRIM_400000_NS6detail17trampoline_kernelINS0_14default_configENS1_38merge_sort_block_merge_config_selectorIslEEZZNS1_27merge_sort_block_merge_implIS3_PsN6thrust23THRUST_200600_302600_NS10device_ptrIlEEjNS1_19radix_merge_compareILb0ELb1EsNS0_19identity_decomposerEEEEE10hipError_tT0_T1_T2_jT3_P12ihipStream_tbPNSt15iterator_traitsISG_E10value_typeEPNSM_ISH_E10value_typeEPSI_NS1_7vsmem_tEENKUlT_SG_SH_SI_E_clIS7_S7_PlSB_EESF_SV_SG_SH_SI_EUlSV_E0_NS1_11comp_targetILNS1_3genE0ELNS1_11target_archE4294967295ELNS1_3gpuE0ELNS1_3repE0EEENS1_38merge_mergepath_config_static_selectorELNS0_4arch9wavefront6targetE1EEEvSH_.private_seg_size, 0
	.set _ZN7rocprim17ROCPRIM_400000_NS6detail17trampoline_kernelINS0_14default_configENS1_38merge_sort_block_merge_config_selectorIslEEZZNS1_27merge_sort_block_merge_implIS3_PsN6thrust23THRUST_200600_302600_NS10device_ptrIlEEjNS1_19radix_merge_compareILb0ELb1EsNS0_19identity_decomposerEEEEE10hipError_tT0_T1_T2_jT3_P12ihipStream_tbPNSt15iterator_traitsISG_E10value_typeEPNSM_ISH_E10value_typeEPSI_NS1_7vsmem_tEENKUlT_SG_SH_SI_E_clIS7_S7_PlSB_EESF_SV_SG_SH_SI_EUlSV_E0_NS1_11comp_targetILNS1_3genE0ELNS1_11target_archE4294967295ELNS1_3gpuE0ELNS1_3repE0EEENS1_38merge_mergepath_config_static_selectorELNS0_4arch9wavefront6targetE1EEEvSH_.uses_vcc, 0
	.set _ZN7rocprim17ROCPRIM_400000_NS6detail17trampoline_kernelINS0_14default_configENS1_38merge_sort_block_merge_config_selectorIslEEZZNS1_27merge_sort_block_merge_implIS3_PsN6thrust23THRUST_200600_302600_NS10device_ptrIlEEjNS1_19radix_merge_compareILb0ELb1EsNS0_19identity_decomposerEEEEE10hipError_tT0_T1_T2_jT3_P12ihipStream_tbPNSt15iterator_traitsISG_E10value_typeEPNSM_ISH_E10value_typeEPSI_NS1_7vsmem_tEENKUlT_SG_SH_SI_E_clIS7_S7_PlSB_EESF_SV_SG_SH_SI_EUlSV_E0_NS1_11comp_targetILNS1_3genE0ELNS1_11target_archE4294967295ELNS1_3gpuE0ELNS1_3repE0EEENS1_38merge_mergepath_config_static_selectorELNS0_4arch9wavefront6targetE1EEEvSH_.uses_flat_scratch, 0
	.set _ZN7rocprim17ROCPRIM_400000_NS6detail17trampoline_kernelINS0_14default_configENS1_38merge_sort_block_merge_config_selectorIslEEZZNS1_27merge_sort_block_merge_implIS3_PsN6thrust23THRUST_200600_302600_NS10device_ptrIlEEjNS1_19radix_merge_compareILb0ELb1EsNS0_19identity_decomposerEEEEE10hipError_tT0_T1_T2_jT3_P12ihipStream_tbPNSt15iterator_traitsISG_E10value_typeEPNSM_ISH_E10value_typeEPSI_NS1_7vsmem_tEENKUlT_SG_SH_SI_E_clIS7_S7_PlSB_EESF_SV_SG_SH_SI_EUlSV_E0_NS1_11comp_targetILNS1_3genE0ELNS1_11target_archE4294967295ELNS1_3gpuE0ELNS1_3repE0EEENS1_38merge_mergepath_config_static_selectorELNS0_4arch9wavefront6targetE1EEEvSH_.has_dyn_sized_stack, 0
	.set _ZN7rocprim17ROCPRIM_400000_NS6detail17trampoline_kernelINS0_14default_configENS1_38merge_sort_block_merge_config_selectorIslEEZZNS1_27merge_sort_block_merge_implIS3_PsN6thrust23THRUST_200600_302600_NS10device_ptrIlEEjNS1_19radix_merge_compareILb0ELb1EsNS0_19identity_decomposerEEEEE10hipError_tT0_T1_T2_jT3_P12ihipStream_tbPNSt15iterator_traitsISG_E10value_typeEPNSM_ISH_E10value_typeEPSI_NS1_7vsmem_tEENKUlT_SG_SH_SI_E_clIS7_S7_PlSB_EESF_SV_SG_SH_SI_EUlSV_E0_NS1_11comp_targetILNS1_3genE0ELNS1_11target_archE4294967295ELNS1_3gpuE0ELNS1_3repE0EEENS1_38merge_mergepath_config_static_selectorELNS0_4arch9wavefront6targetE1EEEvSH_.has_recursion, 0
	.set _ZN7rocprim17ROCPRIM_400000_NS6detail17trampoline_kernelINS0_14default_configENS1_38merge_sort_block_merge_config_selectorIslEEZZNS1_27merge_sort_block_merge_implIS3_PsN6thrust23THRUST_200600_302600_NS10device_ptrIlEEjNS1_19radix_merge_compareILb0ELb1EsNS0_19identity_decomposerEEEEE10hipError_tT0_T1_T2_jT3_P12ihipStream_tbPNSt15iterator_traitsISG_E10value_typeEPNSM_ISH_E10value_typeEPSI_NS1_7vsmem_tEENKUlT_SG_SH_SI_E_clIS7_S7_PlSB_EESF_SV_SG_SH_SI_EUlSV_E0_NS1_11comp_targetILNS1_3genE0ELNS1_11target_archE4294967295ELNS1_3gpuE0ELNS1_3repE0EEENS1_38merge_mergepath_config_static_selectorELNS0_4arch9wavefront6targetE1EEEvSH_.has_indirect_call, 0
	.section	.AMDGPU.csdata,"",@progbits
; Kernel info:
; codeLenInByte = 0
; TotalNumSgprs: 4
; NumVgprs: 0
; ScratchSize: 0
; MemoryBound: 0
; FloatMode: 240
; IeeeMode: 1
; LDSByteSize: 0 bytes/workgroup (compile time only)
; SGPRBlocks: 0
; VGPRBlocks: 0
; NumSGPRsForWavesPerEU: 4
; NumVGPRsForWavesPerEU: 1
; Occupancy: 10
; WaveLimiterHint : 0
; COMPUTE_PGM_RSRC2:SCRATCH_EN: 0
; COMPUTE_PGM_RSRC2:USER_SGPR: 6
; COMPUTE_PGM_RSRC2:TRAP_HANDLER: 0
; COMPUTE_PGM_RSRC2:TGID_X_EN: 1
; COMPUTE_PGM_RSRC2:TGID_Y_EN: 0
; COMPUTE_PGM_RSRC2:TGID_Z_EN: 0
; COMPUTE_PGM_RSRC2:TIDIG_COMP_CNT: 0
	.section	.text._ZN7rocprim17ROCPRIM_400000_NS6detail17trampoline_kernelINS0_14default_configENS1_38merge_sort_block_merge_config_selectorIslEEZZNS1_27merge_sort_block_merge_implIS3_PsN6thrust23THRUST_200600_302600_NS10device_ptrIlEEjNS1_19radix_merge_compareILb0ELb1EsNS0_19identity_decomposerEEEEE10hipError_tT0_T1_T2_jT3_P12ihipStream_tbPNSt15iterator_traitsISG_E10value_typeEPNSM_ISH_E10value_typeEPSI_NS1_7vsmem_tEENKUlT_SG_SH_SI_E_clIS7_S7_PlSB_EESF_SV_SG_SH_SI_EUlSV_E0_NS1_11comp_targetILNS1_3genE10ELNS1_11target_archE1201ELNS1_3gpuE5ELNS1_3repE0EEENS1_38merge_mergepath_config_static_selectorELNS0_4arch9wavefront6targetE1EEEvSH_,"axG",@progbits,_ZN7rocprim17ROCPRIM_400000_NS6detail17trampoline_kernelINS0_14default_configENS1_38merge_sort_block_merge_config_selectorIslEEZZNS1_27merge_sort_block_merge_implIS3_PsN6thrust23THRUST_200600_302600_NS10device_ptrIlEEjNS1_19radix_merge_compareILb0ELb1EsNS0_19identity_decomposerEEEEE10hipError_tT0_T1_T2_jT3_P12ihipStream_tbPNSt15iterator_traitsISG_E10value_typeEPNSM_ISH_E10value_typeEPSI_NS1_7vsmem_tEENKUlT_SG_SH_SI_E_clIS7_S7_PlSB_EESF_SV_SG_SH_SI_EUlSV_E0_NS1_11comp_targetILNS1_3genE10ELNS1_11target_archE1201ELNS1_3gpuE5ELNS1_3repE0EEENS1_38merge_mergepath_config_static_selectorELNS0_4arch9wavefront6targetE1EEEvSH_,comdat
	.protected	_ZN7rocprim17ROCPRIM_400000_NS6detail17trampoline_kernelINS0_14default_configENS1_38merge_sort_block_merge_config_selectorIslEEZZNS1_27merge_sort_block_merge_implIS3_PsN6thrust23THRUST_200600_302600_NS10device_ptrIlEEjNS1_19radix_merge_compareILb0ELb1EsNS0_19identity_decomposerEEEEE10hipError_tT0_T1_T2_jT3_P12ihipStream_tbPNSt15iterator_traitsISG_E10value_typeEPNSM_ISH_E10value_typeEPSI_NS1_7vsmem_tEENKUlT_SG_SH_SI_E_clIS7_S7_PlSB_EESF_SV_SG_SH_SI_EUlSV_E0_NS1_11comp_targetILNS1_3genE10ELNS1_11target_archE1201ELNS1_3gpuE5ELNS1_3repE0EEENS1_38merge_mergepath_config_static_selectorELNS0_4arch9wavefront6targetE1EEEvSH_ ; -- Begin function _ZN7rocprim17ROCPRIM_400000_NS6detail17trampoline_kernelINS0_14default_configENS1_38merge_sort_block_merge_config_selectorIslEEZZNS1_27merge_sort_block_merge_implIS3_PsN6thrust23THRUST_200600_302600_NS10device_ptrIlEEjNS1_19radix_merge_compareILb0ELb1EsNS0_19identity_decomposerEEEEE10hipError_tT0_T1_T2_jT3_P12ihipStream_tbPNSt15iterator_traitsISG_E10value_typeEPNSM_ISH_E10value_typeEPSI_NS1_7vsmem_tEENKUlT_SG_SH_SI_E_clIS7_S7_PlSB_EESF_SV_SG_SH_SI_EUlSV_E0_NS1_11comp_targetILNS1_3genE10ELNS1_11target_archE1201ELNS1_3gpuE5ELNS1_3repE0EEENS1_38merge_mergepath_config_static_selectorELNS0_4arch9wavefront6targetE1EEEvSH_
	.globl	_ZN7rocprim17ROCPRIM_400000_NS6detail17trampoline_kernelINS0_14default_configENS1_38merge_sort_block_merge_config_selectorIslEEZZNS1_27merge_sort_block_merge_implIS3_PsN6thrust23THRUST_200600_302600_NS10device_ptrIlEEjNS1_19radix_merge_compareILb0ELb1EsNS0_19identity_decomposerEEEEE10hipError_tT0_T1_T2_jT3_P12ihipStream_tbPNSt15iterator_traitsISG_E10value_typeEPNSM_ISH_E10value_typeEPSI_NS1_7vsmem_tEENKUlT_SG_SH_SI_E_clIS7_S7_PlSB_EESF_SV_SG_SH_SI_EUlSV_E0_NS1_11comp_targetILNS1_3genE10ELNS1_11target_archE1201ELNS1_3gpuE5ELNS1_3repE0EEENS1_38merge_mergepath_config_static_selectorELNS0_4arch9wavefront6targetE1EEEvSH_
	.p2align	8
	.type	_ZN7rocprim17ROCPRIM_400000_NS6detail17trampoline_kernelINS0_14default_configENS1_38merge_sort_block_merge_config_selectorIslEEZZNS1_27merge_sort_block_merge_implIS3_PsN6thrust23THRUST_200600_302600_NS10device_ptrIlEEjNS1_19radix_merge_compareILb0ELb1EsNS0_19identity_decomposerEEEEE10hipError_tT0_T1_T2_jT3_P12ihipStream_tbPNSt15iterator_traitsISG_E10value_typeEPNSM_ISH_E10value_typeEPSI_NS1_7vsmem_tEENKUlT_SG_SH_SI_E_clIS7_S7_PlSB_EESF_SV_SG_SH_SI_EUlSV_E0_NS1_11comp_targetILNS1_3genE10ELNS1_11target_archE1201ELNS1_3gpuE5ELNS1_3repE0EEENS1_38merge_mergepath_config_static_selectorELNS0_4arch9wavefront6targetE1EEEvSH_,@function
_ZN7rocprim17ROCPRIM_400000_NS6detail17trampoline_kernelINS0_14default_configENS1_38merge_sort_block_merge_config_selectorIslEEZZNS1_27merge_sort_block_merge_implIS3_PsN6thrust23THRUST_200600_302600_NS10device_ptrIlEEjNS1_19radix_merge_compareILb0ELb1EsNS0_19identity_decomposerEEEEE10hipError_tT0_T1_T2_jT3_P12ihipStream_tbPNSt15iterator_traitsISG_E10value_typeEPNSM_ISH_E10value_typeEPSI_NS1_7vsmem_tEENKUlT_SG_SH_SI_E_clIS7_S7_PlSB_EESF_SV_SG_SH_SI_EUlSV_E0_NS1_11comp_targetILNS1_3genE10ELNS1_11target_archE1201ELNS1_3gpuE5ELNS1_3repE0EEENS1_38merge_mergepath_config_static_selectorELNS0_4arch9wavefront6targetE1EEEvSH_: ; @_ZN7rocprim17ROCPRIM_400000_NS6detail17trampoline_kernelINS0_14default_configENS1_38merge_sort_block_merge_config_selectorIslEEZZNS1_27merge_sort_block_merge_implIS3_PsN6thrust23THRUST_200600_302600_NS10device_ptrIlEEjNS1_19radix_merge_compareILb0ELb1EsNS0_19identity_decomposerEEEEE10hipError_tT0_T1_T2_jT3_P12ihipStream_tbPNSt15iterator_traitsISG_E10value_typeEPNSM_ISH_E10value_typeEPSI_NS1_7vsmem_tEENKUlT_SG_SH_SI_E_clIS7_S7_PlSB_EESF_SV_SG_SH_SI_EUlSV_E0_NS1_11comp_targetILNS1_3genE10ELNS1_11target_archE1201ELNS1_3gpuE5ELNS1_3repE0EEENS1_38merge_mergepath_config_static_selectorELNS0_4arch9wavefront6targetE1EEEvSH_
; %bb.0:
	.section	.rodata,"a",@progbits
	.p2align	6, 0x0
	.amdhsa_kernel _ZN7rocprim17ROCPRIM_400000_NS6detail17trampoline_kernelINS0_14default_configENS1_38merge_sort_block_merge_config_selectorIslEEZZNS1_27merge_sort_block_merge_implIS3_PsN6thrust23THRUST_200600_302600_NS10device_ptrIlEEjNS1_19radix_merge_compareILb0ELb1EsNS0_19identity_decomposerEEEEE10hipError_tT0_T1_T2_jT3_P12ihipStream_tbPNSt15iterator_traitsISG_E10value_typeEPNSM_ISH_E10value_typeEPSI_NS1_7vsmem_tEENKUlT_SG_SH_SI_E_clIS7_S7_PlSB_EESF_SV_SG_SH_SI_EUlSV_E0_NS1_11comp_targetILNS1_3genE10ELNS1_11target_archE1201ELNS1_3gpuE5ELNS1_3repE0EEENS1_38merge_mergepath_config_static_selectorELNS0_4arch9wavefront6targetE1EEEvSH_
		.amdhsa_group_segment_fixed_size 0
		.amdhsa_private_segment_fixed_size 0
		.amdhsa_kernarg_size 64
		.amdhsa_user_sgpr_count 6
		.amdhsa_user_sgpr_private_segment_buffer 1
		.amdhsa_user_sgpr_dispatch_ptr 0
		.amdhsa_user_sgpr_queue_ptr 0
		.amdhsa_user_sgpr_kernarg_segment_ptr 1
		.amdhsa_user_sgpr_dispatch_id 0
		.amdhsa_user_sgpr_flat_scratch_init 0
		.amdhsa_user_sgpr_private_segment_size 0
		.amdhsa_uses_dynamic_stack 0
		.amdhsa_system_sgpr_private_segment_wavefront_offset 0
		.amdhsa_system_sgpr_workgroup_id_x 1
		.amdhsa_system_sgpr_workgroup_id_y 0
		.amdhsa_system_sgpr_workgroup_id_z 0
		.amdhsa_system_sgpr_workgroup_info 0
		.amdhsa_system_vgpr_workitem_id 0
		.amdhsa_next_free_vgpr 1
		.amdhsa_next_free_sgpr 0
		.amdhsa_reserve_vcc 0
		.amdhsa_reserve_flat_scratch 0
		.amdhsa_float_round_mode_32 0
		.amdhsa_float_round_mode_16_64 0
		.amdhsa_float_denorm_mode_32 3
		.amdhsa_float_denorm_mode_16_64 3
		.amdhsa_dx10_clamp 1
		.amdhsa_ieee_mode 1
		.amdhsa_fp16_overflow 0
		.amdhsa_exception_fp_ieee_invalid_op 0
		.amdhsa_exception_fp_denorm_src 0
		.amdhsa_exception_fp_ieee_div_zero 0
		.amdhsa_exception_fp_ieee_overflow 0
		.amdhsa_exception_fp_ieee_underflow 0
		.amdhsa_exception_fp_ieee_inexact 0
		.amdhsa_exception_int_div_zero 0
	.end_amdhsa_kernel
	.section	.text._ZN7rocprim17ROCPRIM_400000_NS6detail17trampoline_kernelINS0_14default_configENS1_38merge_sort_block_merge_config_selectorIslEEZZNS1_27merge_sort_block_merge_implIS3_PsN6thrust23THRUST_200600_302600_NS10device_ptrIlEEjNS1_19radix_merge_compareILb0ELb1EsNS0_19identity_decomposerEEEEE10hipError_tT0_T1_T2_jT3_P12ihipStream_tbPNSt15iterator_traitsISG_E10value_typeEPNSM_ISH_E10value_typeEPSI_NS1_7vsmem_tEENKUlT_SG_SH_SI_E_clIS7_S7_PlSB_EESF_SV_SG_SH_SI_EUlSV_E0_NS1_11comp_targetILNS1_3genE10ELNS1_11target_archE1201ELNS1_3gpuE5ELNS1_3repE0EEENS1_38merge_mergepath_config_static_selectorELNS0_4arch9wavefront6targetE1EEEvSH_,"axG",@progbits,_ZN7rocprim17ROCPRIM_400000_NS6detail17trampoline_kernelINS0_14default_configENS1_38merge_sort_block_merge_config_selectorIslEEZZNS1_27merge_sort_block_merge_implIS3_PsN6thrust23THRUST_200600_302600_NS10device_ptrIlEEjNS1_19radix_merge_compareILb0ELb1EsNS0_19identity_decomposerEEEEE10hipError_tT0_T1_T2_jT3_P12ihipStream_tbPNSt15iterator_traitsISG_E10value_typeEPNSM_ISH_E10value_typeEPSI_NS1_7vsmem_tEENKUlT_SG_SH_SI_E_clIS7_S7_PlSB_EESF_SV_SG_SH_SI_EUlSV_E0_NS1_11comp_targetILNS1_3genE10ELNS1_11target_archE1201ELNS1_3gpuE5ELNS1_3repE0EEENS1_38merge_mergepath_config_static_selectorELNS0_4arch9wavefront6targetE1EEEvSH_,comdat
.Lfunc_end1341:
	.size	_ZN7rocprim17ROCPRIM_400000_NS6detail17trampoline_kernelINS0_14default_configENS1_38merge_sort_block_merge_config_selectorIslEEZZNS1_27merge_sort_block_merge_implIS3_PsN6thrust23THRUST_200600_302600_NS10device_ptrIlEEjNS1_19radix_merge_compareILb0ELb1EsNS0_19identity_decomposerEEEEE10hipError_tT0_T1_T2_jT3_P12ihipStream_tbPNSt15iterator_traitsISG_E10value_typeEPNSM_ISH_E10value_typeEPSI_NS1_7vsmem_tEENKUlT_SG_SH_SI_E_clIS7_S7_PlSB_EESF_SV_SG_SH_SI_EUlSV_E0_NS1_11comp_targetILNS1_3genE10ELNS1_11target_archE1201ELNS1_3gpuE5ELNS1_3repE0EEENS1_38merge_mergepath_config_static_selectorELNS0_4arch9wavefront6targetE1EEEvSH_, .Lfunc_end1341-_ZN7rocprim17ROCPRIM_400000_NS6detail17trampoline_kernelINS0_14default_configENS1_38merge_sort_block_merge_config_selectorIslEEZZNS1_27merge_sort_block_merge_implIS3_PsN6thrust23THRUST_200600_302600_NS10device_ptrIlEEjNS1_19radix_merge_compareILb0ELb1EsNS0_19identity_decomposerEEEEE10hipError_tT0_T1_T2_jT3_P12ihipStream_tbPNSt15iterator_traitsISG_E10value_typeEPNSM_ISH_E10value_typeEPSI_NS1_7vsmem_tEENKUlT_SG_SH_SI_E_clIS7_S7_PlSB_EESF_SV_SG_SH_SI_EUlSV_E0_NS1_11comp_targetILNS1_3genE10ELNS1_11target_archE1201ELNS1_3gpuE5ELNS1_3repE0EEENS1_38merge_mergepath_config_static_selectorELNS0_4arch9wavefront6targetE1EEEvSH_
                                        ; -- End function
	.set _ZN7rocprim17ROCPRIM_400000_NS6detail17trampoline_kernelINS0_14default_configENS1_38merge_sort_block_merge_config_selectorIslEEZZNS1_27merge_sort_block_merge_implIS3_PsN6thrust23THRUST_200600_302600_NS10device_ptrIlEEjNS1_19radix_merge_compareILb0ELb1EsNS0_19identity_decomposerEEEEE10hipError_tT0_T1_T2_jT3_P12ihipStream_tbPNSt15iterator_traitsISG_E10value_typeEPNSM_ISH_E10value_typeEPSI_NS1_7vsmem_tEENKUlT_SG_SH_SI_E_clIS7_S7_PlSB_EESF_SV_SG_SH_SI_EUlSV_E0_NS1_11comp_targetILNS1_3genE10ELNS1_11target_archE1201ELNS1_3gpuE5ELNS1_3repE0EEENS1_38merge_mergepath_config_static_selectorELNS0_4arch9wavefront6targetE1EEEvSH_.num_vgpr, 0
	.set _ZN7rocprim17ROCPRIM_400000_NS6detail17trampoline_kernelINS0_14default_configENS1_38merge_sort_block_merge_config_selectorIslEEZZNS1_27merge_sort_block_merge_implIS3_PsN6thrust23THRUST_200600_302600_NS10device_ptrIlEEjNS1_19radix_merge_compareILb0ELb1EsNS0_19identity_decomposerEEEEE10hipError_tT0_T1_T2_jT3_P12ihipStream_tbPNSt15iterator_traitsISG_E10value_typeEPNSM_ISH_E10value_typeEPSI_NS1_7vsmem_tEENKUlT_SG_SH_SI_E_clIS7_S7_PlSB_EESF_SV_SG_SH_SI_EUlSV_E0_NS1_11comp_targetILNS1_3genE10ELNS1_11target_archE1201ELNS1_3gpuE5ELNS1_3repE0EEENS1_38merge_mergepath_config_static_selectorELNS0_4arch9wavefront6targetE1EEEvSH_.num_agpr, 0
	.set _ZN7rocprim17ROCPRIM_400000_NS6detail17trampoline_kernelINS0_14default_configENS1_38merge_sort_block_merge_config_selectorIslEEZZNS1_27merge_sort_block_merge_implIS3_PsN6thrust23THRUST_200600_302600_NS10device_ptrIlEEjNS1_19radix_merge_compareILb0ELb1EsNS0_19identity_decomposerEEEEE10hipError_tT0_T1_T2_jT3_P12ihipStream_tbPNSt15iterator_traitsISG_E10value_typeEPNSM_ISH_E10value_typeEPSI_NS1_7vsmem_tEENKUlT_SG_SH_SI_E_clIS7_S7_PlSB_EESF_SV_SG_SH_SI_EUlSV_E0_NS1_11comp_targetILNS1_3genE10ELNS1_11target_archE1201ELNS1_3gpuE5ELNS1_3repE0EEENS1_38merge_mergepath_config_static_selectorELNS0_4arch9wavefront6targetE1EEEvSH_.numbered_sgpr, 0
	.set _ZN7rocprim17ROCPRIM_400000_NS6detail17trampoline_kernelINS0_14default_configENS1_38merge_sort_block_merge_config_selectorIslEEZZNS1_27merge_sort_block_merge_implIS3_PsN6thrust23THRUST_200600_302600_NS10device_ptrIlEEjNS1_19radix_merge_compareILb0ELb1EsNS0_19identity_decomposerEEEEE10hipError_tT0_T1_T2_jT3_P12ihipStream_tbPNSt15iterator_traitsISG_E10value_typeEPNSM_ISH_E10value_typeEPSI_NS1_7vsmem_tEENKUlT_SG_SH_SI_E_clIS7_S7_PlSB_EESF_SV_SG_SH_SI_EUlSV_E0_NS1_11comp_targetILNS1_3genE10ELNS1_11target_archE1201ELNS1_3gpuE5ELNS1_3repE0EEENS1_38merge_mergepath_config_static_selectorELNS0_4arch9wavefront6targetE1EEEvSH_.num_named_barrier, 0
	.set _ZN7rocprim17ROCPRIM_400000_NS6detail17trampoline_kernelINS0_14default_configENS1_38merge_sort_block_merge_config_selectorIslEEZZNS1_27merge_sort_block_merge_implIS3_PsN6thrust23THRUST_200600_302600_NS10device_ptrIlEEjNS1_19radix_merge_compareILb0ELb1EsNS0_19identity_decomposerEEEEE10hipError_tT0_T1_T2_jT3_P12ihipStream_tbPNSt15iterator_traitsISG_E10value_typeEPNSM_ISH_E10value_typeEPSI_NS1_7vsmem_tEENKUlT_SG_SH_SI_E_clIS7_S7_PlSB_EESF_SV_SG_SH_SI_EUlSV_E0_NS1_11comp_targetILNS1_3genE10ELNS1_11target_archE1201ELNS1_3gpuE5ELNS1_3repE0EEENS1_38merge_mergepath_config_static_selectorELNS0_4arch9wavefront6targetE1EEEvSH_.private_seg_size, 0
	.set _ZN7rocprim17ROCPRIM_400000_NS6detail17trampoline_kernelINS0_14default_configENS1_38merge_sort_block_merge_config_selectorIslEEZZNS1_27merge_sort_block_merge_implIS3_PsN6thrust23THRUST_200600_302600_NS10device_ptrIlEEjNS1_19radix_merge_compareILb0ELb1EsNS0_19identity_decomposerEEEEE10hipError_tT0_T1_T2_jT3_P12ihipStream_tbPNSt15iterator_traitsISG_E10value_typeEPNSM_ISH_E10value_typeEPSI_NS1_7vsmem_tEENKUlT_SG_SH_SI_E_clIS7_S7_PlSB_EESF_SV_SG_SH_SI_EUlSV_E0_NS1_11comp_targetILNS1_3genE10ELNS1_11target_archE1201ELNS1_3gpuE5ELNS1_3repE0EEENS1_38merge_mergepath_config_static_selectorELNS0_4arch9wavefront6targetE1EEEvSH_.uses_vcc, 0
	.set _ZN7rocprim17ROCPRIM_400000_NS6detail17trampoline_kernelINS0_14default_configENS1_38merge_sort_block_merge_config_selectorIslEEZZNS1_27merge_sort_block_merge_implIS3_PsN6thrust23THRUST_200600_302600_NS10device_ptrIlEEjNS1_19radix_merge_compareILb0ELb1EsNS0_19identity_decomposerEEEEE10hipError_tT0_T1_T2_jT3_P12ihipStream_tbPNSt15iterator_traitsISG_E10value_typeEPNSM_ISH_E10value_typeEPSI_NS1_7vsmem_tEENKUlT_SG_SH_SI_E_clIS7_S7_PlSB_EESF_SV_SG_SH_SI_EUlSV_E0_NS1_11comp_targetILNS1_3genE10ELNS1_11target_archE1201ELNS1_3gpuE5ELNS1_3repE0EEENS1_38merge_mergepath_config_static_selectorELNS0_4arch9wavefront6targetE1EEEvSH_.uses_flat_scratch, 0
	.set _ZN7rocprim17ROCPRIM_400000_NS6detail17trampoline_kernelINS0_14default_configENS1_38merge_sort_block_merge_config_selectorIslEEZZNS1_27merge_sort_block_merge_implIS3_PsN6thrust23THRUST_200600_302600_NS10device_ptrIlEEjNS1_19radix_merge_compareILb0ELb1EsNS0_19identity_decomposerEEEEE10hipError_tT0_T1_T2_jT3_P12ihipStream_tbPNSt15iterator_traitsISG_E10value_typeEPNSM_ISH_E10value_typeEPSI_NS1_7vsmem_tEENKUlT_SG_SH_SI_E_clIS7_S7_PlSB_EESF_SV_SG_SH_SI_EUlSV_E0_NS1_11comp_targetILNS1_3genE10ELNS1_11target_archE1201ELNS1_3gpuE5ELNS1_3repE0EEENS1_38merge_mergepath_config_static_selectorELNS0_4arch9wavefront6targetE1EEEvSH_.has_dyn_sized_stack, 0
	.set _ZN7rocprim17ROCPRIM_400000_NS6detail17trampoline_kernelINS0_14default_configENS1_38merge_sort_block_merge_config_selectorIslEEZZNS1_27merge_sort_block_merge_implIS3_PsN6thrust23THRUST_200600_302600_NS10device_ptrIlEEjNS1_19radix_merge_compareILb0ELb1EsNS0_19identity_decomposerEEEEE10hipError_tT0_T1_T2_jT3_P12ihipStream_tbPNSt15iterator_traitsISG_E10value_typeEPNSM_ISH_E10value_typeEPSI_NS1_7vsmem_tEENKUlT_SG_SH_SI_E_clIS7_S7_PlSB_EESF_SV_SG_SH_SI_EUlSV_E0_NS1_11comp_targetILNS1_3genE10ELNS1_11target_archE1201ELNS1_3gpuE5ELNS1_3repE0EEENS1_38merge_mergepath_config_static_selectorELNS0_4arch9wavefront6targetE1EEEvSH_.has_recursion, 0
	.set _ZN7rocprim17ROCPRIM_400000_NS6detail17trampoline_kernelINS0_14default_configENS1_38merge_sort_block_merge_config_selectorIslEEZZNS1_27merge_sort_block_merge_implIS3_PsN6thrust23THRUST_200600_302600_NS10device_ptrIlEEjNS1_19radix_merge_compareILb0ELb1EsNS0_19identity_decomposerEEEEE10hipError_tT0_T1_T2_jT3_P12ihipStream_tbPNSt15iterator_traitsISG_E10value_typeEPNSM_ISH_E10value_typeEPSI_NS1_7vsmem_tEENKUlT_SG_SH_SI_E_clIS7_S7_PlSB_EESF_SV_SG_SH_SI_EUlSV_E0_NS1_11comp_targetILNS1_3genE10ELNS1_11target_archE1201ELNS1_3gpuE5ELNS1_3repE0EEENS1_38merge_mergepath_config_static_selectorELNS0_4arch9wavefront6targetE1EEEvSH_.has_indirect_call, 0
	.section	.AMDGPU.csdata,"",@progbits
; Kernel info:
; codeLenInByte = 0
; TotalNumSgprs: 4
; NumVgprs: 0
; ScratchSize: 0
; MemoryBound: 0
; FloatMode: 240
; IeeeMode: 1
; LDSByteSize: 0 bytes/workgroup (compile time only)
; SGPRBlocks: 0
; VGPRBlocks: 0
; NumSGPRsForWavesPerEU: 4
; NumVGPRsForWavesPerEU: 1
; Occupancy: 10
; WaveLimiterHint : 0
; COMPUTE_PGM_RSRC2:SCRATCH_EN: 0
; COMPUTE_PGM_RSRC2:USER_SGPR: 6
; COMPUTE_PGM_RSRC2:TRAP_HANDLER: 0
; COMPUTE_PGM_RSRC2:TGID_X_EN: 1
; COMPUTE_PGM_RSRC2:TGID_Y_EN: 0
; COMPUTE_PGM_RSRC2:TGID_Z_EN: 0
; COMPUTE_PGM_RSRC2:TIDIG_COMP_CNT: 0
	.section	.text._ZN7rocprim17ROCPRIM_400000_NS6detail17trampoline_kernelINS0_14default_configENS1_38merge_sort_block_merge_config_selectorIslEEZZNS1_27merge_sort_block_merge_implIS3_PsN6thrust23THRUST_200600_302600_NS10device_ptrIlEEjNS1_19radix_merge_compareILb0ELb1EsNS0_19identity_decomposerEEEEE10hipError_tT0_T1_T2_jT3_P12ihipStream_tbPNSt15iterator_traitsISG_E10value_typeEPNSM_ISH_E10value_typeEPSI_NS1_7vsmem_tEENKUlT_SG_SH_SI_E_clIS7_S7_PlSB_EESF_SV_SG_SH_SI_EUlSV_E0_NS1_11comp_targetILNS1_3genE5ELNS1_11target_archE942ELNS1_3gpuE9ELNS1_3repE0EEENS1_38merge_mergepath_config_static_selectorELNS0_4arch9wavefront6targetE1EEEvSH_,"axG",@progbits,_ZN7rocprim17ROCPRIM_400000_NS6detail17trampoline_kernelINS0_14default_configENS1_38merge_sort_block_merge_config_selectorIslEEZZNS1_27merge_sort_block_merge_implIS3_PsN6thrust23THRUST_200600_302600_NS10device_ptrIlEEjNS1_19radix_merge_compareILb0ELb1EsNS0_19identity_decomposerEEEEE10hipError_tT0_T1_T2_jT3_P12ihipStream_tbPNSt15iterator_traitsISG_E10value_typeEPNSM_ISH_E10value_typeEPSI_NS1_7vsmem_tEENKUlT_SG_SH_SI_E_clIS7_S7_PlSB_EESF_SV_SG_SH_SI_EUlSV_E0_NS1_11comp_targetILNS1_3genE5ELNS1_11target_archE942ELNS1_3gpuE9ELNS1_3repE0EEENS1_38merge_mergepath_config_static_selectorELNS0_4arch9wavefront6targetE1EEEvSH_,comdat
	.protected	_ZN7rocprim17ROCPRIM_400000_NS6detail17trampoline_kernelINS0_14default_configENS1_38merge_sort_block_merge_config_selectorIslEEZZNS1_27merge_sort_block_merge_implIS3_PsN6thrust23THRUST_200600_302600_NS10device_ptrIlEEjNS1_19radix_merge_compareILb0ELb1EsNS0_19identity_decomposerEEEEE10hipError_tT0_T1_T2_jT3_P12ihipStream_tbPNSt15iterator_traitsISG_E10value_typeEPNSM_ISH_E10value_typeEPSI_NS1_7vsmem_tEENKUlT_SG_SH_SI_E_clIS7_S7_PlSB_EESF_SV_SG_SH_SI_EUlSV_E0_NS1_11comp_targetILNS1_3genE5ELNS1_11target_archE942ELNS1_3gpuE9ELNS1_3repE0EEENS1_38merge_mergepath_config_static_selectorELNS0_4arch9wavefront6targetE1EEEvSH_ ; -- Begin function _ZN7rocprim17ROCPRIM_400000_NS6detail17trampoline_kernelINS0_14default_configENS1_38merge_sort_block_merge_config_selectorIslEEZZNS1_27merge_sort_block_merge_implIS3_PsN6thrust23THRUST_200600_302600_NS10device_ptrIlEEjNS1_19radix_merge_compareILb0ELb1EsNS0_19identity_decomposerEEEEE10hipError_tT0_T1_T2_jT3_P12ihipStream_tbPNSt15iterator_traitsISG_E10value_typeEPNSM_ISH_E10value_typeEPSI_NS1_7vsmem_tEENKUlT_SG_SH_SI_E_clIS7_S7_PlSB_EESF_SV_SG_SH_SI_EUlSV_E0_NS1_11comp_targetILNS1_3genE5ELNS1_11target_archE942ELNS1_3gpuE9ELNS1_3repE0EEENS1_38merge_mergepath_config_static_selectorELNS0_4arch9wavefront6targetE1EEEvSH_
	.globl	_ZN7rocprim17ROCPRIM_400000_NS6detail17trampoline_kernelINS0_14default_configENS1_38merge_sort_block_merge_config_selectorIslEEZZNS1_27merge_sort_block_merge_implIS3_PsN6thrust23THRUST_200600_302600_NS10device_ptrIlEEjNS1_19radix_merge_compareILb0ELb1EsNS0_19identity_decomposerEEEEE10hipError_tT0_T1_T2_jT3_P12ihipStream_tbPNSt15iterator_traitsISG_E10value_typeEPNSM_ISH_E10value_typeEPSI_NS1_7vsmem_tEENKUlT_SG_SH_SI_E_clIS7_S7_PlSB_EESF_SV_SG_SH_SI_EUlSV_E0_NS1_11comp_targetILNS1_3genE5ELNS1_11target_archE942ELNS1_3gpuE9ELNS1_3repE0EEENS1_38merge_mergepath_config_static_selectorELNS0_4arch9wavefront6targetE1EEEvSH_
	.p2align	8
	.type	_ZN7rocprim17ROCPRIM_400000_NS6detail17trampoline_kernelINS0_14default_configENS1_38merge_sort_block_merge_config_selectorIslEEZZNS1_27merge_sort_block_merge_implIS3_PsN6thrust23THRUST_200600_302600_NS10device_ptrIlEEjNS1_19radix_merge_compareILb0ELb1EsNS0_19identity_decomposerEEEEE10hipError_tT0_T1_T2_jT3_P12ihipStream_tbPNSt15iterator_traitsISG_E10value_typeEPNSM_ISH_E10value_typeEPSI_NS1_7vsmem_tEENKUlT_SG_SH_SI_E_clIS7_S7_PlSB_EESF_SV_SG_SH_SI_EUlSV_E0_NS1_11comp_targetILNS1_3genE5ELNS1_11target_archE942ELNS1_3gpuE9ELNS1_3repE0EEENS1_38merge_mergepath_config_static_selectorELNS0_4arch9wavefront6targetE1EEEvSH_,@function
_ZN7rocprim17ROCPRIM_400000_NS6detail17trampoline_kernelINS0_14default_configENS1_38merge_sort_block_merge_config_selectorIslEEZZNS1_27merge_sort_block_merge_implIS3_PsN6thrust23THRUST_200600_302600_NS10device_ptrIlEEjNS1_19radix_merge_compareILb0ELb1EsNS0_19identity_decomposerEEEEE10hipError_tT0_T1_T2_jT3_P12ihipStream_tbPNSt15iterator_traitsISG_E10value_typeEPNSM_ISH_E10value_typeEPSI_NS1_7vsmem_tEENKUlT_SG_SH_SI_E_clIS7_S7_PlSB_EESF_SV_SG_SH_SI_EUlSV_E0_NS1_11comp_targetILNS1_3genE5ELNS1_11target_archE942ELNS1_3gpuE9ELNS1_3repE0EEENS1_38merge_mergepath_config_static_selectorELNS0_4arch9wavefront6targetE1EEEvSH_: ; @_ZN7rocprim17ROCPRIM_400000_NS6detail17trampoline_kernelINS0_14default_configENS1_38merge_sort_block_merge_config_selectorIslEEZZNS1_27merge_sort_block_merge_implIS3_PsN6thrust23THRUST_200600_302600_NS10device_ptrIlEEjNS1_19radix_merge_compareILb0ELb1EsNS0_19identity_decomposerEEEEE10hipError_tT0_T1_T2_jT3_P12ihipStream_tbPNSt15iterator_traitsISG_E10value_typeEPNSM_ISH_E10value_typeEPSI_NS1_7vsmem_tEENKUlT_SG_SH_SI_E_clIS7_S7_PlSB_EESF_SV_SG_SH_SI_EUlSV_E0_NS1_11comp_targetILNS1_3genE5ELNS1_11target_archE942ELNS1_3gpuE9ELNS1_3repE0EEENS1_38merge_mergepath_config_static_selectorELNS0_4arch9wavefront6targetE1EEEvSH_
; %bb.0:
	.section	.rodata,"a",@progbits
	.p2align	6, 0x0
	.amdhsa_kernel _ZN7rocprim17ROCPRIM_400000_NS6detail17trampoline_kernelINS0_14default_configENS1_38merge_sort_block_merge_config_selectorIslEEZZNS1_27merge_sort_block_merge_implIS3_PsN6thrust23THRUST_200600_302600_NS10device_ptrIlEEjNS1_19radix_merge_compareILb0ELb1EsNS0_19identity_decomposerEEEEE10hipError_tT0_T1_T2_jT3_P12ihipStream_tbPNSt15iterator_traitsISG_E10value_typeEPNSM_ISH_E10value_typeEPSI_NS1_7vsmem_tEENKUlT_SG_SH_SI_E_clIS7_S7_PlSB_EESF_SV_SG_SH_SI_EUlSV_E0_NS1_11comp_targetILNS1_3genE5ELNS1_11target_archE942ELNS1_3gpuE9ELNS1_3repE0EEENS1_38merge_mergepath_config_static_selectorELNS0_4arch9wavefront6targetE1EEEvSH_
		.amdhsa_group_segment_fixed_size 0
		.amdhsa_private_segment_fixed_size 0
		.amdhsa_kernarg_size 64
		.amdhsa_user_sgpr_count 6
		.amdhsa_user_sgpr_private_segment_buffer 1
		.amdhsa_user_sgpr_dispatch_ptr 0
		.amdhsa_user_sgpr_queue_ptr 0
		.amdhsa_user_sgpr_kernarg_segment_ptr 1
		.amdhsa_user_sgpr_dispatch_id 0
		.amdhsa_user_sgpr_flat_scratch_init 0
		.amdhsa_user_sgpr_private_segment_size 0
		.amdhsa_uses_dynamic_stack 0
		.amdhsa_system_sgpr_private_segment_wavefront_offset 0
		.amdhsa_system_sgpr_workgroup_id_x 1
		.amdhsa_system_sgpr_workgroup_id_y 0
		.amdhsa_system_sgpr_workgroup_id_z 0
		.amdhsa_system_sgpr_workgroup_info 0
		.amdhsa_system_vgpr_workitem_id 0
		.amdhsa_next_free_vgpr 1
		.amdhsa_next_free_sgpr 0
		.amdhsa_reserve_vcc 0
		.amdhsa_reserve_flat_scratch 0
		.amdhsa_float_round_mode_32 0
		.amdhsa_float_round_mode_16_64 0
		.amdhsa_float_denorm_mode_32 3
		.amdhsa_float_denorm_mode_16_64 3
		.amdhsa_dx10_clamp 1
		.amdhsa_ieee_mode 1
		.amdhsa_fp16_overflow 0
		.amdhsa_exception_fp_ieee_invalid_op 0
		.amdhsa_exception_fp_denorm_src 0
		.amdhsa_exception_fp_ieee_div_zero 0
		.amdhsa_exception_fp_ieee_overflow 0
		.amdhsa_exception_fp_ieee_underflow 0
		.amdhsa_exception_fp_ieee_inexact 0
		.amdhsa_exception_int_div_zero 0
	.end_amdhsa_kernel
	.section	.text._ZN7rocprim17ROCPRIM_400000_NS6detail17trampoline_kernelINS0_14default_configENS1_38merge_sort_block_merge_config_selectorIslEEZZNS1_27merge_sort_block_merge_implIS3_PsN6thrust23THRUST_200600_302600_NS10device_ptrIlEEjNS1_19radix_merge_compareILb0ELb1EsNS0_19identity_decomposerEEEEE10hipError_tT0_T1_T2_jT3_P12ihipStream_tbPNSt15iterator_traitsISG_E10value_typeEPNSM_ISH_E10value_typeEPSI_NS1_7vsmem_tEENKUlT_SG_SH_SI_E_clIS7_S7_PlSB_EESF_SV_SG_SH_SI_EUlSV_E0_NS1_11comp_targetILNS1_3genE5ELNS1_11target_archE942ELNS1_3gpuE9ELNS1_3repE0EEENS1_38merge_mergepath_config_static_selectorELNS0_4arch9wavefront6targetE1EEEvSH_,"axG",@progbits,_ZN7rocprim17ROCPRIM_400000_NS6detail17trampoline_kernelINS0_14default_configENS1_38merge_sort_block_merge_config_selectorIslEEZZNS1_27merge_sort_block_merge_implIS3_PsN6thrust23THRUST_200600_302600_NS10device_ptrIlEEjNS1_19radix_merge_compareILb0ELb1EsNS0_19identity_decomposerEEEEE10hipError_tT0_T1_T2_jT3_P12ihipStream_tbPNSt15iterator_traitsISG_E10value_typeEPNSM_ISH_E10value_typeEPSI_NS1_7vsmem_tEENKUlT_SG_SH_SI_E_clIS7_S7_PlSB_EESF_SV_SG_SH_SI_EUlSV_E0_NS1_11comp_targetILNS1_3genE5ELNS1_11target_archE942ELNS1_3gpuE9ELNS1_3repE0EEENS1_38merge_mergepath_config_static_selectorELNS0_4arch9wavefront6targetE1EEEvSH_,comdat
.Lfunc_end1342:
	.size	_ZN7rocprim17ROCPRIM_400000_NS6detail17trampoline_kernelINS0_14default_configENS1_38merge_sort_block_merge_config_selectorIslEEZZNS1_27merge_sort_block_merge_implIS3_PsN6thrust23THRUST_200600_302600_NS10device_ptrIlEEjNS1_19radix_merge_compareILb0ELb1EsNS0_19identity_decomposerEEEEE10hipError_tT0_T1_T2_jT3_P12ihipStream_tbPNSt15iterator_traitsISG_E10value_typeEPNSM_ISH_E10value_typeEPSI_NS1_7vsmem_tEENKUlT_SG_SH_SI_E_clIS7_S7_PlSB_EESF_SV_SG_SH_SI_EUlSV_E0_NS1_11comp_targetILNS1_3genE5ELNS1_11target_archE942ELNS1_3gpuE9ELNS1_3repE0EEENS1_38merge_mergepath_config_static_selectorELNS0_4arch9wavefront6targetE1EEEvSH_, .Lfunc_end1342-_ZN7rocprim17ROCPRIM_400000_NS6detail17trampoline_kernelINS0_14default_configENS1_38merge_sort_block_merge_config_selectorIslEEZZNS1_27merge_sort_block_merge_implIS3_PsN6thrust23THRUST_200600_302600_NS10device_ptrIlEEjNS1_19radix_merge_compareILb0ELb1EsNS0_19identity_decomposerEEEEE10hipError_tT0_T1_T2_jT3_P12ihipStream_tbPNSt15iterator_traitsISG_E10value_typeEPNSM_ISH_E10value_typeEPSI_NS1_7vsmem_tEENKUlT_SG_SH_SI_E_clIS7_S7_PlSB_EESF_SV_SG_SH_SI_EUlSV_E0_NS1_11comp_targetILNS1_3genE5ELNS1_11target_archE942ELNS1_3gpuE9ELNS1_3repE0EEENS1_38merge_mergepath_config_static_selectorELNS0_4arch9wavefront6targetE1EEEvSH_
                                        ; -- End function
	.set _ZN7rocprim17ROCPRIM_400000_NS6detail17trampoline_kernelINS0_14default_configENS1_38merge_sort_block_merge_config_selectorIslEEZZNS1_27merge_sort_block_merge_implIS3_PsN6thrust23THRUST_200600_302600_NS10device_ptrIlEEjNS1_19radix_merge_compareILb0ELb1EsNS0_19identity_decomposerEEEEE10hipError_tT0_T1_T2_jT3_P12ihipStream_tbPNSt15iterator_traitsISG_E10value_typeEPNSM_ISH_E10value_typeEPSI_NS1_7vsmem_tEENKUlT_SG_SH_SI_E_clIS7_S7_PlSB_EESF_SV_SG_SH_SI_EUlSV_E0_NS1_11comp_targetILNS1_3genE5ELNS1_11target_archE942ELNS1_3gpuE9ELNS1_3repE0EEENS1_38merge_mergepath_config_static_selectorELNS0_4arch9wavefront6targetE1EEEvSH_.num_vgpr, 0
	.set _ZN7rocprim17ROCPRIM_400000_NS6detail17trampoline_kernelINS0_14default_configENS1_38merge_sort_block_merge_config_selectorIslEEZZNS1_27merge_sort_block_merge_implIS3_PsN6thrust23THRUST_200600_302600_NS10device_ptrIlEEjNS1_19radix_merge_compareILb0ELb1EsNS0_19identity_decomposerEEEEE10hipError_tT0_T1_T2_jT3_P12ihipStream_tbPNSt15iterator_traitsISG_E10value_typeEPNSM_ISH_E10value_typeEPSI_NS1_7vsmem_tEENKUlT_SG_SH_SI_E_clIS7_S7_PlSB_EESF_SV_SG_SH_SI_EUlSV_E0_NS1_11comp_targetILNS1_3genE5ELNS1_11target_archE942ELNS1_3gpuE9ELNS1_3repE0EEENS1_38merge_mergepath_config_static_selectorELNS0_4arch9wavefront6targetE1EEEvSH_.num_agpr, 0
	.set _ZN7rocprim17ROCPRIM_400000_NS6detail17trampoline_kernelINS0_14default_configENS1_38merge_sort_block_merge_config_selectorIslEEZZNS1_27merge_sort_block_merge_implIS3_PsN6thrust23THRUST_200600_302600_NS10device_ptrIlEEjNS1_19radix_merge_compareILb0ELb1EsNS0_19identity_decomposerEEEEE10hipError_tT0_T1_T2_jT3_P12ihipStream_tbPNSt15iterator_traitsISG_E10value_typeEPNSM_ISH_E10value_typeEPSI_NS1_7vsmem_tEENKUlT_SG_SH_SI_E_clIS7_S7_PlSB_EESF_SV_SG_SH_SI_EUlSV_E0_NS1_11comp_targetILNS1_3genE5ELNS1_11target_archE942ELNS1_3gpuE9ELNS1_3repE0EEENS1_38merge_mergepath_config_static_selectorELNS0_4arch9wavefront6targetE1EEEvSH_.numbered_sgpr, 0
	.set _ZN7rocprim17ROCPRIM_400000_NS6detail17trampoline_kernelINS0_14default_configENS1_38merge_sort_block_merge_config_selectorIslEEZZNS1_27merge_sort_block_merge_implIS3_PsN6thrust23THRUST_200600_302600_NS10device_ptrIlEEjNS1_19radix_merge_compareILb0ELb1EsNS0_19identity_decomposerEEEEE10hipError_tT0_T1_T2_jT3_P12ihipStream_tbPNSt15iterator_traitsISG_E10value_typeEPNSM_ISH_E10value_typeEPSI_NS1_7vsmem_tEENKUlT_SG_SH_SI_E_clIS7_S7_PlSB_EESF_SV_SG_SH_SI_EUlSV_E0_NS1_11comp_targetILNS1_3genE5ELNS1_11target_archE942ELNS1_3gpuE9ELNS1_3repE0EEENS1_38merge_mergepath_config_static_selectorELNS0_4arch9wavefront6targetE1EEEvSH_.num_named_barrier, 0
	.set _ZN7rocprim17ROCPRIM_400000_NS6detail17trampoline_kernelINS0_14default_configENS1_38merge_sort_block_merge_config_selectorIslEEZZNS1_27merge_sort_block_merge_implIS3_PsN6thrust23THRUST_200600_302600_NS10device_ptrIlEEjNS1_19radix_merge_compareILb0ELb1EsNS0_19identity_decomposerEEEEE10hipError_tT0_T1_T2_jT3_P12ihipStream_tbPNSt15iterator_traitsISG_E10value_typeEPNSM_ISH_E10value_typeEPSI_NS1_7vsmem_tEENKUlT_SG_SH_SI_E_clIS7_S7_PlSB_EESF_SV_SG_SH_SI_EUlSV_E0_NS1_11comp_targetILNS1_3genE5ELNS1_11target_archE942ELNS1_3gpuE9ELNS1_3repE0EEENS1_38merge_mergepath_config_static_selectorELNS0_4arch9wavefront6targetE1EEEvSH_.private_seg_size, 0
	.set _ZN7rocprim17ROCPRIM_400000_NS6detail17trampoline_kernelINS0_14default_configENS1_38merge_sort_block_merge_config_selectorIslEEZZNS1_27merge_sort_block_merge_implIS3_PsN6thrust23THRUST_200600_302600_NS10device_ptrIlEEjNS1_19radix_merge_compareILb0ELb1EsNS0_19identity_decomposerEEEEE10hipError_tT0_T1_T2_jT3_P12ihipStream_tbPNSt15iterator_traitsISG_E10value_typeEPNSM_ISH_E10value_typeEPSI_NS1_7vsmem_tEENKUlT_SG_SH_SI_E_clIS7_S7_PlSB_EESF_SV_SG_SH_SI_EUlSV_E0_NS1_11comp_targetILNS1_3genE5ELNS1_11target_archE942ELNS1_3gpuE9ELNS1_3repE0EEENS1_38merge_mergepath_config_static_selectorELNS0_4arch9wavefront6targetE1EEEvSH_.uses_vcc, 0
	.set _ZN7rocprim17ROCPRIM_400000_NS6detail17trampoline_kernelINS0_14default_configENS1_38merge_sort_block_merge_config_selectorIslEEZZNS1_27merge_sort_block_merge_implIS3_PsN6thrust23THRUST_200600_302600_NS10device_ptrIlEEjNS1_19radix_merge_compareILb0ELb1EsNS0_19identity_decomposerEEEEE10hipError_tT0_T1_T2_jT3_P12ihipStream_tbPNSt15iterator_traitsISG_E10value_typeEPNSM_ISH_E10value_typeEPSI_NS1_7vsmem_tEENKUlT_SG_SH_SI_E_clIS7_S7_PlSB_EESF_SV_SG_SH_SI_EUlSV_E0_NS1_11comp_targetILNS1_3genE5ELNS1_11target_archE942ELNS1_3gpuE9ELNS1_3repE0EEENS1_38merge_mergepath_config_static_selectorELNS0_4arch9wavefront6targetE1EEEvSH_.uses_flat_scratch, 0
	.set _ZN7rocprim17ROCPRIM_400000_NS6detail17trampoline_kernelINS0_14default_configENS1_38merge_sort_block_merge_config_selectorIslEEZZNS1_27merge_sort_block_merge_implIS3_PsN6thrust23THRUST_200600_302600_NS10device_ptrIlEEjNS1_19radix_merge_compareILb0ELb1EsNS0_19identity_decomposerEEEEE10hipError_tT0_T1_T2_jT3_P12ihipStream_tbPNSt15iterator_traitsISG_E10value_typeEPNSM_ISH_E10value_typeEPSI_NS1_7vsmem_tEENKUlT_SG_SH_SI_E_clIS7_S7_PlSB_EESF_SV_SG_SH_SI_EUlSV_E0_NS1_11comp_targetILNS1_3genE5ELNS1_11target_archE942ELNS1_3gpuE9ELNS1_3repE0EEENS1_38merge_mergepath_config_static_selectorELNS0_4arch9wavefront6targetE1EEEvSH_.has_dyn_sized_stack, 0
	.set _ZN7rocprim17ROCPRIM_400000_NS6detail17trampoline_kernelINS0_14default_configENS1_38merge_sort_block_merge_config_selectorIslEEZZNS1_27merge_sort_block_merge_implIS3_PsN6thrust23THRUST_200600_302600_NS10device_ptrIlEEjNS1_19radix_merge_compareILb0ELb1EsNS0_19identity_decomposerEEEEE10hipError_tT0_T1_T2_jT3_P12ihipStream_tbPNSt15iterator_traitsISG_E10value_typeEPNSM_ISH_E10value_typeEPSI_NS1_7vsmem_tEENKUlT_SG_SH_SI_E_clIS7_S7_PlSB_EESF_SV_SG_SH_SI_EUlSV_E0_NS1_11comp_targetILNS1_3genE5ELNS1_11target_archE942ELNS1_3gpuE9ELNS1_3repE0EEENS1_38merge_mergepath_config_static_selectorELNS0_4arch9wavefront6targetE1EEEvSH_.has_recursion, 0
	.set _ZN7rocprim17ROCPRIM_400000_NS6detail17trampoline_kernelINS0_14default_configENS1_38merge_sort_block_merge_config_selectorIslEEZZNS1_27merge_sort_block_merge_implIS3_PsN6thrust23THRUST_200600_302600_NS10device_ptrIlEEjNS1_19radix_merge_compareILb0ELb1EsNS0_19identity_decomposerEEEEE10hipError_tT0_T1_T2_jT3_P12ihipStream_tbPNSt15iterator_traitsISG_E10value_typeEPNSM_ISH_E10value_typeEPSI_NS1_7vsmem_tEENKUlT_SG_SH_SI_E_clIS7_S7_PlSB_EESF_SV_SG_SH_SI_EUlSV_E0_NS1_11comp_targetILNS1_3genE5ELNS1_11target_archE942ELNS1_3gpuE9ELNS1_3repE0EEENS1_38merge_mergepath_config_static_selectorELNS0_4arch9wavefront6targetE1EEEvSH_.has_indirect_call, 0
	.section	.AMDGPU.csdata,"",@progbits
; Kernel info:
; codeLenInByte = 0
; TotalNumSgprs: 4
; NumVgprs: 0
; ScratchSize: 0
; MemoryBound: 0
; FloatMode: 240
; IeeeMode: 1
; LDSByteSize: 0 bytes/workgroup (compile time only)
; SGPRBlocks: 0
; VGPRBlocks: 0
; NumSGPRsForWavesPerEU: 4
; NumVGPRsForWavesPerEU: 1
; Occupancy: 10
; WaveLimiterHint : 0
; COMPUTE_PGM_RSRC2:SCRATCH_EN: 0
; COMPUTE_PGM_RSRC2:USER_SGPR: 6
; COMPUTE_PGM_RSRC2:TRAP_HANDLER: 0
; COMPUTE_PGM_RSRC2:TGID_X_EN: 1
; COMPUTE_PGM_RSRC2:TGID_Y_EN: 0
; COMPUTE_PGM_RSRC2:TGID_Z_EN: 0
; COMPUTE_PGM_RSRC2:TIDIG_COMP_CNT: 0
	.section	.text._ZN7rocprim17ROCPRIM_400000_NS6detail17trampoline_kernelINS0_14default_configENS1_38merge_sort_block_merge_config_selectorIslEEZZNS1_27merge_sort_block_merge_implIS3_PsN6thrust23THRUST_200600_302600_NS10device_ptrIlEEjNS1_19radix_merge_compareILb0ELb1EsNS0_19identity_decomposerEEEEE10hipError_tT0_T1_T2_jT3_P12ihipStream_tbPNSt15iterator_traitsISG_E10value_typeEPNSM_ISH_E10value_typeEPSI_NS1_7vsmem_tEENKUlT_SG_SH_SI_E_clIS7_S7_PlSB_EESF_SV_SG_SH_SI_EUlSV_E0_NS1_11comp_targetILNS1_3genE4ELNS1_11target_archE910ELNS1_3gpuE8ELNS1_3repE0EEENS1_38merge_mergepath_config_static_selectorELNS0_4arch9wavefront6targetE1EEEvSH_,"axG",@progbits,_ZN7rocprim17ROCPRIM_400000_NS6detail17trampoline_kernelINS0_14default_configENS1_38merge_sort_block_merge_config_selectorIslEEZZNS1_27merge_sort_block_merge_implIS3_PsN6thrust23THRUST_200600_302600_NS10device_ptrIlEEjNS1_19radix_merge_compareILb0ELb1EsNS0_19identity_decomposerEEEEE10hipError_tT0_T1_T2_jT3_P12ihipStream_tbPNSt15iterator_traitsISG_E10value_typeEPNSM_ISH_E10value_typeEPSI_NS1_7vsmem_tEENKUlT_SG_SH_SI_E_clIS7_S7_PlSB_EESF_SV_SG_SH_SI_EUlSV_E0_NS1_11comp_targetILNS1_3genE4ELNS1_11target_archE910ELNS1_3gpuE8ELNS1_3repE0EEENS1_38merge_mergepath_config_static_selectorELNS0_4arch9wavefront6targetE1EEEvSH_,comdat
	.protected	_ZN7rocprim17ROCPRIM_400000_NS6detail17trampoline_kernelINS0_14default_configENS1_38merge_sort_block_merge_config_selectorIslEEZZNS1_27merge_sort_block_merge_implIS3_PsN6thrust23THRUST_200600_302600_NS10device_ptrIlEEjNS1_19radix_merge_compareILb0ELb1EsNS0_19identity_decomposerEEEEE10hipError_tT0_T1_T2_jT3_P12ihipStream_tbPNSt15iterator_traitsISG_E10value_typeEPNSM_ISH_E10value_typeEPSI_NS1_7vsmem_tEENKUlT_SG_SH_SI_E_clIS7_S7_PlSB_EESF_SV_SG_SH_SI_EUlSV_E0_NS1_11comp_targetILNS1_3genE4ELNS1_11target_archE910ELNS1_3gpuE8ELNS1_3repE0EEENS1_38merge_mergepath_config_static_selectorELNS0_4arch9wavefront6targetE1EEEvSH_ ; -- Begin function _ZN7rocprim17ROCPRIM_400000_NS6detail17trampoline_kernelINS0_14default_configENS1_38merge_sort_block_merge_config_selectorIslEEZZNS1_27merge_sort_block_merge_implIS3_PsN6thrust23THRUST_200600_302600_NS10device_ptrIlEEjNS1_19radix_merge_compareILb0ELb1EsNS0_19identity_decomposerEEEEE10hipError_tT0_T1_T2_jT3_P12ihipStream_tbPNSt15iterator_traitsISG_E10value_typeEPNSM_ISH_E10value_typeEPSI_NS1_7vsmem_tEENKUlT_SG_SH_SI_E_clIS7_S7_PlSB_EESF_SV_SG_SH_SI_EUlSV_E0_NS1_11comp_targetILNS1_3genE4ELNS1_11target_archE910ELNS1_3gpuE8ELNS1_3repE0EEENS1_38merge_mergepath_config_static_selectorELNS0_4arch9wavefront6targetE1EEEvSH_
	.globl	_ZN7rocprim17ROCPRIM_400000_NS6detail17trampoline_kernelINS0_14default_configENS1_38merge_sort_block_merge_config_selectorIslEEZZNS1_27merge_sort_block_merge_implIS3_PsN6thrust23THRUST_200600_302600_NS10device_ptrIlEEjNS1_19radix_merge_compareILb0ELb1EsNS0_19identity_decomposerEEEEE10hipError_tT0_T1_T2_jT3_P12ihipStream_tbPNSt15iterator_traitsISG_E10value_typeEPNSM_ISH_E10value_typeEPSI_NS1_7vsmem_tEENKUlT_SG_SH_SI_E_clIS7_S7_PlSB_EESF_SV_SG_SH_SI_EUlSV_E0_NS1_11comp_targetILNS1_3genE4ELNS1_11target_archE910ELNS1_3gpuE8ELNS1_3repE0EEENS1_38merge_mergepath_config_static_selectorELNS0_4arch9wavefront6targetE1EEEvSH_
	.p2align	8
	.type	_ZN7rocprim17ROCPRIM_400000_NS6detail17trampoline_kernelINS0_14default_configENS1_38merge_sort_block_merge_config_selectorIslEEZZNS1_27merge_sort_block_merge_implIS3_PsN6thrust23THRUST_200600_302600_NS10device_ptrIlEEjNS1_19radix_merge_compareILb0ELb1EsNS0_19identity_decomposerEEEEE10hipError_tT0_T1_T2_jT3_P12ihipStream_tbPNSt15iterator_traitsISG_E10value_typeEPNSM_ISH_E10value_typeEPSI_NS1_7vsmem_tEENKUlT_SG_SH_SI_E_clIS7_S7_PlSB_EESF_SV_SG_SH_SI_EUlSV_E0_NS1_11comp_targetILNS1_3genE4ELNS1_11target_archE910ELNS1_3gpuE8ELNS1_3repE0EEENS1_38merge_mergepath_config_static_selectorELNS0_4arch9wavefront6targetE1EEEvSH_,@function
_ZN7rocprim17ROCPRIM_400000_NS6detail17trampoline_kernelINS0_14default_configENS1_38merge_sort_block_merge_config_selectorIslEEZZNS1_27merge_sort_block_merge_implIS3_PsN6thrust23THRUST_200600_302600_NS10device_ptrIlEEjNS1_19radix_merge_compareILb0ELb1EsNS0_19identity_decomposerEEEEE10hipError_tT0_T1_T2_jT3_P12ihipStream_tbPNSt15iterator_traitsISG_E10value_typeEPNSM_ISH_E10value_typeEPSI_NS1_7vsmem_tEENKUlT_SG_SH_SI_E_clIS7_S7_PlSB_EESF_SV_SG_SH_SI_EUlSV_E0_NS1_11comp_targetILNS1_3genE4ELNS1_11target_archE910ELNS1_3gpuE8ELNS1_3repE0EEENS1_38merge_mergepath_config_static_selectorELNS0_4arch9wavefront6targetE1EEEvSH_: ; @_ZN7rocprim17ROCPRIM_400000_NS6detail17trampoline_kernelINS0_14default_configENS1_38merge_sort_block_merge_config_selectorIslEEZZNS1_27merge_sort_block_merge_implIS3_PsN6thrust23THRUST_200600_302600_NS10device_ptrIlEEjNS1_19radix_merge_compareILb0ELb1EsNS0_19identity_decomposerEEEEE10hipError_tT0_T1_T2_jT3_P12ihipStream_tbPNSt15iterator_traitsISG_E10value_typeEPNSM_ISH_E10value_typeEPSI_NS1_7vsmem_tEENKUlT_SG_SH_SI_E_clIS7_S7_PlSB_EESF_SV_SG_SH_SI_EUlSV_E0_NS1_11comp_targetILNS1_3genE4ELNS1_11target_archE910ELNS1_3gpuE8ELNS1_3repE0EEENS1_38merge_mergepath_config_static_selectorELNS0_4arch9wavefront6targetE1EEEvSH_
; %bb.0:
	.section	.rodata,"a",@progbits
	.p2align	6, 0x0
	.amdhsa_kernel _ZN7rocprim17ROCPRIM_400000_NS6detail17trampoline_kernelINS0_14default_configENS1_38merge_sort_block_merge_config_selectorIslEEZZNS1_27merge_sort_block_merge_implIS3_PsN6thrust23THRUST_200600_302600_NS10device_ptrIlEEjNS1_19radix_merge_compareILb0ELb1EsNS0_19identity_decomposerEEEEE10hipError_tT0_T1_T2_jT3_P12ihipStream_tbPNSt15iterator_traitsISG_E10value_typeEPNSM_ISH_E10value_typeEPSI_NS1_7vsmem_tEENKUlT_SG_SH_SI_E_clIS7_S7_PlSB_EESF_SV_SG_SH_SI_EUlSV_E0_NS1_11comp_targetILNS1_3genE4ELNS1_11target_archE910ELNS1_3gpuE8ELNS1_3repE0EEENS1_38merge_mergepath_config_static_selectorELNS0_4arch9wavefront6targetE1EEEvSH_
		.amdhsa_group_segment_fixed_size 0
		.amdhsa_private_segment_fixed_size 0
		.amdhsa_kernarg_size 64
		.amdhsa_user_sgpr_count 6
		.amdhsa_user_sgpr_private_segment_buffer 1
		.amdhsa_user_sgpr_dispatch_ptr 0
		.amdhsa_user_sgpr_queue_ptr 0
		.amdhsa_user_sgpr_kernarg_segment_ptr 1
		.amdhsa_user_sgpr_dispatch_id 0
		.amdhsa_user_sgpr_flat_scratch_init 0
		.amdhsa_user_sgpr_private_segment_size 0
		.amdhsa_uses_dynamic_stack 0
		.amdhsa_system_sgpr_private_segment_wavefront_offset 0
		.amdhsa_system_sgpr_workgroup_id_x 1
		.amdhsa_system_sgpr_workgroup_id_y 0
		.amdhsa_system_sgpr_workgroup_id_z 0
		.amdhsa_system_sgpr_workgroup_info 0
		.amdhsa_system_vgpr_workitem_id 0
		.amdhsa_next_free_vgpr 1
		.amdhsa_next_free_sgpr 0
		.amdhsa_reserve_vcc 0
		.amdhsa_reserve_flat_scratch 0
		.amdhsa_float_round_mode_32 0
		.amdhsa_float_round_mode_16_64 0
		.amdhsa_float_denorm_mode_32 3
		.amdhsa_float_denorm_mode_16_64 3
		.amdhsa_dx10_clamp 1
		.amdhsa_ieee_mode 1
		.amdhsa_fp16_overflow 0
		.amdhsa_exception_fp_ieee_invalid_op 0
		.amdhsa_exception_fp_denorm_src 0
		.amdhsa_exception_fp_ieee_div_zero 0
		.amdhsa_exception_fp_ieee_overflow 0
		.amdhsa_exception_fp_ieee_underflow 0
		.amdhsa_exception_fp_ieee_inexact 0
		.amdhsa_exception_int_div_zero 0
	.end_amdhsa_kernel
	.section	.text._ZN7rocprim17ROCPRIM_400000_NS6detail17trampoline_kernelINS0_14default_configENS1_38merge_sort_block_merge_config_selectorIslEEZZNS1_27merge_sort_block_merge_implIS3_PsN6thrust23THRUST_200600_302600_NS10device_ptrIlEEjNS1_19radix_merge_compareILb0ELb1EsNS0_19identity_decomposerEEEEE10hipError_tT0_T1_T2_jT3_P12ihipStream_tbPNSt15iterator_traitsISG_E10value_typeEPNSM_ISH_E10value_typeEPSI_NS1_7vsmem_tEENKUlT_SG_SH_SI_E_clIS7_S7_PlSB_EESF_SV_SG_SH_SI_EUlSV_E0_NS1_11comp_targetILNS1_3genE4ELNS1_11target_archE910ELNS1_3gpuE8ELNS1_3repE0EEENS1_38merge_mergepath_config_static_selectorELNS0_4arch9wavefront6targetE1EEEvSH_,"axG",@progbits,_ZN7rocprim17ROCPRIM_400000_NS6detail17trampoline_kernelINS0_14default_configENS1_38merge_sort_block_merge_config_selectorIslEEZZNS1_27merge_sort_block_merge_implIS3_PsN6thrust23THRUST_200600_302600_NS10device_ptrIlEEjNS1_19radix_merge_compareILb0ELb1EsNS0_19identity_decomposerEEEEE10hipError_tT0_T1_T2_jT3_P12ihipStream_tbPNSt15iterator_traitsISG_E10value_typeEPNSM_ISH_E10value_typeEPSI_NS1_7vsmem_tEENKUlT_SG_SH_SI_E_clIS7_S7_PlSB_EESF_SV_SG_SH_SI_EUlSV_E0_NS1_11comp_targetILNS1_3genE4ELNS1_11target_archE910ELNS1_3gpuE8ELNS1_3repE0EEENS1_38merge_mergepath_config_static_selectorELNS0_4arch9wavefront6targetE1EEEvSH_,comdat
.Lfunc_end1343:
	.size	_ZN7rocprim17ROCPRIM_400000_NS6detail17trampoline_kernelINS0_14default_configENS1_38merge_sort_block_merge_config_selectorIslEEZZNS1_27merge_sort_block_merge_implIS3_PsN6thrust23THRUST_200600_302600_NS10device_ptrIlEEjNS1_19radix_merge_compareILb0ELb1EsNS0_19identity_decomposerEEEEE10hipError_tT0_T1_T2_jT3_P12ihipStream_tbPNSt15iterator_traitsISG_E10value_typeEPNSM_ISH_E10value_typeEPSI_NS1_7vsmem_tEENKUlT_SG_SH_SI_E_clIS7_S7_PlSB_EESF_SV_SG_SH_SI_EUlSV_E0_NS1_11comp_targetILNS1_3genE4ELNS1_11target_archE910ELNS1_3gpuE8ELNS1_3repE0EEENS1_38merge_mergepath_config_static_selectorELNS0_4arch9wavefront6targetE1EEEvSH_, .Lfunc_end1343-_ZN7rocprim17ROCPRIM_400000_NS6detail17trampoline_kernelINS0_14default_configENS1_38merge_sort_block_merge_config_selectorIslEEZZNS1_27merge_sort_block_merge_implIS3_PsN6thrust23THRUST_200600_302600_NS10device_ptrIlEEjNS1_19radix_merge_compareILb0ELb1EsNS0_19identity_decomposerEEEEE10hipError_tT0_T1_T2_jT3_P12ihipStream_tbPNSt15iterator_traitsISG_E10value_typeEPNSM_ISH_E10value_typeEPSI_NS1_7vsmem_tEENKUlT_SG_SH_SI_E_clIS7_S7_PlSB_EESF_SV_SG_SH_SI_EUlSV_E0_NS1_11comp_targetILNS1_3genE4ELNS1_11target_archE910ELNS1_3gpuE8ELNS1_3repE0EEENS1_38merge_mergepath_config_static_selectorELNS0_4arch9wavefront6targetE1EEEvSH_
                                        ; -- End function
	.set _ZN7rocprim17ROCPRIM_400000_NS6detail17trampoline_kernelINS0_14default_configENS1_38merge_sort_block_merge_config_selectorIslEEZZNS1_27merge_sort_block_merge_implIS3_PsN6thrust23THRUST_200600_302600_NS10device_ptrIlEEjNS1_19radix_merge_compareILb0ELb1EsNS0_19identity_decomposerEEEEE10hipError_tT0_T1_T2_jT3_P12ihipStream_tbPNSt15iterator_traitsISG_E10value_typeEPNSM_ISH_E10value_typeEPSI_NS1_7vsmem_tEENKUlT_SG_SH_SI_E_clIS7_S7_PlSB_EESF_SV_SG_SH_SI_EUlSV_E0_NS1_11comp_targetILNS1_3genE4ELNS1_11target_archE910ELNS1_3gpuE8ELNS1_3repE0EEENS1_38merge_mergepath_config_static_selectorELNS0_4arch9wavefront6targetE1EEEvSH_.num_vgpr, 0
	.set _ZN7rocprim17ROCPRIM_400000_NS6detail17trampoline_kernelINS0_14default_configENS1_38merge_sort_block_merge_config_selectorIslEEZZNS1_27merge_sort_block_merge_implIS3_PsN6thrust23THRUST_200600_302600_NS10device_ptrIlEEjNS1_19radix_merge_compareILb0ELb1EsNS0_19identity_decomposerEEEEE10hipError_tT0_T1_T2_jT3_P12ihipStream_tbPNSt15iterator_traitsISG_E10value_typeEPNSM_ISH_E10value_typeEPSI_NS1_7vsmem_tEENKUlT_SG_SH_SI_E_clIS7_S7_PlSB_EESF_SV_SG_SH_SI_EUlSV_E0_NS1_11comp_targetILNS1_3genE4ELNS1_11target_archE910ELNS1_3gpuE8ELNS1_3repE0EEENS1_38merge_mergepath_config_static_selectorELNS0_4arch9wavefront6targetE1EEEvSH_.num_agpr, 0
	.set _ZN7rocprim17ROCPRIM_400000_NS6detail17trampoline_kernelINS0_14default_configENS1_38merge_sort_block_merge_config_selectorIslEEZZNS1_27merge_sort_block_merge_implIS3_PsN6thrust23THRUST_200600_302600_NS10device_ptrIlEEjNS1_19radix_merge_compareILb0ELb1EsNS0_19identity_decomposerEEEEE10hipError_tT0_T1_T2_jT3_P12ihipStream_tbPNSt15iterator_traitsISG_E10value_typeEPNSM_ISH_E10value_typeEPSI_NS1_7vsmem_tEENKUlT_SG_SH_SI_E_clIS7_S7_PlSB_EESF_SV_SG_SH_SI_EUlSV_E0_NS1_11comp_targetILNS1_3genE4ELNS1_11target_archE910ELNS1_3gpuE8ELNS1_3repE0EEENS1_38merge_mergepath_config_static_selectorELNS0_4arch9wavefront6targetE1EEEvSH_.numbered_sgpr, 0
	.set _ZN7rocprim17ROCPRIM_400000_NS6detail17trampoline_kernelINS0_14default_configENS1_38merge_sort_block_merge_config_selectorIslEEZZNS1_27merge_sort_block_merge_implIS3_PsN6thrust23THRUST_200600_302600_NS10device_ptrIlEEjNS1_19radix_merge_compareILb0ELb1EsNS0_19identity_decomposerEEEEE10hipError_tT0_T1_T2_jT3_P12ihipStream_tbPNSt15iterator_traitsISG_E10value_typeEPNSM_ISH_E10value_typeEPSI_NS1_7vsmem_tEENKUlT_SG_SH_SI_E_clIS7_S7_PlSB_EESF_SV_SG_SH_SI_EUlSV_E0_NS1_11comp_targetILNS1_3genE4ELNS1_11target_archE910ELNS1_3gpuE8ELNS1_3repE0EEENS1_38merge_mergepath_config_static_selectorELNS0_4arch9wavefront6targetE1EEEvSH_.num_named_barrier, 0
	.set _ZN7rocprim17ROCPRIM_400000_NS6detail17trampoline_kernelINS0_14default_configENS1_38merge_sort_block_merge_config_selectorIslEEZZNS1_27merge_sort_block_merge_implIS3_PsN6thrust23THRUST_200600_302600_NS10device_ptrIlEEjNS1_19radix_merge_compareILb0ELb1EsNS0_19identity_decomposerEEEEE10hipError_tT0_T1_T2_jT3_P12ihipStream_tbPNSt15iterator_traitsISG_E10value_typeEPNSM_ISH_E10value_typeEPSI_NS1_7vsmem_tEENKUlT_SG_SH_SI_E_clIS7_S7_PlSB_EESF_SV_SG_SH_SI_EUlSV_E0_NS1_11comp_targetILNS1_3genE4ELNS1_11target_archE910ELNS1_3gpuE8ELNS1_3repE0EEENS1_38merge_mergepath_config_static_selectorELNS0_4arch9wavefront6targetE1EEEvSH_.private_seg_size, 0
	.set _ZN7rocprim17ROCPRIM_400000_NS6detail17trampoline_kernelINS0_14default_configENS1_38merge_sort_block_merge_config_selectorIslEEZZNS1_27merge_sort_block_merge_implIS3_PsN6thrust23THRUST_200600_302600_NS10device_ptrIlEEjNS1_19radix_merge_compareILb0ELb1EsNS0_19identity_decomposerEEEEE10hipError_tT0_T1_T2_jT3_P12ihipStream_tbPNSt15iterator_traitsISG_E10value_typeEPNSM_ISH_E10value_typeEPSI_NS1_7vsmem_tEENKUlT_SG_SH_SI_E_clIS7_S7_PlSB_EESF_SV_SG_SH_SI_EUlSV_E0_NS1_11comp_targetILNS1_3genE4ELNS1_11target_archE910ELNS1_3gpuE8ELNS1_3repE0EEENS1_38merge_mergepath_config_static_selectorELNS0_4arch9wavefront6targetE1EEEvSH_.uses_vcc, 0
	.set _ZN7rocprim17ROCPRIM_400000_NS6detail17trampoline_kernelINS0_14default_configENS1_38merge_sort_block_merge_config_selectorIslEEZZNS1_27merge_sort_block_merge_implIS3_PsN6thrust23THRUST_200600_302600_NS10device_ptrIlEEjNS1_19radix_merge_compareILb0ELb1EsNS0_19identity_decomposerEEEEE10hipError_tT0_T1_T2_jT3_P12ihipStream_tbPNSt15iterator_traitsISG_E10value_typeEPNSM_ISH_E10value_typeEPSI_NS1_7vsmem_tEENKUlT_SG_SH_SI_E_clIS7_S7_PlSB_EESF_SV_SG_SH_SI_EUlSV_E0_NS1_11comp_targetILNS1_3genE4ELNS1_11target_archE910ELNS1_3gpuE8ELNS1_3repE0EEENS1_38merge_mergepath_config_static_selectorELNS0_4arch9wavefront6targetE1EEEvSH_.uses_flat_scratch, 0
	.set _ZN7rocprim17ROCPRIM_400000_NS6detail17trampoline_kernelINS0_14default_configENS1_38merge_sort_block_merge_config_selectorIslEEZZNS1_27merge_sort_block_merge_implIS3_PsN6thrust23THRUST_200600_302600_NS10device_ptrIlEEjNS1_19radix_merge_compareILb0ELb1EsNS0_19identity_decomposerEEEEE10hipError_tT0_T1_T2_jT3_P12ihipStream_tbPNSt15iterator_traitsISG_E10value_typeEPNSM_ISH_E10value_typeEPSI_NS1_7vsmem_tEENKUlT_SG_SH_SI_E_clIS7_S7_PlSB_EESF_SV_SG_SH_SI_EUlSV_E0_NS1_11comp_targetILNS1_3genE4ELNS1_11target_archE910ELNS1_3gpuE8ELNS1_3repE0EEENS1_38merge_mergepath_config_static_selectorELNS0_4arch9wavefront6targetE1EEEvSH_.has_dyn_sized_stack, 0
	.set _ZN7rocprim17ROCPRIM_400000_NS6detail17trampoline_kernelINS0_14default_configENS1_38merge_sort_block_merge_config_selectorIslEEZZNS1_27merge_sort_block_merge_implIS3_PsN6thrust23THRUST_200600_302600_NS10device_ptrIlEEjNS1_19radix_merge_compareILb0ELb1EsNS0_19identity_decomposerEEEEE10hipError_tT0_T1_T2_jT3_P12ihipStream_tbPNSt15iterator_traitsISG_E10value_typeEPNSM_ISH_E10value_typeEPSI_NS1_7vsmem_tEENKUlT_SG_SH_SI_E_clIS7_S7_PlSB_EESF_SV_SG_SH_SI_EUlSV_E0_NS1_11comp_targetILNS1_3genE4ELNS1_11target_archE910ELNS1_3gpuE8ELNS1_3repE0EEENS1_38merge_mergepath_config_static_selectorELNS0_4arch9wavefront6targetE1EEEvSH_.has_recursion, 0
	.set _ZN7rocprim17ROCPRIM_400000_NS6detail17trampoline_kernelINS0_14default_configENS1_38merge_sort_block_merge_config_selectorIslEEZZNS1_27merge_sort_block_merge_implIS3_PsN6thrust23THRUST_200600_302600_NS10device_ptrIlEEjNS1_19radix_merge_compareILb0ELb1EsNS0_19identity_decomposerEEEEE10hipError_tT0_T1_T2_jT3_P12ihipStream_tbPNSt15iterator_traitsISG_E10value_typeEPNSM_ISH_E10value_typeEPSI_NS1_7vsmem_tEENKUlT_SG_SH_SI_E_clIS7_S7_PlSB_EESF_SV_SG_SH_SI_EUlSV_E0_NS1_11comp_targetILNS1_3genE4ELNS1_11target_archE910ELNS1_3gpuE8ELNS1_3repE0EEENS1_38merge_mergepath_config_static_selectorELNS0_4arch9wavefront6targetE1EEEvSH_.has_indirect_call, 0
	.section	.AMDGPU.csdata,"",@progbits
; Kernel info:
; codeLenInByte = 0
; TotalNumSgprs: 4
; NumVgprs: 0
; ScratchSize: 0
; MemoryBound: 0
; FloatMode: 240
; IeeeMode: 1
; LDSByteSize: 0 bytes/workgroup (compile time only)
; SGPRBlocks: 0
; VGPRBlocks: 0
; NumSGPRsForWavesPerEU: 4
; NumVGPRsForWavesPerEU: 1
; Occupancy: 10
; WaveLimiterHint : 0
; COMPUTE_PGM_RSRC2:SCRATCH_EN: 0
; COMPUTE_PGM_RSRC2:USER_SGPR: 6
; COMPUTE_PGM_RSRC2:TRAP_HANDLER: 0
; COMPUTE_PGM_RSRC2:TGID_X_EN: 1
; COMPUTE_PGM_RSRC2:TGID_Y_EN: 0
; COMPUTE_PGM_RSRC2:TGID_Z_EN: 0
; COMPUTE_PGM_RSRC2:TIDIG_COMP_CNT: 0
	.section	.text._ZN7rocprim17ROCPRIM_400000_NS6detail17trampoline_kernelINS0_14default_configENS1_38merge_sort_block_merge_config_selectorIslEEZZNS1_27merge_sort_block_merge_implIS3_PsN6thrust23THRUST_200600_302600_NS10device_ptrIlEEjNS1_19radix_merge_compareILb0ELb1EsNS0_19identity_decomposerEEEEE10hipError_tT0_T1_T2_jT3_P12ihipStream_tbPNSt15iterator_traitsISG_E10value_typeEPNSM_ISH_E10value_typeEPSI_NS1_7vsmem_tEENKUlT_SG_SH_SI_E_clIS7_S7_PlSB_EESF_SV_SG_SH_SI_EUlSV_E0_NS1_11comp_targetILNS1_3genE3ELNS1_11target_archE908ELNS1_3gpuE7ELNS1_3repE0EEENS1_38merge_mergepath_config_static_selectorELNS0_4arch9wavefront6targetE1EEEvSH_,"axG",@progbits,_ZN7rocprim17ROCPRIM_400000_NS6detail17trampoline_kernelINS0_14default_configENS1_38merge_sort_block_merge_config_selectorIslEEZZNS1_27merge_sort_block_merge_implIS3_PsN6thrust23THRUST_200600_302600_NS10device_ptrIlEEjNS1_19radix_merge_compareILb0ELb1EsNS0_19identity_decomposerEEEEE10hipError_tT0_T1_T2_jT3_P12ihipStream_tbPNSt15iterator_traitsISG_E10value_typeEPNSM_ISH_E10value_typeEPSI_NS1_7vsmem_tEENKUlT_SG_SH_SI_E_clIS7_S7_PlSB_EESF_SV_SG_SH_SI_EUlSV_E0_NS1_11comp_targetILNS1_3genE3ELNS1_11target_archE908ELNS1_3gpuE7ELNS1_3repE0EEENS1_38merge_mergepath_config_static_selectorELNS0_4arch9wavefront6targetE1EEEvSH_,comdat
	.protected	_ZN7rocprim17ROCPRIM_400000_NS6detail17trampoline_kernelINS0_14default_configENS1_38merge_sort_block_merge_config_selectorIslEEZZNS1_27merge_sort_block_merge_implIS3_PsN6thrust23THRUST_200600_302600_NS10device_ptrIlEEjNS1_19radix_merge_compareILb0ELb1EsNS0_19identity_decomposerEEEEE10hipError_tT0_T1_T2_jT3_P12ihipStream_tbPNSt15iterator_traitsISG_E10value_typeEPNSM_ISH_E10value_typeEPSI_NS1_7vsmem_tEENKUlT_SG_SH_SI_E_clIS7_S7_PlSB_EESF_SV_SG_SH_SI_EUlSV_E0_NS1_11comp_targetILNS1_3genE3ELNS1_11target_archE908ELNS1_3gpuE7ELNS1_3repE0EEENS1_38merge_mergepath_config_static_selectorELNS0_4arch9wavefront6targetE1EEEvSH_ ; -- Begin function _ZN7rocprim17ROCPRIM_400000_NS6detail17trampoline_kernelINS0_14default_configENS1_38merge_sort_block_merge_config_selectorIslEEZZNS1_27merge_sort_block_merge_implIS3_PsN6thrust23THRUST_200600_302600_NS10device_ptrIlEEjNS1_19radix_merge_compareILb0ELb1EsNS0_19identity_decomposerEEEEE10hipError_tT0_T1_T2_jT3_P12ihipStream_tbPNSt15iterator_traitsISG_E10value_typeEPNSM_ISH_E10value_typeEPSI_NS1_7vsmem_tEENKUlT_SG_SH_SI_E_clIS7_S7_PlSB_EESF_SV_SG_SH_SI_EUlSV_E0_NS1_11comp_targetILNS1_3genE3ELNS1_11target_archE908ELNS1_3gpuE7ELNS1_3repE0EEENS1_38merge_mergepath_config_static_selectorELNS0_4arch9wavefront6targetE1EEEvSH_
	.globl	_ZN7rocprim17ROCPRIM_400000_NS6detail17trampoline_kernelINS0_14default_configENS1_38merge_sort_block_merge_config_selectorIslEEZZNS1_27merge_sort_block_merge_implIS3_PsN6thrust23THRUST_200600_302600_NS10device_ptrIlEEjNS1_19radix_merge_compareILb0ELb1EsNS0_19identity_decomposerEEEEE10hipError_tT0_T1_T2_jT3_P12ihipStream_tbPNSt15iterator_traitsISG_E10value_typeEPNSM_ISH_E10value_typeEPSI_NS1_7vsmem_tEENKUlT_SG_SH_SI_E_clIS7_S7_PlSB_EESF_SV_SG_SH_SI_EUlSV_E0_NS1_11comp_targetILNS1_3genE3ELNS1_11target_archE908ELNS1_3gpuE7ELNS1_3repE0EEENS1_38merge_mergepath_config_static_selectorELNS0_4arch9wavefront6targetE1EEEvSH_
	.p2align	8
	.type	_ZN7rocprim17ROCPRIM_400000_NS6detail17trampoline_kernelINS0_14default_configENS1_38merge_sort_block_merge_config_selectorIslEEZZNS1_27merge_sort_block_merge_implIS3_PsN6thrust23THRUST_200600_302600_NS10device_ptrIlEEjNS1_19radix_merge_compareILb0ELb1EsNS0_19identity_decomposerEEEEE10hipError_tT0_T1_T2_jT3_P12ihipStream_tbPNSt15iterator_traitsISG_E10value_typeEPNSM_ISH_E10value_typeEPSI_NS1_7vsmem_tEENKUlT_SG_SH_SI_E_clIS7_S7_PlSB_EESF_SV_SG_SH_SI_EUlSV_E0_NS1_11comp_targetILNS1_3genE3ELNS1_11target_archE908ELNS1_3gpuE7ELNS1_3repE0EEENS1_38merge_mergepath_config_static_selectorELNS0_4arch9wavefront6targetE1EEEvSH_,@function
_ZN7rocprim17ROCPRIM_400000_NS6detail17trampoline_kernelINS0_14default_configENS1_38merge_sort_block_merge_config_selectorIslEEZZNS1_27merge_sort_block_merge_implIS3_PsN6thrust23THRUST_200600_302600_NS10device_ptrIlEEjNS1_19radix_merge_compareILb0ELb1EsNS0_19identity_decomposerEEEEE10hipError_tT0_T1_T2_jT3_P12ihipStream_tbPNSt15iterator_traitsISG_E10value_typeEPNSM_ISH_E10value_typeEPSI_NS1_7vsmem_tEENKUlT_SG_SH_SI_E_clIS7_S7_PlSB_EESF_SV_SG_SH_SI_EUlSV_E0_NS1_11comp_targetILNS1_3genE3ELNS1_11target_archE908ELNS1_3gpuE7ELNS1_3repE0EEENS1_38merge_mergepath_config_static_selectorELNS0_4arch9wavefront6targetE1EEEvSH_: ; @_ZN7rocprim17ROCPRIM_400000_NS6detail17trampoline_kernelINS0_14default_configENS1_38merge_sort_block_merge_config_selectorIslEEZZNS1_27merge_sort_block_merge_implIS3_PsN6thrust23THRUST_200600_302600_NS10device_ptrIlEEjNS1_19radix_merge_compareILb0ELb1EsNS0_19identity_decomposerEEEEE10hipError_tT0_T1_T2_jT3_P12ihipStream_tbPNSt15iterator_traitsISG_E10value_typeEPNSM_ISH_E10value_typeEPSI_NS1_7vsmem_tEENKUlT_SG_SH_SI_E_clIS7_S7_PlSB_EESF_SV_SG_SH_SI_EUlSV_E0_NS1_11comp_targetILNS1_3genE3ELNS1_11target_archE908ELNS1_3gpuE7ELNS1_3repE0EEENS1_38merge_mergepath_config_static_selectorELNS0_4arch9wavefront6targetE1EEEvSH_
; %bb.0:
	.section	.rodata,"a",@progbits
	.p2align	6, 0x0
	.amdhsa_kernel _ZN7rocprim17ROCPRIM_400000_NS6detail17trampoline_kernelINS0_14default_configENS1_38merge_sort_block_merge_config_selectorIslEEZZNS1_27merge_sort_block_merge_implIS3_PsN6thrust23THRUST_200600_302600_NS10device_ptrIlEEjNS1_19radix_merge_compareILb0ELb1EsNS0_19identity_decomposerEEEEE10hipError_tT0_T1_T2_jT3_P12ihipStream_tbPNSt15iterator_traitsISG_E10value_typeEPNSM_ISH_E10value_typeEPSI_NS1_7vsmem_tEENKUlT_SG_SH_SI_E_clIS7_S7_PlSB_EESF_SV_SG_SH_SI_EUlSV_E0_NS1_11comp_targetILNS1_3genE3ELNS1_11target_archE908ELNS1_3gpuE7ELNS1_3repE0EEENS1_38merge_mergepath_config_static_selectorELNS0_4arch9wavefront6targetE1EEEvSH_
		.amdhsa_group_segment_fixed_size 0
		.amdhsa_private_segment_fixed_size 0
		.amdhsa_kernarg_size 64
		.amdhsa_user_sgpr_count 6
		.amdhsa_user_sgpr_private_segment_buffer 1
		.amdhsa_user_sgpr_dispatch_ptr 0
		.amdhsa_user_sgpr_queue_ptr 0
		.amdhsa_user_sgpr_kernarg_segment_ptr 1
		.amdhsa_user_sgpr_dispatch_id 0
		.amdhsa_user_sgpr_flat_scratch_init 0
		.amdhsa_user_sgpr_private_segment_size 0
		.amdhsa_uses_dynamic_stack 0
		.amdhsa_system_sgpr_private_segment_wavefront_offset 0
		.amdhsa_system_sgpr_workgroup_id_x 1
		.amdhsa_system_sgpr_workgroup_id_y 0
		.amdhsa_system_sgpr_workgroup_id_z 0
		.amdhsa_system_sgpr_workgroup_info 0
		.amdhsa_system_vgpr_workitem_id 0
		.amdhsa_next_free_vgpr 1
		.amdhsa_next_free_sgpr 0
		.amdhsa_reserve_vcc 0
		.amdhsa_reserve_flat_scratch 0
		.amdhsa_float_round_mode_32 0
		.amdhsa_float_round_mode_16_64 0
		.amdhsa_float_denorm_mode_32 3
		.amdhsa_float_denorm_mode_16_64 3
		.amdhsa_dx10_clamp 1
		.amdhsa_ieee_mode 1
		.amdhsa_fp16_overflow 0
		.amdhsa_exception_fp_ieee_invalid_op 0
		.amdhsa_exception_fp_denorm_src 0
		.amdhsa_exception_fp_ieee_div_zero 0
		.amdhsa_exception_fp_ieee_overflow 0
		.amdhsa_exception_fp_ieee_underflow 0
		.amdhsa_exception_fp_ieee_inexact 0
		.amdhsa_exception_int_div_zero 0
	.end_amdhsa_kernel
	.section	.text._ZN7rocprim17ROCPRIM_400000_NS6detail17trampoline_kernelINS0_14default_configENS1_38merge_sort_block_merge_config_selectorIslEEZZNS1_27merge_sort_block_merge_implIS3_PsN6thrust23THRUST_200600_302600_NS10device_ptrIlEEjNS1_19radix_merge_compareILb0ELb1EsNS0_19identity_decomposerEEEEE10hipError_tT0_T1_T2_jT3_P12ihipStream_tbPNSt15iterator_traitsISG_E10value_typeEPNSM_ISH_E10value_typeEPSI_NS1_7vsmem_tEENKUlT_SG_SH_SI_E_clIS7_S7_PlSB_EESF_SV_SG_SH_SI_EUlSV_E0_NS1_11comp_targetILNS1_3genE3ELNS1_11target_archE908ELNS1_3gpuE7ELNS1_3repE0EEENS1_38merge_mergepath_config_static_selectorELNS0_4arch9wavefront6targetE1EEEvSH_,"axG",@progbits,_ZN7rocprim17ROCPRIM_400000_NS6detail17trampoline_kernelINS0_14default_configENS1_38merge_sort_block_merge_config_selectorIslEEZZNS1_27merge_sort_block_merge_implIS3_PsN6thrust23THRUST_200600_302600_NS10device_ptrIlEEjNS1_19radix_merge_compareILb0ELb1EsNS0_19identity_decomposerEEEEE10hipError_tT0_T1_T2_jT3_P12ihipStream_tbPNSt15iterator_traitsISG_E10value_typeEPNSM_ISH_E10value_typeEPSI_NS1_7vsmem_tEENKUlT_SG_SH_SI_E_clIS7_S7_PlSB_EESF_SV_SG_SH_SI_EUlSV_E0_NS1_11comp_targetILNS1_3genE3ELNS1_11target_archE908ELNS1_3gpuE7ELNS1_3repE0EEENS1_38merge_mergepath_config_static_selectorELNS0_4arch9wavefront6targetE1EEEvSH_,comdat
.Lfunc_end1344:
	.size	_ZN7rocprim17ROCPRIM_400000_NS6detail17trampoline_kernelINS0_14default_configENS1_38merge_sort_block_merge_config_selectorIslEEZZNS1_27merge_sort_block_merge_implIS3_PsN6thrust23THRUST_200600_302600_NS10device_ptrIlEEjNS1_19radix_merge_compareILb0ELb1EsNS0_19identity_decomposerEEEEE10hipError_tT0_T1_T2_jT3_P12ihipStream_tbPNSt15iterator_traitsISG_E10value_typeEPNSM_ISH_E10value_typeEPSI_NS1_7vsmem_tEENKUlT_SG_SH_SI_E_clIS7_S7_PlSB_EESF_SV_SG_SH_SI_EUlSV_E0_NS1_11comp_targetILNS1_3genE3ELNS1_11target_archE908ELNS1_3gpuE7ELNS1_3repE0EEENS1_38merge_mergepath_config_static_selectorELNS0_4arch9wavefront6targetE1EEEvSH_, .Lfunc_end1344-_ZN7rocprim17ROCPRIM_400000_NS6detail17trampoline_kernelINS0_14default_configENS1_38merge_sort_block_merge_config_selectorIslEEZZNS1_27merge_sort_block_merge_implIS3_PsN6thrust23THRUST_200600_302600_NS10device_ptrIlEEjNS1_19radix_merge_compareILb0ELb1EsNS0_19identity_decomposerEEEEE10hipError_tT0_T1_T2_jT3_P12ihipStream_tbPNSt15iterator_traitsISG_E10value_typeEPNSM_ISH_E10value_typeEPSI_NS1_7vsmem_tEENKUlT_SG_SH_SI_E_clIS7_S7_PlSB_EESF_SV_SG_SH_SI_EUlSV_E0_NS1_11comp_targetILNS1_3genE3ELNS1_11target_archE908ELNS1_3gpuE7ELNS1_3repE0EEENS1_38merge_mergepath_config_static_selectorELNS0_4arch9wavefront6targetE1EEEvSH_
                                        ; -- End function
	.set _ZN7rocprim17ROCPRIM_400000_NS6detail17trampoline_kernelINS0_14default_configENS1_38merge_sort_block_merge_config_selectorIslEEZZNS1_27merge_sort_block_merge_implIS3_PsN6thrust23THRUST_200600_302600_NS10device_ptrIlEEjNS1_19radix_merge_compareILb0ELb1EsNS0_19identity_decomposerEEEEE10hipError_tT0_T1_T2_jT3_P12ihipStream_tbPNSt15iterator_traitsISG_E10value_typeEPNSM_ISH_E10value_typeEPSI_NS1_7vsmem_tEENKUlT_SG_SH_SI_E_clIS7_S7_PlSB_EESF_SV_SG_SH_SI_EUlSV_E0_NS1_11comp_targetILNS1_3genE3ELNS1_11target_archE908ELNS1_3gpuE7ELNS1_3repE0EEENS1_38merge_mergepath_config_static_selectorELNS0_4arch9wavefront6targetE1EEEvSH_.num_vgpr, 0
	.set _ZN7rocprim17ROCPRIM_400000_NS6detail17trampoline_kernelINS0_14default_configENS1_38merge_sort_block_merge_config_selectorIslEEZZNS1_27merge_sort_block_merge_implIS3_PsN6thrust23THRUST_200600_302600_NS10device_ptrIlEEjNS1_19radix_merge_compareILb0ELb1EsNS0_19identity_decomposerEEEEE10hipError_tT0_T1_T2_jT3_P12ihipStream_tbPNSt15iterator_traitsISG_E10value_typeEPNSM_ISH_E10value_typeEPSI_NS1_7vsmem_tEENKUlT_SG_SH_SI_E_clIS7_S7_PlSB_EESF_SV_SG_SH_SI_EUlSV_E0_NS1_11comp_targetILNS1_3genE3ELNS1_11target_archE908ELNS1_3gpuE7ELNS1_3repE0EEENS1_38merge_mergepath_config_static_selectorELNS0_4arch9wavefront6targetE1EEEvSH_.num_agpr, 0
	.set _ZN7rocprim17ROCPRIM_400000_NS6detail17trampoline_kernelINS0_14default_configENS1_38merge_sort_block_merge_config_selectorIslEEZZNS1_27merge_sort_block_merge_implIS3_PsN6thrust23THRUST_200600_302600_NS10device_ptrIlEEjNS1_19radix_merge_compareILb0ELb1EsNS0_19identity_decomposerEEEEE10hipError_tT0_T1_T2_jT3_P12ihipStream_tbPNSt15iterator_traitsISG_E10value_typeEPNSM_ISH_E10value_typeEPSI_NS1_7vsmem_tEENKUlT_SG_SH_SI_E_clIS7_S7_PlSB_EESF_SV_SG_SH_SI_EUlSV_E0_NS1_11comp_targetILNS1_3genE3ELNS1_11target_archE908ELNS1_3gpuE7ELNS1_3repE0EEENS1_38merge_mergepath_config_static_selectorELNS0_4arch9wavefront6targetE1EEEvSH_.numbered_sgpr, 0
	.set _ZN7rocprim17ROCPRIM_400000_NS6detail17trampoline_kernelINS0_14default_configENS1_38merge_sort_block_merge_config_selectorIslEEZZNS1_27merge_sort_block_merge_implIS3_PsN6thrust23THRUST_200600_302600_NS10device_ptrIlEEjNS1_19radix_merge_compareILb0ELb1EsNS0_19identity_decomposerEEEEE10hipError_tT0_T1_T2_jT3_P12ihipStream_tbPNSt15iterator_traitsISG_E10value_typeEPNSM_ISH_E10value_typeEPSI_NS1_7vsmem_tEENKUlT_SG_SH_SI_E_clIS7_S7_PlSB_EESF_SV_SG_SH_SI_EUlSV_E0_NS1_11comp_targetILNS1_3genE3ELNS1_11target_archE908ELNS1_3gpuE7ELNS1_3repE0EEENS1_38merge_mergepath_config_static_selectorELNS0_4arch9wavefront6targetE1EEEvSH_.num_named_barrier, 0
	.set _ZN7rocprim17ROCPRIM_400000_NS6detail17trampoline_kernelINS0_14default_configENS1_38merge_sort_block_merge_config_selectorIslEEZZNS1_27merge_sort_block_merge_implIS3_PsN6thrust23THRUST_200600_302600_NS10device_ptrIlEEjNS1_19radix_merge_compareILb0ELb1EsNS0_19identity_decomposerEEEEE10hipError_tT0_T1_T2_jT3_P12ihipStream_tbPNSt15iterator_traitsISG_E10value_typeEPNSM_ISH_E10value_typeEPSI_NS1_7vsmem_tEENKUlT_SG_SH_SI_E_clIS7_S7_PlSB_EESF_SV_SG_SH_SI_EUlSV_E0_NS1_11comp_targetILNS1_3genE3ELNS1_11target_archE908ELNS1_3gpuE7ELNS1_3repE0EEENS1_38merge_mergepath_config_static_selectorELNS0_4arch9wavefront6targetE1EEEvSH_.private_seg_size, 0
	.set _ZN7rocprim17ROCPRIM_400000_NS6detail17trampoline_kernelINS0_14default_configENS1_38merge_sort_block_merge_config_selectorIslEEZZNS1_27merge_sort_block_merge_implIS3_PsN6thrust23THRUST_200600_302600_NS10device_ptrIlEEjNS1_19radix_merge_compareILb0ELb1EsNS0_19identity_decomposerEEEEE10hipError_tT0_T1_T2_jT3_P12ihipStream_tbPNSt15iterator_traitsISG_E10value_typeEPNSM_ISH_E10value_typeEPSI_NS1_7vsmem_tEENKUlT_SG_SH_SI_E_clIS7_S7_PlSB_EESF_SV_SG_SH_SI_EUlSV_E0_NS1_11comp_targetILNS1_3genE3ELNS1_11target_archE908ELNS1_3gpuE7ELNS1_3repE0EEENS1_38merge_mergepath_config_static_selectorELNS0_4arch9wavefront6targetE1EEEvSH_.uses_vcc, 0
	.set _ZN7rocprim17ROCPRIM_400000_NS6detail17trampoline_kernelINS0_14default_configENS1_38merge_sort_block_merge_config_selectorIslEEZZNS1_27merge_sort_block_merge_implIS3_PsN6thrust23THRUST_200600_302600_NS10device_ptrIlEEjNS1_19radix_merge_compareILb0ELb1EsNS0_19identity_decomposerEEEEE10hipError_tT0_T1_T2_jT3_P12ihipStream_tbPNSt15iterator_traitsISG_E10value_typeEPNSM_ISH_E10value_typeEPSI_NS1_7vsmem_tEENKUlT_SG_SH_SI_E_clIS7_S7_PlSB_EESF_SV_SG_SH_SI_EUlSV_E0_NS1_11comp_targetILNS1_3genE3ELNS1_11target_archE908ELNS1_3gpuE7ELNS1_3repE0EEENS1_38merge_mergepath_config_static_selectorELNS0_4arch9wavefront6targetE1EEEvSH_.uses_flat_scratch, 0
	.set _ZN7rocprim17ROCPRIM_400000_NS6detail17trampoline_kernelINS0_14default_configENS1_38merge_sort_block_merge_config_selectorIslEEZZNS1_27merge_sort_block_merge_implIS3_PsN6thrust23THRUST_200600_302600_NS10device_ptrIlEEjNS1_19radix_merge_compareILb0ELb1EsNS0_19identity_decomposerEEEEE10hipError_tT0_T1_T2_jT3_P12ihipStream_tbPNSt15iterator_traitsISG_E10value_typeEPNSM_ISH_E10value_typeEPSI_NS1_7vsmem_tEENKUlT_SG_SH_SI_E_clIS7_S7_PlSB_EESF_SV_SG_SH_SI_EUlSV_E0_NS1_11comp_targetILNS1_3genE3ELNS1_11target_archE908ELNS1_3gpuE7ELNS1_3repE0EEENS1_38merge_mergepath_config_static_selectorELNS0_4arch9wavefront6targetE1EEEvSH_.has_dyn_sized_stack, 0
	.set _ZN7rocprim17ROCPRIM_400000_NS6detail17trampoline_kernelINS0_14default_configENS1_38merge_sort_block_merge_config_selectorIslEEZZNS1_27merge_sort_block_merge_implIS3_PsN6thrust23THRUST_200600_302600_NS10device_ptrIlEEjNS1_19radix_merge_compareILb0ELb1EsNS0_19identity_decomposerEEEEE10hipError_tT0_T1_T2_jT3_P12ihipStream_tbPNSt15iterator_traitsISG_E10value_typeEPNSM_ISH_E10value_typeEPSI_NS1_7vsmem_tEENKUlT_SG_SH_SI_E_clIS7_S7_PlSB_EESF_SV_SG_SH_SI_EUlSV_E0_NS1_11comp_targetILNS1_3genE3ELNS1_11target_archE908ELNS1_3gpuE7ELNS1_3repE0EEENS1_38merge_mergepath_config_static_selectorELNS0_4arch9wavefront6targetE1EEEvSH_.has_recursion, 0
	.set _ZN7rocprim17ROCPRIM_400000_NS6detail17trampoline_kernelINS0_14default_configENS1_38merge_sort_block_merge_config_selectorIslEEZZNS1_27merge_sort_block_merge_implIS3_PsN6thrust23THRUST_200600_302600_NS10device_ptrIlEEjNS1_19radix_merge_compareILb0ELb1EsNS0_19identity_decomposerEEEEE10hipError_tT0_T1_T2_jT3_P12ihipStream_tbPNSt15iterator_traitsISG_E10value_typeEPNSM_ISH_E10value_typeEPSI_NS1_7vsmem_tEENKUlT_SG_SH_SI_E_clIS7_S7_PlSB_EESF_SV_SG_SH_SI_EUlSV_E0_NS1_11comp_targetILNS1_3genE3ELNS1_11target_archE908ELNS1_3gpuE7ELNS1_3repE0EEENS1_38merge_mergepath_config_static_selectorELNS0_4arch9wavefront6targetE1EEEvSH_.has_indirect_call, 0
	.section	.AMDGPU.csdata,"",@progbits
; Kernel info:
; codeLenInByte = 0
; TotalNumSgprs: 4
; NumVgprs: 0
; ScratchSize: 0
; MemoryBound: 0
; FloatMode: 240
; IeeeMode: 1
; LDSByteSize: 0 bytes/workgroup (compile time only)
; SGPRBlocks: 0
; VGPRBlocks: 0
; NumSGPRsForWavesPerEU: 4
; NumVGPRsForWavesPerEU: 1
; Occupancy: 10
; WaveLimiterHint : 0
; COMPUTE_PGM_RSRC2:SCRATCH_EN: 0
; COMPUTE_PGM_RSRC2:USER_SGPR: 6
; COMPUTE_PGM_RSRC2:TRAP_HANDLER: 0
; COMPUTE_PGM_RSRC2:TGID_X_EN: 1
; COMPUTE_PGM_RSRC2:TGID_Y_EN: 0
; COMPUTE_PGM_RSRC2:TGID_Z_EN: 0
; COMPUTE_PGM_RSRC2:TIDIG_COMP_CNT: 0
	.section	.text._ZN7rocprim17ROCPRIM_400000_NS6detail17trampoline_kernelINS0_14default_configENS1_38merge_sort_block_merge_config_selectorIslEEZZNS1_27merge_sort_block_merge_implIS3_PsN6thrust23THRUST_200600_302600_NS10device_ptrIlEEjNS1_19radix_merge_compareILb0ELb1EsNS0_19identity_decomposerEEEEE10hipError_tT0_T1_T2_jT3_P12ihipStream_tbPNSt15iterator_traitsISG_E10value_typeEPNSM_ISH_E10value_typeEPSI_NS1_7vsmem_tEENKUlT_SG_SH_SI_E_clIS7_S7_PlSB_EESF_SV_SG_SH_SI_EUlSV_E0_NS1_11comp_targetILNS1_3genE2ELNS1_11target_archE906ELNS1_3gpuE6ELNS1_3repE0EEENS1_38merge_mergepath_config_static_selectorELNS0_4arch9wavefront6targetE1EEEvSH_,"axG",@progbits,_ZN7rocprim17ROCPRIM_400000_NS6detail17trampoline_kernelINS0_14default_configENS1_38merge_sort_block_merge_config_selectorIslEEZZNS1_27merge_sort_block_merge_implIS3_PsN6thrust23THRUST_200600_302600_NS10device_ptrIlEEjNS1_19radix_merge_compareILb0ELb1EsNS0_19identity_decomposerEEEEE10hipError_tT0_T1_T2_jT3_P12ihipStream_tbPNSt15iterator_traitsISG_E10value_typeEPNSM_ISH_E10value_typeEPSI_NS1_7vsmem_tEENKUlT_SG_SH_SI_E_clIS7_S7_PlSB_EESF_SV_SG_SH_SI_EUlSV_E0_NS1_11comp_targetILNS1_3genE2ELNS1_11target_archE906ELNS1_3gpuE6ELNS1_3repE0EEENS1_38merge_mergepath_config_static_selectorELNS0_4arch9wavefront6targetE1EEEvSH_,comdat
	.protected	_ZN7rocprim17ROCPRIM_400000_NS6detail17trampoline_kernelINS0_14default_configENS1_38merge_sort_block_merge_config_selectorIslEEZZNS1_27merge_sort_block_merge_implIS3_PsN6thrust23THRUST_200600_302600_NS10device_ptrIlEEjNS1_19radix_merge_compareILb0ELb1EsNS0_19identity_decomposerEEEEE10hipError_tT0_T1_T2_jT3_P12ihipStream_tbPNSt15iterator_traitsISG_E10value_typeEPNSM_ISH_E10value_typeEPSI_NS1_7vsmem_tEENKUlT_SG_SH_SI_E_clIS7_S7_PlSB_EESF_SV_SG_SH_SI_EUlSV_E0_NS1_11comp_targetILNS1_3genE2ELNS1_11target_archE906ELNS1_3gpuE6ELNS1_3repE0EEENS1_38merge_mergepath_config_static_selectorELNS0_4arch9wavefront6targetE1EEEvSH_ ; -- Begin function _ZN7rocprim17ROCPRIM_400000_NS6detail17trampoline_kernelINS0_14default_configENS1_38merge_sort_block_merge_config_selectorIslEEZZNS1_27merge_sort_block_merge_implIS3_PsN6thrust23THRUST_200600_302600_NS10device_ptrIlEEjNS1_19radix_merge_compareILb0ELb1EsNS0_19identity_decomposerEEEEE10hipError_tT0_T1_T2_jT3_P12ihipStream_tbPNSt15iterator_traitsISG_E10value_typeEPNSM_ISH_E10value_typeEPSI_NS1_7vsmem_tEENKUlT_SG_SH_SI_E_clIS7_S7_PlSB_EESF_SV_SG_SH_SI_EUlSV_E0_NS1_11comp_targetILNS1_3genE2ELNS1_11target_archE906ELNS1_3gpuE6ELNS1_3repE0EEENS1_38merge_mergepath_config_static_selectorELNS0_4arch9wavefront6targetE1EEEvSH_
	.globl	_ZN7rocprim17ROCPRIM_400000_NS6detail17trampoline_kernelINS0_14default_configENS1_38merge_sort_block_merge_config_selectorIslEEZZNS1_27merge_sort_block_merge_implIS3_PsN6thrust23THRUST_200600_302600_NS10device_ptrIlEEjNS1_19radix_merge_compareILb0ELb1EsNS0_19identity_decomposerEEEEE10hipError_tT0_T1_T2_jT3_P12ihipStream_tbPNSt15iterator_traitsISG_E10value_typeEPNSM_ISH_E10value_typeEPSI_NS1_7vsmem_tEENKUlT_SG_SH_SI_E_clIS7_S7_PlSB_EESF_SV_SG_SH_SI_EUlSV_E0_NS1_11comp_targetILNS1_3genE2ELNS1_11target_archE906ELNS1_3gpuE6ELNS1_3repE0EEENS1_38merge_mergepath_config_static_selectorELNS0_4arch9wavefront6targetE1EEEvSH_
	.p2align	8
	.type	_ZN7rocprim17ROCPRIM_400000_NS6detail17trampoline_kernelINS0_14default_configENS1_38merge_sort_block_merge_config_selectorIslEEZZNS1_27merge_sort_block_merge_implIS3_PsN6thrust23THRUST_200600_302600_NS10device_ptrIlEEjNS1_19radix_merge_compareILb0ELb1EsNS0_19identity_decomposerEEEEE10hipError_tT0_T1_T2_jT3_P12ihipStream_tbPNSt15iterator_traitsISG_E10value_typeEPNSM_ISH_E10value_typeEPSI_NS1_7vsmem_tEENKUlT_SG_SH_SI_E_clIS7_S7_PlSB_EESF_SV_SG_SH_SI_EUlSV_E0_NS1_11comp_targetILNS1_3genE2ELNS1_11target_archE906ELNS1_3gpuE6ELNS1_3repE0EEENS1_38merge_mergepath_config_static_selectorELNS0_4arch9wavefront6targetE1EEEvSH_,@function
_ZN7rocprim17ROCPRIM_400000_NS6detail17trampoline_kernelINS0_14default_configENS1_38merge_sort_block_merge_config_selectorIslEEZZNS1_27merge_sort_block_merge_implIS3_PsN6thrust23THRUST_200600_302600_NS10device_ptrIlEEjNS1_19radix_merge_compareILb0ELb1EsNS0_19identity_decomposerEEEEE10hipError_tT0_T1_T2_jT3_P12ihipStream_tbPNSt15iterator_traitsISG_E10value_typeEPNSM_ISH_E10value_typeEPSI_NS1_7vsmem_tEENKUlT_SG_SH_SI_E_clIS7_S7_PlSB_EESF_SV_SG_SH_SI_EUlSV_E0_NS1_11comp_targetILNS1_3genE2ELNS1_11target_archE906ELNS1_3gpuE6ELNS1_3repE0EEENS1_38merge_mergepath_config_static_selectorELNS0_4arch9wavefront6targetE1EEEvSH_: ; @_ZN7rocprim17ROCPRIM_400000_NS6detail17trampoline_kernelINS0_14default_configENS1_38merge_sort_block_merge_config_selectorIslEEZZNS1_27merge_sort_block_merge_implIS3_PsN6thrust23THRUST_200600_302600_NS10device_ptrIlEEjNS1_19radix_merge_compareILb0ELb1EsNS0_19identity_decomposerEEEEE10hipError_tT0_T1_T2_jT3_P12ihipStream_tbPNSt15iterator_traitsISG_E10value_typeEPNSM_ISH_E10value_typeEPSI_NS1_7vsmem_tEENKUlT_SG_SH_SI_E_clIS7_S7_PlSB_EESF_SV_SG_SH_SI_EUlSV_E0_NS1_11comp_targetILNS1_3genE2ELNS1_11target_archE906ELNS1_3gpuE6ELNS1_3repE0EEENS1_38merge_mergepath_config_static_selectorELNS0_4arch9wavefront6targetE1EEEvSH_
; %bb.0:
	s_load_dwordx2 s[24:25], s[4:5], 0x40
	s_load_dword s1, s[4:5], 0x30
	s_add_u32 s22, s4, 64
	s_addc_u32 s23, s5, 0
	s_waitcnt lgkmcnt(0)
	s_mul_i32 s0, s25, s8
	s_add_i32 s0, s0, s7
	s_mul_i32 s0, s0, s24
	s_add_i32 s0, s0, s6
	s_cmp_ge_u32 s0, s1
	s_cbranch_scc1 .LBB1345_46
; %bb.1:
	s_load_dwordx8 s[8:15], s[4:5], 0x10
	s_load_dwordx2 s[28:29], s[4:5], 0x8
	s_load_dwordx2 s[2:3], s[4:5], 0x38
	s_mov_b32 s1, 0
	v_mov_b32_e32 v2, 0
	s_waitcnt lgkmcnt(0)
	s_lshr_b32 s33, s14, 10
	s_cmp_lg_u32 s0, s33
	s_cselect_b64 s[18:19], -1, 0
	s_lshl_b64 s[16:17], s[0:1], 2
	s_add_u32 s16, s2, s16
	s_addc_u32 s17, s3, s17
	s_lshr_b32 s7, s15, 9
	s_and_b32 s7, s7, 0x7ffffe
	s_load_dwordx2 s[2:3], s[16:17], 0x0
	s_sub_i32 s7, 0, s7
	s_and_b32 s17, s0, s7
	s_lshl_b32 s21, s17, 10
	s_lshl_b32 s16, s0, 10
	;; [unrolled: 1-line block ×3, first 2 shown]
	s_sub_i32 s20, s16, s21
	s_add_i32 s17, s17, s15
	s_add_i32 s25, s17, s20
	s_waitcnt lgkmcnt(0)
	s_sub_i32 s20, s25, s2
	s_sub_i32 s25, s25, s3
	;; [unrolled: 1-line block ×3, first 2 shown]
	s_min_u32 s20, s14, s20
	s_addk_i32 s25, 0x400
	s_or_b32 s7, s0, s7
	s_min_u32 s21, s14, s17
	s_add_i32 s17, s17, s15
	s_cmp_eq_u32 s7, -1
	s_cselect_b32 s3, s21, s3
	s_cselect_b32 s7, s17, s25
	s_sub_i32 s15, s3, s2
	s_mov_b32 s3, s1
	s_min_u32 s17, s7, s14
	s_lshl_b64 s[26:27], s[2:3], 1
	s_add_u32 s26, s28, s26
	s_mov_b32 s21, s1
	s_addc_u32 s27, s29, s27
	s_lshl_b64 s[30:31], s[20:21], 1
	s_add_u32 s25, s28, s30
	global_load_dword v1, v2, s[22:23] offset:14
	s_addc_u32 s28, s29, s31
	s_cmp_lt_u32 s6, s24
	s_cselect_b32 s1, 12, 18
	s_add_u32 s6, s22, s1
	s_addc_u32 s7, s23, 0
	global_load_ushort v3, v2, s[6:7]
	s_cmp_eq_u32 s0, s33
	v_lshlrev_b32_e32 v15, 1, v0
	s_waitcnt vmcnt(1)
	v_lshrrev_b32_e32 v4, 16, v1
	v_and_b32_e32 v1, 0xffff, v1
	v_mul_lo_u32 v1, v1, v4
	s_waitcnt vmcnt(0)
	v_mul_lo_u32 v17, v1, v3
	v_add_u32_e32 v13, v17, v0
	v_add_u32_e32 v11, v13, v17
	s_cbranch_scc1 .LBB1345_3
; %bb.2:
	v_mov_b32_e32 v1, s27
	v_add_co_u32_e32 v5, vcc, s26, v15
	v_addc_co_u32_e32 v6, vcc, 0, v1, vcc
	v_subrev_co_u32_e32 v1, vcc, s15, v0
	v_lshlrev_b64 v[3:4], 1, v[1:2]
	v_mov_b32_e32 v1, s28
	v_add_co_u32_e64 v3, s[0:1], s25, v3
	v_addc_co_u32_e64 v1, s[0:1], v1, v4, s[0:1]
	v_cndmask_b32_e32 v4, v1, v6, vcc
	v_cndmask_b32_e32 v3, v3, v5, vcc
	v_mov_b32_e32 v14, v2
	global_load_ushort v5, v[3:4], off
	v_lshlrev_b64 v[3:4], 1, v[13:14]
	v_mov_b32_e32 v1, s27
	v_add_co_u32_e32 v6, vcc, s26, v3
	v_addc_co_u32_e32 v7, vcc, v1, v4, vcc
	v_subrev_co_u32_e32 v1, vcc, s15, v13
	v_lshlrev_b64 v[3:4], 1, v[1:2]
	v_mov_b32_e32 v1, s28
	v_add_co_u32_e64 v3, s[0:1], s25, v3
	v_addc_co_u32_e64 v1, s[0:1], v1, v4, s[0:1]
	v_cndmask_b32_e32 v4, v1, v7, vcc
	v_cndmask_b32_e32 v3, v3, v6, vcc
	v_mov_b32_e32 v12, v2
	global_load_ushort v6, v[3:4], off
	v_lshlrev_b64 v[3:4], 1, v[11:12]
	v_mov_b32_e32 v1, s27
	v_add_co_u32_e32 v3, vcc, s26, v3
	v_addc_co_u32_e32 v4, vcc, v1, v4, vcc
	v_subrev_co_u32_e32 v1, vcc, s15, v11
	v_lshlrev_b64 v[1:2], 1, v[1:2]
	v_mov_b32_e32 v7, s28
	v_add_co_u32_e64 v1, s[0:1], s25, v1
	v_addc_co_u32_e64 v2, s[0:1], v7, v2, s[0:1]
	v_cndmask_b32_e32 v2, v2, v4, vcc
	v_cndmask_b32_e32 v1, v1, v3, vcc
	global_load_ushort v10, v[1:2], off
	s_mov_b32 s0, 0x5040100
	v_add_u32_e32 v1, v11, v17
	s_waitcnt vmcnt(1)
	v_perm_b32 v9, v6, v5, s0
	s_mov_b64 s[0:1], -1
	s_sub_i32 s17, s17, s20
	s_cbranch_execz .LBB1345_4
	s_branch .LBB1345_9
.LBB1345_3:
	s_mov_b64 s[0:1], 0
                                        ; implicit-def: $vgpr1
                                        ; implicit-def: $vgpr9_vgpr10
	s_sub_i32 s17, s17, s20
.LBB1345_4:
	s_add_i32 s22, s17, s15
	v_mov_b32_e32 v9, 0
	v_cmp_gt_u32_e32 vcc, s22, v0
	s_waitcnt vmcnt(0)
	v_mov_b32_e32 v10, v9
	s_and_saveexec_b64 s[6:7], vcc
	s_cbranch_execnz .LBB1345_47
; %bb.5:
	s_or_b64 exec, exec, s[6:7]
	v_cmp_gt_u32_e32 vcc, s22, v13
	s_and_saveexec_b64 s[6:7], vcc
	s_cbranch_execnz .LBB1345_48
.LBB1345_6:
	s_or_b64 exec, exec, s[6:7]
	v_cmp_gt_u32_e32 vcc, s22, v11
	s_and_saveexec_b64 s[6:7], vcc
	s_cbranch_execz .LBB1345_8
.LBB1345_7:
	v_mov_b32_e32 v12, 0
	v_lshlrev_b64 v[1:2], 1, v[11:12]
	v_mov_b32_e32 v3, s27
	v_add_co_u32_e32 v4, vcc, s26, v1
	v_addc_co_u32_e32 v3, vcc, v3, v2, vcc
	v_subrev_co_u32_e32 v1, vcc, s15, v11
	v_mov_b32_e32 v2, v12
	v_lshlrev_b64 v[1:2], 1, v[1:2]
	v_mov_b32_e32 v5, s28
	v_add_co_u32_e64 v1, s[0:1], s25, v1
	v_addc_co_u32_e64 v2, s[0:1], v5, v2, s[0:1]
	v_cndmask_b32_e32 v2, v2, v3, vcc
	v_cndmask_b32_e32 v1, v1, v4, vcc
	global_load_ushort v1, v[1:2], off
	s_mov_b32 s0, 0xffff
	s_waitcnt vmcnt(0)
	v_bfi_b32 v10, s0, v1, v10
.LBB1345_8:
	s_or_b64 exec, exec, s[6:7]
	v_add_u32_e32 v1, v11, v17
	v_cmp_gt_u32_e64 s[0:1], s22, v1
.LBB1345_9:
	s_and_saveexec_b64 s[6:7], s[0:1]
	s_cbranch_execz .LBB1345_11
; %bb.10:
	v_mov_b32_e32 v2, 0
	v_lshlrev_b64 v[3:4], 1, v[1:2]
	v_mov_b32_e32 v5, s27
	v_add_co_u32_e32 v3, vcc, s26, v3
	v_addc_co_u32_e32 v4, vcc, v5, v4, vcc
	v_subrev_co_u32_e32 v1, vcc, s15, v1
	v_lshlrev_b64 v[1:2], 1, v[1:2]
	v_mov_b32_e32 v5, s28
	v_add_co_u32_e64 v1, s[0:1], s25, v1
	v_addc_co_u32_e64 v2, s[0:1], v5, v2, s[0:1]
	v_cndmask_b32_e32 v2, v2, v4, vcc
	v_cndmask_b32_e32 v1, v1, v3, vcc
	global_load_ushort v1, v[1:2], off
	s_mov_b32 s0, 0x5040100
	s_waitcnt vmcnt(0)
	v_perm_b32 v10, v1, v10, s0
.LBB1345_11:
	s_or_b64 exec, exec, s[6:7]
	s_lshl_b64 s[0:1], s[2:3], 3
	s_add_u32 s22, s10, s0
	s_addc_u32 s23, s11, s1
	s_lshl_b64 s[0:1], s[20:21], 3
	s_add_u32 s6, s10, s0
	v_mov_b32_e32 v8, 0
	v_lshrrev_b32_e32 v18, 16, v9
	s_waitcnt vmcnt(0)
	v_lshrrev_b32_e32 v19, 16, v10
	s_addc_u32 s7, s11, s1
	s_andn2_b64 vcc, exec, s[18:19]
	v_lshlrev_b32_e32 v16, 3, v0
	ds_write_b16 v15, v9
	ds_write_b16 v15, v18 offset:512
	ds_write_b16 v15, v10 offset:1024
	;; [unrolled: 1-line block ×3, first 2 shown]
	s_cbranch_vccnz .LBB1345_13
; %bb.12:
	v_mov_b32_e32 v1, s23
	v_add_co_u32_e32 v3, vcc, s22, v16
	v_addc_co_u32_e32 v4, vcc, 0, v1, vcc
	v_subrev_co_u32_e32 v7, vcc, s15, v0
	v_lshlrev_b64 v[1:2], 3, v[7:8]
	v_mov_b32_e32 v5, s7
	v_add_co_u32_e64 v1, s[0:1], s6, v1
	v_addc_co_u32_e64 v2, s[0:1], v5, v2, s[0:1]
	v_mov_b32_e32 v14, v8
	v_cndmask_b32_e32 v2, v2, v4, vcc
	v_cndmask_b32_e32 v1, v1, v3, vcc
	v_lshlrev_b64 v[3:4], 3, v[13:14]
	v_mov_b32_e32 v5, s23
	v_add_co_u32_e32 v6, vcc, s22, v3
	v_addc_co_u32_e32 v5, vcc, v5, v4, vcc
	v_subrev_co_u32_e32 v7, vcc, s15, v13
	v_lshlrev_b64 v[3:4], 3, v[7:8]
	v_mov_b32_e32 v7, s7
	v_add_co_u32_e64 v3, s[0:1], s6, v3
	v_addc_co_u32_e64 v4, s[0:1], v7, v4, s[0:1]
	v_mov_b32_e32 v12, v8
	v_cndmask_b32_e32 v4, v4, v5, vcc
	v_cndmask_b32_e32 v3, v3, v6, vcc
	v_lshlrev_b64 v[5:6], 3, v[11:12]
	v_mov_b32_e32 v7, s23
	v_add_co_u32_e32 v12, vcc, s22, v5
	v_addc_co_u32_e32 v14, vcc, v7, v6, vcc
	v_subrev_co_u32_e32 v7, vcc, s15, v11
	v_lshlrev_b64 v[5:6], 3, v[7:8]
	v_mov_b32_e32 v7, s7
	v_add_co_u32_e64 v5, s[0:1], s6, v5
	v_addc_co_u32_e64 v6, s[0:1], v7, v6, s[0:1]
	v_add_u32_e32 v7, v11, v17
	v_lshlrev_b64 v[20:21], 3, v[7:8]
	v_cndmask_b32_e32 v6, v6, v14, vcc
	v_cndmask_b32_e32 v5, v5, v12, vcc
	v_mov_b32_e32 v12, s23
	v_add_co_u32_e32 v14, vcc, s22, v20
	v_addc_co_u32_e32 v12, vcc, v12, v21, vcc
	v_subrev_co_u32_e32 v7, vcc, s15, v7
	v_lshlrev_b64 v[7:8], 3, v[7:8]
	v_mov_b32_e32 v20, s7
	v_add_co_u32_e64 v7, s[0:1], s6, v7
	v_addc_co_u32_e64 v8, s[0:1], v20, v8, s[0:1]
	v_cndmask_b32_e32 v8, v8, v12, vcc
	v_cndmask_b32_e32 v7, v7, v14, vcc
	global_load_dwordx2 v[1:2], v[1:2], off
	s_add_i32 s20, s17, s15
	global_load_dwordx2 v[3:4], v[3:4], off
	s_nop 0
	global_load_dwordx2 v[5:6], v[5:6], off
	s_nop 0
	global_load_dwordx2 v[7:8], v[7:8], off
	s_cbranch_execz .LBB1345_14
	s_branch .LBB1345_21
.LBB1345_13:
                                        ; implicit-def: $vgpr1_vgpr2_vgpr3_vgpr4_vgpr5_vgpr6_vgpr7_vgpr8
                                        ; implicit-def: $sgpr20
.LBB1345_14:
	s_add_i32 s20, s17, s15
	s_waitcnt vmcnt(3)
	v_mov_b32_e32 v1, 0
	v_cmp_gt_u32_e32 vcc, s20, v0
	v_mov_b32_e32 v2, v1
	s_waitcnt vmcnt(2)
	v_mov_b32_e32 v3, v1
	v_mov_b32_e32 v4, v1
	s_waitcnt vmcnt(1)
	v_mov_b32_e32 v5, v1
	;; [unrolled: 3-line block ×3, first 2 shown]
	v_mov_b32_e32 v8, v1
	s_and_saveexec_b64 s[2:3], vcc
	s_cbranch_execnz .LBB1345_49
; %bb.15:
	s_or_b64 exec, exec, s[2:3]
	v_cmp_gt_u32_e32 vcc, s20, v13
	s_and_saveexec_b64 s[2:3], vcc
	s_cbranch_execnz .LBB1345_50
.LBB1345_16:
	s_or_b64 exec, exec, s[2:3]
	v_cmp_gt_u32_e32 vcc, s20, v11
	s_and_saveexec_b64 s[2:3], vcc
	s_cbranch_execz .LBB1345_18
.LBB1345_17:
	v_mov_b32_e32 v12, 0
	v_lshlrev_b64 v[5:6], 3, v[11:12]
	v_mov_b32_e32 v13, s23
	v_add_co_u32_e32 v14, vcc, s22, v5
	v_addc_co_u32_e32 v13, vcc, v13, v6, vcc
	v_subrev_co_u32_e32 v5, vcc, s15, v11
	v_mov_b32_e32 v6, v12
	v_lshlrev_b64 v[5:6], 3, v[5:6]
	v_mov_b32_e32 v12, s7
	v_add_co_u32_e64 v5, s[0:1], s6, v5
	v_addc_co_u32_e64 v6, s[0:1], v12, v6, s[0:1]
	v_cndmask_b32_e32 v6, v6, v13, vcc
	v_cndmask_b32_e32 v5, v5, v14, vcc
	global_load_dwordx2 v[5:6], v[5:6], off
.LBB1345_18:
	s_or_b64 exec, exec, s[2:3]
	v_add_u32_e32 v11, v11, v17
	v_cmp_gt_u32_e32 vcc, s20, v11
	s_and_saveexec_b64 s[2:3], vcc
	s_cbranch_execz .LBB1345_20
; %bb.19:
	v_mov_b32_e32 v12, 0
	v_lshlrev_b64 v[7:8], 3, v[11:12]
	v_mov_b32_e32 v13, s23
	v_add_co_u32_e32 v14, vcc, s22, v7
	v_addc_co_u32_e32 v13, vcc, v13, v8, vcc
	v_subrev_co_u32_e32 v11, vcc, s15, v11
	v_lshlrev_b64 v[7:8], 3, v[11:12]
	v_mov_b32_e32 v11, s7
	v_add_co_u32_e64 v7, s[0:1], s6, v7
	v_addc_co_u32_e64 v8, s[0:1], v11, v8, s[0:1]
	v_cndmask_b32_e32 v8, v8, v13, vcc
	v_cndmask_b32_e32 v7, v7, v14, vcc
	global_load_dwordx2 v[7:8], v[7:8], off
.LBB1345_20:
	s_or_b64 exec, exec, s[2:3]
.LBB1345_21:
	s_load_dword s21, s[4:5], 0x34
	v_lshlrev_b32_e32 v11, 2, v0
	v_min_u32_e32 v13, s20, v11
	v_sub_u32_e64 v12, v13, s17 clamp
	v_min_u32_e32 v14, s15, v13
	v_cmp_lt_u32_e32 vcc, v12, v14
	s_waitcnt vmcnt(0) lgkmcnt(0)
	s_barrier
	s_and_saveexec_b64 s[0:1], vcc
	s_cbranch_execz .LBB1345_25
; %bb.22:
	v_lshlrev_b32_e32 v17, 1, v13
	v_lshl_add_u32 v17, s15, 1, v17
	s_mov_b64 s[2:3], 0
.LBB1345_23:                            ; =>This Inner Loop Header: Depth=1
	v_add_u32_e32 v20, v14, v12
	v_lshrrev_b32_e32 v21, 1, v20
	v_not_b32_e32 v22, v21
	v_and_b32_e32 v20, -2, v20
	v_lshl_add_u32 v22, v22, 1, v17
	ds_read_u16 v20, v20
	ds_read_u16 v22, v22
	v_add_u32_e32 v23, 1, v21
	s_waitcnt lgkmcnt(1)
	v_and_b32_e32 v20, s21, v20
	s_waitcnt lgkmcnt(0)
	v_and_b32_e32 v22, s21, v22
	v_cmp_gt_i16_e32 vcc, v20, v22
	v_cndmask_b32_e32 v14, v14, v21, vcc
	v_cndmask_b32_e32 v12, v23, v12, vcc
	v_cmp_ge_u32_e32 vcc, v12, v14
	s_or_b64 s[2:3], vcc, s[2:3]
	s_andn2_b64 exec, exec, s[2:3]
	s_cbranch_execnz .LBB1345_23
; %bb.24:
	s_or_b64 exec, exec, s[2:3]
.LBB1345_25:
	s_or_b64 exec, exec, s[0:1]
	v_sub_u32_e32 v13, v13, v12
	v_add_u32_e32 v20, s15, v13
	v_cmp_ge_u32_e32 vcc, s15, v12
	v_cmp_ge_u32_e64 s[0:1], s20, v20
	s_or_b64 s[0:1], vcc, s[0:1]
	v_mov_b32_e32 v21, 0
	v_mov_b32_e32 v17, 0
	;; [unrolled: 1-line block ×4, first 2 shown]
	s_and_saveexec_b64 s[10:11], s[0:1]
	s_cbranch_execz .LBB1345_31
; %bb.26:
	v_cmp_gt_u32_e32 vcc, s15, v12
                                        ; implicit-def: $vgpr9
	s_and_saveexec_b64 s[0:1], vcc
; %bb.27:
	v_lshlrev_b32_e32 v9, 1, v12
	ds_read_u16 v9, v9
; %bb.28:
	s_or_b64 exec, exec, s[0:1]
	v_cmp_le_u32_e64 s[0:1], s20, v20
	v_cmp_gt_u32_e64 s[2:3], s20, v20
                                        ; implicit-def: $vgpr10
	s_and_saveexec_b64 s[4:5], s[2:3]
; %bb.29:
	v_lshlrev_b32_e32 v10, 1, v20
	ds_read_u16 v10, v10
; %bb.30:
	s_or_b64 exec, exec, s[4:5]
	s_waitcnt lgkmcnt(0)
	v_and_b32_e32 v13, s21, v10
	v_and_b32_e32 v14, s21, v9
	v_cmp_le_i16_e64 s[2:3], v14, v13
	s_and_b64 s[2:3], vcc, s[2:3]
	s_or_b64 vcc, s[0:1], s[2:3]
	v_mov_b32_e32 v18, s20
	v_mov_b32_e32 v19, s15
	v_cndmask_b32_e32 v13, v20, v12, vcc
	v_cndmask_b32_e32 v14, v18, v19, vcc
	v_add_u32_e32 v17, 1, v13
	v_add_u32_e32 v14, -1, v14
	v_min_u32_e32 v14, v17, v14
	v_lshlrev_b32_e32 v14, 1, v14
	ds_read_u16 v14, v14
	v_cndmask_b32_e32 v20, v17, v20, vcc
	v_cndmask_b32_e32 v12, v12, v17, vcc
	v_cmp_gt_u32_e64 s[2:3], s15, v12
	v_cmp_le_u32_e64 s[0:1], s20, v20
	s_waitcnt lgkmcnt(0)
	v_cndmask_b32_e32 v21, v14, v10, vcc
	v_cndmask_b32_e32 v22, v9, v14, vcc
	v_and_b32_e32 v14, s21, v21
	v_and_b32_e32 v17, s21, v22
	v_cmp_le_i16_e64 s[4:5], v17, v14
	s_and_b64 s[2:3], s[2:3], s[4:5]
	s_or_b64 s[0:1], s[0:1], s[2:3]
	v_cndmask_b32_e64 v14, v20, v12, s[0:1]
	v_cndmask_b32_e64 v17, v18, v19, s[0:1]
	v_add_u32_e32 v23, 1, v14
	v_add_u32_e32 v17, -1, v17
	v_min_u32_e32 v17, v23, v17
	v_lshlrev_b32_e32 v17, 1, v17
	ds_read_u16 v17, v17
	v_cndmask_b32_e64 v20, v23, v20, s[0:1]
	v_cndmask_b32_e64 v12, v12, v23, s[0:1]
	v_cmp_gt_u32_e64 s[4:5], s15, v12
	v_cmp_le_u32_e64 s[2:3], s20, v20
	s_waitcnt lgkmcnt(0)
	v_cndmask_b32_e64 v24, v17, v21, s[0:1]
	v_cndmask_b32_e64 v25, v22, v17, s[0:1]
	v_and_b32_e32 v17, s21, v24
	v_and_b32_e32 v23, s21, v25
	v_cmp_le_i16_e64 s[6:7], v23, v17
	s_and_b64 s[4:5], s[4:5], s[6:7]
	s_or_b64 s[2:3], s[2:3], s[4:5]
	v_cndmask_b32_e64 v17, v20, v12, s[2:3]
	v_cndmask_b32_e64 v18, v18, v19, s[2:3]
	v_add_u32_e32 v19, 1, v17
	v_add_u32_e32 v18, -1, v18
	v_min_u32_e32 v18, v19, v18
	v_lshlrev_b32_e32 v18, 1, v18
	ds_read_u16 v23, v18
	v_cndmask_b32_e64 v18, v21, v22, s[0:1]
	v_cndmask_b32_e64 v20, v19, v20, s[2:3]
	;; [unrolled: 1-line block ×3, first 2 shown]
	v_cndmask_b32_e32 v9, v10, v9, vcc
	s_waitcnt lgkmcnt(0)
	v_cndmask_b32_e64 v22, v23, v24, s[2:3]
	v_cndmask_b32_e64 v23, v25, v23, s[2:3]
	v_and_b32_e32 v19, s21, v22
	v_and_b32_e32 v21, s21, v23
	v_cndmask_b32_e64 v10, v24, v25, s[2:3]
	v_cmp_gt_u32_e64 s[0:1], s15, v12
	v_cmp_le_i16_e64 s[2:3], v21, v19
	v_cmp_le_u32_e32 vcc, s20, v20
	s_and_b64 s[0:1], s[0:1], s[2:3]
	s_or_b64 vcc, vcc, s[0:1]
	v_cndmask_b32_e32 v21, v20, v12, vcc
	v_cndmask_b32_e32 v19, v22, v23, vcc
.LBB1345_31:
	s_or_b64 exec, exec, s[10:11]
	v_mad_u32_u24 v12, v0, 6, v15
	s_barrier
	ds_write2st64_b64 v12, v[1:2], v[3:4] offset1:4
	ds_write2st64_b64 v12, v[5:6], v[7:8] offset0:8 offset1:12
	v_lshrrev_b32_e32 v12, 2, v0
	v_and_b32_e32 v12, 60, v12
	s_mov_b32 s2, 0x5040100
	v_lshlrev_b32_e32 v1, 3, v13
	v_lshlrev_b32_e32 v2, 3, v14
	v_lshlrev_b32_e32 v3, 3, v17
	v_lshlrev_b32_e32 v4, 3, v21
	v_lshl_add_u32 v12, v11, 1, v12
	v_perm_b32 v10, v19, v10, s2
	v_perm_b32 v9, v18, v9, s2
	s_waitcnt lgkmcnt(0)
	s_barrier
	ds_read_b64 v[5:6], v1
	ds_read_b64 v[7:8], v2
	;; [unrolled: 1-line block ×4, first 2 shown]
	s_waitcnt lgkmcnt(0)
	s_barrier
	s_barrier
	ds_write2_b32 v12, v9, v10 offset1:1
	v_lshrrev_b32_e32 v9, 4, v0
	v_and_b32_e32 v9, 12, v9
	v_or_b32_e32 v22, 0x100, v0
	v_add_u32_e32 v23, v9, v15
	v_lshrrev_b32_e32 v9, 4, v22
	v_and_b32_e32 v9, 28, v9
	v_or_b32_e32 v21, 0x200, v0
	s_mov_b32 s17, 0
	v_add_u32_e32 v24, v9, v15
	v_lshrrev_b32_e32 v9, 4, v21
	s_lshl_b64 s[0:1], s[16:17], 1
	v_and_b32_e32 v9, 44, v9
	v_or_b32_e32 v20, 0x300, v0
	s_add_u32 s0, s8, s0
	v_add_u32_e32 v25, v9, v15
	v_lshrrev_b32_e32 v9, 4, v20
	s_addc_u32 s1, s9, s1
	v_and_b32_e32 v9, 60, v9
	v_add_u32_e32 v26, v9, v15
	v_mov_b32_e32 v10, s1
	v_add_co_u32_e32 v9, vcc, s0, v15
	v_addc_co_u32_e32 v10, vcc, 0, v10, vcc
	v_lshrrev_b32_e32 v14, 3, v0
	v_lshrrev_b32_e32 v13, 5, v0
	;; [unrolled: 1-line block ×5, first 2 shown]
	s_and_b64 vcc, exec, s[18:19]
	v_lshlrev_b32_e32 v15, 3, v11
	s_waitcnt lgkmcnt(0)
	s_cbranch_vccz .LBB1345_33
; %bb.32:
	s_barrier
	ds_read_u16 v11, v23
	ds_read_u16 v12, v24 offset:512
	ds_read_u16 v27, v25 offset:1024
	;; [unrolled: 1-line block ×3, first 2 shown]
	s_lshl_b64 s[0:1], s[16:17], 3
	s_add_u32 s0, s12, s0
	s_waitcnt lgkmcnt(3)
	global_store_short v[9:10], v11, off
	s_waitcnt lgkmcnt(2)
	global_store_short v[9:10], v12, off offset:512
	s_waitcnt lgkmcnt(1)
	global_store_short v[9:10], v27, off offset:1024
	;; [unrolled: 2-line block ×3, first 2 shown]
	v_lshl_add_u32 v11, v14, 3, v15
	s_waitcnt vmcnt(0)
	s_barrier
	ds_write2_b64 v11, v[5:6], v[7:8] offset1:1
	ds_write2_b64 v11, v[1:2], v[3:4] offset0:2 offset1:3
	v_lshl_add_u32 v11, v13, 3, v16
	v_lshl_add_u32 v12, v17, 3, v16
	v_lshl_add_u32 v31, v18, 3, v16
	s_addc_u32 s1, s13, s1
	s_waitcnt lgkmcnt(0)
	s_barrier
	v_lshl_add_u32 v33, v19, 3, v16
	ds_read_b64 v[27:28], v11
	ds_read_b64 v[29:30], v12 offset:2048
	ds_read_b64 v[31:32], v31 offset:4096
	ds_read_b64 v[11:12], v33 offset:6144
	v_mov_b32_e32 v33, s1
	v_add_co_u32_e32 v34, vcc, s0, v16
	v_addc_co_u32_e32 v33, vcc, 0, v33, vcc
	s_waitcnt lgkmcnt(3)
	global_store_dwordx2 v16, v[27:28], s[0:1]
	s_waitcnt lgkmcnt(2)
	global_store_dwordx2 v16, v[29:30], s[0:1] offset:2048
	v_add_co_u32_e32 v27, vcc, 0x1000, v34
	v_addc_co_u32_e32 v28, vcc, 0, v33, vcc
	s_waitcnt lgkmcnt(1)
	global_store_dwordx2 v[27:28], v[31:32], off
	s_mov_b64 s[6:7], -1
	s_cbranch_execz .LBB1345_34
	s_branch .LBB1345_44
.LBB1345_33:
	s_mov_b64 s[6:7], 0
                                        ; implicit-def: $vgpr11_vgpr12
.LBB1345_34:
	s_waitcnt vmcnt(0) lgkmcnt(0)
	s_barrier
	ds_read_u16 v24, v24 offset:512
	ds_read_u16 v12, v25 offset:1024
	;; [unrolled: 1-line block ×3, first 2 shown]
	s_sub_i32 s6, s14, s16
	v_cmp_gt_u32_e32 vcc, s6, v0
	s_and_saveexec_b64 s[0:1], vcc
	s_cbranch_execnz .LBB1345_51
; %bb.35:
	s_or_b64 exec, exec, s[0:1]
	v_cmp_gt_u32_e64 s[0:1], s6, v22
	s_and_saveexec_b64 s[2:3], s[0:1]
	s_cbranch_execnz .LBB1345_52
.LBB1345_36:
	s_or_b64 exec, exec, s[2:3]
	v_cmp_gt_u32_e64 s[2:3], s6, v21
	s_and_saveexec_b64 s[4:5], s[2:3]
	s_cbranch_execnz .LBB1345_53
.LBB1345_37:
	s_or_b64 exec, exec, s[4:5]
	v_cmp_gt_u32_e64 s[6:7], s6, v20
	s_and_saveexec_b64 s[4:5], s[6:7]
	s_cbranch_execz .LBB1345_39
.LBB1345_38:
	s_waitcnt lgkmcnt(0)
	global_store_short v[9:10], v11, off offset:1536
.LBB1345_39:
	s_or_b64 exec, exec, s[4:5]
	v_lshl_add_u32 v0, v14, 3, v15
	s_waitcnt vmcnt(0) lgkmcnt(0)
	s_barrier
	ds_write2_b64 v0, v[5:6], v[7:8] offset1:1
	ds_write2_b64 v0, v[1:2], v[3:4] offset0:2 offset1:3
	v_lshl_add_u32 v0, v17, 3, v16
	v_lshl_add_u32 v1, v18, 3, v16
	s_waitcnt lgkmcnt(0)
	s_barrier
	v_lshl_add_u32 v2, v19, 3, v16
	ds_read_b64 v[4:5], v0 offset:2048
	ds_read_b64 v[0:1], v1 offset:4096
	;; [unrolled: 1-line block ×3, first 2 shown]
	s_lshl_b64 s[4:5], s[16:17], 3
	s_add_u32 s4, s12, s4
	s_addc_u32 s5, s13, s5
	v_mov_b32_e32 v3, s5
	v_add_co_u32_e64 v2, s[4:5], s4, v16
	v_addc_co_u32_e64 v3, s[4:5], 0, v3, s[4:5]
	s_and_saveexec_b64 s[4:5], vcc
	s_cbranch_execnz .LBB1345_54
; %bb.40:
	s_or_b64 exec, exec, s[4:5]
	s_and_saveexec_b64 s[4:5], s[0:1]
	s_cbranch_execnz .LBB1345_55
.LBB1345_41:
	s_or_b64 exec, exec, s[4:5]
	s_and_saveexec_b64 s[0:1], s[2:3]
	s_cbranch_execz .LBB1345_43
.LBB1345_42:
	v_add_co_u32_e32 v2, vcc, 0x1000, v2
	v_addc_co_u32_e32 v3, vcc, 0, v3, vcc
	s_waitcnt lgkmcnt(1)
	global_store_dwordx2 v[2:3], v[0:1], off
.LBB1345_43:
	s_or_b64 exec, exec, s[0:1]
.LBB1345_44:
	s_and_saveexec_b64 s[0:1], s[6:7]
	s_cbranch_execz .LBB1345_46
; %bb.45:
	s_lshl_b64 s[0:1], s[16:17], 3
	s_add_u32 s0, s12, s0
	s_addc_u32 s1, s13, s1
	s_waitcnt lgkmcnt(1)
	v_mov_b32_e32 v0, s1
	v_add_co_u32_e32 v1, vcc, s0, v16
	v_addc_co_u32_e32 v2, vcc, 0, v0, vcc
	v_add_co_u32_e32 v0, vcc, 0x1000, v1
	v_addc_co_u32_e32 v1, vcc, 0, v2, vcc
	s_waitcnt lgkmcnt(0)
	global_store_dwordx2 v[0:1], v[11:12], off offset:2048
.LBB1345_46:
	s_endpgm
.LBB1345_47:
	v_mov_b32_e32 v1, s27
	v_add_co_u32_e32 v3, vcc, s26, v15
	v_addc_co_u32_e32 v4, vcc, 0, v1, vcc
	v_subrev_co_u32_e32 v1, vcc, s15, v0
	v_mov_b32_e32 v2, v9
	v_lshlrev_b64 v[1:2], 1, v[1:2]
	v_mov_b32_e32 v5, s28
	v_add_co_u32_e64 v1, s[0:1], s25, v1
	v_addc_co_u32_e64 v2, s[0:1], v5, v2, s[0:1]
	v_cndmask_b32_e32 v2, v2, v4, vcc
	v_cndmask_b32_e32 v1, v1, v3, vcc
	global_load_ushort v1, v[1:2], off
	v_mov_b32_e32 v2, v9
	s_waitcnt vmcnt(0)
	v_and_b32_e32 v1, 0xffff, v1
	v_mov_b32_e32 v10, v2
	v_mov_b32_e32 v9, v1
	s_or_b64 exec, exec, s[6:7]
	v_cmp_gt_u32_e32 vcc, s22, v13
	s_and_saveexec_b64 s[6:7], vcc
	s_cbranch_execz .LBB1345_6
.LBB1345_48:
	v_mov_b32_e32 v14, 0
	v_lshlrev_b64 v[1:2], 1, v[13:14]
	v_mov_b32_e32 v3, s27
	v_add_co_u32_e32 v4, vcc, s26, v1
	v_addc_co_u32_e32 v3, vcc, v3, v2, vcc
	v_subrev_co_u32_e32 v1, vcc, s15, v13
	v_mov_b32_e32 v2, v14
	v_lshlrev_b64 v[1:2], 1, v[1:2]
	v_mov_b32_e32 v5, s28
	v_add_co_u32_e64 v1, s[0:1], s25, v1
	v_addc_co_u32_e64 v2, s[0:1], v5, v2, s[0:1]
	v_cndmask_b32_e32 v2, v2, v3, vcc
	v_cndmask_b32_e32 v1, v1, v4, vcc
	global_load_ushort v1, v[1:2], off
	s_mov_b32 s0, 0x5040100
	s_waitcnt vmcnt(0)
	v_perm_b32 v9, v1, v9, s0
	s_or_b64 exec, exec, s[6:7]
	v_cmp_gt_u32_e32 vcc, s22, v11
	s_and_saveexec_b64 s[6:7], vcc
	s_cbranch_execnz .LBB1345_7
	s_branch .LBB1345_8
.LBB1345_49:
	v_mov_b32_e32 v2, s23
	v_add_co_u32_e32 v4, vcc, s22, v16
	v_addc_co_u32_e32 v5, vcc, 0, v2, vcc
	v_subrev_co_u32_e32 v2, vcc, s15, v0
	v_mov_b32_e32 v3, v1
	v_lshlrev_b64 v[2:3], 3, v[2:3]
	v_mov_b32_e32 v6, s7
	v_add_co_u32_e64 v2, s[0:1], s6, v2
	v_addc_co_u32_e64 v3, s[0:1], v6, v3, s[0:1]
	v_cndmask_b32_e32 v3, v3, v5, vcc
	v_cndmask_b32_e32 v2, v2, v4, vcc
	global_load_dwordx2 v[20:21], v[2:3], off
	v_mov_b32_e32 v22, v1
	v_mov_b32_e32 v23, v1
	;; [unrolled: 1-line block ×6, first 2 shown]
	s_waitcnt vmcnt(0)
	v_mov_b32_e32 v1, v20
	v_mov_b32_e32 v2, v21
	;; [unrolled: 1-line block ×8, first 2 shown]
	s_or_b64 exec, exec, s[2:3]
	v_cmp_gt_u32_e32 vcc, s20, v13
	s_and_saveexec_b64 s[2:3], vcc
	s_cbranch_execz .LBB1345_16
.LBB1345_50:
	v_mov_b32_e32 v14, 0
	v_lshlrev_b64 v[3:4], 3, v[13:14]
	v_mov_b32_e32 v12, s23
	v_add_co_u32_e32 v20, vcc, s22, v3
	v_addc_co_u32_e32 v12, vcc, v12, v4, vcc
	v_subrev_co_u32_e32 v13, vcc, s15, v13
	v_lshlrev_b64 v[3:4], 3, v[13:14]
	v_mov_b32_e32 v13, s7
	v_add_co_u32_e64 v3, s[0:1], s6, v3
	v_addc_co_u32_e64 v4, s[0:1], v13, v4, s[0:1]
	v_cndmask_b32_e32 v4, v4, v12, vcc
	v_cndmask_b32_e32 v3, v3, v20, vcc
	global_load_dwordx2 v[3:4], v[3:4], off
	s_or_b64 exec, exec, s[2:3]
	v_cmp_gt_u32_e32 vcc, s20, v11
	s_and_saveexec_b64 s[2:3], vcc
	s_cbranch_execnz .LBB1345_17
	s_branch .LBB1345_18
.LBB1345_51:
	ds_read_u16 v0, v23
	s_waitcnt lgkmcnt(0)
	global_store_short v[9:10], v0, off
	s_or_b64 exec, exec, s[0:1]
	v_cmp_gt_u32_e64 s[0:1], s6, v22
	s_and_saveexec_b64 s[2:3], s[0:1]
	s_cbranch_execz .LBB1345_36
.LBB1345_52:
	s_waitcnt lgkmcnt(2)
	global_store_short v[9:10], v24, off offset:512
	s_or_b64 exec, exec, s[2:3]
	v_cmp_gt_u32_e64 s[2:3], s6, v21
	s_and_saveexec_b64 s[4:5], s[2:3]
	s_cbranch_execz .LBB1345_37
.LBB1345_53:
	s_waitcnt lgkmcnt(1)
	global_store_short v[9:10], v12, off offset:1024
	s_or_b64 exec, exec, s[4:5]
	v_cmp_gt_u32_e64 s[6:7], s6, v20
	s_and_saveexec_b64 s[4:5], s[6:7]
	s_cbranch_execnz .LBB1345_38
	s_branch .LBB1345_39
.LBB1345_54:
	v_lshl_add_u32 v6, v13, 3, v16
	ds_read_b64 v[6:7], v6
	s_waitcnt lgkmcnt(0)
	global_store_dwordx2 v[2:3], v[6:7], off
	s_or_b64 exec, exec, s[4:5]
	s_and_saveexec_b64 s[4:5], s[0:1]
	s_cbranch_execz .LBB1345_41
.LBB1345_55:
	s_waitcnt lgkmcnt(2)
	global_store_dwordx2 v[2:3], v[4:5], off offset:2048
	s_or_b64 exec, exec, s[4:5]
	s_and_saveexec_b64 s[0:1], s[2:3]
	s_cbranch_execnz .LBB1345_42
	s_branch .LBB1345_43
	.section	.rodata,"a",@progbits
	.p2align	6, 0x0
	.amdhsa_kernel _ZN7rocprim17ROCPRIM_400000_NS6detail17trampoline_kernelINS0_14default_configENS1_38merge_sort_block_merge_config_selectorIslEEZZNS1_27merge_sort_block_merge_implIS3_PsN6thrust23THRUST_200600_302600_NS10device_ptrIlEEjNS1_19radix_merge_compareILb0ELb1EsNS0_19identity_decomposerEEEEE10hipError_tT0_T1_T2_jT3_P12ihipStream_tbPNSt15iterator_traitsISG_E10value_typeEPNSM_ISH_E10value_typeEPSI_NS1_7vsmem_tEENKUlT_SG_SH_SI_E_clIS7_S7_PlSB_EESF_SV_SG_SH_SI_EUlSV_E0_NS1_11comp_targetILNS1_3genE2ELNS1_11target_archE906ELNS1_3gpuE6ELNS1_3repE0EEENS1_38merge_mergepath_config_static_selectorELNS0_4arch9wavefront6targetE1EEEvSH_
		.amdhsa_group_segment_fixed_size 8448
		.amdhsa_private_segment_fixed_size 0
		.amdhsa_kernarg_size 320
		.amdhsa_user_sgpr_count 6
		.amdhsa_user_sgpr_private_segment_buffer 1
		.amdhsa_user_sgpr_dispatch_ptr 0
		.amdhsa_user_sgpr_queue_ptr 0
		.amdhsa_user_sgpr_kernarg_segment_ptr 1
		.amdhsa_user_sgpr_dispatch_id 0
		.amdhsa_user_sgpr_flat_scratch_init 0
		.amdhsa_user_sgpr_private_segment_size 0
		.amdhsa_uses_dynamic_stack 0
		.amdhsa_system_sgpr_private_segment_wavefront_offset 0
		.amdhsa_system_sgpr_workgroup_id_x 1
		.amdhsa_system_sgpr_workgroup_id_y 1
		.amdhsa_system_sgpr_workgroup_id_z 1
		.amdhsa_system_sgpr_workgroup_info 0
		.amdhsa_system_vgpr_workitem_id 0
		.amdhsa_next_free_vgpr 35
		.amdhsa_next_free_sgpr 77
		.amdhsa_reserve_vcc 1
		.amdhsa_reserve_flat_scratch 0
		.amdhsa_float_round_mode_32 0
		.amdhsa_float_round_mode_16_64 0
		.amdhsa_float_denorm_mode_32 3
		.amdhsa_float_denorm_mode_16_64 3
		.amdhsa_dx10_clamp 1
		.amdhsa_ieee_mode 1
		.amdhsa_fp16_overflow 0
		.amdhsa_exception_fp_ieee_invalid_op 0
		.amdhsa_exception_fp_denorm_src 0
		.amdhsa_exception_fp_ieee_div_zero 0
		.amdhsa_exception_fp_ieee_overflow 0
		.amdhsa_exception_fp_ieee_underflow 0
		.amdhsa_exception_fp_ieee_inexact 0
		.amdhsa_exception_int_div_zero 0
	.end_amdhsa_kernel
	.section	.text._ZN7rocprim17ROCPRIM_400000_NS6detail17trampoline_kernelINS0_14default_configENS1_38merge_sort_block_merge_config_selectorIslEEZZNS1_27merge_sort_block_merge_implIS3_PsN6thrust23THRUST_200600_302600_NS10device_ptrIlEEjNS1_19radix_merge_compareILb0ELb1EsNS0_19identity_decomposerEEEEE10hipError_tT0_T1_T2_jT3_P12ihipStream_tbPNSt15iterator_traitsISG_E10value_typeEPNSM_ISH_E10value_typeEPSI_NS1_7vsmem_tEENKUlT_SG_SH_SI_E_clIS7_S7_PlSB_EESF_SV_SG_SH_SI_EUlSV_E0_NS1_11comp_targetILNS1_3genE2ELNS1_11target_archE906ELNS1_3gpuE6ELNS1_3repE0EEENS1_38merge_mergepath_config_static_selectorELNS0_4arch9wavefront6targetE1EEEvSH_,"axG",@progbits,_ZN7rocprim17ROCPRIM_400000_NS6detail17trampoline_kernelINS0_14default_configENS1_38merge_sort_block_merge_config_selectorIslEEZZNS1_27merge_sort_block_merge_implIS3_PsN6thrust23THRUST_200600_302600_NS10device_ptrIlEEjNS1_19radix_merge_compareILb0ELb1EsNS0_19identity_decomposerEEEEE10hipError_tT0_T1_T2_jT3_P12ihipStream_tbPNSt15iterator_traitsISG_E10value_typeEPNSM_ISH_E10value_typeEPSI_NS1_7vsmem_tEENKUlT_SG_SH_SI_E_clIS7_S7_PlSB_EESF_SV_SG_SH_SI_EUlSV_E0_NS1_11comp_targetILNS1_3genE2ELNS1_11target_archE906ELNS1_3gpuE6ELNS1_3repE0EEENS1_38merge_mergepath_config_static_selectorELNS0_4arch9wavefront6targetE1EEEvSH_,comdat
.Lfunc_end1345:
	.size	_ZN7rocprim17ROCPRIM_400000_NS6detail17trampoline_kernelINS0_14default_configENS1_38merge_sort_block_merge_config_selectorIslEEZZNS1_27merge_sort_block_merge_implIS3_PsN6thrust23THRUST_200600_302600_NS10device_ptrIlEEjNS1_19radix_merge_compareILb0ELb1EsNS0_19identity_decomposerEEEEE10hipError_tT0_T1_T2_jT3_P12ihipStream_tbPNSt15iterator_traitsISG_E10value_typeEPNSM_ISH_E10value_typeEPSI_NS1_7vsmem_tEENKUlT_SG_SH_SI_E_clIS7_S7_PlSB_EESF_SV_SG_SH_SI_EUlSV_E0_NS1_11comp_targetILNS1_3genE2ELNS1_11target_archE906ELNS1_3gpuE6ELNS1_3repE0EEENS1_38merge_mergepath_config_static_selectorELNS0_4arch9wavefront6targetE1EEEvSH_, .Lfunc_end1345-_ZN7rocprim17ROCPRIM_400000_NS6detail17trampoline_kernelINS0_14default_configENS1_38merge_sort_block_merge_config_selectorIslEEZZNS1_27merge_sort_block_merge_implIS3_PsN6thrust23THRUST_200600_302600_NS10device_ptrIlEEjNS1_19radix_merge_compareILb0ELb1EsNS0_19identity_decomposerEEEEE10hipError_tT0_T1_T2_jT3_P12ihipStream_tbPNSt15iterator_traitsISG_E10value_typeEPNSM_ISH_E10value_typeEPSI_NS1_7vsmem_tEENKUlT_SG_SH_SI_E_clIS7_S7_PlSB_EESF_SV_SG_SH_SI_EUlSV_E0_NS1_11comp_targetILNS1_3genE2ELNS1_11target_archE906ELNS1_3gpuE6ELNS1_3repE0EEENS1_38merge_mergepath_config_static_selectorELNS0_4arch9wavefront6targetE1EEEvSH_
                                        ; -- End function
	.set _ZN7rocprim17ROCPRIM_400000_NS6detail17trampoline_kernelINS0_14default_configENS1_38merge_sort_block_merge_config_selectorIslEEZZNS1_27merge_sort_block_merge_implIS3_PsN6thrust23THRUST_200600_302600_NS10device_ptrIlEEjNS1_19radix_merge_compareILb0ELb1EsNS0_19identity_decomposerEEEEE10hipError_tT0_T1_T2_jT3_P12ihipStream_tbPNSt15iterator_traitsISG_E10value_typeEPNSM_ISH_E10value_typeEPSI_NS1_7vsmem_tEENKUlT_SG_SH_SI_E_clIS7_S7_PlSB_EESF_SV_SG_SH_SI_EUlSV_E0_NS1_11comp_targetILNS1_3genE2ELNS1_11target_archE906ELNS1_3gpuE6ELNS1_3repE0EEENS1_38merge_mergepath_config_static_selectorELNS0_4arch9wavefront6targetE1EEEvSH_.num_vgpr, 35
	.set _ZN7rocprim17ROCPRIM_400000_NS6detail17trampoline_kernelINS0_14default_configENS1_38merge_sort_block_merge_config_selectorIslEEZZNS1_27merge_sort_block_merge_implIS3_PsN6thrust23THRUST_200600_302600_NS10device_ptrIlEEjNS1_19radix_merge_compareILb0ELb1EsNS0_19identity_decomposerEEEEE10hipError_tT0_T1_T2_jT3_P12ihipStream_tbPNSt15iterator_traitsISG_E10value_typeEPNSM_ISH_E10value_typeEPSI_NS1_7vsmem_tEENKUlT_SG_SH_SI_E_clIS7_S7_PlSB_EESF_SV_SG_SH_SI_EUlSV_E0_NS1_11comp_targetILNS1_3genE2ELNS1_11target_archE906ELNS1_3gpuE6ELNS1_3repE0EEENS1_38merge_mergepath_config_static_selectorELNS0_4arch9wavefront6targetE1EEEvSH_.num_agpr, 0
	.set _ZN7rocprim17ROCPRIM_400000_NS6detail17trampoline_kernelINS0_14default_configENS1_38merge_sort_block_merge_config_selectorIslEEZZNS1_27merge_sort_block_merge_implIS3_PsN6thrust23THRUST_200600_302600_NS10device_ptrIlEEjNS1_19radix_merge_compareILb0ELb1EsNS0_19identity_decomposerEEEEE10hipError_tT0_T1_T2_jT3_P12ihipStream_tbPNSt15iterator_traitsISG_E10value_typeEPNSM_ISH_E10value_typeEPSI_NS1_7vsmem_tEENKUlT_SG_SH_SI_E_clIS7_S7_PlSB_EESF_SV_SG_SH_SI_EUlSV_E0_NS1_11comp_targetILNS1_3genE2ELNS1_11target_archE906ELNS1_3gpuE6ELNS1_3repE0EEENS1_38merge_mergepath_config_static_selectorELNS0_4arch9wavefront6targetE1EEEvSH_.numbered_sgpr, 34
	.set _ZN7rocprim17ROCPRIM_400000_NS6detail17trampoline_kernelINS0_14default_configENS1_38merge_sort_block_merge_config_selectorIslEEZZNS1_27merge_sort_block_merge_implIS3_PsN6thrust23THRUST_200600_302600_NS10device_ptrIlEEjNS1_19radix_merge_compareILb0ELb1EsNS0_19identity_decomposerEEEEE10hipError_tT0_T1_T2_jT3_P12ihipStream_tbPNSt15iterator_traitsISG_E10value_typeEPNSM_ISH_E10value_typeEPSI_NS1_7vsmem_tEENKUlT_SG_SH_SI_E_clIS7_S7_PlSB_EESF_SV_SG_SH_SI_EUlSV_E0_NS1_11comp_targetILNS1_3genE2ELNS1_11target_archE906ELNS1_3gpuE6ELNS1_3repE0EEENS1_38merge_mergepath_config_static_selectorELNS0_4arch9wavefront6targetE1EEEvSH_.num_named_barrier, 0
	.set _ZN7rocprim17ROCPRIM_400000_NS6detail17trampoline_kernelINS0_14default_configENS1_38merge_sort_block_merge_config_selectorIslEEZZNS1_27merge_sort_block_merge_implIS3_PsN6thrust23THRUST_200600_302600_NS10device_ptrIlEEjNS1_19radix_merge_compareILb0ELb1EsNS0_19identity_decomposerEEEEE10hipError_tT0_T1_T2_jT3_P12ihipStream_tbPNSt15iterator_traitsISG_E10value_typeEPNSM_ISH_E10value_typeEPSI_NS1_7vsmem_tEENKUlT_SG_SH_SI_E_clIS7_S7_PlSB_EESF_SV_SG_SH_SI_EUlSV_E0_NS1_11comp_targetILNS1_3genE2ELNS1_11target_archE906ELNS1_3gpuE6ELNS1_3repE0EEENS1_38merge_mergepath_config_static_selectorELNS0_4arch9wavefront6targetE1EEEvSH_.private_seg_size, 0
	.set _ZN7rocprim17ROCPRIM_400000_NS6detail17trampoline_kernelINS0_14default_configENS1_38merge_sort_block_merge_config_selectorIslEEZZNS1_27merge_sort_block_merge_implIS3_PsN6thrust23THRUST_200600_302600_NS10device_ptrIlEEjNS1_19radix_merge_compareILb0ELb1EsNS0_19identity_decomposerEEEEE10hipError_tT0_T1_T2_jT3_P12ihipStream_tbPNSt15iterator_traitsISG_E10value_typeEPNSM_ISH_E10value_typeEPSI_NS1_7vsmem_tEENKUlT_SG_SH_SI_E_clIS7_S7_PlSB_EESF_SV_SG_SH_SI_EUlSV_E0_NS1_11comp_targetILNS1_3genE2ELNS1_11target_archE906ELNS1_3gpuE6ELNS1_3repE0EEENS1_38merge_mergepath_config_static_selectorELNS0_4arch9wavefront6targetE1EEEvSH_.uses_vcc, 1
	.set _ZN7rocprim17ROCPRIM_400000_NS6detail17trampoline_kernelINS0_14default_configENS1_38merge_sort_block_merge_config_selectorIslEEZZNS1_27merge_sort_block_merge_implIS3_PsN6thrust23THRUST_200600_302600_NS10device_ptrIlEEjNS1_19radix_merge_compareILb0ELb1EsNS0_19identity_decomposerEEEEE10hipError_tT0_T1_T2_jT3_P12ihipStream_tbPNSt15iterator_traitsISG_E10value_typeEPNSM_ISH_E10value_typeEPSI_NS1_7vsmem_tEENKUlT_SG_SH_SI_E_clIS7_S7_PlSB_EESF_SV_SG_SH_SI_EUlSV_E0_NS1_11comp_targetILNS1_3genE2ELNS1_11target_archE906ELNS1_3gpuE6ELNS1_3repE0EEENS1_38merge_mergepath_config_static_selectorELNS0_4arch9wavefront6targetE1EEEvSH_.uses_flat_scratch, 0
	.set _ZN7rocprim17ROCPRIM_400000_NS6detail17trampoline_kernelINS0_14default_configENS1_38merge_sort_block_merge_config_selectorIslEEZZNS1_27merge_sort_block_merge_implIS3_PsN6thrust23THRUST_200600_302600_NS10device_ptrIlEEjNS1_19radix_merge_compareILb0ELb1EsNS0_19identity_decomposerEEEEE10hipError_tT0_T1_T2_jT3_P12ihipStream_tbPNSt15iterator_traitsISG_E10value_typeEPNSM_ISH_E10value_typeEPSI_NS1_7vsmem_tEENKUlT_SG_SH_SI_E_clIS7_S7_PlSB_EESF_SV_SG_SH_SI_EUlSV_E0_NS1_11comp_targetILNS1_3genE2ELNS1_11target_archE906ELNS1_3gpuE6ELNS1_3repE0EEENS1_38merge_mergepath_config_static_selectorELNS0_4arch9wavefront6targetE1EEEvSH_.has_dyn_sized_stack, 0
	.set _ZN7rocprim17ROCPRIM_400000_NS6detail17trampoline_kernelINS0_14default_configENS1_38merge_sort_block_merge_config_selectorIslEEZZNS1_27merge_sort_block_merge_implIS3_PsN6thrust23THRUST_200600_302600_NS10device_ptrIlEEjNS1_19radix_merge_compareILb0ELb1EsNS0_19identity_decomposerEEEEE10hipError_tT0_T1_T2_jT3_P12ihipStream_tbPNSt15iterator_traitsISG_E10value_typeEPNSM_ISH_E10value_typeEPSI_NS1_7vsmem_tEENKUlT_SG_SH_SI_E_clIS7_S7_PlSB_EESF_SV_SG_SH_SI_EUlSV_E0_NS1_11comp_targetILNS1_3genE2ELNS1_11target_archE906ELNS1_3gpuE6ELNS1_3repE0EEENS1_38merge_mergepath_config_static_selectorELNS0_4arch9wavefront6targetE1EEEvSH_.has_recursion, 0
	.set _ZN7rocprim17ROCPRIM_400000_NS6detail17trampoline_kernelINS0_14default_configENS1_38merge_sort_block_merge_config_selectorIslEEZZNS1_27merge_sort_block_merge_implIS3_PsN6thrust23THRUST_200600_302600_NS10device_ptrIlEEjNS1_19radix_merge_compareILb0ELb1EsNS0_19identity_decomposerEEEEE10hipError_tT0_T1_T2_jT3_P12ihipStream_tbPNSt15iterator_traitsISG_E10value_typeEPNSM_ISH_E10value_typeEPSI_NS1_7vsmem_tEENKUlT_SG_SH_SI_E_clIS7_S7_PlSB_EESF_SV_SG_SH_SI_EUlSV_E0_NS1_11comp_targetILNS1_3genE2ELNS1_11target_archE906ELNS1_3gpuE6ELNS1_3repE0EEENS1_38merge_mergepath_config_static_selectorELNS0_4arch9wavefront6targetE1EEEvSH_.has_indirect_call, 0
	.section	.AMDGPU.csdata,"",@progbits
; Kernel info:
; codeLenInByte = 3724
; TotalNumSgprs: 38
; NumVgprs: 35
; ScratchSize: 0
; MemoryBound: 0
; FloatMode: 240
; IeeeMode: 1
; LDSByteSize: 8448 bytes/workgroup (compile time only)
; SGPRBlocks: 10
; VGPRBlocks: 8
; NumSGPRsForWavesPerEU: 81
; NumVGPRsForWavesPerEU: 35
; Occupancy: 7
; WaveLimiterHint : 1
; COMPUTE_PGM_RSRC2:SCRATCH_EN: 0
; COMPUTE_PGM_RSRC2:USER_SGPR: 6
; COMPUTE_PGM_RSRC2:TRAP_HANDLER: 0
; COMPUTE_PGM_RSRC2:TGID_X_EN: 1
; COMPUTE_PGM_RSRC2:TGID_Y_EN: 1
; COMPUTE_PGM_RSRC2:TGID_Z_EN: 1
; COMPUTE_PGM_RSRC2:TIDIG_COMP_CNT: 0
	.section	.text._ZN7rocprim17ROCPRIM_400000_NS6detail17trampoline_kernelINS0_14default_configENS1_38merge_sort_block_merge_config_selectorIslEEZZNS1_27merge_sort_block_merge_implIS3_PsN6thrust23THRUST_200600_302600_NS10device_ptrIlEEjNS1_19radix_merge_compareILb0ELb1EsNS0_19identity_decomposerEEEEE10hipError_tT0_T1_T2_jT3_P12ihipStream_tbPNSt15iterator_traitsISG_E10value_typeEPNSM_ISH_E10value_typeEPSI_NS1_7vsmem_tEENKUlT_SG_SH_SI_E_clIS7_S7_PlSB_EESF_SV_SG_SH_SI_EUlSV_E0_NS1_11comp_targetILNS1_3genE9ELNS1_11target_archE1100ELNS1_3gpuE3ELNS1_3repE0EEENS1_38merge_mergepath_config_static_selectorELNS0_4arch9wavefront6targetE1EEEvSH_,"axG",@progbits,_ZN7rocprim17ROCPRIM_400000_NS6detail17trampoline_kernelINS0_14default_configENS1_38merge_sort_block_merge_config_selectorIslEEZZNS1_27merge_sort_block_merge_implIS3_PsN6thrust23THRUST_200600_302600_NS10device_ptrIlEEjNS1_19radix_merge_compareILb0ELb1EsNS0_19identity_decomposerEEEEE10hipError_tT0_T1_T2_jT3_P12ihipStream_tbPNSt15iterator_traitsISG_E10value_typeEPNSM_ISH_E10value_typeEPSI_NS1_7vsmem_tEENKUlT_SG_SH_SI_E_clIS7_S7_PlSB_EESF_SV_SG_SH_SI_EUlSV_E0_NS1_11comp_targetILNS1_3genE9ELNS1_11target_archE1100ELNS1_3gpuE3ELNS1_3repE0EEENS1_38merge_mergepath_config_static_selectorELNS0_4arch9wavefront6targetE1EEEvSH_,comdat
	.protected	_ZN7rocprim17ROCPRIM_400000_NS6detail17trampoline_kernelINS0_14default_configENS1_38merge_sort_block_merge_config_selectorIslEEZZNS1_27merge_sort_block_merge_implIS3_PsN6thrust23THRUST_200600_302600_NS10device_ptrIlEEjNS1_19radix_merge_compareILb0ELb1EsNS0_19identity_decomposerEEEEE10hipError_tT0_T1_T2_jT3_P12ihipStream_tbPNSt15iterator_traitsISG_E10value_typeEPNSM_ISH_E10value_typeEPSI_NS1_7vsmem_tEENKUlT_SG_SH_SI_E_clIS7_S7_PlSB_EESF_SV_SG_SH_SI_EUlSV_E0_NS1_11comp_targetILNS1_3genE9ELNS1_11target_archE1100ELNS1_3gpuE3ELNS1_3repE0EEENS1_38merge_mergepath_config_static_selectorELNS0_4arch9wavefront6targetE1EEEvSH_ ; -- Begin function _ZN7rocprim17ROCPRIM_400000_NS6detail17trampoline_kernelINS0_14default_configENS1_38merge_sort_block_merge_config_selectorIslEEZZNS1_27merge_sort_block_merge_implIS3_PsN6thrust23THRUST_200600_302600_NS10device_ptrIlEEjNS1_19radix_merge_compareILb0ELb1EsNS0_19identity_decomposerEEEEE10hipError_tT0_T1_T2_jT3_P12ihipStream_tbPNSt15iterator_traitsISG_E10value_typeEPNSM_ISH_E10value_typeEPSI_NS1_7vsmem_tEENKUlT_SG_SH_SI_E_clIS7_S7_PlSB_EESF_SV_SG_SH_SI_EUlSV_E0_NS1_11comp_targetILNS1_3genE9ELNS1_11target_archE1100ELNS1_3gpuE3ELNS1_3repE0EEENS1_38merge_mergepath_config_static_selectorELNS0_4arch9wavefront6targetE1EEEvSH_
	.globl	_ZN7rocprim17ROCPRIM_400000_NS6detail17trampoline_kernelINS0_14default_configENS1_38merge_sort_block_merge_config_selectorIslEEZZNS1_27merge_sort_block_merge_implIS3_PsN6thrust23THRUST_200600_302600_NS10device_ptrIlEEjNS1_19radix_merge_compareILb0ELb1EsNS0_19identity_decomposerEEEEE10hipError_tT0_T1_T2_jT3_P12ihipStream_tbPNSt15iterator_traitsISG_E10value_typeEPNSM_ISH_E10value_typeEPSI_NS1_7vsmem_tEENKUlT_SG_SH_SI_E_clIS7_S7_PlSB_EESF_SV_SG_SH_SI_EUlSV_E0_NS1_11comp_targetILNS1_3genE9ELNS1_11target_archE1100ELNS1_3gpuE3ELNS1_3repE0EEENS1_38merge_mergepath_config_static_selectorELNS0_4arch9wavefront6targetE1EEEvSH_
	.p2align	8
	.type	_ZN7rocprim17ROCPRIM_400000_NS6detail17trampoline_kernelINS0_14default_configENS1_38merge_sort_block_merge_config_selectorIslEEZZNS1_27merge_sort_block_merge_implIS3_PsN6thrust23THRUST_200600_302600_NS10device_ptrIlEEjNS1_19radix_merge_compareILb0ELb1EsNS0_19identity_decomposerEEEEE10hipError_tT0_T1_T2_jT3_P12ihipStream_tbPNSt15iterator_traitsISG_E10value_typeEPNSM_ISH_E10value_typeEPSI_NS1_7vsmem_tEENKUlT_SG_SH_SI_E_clIS7_S7_PlSB_EESF_SV_SG_SH_SI_EUlSV_E0_NS1_11comp_targetILNS1_3genE9ELNS1_11target_archE1100ELNS1_3gpuE3ELNS1_3repE0EEENS1_38merge_mergepath_config_static_selectorELNS0_4arch9wavefront6targetE1EEEvSH_,@function
_ZN7rocprim17ROCPRIM_400000_NS6detail17trampoline_kernelINS0_14default_configENS1_38merge_sort_block_merge_config_selectorIslEEZZNS1_27merge_sort_block_merge_implIS3_PsN6thrust23THRUST_200600_302600_NS10device_ptrIlEEjNS1_19radix_merge_compareILb0ELb1EsNS0_19identity_decomposerEEEEE10hipError_tT0_T1_T2_jT3_P12ihipStream_tbPNSt15iterator_traitsISG_E10value_typeEPNSM_ISH_E10value_typeEPSI_NS1_7vsmem_tEENKUlT_SG_SH_SI_E_clIS7_S7_PlSB_EESF_SV_SG_SH_SI_EUlSV_E0_NS1_11comp_targetILNS1_3genE9ELNS1_11target_archE1100ELNS1_3gpuE3ELNS1_3repE0EEENS1_38merge_mergepath_config_static_selectorELNS0_4arch9wavefront6targetE1EEEvSH_: ; @_ZN7rocprim17ROCPRIM_400000_NS6detail17trampoline_kernelINS0_14default_configENS1_38merge_sort_block_merge_config_selectorIslEEZZNS1_27merge_sort_block_merge_implIS3_PsN6thrust23THRUST_200600_302600_NS10device_ptrIlEEjNS1_19radix_merge_compareILb0ELb1EsNS0_19identity_decomposerEEEEE10hipError_tT0_T1_T2_jT3_P12ihipStream_tbPNSt15iterator_traitsISG_E10value_typeEPNSM_ISH_E10value_typeEPSI_NS1_7vsmem_tEENKUlT_SG_SH_SI_E_clIS7_S7_PlSB_EESF_SV_SG_SH_SI_EUlSV_E0_NS1_11comp_targetILNS1_3genE9ELNS1_11target_archE1100ELNS1_3gpuE3ELNS1_3repE0EEENS1_38merge_mergepath_config_static_selectorELNS0_4arch9wavefront6targetE1EEEvSH_
; %bb.0:
	.section	.rodata,"a",@progbits
	.p2align	6, 0x0
	.amdhsa_kernel _ZN7rocprim17ROCPRIM_400000_NS6detail17trampoline_kernelINS0_14default_configENS1_38merge_sort_block_merge_config_selectorIslEEZZNS1_27merge_sort_block_merge_implIS3_PsN6thrust23THRUST_200600_302600_NS10device_ptrIlEEjNS1_19radix_merge_compareILb0ELb1EsNS0_19identity_decomposerEEEEE10hipError_tT0_T1_T2_jT3_P12ihipStream_tbPNSt15iterator_traitsISG_E10value_typeEPNSM_ISH_E10value_typeEPSI_NS1_7vsmem_tEENKUlT_SG_SH_SI_E_clIS7_S7_PlSB_EESF_SV_SG_SH_SI_EUlSV_E0_NS1_11comp_targetILNS1_3genE9ELNS1_11target_archE1100ELNS1_3gpuE3ELNS1_3repE0EEENS1_38merge_mergepath_config_static_selectorELNS0_4arch9wavefront6targetE1EEEvSH_
		.amdhsa_group_segment_fixed_size 0
		.amdhsa_private_segment_fixed_size 0
		.amdhsa_kernarg_size 64
		.amdhsa_user_sgpr_count 6
		.amdhsa_user_sgpr_private_segment_buffer 1
		.amdhsa_user_sgpr_dispatch_ptr 0
		.amdhsa_user_sgpr_queue_ptr 0
		.amdhsa_user_sgpr_kernarg_segment_ptr 1
		.amdhsa_user_sgpr_dispatch_id 0
		.amdhsa_user_sgpr_flat_scratch_init 0
		.amdhsa_user_sgpr_private_segment_size 0
		.amdhsa_uses_dynamic_stack 0
		.amdhsa_system_sgpr_private_segment_wavefront_offset 0
		.amdhsa_system_sgpr_workgroup_id_x 1
		.amdhsa_system_sgpr_workgroup_id_y 0
		.amdhsa_system_sgpr_workgroup_id_z 0
		.amdhsa_system_sgpr_workgroup_info 0
		.amdhsa_system_vgpr_workitem_id 0
		.amdhsa_next_free_vgpr 1
		.amdhsa_next_free_sgpr 0
		.amdhsa_reserve_vcc 0
		.amdhsa_reserve_flat_scratch 0
		.amdhsa_float_round_mode_32 0
		.amdhsa_float_round_mode_16_64 0
		.amdhsa_float_denorm_mode_32 3
		.amdhsa_float_denorm_mode_16_64 3
		.amdhsa_dx10_clamp 1
		.amdhsa_ieee_mode 1
		.amdhsa_fp16_overflow 0
		.amdhsa_exception_fp_ieee_invalid_op 0
		.amdhsa_exception_fp_denorm_src 0
		.amdhsa_exception_fp_ieee_div_zero 0
		.amdhsa_exception_fp_ieee_overflow 0
		.amdhsa_exception_fp_ieee_underflow 0
		.amdhsa_exception_fp_ieee_inexact 0
		.amdhsa_exception_int_div_zero 0
	.end_amdhsa_kernel
	.section	.text._ZN7rocprim17ROCPRIM_400000_NS6detail17trampoline_kernelINS0_14default_configENS1_38merge_sort_block_merge_config_selectorIslEEZZNS1_27merge_sort_block_merge_implIS3_PsN6thrust23THRUST_200600_302600_NS10device_ptrIlEEjNS1_19radix_merge_compareILb0ELb1EsNS0_19identity_decomposerEEEEE10hipError_tT0_T1_T2_jT3_P12ihipStream_tbPNSt15iterator_traitsISG_E10value_typeEPNSM_ISH_E10value_typeEPSI_NS1_7vsmem_tEENKUlT_SG_SH_SI_E_clIS7_S7_PlSB_EESF_SV_SG_SH_SI_EUlSV_E0_NS1_11comp_targetILNS1_3genE9ELNS1_11target_archE1100ELNS1_3gpuE3ELNS1_3repE0EEENS1_38merge_mergepath_config_static_selectorELNS0_4arch9wavefront6targetE1EEEvSH_,"axG",@progbits,_ZN7rocprim17ROCPRIM_400000_NS6detail17trampoline_kernelINS0_14default_configENS1_38merge_sort_block_merge_config_selectorIslEEZZNS1_27merge_sort_block_merge_implIS3_PsN6thrust23THRUST_200600_302600_NS10device_ptrIlEEjNS1_19radix_merge_compareILb0ELb1EsNS0_19identity_decomposerEEEEE10hipError_tT0_T1_T2_jT3_P12ihipStream_tbPNSt15iterator_traitsISG_E10value_typeEPNSM_ISH_E10value_typeEPSI_NS1_7vsmem_tEENKUlT_SG_SH_SI_E_clIS7_S7_PlSB_EESF_SV_SG_SH_SI_EUlSV_E0_NS1_11comp_targetILNS1_3genE9ELNS1_11target_archE1100ELNS1_3gpuE3ELNS1_3repE0EEENS1_38merge_mergepath_config_static_selectorELNS0_4arch9wavefront6targetE1EEEvSH_,comdat
.Lfunc_end1346:
	.size	_ZN7rocprim17ROCPRIM_400000_NS6detail17trampoline_kernelINS0_14default_configENS1_38merge_sort_block_merge_config_selectorIslEEZZNS1_27merge_sort_block_merge_implIS3_PsN6thrust23THRUST_200600_302600_NS10device_ptrIlEEjNS1_19radix_merge_compareILb0ELb1EsNS0_19identity_decomposerEEEEE10hipError_tT0_T1_T2_jT3_P12ihipStream_tbPNSt15iterator_traitsISG_E10value_typeEPNSM_ISH_E10value_typeEPSI_NS1_7vsmem_tEENKUlT_SG_SH_SI_E_clIS7_S7_PlSB_EESF_SV_SG_SH_SI_EUlSV_E0_NS1_11comp_targetILNS1_3genE9ELNS1_11target_archE1100ELNS1_3gpuE3ELNS1_3repE0EEENS1_38merge_mergepath_config_static_selectorELNS0_4arch9wavefront6targetE1EEEvSH_, .Lfunc_end1346-_ZN7rocprim17ROCPRIM_400000_NS6detail17trampoline_kernelINS0_14default_configENS1_38merge_sort_block_merge_config_selectorIslEEZZNS1_27merge_sort_block_merge_implIS3_PsN6thrust23THRUST_200600_302600_NS10device_ptrIlEEjNS1_19radix_merge_compareILb0ELb1EsNS0_19identity_decomposerEEEEE10hipError_tT0_T1_T2_jT3_P12ihipStream_tbPNSt15iterator_traitsISG_E10value_typeEPNSM_ISH_E10value_typeEPSI_NS1_7vsmem_tEENKUlT_SG_SH_SI_E_clIS7_S7_PlSB_EESF_SV_SG_SH_SI_EUlSV_E0_NS1_11comp_targetILNS1_3genE9ELNS1_11target_archE1100ELNS1_3gpuE3ELNS1_3repE0EEENS1_38merge_mergepath_config_static_selectorELNS0_4arch9wavefront6targetE1EEEvSH_
                                        ; -- End function
	.set _ZN7rocprim17ROCPRIM_400000_NS6detail17trampoline_kernelINS0_14default_configENS1_38merge_sort_block_merge_config_selectorIslEEZZNS1_27merge_sort_block_merge_implIS3_PsN6thrust23THRUST_200600_302600_NS10device_ptrIlEEjNS1_19radix_merge_compareILb0ELb1EsNS0_19identity_decomposerEEEEE10hipError_tT0_T1_T2_jT3_P12ihipStream_tbPNSt15iterator_traitsISG_E10value_typeEPNSM_ISH_E10value_typeEPSI_NS1_7vsmem_tEENKUlT_SG_SH_SI_E_clIS7_S7_PlSB_EESF_SV_SG_SH_SI_EUlSV_E0_NS1_11comp_targetILNS1_3genE9ELNS1_11target_archE1100ELNS1_3gpuE3ELNS1_3repE0EEENS1_38merge_mergepath_config_static_selectorELNS0_4arch9wavefront6targetE1EEEvSH_.num_vgpr, 0
	.set _ZN7rocprim17ROCPRIM_400000_NS6detail17trampoline_kernelINS0_14default_configENS1_38merge_sort_block_merge_config_selectorIslEEZZNS1_27merge_sort_block_merge_implIS3_PsN6thrust23THRUST_200600_302600_NS10device_ptrIlEEjNS1_19radix_merge_compareILb0ELb1EsNS0_19identity_decomposerEEEEE10hipError_tT0_T1_T2_jT3_P12ihipStream_tbPNSt15iterator_traitsISG_E10value_typeEPNSM_ISH_E10value_typeEPSI_NS1_7vsmem_tEENKUlT_SG_SH_SI_E_clIS7_S7_PlSB_EESF_SV_SG_SH_SI_EUlSV_E0_NS1_11comp_targetILNS1_3genE9ELNS1_11target_archE1100ELNS1_3gpuE3ELNS1_3repE0EEENS1_38merge_mergepath_config_static_selectorELNS0_4arch9wavefront6targetE1EEEvSH_.num_agpr, 0
	.set _ZN7rocprim17ROCPRIM_400000_NS6detail17trampoline_kernelINS0_14default_configENS1_38merge_sort_block_merge_config_selectorIslEEZZNS1_27merge_sort_block_merge_implIS3_PsN6thrust23THRUST_200600_302600_NS10device_ptrIlEEjNS1_19radix_merge_compareILb0ELb1EsNS0_19identity_decomposerEEEEE10hipError_tT0_T1_T2_jT3_P12ihipStream_tbPNSt15iterator_traitsISG_E10value_typeEPNSM_ISH_E10value_typeEPSI_NS1_7vsmem_tEENKUlT_SG_SH_SI_E_clIS7_S7_PlSB_EESF_SV_SG_SH_SI_EUlSV_E0_NS1_11comp_targetILNS1_3genE9ELNS1_11target_archE1100ELNS1_3gpuE3ELNS1_3repE0EEENS1_38merge_mergepath_config_static_selectorELNS0_4arch9wavefront6targetE1EEEvSH_.numbered_sgpr, 0
	.set _ZN7rocprim17ROCPRIM_400000_NS6detail17trampoline_kernelINS0_14default_configENS1_38merge_sort_block_merge_config_selectorIslEEZZNS1_27merge_sort_block_merge_implIS3_PsN6thrust23THRUST_200600_302600_NS10device_ptrIlEEjNS1_19radix_merge_compareILb0ELb1EsNS0_19identity_decomposerEEEEE10hipError_tT0_T1_T2_jT3_P12ihipStream_tbPNSt15iterator_traitsISG_E10value_typeEPNSM_ISH_E10value_typeEPSI_NS1_7vsmem_tEENKUlT_SG_SH_SI_E_clIS7_S7_PlSB_EESF_SV_SG_SH_SI_EUlSV_E0_NS1_11comp_targetILNS1_3genE9ELNS1_11target_archE1100ELNS1_3gpuE3ELNS1_3repE0EEENS1_38merge_mergepath_config_static_selectorELNS0_4arch9wavefront6targetE1EEEvSH_.num_named_barrier, 0
	.set _ZN7rocprim17ROCPRIM_400000_NS6detail17trampoline_kernelINS0_14default_configENS1_38merge_sort_block_merge_config_selectorIslEEZZNS1_27merge_sort_block_merge_implIS3_PsN6thrust23THRUST_200600_302600_NS10device_ptrIlEEjNS1_19radix_merge_compareILb0ELb1EsNS0_19identity_decomposerEEEEE10hipError_tT0_T1_T2_jT3_P12ihipStream_tbPNSt15iterator_traitsISG_E10value_typeEPNSM_ISH_E10value_typeEPSI_NS1_7vsmem_tEENKUlT_SG_SH_SI_E_clIS7_S7_PlSB_EESF_SV_SG_SH_SI_EUlSV_E0_NS1_11comp_targetILNS1_3genE9ELNS1_11target_archE1100ELNS1_3gpuE3ELNS1_3repE0EEENS1_38merge_mergepath_config_static_selectorELNS0_4arch9wavefront6targetE1EEEvSH_.private_seg_size, 0
	.set _ZN7rocprim17ROCPRIM_400000_NS6detail17trampoline_kernelINS0_14default_configENS1_38merge_sort_block_merge_config_selectorIslEEZZNS1_27merge_sort_block_merge_implIS3_PsN6thrust23THRUST_200600_302600_NS10device_ptrIlEEjNS1_19radix_merge_compareILb0ELb1EsNS0_19identity_decomposerEEEEE10hipError_tT0_T1_T2_jT3_P12ihipStream_tbPNSt15iterator_traitsISG_E10value_typeEPNSM_ISH_E10value_typeEPSI_NS1_7vsmem_tEENKUlT_SG_SH_SI_E_clIS7_S7_PlSB_EESF_SV_SG_SH_SI_EUlSV_E0_NS1_11comp_targetILNS1_3genE9ELNS1_11target_archE1100ELNS1_3gpuE3ELNS1_3repE0EEENS1_38merge_mergepath_config_static_selectorELNS0_4arch9wavefront6targetE1EEEvSH_.uses_vcc, 0
	.set _ZN7rocprim17ROCPRIM_400000_NS6detail17trampoline_kernelINS0_14default_configENS1_38merge_sort_block_merge_config_selectorIslEEZZNS1_27merge_sort_block_merge_implIS3_PsN6thrust23THRUST_200600_302600_NS10device_ptrIlEEjNS1_19radix_merge_compareILb0ELb1EsNS0_19identity_decomposerEEEEE10hipError_tT0_T1_T2_jT3_P12ihipStream_tbPNSt15iterator_traitsISG_E10value_typeEPNSM_ISH_E10value_typeEPSI_NS1_7vsmem_tEENKUlT_SG_SH_SI_E_clIS7_S7_PlSB_EESF_SV_SG_SH_SI_EUlSV_E0_NS1_11comp_targetILNS1_3genE9ELNS1_11target_archE1100ELNS1_3gpuE3ELNS1_3repE0EEENS1_38merge_mergepath_config_static_selectorELNS0_4arch9wavefront6targetE1EEEvSH_.uses_flat_scratch, 0
	.set _ZN7rocprim17ROCPRIM_400000_NS6detail17trampoline_kernelINS0_14default_configENS1_38merge_sort_block_merge_config_selectorIslEEZZNS1_27merge_sort_block_merge_implIS3_PsN6thrust23THRUST_200600_302600_NS10device_ptrIlEEjNS1_19radix_merge_compareILb0ELb1EsNS0_19identity_decomposerEEEEE10hipError_tT0_T1_T2_jT3_P12ihipStream_tbPNSt15iterator_traitsISG_E10value_typeEPNSM_ISH_E10value_typeEPSI_NS1_7vsmem_tEENKUlT_SG_SH_SI_E_clIS7_S7_PlSB_EESF_SV_SG_SH_SI_EUlSV_E0_NS1_11comp_targetILNS1_3genE9ELNS1_11target_archE1100ELNS1_3gpuE3ELNS1_3repE0EEENS1_38merge_mergepath_config_static_selectorELNS0_4arch9wavefront6targetE1EEEvSH_.has_dyn_sized_stack, 0
	.set _ZN7rocprim17ROCPRIM_400000_NS6detail17trampoline_kernelINS0_14default_configENS1_38merge_sort_block_merge_config_selectorIslEEZZNS1_27merge_sort_block_merge_implIS3_PsN6thrust23THRUST_200600_302600_NS10device_ptrIlEEjNS1_19radix_merge_compareILb0ELb1EsNS0_19identity_decomposerEEEEE10hipError_tT0_T1_T2_jT3_P12ihipStream_tbPNSt15iterator_traitsISG_E10value_typeEPNSM_ISH_E10value_typeEPSI_NS1_7vsmem_tEENKUlT_SG_SH_SI_E_clIS7_S7_PlSB_EESF_SV_SG_SH_SI_EUlSV_E0_NS1_11comp_targetILNS1_3genE9ELNS1_11target_archE1100ELNS1_3gpuE3ELNS1_3repE0EEENS1_38merge_mergepath_config_static_selectorELNS0_4arch9wavefront6targetE1EEEvSH_.has_recursion, 0
	.set _ZN7rocprim17ROCPRIM_400000_NS6detail17trampoline_kernelINS0_14default_configENS1_38merge_sort_block_merge_config_selectorIslEEZZNS1_27merge_sort_block_merge_implIS3_PsN6thrust23THRUST_200600_302600_NS10device_ptrIlEEjNS1_19radix_merge_compareILb0ELb1EsNS0_19identity_decomposerEEEEE10hipError_tT0_T1_T2_jT3_P12ihipStream_tbPNSt15iterator_traitsISG_E10value_typeEPNSM_ISH_E10value_typeEPSI_NS1_7vsmem_tEENKUlT_SG_SH_SI_E_clIS7_S7_PlSB_EESF_SV_SG_SH_SI_EUlSV_E0_NS1_11comp_targetILNS1_3genE9ELNS1_11target_archE1100ELNS1_3gpuE3ELNS1_3repE0EEENS1_38merge_mergepath_config_static_selectorELNS0_4arch9wavefront6targetE1EEEvSH_.has_indirect_call, 0
	.section	.AMDGPU.csdata,"",@progbits
; Kernel info:
; codeLenInByte = 0
; TotalNumSgprs: 4
; NumVgprs: 0
; ScratchSize: 0
; MemoryBound: 0
; FloatMode: 240
; IeeeMode: 1
; LDSByteSize: 0 bytes/workgroup (compile time only)
; SGPRBlocks: 0
; VGPRBlocks: 0
; NumSGPRsForWavesPerEU: 4
; NumVGPRsForWavesPerEU: 1
; Occupancy: 10
; WaveLimiterHint : 0
; COMPUTE_PGM_RSRC2:SCRATCH_EN: 0
; COMPUTE_PGM_RSRC2:USER_SGPR: 6
; COMPUTE_PGM_RSRC2:TRAP_HANDLER: 0
; COMPUTE_PGM_RSRC2:TGID_X_EN: 1
; COMPUTE_PGM_RSRC2:TGID_Y_EN: 0
; COMPUTE_PGM_RSRC2:TGID_Z_EN: 0
; COMPUTE_PGM_RSRC2:TIDIG_COMP_CNT: 0
	.section	.text._ZN7rocprim17ROCPRIM_400000_NS6detail17trampoline_kernelINS0_14default_configENS1_38merge_sort_block_merge_config_selectorIslEEZZNS1_27merge_sort_block_merge_implIS3_PsN6thrust23THRUST_200600_302600_NS10device_ptrIlEEjNS1_19radix_merge_compareILb0ELb1EsNS0_19identity_decomposerEEEEE10hipError_tT0_T1_T2_jT3_P12ihipStream_tbPNSt15iterator_traitsISG_E10value_typeEPNSM_ISH_E10value_typeEPSI_NS1_7vsmem_tEENKUlT_SG_SH_SI_E_clIS7_S7_PlSB_EESF_SV_SG_SH_SI_EUlSV_E0_NS1_11comp_targetILNS1_3genE8ELNS1_11target_archE1030ELNS1_3gpuE2ELNS1_3repE0EEENS1_38merge_mergepath_config_static_selectorELNS0_4arch9wavefront6targetE1EEEvSH_,"axG",@progbits,_ZN7rocprim17ROCPRIM_400000_NS6detail17trampoline_kernelINS0_14default_configENS1_38merge_sort_block_merge_config_selectorIslEEZZNS1_27merge_sort_block_merge_implIS3_PsN6thrust23THRUST_200600_302600_NS10device_ptrIlEEjNS1_19radix_merge_compareILb0ELb1EsNS0_19identity_decomposerEEEEE10hipError_tT0_T1_T2_jT3_P12ihipStream_tbPNSt15iterator_traitsISG_E10value_typeEPNSM_ISH_E10value_typeEPSI_NS1_7vsmem_tEENKUlT_SG_SH_SI_E_clIS7_S7_PlSB_EESF_SV_SG_SH_SI_EUlSV_E0_NS1_11comp_targetILNS1_3genE8ELNS1_11target_archE1030ELNS1_3gpuE2ELNS1_3repE0EEENS1_38merge_mergepath_config_static_selectorELNS0_4arch9wavefront6targetE1EEEvSH_,comdat
	.protected	_ZN7rocprim17ROCPRIM_400000_NS6detail17trampoline_kernelINS0_14default_configENS1_38merge_sort_block_merge_config_selectorIslEEZZNS1_27merge_sort_block_merge_implIS3_PsN6thrust23THRUST_200600_302600_NS10device_ptrIlEEjNS1_19radix_merge_compareILb0ELb1EsNS0_19identity_decomposerEEEEE10hipError_tT0_T1_T2_jT3_P12ihipStream_tbPNSt15iterator_traitsISG_E10value_typeEPNSM_ISH_E10value_typeEPSI_NS1_7vsmem_tEENKUlT_SG_SH_SI_E_clIS7_S7_PlSB_EESF_SV_SG_SH_SI_EUlSV_E0_NS1_11comp_targetILNS1_3genE8ELNS1_11target_archE1030ELNS1_3gpuE2ELNS1_3repE0EEENS1_38merge_mergepath_config_static_selectorELNS0_4arch9wavefront6targetE1EEEvSH_ ; -- Begin function _ZN7rocprim17ROCPRIM_400000_NS6detail17trampoline_kernelINS0_14default_configENS1_38merge_sort_block_merge_config_selectorIslEEZZNS1_27merge_sort_block_merge_implIS3_PsN6thrust23THRUST_200600_302600_NS10device_ptrIlEEjNS1_19radix_merge_compareILb0ELb1EsNS0_19identity_decomposerEEEEE10hipError_tT0_T1_T2_jT3_P12ihipStream_tbPNSt15iterator_traitsISG_E10value_typeEPNSM_ISH_E10value_typeEPSI_NS1_7vsmem_tEENKUlT_SG_SH_SI_E_clIS7_S7_PlSB_EESF_SV_SG_SH_SI_EUlSV_E0_NS1_11comp_targetILNS1_3genE8ELNS1_11target_archE1030ELNS1_3gpuE2ELNS1_3repE0EEENS1_38merge_mergepath_config_static_selectorELNS0_4arch9wavefront6targetE1EEEvSH_
	.globl	_ZN7rocprim17ROCPRIM_400000_NS6detail17trampoline_kernelINS0_14default_configENS1_38merge_sort_block_merge_config_selectorIslEEZZNS1_27merge_sort_block_merge_implIS3_PsN6thrust23THRUST_200600_302600_NS10device_ptrIlEEjNS1_19radix_merge_compareILb0ELb1EsNS0_19identity_decomposerEEEEE10hipError_tT0_T1_T2_jT3_P12ihipStream_tbPNSt15iterator_traitsISG_E10value_typeEPNSM_ISH_E10value_typeEPSI_NS1_7vsmem_tEENKUlT_SG_SH_SI_E_clIS7_S7_PlSB_EESF_SV_SG_SH_SI_EUlSV_E0_NS1_11comp_targetILNS1_3genE8ELNS1_11target_archE1030ELNS1_3gpuE2ELNS1_3repE0EEENS1_38merge_mergepath_config_static_selectorELNS0_4arch9wavefront6targetE1EEEvSH_
	.p2align	8
	.type	_ZN7rocprim17ROCPRIM_400000_NS6detail17trampoline_kernelINS0_14default_configENS1_38merge_sort_block_merge_config_selectorIslEEZZNS1_27merge_sort_block_merge_implIS3_PsN6thrust23THRUST_200600_302600_NS10device_ptrIlEEjNS1_19radix_merge_compareILb0ELb1EsNS0_19identity_decomposerEEEEE10hipError_tT0_T1_T2_jT3_P12ihipStream_tbPNSt15iterator_traitsISG_E10value_typeEPNSM_ISH_E10value_typeEPSI_NS1_7vsmem_tEENKUlT_SG_SH_SI_E_clIS7_S7_PlSB_EESF_SV_SG_SH_SI_EUlSV_E0_NS1_11comp_targetILNS1_3genE8ELNS1_11target_archE1030ELNS1_3gpuE2ELNS1_3repE0EEENS1_38merge_mergepath_config_static_selectorELNS0_4arch9wavefront6targetE1EEEvSH_,@function
_ZN7rocprim17ROCPRIM_400000_NS6detail17trampoline_kernelINS0_14default_configENS1_38merge_sort_block_merge_config_selectorIslEEZZNS1_27merge_sort_block_merge_implIS3_PsN6thrust23THRUST_200600_302600_NS10device_ptrIlEEjNS1_19radix_merge_compareILb0ELb1EsNS0_19identity_decomposerEEEEE10hipError_tT0_T1_T2_jT3_P12ihipStream_tbPNSt15iterator_traitsISG_E10value_typeEPNSM_ISH_E10value_typeEPSI_NS1_7vsmem_tEENKUlT_SG_SH_SI_E_clIS7_S7_PlSB_EESF_SV_SG_SH_SI_EUlSV_E0_NS1_11comp_targetILNS1_3genE8ELNS1_11target_archE1030ELNS1_3gpuE2ELNS1_3repE0EEENS1_38merge_mergepath_config_static_selectorELNS0_4arch9wavefront6targetE1EEEvSH_: ; @_ZN7rocprim17ROCPRIM_400000_NS6detail17trampoline_kernelINS0_14default_configENS1_38merge_sort_block_merge_config_selectorIslEEZZNS1_27merge_sort_block_merge_implIS3_PsN6thrust23THRUST_200600_302600_NS10device_ptrIlEEjNS1_19radix_merge_compareILb0ELb1EsNS0_19identity_decomposerEEEEE10hipError_tT0_T1_T2_jT3_P12ihipStream_tbPNSt15iterator_traitsISG_E10value_typeEPNSM_ISH_E10value_typeEPSI_NS1_7vsmem_tEENKUlT_SG_SH_SI_E_clIS7_S7_PlSB_EESF_SV_SG_SH_SI_EUlSV_E0_NS1_11comp_targetILNS1_3genE8ELNS1_11target_archE1030ELNS1_3gpuE2ELNS1_3repE0EEENS1_38merge_mergepath_config_static_selectorELNS0_4arch9wavefront6targetE1EEEvSH_
; %bb.0:
	.section	.rodata,"a",@progbits
	.p2align	6, 0x0
	.amdhsa_kernel _ZN7rocprim17ROCPRIM_400000_NS6detail17trampoline_kernelINS0_14default_configENS1_38merge_sort_block_merge_config_selectorIslEEZZNS1_27merge_sort_block_merge_implIS3_PsN6thrust23THRUST_200600_302600_NS10device_ptrIlEEjNS1_19radix_merge_compareILb0ELb1EsNS0_19identity_decomposerEEEEE10hipError_tT0_T1_T2_jT3_P12ihipStream_tbPNSt15iterator_traitsISG_E10value_typeEPNSM_ISH_E10value_typeEPSI_NS1_7vsmem_tEENKUlT_SG_SH_SI_E_clIS7_S7_PlSB_EESF_SV_SG_SH_SI_EUlSV_E0_NS1_11comp_targetILNS1_3genE8ELNS1_11target_archE1030ELNS1_3gpuE2ELNS1_3repE0EEENS1_38merge_mergepath_config_static_selectorELNS0_4arch9wavefront6targetE1EEEvSH_
		.amdhsa_group_segment_fixed_size 0
		.amdhsa_private_segment_fixed_size 0
		.amdhsa_kernarg_size 64
		.amdhsa_user_sgpr_count 6
		.amdhsa_user_sgpr_private_segment_buffer 1
		.amdhsa_user_sgpr_dispatch_ptr 0
		.amdhsa_user_sgpr_queue_ptr 0
		.amdhsa_user_sgpr_kernarg_segment_ptr 1
		.amdhsa_user_sgpr_dispatch_id 0
		.amdhsa_user_sgpr_flat_scratch_init 0
		.amdhsa_user_sgpr_private_segment_size 0
		.amdhsa_uses_dynamic_stack 0
		.amdhsa_system_sgpr_private_segment_wavefront_offset 0
		.amdhsa_system_sgpr_workgroup_id_x 1
		.amdhsa_system_sgpr_workgroup_id_y 0
		.amdhsa_system_sgpr_workgroup_id_z 0
		.amdhsa_system_sgpr_workgroup_info 0
		.amdhsa_system_vgpr_workitem_id 0
		.amdhsa_next_free_vgpr 1
		.amdhsa_next_free_sgpr 0
		.amdhsa_reserve_vcc 0
		.amdhsa_reserve_flat_scratch 0
		.amdhsa_float_round_mode_32 0
		.amdhsa_float_round_mode_16_64 0
		.amdhsa_float_denorm_mode_32 3
		.amdhsa_float_denorm_mode_16_64 3
		.amdhsa_dx10_clamp 1
		.amdhsa_ieee_mode 1
		.amdhsa_fp16_overflow 0
		.amdhsa_exception_fp_ieee_invalid_op 0
		.amdhsa_exception_fp_denorm_src 0
		.amdhsa_exception_fp_ieee_div_zero 0
		.amdhsa_exception_fp_ieee_overflow 0
		.amdhsa_exception_fp_ieee_underflow 0
		.amdhsa_exception_fp_ieee_inexact 0
		.amdhsa_exception_int_div_zero 0
	.end_amdhsa_kernel
	.section	.text._ZN7rocprim17ROCPRIM_400000_NS6detail17trampoline_kernelINS0_14default_configENS1_38merge_sort_block_merge_config_selectorIslEEZZNS1_27merge_sort_block_merge_implIS3_PsN6thrust23THRUST_200600_302600_NS10device_ptrIlEEjNS1_19radix_merge_compareILb0ELb1EsNS0_19identity_decomposerEEEEE10hipError_tT0_T1_T2_jT3_P12ihipStream_tbPNSt15iterator_traitsISG_E10value_typeEPNSM_ISH_E10value_typeEPSI_NS1_7vsmem_tEENKUlT_SG_SH_SI_E_clIS7_S7_PlSB_EESF_SV_SG_SH_SI_EUlSV_E0_NS1_11comp_targetILNS1_3genE8ELNS1_11target_archE1030ELNS1_3gpuE2ELNS1_3repE0EEENS1_38merge_mergepath_config_static_selectorELNS0_4arch9wavefront6targetE1EEEvSH_,"axG",@progbits,_ZN7rocprim17ROCPRIM_400000_NS6detail17trampoline_kernelINS0_14default_configENS1_38merge_sort_block_merge_config_selectorIslEEZZNS1_27merge_sort_block_merge_implIS3_PsN6thrust23THRUST_200600_302600_NS10device_ptrIlEEjNS1_19radix_merge_compareILb0ELb1EsNS0_19identity_decomposerEEEEE10hipError_tT0_T1_T2_jT3_P12ihipStream_tbPNSt15iterator_traitsISG_E10value_typeEPNSM_ISH_E10value_typeEPSI_NS1_7vsmem_tEENKUlT_SG_SH_SI_E_clIS7_S7_PlSB_EESF_SV_SG_SH_SI_EUlSV_E0_NS1_11comp_targetILNS1_3genE8ELNS1_11target_archE1030ELNS1_3gpuE2ELNS1_3repE0EEENS1_38merge_mergepath_config_static_selectorELNS0_4arch9wavefront6targetE1EEEvSH_,comdat
.Lfunc_end1347:
	.size	_ZN7rocprim17ROCPRIM_400000_NS6detail17trampoline_kernelINS0_14default_configENS1_38merge_sort_block_merge_config_selectorIslEEZZNS1_27merge_sort_block_merge_implIS3_PsN6thrust23THRUST_200600_302600_NS10device_ptrIlEEjNS1_19radix_merge_compareILb0ELb1EsNS0_19identity_decomposerEEEEE10hipError_tT0_T1_T2_jT3_P12ihipStream_tbPNSt15iterator_traitsISG_E10value_typeEPNSM_ISH_E10value_typeEPSI_NS1_7vsmem_tEENKUlT_SG_SH_SI_E_clIS7_S7_PlSB_EESF_SV_SG_SH_SI_EUlSV_E0_NS1_11comp_targetILNS1_3genE8ELNS1_11target_archE1030ELNS1_3gpuE2ELNS1_3repE0EEENS1_38merge_mergepath_config_static_selectorELNS0_4arch9wavefront6targetE1EEEvSH_, .Lfunc_end1347-_ZN7rocprim17ROCPRIM_400000_NS6detail17trampoline_kernelINS0_14default_configENS1_38merge_sort_block_merge_config_selectorIslEEZZNS1_27merge_sort_block_merge_implIS3_PsN6thrust23THRUST_200600_302600_NS10device_ptrIlEEjNS1_19radix_merge_compareILb0ELb1EsNS0_19identity_decomposerEEEEE10hipError_tT0_T1_T2_jT3_P12ihipStream_tbPNSt15iterator_traitsISG_E10value_typeEPNSM_ISH_E10value_typeEPSI_NS1_7vsmem_tEENKUlT_SG_SH_SI_E_clIS7_S7_PlSB_EESF_SV_SG_SH_SI_EUlSV_E0_NS1_11comp_targetILNS1_3genE8ELNS1_11target_archE1030ELNS1_3gpuE2ELNS1_3repE0EEENS1_38merge_mergepath_config_static_selectorELNS0_4arch9wavefront6targetE1EEEvSH_
                                        ; -- End function
	.set _ZN7rocprim17ROCPRIM_400000_NS6detail17trampoline_kernelINS0_14default_configENS1_38merge_sort_block_merge_config_selectorIslEEZZNS1_27merge_sort_block_merge_implIS3_PsN6thrust23THRUST_200600_302600_NS10device_ptrIlEEjNS1_19radix_merge_compareILb0ELb1EsNS0_19identity_decomposerEEEEE10hipError_tT0_T1_T2_jT3_P12ihipStream_tbPNSt15iterator_traitsISG_E10value_typeEPNSM_ISH_E10value_typeEPSI_NS1_7vsmem_tEENKUlT_SG_SH_SI_E_clIS7_S7_PlSB_EESF_SV_SG_SH_SI_EUlSV_E0_NS1_11comp_targetILNS1_3genE8ELNS1_11target_archE1030ELNS1_3gpuE2ELNS1_3repE0EEENS1_38merge_mergepath_config_static_selectorELNS0_4arch9wavefront6targetE1EEEvSH_.num_vgpr, 0
	.set _ZN7rocprim17ROCPRIM_400000_NS6detail17trampoline_kernelINS0_14default_configENS1_38merge_sort_block_merge_config_selectorIslEEZZNS1_27merge_sort_block_merge_implIS3_PsN6thrust23THRUST_200600_302600_NS10device_ptrIlEEjNS1_19radix_merge_compareILb0ELb1EsNS0_19identity_decomposerEEEEE10hipError_tT0_T1_T2_jT3_P12ihipStream_tbPNSt15iterator_traitsISG_E10value_typeEPNSM_ISH_E10value_typeEPSI_NS1_7vsmem_tEENKUlT_SG_SH_SI_E_clIS7_S7_PlSB_EESF_SV_SG_SH_SI_EUlSV_E0_NS1_11comp_targetILNS1_3genE8ELNS1_11target_archE1030ELNS1_3gpuE2ELNS1_3repE0EEENS1_38merge_mergepath_config_static_selectorELNS0_4arch9wavefront6targetE1EEEvSH_.num_agpr, 0
	.set _ZN7rocprim17ROCPRIM_400000_NS6detail17trampoline_kernelINS0_14default_configENS1_38merge_sort_block_merge_config_selectorIslEEZZNS1_27merge_sort_block_merge_implIS3_PsN6thrust23THRUST_200600_302600_NS10device_ptrIlEEjNS1_19radix_merge_compareILb0ELb1EsNS0_19identity_decomposerEEEEE10hipError_tT0_T1_T2_jT3_P12ihipStream_tbPNSt15iterator_traitsISG_E10value_typeEPNSM_ISH_E10value_typeEPSI_NS1_7vsmem_tEENKUlT_SG_SH_SI_E_clIS7_S7_PlSB_EESF_SV_SG_SH_SI_EUlSV_E0_NS1_11comp_targetILNS1_3genE8ELNS1_11target_archE1030ELNS1_3gpuE2ELNS1_3repE0EEENS1_38merge_mergepath_config_static_selectorELNS0_4arch9wavefront6targetE1EEEvSH_.numbered_sgpr, 0
	.set _ZN7rocprim17ROCPRIM_400000_NS6detail17trampoline_kernelINS0_14default_configENS1_38merge_sort_block_merge_config_selectorIslEEZZNS1_27merge_sort_block_merge_implIS3_PsN6thrust23THRUST_200600_302600_NS10device_ptrIlEEjNS1_19radix_merge_compareILb0ELb1EsNS0_19identity_decomposerEEEEE10hipError_tT0_T1_T2_jT3_P12ihipStream_tbPNSt15iterator_traitsISG_E10value_typeEPNSM_ISH_E10value_typeEPSI_NS1_7vsmem_tEENKUlT_SG_SH_SI_E_clIS7_S7_PlSB_EESF_SV_SG_SH_SI_EUlSV_E0_NS1_11comp_targetILNS1_3genE8ELNS1_11target_archE1030ELNS1_3gpuE2ELNS1_3repE0EEENS1_38merge_mergepath_config_static_selectorELNS0_4arch9wavefront6targetE1EEEvSH_.num_named_barrier, 0
	.set _ZN7rocprim17ROCPRIM_400000_NS6detail17trampoline_kernelINS0_14default_configENS1_38merge_sort_block_merge_config_selectorIslEEZZNS1_27merge_sort_block_merge_implIS3_PsN6thrust23THRUST_200600_302600_NS10device_ptrIlEEjNS1_19radix_merge_compareILb0ELb1EsNS0_19identity_decomposerEEEEE10hipError_tT0_T1_T2_jT3_P12ihipStream_tbPNSt15iterator_traitsISG_E10value_typeEPNSM_ISH_E10value_typeEPSI_NS1_7vsmem_tEENKUlT_SG_SH_SI_E_clIS7_S7_PlSB_EESF_SV_SG_SH_SI_EUlSV_E0_NS1_11comp_targetILNS1_3genE8ELNS1_11target_archE1030ELNS1_3gpuE2ELNS1_3repE0EEENS1_38merge_mergepath_config_static_selectorELNS0_4arch9wavefront6targetE1EEEvSH_.private_seg_size, 0
	.set _ZN7rocprim17ROCPRIM_400000_NS6detail17trampoline_kernelINS0_14default_configENS1_38merge_sort_block_merge_config_selectorIslEEZZNS1_27merge_sort_block_merge_implIS3_PsN6thrust23THRUST_200600_302600_NS10device_ptrIlEEjNS1_19radix_merge_compareILb0ELb1EsNS0_19identity_decomposerEEEEE10hipError_tT0_T1_T2_jT3_P12ihipStream_tbPNSt15iterator_traitsISG_E10value_typeEPNSM_ISH_E10value_typeEPSI_NS1_7vsmem_tEENKUlT_SG_SH_SI_E_clIS7_S7_PlSB_EESF_SV_SG_SH_SI_EUlSV_E0_NS1_11comp_targetILNS1_3genE8ELNS1_11target_archE1030ELNS1_3gpuE2ELNS1_3repE0EEENS1_38merge_mergepath_config_static_selectorELNS0_4arch9wavefront6targetE1EEEvSH_.uses_vcc, 0
	.set _ZN7rocprim17ROCPRIM_400000_NS6detail17trampoline_kernelINS0_14default_configENS1_38merge_sort_block_merge_config_selectorIslEEZZNS1_27merge_sort_block_merge_implIS3_PsN6thrust23THRUST_200600_302600_NS10device_ptrIlEEjNS1_19radix_merge_compareILb0ELb1EsNS0_19identity_decomposerEEEEE10hipError_tT0_T1_T2_jT3_P12ihipStream_tbPNSt15iterator_traitsISG_E10value_typeEPNSM_ISH_E10value_typeEPSI_NS1_7vsmem_tEENKUlT_SG_SH_SI_E_clIS7_S7_PlSB_EESF_SV_SG_SH_SI_EUlSV_E0_NS1_11comp_targetILNS1_3genE8ELNS1_11target_archE1030ELNS1_3gpuE2ELNS1_3repE0EEENS1_38merge_mergepath_config_static_selectorELNS0_4arch9wavefront6targetE1EEEvSH_.uses_flat_scratch, 0
	.set _ZN7rocprim17ROCPRIM_400000_NS6detail17trampoline_kernelINS0_14default_configENS1_38merge_sort_block_merge_config_selectorIslEEZZNS1_27merge_sort_block_merge_implIS3_PsN6thrust23THRUST_200600_302600_NS10device_ptrIlEEjNS1_19radix_merge_compareILb0ELb1EsNS0_19identity_decomposerEEEEE10hipError_tT0_T1_T2_jT3_P12ihipStream_tbPNSt15iterator_traitsISG_E10value_typeEPNSM_ISH_E10value_typeEPSI_NS1_7vsmem_tEENKUlT_SG_SH_SI_E_clIS7_S7_PlSB_EESF_SV_SG_SH_SI_EUlSV_E0_NS1_11comp_targetILNS1_3genE8ELNS1_11target_archE1030ELNS1_3gpuE2ELNS1_3repE0EEENS1_38merge_mergepath_config_static_selectorELNS0_4arch9wavefront6targetE1EEEvSH_.has_dyn_sized_stack, 0
	.set _ZN7rocprim17ROCPRIM_400000_NS6detail17trampoline_kernelINS0_14default_configENS1_38merge_sort_block_merge_config_selectorIslEEZZNS1_27merge_sort_block_merge_implIS3_PsN6thrust23THRUST_200600_302600_NS10device_ptrIlEEjNS1_19radix_merge_compareILb0ELb1EsNS0_19identity_decomposerEEEEE10hipError_tT0_T1_T2_jT3_P12ihipStream_tbPNSt15iterator_traitsISG_E10value_typeEPNSM_ISH_E10value_typeEPSI_NS1_7vsmem_tEENKUlT_SG_SH_SI_E_clIS7_S7_PlSB_EESF_SV_SG_SH_SI_EUlSV_E0_NS1_11comp_targetILNS1_3genE8ELNS1_11target_archE1030ELNS1_3gpuE2ELNS1_3repE0EEENS1_38merge_mergepath_config_static_selectorELNS0_4arch9wavefront6targetE1EEEvSH_.has_recursion, 0
	.set _ZN7rocprim17ROCPRIM_400000_NS6detail17trampoline_kernelINS0_14default_configENS1_38merge_sort_block_merge_config_selectorIslEEZZNS1_27merge_sort_block_merge_implIS3_PsN6thrust23THRUST_200600_302600_NS10device_ptrIlEEjNS1_19radix_merge_compareILb0ELb1EsNS0_19identity_decomposerEEEEE10hipError_tT0_T1_T2_jT3_P12ihipStream_tbPNSt15iterator_traitsISG_E10value_typeEPNSM_ISH_E10value_typeEPSI_NS1_7vsmem_tEENKUlT_SG_SH_SI_E_clIS7_S7_PlSB_EESF_SV_SG_SH_SI_EUlSV_E0_NS1_11comp_targetILNS1_3genE8ELNS1_11target_archE1030ELNS1_3gpuE2ELNS1_3repE0EEENS1_38merge_mergepath_config_static_selectorELNS0_4arch9wavefront6targetE1EEEvSH_.has_indirect_call, 0
	.section	.AMDGPU.csdata,"",@progbits
; Kernel info:
; codeLenInByte = 0
; TotalNumSgprs: 4
; NumVgprs: 0
; ScratchSize: 0
; MemoryBound: 0
; FloatMode: 240
; IeeeMode: 1
; LDSByteSize: 0 bytes/workgroup (compile time only)
; SGPRBlocks: 0
; VGPRBlocks: 0
; NumSGPRsForWavesPerEU: 4
; NumVGPRsForWavesPerEU: 1
; Occupancy: 10
; WaveLimiterHint : 0
; COMPUTE_PGM_RSRC2:SCRATCH_EN: 0
; COMPUTE_PGM_RSRC2:USER_SGPR: 6
; COMPUTE_PGM_RSRC2:TRAP_HANDLER: 0
; COMPUTE_PGM_RSRC2:TGID_X_EN: 1
; COMPUTE_PGM_RSRC2:TGID_Y_EN: 0
; COMPUTE_PGM_RSRC2:TGID_Z_EN: 0
; COMPUTE_PGM_RSRC2:TIDIG_COMP_CNT: 0
	.section	.text._ZN7rocprim17ROCPRIM_400000_NS6detail17trampoline_kernelINS0_14default_configENS1_38merge_sort_block_merge_config_selectorIslEEZZNS1_27merge_sort_block_merge_implIS3_PsN6thrust23THRUST_200600_302600_NS10device_ptrIlEEjNS1_19radix_merge_compareILb0ELb1EsNS0_19identity_decomposerEEEEE10hipError_tT0_T1_T2_jT3_P12ihipStream_tbPNSt15iterator_traitsISG_E10value_typeEPNSM_ISH_E10value_typeEPSI_NS1_7vsmem_tEENKUlT_SG_SH_SI_E_clIS7_S7_PlSB_EESF_SV_SG_SH_SI_EUlSV_E1_NS1_11comp_targetILNS1_3genE0ELNS1_11target_archE4294967295ELNS1_3gpuE0ELNS1_3repE0EEENS1_36merge_oddeven_config_static_selectorELNS0_4arch9wavefront6targetE1EEEvSH_,"axG",@progbits,_ZN7rocprim17ROCPRIM_400000_NS6detail17trampoline_kernelINS0_14default_configENS1_38merge_sort_block_merge_config_selectorIslEEZZNS1_27merge_sort_block_merge_implIS3_PsN6thrust23THRUST_200600_302600_NS10device_ptrIlEEjNS1_19radix_merge_compareILb0ELb1EsNS0_19identity_decomposerEEEEE10hipError_tT0_T1_T2_jT3_P12ihipStream_tbPNSt15iterator_traitsISG_E10value_typeEPNSM_ISH_E10value_typeEPSI_NS1_7vsmem_tEENKUlT_SG_SH_SI_E_clIS7_S7_PlSB_EESF_SV_SG_SH_SI_EUlSV_E1_NS1_11comp_targetILNS1_3genE0ELNS1_11target_archE4294967295ELNS1_3gpuE0ELNS1_3repE0EEENS1_36merge_oddeven_config_static_selectorELNS0_4arch9wavefront6targetE1EEEvSH_,comdat
	.protected	_ZN7rocprim17ROCPRIM_400000_NS6detail17trampoline_kernelINS0_14default_configENS1_38merge_sort_block_merge_config_selectorIslEEZZNS1_27merge_sort_block_merge_implIS3_PsN6thrust23THRUST_200600_302600_NS10device_ptrIlEEjNS1_19radix_merge_compareILb0ELb1EsNS0_19identity_decomposerEEEEE10hipError_tT0_T1_T2_jT3_P12ihipStream_tbPNSt15iterator_traitsISG_E10value_typeEPNSM_ISH_E10value_typeEPSI_NS1_7vsmem_tEENKUlT_SG_SH_SI_E_clIS7_S7_PlSB_EESF_SV_SG_SH_SI_EUlSV_E1_NS1_11comp_targetILNS1_3genE0ELNS1_11target_archE4294967295ELNS1_3gpuE0ELNS1_3repE0EEENS1_36merge_oddeven_config_static_selectorELNS0_4arch9wavefront6targetE1EEEvSH_ ; -- Begin function _ZN7rocprim17ROCPRIM_400000_NS6detail17trampoline_kernelINS0_14default_configENS1_38merge_sort_block_merge_config_selectorIslEEZZNS1_27merge_sort_block_merge_implIS3_PsN6thrust23THRUST_200600_302600_NS10device_ptrIlEEjNS1_19radix_merge_compareILb0ELb1EsNS0_19identity_decomposerEEEEE10hipError_tT0_T1_T2_jT3_P12ihipStream_tbPNSt15iterator_traitsISG_E10value_typeEPNSM_ISH_E10value_typeEPSI_NS1_7vsmem_tEENKUlT_SG_SH_SI_E_clIS7_S7_PlSB_EESF_SV_SG_SH_SI_EUlSV_E1_NS1_11comp_targetILNS1_3genE0ELNS1_11target_archE4294967295ELNS1_3gpuE0ELNS1_3repE0EEENS1_36merge_oddeven_config_static_selectorELNS0_4arch9wavefront6targetE1EEEvSH_
	.globl	_ZN7rocprim17ROCPRIM_400000_NS6detail17trampoline_kernelINS0_14default_configENS1_38merge_sort_block_merge_config_selectorIslEEZZNS1_27merge_sort_block_merge_implIS3_PsN6thrust23THRUST_200600_302600_NS10device_ptrIlEEjNS1_19radix_merge_compareILb0ELb1EsNS0_19identity_decomposerEEEEE10hipError_tT0_T1_T2_jT3_P12ihipStream_tbPNSt15iterator_traitsISG_E10value_typeEPNSM_ISH_E10value_typeEPSI_NS1_7vsmem_tEENKUlT_SG_SH_SI_E_clIS7_S7_PlSB_EESF_SV_SG_SH_SI_EUlSV_E1_NS1_11comp_targetILNS1_3genE0ELNS1_11target_archE4294967295ELNS1_3gpuE0ELNS1_3repE0EEENS1_36merge_oddeven_config_static_selectorELNS0_4arch9wavefront6targetE1EEEvSH_
	.p2align	8
	.type	_ZN7rocprim17ROCPRIM_400000_NS6detail17trampoline_kernelINS0_14default_configENS1_38merge_sort_block_merge_config_selectorIslEEZZNS1_27merge_sort_block_merge_implIS3_PsN6thrust23THRUST_200600_302600_NS10device_ptrIlEEjNS1_19radix_merge_compareILb0ELb1EsNS0_19identity_decomposerEEEEE10hipError_tT0_T1_T2_jT3_P12ihipStream_tbPNSt15iterator_traitsISG_E10value_typeEPNSM_ISH_E10value_typeEPSI_NS1_7vsmem_tEENKUlT_SG_SH_SI_E_clIS7_S7_PlSB_EESF_SV_SG_SH_SI_EUlSV_E1_NS1_11comp_targetILNS1_3genE0ELNS1_11target_archE4294967295ELNS1_3gpuE0ELNS1_3repE0EEENS1_36merge_oddeven_config_static_selectorELNS0_4arch9wavefront6targetE1EEEvSH_,@function
_ZN7rocprim17ROCPRIM_400000_NS6detail17trampoline_kernelINS0_14default_configENS1_38merge_sort_block_merge_config_selectorIslEEZZNS1_27merge_sort_block_merge_implIS3_PsN6thrust23THRUST_200600_302600_NS10device_ptrIlEEjNS1_19radix_merge_compareILb0ELb1EsNS0_19identity_decomposerEEEEE10hipError_tT0_T1_T2_jT3_P12ihipStream_tbPNSt15iterator_traitsISG_E10value_typeEPNSM_ISH_E10value_typeEPSI_NS1_7vsmem_tEENKUlT_SG_SH_SI_E_clIS7_S7_PlSB_EESF_SV_SG_SH_SI_EUlSV_E1_NS1_11comp_targetILNS1_3genE0ELNS1_11target_archE4294967295ELNS1_3gpuE0ELNS1_3repE0EEENS1_36merge_oddeven_config_static_selectorELNS0_4arch9wavefront6targetE1EEEvSH_: ; @_ZN7rocprim17ROCPRIM_400000_NS6detail17trampoline_kernelINS0_14default_configENS1_38merge_sort_block_merge_config_selectorIslEEZZNS1_27merge_sort_block_merge_implIS3_PsN6thrust23THRUST_200600_302600_NS10device_ptrIlEEjNS1_19radix_merge_compareILb0ELb1EsNS0_19identity_decomposerEEEEE10hipError_tT0_T1_T2_jT3_P12ihipStream_tbPNSt15iterator_traitsISG_E10value_typeEPNSM_ISH_E10value_typeEPSI_NS1_7vsmem_tEENKUlT_SG_SH_SI_E_clIS7_S7_PlSB_EESF_SV_SG_SH_SI_EUlSV_E1_NS1_11comp_targetILNS1_3genE0ELNS1_11target_archE4294967295ELNS1_3gpuE0ELNS1_3repE0EEENS1_36merge_oddeven_config_static_selectorELNS0_4arch9wavefront6targetE1EEEvSH_
; %bb.0:
	.section	.rodata,"a",@progbits
	.p2align	6, 0x0
	.amdhsa_kernel _ZN7rocprim17ROCPRIM_400000_NS6detail17trampoline_kernelINS0_14default_configENS1_38merge_sort_block_merge_config_selectorIslEEZZNS1_27merge_sort_block_merge_implIS3_PsN6thrust23THRUST_200600_302600_NS10device_ptrIlEEjNS1_19radix_merge_compareILb0ELb1EsNS0_19identity_decomposerEEEEE10hipError_tT0_T1_T2_jT3_P12ihipStream_tbPNSt15iterator_traitsISG_E10value_typeEPNSM_ISH_E10value_typeEPSI_NS1_7vsmem_tEENKUlT_SG_SH_SI_E_clIS7_S7_PlSB_EESF_SV_SG_SH_SI_EUlSV_E1_NS1_11comp_targetILNS1_3genE0ELNS1_11target_archE4294967295ELNS1_3gpuE0ELNS1_3repE0EEENS1_36merge_oddeven_config_static_selectorELNS0_4arch9wavefront6targetE1EEEvSH_
		.amdhsa_group_segment_fixed_size 0
		.amdhsa_private_segment_fixed_size 0
		.amdhsa_kernarg_size 48
		.amdhsa_user_sgpr_count 6
		.amdhsa_user_sgpr_private_segment_buffer 1
		.amdhsa_user_sgpr_dispatch_ptr 0
		.amdhsa_user_sgpr_queue_ptr 0
		.amdhsa_user_sgpr_kernarg_segment_ptr 1
		.amdhsa_user_sgpr_dispatch_id 0
		.amdhsa_user_sgpr_flat_scratch_init 0
		.amdhsa_user_sgpr_private_segment_size 0
		.amdhsa_uses_dynamic_stack 0
		.amdhsa_system_sgpr_private_segment_wavefront_offset 0
		.amdhsa_system_sgpr_workgroup_id_x 1
		.amdhsa_system_sgpr_workgroup_id_y 0
		.amdhsa_system_sgpr_workgroup_id_z 0
		.amdhsa_system_sgpr_workgroup_info 0
		.amdhsa_system_vgpr_workitem_id 0
		.amdhsa_next_free_vgpr 1
		.amdhsa_next_free_sgpr 0
		.amdhsa_reserve_vcc 0
		.amdhsa_reserve_flat_scratch 0
		.amdhsa_float_round_mode_32 0
		.amdhsa_float_round_mode_16_64 0
		.amdhsa_float_denorm_mode_32 3
		.amdhsa_float_denorm_mode_16_64 3
		.amdhsa_dx10_clamp 1
		.amdhsa_ieee_mode 1
		.amdhsa_fp16_overflow 0
		.amdhsa_exception_fp_ieee_invalid_op 0
		.amdhsa_exception_fp_denorm_src 0
		.amdhsa_exception_fp_ieee_div_zero 0
		.amdhsa_exception_fp_ieee_overflow 0
		.amdhsa_exception_fp_ieee_underflow 0
		.amdhsa_exception_fp_ieee_inexact 0
		.amdhsa_exception_int_div_zero 0
	.end_amdhsa_kernel
	.section	.text._ZN7rocprim17ROCPRIM_400000_NS6detail17trampoline_kernelINS0_14default_configENS1_38merge_sort_block_merge_config_selectorIslEEZZNS1_27merge_sort_block_merge_implIS3_PsN6thrust23THRUST_200600_302600_NS10device_ptrIlEEjNS1_19radix_merge_compareILb0ELb1EsNS0_19identity_decomposerEEEEE10hipError_tT0_T1_T2_jT3_P12ihipStream_tbPNSt15iterator_traitsISG_E10value_typeEPNSM_ISH_E10value_typeEPSI_NS1_7vsmem_tEENKUlT_SG_SH_SI_E_clIS7_S7_PlSB_EESF_SV_SG_SH_SI_EUlSV_E1_NS1_11comp_targetILNS1_3genE0ELNS1_11target_archE4294967295ELNS1_3gpuE0ELNS1_3repE0EEENS1_36merge_oddeven_config_static_selectorELNS0_4arch9wavefront6targetE1EEEvSH_,"axG",@progbits,_ZN7rocprim17ROCPRIM_400000_NS6detail17trampoline_kernelINS0_14default_configENS1_38merge_sort_block_merge_config_selectorIslEEZZNS1_27merge_sort_block_merge_implIS3_PsN6thrust23THRUST_200600_302600_NS10device_ptrIlEEjNS1_19radix_merge_compareILb0ELb1EsNS0_19identity_decomposerEEEEE10hipError_tT0_T1_T2_jT3_P12ihipStream_tbPNSt15iterator_traitsISG_E10value_typeEPNSM_ISH_E10value_typeEPSI_NS1_7vsmem_tEENKUlT_SG_SH_SI_E_clIS7_S7_PlSB_EESF_SV_SG_SH_SI_EUlSV_E1_NS1_11comp_targetILNS1_3genE0ELNS1_11target_archE4294967295ELNS1_3gpuE0ELNS1_3repE0EEENS1_36merge_oddeven_config_static_selectorELNS0_4arch9wavefront6targetE1EEEvSH_,comdat
.Lfunc_end1348:
	.size	_ZN7rocprim17ROCPRIM_400000_NS6detail17trampoline_kernelINS0_14default_configENS1_38merge_sort_block_merge_config_selectorIslEEZZNS1_27merge_sort_block_merge_implIS3_PsN6thrust23THRUST_200600_302600_NS10device_ptrIlEEjNS1_19radix_merge_compareILb0ELb1EsNS0_19identity_decomposerEEEEE10hipError_tT0_T1_T2_jT3_P12ihipStream_tbPNSt15iterator_traitsISG_E10value_typeEPNSM_ISH_E10value_typeEPSI_NS1_7vsmem_tEENKUlT_SG_SH_SI_E_clIS7_S7_PlSB_EESF_SV_SG_SH_SI_EUlSV_E1_NS1_11comp_targetILNS1_3genE0ELNS1_11target_archE4294967295ELNS1_3gpuE0ELNS1_3repE0EEENS1_36merge_oddeven_config_static_selectorELNS0_4arch9wavefront6targetE1EEEvSH_, .Lfunc_end1348-_ZN7rocprim17ROCPRIM_400000_NS6detail17trampoline_kernelINS0_14default_configENS1_38merge_sort_block_merge_config_selectorIslEEZZNS1_27merge_sort_block_merge_implIS3_PsN6thrust23THRUST_200600_302600_NS10device_ptrIlEEjNS1_19radix_merge_compareILb0ELb1EsNS0_19identity_decomposerEEEEE10hipError_tT0_T1_T2_jT3_P12ihipStream_tbPNSt15iterator_traitsISG_E10value_typeEPNSM_ISH_E10value_typeEPSI_NS1_7vsmem_tEENKUlT_SG_SH_SI_E_clIS7_S7_PlSB_EESF_SV_SG_SH_SI_EUlSV_E1_NS1_11comp_targetILNS1_3genE0ELNS1_11target_archE4294967295ELNS1_3gpuE0ELNS1_3repE0EEENS1_36merge_oddeven_config_static_selectorELNS0_4arch9wavefront6targetE1EEEvSH_
                                        ; -- End function
	.set _ZN7rocprim17ROCPRIM_400000_NS6detail17trampoline_kernelINS0_14default_configENS1_38merge_sort_block_merge_config_selectorIslEEZZNS1_27merge_sort_block_merge_implIS3_PsN6thrust23THRUST_200600_302600_NS10device_ptrIlEEjNS1_19radix_merge_compareILb0ELb1EsNS0_19identity_decomposerEEEEE10hipError_tT0_T1_T2_jT3_P12ihipStream_tbPNSt15iterator_traitsISG_E10value_typeEPNSM_ISH_E10value_typeEPSI_NS1_7vsmem_tEENKUlT_SG_SH_SI_E_clIS7_S7_PlSB_EESF_SV_SG_SH_SI_EUlSV_E1_NS1_11comp_targetILNS1_3genE0ELNS1_11target_archE4294967295ELNS1_3gpuE0ELNS1_3repE0EEENS1_36merge_oddeven_config_static_selectorELNS0_4arch9wavefront6targetE1EEEvSH_.num_vgpr, 0
	.set _ZN7rocprim17ROCPRIM_400000_NS6detail17trampoline_kernelINS0_14default_configENS1_38merge_sort_block_merge_config_selectorIslEEZZNS1_27merge_sort_block_merge_implIS3_PsN6thrust23THRUST_200600_302600_NS10device_ptrIlEEjNS1_19radix_merge_compareILb0ELb1EsNS0_19identity_decomposerEEEEE10hipError_tT0_T1_T2_jT3_P12ihipStream_tbPNSt15iterator_traitsISG_E10value_typeEPNSM_ISH_E10value_typeEPSI_NS1_7vsmem_tEENKUlT_SG_SH_SI_E_clIS7_S7_PlSB_EESF_SV_SG_SH_SI_EUlSV_E1_NS1_11comp_targetILNS1_3genE0ELNS1_11target_archE4294967295ELNS1_3gpuE0ELNS1_3repE0EEENS1_36merge_oddeven_config_static_selectorELNS0_4arch9wavefront6targetE1EEEvSH_.num_agpr, 0
	.set _ZN7rocprim17ROCPRIM_400000_NS6detail17trampoline_kernelINS0_14default_configENS1_38merge_sort_block_merge_config_selectorIslEEZZNS1_27merge_sort_block_merge_implIS3_PsN6thrust23THRUST_200600_302600_NS10device_ptrIlEEjNS1_19radix_merge_compareILb0ELb1EsNS0_19identity_decomposerEEEEE10hipError_tT0_T1_T2_jT3_P12ihipStream_tbPNSt15iterator_traitsISG_E10value_typeEPNSM_ISH_E10value_typeEPSI_NS1_7vsmem_tEENKUlT_SG_SH_SI_E_clIS7_S7_PlSB_EESF_SV_SG_SH_SI_EUlSV_E1_NS1_11comp_targetILNS1_3genE0ELNS1_11target_archE4294967295ELNS1_3gpuE0ELNS1_3repE0EEENS1_36merge_oddeven_config_static_selectorELNS0_4arch9wavefront6targetE1EEEvSH_.numbered_sgpr, 0
	.set _ZN7rocprim17ROCPRIM_400000_NS6detail17trampoline_kernelINS0_14default_configENS1_38merge_sort_block_merge_config_selectorIslEEZZNS1_27merge_sort_block_merge_implIS3_PsN6thrust23THRUST_200600_302600_NS10device_ptrIlEEjNS1_19radix_merge_compareILb0ELb1EsNS0_19identity_decomposerEEEEE10hipError_tT0_T1_T2_jT3_P12ihipStream_tbPNSt15iterator_traitsISG_E10value_typeEPNSM_ISH_E10value_typeEPSI_NS1_7vsmem_tEENKUlT_SG_SH_SI_E_clIS7_S7_PlSB_EESF_SV_SG_SH_SI_EUlSV_E1_NS1_11comp_targetILNS1_3genE0ELNS1_11target_archE4294967295ELNS1_3gpuE0ELNS1_3repE0EEENS1_36merge_oddeven_config_static_selectorELNS0_4arch9wavefront6targetE1EEEvSH_.num_named_barrier, 0
	.set _ZN7rocprim17ROCPRIM_400000_NS6detail17trampoline_kernelINS0_14default_configENS1_38merge_sort_block_merge_config_selectorIslEEZZNS1_27merge_sort_block_merge_implIS3_PsN6thrust23THRUST_200600_302600_NS10device_ptrIlEEjNS1_19radix_merge_compareILb0ELb1EsNS0_19identity_decomposerEEEEE10hipError_tT0_T1_T2_jT3_P12ihipStream_tbPNSt15iterator_traitsISG_E10value_typeEPNSM_ISH_E10value_typeEPSI_NS1_7vsmem_tEENKUlT_SG_SH_SI_E_clIS7_S7_PlSB_EESF_SV_SG_SH_SI_EUlSV_E1_NS1_11comp_targetILNS1_3genE0ELNS1_11target_archE4294967295ELNS1_3gpuE0ELNS1_3repE0EEENS1_36merge_oddeven_config_static_selectorELNS0_4arch9wavefront6targetE1EEEvSH_.private_seg_size, 0
	.set _ZN7rocprim17ROCPRIM_400000_NS6detail17trampoline_kernelINS0_14default_configENS1_38merge_sort_block_merge_config_selectorIslEEZZNS1_27merge_sort_block_merge_implIS3_PsN6thrust23THRUST_200600_302600_NS10device_ptrIlEEjNS1_19radix_merge_compareILb0ELb1EsNS0_19identity_decomposerEEEEE10hipError_tT0_T1_T2_jT3_P12ihipStream_tbPNSt15iterator_traitsISG_E10value_typeEPNSM_ISH_E10value_typeEPSI_NS1_7vsmem_tEENKUlT_SG_SH_SI_E_clIS7_S7_PlSB_EESF_SV_SG_SH_SI_EUlSV_E1_NS1_11comp_targetILNS1_3genE0ELNS1_11target_archE4294967295ELNS1_3gpuE0ELNS1_3repE0EEENS1_36merge_oddeven_config_static_selectorELNS0_4arch9wavefront6targetE1EEEvSH_.uses_vcc, 0
	.set _ZN7rocprim17ROCPRIM_400000_NS6detail17trampoline_kernelINS0_14default_configENS1_38merge_sort_block_merge_config_selectorIslEEZZNS1_27merge_sort_block_merge_implIS3_PsN6thrust23THRUST_200600_302600_NS10device_ptrIlEEjNS1_19radix_merge_compareILb0ELb1EsNS0_19identity_decomposerEEEEE10hipError_tT0_T1_T2_jT3_P12ihipStream_tbPNSt15iterator_traitsISG_E10value_typeEPNSM_ISH_E10value_typeEPSI_NS1_7vsmem_tEENKUlT_SG_SH_SI_E_clIS7_S7_PlSB_EESF_SV_SG_SH_SI_EUlSV_E1_NS1_11comp_targetILNS1_3genE0ELNS1_11target_archE4294967295ELNS1_3gpuE0ELNS1_3repE0EEENS1_36merge_oddeven_config_static_selectorELNS0_4arch9wavefront6targetE1EEEvSH_.uses_flat_scratch, 0
	.set _ZN7rocprim17ROCPRIM_400000_NS6detail17trampoline_kernelINS0_14default_configENS1_38merge_sort_block_merge_config_selectorIslEEZZNS1_27merge_sort_block_merge_implIS3_PsN6thrust23THRUST_200600_302600_NS10device_ptrIlEEjNS1_19radix_merge_compareILb0ELb1EsNS0_19identity_decomposerEEEEE10hipError_tT0_T1_T2_jT3_P12ihipStream_tbPNSt15iterator_traitsISG_E10value_typeEPNSM_ISH_E10value_typeEPSI_NS1_7vsmem_tEENKUlT_SG_SH_SI_E_clIS7_S7_PlSB_EESF_SV_SG_SH_SI_EUlSV_E1_NS1_11comp_targetILNS1_3genE0ELNS1_11target_archE4294967295ELNS1_3gpuE0ELNS1_3repE0EEENS1_36merge_oddeven_config_static_selectorELNS0_4arch9wavefront6targetE1EEEvSH_.has_dyn_sized_stack, 0
	.set _ZN7rocprim17ROCPRIM_400000_NS6detail17trampoline_kernelINS0_14default_configENS1_38merge_sort_block_merge_config_selectorIslEEZZNS1_27merge_sort_block_merge_implIS3_PsN6thrust23THRUST_200600_302600_NS10device_ptrIlEEjNS1_19radix_merge_compareILb0ELb1EsNS0_19identity_decomposerEEEEE10hipError_tT0_T1_T2_jT3_P12ihipStream_tbPNSt15iterator_traitsISG_E10value_typeEPNSM_ISH_E10value_typeEPSI_NS1_7vsmem_tEENKUlT_SG_SH_SI_E_clIS7_S7_PlSB_EESF_SV_SG_SH_SI_EUlSV_E1_NS1_11comp_targetILNS1_3genE0ELNS1_11target_archE4294967295ELNS1_3gpuE0ELNS1_3repE0EEENS1_36merge_oddeven_config_static_selectorELNS0_4arch9wavefront6targetE1EEEvSH_.has_recursion, 0
	.set _ZN7rocprim17ROCPRIM_400000_NS6detail17trampoline_kernelINS0_14default_configENS1_38merge_sort_block_merge_config_selectorIslEEZZNS1_27merge_sort_block_merge_implIS3_PsN6thrust23THRUST_200600_302600_NS10device_ptrIlEEjNS1_19radix_merge_compareILb0ELb1EsNS0_19identity_decomposerEEEEE10hipError_tT0_T1_T2_jT3_P12ihipStream_tbPNSt15iterator_traitsISG_E10value_typeEPNSM_ISH_E10value_typeEPSI_NS1_7vsmem_tEENKUlT_SG_SH_SI_E_clIS7_S7_PlSB_EESF_SV_SG_SH_SI_EUlSV_E1_NS1_11comp_targetILNS1_3genE0ELNS1_11target_archE4294967295ELNS1_3gpuE0ELNS1_3repE0EEENS1_36merge_oddeven_config_static_selectorELNS0_4arch9wavefront6targetE1EEEvSH_.has_indirect_call, 0
	.section	.AMDGPU.csdata,"",@progbits
; Kernel info:
; codeLenInByte = 0
; TotalNumSgprs: 4
; NumVgprs: 0
; ScratchSize: 0
; MemoryBound: 0
; FloatMode: 240
; IeeeMode: 1
; LDSByteSize: 0 bytes/workgroup (compile time only)
; SGPRBlocks: 0
; VGPRBlocks: 0
; NumSGPRsForWavesPerEU: 4
; NumVGPRsForWavesPerEU: 1
; Occupancy: 10
; WaveLimiterHint : 0
; COMPUTE_PGM_RSRC2:SCRATCH_EN: 0
; COMPUTE_PGM_RSRC2:USER_SGPR: 6
; COMPUTE_PGM_RSRC2:TRAP_HANDLER: 0
; COMPUTE_PGM_RSRC2:TGID_X_EN: 1
; COMPUTE_PGM_RSRC2:TGID_Y_EN: 0
; COMPUTE_PGM_RSRC2:TGID_Z_EN: 0
; COMPUTE_PGM_RSRC2:TIDIG_COMP_CNT: 0
	.section	.text._ZN7rocprim17ROCPRIM_400000_NS6detail17trampoline_kernelINS0_14default_configENS1_38merge_sort_block_merge_config_selectorIslEEZZNS1_27merge_sort_block_merge_implIS3_PsN6thrust23THRUST_200600_302600_NS10device_ptrIlEEjNS1_19radix_merge_compareILb0ELb1EsNS0_19identity_decomposerEEEEE10hipError_tT0_T1_T2_jT3_P12ihipStream_tbPNSt15iterator_traitsISG_E10value_typeEPNSM_ISH_E10value_typeEPSI_NS1_7vsmem_tEENKUlT_SG_SH_SI_E_clIS7_S7_PlSB_EESF_SV_SG_SH_SI_EUlSV_E1_NS1_11comp_targetILNS1_3genE10ELNS1_11target_archE1201ELNS1_3gpuE5ELNS1_3repE0EEENS1_36merge_oddeven_config_static_selectorELNS0_4arch9wavefront6targetE1EEEvSH_,"axG",@progbits,_ZN7rocprim17ROCPRIM_400000_NS6detail17trampoline_kernelINS0_14default_configENS1_38merge_sort_block_merge_config_selectorIslEEZZNS1_27merge_sort_block_merge_implIS3_PsN6thrust23THRUST_200600_302600_NS10device_ptrIlEEjNS1_19radix_merge_compareILb0ELb1EsNS0_19identity_decomposerEEEEE10hipError_tT0_T1_T2_jT3_P12ihipStream_tbPNSt15iterator_traitsISG_E10value_typeEPNSM_ISH_E10value_typeEPSI_NS1_7vsmem_tEENKUlT_SG_SH_SI_E_clIS7_S7_PlSB_EESF_SV_SG_SH_SI_EUlSV_E1_NS1_11comp_targetILNS1_3genE10ELNS1_11target_archE1201ELNS1_3gpuE5ELNS1_3repE0EEENS1_36merge_oddeven_config_static_selectorELNS0_4arch9wavefront6targetE1EEEvSH_,comdat
	.protected	_ZN7rocprim17ROCPRIM_400000_NS6detail17trampoline_kernelINS0_14default_configENS1_38merge_sort_block_merge_config_selectorIslEEZZNS1_27merge_sort_block_merge_implIS3_PsN6thrust23THRUST_200600_302600_NS10device_ptrIlEEjNS1_19radix_merge_compareILb0ELb1EsNS0_19identity_decomposerEEEEE10hipError_tT0_T1_T2_jT3_P12ihipStream_tbPNSt15iterator_traitsISG_E10value_typeEPNSM_ISH_E10value_typeEPSI_NS1_7vsmem_tEENKUlT_SG_SH_SI_E_clIS7_S7_PlSB_EESF_SV_SG_SH_SI_EUlSV_E1_NS1_11comp_targetILNS1_3genE10ELNS1_11target_archE1201ELNS1_3gpuE5ELNS1_3repE0EEENS1_36merge_oddeven_config_static_selectorELNS0_4arch9wavefront6targetE1EEEvSH_ ; -- Begin function _ZN7rocprim17ROCPRIM_400000_NS6detail17trampoline_kernelINS0_14default_configENS1_38merge_sort_block_merge_config_selectorIslEEZZNS1_27merge_sort_block_merge_implIS3_PsN6thrust23THRUST_200600_302600_NS10device_ptrIlEEjNS1_19radix_merge_compareILb0ELb1EsNS0_19identity_decomposerEEEEE10hipError_tT0_T1_T2_jT3_P12ihipStream_tbPNSt15iterator_traitsISG_E10value_typeEPNSM_ISH_E10value_typeEPSI_NS1_7vsmem_tEENKUlT_SG_SH_SI_E_clIS7_S7_PlSB_EESF_SV_SG_SH_SI_EUlSV_E1_NS1_11comp_targetILNS1_3genE10ELNS1_11target_archE1201ELNS1_3gpuE5ELNS1_3repE0EEENS1_36merge_oddeven_config_static_selectorELNS0_4arch9wavefront6targetE1EEEvSH_
	.globl	_ZN7rocprim17ROCPRIM_400000_NS6detail17trampoline_kernelINS0_14default_configENS1_38merge_sort_block_merge_config_selectorIslEEZZNS1_27merge_sort_block_merge_implIS3_PsN6thrust23THRUST_200600_302600_NS10device_ptrIlEEjNS1_19radix_merge_compareILb0ELb1EsNS0_19identity_decomposerEEEEE10hipError_tT0_T1_T2_jT3_P12ihipStream_tbPNSt15iterator_traitsISG_E10value_typeEPNSM_ISH_E10value_typeEPSI_NS1_7vsmem_tEENKUlT_SG_SH_SI_E_clIS7_S7_PlSB_EESF_SV_SG_SH_SI_EUlSV_E1_NS1_11comp_targetILNS1_3genE10ELNS1_11target_archE1201ELNS1_3gpuE5ELNS1_3repE0EEENS1_36merge_oddeven_config_static_selectorELNS0_4arch9wavefront6targetE1EEEvSH_
	.p2align	8
	.type	_ZN7rocprim17ROCPRIM_400000_NS6detail17trampoline_kernelINS0_14default_configENS1_38merge_sort_block_merge_config_selectorIslEEZZNS1_27merge_sort_block_merge_implIS3_PsN6thrust23THRUST_200600_302600_NS10device_ptrIlEEjNS1_19radix_merge_compareILb0ELb1EsNS0_19identity_decomposerEEEEE10hipError_tT0_T1_T2_jT3_P12ihipStream_tbPNSt15iterator_traitsISG_E10value_typeEPNSM_ISH_E10value_typeEPSI_NS1_7vsmem_tEENKUlT_SG_SH_SI_E_clIS7_S7_PlSB_EESF_SV_SG_SH_SI_EUlSV_E1_NS1_11comp_targetILNS1_3genE10ELNS1_11target_archE1201ELNS1_3gpuE5ELNS1_3repE0EEENS1_36merge_oddeven_config_static_selectorELNS0_4arch9wavefront6targetE1EEEvSH_,@function
_ZN7rocprim17ROCPRIM_400000_NS6detail17trampoline_kernelINS0_14default_configENS1_38merge_sort_block_merge_config_selectorIslEEZZNS1_27merge_sort_block_merge_implIS3_PsN6thrust23THRUST_200600_302600_NS10device_ptrIlEEjNS1_19radix_merge_compareILb0ELb1EsNS0_19identity_decomposerEEEEE10hipError_tT0_T1_T2_jT3_P12ihipStream_tbPNSt15iterator_traitsISG_E10value_typeEPNSM_ISH_E10value_typeEPSI_NS1_7vsmem_tEENKUlT_SG_SH_SI_E_clIS7_S7_PlSB_EESF_SV_SG_SH_SI_EUlSV_E1_NS1_11comp_targetILNS1_3genE10ELNS1_11target_archE1201ELNS1_3gpuE5ELNS1_3repE0EEENS1_36merge_oddeven_config_static_selectorELNS0_4arch9wavefront6targetE1EEEvSH_: ; @_ZN7rocprim17ROCPRIM_400000_NS6detail17trampoline_kernelINS0_14default_configENS1_38merge_sort_block_merge_config_selectorIslEEZZNS1_27merge_sort_block_merge_implIS3_PsN6thrust23THRUST_200600_302600_NS10device_ptrIlEEjNS1_19radix_merge_compareILb0ELb1EsNS0_19identity_decomposerEEEEE10hipError_tT0_T1_T2_jT3_P12ihipStream_tbPNSt15iterator_traitsISG_E10value_typeEPNSM_ISH_E10value_typeEPSI_NS1_7vsmem_tEENKUlT_SG_SH_SI_E_clIS7_S7_PlSB_EESF_SV_SG_SH_SI_EUlSV_E1_NS1_11comp_targetILNS1_3genE10ELNS1_11target_archE1201ELNS1_3gpuE5ELNS1_3repE0EEENS1_36merge_oddeven_config_static_selectorELNS0_4arch9wavefront6targetE1EEEvSH_
; %bb.0:
	.section	.rodata,"a",@progbits
	.p2align	6, 0x0
	.amdhsa_kernel _ZN7rocprim17ROCPRIM_400000_NS6detail17trampoline_kernelINS0_14default_configENS1_38merge_sort_block_merge_config_selectorIslEEZZNS1_27merge_sort_block_merge_implIS3_PsN6thrust23THRUST_200600_302600_NS10device_ptrIlEEjNS1_19radix_merge_compareILb0ELb1EsNS0_19identity_decomposerEEEEE10hipError_tT0_T1_T2_jT3_P12ihipStream_tbPNSt15iterator_traitsISG_E10value_typeEPNSM_ISH_E10value_typeEPSI_NS1_7vsmem_tEENKUlT_SG_SH_SI_E_clIS7_S7_PlSB_EESF_SV_SG_SH_SI_EUlSV_E1_NS1_11comp_targetILNS1_3genE10ELNS1_11target_archE1201ELNS1_3gpuE5ELNS1_3repE0EEENS1_36merge_oddeven_config_static_selectorELNS0_4arch9wavefront6targetE1EEEvSH_
		.amdhsa_group_segment_fixed_size 0
		.amdhsa_private_segment_fixed_size 0
		.amdhsa_kernarg_size 48
		.amdhsa_user_sgpr_count 6
		.amdhsa_user_sgpr_private_segment_buffer 1
		.amdhsa_user_sgpr_dispatch_ptr 0
		.amdhsa_user_sgpr_queue_ptr 0
		.amdhsa_user_sgpr_kernarg_segment_ptr 1
		.amdhsa_user_sgpr_dispatch_id 0
		.amdhsa_user_sgpr_flat_scratch_init 0
		.amdhsa_user_sgpr_private_segment_size 0
		.amdhsa_uses_dynamic_stack 0
		.amdhsa_system_sgpr_private_segment_wavefront_offset 0
		.amdhsa_system_sgpr_workgroup_id_x 1
		.amdhsa_system_sgpr_workgroup_id_y 0
		.amdhsa_system_sgpr_workgroup_id_z 0
		.amdhsa_system_sgpr_workgroup_info 0
		.amdhsa_system_vgpr_workitem_id 0
		.amdhsa_next_free_vgpr 1
		.amdhsa_next_free_sgpr 0
		.amdhsa_reserve_vcc 0
		.amdhsa_reserve_flat_scratch 0
		.amdhsa_float_round_mode_32 0
		.amdhsa_float_round_mode_16_64 0
		.amdhsa_float_denorm_mode_32 3
		.amdhsa_float_denorm_mode_16_64 3
		.amdhsa_dx10_clamp 1
		.amdhsa_ieee_mode 1
		.amdhsa_fp16_overflow 0
		.amdhsa_exception_fp_ieee_invalid_op 0
		.amdhsa_exception_fp_denorm_src 0
		.amdhsa_exception_fp_ieee_div_zero 0
		.amdhsa_exception_fp_ieee_overflow 0
		.amdhsa_exception_fp_ieee_underflow 0
		.amdhsa_exception_fp_ieee_inexact 0
		.amdhsa_exception_int_div_zero 0
	.end_amdhsa_kernel
	.section	.text._ZN7rocprim17ROCPRIM_400000_NS6detail17trampoline_kernelINS0_14default_configENS1_38merge_sort_block_merge_config_selectorIslEEZZNS1_27merge_sort_block_merge_implIS3_PsN6thrust23THRUST_200600_302600_NS10device_ptrIlEEjNS1_19radix_merge_compareILb0ELb1EsNS0_19identity_decomposerEEEEE10hipError_tT0_T1_T2_jT3_P12ihipStream_tbPNSt15iterator_traitsISG_E10value_typeEPNSM_ISH_E10value_typeEPSI_NS1_7vsmem_tEENKUlT_SG_SH_SI_E_clIS7_S7_PlSB_EESF_SV_SG_SH_SI_EUlSV_E1_NS1_11comp_targetILNS1_3genE10ELNS1_11target_archE1201ELNS1_3gpuE5ELNS1_3repE0EEENS1_36merge_oddeven_config_static_selectorELNS0_4arch9wavefront6targetE1EEEvSH_,"axG",@progbits,_ZN7rocprim17ROCPRIM_400000_NS6detail17trampoline_kernelINS0_14default_configENS1_38merge_sort_block_merge_config_selectorIslEEZZNS1_27merge_sort_block_merge_implIS3_PsN6thrust23THRUST_200600_302600_NS10device_ptrIlEEjNS1_19radix_merge_compareILb0ELb1EsNS0_19identity_decomposerEEEEE10hipError_tT0_T1_T2_jT3_P12ihipStream_tbPNSt15iterator_traitsISG_E10value_typeEPNSM_ISH_E10value_typeEPSI_NS1_7vsmem_tEENKUlT_SG_SH_SI_E_clIS7_S7_PlSB_EESF_SV_SG_SH_SI_EUlSV_E1_NS1_11comp_targetILNS1_3genE10ELNS1_11target_archE1201ELNS1_3gpuE5ELNS1_3repE0EEENS1_36merge_oddeven_config_static_selectorELNS0_4arch9wavefront6targetE1EEEvSH_,comdat
.Lfunc_end1349:
	.size	_ZN7rocprim17ROCPRIM_400000_NS6detail17trampoline_kernelINS0_14default_configENS1_38merge_sort_block_merge_config_selectorIslEEZZNS1_27merge_sort_block_merge_implIS3_PsN6thrust23THRUST_200600_302600_NS10device_ptrIlEEjNS1_19radix_merge_compareILb0ELb1EsNS0_19identity_decomposerEEEEE10hipError_tT0_T1_T2_jT3_P12ihipStream_tbPNSt15iterator_traitsISG_E10value_typeEPNSM_ISH_E10value_typeEPSI_NS1_7vsmem_tEENKUlT_SG_SH_SI_E_clIS7_S7_PlSB_EESF_SV_SG_SH_SI_EUlSV_E1_NS1_11comp_targetILNS1_3genE10ELNS1_11target_archE1201ELNS1_3gpuE5ELNS1_3repE0EEENS1_36merge_oddeven_config_static_selectorELNS0_4arch9wavefront6targetE1EEEvSH_, .Lfunc_end1349-_ZN7rocprim17ROCPRIM_400000_NS6detail17trampoline_kernelINS0_14default_configENS1_38merge_sort_block_merge_config_selectorIslEEZZNS1_27merge_sort_block_merge_implIS3_PsN6thrust23THRUST_200600_302600_NS10device_ptrIlEEjNS1_19radix_merge_compareILb0ELb1EsNS0_19identity_decomposerEEEEE10hipError_tT0_T1_T2_jT3_P12ihipStream_tbPNSt15iterator_traitsISG_E10value_typeEPNSM_ISH_E10value_typeEPSI_NS1_7vsmem_tEENKUlT_SG_SH_SI_E_clIS7_S7_PlSB_EESF_SV_SG_SH_SI_EUlSV_E1_NS1_11comp_targetILNS1_3genE10ELNS1_11target_archE1201ELNS1_3gpuE5ELNS1_3repE0EEENS1_36merge_oddeven_config_static_selectorELNS0_4arch9wavefront6targetE1EEEvSH_
                                        ; -- End function
	.set _ZN7rocprim17ROCPRIM_400000_NS6detail17trampoline_kernelINS0_14default_configENS1_38merge_sort_block_merge_config_selectorIslEEZZNS1_27merge_sort_block_merge_implIS3_PsN6thrust23THRUST_200600_302600_NS10device_ptrIlEEjNS1_19radix_merge_compareILb0ELb1EsNS0_19identity_decomposerEEEEE10hipError_tT0_T1_T2_jT3_P12ihipStream_tbPNSt15iterator_traitsISG_E10value_typeEPNSM_ISH_E10value_typeEPSI_NS1_7vsmem_tEENKUlT_SG_SH_SI_E_clIS7_S7_PlSB_EESF_SV_SG_SH_SI_EUlSV_E1_NS1_11comp_targetILNS1_3genE10ELNS1_11target_archE1201ELNS1_3gpuE5ELNS1_3repE0EEENS1_36merge_oddeven_config_static_selectorELNS0_4arch9wavefront6targetE1EEEvSH_.num_vgpr, 0
	.set _ZN7rocprim17ROCPRIM_400000_NS6detail17trampoline_kernelINS0_14default_configENS1_38merge_sort_block_merge_config_selectorIslEEZZNS1_27merge_sort_block_merge_implIS3_PsN6thrust23THRUST_200600_302600_NS10device_ptrIlEEjNS1_19radix_merge_compareILb0ELb1EsNS0_19identity_decomposerEEEEE10hipError_tT0_T1_T2_jT3_P12ihipStream_tbPNSt15iterator_traitsISG_E10value_typeEPNSM_ISH_E10value_typeEPSI_NS1_7vsmem_tEENKUlT_SG_SH_SI_E_clIS7_S7_PlSB_EESF_SV_SG_SH_SI_EUlSV_E1_NS1_11comp_targetILNS1_3genE10ELNS1_11target_archE1201ELNS1_3gpuE5ELNS1_3repE0EEENS1_36merge_oddeven_config_static_selectorELNS0_4arch9wavefront6targetE1EEEvSH_.num_agpr, 0
	.set _ZN7rocprim17ROCPRIM_400000_NS6detail17trampoline_kernelINS0_14default_configENS1_38merge_sort_block_merge_config_selectorIslEEZZNS1_27merge_sort_block_merge_implIS3_PsN6thrust23THRUST_200600_302600_NS10device_ptrIlEEjNS1_19radix_merge_compareILb0ELb1EsNS0_19identity_decomposerEEEEE10hipError_tT0_T1_T2_jT3_P12ihipStream_tbPNSt15iterator_traitsISG_E10value_typeEPNSM_ISH_E10value_typeEPSI_NS1_7vsmem_tEENKUlT_SG_SH_SI_E_clIS7_S7_PlSB_EESF_SV_SG_SH_SI_EUlSV_E1_NS1_11comp_targetILNS1_3genE10ELNS1_11target_archE1201ELNS1_3gpuE5ELNS1_3repE0EEENS1_36merge_oddeven_config_static_selectorELNS0_4arch9wavefront6targetE1EEEvSH_.numbered_sgpr, 0
	.set _ZN7rocprim17ROCPRIM_400000_NS6detail17trampoline_kernelINS0_14default_configENS1_38merge_sort_block_merge_config_selectorIslEEZZNS1_27merge_sort_block_merge_implIS3_PsN6thrust23THRUST_200600_302600_NS10device_ptrIlEEjNS1_19radix_merge_compareILb0ELb1EsNS0_19identity_decomposerEEEEE10hipError_tT0_T1_T2_jT3_P12ihipStream_tbPNSt15iterator_traitsISG_E10value_typeEPNSM_ISH_E10value_typeEPSI_NS1_7vsmem_tEENKUlT_SG_SH_SI_E_clIS7_S7_PlSB_EESF_SV_SG_SH_SI_EUlSV_E1_NS1_11comp_targetILNS1_3genE10ELNS1_11target_archE1201ELNS1_3gpuE5ELNS1_3repE0EEENS1_36merge_oddeven_config_static_selectorELNS0_4arch9wavefront6targetE1EEEvSH_.num_named_barrier, 0
	.set _ZN7rocprim17ROCPRIM_400000_NS6detail17trampoline_kernelINS0_14default_configENS1_38merge_sort_block_merge_config_selectorIslEEZZNS1_27merge_sort_block_merge_implIS3_PsN6thrust23THRUST_200600_302600_NS10device_ptrIlEEjNS1_19radix_merge_compareILb0ELb1EsNS0_19identity_decomposerEEEEE10hipError_tT0_T1_T2_jT3_P12ihipStream_tbPNSt15iterator_traitsISG_E10value_typeEPNSM_ISH_E10value_typeEPSI_NS1_7vsmem_tEENKUlT_SG_SH_SI_E_clIS7_S7_PlSB_EESF_SV_SG_SH_SI_EUlSV_E1_NS1_11comp_targetILNS1_3genE10ELNS1_11target_archE1201ELNS1_3gpuE5ELNS1_3repE0EEENS1_36merge_oddeven_config_static_selectorELNS0_4arch9wavefront6targetE1EEEvSH_.private_seg_size, 0
	.set _ZN7rocprim17ROCPRIM_400000_NS6detail17trampoline_kernelINS0_14default_configENS1_38merge_sort_block_merge_config_selectorIslEEZZNS1_27merge_sort_block_merge_implIS3_PsN6thrust23THRUST_200600_302600_NS10device_ptrIlEEjNS1_19radix_merge_compareILb0ELb1EsNS0_19identity_decomposerEEEEE10hipError_tT0_T1_T2_jT3_P12ihipStream_tbPNSt15iterator_traitsISG_E10value_typeEPNSM_ISH_E10value_typeEPSI_NS1_7vsmem_tEENKUlT_SG_SH_SI_E_clIS7_S7_PlSB_EESF_SV_SG_SH_SI_EUlSV_E1_NS1_11comp_targetILNS1_3genE10ELNS1_11target_archE1201ELNS1_3gpuE5ELNS1_3repE0EEENS1_36merge_oddeven_config_static_selectorELNS0_4arch9wavefront6targetE1EEEvSH_.uses_vcc, 0
	.set _ZN7rocprim17ROCPRIM_400000_NS6detail17trampoline_kernelINS0_14default_configENS1_38merge_sort_block_merge_config_selectorIslEEZZNS1_27merge_sort_block_merge_implIS3_PsN6thrust23THRUST_200600_302600_NS10device_ptrIlEEjNS1_19radix_merge_compareILb0ELb1EsNS0_19identity_decomposerEEEEE10hipError_tT0_T1_T2_jT3_P12ihipStream_tbPNSt15iterator_traitsISG_E10value_typeEPNSM_ISH_E10value_typeEPSI_NS1_7vsmem_tEENKUlT_SG_SH_SI_E_clIS7_S7_PlSB_EESF_SV_SG_SH_SI_EUlSV_E1_NS1_11comp_targetILNS1_3genE10ELNS1_11target_archE1201ELNS1_3gpuE5ELNS1_3repE0EEENS1_36merge_oddeven_config_static_selectorELNS0_4arch9wavefront6targetE1EEEvSH_.uses_flat_scratch, 0
	.set _ZN7rocprim17ROCPRIM_400000_NS6detail17trampoline_kernelINS0_14default_configENS1_38merge_sort_block_merge_config_selectorIslEEZZNS1_27merge_sort_block_merge_implIS3_PsN6thrust23THRUST_200600_302600_NS10device_ptrIlEEjNS1_19radix_merge_compareILb0ELb1EsNS0_19identity_decomposerEEEEE10hipError_tT0_T1_T2_jT3_P12ihipStream_tbPNSt15iterator_traitsISG_E10value_typeEPNSM_ISH_E10value_typeEPSI_NS1_7vsmem_tEENKUlT_SG_SH_SI_E_clIS7_S7_PlSB_EESF_SV_SG_SH_SI_EUlSV_E1_NS1_11comp_targetILNS1_3genE10ELNS1_11target_archE1201ELNS1_3gpuE5ELNS1_3repE0EEENS1_36merge_oddeven_config_static_selectorELNS0_4arch9wavefront6targetE1EEEvSH_.has_dyn_sized_stack, 0
	.set _ZN7rocprim17ROCPRIM_400000_NS6detail17trampoline_kernelINS0_14default_configENS1_38merge_sort_block_merge_config_selectorIslEEZZNS1_27merge_sort_block_merge_implIS3_PsN6thrust23THRUST_200600_302600_NS10device_ptrIlEEjNS1_19radix_merge_compareILb0ELb1EsNS0_19identity_decomposerEEEEE10hipError_tT0_T1_T2_jT3_P12ihipStream_tbPNSt15iterator_traitsISG_E10value_typeEPNSM_ISH_E10value_typeEPSI_NS1_7vsmem_tEENKUlT_SG_SH_SI_E_clIS7_S7_PlSB_EESF_SV_SG_SH_SI_EUlSV_E1_NS1_11comp_targetILNS1_3genE10ELNS1_11target_archE1201ELNS1_3gpuE5ELNS1_3repE0EEENS1_36merge_oddeven_config_static_selectorELNS0_4arch9wavefront6targetE1EEEvSH_.has_recursion, 0
	.set _ZN7rocprim17ROCPRIM_400000_NS6detail17trampoline_kernelINS0_14default_configENS1_38merge_sort_block_merge_config_selectorIslEEZZNS1_27merge_sort_block_merge_implIS3_PsN6thrust23THRUST_200600_302600_NS10device_ptrIlEEjNS1_19radix_merge_compareILb0ELb1EsNS0_19identity_decomposerEEEEE10hipError_tT0_T1_T2_jT3_P12ihipStream_tbPNSt15iterator_traitsISG_E10value_typeEPNSM_ISH_E10value_typeEPSI_NS1_7vsmem_tEENKUlT_SG_SH_SI_E_clIS7_S7_PlSB_EESF_SV_SG_SH_SI_EUlSV_E1_NS1_11comp_targetILNS1_3genE10ELNS1_11target_archE1201ELNS1_3gpuE5ELNS1_3repE0EEENS1_36merge_oddeven_config_static_selectorELNS0_4arch9wavefront6targetE1EEEvSH_.has_indirect_call, 0
	.section	.AMDGPU.csdata,"",@progbits
; Kernel info:
; codeLenInByte = 0
; TotalNumSgprs: 4
; NumVgprs: 0
; ScratchSize: 0
; MemoryBound: 0
; FloatMode: 240
; IeeeMode: 1
; LDSByteSize: 0 bytes/workgroup (compile time only)
; SGPRBlocks: 0
; VGPRBlocks: 0
; NumSGPRsForWavesPerEU: 4
; NumVGPRsForWavesPerEU: 1
; Occupancy: 10
; WaveLimiterHint : 0
; COMPUTE_PGM_RSRC2:SCRATCH_EN: 0
; COMPUTE_PGM_RSRC2:USER_SGPR: 6
; COMPUTE_PGM_RSRC2:TRAP_HANDLER: 0
; COMPUTE_PGM_RSRC2:TGID_X_EN: 1
; COMPUTE_PGM_RSRC2:TGID_Y_EN: 0
; COMPUTE_PGM_RSRC2:TGID_Z_EN: 0
; COMPUTE_PGM_RSRC2:TIDIG_COMP_CNT: 0
	.section	.text._ZN7rocprim17ROCPRIM_400000_NS6detail17trampoline_kernelINS0_14default_configENS1_38merge_sort_block_merge_config_selectorIslEEZZNS1_27merge_sort_block_merge_implIS3_PsN6thrust23THRUST_200600_302600_NS10device_ptrIlEEjNS1_19radix_merge_compareILb0ELb1EsNS0_19identity_decomposerEEEEE10hipError_tT0_T1_T2_jT3_P12ihipStream_tbPNSt15iterator_traitsISG_E10value_typeEPNSM_ISH_E10value_typeEPSI_NS1_7vsmem_tEENKUlT_SG_SH_SI_E_clIS7_S7_PlSB_EESF_SV_SG_SH_SI_EUlSV_E1_NS1_11comp_targetILNS1_3genE5ELNS1_11target_archE942ELNS1_3gpuE9ELNS1_3repE0EEENS1_36merge_oddeven_config_static_selectorELNS0_4arch9wavefront6targetE1EEEvSH_,"axG",@progbits,_ZN7rocprim17ROCPRIM_400000_NS6detail17trampoline_kernelINS0_14default_configENS1_38merge_sort_block_merge_config_selectorIslEEZZNS1_27merge_sort_block_merge_implIS3_PsN6thrust23THRUST_200600_302600_NS10device_ptrIlEEjNS1_19radix_merge_compareILb0ELb1EsNS0_19identity_decomposerEEEEE10hipError_tT0_T1_T2_jT3_P12ihipStream_tbPNSt15iterator_traitsISG_E10value_typeEPNSM_ISH_E10value_typeEPSI_NS1_7vsmem_tEENKUlT_SG_SH_SI_E_clIS7_S7_PlSB_EESF_SV_SG_SH_SI_EUlSV_E1_NS1_11comp_targetILNS1_3genE5ELNS1_11target_archE942ELNS1_3gpuE9ELNS1_3repE0EEENS1_36merge_oddeven_config_static_selectorELNS0_4arch9wavefront6targetE1EEEvSH_,comdat
	.protected	_ZN7rocprim17ROCPRIM_400000_NS6detail17trampoline_kernelINS0_14default_configENS1_38merge_sort_block_merge_config_selectorIslEEZZNS1_27merge_sort_block_merge_implIS3_PsN6thrust23THRUST_200600_302600_NS10device_ptrIlEEjNS1_19radix_merge_compareILb0ELb1EsNS0_19identity_decomposerEEEEE10hipError_tT0_T1_T2_jT3_P12ihipStream_tbPNSt15iterator_traitsISG_E10value_typeEPNSM_ISH_E10value_typeEPSI_NS1_7vsmem_tEENKUlT_SG_SH_SI_E_clIS7_S7_PlSB_EESF_SV_SG_SH_SI_EUlSV_E1_NS1_11comp_targetILNS1_3genE5ELNS1_11target_archE942ELNS1_3gpuE9ELNS1_3repE0EEENS1_36merge_oddeven_config_static_selectorELNS0_4arch9wavefront6targetE1EEEvSH_ ; -- Begin function _ZN7rocprim17ROCPRIM_400000_NS6detail17trampoline_kernelINS0_14default_configENS1_38merge_sort_block_merge_config_selectorIslEEZZNS1_27merge_sort_block_merge_implIS3_PsN6thrust23THRUST_200600_302600_NS10device_ptrIlEEjNS1_19radix_merge_compareILb0ELb1EsNS0_19identity_decomposerEEEEE10hipError_tT0_T1_T2_jT3_P12ihipStream_tbPNSt15iterator_traitsISG_E10value_typeEPNSM_ISH_E10value_typeEPSI_NS1_7vsmem_tEENKUlT_SG_SH_SI_E_clIS7_S7_PlSB_EESF_SV_SG_SH_SI_EUlSV_E1_NS1_11comp_targetILNS1_3genE5ELNS1_11target_archE942ELNS1_3gpuE9ELNS1_3repE0EEENS1_36merge_oddeven_config_static_selectorELNS0_4arch9wavefront6targetE1EEEvSH_
	.globl	_ZN7rocprim17ROCPRIM_400000_NS6detail17trampoline_kernelINS0_14default_configENS1_38merge_sort_block_merge_config_selectorIslEEZZNS1_27merge_sort_block_merge_implIS3_PsN6thrust23THRUST_200600_302600_NS10device_ptrIlEEjNS1_19radix_merge_compareILb0ELb1EsNS0_19identity_decomposerEEEEE10hipError_tT0_T1_T2_jT3_P12ihipStream_tbPNSt15iterator_traitsISG_E10value_typeEPNSM_ISH_E10value_typeEPSI_NS1_7vsmem_tEENKUlT_SG_SH_SI_E_clIS7_S7_PlSB_EESF_SV_SG_SH_SI_EUlSV_E1_NS1_11comp_targetILNS1_3genE5ELNS1_11target_archE942ELNS1_3gpuE9ELNS1_3repE0EEENS1_36merge_oddeven_config_static_selectorELNS0_4arch9wavefront6targetE1EEEvSH_
	.p2align	8
	.type	_ZN7rocprim17ROCPRIM_400000_NS6detail17trampoline_kernelINS0_14default_configENS1_38merge_sort_block_merge_config_selectorIslEEZZNS1_27merge_sort_block_merge_implIS3_PsN6thrust23THRUST_200600_302600_NS10device_ptrIlEEjNS1_19radix_merge_compareILb0ELb1EsNS0_19identity_decomposerEEEEE10hipError_tT0_T1_T2_jT3_P12ihipStream_tbPNSt15iterator_traitsISG_E10value_typeEPNSM_ISH_E10value_typeEPSI_NS1_7vsmem_tEENKUlT_SG_SH_SI_E_clIS7_S7_PlSB_EESF_SV_SG_SH_SI_EUlSV_E1_NS1_11comp_targetILNS1_3genE5ELNS1_11target_archE942ELNS1_3gpuE9ELNS1_3repE0EEENS1_36merge_oddeven_config_static_selectorELNS0_4arch9wavefront6targetE1EEEvSH_,@function
_ZN7rocprim17ROCPRIM_400000_NS6detail17trampoline_kernelINS0_14default_configENS1_38merge_sort_block_merge_config_selectorIslEEZZNS1_27merge_sort_block_merge_implIS3_PsN6thrust23THRUST_200600_302600_NS10device_ptrIlEEjNS1_19radix_merge_compareILb0ELb1EsNS0_19identity_decomposerEEEEE10hipError_tT0_T1_T2_jT3_P12ihipStream_tbPNSt15iterator_traitsISG_E10value_typeEPNSM_ISH_E10value_typeEPSI_NS1_7vsmem_tEENKUlT_SG_SH_SI_E_clIS7_S7_PlSB_EESF_SV_SG_SH_SI_EUlSV_E1_NS1_11comp_targetILNS1_3genE5ELNS1_11target_archE942ELNS1_3gpuE9ELNS1_3repE0EEENS1_36merge_oddeven_config_static_selectorELNS0_4arch9wavefront6targetE1EEEvSH_: ; @_ZN7rocprim17ROCPRIM_400000_NS6detail17trampoline_kernelINS0_14default_configENS1_38merge_sort_block_merge_config_selectorIslEEZZNS1_27merge_sort_block_merge_implIS3_PsN6thrust23THRUST_200600_302600_NS10device_ptrIlEEjNS1_19radix_merge_compareILb0ELb1EsNS0_19identity_decomposerEEEEE10hipError_tT0_T1_T2_jT3_P12ihipStream_tbPNSt15iterator_traitsISG_E10value_typeEPNSM_ISH_E10value_typeEPSI_NS1_7vsmem_tEENKUlT_SG_SH_SI_E_clIS7_S7_PlSB_EESF_SV_SG_SH_SI_EUlSV_E1_NS1_11comp_targetILNS1_3genE5ELNS1_11target_archE942ELNS1_3gpuE9ELNS1_3repE0EEENS1_36merge_oddeven_config_static_selectorELNS0_4arch9wavefront6targetE1EEEvSH_
; %bb.0:
	.section	.rodata,"a",@progbits
	.p2align	6, 0x0
	.amdhsa_kernel _ZN7rocprim17ROCPRIM_400000_NS6detail17trampoline_kernelINS0_14default_configENS1_38merge_sort_block_merge_config_selectorIslEEZZNS1_27merge_sort_block_merge_implIS3_PsN6thrust23THRUST_200600_302600_NS10device_ptrIlEEjNS1_19radix_merge_compareILb0ELb1EsNS0_19identity_decomposerEEEEE10hipError_tT0_T1_T2_jT3_P12ihipStream_tbPNSt15iterator_traitsISG_E10value_typeEPNSM_ISH_E10value_typeEPSI_NS1_7vsmem_tEENKUlT_SG_SH_SI_E_clIS7_S7_PlSB_EESF_SV_SG_SH_SI_EUlSV_E1_NS1_11comp_targetILNS1_3genE5ELNS1_11target_archE942ELNS1_3gpuE9ELNS1_3repE0EEENS1_36merge_oddeven_config_static_selectorELNS0_4arch9wavefront6targetE1EEEvSH_
		.amdhsa_group_segment_fixed_size 0
		.amdhsa_private_segment_fixed_size 0
		.amdhsa_kernarg_size 48
		.amdhsa_user_sgpr_count 6
		.amdhsa_user_sgpr_private_segment_buffer 1
		.amdhsa_user_sgpr_dispatch_ptr 0
		.amdhsa_user_sgpr_queue_ptr 0
		.amdhsa_user_sgpr_kernarg_segment_ptr 1
		.amdhsa_user_sgpr_dispatch_id 0
		.amdhsa_user_sgpr_flat_scratch_init 0
		.amdhsa_user_sgpr_private_segment_size 0
		.amdhsa_uses_dynamic_stack 0
		.amdhsa_system_sgpr_private_segment_wavefront_offset 0
		.amdhsa_system_sgpr_workgroup_id_x 1
		.amdhsa_system_sgpr_workgroup_id_y 0
		.amdhsa_system_sgpr_workgroup_id_z 0
		.amdhsa_system_sgpr_workgroup_info 0
		.amdhsa_system_vgpr_workitem_id 0
		.amdhsa_next_free_vgpr 1
		.amdhsa_next_free_sgpr 0
		.amdhsa_reserve_vcc 0
		.amdhsa_reserve_flat_scratch 0
		.amdhsa_float_round_mode_32 0
		.amdhsa_float_round_mode_16_64 0
		.amdhsa_float_denorm_mode_32 3
		.amdhsa_float_denorm_mode_16_64 3
		.amdhsa_dx10_clamp 1
		.amdhsa_ieee_mode 1
		.amdhsa_fp16_overflow 0
		.amdhsa_exception_fp_ieee_invalid_op 0
		.amdhsa_exception_fp_denorm_src 0
		.amdhsa_exception_fp_ieee_div_zero 0
		.amdhsa_exception_fp_ieee_overflow 0
		.amdhsa_exception_fp_ieee_underflow 0
		.amdhsa_exception_fp_ieee_inexact 0
		.amdhsa_exception_int_div_zero 0
	.end_amdhsa_kernel
	.section	.text._ZN7rocprim17ROCPRIM_400000_NS6detail17trampoline_kernelINS0_14default_configENS1_38merge_sort_block_merge_config_selectorIslEEZZNS1_27merge_sort_block_merge_implIS3_PsN6thrust23THRUST_200600_302600_NS10device_ptrIlEEjNS1_19radix_merge_compareILb0ELb1EsNS0_19identity_decomposerEEEEE10hipError_tT0_T1_T2_jT3_P12ihipStream_tbPNSt15iterator_traitsISG_E10value_typeEPNSM_ISH_E10value_typeEPSI_NS1_7vsmem_tEENKUlT_SG_SH_SI_E_clIS7_S7_PlSB_EESF_SV_SG_SH_SI_EUlSV_E1_NS1_11comp_targetILNS1_3genE5ELNS1_11target_archE942ELNS1_3gpuE9ELNS1_3repE0EEENS1_36merge_oddeven_config_static_selectorELNS0_4arch9wavefront6targetE1EEEvSH_,"axG",@progbits,_ZN7rocprim17ROCPRIM_400000_NS6detail17trampoline_kernelINS0_14default_configENS1_38merge_sort_block_merge_config_selectorIslEEZZNS1_27merge_sort_block_merge_implIS3_PsN6thrust23THRUST_200600_302600_NS10device_ptrIlEEjNS1_19radix_merge_compareILb0ELb1EsNS0_19identity_decomposerEEEEE10hipError_tT0_T1_T2_jT3_P12ihipStream_tbPNSt15iterator_traitsISG_E10value_typeEPNSM_ISH_E10value_typeEPSI_NS1_7vsmem_tEENKUlT_SG_SH_SI_E_clIS7_S7_PlSB_EESF_SV_SG_SH_SI_EUlSV_E1_NS1_11comp_targetILNS1_3genE5ELNS1_11target_archE942ELNS1_3gpuE9ELNS1_3repE0EEENS1_36merge_oddeven_config_static_selectorELNS0_4arch9wavefront6targetE1EEEvSH_,comdat
.Lfunc_end1350:
	.size	_ZN7rocprim17ROCPRIM_400000_NS6detail17trampoline_kernelINS0_14default_configENS1_38merge_sort_block_merge_config_selectorIslEEZZNS1_27merge_sort_block_merge_implIS3_PsN6thrust23THRUST_200600_302600_NS10device_ptrIlEEjNS1_19radix_merge_compareILb0ELb1EsNS0_19identity_decomposerEEEEE10hipError_tT0_T1_T2_jT3_P12ihipStream_tbPNSt15iterator_traitsISG_E10value_typeEPNSM_ISH_E10value_typeEPSI_NS1_7vsmem_tEENKUlT_SG_SH_SI_E_clIS7_S7_PlSB_EESF_SV_SG_SH_SI_EUlSV_E1_NS1_11comp_targetILNS1_3genE5ELNS1_11target_archE942ELNS1_3gpuE9ELNS1_3repE0EEENS1_36merge_oddeven_config_static_selectorELNS0_4arch9wavefront6targetE1EEEvSH_, .Lfunc_end1350-_ZN7rocprim17ROCPRIM_400000_NS6detail17trampoline_kernelINS0_14default_configENS1_38merge_sort_block_merge_config_selectorIslEEZZNS1_27merge_sort_block_merge_implIS3_PsN6thrust23THRUST_200600_302600_NS10device_ptrIlEEjNS1_19radix_merge_compareILb0ELb1EsNS0_19identity_decomposerEEEEE10hipError_tT0_T1_T2_jT3_P12ihipStream_tbPNSt15iterator_traitsISG_E10value_typeEPNSM_ISH_E10value_typeEPSI_NS1_7vsmem_tEENKUlT_SG_SH_SI_E_clIS7_S7_PlSB_EESF_SV_SG_SH_SI_EUlSV_E1_NS1_11comp_targetILNS1_3genE5ELNS1_11target_archE942ELNS1_3gpuE9ELNS1_3repE0EEENS1_36merge_oddeven_config_static_selectorELNS0_4arch9wavefront6targetE1EEEvSH_
                                        ; -- End function
	.set _ZN7rocprim17ROCPRIM_400000_NS6detail17trampoline_kernelINS0_14default_configENS1_38merge_sort_block_merge_config_selectorIslEEZZNS1_27merge_sort_block_merge_implIS3_PsN6thrust23THRUST_200600_302600_NS10device_ptrIlEEjNS1_19radix_merge_compareILb0ELb1EsNS0_19identity_decomposerEEEEE10hipError_tT0_T1_T2_jT3_P12ihipStream_tbPNSt15iterator_traitsISG_E10value_typeEPNSM_ISH_E10value_typeEPSI_NS1_7vsmem_tEENKUlT_SG_SH_SI_E_clIS7_S7_PlSB_EESF_SV_SG_SH_SI_EUlSV_E1_NS1_11comp_targetILNS1_3genE5ELNS1_11target_archE942ELNS1_3gpuE9ELNS1_3repE0EEENS1_36merge_oddeven_config_static_selectorELNS0_4arch9wavefront6targetE1EEEvSH_.num_vgpr, 0
	.set _ZN7rocprim17ROCPRIM_400000_NS6detail17trampoline_kernelINS0_14default_configENS1_38merge_sort_block_merge_config_selectorIslEEZZNS1_27merge_sort_block_merge_implIS3_PsN6thrust23THRUST_200600_302600_NS10device_ptrIlEEjNS1_19radix_merge_compareILb0ELb1EsNS0_19identity_decomposerEEEEE10hipError_tT0_T1_T2_jT3_P12ihipStream_tbPNSt15iterator_traitsISG_E10value_typeEPNSM_ISH_E10value_typeEPSI_NS1_7vsmem_tEENKUlT_SG_SH_SI_E_clIS7_S7_PlSB_EESF_SV_SG_SH_SI_EUlSV_E1_NS1_11comp_targetILNS1_3genE5ELNS1_11target_archE942ELNS1_3gpuE9ELNS1_3repE0EEENS1_36merge_oddeven_config_static_selectorELNS0_4arch9wavefront6targetE1EEEvSH_.num_agpr, 0
	.set _ZN7rocprim17ROCPRIM_400000_NS6detail17trampoline_kernelINS0_14default_configENS1_38merge_sort_block_merge_config_selectorIslEEZZNS1_27merge_sort_block_merge_implIS3_PsN6thrust23THRUST_200600_302600_NS10device_ptrIlEEjNS1_19radix_merge_compareILb0ELb1EsNS0_19identity_decomposerEEEEE10hipError_tT0_T1_T2_jT3_P12ihipStream_tbPNSt15iterator_traitsISG_E10value_typeEPNSM_ISH_E10value_typeEPSI_NS1_7vsmem_tEENKUlT_SG_SH_SI_E_clIS7_S7_PlSB_EESF_SV_SG_SH_SI_EUlSV_E1_NS1_11comp_targetILNS1_3genE5ELNS1_11target_archE942ELNS1_3gpuE9ELNS1_3repE0EEENS1_36merge_oddeven_config_static_selectorELNS0_4arch9wavefront6targetE1EEEvSH_.numbered_sgpr, 0
	.set _ZN7rocprim17ROCPRIM_400000_NS6detail17trampoline_kernelINS0_14default_configENS1_38merge_sort_block_merge_config_selectorIslEEZZNS1_27merge_sort_block_merge_implIS3_PsN6thrust23THRUST_200600_302600_NS10device_ptrIlEEjNS1_19radix_merge_compareILb0ELb1EsNS0_19identity_decomposerEEEEE10hipError_tT0_T1_T2_jT3_P12ihipStream_tbPNSt15iterator_traitsISG_E10value_typeEPNSM_ISH_E10value_typeEPSI_NS1_7vsmem_tEENKUlT_SG_SH_SI_E_clIS7_S7_PlSB_EESF_SV_SG_SH_SI_EUlSV_E1_NS1_11comp_targetILNS1_3genE5ELNS1_11target_archE942ELNS1_3gpuE9ELNS1_3repE0EEENS1_36merge_oddeven_config_static_selectorELNS0_4arch9wavefront6targetE1EEEvSH_.num_named_barrier, 0
	.set _ZN7rocprim17ROCPRIM_400000_NS6detail17trampoline_kernelINS0_14default_configENS1_38merge_sort_block_merge_config_selectorIslEEZZNS1_27merge_sort_block_merge_implIS3_PsN6thrust23THRUST_200600_302600_NS10device_ptrIlEEjNS1_19radix_merge_compareILb0ELb1EsNS0_19identity_decomposerEEEEE10hipError_tT0_T1_T2_jT3_P12ihipStream_tbPNSt15iterator_traitsISG_E10value_typeEPNSM_ISH_E10value_typeEPSI_NS1_7vsmem_tEENKUlT_SG_SH_SI_E_clIS7_S7_PlSB_EESF_SV_SG_SH_SI_EUlSV_E1_NS1_11comp_targetILNS1_3genE5ELNS1_11target_archE942ELNS1_3gpuE9ELNS1_3repE0EEENS1_36merge_oddeven_config_static_selectorELNS0_4arch9wavefront6targetE1EEEvSH_.private_seg_size, 0
	.set _ZN7rocprim17ROCPRIM_400000_NS6detail17trampoline_kernelINS0_14default_configENS1_38merge_sort_block_merge_config_selectorIslEEZZNS1_27merge_sort_block_merge_implIS3_PsN6thrust23THRUST_200600_302600_NS10device_ptrIlEEjNS1_19radix_merge_compareILb0ELb1EsNS0_19identity_decomposerEEEEE10hipError_tT0_T1_T2_jT3_P12ihipStream_tbPNSt15iterator_traitsISG_E10value_typeEPNSM_ISH_E10value_typeEPSI_NS1_7vsmem_tEENKUlT_SG_SH_SI_E_clIS7_S7_PlSB_EESF_SV_SG_SH_SI_EUlSV_E1_NS1_11comp_targetILNS1_3genE5ELNS1_11target_archE942ELNS1_3gpuE9ELNS1_3repE0EEENS1_36merge_oddeven_config_static_selectorELNS0_4arch9wavefront6targetE1EEEvSH_.uses_vcc, 0
	.set _ZN7rocprim17ROCPRIM_400000_NS6detail17trampoline_kernelINS0_14default_configENS1_38merge_sort_block_merge_config_selectorIslEEZZNS1_27merge_sort_block_merge_implIS3_PsN6thrust23THRUST_200600_302600_NS10device_ptrIlEEjNS1_19radix_merge_compareILb0ELb1EsNS0_19identity_decomposerEEEEE10hipError_tT0_T1_T2_jT3_P12ihipStream_tbPNSt15iterator_traitsISG_E10value_typeEPNSM_ISH_E10value_typeEPSI_NS1_7vsmem_tEENKUlT_SG_SH_SI_E_clIS7_S7_PlSB_EESF_SV_SG_SH_SI_EUlSV_E1_NS1_11comp_targetILNS1_3genE5ELNS1_11target_archE942ELNS1_3gpuE9ELNS1_3repE0EEENS1_36merge_oddeven_config_static_selectorELNS0_4arch9wavefront6targetE1EEEvSH_.uses_flat_scratch, 0
	.set _ZN7rocprim17ROCPRIM_400000_NS6detail17trampoline_kernelINS0_14default_configENS1_38merge_sort_block_merge_config_selectorIslEEZZNS1_27merge_sort_block_merge_implIS3_PsN6thrust23THRUST_200600_302600_NS10device_ptrIlEEjNS1_19radix_merge_compareILb0ELb1EsNS0_19identity_decomposerEEEEE10hipError_tT0_T1_T2_jT3_P12ihipStream_tbPNSt15iterator_traitsISG_E10value_typeEPNSM_ISH_E10value_typeEPSI_NS1_7vsmem_tEENKUlT_SG_SH_SI_E_clIS7_S7_PlSB_EESF_SV_SG_SH_SI_EUlSV_E1_NS1_11comp_targetILNS1_3genE5ELNS1_11target_archE942ELNS1_3gpuE9ELNS1_3repE0EEENS1_36merge_oddeven_config_static_selectorELNS0_4arch9wavefront6targetE1EEEvSH_.has_dyn_sized_stack, 0
	.set _ZN7rocprim17ROCPRIM_400000_NS6detail17trampoline_kernelINS0_14default_configENS1_38merge_sort_block_merge_config_selectorIslEEZZNS1_27merge_sort_block_merge_implIS3_PsN6thrust23THRUST_200600_302600_NS10device_ptrIlEEjNS1_19radix_merge_compareILb0ELb1EsNS0_19identity_decomposerEEEEE10hipError_tT0_T1_T2_jT3_P12ihipStream_tbPNSt15iterator_traitsISG_E10value_typeEPNSM_ISH_E10value_typeEPSI_NS1_7vsmem_tEENKUlT_SG_SH_SI_E_clIS7_S7_PlSB_EESF_SV_SG_SH_SI_EUlSV_E1_NS1_11comp_targetILNS1_3genE5ELNS1_11target_archE942ELNS1_3gpuE9ELNS1_3repE0EEENS1_36merge_oddeven_config_static_selectorELNS0_4arch9wavefront6targetE1EEEvSH_.has_recursion, 0
	.set _ZN7rocprim17ROCPRIM_400000_NS6detail17trampoline_kernelINS0_14default_configENS1_38merge_sort_block_merge_config_selectorIslEEZZNS1_27merge_sort_block_merge_implIS3_PsN6thrust23THRUST_200600_302600_NS10device_ptrIlEEjNS1_19radix_merge_compareILb0ELb1EsNS0_19identity_decomposerEEEEE10hipError_tT0_T1_T2_jT3_P12ihipStream_tbPNSt15iterator_traitsISG_E10value_typeEPNSM_ISH_E10value_typeEPSI_NS1_7vsmem_tEENKUlT_SG_SH_SI_E_clIS7_S7_PlSB_EESF_SV_SG_SH_SI_EUlSV_E1_NS1_11comp_targetILNS1_3genE5ELNS1_11target_archE942ELNS1_3gpuE9ELNS1_3repE0EEENS1_36merge_oddeven_config_static_selectorELNS0_4arch9wavefront6targetE1EEEvSH_.has_indirect_call, 0
	.section	.AMDGPU.csdata,"",@progbits
; Kernel info:
; codeLenInByte = 0
; TotalNumSgprs: 4
; NumVgprs: 0
; ScratchSize: 0
; MemoryBound: 0
; FloatMode: 240
; IeeeMode: 1
; LDSByteSize: 0 bytes/workgroup (compile time only)
; SGPRBlocks: 0
; VGPRBlocks: 0
; NumSGPRsForWavesPerEU: 4
; NumVGPRsForWavesPerEU: 1
; Occupancy: 10
; WaveLimiterHint : 0
; COMPUTE_PGM_RSRC2:SCRATCH_EN: 0
; COMPUTE_PGM_RSRC2:USER_SGPR: 6
; COMPUTE_PGM_RSRC2:TRAP_HANDLER: 0
; COMPUTE_PGM_RSRC2:TGID_X_EN: 1
; COMPUTE_PGM_RSRC2:TGID_Y_EN: 0
; COMPUTE_PGM_RSRC2:TGID_Z_EN: 0
; COMPUTE_PGM_RSRC2:TIDIG_COMP_CNT: 0
	.section	.text._ZN7rocprim17ROCPRIM_400000_NS6detail17trampoline_kernelINS0_14default_configENS1_38merge_sort_block_merge_config_selectorIslEEZZNS1_27merge_sort_block_merge_implIS3_PsN6thrust23THRUST_200600_302600_NS10device_ptrIlEEjNS1_19radix_merge_compareILb0ELb1EsNS0_19identity_decomposerEEEEE10hipError_tT0_T1_T2_jT3_P12ihipStream_tbPNSt15iterator_traitsISG_E10value_typeEPNSM_ISH_E10value_typeEPSI_NS1_7vsmem_tEENKUlT_SG_SH_SI_E_clIS7_S7_PlSB_EESF_SV_SG_SH_SI_EUlSV_E1_NS1_11comp_targetILNS1_3genE4ELNS1_11target_archE910ELNS1_3gpuE8ELNS1_3repE0EEENS1_36merge_oddeven_config_static_selectorELNS0_4arch9wavefront6targetE1EEEvSH_,"axG",@progbits,_ZN7rocprim17ROCPRIM_400000_NS6detail17trampoline_kernelINS0_14default_configENS1_38merge_sort_block_merge_config_selectorIslEEZZNS1_27merge_sort_block_merge_implIS3_PsN6thrust23THRUST_200600_302600_NS10device_ptrIlEEjNS1_19radix_merge_compareILb0ELb1EsNS0_19identity_decomposerEEEEE10hipError_tT0_T1_T2_jT3_P12ihipStream_tbPNSt15iterator_traitsISG_E10value_typeEPNSM_ISH_E10value_typeEPSI_NS1_7vsmem_tEENKUlT_SG_SH_SI_E_clIS7_S7_PlSB_EESF_SV_SG_SH_SI_EUlSV_E1_NS1_11comp_targetILNS1_3genE4ELNS1_11target_archE910ELNS1_3gpuE8ELNS1_3repE0EEENS1_36merge_oddeven_config_static_selectorELNS0_4arch9wavefront6targetE1EEEvSH_,comdat
	.protected	_ZN7rocprim17ROCPRIM_400000_NS6detail17trampoline_kernelINS0_14default_configENS1_38merge_sort_block_merge_config_selectorIslEEZZNS1_27merge_sort_block_merge_implIS3_PsN6thrust23THRUST_200600_302600_NS10device_ptrIlEEjNS1_19radix_merge_compareILb0ELb1EsNS0_19identity_decomposerEEEEE10hipError_tT0_T1_T2_jT3_P12ihipStream_tbPNSt15iterator_traitsISG_E10value_typeEPNSM_ISH_E10value_typeEPSI_NS1_7vsmem_tEENKUlT_SG_SH_SI_E_clIS7_S7_PlSB_EESF_SV_SG_SH_SI_EUlSV_E1_NS1_11comp_targetILNS1_3genE4ELNS1_11target_archE910ELNS1_3gpuE8ELNS1_3repE0EEENS1_36merge_oddeven_config_static_selectorELNS0_4arch9wavefront6targetE1EEEvSH_ ; -- Begin function _ZN7rocprim17ROCPRIM_400000_NS6detail17trampoline_kernelINS0_14default_configENS1_38merge_sort_block_merge_config_selectorIslEEZZNS1_27merge_sort_block_merge_implIS3_PsN6thrust23THRUST_200600_302600_NS10device_ptrIlEEjNS1_19radix_merge_compareILb0ELb1EsNS0_19identity_decomposerEEEEE10hipError_tT0_T1_T2_jT3_P12ihipStream_tbPNSt15iterator_traitsISG_E10value_typeEPNSM_ISH_E10value_typeEPSI_NS1_7vsmem_tEENKUlT_SG_SH_SI_E_clIS7_S7_PlSB_EESF_SV_SG_SH_SI_EUlSV_E1_NS1_11comp_targetILNS1_3genE4ELNS1_11target_archE910ELNS1_3gpuE8ELNS1_3repE0EEENS1_36merge_oddeven_config_static_selectorELNS0_4arch9wavefront6targetE1EEEvSH_
	.globl	_ZN7rocprim17ROCPRIM_400000_NS6detail17trampoline_kernelINS0_14default_configENS1_38merge_sort_block_merge_config_selectorIslEEZZNS1_27merge_sort_block_merge_implIS3_PsN6thrust23THRUST_200600_302600_NS10device_ptrIlEEjNS1_19radix_merge_compareILb0ELb1EsNS0_19identity_decomposerEEEEE10hipError_tT0_T1_T2_jT3_P12ihipStream_tbPNSt15iterator_traitsISG_E10value_typeEPNSM_ISH_E10value_typeEPSI_NS1_7vsmem_tEENKUlT_SG_SH_SI_E_clIS7_S7_PlSB_EESF_SV_SG_SH_SI_EUlSV_E1_NS1_11comp_targetILNS1_3genE4ELNS1_11target_archE910ELNS1_3gpuE8ELNS1_3repE0EEENS1_36merge_oddeven_config_static_selectorELNS0_4arch9wavefront6targetE1EEEvSH_
	.p2align	8
	.type	_ZN7rocprim17ROCPRIM_400000_NS6detail17trampoline_kernelINS0_14default_configENS1_38merge_sort_block_merge_config_selectorIslEEZZNS1_27merge_sort_block_merge_implIS3_PsN6thrust23THRUST_200600_302600_NS10device_ptrIlEEjNS1_19radix_merge_compareILb0ELb1EsNS0_19identity_decomposerEEEEE10hipError_tT0_T1_T2_jT3_P12ihipStream_tbPNSt15iterator_traitsISG_E10value_typeEPNSM_ISH_E10value_typeEPSI_NS1_7vsmem_tEENKUlT_SG_SH_SI_E_clIS7_S7_PlSB_EESF_SV_SG_SH_SI_EUlSV_E1_NS1_11comp_targetILNS1_3genE4ELNS1_11target_archE910ELNS1_3gpuE8ELNS1_3repE0EEENS1_36merge_oddeven_config_static_selectorELNS0_4arch9wavefront6targetE1EEEvSH_,@function
_ZN7rocprim17ROCPRIM_400000_NS6detail17trampoline_kernelINS0_14default_configENS1_38merge_sort_block_merge_config_selectorIslEEZZNS1_27merge_sort_block_merge_implIS3_PsN6thrust23THRUST_200600_302600_NS10device_ptrIlEEjNS1_19radix_merge_compareILb0ELb1EsNS0_19identity_decomposerEEEEE10hipError_tT0_T1_T2_jT3_P12ihipStream_tbPNSt15iterator_traitsISG_E10value_typeEPNSM_ISH_E10value_typeEPSI_NS1_7vsmem_tEENKUlT_SG_SH_SI_E_clIS7_S7_PlSB_EESF_SV_SG_SH_SI_EUlSV_E1_NS1_11comp_targetILNS1_3genE4ELNS1_11target_archE910ELNS1_3gpuE8ELNS1_3repE0EEENS1_36merge_oddeven_config_static_selectorELNS0_4arch9wavefront6targetE1EEEvSH_: ; @_ZN7rocprim17ROCPRIM_400000_NS6detail17trampoline_kernelINS0_14default_configENS1_38merge_sort_block_merge_config_selectorIslEEZZNS1_27merge_sort_block_merge_implIS3_PsN6thrust23THRUST_200600_302600_NS10device_ptrIlEEjNS1_19radix_merge_compareILb0ELb1EsNS0_19identity_decomposerEEEEE10hipError_tT0_T1_T2_jT3_P12ihipStream_tbPNSt15iterator_traitsISG_E10value_typeEPNSM_ISH_E10value_typeEPSI_NS1_7vsmem_tEENKUlT_SG_SH_SI_E_clIS7_S7_PlSB_EESF_SV_SG_SH_SI_EUlSV_E1_NS1_11comp_targetILNS1_3genE4ELNS1_11target_archE910ELNS1_3gpuE8ELNS1_3repE0EEENS1_36merge_oddeven_config_static_selectorELNS0_4arch9wavefront6targetE1EEEvSH_
; %bb.0:
	.section	.rodata,"a",@progbits
	.p2align	6, 0x0
	.amdhsa_kernel _ZN7rocprim17ROCPRIM_400000_NS6detail17trampoline_kernelINS0_14default_configENS1_38merge_sort_block_merge_config_selectorIslEEZZNS1_27merge_sort_block_merge_implIS3_PsN6thrust23THRUST_200600_302600_NS10device_ptrIlEEjNS1_19radix_merge_compareILb0ELb1EsNS0_19identity_decomposerEEEEE10hipError_tT0_T1_T2_jT3_P12ihipStream_tbPNSt15iterator_traitsISG_E10value_typeEPNSM_ISH_E10value_typeEPSI_NS1_7vsmem_tEENKUlT_SG_SH_SI_E_clIS7_S7_PlSB_EESF_SV_SG_SH_SI_EUlSV_E1_NS1_11comp_targetILNS1_3genE4ELNS1_11target_archE910ELNS1_3gpuE8ELNS1_3repE0EEENS1_36merge_oddeven_config_static_selectorELNS0_4arch9wavefront6targetE1EEEvSH_
		.amdhsa_group_segment_fixed_size 0
		.amdhsa_private_segment_fixed_size 0
		.amdhsa_kernarg_size 48
		.amdhsa_user_sgpr_count 6
		.amdhsa_user_sgpr_private_segment_buffer 1
		.amdhsa_user_sgpr_dispatch_ptr 0
		.amdhsa_user_sgpr_queue_ptr 0
		.amdhsa_user_sgpr_kernarg_segment_ptr 1
		.amdhsa_user_sgpr_dispatch_id 0
		.amdhsa_user_sgpr_flat_scratch_init 0
		.amdhsa_user_sgpr_private_segment_size 0
		.amdhsa_uses_dynamic_stack 0
		.amdhsa_system_sgpr_private_segment_wavefront_offset 0
		.amdhsa_system_sgpr_workgroup_id_x 1
		.amdhsa_system_sgpr_workgroup_id_y 0
		.amdhsa_system_sgpr_workgroup_id_z 0
		.amdhsa_system_sgpr_workgroup_info 0
		.amdhsa_system_vgpr_workitem_id 0
		.amdhsa_next_free_vgpr 1
		.amdhsa_next_free_sgpr 0
		.amdhsa_reserve_vcc 0
		.amdhsa_reserve_flat_scratch 0
		.amdhsa_float_round_mode_32 0
		.amdhsa_float_round_mode_16_64 0
		.amdhsa_float_denorm_mode_32 3
		.amdhsa_float_denorm_mode_16_64 3
		.amdhsa_dx10_clamp 1
		.amdhsa_ieee_mode 1
		.amdhsa_fp16_overflow 0
		.amdhsa_exception_fp_ieee_invalid_op 0
		.amdhsa_exception_fp_denorm_src 0
		.amdhsa_exception_fp_ieee_div_zero 0
		.amdhsa_exception_fp_ieee_overflow 0
		.amdhsa_exception_fp_ieee_underflow 0
		.amdhsa_exception_fp_ieee_inexact 0
		.amdhsa_exception_int_div_zero 0
	.end_amdhsa_kernel
	.section	.text._ZN7rocprim17ROCPRIM_400000_NS6detail17trampoline_kernelINS0_14default_configENS1_38merge_sort_block_merge_config_selectorIslEEZZNS1_27merge_sort_block_merge_implIS3_PsN6thrust23THRUST_200600_302600_NS10device_ptrIlEEjNS1_19radix_merge_compareILb0ELb1EsNS0_19identity_decomposerEEEEE10hipError_tT0_T1_T2_jT3_P12ihipStream_tbPNSt15iterator_traitsISG_E10value_typeEPNSM_ISH_E10value_typeEPSI_NS1_7vsmem_tEENKUlT_SG_SH_SI_E_clIS7_S7_PlSB_EESF_SV_SG_SH_SI_EUlSV_E1_NS1_11comp_targetILNS1_3genE4ELNS1_11target_archE910ELNS1_3gpuE8ELNS1_3repE0EEENS1_36merge_oddeven_config_static_selectorELNS0_4arch9wavefront6targetE1EEEvSH_,"axG",@progbits,_ZN7rocprim17ROCPRIM_400000_NS6detail17trampoline_kernelINS0_14default_configENS1_38merge_sort_block_merge_config_selectorIslEEZZNS1_27merge_sort_block_merge_implIS3_PsN6thrust23THRUST_200600_302600_NS10device_ptrIlEEjNS1_19radix_merge_compareILb0ELb1EsNS0_19identity_decomposerEEEEE10hipError_tT0_T1_T2_jT3_P12ihipStream_tbPNSt15iterator_traitsISG_E10value_typeEPNSM_ISH_E10value_typeEPSI_NS1_7vsmem_tEENKUlT_SG_SH_SI_E_clIS7_S7_PlSB_EESF_SV_SG_SH_SI_EUlSV_E1_NS1_11comp_targetILNS1_3genE4ELNS1_11target_archE910ELNS1_3gpuE8ELNS1_3repE0EEENS1_36merge_oddeven_config_static_selectorELNS0_4arch9wavefront6targetE1EEEvSH_,comdat
.Lfunc_end1351:
	.size	_ZN7rocprim17ROCPRIM_400000_NS6detail17trampoline_kernelINS0_14default_configENS1_38merge_sort_block_merge_config_selectorIslEEZZNS1_27merge_sort_block_merge_implIS3_PsN6thrust23THRUST_200600_302600_NS10device_ptrIlEEjNS1_19radix_merge_compareILb0ELb1EsNS0_19identity_decomposerEEEEE10hipError_tT0_T1_T2_jT3_P12ihipStream_tbPNSt15iterator_traitsISG_E10value_typeEPNSM_ISH_E10value_typeEPSI_NS1_7vsmem_tEENKUlT_SG_SH_SI_E_clIS7_S7_PlSB_EESF_SV_SG_SH_SI_EUlSV_E1_NS1_11comp_targetILNS1_3genE4ELNS1_11target_archE910ELNS1_3gpuE8ELNS1_3repE0EEENS1_36merge_oddeven_config_static_selectorELNS0_4arch9wavefront6targetE1EEEvSH_, .Lfunc_end1351-_ZN7rocprim17ROCPRIM_400000_NS6detail17trampoline_kernelINS0_14default_configENS1_38merge_sort_block_merge_config_selectorIslEEZZNS1_27merge_sort_block_merge_implIS3_PsN6thrust23THRUST_200600_302600_NS10device_ptrIlEEjNS1_19radix_merge_compareILb0ELb1EsNS0_19identity_decomposerEEEEE10hipError_tT0_T1_T2_jT3_P12ihipStream_tbPNSt15iterator_traitsISG_E10value_typeEPNSM_ISH_E10value_typeEPSI_NS1_7vsmem_tEENKUlT_SG_SH_SI_E_clIS7_S7_PlSB_EESF_SV_SG_SH_SI_EUlSV_E1_NS1_11comp_targetILNS1_3genE4ELNS1_11target_archE910ELNS1_3gpuE8ELNS1_3repE0EEENS1_36merge_oddeven_config_static_selectorELNS0_4arch9wavefront6targetE1EEEvSH_
                                        ; -- End function
	.set _ZN7rocprim17ROCPRIM_400000_NS6detail17trampoline_kernelINS0_14default_configENS1_38merge_sort_block_merge_config_selectorIslEEZZNS1_27merge_sort_block_merge_implIS3_PsN6thrust23THRUST_200600_302600_NS10device_ptrIlEEjNS1_19radix_merge_compareILb0ELb1EsNS0_19identity_decomposerEEEEE10hipError_tT0_T1_T2_jT3_P12ihipStream_tbPNSt15iterator_traitsISG_E10value_typeEPNSM_ISH_E10value_typeEPSI_NS1_7vsmem_tEENKUlT_SG_SH_SI_E_clIS7_S7_PlSB_EESF_SV_SG_SH_SI_EUlSV_E1_NS1_11comp_targetILNS1_3genE4ELNS1_11target_archE910ELNS1_3gpuE8ELNS1_3repE0EEENS1_36merge_oddeven_config_static_selectorELNS0_4arch9wavefront6targetE1EEEvSH_.num_vgpr, 0
	.set _ZN7rocprim17ROCPRIM_400000_NS6detail17trampoline_kernelINS0_14default_configENS1_38merge_sort_block_merge_config_selectorIslEEZZNS1_27merge_sort_block_merge_implIS3_PsN6thrust23THRUST_200600_302600_NS10device_ptrIlEEjNS1_19radix_merge_compareILb0ELb1EsNS0_19identity_decomposerEEEEE10hipError_tT0_T1_T2_jT3_P12ihipStream_tbPNSt15iterator_traitsISG_E10value_typeEPNSM_ISH_E10value_typeEPSI_NS1_7vsmem_tEENKUlT_SG_SH_SI_E_clIS7_S7_PlSB_EESF_SV_SG_SH_SI_EUlSV_E1_NS1_11comp_targetILNS1_3genE4ELNS1_11target_archE910ELNS1_3gpuE8ELNS1_3repE0EEENS1_36merge_oddeven_config_static_selectorELNS0_4arch9wavefront6targetE1EEEvSH_.num_agpr, 0
	.set _ZN7rocprim17ROCPRIM_400000_NS6detail17trampoline_kernelINS0_14default_configENS1_38merge_sort_block_merge_config_selectorIslEEZZNS1_27merge_sort_block_merge_implIS3_PsN6thrust23THRUST_200600_302600_NS10device_ptrIlEEjNS1_19radix_merge_compareILb0ELb1EsNS0_19identity_decomposerEEEEE10hipError_tT0_T1_T2_jT3_P12ihipStream_tbPNSt15iterator_traitsISG_E10value_typeEPNSM_ISH_E10value_typeEPSI_NS1_7vsmem_tEENKUlT_SG_SH_SI_E_clIS7_S7_PlSB_EESF_SV_SG_SH_SI_EUlSV_E1_NS1_11comp_targetILNS1_3genE4ELNS1_11target_archE910ELNS1_3gpuE8ELNS1_3repE0EEENS1_36merge_oddeven_config_static_selectorELNS0_4arch9wavefront6targetE1EEEvSH_.numbered_sgpr, 0
	.set _ZN7rocprim17ROCPRIM_400000_NS6detail17trampoline_kernelINS0_14default_configENS1_38merge_sort_block_merge_config_selectorIslEEZZNS1_27merge_sort_block_merge_implIS3_PsN6thrust23THRUST_200600_302600_NS10device_ptrIlEEjNS1_19radix_merge_compareILb0ELb1EsNS0_19identity_decomposerEEEEE10hipError_tT0_T1_T2_jT3_P12ihipStream_tbPNSt15iterator_traitsISG_E10value_typeEPNSM_ISH_E10value_typeEPSI_NS1_7vsmem_tEENKUlT_SG_SH_SI_E_clIS7_S7_PlSB_EESF_SV_SG_SH_SI_EUlSV_E1_NS1_11comp_targetILNS1_3genE4ELNS1_11target_archE910ELNS1_3gpuE8ELNS1_3repE0EEENS1_36merge_oddeven_config_static_selectorELNS0_4arch9wavefront6targetE1EEEvSH_.num_named_barrier, 0
	.set _ZN7rocprim17ROCPRIM_400000_NS6detail17trampoline_kernelINS0_14default_configENS1_38merge_sort_block_merge_config_selectorIslEEZZNS1_27merge_sort_block_merge_implIS3_PsN6thrust23THRUST_200600_302600_NS10device_ptrIlEEjNS1_19radix_merge_compareILb0ELb1EsNS0_19identity_decomposerEEEEE10hipError_tT0_T1_T2_jT3_P12ihipStream_tbPNSt15iterator_traitsISG_E10value_typeEPNSM_ISH_E10value_typeEPSI_NS1_7vsmem_tEENKUlT_SG_SH_SI_E_clIS7_S7_PlSB_EESF_SV_SG_SH_SI_EUlSV_E1_NS1_11comp_targetILNS1_3genE4ELNS1_11target_archE910ELNS1_3gpuE8ELNS1_3repE0EEENS1_36merge_oddeven_config_static_selectorELNS0_4arch9wavefront6targetE1EEEvSH_.private_seg_size, 0
	.set _ZN7rocprim17ROCPRIM_400000_NS6detail17trampoline_kernelINS0_14default_configENS1_38merge_sort_block_merge_config_selectorIslEEZZNS1_27merge_sort_block_merge_implIS3_PsN6thrust23THRUST_200600_302600_NS10device_ptrIlEEjNS1_19radix_merge_compareILb0ELb1EsNS0_19identity_decomposerEEEEE10hipError_tT0_T1_T2_jT3_P12ihipStream_tbPNSt15iterator_traitsISG_E10value_typeEPNSM_ISH_E10value_typeEPSI_NS1_7vsmem_tEENKUlT_SG_SH_SI_E_clIS7_S7_PlSB_EESF_SV_SG_SH_SI_EUlSV_E1_NS1_11comp_targetILNS1_3genE4ELNS1_11target_archE910ELNS1_3gpuE8ELNS1_3repE0EEENS1_36merge_oddeven_config_static_selectorELNS0_4arch9wavefront6targetE1EEEvSH_.uses_vcc, 0
	.set _ZN7rocprim17ROCPRIM_400000_NS6detail17trampoline_kernelINS0_14default_configENS1_38merge_sort_block_merge_config_selectorIslEEZZNS1_27merge_sort_block_merge_implIS3_PsN6thrust23THRUST_200600_302600_NS10device_ptrIlEEjNS1_19radix_merge_compareILb0ELb1EsNS0_19identity_decomposerEEEEE10hipError_tT0_T1_T2_jT3_P12ihipStream_tbPNSt15iterator_traitsISG_E10value_typeEPNSM_ISH_E10value_typeEPSI_NS1_7vsmem_tEENKUlT_SG_SH_SI_E_clIS7_S7_PlSB_EESF_SV_SG_SH_SI_EUlSV_E1_NS1_11comp_targetILNS1_3genE4ELNS1_11target_archE910ELNS1_3gpuE8ELNS1_3repE0EEENS1_36merge_oddeven_config_static_selectorELNS0_4arch9wavefront6targetE1EEEvSH_.uses_flat_scratch, 0
	.set _ZN7rocprim17ROCPRIM_400000_NS6detail17trampoline_kernelINS0_14default_configENS1_38merge_sort_block_merge_config_selectorIslEEZZNS1_27merge_sort_block_merge_implIS3_PsN6thrust23THRUST_200600_302600_NS10device_ptrIlEEjNS1_19radix_merge_compareILb0ELb1EsNS0_19identity_decomposerEEEEE10hipError_tT0_T1_T2_jT3_P12ihipStream_tbPNSt15iterator_traitsISG_E10value_typeEPNSM_ISH_E10value_typeEPSI_NS1_7vsmem_tEENKUlT_SG_SH_SI_E_clIS7_S7_PlSB_EESF_SV_SG_SH_SI_EUlSV_E1_NS1_11comp_targetILNS1_3genE4ELNS1_11target_archE910ELNS1_3gpuE8ELNS1_3repE0EEENS1_36merge_oddeven_config_static_selectorELNS0_4arch9wavefront6targetE1EEEvSH_.has_dyn_sized_stack, 0
	.set _ZN7rocprim17ROCPRIM_400000_NS6detail17trampoline_kernelINS0_14default_configENS1_38merge_sort_block_merge_config_selectorIslEEZZNS1_27merge_sort_block_merge_implIS3_PsN6thrust23THRUST_200600_302600_NS10device_ptrIlEEjNS1_19radix_merge_compareILb0ELb1EsNS0_19identity_decomposerEEEEE10hipError_tT0_T1_T2_jT3_P12ihipStream_tbPNSt15iterator_traitsISG_E10value_typeEPNSM_ISH_E10value_typeEPSI_NS1_7vsmem_tEENKUlT_SG_SH_SI_E_clIS7_S7_PlSB_EESF_SV_SG_SH_SI_EUlSV_E1_NS1_11comp_targetILNS1_3genE4ELNS1_11target_archE910ELNS1_3gpuE8ELNS1_3repE0EEENS1_36merge_oddeven_config_static_selectorELNS0_4arch9wavefront6targetE1EEEvSH_.has_recursion, 0
	.set _ZN7rocprim17ROCPRIM_400000_NS6detail17trampoline_kernelINS0_14default_configENS1_38merge_sort_block_merge_config_selectorIslEEZZNS1_27merge_sort_block_merge_implIS3_PsN6thrust23THRUST_200600_302600_NS10device_ptrIlEEjNS1_19radix_merge_compareILb0ELb1EsNS0_19identity_decomposerEEEEE10hipError_tT0_T1_T2_jT3_P12ihipStream_tbPNSt15iterator_traitsISG_E10value_typeEPNSM_ISH_E10value_typeEPSI_NS1_7vsmem_tEENKUlT_SG_SH_SI_E_clIS7_S7_PlSB_EESF_SV_SG_SH_SI_EUlSV_E1_NS1_11comp_targetILNS1_3genE4ELNS1_11target_archE910ELNS1_3gpuE8ELNS1_3repE0EEENS1_36merge_oddeven_config_static_selectorELNS0_4arch9wavefront6targetE1EEEvSH_.has_indirect_call, 0
	.section	.AMDGPU.csdata,"",@progbits
; Kernel info:
; codeLenInByte = 0
; TotalNumSgprs: 4
; NumVgprs: 0
; ScratchSize: 0
; MemoryBound: 0
; FloatMode: 240
; IeeeMode: 1
; LDSByteSize: 0 bytes/workgroup (compile time only)
; SGPRBlocks: 0
; VGPRBlocks: 0
; NumSGPRsForWavesPerEU: 4
; NumVGPRsForWavesPerEU: 1
; Occupancy: 10
; WaveLimiterHint : 0
; COMPUTE_PGM_RSRC2:SCRATCH_EN: 0
; COMPUTE_PGM_RSRC2:USER_SGPR: 6
; COMPUTE_PGM_RSRC2:TRAP_HANDLER: 0
; COMPUTE_PGM_RSRC2:TGID_X_EN: 1
; COMPUTE_PGM_RSRC2:TGID_Y_EN: 0
; COMPUTE_PGM_RSRC2:TGID_Z_EN: 0
; COMPUTE_PGM_RSRC2:TIDIG_COMP_CNT: 0
	.section	.text._ZN7rocprim17ROCPRIM_400000_NS6detail17trampoline_kernelINS0_14default_configENS1_38merge_sort_block_merge_config_selectorIslEEZZNS1_27merge_sort_block_merge_implIS3_PsN6thrust23THRUST_200600_302600_NS10device_ptrIlEEjNS1_19radix_merge_compareILb0ELb1EsNS0_19identity_decomposerEEEEE10hipError_tT0_T1_T2_jT3_P12ihipStream_tbPNSt15iterator_traitsISG_E10value_typeEPNSM_ISH_E10value_typeEPSI_NS1_7vsmem_tEENKUlT_SG_SH_SI_E_clIS7_S7_PlSB_EESF_SV_SG_SH_SI_EUlSV_E1_NS1_11comp_targetILNS1_3genE3ELNS1_11target_archE908ELNS1_3gpuE7ELNS1_3repE0EEENS1_36merge_oddeven_config_static_selectorELNS0_4arch9wavefront6targetE1EEEvSH_,"axG",@progbits,_ZN7rocprim17ROCPRIM_400000_NS6detail17trampoline_kernelINS0_14default_configENS1_38merge_sort_block_merge_config_selectorIslEEZZNS1_27merge_sort_block_merge_implIS3_PsN6thrust23THRUST_200600_302600_NS10device_ptrIlEEjNS1_19radix_merge_compareILb0ELb1EsNS0_19identity_decomposerEEEEE10hipError_tT0_T1_T2_jT3_P12ihipStream_tbPNSt15iterator_traitsISG_E10value_typeEPNSM_ISH_E10value_typeEPSI_NS1_7vsmem_tEENKUlT_SG_SH_SI_E_clIS7_S7_PlSB_EESF_SV_SG_SH_SI_EUlSV_E1_NS1_11comp_targetILNS1_3genE3ELNS1_11target_archE908ELNS1_3gpuE7ELNS1_3repE0EEENS1_36merge_oddeven_config_static_selectorELNS0_4arch9wavefront6targetE1EEEvSH_,comdat
	.protected	_ZN7rocprim17ROCPRIM_400000_NS6detail17trampoline_kernelINS0_14default_configENS1_38merge_sort_block_merge_config_selectorIslEEZZNS1_27merge_sort_block_merge_implIS3_PsN6thrust23THRUST_200600_302600_NS10device_ptrIlEEjNS1_19radix_merge_compareILb0ELb1EsNS0_19identity_decomposerEEEEE10hipError_tT0_T1_T2_jT3_P12ihipStream_tbPNSt15iterator_traitsISG_E10value_typeEPNSM_ISH_E10value_typeEPSI_NS1_7vsmem_tEENKUlT_SG_SH_SI_E_clIS7_S7_PlSB_EESF_SV_SG_SH_SI_EUlSV_E1_NS1_11comp_targetILNS1_3genE3ELNS1_11target_archE908ELNS1_3gpuE7ELNS1_3repE0EEENS1_36merge_oddeven_config_static_selectorELNS0_4arch9wavefront6targetE1EEEvSH_ ; -- Begin function _ZN7rocprim17ROCPRIM_400000_NS6detail17trampoline_kernelINS0_14default_configENS1_38merge_sort_block_merge_config_selectorIslEEZZNS1_27merge_sort_block_merge_implIS3_PsN6thrust23THRUST_200600_302600_NS10device_ptrIlEEjNS1_19radix_merge_compareILb0ELb1EsNS0_19identity_decomposerEEEEE10hipError_tT0_T1_T2_jT3_P12ihipStream_tbPNSt15iterator_traitsISG_E10value_typeEPNSM_ISH_E10value_typeEPSI_NS1_7vsmem_tEENKUlT_SG_SH_SI_E_clIS7_S7_PlSB_EESF_SV_SG_SH_SI_EUlSV_E1_NS1_11comp_targetILNS1_3genE3ELNS1_11target_archE908ELNS1_3gpuE7ELNS1_3repE0EEENS1_36merge_oddeven_config_static_selectorELNS0_4arch9wavefront6targetE1EEEvSH_
	.globl	_ZN7rocprim17ROCPRIM_400000_NS6detail17trampoline_kernelINS0_14default_configENS1_38merge_sort_block_merge_config_selectorIslEEZZNS1_27merge_sort_block_merge_implIS3_PsN6thrust23THRUST_200600_302600_NS10device_ptrIlEEjNS1_19radix_merge_compareILb0ELb1EsNS0_19identity_decomposerEEEEE10hipError_tT0_T1_T2_jT3_P12ihipStream_tbPNSt15iterator_traitsISG_E10value_typeEPNSM_ISH_E10value_typeEPSI_NS1_7vsmem_tEENKUlT_SG_SH_SI_E_clIS7_S7_PlSB_EESF_SV_SG_SH_SI_EUlSV_E1_NS1_11comp_targetILNS1_3genE3ELNS1_11target_archE908ELNS1_3gpuE7ELNS1_3repE0EEENS1_36merge_oddeven_config_static_selectorELNS0_4arch9wavefront6targetE1EEEvSH_
	.p2align	8
	.type	_ZN7rocprim17ROCPRIM_400000_NS6detail17trampoline_kernelINS0_14default_configENS1_38merge_sort_block_merge_config_selectorIslEEZZNS1_27merge_sort_block_merge_implIS3_PsN6thrust23THRUST_200600_302600_NS10device_ptrIlEEjNS1_19radix_merge_compareILb0ELb1EsNS0_19identity_decomposerEEEEE10hipError_tT0_T1_T2_jT3_P12ihipStream_tbPNSt15iterator_traitsISG_E10value_typeEPNSM_ISH_E10value_typeEPSI_NS1_7vsmem_tEENKUlT_SG_SH_SI_E_clIS7_S7_PlSB_EESF_SV_SG_SH_SI_EUlSV_E1_NS1_11comp_targetILNS1_3genE3ELNS1_11target_archE908ELNS1_3gpuE7ELNS1_3repE0EEENS1_36merge_oddeven_config_static_selectorELNS0_4arch9wavefront6targetE1EEEvSH_,@function
_ZN7rocprim17ROCPRIM_400000_NS6detail17trampoline_kernelINS0_14default_configENS1_38merge_sort_block_merge_config_selectorIslEEZZNS1_27merge_sort_block_merge_implIS3_PsN6thrust23THRUST_200600_302600_NS10device_ptrIlEEjNS1_19radix_merge_compareILb0ELb1EsNS0_19identity_decomposerEEEEE10hipError_tT0_T1_T2_jT3_P12ihipStream_tbPNSt15iterator_traitsISG_E10value_typeEPNSM_ISH_E10value_typeEPSI_NS1_7vsmem_tEENKUlT_SG_SH_SI_E_clIS7_S7_PlSB_EESF_SV_SG_SH_SI_EUlSV_E1_NS1_11comp_targetILNS1_3genE3ELNS1_11target_archE908ELNS1_3gpuE7ELNS1_3repE0EEENS1_36merge_oddeven_config_static_selectorELNS0_4arch9wavefront6targetE1EEEvSH_: ; @_ZN7rocprim17ROCPRIM_400000_NS6detail17trampoline_kernelINS0_14default_configENS1_38merge_sort_block_merge_config_selectorIslEEZZNS1_27merge_sort_block_merge_implIS3_PsN6thrust23THRUST_200600_302600_NS10device_ptrIlEEjNS1_19radix_merge_compareILb0ELb1EsNS0_19identity_decomposerEEEEE10hipError_tT0_T1_T2_jT3_P12ihipStream_tbPNSt15iterator_traitsISG_E10value_typeEPNSM_ISH_E10value_typeEPSI_NS1_7vsmem_tEENKUlT_SG_SH_SI_E_clIS7_S7_PlSB_EESF_SV_SG_SH_SI_EUlSV_E1_NS1_11comp_targetILNS1_3genE3ELNS1_11target_archE908ELNS1_3gpuE7ELNS1_3repE0EEENS1_36merge_oddeven_config_static_selectorELNS0_4arch9wavefront6targetE1EEEvSH_
; %bb.0:
	.section	.rodata,"a",@progbits
	.p2align	6, 0x0
	.amdhsa_kernel _ZN7rocprim17ROCPRIM_400000_NS6detail17trampoline_kernelINS0_14default_configENS1_38merge_sort_block_merge_config_selectorIslEEZZNS1_27merge_sort_block_merge_implIS3_PsN6thrust23THRUST_200600_302600_NS10device_ptrIlEEjNS1_19radix_merge_compareILb0ELb1EsNS0_19identity_decomposerEEEEE10hipError_tT0_T1_T2_jT3_P12ihipStream_tbPNSt15iterator_traitsISG_E10value_typeEPNSM_ISH_E10value_typeEPSI_NS1_7vsmem_tEENKUlT_SG_SH_SI_E_clIS7_S7_PlSB_EESF_SV_SG_SH_SI_EUlSV_E1_NS1_11comp_targetILNS1_3genE3ELNS1_11target_archE908ELNS1_3gpuE7ELNS1_3repE0EEENS1_36merge_oddeven_config_static_selectorELNS0_4arch9wavefront6targetE1EEEvSH_
		.amdhsa_group_segment_fixed_size 0
		.amdhsa_private_segment_fixed_size 0
		.amdhsa_kernarg_size 48
		.amdhsa_user_sgpr_count 6
		.amdhsa_user_sgpr_private_segment_buffer 1
		.amdhsa_user_sgpr_dispatch_ptr 0
		.amdhsa_user_sgpr_queue_ptr 0
		.amdhsa_user_sgpr_kernarg_segment_ptr 1
		.amdhsa_user_sgpr_dispatch_id 0
		.amdhsa_user_sgpr_flat_scratch_init 0
		.amdhsa_user_sgpr_private_segment_size 0
		.amdhsa_uses_dynamic_stack 0
		.amdhsa_system_sgpr_private_segment_wavefront_offset 0
		.amdhsa_system_sgpr_workgroup_id_x 1
		.amdhsa_system_sgpr_workgroup_id_y 0
		.amdhsa_system_sgpr_workgroup_id_z 0
		.amdhsa_system_sgpr_workgroup_info 0
		.amdhsa_system_vgpr_workitem_id 0
		.amdhsa_next_free_vgpr 1
		.amdhsa_next_free_sgpr 0
		.amdhsa_reserve_vcc 0
		.amdhsa_reserve_flat_scratch 0
		.amdhsa_float_round_mode_32 0
		.amdhsa_float_round_mode_16_64 0
		.amdhsa_float_denorm_mode_32 3
		.amdhsa_float_denorm_mode_16_64 3
		.amdhsa_dx10_clamp 1
		.amdhsa_ieee_mode 1
		.amdhsa_fp16_overflow 0
		.amdhsa_exception_fp_ieee_invalid_op 0
		.amdhsa_exception_fp_denorm_src 0
		.amdhsa_exception_fp_ieee_div_zero 0
		.amdhsa_exception_fp_ieee_overflow 0
		.amdhsa_exception_fp_ieee_underflow 0
		.amdhsa_exception_fp_ieee_inexact 0
		.amdhsa_exception_int_div_zero 0
	.end_amdhsa_kernel
	.section	.text._ZN7rocprim17ROCPRIM_400000_NS6detail17trampoline_kernelINS0_14default_configENS1_38merge_sort_block_merge_config_selectorIslEEZZNS1_27merge_sort_block_merge_implIS3_PsN6thrust23THRUST_200600_302600_NS10device_ptrIlEEjNS1_19radix_merge_compareILb0ELb1EsNS0_19identity_decomposerEEEEE10hipError_tT0_T1_T2_jT3_P12ihipStream_tbPNSt15iterator_traitsISG_E10value_typeEPNSM_ISH_E10value_typeEPSI_NS1_7vsmem_tEENKUlT_SG_SH_SI_E_clIS7_S7_PlSB_EESF_SV_SG_SH_SI_EUlSV_E1_NS1_11comp_targetILNS1_3genE3ELNS1_11target_archE908ELNS1_3gpuE7ELNS1_3repE0EEENS1_36merge_oddeven_config_static_selectorELNS0_4arch9wavefront6targetE1EEEvSH_,"axG",@progbits,_ZN7rocprim17ROCPRIM_400000_NS6detail17trampoline_kernelINS0_14default_configENS1_38merge_sort_block_merge_config_selectorIslEEZZNS1_27merge_sort_block_merge_implIS3_PsN6thrust23THRUST_200600_302600_NS10device_ptrIlEEjNS1_19radix_merge_compareILb0ELb1EsNS0_19identity_decomposerEEEEE10hipError_tT0_T1_T2_jT3_P12ihipStream_tbPNSt15iterator_traitsISG_E10value_typeEPNSM_ISH_E10value_typeEPSI_NS1_7vsmem_tEENKUlT_SG_SH_SI_E_clIS7_S7_PlSB_EESF_SV_SG_SH_SI_EUlSV_E1_NS1_11comp_targetILNS1_3genE3ELNS1_11target_archE908ELNS1_3gpuE7ELNS1_3repE0EEENS1_36merge_oddeven_config_static_selectorELNS0_4arch9wavefront6targetE1EEEvSH_,comdat
.Lfunc_end1352:
	.size	_ZN7rocprim17ROCPRIM_400000_NS6detail17trampoline_kernelINS0_14default_configENS1_38merge_sort_block_merge_config_selectorIslEEZZNS1_27merge_sort_block_merge_implIS3_PsN6thrust23THRUST_200600_302600_NS10device_ptrIlEEjNS1_19radix_merge_compareILb0ELb1EsNS0_19identity_decomposerEEEEE10hipError_tT0_T1_T2_jT3_P12ihipStream_tbPNSt15iterator_traitsISG_E10value_typeEPNSM_ISH_E10value_typeEPSI_NS1_7vsmem_tEENKUlT_SG_SH_SI_E_clIS7_S7_PlSB_EESF_SV_SG_SH_SI_EUlSV_E1_NS1_11comp_targetILNS1_3genE3ELNS1_11target_archE908ELNS1_3gpuE7ELNS1_3repE0EEENS1_36merge_oddeven_config_static_selectorELNS0_4arch9wavefront6targetE1EEEvSH_, .Lfunc_end1352-_ZN7rocprim17ROCPRIM_400000_NS6detail17trampoline_kernelINS0_14default_configENS1_38merge_sort_block_merge_config_selectorIslEEZZNS1_27merge_sort_block_merge_implIS3_PsN6thrust23THRUST_200600_302600_NS10device_ptrIlEEjNS1_19radix_merge_compareILb0ELb1EsNS0_19identity_decomposerEEEEE10hipError_tT0_T1_T2_jT3_P12ihipStream_tbPNSt15iterator_traitsISG_E10value_typeEPNSM_ISH_E10value_typeEPSI_NS1_7vsmem_tEENKUlT_SG_SH_SI_E_clIS7_S7_PlSB_EESF_SV_SG_SH_SI_EUlSV_E1_NS1_11comp_targetILNS1_3genE3ELNS1_11target_archE908ELNS1_3gpuE7ELNS1_3repE0EEENS1_36merge_oddeven_config_static_selectorELNS0_4arch9wavefront6targetE1EEEvSH_
                                        ; -- End function
	.set _ZN7rocprim17ROCPRIM_400000_NS6detail17trampoline_kernelINS0_14default_configENS1_38merge_sort_block_merge_config_selectorIslEEZZNS1_27merge_sort_block_merge_implIS3_PsN6thrust23THRUST_200600_302600_NS10device_ptrIlEEjNS1_19radix_merge_compareILb0ELb1EsNS0_19identity_decomposerEEEEE10hipError_tT0_T1_T2_jT3_P12ihipStream_tbPNSt15iterator_traitsISG_E10value_typeEPNSM_ISH_E10value_typeEPSI_NS1_7vsmem_tEENKUlT_SG_SH_SI_E_clIS7_S7_PlSB_EESF_SV_SG_SH_SI_EUlSV_E1_NS1_11comp_targetILNS1_3genE3ELNS1_11target_archE908ELNS1_3gpuE7ELNS1_3repE0EEENS1_36merge_oddeven_config_static_selectorELNS0_4arch9wavefront6targetE1EEEvSH_.num_vgpr, 0
	.set _ZN7rocprim17ROCPRIM_400000_NS6detail17trampoline_kernelINS0_14default_configENS1_38merge_sort_block_merge_config_selectorIslEEZZNS1_27merge_sort_block_merge_implIS3_PsN6thrust23THRUST_200600_302600_NS10device_ptrIlEEjNS1_19radix_merge_compareILb0ELb1EsNS0_19identity_decomposerEEEEE10hipError_tT0_T1_T2_jT3_P12ihipStream_tbPNSt15iterator_traitsISG_E10value_typeEPNSM_ISH_E10value_typeEPSI_NS1_7vsmem_tEENKUlT_SG_SH_SI_E_clIS7_S7_PlSB_EESF_SV_SG_SH_SI_EUlSV_E1_NS1_11comp_targetILNS1_3genE3ELNS1_11target_archE908ELNS1_3gpuE7ELNS1_3repE0EEENS1_36merge_oddeven_config_static_selectorELNS0_4arch9wavefront6targetE1EEEvSH_.num_agpr, 0
	.set _ZN7rocprim17ROCPRIM_400000_NS6detail17trampoline_kernelINS0_14default_configENS1_38merge_sort_block_merge_config_selectorIslEEZZNS1_27merge_sort_block_merge_implIS3_PsN6thrust23THRUST_200600_302600_NS10device_ptrIlEEjNS1_19radix_merge_compareILb0ELb1EsNS0_19identity_decomposerEEEEE10hipError_tT0_T1_T2_jT3_P12ihipStream_tbPNSt15iterator_traitsISG_E10value_typeEPNSM_ISH_E10value_typeEPSI_NS1_7vsmem_tEENKUlT_SG_SH_SI_E_clIS7_S7_PlSB_EESF_SV_SG_SH_SI_EUlSV_E1_NS1_11comp_targetILNS1_3genE3ELNS1_11target_archE908ELNS1_3gpuE7ELNS1_3repE0EEENS1_36merge_oddeven_config_static_selectorELNS0_4arch9wavefront6targetE1EEEvSH_.numbered_sgpr, 0
	.set _ZN7rocprim17ROCPRIM_400000_NS6detail17trampoline_kernelINS0_14default_configENS1_38merge_sort_block_merge_config_selectorIslEEZZNS1_27merge_sort_block_merge_implIS3_PsN6thrust23THRUST_200600_302600_NS10device_ptrIlEEjNS1_19radix_merge_compareILb0ELb1EsNS0_19identity_decomposerEEEEE10hipError_tT0_T1_T2_jT3_P12ihipStream_tbPNSt15iterator_traitsISG_E10value_typeEPNSM_ISH_E10value_typeEPSI_NS1_7vsmem_tEENKUlT_SG_SH_SI_E_clIS7_S7_PlSB_EESF_SV_SG_SH_SI_EUlSV_E1_NS1_11comp_targetILNS1_3genE3ELNS1_11target_archE908ELNS1_3gpuE7ELNS1_3repE0EEENS1_36merge_oddeven_config_static_selectorELNS0_4arch9wavefront6targetE1EEEvSH_.num_named_barrier, 0
	.set _ZN7rocprim17ROCPRIM_400000_NS6detail17trampoline_kernelINS0_14default_configENS1_38merge_sort_block_merge_config_selectorIslEEZZNS1_27merge_sort_block_merge_implIS3_PsN6thrust23THRUST_200600_302600_NS10device_ptrIlEEjNS1_19radix_merge_compareILb0ELb1EsNS0_19identity_decomposerEEEEE10hipError_tT0_T1_T2_jT3_P12ihipStream_tbPNSt15iterator_traitsISG_E10value_typeEPNSM_ISH_E10value_typeEPSI_NS1_7vsmem_tEENKUlT_SG_SH_SI_E_clIS7_S7_PlSB_EESF_SV_SG_SH_SI_EUlSV_E1_NS1_11comp_targetILNS1_3genE3ELNS1_11target_archE908ELNS1_3gpuE7ELNS1_3repE0EEENS1_36merge_oddeven_config_static_selectorELNS0_4arch9wavefront6targetE1EEEvSH_.private_seg_size, 0
	.set _ZN7rocprim17ROCPRIM_400000_NS6detail17trampoline_kernelINS0_14default_configENS1_38merge_sort_block_merge_config_selectorIslEEZZNS1_27merge_sort_block_merge_implIS3_PsN6thrust23THRUST_200600_302600_NS10device_ptrIlEEjNS1_19radix_merge_compareILb0ELb1EsNS0_19identity_decomposerEEEEE10hipError_tT0_T1_T2_jT3_P12ihipStream_tbPNSt15iterator_traitsISG_E10value_typeEPNSM_ISH_E10value_typeEPSI_NS1_7vsmem_tEENKUlT_SG_SH_SI_E_clIS7_S7_PlSB_EESF_SV_SG_SH_SI_EUlSV_E1_NS1_11comp_targetILNS1_3genE3ELNS1_11target_archE908ELNS1_3gpuE7ELNS1_3repE0EEENS1_36merge_oddeven_config_static_selectorELNS0_4arch9wavefront6targetE1EEEvSH_.uses_vcc, 0
	.set _ZN7rocprim17ROCPRIM_400000_NS6detail17trampoline_kernelINS0_14default_configENS1_38merge_sort_block_merge_config_selectorIslEEZZNS1_27merge_sort_block_merge_implIS3_PsN6thrust23THRUST_200600_302600_NS10device_ptrIlEEjNS1_19radix_merge_compareILb0ELb1EsNS0_19identity_decomposerEEEEE10hipError_tT0_T1_T2_jT3_P12ihipStream_tbPNSt15iterator_traitsISG_E10value_typeEPNSM_ISH_E10value_typeEPSI_NS1_7vsmem_tEENKUlT_SG_SH_SI_E_clIS7_S7_PlSB_EESF_SV_SG_SH_SI_EUlSV_E1_NS1_11comp_targetILNS1_3genE3ELNS1_11target_archE908ELNS1_3gpuE7ELNS1_3repE0EEENS1_36merge_oddeven_config_static_selectorELNS0_4arch9wavefront6targetE1EEEvSH_.uses_flat_scratch, 0
	.set _ZN7rocprim17ROCPRIM_400000_NS6detail17trampoline_kernelINS0_14default_configENS1_38merge_sort_block_merge_config_selectorIslEEZZNS1_27merge_sort_block_merge_implIS3_PsN6thrust23THRUST_200600_302600_NS10device_ptrIlEEjNS1_19radix_merge_compareILb0ELb1EsNS0_19identity_decomposerEEEEE10hipError_tT0_T1_T2_jT3_P12ihipStream_tbPNSt15iterator_traitsISG_E10value_typeEPNSM_ISH_E10value_typeEPSI_NS1_7vsmem_tEENKUlT_SG_SH_SI_E_clIS7_S7_PlSB_EESF_SV_SG_SH_SI_EUlSV_E1_NS1_11comp_targetILNS1_3genE3ELNS1_11target_archE908ELNS1_3gpuE7ELNS1_3repE0EEENS1_36merge_oddeven_config_static_selectorELNS0_4arch9wavefront6targetE1EEEvSH_.has_dyn_sized_stack, 0
	.set _ZN7rocprim17ROCPRIM_400000_NS6detail17trampoline_kernelINS0_14default_configENS1_38merge_sort_block_merge_config_selectorIslEEZZNS1_27merge_sort_block_merge_implIS3_PsN6thrust23THRUST_200600_302600_NS10device_ptrIlEEjNS1_19radix_merge_compareILb0ELb1EsNS0_19identity_decomposerEEEEE10hipError_tT0_T1_T2_jT3_P12ihipStream_tbPNSt15iterator_traitsISG_E10value_typeEPNSM_ISH_E10value_typeEPSI_NS1_7vsmem_tEENKUlT_SG_SH_SI_E_clIS7_S7_PlSB_EESF_SV_SG_SH_SI_EUlSV_E1_NS1_11comp_targetILNS1_3genE3ELNS1_11target_archE908ELNS1_3gpuE7ELNS1_3repE0EEENS1_36merge_oddeven_config_static_selectorELNS0_4arch9wavefront6targetE1EEEvSH_.has_recursion, 0
	.set _ZN7rocprim17ROCPRIM_400000_NS6detail17trampoline_kernelINS0_14default_configENS1_38merge_sort_block_merge_config_selectorIslEEZZNS1_27merge_sort_block_merge_implIS3_PsN6thrust23THRUST_200600_302600_NS10device_ptrIlEEjNS1_19radix_merge_compareILb0ELb1EsNS0_19identity_decomposerEEEEE10hipError_tT0_T1_T2_jT3_P12ihipStream_tbPNSt15iterator_traitsISG_E10value_typeEPNSM_ISH_E10value_typeEPSI_NS1_7vsmem_tEENKUlT_SG_SH_SI_E_clIS7_S7_PlSB_EESF_SV_SG_SH_SI_EUlSV_E1_NS1_11comp_targetILNS1_3genE3ELNS1_11target_archE908ELNS1_3gpuE7ELNS1_3repE0EEENS1_36merge_oddeven_config_static_selectorELNS0_4arch9wavefront6targetE1EEEvSH_.has_indirect_call, 0
	.section	.AMDGPU.csdata,"",@progbits
; Kernel info:
; codeLenInByte = 0
; TotalNumSgprs: 4
; NumVgprs: 0
; ScratchSize: 0
; MemoryBound: 0
; FloatMode: 240
; IeeeMode: 1
; LDSByteSize: 0 bytes/workgroup (compile time only)
; SGPRBlocks: 0
; VGPRBlocks: 0
; NumSGPRsForWavesPerEU: 4
; NumVGPRsForWavesPerEU: 1
; Occupancy: 10
; WaveLimiterHint : 0
; COMPUTE_PGM_RSRC2:SCRATCH_EN: 0
; COMPUTE_PGM_RSRC2:USER_SGPR: 6
; COMPUTE_PGM_RSRC2:TRAP_HANDLER: 0
; COMPUTE_PGM_RSRC2:TGID_X_EN: 1
; COMPUTE_PGM_RSRC2:TGID_Y_EN: 0
; COMPUTE_PGM_RSRC2:TGID_Z_EN: 0
; COMPUTE_PGM_RSRC2:TIDIG_COMP_CNT: 0
	.section	.text._ZN7rocprim17ROCPRIM_400000_NS6detail17trampoline_kernelINS0_14default_configENS1_38merge_sort_block_merge_config_selectorIslEEZZNS1_27merge_sort_block_merge_implIS3_PsN6thrust23THRUST_200600_302600_NS10device_ptrIlEEjNS1_19radix_merge_compareILb0ELb1EsNS0_19identity_decomposerEEEEE10hipError_tT0_T1_T2_jT3_P12ihipStream_tbPNSt15iterator_traitsISG_E10value_typeEPNSM_ISH_E10value_typeEPSI_NS1_7vsmem_tEENKUlT_SG_SH_SI_E_clIS7_S7_PlSB_EESF_SV_SG_SH_SI_EUlSV_E1_NS1_11comp_targetILNS1_3genE2ELNS1_11target_archE906ELNS1_3gpuE6ELNS1_3repE0EEENS1_36merge_oddeven_config_static_selectorELNS0_4arch9wavefront6targetE1EEEvSH_,"axG",@progbits,_ZN7rocprim17ROCPRIM_400000_NS6detail17trampoline_kernelINS0_14default_configENS1_38merge_sort_block_merge_config_selectorIslEEZZNS1_27merge_sort_block_merge_implIS3_PsN6thrust23THRUST_200600_302600_NS10device_ptrIlEEjNS1_19radix_merge_compareILb0ELb1EsNS0_19identity_decomposerEEEEE10hipError_tT0_T1_T2_jT3_P12ihipStream_tbPNSt15iterator_traitsISG_E10value_typeEPNSM_ISH_E10value_typeEPSI_NS1_7vsmem_tEENKUlT_SG_SH_SI_E_clIS7_S7_PlSB_EESF_SV_SG_SH_SI_EUlSV_E1_NS1_11comp_targetILNS1_3genE2ELNS1_11target_archE906ELNS1_3gpuE6ELNS1_3repE0EEENS1_36merge_oddeven_config_static_selectorELNS0_4arch9wavefront6targetE1EEEvSH_,comdat
	.protected	_ZN7rocprim17ROCPRIM_400000_NS6detail17trampoline_kernelINS0_14default_configENS1_38merge_sort_block_merge_config_selectorIslEEZZNS1_27merge_sort_block_merge_implIS3_PsN6thrust23THRUST_200600_302600_NS10device_ptrIlEEjNS1_19radix_merge_compareILb0ELb1EsNS0_19identity_decomposerEEEEE10hipError_tT0_T1_T2_jT3_P12ihipStream_tbPNSt15iterator_traitsISG_E10value_typeEPNSM_ISH_E10value_typeEPSI_NS1_7vsmem_tEENKUlT_SG_SH_SI_E_clIS7_S7_PlSB_EESF_SV_SG_SH_SI_EUlSV_E1_NS1_11comp_targetILNS1_3genE2ELNS1_11target_archE906ELNS1_3gpuE6ELNS1_3repE0EEENS1_36merge_oddeven_config_static_selectorELNS0_4arch9wavefront6targetE1EEEvSH_ ; -- Begin function _ZN7rocprim17ROCPRIM_400000_NS6detail17trampoline_kernelINS0_14default_configENS1_38merge_sort_block_merge_config_selectorIslEEZZNS1_27merge_sort_block_merge_implIS3_PsN6thrust23THRUST_200600_302600_NS10device_ptrIlEEjNS1_19radix_merge_compareILb0ELb1EsNS0_19identity_decomposerEEEEE10hipError_tT0_T1_T2_jT3_P12ihipStream_tbPNSt15iterator_traitsISG_E10value_typeEPNSM_ISH_E10value_typeEPSI_NS1_7vsmem_tEENKUlT_SG_SH_SI_E_clIS7_S7_PlSB_EESF_SV_SG_SH_SI_EUlSV_E1_NS1_11comp_targetILNS1_3genE2ELNS1_11target_archE906ELNS1_3gpuE6ELNS1_3repE0EEENS1_36merge_oddeven_config_static_selectorELNS0_4arch9wavefront6targetE1EEEvSH_
	.globl	_ZN7rocprim17ROCPRIM_400000_NS6detail17trampoline_kernelINS0_14default_configENS1_38merge_sort_block_merge_config_selectorIslEEZZNS1_27merge_sort_block_merge_implIS3_PsN6thrust23THRUST_200600_302600_NS10device_ptrIlEEjNS1_19radix_merge_compareILb0ELb1EsNS0_19identity_decomposerEEEEE10hipError_tT0_T1_T2_jT3_P12ihipStream_tbPNSt15iterator_traitsISG_E10value_typeEPNSM_ISH_E10value_typeEPSI_NS1_7vsmem_tEENKUlT_SG_SH_SI_E_clIS7_S7_PlSB_EESF_SV_SG_SH_SI_EUlSV_E1_NS1_11comp_targetILNS1_3genE2ELNS1_11target_archE906ELNS1_3gpuE6ELNS1_3repE0EEENS1_36merge_oddeven_config_static_selectorELNS0_4arch9wavefront6targetE1EEEvSH_
	.p2align	8
	.type	_ZN7rocprim17ROCPRIM_400000_NS6detail17trampoline_kernelINS0_14default_configENS1_38merge_sort_block_merge_config_selectorIslEEZZNS1_27merge_sort_block_merge_implIS3_PsN6thrust23THRUST_200600_302600_NS10device_ptrIlEEjNS1_19radix_merge_compareILb0ELb1EsNS0_19identity_decomposerEEEEE10hipError_tT0_T1_T2_jT3_P12ihipStream_tbPNSt15iterator_traitsISG_E10value_typeEPNSM_ISH_E10value_typeEPSI_NS1_7vsmem_tEENKUlT_SG_SH_SI_E_clIS7_S7_PlSB_EESF_SV_SG_SH_SI_EUlSV_E1_NS1_11comp_targetILNS1_3genE2ELNS1_11target_archE906ELNS1_3gpuE6ELNS1_3repE0EEENS1_36merge_oddeven_config_static_selectorELNS0_4arch9wavefront6targetE1EEEvSH_,@function
_ZN7rocprim17ROCPRIM_400000_NS6detail17trampoline_kernelINS0_14default_configENS1_38merge_sort_block_merge_config_selectorIslEEZZNS1_27merge_sort_block_merge_implIS3_PsN6thrust23THRUST_200600_302600_NS10device_ptrIlEEjNS1_19radix_merge_compareILb0ELb1EsNS0_19identity_decomposerEEEEE10hipError_tT0_T1_T2_jT3_P12ihipStream_tbPNSt15iterator_traitsISG_E10value_typeEPNSM_ISH_E10value_typeEPSI_NS1_7vsmem_tEENKUlT_SG_SH_SI_E_clIS7_S7_PlSB_EESF_SV_SG_SH_SI_EUlSV_E1_NS1_11comp_targetILNS1_3genE2ELNS1_11target_archE906ELNS1_3gpuE6ELNS1_3repE0EEENS1_36merge_oddeven_config_static_selectorELNS0_4arch9wavefront6targetE1EEEvSH_: ; @_ZN7rocprim17ROCPRIM_400000_NS6detail17trampoline_kernelINS0_14default_configENS1_38merge_sort_block_merge_config_selectorIslEEZZNS1_27merge_sort_block_merge_implIS3_PsN6thrust23THRUST_200600_302600_NS10device_ptrIlEEjNS1_19radix_merge_compareILb0ELb1EsNS0_19identity_decomposerEEEEE10hipError_tT0_T1_T2_jT3_P12ihipStream_tbPNSt15iterator_traitsISG_E10value_typeEPNSM_ISH_E10value_typeEPSI_NS1_7vsmem_tEENKUlT_SG_SH_SI_E_clIS7_S7_PlSB_EESF_SV_SG_SH_SI_EUlSV_E1_NS1_11comp_targetILNS1_3genE2ELNS1_11target_archE906ELNS1_3gpuE6ELNS1_3repE0EEENS1_36merge_oddeven_config_static_selectorELNS0_4arch9wavefront6targetE1EEEvSH_
; %bb.0:
	s_load_dword s20, s[4:5], 0x20
	s_waitcnt lgkmcnt(0)
	s_lshr_b32 s0, s20, 8
	s_cmp_eq_u32 s6, s0
	s_cselect_b64 s[16:17], -1, 0
	s_cmp_lg_u32 s6, s0
	s_cselect_b64 s[0:1], -1, 0
	s_lshl_b32 s18, s6, 8
	s_sub_i32 s2, s20, s18
	v_cmp_gt_u32_e64 s[2:3], s2, v0
	s_or_b64 s[0:1], s[0:1], s[2:3]
	s_and_saveexec_b64 s[8:9], s[0:1]
	s_cbranch_execz .LBB1353_24
; %bb.1:
	s_load_dwordx8 s[8:15], s[4:5], 0x0
	s_mov_b32 s19, 0
	s_lshl_b64 s[0:1], s[18:19], 1
	v_lshlrev_b32_e32 v4, 3, v0
	v_lshlrev_b32_e32 v3, 1, v0
	s_waitcnt lgkmcnt(0)
	s_add_u32 s0, s8, s0
	s_addc_u32 s1, s9, s1
	s_lshl_b64 s[22:23], s[18:19], 3
	s_add_u32 s12, s12, s22
	s_addc_u32 s13, s13, s23
	global_load_dwordx2 v[1:2], v4, s[12:13]
	global_load_ushort v5, v3, s[0:1]
	s_load_dword s13, s[4:5], 0x24
	v_add_u32_e32 v3, s18, v0
	s_waitcnt lgkmcnt(0)
	s_lshr_b32 s0, s13, 8
	s_sub_i32 s1, 0, s0
	s_and_b32 s1, s6, s1
	s_and_b32 s0, s1, s0
	s_lshl_b32 s19, s1, 8
	s_sub_i32 s12, 0, s13
	s_cmp_eq_u32 s0, 0
	s_cselect_b64 s[0:1], -1, 0
	s_and_b64 s[6:7], s[0:1], exec
	s_cselect_b32 s12, s13, s12
	s_add_i32 s12, s12, s19
	s_mov_b64 s[6:7], -1
	s_cmp_gt_u32 s20, s12
	s_cbranch_scc1 .LBB1353_9
; %bb.2:
	s_and_b64 vcc, exec, s[16:17]
	s_cbranch_vccz .LBB1353_6
; %bb.3:
	v_cmp_gt_u32_e32 vcc, s20, v3
	s_and_saveexec_b64 s[6:7], vcc
	s_cbranch_execz .LBB1353_5
; %bb.4:
	v_mov_b32_e32 v4, 0
	v_lshlrev_b64 v[6:7], 1, v[3:4]
	v_mov_b32_e32 v0, s11
	v_add_co_u32_e32 v6, vcc, s10, v6
	v_lshlrev_b64 v[8:9], 3, v[3:4]
	v_addc_co_u32_e32 v7, vcc, v0, v7, vcc
	v_mov_b32_e32 v0, s15
	v_add_co_u32_e32 v8, vcc, s14, v8
	v_addc_co_u32_e32 v9, vcc, v0, v9, vcc
	s_waitcnt vmcnt(0)
	global_store_short v[6:7], v5, off
	global_store_dwordx2 v[8:9], v[1:2], off
.LBB1353_5:
	s_or_b64 exec, exec, s[6:7]
	s_mov_b64 s[6:7], 0
.LBB1353_6:
	s_andn2_b64 vcc, exec, s[6:7]
	s_cbranch_vccnz .LBB1353_8
; %bb.7:
	v_mov_b32_e32 v4, 0
	v_lshlrev_b64 v[6:7], 1, v[3:4]
	v_mov_b32_e32 v0, s11
	v_add_co_u32_e32 v6, vcc, s10, v6
	v_lshlrev_b64 v[8:9], 3, v[3:4]
	v_addc_co_u32_e32 v7, vcc, v0, v7, vcc
	v_mov_b32_e32 v0, s15
	v_add_co_u32_e32 v8, vcc, s14, v8
	v_addc_co_u32_e32 v9, vcc, v0, v9, vcc
	s_waitcnt vmcnt(0)
	global_store_short v[6:7], v5, off
	global_store_dwordx2 v[8:9], v[1:2], off
.LBB1353_8:
	s_mov_b64 s[6:7], 0
.LBB1353_9:
	s_andn2_b64 vcc, exec, s[6:7]
	s_cbranch_vccnz .LBB1353_24
; %bb.10:
	s_load_dword s6, s[4:5], 0x28
	s_min_u32 s7, s12, s20
	s_add_i32 s4, s7, s13
	s_min_u32 s13, s4, s20
	s_min_u32 s4, s19, s7
	s_add_i32 s19, s19, s7
	v_subrev_u32_e32 v0, s19, v3
	v_add_u32_e32 v0, s4, v0
	s_waitcnt vmcnt(0) lgkmcnt(0)
	v_and_b32_e32 v3, s6, v5
	s_mov_b64 s[4:5], -1
	s_and_b64 vcc, exec, s[16:17]
	s_cbranch_vccz .LBB1353_18
; %bb.11:
	s_and_saveexec_b64 s[4:5], s[2:3]
	s_cbranch_execz .LBB1353_17
; %bb.12:
	s_cmp_ge_u32 s12, s13
	v_mov_b32_e32 v4, s7
	s_cbranch_scc1 .LBB1353_16
; %bb.13:
	s_mov_b64 s[2:3], 0
	v_mov_b32_e32 v6, s13
	v_mov_b32_e32 v4, s7
.LBB1353_14:                            ; =>This Inner Loop Header: Depth=1
	v_add_u32_e32 v7, v4, v6
	v_and_b32_e32 v8, -2, v7
	global_load_ushort v8, v8, s[8:9]
	v_lshrrev_b32_e32 v7, 1, v7
	v_add_u32_e32 v9, 1, v7
	s_waitcnt vmcnt(0)
	v_and_b32_e32 v8, s6, v8
	v_cmp_gt_i16_e32 vcc, v3, v8
	v_cndmask_b32_e64 v10, 0, 1, vcc
	v_cmp_le_i16_e32 vcc, v8, v3
	v_cndmask_b32_e64 v8, 0, 1, vcc
	v_cndmask_b32_e64 v8, v8, v10, s[0:1]
	v_and_b32_e32 v8, 1, v8
	v_cmp_eq_u32_e32 vcc, 1, v8
	v_cndmask_b32_e32 v6, v7, v6, vcc
	v_cndmask_b32_e32 v4, v4, v9, vcc
	v_cmp_ge_u32_e32 vcc, v4, v6
	s_or_b64 s[2:3], vcc, s[2:3]
	s_andn2_b64 exec, exec, s[2:3]
	s_cbranch_execnz .LBB1353_14
; %bb.15:
	s_or_b64 exec, exec, s[2:3]
.LBB1353_16:
	v_add_u32_e32 v6, v4, v0
	v_mov_b32_e32 v7, 0
	v_lshlrev_b64 v[8:9], 1, v[6:7]
	v_mov_b32_e32 v4, s11
	v_add_co_u32_e32 v8, vcc, s10, v8
	v_lshlrev_b64 v[6:7], 3, v[6:7]
	v_addc_co_u32_e32 v9, vcc, v4, v9, vcc
	v_mov_b32_e32 v4, s15
	v_add_co_u32_e32 v6, vcc, s14, v6
	v_addc_co_u32_e32 v7, vcc, v4, v7, vcc
	global_store_short v[8:9], v5, off
	global_store_dwordx2 v[6:7], v[1:2], off
.LBB1353_17:
	s_or_b64 exec, exec, s[4:5]
	s_mov_b64 s[4:5], 0
.LBB1353_18:
	s_andn2_b64 vcc, exec, s[4:5]
	s_cbranch_vccnz .LBB1353_24
; %bb.19:
	s_cmp_ge_u32 s12, s13
	v_mov_b32_e32 v4, s7
	s_cbranch_scc1 .LBB1353_23
; %bb.20:
	s_mov_b64 s[2:3], 0
	v_mov_b32_e32 v6, s13
	v_mov_b32_e32 v4, s7
.LBB1353_21:                            ; =>This Inner Loop Header: Depth=1
	v_add_u32_e32 v7, v4, v6
	v_and_b32_e32 v8, -2, v7
	global_load_ushort v8, v8, s[8:9]
	v_lshrrev_b32_e32 v7, 1, v7
	v_add_u32_e32 v9, 1, v7
	s_waitcnt vmcnt(0)
	v_and_b32_e32 v8, s6, v8
	v_cmp_gt_i16_e32 vcc, v3, v8
	v_cndmask_b32_e64 v10, 0, 1, vcc
	v_cmp_le_i16_e32 vcc, v8, v3
	v_cndmask_b32_e64 v8, 0, 1, vcc
	v_cndmask_b32_e64 v8, v8, v10, s[0:1]
	v_and_b32_e32 v8, 1, v8
	v_cmp_eq_u32_e32 vcc, 1, v8
	v_cndmask_b32_e32 v6, v7, v6, vcc
	v_cndmask_b32_e32 v4, v4, v9, vcc
	v_cmp_ge_u32_e32 vcc, v4, v6
	s_or_b64 s[2:3], vcc, s[2:3]
	s_andn2_b64 exec, exec, s[2:3]
	s_cbranch_execnz .LBB1353_21
; %bb.22:
	s_or_b64 exec, exec, s[2:3]
.LBB1353_23:
	v_add_u32_e32 v3, v4, v0
	v_mov_b32_e32 v4, 0
	v_lshlrev_b64 v[6:7], 1, v[3:4]
	v_mov_b32_e32 v0, s11
	v_add_co_u32_e32 v6, vcc, s10, v6
	v_lshlrev_b64 v[3:4], 3, v[3:4]
	v_addc_co_u32_e32 v7, vcc, v0, v7, vcc
	v_mov_b32_e32 v0, s15
	v_add_co_u32_e32 v3, vcc, s14, v3
	v_addc_co_u32_e32 v4, vcc, v0, v4, vcc
	global_store_short v[6:7], v5, off
	global_store_dwordx2 v[3:4], v[1:2], off
.LBB1353_24:
	s_endpgm
	.section	.rodata,"a",@progbits
	.p2align	6, 0x0
	.amdhsa_kernel _ZN7rocprim17ROCPRIM_400000_NS6detail17trampoline_kernelINS0_14default_configENS1_38merge_sort_block_merge_config_selectorIslEEZZNS1_27merge_sort_block_merge_implIS3_PsN6thrust23THRUST_200600_302600_NS10device_ptrIlEEjNS1_19radix_merge_compareILb0ELb1EsNS0_19identity_decomposerEEEEE10hipError_tT0_T1_T2_jT3_P12ihipStream_tbPNSt15iterator_traitsISG_E10value_typeEPNSM_ISH_E10value_typeEPSI_NS1_7vsmem_tEENKUlT_SG_SH_SI_E_clIS7_S7_PlSB_EESF_SV_SG_SH_SI_EUlSV_E1_NS1_11comp_targetILNS1_3genE2ELNS1_11target_archE906ELNS1_3gpuE6ELNS1_3repE0EEENS1_36merge_oddeven_config_static_selectorELNS0_4arch9wavefront6targetE1EEEvSH_
		.amdhsa_group_segment_fixed_size 0
		.amdhsa_private_segment_fixed_size 0
		.amdhsa_kernarg_size 48
		.amdhsa_user_sgpr_count 6
		.amdhsa_user_sgpr_private_segment_buffer 1
		.amdhsa_user_sgpr_dispatch_ptr 0
		.amdhsa_user_sgpr_queue_ptr 0
		.amdhsa_user_sgpr_kernarg_segment_ptr 1
		.amdhsa_user_sgpr_dispatch_id 0
		.amdhsa_user_sgpr_flat_scratch_init 0
		.amdhsa_user_sgpr_private_segment_size 0
		.amdhsa_uses_dynamic_stack 0
		.amdhsa_system_sgpr_private_segment_wavefront_offset 0
		.amdhsa_system_sgpr_workgroup_id_x 1
		.amdhsa_system_sgpr_workgroup_id_y 0
		.amdhsa_system_sgpr_workgroup_id_z 0
		.amdhsa_system_sgpr_workgroup_info 0
		.amdhsa_system_vgpr_workitem_id 0
		.amdhsa_next_free_vgpr 11
		.amdhsa_next_free_sgpr 24
		.amdhsa_reserve_vcc 1
		.amdhsa_reserve_flat_scratch 0
		.amdhsa_float_round_mode_32 0
		.amdhsa_float_round_mode_16_64 0
		.amdhsa_float_denorm_mode_32 3
		.amdhsa_float_denorm_mode_16_64 3
		.amdhsa_dx10_clamp 1
		.amdhsa_ieee_mode 1
		.amdhsa_fp16_overflow 0
		.amdhsa_exception_fp_ieee_invalid_op 0
		.amdhsa_exception_fp_denorm_src 0
		.amdhsa_exception_fp_ieee_div_zero 0
		.amdhsa_exception_fp_ieee_overflow 0
		.amdhsa_exception_fp_ieee_underflow 0
		.amdhsa_exception_fp_ieee_inexact 0
		.amdhsa_exception_int_div_zero 0
	.end_amdhsa_kernel
	.section	.text._ZN7rocprim17ROCPRIM_400000_NS6detail17trampoline_kernelINS0_14default_configENS1_38merge_sort_block_merge_config_selectorIslEEZZNS1_27merge_sort_block_merge_implIS3_PsN6thrust23THRUST_200600_302600_NS10device_ptrIlEEjNS1_19radix_merge_compareILb0ELb1EsNS0_19identity_decomposerEEEEE10hipError_tT0_T1_T2_jT3_P12ihipStream_tbPNSt15iterator_traitsISG_E10value_typeEPNSM_ISH_E10value_typeEPSI_NS1_7vsmem_tEENKUlT_SG_SH_SI_E_clIS7_S7_PlSB_EESF_SV_SG_SH_SI_EUlSV_E1_NS1_11comp_targetILNS1_3genE2ELNS1_11target_archE906ELNS1_3gpuE6ELNS1_3repE0EEENS1_36merge_oddeven_config_static_selectorELNS0_4arch9wavefront6targetE1EEEvSH_,"axG",@progbits,_ZN7rocprim17ROCPRIM_400000_NS6detail17trampoline_kernelINS0_14default_configENS1_38merge_sort_block_merge_config_selectorIslEEZZNS1_27merge_sort_block_merge_implIS3_PsN6thrust23THRUST_200600_302600_NS10device_ptrIlEEjNS1_19radix_merge_compareILb0ELb1EsNS0_19identity_decomposerEEEEE10hipError_tT0_T1_T2_jT3_P12ihipStream_tbPNSt15iterator_traitsISG_E10value_typeEPNSM_ISH_E10value_typeEPSI_NS1_7vsmem_tEENKUlT_SG_SH_SI_E_clIS7_S7_PlSB_EESF_SV_SG_SH_SI_EUlSV_E1_NS1_11comp_targetILNS1_3genE2ELNS1_11target_archE906ELNS1_3gpuE6ELNS1_3repE0EEENS1_36merge_oddeven_config_static_selectorELNS0_4arch9wavefront6targetE1EEEvSH_,comdat
.Lfunc_end1353:
	.size	_ZN7rocprim17ROCPRIM_400000_NS6detail17trampoline_kernelINS0_14default_configENS1_38merge_sort_block_merge_config_selectorIslEEZZNS1_27merge_sort_block_merge_implIS3_PsN6thrust23THRUST_200600_302600_NS10device_ptrIlEEjNS1_19radix_merge_compareILb0ELb1EsNS0_19identity_decomposerEEEEE10hipError_tT0_T1_T2_jT3_P12ihipStream_tbPNSt15iterator_traitsISG_E10value_typeEPNSM_ISH_E10value_typeEPSI_NS1_7vsmem_tEENKUlT_SG_SH_SI_E_clIS7_S7_PlSB_EESF_SV_SG_SH_SI_EUlSV_E1_NS1_11comp_targetILNS1_3genE2ELNS1_11target_archE906ELNS1_3gpuE6ELNS1_3repE0EEENS1_36merge_oddeven_config_static_selectorELNS0_4arch9wavefront6targetE1EEEvSH_, .Lfunc_end1353-_ZN7rocprim17ROCPRIM_400000_NS6detail17trampoline_kernelINS0_14default_configENS1_38merge_sort_block_merge_config_selectorIslEEZZNS1_27merge_sort_block_merge_implIS3_PsN6thrust23THRUST_200600_302600_NS10device_ptrIlEEjNS1_19radix_merge_compareILb0ELb1EsNS0_19identity_decomposerEEEEE10hipError_tT0_T1_T2_jT3_P12ihipStream_tbPNSt15iterator_traitsISG_E10value_typeEPNSM_ISH_E10value_typeEPSI_NS1_7vsmem_tEENKUlT_SG_SH_SI_E_clIS7_S7_PlSB_EESF_SV_SG_SH_SI_EUlSV_E1_NS1_11comp_targetILNS1_3genE2ELNS1_11target_archE906ELNS1_3gpuE6ELNS1_3repE0EEENS1_36merge_oddeven_config_static_selectorELNS0_4arch9wavefront6targetE1EEEvSH_
                                        ; -- End function
	.set _ZN7rocprim17ROCPRIM_400000_NS6detail17trampoline_kernelINS0_14default_configENS1_38merge_sort_block_merge_config_selectorIslEEZZNS1_27merge_sort_block_merge_implIS3_PsN6thrust23THRUST_200600_302600_NS10device_ptrIlEEjNS1_19radix_merge_compareILb0ELb1EsNS0_19identity_decomposerEEEEE10hipError_tT0_T1_T2_jT3_P12ihipStream_tbPNSt15iterator_traitsISG_E10value_typeEPNSM_ISH_E10value_typeEPSI_NS1_7vsmem_tEENKUlT_SG_SH_SI_E_clIS7_S7_PlSB_EESF_SV_SG_SH_SI_EUlSV_E1_NS1_11comp_targetILNS1_3genE2ELNS1_11target_archE906ELNS1_3gpuE6ELNS1_3repE0EEENS1_36merge_oddeven_config_static_selectorELNS0_4arch9wavefront6targetE1EEEvSH_.num_vgpr, 11
	.set _ZN7rocprim17ROCPRIM_400000_NS6detail17trampoline_kernelINS0_14default_configENS1_38merge_sort_block_merge_config_selectorIslEEZZNS1_27merge_sort_block_merge_implIS3_PsN6thrust23THRUST_200600_302600_NS10device_ptrIlEEjNS1_19radix_merge_compareILb0ELb1EsNS0_19identity_decomposerEEEEE10hipError_tT0_T1_T2_jT3_P12ihipStream_tbPNSt15iterator_traitsISG_E10value_typeEPNSM_ISH_E10value_typeEPSI_NS1_7vsmem_tEENKUlT_SG_SH_SI_E_clIS7_S7_PlSB_EESF_SV_SG_SH_SI_EUlSV_E1_NS1_11comp_targetILNS1_3genE2ELNS1_11target_archE906ELNS1_3gpuE6ELNS1_3repE0EEENS1_36merge_oddeven_config_static_selectorELNS0_4arch9wavefront6targetE1EEEvSH_.num_agpr, 0
	.set _ZN7rocprim17ROCPRIM_400000_NS6detail17trampoline_kernelINS0_14default_configENS1_38merge_sort_block_merge_config_selectorIslEEZZNS1_27merge_sort_block_merge_implIS3_PsN6thrust23THRUST_200600_302600_NS10device_ptrIlEEjNS1_19radix_merge_compareILb0ELb1EsNS0_19identity_decomposerEEEEE10hipError_tT0_T1_T2_jT3_P12ihipStream_tbPNSt15iterator_traitsISG_E10value_typeEPNSM_ISH_E10value_typeEPSI_NS1_7vsmem_tEENKUlT_SG_SH_SI_E_clIS7_S7_PlSB_EESF_SV_SG_SH_SI_EUlSV_E1_NS1_11comp_targetILNS1_3genE2ELNS1_11target_archE906ELNS1_3gpuE6ELNS1_3repE0EEENS1_36merge_oddeven_config_static_selectorELNS0_4arch9wavefront6targetE1EEEvSH_.numbered_sgpr, 24
	.set _ZN7rocprim17ROCPRIM_400000_NS6detail17trampoline_kernelINS0_14default_configENS1_38merge_sort_block_merge_config_selectorIslEEZZNS1_27merge_sort_block_merge_implIS3_PsN6thrust23THRUST_200600_302600_NS10device_ptrIlEEjNS1_19radix_merge_compareILb0ELb1EsNS0_19identity_decomposerEEEEE10hipError_tT0_T1_T2_jT3_P12ihipStream_tbPNSt15iterator_traitsISG_E10value_typeEPNSM_ISH_E10value_typeEPSI_NS1_7vsmem_tEENKUlT_SG_SH_SI_E_clIS7_S7_PlSB_EESF_SV_SG_SH_SI_EUlSV_E1_NS1_11comp_targetILNS1_3genE2ELNS1_11target_archE906ELNS1_3gpuE6ELNS1_3repE0EEENS1_36merge_oddeven_config_static_selectorELNS0_4arch9wavefront6targetE1EEEvSH_.num_named_barrier, 0
	.set _ZN7rocprim17ROCPRIM_400000_NS6detail17trampoline_kernelINS0_14default_configENS1_38merge_sort_block_merge_config_selectorIslEEZZNS1_27merge_sort_block_merge_implIS3_PsN6thrust23THRUST_200600_302600_NS10device_ptrIlEEjNS1_19radix_merge_compareILb0ELb1EsNS0_19identity_decomposerEEEEE10hipError_tT0_T1_T2_jT3_P12ihipStream_tbPNSt15iterator_traitsISG_E10value_typeEPNSM_ISH_E10value_typeEPSI_NS1_7vsmem_tEENKUlT_SG_SH_SI_E_clIS7_S7_PlSB_EESF_SV_SG_SH_SI_EUlSV_E1_NS1_11comp_targetILNS1_3genE2ELNS1_11target_archE906ELNS1_3gpuE6ELNS1_3repE0EEENS1_36merge_oddeven_config_static_selectorELNS0_4arch9wavefront6targetE1EEEvSH_.private_seg_size, 0
	.set _ZN7rocprim17ROCPRIM_400000_NS6detail17trampoline_kernelINS0_14default_configENS1_38merge_sort_block_merge_config_selectorIslEEZZNS1_27merge_sort_block_merge_implIS3_PsN6thrust23THRUST_200600_302600_NS10device_ptrIlEEjNS1_19radix_merge_compareILb0ELb1EsNS0_19identity_decomposerEEEEE10hipError_tT0_T1_T2_jT3_P12ihipStream_tbPNSt15iterator_traitsISG_E10value_typeEPNSM_ISH_E10value_typeEPSI_NS1_7vsmem_tEENKUlT_SG_SH_SI_E_clIS7_S7_PlSB_EESF_SV_SG_SH_SI_EUlSV_E1_NS1_11comp_targetILNS1_3genE2ELNS1_11target_archE906ELNS1_3gpuE6ELNS1_3repE0EEENS1_36merge_oddeven_config_static_selectorELNS0_4arch9wavefront6targetE1EEEvSH_.uses_vcc, 1
	.set _ZN7rocprim17ROCPRIM_400000_NS6detail17trampoline_kernelINS0_14default_configENS1_38merge_sort_block_merge_config_selectorIslEEZZNS1_27merge_sort_block_merge_implIS3_PsN6thrust23THRUST_200600_302600_NS10device_ptrIlEEjNS1_19radix_merge_compareILb0ELb1EsNS0_19identity_decomposerEEEEE10hipError_tT0_T1_T2_jT3_P12ihipStream_tbPNSt15iterator_traitsISG_E10value_typeEPNSM_ISH_E10value_typeEPSI_NS1_7vsmem_tEENKUlT_SG_SH_SI_E_clIS7_S7_PlSB_EESF_SV_SG_SH_SI_EUlSV_E1_NS1_11comp_targetILNS1_3genE2ELNS1_11target_archE906ELNS1_3gpuE6ELNS1_3repE0EEENS1_36merge_oddeven_config_static_selectorELNS0_4arch9wavefront6targetE1EEEvSH_.uses_flat_scratch, 0
	.set _ZN7rocprim17ROCPRIM_400000_NS6detail17trampoline_kernelINS0_14default_configENS1_38merge_sort_block_merge_config_selectorIslEEZZNS1_27merge_sort_block_merge_implIS3_PsN6thrust23THRUST_200600_302600_NS10device_ptrIlEEjNS1_19radix_merge_compareILb0ELb1EsNS0_19identity_decomposerEEEEE10hipError_tT0_T1_T2_jT3_P12ihipStream_tbPNSt15iterator_traitsISG_E10value_typeEPNSM_ISH_E10value_typeEPSI_NS1_7vsmem_tEENKUlT_SG_SH_SI_E_clIS7_S7_PlSB_EESF_SV_SG_SH_SI_EUlSV_E1_NS1_11comp_targetILNS1_3genE2ELNS1_11target_archE906ELNS1_3gpuE6ELNS1_3repE0EEENS1_36merge_oddeven_config_static_selectorELNS0_4arch9wavefront6targetE1EEEvSH_.has_dyn_sized_stack, 0
	.set _ZN7rocprim17ROCPRIM_400000_NS6detail17trampoline_kernelINS0_14default_configENS1_38merge_sort_block_merge_config_selectorIslEEZZNS1_27merge_sort_block_merge_implIS3_PsN6thrust23THRUST_200600_302600_NS10device_ptrIlEEjNS1_19radix_merge_compareILb0ELb1EsNS0_19identity_decomposerEEEEE10hipError_tT0_T1_T2_jT3_P12ihipStream_tbPNSt15iterator_traitsISG_E10value_typeEPNSM_ISH_E10value_typeEPSI_NS1_7vsmem_tEENKUlT_SG_SH_SI_E_clIS7_S7_PlSB_EESF_SV_SG_SH_SI_EUlSV_E1_NS1_11comp_targetILNS1_3genE2ELNS1_11target_archE906ELNS1_3gpuE6ELNS1_3repE0EEENS1_36merge_oddeven_config_static_selectorELNS0_4arch9wavefront6targetE1EEEvSH_.has_recursion, 0
	.set _ZN7rocprim17ROCPRIM_400000_NS6detail17trampoline_kernelINS0_14default_configENS1_38merge_sort_block_merge_config_selectorIslEEZZNS1_27merge_sort_block_merge_implIS3_PsN6thrust23THRUST_200600_302600_NS10device_ptrIlEEjNS1_19radix_merge_compareILb0ELb1EsNS0_19identity_decomposerEEEEE10hipError_tT0_T1_T2_jT3_P12ihipStream_tbPNSt15iterator_traitsISG_E10value_typeEPNSM_ISH_E10value_typeEPSI_NS1_7vsmem_tEENKUlT_SG_SH_SI_E_clIS7_S7_PlSB_EESF_SV_SG_SH_SI_EUlSV_E1_NS1_11comp_targetILNS1_3genE2ELNS1_11target_archE906ELNS1_3gpuE6ELNS1_3repE0EEENS1_36merge_oddeven_config_static_selectorELNS0_4arch9wavefront6targetE1EEEvSH_.has_indirect_call, 0
	.section	.AMDGPU.csdata,"",@progbits
; Kernel info:
; codeLenInByte = 832
; TotalNumSgprs: 28
; NumVgprs: 11
; ScratchSize: 0
; MemoryBound: 0
; FloatMode: 240
; IeeeMode: 1
; LDSByteSize: 0 bytes/workgroup (compile time only)
; SGPRBlocks: 3
; VGPRBlocks: 2
; NumSGPRsForWavesPerEU: 28
; NumVGPRsForWavesPerEU: 11
; Occupancy: 10
; WaveLimiterHint : 0
; COMPUTE_PGM_RSRC2:SCRATCH_EN: 0
; COMPUTE_PGM_RSRC2:USER_SGPR: 6
; COMPUTE_PGM_RSRC2:TRAP_HANDLER: 0
; COMPUTE_PGM_RSRC2:TGID_X_EN: 1
; COMPUTE_PGM_RSRC2:TGID_Y_EN: 0
; COMPUTE_PGM_RSRC2:TGID_Z_EN: 0
; COMPUTE_PGM_RSRC2:TIDIG_COMP_CNT: 0
	.section	.text._ZN7rocprim17ROCPRIM_400000_NS6detail17trampoline_kernelINS0_14default_configENS1_38merge_sort_block_merge_config_selectorIslEEZZNS1_27merge_sort_block_merge_implIS3_PsN6thrust23THRUST_200600_302600_NS10device_ptrIlEEjNS1_19radix_merge_compareILb0ELb1EsNS0_19identity_decomposerEEEEE10hipError_tT0_T1_T2_jT3_P12ihipStream_tbPNSt15iterator_traitsISG_E10value_typeEPNSM_ISH_E10value_typeEPSI_NS1_7vsmem_tEENKUlT_SG_SH_SI_E_clIS7_S7_PlSB_EESF_SV_SG_SH_SI_EUlSV_E1_NS1_11comp_targetILNS1_3genE9ELNS1_11target_archE1100ELNS1_3gpuE3ELNS1_3repE0EEENS1_36merge_oddeven_config_static_selectorELNS0_4arch9wavefront6targetE1EEEvSH_,"axG",@progbits,_ZN7rocprim17ROCPRIM_400000_NS6detail17trampoline_kernelINS0_14default_configENS1_38merge_sort_block_merge_config_selectorIslEEZZNS1_27merge_sort_block_merge_implIS3_PsN6thrust23THRUST_200600_302600_NS10device_ptrIlEEjNS1_19radix_merge_compareILb0ELb1EsNS0_19identity_decomposerEEEEE10hipError_tT0_T1_T2_jT3_P12ihipStream_tbPNSt15iterator_traitsISG_E10value_typeEPNSM_ISH_E10value_typeEPSI_NS1_7vsmem_tEENKUlT_SG_SH_SI_E_clIS7_S7_PlSB_EESF_SV_SG_SH_SI_EUlSV_E1_NS1_11comp_targetILNS1_3genE9ELNS1_11target_archE1100ELNS1_3gpuE3ELNS1_3repE0EEENS1_36merge_oddeven_config_static_selectorELNS0_4arch9wavefront6targetE1EEEvSH_,comdat
	.protected	_ZN7rocprim17ROCPRIM_400000_NS6detail17trampoline_kernelINS0_14default_configENS1_38merge_sort_block_merge_config_selectorIslEEZZNS1_27merge_sort_block_merge_implIS3_PsN6thrust23THRUST_200600_302600_NS10device_ptrIlEEjNS1_19radix_merge_compareILb0ELb1EsNS0_19identity_decomposerEEEEE10hipError_tT0_T1_T2_jT3_P12ihipStream_tbPNSt15iterator_traitsISG_E10value_typeEPNSM_ISH_E10value_typeEPSI_NS1_7vsmem_tEENKUlT_SG_SH_SI_E_clIS7_S7_PlSB_EESF_SV_SG_SH_SI_EUlSV_E1_NS1_11comp_targetILNS1_3genE9ELNS1_11target_archE1100ELNS1_3gpuE3ELNS1_3repE0EEENS1_36merge_oddeven_config_static_selectorELNS0_4arch9wavefront6targetE1EEEvSH_ ; -- Begin function _ZN7rocprim17ROCPRIM_400000_NS6detail17trampoline_kernelINS0_14default_configENS1_38merge_sort_block_merge_config_selectorIslEEZZNS1_27merge_sort_block_merge_implIS3_PsN6thrust23THRUST_200600_302600_NS10device_ptrIlEEjNS1_19radix_merge_compareILb0ELb1EsNS0_19identity_decomposerEEEEE10hipError_tT0_T1_T2_jT3_P12ihipStream_tbPNSt15iterator_traitsISG_E10value_typeEPNSM_ISH_E10value_typeEPSI_NS1_7vsmem_tEENKUlT_SG_SH_SI_E_clIS7_S7_PlSB_EESF_SV_SG_SH_SI_EUlSV_E1_NS1_11comp_targetILNS1_3genE9ELNS1_11target_archE1100ELNS1_3gpuE3ELNS1_3repE0EEENS1_36merge_oddeven_config_static_selectorELNS0_4arch9wavefront6targetE1EEEvSH_
	.globl	_ZN7rocprim17ROCPRIM_400000_NS6detail17trampoline_kernelINS0_14default_configENS1_38merge_sort_block_merge_config_selectorIslEEZZNS1_27merge_sort_block_merge_implIS3_PsN6thrust23THRUST_200600_302600_NS10device_ptrIlEEjNS1_19radix_merge_compareILb0ELb1EsNS0_19identity_decomposerEEEEE10hipError_tT0_T1_T2_jT3_P12ihipStream_tbPNSt15iterator_traitsISG_E10value_typeEPNSM_ISH_E10value_typeEPSI_NS1_7vsmem_tEENKUlT_SG_SH_SI_E_clIS7_S7_PlSB_EESF_SV_SG_SH_SI_EUlSV_E1_NS1_11comp_targetILNS1_3genE9ELNS1_11target_archE1100ELNS1_3gpuE3ELNS1_3repE0EEENS1_36merge_oddeven_config_static_selectorELNS0_4arch9wavefront6targetE1EEEvSH_
	.p2align	8
	.type	_ZN7rocprim17ROCPRIM_400000_NS6detail17trampoline_kernelINS0_14default_configENS1_38merge_sort_block_merge_config_selectorIslEEZZNS1_27merge_sort_block_merge_implIS3_PsN6thrust23THRUST_200600_302600_NS10device_ptrIlEEjNS1_19radix_merge_compareILb0ELb1EsNS0_19identity_decomposerEEEEE10hipError_tT0_T1_T2_jT3_P12ihipStream_tbPNSt15iterator_traitsISG_E10value_typeEPNSM_ISH_E10value_typeEPSI_NS1_7vsmem_tEENKUlT_SG_SH_SI_E_clIS7_S7_PlSB_EESF_SV_SG_SH_SI_EUlSV_E1_NS1_11comp_targetILNS1_3genE9ELNS1_11target_archE1100ELNS1_3gpuE3ELNS1_3repE0EEENS1_36merge_oddeven_config_static_selectorELNS0_4arch9wavefront6targetE1EEEvSH_,@function
_ZN7rocprim17ROCPRIM_400000_NS6detail17trampoline_kernelINS0_14default_configENS1_38merge_sort_block_merge_config_selectorIslEEZZNS1_27merge_sort_block_merge_implIS3_PsN6thrust23THRUST_200600_302600_NS10device_ptrIlEEjNS1_19radix_merge_compareILb0ELb1EsNS0_19identity_decomposerEEEEE10hipError_tT0_T1_T2_jT3_P12ihipStream_tbPNSt15iterator_traitsISG_E10value_typeEPNSM_ISH_E10value_typeEPSI_NS1_7vsmem_tEENKUlT_SG_SH_SI_E_clIS7_S7_PlSB_EESF_SV_SG_SH_SI_EUlSV_E1_NS1_11comp_targetILNS1_3genE9ELNS1_11target_archE1100ELNS1_3gpuE3ELNS1_3repE0EEENS1_36merge_oddeven_config_static_selectorELNS0_4arch9wavefront6targetE1EEEvSH_: ; @_ZN7rocprim17ROCPRIM_400000_NS6detail17trampoline_kernelINS0_14default_configENS1_38merge_sort_block_merge_config_selectorIslEEZZNS1_27merge_sort_block_merge_implIS3_PsN6thrust23THRUST_200600_302600_NS10device_ptrIlEEjNS1_19radix_merge_compareILb0ELb1EsNS0_19identity_decomposerEEEEE10hipError_tT0_T1_T2_jT3_P12ihipStream_tbPNSt15iterator_traitsISG_E10value_typeEPNSM_ISH_E10value_typeEPSI_NS1_7vsmem_tEENKUlT_SG_SH_SI_E_clIS7_S7_PlSB_EESF_SV_SG_SH_SI_EUlSV_E1_NS1_11comp_targetILNS1_3genE9ELNS1_11target_archE1100ELNS1_3gpuE3ELNS1_3repE0EEENS1_36merge_oddeven_config_static_selectorELNS0_4arch9wavefront6targetE1EEEvSH_
; %bb.0:
	.section	.rodata,"a",@progbits
	.p2align	6, 0x0
	.amdhsa_kernel _ZN7rocprim17ROCPRIM_400000_NS6detail17trampoline_kernelINS0_14default_configENS1_38merge_sort_block_merge_config_selectorIslEEZZNS1_27merge_sort_block_merge_implIS3_PsN6thrust23THRUST_200600_302600_NS10device_ptrIlEEjNS1_19radix_merge_compareILb0ELb1EsNS0_19identity_decomposerEEEEE10hipError_tT0_T1_T2_jT3_P12ihipStream_tbPNSt15iterator_traitsISG_E10value_typeEPNSM_ISH_E10value_typeEPSI_NS1_7vsmem_tEENKUlT_SG_SH_SI_E_clIS7_S7_PlSB_EESF_SV_SG_SH_SI_EUlSV_E1_NS1_11comp_targetILNS1_3genE9ELNS1_11target_archE1100ELNS1_3gpuE3ELNS1_3repE0EEENS1_36merge_oddeven_config_static_selectorELNS0_4arch9wavefront6targetE1EEEvSH_
		.amdhsa_group_segment_fixed_size 0
		.amdhsa_private_segment_fixed_size 0
		.amdhsa_kernarg_size 48
		.amdhsa_user_sgpr_count 6
		.amdhsa_user_sgpr_private_segment_buffer 1
		.amdhsa_user_sgpr_dispatch_ptr 0
		.amdhsa_user_sgpr_queue_ptr 0
		.amdhsa_user_sgpr_kernarg_segment_ptr 1
		.amdhsa_user_sgpr_dispatch_id 0
		.amdhsa_user_sgpr_flat_scratch_init 0
		.amdhsa_user_sgpr_private_segment_size 0
		.amdhsa_uses_dynamic_stack 0
		.amdhsa_system_sgpr_private_segment_wavefront_offset 0
		.amdhsa_system_sgpr_workgroup_id_x 1
		.amdhsa_system_sgpr_workgroup_id_y 0
		.amdhsa_system_sgpr_workgroup_id_z 0
		.amdhsa_system_sgpr_workgroup_info 0
		.amdhsa_system_vgpr_workitem_id 0
		.amdhsa_next_free_vgpr 1
		.amdhsa_next_free_sgpr 0
		.amdhsa_reserve_vcc 0
		.amdhsa_reserve_flat_scratch 0
		.amdhsa_float_round_mode_32 0
		.amdhsa_float_round_mode_16_64 0
		.amdhsa_float_denorm_mode_32 3
		.amdhsa_float_denorm_mode_16_64 3
		.amdhsa_dx10_clamp 1
		.amdhsa_ieee_mode 1
		.amdhsa_fp16_overflow 0
		.amdhsa_exception_fp_ieee_invalid_op 0
		.amdhsa_exception_fp_denorm_src 0
		.amdhsa_exception_fp_ieee_div_zero 0
		.amdhsa_exception_fp_ieee_overflow 0
		.amdhsa_exception_fp_ieee_underflow 0
		.amdhsa_exception_fp_ieee_inexact 0
		.amdhsa_exception_int_div_zero 0
	.end_amdhsa_kernel
	.section	.text._ZN7rocprim17ROCPRIM_400000_NS6detail17trampoline_kernelINS0_14default_configENS1_38merge_sort_block_merge_config_selectorIslEEZZNS1_27merge_sort_block_merge_implIS3_PsN6thrust23THRUST_200600_302600_NS10device_ptrIlEEjNS1_19radix_merge_compareILb0ELb1EsNS0_19identity_decomposerEEEEE10hipError_tT0_T1_T2_jT3_P12ihipStream_tbPNSt15iterator_traitsISG_E10value_typeEPNSM_ISH_E10value_typeEPSI_NS1_7vsmem_tEENKUlT_SG_SH_SI_E_clIS7_S7_PlSB_EESF_SV_SG_SH_SI_EUlSV_E1_NS1_11comp_targetILNS1_3genE9ELNS1_11target_archE1100ELNS1_3gpuE3ELNS1_3repE0EEENS1_36merge_oddeven_config_static_selectorELNS0_4arch9wavefront6targetE1EEEvSH_,"axG",@progbits,_ZN7rocprim17ROCPRIM_400000_NS6detail17trampoline_kernelINS0_14default_configENS1_38merge_sort_block_merge_config_selectorIslEEZZNS1_27merge_sort_block_merge_implIS3_PsN6thrust23THRUST_200600_302600_NS10device_ptrIlEEjNS1_19radix_merge_compareILb0ELb1EsNS0_19identity_decomposerEEEEE10hipError_tT0_T1_T2_jT3_P12ihipStream_tbPNSt15iterator_traitsISG_E10value_typeEPNSM_ISH_E10value_typeEPSI_NS1_7vsmem_tEENKUlT_SG_SH_SI_E_clIS7_S7_PlSB_EESF_SV_SG_SH_SI_EUlSV_E1_NS1_11comp_targetILNS1_3genE9ELNS1_11target_archE1100ELNS1_3gpuE3ELNS1_3repE0EEENS1_36merge_oddeven_config_static_selectorELNS0_4arch9wavefront6targetE1EEEvSH_,comdat
.Lfunc_end1354:
	.size	_ZN7rocprim17ROCPRIM_400000_NS6detail17trampoline_kernelINS0_14default_configENS1_38merge_sort_block_merge_config_selectorIslEEZZNS1_27merge_sort_block_merge_implIS3_PsN6thrust23THRUST_200600_302600_NS10device_ptrIlEEjNS1_19radix_merge_compareILb0ELb1EsNS0_19identity_decomposerEEEEE10hipError_tT0_T1_T2_jT3_P12ihipStream_tbPNSt15iterator_traitsISG_E10value_typeEPNSM_ISH_E10value_typeEPSI_NS1_7vsmem_tEENKUlT_SG_SH_SI_E_clIS7_S7_PlSB_EESF_SV_SG_SH_SI_EUlSV_E1_NS1_11comp_targetILNS1_3genE9ELNS1_11target_archE1100ELNS1_3gpuE3ELNS1_3repE0EEENS1_36merge_oddeven_config_static_selectorELNS0_4arch9wavefront6targetE1EEEvSH_, .Lfunc_end1354-_ZN7rocprim17ROCPRIM_400000_NS6detail17trampoline_kernelINS0_14default_configENS1_38merge_sort_block_merge_config_selectorIslEEZZNS1_27merge_sort_block_merge_implIS3_PsN6thrust23THRUST_200600_302600_NS10device_ptrIlEEjNS1_19radix_merge_compareILb0ELb1EsNS0_19identity_decomposerEEEEE10hipError_tT0_T1_T2_jT3_P12ihipStream_tbPNSt15iterator_traitsISG_E10value_typeEPNSM_ISH_E10value_typeEPSI_NS1_7vsmem_tEENKUlT_SG_SH_SI_E_clIS7_S7_PlSB_EESF_SV_SG_SH_SI_EUlSV_E1_NS1_11comp_targetILNS1_3genE9ELNS1_11target_archE1100ELNS1_3gpuE3ELNS1_3repE0EEENS1_36merge_oddeven_config_static_selectorELNS0_4arch9wavefront6targetE1EEEvSH_
                                        ; -- End function
	.set _ZN7rocprim17ROCPRIM_400000_NS6detail17trampoline_kernelINS0_14default_configENS1_38merge_sort_block_merge_config_selectorIslEEZZNS1_27merge_sort_block_merge_implIS3_PsN6thrust23THRUST_200600_302600_NS10device_ptrIlEEjNS1_19radix_merge_compareILb0ELb1EsNS0_19identity_decomposerEEEEE10hipError_tT0_T1_T2_jT3_P12ihipStream_tbPNSt15iterator_traitsISG_E10value_typeEPNSM_ISH_E10value_typeEPSI_NS1_7vsmem_tEENKUlT_SG_SH_SI_E_clIS7_S7_PlSB_EESF_SV_SG_SH_SI_EUlSV_E1_NS1_11comp_targetILNS1_3genE9ELNS1_11target_archE1100ELNS1_3gpuE3ELNS1_3repE0EEENS1_36merge_oddeven_config_static_selectorELNS0_4arch9wavefront6targetE1EEEvSH_.num_vgpr, 0
	.set _ZN7rocprim17ROCPRIM_400000_NS6detail17trampoline_kernelINS0_14default_configENS1_38merge_sort_block_merge_config_selectorIslEEZZNS1_27merge_sort_block_merge_implIS3_PsN6thrust23THRUST_200600_302600_NS10device_ptrIlEEjNS1_19radix_merge_compareILb0ELb1EsNS0_19identity_decomposerEEEEE10hipError_tT0_T1_T2_jT3_P12ihipStream_tbPNSt15iterator_traitsISG_E10value_typeEPNSM_ISH_E10value_typeEPSI_NS1_7vsmem_tEENKUlT_SG_SH_SI_E_clIS7_S7_PlSB_EESF_SV_SG_SH_SI_EUlSV_E1_NS1_11comp_targetILNS1_3genE9ELNS1_11target_archE1100ELNS1_3gpuE3ELNS1_3repE0EEENS1_36merge_oddeven_config_static_selectorELNS0_4arch9wavefront6targetE1EEEvSH_.num_agpr, 0
	.set _ZN7rocprim17ROCPRIM_400000_NS6detail17trampoline_kernelINS0_14default_configENS1_38merge_sort_block_merge_config_selectorIslEEZZNS1_27merge_sort_block_merge_implIS3_PsN6thrust23THRUST_200600_302600_NS10device_ptrIlEEjNS1_19radix_merge_compareILb0ELb1EsNS0_19identity_decomposerEEEEE10hipError_tT0_T1_T2_jT3_P12ihipStream_tbPNSt15iterator_traitsISG_E10value_typeEPNSM_ISH_E10value_typeEPSI_NS1_7vsmem_tEENKUlT_SG_SH_SI_E_clIS7_S7_PlSB_EESF_SV_SG_SH_SI_EUlSV_E1_NS1_11comp_targetILNS1_3genE9ELNS1_11target_archE1100ELNS1_3gpuE3ELNS1_3repE0EEENS1_36merge_oddeven_config_static_selectorELNS0_4arch9wavefront6targetE1EEEvSH_.numbered_sgpr, 0
	.set _ZN7rocprim17ROCPRIM_400000_NS6detail17trampoline_kernelINS0_14default_configENS1_38merge_sort_block_merge_config_selectorIslEEZZNS1_27merge_sort_block_merge_implIS3_PsN6thrust23THRUST_200600_302600_NS10device_ptrIlEEjNS1_19radix_merge_compareILb0ELb1EsNS0_19identity_decomposerEEEEE10hipError_tT0_T1_T2_jT3_P12ihipStream_tbPNSt15iterator_traitsISG_E10value_typeEPNSM_ISH_E10value_typeEPSI_NS1_7vsmem_tEENKUlT_SG_SH_SI_E_clIS7_S7_PlSB_EESF_SV_SG_SH_SI_EUlSV_E1_NS1_11comp_targetILNS1_3genE9ELNS1_11target_archE1100ELNS1_3gpuE3ELNS1_3repE0EEENS1_36merge_oddeven_config_static_selectorELNS0_4arch9wavefront6targetE1EEEvSH_.num_named_barrier, 0
	.set _ZN7rocprim17ROCPRIM_400000_NS6detail17trampoline_kernelINS0_14default_configENS1_38merge_sort_block_merge_config_selectorIslEEZZNS1_27merge_sort_block_merge_implIS3_PsN6thrust23THRUST_200600_302600_NS10device_ptrIlEEjNS1_19radix_merge_compareILb0ELb1EsNS0_19identity_decomposerEEEEE10hipError_tT0_T1_T2_jT3_P12ihipStream_tbPNSt15iterator_traitsISG_E10value_typeEPNSM_ISH_E10value_typeEPSI_NS1_7vsmem_tEENKUlT_SG_SH_SI_E_clIS7_S7_PlSB_EESF_SV_SG_SH_SI_EUlSV_E1_NS1_11comp_targetILNS1_3genE9ELNS1_11target_archE1100ELNS1_3gpuE3ELNS1_3repE0EEENS1_36merge_oddeven_config_static_selectorELNS0_4arch9wavefront6targetE1EEEvSH_.private_seg_size, 0
	.set _ZN7rocprim17ROCPRIM_400000_NS6detail17trampoline_kernelINS0_14default_configENS1_38merge_sort_block_merge_config_selectorIslEEZZNS1_27merge_sort_block_merge_implIS3_PsN6thrust23THRUST_200600_302600_NS10device_ptrIlEEjNS1_19radix_merge_compareILb0ELb1EsNS0_19identity_decomposerEEEEE10hipError_tT0_T1_T2_jT3_P12ihipStream_tbPNSt15iterator_traitsISG_E10value_typeEPNSM_ISH_E10value_typeEPSI_NS1_7vsmem_tEENKUlT_SG_SH_SI_E_clIS7_S7_PlSB_EESF_SV_SG_SH_SI_EUlSV_E1_NS1_11comp_targetILNS1_3genE9ELNS1_11target_archE1100ELNS1_3gpuE3ELNS1_3repE0EEENS1_36merge_oddeven_config_static_selectorELNS0_4arch9wavefront6targetE1EEEvSH_.uses_vcc, 0
	.set _ZN7rocprim17ROCPRIM_400000_NS6detail17trampoline_kernelINS0_14default_configENS1_38merge_sort_block_merge_config_selectorIslEEZZNS1_27merge_sort_block_merge_implIS3_PsN6thrust23THRUST_200600_302600_NS10device_ptrIlEEjNS1_19radix_merge_compareILb0ELb1EsNS0_19identity_decomposerEEEEE10hipError_tT0_T1_T2_jT3_P12ihipStream_tbPNSt15iterator_traitsISG_E10value_typeEPNSM_ISH_E10value_typeEPSI_NS1_7vsmem_tEENKUlT_SG_SH_SI_E_clIS7_S7_PlSB_EESF_SV_SG_SH_SI_EUlSV_E1_NS1_11comp_targetILNS1_3genE9ELNS1_11target_archE1100ELNS1_3gpuE3ELNS1_3repE0EEENS1_36merge_oddeven_config_static_selectorELNS0_4arch9wavefront6targetE1EEEvSH_.uses_flat_scratch, 0
	.set _ZN7rocprim17ROCPRIM_400000_NS6detail17trampoline_kernelINS0_14default_configENS1_38merge_sort_block_merge_config_selectorIslEEZZNS1_27merge_sort_block_merge_implIS3_PsN6thrust23THRUST_200600_302600_NS10device_ptrIlEEjNS1_19radix_merge_compareILb0ELb1EsNS0_19identity_decomposerEEEEE10hipError_tT0_T1_T2_jT3_P12ihipStream_tbPNSt15iterator_traitsISG_E10value_typeEPNSM_ISH_E10value_typeEPSI_NS1_7vsmem_tEENKUlT_SG_SH_SI_E_clIS7_S7_PlSB_EESF_SV_SG_SH_SI_EUlSV_E1_NS1_11comp_targetILNS1_3genE9ELNS1_11target_archE1100ELNS1_3gpuE3ELNS1_3repE0EEENS1_36merge_oddeven_config_static_selectorELNS0_4arch9wavefront6targetE1EEEvSH_.has_dyn_sized_stack, 0
	.set _ZN7rocprim17ROCPRIM_400000_NS6detail17trampoline_kernelINS0_14default_configENS1_38merge_sort_block_merge_config_selectorIslEEZZNS1_27merge_sort_block_merge_implIS3_PsN6thrust23THRUST_200600_302600_NS10device_ptrIlEEjNS1_19radix_merge_compareILb0ELb1EsNS0_19identity_decomposerEEEEE10hipError_tT0_T1_T2_jT3_P12ihipStream_tbPNSt15iterator_traitsISG_E10value_typeEPNSM_ISH_E10value_typeEPSI_NS1_7vsmem_tEENKUlT_SG_SH_SI_E_clIS7_S7_PlSB_EESF_SV_SG_SH_SI_EUlSV_E1_NS1_11comp_targetILNS1_3genE9ELNS1_11target_archE1100ELNS1_3gpuE3ELNS1_3repE0EEENS1_36merge_oddeven_config_static_selectorELNS0_4arch9wavefront6targetE1EEEvSH_.has_recursion, 0
	.set _ZN7rocprim17ROCPRIM_400000_NS6detail17trampoline_kernelINS0_14default_configENS1_38merge_sort_block_merge_config_selectorIslEEZZNS1_27merge_sort_block_merge_implIS3_PsN6thrust23THRUST_200600_302600_NS10device_ptrIlEEjNS1_19radix_merge_compareILb0ELb1EsNS0_19identity_decomposerEEEEE10hipError_tT0_T1_T2_jT3_P12ihipStream_tbPNSt15iterator_traitsISG_E10value_typeEPNSM_ISH_E10value_typeEPSI_NS1_7vsmem_tEENKUlT_SG_SH_SI_E_clIS7_S7_PlSB_EESF_SV_SG_SH_SI_EUlSV_E1_NS1_11comp_targetILNS1_3genE9ELNS1_11target_archE1100ELNS1_3gpuE3ELNS1_3repE0EEENS1_36merge_oddeven_config_static_selectorELNS0_4arch9wavefront6targetE1EEEvSH_.has_indirect_call, 0
	.section	.AMDGPU.csdata,"",@progbits
; Kernel info:
; codeLenInByte = 0
; TotalNumSgprs: 4
; NumVgprs: 0
; ScratchSize: 0
; MemoryBound: 0
; FloatMode: 240
; IeeeMode: 1
; LDSByteSize: 0 bytes/workgroup (compile time only)
; SGPRBlocks: 0
; VGPRBlocks: 0
; NumSGPRsForWavesPerEU: 4
; NumVGPRsForWavesPerEU: 1
; Occupancy: 10
; WaveLimiterHint : 0
; COMPUTE_PGM_RSRC2:SCRATCH_EN: 0
; COMPUTE_PGM_RSRC2:USER_SGPR: 6
; COMPUTE_PGM_RSRC2:TRAP_HANDLER: 0
; COMPUTE_PGM_RSRC2:TGID_X_EN: 1
; COMPUTE_PGM_RSRC2:TGID_Y_EN: 0
; COMPUTE_PGM_RSRC2:TGID_Z_EN: 0
; COMPUTE_PGM_RSRC2:TIDIG_COMP_CNT: 0
	.section	.text._ZN7rocprim17ROCPRIM_400000_NS6detail17trampoline_kernelINS0_14default_configENS1_38merge_sort_block_merge_config_selectorIslEEZZNS1_27merge_sort_block_merge_implIS3_PsN6thrust23THRUST_200600_302600_NS10device_ptrIlEEjNS1_19radix_merge_compareILb0ELb1EsNS0_19identity_decomposerEEEEE10hipError_tT0_T1_T2_jT3_P12ihipStream_tbPNSt15iterator_traitsISG_E10value_typeEPNSM_ISH_E10value_typeEPSI_NS1_7vsmem_tEENKUlT_SG_SH_SI_E_clIS7_S7_PlSB_EESF_SV_SG_SH_SI_EUlSV_E1_NS1_11comp_targetILNS1_3genE8ELNS1_11target_archE1030ELNS1_3gpuE2ELNS1_3repE0EEENS1_36merge_oddeven_config_static_selectorELNS0_4arch9wavefront6targetE1EEEvSH_,"axG",@progbits,_ZN7rocprim17ROCPRIM_400000_NS6detail17trampoline_kernelINS0_14default_configENS1_38merge_sort_block_merge_config_selectorIslEEZZNS1_27merge_sort_block_merge_implIS3_PsN6thrust23THRUST_200600_302600_NS10device_ptrIlEEjNS1_19radix_merge_compareILb0ELb1EsNS0_19identity_decomposerEEEEE10hipError_tT0_T1_T2_jT3_P12ihipStream_tbPNSt15iterator_traitsISG_E10value_typeEPNSM_ISH_E10value_typeEPSI_NS1_7vsmem_tEENKUlT_SG_SH_SI_E_clIS7_S7_PlSB_EESF_SV_SG_SH_SI_EUlSV_E1_NS1_11comp_targetILNS1_3genE8ELNS1_11target_archE1030ELNS1_3gpuE2ELNS1_3repE0EEENS1_36merge_oddeven_config_static_selectorELNS0_4arch9wavefront6targetE1EEEvSH_,comdat
	.protected	_ZN7rocprim17ROCPRIM_400000_NS6detail17trampoline_kernelINS0_14default_configENS1_38merge_sort_block_merge_config_selectorIslEEZZNS1_27merge_sort_block_merge_implIS3_PsN6thrust23THRUST_200600_302600_NS10device_ptrIlEEjNS1_19radix_merge_compareILb0ELb1EsNS0_19identity_decomposerEEEEE10hipError_tT0_T1_T2_jT3_P12ihipStream_tbPNSt15iterator_traitsISG_E10value_typeEPNSM_ISH_E10value_typeEPSI_NS1_7vsmem_tEENKUlT_SG_SH_SI_E_clIS7_S7_PlSB_EESF_SV_SG_SH_SI_EUlSV_E1_NS1_11comp_targetILNS1_3genE8ELNS1_11target_archE1030ELNS1_3gpuE2ELNS1_3repE0EEENS1_36merge_oddeven_config_static_selectorELNS0_4arch9wavefront6targetE1EEEvSH_ ; -- Begin function _ZN7rocprim17ROCPRIM_400000_NS6detail17trampoline_kernelINS0_14default_configENS1_38merge_sort_block_merge_config_selectorIslEEZZNS1_27merge_sort_block_merge_implIS3_PsN6thrust23THRUST_200600_302600_NS10device_ptrIlEEjNS1_19radix_merge_compareILb0ELb1EsNS0_19identity_decomposerEEEEE10hipError_tT0_T1_T2_jT3_P12ihipStream_tbPNSt15iterator_traitsISG_E10value_typeEPNSM_ISH_E10value_typeEPSI_NS1_7vsmem_tEENKUlT_SG_SH_SI_E_clIS7_S7_PlSB_EESF_SV_SG_SH_SI_EUlSV_E1_NS1_11comp_targetILNS1_3genE8ELNS1_11target_archE1030ELNS1_3gpuE2ELNS1_3repE0EEENS1_36merge_oddeven_config_static_selectorELNS0_4arch9wavefront6targetE1EEEvSH_
	.globl	_ZN7rocprim17ROCPRIM_400000_NS6detail17trampoline_kernelINS0_14default_configENS1_38merge_sort_block_merge_config_selectorIslEEZZNS1_27merge_sort_block_merge_implIS3_PsN6thrust23THRUST_200600_302600_NS10device_ptrIlEEjNS1_19radix_merge_compareILb0ELb1EsNS0_19identity_decomposerEEEEE10hipError_tT0_T1_T2_jT3_P12ihipStream_tbPNSt15iterator_traitsISG_E10value_typeEPNSM_ISH_E10value_typeEPSI_NS1_7vsmem_tEENKUlT_SG_SH_SI_E_clIS7_S7_PlSB_EESF_SV_SG_SH_SI_EUlSV_E1_NS1_11comp_targetILNS1_3genE8ELNS1_11target_archE1030ELNS1_3gpuE2ELNS1_3repE0EEENS1_36merge_oddeven_config_static_selectorELNS0_4arch9wavefront6targetE1EEEvSH_
	.p2align	8
	.type	_ZN7rocprim17ROCPRIM_400000_NS6detail17trampoline_kernelINS0_14default_configENS1_38merge_sort_block_merge_config_selectorIslEEZZNS1_27merge_sort_block_merge_implIS3_PsN6thrust23THRUST_200600_302600_NS10device_ptrIlEEjNS1_19radix_merge_compareILb0ELb1EsNS0_19identity_decomposerEEEEE10hipError_tT0_T1_T2_jT3_P12ihipStream_tbPNSt15iterator_traitsISG_E10value_typeEPNSM_ISH_E10value_typeEPSI_NS1_7vsmem_tEENKUlT_SG_SH_SI_E_clIS7_S7_PlSB_EESF_SV_SG_SH_SI_EUlSV_E1_NS1_11comp_targetILNS1_3genE8ELNS1_11target_archE1030ELNS1_3gpuE2ELNS1_3repE0EEENS1_36merge_oddeven_config_static_selectorELNS0_4arch9wavefront6targetE1EEEvSH_,@function
_ZN7rocprim17ROCPRIM_400000_NS6detail17trampoline_kernelINS0_14default_configENS1_38merge_sort_block_merge_config_selectorIslEEZZNS1_27merge_sort_block_merge_implIS3_PsN6thrust23THRUST_200600_302600_NS10device_ptrIlEEjNS1_19radix_merge_compareILb0ELb1EsNS0_19identity_decomposerEEEEE10hipError_tT0_T1_T2_jT3_P12ihipStream_tbPNSt15iterator_traitsISG_E10value_typeEPNSM_ISH_E10value_typeEPSI_NS1_7vsmem_tEENKUlT_SG_SH_SI_E_clIS7_S7_PlSB_EESF_SV_SG_SH_SI_EUlSV_E1_NS1_11comp_targetILNS1_3genE8ELNS1_11target_archE1030ELNS1_3gpuE2ELNS1_3repE0EEENS1_36merge_oddeven_config_static_selectorELNS0_4arch9wavefront6targetE1EEEvSH_: ; @_ZN7rocprim17ROCPRIM_400000_NS6detail17trampoline_kernelINS0_14default_configENS1_38merge_sort_block_merge_config_selectorIslEEZZNS1_27merge_sort_block_merge_implIS3_PsN6thrust23THRUST_200600_302600_NS10device_ptrIlEEjNS1_19radix_merge_compareILb0ELb1EsNS0_19identity_decomposerEEEEE10hipError_tT0_T1_T2_jT3_P12ihipStream_tbPNSt15iterator_traitsISG_E10value_typeEPNSM_ISH_E10value_typeEPSI_NS1_7vsmem_tEENKUlT_SG_SH_SI_E_clIS7_S7_PlSB_EESF_SV_SG_SH_SI_EUlSV_E1_NS1_11comp_targetILNS1_3genE8ELNS1_11target_archE1030ELNS1_3gpuE2ELNS1_3repE0EEENS1_36merge_oddeven_config_static_selectorELNS0_4arch9wavefront6targetE1EEEvSH_
; %bb.0:
	.section	.rodata,"a",@progbits
	.p2align	6, 0x0
	.amdhsa_kernel _ZN7rocprim17ROCPRIM_400000_NS6detail17trampoline_kernelINS0_14default_configENS1_38merge_sort_block_merge_config_selectorIslEEZZNS1_27merge_sort_block_merge_implIS3_PsN6thrust23THRUST_200600_302600_NS10device_ptrIlEEjNS1_19radix_merge_compareILb0ELb1EsNS0_19identity_decomposerEEEEE10hipError_tT0_T1_T2_jT3_P12ihipStream_tbPNSt15iterator_traitsISG_E10value_typeEPNSM_ISH_E10value_typeEPSI_NS1_7vsmem_tEENKUlT_SG_SH_SI_E_clIS7_S7_PlSB_EESF_SV_SG_SH_SI_EUlSV_E1_NS1_11comp_targetILNS1_3genE8ELNS1_11target_archE1030ELNS1_3gpuE2ELNS1_3repE0EEENS1_36merge_oddeven_config_static_selectorELNS0_4arch9wavefront6targetE1EEEvSH_
		.amdhsa_group_segment_fixed_size 0
		.amdhsa_private_segment_fixed_size 0
		.amdhsa_kernarg_size 48
		.amdhsa_user_sgpr_count 6
		.amdhsa_user_sgpr_private_segment_buffer 1
		.amdhsa_user_sgpr_dispatch_ptr 0
		.amdhsa_user_sgpr_queue_ptr 0
		.amdhsa_user_sgpr_kernarg_segment_ptr 1
		.amdhsa_user_sgpr_dispatch_id 0
		.amdhsa_user_sgpr_flat_scratch_init 0
		.amdhsa_user_sgpr_private_segment_size 0
		.amdhsa_uses_dynamic_stack 0
		.amdhsa_system_sgpr_private_segment_wavefront_offset 0
		.amdhsa_system_sgpr_workgroup_id_x 1
		.amdhsa_system_sgpr_workgroup_id_y 0
		.amdhsa_system_sgpr_workgroup_id_z 0
		.amdhsa_system_sgpr_workgroup_info 0
		.amdhsa_system_vgpr_workitem_id 0
		.amdhsa_next_free_vgpr 1
		.amdhsa_next_free_sgpr 0
		.amdhsa_reserve_vcc 0
		.amdhsa_reserve_flat_scratch 0
		.amdhsa_float_round_mode_32 0
		.amdhsa_float_round_mode_16_64 0
		.amdhsa_float_denorm_mode_32 3
		.amdhsa_float_denorm_mode_16_64 3
		.amdhsa_dx10_clamp 1
		.amdhsa_ieee_mode 1
		.amdhsa_fp16_overflow 0
		.amdhsa_exception_fp_ieee_invalid_op 0
		.amdhsa_exception_fp_denorm_src 0
		.amdhsa_exception_fp_ieee_div_zero 0
		.amdhsa_exception_fp_ieee_overflow 0
		.amdhsa_exception_fp_ieee_underflow 0
		.amdhsa_exception_fp_ieee_inexact 0
		.amdhsa_exception_int_div_zero 0
	.end_amdhsa_kernel
	.section	.text._ZN7rocprim17ROCPRIM_400000_NS6detail17trampoline_kernelINS0_14default_configENS1_38merge_sort_block_merge_config_selectorIslEEZZNS1_27merge_sort_block_merge_implIS3_PsN6thrust23THRUST_200600_302600_NS10device_ptrIlEEjNS1_19radix_merge_compareILb0ELb1EsNS0_19identity_decomposerEEEEE10hipError_tT0_T1_T2_jT3_P12ihipStream_tbPNSt15iterator_traitsISG_E10value_typeEPNSM_ISH_E10value_typeEPSI_NS1_7vsmem_tEENKUlT_SG_SH_SI_E_clIS7_S7_PlSB_EESF_SV_SG_SH_SI_EUlSV_E1_NS1_11comp_targetILNS1_3genE8ELNS1_11target_archE1030ELNS1_3gpuE2ELNS1_3repE0EEENS1_36merge_oddeven_config_static_selectorELNS0_4arch9wavefront6targetE1EEEvSH_,"axG",@progbits,_ZN7rocprim17ROCPRIM_400000_NS6detail17trampoline_kernelINS0_14default_configENS1_38merge_sort_block_merge_config_selectorIslEEZZNS1_27merge_sort_block_merge_implIS3_PsN6thrust23THRUST_200600_302600_NS10device_ptrIlEEjNS1_19radix_merge_compareILb0ELb1EsNS0_19identity_decomposerEEEEE10hipError_tT0_T1_T2_jT3_P12ihipStream_tbPNSt15iterator_traitsISG_E10value_typeEPNSM_ISH_E10value_typeEPSI_NS1_7vsmem_tEENKUlT_SG_SH_SI_E_clIS7_S7_PlSB_EESF_SV_SG_SH_SI_EUlSV_E1_NS1_11comp_targetILNS1_3genE8ELNS1_11target_archE1030ELNS1_3gpuE2ELNS1_3repE0EEENS1_36merge_oddeven_config_static_selectorELNS0_4arch9wavefront6targetE1EEEvSH_,comdat
.Lfunc_end1355:
	.size	_ZN7rocprim17ROCPRIM_400000_NS6detail17trampoline_kernelINS0_14default_configENS1_38merge_sort_block_merge_config_selectorIslEEZZNS1_27merge_sort_block_merge_implIS3_PsN6thrust23THRUST_200600_302600_NS10device_ptrIlEEjNS1_19radix_merge_compareILb0ELb1EsNS0_19identity_decomposerEEEEE10hipError_tT0_T1_T2_jT3_P12ihipStream_tbPNSt15iterator_traitsISG_E10value_typeEPNSM_ISH_E10value_typeEPSI_NS1_7vsmem_tEENKUlT_SG_SH_SI_E_clIS7_S7_PlSB_EESF_SV_SG_SH_SI_EUlSV_E1_NS1_11comp_targetILNS1_3genE8ELNS1_11target_archE1030ELNS1_3gpuE2ELNS1_3repE0EEENS1_36merge_oddeven_config_static_selectorELNS0_4arch9wavefront6targetE1EEEvSH_, .Lfunc_end1355-_ZN7rocprim17ROCPRIM_400000_NS6detail17trampoline_kernelINS0_14default_configENS1_38merge_sort_block_merge_config_selectorIslEEZZNS1_27merge_sort_block_merge_implIS3_PsN6thrust23THRUST_200600_302600_NS10device_ptrIlEEjNS1_19radix_merge_compareILb0ELb1EsNS0_19identity_decomposerEEEEE10hipError_tT0_T1_T2_jT3_P12ihipStream_tbPNSt15iterator_traitsISG_E10value_typeEPNSM_ISH_E10value_typeEPSI_NS1_7vsmem_tEENKUlT_SG_SH_SI_E_clIS7_S7_PlSB_EESF_SV_SG_SH_SI_EUlSV_E1_NS1_11comp_targetILNS1_3genE8ELNS1_11target_archE1030ELNS1_3gpuE2ELNS1_3repE0EEENS1_36merge_oddeven_config_static_selectorELNS0_4arch9wavefront6targetE1EEEvSH_
                                        ; -- End function
	.set _ZN7rocprim17ROCPRIM_400000_NS6detail17trampoline_kernelINS0_14default_configENS1_38merge_sort_block_merge_config_selectorIslEEZZNS1_27merge_sort_block_merge_implIS3_PsN6thrust23THRUST_200600_302600_NS10device_ptrIlEEjNS1_19radix_merge_compareILb0ELb1EsNS0_19identity_decomposerEEEEE10hipError_tT0_T1_T2_jT3_P12ihipStream_tbPNSt15iterator_traitsISG_E10value_typeEPNSM_ISH_E10value_typeEPSI_NS1_7vsmem_tEENKUlT_SG_SH_SI_E_clIS7_S7_PlSB_EESF_SV_SG_SH_SI_EUlSV_E1_NS1_11comp_targetILNS1_3genE8ELNS1_11target_archE1030ELNS1_3gpuE2ELNS1_3repE0EEENS1_36merge_oddeven_config_static_selectorELNS0_4arch9wavefront6targetE1EEEvSH_.num_vgpr, 0
	.set _ZN7rocprim17ROCPRIM_400000_NS6detail17trampoline_kernelINS0_14default_configENS1_38merge_sort_block_merge_config_selectorIslEEZZNS1_27merge_sort_block_merge_implIS3_PsN6thrust23THRUST_200600_302600_NS10device_ptrIlEEjNS1_19radix_merge_compareILb0ELb1EsNS0_19identity_decomposerEEEEE10hipError_tT0_T1_T2_jT3_P12ihipStream_tbPNSt15iterator_traitsISG_E10value_typeEPNSM_ISH_E10value_typeEPSI_NS1_7vsmem_tEENKUlT_SG_SH_SI_E_clIS7_S7_PlSB_EESF_SV_SG_SH_SI_EUlSV_E1_NS1_11comp_targetILNS1_3genE8ELNS1_11target_archE1030ELNS1_3gpuE2ELNS1_3repE0EEENS1_36merge_oddeven_config_static_selectorELNS0_4arch9wavefront6targetE1EEEvSH_.num_agpr, 0
	.set _ZN7rocprim17ROCPRIM_400000_NS6detail17trampoline_kernelINS0_14default_configENS1_38merge_sort_block_merge_config_selectorIslEEZZNS1_27merge_sort_block_merge_implIS3_PsN6thrust23THRUST_200600_302600_NS10device_ptrIlEEjNS1_19radix_merge_compareILb0ELb1EsNS0_19identity_decomposerEEEEE10hipError_tT0_T1_T2_jT3_P12ihipStream_tbPNSt15iterator_traitsISG_E10value_typeEPNSM_ISH_E10value_typeEPSI_NS1_7vsmem_tEENKUlT_SG_SH_SI_E_clIS7_S7_PlSB_EESF_SV_SG_SH_SI_EUlSV_E1_NS1_11comp_targetILNS1_3genE8ELNS1_11target_archE1030ELNS1_3gpuE2ELNS1_3repE0EEENS1_36merge_oddeven_config_static_selectorELNS0_4arch9wavefront6targetE1EEEvSH_.numbered_sgpr, 0
	.set _ZN7rocprim17ROCPRIM_400000_NS6detail17trampoline_kernelINS0_14default_configENS1_38merge_sort_block_merge_config_selectorIslEEZZNS1_27merge_sort_block_merge_implIS3_PsN6thrust23THRUST_200600_302600_NS10device_ptrIlEEjNS1_19radix_merge_compareILb0ELb1EsNS0_19identity_decomposerEEEEE10hipError_tT0_T1_T2_jT3_P12ihipStream_tbPNSt15iterator_traitsISG_E10value_typeEPNSM_ISH_E10value_typeEPSI_NS1_7vsmem_tEENKUlT_SG_SH_SI_E_clIS7_S7_PlSB_EESF_SV_SG_SH_SI_EUlSV_E1_NS1_11comp_targetILNS1_3genE8ELNS1_11target_archE1030ELNS1_3gpuE2ELNS1_3repE0EEENS1_36merge_oddeven_config_static_selectorELNS0_4arch9wavefront6targetE1EEEvSH_.num_named_barrier, 0
	.set _ZN7rocprim17ROCPRIM_400000_NS6detail17trampoline_kernelINS0_14default_configENS1_38merge_sort_block_merge_config_selectorIslEEZZNS1_27merge_sort_block_merge_implIS3_PsN6thrust23THRUST_200600_302600_NS10device_ptrIlEEjNS1_19radix_merge_compareILb0ELb1EsNS0_19identity_decomposerEEEEE10hipError_tT0_T1_T2_jT3_P12ihipStream_tbPNSt15iterator_traitsISG_E10value_typeEPNSM_ISH_E10value_typeEPSI_NS1_7vsmem_tEENKUlT_SG_SH_SI_E_clIS7_S7_PlSB_EESF_SV_SG_SH_SI_EUlSV_E1_NS1_11comp_targetILNS1_3genE8ELNS1_11target_archE1030ELNS1_3gpuE2ELNS1_3repE0EEENS1_36merge_oddeven_config_static_selectorELNS0_4arch9wavefront6targetE1EEEvSH_.private_seg_size, 0
	.set _ZN7rocprim17ROCPRIM_400000_NS6detail17trampoline_kernelINS0_14default_configENS1_38merge_sort_block_merge_config_selectorIslEEZZNS1_27merge_sort_block_merge_implIS3_PsN6thrust23THRUST_200600_302600_NS10device_ptrIlEEjNS1_19radix_merge_compareILb0ELb1EsNS0_19identity_decomposerEEEEE10hipError_tT0_T1_T2_jT3_P12ihipStream_tbPNSt15iterator_traitsISG_E10value_typeEPNSM_ISH_E10value_typeEPSI_NS1_7vsmem_tEENKUlT_SG_SH_SI_E_clIS7_S7_PlSB_EESF_SV_SG_SH_SI_EUlSV_E1_NS1_11comp_targetILNS1_3genE8ELNS1_11target_archE1030ELNS1_3gpuE2ELNS1_3repE0EEENS1_36merge_oddeven_config_static_selectorELNS0_4arch9wavefront6targetE1EEEvSH_.uses_vcc, 0
	.set _ZN7rocprim17ROCPRIM_400000_NS6detail17trampoline_kernelINS0_14default_configENS1_38merge_sort_block_merge_config_selectorIslEEZZNS1_27merge_sort_block_merge_implIS3_PsN6thrust23THRUST_200600_302600_NS10device_ptrIlEEjNS1_19radix_merge_compareILb0ELb1EsNS0_19identity_decomposerEEEEE10hipError_tT0_T1_T2_jT3_P12ihipStream_tbPNSt15iterator_traitsISG_E10value_typeEPNSM_ISH_E10value_typeEPSI_NS1_7vsmem_tEENKUlT_SG_SH_SI_E_clIS7_S7_PlSB_EESF_SV_SG_SH_SI_EUlSV_E1_NS1_11comp_targetILNS1_3genE8ELNS1_11target_archE1030ELNS1_3gpuE2ELNS1_3repE0EEENS1_36merge_oddeven_config_static_selectorELNS0_4arch9wavefront6targetE1EEEvSH_.uses_flat_scratch, 0
	.set _ZN7rocprim17ROCPRIM_400000_NS6detail17trampoline_kernelINS0_14default_configENS1_38merge_sort_block_merge_config_selectorIslEEZZNS1_27merge_sort_block_merge_implIS3_PsN6thrust23THRUST_200600_302600_NS10device_ptrIlEEjNS1_19radix_merge_compareILb0ELb1EsNS0_19identity_decomposerEEEEE10hipError_tT0_T1_T2_jT3_P12ihipStream_tbPNSt15iterator_traitsISG_E10value_typeEPNSM_ISH_E10value_typeEPSI_NS1_7vsmem_tEENKUlT_SG_SH_SI_E_clIS7_S7_PlSB_EESF_SV_SG_SH_SI_EUlSV_E1_NS1_11comp_targetILNS1_3genE8ELNS1_11target_archE1030ELNS1_3gpuE2ELNS1_3repE0EEENS1_36merge_oddeven_config_static_selectorELNS0_4arch9wavefront6targetE1EEEvSH_.has_dyn_sized_stack, 0
	.set _ZN7rocprim17ROCPRIM_400000_NS6detail17trampoline_kernelINS0_14default_configENS1_38merge_sort_block_merge_config_selectorIslEEZZNS1_27merge_sort_block_merge_implIS3_PsN6thrust23THRUST_200600_302600_NS10device_ptrIlEEjNS1_19radix_merge_compareILb0ELb1EsNS0_19identity_decomposerEEEEE10hipError_tT0_T1_T2_jT3_P12ihipStream_tbPNSt15iterator_traitsISG_E10value_typeEPNSM_ISH_E10value_typeEPSI_NS1_7vsmem_tEENKUlT_SG_SH_SI_E_clIS7_S7_PlSB_EESF_SV_SG_SH_SI_EUlSV_E1_NS1_11comp_targetILNS1_3genE8ELNS1_11target_archE1030ELNS1_3gpuE2ELNS1_3repE0EEENS1_36merge_oddeven_config_static_selectorELNS0_4arch9wavefront6targetE1EEEvSH_.has_recursion, 0
	.set _ZN7rocprim17ROCPRIM_400000_NS6detail17trampoline_kernelINS0_14default_configENS1_38merge_sort_block_merge_config_selectorIslEEZZNS1_27merge_sort_block_merge_implIS3_PsN6thrust23THRUST_200600_302600_NS10device_ptrIlEEjNS1_19radix_merge_compareILb0ELb1EsNS0_19identity_decomposerEEEEE10hipError_tT0_T1_T2_jT3_P12ihipStream_tbPNSt15iterator_traitsISG_E10value_typeEPNSM_ISH_E10value_typeEPSI_NS1_7vsmem_tEENKUlT_SG_SH_SI_E_clIS7_S7_PlSB_EESF_SV_SG_SH_SI_EUlSV_E1_NS1_11comp_targetILNS1_3genE8ELNS1_11target_archE1030ELNS1_3gpuE2ELNS1_3repE0EEENS1_36merge_oddeven_config_static_selectorELNS0_4arch9wavefront6targetE1EEEvSH_.has_indirect_call, 0
	.section	.AMDGPU.csdata,"",@progbits
; Kernel info:
; codeLenInByte = 0
; TotalNumSgprs: 4
; NumVgprs: 0
; ScratchSize: 0
; MemoryBound: 0
; FloatMode: 240
; IeeeMode: 1
; LDSByteSize: 0 bytes/workgroup (compile time only)
; SGPRBlocks: 0
; VGPRBlocks: 0
; NumSGPRsForWavesPerEU: 4
; NumVGPRsForWavesPerEU: 1
; Occupancy: 10
; WaveLimiterHint : 0
; COMPUTE_PGM_RSRC2:SCRATCH_EN: 0
; COMPUTE_PGM_RSRC2:USER_SGPR: 6
; COMPUTE_PGM_RSRC2:TRAP_HANDLER: 0
; COMPUTE_PGM_RSRC2:TGID_X_EN: 1
; COMPUTE_PGM_RSRC2:TGID_Y_EN: 0
; COMPUTE_PGM_RSRC2:TGID_Z_EN: 0
; COMPUTE_PGM_RSRC2:TIDIG_COMP_CNT: 0
	.section	.text._ZN7rocprim17ROCPRIM_400000_NS6detail17trampoline_kernelINS0_14default_configENS1_38merge_sort_block_merge_config_selectorIslEEZZNS1_27merge_sort_block_merge_implIS3_PsN6thrust23THRUST_200600_302600_NS10device_ptrIlEEjNS1_19radix_merge_compareILb0ELb1EsNS0_19identity_decomposerEEEEE10hipError_tT0_T1_T2_jT3_P12ihipStream_tbPNSt15iterator_traitsISG_E10value_typeEPNSM_ISH_E10value_typeEPSI_NS1_7vsmem_tEENKUlT_SG_SH_SI_E_clIS7_S7_SB_PlEESF_SV_SG_SH_SI_EUlSV_E_NS1_11comp_targetILNS1_3genE0ELNS1_11target_archE4294967295ELNS1_3gpuE0ELNS1_3repE0EEENS1_48merge_mergepath_partition_config_static_selectorELNS0_4arch9wavefront6targetE1EEEvSH_,"axG",@progbits,_ZN7rocprim17ROCPRIM_400000_NS6detail17trampoline_kernelINS0_14default_configENS1_38merge_sort_block_merge_config_selectorIslEEZZNS1_27merge_sort_block_merge_implIS3_PsN6thrust23THRUST_200600_302600_NS10device_ptrIlEEjNS1_19radix_merge_compareILb0ELb1EsNS0_19identity_decomposerEEEEE10hipError_tT0_T1_T2_jT3_P12ihipStream_tbPNSt15iterator_traitsISG_E10value_typeEPNSM_ISH_E10value_typeEPSI_NS1_7vsmem_tEENKUlT_SG_SH_SI_E_clIS7_S7_SB_PlEESF_SV_SG_SH_SI_EUlSV_E_NS1_11comp_targetILNS1_3genE0ELNS1_11target_archE4294967295ELNS1_3gpuE0ELNS1_3repE0EEENS1_48merge_mergepath_partition_config_static_selectorELNS0_4arch9wavefront6targetE1EEEvSH_,comdat
	.protected	_ZN7rocprim17ROCPRIM_400000_NS6detail17trampoline_kernelINS0_14default_configENS1_38merge_sort_block_merge_config_selectorIslEEZZNS1_27merge_sort_block_merge_implIS3_PsN6thrust23THRUST_200600_302600_NS10device_ptrIlEEjNS1_19radix_merge_compareILb0ELb1EsNS0_19identity_decomposerEEEEE10hipError_tT0_T1_T2_jT3_P12ihipStream_tbPNSt15iterator_traitsISG_E10value_typeEPNSM_ISH_E10value_typeEPSI_NS1_7vsmem_tEENKUlT_SG_SH_SI_E_clIS7_S7_SB_PlEESF_SV_SG_SH_SI_EUlSV_E_NS1_11comp_targetILNS1_3genE0ELNS1_11target_archE4294967295ELNS1_3gpuE0ELNS1_3repE0EEENS1_48merge_mergepath_partition_config_static_selectorELNS0_4arch9wavefront6targetE1EEEvSH_ ; -- Begin function _ZN7rocprim17ROCPRIM_400000_NS6detail17trampoline_kernelINS0_14default_configENS1_38merge_sort_block_merge_config_selectorIslEEZZNS1_27merge_sort_block_merge_implIS3_PsN6thrust23THRUST_200600_302600_NS10device_ptrIlEEjNS1_19radix_merge_compareILb0ELb1EsNS0_19identity_decomposerEEEEE10hipError_tT0_T1_T2_jT3_P12ihipStream_tbPNSt15iterator_traitsISG_E10value_typeEPNSM_ISH_E10value_typeEPSI_NS1_7vsmem_tEENKUlT_SG_SH_SI_E_clIS7_S7_SB_PlEESF_SV_SG_SH_SI_EUlSV_E_NS1_11comp_targetILNS1_3genE0ELNS1_11target_archE4294967295ELNS1_3gpuE0ELNS1_3repE0EEENS1_48merge_mergepath_partition_config_static_selectorELNS0_4arch9wavefront6targetE1EEEvSH_
	.globl	_ZN7rocprim17ROCPRIM_400000_NS6detail17trampoline_kernelINS0_14default_configENS1_38merge_sort_block_merge_config_selectorIslEEZZNS1_27merge_sort_block_merge_implIS3_PsN6thrust23THRUST_200600_302600_NS10device_ptrIlEEjNS1_19radix_merge_compareILb0ELb1EsNS0_19identity_decomposerEEEEE10hipError_tT0_T1_T2_jT3_P12ihipStream_tbPNSt15iterator_traitsISG_E10value_typeEPNSM_ISH_E10value_typeEPSI_NS1_7vsmem_tEENKUlT_SG_SH_SI_E_clIS7_S7_SB_PlEESF_SV_SG_SH_SI_EUlSV_E_NS1_11comp_targetILNS1_3genE0ELNS1_11target_archE4294967295ELNS1_3gpuE0ELNS1_3repE0EEENS1_48merge_mergepath_partition_config_static_selectorELNS0_4arch9wavefront6targetE1EEEvSH_
	.p2align	8
	.type	_ZN7rocprim17ROCPRIM_400000_NS6detail17trampoline_kernelINS0_14default_configENS1_38merge_sort_block_merge_config_selectorIslEEZZNS1_27merge_sort_block_merge_implIS3_PsN6thrust23THRUST_200600_302600_NS10device_ptrIlEEjNS1_19radix_merge_compareILb0ELb1EsNS0_19identity_decomposerEEEEE10hipError_tT0_T1_T2_jT3_P12ihipStream_tbPNSt15iterator_traitsISG_E10value_typeEPNSM_ISH_E10value_typeEPSI_NS1_7vsmem_tEENKUlT_SG_SH_SI_E_clIS7_S7_SB_PlEESF_SV_SG_SH_SI_EUlSV_E_NS1_11comp_targetILNS1_3genE0ELNS1_11target_archE4294967295ELNS1_3gpuE0ELNS1_3repE0EEENS1_48merge_mergepath_partition_config_static_selectorELNS0_4arch9wavefront6targetE1EEEvSH_,@function
_ZN7rocprim17ROCPRIM_400000_NS6detail17trampoline_kernelINS0_14default_configENS1_38merge_sort_block_merge_config_selectorIslEEZZNS1_27merge_sort_block_merge_implIS3_PsN6thrust23THRUST_200600_302600_NS10device_ptrIlEEjNS1_19radix_merge_compareILb0ELb1EsNS0_19identity_decomposerEEEEE10hipError_tT0_T1_T2_jT3_P12ihipStream_tbPNSt15iterator_traitsISG_E10value_typeEPNSM_ISH_E10value_typeEPSI_NS1_7vsmem_tEENKUlT_SG_SH_SI_E_clIS7_S7_SB_PlEESF_SV_SG_SH_SI_EUlSV_E_NS1_11comp_targetILNS1_3genE0ELNS1_11target_archE4294967295ELNS1_3gpuE0ELNS1_3repE0EEENS1_48merge_mergepath_partition_config_static_selectorELNS0_4arch9wavefront6targetE1EEEvSH_: ; @_ZN7rocprim17ROCPRIM_400000_NS6detail17trampoline_kernelINS0_14default_configENS1_38merge_sort_block_merge_config_selectorIslEEZZNS1_27merge_sort_block_merge_implIS3_PsN6thrust23THRUST_200600_302600_NS10device_ptrIlEEjNS1_19radix_merge_compareILb0ELb1EsNS0_19identity_decomposerEEEEE10hipError_tT0_T1_T2_jT3_P12ihipStream_tbPNSt15iterator_traitsISG_E10value_typeEPNSM_ISH_E10value_typeEPSI_NS1_7vsmem_tEENKUlT_SG_SH_SI_E_clIS7_S7_SB_PlEESF_SV_SG_SH_SI_EUlSV_E_NS1_11comp_targetILNS1_3genE0ELNS1_11target_archE4294967295ELNS1_3gpuE0ELNS1_3repE0EEENS1_48merge_mergepath_partition_config_static_selectorELNS0_4arch9wavefront6targetE1EEEvSH_
; %bb.0:
	.section	.rodata,"a",@progbits
	.p2align	6, 0x0
	.amdhsa_kernel _ZN7rocprim17ROCPRIM_400000_NS6detail17trampoline_kernelINS0_14default_configENS1_38merge_sort_block_merge_config_selectorIslEEZZNS1_27merge_sort_block_merge_implIS3_PsN6thrust23THRUST_200600_302600_NS10device_ptrIlEEjNS1_19radix_merge_compareILb0ELb1EsNS0_19identity_decomposerEEEEE10hipError_tT0_T1_T2_jT3_P12ihipStream_tbPNSt15iterator_traitsISG_E10value_typeEPNSM_ISH_E10value_typeEPSI_NS1_7vsmem_tEENKUlT_SG_SH_SI_E_clIS7_S7_SB_PlEESF_SV_SG_SH_SI_EUlSV_E_NS1_11comp_targetILNS1_3genE0ELNS1_11target_archE4294967295ELNS1_3gpuE0ELNS1_3repE0EEENS1_48merge_mergepath_partition_config_static_selectorELNS0_4arch9wavefront6targetE1EEEvSH_
		.amdhsa_group_segment_fixed_size 0
		.amdhsa_private_segment_fixed_size 0
		.amdhsa_kernarg_size 40
		.amdhsa_user_sgpr_count 6
		.amdhsa_user_sgpr_private_segment_buffer 1
		.amdhsa_user_sgpr_dispatch_ptr 0
		.amdhsa_user_sgpr_queue_ptr 0
		.amdhsa_user_sgpr_kernarg_segment_ptr 1
		.amdhsa_user_sgpr_dispatch_id 0
		.amdhsa_user_sgpr_flat_scratch_init 0
		.amdhsa_user_sgpr_private_segment_size 0
		.amdhsa_uses_dynamic_stack 0
		.amdhsa_system_sgpr_private_segment_wavefront_offset 0
		.amdhsa_system_sgpr_workgroup_id_x 1
		.amdhsa_system_sgpr_workgroup_id_y 0
		.amdhsa_system_sgpr_workgroup_id_z 0
		.amdhsa_system_sgpr_workgroup_info 0
		.amdhsa_system_vgpr_workitem_id 0
		.amdhsa_next_free_vgpr 1
		.amdhsa_next_free_sgpr 0
		.amdhsa_reserve_vcc 0
		.amdhsa_reserve_flat_scratch 0
		.amdhsa_float_round_mode_32 0
		.amdhsa_float_round_mode_16_64 0
		.amdhsa_float_denorm_mode_32 3
		.amdhsa_float_denorm_mode_16_64 3
		.amdhsa_dx10_clamp 1
		.amdhsa_ieee_mode 1
		.amdhsa_fp16_overflow 0
		.amdhsa_exception_fp_ieee_invalid_op 0
		.amdhsa_exception_fp_denorm_src 0
		.amdhsa_exception_fp_ieee_div_zero 0
		.amdhsa_exception_fp_ieee_overflow 0
		.amdhsa_exception_fp_ieee_underflow 0
		.amdhsa_exception_fp_ieee_inexact 0
		.amdhsa_exception_int_div_zero 0
	.end_amdhsa_kernel
	.section	.text._ZN7rocprim17ROCPRIM_400000_NS6detail17trampoline_kernelINS0_14default_configENS1_38merge_sort_block_merge_config_selectorIslEEZZNS1_27merge_sort_block_merge_implIS3_PsN6thrust23THRUST_200600_302600_NS10device_ptrIlEEjNS1_19radix_merge_compareILb0ELb1EsNS0_19identity_decomposerEEEEE10hipError_tT0_T1_T2_jT3_P12ihipStream_tbPNSt15iterator_traitsISG_E10value_typeEPNSM_ISH_E10value_typeEPSI_NS1_7vsmem_tEENKUlT_SG_SH_SI_E_clIS7_S7_SB_PlEESF_SV_SG_SH_SI_EUlSV_E_NS1_11comp_targetILNS1_3genE0ELNS1_11target_archE4294967295ELNS1_3gpuE0ELNS1_3repE0EEENS1_48merge_mergepath_partition_config_static_selectorELNS0_4arch9wavefront6targetE1EEEvSH_,"axG",@progbits,_ZN7rocprim17ROCPRIM_400000_NS6detail17trampoline_kernelINS0_14default_configENS1_38merge_sort_block_merge_config_selectorIslEEZZNS1_27merge_sort_block_merge_implIS3_PsN6thrust23THRUST_200600_302600_NS10device_ptrIlEEjNS1_19radix_merge_compareILb0ELb1EsNS0_19identity_decomposerEEEEE10hipError_tT0_T1_T2_jT3_P12ihipStream_tbPNSt15iterator_traitsISG_E10value_typeEPNSM_ISH_E10value_typeEPSI_NS1_7vsmem_tEENKUlT_SG_SH_SI_E_clIS7_S7_SB_PlEESF_SV_SG_SH_SI_EUlSV_E_NS1_11comp_targetILNS1_3genE0ELNS1_11target_archE4294967295ELNS1_3gpuE0ELNS1_3repE0EEENS1_48merge_mergepath_partition_config_static_selectorELNS0_4arch9wavefront6targetE1EEEvSH_,comdat
.Lfunc_end1356:
	.size	_ZN7rocprim17ROCPRIM_400000_NS6detail17trampoline_kernelINS0_14default_configENS1_38merge_sort_block_merge_config_selectorIslEEZZNS1_27merge_sort_block_merge_implIS3_PsN6thrust23THRUST_200600_302600_NS10device_ptrIlEEjNS1_19radix_merge_compareILb0ELb1EsNS0_19identity_decomposerEEEEE10hipError_tT0_T1_T2_jT3_P12ihipStream_tbPNSt15iterator_traitsISG_E10value_typeEPNSM_ISH_E10value_typeEPSI_NS1_7vsmem_tEENKUlT_SG_SH_SI_E_clIS7_S7_SB_PlEESF_SV_SG_SH_SI_EUlSV_E_NS1_11comp_targetILNS1_3genE0ELNS1_11target_archE4294967295ELNS1_3gpuE0ELNS1_3repE0EEENS1_48merge_mergepath_partition_config_static_selectorELNS0_4arch9wavefront6targetE1EEEvSH_, .Lfunc_end1356-_ZN7rocprim17ROCPRIM_400000_NS6detail17trampoline_kernelINS0_14default_configENS1_38merge_sort_block_merge_config_selectorIslEEZZNS1_27merge_sort_block_merge_implIS3_PsN6thrust23THRUST_200600_302600_NS10device_ptrIlEEjNS1_19radix_merge_compareILb0ELb1EsNS0_19identity_decomposerEEEEE10hipError_tT0_T1_T2_jT3_P12ihipStream_tbPNSt15iterator_traitsISG_E10value_typeEPNSM_ISH_E10value_typeEPSI_NS1_7vsmem_tEENKUlT_SG_SH_SI_E_clIS7_S7_SB_PlEESF_SV_SG_SH_SI_EUlSV_E_NS1_11comp_targetILNS1_3genE0ELNS1_11target_archE4294967295ELNS1_3gpuE0ELNS1_3repE0EEENS1_48merge_mergepath_partition_config_static_selectorELNS0_4arch9wavefront6targetE1EEEvSH_
                                        ; -- End function
	.set _ZN7rocprim17ROCPRIM_400000_NS6detail17trampoline_kernelINS0_14default_configENS1_38merge_sort_block_merge_config_selectorIslEEZZNS1_27merge_sort_block_merge_implIS3_PsN6thrust23THRUST_200600_302600_NS10device_ptrIlEEjNS1_19radix_merge_compareILb0ELb1EsNS0_19identity_decomposerEEEEE10hipError_tT0_T1_T2_jT3_P12ihipStream_tbPNSt15iterator_traitsISG_E10value_typeEPNSM_ISH_E10value_typeEPSI_NS1_7vsmem_tEENKUlT_SG_SH_SI_E_clIS7_S7_SB_PlEESF_SV_SG_SH_SI_EUlSV_E_NS1_11comp_targetILNS1_3genE0ELNS1_11target_archE4294967295ELNS1_3gpuE0ELNS1_3repE0EEENS1_48merge_mergepath_partition_config_static_selectorELNS0_4arch9wavefront6targetE1EEEvSH_.num_vgpr, 0
	.set _ZN7rocprim17ROCPRIM_400000_NS6detail17trampoline_kernelINS0_14default_configENS1_38merge_sort_block_merge_config_selectorIslEEZZNS1_27merge_sort_block_merge_implIS3_PsN6thrust23THRUST_200600_302600_NS10device_ptrIlEEjNS1_19radix_merge_compareILb0ELb1EsNS0_19identity_decomposerEEEEE10hipError_tT0_T1_T2_jT3_P12ihipStream_tbPNSt15iterator_traitsISG_E10value_typeEPNSM_ISH_E10value_typeEPSI_NS1_7vsmem_tEENKUlT_SG_SH_SI_E_clIS7_S7_SB_PlEESF_SV_SG_SH_SI_EUlSV_E_NS1_11comp_targetILNS1_3genE0ELNS1_11target_archE4294967295ELNS1_3gpuE0ELNS1_3repE0EEENS1_48merge_mergepath_partition_config_static_selectorELNS0_4arch9wavefront6targetE1EEEvSH_.num_agpr, 0
	.set _ZN7rocprim17ROCPRIM_400000_NS6detail17trampoline_kernelINS0_14default_configENS1_38merge_sort_block_merge_config_selectorIslEEZZNS1_27merge_sort_block_merge_implIS3_PsN6thrust23THRUST_200600_302600_NS10device_ptrIlEEjNS1_19radix_merge_compareILb0ELb1EsNS0_19identity_decomposerEEEEE10hipError_tT0_T1_T2_jT3_P12ihipStream_tbPNSt15iterator_traitsISG_E10value_typeEPNSM_ISH_E10value_typeEPSI_NS1_7vsmem_tEENKUlT_SG_SH_SI_E_clIS7_S7_SB_PlEESF_SV_SG_SH_SI_EUlSV_E_NS1_11comp_targetILNS1_3genE0ELNS1_11target_archE4294967295ELNS1_3gpuE0ELNS1_3repE0EEENS1_48merge_mergepath_partition_config_static_selectorELNS0_4arch9wavefront6targetE1EEEvSH_.numbered_sgpr, 0
	.set _ZN7rocprim17ROCPRIM_400000_NS6detail17trampoline_kernelINS0_14default_configENS1_38merge_sort_block_merge_config_selectorIslEEZZNS1_27merge_sort_block_merge_implIS3_PsN6thrust23THRUST_200600_302600_NS10device_ptrIlEEjNS1_19radix_merge_compareILb0ELb1EsNS0_19identity_decomposerEEEEE10hipError_tT0_T1_T2_jT3_P12ihipStream_tbPNSt15iterator_traitsISG_E10value_typeEPNSM_ISH_E10value_typeEPSI_NS1_7vsmem_tEENKUlT_SG_SH_SI_E_clIS7_S7_SB_PlEESF_SV_SG_SH_SI_EUlSV_E_NS1_11comp_targetILNS1_3genE0ELNS1_11target_archE4294967295ELNS1_3gpuE0ELNS1_3repE0EEENS1_48merge_mergepath_partition_config_static_selectorELNS0_4arch9wavefront6targetE1EEEvSH_.num_named_barrier, 0
	.set _ZN7rocprim17ROCPRIM_400000_NS6detail17trampoline_kernelINS0_14default_configENS1_38merge_sort_block_merge_config_selectorIslEEZZNS1_27merge_sort_block_merge_implIS3_PsN6thrust23THRUST_200600_302600_NS10device_ptrIlEEjNS1_19radix_merge_compareILb0ELb1EsNS0_19identity_decomposerEEEEE10hipError_tT0_T1_T2_jT3_P12ihipStream_tbPNSt15iterator_traitsISG_E10value_typeEPNSM_ISH_E10value_typeEPSI_NS1_7vsmem_tEENKUlT_SG_SH_SI_E_clIS7_S7_SB_PlEESF_SV_SG_SH_SI_EUlSV_E_NS1_11comp_targetILNS1_3genE0ELNS1_11target_archE4294967295ELNS1_3gpuE0ELNS1_3repE0EEENS1_48merge_mergepath_partition_config_static_selectorELNS0_4arch9wavefront6targetE1EEEvSH_.private_seg_size, 0
	.set _ZN7rocprim17ROCPRIM_400000_NS6detail17trampoline_kernelINS0_14default_configENS1_38merge_sort_block_merge_config_selectorIslEEZZNS1_27merge_sort_block_merge_implIS3_PsN6thrust23THRUST_200600_302600_NS10device_ptrIlEEjNS1_19radix_merge_compareILb0ELb1EsNS0_19identity_decomposerEEEEE10hipError_tT0_T1_T2_jT3_P12ihipStream_tbPNSt15iterator_traitsISG_E10value_typeEPNSM_ISH_E10value_typeEPSI_NS1_7vsmem_tEENKUlT_SG_SH_SI_E_clIS7_S7_SB_PlEESF_SV_SG_SH_SI_EUlSV_E_NS1_11comp_targetILNS1_3genE0ELNS1_11target_archE4294967295ELNS1_3gpuE0ELNS1_3repE0EEENS1_48merge_mergepath_partition_config_static_selectorELNS0_4arch9wavefront6targetE1EEEvSH_.uses_vcc, 0
	.set _ZN7rocprim17ROCPRIM_400000_NS6detail17trampoline_kernelINS0_14default_configENS1_38merge_sort_block_merge_config_selectorIslEEZZNS1_27merge_sort_block_merge_implIS3_PsN6thrust23THRUST_200600_302600_NS10device_ptrIlEEjNS1_19radix_merge_compareILb0ELb1EsNS0_19identity_decomposerEEEEE10hipError_tT0_T1_T2_jT3_P12ihipStream_tbPNSt15iterator_traitsISG_E10value_typeEPNSM_ISH_E10value_typeEPSI_NS1_7vsmem_tEENKUlT_SG_SH_SI_E_clIS7_S7_SB_PlEESF_SV_SG_SH_SI_EUlSV_E_NS1_11comp_targetILNS1_3genE0ELNS1_11target_archE4294967295ELNS1_3gpuE0ELNS1_3repE0EEENS1_48merge_mergepath_partition_config_static_selectorELNS0_4arch9wavefront6targetE1EEEvSH_.uses_flat_scratch, 0
	.set _ZN7rocprim17ROCPRIM_400000_NS6detail17trampoline_kernelINS0_14default_configENS1_38merge_sort_block_merge_config_selectorIslEEZZNS1_27merge_sort_block_merge_implIS3_PsN6thrust23THRUST_200600_302600_NS10device_ptrIlEEjNS1_19radix_merge_compareILb0ELb1EsNS0_19identity_decomposerEEEEE10hipError_tT0_T1_T2_jT3_P12ihipStream_tbPNSt15iterator_traitsISG_E10value_typeEPNSM_ISH_E10value_typeEPSI_NS1_7vsmem_tEENKUlT_SG_SH_SI_E_clIS7_S7_SB_PlEESF_SV_SG_SH_SI_EUlSV_E_NS1_11comp_targetILNS1_3genE0ELNS1_11target_archE4294967295ELNS1_3gpuE0ELNS1_3repE0EEENS1_48merge_mergepath_partition_config_static_selectorELNS0_4arch9wavefront6targetE1EEEvSH_.has_dyn_sized_stack, 0
	.set _ZN7rocprim17ROCPRIM_400000_NS6detail17trampoline_kernelINS0_14default_configENS1_38merge_sort_block_merge_config_selectorIslEEZZNS1_27merge_sort_block_merge_implIS3_PsN6thrust23THRUST_200600_302600_NS10device_ptrIlEEjNS1_19radix_merge_compareILb0ELb1EsNS0_19identity_decomposerEEEEE10hipError_tT0_T1_T2_jT3_P12ihipStream_tbPNSt15iterator_traitsISG_E10value_typeEPNSM_ISH_E10value_typeEPSI_NS1_7vsmem_tEENKUlT_SG_SH_SI_E_clIS7_S7_SB_PlEESF_SV_SG_SH_SI_EUlSV_E_NS1_11comp_targetILNS1_3genE0ELNS1_11target_archE4294967295ELNS1_3gpuE0ELNS1_3repE0EEENS1_48merge_mergepath_partition_config_static_selectorELNS0_4arch9wavefront6targetE1EEEvSH_.has_recursion, 0
	.set _ZN7rocprim17ROCPRIM_400000_NS6detail17trampoline_kernelINS0_14default_configENS1_38merge_sort_block_merge_config_selectorIslEEZZNS1_27merge_sort_block_merge_implIS3_PsN6thrust23THRUST_200600_302600_NS10device_ptrIlEEjNS1_19radix_merge_compareILb0ELb1EsNS0_19identity_decomposerEEEEE10hipError_tT0_T1_T2_jT3_P12ihipStream_tbPNSt15iterator_traitsISG_E10value_typeEPNSM_ISH_E10value_typeEPSI_NS1_7vsmem_tEENKUlT_SG_SH_SI_E_clIS7_S7_SB_PlEESF_SV_SG_SH_SI_EUlSV_E_NS1_11comp_targetILNS1_3genE0ELNS1_11target_archE4294967295ELNS1_3gpuE0ELNS1_3repE0EEENS1_48merge_mergepath_partition_config_static_selectorELNS0_4arch9wavefront6targetE1EEEvSH_.has_indirect_call, 0
	.section	.AMDGPU.csdata,"",@progbits
; Kernel info:
; codeLenInByte = 0
; TotalNumSgprs: 4
; NumVgprs: 0
; ScratchSize: 0
; MemoryBound: 0
; FloatMode: 240
; IeeeMode: 1
; LDSByteSize: 0 bytes/workgroup (compile time only)
; SGPRBlocks: 0
; VGPRBlocks: 0
; NumSGPRsForWavesPerEU: 4
; NumVGPRsForWavesPerEU: 1
; Occupancy: 10
; WaveLimiterHint : 0
; COMPUTE_PGM_RSRC2:SCRATCH_EN: 0
; COMPUTE_PGM_RSRC2:USER_SGPR: 6
; COMPUTE_PGM_RSRC2:TRAP_HANDLER: 0
; COMPUTE_PGM_RSRC2:TGID_X_EN: 1
; COMPUTE_PGM_RSRC2:TGID_Y_EN: 0
; COMPUTE_PGM_RSRC2:TGID_Z_EN: 0
; COMPUTE_PGM_RSRC2:TIDIG_COMP_CNT: 0
	.section	.text._ZN7rocprim17ROCPRIM_400000_NS6detail17trampoline_kernelINS0_14default_configENS1_38merge_sort_block_merge_config_selectorIslEEZZNS1_27merge_sort_block_merge_implIS3_PsN6thrust23THRUST_200600_302600_NS10device_ptrIlEEjNS1_19radix_merge_compareILb0ELb1EsNS0_19identity_decomposerEEEEE10hipError_tT0_T1_T2_jT3_P12ihipStream_tbPNSt15iterator_traitsISG_E10value_typeEPNSM_ISH_E10value_typeEPSI_NS1_7vsmem_tEENKUlT_SG_SH_SI_E_clIS7_S7_SB_PlEESF_SV_SG_SH_SI_EUlSV_E_NS1_11comp_targetILNS1_3genE10ELNS1_11target_archE1201ELNS1_3gpuE5ELNS1_3repE0EEENS1_48merge_mergepath_partition_config_static_selectorELNS0_4arch9wavefront6targetE1EEEvSH_,"axG",@progbits,_ZN7rocprim17ROCPRIM_400000_NS6detail17trampoline_kernelINS0_14default_configENS1_38merge_sort_block_merge_config_selectorIslEEZZNS1_27merge_sort_block_merge_implIS3_PsN6thrust23THRUST_200600_302600_NS10device_ptrIlEEjNS1_19radix_merge_compareILb0ELb1EsNS0_19identity_decomposerEEEEE10hipError_tT0_T1_T2_jT3_P12ihipStream_tbPNSt15iterator_traitsISG_E10value_typeEPNSM_ISH_E10value_typeEPSI_NS1_7vsmem_tEENKUlT_SG_SH_SI_E_clIS7_S7_SB_PlEESF_SV_SG_SH_SI_EUlSV_E_NS1_11comp_targetILNS1_3genE10ELNS1_11target_archE1201ELNS1_3gpuE5ELNS1_3repE0EEENS1_48merge_mergepath_partition_config_static_selectorELNS0_4arch9wavefront6targetE1EEEvSH_,comdat
	.protected	_ZN7rocprim17ROCPRIM_400000_NS6detail17trampoline_kernelINS0_14default_configENS1_38merge_sort_block_merge_config_selectorIslEEZZNS1_27merge_sort_block_merge_implIS3_PsN6thrust23THRUST_200600_302600_NS10device_ptrIlEEjNS1_19radix_merge_compareILb0ELb1EsNS0_19identity_decomposerEEEEE10hipError_tT0_T1_T2_jT3_P12ihipStream_tbPNSt15iterator_traitsISG_E10value_typeEPNSM_ISH_E10value_typeEPSI_NS1_7vsmem_tEENKUlT_SG_SH_SI_E_clIS7_S7_SB_PlEESF_SV_SG_SH_SI_EUlSV_E_NS1_11comp_targetILNS1_3genE10ELNS1_11target_archE1201ELNS1_3gpuE5ELNS1_3repE0EEENS1_48merge_mergepath_partition_config_static_selectorELNS0_4arch9wavefront6targetE1EEEvSH_ ; -- Begin function _ZN7rocprim17ROCPRIM_400000_NS6detail17trampoline_kernelINS0_14default_configENS1_38merge_sort_block_merge_config_selectorIslEEZZNS1_27merge_sort_block_merge_implIS3_PsN6thrust23THRUST_200600_302600_NS10device_ptrIlEEjNS1_19radix_merge_compareILb0ELb1EsNS0_19identity_decomposerEEEEE10hipError_tT0_T1_T2_jT3_P12ihipStream_tbPNSt15iterator_traitsISG_E10value_typeEPNSM_ISH_E10value_typeEPSI_NS1_7vsmem_tEENKUlT_SG_SH_SI_E_clIS7_S7_SB_PlEESF_SV_SG_SH_SI_EUlSV_E_NS1_11comp_targetILNS1_3genE10ELNS1_11target_archE1201ELNS1_3gpuE5ELNS1_3repE0EEENS1_48merge_mergepath_partition_config_static_selectorELNS0_4arch9wavefront6targetE1EEEvSH_
	.globl	_ZN7rocprim17ROCPRIM_400000_NS6detail17trampoline_kernelINS0_14default_configENS1_38merge_sort_block_merge_config_selectorIslEEZZNS1_27merge_sort_block_merge_implIS3_PsN6thrust23THRUST_200600_302600_NS10device_ptrIlEEjNS1_19radix_merge_compareILb0ELb1EsNS0_19identity_decomposerEEEEE10hipError_tT0_T1_T2_jT3_P12ihipStream_tbPNSt15iterator_traitsISG_E10value_typeEPNSM_ISH_E10value_typeEPSI_NS1_7vsmem_tEENKUlT_SG_SH_SI_E_clIS7_S7_SB_PlEESF_SV_SG_SH_SI_EUlSV_E_NS1_11comp_targetILNS1_3genE10ELNS1_11target_archE1201ELNS1_3gpuE5ELNS1_3repE0EEENS1_48merge_mergepath_partition_config_static_selectorELNS0_4arch9wavefront6targetE1EEEvSH_
	.p2align	8
	.type	_ZN7rocprim17ROCPRIM_400000_NS6detail17trampoline_kernelINS0_14default_configENS1_38merge_sort_block_merge_config_selectorIslEEZZNS1_27merge_sort_block_merge_implIS3_PsN6thrust23THRUST_200600_302600_NS10device_ptrIlEEjNS1_19radix_merge_compareILb0ELb1EsNS0_19identity_decomposerEEEEE10hipError_tT0_T1_T2_jT3_P12ihipStream_tbPNSt15iterator_traitsISG_E10value_typeEPNSM_ISH_E10value_typeEPSI_NS1_7vsmem_tEENKUlT_SG_SH_SI_E_clIS7_S7_SB_PlEESF_SV_SG_SH_SI_EUlSV_E_NS1_11comp_targetILNS1_3genE10ELNS1_11target_archE1201ELNS1_3gpuE5ELNS1_3repE0EEENS1_48merge_mergepath_partition_config_static_selectorELNS0_4arch9wavefront6targetE1EEEvSH_,@function
_ZN7rocprim17ROCPRIM_400000_NS6detail17trampoline_kernelINS0_14default_configENS1_38merge_sort_block_merge_config_selectorIslEEZZNS1_27merge_sort_block_merge_implIS3_PsN6thrust23THRUST_200600_302600_NS10device_ptrIlEEjNS1_19radix_merge_compareILb0ELb1EsNS0_19identity_decomposerEEEEE10hipError_tT0_T1_T2_jT3_P12ihipStream_tbPNSt15iterator_traitsISG_E10value_typeEPNSM_ISH_E10value_typeEPSI_NS1_7vsmem_tEENKUlT_SG_SH_SI_E_clIS7_S7_SB_PlEESF_SV_SG_SH_SI_EUlSV_E_NS1_11comp_targetILNS1_3genE10ELNS1_11target_archE1201ELNS1_3gpuE5ELNS1_3repE0EEENS1_48merge_mergepath_partition_config_static_selectorELNS0_4arch9wavefront6targetE1EEEvSH_: ; @_ZN7rocprim17ROCPRIM_400000_NS6detail17trampoline_kernelINS0_14default_configENS1_38merge_sort_block_merge_config_selectorIslEEZZNS1_27merge_sort_block_merge_implIS3_PsN6thrust23THRUST_200600_302600_NS10device_ptrIlEEjNS1_19radix_merge_compareILb0ELb1EsNS0_19identity_decomposerEEEEE10hipError_tT0_T1_T2_jT3_P12ihipStream_tbPNSt15iterator_traitsISG_E10value_typeEPNSM_ISH_E10value_typeEPSI_NS1_7vsmem_tEENKUlT_SG_SH_SI_E_clIS7_S7_SB_PlEESF_SV_SG_SH_SI_EUlSV_E_NS1_11comp_targetILNS1_3genE10ELNS1_11target_archE1201ELNS1_3gpuE5ELNS1_3repE0EEENS1_48merge_mergepath_partition_config_static_selectorELNS0_4arch9wavefront6targetE1EEEvSH_
; %bb.0:
	.section	.rodata,"a",@progbits
	.p2align	6, 0x0
	.amdhsa_kernel _ZN7rocprim17ROCPRIM_400000_NS6detail17trampoline_kernelINS0_14default_configENS1_38merge_sort_block_merge_config_selectorIslEEZZNS1_27merge_sort_block_merge_implIS3_PsN6thrust23THRUST_200600_302600_NS10device_ptrIlEEjNS1_19radix_merge_compareILb0ELb1EsNS0_19identity_decomposerEEEEE10hipError_tT0_T1_T2_jT3_P12ihipStream_tbPNSt15iterator_traitsISG_E10value_typeEPNSM_ISH_E10value_typeEPSI_NS1_7vsmem_tEENKUlT_SG_SH_SI_E_clIS7_S7_SB_PlEESF_SV_SG_SH_SI_EUlSV_E_NS1_11comp_targetILNS1_3genE10ELNS1_11target_archE1201ELNS1_3gpuE5ELNS1_3repE0EEENS1_48merge_mergepath_partition_config_static_selectorELNS0_4arch9wavefront6targetE1EEEvSH_
		.amdhsa_group_segment_fixed_size 0
		.amdhsa_private_segment_fixed_size 0
		.amdhsa_kernarg_size 40
		.amdhsa_user_sgpr_count 6
		.amdhsa_user_sgpr_private_segment_buffer 1
		.amdhsa_user_sgpr_dispatch_ptr 0
		.amdhsa_user_sgpr_queue_ptr 0
		.amdhsa_user_sgpr_kernarg_segment_ptr 1
		.amdhsa_user_sgpr_dispatch_id 0
		.amdhsa_user_sgpr_flat_scratch_init 0
		.amdhsa_user_sgpr_private_segment_size 0
		.amdhsa_uses_dynamic_stack 0
		.amdhsa_system_sgpr_private_segment_wavefront_offset 0
		.amdhsa_system_sgpr_workgroup_id_x 1
		.amdhsa_system_sgpr_workgroup_id_y 0
		.amdhsa_system_sgpr_workgroup_id_z 0
		.amdhsa_system_sgpr_workgroup_info 0
		.amdhsa_system_vgpr_workitem_id 0
		.amdhsa_next_free_vgpr 1
		.amdhsa_next_free_sgpr 0
		.amdhsa_reserve_vcc 0
		.amdhsa_reserve_flat_scratch 0
		.amdhsa_float_round_mode_32 0
		.amdhsa_float_round_mode_16_64 0
		.amdhsa_float_denorm_mode_32 3
		.amdhsa_float_denorm_mode_16_64 3
		.amdhsa_dx10_clamp 1
		.amdhsa_ieee_mode 1
		.amdhsa_fp16_overflow 0
		.amdhsa_exception_fp_ieee_invalid_op 0
		.amdhsa_exception_fp_denorm_src 0
		.amdhsa_exception_fp_ieee_div_zero 0
		.amdhsa_exception_fp_ieee_overflow 0
		.amdhsa_exception_fp_ieee_underflow 0
		.amdhsa_exception_fp_ieee_inexact 0
		.amdhsa_exception_int_div_zero 0
	.end_amdhsa_kernel
	.section	.text._ZN7rocprim17ROCPRIM_400000_NS6detail17trampoline_kernelINS0_14default_configENS1_38merge_sort_block_merge_config_selectorIslEEZZNS1_27merge_sort_block_merge_implIS3_PsN6thrust23THRUST_200600_302600_NS10device_ptrIlEEjNS1_19radix_merge_compareILb0ELb1EsNS0_19identity_decomposerEEEEE10hipError_tT0_T1_T2_jT3_P12ihipStream_tbPNSt15iterator_traitsISG_E10value_typeEPNSM_ISH_E10value_typeEPSI_NS1_7vsmem_tEENKUlT_SG_SH_SI_E_clIS7_S7_SB_PlEESF_SV_SG_SH_SI_EUlSV_E_NS1_11comp_targetILNS1_3genE10ELNS1_11target_archE1201ELNS1_3gpuE5ELNS1_3repE0EEENS1_48merge_mergepath_partition_config_static_selectorELNS0_4arch9wavefront6targetE1EEEvSH_,"axG",@progbits,_ZN7rocprim17ROCPRIM_400000_NS6detail17trampoline_kernelINS0_14default_configENS1_38merge_sort_block_merge_config_selectorIslEEZZNS1_27merge_sort_block_merge_implIS3_PsN6thrust23THRUST_200600_302600_NS10device_ptrIlEEjNS1_19radix_merge_compareILb0ELb1EsNS0_19identity_decomposerEEEEE10hipError_tT0_T1_T2_jT3_P12ihipStream_tbPNSt15iterator_traitsISG_E10value_typeEPNSM_ISH_E10value_typeEPSI_NS1_7vsmem_tEENKUlT_SG_SH_SI_E_clIS7_S7_SB_PlEESF_SV_SG_SH_SI_EUlSV_E_NS1_11comp_targetILNS1_3genE10ELNS1_11target_archE1201ELNS1_3gpuE5ELNS1_3repE0EEENS1_48merge_mergepath_partition_config_static_selectorELNS0_4arch9wavefront6targetE1EEEvSH_,comdat
.Lfunc_end1357:
	.size	_ZN7rocprim17ROCPRIM_400000_NS6detail17trampoline_kernelINS0_14default_configENS1_38merge_sort_block_merge_config_selectorIslEEZZNS1_27merge_sort_block_merge_implIS3_PsN6thrust23THRUST_200600_302600_NS10device_ptrIlEEjNS1_19radix_merge_compareILb0ELb1EsNS0_19identity_decomposerEEEEE10hipError_tT0_T1_T2_jT3_P12ihipStream_tbPNSt15iterator_traitsISG_E10value_typeEPNSM_ISH_E10value_typeEPSI_NS1_7vsmem_tEENKUlT_SG_SH_SI_E_clIS7_S7_SB_PlEESF_SV_SG_SH_SI_EUlSV_E_NS1_11comp_targetILNS1_3genE10ELNS1_11target_archE1201ELNS1_3gpuE5ELNS1_3repE0EEENS1_48merge_mergepath_partition_config_static_selectorELNS0_4arch9wavefront6targetE1EEEvSH_, .Lfunc_end1357-_ZN7rocprim17ROCPRIM_400000_NS6detail17trampoline_kernelINS0_14default_configENS1_38merge_sort_block_merge_config_selectorIslEEZZNS1_27merge_sort_block_merge_implIS3_PsN6thrust23THRUST_200600_302600_NS10device_ptrIlEEjNS1_19radix_merge_compareILb0ELb1EsNS0_19identity_decomposerEEEEE10hipError_tT0_T1_T2_jT3_P12ihipStream_tbPNSt15iterator_traitsISG_E10value_typeEPNSM_ISH_E10value_typeEPSI_NS1_7vsmem_tEENKUlT_SG_SH_SI_E_clIS7_S7_SB_PlEESF_SV_SG_SH_SI_EUlSV_E_NS1_11comp_targetILNS1_3genE10ELNS1_11target_archE1201ELNS1_3gpuE5ELNS1_3repE0EEENS1_48merge_mergepath_partition_config_static_selectorELNS0_4arch9wavefront6targetE1EEEvSH_
                                        ; -- End function
	.set _ZN7rocprim17ROCPRIM_400000_NS6detail17trampoline_kernelINS0_14default_configENS1_38merge_sort_block_merge_config_selectorIslEEZZNS1_27merge_sort_block_merge_implIS3_PsN6thrust23THRUST_200600_302600_NS10device_ptrIlEEjNS1_19radix_merge_compareILb0ELb1EsNS0_19identity_decomposerEEEEE10hipError_tT0_T1_T2_jT3_P12ihipStream_tbPNSt15iterator_traitsISG_E10value_typeEPNSM_ISH_E10value_typeEPSI_NS1_7vsmem_tEENKUlT_SG_SH_SI_E_clIS7_S7_SB_PlEESF_SV_SG_SH_SI_EUlSV_E_NS1_11comp_targetILNS1_3genE10ELNS1_11target_archE1201ELNS1_3gpuE5ELNS1_3repE0EEENS1_48merge_mergepath_partition_config_static_selectorELNS0_4arch9wavefront6targetE1EEEvSH_.num_vgpr, 0
	.set _ZN7rocprim17ROCPRIM_400000_NS6detail17trampoline_kernelINS0_14default_configENS1_38merge_sort_block_merge_config_selectorIslEEZZNS1_27merge_sort_block_merge_implIS3_PsN6thrust23THRUST_200600_302600_NS10device_ptrIlEEjNS1_19radix_merge_compareILb0ELb1EsNS0_19identity_decomposerEEEEE10hipError_tT0_T1_T2_jT3_P12ihipStream_tbPNSt15iterator_traitsISG_E10value_typeEPNSM_ISH_E10value_typeEPSI_NS1_7vsmem_tEENKUlT_SG_SH_SI_E_clIS7_S7_SB_PlEESF_SV_SG_SH_SI_EUlSV_E_NS1_11comp_targetILNS1_3genE10ELNS1_11target_archE1201ELNS1_3gpuE5ELNS1_3repE0EEENS1_48merge_mergepath_partition_config_static_selectorELNS0_4arch9wavefront6targetE1EEEvSH_.num_agpr, 0
	.set _ZN7rocprim17ROCPRIM_400000_NS6detail17trampoline_kernelINS0_14default_configENS1_38merge_sort_block_merge_config_selectorIslEEZZNS1_27merge_sort_block_merge_implIS3_PsN6thrust23THRUST_200600_302600_NS10device_ptrIlEEjNS1_19radix_merge_compareILb0ELb1EsNS0_19identity_decomposerEEEEE10hipError_tT0_T1_T2_jT3_P12ihipStream_tbPNSt15iterator_traitsISG_E10value_typeEPNSM_ISH_E10value_typeEPSI_NS1_7vsmem_tEENKUlT_SG_SH_SI_E_clIS7_S7_SB_PlEESF_SV_SG_SH_SI_EUlSV_E_NS1_11comp_targetILNS1_3genE10ELNS1_11target_archE1201ELNS1_3gpuE5ELNS1_3repE0EEENS1_48merge_mergepath_partition_config_static_selectorELNS0_4arch9wavefront6targetE1EEEvSH_.numbered_sgpr, 0
	.set _ZN7rocprim17ROCPRIM_400000_NS6detail17trampoline_kernelINS0_14default_configENS1_38merge_sort_block_merge_config_selectorIslEEZZNS1_27merge_sort_block_merge_implIS3_PsN6thrust23THRUST_200600_302600_NS10device_ptrIlEEjNS1_19radix_merge_compareILb0ELb1EsNS0_19identity_decomposerEEEEE10hipError_tT0_T1_T2_jT3_P12ihipStream_tbPNSt15iterator_traitsISG_E10value_typeEPNSM_ISH_E10value_typeEPSI_NS1_7vsmem_tEENKUlT_SG_SH_SI_E_clIS7_S7_SB_PlEESF_SV_SG_SH_SI_EUlSV_E_NS1_11comp_targetILNS1_3genE10ELNS1_11target_archE1201ELNS1_3gpuE5ELNS1_3repE0EEENS1_48merge_mergepath_partition_config_static_selectorELNS0_4arch9wavefront6targetE1EEEvSH_.num_named_barrier, 0
	.set _ZN7rocprim17ROCPRIM_400000_NS6detail17trampoline_kernelINS0_14default_configENS1_38merge_sort_block_merge_config_selectorIslEEZZNS1_27merge_sort_block_merge_implIS3_PsN6thrust23THRUST_200600_302600_NS10device_ptrIlEEjNS1_19radix_merge_compareILb0ELb1EsNS0_19identity_decomposerEEEEE10hipError_tT0_T1_T2_jT3_P12ihipStream_tbPNSt15iterator_traitsISG_E10value_typeEPNSM_ISH_E10value_typeEPSI_NS1_7vsmem_tEENKUlT_SG_SH_SI_E_clIS7_S7_SB_PlEESF_SV_SG_SH_SI_EUlSV_E_NS1_11comp_targetILNS1_3genE10ELNS1_11target_archE1201ELNS1_3gpuE5ELNS1_3repE0EEENS1_48merge_mergepath_partition_config_static_selectorELNS0_4arch9wavefront6targetE1EEEvSH_.private_seg_size, 0
	.set _ZN7rocprim17ROCPRIM_400000_NS6detail17trampoline_kernelINS0_14default_configENS1_38merge_sort_block_merge_config_selectorIslEEZZNS1_27merge_sort_block_merge_implIS3_PsN6thrust23THRUST_200600_302600_NS10device_ptrIlEEjNS1_19radix_merge_compareILb0ELb1EsNS0_19identity_decomposerEEEEE10hipError_tT0_T1_T2_jT3_P12ihipStream_tbPNSt15iterator_traitsISG_E10value_typeEPNSM_ISH_E10value_typeEPSI_NS1_7vsmem_tEENKUlT_SG_SH_SI_E_clIS7_S7_SB_PlEESF_SV_SG_SH_SI_EUlSV_E_NS1_11comp_targetILNS1_3genE10ELNS1_11target_archE1201ELNS1_3gpuE5ELNS1_3repE0EEENS1_48merge_mergepath_partition_config_static_selectorELNS0_4arch9wavefront6targetE1EEEvSH_.uses_vcc, 0
	.set _ZN7rocprim17ROCPRIM_400000_NS6detail17trampoline_kernelINS0_14default_configENS1_38merge_sort_block_merge_config_selectorIslEEZZNS1_27merge_sort_block_merge_implIS3_PsN6thrust23THRUST_200600_302600_NS10device_ptrIlEEjNS1_19radix_merge_compareILb0ELb1EsNS0_19identity_decomposerEEEEE10hipError_tT0_T1_T2_jT3_P12ihipStream_tbPNSt15iterator_traitsISG_E10value_typeEPNSM_ISH_E10value_typeEPSI_NS1_7vsmem_tEENKUlT_SG_SH_SI_E_clIS7_S7_SB_PlEESF_SV_SG_SH_SI_EUlSV_E_NS1_11comp_targetILNS1_3genE10ELNS1_11target_archE1201ELNS1_3gpuE5ELNS1_3repE0EEENS1_48merge_mergepath_partition_config_static_selectorELNS0_4arch9wavefront6targetE1EEEvSH_.uses_flat_scratch, 0
	.set _ZN7rocprim17ROCPRIM_400000_NS6detail17trampoline_kernelINS0_14default_configENS1_38merge_sort_block_merge_config_selectorIslEEZZNS1_27merge_sort_block_merge_implIS3_PsN6thrust23THRUST_200600_302600_NS10device_ptrIlEEjNS1_19radix_merge_compareILb0ELb1EsNS0_19identity_decomposerEEEEE10hipError_tT0_T1_T2_jT3_P12ihipStream_tbPNSt15iterator_traitsISG_E10value_typeEPNSM_ISH_E10value_typeEPSI_NS1_7vsmem_tEENKUlT_SG_SH_SI_E_clIS7_S7_SB_PlEESF_SV_SG_SH_SI_EUlSV_E_NS1_11comp_targetILNS1_3genE10ELNS1_11target_archE1201ELNS1_3gpuE5ELNS1_3repE0EEENS1_48merge_mergepath_partition_config_static_selectorELNS0_4arch9wavefront6targetE1EEEvSH_.has_dyn_sized_stack, 0
	.set _ZN7rocprim17ROCPRIM_400000_NS6detail17trampoline_kernelINS0_14default_configENS1_38merge_sort_block_merge_config_selectorIslEEZZNS1_27merge_sort_block_merge_implIS3_PsN6thrust23THRUST_200600_302600_NS10device_ptrIlEEjNS1_19radix_merge_compareILb0ELb1EsNS0_19identity_decomposerEEEEE10hipError_tT0_T1_T2_jT3_P12ihipStream_tbPNSt15iterator_traitsISG_E10value_typeEPNSM_ISH_E10value_typeEPSI_NS1_7vsmem_tEENKUlT_SG_SH_SI_E_clIS7_S7_SB_PlEESF_SV_SG_SH_SI_EUlSV_E_NS1_11comp_targetILNS1_3genE10ELNS1_11target_archE1201ELNS1_3gpuE5ELNS1_3repE0EEENS1_48merge_mergepath_partition_config_static_selectorELNS0_4arch9wavefront6targetE1EEEvSH_.has_recursion, 0
	.set _ZN7rocprim17ROCPRIM_400000_NS6detail17trampoline_kernelINS0_14default_configENS1_38merge_sort_block_merge_config_selectorIslEEZZNS1_27merge_sort_block_merge_implIS3_PsN6thrust23THRUST_200600_302600_NS10device_ptrIlEEjNS1_19radix_merge_compareILb0ELb1EsNS0_19identity_decomposerEEEEE10hipError_tT0_T1_T2_jT3_P12ihipStream_tbPNSt15iterator_traitsISG_E10value_typeEPNSM_ISH_E10value_typeEPSI_NS1_7vsmem_tEENKUlT_SG_SH_SI_E_clIS7_S7_SB_PlEESF_SV_SG_SH_SI_EUlSV_E_NS1_11comp_targetILNS1_3genE10ELNS1_11target_archE1201ELNS1_3gpuE5ELNS1_3repE0EEENS1_48merge_mergepath_partition_config_static_selectorELNS0_4arch9wavefront6targetE1EEEvSH_.has_indirect_call, 0
	.section	.AMDGPU.csdata,"",@progbits
; Kernel info:
; codeLenInByte = 0
; TotalNumSgprs: 4
; NumVgprs: 0
; ScratchSize: 0
; MemoryBound: 0
; FloatMode: 240
; IeeeMode: 1
; LDSByteSize: 0 bytes/workgroup (compile time only)
; SGPRBlocks: 0
; VGPRBlocks: 0
; NumSGPRsForWavesPerEU: 4
; NumVGPRsForWavesPerEU: 1
; Occupancy: 10
; WaveLimiterHint : 0
; COMPUTE_PGM_RSRC2:SCRATCH_EN: 0
; COMPUTE_PGM_RSRC2:USER_SGPR: 6
; COMPUTE_PGM_RSRC2:TRAP_HANDLER: 0
; COMPUTE_PGM_RSRC2:TGID_X_EN: 1
; COMPUTE_PGM_RSRC2:TGID_Y_EN: 0
; COMPUTE_PGM_RSRC2:TGID_Z_EN: 0
; COMPUTE_PGM_RSRC2:TIDIG_COMP_CNT: 0
	.section	.text._ZN7rocprim17ROCPRIM_400000_NS6detail17trampoline_kernelINS0_14default_configENS1_38merge_sort_block_merge_config_selectorIslEEZZNS1_27merge_sort_block_merge_implIS3_PsN6thrust23THRUST_200600_302600_NS10device_ptrIlEEjNS1_19radix_merge_compareILb0ELb1EsNS0_19identity_decomposerEEEEE10hipError_tT0_T1_T2_jT3_P12ihipStream_tbPNSt15iterator_traitsISG_E10value_typeEPNSM_ISH_E10value_typeEPSI_NS1_7vsmem_tEENKUlT_SG_SH_SI_E_clIS7_S7_SB_PlEESF_SV_SG_SH_SI_EUlSV_E_NS1_11comp_targetILNS1_3genE5ELNS1_11target_archE942ELNS1_3gpuE9ELNS1_3repE0EEENS1_48merge_mergepath_partition_config_static_selectorELNS0_4arch9wavefront6targetE1EEEvSH_,"axG",@progbits,_ZN7rocprim17ROCPRIM_400000_NS6detail17trampoline_kernelINS0_14default_configENS1_38merge_sort_block_merge_config_selectorIslEEZZNS1_27merge_sort_block_merge_implIS3_PsN6thrust23THRUST_200600_302600_NS10device_ptrIlEEjNS1_19radix_merge_compareILb0ELb1EsNS0_19identity_decomposerEEEEE10hipError_tT0_T1_T2_jT3_P12ihipStream_tbPNSt15iterator_traitsISG_E10value_typeEPNSM_ISH_E10value_typeEPSI_NS1_7vsmem_tEENKUlT_SG_SH_SI_E_clIS7_S7_SB_PlEESF_SV_SG_SH_SI_EUlSV_E_NS1_11comp_targetILNS1_3genE5ELNS1_11target_archE942ELNS1_3gpuE9ELNS1_3repE0EEENS1_48merge_mergepath_partition_config_static_selectorELNS0_4arch9wavefront6targetE1EEEvSH_,comdat
	.protected	_ZN7rocprim17ROCPRIM_400000_NS6detail17trampoline_kernelINS0_14default_configENS1_38merge_sort_block_merge_config_selectorIslEEZZNS1_27merge_sort_block_merge_implIS3_PsN6thrust23THRUST_200600_302600_NS10device_ptrIlEEjNS1_19radix_merge_compareILb0ELb1EsNS0_19identity_decomposerEEEEE10hipError_tT0_T1_T2_jT3_P12ihipStream_tbPNSt15iterator_traitsISG_E10value_typeEPNSM_ISH_E10value_typeEPSI_NS1_7vsmem_tEENKUlT_SG_SH_SI_E_clIS7_S7_SB_PlEESF_SV_SG_SH_SI_EUlSV_E_NS1_11comp_targetILNS1_3genE5ELNS1_11target_archE942ELNS1_3gpuE9ELNS1_3repE0EEENS1_48merge_mergepath_partition_config_static_selectorELNS0_4arch9wavefront6targetE1EEEvSH_ ; -- Begin function _ZN7rocprim17ROCPRIM_400000_NS6detail17trampoline_kernelINS0_14default_configENS1_38merge_sort_block_merge_config_selectorIslEEZZNS1_27merge_sort_block_merge_implIS3_PsN6thrust23THRUST_200600_302600_NS10device_ptrIlEEjNS1_19radix_merge_compareILb0ELb1EsNS0_19identity_decomposerEEEEE10hipError_tT0_T1_T2_jT3_P12ihipStream_tbPNSt15iterator_traitsISG_E10value_typeEPNSM_ISH_E10value_typeEPSI_NS1_7vsmem_tEENKUlT_SG_SH_SI_E_clIS7_S7_SB_PlEESF_SV_SG_SH_SI_EUlSV_E_NS1_11comp_targetILNS1_3genE5ELNS1_11target_archE942ELNS1_3gpuE9ELNS1_3repE0EEENS1_48merge_mergepath_partition_config_static_selectorELNS0_4arch9wavefront6targetE1EEEvSH_
	.globl	_ZN7rocprim17ROCPRIM_400000_NS6detail17trampoline_kernelINS0_14default_configENS1_38merge_sort_block_merge_config_selectorIslEEZZNS1_27merge_sort_block_merge_implIS3_PsN6thrust23THRUST_200600_302600_NS10device_ptrIlEEjNS1_19radix_merge_compareILb0ELb1EsNS0_19identity_decomposerEEEEE10hipError_tT0_T1_T2_jT3_P12ihipStream_tbPNSt15iterator_traitsISG_E10value_typeEPNSM_ISH_E10value_typeEPSI_NS1_7vsmem_tEENKUlT_SG_SH_SI_E_clIS7_S7_SB_PlEESF_SV_SG_SH_SI_EUlSV_E_NS1_11comp_targetILNS1_3genE5ELNS1_11target_archE942ELNS1_3gpuE9ELNS1_3repE0EEENS1_48merge_mergepath_partition_config_static_selectorELNS0_4arch9wavefront6targetE1EEEvSH_
	.p2align	8
	.type	_ZN7rocprim17ROCPRIM_400000_NS6detail17trampoline_kernelINS0_14default_configENS1_38merge_sort_block_merge_config_selectorIslEEZZNS1_27merge_sort_block_merge_implIS3_PsN6thrust23THRUST_200600_302600_NS10device_ptrIlEEjNS1_19radix_merge_compareILb0ELb1EsNS0_19identity_decomposerEEEEE10hipError_tT0_T1_T2_jT3_P12ihipStream_tbPNSt15iterator_traitsISG_E10value_typeEPNSM_ISH_E10value_typeEPSI_NS1_7vsmem_tEENKUlT_SG_SH_SI_E_clIS7_S7_SB_PlEESF_SV_SG_SH_SI_EUlSV_E_NS1_11comp_targetILNS1_3genE5ELNS1_11target_archE942ELNS1_3gpuE9ELNS1_3repE0EEENS1_48merge_mergepath_partition_config_static_selectorELNS0_4arch9wavefront6targetE1EEEvSH_,@function
_ZN7rocprim17ROCPRIM_400000_NS6detail17trampoline_kernelINS0_14default_configENS1_38merge_sort_block_merge_config_selectorIslEEZZNS1_27merge_sort_block_merge_implIS3_PsN6thrust23THRUST_200600_302600_NS10device_ptrIlEEjNS1_19radix_merge_compareILb0ELb1EsNS0_19identity_decomposerEEEEE10hipError_tT0_T1_T2_jT3_P12ihipStream_tbPNSt15iterator_traitsISG_E10value_typeEPNSM_ISH_E10value_typeEPSI_NS1_7vsmem_tEENKUlT_SG_SH_SI_E_clIS7_S7_SB_PlEESF_SV_SG_SH_SI_EUlSV_E_NS1_11comp_targetILNS1_3genE5ELNS1_11target_archE942ELNS1_3gpuE9ELNS1_3repE0EEENS1_48merge_mergepath_partition_config_static_selectorELNS0_4arch9wavefront6targetE1EEEvSH_: ; @_ZN7rocprim17ROCPRIM_400000_NS6detail17trampoline_kernelINS0_14default_configENS1_38merge_sort_block_merge_config_selectorIslEEZZNS1_27merge_sort_block_merge_implIS3_PsN6thrust23THRUST_200600_302600_NS10device_ptrIlEEjNS1_19radix_merge_compareILb0ELb1EsNS0_19identity_decomposerEEEEE10hipError_tT0_T1_T2_jT3_P12ihipStream_tbPNSt15iterator_traitsISG_E10value_typeEPNSM_ISH_E10value_typeEPSI_NS1_7vsmem_tEENKUlT_SG_SH_SI_E_clIS7_S7_SB_PlEESF_SV_SG_SH_SI_EUlSV_E_NS1_11comp_targetILNS1_3genE5ELNS1_11target_archE942ELNS1_3gpuE9ELNS1_3repE0EEENS1_48merge_mergepath_partition_config_static_selectorELNS0_4arch9wavefront6targetE1EEEvSH_
; %bb.0:
	.section	.rodata,"a",@progbits
	.p2align	6, 0x0
	.amdhsa_kernel _ZN7rocprim17ROCPRIM_400000_NS6detail17trampoline_kernelINS0_14default_configENS1_38merge_sort_block_merge_config_selectorIslEEZZNS1_27merge_sort_block_merge_implIS3_PsN6thrust23THRUST_200600_302600_NS10device_ptrIlEEjNS1_19radix_merge_compareILb0ELb1EsNS0_19identity_decomposerEEEEE10hipError_tT0_T1_T2_jT3_P12ihipStream_tbPNSt15iterator_traitsISG_E10value_typeEPNSM_ISH_E10value_typeEPSI_NS1_7vsmem_tEENKUlT_SG_SH_SI_E_clIS7_S7_SB_PlEESF_SV_SG_SH_SI_EUlSV_E_NS1_11comp_targetILNS1_3genE5ELNS1_11target_archE942ELNS1_3gpuE9ELNS1_3repE0EEENS1_48merge_mergepath_partition_config_static_selectorELNS0_4arch9wavefront6targetE1EEEvSH_
		.amdhsa_group_segment_fixed_size 0
		.amdhsa_private_segment_fixed_size 0
		.amdhsa_kernarg_size 40
		.amdhsa_user_sgpr_count 6
		.amdhsa_user_sgpr_private_segment_buffer 1
		.amdhsa_user_sgpr_dispatch_ptr 0
		.amdhsa_user_sgpr_queue_ptr 0
		.amdhsa_user_sgpr_kernarg_segment_ptr 1
		.amdhsa_user_sgpr_dispatch_id 0
		.amdhsa_user_sgpr_flat_scratch_init 0
		.amdhsa_user_sgpr_private_segment_size 0
		.amdhsa_uses_dynamic_stack 0
		.amdhsa_system_sgpr_private_segment_wavefront_offset 0
		.amdhsa_system_sgpr_workgroup_id_x 1
		.amdhsa_system_sgpr_workgroup_id_y 0
		.amdhsa_system_sgpr_workgroup_id_z 0
		.amdhsa_system_sgpr_workgroup_info 0
		.amdhsa_system_vgpr_workitem_id 0
		.amdhsa_next_free_vgpr 1
		.amdhsa_next_free_sgpr 0
		.amdhsa_reserve_vcc 0
		.amdhsa_reserve_flat_scratch 0
		.amdhsa_float_round_mode_32 0
		.amdhsa_float_round_mode_16_64 0
		.amdhsa_float_denorm_mode_32 3
		.amdhsa_float_denorm_mode_16_64 3
		.amdhsa_dx10_clamp 1
		.amdhsa_ieee_mode 1
		.amdhsa_fp16_overflow 0
		.amdhsa_exception_fp_ieee_invalid_op 0
		.amdhsa_exception_fp_denorm_src 0
		.amdhsa_exception_fp_ieee_div_zero 0
		.amdhsa_exception_fp_ieee_overflow 0
		.amdhsa_exception_fp_ieee_underflow 0
		.amdhsa_exception_fp_ieee_inexact 0
		.amdhsa_exception_int_div_zero 0
	.end_amdhsa_kernel
	.section	.text._ZN7rocprim17ROCPRIM_400000_NS6detail17trampoline_kernelINS0_14default_configENS1_38merge_sort_block_merge_config_selectorIslEEZZNS1_27merge_sort_block_merge_implIS3_PsN6thrust23THRUST_200600_302600_NS10device_ptrIlEEjNS1_19radix_merge_compareILb0ELb1EsNS0_19identity_decomposerEEEEE10hipError_tT0_T1_T2_jT3_P12ihipStream_tbPNSt15iterator_traitsISG_E10value_typeEPNSM_ISH_E10value_typeEPSI_NS1_7vsmem_tEENKUlT_SG_SH_SI_E_clIS7_S7_SB_PlEESF_SV_SG_SH_SI_EUlSV_E_NS1_11comp_targetILNS1_3genE5ELNS1_11target_archE942ELNS1_3gpuE9ELNS1_3repE0EEENS1_48merge_mergepath_partition_config_static_selectorELNS0_4arch9wavefront6targetE1EEEvSH_,"axG",@progbits,_ZN7rocprim17ROCPRIM_400000_NS6detail17trampoline_kernelINS0_14default_configENS1_38merge_sort_block_merge_config_selectorIslEEZZNS1_27merge_sort_block_merge_implIS3_PsN6thrust23THRUST_200600_302600_NS10device_ptrIlEEjNS1_19radix_merge_compareILb0ELb1EsNS0_19identity_decomposerEEEEE10hipError_tT0_T1_T2_jT3_P12ihipStream_tbPNSt15iterator_traitsISG_E10value_typeEPNSM_ISH_E10value_typeEPSI_NS1_7vsmem_tEENKUlT_SG_SH_SI_E_clIS7_S7_SB_PlEESF_SV_SG_SH_SI_EUlSV_E_NS1_11comp_targetILNS1_3genE5ELNS1_11target_archE942ELNS1_3gpuE9ELNS1_3repE0EEENS1_48merge_mergepath_partition_config_static_selectorELNS0_4arch9wavefront6targetE1EEEvSH_,comdat
.Lfunc_end1358:
	.size	_ZN7rocprim17ROCPRIM_400000_NS6detail17trampoline_kernelINS0_14default_configENS1_38merge_sort_block_merge_config_selectorIslEEZZNS1_27merge_sort_block_merge_implIS3_PsN6thrust23THRUST_200600_302600_NS10device_ptrIlEEjNS1_19radix_merge_compareILb0ELb1EsNS0_19identity_decomposerEEEEE10hipError_tT0_T1_T2_jT3_P12ihipStream_tbPNSt15iterator_traitsISG_E10value_typeEPNSM_ISH_E10value_typeEPSI_NS1_7vsmem_tEENKUlT_SG_SH_SI_E_clIS7_S7_SB_PlEESF_SV_SG_SH_SI_EUlSV_E_NS1_11comp_targetILNS1_3genE5ELNS1_11target_archE942ELNS1_3gpuE9ELNS1_3repE0EEENS1_48merge_mergepath_partition_config_static_selectorELNS0_4arch9wavefront6targetE1EEEvSH_, .Lfunc_end1358-_ZN7rocprim17ROCPRIM_400000_NS6detail17trampoline_kernelINS0_14default_configENS1_38merge_sort_block_merge_config_selectorIslEEZZNS1_27merge_sort_block_merge_implIS3_PsN6thrust23THRUST_200600_302600_NS10device_ptrIlEEjNS1_19radix_merge_compareILb0ELb1EsNS0_19identity_decomposerEEEEE10hipError_tT0_T1_T2_jT3_P12ihipStream_tbPNSt15iterator_traitsISG_E10value_typeEPNSM_ISH_E10value_typeEPSI_NS1_7vsmem_tEENKUlT_SG_SH_SI_E_clIS7_S7_SB_PlEESF_SV_SG_SH_SI_EUlSV_E_NS1_11comp_targetILNS1_3genE5ELNS1_11target_archE942ELNS1_3gpuE9ELNS1_3repE0EEENS1_48merge_mergepath_partition_config_static_selectorELNS0_4arch9wavefront6targetE1EEEvSH_
                                        ; -- End function
	.set _ZN7rocprim17ROCPRIM_400000_NS6detail17trampoline_kernelINS0_14default_configENS1_38merge_sort_block_merge_config_selectorIslEEZZNS1_27merge_sort_block_merge_implIS3_PsN6thrust23THRUST_200600_302600_NS10device_ptrIlEEjNS1_19radix_merge_compareILb0ELb1EsNS0_19identity_decomposerEEEEE10hipError_tT0_T1_T2_jT3_P12ihipStream_tbPNSt15iterator_traitsISG_E10value_typeEPNSM_ISH_E10value_typeEPSI_NS1_7vsmem_tEENKUlT_SG_SH_SI_E_clIS7_S7_SB_PlEESF_SV_SG_SH_SI_EUlSV_E_NS1_11comp_targetILNS1_3genE5ELNS1_11target_archE942ELNS1_3gpuE9ELNS1_3repE0EEENS1_48merge_mergepath_partition_config_static_selectorELNS0_4arch9wavefront6targetE1EEEvSH_.num_vgpr, 0
	.set _ZN7rocprim17ROCPRIM_400000_NS6detail17trampoline_kernelINS0_14default_configENS1_38merge_sort_block_merge_config_selectorIslEEZZNS1_27merge_sort_block_merge_implIS3_PsN6thrust23THRUST_200600_302600_NS10device_ptrIlEEjNS1_19radix_merge_compareILb0ELb1EsNS0_19identity_decomposerEEEEE10hipError_tT0_T1_T2_jT3_P12ihipStream_tbPNSt15iterator_traitsISG_E10value_typeEPNSM_ISH_E10value_typeEPSI_NS1_7vsmem_tEENKUlT_SG_SH_SI_E_clIS7_S7_SB_PlEESF_SV_SG_SH_SI_EUlSV_E_NS1_11comp_targetILNS1_3genE5ELNS1_11target_archE942ELNS1_3gpuE9ELNS1_3repE0EEENS1_48merge_mergepath_partition_config_static_selectorELNS0_4arch9wavefront6targetE1EEEvSH_.num_agpr, 0
	.set _ZN7rocprim17ROCPRIM_400000_NS6detail17trampoline_kernelINS0_14default_configENS1_38merge_sort_block_merge_config_selectorIslEEZZNS1_27merge_sort_block_merge_implIS3_PsN6thrust23THRUST_200600_302600_NS10device_ptrIlEEjNS1_19radix_merge_compareILb0ELb1EsNS0_19identity_decomposerEEEEE10hipError_tT0_T1_T2_jT3_P12ihipStream_tbPNSt15iterator_traitsISG_E10value_typeEPNSM_ISH_E10value_typeEPSI_NS1_7vsmem_tEENKUlT_SG_SH_SI_E_clIS7_S7_SB_PlEESF_SV_SG_SH_SI_EUlSV_E_NS1_11comp_targetILNS1_3genE5ELNS1_11target_archE942ELNS1_3gpuE9ELNS1_3repE0EEENS1_48merge_mergepath_partition_config_static_selectorELNS0_4arch9wavefront6targetE1EEEvSH_.numbered_sgpr, 0
	.set _ZN7rocprim17ROCPRIM_400000_NS6detail17trampoline_kernelINS0_14default_configENS1_38merge_sort_block_merge_config_selectorIslEEZZNS1_27merge_sort_block_merge_implIS3_PsN6thrust23THRUST_200600_302600_NS10device_ptrIlEEjNS1_19radix_merge_compareILb0ELb1EsNS0_19identity_decomposerEEEEE10hipError_tT0_T1_T2_jT3_P12ihipStream_tbPNSt15iterator_traitsISG_E10value_typeEPNSM_ISH_E10value_typeEPSI_NS1_7vsmem_tEENKUlT_SG_SH_SI_E_clIS7_S7_SB_PlEESF_SV_SG_SH_SI_EUlSV_E_NS1_11comp_targetILNS1_3genE5ELNS1_11target_archE942ELNS1_3gpuE9ELNS1_3repE0EEENS1_48merge_mergepath_partition_config_static_selectorELNS0_4arch9wavefront6targetE1EEEvSH_.num_named_barrier, 0
	.set _ZN7rocprim17ROCPRIM_400000_NS6detail17trampoline_kernelINS0_14default_configENS1_38merge_sort_block_merge_config_selectorIslEEZZNS1_27merge_sort_block_merge_implIS3_PsN6thrust23THRUST_200600_302600_NS10device_ptrIlEEjNS1_19radix_merge_compareILb0ELb1EsNS0_19identity_decomposerEEEEE10hipError_tT0_T1_T2_jT3_P12ihipStream_tbPNSt15iterator_traitsISG_E10value_typeEPNSM_ISH_E10value_typeEPSI_NS1_7vsmem_tEENKUlT_SG_SH_SI_E_clIS7_S7_SB_PlEESF_SV_SG_SH_SI_EUlSV_E_NS1_11comp_targetILNS1_3genE5ELNS1_11target_archE942ELNS1_3gpuE9ELNS1_3repE0EEENS1_48merge_mergepath_partition_config_static_selectorELNS0_4arch9wavefront6targetE1EEEvSH_.private_seg_size, 0
	.set _ZN7rocprim17ROCPRIM_400000_NS6detail17trampoline_kernelINS0_14default_configENS1_38merge_sort_block_merge_config_selectorIslEEZZNS1_27merge_sort_block_merge_implIS3_PsN6thrust23THRUST_200600_302600_NS10device_ptrIlEEjNS1_19radix_merge_compareILb0ELb1EsNS0_19identity_decomposerEEEEE10hipError_tT0_T1_T2_jT3_P12ihipStream_tbPNSt15iterator_traitsISG_E10value_typeEPNSM_ISH_E10value_typeEPSI_NS1_7vsmem_tEENKUlT_SG_SH_SI_E_clIS7_S7_SB_PlEESF_SV_SG_SH_SI_EUlSV_E_NS1_11comp_targetILNS1_3genE5ELNS1_11target_archE942ELNS1_3gpuE9ELNS1_3repE0EEENS1_48merge_mergepath_partition_config_static_selectorELNS0_4arch9wavefront6targetE1EEEvSH_.uses_vcc, 0
	.set _ZN7rocprim17ROCPRIM_400000_NS6detail17trampoline_kernelINS0_14default_configENS1_38merge_sort_block_merge_config_selectorIslEEZZNS1_27merge_sort_block_merge_implIS3_PsN6thrust23THRUST_200600_302600_NS10device_ptrIlEEjNS1_19radix_merge_compareILb0ELb1EsNS0_19identity_decomposerEEEEE10hipError_tT0_T1_T2_jT3_P12ihipStream_tbPNSt15iterator_traitsISG_E10value_typeEPNSM_ISH_E10value_typeEPSI_NS1_7vsmem_tEENKUlT_SG_SH_SI_E_clIS7_S7_SB_PlEESF_SV_SG_SH_SI_EUlSV_E_NS1_11comp_targetILNS1_3genE5ELNS1_11target_archE942ELNS1_3gpuE9ELNS1_3repE0EEENS1_48merge_mergepath_partition_config_static_selectorELNS0_4arch9wavefront6targetE1EEEvSH_.uses_flat_scratch, 0
	.set _ZN7rocprim17ROCPRIM_400000_NS6detail17trampoline_kernelINS0_14default_configENS1_38merge_sort_block_merge_config_selectorIslEEZZNS1_27merge_sort_block_merge_implIS3_PsN6thrust23THRUST_200600_302600_NS10device_ptrIlEEjNS1_19radix_merge_compareILb0ELb1EsNS0_19identity_decomposerEEEEE10hipError_tT0_T1_T2_jT3_P12ihipStream_tbPNSt15iterator_traitsISG_E10value_typeEPNSM_ISH_E10value_typeEPSI_NS1_7vsmem_tEENKUlT_SG_SH_SI_E_clIS7_S7_SB_PlEESF_SV_SG_SH_SI_EUlSV_E_NS1_11comp_targetILNS1_3genE5ELNS1_11target_archE942ELNS1_3gpuE9ELNS1_3repE0EEENS1_48merge_mergepath_partition_config_static_selectorELNS0_4arch9wavefront6targetE1EEEvSH_.has_dyn_sized_stack, 0
	.set _ZN7rocprim17ROCPRIM_400000_NS6detail17trampoline_kernelINS0_14default_configENS1_38merge_sort_block_merge_config_selectorIslEEZZNS1_27merge_sort_block_merge_implIS3_PsN6thrust23THRUST_200600_302600_NS10device_ptrIlEEjNS1_19radix_merge_compareILb0ELb1EsNS0_19identity_decomposerEEEEE10hipError_tT0_T1_T2_jT3_P12ihipStream_tbPNSt15iterator_traitsISG_E10value_typeEPNSM_ISH_E10value_typeEPSI_NS1_7vsmem_tEENKUlT_SG_SH_SI_E_clIS7_S7_SB_PlEESF_SV_SG_SH_SI_EUlSV_E_NS1_11comp_targetILNS1_3genE5ELNS1_11target_archE942ELNS1_3gpuE9ELNS1_3repE0EEENS1_48merge_mergepath_partition_config_static_selectorELNS0_4arch9wavefront6targetE1EEEvSH_.has_recursion, 0
	.set _ZN7rocprim17ROCPRIM_400000_NS6detail17trampoline_kernelINS0_14default_configENS1_38merge_sort_block_merge_config_selectorIslEEZZNS1_27merge_sort_block_merge_implIS3_PsN6thrust23THRUST_200600_302600_NS10device_ptrIlEEjNS1_19radix_merge_compareILb0ELb1EsNS0_19identity_decomposerEEEEE10hipError_tT0_T1_T2_jT3_P12ihipStream_tbPNSt15iterator_traitsISG_E10value_typeEPNSM_ISH_E10value_typeEPSI_NS1_7vsmem_tEENKUlT_SG_SH_SI_E_clIS7_S7_SB_PlEESF_SV_SG_SH_SI_EUlSV_E_NS1_11comp_targetILNS1_3genE5ELNS1_11target_archE942ELNS1_3gpuE9ELNS1_3repE0EEENS1_48merge_mergepath_partition_config_static_selectorELNS0_4arch9wavefront6targetE1EEEvSH_.has_indirect_call, 0
	.section	.AMDGPU.csdata,"",@progbits
; Kernel info:
; codeLenInByte = 0
; TotalNumSgprs: 4
; NumVgprs: 0
; ScratchSize: 0
; MemoryBound: 0
; FloatMode: 240
; IeeeMode: 1
; LDSByteSize: 0 bytes/workgroup (compile time only)
; SGPRBlocks: 0
; VGPRBlocks: 0
; NumSGPRsForWavesPerEU: 4
; NumVGPRsForWavesPerEU: 1
; Occupancy: 10
; WaveLimiterHint : 0
; COMPUTE_PGM_RSRC2:SCRATCH_EN: 0
; COMPUTE_PGM_RSRC2:USER_SGPR: 6
; COMPUTE_PGM_RSRC2:TRAP_HANDLER: 0
; COMPUTE_PGM_RSRC2:TGID_X_EN: 1
; COMPUTE_PGM_RSRC2:TGID_Y_EN: 0
; COMPUTE_PGM_RSRC2:TGID_Z_EN: 0
; COMPUTE_PGM_RSRC2:TIDIG_COMP_CNT: 0
	.section	.text._ZN7rocprim17ROCPRIM_400000_NS6detail17trampoline_kernelINS0_14default_configENS1_38merge_sort_block_merge_config_selectorIslEEZZNS1_27merge_sort_block_merge_implIS3_PsN6thrust23THRUST_200600_302600_NS10device_ptrIlEEjNS1_19radix_merge_compareILb0ELb1EsNS0_19identity_decomposerEEEEE10hipError_tT0_T1_T2_jT3_P12ihipStream_tbPNSt15iterator_traitsISG_E10value_typeEPNSM_ISH_E10value_typeEPSI_NS1_7vsmem_tEENKUlT_SG_SH_SI_E_clIS7_S7_SB_PlEESF_SV_SG_SH_SI_EUlSV_E_NS1_11comp_targetILNS1_3genE4ELNS1_11target_archE910ELNS1_3gpuE8ELNS1_3repE0EEENS1_48merge_mergepath_partition_config_static_selectorELNS0_4arch9wavefront6targetE1EEEvSH_,"axG",@progbits,_ZN7rocprim17ROCPRIM_400000_NS6detail17trampoline_kernelINS0_14default_configENS1_38merge_sort_block_merge_config_selectorIslEEZZNS1_27merge_sort_block_merge_implIS3_PsN6thrust23THRUST_200600_302600_NS10device_ptrIlEEjNS1_19radix_merge_compareILb0ELb1EsNS0_19identity_decomposerEEEEE10hipError_tT0_T1_T2_jT3_P12ihipStream_tbPNSt15iterator_traitsISG_E10value_typeEPNSM_ISH_E10value_typeEPSI_NS1_7vsmem_tEENKUlT_SG_SH_SI_E_clIS7_S7_SB_PlEESF_SV_SG_SH_SI_EUlSV_E_NS1_11comp_targetILNS1_3genE4ELNS1_11target_archE910ELNS1_3gpuE8ELNS1_3repE0EEENS1_48merge_mergepath_partition_config_static_selectorELNS0_4arch9wavefront6targetE1EEEvSH_,comdat
	.protected	_ZN7rocprim17ROCPRIM_400000_NS6detail17trampoline_kernelINS0_14default_configENS1_38merge_sort_block_merge_config_selectorIslEEZZNS1_27merge_sort_block_merge_implIS3_PsN6thrust23THRUST_200600_302600_NS10device_ptrIlEEjNS1_19radix_merge_compareILb0ELb1EsNS0_19identity_decomposerEEEEE10hipError_tT0_T1_T2_jT3_P12ihipStream_tbPNSt15iterator_traitsISG_E10value_typeEPNSM_ISH_E10value_typeEPSI_NS1_7vsmem_tEENKUlT_SG_SH_SI_E_clIS7_S7_SB_PlEESF_SV_SG_SH_SI_EUlSV_E_NS1_11comp_targetILNS1_3genE4ELNS1_11target_archE910ELNS1_3gpuE8ELNS1_3repE0EEENS1_48merge_mergepath_partition_config_static_selectorELNS0_4arch9wavefront6targetE1EEEvSH_ ; -- Begin function _ZN7rocprim17ROCPRIM_400000_NS6detail17trampoline_kernelINS0_14default_configENS1_38merge_sort_block_merge_config_selectorIslEEZZNS1_27merge_sort_block_merge_implIS3_PsN6thrust23THRUST_200600_302600_NS10device_ptrIlEEjNS1_19radix_merge_compareILb0ELb1EsNS0_19identity_decomposerEEEEE10hipError_tT0_T1_T2_jT3_P12ihipStream_tbPNSt15iterator_traitsISG_E10value_typeEPNSM_ISH_E10value_typeEPSI_NS1_7vsmem_tEENKUlT_SG_SH_SI_E_clIS7_S7_SB_PlEESF_SV_SG_SH_SI_EUlSV_E_NS1_11comp_targetILNS1_3genE4ELNS1_11target_archE910ELNS1_3gpuE8ELNS1_3repE0EEENS1_48merge_mergepath_partition_config_static_selectorELNS0_4arch9wavefront6targetE1EEEvSH_
	.globl	_ZN7rocprim17ROCPRIM_400000_NS6detail17trampoline_kernelINS0_14default_configENS1_38merge_sort_block_merge_config_selectorIslEEZZNS1_27merge_sort_block_merge_implIS3_PsN6thrust23THRUST_200600_302600_NS10device_ptrIlEEjNS1_19radix_merge_compareILb0ELb1EsNS0_19identity_decomposerEEEEE10hipError_tT0_T1_T2_jT3_P12ihipStream_tbPNSt15iterator_traitsISG_E10value_typeEPNSM_ISH_E10value_typeEPSI_NS1_7vsmem_tEENKUlT_SG_SH_SI_E_clIS7_S7_SB_PlEESF_SV_SG_SH_SI_EUlSV_E_NS1_11comp_targetILNS1_3genE4ELNS1_11target_archE910ELNS1_3gpuE8ELNS1_3repE0EEENS1_48merge_mergepath_partition_config_static_selectorELNS0_4arch9wavefront6targetE1EEEvSH_
	.p2align	8
	.type	_ZN7rocprim17ROCPRIM_400000_NS6detail17trampoline_kernelINS0_14default_configENS1_38merge_sort_block_merge_config_selectorIslEEZZNS1_27merge_sort_block_merge_implIS3_PsN6thrust23THRUST_200600_302600_NS10device_ptrIlEEjNS1_19radix_merge_compareILb0ELb1EsNS0_19identity_decomposerEEEEE10hipError_tT0_T1_T2_jT3_P12ihipStream_tbPNSt15iterator_traitsISG_E10value_typeEPNSM_ISH_E10value_typeEPSI_NS1_7vsmem_tEENKUlT_SG_SH_SI_E_clIS7_S7_SB_PlEESF_SV_SG_SH_SI_EUlSV_E_NS1_11comp_targetILNS1_3genE4ELNS1_11target_archE910ELNS1_3gpuE8ELNS1_3repE0EEENS1_48merge_mergepath_partition_config_static_selectorELNS0_4arch9wavefront6targetE1EEEvSH_,@function
_ZN7rocprim17ROCPRIM_400000_NS6detail17trampoline_kernelINS0_14default_configENS1_38merge_sort_block_merge_config_selectorIslEEZZNS1_27merge_sort_block_merge_implIS3_PsN6thrust23THRUST_200600_302600_NS10device_ptrIlEEjNS1_19radix_merge_compareILb0ELb1EsNS0_19identity_decomposerEEEEE10hipError_tT0_T1_T2_jT3_P12ihipStream_tbPNSt15iterator_traitsISG_E10value_typeEPNSM_ISH_E10value_typeEPSI_NS1_7vsmem_tEENKUlT_SG_SH_SI_E_clIS7_S7_SB_PlEESF_SV_SG_SH_SI_EUlSV_E_NS1_11comp_targetILNS1_3genE4ELNS1_11target_archE910ELNS1_3gpuE8ELNS1_3repE0EEENS1_48merge_mergepath_partition_config_static_selectorELNS0_4arch9wavefront6targetE1EEEvSH_: ; @_ZN7rocprim17ROCPRIM_400000_NS6detail17trampoline_kernelINS0_14default_configENS1_38merge_sort_block_merge_config_selectorIslEEZZNS1_27merge_sort_block_merge_implIS3_PsN6thrust23THRUST_200600_302600_NS10device_ptrIlEEjNS1_19radix_merge_compareILb0ELb1EsNS0_19identity_decomposerEEEEE10hipError_tT0_T1_T2_jT3_P12ihipStream_tbPNSt15iterator_traitsISG_E10value_typeEPNSM_ISH_E10value_typeEPSI_NS1_7vsmem_tEENKUlT_SG_SH_SI_E_clIS7_S7_SB_PlEESF_SV_SG_SH_SI_EUlSV_E_NS1_11comp_targetILNS1_3genE4ELNS1_11target_archE910ELNS1_3gpuE8ELNS1_3repE0EEENS1_48merge_mergepath_partition_config_static_selectorELNS0_4arch9wavefront6targetE1EEEvSH_
; %bb.0:
	.section	.rodata,"a",@progbits
	.p2align	6, 0x0
	.amdhsa_kernel _ZN7rocprim17ROCPRIM_400000_NS6detail17trampoline_kernelINS0_14default_configENS1_38merge_sort_block_merge_config_selectorIslEEZZNS1_27merge_sort_block_merge_implIS3_PsN6thrust23THRUST_200600_302600_NS10device_ptrIlEEjNS1_19radix_merge_compareILb0ELb1EsNS0_19identity_decomposerEEEEE10hipError_tT0_T1_T2_jT3_P12ihipStream_tbPNSt15iterator_traitsISG_E10value_typeEPNSM_ISH_E10value_typeEPSI_NS1_7vsmem_tEENKUlT_SG_SH_SI_E_clIS7_S7_SB_PlEESF_SV_SG_SH_SI_EUlSV_E_NS1_11comp_targetILNS1_3genE4ELNS1_11target_archE910ELNS1_3gpuE8ELNS1_3repE0EEENS1_48merge_mergepath_partition_config_static_selectorELNS0_4arch9wavefront6targetE1EEEvSH_
		.amdhsa_group_segment_fixed_size 0
		.amdhsa_private_segment_fixed_size 0
		.amdhsa_kernarg_size 40
		.amdhsa_user_sgpr_count 6
		.amdhsa_user_sgpr_private_segment_buffer 1
		.amdhsa_user_sgpr_dispatch_ptr 0
		.amdhsa_user_sgpr_queue_ptr 0
		.amdhsa_user_sgpr_kernarg_segment_ptr 1
		.amdhsa_user_sgpr_dispatch_id 0
		.amdhsa_user_sgpr_flat_scratch_init 0
		.amdhsa_user_sgpr_private_segment_size 0
		.amdhsa_uses_dynamic_stack 0
		.amdhsa_system_sgpr_private_segment_wavefront_offset 0
		.amdhsa_system_sgpr_workgroup_id_x 1
		.amdhsa_system_sgpr_workgroup_id_y 0
		.amdhsa_system_sgpr_workgroup_id_z 0
		.amdhsa_system_sgpr_workgroup_info 0
		.amdhsa_system_vgpr_workitem_id 0
		.amdhsa_next_free_vgpr 1
		.amdhsa_next_free_sgpr 0
		.amdhsa_reserve_vcc 0
		.amdhsa_reserve_flat_scratch 0
		.amdhsa_float_round_mode_32 0
		.amdhsa_float_round_mode_16_64 0
		.amdhsa_float_denorm_mode_32 3
		.amdhsa_float_denorm_mode_16_64 3
		.amdhsa_dx10_clamp 1
		.amdhsa_ieee_mode 1
		.amdhsa_fp16_overflow 0
		.amdhsa_exception_fp_ieee_invalid_op 0
		.amdhsa_exception_fp_denorm_src 0
		.amdhsa_exception_fp_ieee_div_zero 0
		.amdhsa_exception_fp_ieee_overflow 0
		.amdhsa_exception_fp_ieee_underflow 0
		.amdhsa_exception_fp_ieee_inexact 0
		.amdhsa_exception_int_div_zero 0
	.end_amdhsa_kernel
	.section	.text._ZN7rocprim17ROCPRIM_400000_NS6detail17trampoline_kernelINS0_14default_configENS1_38merge_sort_block_merge_config_selectorIslEEZZNS1_27merge_sort_block_merge_implIS3_PsN6thrust23THRUST_200600_302600_NS10device_ptrIlEEjNS1_19radix_merge_compareILb0ELb1EsNS0_19identity_decomposerEEEEE10hipError_tT0_T1_T2_jT3_P12ihipStream_tbPNSt15iterator_traitsISG_E10value_typeEPNSM_ISH_E10value_typeEPSI_NS1_7vsmem_tEENKUlT_SG_SH_SI_E_clIS7_S7_SB_PlEESF_SV_SG_SH_SI_EUlSV_E_NS1_11comp_targetILNS1_3genE4ELNS1_11target_archE910ELNS1_3gpuE8ELNS1_3repE0EEENS1_48merge_mergepath_partition_config_static_selectorELNS0_4arch9wavefront6targetE1EEEvSH_,"axG",@progbits,_ZN7rocprim17ROCPRIM_400000_NS6detail17trampoline_kernelINS0_14default_configENS1_38merge_sort_block_merge_config_selectorIslEEZZNS1_27merge_sort_block_merge_implIS3_PsN6thrust23THRUST_200600_302600_NS10device_ptrIlEEjNS1_19radix_merge_compareILb0ELb1EsNS0_19identity_decomposerEEEEE10hipError_tT0_T1_T2_jT3_P12ihipStream_tbPNSt15iterator_traitsISG_E10value_typeEPNSM_ISH_E10value_typeEPSI_NS1_7vsmem_tEENKUlT_SG_SH_SI_E_clIS7_S7_SB_PlEESF_SV_SG_SH_SI_EUlSV_E_NS1_11comp_targetILNS1_3genE4ELNS1_11target_archE910ELNS1_3gpuE8ELNS1_3repE0EEENS1_48merge_mergepath_partition_config_static_selectorELNS0_4arch9wavefront6targetE1EEEvSH_,comdat
.Lfunc_end1359:
	.size	_ZN7rocprim17ROCPRIM_400000_NS6detail17trampoline_kernelINS0_14default_configENS1_38merge_sort_block_merge_config_selectorIslEEZZNS1_27merge_sort_block_merge_implIS3_PsN6thrust23THRUST_200600_302600_NS10device_ptrIlEEjNS1_19radix_merge_compareILb0ELb1EsNS0_19identity_decomposerEEEEE10hipError_tT0_T1_T2_jT3_P12ihipStream_tbPNSt15iterator_traitsISG_E10value_typeEPNSM_ISH_E10value_typeEPSI_NS1_7vsmem_tEENKUlT_SG_SH_SI_E_clIS7_S7_SB_PlEESF_SV_SG_SH_SI_EUlSV_E_NS1_11comp_targetILNS1_3genE4ELNS1_11target_archE910ELNS1_3gpuE8ELNS1_3repE0EEENS1_48merge_mergepath_partition_config_static_selectorELNS0_4arch9wavefront6targetE1EEEvSH_, .Lfunc_end1359-_ZN7rocprim17ROCPRIM_400000_NS6detail17trampoline_kernelINS0_14default_configENS1_38merge_sort_block_merge_config_selectorIslEEZZNS1_27merge_sort_block_merge_implIS3_PsN6thrust23THRUST_200600_302600_NS10device_ptrIlEEjNS1_19radix_merge_compareILb0ELb1EsNS0_19identity_decomposerEEEEE10hipError_tT0_T1_T2_jT3_P12ihipStream_tbPNSt15iterator_traitsISG_E10value_typeEPNSM_ISH_E10value_typeEPSI_NS1_7vsmem_tEENKUlT_SG_SH_SI_E_clIS7_S7_SB_PlEESF_SV_SG_SH_SI_EUlSV_E_NS1_11comp_targetILNS1_3genE4ELNS1_11target_archE910ELNS1_3gpuE8ELNS1_3repE0EEENS1_48merge_mergepath_partition_config_static_selectorELNS0_4arch9wavefront6targetE1EEEvSH_
                                        ; -- End function
	.set _ZN7rocprim17ROCPRIM_400000_NS6detail17trampoline_kernelINS0_14default_configENS1_38merge_sort_block_merge_config_selectorIslEEZZNS1_27merge_sort_block_merge_implIS3_PsN6thrust23THRUST_200600_302600_NS10device_ptrIlEEjNS1_19radix_merge_compareILb0ELb1EsNS0_19identity_decomposerEEEEE10hipError_tT0_T1_T2_jT3_P12ihipStream_tbPNSt15iterator_traitsISG_E10value_typeEPNSM_ISH_E10value_typeEPSI_NS1_7vsmem_tEENKUlT_SG_SH_SI_E_clIS7_S7_SB_PlEESF_SV_SG_SH_SI_EUlSV_E_NS1_11comp_targetILNS1_3genE4ELNS1_11target_archE910ELNS1_3gpuE8ELNS1_3repE0EEENS1_48merge_mergepath_partition_config_static_selectorELNS0_4arch9wavefront6targetE1EEEvSH_.num_vgpr, 0
	.set _ZN7rocprim17ROCPRIM_400000_NS6detail17trampoline_kernelINS0_14default_configENS1_38merge_sort_block_merge_config_selectorIslEEZZNS1_27merge_sort_block_merge_implIS3_PsN6thrust23THRUST_200600_302600_NS10device_ptrIlEEjNS1_19radix_merge_compareILb0ELb1EsNS0_19identity_decomposerEEEEE10hipError_tT0_T1_T2_jT3_P12ihipStream_tbPNSt15iterator_traitsISG_E10value_typeEPNSM_ISH_E10value_typeEPSI_NS1_7vsmem_tEENKUlT_SG_SH_SI_E_clIS7_S7_SB_PlEESF_SV_SG_SH_SI_EUlSV_E_NS1_11comp_targetILNS1_3genE4ELNS1_11target_archE910ELNS1_3gpuE8ELNS1_3repE0EEENS1_48merge_mergepath_partition_config_static_selectorELNS0_4arch9wavefront6targetE1EEEvSH_.num_agpr, 0
	.set _ZN7rocprim17ROCPRIM_400000_NS6detail17trampoline_kernelINS0_14default_configENS1_38merge_sort_block_merge_config_selectorIslEEZZNS1_27merge_sort_block_merge_implIS3_PsN6thrust23THRUST_200600_302600_NS10device_ptrIlEEjNS1_19radix_merge_compareILb0ELb1EsNS0_19identity_decomposerEEEEE10hipError_tT0_T1_T2_jT3_P12ihipStream_tbPNSt15iterator_traitsISG_E10value_typeEPNSM_ISH_E10value_typeEPSI_NS1_7vsmem_tEENKUlT_SG_SH_SI_E_clIS7_S7_SB_PlEESF_SV_SG_SH_SI_EUlSV_E_NS1_11comp_targetILNS1_3genE4ELNS1_11target_archE910ELNS1_3gpuE8ELNS1_3repE0EEENS1_48merge_mergepath_partition_config_static_selectorELNS0_4arch9wavefront6targetE1EEEvSH_.numbered_sgpr, 0
	.set _ZN7rocprim17ROCPRIM_400000_NS6detail17trampoline_kernelINS0_14default_configENS1_38merge_sort_block_merge_config_selectorIslEEZZNS1_27merge_sort_block_merge_implIS3_PsN6thrust23THRUST_200600_302600_NS10device_ptrIlEEjNS1_19radix_merge_compareILb0ELb1EsNS0_19identity_decomposerEEEEE10hipError_tT0_T1_T2_jT3_P12ihipStream_tbPNSt15iterator_traitsISG_E10value_typeEPNSM_ISH_E10value_typeEPSI_NS1_7vsmem_tEENKUlT_SG_SH_SI_E_clIS7_S7_SB_PlEESF_SV_SG_SH_SI_EUlSV_E_NS1_11comp_targetILNS1_3genE4ELNS1_11target_archE910ELNS1_3gpuE8ELNS1_3repE0EEENS1_48merge_mergepath_partition_config_static_selectorELNS0_4arch9wavefront6targetE1EEEvSH_.num_named_barrier, 0
	.set _ZN7rocprim17ROCPRIM_400000_NS6detail17trampoline_kernelINS0_14default_configENS1_38merge_sort_block_merge_config_selectorIslEEZZNS1_27merge_sort_block_merge_implIS3_PsN6thrust23THRUST_200600_302600_NS10device_ptrIlEEjNS1_19radix_merge_compareILb0ELb1EsNS0_19identity_decomposerEEEEE10hipError_tT0_T1_T2_jT3_P12ihipStream_tbPNSt15iterator_traitsISG_E10value_typeEPNSM_ISH_E10value_typeEPSI_NS1_7vsmem_tEENKUlT_SG_SH_SI_E_clIS7_S7_SB_PlEESF_SV_SG_SH_SI_EUlSV_E_NS1_11comp_targetILNS1_3genE4ELNS1_11target_archE910ELNS1_3gpuE8ELNS1_3repE0EEENS1_48merge_mergepath_partition_config_static_selectorELNS0_4arch9wavefront6targetE1EEEvSH_.private_seg_size, 0
	.set _ZN7rocprim17ROCPRIM_400000_NS6detail17trampoline_kernelINS0_14default_configENS1_38merge_sort_block_merge_config_selectorIslEEZZNS1_27merge_sort_block_merge_implIS3_PsN6thrust23THRUST_200600_302600_NS10device_ptrIlEEjNS1_19radix_merge_compareILb0ELb1EsNS0_19identity_decomposerEEEEE10hipError_tT0_T1_T2_jT3_P12ihipStream_tbPNSt15iterator_traitsISG_E10value_typeEPNSM_ISH_E10value_typeEPSI_NS1_7vsmem_tEENKUlT_SG_SH_SI_E_clIS7_S7_SB_PlEESF_SV_SG_SH_SI_EUlSV_E_NS1_11comp_targetILNS1_3genE4ELNS1_11target_archE910ELNS1_3gpuE8ELNS1_3repE0EEENS1_48merge_mergepath_partition_config_static_selectorELNS0_4arch9wavefront6targetE1EEEvSH_.uses_vcc, 0
	.set _ZN7rocprim17ROCPRIM_400000_NS6detail17trampoline_kernelINS0_14default_configENS1_38merge_sort_block_merge_config_selectorIslEEZZNS1_27merge_sort_block_merge_implIS3_PsN6thrust23THRUST_200600_302600_NS10device_ptrIlEEjNS1_19radix_merge_compareILb0ELb1EsNS0_19identity_decomposerEEEEE10hipError_tT0_T1_T2_jT3_P12ihipStream_tbPNSt15iterator_traitsISG_E10value_typeEPNSM_ISH_E10value_typeEPSI_NS1_7vsmem_tEENKUlT_SG_SH_SI_E_clIS7_S7_SB_PlEESF_SV_SG_SH_SI_EUlSV_E_NS1_11comp_targetILNS1_3genE4ELNS1_11target_archE910ELNS1_3gpuE8ELNS1_3repE0EEENS1_48merge_mergepath_partition_config_static_selectorELNS0_4arch9wavefront6targetE1EEEvSH_.uses_flat_scratch, 0
	.set _ZN7rocprim17ROCPRIM_400000_NS6detail17trampoline_kernelINS0_14default_configENS1_38merge_sort_block_merge_config_selectorIslEEZZNS1_27merge_sort_block_merge_implIS3_PsN6thrust23THRUST_200600_302600_NS10device_ptrIlEEjNS1_19radix_merge_compareILb0ELb1EsNS0_19identity_decomposerEEEEE10hipError_tT0_T1_T2_jT3_P12ihipStream_tbPNSt15iterator_traitsISG_E10value_typeEPNSM_ISH_E10value_typeEPSI_NS1_7vsmem_tEENKUlT_SG_SH_SI_E_clIS7_S7_SB_PlEESF_SV_SG_SH_SI_EUlSV_E_NS1_11comp_targetILNS1_3genE4ELNS1_11target_archE910ELNS1_3gpuE8ELNS1_3repE0EEENS1_48merge_mergepath_partition_config_static_selectorELNS0_4arch9wavefront6targetE1EEEvSH_.has_dyn_sized_stack, 0
	.set _ZN7rocprim17ROCPRIM_400000_NS6detail17trampoline_kernelINS0_14default_configENS1_38merge_sort_block_merge_config_selectorIslEEZZNS1_27merge_sort_block_merge_implIS3_PsN6thrust23THRUST_200600_302600_NS10device_ptrIlEEjNS1_19radix_merge_compareILb0ELb1EsNS0_19identity_decomposerEEEEE10hipError_tT0_T1_T2_jT3_P12ihipStream_tbPNSt15iterator_traitsISG_E10value_typeEPNSM_ISH_E10value_typeEPSI_NS1_7vsmem_tEENKUlT_SG_SH_SI_E_clIS7_S7_SB_PlEESF_SV_SG_SH_SI_EUlSV_E_NS1_11comp_targetILNS1_3genE4ELNS1_11target_archE910ELNS1_3gpuE8ELNS1_3repE0EEENS1_48merge_mergepath_partition_config_static_selectorELNS0_4arch9wavefront6targetE1EEEvSH_.has_recursion, 0
	.set _ZN7rocprim17ROCPRIM_400000_NS6detail17trampoline_kernelINS0_14default_configENS1_38merge_sort_block_merge_config_selectorIslEEZZNS1_27merge_sort_block_merge_implIS3_PsN6thrust23THRUST_200600_302600_NS10device_ptrIlEEjNS1_19radix_merge_compareILb0ELb1EsNS0_19identity_decomposerEEEEE10hipError_tT0_T1_T2_jT3_P12ihipStream_tbPNSt15iterator_traitsISG_E10value_typeEPNSM_ISH_E10value_typeEPSI_NS1_7vsmem_tEENKUlT_SG_SH_SI_E_clIS7_S7_SB_PlEESF_SV_SG_SH_SI_EUlSV_E_NS1_11comp_targetILNS1_3genE4ELNS1_11target_archE910ELNS1_3gpuE8ELNS1_3repE0EEENS1_48merge_mergepath_partition_config_static_selectorELNS0_4arch9wavefront6targetE1EEEvSH_.has_indirect_call, 0
	.section	.AMDGPU.csdata,"",@progbits
; Kernel info:
; codeLenInByte = 0
; TotalNumSgprs: 4
; NumVgprs: 0
; ScratchSize: 0
; MemoryBound: 0
; FloatMode: 240
; IeeeMode: 1
; LDSByteSize: 0 bytes/workgroup (compile time only)
; SGPRBlocks: 0
; VGPRBlocks: 0
; NumSGPRsForWavesPerEU: 4
; NumVGPRsForWavesPerEU: 1
; Occupancy: 10
; WaveLimiterHint : 0
; COMPUTE_PGM_RSRC2:SCRATCH_EN: 0
; COMPUTE_PGM_RSRC2:USER_SGPR: 6
; COMPUTE_PGM_RSRC2:TRAP_HANDLER: 0
; COMPUTE_PGM_RSRC2:TGID_X_EN: 1
; COMPUTE_PGM_RSRC2:TGID_Y_EN: 0
; COMPUTE_PGM_RSRC2:TGID_Z_EN: 0
; COMPUTE_PGM_RSRC2:TIDIG_COMP_CNT: 0
	.section	.text._ZN7rocprim17ROCPRIM_400000_NS6detail17trampoline_kernelINS0_14default_configENS1_38merge_sort_block_merge_config_selectorIslEEZZNS1_27merge_sort_block_merge_implIS3_PsN6thrust23THRUST_200600_302600_NS10device_ptrIlEEjNS1_19radix_merge_compareILb0ELb1EsNS0_19identity_decomposerEEEEE10hipError_tT0_T1_T2_jT3_P12ihipStream_tbPNSt15iterator_traitsISG_E10value_typeEPNSM_ISH_E10value_typeEPSI_NS1_7vsmem_tEENKUlT_SG_SH_SI_E_clIS7_S7_SB_PlEESF_SV_SG_SH_SI_EUlSV_E_NS1_11comp_targetILNS1_3genE3ELNS1_11target_archE908ELNS1_3gpuE7ELNS1_3repE0EEENS1_48merge_mergepath_partition_config_static_selectorELNS0_4arch9wavefront6targetE1EEEvSH_,"axG",@progbits,_ZN7rocprim17ROCPRIM_400000_NS6detail17trampoline_kernelINS0_14default_configENS1_38merge_sort_block_merge_config_selectorIslEEZZNS1_27merge_sort_block_merge_implIS3_PsN6thrust23THRUST_200600_302600_NS10device_ptrIlEEjNS1_19radix_merge_compareILb0ELb1EsNS0_19identity_decomposerEEEEE10hipError_tT0_T1_T2_jT3_P12ihipStream_tbPNSt15iterator_traitsISG_E10value_typeEPNSM_ISH_E10value_typeEPSI_NS1_7vsmem_tEENKUlT_SG_SH_SI_E_clIS7_S7_SB_PlEESF_SV_SG_SH_SI_EUlSV_E_NS1_11comp_targetILNS1_3genE3ELNS1_11target_archE908ELNS1_3gpuE7ELNS1_3repE0EEENS1_48merge_mergepath_partition_config_static_selectorELNS0_4arch9wavefront6targetE1EEEvSH_,comdat
	.protected	_ZN7rocprim17ROCPRIM_400000_NS6detail17trampoline_kernelINS0_14default_configENS1_38merge_sort_block_merge_config_selectorIslEEZZNS1_27merge_sort_block_merge_implIS3_PsN6thrust23THRUST_200600_302600_NS10device_ptrIlEEjNS1_19radix_merge_compareILb0ELb1EsNS0_19identity_decomposerEEEEE10hipError_tT0_T1_T2_jT3_P12ihipStream_tbPNSt15iterator_traitsISG_E10value_typeEPNSM_ISH_E10value_typeEPSI_NS1_7vsmem_tEENKUlT_SG_SH_SI_E_clIS7_S7_SB_PlEESF_SV_SG_SH_SI_EUlSV_E_NS1_11comp_targetILNS1_3genE3ELNS1_11target_archE908ELNS1_3gpuE7ELNS1_3repE0EEENS1_48merge_mergepath_partition_config_static_selectorELNS0_4arch9wavefront6targetE1EEEvSH_ ; -- Begin function _ZN7rocprim17ROCPRIM_400000_NS6detail17trampoline_kernelINS0_14default_configENS1_38merge_sort_block_merge_config_selectorIslEEZZNS1_27merge_sort_block_merge_implIS3_PsN6thrust23THRUST_200600_302600_NS10device_ptrIlEEjNS1_19radix_merge_compareILb0ELb1EsNS0_19identity_decomposerEEEEE10hipError_tT0_T1_T2_jT3_P12ihipStream_tbPNSt15iterator_traitsISG_E10value_typeEPNSM_ISH_E10value_typeEPSI_NS1_7vsmem_tEENKUlT_SG_SH_SI_E_clIS7_S7_SB_PlEESF_SV_SG_SH_SI_EUlSV_E_NS1_11comp_targetILNS1_3genE3ELNS1_11target_archE908ELNS1_3gpuE7ELNS1_3repE0EEENS1_48merge_mergepath_partition_config_static_selectorELNS0_4arch9wavefront6targetE1EEEvSH_
	.globl	_ZN7rocprim17ROCPRIM_400000_NS6detail17trampoline_kernelINS0_14default_configENS1_38merge_sort_block_merge_config_selectorIslEEZZNS1_27merge_sort_block_merge_implIS3_PsN6thrust23THRUST_200600_302600_NS10device_ptrIlEEjNS1_19radix_merge_compareILb0ELb1EsNS0_19identity_decomposerEEEEE10hipError_tT0_T1_T2_jT3_P12ihipStream_tbPNSt15iterator_traitsISG_E10value_typeEPNSM_ISH_E10value_typeEPSI_NS1_7vsmem_tEENKUlT_SG_SH_SI_E_clIS7_S7_SB_PlEESF_SV_SG_SH_SI_EUlSV_E_NS1_11comp_targetILNS1_3genE3ELNS1_11target_archE908ELNS1_3gpuE7ELNS1_3repE0EEENS1_48merge_mergepath_partition_config_static_selectorELNS0_4arch9wavefront6targetE1EEEvSH_
	.p2align	8
	.type	_ZN7rocprim17ROCPRIM_400000_NS6detail17trampoline_kernelINS0_14default_configENS1_38merge_sort_block_merge_config_selectorIslEEZZNS1_27merge_sort_block_merge_implIS3_PsN6thrust23THRUST_200600_302600_NS10device_ptrIlEEjNS1_19radix_merge_compareILb0ELb1EsNS0_19identity_decomposerEEEEE10hipError_tT0_T1_T2_jT3_P12ihipStream_tbPNSt15iterator_traitsISG_E10value_typeEPNSM_ISH_E10value_typeEPSI_NS1_7vsmem_tEENKUlT_SG_SH_SI_E_clIS7_S7_SB_PlEESF_SV_SG_SH_SI_EUlSV_E_NS1_11comp_targetILNS1_3genE3ELNS1_11target_archE908ELNS1_3gpuE7ELNS1_3repE0EEENS1_48merge_mergepath_partition_config_static_selectorELNS0_4arch9wavefront6targetE1EEEvSH_,@function
_ZN7rocprim17ROCPRIM_400000_NS6detail17trampoline_kernelINS0_14default_configENS1_38merge_sort_block_merge_config_selectorIslEEZZNS1_27merge_sort_block_merge_implIS3_PsN6thrust23THRUST_200600_302600_NS10device_ptrIlEEjNS1_19radix_merge_compareILb0ELb1EsNS0_19identity_decomposerEEEEE10hipError_tT0_T1_T2_jT3_P12ihipStream_tbPNSt15iterator_traitsISG_E10value_typeEPNSM_ISH_E10value_typeEPSI_NS1_7vsmem_tEENKUlT_SG_SH_SI_E_clIS7_S7_SB_PlEESF_SV_SG_SH_SI_EUlSV_E_NS1_11comp_targetILNS1_3genE3ELNS1_11target_archE908ELNS1_3gpuE7ELNS1_3repE0EEENS1_48merge_mergepath_partition_config_static_selectorELNS0_4arch9wavefront6targetE1EEEvSH_: ; @_ZN7rocprim17ROCPRIM_400000_NS6detail17trampoline_kernelINS0_14default_configENS1_38merge_sort_block_merge_config_selectorIslEEZZNS1_27merge_sort_block_merge_implIS3_PsN6thrust23THRUST_200600_302600_NS10device_ptrIlEEjNS1_19radix_merge_compareILb0ELb1EsNS0_19identity_decomposerEEEEE10hipError_tT0_T1_T2_jT3_P12ihipStream_tbPNSt15iterator_traitsISG_E10value_typeEPNSM_ISH_E10value_typeEPSI_NS1_7vsmem_tEENKUlT_SG_SH_SI_E_clIS7_S7_SB_PlEESF_SV_SG_SH_SI_EUlSV_E_NS1_11comp_targetILNS1_3genE3ELNS1_11target_archE908ELNS1_3gpuE7ELNS1_3repE0EEENS1_48merge_mergepath_partition_config_static_selectorELNS0_4arch9wavefront6targetE1EEEvSH_
; %bb.0:
	.section	.rodata,"a",@progbits
	.p2align	6, 0x0
	.amdhsa_kernel _ZN7rocprim17ROCPRIM_400000_NS6detail17trampoline_kernelINS0_14default_configENS1_38merge_sort_block_merge_config_selectorIslEEZZNS1_27merge_sort_block_merge_implIS3_PsN6thrust23THRUST_200600_302600_NS10device_ptrIlEEjNS1_19radix_merge_compareILb0ELb1EsNS0_19identity_decomposerEEEEE10hipError_tT0_T1_T2_jT3_P12ihipStream_tbPNSt15iterator_traitsISG_E10value_typeEPNSM_ISH_E10value_typeEPSI_NS1_7vsmem_tEENKUlT_SG_SH_SI_E_clIS7_S7_SB_PlEESF_SV_SG_SH_SI_EUlSV_E_NS1_11comp_targetILNS1_3genE3ELNS1_11target_archE908ELNS1_3gpuE7ELNS1_3repE0EEENS1_48merge_mergepath_partition_config_static_selectorELNS0_4arch9wavefront6targetE1EEEvSH_
		.amdhsa_group_segment_fixed_size 0
		.amdhsa_private_segment_fixed_size 0
		.amdhsa_kernarg_size 40
		.amdhsa_user_sgpr_count 6
		.amdhsa_user_sgpr_private_segment_buffer 1
		.amdhsa_user_sgpr_dispatch_ptr 0
		.amdhsa_user_sgpr_queue_ptr 0
		.amdhsa_user_sgpr_kernarg_segment_ptr 1
		.amdhsa_user_sgpr_dispatch_id 0
		.amdhsa_user_sgpr_flat_scratch_init 0
		.amdhsa_user_sgpr_private_segment_size 0
		.amdhsa_uses_dynamic_stack 0
		.amdhsa_system_sgpr_private_segment_wavefront_offset 0
		.amdhsa_system_sgpr_workgroup_id_x 1
		.amdhsa_system_sgpr_workgroup_id_y 0
		.amdhsa_system_sgpr_workgroup_id_z 0
		.amdhsa_system_sgpr_workgroup_info 0
		.amdhsa_system_vgpr_workitem_id 0
		.amdhsa_next_free_vgpr 1
		.amdhsa_next_free_sgpr 0
		.amdhsa_reserve_vcc 0
		.amdhsa_reserve_flat_scratch 0
		.amdhsa_float_round_mode_32 0
		.amdhsa_float_round_mode_16_64 0
		.amdhsa_float_denorm_mode_32 3
		.amdhsa_float_denorm_mode_16_64 3
		.amdhsa_dx10_clamp 1
		.amdhsa_ieee_mode 1
		.amdhsa_fp16_overflow 0
		.amdhsa_exception_fp_ieee_invalid_op 0
		.amdhsa_exception_fp_denorm_src 0
		.amdhsa_exception_fp_ieee_div_zero 0
		.amdhsa_exception_fp_ieee_overflow 0
		.amdhsa_exception_fp_ieee_underflow 0
		.amdhsa_exception_fp_ieee_inexact 0
		.amdhsa_exception_int_div_zero 0
	.end_amdhsa_kernel
	.section	.text._ZN7rocprim17ROCPRIM_400000_NS6detail17trampoline_kernelINS0_14default_configENS1_38merge_sort_block_merge_config_selectorIslEEZZNS1_27merge_sort_block_merge_implIS3_PsN6thrust23THRUST_200600_302600_NS10device_ptrIlEEjNS1_19radix_merge_compareILb0ELb1EsNS0_19identity_decomposerEEEEE10hipError_tT0_T1_T2_jT3_P12ihipStream_tbPNSt15iterator_traitsISG_E10value_typeEPNSM_ISH_E10value_typeEPSI_NS1_7vsmem_tEENKUlT_SG_SH_SI_E_clIS7_S7_SB_PlEESF_SV_SG_SH_SI_EUlSV_E_NS1_11comp_targetILNS1_3genE3ELNS1_11target_archE908ELNS1_3gpuE7ELNS1_3repE0EEENS1_48merge_mergepath_partition_config_static_selectorELNS0_4arch9wavefront6targetE1EEEvSH_,"axG",@progbits,_ZN7rocprim17ROCPRIM_400000_NS6detail17trampoline_kernelINS0_14default_configENS1_38merge_sort_block_merge_config_selectorIslEEZZNS1_27merge_sort_block_merge_implIS3_PsN6thrust23THRUST_200600_302600_NS10device_ptrIlEEjNS1_19radix_merge_compareILb0ELb1EsNS0_19identity_decomposerEEEEE10hipError_tT0_T1_T2_jT3_P12ihipStream_tbPNSt15iterator_traitsISG_E10value_typeEPNSM_ISH_E10value_typeEPSI_NS1_7vsmem_tEENKUlT_SG_SH_SI_E_clIS7_S7_SB_PlEESF_SV_SG_SH_SI_EUlSV_E_NS1_11comp_targetILNS1_3genE3ELNS1_11target_archE908ELNS1_3gpuE7ELNS1_3repE0EEENS1_48merge_mergepath_partition_config_static_selectorELNS0_4arch9wavefront6targetE1EEEvSH_,comdat
.Lfunc_end1360:
	.size	_ZN7rocprim17ROCPRIM_400000_NS6detail17trampoline_kernelINS0_14default_configENS1_38merge_sort_block_merge_config_selectorIslEEZZNS1_27merge_sort_block_merge_implIS3_PsN6thrust23THRUST_200600_302600_NS10device_ptrIlEEjNS1_19radix_merge_compareILb0ELb1EsNS0_19identity_decomposerEEEEE10hipError_tT0_T1_T2_jT3_P12ihipStream_tbPNSt15iterator_traitsISG_E10value_typeEPNSM_ISH_E10value_typeEPSI_NS1_7vsmem_tEENKUlT_SG_SH_SI_E_clIS7_S7_SB_PlEESF_SV_SG_SH_SI_EUlSV_E_NS1_11comp_targetILNS1_3genE3ELNS1_11target_archE908ELNS1_3gpuE7ELNS1_3repE0EEENS1_48merge_mergepath_partition_config_static_selectorELNS0_4arch9wavefront6targetE1EEEvSH_, .Lfunc_end1360-_ZN7rocprim17ROCPRIM_400000_NS6detail17trampoline_kernelINS0_14default_configENS1_38merge_sort_block_merge_config_selectorIslEEZZNS1_27merge_sort_block_merge_implIS3_PsN6thrust23THRUST_200600_302600_NS10device_ptrIlEEjNS1_19radix_merge_compareILb0ELb1EsNS0_19identity_decomposerEEEEE10hipError_tT0_T1_T2_jT3_P12ihipStream_tbPNSt15iterator_traitsISG_E10value_typeEPNSM_ISH_E10value_typeEPSI_NS1_7vsmem_tEENKUlT_SG_SH_SI_E_clIS7_S7_SB_PlEESF_SV_SG_SH_SI_EUlSV_E_NS1_11comp_targetILNS1_3genE3ELNS1_11target_archE908ELNS1_3gpuE7ELNS1_3repE0EEENS1_48merge_mergepath_partition_config_static_selectorELNS0_4arch9wavefront6targetE1EEEvSH_
                                        ; -- End function
	.set _ZN7rocprim17ROCPRIM_400000_NS6detail17trampoline_kernelINS0_14default_configENS1_38merge_sort_block_merge_config_selectorIslEEZZNS1_27merge_sort_block_merge_implIS3_PsN6thrust23THRUST_200600_302600_NS10device_ptrIlEEjNS1_19radix_merge_compareILb0ELb1EsNS0_19identity_decomposerEEEEE10hipError_tT0_T1_T2_jT3_P12ihipStream_tbPNSt15iterator_traitsISG_E10value_typeEPNSM_ISH_E10value_typeEPSI_NS1_7vsmem_tEENKUlT_SG_SH_SI_E_clIS7_S7_SB_PlEESF_SV_SG_SH_SI_EUlSV_E_NS1_11comp_targetILNS1_3genE3ELNS1_11target_archE908ELNS1_3gpuE7ELNS1_3repE0EEENS1_48merge_mergepath_partition_config_static_selectorELNS0_4arch9wavefront6targetE1EEEvSH_.num_vgpr, 0
	.set _ZN7rocprim17ROCPRIM_400000_NS6detail17trampoline_kernelINS0_14default_configENS1_38merge_sort_block_merge_config_selectorIslEEZZNS1_27merge_sort_block_merge_implIS3_PsN6thrust23THRUST_200600_302600_NS10device_ptrIlEEjNS1_19radix_merge_compareILb0ELb1EsNS0_19identity_decomposerEEEEE10hipError_tT0_T1_T2_jT3_P12ihipStream_tbPNSt15iterator_traitsISG_E10value_typeEPNSM_ISH_E10value_typeEPSI_NS1_7vsmem_tEENKUlT_SG_SH_SI_E_clIS7_S7_SB_PlEESF_SV_SG_SH_SI_EUlSV_E_NS1_11comp_targetILNS1_3genE3ELNS1_11target_archE908ELNS1_3gpuE7ELNS1_3repE0EEENS1_48merge_mergepath_partition_config_static_selectorELNS0_4arch9wavefront6targetE1EEEvSH_.num_agpr, 0
	.set _ZN7rocprim17ROCPRIM_400000_NS6detail17trampoline_kernelINS0_14default_configENS1_38merge_sort_block_merge_config_selectorIslEEZZNS1_27merge_sort_block_merge_implIS3_PsN6thrust23THRUST_200600_302600_NS10device_ptrIlEEjNS1_19radix_merge_compareILb0ELb1EsNS0_19identity_decomposerEEEEE10hipError_tT0_T1_T2_jT3_P12ihipStream_tbPNSt15iterator_traitsISG_E10value_typeEPNSM_ISH_E10value_typeEPSI_NS1_7vsmem_tEENKUlT_SG_SH_SI_E_clIS7_S7_SB_PlEESF_SV_SG_SH_SI_EUlSV_E_NS1_11comp_targetILNS1_3genE3ELNS1_11target_archE908ELNS1_3gpuE7ELNS1_3repE0EEENS1_48merge_mergepath_partition_config_static_selectorELNS0_4arch9wavefront6targetE1EEEvSH_.numbered_sgpr, 0
	.set _ZN7rocprim17ROCPRIM_400000_NS6detail17trampoline_kernelINS0_14default_configENS1_38merge_sort_block_merge_config_selectorIslEEZZNS1_27merge_sort_block_merge_implIS3_PsN6thrust23THRUST_200600_302600_NS10device_ptrIlEEjNS1_19radix_merge_compareILb0ELb1EsNS0_19identity_decomposerEEEEE10hipError_tT0_T1_T2_jT3_P12ihipStream_tbPNSt15iterator_traitsISG_E10value_typeEPNSM_ISH_E10value_typeEPSI_NS1_7vsmem_tEENKUlT_SG_SH_SI_E_clIS7_S7_SB_PlEESF_SV_SG_SH_SI_EUlSV_E_NS1_11comp_targetILNS1_3genE3ELNS1_11target_archE908ELNS1_3gpuE7ELNS1_3repE0EEENS1_48merge_mergepath_partition_config_static_selectorELNS0_4arch9wavefront6targetE1EEEvSH_.num_named_barrier, 0
	.set _ZN7rocprim17ROCPRIM_400000_NS6detail17trampoline_kernelINS0_14default_configENS1_38merge_sort_block_merge_config_selectorIslEEZZNS1_27merge_sort_block_merge_implIS3_PsN6thrust23THRUST_200600_302600_NS10device_ptrIlEEjNS1_19radix_merge_compareILb0ELb1EsNS0_19identity_decomposerEEEEE10hipError_tT0_T1_T2_jT3_P12ihipStream_tbPNSt15iterator_traitsISG_E10value_typeEPNSM_ISH_E10value_typeEPSI_NS1_7vsmem_tEENKUlT_SG_SH_SI_E_clIS7_S7_SB_PlEESF_SV_SG_SH_SI_EUlSV_E_NS1_11comp_targetILNS1_3genE3ELNS1_11target_archE908ELNS1_3gpuE7ELNS1_3repE0EEENS1_48merge_mergepath_partition_config_static_selectorELNS0_4arch9wavefront6targetE1EEEvSH_.private_seg_size, 0
	.set _ZN7rocprim17ROCPRIM_400000_NS6detail17trampoline_kernelINS0_14default_configENS1_38merge_sort_block_merge_config_selectorIslEEZZNS1_27merge_sort_block_merge_implIS3_PsN6thrust23THRUST_200600_302600_NS10device_ptrIlEEjNS1_19radix_merge_compareILb0ELb1EsNS0_19identity_decomposerEEEEE10hipError_tT0_T1_T2_jT3_P12ihipStream_tbPNSt15iterator_traitsISG_E10value_typeEPNSM_ISH_E10value_typeEPSI_NS1_7vsmem_tEENKUlT_SG_SH_SI_E_clIS7_S7_SB_PlEESF_SV_SG_SH_SI_EUlSV_E_NS1_11comp_targetILNS1_3genE3ELNS1_11target_archE908ELNS1_3gpuE7ELNS1_3repE0EEENS1_48merge_mergepath_partition_config_static_selectorELNS0_4arch9wavefront6targetE1EEEvSH_.uses_vcc, 0
	.set _ZN7rocprim17ROCPRIM_400000_NS6detail17trampoline_kernelINS0_14default_configENS1_38merge_sort_block_merge_config_selectorIslEEZZNS1_27merge_sort_block_merge_implIS3_PsN6thrust23THRUST_200600_302600_NS10device_ptrIlEEjNS1_19radix_merge_compareILb0ELb1EsNS0_19identity_decomposerEEEEE10hipError_tT0_T1_T2_jT3_P12ihipStream_tbPNSt15iterator_traitsISG_E10value_typeEPNSM_ISH_E10value_typeEPSI_NS1_7vsmem_tEENKUlT_SG_SH_SI_E_clIS7_S7_SB_PlEESF_SV_SG_SH_SI_EUlSV_E_NS1_11comp_targetILNS1_3genE3ELNS1_11target_archE908ELNS1_3gpuE7ELNS1_3repE0EEENS1_48merge_mergepath_partition_config_static_selectorELNS0_4arch9wavefront6targetE1EEEvSH_.uses_flat_scratch, 0
	.set _ZN7rocprim17ROCPRIM_400000_NS6detail17trampoline_kernelINS0_14default_configENS1_38merge_sort_block_merge_config_selectorIslEEZZNS1_27merge_sort_block_merge_implIS3_PsN6thrust23THRUST_200600_302600_NS10device_ptrIlEEjNS1_19radix_merge_compareILb0ELb1EsNS0_19identity_decomposerEEEEE10hipError_tT0_T1_T2_jT3_P12ihipStream_tbPNSt15iterator_traitsISG_E10value_typeEPNSM_ISH_E10value_typeEPSI_NS1_7vsmem_tEENKUlT_SG_SH_SI_E_clIS7_S7_SB_PlEESF_SV_SG_SH_SI_EUlSV_E_NS1_11comp_targetILNS1_3genE3ELNS1_11target_archE908ELNS1_3gpuE7ELNS1_3repE0EEENS1_48merge_mergepath_partition_config_static_selectorELNS0_4arch9wavefront6targetE1EEEvSH_.has_dyn_sized_stack, 0
	.set _ZN7rocprim17ROCPRIM_400000_NS6detail17trampoline_kernelINS0_14default_configENS1_38merge_sort_block_merge_config_selectorIslEEZZNS1_27merge_sort_block_merge_implIS3_PsN6thrust23THRUST_200600_302600_NS10device_ptrIlEEjNS1_19radix_merge_compareILb0ELb1EsNS0_19identity_decomposerEEEEE10hipError_tT0_T1_T2_jT3_P12ihipStream_tbPNSt15iterator_traitsISG_E10value_typeEPNSM_ISH_E10value_typeEPSI_NS1_7vsmem_tEENKUlT_SG_SH_SI_E_clIS7_S7_SB_PlEESF_SV_SG_SH_SI_EUlSV_E_NS1_11comp_targetILNS1_3genE3ELNS1_11target_archE908ELNS1_3gpuE7ELNS1_3repE0EEENS1_48merge_mergepath_partition_config_static_selectorELNS0_4arch9wavefront6targetE1EEEvSH_.has_recursion, 0
	.set _ZN7rocprim17ROCPRIM_400000_NS6detail17trampoline_kernelINS0_14default_configENS1_38merge_sort_block_merge_config_selectorIslEEZZNS1_27merge_sort_block_merge_implIS3_PsN6thrust23THRUST_200600_302600_NS10device_ptrIlEEjNS1_19radix_merge_compareILb0ELb1EsNS0_19identity_decomposerEEEEE10hipError_tT0_T1_T2_jT3_P12ihipStream_tbPNSt15iterator_traitsISG_E10value_typeEPNSM_ISH_E10value_typeEPSI_NS1_7vsmem_tEENKUlT_SG_SH_SI_E_clIS7_S7_SB_PlEESF_SV_SG_SH_SI_EUlSV_E_NS1_11comp_targetILNS1_3genE3ELNS1_11target_archE908ELNS1_3gpuE7ELNS1_3repE0EEENS1_48merge_mergepath_partition_config_static_selectorELNS0_4arch9wavefront6targetE1EEEvSH_.has_indirect_call, 0
	.section	.AMDGPU.csdata,"",@progbits
; Kernel info:
; codeLenInByte = 0
; TotalNumSgprs: 4
; NumVgprs: 0
; ScratchSize: 0
; MemoryBound: 0
; FloatMode: 240
; IeeeMode: 1
; LDSByteSize: 0 bytes/workgroup (compile time only)
; SGPRBlocks: 0
; VGPRBlocks: 0
; NumSGPRsForWavesPerEU: 4
; NumVGPRsForWavesPerEU: 1
; Occupancy: 10
; WaveLimiterHint : 0
; COMPUTE_PGM_RSRC2:SCRATCH_EN: 0
; COMPUTE_PGM_RSRC2:USER_SGPR: 6
; COMPUTE_PGM_RSRC2:TRAP_HANDLER: 0
; COMPUTE_PGM_RSRC2:TGID_X_EN: 1
; COMPUTE_PGM_RSRC2:TGID_Y_EN: 0
; COMPUTE_PGM_RSRC2:TGID_Z_EN: 0
; COMPUTE_PGM_RSRC2:TIDIG_COMP_CNT: 0
	.section	.text._ZN7rocprim17ROCPRIM_400000_NS6detail17trampoline_kernelINS0_14default_configENS1_38merge_sort_block_merge_config_selectorIslEEZZNS1_27merge_sort_block_merge_implIS3_PsN6thrust23THRUST_200600_302600_NS10device_ptrIlEEjNS1_19radix_merge_compareILb0ELb1EsNS0_19identity_decomposerEEEEE10hipError_tT0_T1_T2_jT3_P12ihipStream_tbPNSt15iterator_traitsISG_E10value_typeEPNSM_ISH_E10value_typeEPSI_NS1_7vsmem_tEENKUlT_SG_SH_SI_E_clIS7_S7_SB_PlEESF_SV_SG_SH_SI_EUlSV_E_NS1_11comp_targetILNS1_3genE2ELNS1_11target_archE906ELNS1_3gpuE6ELNS1_3repE0EEENS1_48merge_mergepath_partition_config_static_selectorELNS0_4arch9wavefront6targetE1EEEvSH_,"axG",@progbits,_ZN7rocprim17ROCPRIM_400000_NS6detail17trampoline_kernelINS0_14default_configENS1_38merge_sort_block_merge_config_selectorIslEEZZNS1_27merge_sort_block_merge_implIS3_PsN6thrust23THRUST_200600_302600_NS10device_ptrIlEEjNS1_19radix_merge_compareILb0ELb1EsNS0_19identity_decomposerEEEEE10hipError_tT0_T1_T2_jT3_P12ihipStream_tbPNSt15iterator_traitsISG_E10value_typeEPNSM_ISH_E10value_typeEPSI_NS1_7vsmem_tEENKUlT_SG_SH_SI_E_clIS7_S7_SB_PlEESF_SV_SG_SH_SI_EUlSV_E_NS1_11comp_targetILNS1_3genE2ELNS1_11target_archE906ELNS1_3gpuE6ELNS1_3repE0EEENS1_48merge_mergepath_partition_config_static_selectorELNS0_4arch9wavefront6targetE1EEEvSH_,comdat
	.protected	_ZN7rocprim17ROCPRIM_400000_NS6detail17trampoline_kernelINS0_14default_configENS1_38merge_sort_block_merge_config_selectorIslEEZZNS1_27merge_sort_block_merge_implIS3_PsN6thrust23THRUST_200600_302600_NS10device_ptrIlEEjNS1_19radix_merge_compareILb0ELb1EsNS0_19identity_decomposerEEEEE10hipError_tT0_T1_T2_jT3_P12ihipStream_tbPNSt15iterator_traitsISG_E10value_typeEPNSM_ISH_E10value_typeEPSI_NS1_7vsmem_tEENKUlT_SG_SH_SI_E_clIS7_S7_SB_PlEESF_SV_SG_SH_SI_EUlSV_E_NS1_11comp_targetILNS1_3genE2ELNS1_11target_archE906ELNS1_3gpuE6ELNS1_3repE0EEENS1_48merge_mergepath_partition_config_static_selectorELNS0_4arch9wavefront6targetE1EEEvSH_ ; -- Begin function _ZN7rocprim17ROCPRIM_400000_NS6detail17trampoline_kernelINS0_14default_configENS1_38merge_sort_block_merge_config_selectorIslEEZZNS1_27merge_sort_block_merge_implIS3_PsN6thrust23THRUST_200600_302600_NS10device_ptrIlEEjNS1_19radix_merge_compareILb0ELb1EsNS0_19identity_decomposerEEEEE10hipError_tT0_T1_T2_jT3_P12ihipStream_tbPNSt15iterator_traitsISG_E10value_typeEPNSM_ISH_E10value_typeEPSI_NS1_7vsmem_tEENKUlT_SG_SH_SI_E_clIS7_S7_SB_PlEESF_SV_SG_SH_SI_EUlSV_E_NS1_11comp_targetILNS1_3genE2ELNS1_11target_archE906ELNS1_3gpuE6ELNS1_3repE0EEENS1_48merge_mergepath_partition_config_static_selectorELNS0_4arch9wavefront6targetE1EEEvSH_
	.globl	_ZN7rocprim17ROCPRIM_400000_NS6detail17trampoline_kernelINS0_14default_configENS1_38merge_sort_block_merge_config_selectorIslEEZZNS1_27merge_sort_block_merge_implIS3_PsN6thrust23THRUST_200600_302600_NS10device_ptrIlEEjNS1_19radix_merge_compareILb0ELb1EsNS0_19identity_decomposerEEEEE10hipError_tT0_T1_T2_jT3_P12ihipStream_tbPNSt15iterator_traitsISG_E10value_typeEPNSM_ISH_E10value_typeEPSI_NS1_7vsmem_tEENKUlT_SG_SH_SI_E_clIS7_S7_SB_PlEESF_SV_SG_SH_SI_EUlSV_E_NS1_11comp_targetILNS1_3genE2ELNS1_11target_archE906ELNS1_3gpuE6ELNS1_3repE0EEENS1_48merge_mergepath_partition_config_static_selectorELNS0_4arch9wavefront6targetE1EEEvSH_
	.p2align	8
	.type	_ZN7rocprim17ROCPRIM_400000_NS6detail17trampoline_kernelINS0_14default_configENS1_38merge_sort_block_merge_config_selectorIslEEZZNS1_27merge_sort_block_merge_implIS3_PsN6thrust23THRUST_200600_302600_NS10device_ptrIlEEjNS1_19radix_merge_compareILb0ELb1EsNS0_19identity_decomposerEEEEE10hipError_tT0_T1_T2_jT3_P12ihipStream_tbPNSt15iterator_traitsISG_E10value_typeEPNSM_ISH_E10value_typeEPSI_NS1_7vsmem_tEENKUlT_SG_SH_SI_E_clIS7_S7_SB_PlEESF_SV_SG_SH_SI_EUlSV_E_NS1_11comp_targetILNS1_3genE2ELNS1_11target_archE906ELNS1_3gpuE6ELNS1_3repE0EEENS1_48merge_mergepath_partition_config_static_selectorELNS0_4arch9wavefront6targetE1EEEvSH_,@function
_ZN7rocprim17ROCPRIM_400000_NS6detail17trampoline_kernelINS0_14default_configENS1_38merge_sort_block_merge_config_selectorIslEEZZNS1_27merge_sort_block_merge_implIS3_PsN6thrust23THRUST_200600_302600_NS10device_ptrIlEEjNS1_19radix_merge_compareILb0ELb1EsNS0_19identity_decomposerEEEEE10hipError_tT0_T1_T2_jT3_P12ihipStream_tbPNSt15iterator_traitsISG_E10value_typeEPNSM_ISH_E10value_typeEPSI_NS1_7vsmem_tEENKUlT_SG_SH_SI_E_clIS7_S7_SB_PlEESF_SV_SG_SH_SI_EUlSV_E_NS1_11comp_targetILNS1_3genE2ELNS1_11target_archE906ELNS1_3gpuE6ELNS1_3repE0EEENS1_48merge_mergepath_partition_config_static_selectorELNS0_4arch9wavefront6targetE1EEEvSH_: ; @_ZN7rocprim17ROCPRIM_400000_NS6detail17trampoline_kernelINS0_14default_configENS1_38merge_sort_block_merge_config_selectorIslEEZZNS1_27merge_sort_block_merge_implIS3_PsN6thrust23THRUST_200600_302600_NS10device_ptrIlEEjNS1_19radix_merge_compareILb0ELb1EsNS0_19identity_decomposerEEEEE10hipError_tT0_T1_T2_jT3_P12ihipStream_tbPNSt15iterator_traitsISG_E10value_typeEPNSM_ISH_E10value_typeEPSI_NS1_7vsmem_tEENKUlT_SG_SH_SI_E_clIS7_S7_SB_PlEESF_SV_SG_SH_SI_EUlSV_E_NS1_11comp_targetILNS1_3genE2ELNS1_11target_archE906ELNS1_3gpuE6ELNS1_3repE0EEENS1_48merge_mergepath_partition_config_static_selectorELNS0_4arch9wavefront6targetE1EEEvSH_
; %bb.0:
	s_load_dword s0, s[4:5], 0x0
	v_lshl_or_b32 v0, s6, 7, v0
	s_waitcnt lgkmcnt(0)
	v_cmp_gt_u32_e32 vcc, s0, v0
	s_and_saveexec_b64 s[0:1], vcc
	s_cbranch_execz .LBB1361_6
; %bb.1:
	s_load_dwordx2 s[2:3], s[4:5], 0x4
	s_load_dwordx2 s[0:1], s[4:5], 0x20
	s_waitcnt lgkmcnt(0)
	s_lshr_b32 s6, s2, 9
	s_and_b32 s6, s6, 0x7ffffe
	s_add_i32 s7, s6, -1
	s_sub_i32 s6, 0, s6
	v_and_b32_e32 v1, s6, v0
	v_lshlrev_b32_e32 v3, 10, v1
	v_min_u32_e32 v1, s3, v3
	v_add_u32_e32 v3, s2, v3
	v_min_u32_e32 v3, s3, v3
	v_add_u32_e32 v4, s2, v3
	v_and_b32_e32 v2, s7, v0
	v_min_u32_e32 v4, s3, v4
	v_sub_u32_e32 v5, v4, v1
	v_lshlrev_b32_e32 v2, 10, v2
	v_min_u32_e32 v6, v5, v2
	v_sub_u32_e32 v2, v3, v1
	v_sub_u32_e32 v4, v4, v3
	v_sub_u32_e64 v5, v6, v4 clamp
	v_min_u32_e32 v7, v6, v2
	v_cmp_lt_u32_e32 vcc, v5, v7
	s_and_saveexec_b64 s[2:3], vcc
	s_cbranch_execz .LBB1361_5
; %bb.2:
	s_load_dwordx2 s[8:9], s[4:5], 0x10
	s_load_dword s6, s[4:5], 0x18
	v_mov_b32_e32 v4, 0
	v_mov_b32_e32 v2, v4
	v_lshlrev_b64 v[8:9], 1, v[1:2]
	s_waitcnt lgkmcnt(0)
	v_mov_b32_e32 v11, s9
	v_add_co_u32_e32 v2, vcc, s8, v8
	v_addc_co_u32_e32 v8, vcc, v11, v9, vcc
	v_lshlrev_b64 v[9:10], 1, v[3:4]
	s_mov_b64 s[4:5], 0
	v_add_co_u32_e32 v9, vcc, s8, v9
	v_addc_co_u32_e32 v10, vcc, v11, v10, vcc
.LBB1361_3:                             ; =>This Inner Loop Header: Depth=1
	v_add_u32_e32 v3, v7, v5
	v_and_b32_e32 v11, -2, v3
	v_lshrrev_b32_e32 v13, 1, v3
	v_add_co_u32_e32 v11, vcc, v2, v11
	v_xad_u32 v3, v13, -1, v6
	v_addc_co_u32_e32 v12, vcc, 0, v8, vcc
	global_load_ushort v14, v[11:12], off
	v_lshlrev_b64 v[11:12], 1, v[3:4]
	v_add_co_u32_e32 v11, vcc, v9, v11
	v_addc_co_u32_e32 v12, vcc, v10, v12, vcc
	global_load_ushort v3, v[11:12], off
	v_add_u32_e32 v11, 1, v13
	s_waitcnt vmcnt(1)
	v_and_b32_e32 v12, s6, v14
	s_waitcnt vmcnt(0)
	v_and_b32_e32 v3, s6, v3
	v_cmp_gt_i16_e32 vcc, v12, v3
	v_cndmask_b32_e32 v7, v7, v13, vcc
	v_cndmask_b32_e32 v5, v11, v5, vcc
	v_cmp_ge_u32_e32 vcc, v5, v7
	s_or_b64 s[4:5], vcc, s[4:5]
	s_andn2_b64 exec, exec, s[4:5]
	s_cbranch_execnz .LBB1361_3
; %bb.4:
	s_or_b64 exec, exec, s[4:5]
.LBB1361_5:
	s_or_b64 exec, exec, s[2:3]
	v_add_u32_e32 v2, v5, v1
	v_mov_b32_e32 v1, 0
	v_lshlrev_b64 v[0:1], 2, v[0:1]
	v_mov_b32_e32 v3, s1
	v_add_co_u32_e32 v0, vcc, s0, v0
	v_addc_co_u32_e32 v1, vcc, v3, v1, vcc
	global_store_dword v[0:1], v2, off
.LBB1361_6:
	s_endpgm
	.section	.rodata,"a",@progbits
	.p2align	6, 0x0
	.amdhsa_kernel _ZN7rocprim17ROCPRIM_400000_NS6detail17trampoline_kernelINS0_14default_configENS1_38merge_sort_block_merge_config_selectorIslEEZZNS1_27merge_sort_block_merge_implIS3_PsN6thrust23THRUST_200600_302600_NS10device_ptrIlEEjNS1_19radix_merge_compareILb0ELb1EsNS0_19identity_decomposerEEEEE10hipError_tT0_T1_T2_jT3_P12ihipStream_tbPNSt15iterator_traitsISG_E10value_typeEPNSM_ISH_E10value_typeEPSI_NS1_7vsmem_tEENKUlT_SG_SH_SI_E_clIS7_S7_SB_PlEESF_SV_SG_SH_SI_EUlSV_E_NS1_11comp_targetILNS1_3genE2ELNS1_11target_archE906ELNS1_3gpuE6ELNS1_3repE0EEENS1_48merge_mergepath_partition_config_static_selectorELNS0_4arch9wavefront6targetE1EEEvSH_
		.amdhsa_group_segment_fixed_size 0
		.amdhsa_private_segment_fixed_size 0
		.amdhsa_kernarg_size 40
		.amdhsa_user_sgpr_count 6
		.amdhsa_user_sgpr_private_segment_buffer 1
		.amdhsa_user_sgpr_dispatch_ptr 0
		.amdhsa_user_sgpr_queue_ptr 0
		.amdhsa_user_sgpr_kernarg_segment_ptr 1
		.amdhsa_user_sgpr_dispatch_id 0
		.amdhsa_user_sgpr_flat_scratch_init 0
		.amdhsa_user_sgpr_private_segment_size 0
		.amdhsa_uses_dynamic_stack 0
		.amdhsa_system_sgpr_private_segment_wavefront_offset 0
		.amdhsa_system_sgpr_workgroup_id_x 1
		.amdhsa_system_sgpr_workgroup_id_y 0
		.amdhsa_system_sgpr_workgroup_id_z 0
		.amdhsa_system_sgpr_workgroup_info 0
		.amdhsa_system_vgpr_workitem_id 0
		.amdhsa_next_free_vgpr 15
		.amdhsa_next_free_sgpr 10
		.amdhsa_reserve_vcc 1
		.amdhsa_reserve_flat_scratch 0
		.amdhsa_float_round_mode_32 0
		.amdhsa_float_round_mode_16_64 0
		.amdhsa_float_denorm_mode_32 3
		.amdhsa_float_denorm_mode_16_64 3
		.amdhsa_dx10_clamp 1
		.amdhsa_ieee_mode 1
		.amdhsa_fp16_overflow 0
		.amdhsa_exception_fp_ieee_invalid_op 0
		.amdhsa_exception_fp_denorm_src 0
		.amdhsa_exception_fp_ieee_div_zero 0
		.amdhsa_exception_fp_ieee_overflow 0
		.amdhsa_exception_fp_ieee_underflow 0
		.amdhsa_exception_fp_ieee_inexact 0
		.amdhsa_exception_int_div_zero 0
	.end_amdhsa_kernel
	.section	.text._ZN7rocprim17ROCPRIM_400000_NS6detail17trampoline_kernelINS0_14default_configENS1_38merge_sort_block_merge_config_selectorIslEEZZNS1_27merge_sort_block_merge_implIS3_PsN6thrust23THRUST_200600_302600_NS10device_ptrIlEEjNS1_19radix_merge_compareILb0ELb1EsNS0_19identity_decomposerEEEEE10hipError_tT0_T1_T2_jT3_P12ihipStream_tbPNSt15iterator_traitsISG_E10value_typeEPNSM_ISH_E10value_typeEPSI_NS1_7vsmem_tEENKUlT_SG_SH_SI_E_clIS7_S7_SB_PlEESF_SV_SG_SH_SI_EUlSV_E_NS1_11comp_targetILNS1_3genE2ELNS1_11target_archE906ELNS1_3gpuE6ELNS1_3repE0EEENS1_48merge_mergepath_partition_config_static_selectorELNS0_4arch9wavefront6targetE1EEEvSH_,"axG",@progbits,_ZN7rocprim17ROCPRIM_400000_NS6detail17trampoline_kernelINS0_14default_configENS1_38merge_sort_block_merge_config_selectorIslEEZZNS1_27merge_sort_block_merge_implIS3_PsN6thrust23THRUST_200600_302600_NS10device_ptrIlEEjNS1_19radix_merge_compareILb0ELb1EsNS0_19identity_decomposerEEEEE10hipError_tT0_T1_T2_jT3_P12ihipStream_tbPNSt15iterator_traitsISG_E10value_typeEPNSM_ISH_E10value_typeEPSI_NS1_7vsmem_tEENKUlT_SG_SH_SI_E_clIS7_S7_SB_PlEESF_SV_SG_SH_SI_EUlSV_E_NS1_11comp_targetILNS1_3genE2ELNS1_11target_archE906ELNS1_3gpuE6ELNS1_3repE0EEENS1_48merge_mergepath_partition_config_static_selectorELNS0_4arch9wavefront6targetE1EEEvSH_,comdat
.Lfunc_end1361:
	.size	_ZN7rocprim17ROCPRIM_400000_NS6detail17trampoline_kernelINS0_14default_configENS1_38merge_sort_block_merge_config_selectorIslEEZZNS1_27merge_sort_block_merge_implIS3_PsN6thrust23THRUST_200600_302600_NS10device_ptrIlEEjNS1_19radix_merge_compareILb0ELb1EsNS0_19identity_decomposerEEEEE10hipError_tT0_T1_T2_jT3_P12ihipStream_tbPNSt15iterator_traitsISG_E10value_typeEPNSM_ISH_E10value_typeEPSI_NS1_7vsmem_tEENKUlT_SG_SH_SI_E_clIS7_S7_SB_PlEESF_SV_SG_SH_SI_EUlSV_E_NS1_11comp_targetILNS1_3genE2ELNS1_11target_archE906ELNS1_3gpuE6ELNS1_3repE0EEENS1_48merge_mergepath_partition_config_static_selectorELNS0_4arch9wavefront6targetE1EEEvSH_, .Lfunc_end1361-_ZN7rocprim17ROCPRIM_400000_NS6detail17trampoline_kernelINS0_14default_configENS1_38merge_sort_block_merge_config_selectorIslEEZZNS1_27merge_sort_block_merge_implIS3_PsN6thrust23THRUST_200600_302600_NS10device_ptrIlEEjNS1_19radix_merge_compareILb0ELb1EsNS0_19identity_decomposerEEEEE10hipError_tT0_T1_T2_jT3_P12ihipStream_tbPNSt15iterator_traitsISG_E10value_typeEPNSM_ISH_E10value_typeEPSI_NS1_7vsmem_tEENKUlT_SG_SH_SI_E_clIS7_S7_SB_PlEESF_SV_SG_SH_SI_EUlSV_E_NS1_11comp_targetILNS1_3genE2ELNS1_11target_archE906ELNS1_3gpuE6ELNS1_3repE0EEENS1_48merge_mergepath_partition_config_static_selectorELNS0_4arch9wavefront6targetE1EEEvSH_
                                        ; -- End function
	.set _ZN7rocprim17ROCPRIM_400000_NS6detail17trampoline_kernelINS0_14default_configENS1_38merge_sort_block_merge_config_selectorIslEEZZNS1_27merge_sort_block_merge_implIS3_PsN6thrust23THRUST_200600_302600_NS10device_ptrIlEEjNS1_19radix_merge_compareILb0ELb1EsNS0_19identity_decomposerEEEEE10hipError_tT0_T1_T2_jT3_P12ihipStream_tbPNSt15iterator_traitsISG_E10value_typeEPNSM_ISH_E10value_typeEPSI_NS1_7vsmem_tEENKUlT_SG_SH_SI_E_clIS7_S7_SB_PlEESF_SV_SG_SH_SI_EUlSV_E_NS1_11comp_targetILNS1_3genE2ELNS1_11target_archE906ELNS1_3gpuE6ELNS1_3repE0EEENS1_48merge_mergepath_partition_config_static_selectorELNS0_4arch9wavefront6targetE1EEEvSH_.num_vgpr, 15
	.set _ZN7rocprim17ROCPRIM_400000_NS6detail17trampoline_kernelINS0_14default_configENS1_38merge_sort_block_merge_config_selectorIslEEZZNS1_27merge_sort_block_merge_implIS3_PsN6thrust23THRUST_200600_302600_NS10device_ptrIlEEjNS1_19radix_merge_compareILb0ELb1EsNS0_19identity_decomposerEEEEE10hipError_tT0_T1_T2_jT3_P12ihipStream_tbPNSt15iterator_traitsISG_E10value_typeEPNSM_ISH_E10value_typeEPSI_NS1_7vsmem_tEENKUlT_SG_SH_SI_E_clIS7_S7_SB_PlEESF_SV_SG_SH_SI_EUlSV_E_NS1_11comp_targetILNS1_3genE2ELNS1_11target_archE906ELNS1_3gpuE6ELNS1_3repE0EEENS1_48merge_mergepath_partition_config_static_selectorELNS0_4arch9wavefront6targetE1EEEvSH_.num_agpr, 0
	.set _ZN7rocprim17ROCPRIM_400000_NS6detail17trampoline_kernelINS0_14default_configENS1_38merge_sort_block_merge_config_selectorIslEEZZNS1_27merge_sort_block_merge_implIS3_PsN6thrust23THRUST_200600_302600_NS10device_ptrIlEEjNS1_19radix_merge_compareILb0ELb1EsNS0_19identity_decomposerEEEEE10hipError_tT0_T1_T2_jT3_P12ihipStream_tbPNSt15iterator_traitsISG_E10value_typeEPNSM_ISH_E10value_typeEPSI_NS1_7vsmem_tEENKUlT_SG_SH_SI_E_clIS7_S7_SB_PlEESF_SV_SG_SH_SI_EUlSV_E_NS1_11comp_targetILNS1_3genE2ELNS1_11target_archE906ELNS1_3gpuE6ELNS1_3repE0EEENS1_48merge_mergepath_partition_config_static_selectorELNS0_4arch9wavefront6targetE1EEEvSH_.numbered_sgpr, 10
	.set _ZN7rocprim17ROCPRIM_400000_NS6detail17trampoline_kernelINS0_14default_configENS1_38merge_sort_block_merge_config_selectorIslEEZZNS1_27merge_sort_block_merge_implIS3_PsN6thrust23THRUST_200600_302600_NS10device_ptrIlEEjNS1_19radix_merge_compareILb0ELb1EsNS0_19identity_decomposerEEEEE10hipError_tT0_T1_T2_jT3_P12ihipStream_tbPNSt15iterator_traitsISG_E10value_typeEPNSM_ISH_E10value_typeEPSI_NS1_7vsmem_tEENKUlT_SG_SH_SI_E_clIS7_S7_SB_PlEESF_SV_SG_SH_SI_EUlSV_E_NS1_11comp_targetILNS1_3genE2ELNS1_11target_archE906ELNS1_3gpuE6ELNS1_3repE0EEENS1_48merge_mergepath_partition_config_static_selectorELNS0_4arch9wavefront6targetE1EEEvSH_.num_named_barrier, 0
	.set _ZN7rocprim17ROCPRIM_400000_NS6detail17trampoline_kernelINS0_14default_configENS1_38merge_sort_block_merge_config_selectorIslEEZZNS1_27merge_sort_block_merge_implIS3_PsN6thrust23THRUST_200600_302600_NS10device_ptrIlEEjNS1_19radix_merge_compareILb0ELb1EsNS0_19identity_decomposerEEEEE10hipError_tT0_T1_T2_jT3_P12ihipStream_tbPNSt15iterator_traitsISG_E10value_typeEPNSM_ISH_E10value_typeEPSI_NS1_7vsmem_tEENKUlT_SG_SH_SI_E_clIS7_S7_SB_PlEESF_SV_SG_SH_SI_EUlSV_E_NS1_11comp_targetILNS1_3genE2ELNS1_11target_archE906ELNS1_3gpuE6ELNS1_3repE0EEENS1_48merge_mergepath_partition_config_static_selectorELNS0_4arch9wavefront6targetE1EEEvSH_.private_seg_size, 0
	.set _ZN7rocprim17ROCPRIM_400000_NS6detail17trampoline_kernelINS0_14default_configENS1_38merge_sort_block_merge_config_selectorIslEEZZNS1_27merge_sort_block_merge_implIS3_PsN6thrust23THRUST_200600_302600_NS10device_ptrIlEEjNS1_19radix_merge_compareILb0ELb1EsNS0_19identity_decomposerEEEEE10hipError_tT0_T1_T2_jT3_P12ihipStream_tbPNSt15iterator_traitsISG_E10value_typeEPNSM_ISH_E10value_typeEPSI_NS1_7vsmem_tEENKUlT_SG_SH_SI_E_clIS7_S7_SB_PlEESF_SV_SG_SH_SI_EUlSV_E_NS1_11comp_targetILNS1_3genE2ELNS1_11target_archE906ELNS1_3gpuE6ELNS1_3repE0EEENS1_48merge_mergepath_partition_config_static_selectorELNS0_4arch9wavefront6targetE1EEEvSH_.uses_vcc, 1
	.set _ZN7rocprim17ROCPRIM_400000_NS6detail17trampoline_kernelINS0_14default_configENS1_38merge_sort_block_merge_config_selectorIslEEZZNS1_27merge_sort_block_merge_implIS3_PsN6thrust23THRUST_200600_302600_NS10device_ptrIlEEjNS1_19radix_merge_compareILb0ELb1EsNS0_19identity_decomposerEEEEE10hipError_tT0_T1_T2_jT3_P12ihipStream_tbPNSt15iterator_traitsISG_E10value_typeEPNSM_ISH_E10value_typeEPSI_NS1_7vsmem_tEENKUlT_SG_SH_SI_E_clIS7_S7_SB_PlEESF_SV_SG_SH_SI_EUlSV_E_NS1_11comp_targetILNS1_3genE2ELNS1_11target_archE906ELNS1_3gpuE6ELNS1_3repE0EEENS1_48merge_mergepath_partition_config_static_selectorELNS0_4arch9wavefront6targetE1EEEvSH_.uses_flat_scratch, 0
	.set _ZN7rocprim17ROCPRIM_400000_NS6detail17trampoline_kernelINS0_14default_configENS1_38merge_sort_block_merge_config_selectorIslEEZZNS1_27merge_sort_block_merge_implIS3_PsN6thrust23THRUST_200600_302600_NS10device_ptrIlEEjNS1_19radix_merge_compareILb0ELb1EsNS0_19identity_decomposerEEEEE10hipError_tT0_T1_T2_jT3_P12ihipStream_tbPNSt15iterator_traitsISG_E10value_typeEPNSM_ISH_E10value_typeEPSI_NS1_7vsmem_tEENKUlT_SG_SH_SI_E_clIS7_S7_SB_PlEESF_SV_SG_SH_SI_EUlSV_E_NS1_11comp_targetILNS1_3genE2ELNS1_11target_archE906ELNS1_3gpuE6ELNS1_3repE0EEENS1_48merge_mergepath_partition_config_static_selectorELNS0_4arch9wavefront6targetE1EEEvSH_.has_dyn_sized_stack, 0
	.set _ZN7rocprim17ROCPRIM_400000_NS6detail17trampoline_kernelINS0_14default_configENS1_38merge_sort_block_merge_config_selectorIslEEZZNS1_27merge_sort_block_merge_implIS3_PsN6thrust23THRUST_200600_302600_NS10device_ptrIlEEjNS1_19radix_merge_compareILb0ELb1EsNS0_19identity_decomposerEEEEE10hipError_tT0_T1_T2_jT3_P12ihipStream_tbPNSt15iterator_traitsISG_E10value_typeEPNSM_ISH_E10value_typeEPSI_NS1_7vsmem_tEENKUlT_SG_SH_SI_E_clIS7_S7_SB_PlEESF_SV_SG_SH_SI_EUlSV_E_NS1_11comp_targetILNS1_3genE2ELNS1_11target_archE906ELNS1_3gpuE6ELNS1_3repE0EEENS1_48merge_mergepath_partition_config_static_selectorELNS0_4arch9wavefront6targetE1EEEvSH_.has_recursion, 0
	.set _ZN7rocprim17ROCPRIM_400000_NS6detail17trampoline_kernelINS0_14default_configENS1_38merge_sort_block_merge_config_selectorIslEEZZNS1_27merge_sort_block_merge_implIS3_PsN6thrust23THRUST_200600_302600_NS10device_ptrIlEEjNS1_19radix_merge_compareILb0ELb1EsNS0_19identity_decomposerEEEEE10hipError_tT0_T1_T2_jT3_P12ihipStream_tbPNSt15iterator_traitsISG_E10value_typeEPNSM_ISH_E10value_typeEPSI_NS1_7vsmem_tEENKUlT_SG_SH_SI_E_clIS7_S7_SB_PlEESF_SV_SG_SH_SI_EUlSV_E_NS1_11comp_targetILNS1_3genE2ELNS1_11target_archE906ELNS1_3gpuE6ELNS1_3repE0EEENS1_48merge_mergepath_partition_config_static_selectorELNS0_4arch9wavefront6targetE1EEEvSH_.has_indirect_call, 0
	.section	.AMDGPU.csdata,"",@progbits
; Kernel info:
; codeLenInByte = 372
; TotalNumSgprs: 14
; NumVgprs: 15
; ScratchSize: 0
; MemoryBound: 0
; FloatMode: 240
; IeeeMode: 1
; LDSByteSize: 0 bytes/workgroup (compile time only)
; SGPRBlocks: 1
; VGPRBlocks: 3
; NumSGPRsForWavesPerEU: 14
; NumVGPRsForWavesPerEU: 15
; Occupancy: 10
; WaveLimiterHint : 0
; COMPUTE_PGM_RSRC2:SCRATCH_EN: 0
; COMPUTE_PGM_RSRC2:USER_SGPR: 6
; COMPUTE_PGM_RSRC2:TRAP_HANDLER: 0
; COMPUTE_PGM_RSRC2:TGID_X_EN: 1
; COMPUTE_PGM_RSRC2:TGID_Y_EN: 0
; COMPUTE_PGM_RSRC2:TGID_Z_EN: 0
; COMPUTE_PGM_RSRC2:TIDIG_COMP_CNT: 0
	.section	.text._ZN7rocprim17ROCPRIM_400000_NS6detail17trampoline_kernelINS0_14default_configENS1_38merge_sort_block_merge_config_selectorIslEEZZNS1_27merge_sort_block_merge_implIS3_PsN6thrust23THRUST_200600_302600_NS10device_ptrIlEEjNS1_19radix_merge_compareILb0ELb1EsNS0_19identity_decomposerEEEEE10hipError_tT0_T1_T2_jT3_P12ihipStream_tbPNSt15iterator_traitsISG_E10value_typeEPNSM_ISH_E10value_typeEPSI_NS1_7vsmem_tEENKUlT_SG_SH_SI_E_clIS7_S7_SB_PlEESF_SV_SG_SH_SI_EUlSV_E_NS1_11comp_targetILNS1_3genE9ELNS1_11target_archE1100ELNS1_3gpuE3ELNS1_3repE0EEENS1_48merge_mergepath_partition_config_static_selectorELNS0_4arch9wavefront6targetE1EEEvSH_,"axG",@progbits,_ZN7rocprim17ROCPRIM_400000_NS6detail17trampoline_kernelINS0_14default_configENS1_38merge_sort_block_merge_config_selectorIslEEZZNS1_27merge_sort_block_merge_implIS3_PsN6thrust23THRUST_200600_302600_NS10device_ptrIlEEjNS1_19radix_merge_compareILb0ELb1EsNS0_19identity_decomposerEEEEE10hipError_tT0_T1_T2_jT3_P12ihipStream_tbPNSt15iterator_traitsISG_E10value_typeEPNSM_ISH_E10value_typeEPSI_NS1_7vsmem_tEENKUlT_SG_SH_SI_E_clIS7_S7_SB_PlEESF_SV_SG_SH_SI_EUlSV_E_NS1_11comp_targetILNS1_3genE9ELNS1_11target_archE1100ELNS1_3gpuE3ELNS1_3repE0EEENS1_48merge_mergepath_partition_config_static_selectorELNS0_4arch9wavefront6targetE1EEEvSH_,comdat
	.protected	_ZN7rocprim17ROCPRIM_400000_NS6detail17trampoline_kernelINS0_14default_configENS1_38merge_sort_block_merge_config_selectorIslEEZZNS1_27merge_sort_block_merge_implIS3_PsN6thrust23THRUST_200600_302600_NS10device_ptrIlEEjNS1_19radix_merge_compareILb0ELb1EsNS0_19identity_decomposerEEEEE10hipError_tT0_T1_T2_jT3_P12ihipStream_tbPNSt15iterator_traitsISG_E10value_typeEPNSM_ISH_E10value_typeEPSI_NS1_7vsmem_tEENKUlT_SG_SH_SI_E_clIS7_S7_SB_PlEESF_SV_SG_SH_SI_EUlSV_E_NS1_11comp_targetILNS1_3genE9ELNS1_11target_archE1100ELNS1_3gpuE3ELNS1_3repE0EEENS1_48merge_mergepath_partition_config_static_selectorELNS0_4arch9wavefront6targetE1EEEvSH_ ; -- Begin function _ZN7rocprim17ROCPRIM_400000_NS6detail17trampoline_kernelINS0_14default_configENS1_38merge_sort_block_merge_config_selectorIslEEZZNS1_27merge_sort_block_merge_implIS3_PsN6thrust23THRUST_200600_302600_NS10device_ptrIlEEjNS1_19radix_merge_compareILb0ELb1EsNS0_19identity_decomposerEEEEE10hipError_tT0_T1_T2_jT3_P12ihipStream_tbPNSt15iterator_traitsISG_E10value_typeEPNSM_ISH_E10value_typeEPSI_NS1_7vsmem_tEENKUlT_SG_SH_SI_E_clIS7_S7_SB_PlEESF_SV_SG_SH_SI_EUlSV_E_NS1_11comp_targetILNS1_3genE9ELNS1_11target_archE1100ELNS1_3gpuE3ELNS1_3repE0EEENS1_48merge_mergepath_partition_config_static_selectorELNS0_4arch9wavefront6targetE1EEEvSH_
	.globl	_ZN7rocprim17ROCPRIM_400000_NS6detail17trampoline_kernelINS0_14default_configENS1_38merge_sort_block_merge_config_selectorIslEEZZNS1_27merge_sort_block_merge_implIS3_PsN6thrust23THRUST_200600_302600_NS10device_ptrIlEEjNS1_19radix_merge_compareILb0ELb1EsNS0_19identity_decomposerEEEEE10hipError_tT0_T1_T2_jT3_P12ihipStream_tbPNSt15iterator_traitsISG_E10value_typeEPNSM_ISH_E10value_typeEPSI_NS1_7vsmem_tEENKUlT_SG_SH_SI_E_clIS7_S7_SB_PlEESF_SV_SG_SH_SI_EUlSV_E_NS1_11comp_targetILNS1_3genE9ELNS1_11target_archE1100ELNS1_3gpuE3ELNS1_3repE0EEENS1_48merge_mergepath_partition_config_static_selectorELNS0_4arch9wavefront6targetE1EEEvSH_
	.p2align	8
	.type	_ZN7rocprim17ROCPRIM_400000_NS6detail17trampoline_kernelINS0_14default_configENS1_38merge_sort_block_merge_config_selectorIslEEZZNS1_27merge_sort_block_merge_implIS3_PsN6thrust23THRUST_200600_302600_NS10device_ptrIlEEjNS1_19radix_merge_compareILb0ELb1EsNS0_19identity_decomposerEEEEE10hipError_tT0_T1_T2_jT3_P12ihipStream_tbPNSt15iterator_traitsISG_E10value_typeEPNSM_ISH_E10value_typeEPSI_NS1_7vsmem_tEENKUlT_SG_SH_SI_E_clIS7_S7_SB_PlEESF_SV_SG_SH_SI_EUlSV_E_NS1_11comp_targetILNS1_3genE9ELNS1_11target_archE1100ELNS1_3gpuE3ELNS1_3repE0EEENS1_48merge_mergepath_partition_config_static_selectorELNS0_4arch9wavefront6targetE1EEEvSH_,@function
_ZN7rocprim17ROCPRIM_400000_NS6detail17trampoline_kernelINS0_14default_configENS1_38merge_sort_block_merge_config_selectorIslEEZZNS1_27merge_sort_block_merge_implIS3_PsN6thrust23THRUST_200600_302600_NS10device_ptrIlEEjNS1_19radix_merge_compareILb0ELb1EsNS0_19identity_decomposerEEEEE10hipError_tT0_T1_T2_jT3_P12ihipStream_tbPNSt15iterator_traitsISG_E10value_typeEPNSM_ISH_E10value_typeEPSI_NS1_7vsmem_tEENKUlT_SG_SH_SI_E_clIS7_S7_SB_PlEESF_SV_SG_SH_SI_EUlSV_E_NS1_11comp_targetILNS1_3genE9ELNS1_11target_archE1100ELNS1_3gpuE3ELNS1_3repE0EEENS1_48merge_mergepath_partition_config_static_selectorELNS0_4arch9wavefront6targetE1EEEvSH_: ; @_ZN7rocprim17ROCPRIM_400000_NS6detail17trampoline_kernelINS0_14default_configENS1_38merge_sort_block_merge_config_selectorIslEEZZNS1_27merge_sort_block_merge_implIS3_PsN6thrust23THRUST_200600_302600_NS10device_ptrIlEEjNS1_19radix_merge_compareILb0ELb1EsNS0_19identity_decomposerEEEEE10hipError_tT0_T1_T2_jT3_P12ihipStream_tbPNSt15iterator_traitsISG_E10value_typeEPNSM_ISH_E10value_typeEPSI_NS1_7vsmem_tEENKUlT_SG_SH_SI_E_clIS7_S7_SB_PlEESF_SV_SG_SH_SI_EUlSV_E_NS1_11comp_targetILNS1_3genE9ELNS1_11target_archE1100ELNS1_3gpuE3ELNS1_3repE0EEENS1_48merge_mergepath_partition_config_static_selectorELNS0_4arch9wavefront6targetE1EEEvSH_
; %bb.0:
	.section	.rodata,"a",@progbits
	.p2align	6, 0x0
	.amdhsa_kernel _ZN7rocprim17ROCPRIM_400000_NS6detail17trampoline_kernelINS0_14default_configENS1_38merge_sort_block_merge_config_selectorIslEEZZNS1_27merge_sort_block_merge_implIS3_PsN6thrust23THRUST_200600_302600_NS10device_ptrIlEEjNS1_19radix_merge_compareILb0ELb1EsNS0_19identity_decomposerEEEEE10hipError_tT0_T1_T2_jT3_P12ihipStream_tbPNSt15iterator_traitsISG_E10value_typeEPNSM_ISH_E10value_typeEPSI_NS1_7vsmem_tEENKUlT_SG_SH_SI_E_clIS7_S7_SB_PlEESF_SV_SG_SH_SI_EUlSV_E_NS1_11comp_targetILNS1_3genE9ELNS1_11target_archE1100ELNS1_3gpuE3ELNS1_3repE0EEENS1_48merge_mergepath_partition_config_static_selectorELNS0_4arch9wavefront6targetE1EEEvSH_
		.amdhsa_group_segment_fixed_size 0
		.amdhsa_private_segment_fixed_size 0
		.amdhsa_kernarg_size 40
		.amdhsa_user_sgpr_count 6
		.amdhsa_user_sgpr_private_segment_buffer 1
		.amdhsa_user_sgpr_dispatch_ptr 0
		.amdhsa_user_sgpr_queue_ptr 0
		.amdhsa_user_sgpr_kernarg_segment_ptr 1
		.amdhsa_user_sgpr_dispatch_id 0
		.amdhsa_user_sgpr_flat_scratch_init 0
		.amdhsa_user_sgpr_private_segment_size 0
		.amdhsa_uses_dynamic_stack 0
		.amdhsa_system_sgpr_private_segment_wavefront_offset 0
		.amdhsa_system_sgpr_workgroup_id_x 1
		.amdhsa_system_sgpr_workgroup_id_y 0
		.amdhsa_system_sgpr_workgroup_id_z 0
		.amdhsa_system_sgpr_workgroup_info 0
		.amdhsa_system_vgpr_workitem_id 0
		.amdhsa_next_free_vgpr 1
		.amdhsa_next_free_sgpr 0
		.amdhsa_reserve_vcc 0
		.amdhsa_reserve_flat_scratch 0
		.amdhsa_float_round_mode_32 0
		.amdhsa_float_round_mode_16_64 0
		.amdhsa_float_denorm_mode_32 3
		.amdhsa_float_denorm_mode_16_64 3
		.amdhsa_dx10_clamp 1
		.amdhsa_ieee_mode 1
		.amdhsa_fp16_overflow 0
		.amdhsa_exception_fp_ieee_invalid_op 0
		.amdhsa_exception_fp_denorm_src 0
		.amdhsa_exception_fp_ieee_div_zero 0
		.amdhsa_exception_fp_ieee_overflow 0
		.amdhsa_exception_fp_ieee_underflow 0
		.amdhsa_exception_fp_ieee_inexact 0
		.amdhsa_exception_int_div_zero 0
	.end_amdhsa_kernel
	.section	.text._ZN7rocprim17ROCPRIM_400000_NS6detail17trampoline_kernelINS0_14default_configENS1_38merge_sort_block_merge_config_selectorIslEEZZNS1_27merge_sort_block_merge_implIS3_PsN6thrust23THRUST_200600_302600_NS10device_ptrIlEEjNS1_19radix_merge_compareILb0ELb1EsNS0_19identity_decomposerEEEEE10hipError_tT0_T1_T2_jT3_P12ihipStream_tbPNSt15iterator_traitsISG_E10value_typeEPNSM_ISH_E10value_typeEPSI_NS1_7vsmem_tEENKUlT_SG_SH_SI_E_clIS7_S7_SB_PlEESF_SV_SG_SH_SI_EUlSV_E_NS1_11comp_targetILNS1_3genE9ELNS1_11target_archE1100ELNS1_3gpuE3ELNS1_3repE0EEENS1_48merge_mergepath_partition_config_static_selectorELNS0_4arch9wavefront6targetE1EEEvSH_,"axG",@progbits,_ZN7rocprim17ROCPRIM_400000_NS6detail17trampoline_kernelINS0_14default_configENS1_38merge_sort_block_merge_config_selectorIslEEZZNS1_27merge_sort_block_merge_implIS3_PsN6thrust23THRUST_200600_302600_NS10device_ptrIlEEjNS1_19radix_merge_compareILb0ELb1EsNS0_19identity_decomposerEEEEE10hipError_tT0_T1_T2_jT3_P12ihipStream_tbPNSt15iterator_traitsISG_E10value_typeEPNSM_ISH_E10value_typeEPSI_NS1_7vsmem_tEENKUlT_SG_SH_SI_E_clIS7_S7_SB_PlEESF_SV_SG_SH_SI_EUlSV_E_NS1_11comp_targetILNS1_3genE9ELNS1_11target_archE1100ELNS1_3gpuE3ELNS1_3repE0EEENS1_48merge_mergepath_partition_config_static_selectorELNS0_4arch9wavefront6targetE1EEEvSH_,comdat
.Lfunc_end1362:
	.size	_ZN7rocprim17ROCPRIM_400000_NS6detail17trampoline_kernelINS0_14default_configENS1_38merge_sort_block_merge_config_selectorIslEEZZNS1_27merge_sort_block_merge_implIS3_PsN6thrust23THRUST_200600_302600_NS10device_ptrIlEEjNS1_19radix_merge_compareILb0ELb1EsNS0_19identity_decomposerEEEEE10hipError_tT0_T1_T2_jT3_P12ihipStream_tbPNSt15iterator_traitsISG_E10value_typeEPNSM_ISH_E10value_typeEPSI_NS1_7vsmem_tEENKUlT_SG_SH_SI_E_clIS7_S7_SB_PlEESF_SV_SG_SH_SI_EUlSV_E_NS1_11comp_targetILNS1_3genE9ELNS1_11target_archE1100ELNS1_3gpuE3ELNS1_3repE0EEENS1_48merge_mergepath_partition_config_static_selectorELNS0_4arch9wavefront6targetE1EEEvSH_, .Lfunc_end1362-_ZN7rocprim17ROCPRIM_400000_NS6detail17trampoline_kernelINS0_14default_configENS1_38merge_sort_block_merge_config_selectorIslEEZZNS1_27merge_sort_block_merge_implIS3_PsN6thrust23THRUST_200600_302600_NS10device_ptrIlEEjNS1_19radix_merge_compareILb0ELb1EsNS0_19identity_decomposerEEEEE10hipError_tT0_T1_T2_jT3_P12ihipStream_tbPNSt15iterator_traitsISG_E10value_typeEPNSM_ISH_E10value_typeEPSI_NS1_7vsmem_tEENKUlT_SG_SH_SI_E_clIS7_S7_SB_PlEESF_SV_SG_SH_SI_EUlSV_E_NS1_11comp_targetILNS1_3genE9ELNS1_11target_archE1100ELNS1_3gpuE3ELNS1_3repE0EEENS1_48merge_mergepath_partition_config_static_selectorELNS0_4arch9wavefront6targetE1EEEvSH_
                                        ; -- End function
	.set _ZN7rocprim17ROCPRIM_400000_NS6detail17trampoline_kernelINS0_14default_configENS1_38merge_sort_block_merge_config_selectorIslEEZZNS1_27merge_sort_block_merge_implIS3_PsN6thrust23THRUST_200600_302600_NS10device_ptrIlEEjNS1_19radix_merge_compareILb0ELb1EsNS0_19identity_decomposerEEEEE10hipError_tT0_T1_T2_jT3_P12ihipStream_tbPNSt15iterator_traitsISG_E10value_typeEPNSM_ISH_E10value_typeEPSI_NS1_7vsmem_tEENKUlT_SG_SH_SI_E_clIS7_S7_SB_PlEESF_SV_SG_SH_SI_EUlSV_E_NS1_11comp_targetILNS1_3genE9ELNS1_11target_archE1100ELNS1_3gpuE3ELNS1_3repE0EEENS1_48merge_mergepath_partition_config_static_selectorELNS0_4arch9wavefront6targetE1EEEvSH_.num_vgpr, 0
	.set _ZN7rocprim17ROCPRIM_400000_NS6detail17trampoline_kernelINS0_14default_configENS1_38merge_sort_block_merge_config_selectorIslEEZZNS1_27merge_sort_block_merge_implIS3_PsN6thrust23THRUST_200600_302600_NS10device_ptrIlEEjNS1_19radix_merge_compareILb0ELb1EsNS0_19identity_decomposerEEEEE10hipError_tT0_T1_T2_jT3_P12ihipStream_tbPNSt15iterator_traitsISG_E10value_typeEPNSM_ISH_E10value_typeEPSI_NS1_7vsmem_tEENKUlT_SG_SH_SI_E_clIS7_S7_SB_PlEESF_SV_SG_SH_SI_EUlSV_E_NS1_11comp_targetILNS1_3genE9ELNS1_11target_archE1100ELNS1_3gpuE3ELNS1_3repE0EEENS1_48merge_mergepath_partition_config_static_selectorELNS0_4arch9wavefront6targetE1EEEvSH_.num_agpr, 0
	.set _ZN7rocprim17ROCPRIM_400000_NS6detail17trampoline_kernelINS0_14default_configENS1_38merge_sort_block_merge_config_selectorIslEEZZNS1_27merge_sort_block_merge_implIS3_PsN6thrust23THRUST_200600_302600_NS10device_ptrIlEEjNS1_19radix_merge_compareILb0ELb1EsNS0_19identity_decomposerEEEEE10hipError_tT0_T1_T2_jT3_P12ihipStream_tbPNSt15iterator_traitsISG_E10value_typeEPNSM_ISH_E10value_typeEPSI_NS1_7vsmem_tEENKUlT_SG_SH_SI_E_clIS7_S7_SB_PlEESF_SV_SG_SH_SI_EUlSV_E_NS1_11comp_targetILNS1_3genE9ELNS1_11target_archE1100ELNS1_3gpuE3ELNS1_3repE0EEENS1_48merge_mergepath_partition_config_static_selectorELNS0_4arch9wavefront6targetE1EEEvSH_.numbered_sgpr, 0
	.set _ZN7rocprim17ROCPRIM_400000_NS6detail17trampoline_kernelINS0_14default_configENS1_38merge_sort_block_merge_config_selectorIslEEZZNS1_27merge_sort_block_merge_implIS3_PsN6thrust23THRUST_200600_302600_NS10device_ptrIlEEjNS1_19radix_merge_compareILb0ELb1EsNS0_19identity_decomposerEEEEE10hipError_tT0_T1_T2_jT3_P12ihipStream_tbPNSt15iterator_traitsISG_E10value_typeEPNSM_ISH_E10value_typeEPSI_NS1_7vsmem_tEENKUlT_SG_SH_SI_E_clIS7_S7_SB_PlEESF_SV_SG_SH_SI_EUlSV_E_NS1_11comp_targetILNS1_3genE9ELNS1_11target_archE1100ELNS1_3gpuE3ELNS1_3repE0EEENS1_48merge_mergepath_partition_config_static_selectorELNS0_4arch9wavefront6targetE1EEEvSH_.num_named_barrier, 0
	.set _ZN7rocprim17ROCPRIM_400000_NS6detail17trampoline_kernelINS0_14default_configENS1_38merge_sort_block_merge_config_selectorIslEEZZNS1_27merge_sort_block_merge_implIS3_PsN6thrust23THRUST_200600_302600_NS10device_ptrIlEEjNS1_19radix_merge_compareILb0ELb1EsNS0_19identity_decomposerEEEEE10hipError_tT0_T1_T2_jT3_P12ihipStream_tbPNSt15iterator_traitsISG_E10value_typeEPNSM_ISH_E10value_typeEPSI_NS1_7vsmem_tEENKUlT_SG_SH_SI_E_clIS7_S7_SB_PlEESF_SV_SG_SH_SI_EUlSV_E_NS1_11comp_targetILNS1_3genE9ELNS1_11target_archE1100ELNS1_3gpuE3ELNS1_3repE0EEENS1_48merge_mergepath_partition_config_static_selectorELNS0_4arch9wavefront6targetE1EEEvSH_.private_seg_size, 0
	.set _ZN7rocprim17ROCPRIM_400000_NS6detail17trampoline_kernelINS0_14default_configENS1_38merge_sort_block_merge_config_selectorIslEEZZNS1_27merge_sort_block_merge_implIS3_PsN6thrust23THRUST_200600_302600_NS10device_ptrIlEEjNS1_19radix_merge_compareILb0ELb1EsNS0_19identity_decomposerEEEEE10hipError_tT0_T1_T2_jT3_P12ihipStream_tbPNSt15iterator_traitsISG_E10value_typeEPNSM_ISH_E10value_typeEPSI_NS1_7vsmem_tEENKUlT_SG_SH_SI_E_clIS7_S7_SB_PlEESF_SV_SG_SH_SI_EUlSV_E_NS1_11comp_targetILNS1_3genE9ELNS1_11target_archE1100ELNS1_3gpuE3ELNS1_3repE0EEENS1_48merge_mergepath_partition_config_static_selectorELNS0_4arch9wavefront6targetE1EEEvSH_.uses_vcc, 0
	.set _ZN7rocprim17ROCPRIM_400000_NS6detail17trampoline_kernelINS0_14default_configENS1_38merge_sort_block_merge_config_selectorIslEEZZNS1_27merge_sort_block_merge_implIS3_PsN6thrust23THRUST_200600_302600_NS10device_ptrIlEEjNS1_19radix_merge_compareILb0ELb1EsNS0_19identity_decomposerEEEEE10hipError_tT0_T1_T2_jT3_P12ihipStream_tbPNSt15iterator_traitsISG_E10value_typeEPNSM_ISH_E10value_typeEPSI_NS1_7vsmem_tEENKUlT_SG_SH_SI_E_clIS7_S7_SB_PlEESF_SV_SG_SH_SI_EUlSV_E_NS1_11comp_targetILNS1_3genE9ELNS1_11target_archE1100ELNS1_3gpuE3ELNS1_3repE0EEENS1_48merge_mergepath_partition_config_static_selectorELNS0_4arch9wavefront6targetE1EEEvSH_.uses_flat_scratch, 0
	.set _ZN7rocprim17ROCPRIM_400000_NS6detail17trampoline_kernelINS0_14default_configENS1_38merge_sort_block_merge_config_selectorIslEEZZNS1_27merge_sort_block_merge_implIS3_PsN6thrust23THRUST_200600_302600_NS10device_ptrIlEEjNS1_19radix_merge_compareILb0ELb1EsNS0_19identity_decomposerEEEEE10hipError_tT0_T1_T2_jT3_P12ihipStream_tbPNSt15iterator_traitsISG_E10value_typeEPNSM_ISH_E10value_typeEPSI_NS1_7vsmem_tEENKUlT_SG_SH_SI_E_clIS7_S7_SB_PlEESF_SV_SG_SH_SI_EUlSV_E_NS1_11comp_targetILNS1_3genE9ELNS1_11target_archE1100ELNS1_3gpuE3ELNS1_3repE0EEENS1_48merge_mergepath_partition_config_static_selectorELNS0_4arch9wavefront6targetE1EEEvSH_.has_dyn_sized_stack, 0
	.set _ZN7rocprim17ROCPRIM_400000_NS6detail17trampoline_kernelINS0_14default_configENS1_38merge_sort_block_merge_config_selectorIslEEZZNS1_27merge_sort_block_merge_implIS3_PsN6thrust23THRUST_200600_302600_NS10device_ptrIlEEjNS1_19radix_merge_compareILb0ELb1EsNS0_19identity_decomposerEEEEE10hipError_tT0_T1_T2_jT3_P12ihipStream_tbPNSt15iterator_traitsISG_E10value_typeEPNSM_ISH_E10value_typeEPSI_NS1_7vsmem_tEENKUlT_SG_SH_SI_E_clIS7_S7_SB_PlEESF_SV_SG_SH_SI_EUlSV_E_NS1_11comp_targetILNS1_3genE9ELNS1_11target_archE1100ELNS1_3gpuE3ELNS1_3repE0EEENS1_48merge_mergepath_partition_config_static_selectorELNS0_4arch9wavefront6targetE1EEEvSH_.has_recursion, 0
	.set _ZN7rocprim17ROCPRIM_400000_NS6detail17trampoline_kernelINS0_14default_configENS1_38merge_sort_block_merge_config_selectorIslEEZZNS1_27merge_sort_block_merge_implIS3_PsN6thrust23THRUST_200600_302600_NS10device_ptrIlEEjNS1_19radix_merge_compareILb0ELb1EsNS0_19identity_decomposerEEEEE10hipError_tT0_T1_T2_jT3_P12ihipStream_tbPNSt15iterator_traitsISG_E10value_typeEPNSM_ISH_E10value_typeEPSI_NS1_7vsmem_tEENKUlT_SG_SH_SI_E_clIS7_S7_SB_PlEESF_SV_SG_SH_SI_EUlSV_E_NS1_11comp_targetILNS1_3genE9ELNS1_11target_archE1100ELNS1_3gpuE3ELNS1_3repE0EEENS1_48merge_mergepath_partition_config_static_selectorELNS0_4arch9wavefront6targetE1EEEvSH_.has_indirect_call, 0
	.section	.AMDGPU.csdata,"",@progbits
; Kernel info:
; codeLenInByte = 0
; TotalNumSgprs: 4
; NumVgprs: 0
; ScratchSize: 0
; MemoryBound: 0
; FloatMode: 240
; IeeeMode: 1
; LDSByteSize: 0 bytes/workgroup (compile time only)
; SGPRBlocks: 0
; VGPRBlocks: 0
; NumSGPRsForWavesPerEU: 4
; NumVGPRsForWavesPerEU: 1
; Occupancy: 10
; WaveLimiterHint : 0
; COMPUTE_PGM_RSRC2:SCRATCH_EN: 0
; COMPUTE_PGM_RSRC2:USER_SGPR: 6
; COMPUTE_PGM_RSRC2:TRAP_HANDLER: 0
; COMPUTE_PGM_RSRC2:TGID_X_EN: 1
; COMPUTE_PGM_RSRC2:TGID_Y_EN: 0
; COMPUTE_PGM_RSRC2:TGID_Z_EN: 0
; COMPUTE_PGM_RSRC2:TIDIG_COMP_CNT: 0
	.section	.text._ZN7rocprim17ROCPRIM_400000_NS6detail17trampoline_kernelINS0_14default_configENS1_38merge_sort_block_merge_config_selectorIslEEZZNS1_27merge_sort_block_merge_implIS3_PsN6thrust23THRUST_200600_302600_NS10device_ptrIlEEjNS1_19radix_merge_compareILb0ELb1EsNS0_19identity_decomposerEEEEE10hipError_tT0_T1_T2_jT3_P12ihipStream_tbPNSt15iterator_traitsISG_E10value_typeEPNSM_ISH_E10value_typeEPSI_NS1_7vsmem_tEENKUlT_SG_SH_SI_E_clIS7_S7_SB_PlEESF_SV_SG_SH_SI_EUlSV_E_NS1_11comp_targetILNS1_3genE8ELNS1_11target_archE1030ELNS1_3gpuE2ELNS1_3repE0EEENS1_48merge_mergepath_partition_config_static_selectorELNS0_4arch9wavefront6targetE1EEEvSH_,"axG",@progbits,_ZN7rocprim17ROCPRIM_400000_NS6detail17trampoline_kernelINS0_14default_configENS1_38merge_sort_block_merge_config_selectorIslEEZZNS1_27merge_sort_block_merge_implIS3_PsN6thrust23THRUST_200600_302600_NS10device_ptrIlEEjNS1_19radix_merge_compareILb0ELb1EsNS0_19identity_decomposerEEEEE10hipError_tT0_T1_T2_jT3_P12ihipStream_tbPNSt15iterator_traitsISG_E10value_typeEPNSM_ISH_E10value_typeEPSI_NS1_7vsmem_tEENKUlT_SG_SH_SI_E_clIS7_S7_SB_PlEESF_SV_SG_SH_SI_EUlSV_E_NS1_11comp_targetILNS1_3genE8ELNS1_11target_archE1030ELNS1_3gpuE2ELNS1_3repE0EEENS1_48merge_mergepath_partition_config_static_selectorELNS0_4arch9wavefront6targetE1EEEvSH_,comdat
	.protected	_ZN7rocprim17ROCPRIM_400000_NS6detail17trampoline_kernelINS0_14default_configENS1_38merge_sort_block_merge_config_selectorIslEEZZNS1_27merge_sort_block_merge_implIS3_PsN6thrust23THRUST_200600_302600_NS10device_ptrIlEEjNS1_19radix_merge_compareILb0ELb1EsNS0_19identity_decomposerEEEEE10hipError_tT0_T1_T2_jT3_P12ihipStream_tbPNSt15iterator_traitsISG_E10value_typeEPNSM_ISH_E10value_typeEPSI_NS1_7vsmem_tEENKUlT_SG_SH_SI_E_clIS7_S7_SB_PlEESF_SV_SG_SH_SI_EUlSV_E_NS1_11comp_targetILNS1_3genE8ELNS1_11target_archE1030ELNS1_3gpuE2ELNS1_3repE0EEENS1_48merge_mergepath_partition_config_static_selectorELNS0_4arch9wavefront6targetE1EEEvSH_ ; -- Begin function _ZN7rocprim17ROCPRIM_400000_NS6detail17trampoline_kernelINS0_14default_configENS1_38merge_sort_block_merge_config_selectorIslEEZZNS1_27merge_sort_block_merge_implIS3_PsN6thrust23THRUST_200600_302600_NS10device_ptrIlEEjNS1_19radix_merge_compareILb0ELb1EsNS0_19identity_decomposerEEEEE10hipError_tT0_T1_T2_jT3_P12ihipStream_tbPNSt15iterator_traitsISG_E10value_typeEPNSM_ISH_E10value_typeEPSI_NS1_7vsmem_tEENKUlT_SG_SH_SI_E_clIS7_S7_SB_PlEESF_SV_SG_SH_SI_EUlSV_E_NS1_11comp_targetILNS1_3genE8ELNS1_11target_archE1030ELNS1_3gpuE2ELNS1_3repE0EEENS1_48merge_mergepath_partition_config_static_selectorELNS0_4arch9wavefront6targetE1EEEvSH_
	.globl	_ZN7rocprim17ROCPRIM_400000_NS6detail17trampoline_kernelINS0_14default_configENS1_38merge_sort_block_merge_config_selectorIslEEZZNS1_27merge_sort_block_merge_implIS3_PsN6thrust23THRUST_200600_302600_NS10device_ptrIlEEjNS1_19radix_merge_compareILb0ELb1EsNS0_19identity_decomposerEEEEE10hipError_tT0_T1_T2_jT3_P12ihipStream_tbPNSt15iterator_traitsISG_E10value_typeEPNSM_ISH_E10value_typeEPSI_NS1_7vsmem_tEENKUlT_SG_SH_SI_E_clIS7_S7_SB_PlEESF_SV_SG_SH_SI_EUlSV_E_NS1_11comp_targetILNS1_3genE8ELNS1_11target_archE1030ELNS1_3gpuE2ELNS1_3repE0EEENS1_48merge_mergepath_partition_config_static_selectorELNS0_4arch9wavefront6targetE1EEEvSH_
	.p2align	8
	.type	_ZN7rocprim17ROCPRIM_400000_NS6detail17trampoline_kernelINS0_14default_configENS1_38merge_sort_block_merge_config_selectorIslEEZZNS1_27merge_sort_block_merge_implIS3_PsN6thrust23THRUST_200600_302600_NS10device_ptrIlEEjNS1_19radix_merge_compareILb0ELb1EsNS0_19identity_decomposerEEEEE10hipError_tT0_T1_T2_jT3_P12ihipStream_tbPNSt15iterator_traitsISG_E10value_typeEPNSM_ISH_E10value_typeEPSI_NS1_7vsmem_tEENKUlT_SG_SH_SI_E_clIS7_S7_SB_PlEESF_SV_SG_SH_SI_EUlSV_E_NS1_11comp_targetILNS1_3genE8ELNS1_11target_archE1030ELNS1_3gpuE2ELNS1_3repE0EEENS1_48merge_mergepath_partition_config_static_selectorELNS0_4arch9wavefront6targetE1EEEvSH_,@function
_ZN7rocprim17ROCPRIM_400000_NS6detail17trampoline_kernelINS0_14default_configENS1_38merge_sort_block_merge_config_selectorIslEEZZNS1_27merge_sort_block_merge_implIS3_PsN6thrust23THRUST_200600_302600_NS10device_ptrIlEEjNS1_19radix_merge_compareILb0ELb1EsNS0_19identity_decomposerEEEEE10hipError_tT0_T1_T2_jT3_P12ihipStream_tbPNSt15iterator_traitsISG_E10value_typeEPNSM_ISH_E10value_typeEPSI_NS1_7vsmem_tEENKUlT_SG_SH_SI_E_clIS7_S7_SB_PlEESF_SV_SG_SH_SI_EUlSV_E_NS1_11comp_targetILNS1_3genE8ELNS1_11target_archE1030ELNS1_3gpuE2ELNS1_3repE0EEENS1_48merge_mergepath_partition_config_static_selectorELNS0_4arch9wavefront6targetE1EEEvSH_: ; @_ZN7rocprim17ROCPRIM_400000_NS6detail17trampoline_kernelINS0_14default_configENS1_38merge_sort_block_merge_config_selectorIslEEZZNS1_27merge_sort_block_merge_implIS3_PsN6thrust23THRUST_200600_302600_NS10device_ptrIlEEjNS1_19radix_merge_compareILb0ELb1EsNS0_19identity_decomposerEEEEE10hipError_tT0_T1_T2_jT3_P12ihipStream_tbPNSt15iterator_traitsISG_E10value_typeEPNSM_ISH_E10value_typeEPSI_NS1_7vsmem_tEENKUlT_SG_SH_SI_E_clIS7_S7_SB_PlEESF_SV_SG_SH_SI_EUlSV_E_NS1_11comp_targetILNS1_3genE8ELNS1_11target_archE1030ELNS1_3gpuE2ELNS1_3repE0EEENS1_48merge_mergepath_partition_config_static_selectorELNS0_4arch9wavefront6targetE1EEEvSH_
; %bb.0:
	.section	.rodata,"a",@progbits
	.p2align	6, 0x0
	.amdhsa_kernel _ZN7rocprim17ROCPRIM_400000_NS6detail17trampoline_kernelINS0_14default_configENS1_38merge_sort_block_merge_config_selectorIslEEZZNS1_27merge_sort_block_merge_implIS3_PsN6thrust23THRUST_200600_302600_NS10device_ptrIlEEjNS1_19radix_merge_compareILb0ELb1EsNS0_19identity_decomposerEEEEE10hipError_tT0_T1_T2_jT3_P12ihipStream_tbPNSt15iterator_traitsISG_E10value_typeEPNSM_ISH_E10value_typeEPSI_NS1_7vsmem_tEENKUlT_SG_SH_SI_E_clIS7_S7_SB_PlEESF_SV_SG_SH_SI_EUlSV_E_NS1_11comp_targetILNS1_3genE8ELNS1_11target_archE1030ELNS1_3gpuE2ELNS1_3repE0EEENS1_48merge_mergepath_partition_config_static_selectorELNS0_4arch9wavefront6targetE1EEEvSH_
		.amdhsa_group_segment_fixed_size 0
		.amdhsa_private_segment_fixed_size 0
		.amdhsa_kernarg_size 40
		.amdhsa_user_sgpr_count 6
		.amdhsa_user_sgpr_private_segment_buffer 1
		.amdhsa_user_sgpr_dispatch_ptr 0
		.amdhsa_user_sgpr_queue_ptr 0
		.amdhsa_user_sgpr_kernarg_segment_ptr 1
		.amdhsa_user_sgpr_dispatch_id 0
		.amdhsa_user_sgpr_flat_scratch_init 0
		.amdhsa_user_sgpr_private_segment_size 0
		.amdhsa_uses_dynamic_stack 0
		.amdhsa_system_sgpr_private_segment_wavefront_offset 0
		.amdhsa_system_sgpr_workgroup_id_x 1
		.amdhsa_system_sgpr_workgroup_id_y 0
		.amdhsa_system_sgpr_workgroup_id_z 0
		.amdhsa_system_sgpr_workgroup_info 0
		.amdhsa_system_vgpr_workitem_id 0
		.amdhsa_next_free_vgpr 1
		.amdhsa_next_free_sgpr 0
		.amdhsa_reserve_vcc 0
		.amdhsa_reserve_flat_scratch 0
		.amdhsa_float_round_mode_32 0
		.amdhsa_float_round_mode_16_64 0
		.amdhsa_float_denorm_mode_32 3
		.amdhsa_float_denorm_mode_16_64 3
		.amdhsa_dx10_clamp 1
		.amdhsa_ieee_mode 1
		.amdhsa_fp16_overflow 0
		.amdhsa_exception_fp_ieee_invalid_op 0
		.amdhsa_exception_fp_denorm_src 0
		.amdhsa_exception_fp_ieee_div_zero 0
		.amdhsa_exception_fp_ieee_overflow 0
		.amdhsa_exception_fp_ieee_underflow 0
		.amdhsa_exception_fp_ieee_inexact 0
		.amdhsa_exception_int_div_zero 0
	.end_amdhsa_kernel
	.section	.text._ZN7rocprim17ROCPRIM_400000_NS6detail17trampoline_kernelINS0_14default_configENS1_38merge_sort_block_merge_config_selectorIslEEZZNS1_27merge_sort_block_merge_implIS3_PsN6thrust23THRUST_200600_302600_NS10device_ptrIlEEjNS1_19radix_merge_compareILb0ELb1EsNS0_19identity_decomposerEEEEE10hipError_tT0_T1_T2_jT3_P12ihipStream_tbPNSt15iterator_traitsISG_E10value_typeEPNSM_ISH_E10value_typeEPSI_NS1_7vsmem_tEENKUlT_SG_SH_SI_E_clIS7_S7_SB_PlEESF_SV_SG_SH_SI_EUlSV_E_NS1_11comp_targetILNS1_3genE8ELNS1_11target_archE1030ELNS1_3gpuE2ELNS1_3repE0EEENS1_48merge_mergepath_partition_config_static_selectorELNS0_4arch9wavefront6targetE1EEEvSH_,"axG",@progbits,_ZN7rocprim17ROCPRIM_400000_NS6detail17trampoline_kernelINS0_14default_configENS1_38merge_sort_block_merge_config_selectorIslEEZZNS1_27merge_sort_block_merge_implIS3_PsN6thrust23THRUST_200600_302600_NS10device_ptrIlEEjNS1_19radix_merge_compareILb0ELb1EsNS0_19identity_decomposerEEEEE10hipError_tT0_T1_T2_jT3_P12ihipStream_tbPNSt15iterator_traitsISG_E10value_typeEPNSM_ISH_E10value_typeEPSI_NS1_7vsmem_tEENKUlT_SG_SH_SI_E_clIS7_S7_SB_PlEESF_SV_SG_SH_SI_EUlSV_E_NS1_11comp_targetILNS1_3genE8ELNS1_11target_archE1030ELNS1_3gpuE2ELNS1_3repE0EEENS1_48merge_mergepath_partition_config_static_selectorELNS0_4arch9wavefront6targetE1EEEvSH_,comdat
.Lfunc_end1363:
	.size	_ZN7rocprim17ROCPRIM_400000_NS6detail17trampoline_kernelINS0_14default_configENS1_38merge_sort_block_merge_config_selectorIslEEZZNS1_27merge_sort_block_merge_implIS3_PsN6thrust23THRUST_200600_302600_NS10device_ptrIlEEjNS1_19radix_merge_compareILb0ELb1EsNS0_19identity_decomposerEEEEE10hipError_tT0_T1_T2_jT3_P12ihipStream_tbPNSt15iterator_traitsISG_E10value_typeEPNSM_ISH_E10value_typeEPSI_NS1_7vsmem_tEENKUlT_SG_SH_SI_E_clIS7_S7_SB_PlEESF_SV_SG_SH_SI_EUlSV_E_NS1_11comp_targetILNS1_3genE8ELNS1_11target_archE1030ELNS1_3gpuE2ELNS1_3repE0EEENS1_48merge_mergepath_partition_config_static_selectorELNS0_4arch9wavefront6targetE1EEEvSH_, .Lfunc_end1363-_ZN7rocprim17ROCPRIM_400000_NS6detail17trampoline_kernelINS0_14default_configENS1_38merge_sort_block_merge_config_selectorIslEEZZNS1_27merge_sort_block_merge_implIS3_PsN6thrust23THRUST_200600_302600_NS10device_ptrIlEEjNS1_19radix_merge_compareILb0ELb1EsNS0_19identity_decomposerEEEEE10hipError_tT0_T1_T2_jT3_P12ihipStream_tbPNSt15iterator_traitsISG_E10value_typeEPNSM_ISH_E10value_typeEPSI_NS1_7vsmem_tEENKUlT_SG_SH_SI_E_clIS7_S7_SB_PlEESF_SV_SG_SH_SI_EUlSV_E_NS1_11comp_targetILNS1_3genE8ELNS1_11target_archE1030ELNS1_3gpuE2ELNS1_3repE0EEENS1_48merge_mergepath_partition_config_static_selectorELNS0_4arch9wavefront6targetE1EEEvSH_
                                        ; -- End function
	.set _ZN7rocprim17ROCPRIM_400000_NS6detail17trampoline_kernelINS0_14default_configENS1_38merge_sort_block_merge_config_selectorIslEEZZNS1_27merge_sort_block_merge_implIS3_PsN6thrust23THRUST_200600_302600_NS10device_ptrIlEEjNS1_19radix_merge_compareILb0ELb1EsNS0_19identity_decomposerEEEEE10hipError_tT0_T1_T2_jT3_P12ihipStream_tbPNSt15iterator_traitsISG_E10value_typeEPNSM_ISH_E10value_typeEPSI_NS1_7vsmem_tEENKUlT_SG_SH_SI_E_clIS7_S7_SB_PlEESF_SV_SG_SH_SI_EUlSV_E_NS1_11comp_targetILNS1_3genE8ELNS1_11target_archE1030ELNS1_3gpuE2ELNS1_3repE0EEENS1_48merge_mergepath_partition_config_static_selectorELNS0_4arch9wavefront6targetE1EEEvSH_.num_vgpr, 0
	.set _ZN7rocprim17ROCPRIM_400000_NS6detail17trampoline_kernelINS0_14default_configENS1_38merge_sort_block_merge_config_selectorIslEEZZNS1_27merge_sort_block_merge_implIS3_PsN6thrust23THRUST_200600_302600_NS10device_ptrIlEEjNS1_19radix_merge_compareILb0ELb1EsNS0_19identity_decomposerEEEEE10hipError_tT0_T1_T2_jT3_P12ihipStream_tbPNSt15iterator_traitsISG_E10value_typeEPNSM_ISH_E10value_typeEPSI_NS1_7vsmem_tEENKUlT_SG_SH_SI_E_clIS7_S7_SB_PlEESF_SV_SG_SH_SI_EUlSV_E_NS1_11comp_targetILNS1_3genE8ELNS1_11target_archE1030ELNS1_3gpuE2ELNS1_3repE0EEENS1_48merge_mergepath_partition_config_static_selectorELNS0_4arch9wavefront6targetE1EEEvSH_.num_agpr, 0
	.set _ZN7rocprim17ROCPRIM_400000_NS6detail17trampoline_kernelINS0_14default_configENS1_38merge_sort_block_merge_config_selectorIslEEZZNS1_27merge_sort_block_merge_implIS3_PsN6thrust23THRUST_200600_302600_NS10device_ptrIlEEjNS1_19radix_merge_compareILb0ELb1EsNS0_19identity_decomposerEEEEE10hipError_tT0_T1_T2_jT3_P12ihipStream_tbPNSt15iterator_traitsISG_E10value_typeEPNSM_ISH_E10value_typeEPSI_NS1_7vsmem_tEENKUlT_SG_SH_SI_E_clIS7_S7_SB_PlEESF_SV_SG_SH_SI_EUlSV_E_NS1_11comp_targetILNS1_3genE8ELNS1_11target_archE1030ELNS1_3gpuE2ELNS1_3repE0EEENS1_48merge_mergepath_partition_config_static_selectorELNS0_4arch9wavefront6targetE1EEEvSH_.numbered_sgpr, 0
	.set _ZN7rocprim17ROCPRIM_400000_NS6detail17trampoline_kernelINS0_14default_configENS1_38merge_sort_block_merge_config_selectorIslEEZZNS1_27merge_sort_block_merge_implIS3_PsN6thrust23THRUST_200600_302600_NS10device_ptrIlEEjNS1_19radix_merge_compareILb0ELb1EsNS0_19identity_decomposerEEEEE10hipError_tT0_T1_T2_jT3_P12ihipStream_tbPNSt15iterator_traitsISG_E10value_typeEPNSM_ISH_E10value_typeEPSI_NS1_7vsmem_tEENKUlT_SG_SH_SI_E_clIS7_S7_SB_PlEESF_SV_SG_SH_SI_EUlSV_E_NS1_11comp_targetILNS1_3genE8ELNS1_11target_archE1030ELNS1_3gpuE2ELNS1_3repE0EEENS1_48merge_mergepath_partition_config_static_selectorELNS0_4arch9wavefront6targetE1EEEvSH_.num_named_barrier, 0
	.set _ZN7rocprim17ROCPRIM_400000_NS6detail17trampoline_kernelINS0_14default_configENS1_38merge_sort_block_merge_config_selectorIslEEZZNS1_27merge_sort_block_merge_implIS3_PsN6thrust23THRUST_200600_302600_NS10device_ptrIlEEjNS1_19radix_merge_compareILb0ELb1EsNS0_19identity_decomposerEEEEE10hipError_tT0_T1_T2_jT3_P12ihipStream_tbPNSt15iterator_traitsISG_E10value_typeEPNSM_ISH_E10value_typeEPSI_NS1_7vsmem_tEENKUlT_SG_SH_SI_E_clIS7_S7_SB_PlEESF_SV_SG_SH_SI_EUlSV_E_NS1_11comp_targetILNS1_3genE8ELNS1_11target_archE1030ELNS1_3gpuE2ELNS1_3repE0EEENS1_48merge_mergepath_partition_config_static_selectorELNS0_4arch9wavefront6targetE1EEEvSH_.private_seg_size, 0
	.set _ZN7rocprim17ROCPRIM_400000_NS6detail17trampoline_kernelINS0_14default_configENS1_38merge_sort_block_merge_config_selectorIslEEZZNS1_27merge_sort_block_merge_implIS3_PsN6thrust23THRUST_200600_302600_NS10device_ptrIlEEjNS1_19radix_merge_compareILb0ELb1EsNS0_19identity_decomposerEEEEE10hipError_tT0_T1_T2_jT3_P12ihipStream_tbPNSt15iterator_traitsISG_E10value_typeEPNSM_ISH_E10value_typeEPSI_NS1_7vsmem_tEENKUlT_SG_SH_SI_E_clIS7_S7_SB_PlEESF_SV_SG_SH_SI_EUlSV_E_NS1_11comp_targetILNS1_3genE8ELNS1_11target_archE1030ELNS1_3gpuE2ELNS1_3repE0EEENS1_48merge_mergepath_partition_config_static_selectorELNS0_4arch9wavefront6targetE1EEEvSH_.uses_vcc, 0
	.set _ZN7rocprim17ROCPRIM_400000_NS6detail17trampoline_kernelINS0_14default_configENS1_38merge_sort_block_merge_config_selectorIslEEZZNS1_27merge_sort_block_merge_implIS3_PsN6thrust23THRUST_200600_302600_NS10device_ptrIlEEjNS1_19radix_merge_compareILb0ELb1EsNS0_19identity_decomposerEEEEE10hipError_tT0_T1_T2_jT3_P12ihipStream_tbPNSt15iterator_traitsISG_E10value_typeEPNSM_ISH_E10value_typeEPSI_NS1_7vsmem_tEENKUlT_SG_SH_SI_E_clIS7_S7_SB_PlEESF_SV_SG_SH_SI_EUlSV_E_NS1_11comp_targetILNS1_3genE8ELNS1_11target_archE1030ELNS1_3gpuE2ELNS1_3repE0EEENS1_48merge_mergepath_partition_config_static_selectorELNS0_4arch9wavefront6targetE1EEEvSH_.uses_flat_scratch, 0
	.set _ZN7rocprim17ROCPRIM_400000_NS6detail17trampoline_kernelINS0_14default_configENS1_38merge_sort_block_merge_config_selectorIslEEZZNS1_27merge_sort_block_merge_implIS3_PsN6thrust23THRUST_200600_302600_NS10device_ptrIlEEjNS1_19radix_merge_compareILb0ELb1EsNS0_19identity_decomposerEEEEE10hipError_tT0_T1_T2_jT3_P12ihipStream_tbPNSt15iterator_traitsISG_E10value_typeEPNSM_ISH_E10value_typeEPSI_NS1_7vsmem_tEENKUlT_SG_SH_SI_E_clIS7_S7_SB_PlEESF_SV_SG_SH_SI_EUlSV_E_NS1_11comp_targetILNS1_3genE8ELNS1_11target_archE1030ELNS1_3gpuE2ELNS1_3repE0EEENS1_48merge_mergepath_partition_config_static_selectorELNS0_4arch9wavefront6targetE1EEEvSH_.has_dyn_sized_stack, 0
	.set _ZN7rocprim17ROCPRIM_400000_NS6detail17trampoline_kernelINS0_14default_configENS1_38merge_sort_block_merge_config_selectorIslEEZZNS1_27merge_sort_block_merge_implIS3_PsN6thrust23THRUST_200600_302600_NS10device_ptrIlEEjNS1_19radix_merge_compareILb0ELb1EsNS0_19identity_decomposerEEEEE10hipError_tT0_T1_T2_jT3_P12ihipStream_tbPNSt15iterator_traitsISG_E10value_typeEPNSM_ISH_E10value_typeEPSI_NS1_7vsmem_tEENKUlT_SG_SH_SI_E_clIS7_S7_SB_PlEESF_SV_SG_SH_SI_EUlSV_E_NS1_11comp_targetILNS1_3genE8ELNS1_11target_archE1030ELNS1_3gpuE2ELNS1_3repE0EEENS1_48merge_mergepath_partition_config_static_selectorELNS0_4arch9wavefront6targetE1EEEvSH_.has_recursion, 0
	.set _ZN7rocprim17ROCPRIM_400000_NS6detail17trampoline_kernelINS0_14default_configENS1_38merge_sort_block_merge_config_selectorIslEEZZNS1_27merge_sort_block_merge_implIS3_PsN6thrust23THRUST_200600_302600_NS10device_ptrIlEEjNS1_19radix_merge_compareILb0ELb1EsNS0_19identity_decomposerEEEEE10hipError_tT0_T1_T2_jT3_P12ihipStream_tbPNSt15iterator_traitsISG_E10value_typeEPNSM_ISH_E10value_typeEPSI_NS1_7vsmem_tEENKUlT_SG_SH_SI_E_clIS7_S7_SB_PlEESF_SV_SG_SH_SI_EUlSV_E_NS1_11comp_targetILNS1_3genE8ELNS1_11target_archE1030ELNS1_3gpuE2ELNS1_3repE0EEENS1_48merge_mergepath_partition_config_static_selectorELNS0_4arch9wavefront6targetE1EEEvSH_.has_indirect_call, 0
	.section	.AMDGPU.csdata,"",@progbits
; Kernel info:
; codeLenInByte = 0
; TotalNumSgprs: 4
; NumVgprs: 0
; ScratchSize: 0
; MemoryBound: 0
; FloatMode: 240
; IeeeMode: 1
; LDSByteSize: 0 bytes/workgroup (compile time only)
; SGPRBlocks: 0
; VGPRBlocks: 0
; NumSGPRsForWavesPerEU: 4
; NumVGPRsForWavesPerEU: 1
; Occupancy: 10
; WaveLimiterHint : 0
; COMPUTE_PGM_RSRC2:SCRATCH_EN: 0
; COMPUTE_PGM_RSRC2:USER_SGPR: 6
; COMPUTE_PGM_RSRC2:TRAP_HANDLER: 0
; COMPUTE_PGM_RSRC2:TGID_X_EN: 1
; COMPUTE_PGM_RSRC2:TGID_Y_EN: 0
; COMPUTE_PGM_RSRC2:TGID_Z_EN: 0
; COMPUTE_PGM_RSRC2:TIDIG_COMP_CNT: 0
	.section	.text._ZN7rocprim17ROCPRIM_400000_NS6detail17trampoline_kernelINS0_14default_configENS1_38merge_sort_block_merge_config_selectorIslEEZZNS1_27merge_sort_block_merge_implIS3_PsN6thrust23THRUST_200600_302600_NS10device_ptrIlEEjNS1_19radix_merge_compareILb0ELb1EsNS0_19identity_decomposerEEEEE10hipError_tT0_T1_T2_jT3_P12ihipStream_tbPNSt15iterator_traitsISG_E10value_typeEPNSM_ISH_E10value_typeEPSI_NS1_7vsmem_tEENKUlT_SG_SH_SI_E_clIS7_S7_SB_PlEESF_SV_SG_SH_SI_EUlSV_E0_NS1_11comp_targetILNS1_3genE0ELNS1_11target_archE4294967295ELNS1_3gpuE0ELNS1_3repE0EEENS1_38merge_mergepath_config_static_selectorELNS0_4arch9wavefront6targetE1EEEvSH_,"axG",@progbits,_ZN7rocprim17ROCPRIM_400000_NS6detail17trampoline_kernelINS0_14default_configENS1_38merge_sort_block_merge_config_selectorIslEEZZNS1_27merge_sort_block_merge_implIS3_PsN6thrust23THRUST_200600_302600_NS10device_ptrIlEEjNS1_19radix_merge_compareILb0ELb1EsNS0_19identity_decomposerEEEEE10hipError_tT0_T1_T2_jT3_P12ihipStream_tbPNSt15iterator_traitsISG_E10value_typeEPNSM_ISH_E10value_typeEPSI_NS1_7vsmem_tEENKUlT_SG_SH_SI_E_clIS7_S7_SB_PlEESF_SV_SG_SH_SI_EUlSV_E0_NS1_11comp_targetILNS1_3genE0ELNS1_11target_archE4294967295ELNS1_3gpuE0ELNS1_3repE0EEENS1_38merge_mergepath_config_static_selectorELNS0_4arch9wavefront6targetE1EEEvSH_,comdat
	.protected	_ZN7rocprim17ROCPRIM_400000_NS6detail17trampoline_kernelINS0_14default_configENS1_38merge_sort_block_merge_config_selectorIslEEZZNS1_27merge_sort_block_merge_implIS3_PsN6thrust23THRUST_200600_302600_NS10device_ptrIlEEjNS1_19radix_merge_compareILb0ELb1EsNS0_19identity_decomposerEEEEE10hipError_tT0_T1_T2_jT3_P12ihipStream_tbPNSt15iterator_traitsISG_E10value_typeEPNSM_ISH_E10value_typeEPSI_NS1_7vsmem_tEENKUlT_SG_SH_SI_E_clIS7_S7_SB_PlEESF_SV_SG_SH_SI_EUlSV_E0_NS1_11comp_targetILNS1_3genE0ELNS1_11target_archE4294967295ELNS1_3gpuE0ELNS1_3repE0EEENS1_38merge_mergepath_config_static_selectorELNS0_4arch9wavefront6targetE1EEEvSH_ ; -- Begin function _ZN7rocprim17ROCPRIM_400000_NS6detail17trampoline_kernelINS0_14default_configENS1_38merge_sort_block_merge_config_selectorIslEEZZNS1_27merge_sort_block_merge_implIS3_PsN6thrust23THRUST_200600_302600_NS10device_ptrIlEEjNS1_19radix_merge_compareILb0ELb1EsNS0_19identity_decomposerEEEEE10hipError_tT0_T1_T2_jT3_P12ihipStream_tbPNSt15iterator_traitsISG_E10value_typeEPNSM_ISH_E10value_typeEPSI_NS1_7vsmem_tEENKUlT_SG_SH_SI_E_clIS7_S7_SB_PlEESF_SV_SG_SH_SI_EUlSV_E0_NS1_11comp_targetILNS1_3genE0ELNS1_11target_archE4294967295ELNS1_3gpuE0ELNS1_3repE0EEENS1_38merge_mergepath_config_static_selectorELNS0_4arch9wavefront6targetE1EEEvSH_
	.globl	_ZN7rocprim17ROCPRIM_400000_NS6detail17trampoline_kernelINS0_14default_configENS1_38merge_sort_block_merge_config_selectorIslEEZZNS1_27merge_sort_block_merge_implIS3_PsN6thrust23THRUST_200600_302600_NS10device_ptrIlEEjNS1_19radix_merge_compareILb0ELb1EsNS0_19identity_decomposerEEEEE10hipError_tT0_T1_T2_jT3_P12ihipStream_tbPNSt15iterator_traitsISG_E10value_typeEPNSM_ISH_E10value_typeEPSI_NS1_7vsmem_tEENKUlT_SG_SH_SI_E_clIS7_S7_SB_PlEESF_SV_SG_SH_SI_EUlSV_E0_NS1_11comp_targetILNS1_3genE0ELNS1_11target_archE4294967295ELNS1_3gpuE0ELNS1_3repE0EEENS1_38merge_mergepath_config_static_selectorELNS0_4arch9wavefront6targetE1EEEvSH_
	.p2align	8
	.type	_ZN7rocprim17ROCPRIM_400000_NS6detail17trampoline_kernelINS0_14default_configENS1_38merge_sort_block_merge_config_selectorIslEEZZNS1_27merge_sort_block_merge_implIS3_PsN6thrust23THRUST_200600_302600_NS10device_ptrIlEEjNS1_19radix_merge_compareILb0ELb1EsNS0_19identity_decomposerEEEEE10hipError_tT0_T1_T2_jT3_P12ihipStream_tbPNSt15iterator_traitsISG_E10value_typeEPNSM_ISH_E10value_typeEPSI_NS1_7vsmem_tEENKUlT_SG_SH_SI_E_clIS7_S7_SB_PlEESF_SV_SG_SH_SI_EUlSV_E0_NS1_11comp_targetILNS1_3genE0ELNS1_11target_archE4294967295ELNS1_3gpuE0ELNS1_3repE0EEENS1_38merge_mergepath_config_static_selectorELNS0_4arch9wavefront6targetE1EEEvSH_,@function
_ZN7rocprim17ROCPRIM_400000_NS6detail17trampoline_kernelINS0_14default_configENS1_38merge_sort_block_merge_config_selectorIslEEZZNS1_27merge_sort_block_merge_implIS3_PsN6thrust23THRUST_200600_302600_NS10device_ptrIlEEjNS1_19radix_merge_compareILb0ELb1EsNS0_19identity_decomposerEEEEE10hipError_tT0_T1_T2_jT3_P12ihipStream_tbPNSt15iterator_traitsISG_E10value_typeEPNSM_ISH_E10value_typeEPSI_NS1_7vsmem_tEENKUlT_SG_SH_SI_E_clIS7_S7_SB_PlEESF_SV_SG_SH_SI_EUlSV_E0_NS1_11comp_targetILNS1_3genE0ELNS1_11target_archE4294967295ELNS1_3gpuE0ELNS1_3repE0EEENS1_38merge_mergepath_config_static_selectorELNS0_4arch9wavefront6targetE1EEEvSH_: ; @_ZN7rocprim17ROCPRIM_400000_NS6detail17trampoline_kernelINS0_14default_configENS1_38merge_sort_block_merge_config_selectorIslEEZZNS1_27merge_sort_block_merge_implIS3_PsN6thrust23THRUST_200600_302600_NS10device_ptrIlEEjNS1_19radix_merge_compareILb0ELb1EsNS0_19identity_decomposerEEEEE10hipError_tT0_T1_T2_jT3_P12ihipStream_tbPNSt15iterator_traitsISG_E10value_typeEPNSM_ISH_E10value_typeEPSI_NS1_7vsmem_tEENKUlT_SG_SH_SI_E_clIS7_S7_SB_PlEESF_SV_SG_SH_SI_EUlSV_E0_NS1_11comp_targetILNS1_3genE0ELNS1_11target_archE4294967295ELNS1_3gpuE0ELNS1_3repE0EEENS1_38merge_mergepath_config_static_selectorELNS0_4arch9wavefront6targetE1EEEvSH_
; %bb.0:
	.section	.rodata,"a",@progbits
	.p2align	6, 0x0
	.amdhsa_kernel _ZN7rocprim17ROCPRIM_400000_NS6detail17trampoline_kernelINS0_14default_configENS1_38merge_sort_block_merge_config_selectorIslEEZZNS1_27merge_sort_block_merge_implIS3_PsN6thrust23THRUST_200600_302600_NS10device_ptrIlEEjNS1_19radix_merge_compareILb0ELb1EsNS0_19identity_decomposerEEEEE10hipError_tT0_T1_T2_jT3_P12ihipStream_tbPNSt15iterator_traitsISG_E10value_typeEPNSM_ISH_E10value_typeEPSI_NS1_7vsmem_tEENKUlT_SG_SH_SI_E_clIS7_S7_SB_PlEESF_SV_SG_SH_SI_EUlSV_E0_NS1_11comp_targetILNS1_3genE0ELNS1_11target_archE4294967295ELNS1_3gpuE0ELNS1_3repE0EEENS1_38merge_mergepath_config_static_selectorELNS0_4arch9wavefront6targetE1EEEvSH_
		.amdhsa_group_segment_fixed_size 0
		.amdhsa_private_segment_fixed_size 0
		.amdhsa_kernarg_size 64
		.amdhsa_user_sgpr_count 6
		.amdhsa_user_sgpr_private_segment_buffer 1
		.amdhsa_user_sgpr_dispatch_ptr 0
		.amdhsa_user_sgpr_queue_ptr 0
		.amdhsa_user_sgpr_kernarg_segment_ptr 1
		.amdhsa_user_sgpr_dispatch_id 0
		.amdhsa_user_sgpr_flat_scratch_init 0
		.amdhsa_user_sgpr_private_segment_size 0
		.amdhsa_uses_dynamic_stack 0
		.amdhsa_system_sgpr_private_segment_wavefront_offset 0
		.amdhsa_system_sgpr_workgroup_id_x 1
		.amdhsa_system_sgpr_workgroup_id_y 0
		.amdhsa_system_sgpr_workgroup_id_z 0
		.amdhsa_system_sgpr_workgroup_info 0
		.amdhsa_system_vgpr_workitem_id 0
		.amdhsa_next_free_vgpr 1
		.amdhsa_next_free_sgpr 0
		.amdhsa_reserve_vcc 0
		.amdhsa_reserve_flat_scratch 0
		.amdhsa_float_round_mode_32 0
		.amdhsa_float_round_mode_16_64 0
		.amdhsa_float_denorm_mode_32 3
		.amdhsa_float_denorm_mode_16_64 3
		.amdhsa_dx10_clamp 1
		.amdhsa_ieee_mode 1
		.amdhsa_fp16_overflow 0
		.amdhsa_exception_fp_ieee_invalid_op 0
		.amdhsa_exception_fp_denorm_src 0
		.amdhsa_exception_fp_ieee_div_zero 0
		.amdhsa_exception_fp_ieee_overflow 0
		.amdhsa_exception_fp_ieee_underflow 0
		.amdhsa_exception_fp_ieee_inexact 0
		.amdhsa_exception_int_div_zero 0
	.end_amdhsa_kernel
	.section	.text._ZN7rocprim17ROCPRIM_400000_NS6detail17trampoline_kernelINS0_14default_configENS1_38merge_sort_block_merge_config_selectorIslEEZZNS1_27merge_sort_block_merge_implIS3_PsN6thrust23THRUST_200600_302600_NS10device_ptrIlEEjNS1_19radix_merge_compareILb0ELb1EsNS0_19identity_decomposerEEEEE10hipError_tT0_T1_T2_jT3_P12ihipStream_tbPNSt15iterator_traitsISG_E10value_typeEPNSM_ISH_E10value_typeEPSI_NS1_7vsmem_tEENKUlT_SG_SH_SI_E_clIS7_S7_SB_PlEESF_SV_SG_SH_SI_EUlSV_E0_NS1_11comp_targetILNS1_3genE0ELNS1_11target_archE4294967295ELNS1_3gpuE0ELNS1_3repE0EEENS1_38merge_mergepath_config_static_selectorELNS0_4arch9wavefront6targetE1EEEvSH_,"axG",@progbits,_ZN7rocprim17ROCPRIM_400000_NS6detail17trampoline_kernelINS0_14default_configENS1_38merge_sort_block_merge_config_selectorIslEEZZNS1_27merge_sort_block_merge_implIS3_PsN6thrust23THRUST_200600_302600_NS10device_ptrIlEEjNS1_19radix_merge_compareILb0ELb1EsNS0_19identity_decomposerEEEEE10hipError_tT0_T1_T2_jT3_P12ihipStream_tbPNSt15iterator_traitsISG_E10value_typeEPNSM_ISH_E10value_typeEPSI_NS1_7vsmem_tEENKUlT_SG_SH_SI_E_clIS7_S7_SB_PlEESF_SV_SG_SH_SI_EUlSV_E0_NS1_11comp_targetILNS1_3genE0ELNS1_11target_archE4294967295ELNS1_3gpuE0ELNS1_3repE0EEENS1_38merge_mergepath_config_static_selectorELNS0_4arch9wavefront6targetE1EEEvSH_,comdat
.Lfunc_end1364:
	.size	_ZN7rocprim17ROCPRIM_400000_NS6detail17trampoline_kernelINS0_14default_configENS1_38merge_sort_block_merge_config_selectorIslEEZZNS1_27merge_sort_block_merge_implIS3_PsN6thrust23THRUST_200600_302600_NS10device_ptrIlEEjNS1_19radix_merge_compareILb0ELb1EsNS0_19identity_decomposerEEEEE10hipError_tT0_T1_T2_jT3_P12ihipStream_tbPNSt15iterator_traitsISG_E10value_typeEPNSM_ISH_E10value_typeEPSI_NS1_7vsmem_tEENKUlT_SG_SH_SI_E_clIS7_S7_SB_PlEESF_SV_SG_SH_SI_EUlSV_E0_NS1_11comp_targetILNS1_3genE0ELNS1_11target_archE4294967295ELNS1_3gpuE0ELNS1_3repE0EEENS1_38merge_mergepath_config_static_selectorELNS0_4arch9wavefront6targetE1EEEvSH_, .Lfunc_end1364-_ZN7rocprim17ROCPRIM_400000_NS6detail17trampoline_kernelINS0_14default_configENS1_38merge_sort_block_merge_config_selectorIslEEZZNS1_27merge_sort_block_merge_implIS3_PsN6thrust23THRUST_200600_302600_NS10device_ptrIlEEjNS1_19radix_merge_compareILb0ELb1EsNS0_19identity_decomposerEEEEE10hipError_tT0_T1_T2_jT3_P12ihipStream_tbPNSt15iterator_traitsISG_E10value_typeEPNSM_ISH_E10value_typeEPSI_NS1_7vsmem_tEENKUlT_SG_SH_SI_E_clIS7_S7_SB_PlEESF_SV_SG_SH_SI_EUlSV_E0_NS1_11comp_targetILNS1_3genE0ELNS1_11target_archE4294967295ELNS1_3gpuE0ELNS1_3repE0EEENS1_38merge_mergepath_config_static_selectorELNS0_4arch9wavefront6targetE1EEEvSH_
                                        ; -- End function
	.set _ZN7rocprim17ROCPRIM_400000_NS6detail17trampoline_kernelINS0_14default_configENS1_38merge_sort_block_merge_config_selectorIslEEZZNS1_27merge_sort_block_merge_implIS3_PsN6thrust23THRUST_200600_302600_NS10device_ptrIlEEjNS1_19radix_merge_compareILb0ELb1EsNS0_19identity_decomposerEEEEE10hipError_tT0_T1_T2_jT3_P12ihipStream_tbPNSt15iterator_traitsISG_E10value_typeEPNSM_ISH_E10value_typeEPSI_NS1_7vsmem_tEENKUlT_SG_SH_SI_E_clIS7_S7_SB_PlEESF_SV_SG_SH_SI_EUlSV_E0_NS1_11comp_targetILNS1_3genE0ELNS1_11target_archE4294967295ELNS1_3gpuE0ELNS1_3repE0EEENS1_38merge_mergepath_config_static_selectorELNS0_4arch9wavefront6targetE1EEEvSH_.num_vgpr, 0
	.set _ZN7rocprim17ROCPRIM_400000_NS6detail17trampoline_kernelINS0_14default_configENS1_38merge_sort_block_merge_config_selectorIslEEZZNS1_27merge_sort_block_merge_implIS3_PsN6thrust23THRUST_200600_302600_NS10device_ptrIlEEjNS1_19radix_merge_compareILb0ELb1EsNS0_19identity_decomposerEEEEE10hipError_tT0_T1_T2_jT3_P12ihipStream_tbPNSt15iterator_traitsISG_E10value_typeEPNSM_ISH_E10value_typeEPSI_NS1_7vsmem_tEENKUlT_SG_SH_SI_E_clIS7_S7_SB_PlEESF_SV_SG_SH_SI_EUlSV_E0_NS1_11comp_targetILNS1_3genE0ELNS1_11target_archE4294967295ELNS1_3gpuE0ELNS1_3repE0EEENS1_38merge_mergepath_config_static_selectorELNS0_4arch9wavefront6targetE1EEEvSH_.num_agpr, 0
	.set _ZN7rocprim17ROCPRIM_400000_NS6detail17trampoline_kernelINS0_14default_configENS1_38merge_sort_block_merge_config_selectorIslEEZZNS1_27merge_sort_block_merge_implIS3_PsN6thrust23THRUST_200600_302600_NS10device_ptrIlEEjNS1_19radix_merge_compareILb0ELb1EsNS0_19identity_decomposerEEEEE10hipError_tT0_T1_T2_jT3_P12ihipStream_tbPNSt15iterator_traitsISG_E10value_typeEPNSM_ISH_E10value_typeEPSI_NS1_7vsmem_tEENKUlT_SG_SH_SI_E_clIS7_S7_SB_PlEESF_SV_SG_SH_SI_EUlSV_E0_NS1_11comp_targetILNS1_3genE0ELNS1_11target_archE4294967295ELNS1_3gpuE0ELNS1_3repE0EEENS1_38merge_mergepath_config_static_selectorELNS0_4arch9wavefront6targetE1EEEvSH_.numbered_sgpr, 0
	.set _ZN7rocprim17ROCPRIM_400000_NS6detail17trampoline_kernelINS0_14default_configENS1_38merge_sort_block_merge_config_selectorIslEEZZNS1_27merge_sort_block_merge_implIS3_PsN6thrust23THRUST_200600_302600_NS10device_ptrIlEEjNS1_19radix_merge_compareILb0ELb1EsNS0_19identity_decomposerEEEEE10hipError_tT0_T1_T2_jT3_P12ihipStream_tbPNSt15iterator_traitsISG_E10value_typeEPNSM_ISH_E10value_typeEPSI_NS1_7vsmem_tEENKUlT_SG_SH_SI_E_clIS7_S7_SB_PlEESF_SV_SG_SH_SI_EUlSV_E0_NS1_11comp_targetILNS1_3genE0ELNS1_11target_archE4294967295ELNS1_3gpuE0ELNS1_3repE0EEENS1_38merge_mergepath_config_static_selectorELNS0_4arch9wavefront6targetE1EEEvSH_.num_named_barrier, 0
	.set _ZN7rocprim17ROCPRIM_400000_NS6detail17trampoline_kernelINS0_14default_configENS1_38merge_sort_block_merge_config_selectorIslEEZZNS1_27merge_sort_block_merge_implIS3_PsN6thrust23THRUST_200600_302600_NS10device_ptrIlEEjNS1_19radix_merge_compareILb0ELb1EsNS0_19identity_decomposerEEEEE10hipError_tT0_T1_T2_jT3_P12ihipStream_tbPNSt15iterator_traitsISG_E10value_typeEPNSM_ISH_E10value_typeEPSI_NS1_7vsmem_tEENKUlT_SG_SH_SI_E_clIS7_S7_SB_PlEESF_SV_SG_SH_SI_EUlSV_E0_NS1_11comp_targetILNS1_3genE0ELNS1_11target_archE4294967295ELNS1_3gpuE0ELNS1_3repE0EEENS1_38merge_mergepath_config_static_selectorELNS0_4arch9wavefront6targetE1EEEvSH_.private_seg_size, 0
	.set _ZN7rocprim17ROCPRIM_400000_NS6detail17trampoline_kernelINS0_14default_configENS1_38merge_sort_block_merge_config_selectorIslEEZZNS1_27merge_sort_block_merge_implIS3_PsN6thrust23THRUST_200600_302600_NS10device_ptrIlEEjNS1_19radix_merge_compareILb0ELb1EsNS0_19identity_decomposerEEEEE10hipError_tT0_T1_T2_jT3_P12ihipStream_tbPNSt15iterator_traitsISG_E10value_typeEPNSM_ISH_E10value_typeEPSI_NS1_7vsmem_tEENKUlT_SG_SH_SI_E_clIS7_S7_SB_PlEESF_SV_SG_SH_SI_EUlSV_E0_NS1_11comp_targetILNS1_3genE0ELNS1_11target_archE4294967295ELNS1_3gpuE0ELNS1_3repE0EEENS1_38merge_mergepath_config_static_selectorELNS0_4arch9wavefront6targetE1EEEvSH_.uses_vcc, 0
	.set _ZN7rocprim17ROCPRIM_400000_NS6detail17trampoline_kernelINS0_14default_configENS1_38merge_sort_block_merge_config_selectorIslEEZZNS1_27merge_sort_block_merge_implIS3_PsN6thrust23THRUST_200600_302600_NS10device_ptrIlEEjNS1_19radix_merge_compareILb0ELb1EsNS0_19identity_decomposerEEEEE10hipError_tT0_T1_T2_jT3_P12ihipStream_tbPNSt15iterator_traitsISG_E10value_typeEPNSM_ISH_E10value_typeEPSI_NS1_7vsmem_tEENKUlT_SG_SH_SI_E_clIS7_S7_SB_PlEESF_SV_SG_SH_SI_EUlSV_E0_NS1_11comp_targetILNS1_3genE0ELNS1_11target_archE4294967295ELNS1_3gpuE0ELNS1_3repE0EEENS1_38merge_mergepath_config_static_selectorELNS0_4arch9wavefront6targetE1EEEvSH_.uses_flat_scratch, 0
	.set _ZN7rocprim17ROCPRIM_400000_NS6detail17trampoline_kernelINS0_14default_configENS1_38merge_sort_block_merge_config_selectorIslEEZZNS1_27merge_sort_block_merge_implIS3_PsN6thrust23THRUST_200600_302600_NS10device_ptrIlEEjNS1_19radix_merge_compareILb0ELb1EsNS0_19identity_decomposerEEEEE10hipError_tT0_T1_T2_jT3_P12ihipStream_tbPNSt15iterator_traitsISG_E10value_typeEPNSM_ISH_E10value_typeEPSI_NS1_7vsmem_tEENKUlT_SG_SH_SI_E_clIS7_S7_SB_PlEESF_SV_SG_SH_SI_EUlSV_E0_NS1_11comp_targetILNS1_3genE0ELNS1_11target_archE4294967295ELNS1_3gpuE0ELNS1_3repE0EEENS1_38merge_mergepath_config_static_selectorELNS0_4arch9wavefront6targetE1EEEvSH_.has_dyn_sized_stack, 0
	.set _ZN7rocprim17ROCPRIM_400000_NS6detail17trampoline_kernelINS0_14default_configENS1_38merge_sort_block_merge_config_selectorIslEEZZNS1_27merge_sort_block_merge_implIS3_PsN6thrust23THRUST_200600_302600_NS10device_ptrIlEEjNS1_19radix_merge_compareILb0ELb1EsNS0_19identity_decomposerEEEEE10hipError_tT0_T1_T2_jT3_P12ihipStream_tbPNSt15iterator_traitsISG_E10value_typeEPNSM_ISH_E10value_typeEPSI_NS1_7vsmem_tEENKUlT_SG_SH_SI_E_clIS7_S7_SB_PlEESF_SV_SG_SH_SI_EUlSV_E0_NS1_11comp_targetILNS1_3genE0ELNS1_11target_archE4294967295ELNS1_3gpuE0ELNS1_3repE0EEENS1_38merge_mergepath_config_static_selectorELNS0_4arch9wavefront6targetE1EEEvSH_.has_recursion, 0
	.set _ZN7rocprim17ROCPRIM_400000_NS6detail17trampoline_kernelINS0_14default_configENS1_38merge_sort_block_merge_config_selectorIslEEZZNS1_27merge_sort_block_merge_implIS3_PsN6thrust23THRUST_200600_302600_NS10device_ptrIlEEjNS1_19radix_merge_compareILb0ELb1EsNS0_19identity_decomposerEEEEE10hipError_tT0_T1_T2_jT3_P12ihipStream_tbPNSt15iterator_traitsISG_E10value_typeEPNSM_ISH_E10value_typeEPSI_NS1_7vsmem_tEENKUlT_SG_SH_SI_E_clIS7_S7_SB_PlEESF_SV_SG_SH_SI_EUlSV_E0_NS1_11comp_targetILNS1_3genE0ELNS1_11target_archE4294967295ELNS1_3gpuE0ELNS1_3repE0EEENS1_38merge_mergepath_config_static_selectorELNS0_4arch9wavefront6targetE1EEEvSH_.has_indirect_call, 0
	.section	.AMDGPU.csdata,"",@progbits
; Kernel info:
; codeLenInByte = 0
; TotalNumSgprs: 4
; NumVgprs: 0
; ScratchSize: 0
; MemoryBound: 0
; FloatMode: 240
; IeeeMode: 1
; LDSByteSize: 0 bytes/workgroup (compile time only)
; SGPRBlocks: 0
; VGPRBlocks: 0
; NumSGPRsForWavesPerEU: 4
; NumVGPRsForWavesPerEU: 1
; Occupancy: 10
; WaveLimiterHint : 0
; COMPUTE_PGM_RSRC2:SCRATCH_EN: 0
; COMPUTE_PGM_RSRC2:USER_SGPR: 6
; COMPUTE_PGM_RSRC2:TRAP_HANDLER: 0
; COMPUTE_PGM_RSRC2:TGID_X_EN: 1
; COMPUTE_PGM_RSRC2:TGID_Y_EN: 0
; COMPUTE_PGM_RSRC2:TGID_Z_EN: 0
; COMPUTE_PGM_RSRC2:TIDIG_COMP_CNT: 0
	.section	.text._ZN7rocprim17ROCPRIM_400000_NS6detail17trampoline_kernelINS0_14default_configENS1_38merge_sort_block_merge_config_selectorIslEEZZNS1_27merge_sort_block_merge_implIS3_PsN6thrust23THRUST_200600_302600_NS10device_ptrIlEEjNS1_19radix_merge_compareILb0ELb1EsNS0_19identity_decomposerEEEEE10hipError_tT0_T1_T2_jT3_P12ihipStream_tbPNSt15iterator_traitsISG_E10value_typeEPNSM_ISH_E10value_typeEPSI_NS1_7vsmem_tEENKUlT_SG_SH_SI_E_clIS7_S7_SB_PlEESF_SV_SG_SH_SI_EUlSV_E0_NS1_11comp_targetILNS1_3genE10ELNS1_11target_archE1201ELNS1_3gpuE5ELNS1_3repE0EEENS1_38merge_mergepath_config_static_selectorELNS0_4arch9wavefront6targetE1EEEvSH_,"axG",@progbits,_ZN7rocprim17ROCPRIM_400000_NS6detail17trampoline_kernelINS0_14default_configENS1_38merge_sort_block_merge_config_selectorIslEEZZNS1_27merge_sort_block_merge_implIS3_PsN6thrust23THRUST_200600_302600_NS10device_ptrIlEEjNS1_19radix_merge_compareILb0ELb1EsNS0_19identity_decomposerEEEEE10hipError_tT0_T1_T2_jT3_P12ihipStream_tbPNSt15iterator_traitsISG_E10value_typeEPNSM_ISH_E10value_typeEPSI_NS1_7vsmem_tEENKUlT_SG_SH_SI_E_clIS7_S7_SB_PlEESF_SV_SG_SH_SI_EUlSV_E0_NS1_11comp_targetILNS1_3genE10ELNS1_11target_archE1201ELNS1_3gpuE5ELNS1_3repE0EEENS1_38merge_mergepath_config_static_selectorELNS0_4arch9wavefront6targetE1EEEvSH_,comdat
	.protected	_ZN7rocprim17ROCPRIM_400000_NS6detail17trampoline_kernelINS0_14default_configENS1_38merge_sort_block_merge_config_selectorIslEEZZNS1_27merge_sort_block_merge_implIS3_PsN6thrust23THRUST_200600_302600_NS10device_ptrIlEEjNS1_19radix_merge_compareILb0ELb1EsNS0_19identity_decomposerEEEEE10hipError_tT0_T1_T2_jT3_P12ihipStream_tbPNSt15iterator_traitsISG_E10value_typeEPNSM_ISH_E10value_typeEPSI_NS1_7vsmem_tEENKUlT_SG_SH_SI_E_clIS7_S7_SB_PlEESF_SV_SG_SH_SI_EUlSV_E0_NS1_11comp_targetILNS1_3genE10ELNS1_11target_archE1201ELNS1_3gpuE5ELNS1_3repE0EEENS1_38merge_mergepath_config_static_selectorELNS0_4arch9wavefront6targetE1EEEvSH_ ; -- Begin function _ZN7rocprim17ROCPRIM_400000_NS6detail17trampoline_kernelINS0_14default_configENS1_38merge_sort_block_merge_config_selectorIslEEZZNS1_27merge_sort_block_merge_implIS3_PsN6thrust23THRUST_200600_302600_NS10device_ptrIlEEjNS1_19radix_merge_compareILb0ELb1EsNS0_19identity_decomposerEEEEE10hipError_tT0_T1_T2_jT3_P12ihipStream_tbPNSt15iterator_traitsISG_E10value_typeEPNSM_ISH_E10value_typeEPSI_NS1_7vsmem_tEENKUlT_SG_SH_SI_E_clIS7_S7_SB_PlEESF_SV_SG_SH_SI_EUlSV_E0_NS1_11comp_targetILNS1_3genE10ELNS1_11target_archE1201ELNS1_3gpuE5ELNS1_3repE0EEENS1_38merge_mergepath_config_static_selectorELNS0_4arch9wavefront6targetE1EEEvSH_
	.globl	_ZN7rocprim17ROCPRIM_400000_NS6detail17trampoline_kernelINS0_14default_configENS1_38merge_sort_block_merge_config_selectorIslEEZZNS1_27merge_sort_block_merge_implIS3_PsN6thrust23THRUST_200600_302600_NS10device_ptrIlEEjNS1_19radix_merge_compareILb0ELb1EsNS0_19identity_decomposerEEEEE10hipError_tT0_T1_T2_jT3_P12ihipStream_tbPNSt15iterator_traitsISG_E10value_typeEPNSM_ISH_E10value_typeEPSI_NS1_7vsmem_tEENKUlT_SG_SH_SI_E_clIS7_S7_SB_PlEESF_SV_SG_SH_SI_EUlSV_E0_NS1_11comp_targetILNS1_3genE10ELNS1_11target_archE1201ELNS1_3gpuE5ELNS1_3repE0EEENS1_38merge_mergepath_config_static_selectorELNS0_4arch9wavefront6targetE1EEEvSH_
	.p2align	8
	.type	_ZN7rocprim17ROCPRIM_400000_NS6detail17trampoline_kernelINS0_14default_configENS1_38merge_sort_block_merge_config_selectorIslEEZZNS1_27merge_sort_block_merge_implIS3_PsN6thrust23THRUST_200600_302600_NS10device_ptrIlEEjNS1_19radix_merge_compareILb0ELb1EsNS0_19identity_decomposerEEEEE10hipError_tT0_T1_T2_jT3_P12ihipStream_tbPNSt15iterator_traitsISG_E10value_typeEPNSM_ISH_E10value_typeEPSI_NS1_7vsmem_tEENKUlT_SG_SH_SI_E_clIS7_S7_SB_PlEESF_SV_SG_SH_SI_EUlSV_E0_NS1_11comp_targetILNS1_3genE10ELNS1_11target_archE1201ELNS1_3gpuE5ELNS1_3repE0EEENS1_38merge_mergepath_config_static_selectorELNS0_4arch9wavefront6targetE1EEEvSH_,@function
_ZN7rocprim17ROCPRIM_400000_NS6detail17trampoline_kernelINS0_14default_configENS1_38merge_sort_block_merge_config_selectorIslEEZZNS1_27merge_sort_block_merge_implIS3_PsN6thrust23THRUST_200600_302600_NS10device_ptrIlEEjNS1_19radix_merge_compareILb0ELb1EsNS0_19identity_decomposerEEEEE10hipError_tT0_T1_T2_jT3_P12ihipStream_tbPNSt15iterator_traitsISG_E10value_typeEPNSM_ISH_E10value_typeEPSI_NS1_7vsmem_tEENKUlT_SG_SH_SI_E_clIS7_S7_SB_PlEESF_SV_SG_SH_SI_EUlSV_E0_NS1_11comp_targetILNS1_3genE10ELNS1_11target_archE1201ELNS1_3gpuE5ELNS1_3repE0EEENS1_38merge_mergepath_config_static_selectorELNS0_4arch9wavefront6targetE1EEEvSH_: ; @_ZN7rocprim17ROCPRIM_400000_NS6detail17trampoline_kernelINS0_14default_configENS1_38merge_sort_block_merge_config_selectorIslEEZZNS1_27merge_sort_block_merge_implIS3_PsN6thrust23THRUST_200600_302600_NS10device_ptrIlEEjNS1_19radix_merge_compareILb0ELb1EsNS0_19identity_decomposerEEEEE10hipError_tT0_T1_T2_jT3_P12ihipStream_tbPNSt15iterator_traitsISG_E10value_typeEPNSM_ISH_E10value_typeEPSI_NS1_7vsmem_tEENKUlT_SG_SH_SI_E_clIS7_S7_SB_PlEESF_SV_SG_SH_SI_EUlSV_E0_NS1_11comp_targetILNS1_3genE10ELNS1_11target_archE1201ELNS1_3gpuE5ELNS1_3repE0EEENS1_38merge_mergepath_config_static_selectorELNS0_4arch9wavefront6targetE1EEEvSH_
; %bb.0:
	.section	.rodata,"a",@progbits
	.p2align	6, 0x0
	.amdhsa_kernel _ZN7rocprim17ROCPRIM_400000_NS6detail17trampoline_kernelINS0_14default_configENS1_38merge_sort_block_merge_config_selectorIslEEZZNS1_27merge_sort_block_merge_implIS3_PsN6thrust23THRUST_200600_302600_NS10device_ptrIlEEjNS1_19radix_merge_compareILb0ELb1EsNS0_19identity_decomposerEEEEE10hipError_tT0_T1_T2_jT3_P12ihipStream_tbPNSt15iterator_traitsISG_E10value_typeEPNSM_ISH_E10value_typeEPSI_NS1_7vsmem_tEENKUlT_SG_SH_SI_E_clIS7_S7_SB_PlEESF_SV_SG_SH_SI_EUlSV_E0_NS1_11comp_targetILNS1_3genE10ELNS1_11target_archE1201ELNS1_3gpuE5ELNS1_3repE0EEENS1_38merge_mergepath_config_static_selectorELNS0_4arch9wavefront6targetE1EEEvSH_
		.amdhsa_group_segment_fixed_size 0
		.amdhsa_private_segment_fixed_size 0
		.amdhsa_kernarg_size 64
		.amdhsa_user_sgpr_count 6
		.amdhsa_user_sgpr_private_segment_buffer 1
		.amdhsa_user_sgpr_dispatch_ptr 0
		.amdhsa_user_sgpr_queue_ptr 0
		.amdhsa_user_sgpr_kernarg_segment_ptr 1
		.amdhsa_user_sgpr_dispatch_id 0
		.amdhsa_user_sgpr_flat_scratch_init 0
		.amdhsa_user_sgpr_private_segment_size 0
		.amdhsa_uses_dynamic_stack 0
		.amdhsa_system_sgpr_private_segment_wavefront_offset 0
		.amdhsa_system_sgpr_workgroup_id_x 1
		.amdhsa_system_sgpr_workgroup_id_y 0
		.amdhsa_system_sgpr_workgroup_id_z 0
		.amdhsa_system_sgpr_workgroup_info 0
		.amdhsa_system_vgpr_workitem_id 0
		.amdhsa_next_free_vgpr 1
		.amdhsa_next_free_sgpr 0
		.amdhsa_reserve_vcc 0
		.amdhsa_reserve_flat_scratch 0
		.amdhsa_float_round_mode_32 0
		.amdhsa_float_round_mode_16_64 0
		.amdhsa_float_denorm_mode_32 3
		.amdhsa_float_denorm_mode_16_64 3
		.amdhsa_dx10_clamp 1
		.amdhsa_ieee_mode 1
		.amdhsa_fp16_overflow 0
		.amdhsa_exception_fp_ieee_invalid_op 0
		.amdhsa_exception_fp_denorm_src 0
		.amdhsa_exception_fp_ieee_div_zero 0
		.amdhsa_exception_fp_ieee_overflow 0
		.amdhsa_exception_fp_ieee_underflow 0
		.amdhsa_exception_fp_ieee_inexact 0
		.amdhsa_exception_int_div_zero 0
	.end_amdhsa_kernel
	.section	.text._ZN7rocprim17ROCPRIM_400000_NS6detail17trampoline_kernelINS0_14default_configENS1_38merge_sort_block_merge_config_selectorIslEEZZNS1_27merge_sort_block_merge_implIS3_PsN6thrust23THRUST_200600_302600_NS10device_ptrIlEEjNS1_19radix_merge_compareILb0ELb1EsNS0_19identity_decomposerEEEEE10hipError_tT0_T1_T2_jT3_P12ihipStream_tbPNSt15iterator_traitsISG_E10value_typeEPNSM_ISH_E10value_typeEPSI_NS1_7vsmem_tEENKUlT_SG_SH_SI_E_clIS7_S7_SB_PlEESF_SV_SG_SH_SI_EUlSV_E0_NS1_11comp_targetILNS1_3genE10ELNS1_11target_archE1201ELNS1_3gpuE5ELNS1_3repE0EEENS1_38merge_mergepath_config_static_selectorELNS0_4arch9wavefront6targetE1EEEvSH_,"axG",@progbits,_ZN7rocprim17ROCPRIM_400000_NS6detail17trampoline_kernelINS0_14default_configENS1_38merge_sort_block_merge_config_selectorIslEEZZNS1_27merge_sort_block_merge_implIS3_PsN6thrust23THRUST_200600_302600_NS10device_ptrIlEEjNS1_19radix_merge_compareILb0ELb1EsNS0_19identity_decomposerEEEEE10hipError_tT0_T1_T2_jT3_P12ihipStream_tbPNSt15iterator_traitsISG_E10value_typeEPNSM_ISH_E10value_typeEPSI_NS1_7vsmem_tEENKUlT_SG_SH_SI_E_clIS7_S7_SB_PlEESF_SV_SG_SH_SI_EUlSV_E0_NS1_11comp_targetILNS1_3genE10ELNS1_11target_archE1201ELNS1_3gpuE5ELNS1_3repE0EEENS1_38merge_mergepath_config_static_selectorELNS0_4arch9wavefront6targetE1EEEvSH_,comdat
.Lfunc_end1365:
	.size	_ZN7rocprim17ROCPRIM_400000_NS6detail17trampoline_kernelINS0_14default_configENS1_38merge_sort_block_merge_config_selectorIslEEZZNS1_27merge_sort_block_merge_implIS3_PsN6thrust23THRUST_200600_302600_NS10device_ptrIlEEjNS1_19radix_merge_compareILb0ELb1EsNS0_19identity_decomposerEEEEE10hipError_tT0_T1_T2_jT3_P12ihipStream_tbPNSt15iterator_traitsISG_E10value_typeEPNSM_ISH_E10value_typeEPSI_NS1_7vsmem_tEENKUlT_SG_SH_SI_E_clIS7_S7_SB_PlEESF_SV_SG_SH_SI_EUlSV_E0_NS1_11comp_targetILNS1_3genE10ELNS1_11target_archE1201ELNS1_3gpuE5ELNS1_3repE0EEENS1_38merge_mergepath_config_static_selectorELNS0_4arch9wavefront6targetE1EEEvSH_, .Lfunc_end1365-_ZN7rocprim17ROCPRIM_400000_NS6detail17trampoline_kernelINS0_14default_configENS1_38merge_sort_block_merge_config_selectorIslEEZZNS1_27merge_sort_block_merge_implIS3_PsN6thrust23THRUST_200600_302600_NS10device_ptrIlEEjNS1_19radix_merge_compareILb0ELb1EsNS0_19identity_decomposerEEEEE10hipError_tT0_T1_T2_jT3_P12ihipStream_tbPNSt15iterator_traitsISG_E10value_typeEPNSM_ISH_E10value_typeEPSI_NS1_7vsmem_tEENKUlT_SG_SH_SI_E_clIS7_S7_SB_PlEESF_SV_SG_SH_SI_EUlSV_E0_NS1_11comp_targetILNS1_3genE10ELNS1_11target_archE1201ELNS1_3gpuE5ELNS1_3repE0EEENS1_38merge_mergepath_config_static_selectorELNS0_4arch9wavefront6targetE1EEEvSH_
                                        ; -- End function
	.set _ZN7rocprim17ROCPRIM_400000_NS6detail17trampoline_kernelINS0_14default_configENS1_38merge_sort_block_merge_config_selectorIslEEZZNS1_27merge_sort_block_merge_implIS3_PsN6thrust23THRUST_200600_302600_NS10device_ptrIlEEjNS1_19radix_merge_compareILb0ELb1EsNS0_19identity_decomposerEEEEE10hipError_tT0_T1_T2_jT3_P12ihipStream_tbPNSt15iterator_traitsISG_E10value_typeEPNSM_ISH_E10value_typeEPSI_NS1_7vsmem_tEENKUlT_SG_SH_SI_E_clIS7_S7_SB_PlEESF_SV_SG_SH_SI_EUlSV_E0_NS1_11comp_targetILNS1_3genE10ELNS1_11target_archE1201ELNS1_3gpuE5ELNS1_3repE0EEENS1_38merge_mergepath_config_static_selectorELNS0_4arch9wavefront6targetE1EEEvSH_.num_vgpr, 0
	.set _ZN7rocprim17ROCPRIM_400000_NS6detail17trampoline_kernelINS0_14default_configENS1_38merge_sort_block_merge_config_selectorIslEEZZNS1_27merge_sort_block_merge_implIS3_PsN6thrust23THRUST_200600_302600_NS10device_ptrIlEEjNS1_19radix_merge_compareILb0ELb1EsNS0_19identity_decomposerEEEEE10hipError_tT0_T1_T2_jT3_P12ihipStream_tbPNSt15iterator_traitsISG_E10value_typeEPNSM_ISH_E10value_typeEPSI_NS1_7vsmem_tEENKUlT_SG_SH_SI_E_clIS7_S7_SB_PlEESF_SV_SG_SH_SI_EUlSV_E0_NS1_11comp_targetILNS1_3genE10ELNS1_11target_archE1201ELNS1_3gpuE5ELNS1_3repE0EEENS1_38merge_mergepath_config_static_selectorELNS0_4arch9wavefront6targetE1EEEvSH_.num_agpr, 0
	.set _ZN7rocprim17ROCPRIM_400000_NS6detail17trampoline_kernelINS0_14default_configENS1_38merge_sort_block_merge_config_selectorIslEEZZNS1_27merge_sort_block_merge_implIS3_PsN6thrust23THRUST_200600_302600_NS10device_ptrIlEEjNS1_19radix_merge_compareILb0ELb1EsNS0_19identity_decomposerEEEEE10hipError_tT0_T1_T2_jT3_P12ihipStream_tbPNSt15iterator_traitsISG_E10value_typeEPNSM_ISH_E10value_typeEPSI_NS1_7vsmem_tEENKUlT_SG_SH_SI_E_clIS7_S7_SB_PlEESF_SV_SG_SH_SI_EUlSV_E0_NS1_11comp_targetILNS1_3genE10ELNS1_11target_archE1201ELNS1_3gpuE5ELNS1_3repE0EEENS1_38merge_mergepath_config_static_selectorELNS0_4arch9wavefront6targetE1EEEvSH_.numbered_sgpr, 0
	.set _ZN7rocprim17ROCPRIM_400000_NS6detail17trampoline_kernelINS0_14default_configENS1_38merge_sort_block_merge_config_selectorIslEEZZNS1_27merge_sort_block_merge_implIS3_PsN6thrust23THRUST_200600_302600_NS10device_ptrIlEEjNS1_19radix_merge_compareILb0ELb1EsNS0_19identity_decomposerEEEEE10hipError_tT0_T1_T2_jT3_P12ihipStream_tbPNSt15iterator_traitsISG_E10value_typeEPNSM_ISH_E10value_typeEPSI_NS1_7vsmem_tEENKUlT_SG_SH_SI_E_clIS7_S7_SB_PlEESF_SV_SG_SH_SI_EUlSV_E0_NS1_11comp_targetILNS1_3genE10ELNS1_11target_archE1201ELNS1_3gpuE5ELNS1_3repE0EEENS1_38merge_mergepath_config_static_selectorELNS0_4arch9wavefront6targetE1EEEvSH_.num_named_barrier, 0
	.set _ZN7rocprim17ROCPRIM_400000_NS6detail17trampoline_kernelINS0_14default_configENS1_38merge_sort_block_merge_config_selectorIslEEZZNS1_27merge_sort_block_merge_implIS3_PsN6thrust23THRUST_200600_302600_NS10device_ptrIlEEjNS1_19radix_merge_compareILb0ELb1EsNS0_19identity_decomposerEEEEE10hipError_tT0_T1_T2_jT3_P12ihipStream_tbPNSt15iterator_traitsISG_E10value_typeEPNSM_ISH_E10value_typeEPSI_NS1_7vsmem_tEENKUlT_SG_SH_SI_E_clIS7_S7_SB_PlEESF_SV_SG_SH_SI_EUlSV_E0_NS1_11comp_targetILNS1_3genE10ELNS1_11target_archE1201ELNS1_3gpuE5ELNS1_3repE0EEENS1_38merge_mergepath_config_static_selectorELNS0_4arch9wavefront6targetE1EEEvSH_.private_seg_size, 0
	.set _ZN7rocprim17ROCPRIM_400000_NS6detail17trampoline_kernelINS0_14default_configENS1_38merge_sort_block_merge_config_selectorIslEEZZNS1_27merge_sort_block_merge_implIS3_PsN6thrust23THRUST_200600_302600_NS10device_ptrIlEEjNS1_19radix_merge_compareILb0ELb1EsNS0_19identity_decomposerEEEEE10hipError_tT0_T1_T2_jT3_P12ihipStream_tbPNSt15iterator_traitsISG_E10value_typeEPNSM_ISH_E10value_typeEPSI_NS1_7vsmem_tEENKUlT_SG_SH_SI_E_clIS7_S7_SB_PlEESF_SV_SG_SH_SI_EUlSV_E0_NS1_11comp_targetILNS1_3genE10ELNS1_11target_archE1201ELNS1_3gpuE5ELNS1_3repE0EEENS1_38merge_mergepath_config_static_selectorELNS0_4arch9wavefront6targetE1EEEvSH_.uses_vcc, 0
	.set _ZN7rocprim17ROCPRIM_400000_NS6detail17trampoline_kernelINS0_14default_configENS1_38merge_sort_block_merge_config_selectorIslEEZZNS1_27merge_sort_block_merge_implIS3_PsN6thrust23THRUST_200600_302600_NS10device_ptrIlEEjNS1_19radix_merge_compareILb0ELb1EsNS0_19identity_decomposerEEEEE10hipError_tT0_T1_T2_jT3_P12ihipStream_tbPNSt15iterator_traitsISG_E10value_typeEPNSM_ISH_E10value_typeEPSI_NS1_7vsmem_tEENKUlT_SG_SH_SI_E_clIS7_S7_SB_PlEESF_SV_SG_SH_SI_EUlSV_E0_NS1_11comp_targetILNS1_3genE10ELNS1_11target_archE1201ELNS1_3gpuE5ELNS1_3repE0EEENS1_38merge_mergepath_config_static_selectorELNS0_4arch9wavefront6targetE1EEEvSH_.uses_flat_scratch, 0
	.set _ZN7rocprim17ROCPRIM_400000_NS6detail17trampoline_kernelINS0_14default_configENS1_38merge_sort_block_merge_config_selectorIslEEZZNS1_27merge_sort_block_merge_implIS3_PsN6thrust23THRUST_200600_302600_NS10device_ptrIlEEjNS1_19radix_merge_compareILb0ELb1EsNS0_19identity_decomposerEEEEE10hipError_tT0_T1_T2_jT3_P12ihipStream_tbPNSt15iterator_traitsISG_E10value_typeEPNSM_ISH_E10value_typeEPSI_NS1_7vsmem_tEENKUlT_SG_SH_SI_E_clIS7_S7_SB_PlEESF_SV_SG_SH_SI_EUlSV_E0_NS1_11comp_targetILNS1_3genE10ELNS1_11target_archE1201ELNS1_3gpuE5ELNS1_3repE0EEENS1_38merge_mergepath_config_static_selectorELNS0_4arch9wavefront6targetE1EEEvSH_.has_dyn_sized_stack, 0
	.set _ZN7rocprim17ROCPRIM_400000_NS6detail17trampoline_kernelINS0_14default_configENS1_38merge_sort_block_merge_config_selectorIslEEZZNS1_27merge_sort_block_merge_implIS3_PsN6thrust23THRUST_200600_302600_NS10device_ptrIlEEjNS1_19radix_merge_compareILb0ELb1EsNS0_19identity_decomposerEEEEE10hipError_tT0_T1_T2_jT3_P12ihipStream_tbPNSt15iterator_traitsISG_E10value_typeEPNSM_ISH_E10value_typeEPSI_NS1_7vsmem_tEENKUlT_SG_SH_SI_E_clIS7_S7_SB_PlEESF_SV_SG_SH_SI_EUlSV_E0_NS1_11comp_targetILNS1_3genE10ELNS1_11target_archE1201ELNS1_3gpuE5ELNS1_3repE0EEENS1_38merge_mergepath_config_static_selectorELNS0_4arch9wavefront6targetE1EEEvSH_.has_recursion, 0
	.set _ZN7rocprim17ROCPRIM_400000_NS6detail17trampoline_kernelINS0_14default_configENS1_38merge_sort_block_merge_config_selectorIslEEZZNS1_27merge_sort_block_merge_implIS3_PsN6thrust23THRUST_200600_302600_NS10device_ptrIlEEjNS1_19radix_merge_compareILb0ELb1EsNS0_19identity_decomposerEEEEE10hipError_tT0_T1_T2_jT3_P12ihipStream_tbPNSt15iterator_traitsISG_E10value_typeEPNSM_ISH_E10value_typeEPSI_NS1_7vsmem_tEENKUlT_SG_SH_SI_E_clIS7_S7_SB_PlEESF_SV_SG_SH_SI_EUlSV_E0_NS1_11comp_targetILNS1_3genE10ELNS1_11target_archE1201ELNS1_3gpuE5ELNS1_3repE0EEENS1_38merge_mergepath_config_static_selectorELNS0_4arch9wavefront6targetE1EEEvSH_.has_indirect_call, 0
	.section	.AMDGPU.csdata,"",@progbits
; Kernel info:
; codeLenInByte = 0
; TotalNumSgprs: 4
; NumVgprs: 0
; ScratchSize: 0
; MemoryBound: 0
; FloatMode: 240
; IeeeMode: 1
; LDSByteSize: 0 bytes/workgroup (compile time only)
; SGPRBlocks: 0
; VGPRBlocks: 0
; NumSGPRsForWavesPerEU: 4
; NumVGPRsForWavesPerEU: 1
; Occupancy: 10
; WaveLimiterHint : 0
; COMPUTE_PGM_RSRC2:SCRATCH_EN: 0
; COMPUTE_PGM_RSRC2:USER_SGPR: 6
; COMPUTE_PGM_RSRC2:TRAP_HANDLER: 0
; COMPUTE_PGM_RSRC2:TGID_X_EN: 1
; COMPUTE_PGM_RSRC2:TGID_Y_EN: 0
; COMPUTE_PGM_RSRC2:TGID_Z_EN: 0
; COMPUTE_PGM_RSRC2:TIDIG_COMP_CNT: 0
	.section	.text._ZN7rocprim17ROCPRIM_400000_NS6detail17trampoline_kernelINS0_14default_configENS1_38merge_sort_block_merge_config_selectorIslEEZZNS1_27merge_sort_block_merge_implIS3_PsN6thrust23THRUST_200600_302600_NS10device_ptrIlEEjNS1_19radix_merge_compareILb0ELb1EsNS0_19identity_decomposerEEEEE10hipError_tT0_T1_T2_jT3_P12ihipStream_tbPNSt15iterator_traitsISG_E10value_typeEPNSM_ISH_E10value_typeEPSI_NS1_7vsmem_tEENKUlT_SG_SH_SI_E_clIS7_S7_SB_PlEESF_SV_SG_SH_SI_EUlSV_E0_NS1_11comp_targetILNS1_3genE5ELNS1_11target_archE942ELNS1_3gpuE9ELNS1_3repE0EEENS1_38merge_mergepath_config_static_selectorELNS0_4arch9wavefront6targetE1EEEvSH_,"axG",@progbits,_ZN7rocprim17ROCPRIM_400000_NS6detail17trampoline_kernelINS0_14default_configENS1_38merge_sort_block_merge_config_selectorIslEEZZNS1_27merge_sort_block_merge_implIS3_PsN6thrust23THRUST_200600_302600_NS10device_ptrIlEEjNS1_19radix_merge_compareILb0ELb1EsNS0_19identity_decomposerEEEEE10hipError_tT0_T1_T2_jT3_P12ihipStream_tbPNSt15iterator_traitsISG_E10value_typeEPNSM_ISH_E10value_typeEPSI_NS1_7vsmem_tEENKUlT_SG_SH_SI_E_clIS7_S7_SB_PlEESF_SV_SG_SH_SI_EUlSV_E0_NS1_11comp_targetILNS1_3genE5ELNS1_11target_archE942ELNS1_3gpuE9ELNS1_3repE0EEENS1_38merge_mergepath_config_static_selectorELNS0_4arch9wavefront6targetE1EEEvSH_,comdat
	.protected	_ZN7rocprim17ROCPRIM_400000_NS6detail17trampoline_kernelINS0_14default_configENS1_38merge_sort_block_merge_config_selectorIslEEZZNS1_27merge_sort_block_merge_implIS3_PsN6thrust23THRUST_200600_302600_NS10device_ptrIlEEjNS1_19radix_merge_compareILb0ELb1EsNS0_19identity_decomposerEEEEE10hipError_tT0_T1_T2_jT3_P12ihipStream_tbPNSt15iterator_traitsISG_E10value_typeEPNSM_ISH_E10value_typeEPSI_NS1_7vsmem_tEENKUlT_SG_SH_SI_E_clIS7_S7_SB_PlEESF_SV_SG_SH_SI_EUlSV_E0_NS1_11comp_targetILNS1_3genE5ELNS1_11target_archE942ELNS1_3gpuE9ELNS1_3repE0EEENS1_38merge_mergepath_config_static_selectorELNS0_4arch9wavefront6targetE1EEEvSH_ ; -- Begin function _ZN7rocprim17ROCPRIM_400000_NS6detail17trampoline_kernelINS0_14default_configENS1_38merge_sort_block_merge_config_selectorIslEEZZNS1_27merge_sort_block_merge_implIS3_PsN6thrust23THRUST_200600_302600_NS10device_ptrIlEEjNS1_19radix_merge_compareILb0ELb1EsNS0_19identity_decomposerEEEEE10hipError_tT0_T1_T2_jT3_P12ihipStream_tbPNSt15iterator_traitsISG_E10value_typeEPNSM_ISH_E10value_typeEPSI_NS1_7vsmem_tEENKUlT_SG_SH_SI_E_clIS7_S7_SB_PlEESF_SV_SG_SH_SI_EUlSV_E0_NS1_11comp_targetILNS1_3genE5ELNS1_11target_archE942ELNS1_3gpuE9ELNS1_3repE0EEENS1_38merge_mergepath_config_static_selectorELNS0_4arch9wavefront6targetE1EEEvSH_
	.globl	_ZN7rocprim17ROCPRIM_400000_NS6detail17trampoline_kernelINS0_14default_configENS1_38merge_sort_block_merge_config_selectorIslEEZZNS1_27merge_sort_block_merge_implIS3_PsN6thrust23THRUST_200600_302600_NS10device_ptrIlEEjNS1_19radix_merge_compareILb0ELb1EsNS0_19identity_decomposerEEEEE10hipError_tT0_T1_T2_jT3_P12ihipStream_tbPNSt15iterator_traitsISG_E10value_typeEPNSM_ISH_E10value_typeEPSI_NS1_7vsmem_tEENKUlT_SG_SH_SI_E_clIS7_S7_SB_PlEESF_SV_SG_SH_SI_EUlSV_E0_NS1_11comp_targetILNS1_3genE5ELNS1_11target_archE942ELNS1_3gpuE9ELNS1_3repE0EEENS1_38merge_mergepath_config_static_selectorELNS0_4arch9wavefront6targetE1EEEvSH_
	.p2align	8
	.type	_ZN7rocprim17ROCPRIM_400000_NS6detail17trampoline_kernelINS0_14default_configENS1_38merge_sort_block_merge_config_selectorIslEEZZNS1_27merge_sort_block_merge_implIS3_PsN6thrust23THRUST_200600_302600_NS10device_ptrIlEEjNS1_19radix_merge_compareILb0ELb1EsNS0_19identity_decomposerEEEEE10hipError_tT0_T1_T2_jT3_P12ihipStream_tbPNSt15iterator_traitsISG_E10value_typeEPNSM_ISH_E10value_typeEPSI_NS1_7vsmem_tEENKUlT_SG_SH_SI_E_clIS7_S7_SB_PlEESF_SV_SG_SH_SI_EUlSV_E0_NS1_11comp_targetILNS1_3genE5ELNS1_11target_archE942ELNS1_3gpuE9ELNS1_3repE0EEENS1_38merge_mergepath_config_static_selectorELNS0_4arch9wavefront6targetE1EEEvSH_,@function
_ZN7rocprim17ROCPRIM_400000_NS6detail17trampoline_kernelINS0_14default_configENS1_38merge_sort_block_merge_config_selectorIslEEZZNS1_27merge_sort_block_merge_implIS3_PsN6thrust23THRUST_200600_302600_NS10device_ptrIlEEjNS1_19radix_merge_compareILb0ELb1EsNS0_19identity_decomposerEEEEE10hipError_tT0_T1_T2_jT3_P12ihipStream_tbPNSt15iterator_traitsISG_E10value_typeEPNSM_ISH_E10value_typeEPSI_NS1_7vsmem_tEENKUlT_SG_SH_SI_E_clIS7_S7_SB_PlEESF_SV_SG_SH_SI_EUlSV_E0_NS1_11comp_targetILNS1_3genE5ELNS1_11target_archE942ELNS1_3gpuE9ELNS1_3repE0EEENS1_38merge_mergepath_config_static_selectorELNS0_4arch9wavefront6targetE1EEEvSH_: ; @_ZN7rocprim17ROCPRIM_400000_NS6detail17trampoline_kernelINS0_14default_configENS1_38merge_sort_block_merge_config_selectorIslEEZZNS1_27merge_sort_block_merge_implIS3_PsN6thrust23THRUST_200600_302600_NS10device_ptrIlEEjNS1_19radix_merge_compareILb0ELb1EsNS0_19identity_decomposerEEEEE10hipError_tT0_T1_T2_jT3_P12ihipStream_tbPNSt15iterator_traitsISG_E10value_typeEPNSM_ISH_E10value_typeEPSI_NS1_7vsmem_tEENKUlT_SG_SH_SI_E_clIS7_S7_SB_PlEESF_SV_SG_SH_SI_EUlSV_E0_NS1_11comp_targetILNS1_3genE5ELNS1_11target_archE942ELNS1_3gpuE9ELNS1_3repE0EEENS1_38merge_mergepath_config_static_selectorELNS0_4arch9wavefront6targetE1EEEvSH_
; %bb.0:
	.section	.rodata,"a",@progbits
	.p2align	6, 0x0
	.amdhsa_kernel _ZN7rocprim17ROCPRIM_400000_NS6detail17trampoline_kernelINS0_14default_configENS1_38merge_sort_block_merge_config_selectorIslEEZZNS1_27merge_sort_block_merge_implIS3_PsN6thrust23THRUST_200600_302600_NS10device_ptrIlEEjNS1_19radix_merge_compareILb0ELb1EsNS0_19identity_decomposerEEEEE10hipError_tT0_T1_T2_jT3_P12ihipStream_tbPNSt15iterator_traitsISG_E10value_typeEPNSM_ISH_E10value_typeEPSI_NS1_7vsmem_tEENKUlT_SG_SH_SI_E_clIS7_S7_SB_PlEESF_SV_SG_SH_SI_EUlSV_E0_NS1_11comp_targetILNS1_3genE5ELNS1_11target_archE942ELNS1_3gpuE9ELNS1_3repE0EEENS1_38merge_mergepath_config_static_selectorELNS0_4arch9wavefront6targetE1EEEvSH_
		.amdhsa_group_segment_fixed_size 0
		.amdhsa_private_segment_fixed_size 0
		.amdhsa_kernarg_size 64
		.amdhsa_user_sgpr_count 6
		.amdhsa_user_sgpr_private_segment_buffer 1
		.amdhsa_user_sgpr_dispatch_ptr 0
		.amdhsa_user_sgpr_queue_ptr 0
		.amdhsa_user_sgpr_kernarg_segment_ptr 1
		.amdhsa_user_sgpr_dispatch_id 0
		.amdhsa_user_sgpr_flat_scratch_init 0
		.amdhsa_user_sgpr_private_segment_size 0
		.amdhsa_uses_dynamic_stack 0
		.amdhsa_system_sgpr_private_segment_wavefront_offset 0
		.amdhsa_system_sgpr_workgroup_id_x 1
		.amdhsa_system_sgpr_workgroup_id_y 0
		.amdhsa_system_sgpr_workgroup_id_z 0
		.amdhsa_system_sgpr_workgroup_info 0
		.amdhsa_system_vgpr_workitem_id 0
		.amdhsa_next_free_vgpr 1
		.amdhsa_next_free_sgpr 0
		.amdhsa_reserve_vcc 0
		.amdhsa_reserve_flat_scratch 0
		.amdhsa_float_round_mode_32 0
		.amdhsa_float_round_mode_16_64 0
		.amdhsa_float_denorm_mode_32 3
		.amdhsa_float_denorm_mode_16_64 3
		.amdhsa_dx10_clamp 1
		.amdhsa_ieee_mode 1
		.amdhsa_fp16_overflow 0
		.amdhsa_exception_fp_ieee_invalid_op 0
		.amdhsa_exception_fp_denorm_src 0
		.amdhsa_exception_fp_ieee_div_zero 0
		.amdhsa_exception_fp_ieee_overflow 0
		.amdhsa_exception_fp_ieee_underflow 0
		.amdhsa_exception_fp_ieee_inexact 0
		.amdhsa_exception_int_div_zero 0
	.end_amdhsa_kernel
	.section	.text._ZN7rocprim17ROCPRIM_400000_NS6detail17trampoline_kernelINS0_14default_configENS1_38merge_sort_block_merge_config_selectorIslEEZZNS1_27merge_sort_block_merge_implIS3_PsN6thrust23THRUST_200600_302600_NS10device_ptrIlEEjNS1_19radix_merge_compareILb0ELb1EsNS0_19identity_decomposerEEEEE10hipError_tT0_T1_T2_jT3_P12ihipStream_tbPNSt15iterator_traitsISG_E10value_typeEPNSM_ISH_E10value_typeEPSI_NS1_7vsmem_tEENKUlT_SG_SH_SI_E_clIS7_S7_SB_PlEESF_SV_SG_SH_SI_EUlSV_E0_NS1_11comp_targetILNS1_3genE5ELNS1_11target_archE942ELNS1_3gpuE9ELNS1_3repE0EEENS1_38merge_mergepath_config_static_selectorELNS0_4arch9wavefront6targetE1EEEvSH_,"axG",@progbits,_ZN7rocprim17ROCPRIM_400000_NS6detail17trampoline_kernelINS0_14default_configENS1_38merge_sort_block_merge_config_selectorIslEEZZNS1_27merge_sort_block_merge_implIS3_PsN6thrust23THRUST_200600_302600_NS10device_ptrIlEEjNS1_19radix_merge_compareILb0ELb1EsNS0_19identity_decomposerEEEEE10hipError_tT0_T1_T2_jT3_P12ihipStream_tbPNSt15iterator_traitsISG_E10value_typeEPNSM_ISH_E10value_typeEPSI_NS1_7vsmem_tEENKUlT_SG_SH_SI_E_clIS7_S7_SB_PlEESF_SV_SG_SH_SI_EUlSV_E0_NS1_11comp_targetILNS1_3genE5ELNS1_11target_archE942ELNS1_3gpuE9ELNS1_3repE0EEENS1_38merge_mergepath_config_static_selectorELNS0_4arch9wavefront6targetE1EEEvSH_,comdat
.Lfunc_end1366:
	.size	_ZN7rocprim17ROCPRIM_400000_NS6detail17trampoline_kernelINS0_14default_configENS1_38merge_sort_block_merge_config_selectorIslEEZZNS1_27merge_sort_block_merge_implIS3_PsN6thrust23THRUST_200600_302600_NS10device_ptrIlEEjNS1_19radix_merge_compareILb0ELb1EsNS0_19identity_decomposerEEEEE10hipError_tT0_T1_T2_jT3_P12ihipStream_tbPNSt15iterator_traitsISG_E10value_typeEPNSM_ISH_E10value_typeEPSI_NS1_7vsmem_tEENKUlT_SG_SH_SI_E_clIS7_S7_SB_PlEESF_SV_SG_SH_SI_EUlSV_E0_NS1_11comp_targetILNS1_3genE5ELNS1_11target_archE942ELNS1_3gpuE9ELNS1_3repE0EEENS1_38merge_mergepath_config_static_selectorELNS0_4arch9wavefront6targetE1EEEvSH_, .Lfunc_end1366-_ZN7rocprim17ROCPRIM_400000_NS6detail17trampoline_kernelINS0_14default_configENS1_38merge_sort_block_merge_config_selectorIslEEZZNS1_27merge_sort_block_merge_implIS3_PsN6thrust23THRUST_200600_302600_NS10device_ptrIlEEjNS1_19radix_merge_compareILb0ELb1EsNS0_19identity_decomposerEEEEE10hipError_tT0_T1_T2_jT3_P12ihipStream_tbPNSt15iterator_traitsISG_E10value_typeEPNSM_ISH_E10value_typeEPSI_NS1_7vsmem_tEENKUlT_SG_SH_SI_E_clIS7_S7_SB_PlEESF_SV_SG_SH_SI_EUlSV_E0_NS1_11comp_targetILNS1_3genE5ELNS1_11target_archE942ELNS1_3gpuE9ELNS1_3repE0EEENS1_38merge_mergepath_config_static_selectorELNS0_4arch9wavefront6targetE1EEEvSH_
                                        ; -- End function
	.set _ZN7rocprim17ROCPRIM_400000_NS6detail17trampoline_kernelINS0_14default_configENS1_38merge_sort_block_merge_config_selectorIslEEZZNS1_27merge_sort_block_merge_implIS3_PsN6thrust23THRUST_200600_302600_NS10device_ptrIlEEjNS1_19radix_merge_compareILb0ELb1EsNS0_19identity_decomposerEEEEE10hipError_tT0_T1_T2_jT3_P12ihipStream_tbPNSt15iterator_traitsISG_E10value_typeEPNSM_ISH_E10value_typeEPSI_NS1_7vsmem_tEENKUlT_SG_SH_SI_E_clIS7_S7_SB_PlEESF_SV_SG_SH_SI_EUlSV_E0_NS1_11comp_targetILNS1_3genE5ELNS1_11target_archE942ELNS1_3gpuE9ELNS1_3repE0EEENS1_38merge_mergepath_config_static_selectorELNS0_4arch9wavefront6targetE1EEEvSH_.num_vgpr, 0
	.set _ZN7rocprim17ROCPRIM_400000_NS6detail17trampoline_kernelINS0_14default_configENS1_38merge_sort_block_merge_config_selectorIslEEZZNS1_27merge_sort_block_merge_implIS3_PsN6thrust23THRUST_200600_302600_NS10device_ptrIlEEjNS1_19radix_merge_compareILb0ELb1EsNS0_19identity_decomposerEEEEE10hipError_tT0_T1_T2_jT3_P12ihipStream_tbPNSt15iterator_traitsISG_E10value_typeEPNSM_ISH_E10value_typeEPSI_NS1_7vsmem_tEENKUlT_SG_SH_SI_E_clIS7_S7_SB_PlEESF_SV_SG_SH_SI_EUlSV_E0_NS1_11comp_targetILNS1_3genE5ELNS1_11target_archE942ELNS1_3gpuE9ELNS1_3repE0EEENS1_38merge_mergepath_config_static_selectorELNS0_4arch9wavefront6targetE1EEEvSH_.num_agpr, 0
	.set _ZN7rocprim17ROCPRIM_400000_NS6detail17trampoline_kernelINS0_14default_configENS1_38merge_sort_block_merge_config_selectorIslEEZZNS1_27merge_sort_block_merge_implIS3_PsN6thrust23THRUST_200600_302600_NS10device_ptrIlEEjNS1_19radix_merge_compareILb0ELb1EsNS0_19identity_decomposerEEEEE10hipError_tT0_T1_T2_jT3_P12ihipStream_tbPNSt15iterator_traitsISG_E10value_typeEPNSM_ISH_E10value_typeEPSI_NS1_7vsmem_tEENKUlT_SG_SH_SI_E_clIS7_S7_SB_PlEESF_SV_SG_SH_SI_EUlSV_E0_NS1_11comp_targetILNS1_3genE5ELNS1_11target_archE942ELNS1_3gpuE9ELNS1_3repE0EEENS1_38merge_mergepath_config_static_selectorELNS0_4arch9wavefront6targetE1EEEvSH_.numbered_sgpr, 0
	.set _ZN7rocprim17ROCPRIM_400000_NS6detail17trampoline_kernelINS0_14default_configENS1_38merge_sort_block_merge_config_selectorIslEEZZNS1_27merge_sort_block_merge_implIS3_PsN6thrust23THRUST_200600_302600_NS10device_ptrIlEEjNS1_19radix_merge_compareILb0ELb1EsNS0_19identity_decomposerEEEEE10hipError_tT0_T1_T2_jT3_P12ihipStream_tbPNSt15iterator_traitsISG_E10value_typeEPNSM_ISH_E10value_typeEPSI_NS1_7vsmem_tEENKUlT_SG_SH_SI_E_clIS7_S7_SB_PlEESF_SV_SG_SH_SI_EUlSV_E0_NS1_11comp_targetILNS1_3genE5ELNS1_11target_archE942ELNS1_3gpuE9ELNS1_3repE0EEENS1_38merge_mergepath_config_static_selectorELNS0_4arch9wavefront6targetE1EEEvSH_.num_named_barrier, 0
	.set _ZN7rocprim17ROCPRIM_400000_NS6detail17trampoline_kernelINS0_14default_configENS1_38merge_sort_block_merge_config_selectorIslEEZZNS1_27merge_sort_block_merge_implIS3_PsN6thrust23THRUST_200600_302600_NS10device_ptrIlEEjNS1_19radix_merge_compareILb0ELb1EsNS0_19identity_decomposerEEEEE10hipError_tT0_T1_T2_jT3_P12ihipStream_tbPNSt15iterator_traitsISG_E10value_typeEPNSM_ISH_E10value_typeEPSI_NS1_7vsmem_tEENKUlT_SG_SH_SI_E_clIS7_S7_SB_PlEESF_SV_SG_SH_SI_EUlSV_E0_NS1_11comp_targetILNS1_3genE5ELNS1_11target_archE942ELNS1_3gpuE9ELNS1_3repE0EEENS1_38merge_mergepath_config_static_selectorELNS0_4arch9wavefront6targetE1EEEvSH_.private_seg_size, 0
	.set _ZN7rocprim17ROCPRIM_400000_NS6detail17trampoline_kernelINS0_14default_configENS1_38merge_sort_block_merge_config_selectorIslEEZZNS1_27merge_sort_block_merge_implIS3_PsN6thrust23THRUST_200600_302600_NS10device_ptrIlEEjNS1_19radix_merge_compareILb0ELb1EsNS0_19identity_decomposerEEEEE10hipError_tT0_T1_T2_jT3_P12ihipStream_tbPNSt15iterator_traitsISG_E10value_typeEPNSM_ISH_E10value_typeEPSI_NS1_7vsmem_tEENKUlT_SG_SH_SI_E_clIS7_S7_SB_PlEESF_SV_SG_SH_SI_EUlSV_E0_NS1_11comp_targetILNS1_3genE5ELNS1_11target_archE942ELNS1_3gpuE9ELNS1_3repE0EEENS1_38merge_mergepath_config_static_selectorELNS0_4arch9wavefront6targetE1EEEvSH_.uses_vcc, 0
	.set _ZN7rocprim17ROCPRIM_400000_NS6detail17trampoline_kernelINS0_14default_configENS1_38merge_sort_block_merge_config_selectorIslEEZZNS1_27merge_sort_block_merge_implIS3_PsN6thrust23THRUST_200600_302600_NS10device_ptrIlEEjNS1_19radix_merge_compareILb0ELb1EsNS0_19identity_decomposerEEEEE10hipError_tT0_T1_T2_jT3_P12ihipStream_tbPNSt15iterator_traitsISG_E10value_typeEPNSM_ISH_E10value_typeEPSI_NS1_7vsmem_tEENKUlT_SG_SH_SI_E_clIS7_S7_SB_PlEESF_SV_SG_SH_SI_EUlSV_E0_NS1_11comp_targetILNS1_3genE5ELNS1_11target_archE942ELNS1_3gpuE9ELNS1_3repE0EEENS1_38merge_mergepath_config_static_selectorELNS0_4arch9wavefront6targetE1EEEvSH_.uses_flat_scratch, 0
	.set _ZN7rocprim17ROCPRIM_400000_NS6detail17trampoline_kernelINS0_14default_configENS1_38merge_sort_block_merge_config_selectorIslEEZZNS1_27merge_sort_block_merge_implIS3_PsN6thrust23THRUST_200600_302600_NS10device_ptrIlEEjNS1_19radix_merge_compareILb0ELb1EsNS0_19identity_decomposerEEEEE10hipError_tT0_T1_T2_jT3_P12ihipStream_tbPNSt15iterator_traitsISG_E10value_typeEPNSM_ISH_E10value_typeEPSI_NS1_7vsmem_tEENKUlT_SG_SH_SI_E_clIS7_S7_SB_PlEESF_SV_SG_SH_SI_EUlSV_E0_NS1_11comp_targetILNS1_3genE5ELNS1_11target_archE942ELNS1_3gpuE9ELNS1_3repE0EEENS1_38merge_mergepath_config_static_selectorELNS0_4arch9wavefront6targetE1EEEvSH_.has_dyn_sized_stack, 0
	.set _ZN7rocprim17ROCPRIM_400000_NS6detail17trampoline_kernelINS0_14default_configENS1_38merge_sort_block_merge_config_selectorIslEEZZNS1_27merge_sort_block_merge_implIS3_PsN6thrust23THRUST_200600_302600_NS10device_ptrIlEEjNS1_19radix_merge_compareILb0ELb1EsNS0_19identity_decomposerEEEEE10hipError_tT0_T1_T2_jT3_P12ihipStream_tbPNSt15iterator_traitsISG_E10value_typeEPNSM_ISH_E10value_typeEPSI_NS1_7vsmem_tEENKUlT_SG_SH_SI_E_clIS7_S7_SB_PlEESF_SV_SG_SH_SI_EUlSV_E0_NS1_11comp_targetILNS1_3genE5ELNS1_11target_archE942ELNS1_3gpuE9ELNS1_3repE0EEENS1_38merge_mergepath_config_static_selectorELNS0_4arch9wavefront6targetE1EEEvSH_.has_recursion, 0
	.set _ZN7rocprim17ROCPRIM_400000_NS6detail17trampoline_kernelINS0_14default_configENS1_38merge_sort_block_merge_config_selectorIslEEZZNS1_27merge_sort_block_merge_implIS3_PsN6thrust23THRUST_200600_302600_NS10device_ptrIlEEjNS1_19radix_merge_compareILb0ELb1EsNS0_19identity_decomposerEEEEE10hipError_tT0_T1_T2_jT3_P12ihipStream_tbPNSt15iterator_traitsISG_E10value_typeEPNSM_ISH_E10value_typeEPSI_NS1_7vsmem_tEENKUlT_SG_SH_SI_E_clIS7_S7_SB_PlEESF_SV_SG_SH_SI_EUlSV_E0_NS1_11comp_targetILNS1_3genE5ELNS1_11target_archE942ELNS1_3gpuE9ELNS1_3repE0EEENS1_38merge_mergepath_config_static_selectorELNS0_4arch9wavefront6targetE1EEEvSH_.has_indirect_call, 0
	.section	.AMDGPU.csdata,"",@progbits
; Kernel info:
; codeLenInByte = 0
; TotalNumSgprs: 4
; NumVgprs: 0
; ScratchSize: 0
; MemoryBound: 0
; FloatMode: 240
; IeeeMode: 1
; LDSByteSize: 0 bytes/workgroup (compile time only)
; SGPRBlocks: 0
; VGPRBlocks: 0
; NumSGPRsForWavesPerEU: 4
; NumVGPRsForWavesPerEU: 1
; Occupancy: 10
; WaveLimiterHint : 0
; COMPUTE_PGM_RSRC2:SCRATCH_EN: 0
; COMPUTE_PGM_RSRC2:USER_SGPR: 6
; COMPUTE_PGM_RSRC2:TRAP_HANDLER: 0
; COMPUTE_PGM_RSRC2:TGID_X_EN: 1
; COMPUTE_PGM_RSRC2:TGID_Y_EN: 0
; COMPUTE_PGM_RSRC2:TGID_Z_EN: 0
; COMPUTE_PGM_RSRC2:TIDIG_COMP_CNT: 0
	.section	.text._ZN7rocprim17ROCPRIM_400000_NS6detail17trampoline_kernelINS0_14default_configENS1_38merge_sort_block_merge_config_selectorIslEEZZNS1_27merge_sort_block_merge_implIS3_PsN6thrust23THRUST_200600_302600_NS10device_ptrIlEEjNS1_19radix_merge_compareILb0ELb1EsNS0_19identity_decomposerEEEEE10hipError_tT0_T1_T2_jT3_P12ihipStream_tbPNSt15iterator_traitsISG_E10value_typeEPNSM_ISH_E10value_typeEPSI_NS1_7vsmem_tEENKUlT_SG_SH_SI_E_clIS7_S7_SB_PlEESF_SV_SG_SH_SI_EUlSV_E0_NS1_11comp_targetILNS1_3genE4ELNS1_11target_archE910ELNS1_3gpuE8ELNS1_3repE0EEENS1_38merge_mergepath_config_static_selectorELNS0_4arch9wavefront6targetE1EEEvSH_,"axG",@progbits,_ZN7rocprim17ROCPRIM_400000_NS6detail17trampoline_kernelINS0_14default_configENS1_38merge_sort_block_merge_config_selectorIslEEZZNS1_27merge_sort_block_merge_implIS3_PsN6thrust23THRUST_200600_302600_NS10device_ptrIlEEjNS1_19radix_merge_compareILb0ELb1EsNS0_19identity_decomposerEEEEE10hipError_tT0_T1_T2_jT3_P12ihipStream_tbPNSt15iterator_traitsISG_E10value_typeEPNSM_ISH_E10value_typeEPSI_NS1_7vsmem_tEENKUlT_SG_SH_SI_E_clIS7_S7_SB_PlEESF_SV_SG_SH_SI_EUlSV_E0_NS1_11comp_targetILNS1_3genE4ELNS1_11target_archE910ELNS1_3gpuE8ELNS1_3repE0EEENS1_38merge_mergepath_config_static_selectorELNS0_4arch9wavefront6targetE1EEEvSH_,comdat
	.protected	_ZN7rocprim17ROCPRIM_400000_NS6detail17trampoline_kernelINS0_14default_configENS1_38merge_sort_block_merge_config_selectorIslEEZZNS1_27merge_sort_block_merge_implIS3_PsN6thrust23THRUST_200600_302600_NS10device_ptrIlEEjNS1_19radix_merge_compareILb0ELb1EsNS0_19identity_decomposerEEEEE10hipError_tT0_T1_T2_jT3_P12ihipStream_tbPNSt15iterator_traitsISG_E10value_typeEPNSM_ISH_E10value_typeEPSI_NS1_7vsmem_tEENKUlT_SG_SH_SI_E_clIS7_S7_SB_PlEESF_SV_SG_SH_SI_EUlSV_E0_NS1_11comp_targetILNS1_3genE4ELNS1_11target_archE910ELNS1_3gpuE8ELNS1_3repE0EEENS1_38merge_mergepath_config_static_selectorELNS0_4arch9wavefront6targetE1EEEvSH_ ; -- Begin function _ZN7rocprim17ROCPRIM_400000_NS6detail17trampoline_kernelINS0_14default_configENS1_38merge_sort_block_merge_config_selectorIslEEZZNS1_27merge_sort_block_merge_implIS3_PsN6thrust23THRUST_200600_302600_NS10device_ptrIlEEjNS1_19radix_merge_compareILb0ELb1EsNS0_19identity_decomposerEEEEE10hipError_tT0_T1_T2_jT3_P12ihipStream_tbPNSt15iterator_traitsISG_E10value_typeEPNSM_ISH_E10value_typeEPSI_NS1_7vsmem_tEENKUlT_SG_SH_SI_E_clIS7_S7_SB_PlEESF_SV_SG_SH_SI_EUlSV_E0_NS1_11comp_targetILNS1_3genE4ELNS1_11target_archE910ELNS1_3gpuE8ELNS1_3repE0EEENS1_38merge_mergepath_config_static_selectorELNS0_4arch9wavefront6targetE1EEEvSH_
	.globl	_ZN7rocprim17ROCPRIM_400000_NS6detail17trampoline_kernelINS0_14default_configENS1_38merge_sort_block_merge_config_selectorIslEEZZNS1_27merge_sort_block_merge_implIS3_PsN6thrust23THRUST_200600_302600_NS10device_ptrIlEEjNS1_19radix_merge_compareILb0ELb1EsNS0_19identity_decomposerEEEEE10hipError_tT0_T1_T2_jT3_P12ihipStream_tbPNSt15iterator_traitsISG_E10value_typeEPNSM_ISH_E10value_typeEPSI_NS1_7vsmem_tEENKUlT_SG_SH_SI_E_clIS7_S7_SB_PlEESF_SV_SG_SH_SI_EUlSV_E0_NS1_11comp_targetILNS1_3genE4ELNS1_11target_archE910ELNS1_3gpuE8ELNS1_3repE0EEENS1_38merge_mergepath_config_static_selectorELNS0_4arch9wavefront6targetE1EEEvSH_
	.p2align	8
	.type	_ZN7rocprim17ROCPRIM_400000_NS6detail17trampoline_kernelINS0_14default_configENS1_38merge_sort_block_merge_config_selectorIslEEZZNS1_27merge_sort_block_merge_implIS3_PsN6thrust23THRUST_200600_302600_NS10device_ptrIlEEjNS1_19radix_merge_compareILb0ELb1EsNS0_19identity_decomposerEEEEE10hipError_tT0_T1_T2_jT3_P12ihipStream_tbPNSt15iterator_traitsISG_E10value_typeEPNSM_ISH_E10value_typeEPSI_NS1_7vsmem_tEENKUlT_SG_SH_SI_E_clIS7_S7_SB_PlEESF_SV_SG_SH_SI_EUlSV_E0_NS1_11comp_targetILNS1_3genE4ELNS1_11target_archE910ELNS1_3gpuE8ELNS1_3repE0EEENS1_38merge_mergepath_config_static_selectorELNS0_4arch9wavefront6targetE1EEEvSH_,@function
_ZN7rocprim17ROCPRIM_400000_NS6detail17trampoline_kernelINS0_14default_configENS1_38merge_sort_block_merge_config_selectorIslEEZZNS1_27merge_sort_block_merge_implIS3_PsN6thrust23THRUST_200600_302600_NS10device_ptrIlEEjNS1_19radix_merge_compareILb0ELb1EsNS0_19identity_decomposerEEEEE10hipError_tT0_T1_T2_jT3_P12ihipStream_tbPNSt15iterator_traitsISG_E10value_typeEPNSM_ISH_E10value_typeEPSI_NS1_7vsmem_tEENKUlT_SG_SH_SI_E_clIS7_S7_SB_PlEESF_SV_SG_SH_SI_EUlSV_E0_NS1_11comp_targetILNS1_3genE4ELNS1_11target_archE910ELNS1_3gpuE8ELNS1_3repE0EEENS1_38merge_mergepath_config_static_selectorELNS0_4arch9wavefront6targetE1EEEvSH_: ; @_ZN7rocprim17ROCPRIM_400000_NS6detail17trampoline_kernelINS0_14default_configENS1_38merge_sort_block_merge_config_selectorIslEEZZNS1_27merge_sort_block_merge_implIS3_PsN6thrust23THRUST_200600_302600_NS10device_ptrIlEEjNS1_19radix_merge_compareILb0ELb1EsNS0_19identity_decomposerEEEEE10hipError_tT0_T1_T2_jT3_P12ihipStream_tbPNSt15iterator_traitsISG_E10value_typeEPNSM_ISH_E10value_typeEPSI_NS1_7vsmem_tEENKUlT_SG_SH_SI_E_clIS7_S7_SB_PlEESF_SV_SG_SH_SI_EUlSV_E0_NS1_11comp_targetILNS1_3genE4ELNS1_11target_archE910ELNS1_3gpuE8ELNS1_3repE0EEENS1_38merge_mergepath_config_static_selectorELNS0_4arch9wavefront6targetE1EEEvSH_
; %bb.0:
	.section	.rodata,"a",@progbits
	.p2align	6, 0x0
	.amdhsa_kernel _ZN7rocprim17ROCPRIM_400000_NS6detail17trampoline_kernelINS0_14default_configENS1_38merge_sort_block_merge_config_selectorIslEEZZNS1_27merge_sort_block_merge_implIS3_PsN6thrust23THRUST_200600_302600_NS10device_ptrIlEEjNS1_19radix_merge_compareILb0ELb1EsNS0_19identity_decomposerEEEEE10hipError_tT0_T1_T2_jT3_P12ihipStream_tbPNSt15iterator_traitsISG_E10value_typeEPNSM_ISH_E10value_typeEPSI_NS1_7vsmem_tEENKUlT_SG_SH_SI_E_clIS7_S7_SB_PlEESF_SV_SG_SH_SI_EUlSV_E0_NS1_11comp_targetILNS1_3genE4ELNS1_11target_archE910ELNS1_3gpuE8ELNS1_3repE0EEENS1_38merge_mergepath_config_static_selectorELNS0_4arch9wavefront6targetE1EEEvSH_
		.amdhsa_group_segment_fixed_size 0
		.amdhsa_private_segment_fixed_size 0
		.amdhsa_kernarg_size 64
		.amdhsa_user_sgpr_count 6
		.amdhsa_user_sgpr_private_segment_buffer 1
		.amdhsa_user_sgpr_dispatch_ptr 0
		.amdhsa_user_sgpr_queue_ptr 0
		.amdhsa_user_sgpr_kernarg_segment_ptr 1
		.amdhsa_user_sgpr_dispatch_id 0
		.amdhsa_user_sgpr_flat_scratch_init 0
		.amdhsa_user_sgpr_private_segment_size 0
		.amdhsa_uses_dynamic_stack 0
		.amdhsa_system_sgpr_private_segment_wavefront_offset 0
		.amdhsa_system_sgpr_workgroup_id_x 1
		.amdhsa_system_sgpr_workgroup_id_y 0
		.amdhsa_system_sgpr_workgroup_id_z 0
		.amdhsa_system_sgpr_workgroup_info 0
		.amdhsa_system_vgpr_workitem_id 0
		.amdhsa_next_free_vgpr 1
		.amdhsa_next_free_sgpr 0
		.amdhsa_reserve_vcc 0
		.amdhsa_reserve_flat_scratch 0
		.amdhsa_float_round_mode_32 0
		.amdhsa_float_round_mode_16_64 0
		.amdhsa_float_denorm_mode_32 3
		.amdhsa_float_denorm_mode_16_64 3
		.amdhsa_dx10_clamp 1
		.amdhsa_ieee_mode 1
		.amdhsa_fp16_overflow 0
		.amdhsa_exception_fp_ieee_invalid_op 0
		.amdhsa_exception_fp_denorm_src 0
		.amdhsa_exception_fp_ieee_div_zero 0
		.amdhsa_exception_fp_ieee_overflow 0
		.amdhsa_exception_fp_ieee_underflow 0
		.amdhsa_exception_fp_ieee_inexact 0
		.amdhsa_exception_int_div_zero 0
	.end_amdhsa_kernel
	.section	.text._ZN7rocprim17ROCPRIM_400000_NS6detail17trampoline_kernelINS0_14default_configENS1_38merge_sort_block_merge_config_selectorIslEEZZNS1_27merge_sort_block_merge_implIS3_PsN6thrust23THRUST_200600_302600_NS10device_ptrIlEEjNS1_19radix_merge_compareILb0ELb1EsNS0_19identity_decomposerEEEEE10hipError_tT0_T1_T2_jT3_P12ihipStream_tbPNSt15iterator_traitsISG_E10value_typeEPNSM_ISH_E10value_typeEPSI_NS1_7vsmem_tEENKUlT_SG_SH_SI_E_clIS7_S7_SB_PlEESF_SV_SG_SH_SI_EUlSV_E0_NS1_11comp_targetILNS1_3genE4ELNS1_11target_archE910ELNS1_3gpuE8ELNS1_3repE0EEENS1_38merge_mergepath_config_static_selectorELNS0_4arch9wavefront6targetE1EEEvSH_,"axG",@progbits,_ZN7rocprim17ROCPRIM_400000_NS6detail17trampoline_kernelINS0_14default_configENS1_38merge_sort_block_merge_config_selectorIslEEZZNS1_27merge_sort_block_merge_implIS3_PsN6thrust23THRUST_200600_302600_NS10device_ptrIlEEjNS1_19radix_merge_compareILb0ELb1EsNS0_19identity_decomposerEEEEE10hipError_tT0_T1_T2_jT3_P12ihipStream_tbPNSt15iterator_traitsISG_E10value_typeEPNSM_ISH_E10value_typeEPSI_NS1_7vsmem_tEENKUlT_SG_SH_SI_E_clIS7_S7_SB_PlEESF_SV_SG_SH_SI_EUlSV_E0_NS1_11comp_targetILNS1_3genE4ELNS1_11target_archE910ELNS1_3gpuE8ELNS1_3repE0EEENS1_38merge_mergepath_config_static_selectorELNS0_4arch9wavefront6targetE1EEEvSH_,comdat
.Lfunc_end1367:
	.size	_ZN7rocprim17ROCPRIM_400000_NS6detail17trampoline_kernelINS0_14default_configENS1_38merge_sort_block_merge_config_selectorIslEEZZNS1_27merge_sort_block_merge_implIS3_PsN6thrust23THRUST_200600_302600_NS10device_ptrIlEEjNS1_19radix_merge_compareILb0ELb1EsNS0_19identity_decomposerEEEEE10hipError_tT0_T1_T2_jT3_P12ihipStream_tbPNSt15iterator_traitsISG_E10value_typeEPNSM_ISH_E10value_typeEPSI_NS1_7vsmem_tEENKUlT_SG_SH_SI_E_clIS7_S7_SB_PlEESF_SV_SG_SH_SI_EUlSV_E0_NS1_11comp_targetILNS1_3genE4ELNS1_11target_archE910ELNS1_3gpuE8ELNS1_3repE0EEENS1_38merge_mergepath_config_static_selectorELNS0_4arch9wavefront6targetE1EEEvSH_, .Lfunc_end1367-_ZN7rocprim17ROCPRIM_400000_NS6detail17trampoline_kernelINS0_14default_configENS1_38merge_sort_block_merge_config_selectorIslEEZZNS1_27merge_sort_block_merge_implIS3_PsN6thrust23THRUST_200600_302600_NS10device_ptrIlEEjNS1_19radix_merge_compareILb0ELb1EsNS0_19identity_decomposerEEEEE10hipError_tT0_T1_T2_jT3_P12ihipStream_tbPNSt15iterator_traitsISG_E10value_typeEPNSM_ISH_E10value_typeEPSI_NS1_7vsmem_tEENKUlT_SG_SH_SI_E_clIS7_S7_SB_PlEESF_SV_SG_SH_SI_EUlSV_E0_NS1_11comp_targetILNS1_3genE4ELNS1_11target_archE910ELNS1_3gpuE8ELNS1_3repE0EEENS1_38merge_mergepath_config_static_selectorELNS0_4arch9wavefront6targetE1EEEvSH_
                                        ; -- End function
	.set _ZN7rocprim17ROCPRIM_400000_NS6detail17trampoline_kernelINS0_14default_configENS1_38merge_sort_block_merge_config_selectorIslEEZZNS1_27merge_sort_block_merge_implIS3_PsN6thrust23THRUST_200600_302600_NS10device_ptrIlEEjNS1_19radix_merge_compareILb0ELb1EsNS0_19identity_decomposerEEEEE10hipError_tT0_T1_T2_jT3_P12ihipStream_tbPNSt15iterator_traitsISG_E10value_typeEPNSM_ISH_E10value_typeEPSI_NS1_7vsmem_tEENKUlT_SG_SH_SI_E_clIS7_S7_SB_PlEESF_SV_SG_SH_SI_EUlSV_E0_NS1_11comp_targetILNS1_3genE4ELNS1_11target_archE910ELNS1_3gpuE8ELNS1_3repE0EEENS1_38merge_mergepath_config_static_selectorELNS0_4arch9wavefront6targetE1EEEvSH_.num_vgpr, 0
	.set _ZN7rocprim17ROCPRIM_400000_NS6detail17trampoline_kernelINS0_14default_configENS1_38merge_sort_block_merge_config_selectorIslEEZZNS1_27merge_sort_block_merge_implIS3_PsN6thrust23THRUST_200600_302600_NS10device_ptrIlEEjNS1_19radix_merge_compareILb0ELb1EsNS0_19identity_decomposerEEEEE10hipError_tT0_T1_T2_jT3_P12ihipStream_tbPNSt15iterator_traitsISG_E10value_typeEPNSM_ISH_E10value_typeEPSI_NS1_7vsmem_tEENKUlT_SG_SH_SI_E_clIS7_S7_SB_PlEESF_SV_SG_SH_SI_EUlSV_E0_NS1_11comp_targetILNS1_3genE4ELNS1_11target_archE910ELNS1_3gpuE8ELNS1_3repE0EEENS1_38merge_mergepath_config_static_selectorELNS0_4arch9wavefront6targetE1EEEvSH_.num_agpr, 0
	.set _ZN7rocprim17ROCPRIM_400000_NS6detail17trampoline_kernelINS0_14default_configENS1_38merge_sort_block_merge_config_selectorIslEEZZNS1_27merge_sort_block_merge_implIS3_PsN6thrust23THRUST_200600_302600_NS10device_ptrIlEEjNS1_19radix_merge_compareILb0ELb1EsNS0_19identity_decomposerEEEEE10hipError_tT0_T1_T2_jT3_P12ihipStream_tbPNSt15iterator_traitsISG_E10value_typeEPNSM_ISH_E10value_typeEPSI_NS1_7vsmem_tEENKUlT_SG_SH_SI_E_clIS7_S7_SB_PlEESF_SV_SG_SH_SI_EUlSV_E0_NS1_11comp_targetILNS1_3genE4ELNS1_11target_archE910ELNS1_3gpuE8ELNS1_3repE0EEENS1_38merge_mergepath_config_static_selectorELNS0_4arch9wavefront6targetE1EEEvSH_.numbered_sgpr, 0
	.set _ZN7rocprim17ROCPRIM_400000_NS6detail17trampoline_kernelINS0_14default_configENS1_38merge_sort_block_merge_config_selectorIslEEZZNS1_27merge_sort_block_merge_implIS3_PsN6thrust23THRUST_200600_302600_NS10device_ptrIlEEjNS1_19radix_merge_compareILb0ELb1EsNS0_19identity_decomposerEEEEE10hipError_tT0_T1_T2_jT3_P12ihipStream_tbPNSt15iterator_traitsISG_E10value_typeEPNSM_ISH_E10value_typeEPSI_NS1_7vsmem_tEENKUlT_SG_SH_SI_E_clIS7_S7_SB_PlEESF_SV_SG_SH_SI_EUlSV_E0_NS1_11comp_targetILNS1_3genE4ELNS1_11target_archE910ELNS1_3gpuE8ELNS1_3repE0EEENS1_38merge_mergepath_config_static_selectorELNS0_4arch9wavefront6targetE1EEEvSH_.num_named_barrier, 0
	.set _ZN7rocprim17ROCPRIM_400000_NS6detail17trampoline_kernelINS0_14default_configENS1_38merge_sort_block_merge_config_selectorIslEEZZNS1_27merge_sort_block_merge_implIS3_PsN6thrust23THRUST_200600_302600_NS10device_ptrIlEEjNS1_19radix_merge_compareILb0ELb1EsNS0_19identity_decomposerEEEEE10hipError_tT0_T1_T2_jT3_P12ihipStream_tbPNSt15iterator_traitsISG_E10value_typeEPNSM_ISH_E10value_typeEPSI_NS1_7vsmem_tEENKUlT_SG_SH_SI_E_clIS7_S7_SB_PlEESF_SV_SG_SH_SI_EUlSV_E0_NS1_11comp_targetILNS1_3genE4ELNS1_11target_archE910ELNS1_3gpuE8ELNS1_3repE0EEENS1_38merge_mergepath_config_static_selectorELNS0_4arch9wavefront6targetE1EEEvSH_.private_seg_size, 0
	.set _ZN7rocprim17ROCPRIM_400000_NS6detail17trampoline_kernelINS0_14default_configENS1_38merge_sort_block_merge_config_selectorIslEEZZNS1_27merge_sort_block_merge_implIS3_PsN6thrust23THRUST_200600_302600_NS10device_ptrIlEEjNS1_19radix_merge_compareILb0ELb1EsNS0_19identity_decomposerEEEEE10hipError_tT0_T1_T2_jT3_P12ihipStream_tbPNSt15iterator_traitsISG_E10value_typeEPNSM_ISH_E10value_typeEPSI_NS1_7vsmem_tEENKUlT_SG_SH_SI_E_clIS7_S7_SB_PlEESF_SV_SG_SH_SI_EUlSV_E0_NS1_11comp_targetILNS1_3genE4ELNS1_11target_archE910ELNS1_3gpuE8ELNS1_3repE0EEENS1_38merge_mergepath_config_static_selectorELNS0_4arch9wavefront6targetE1EEEvSH_.uses_vcc, 0
	.set _ZN7rocprim17ROCPRIM_400000_NS6detail17trampoline_kernelINS0_14default_configENS1_38merge_sort_block_merge_config_selectorIslEEZZNS1_27merge_sort_block_merge_implIS3_PsN6thrust23THRUST_200600_302600_NS10device_ptrIlEEjNS1_19radix_merge_compareILb0ELb1EsNS0_19identity_decomposerEEEEE10hipError_tT0_T1_T2_jT3_P12ihipStream_tbPNSt15iterator_traitsISG_E10value_typeEPNSM_ISH_E10value_typeEPSI_NS1_7vsmem_tEENKUlT_SG_SH_SI_E_clIS7_S7_SB_PlEESF_SV_SG_SH_SI_EUlSV_E0_NS1_11comp_targetILNS1_3genE4ELNS1_11target_archE910ELNS1_3gpuE8ELNS1_3repE0EEENS1_38merge_mergepath_config_static_selectorELNS0_4arch9wavefront6targetE1EEEvSH_.uses_flat_scratch, 0
	.set _ZN7rocprim17ROCPRIM_400000_NS6detail17trampoline_kernelINS0_14default_configENS1_38merge_sort_block_merge_config_selectorIslEEZZNS1_27merge_sort_block_merge_implIS3_PsN6thrust23THRUST_200600_302600_NS10device_ptrIlEEjNS1_19radix_merge_compareILb0ELb1EsNS0_19identity_decomposerEEEEE10hipError_tT0_T1_T2_jT3_P12ihipStream_tbPNSt15iterator_traitsISG_E10value_typeEPNSM_ISH_E10value_typeEPSI_NS1_7vsmem_tEENKUlT_SG_SH_SI_E_clIS7_S7_SB_PlEESF_SV_SG_SH_SI_EUlSV_E0_NS1_11comp_targetILNS1_3genE4ELNS1_11target_archE910ELNS1_3gpuE8ELNS1_3repE0EEENS1_38merge_mergepath_config_static_selectorELNS0_4arch9wavefront6targetE1EEEvSH_.has_dyn_sized_stack, 0
	.set _ZN7rocprim17ROCPRIM_400000_NS6detail17trampoline_kernelINS0_14default_configENS1_38merge_sort_block_merge_config_selectorIslEEZZNS1_27merge_sort_block_merge_implIS3_PsN6thrust23THRUST_200600_302600_NS10device_ptrIlEEjNS1_19radix_merge_compareILb0ELb1EsNS0_19identity_decomposerEEEEE10hipError_tT0_T1_T2_jT3_P12ihipStream_tbPNSt15iterator_traitsISG_E10value_typeEPNSM_ISH_E10value_typeEPSI_NS1_7vsmem_tEENKUlT_SG_SH_SI_E_clIS7_S7_SB_PlEESF_SV_SG_SH_SI_EUlSV_E0_NS1_11comp_targetILNS1_3genE4ELNS1_11target_archE910ELNS1_3gpuE8ELNS1_3repE0EEENS1_38merge_mergepath_config_static_selectorELNS0_4arch9wavefront6targetE1EEEvSH_.has_recursion, 0
	.set _ZN7rocprim17ROCPRIM_400000_NS6detail17trampoline_kernelINS0_14default_configENS1_38merge_sort_block_merge_config_selectorIslEEZZNS1_27merge_sort_block_merge_implIS3_PsN6thrust23THRUST_200600_302600_NS10device_ptrIlEEjNS1_19radix_merge_compareILb0ELb1EsNS0_19identity_decomposerEEEEE10hipError_tT0_T1_T2_jT3_P12ihipStream_tbPNSt15iterator_traitsISG_E10value_typeEPNSM_ISH_E10value_typeEPSI_NS1_7vsmem_tEENKUlT_SG_SH_SI_E_clIS7_S7_SB_PlEESF_SV_SG_SH_SI_EUlSV_E0_NS1_11comp_targetILNS1_3genE4ELNS1_11target_archE910ELNS1_3gpuE8ELNS1_3repE0EEENS1_38merge_mergepath_config_static_selectorELNS0_4arch9wavefront6targetE1EEEvSH_.has_indirect_call, 0
	.section	.AMDGPU.csdata,"",@progbits
; Kernel info:
; codeLenInByte = 0
; TotalNumSgprs: 4
; NumVgprs: 0
; ScratchSize: 0
; MemoryBound: 0
; FloatMode: 240
; IeeeMode: 1
; LDSByteSize: 0 bytes/workgroup (compile time only)
; SGPRBlocks: 0
; VGPRBlocks: 0
; NumSGPRsForWavesPerEU: 4
; NumVGPRsForWavesPerEU: 1
; Occupancy: 10
; WaveLimiterHint : 0
; COMPUTE_PGM_RSRC2:SCRATCH_EN: 0
; COMPUTE_PGM_RSRC2:USER_SGPR: 6
; COMPUTE_PGM_RSRC2:TRAP_HANDLER: 0
; COMPUTE_PGM_RSRC2:TGID_X_EN: 1
; COMPUTE_PGM_RSRC2:TGID_Y_EN: 0
; COMPUTE_PGM_RSRC2:TGID_Z_EN: 0
; COMPUTE_PGM_RSRC2:TIDIG_COMP_CNT: 0
	.section	.text._ZN7rocprim17ROCPRIM_400000_NS6detail17trampoline_kernelINS0_14default_configENS1_38merge_sort_block_merge_config_selectorIslEEZZNS1_27merge_sort_block_merge_implIS3_PsN6thrust23THRUST_200600_302600_NS10device_ptrIlEEjNS1_19radix_merge_compareILb0ELb1EsNS0_19identity_decomposerEEEEE10hipError_tT0_T1_T2_jT3_P12ihipStream_tbPNSt15iterator_traitsISG_E10value_typeEPNSM_ISH_E10value_typeEPSI_NS1_7vsmem_tEENKUlT_SG_SH_SI_E_clIS7_S7_SB_PlEESF_SV_SG_SH_SI_EUlSV_E0_NS1_11comp_targetILNS1_3genE3ELNS1_11target_archE908ELNS1_3gpuE7ELNS1_3repE0EEENS1_38merge_mergepath_config_static_selectorELNS0_4arch9wavefront6targetE1EEEvSH_,"axG",@progbits,_ZN7rocprim17ROCPRIM_400000_NS6detail17trampoline_kernelINS0_14default_configENS1_38merge_sort_block_merge_config_selectorIslEEZZNS1_27merge_sort_block_merge_implIS3_PsN6thrust23THRUST_200600_302600_NS10device_ptrIlEEjNS1_19radix_merge_compareILb0ELb1EsNS0_19identity_decomposerEEEEE10hipError_tT0_T1_T2_jT3_P12ihipStream_tbPNSt15iterator_traitsISG_E10value_typeEPNSM_ISH_E10value_typeEPSI_NS1_7vsmem_tEENKUlT_SG_SH_SI_E_clIS7_S7_SB_PlEESF_SV_SG_SH_SI_EUlSV_E0_NS1_11comp_targetILNS1_3genE3ELNS1_11target_archE908ELNS1_3gpuE7ELNS1_3repE0EEENS1_38merge_mergepath_config_static_selectorELNS0_4arch9wavefront6targetE1EEEvSH_,comdat
	.protected	_ZN7rocprim17ROCPRIM_400000_NS6detail17trampoline_kernelINS0_14default_configENS1_38merge_sort_block_merge_config_selectorIslEEZZNS1_27merge_sort_block_merge_implIS3_PsN6thrust23THRUST_200600_302600_NS10device_ptrIlEEjNS1_19radix_merge_compareILb0ELb1EsNS0_19identity_decomposerEEEEE10hipError_tT0_T1_T2_jT3_P12ihipStream_tbPNSt15iterator_traitsISG_E10value_typeEPNSM_ISH_E10value_typeEPSI_NS1_7vsmem_tEENKUlT_SG_SH_SI_E_clIS7_S7_SB_PlEESF_SV_SG_SH_SI_EUlSV_E0_NS1_11comp_targetILNS1_3genE3ELNS1_11target_archE908ELNS1_3gpuE7ELNS1_3repE0EEENS1_38merge_mergepath_config_static_selectorELNS0_4arch9wavefront6targetE1EEEvSH_ ; -- Begin function _ZN7rocprim17ROCPRIM_400000_NS6detail17trampoline_kernelINS0_14default_configENS1_38merge_sort_block_merge_config_selectorIslEEZZNS1_27merge_sort_block_merge_implIS3_PsN6thrust23THRUST_200600_302600_NS10device_ptrIlEEjNS1_19radix_merge_compareILb0ELb1EsNS0_19identity_decomposerEEEEE10hipError_tT0_T1_T2_jT3_P12ihipStream_tbPNSt15iterator_traitsISG_E10value_typeEPNSM_ISH_E10value_typeEPSI_NS1_7vsmem_tEENKUlT_SG_SH_SI_E_clIS7_S7_SB_PlEESF_SV_SG_SH_SI_EUlSV_E0_NS1_11comp_targetILNS1_3genE3ELNS1_11target_archE908ELNS1_3gpuE7ELNS1_3repE0EEENS1_38merge_mergepath_config_static_selectorELNS0_4arch9wavefront6targetE1EEEvSH_
	.globl	_ZN7rocprim17ROCPRIM_400000_NS6detail17trampoline_kernelINS0_14default_configENS1_38merge_sort_block_merge_config_selectorIslEEZZNS1_27merge_sort_block_merge_implIS3_PsN6thrust23THRUST_200600_302600_NS10device_ptrIlEEjNS1_19radix_merge_compareILb0ELb1EsNS0_19identity_decomposerEEEEE10hipError_tT0_T1_T2_jT3_P12ihipStream_tbPNSt15iterator_traitsISG_E10value_typeEPNSM_ISH_E10value_typeEPSI_NS1_7vsmem_tEENKUlT_SG_SH_SI_E_clIS7_S7_SB_PlEESF_SV_SG_SH_SI_EUlSV_E0_NS1_11comp_targetILNS1_3genE3ELNS1_11target_archE908ELNS1_3gpuE7ELNS1_3repE0EEENS1_38merge_mergepath_config_static_selectorELNS0_4arch9wavefront6targetE1EEEvSH_
	.p2align	8
	.type	_ZN7rocprim17ROCPRIM_400000_NS6detail17trampoline_kernelINS0_14default_configENS1_38merge_sort_block_merge_config_selectorIslEEZZNS1_27merge_sort_block_merge_implIS3_PsN6thrust23THRUST_200600_302600_NS10device_ptrIlEEjNS1_19radix_merge_compareILb0ELb1EsNS0_19identity_decomposerEEEEE10hipError_tT0_T1_T2_jT3_P12ihipStream_tbPNSt15iterator_traitsISG_E10value_typeEPNSM_ISH_E10value_typeEPSI_NS1_7vsmem_tEENKUlT_SG_SH_SI_E_clIS7_S7_SB_PlEESF_SV_SG_SH_SI_EUlSV_E0_NS1_11comp_targetILNS1_3genE3ELNS1_11target_archE908ELNS1_3gpuE7ELNS1_3repE0EEENS1_38merge_mergepath_config_static_selectorELNS0_4arch9wavefront6targetE1EEEvSH_,@function
_ZN7rocprim17ROCPRIM_400000_NS6detail17trampoline_kernelINS0_14default_configENS1_38merge_sort_block_merge_config_selectorIslEEZZNS1_27merge_sort_block_merge_implIS3_PsN6thrust23THRUST_200600_302600_NS10device_ptrIlEEjNS1_19radix_merge_compareILb0ELb1EsNS0_19identity_decomposerEEEEE10hipError_tT0_T1_T2_jT3_P12ihipStream_tbPNSt15iterator_traitsISG_E10value_typeEPNSM_ISH_E10value_typeEPSI_NS1_7vsmem_tEENKUlT_SG_SH_SI_E_clIS7_S7_SB_PlEESF_SV_SG_SH_SI_EUlSV_E0_NS1_11comp_targetILNS1_3genE3ELNS1_11target_archE908ELNS1_3gpuE7ELNS1_3repE0EEENS1_38merge_mergepath_config_static_selectorELNS0_4arch9wavefront6targetE1EEEvSH_: ; @_ZN7rocprim17ROCPRIM_400000_NS6detail17trampoline_kernelINS0_14default_configENS1_38merge_sort_block_merge_config_selectorIslEEZZNS1_27merge_sort_block_merge_implIS3_PsN6thrust23THRUST_200600_302600_NS10device_ptrIlEEjNS1_19radix_merge_compareILb0ELb1EsNS0_19identity_decomposerEEEEE10hipError_tT0_T1_T2_jT3_P12ihipStream_tbPNSt15iterator_traitsISG_E10value_typeEPNSM_ISH_E10value_typeEPSI_NS1_7vsmem_tEENKUlT_SG_SH_SI_E_clIS7_S7_SB_PlEESF_SV_SG_SH_SI_EUlSV_E0_NS1_11comp_targetILNS1_3genE3ELNS1_11target_archE908ELNS1_3gpuE7ELNS1_3repE0EEENS1_38merge_mergepath_config_static_selectorELNS0_4arch9wavefront6targetE1EEEvSH_
; %bb.0:
	.section	.rodata,"a",@progbits
	.p2align	6, 0x0
	.amdhsa_kernel _ZN7rocprim17ROCPRIM_400000_NS6detail17trampoline_kernelINS0_14default_configENS1_38merge_sort_block_merge_config_selectorIslEEZZNS1_27merge_sort_block_merge_implIS3_PsN6thrust23THRUST_200600_302600_NS10device_ptrIlEEjNS1_19radix_merge_compareILb0ELb1EsNS0_19identity_decomposerEEEEE10hipError_tT0_T1_T2_jT3_P12ihipStream_tbPNSt15iterator_traitsISG_E10value_typeEPNSM_ISH_E10value_typeEPSI_NS1_7vsmem_tEENKUlT_SG_SH_SI_E_clIS7_S7_SB_PlEESF_SV_SG_SH_SI_EUlSV_E0_NS1_11comp_targetILNS1_3genE3ELNS1_11target_archE908ELNS1_3gpuE7ELNS1_3repE0EEENS1_38merge_mergepath_config_static_selectorELNS0_4arch9wavefront6targetE1EEEvSH_
		.amdhsa_group_segment_fixed_size 0
		.amdhsa_private_segment_fixed_size 0
		.amdhsa_kernarg_size 64
		.amdhsa_user_sgpr_count 6
		.amdhsa_user_sgpr_private_segment_buffer 1
		.amdhsa_user_sgpr_dispatch_ptr 0
		.amdhsa_user_sgpr_queue_ptr 0
		.amdhsa_user_sgpr_kernarg_segment_ptr 1
		.amdhsa_user_sgpr_dispatch_id 0
		.amdhsa_user_sgpr_flat_scratch_init 0
		.amdhsa_user_sgpr_private_segment_size 0
		.amdhsa_uses_dynamic_stack 0
		.amdhsa_system_sgpr_private_segment_wavefront_offset 0
		.amdhsa_system_sgpr_workgroup_id_x 1
		.amdhsa_system_sgpr_workgroup_id_y 0
		.amdhsa_system_sgpr_workgroup_id_z 0
		.amdhsa_system_sgpr_workgroup_info 0
		.amdhsa_system_vgpr_workitem_id 0
		.amdhsa_next_free_vgpr 1
		.amdhsa_next_free_sgpr 0
		.amdhsa_reserve_vcc 0
		.amdhsa_reserve_flat_scratch 0
		.amdhsa_float_round_mode_32 0
		.amdhsa_float_round_mode_16_64 0
		.amdhsa_float_denorm_mode_32 3
		.amdhsa_float_denorm_mode_16_64 3
		.amdhsa_dx10_clamp 1
		.amdhsa_ieee_mode 1
		.amdhsa_fp16_overflow 0
		.amdhsa_exception_fp_ieee_invalid_op 0
		.amdhsa_exception_fp_denorm_src 0
		.amdhsa_exception_fp_ieee_div_zero 0
		.amdhsa_exception_fp_ieee_overflow 0
		.amdhsa_exception_fp_ieee_underflow 0
		.amdhsa_exception_fp_ieee_inexact 0
		.amdhsa_exception_int_div_zero 0
	.end_amdhsa_kernel
	.section	.text._ZN7rocprim17ROCPRIM_400000_NS6detail17trampoline_kernelINS0_14default_configENS1_38merge_sort_block_merge_config_selectorIslEEZZNS1_27merge_sort_block_merge_implIS3_PsN6thrust23THRUST_200600_302600_NS10device_ptrIlEEjNS1_19radix_merge_compareILb0ELb1EsNS0_19identity_decomposerEEEEE10hipError_tT0_T1_T2_jT3_P12ihipStream_tbPNSt15iterator_traitsISG_E10value_typeEPNSM_ISH_E10value_typeEPSI_NS1_7vsmem_tEENKUlT_SG_SH_SI_E_clIS7_S7_SB_PlEESF_SV_SG_SH_SI_EUlSV_E0_NS1_11comp_targetILNS1_3genE3ELNS1_11target_archE908ELNS1_3gpuE7ELNS1_3repE0EEENS1_38merge_mergepath_config_static_selectorELNS0_4arch9wavefront6targetE1EEEvSH_,"axG",@progbits,_ZN7rocprim17ROCPRIM_400000_NS6detail17trampoline_kernelINS0_14default_configENS1_38merge_sort_block_merge_config_selectorIslEEZZNS1_27merge_sort_block_merge_implIS3_PsN6thrust23THRUST_200600_302600_NS10device_ptrIlEEjNS1_19radix_merge_compareILb0ELb1EsNS0_19identity_decomposerEEEEE10hipError_tT0_T1_T2_jT3_P12ihipStream_tbPNSt15iterator_traitsISG_E10value_typeEPNSM_ISH_E10value_typeEPSI_NS1_7vsmem_tEENKUlT_SG_SH_SI_E_clIS7_S7_SB_PlEESF_SV_SG_SH_SI_EUlSV_E0_NS1_11comp_targetILNS1_3genE3ELNS1_11target_archE908ELNS1_3gpuE7ELNS1_3repE0EEENS1_38merge_mergepath_config_static_selectorELNS0_4arch9wavefront6targetE1EEEvSH_,comdat
.Lfunc_end1368:
	.size	_ZN7rocprim17ROCPRIM_400000_NS6detail17trampoline_kernelINS0_14default_configENS1_38merge_sort_block_merge_config_selectorIslEEZZNS1_27merge_sort_block_merge_implIS3_PsN6thrust23THRUST_200600_302600_NS10device_ptrIlEEjNS1_19radix_merge_compareILb0ELb1EsNS0_19identity_decomposerEEEEE10hipError_tT0_T1_T2_jT3_P12ihipStream_tbPNSt15iterator_traitsISG_E10value_typeEPNSM_ISH_E10value_typeEPSI_NS1_7vsmem_tEENKUlT_SG_SH_SI_E_clIS7_S7_SB_PlEESF_SV_SG_SH_SI_EUlSV_E0_NS1_11comp_targetILNS1_3genE3ELNS1_11target_archE908ELNS1_3gpuE7ELNS1_3repE0EEENS1_38merge_mergepath_config_static_selectorELNS0_4arch9wavefront6targetE1EEEvSH_, .Lfunc_end1368-_ZN7rocprim17ROCPRIM_400000_NS6detail17trampoline_kernelINS0_14default_configENS1_38merge_sort_block_merge_config_selectorIslEEZZNS1_27merge_sort_block_merge_implIS3_PsN6thrust23THRUST_200600_302600_NS10device_ptrIlEEjNS1_19radix_merge_compareILb0ELb1EsNS0_19identity_decomposerEEEEE10hipError_tT0_T1_T2_jT3_P12ihipStream_tbPNSt15iterator_traitsISG_E10value_typeEPNSM_ISH_E10value_typeEPSI_NS1_7vsmem_tEENKUlT_SG_SH_SI_E_clIS7_S7_SB_PlEESF_SV_SG_SH_SI_EUlSV_E0_NS1_11comp_targetILNS1_3genE3ELNS1_11target_archE908ELNS1_3gpuE7ELNS1_3repE0EEENS1_38merge_mergepath_config_static_selectorELNS0_4arch9wavefront6targetE1EEEvSH_
                                        ; -- End function
	.set _ZN7rocprim17ROCPRIM_400000_NS6detail17trampoline_kernelINS0_14default_configENS1_38merge_sort_block_merge_config_selectorIslEEZZNS1_27merge_sort_block_merge_implIS3_PsN6thrust23THRUST_200600_302600_NS10device_ptrIlEEjNS1_19radix_merge_compareILb0ELb1EsNS0_19identity_decomposerEEEEE10hipError_tT0_T1_T2_jT3_P12ihipStream_tbPNSt15iterator_traitsISG_E10value_typeEPNSM_ISH_E10value_typeEPSI_NS1_7vsmem_tEENKUlT_SG_SH_SI_E_clIS7_S7_SB_PlEESF_SV_SG_SH_SI_EUlSV_E0_NS1_11comp_targetILNS1_3genE3ELNS1_11target_archE908ELNS1_3gpuE7ELNS1_3repE0EEENS1_38merge_mergepath_config_static_selectorELNS0_4arch9wavefront6targetE1EEEvSH_.num_vgpr, 0
	.set _ZN7rocprim17ROCPRIM_400000_NS6detail17trampoline_kernelINS0_14default_configENS1_38merge_sort_block_merge_config_selectorIslEEZZNS1_27merge_sort_block_merge_implIS3_PsN6thrust23THRUST_200600_302600_NS10device_ptrIlEEjNS1_19radix_merge_compareILb0ELb1EsNS0_19identity_decomposerEEEEE10hipError_tT0_T1_T2_jT3_P12ihipStream_tbPNSt15iterator_traitsISG_E10value_typeEPNSM_ISH_E10value_typeEPSI_NS1_7vsmem_tEENKUlT_SG_SH_SI_E_clIS7_S7_SB_PlEESF_SV_SG_SH_SI_EUlSV_E0_NS1_11comp_targetILNS1_3genE3ELNS1_11target_archE908ELNS1_3gpuE7ELNS1_3repE0EEENS1_38merge_mergepath_config_static_selectorELNS0_4arch9wavefront6targetE1EEEvSH_.num_agpr, 0
	.set _ZN7rocprim17ROCPRIM_400000_NS6detail17trampoline_kernelINS0_14default_configENS1_38merge_sort_block_merge_config_selectorIslEEZZNS1_27merge_sort_block_merge_implIS3_PsN6thrust23THRUST_200600_302600_NS10device_ptrIlEEjNS1_19radix_merge_compareILb0ELb1EsNS0_19identity_decomposerEEEEE10hipError_tT0_T1_T2_jT3_P12ihipStream_tbPNSt15iterator_traitsISG_E10value_typeEPNSM_ISH_E10value_typeEPSI_NS1_7vsmem_tEENKUlT_SG_SH_SI_E_clIS7_S7_SB_PlEESF_SV_SG_SH_SI_EUlSV_E0_NS1_11comp_targetILNS1_3genE3ELNS1_11target_archE908ELNS1_3gpuE7ELNS1_3repE0EEENS1_38merge_mergepath_config_static_selectorELNS0_4arch9wavefront6targetE1EEEvSH_.numbered_sgpr, 0
	.set _ZN7rocprim17ROCPRIM_400000_NS6detail17trampoline_kernelINS0_14default_configENS1_38merge_sort_block_merge_config_selectorIslEEZZNS1_27merge_sort_block_merge_implIS3_PsN6thrust23THRUST_200600_302600_NS10device_ptrIlEEjNS1_19radix_merge_compareILb0ELb1EsNS0_19identity_decomposerEEEEE10hipError_tT0_T1_T2_jT3_P12ihipStream_tbPNSt15iterator_traitsISG_E10value_typeEPNSM_ISH_E10value_typeEPSI_NS1_7vsmem_tEENKUlT_SG_SH_SI_E_clIS7_S7_SB_PlEESF_SV_SG_SH_SI_EUlSV_E0_NS1_11comp_targetILNS1_3genE3ELNS1_11target_archE908ELNS1_3gpuE7ELNS1_3repE0EEENS1_38merge_mergepath_config_static_selectorELNS0_4arch9wavefront6targetE1EEEvSH_.num_named_barrier, 0
	.set _ZN7rocprim17ROCPRIM_400000_NS6detail17trampoline_kernelINS0_14default_configENS1_38merge_sort_block_merge_config_selectorIslEEZZNS1_27merge_sort_block_merge_implIS3_PsN6thrust23THRUST_200600_302600_NS10device_ptrIlEEjNS1_19radix_merge_compareILb0ELb1EsNS0_19identity_decomposerEEEEE10hipError_tT0_T1_T2_jT3_P12ihipStream_tbPNSt15iterator_traitsISG_E10value_typeEPNSM_ISH_E10value_typeEPSI_NS1_7vsmem_tEENKUlT_SG_SH_SI_E_clIS7_S7_SB_PlEESF_SV_SG_SH_SI_EUlSV_E0_NS1_11comp_targetILNS1_3genE3ELNS1_11target_archE908ELNS1_3gpuE7ELNS1_3repE0EEENS1_38merge_mergepath_config_static_selectorELNS0_4arch9wavefront6targetE1EEEvSH_.private_seg_size, 0
	.set _ZN7rocprim17ROCPRIM_400000_NS6detail17trampoline_kernelINS0_14default_configENS1_38merge_sort_block_merge_config_selectorIslEEZZNS1_27merge_sort_block_merge_implIS3_PsN6thrust23THRUST_200600_302600_NS10device_ptrIlEEjNS1_19radix_merge_compareILb0ELb1EsNS0_19identity_decomposerEEEEE10hipError_tT0_T1_T2_jT3_P12ihipStream_tbPNSt15iterator_traitsISG_E10value_typeEPNSM_ISH_E10value_typeEPSI_NS1_7vsmem_tEENKUlT_SG_SH_SI_E_clIS7_S7_SB_PlEESF_SV_SG_SH_SI_EUlSV_E0_NS1_11comp_targetILNS1_3genE3ELNS1_11target_archE908ELNS1_3gpuE7ELNS1_3repE0EEENS1_38merge_mergepath_config_static_selectorELNS0_4arch9wavefront6targetE1EEEvSH_.uses_vcc, 0
	.set _ZN7rocprim17ROCPRIM_400000_NS6detail17trampoline_kernelINS0_14default_configENS1_38merge_sort_block_merge_config_selectorIslEEZZNS1_27merge_sort_block_merge_implIS3_PsN6thrust23THRUST_200600_302600_NS10device_ptrIlEEjNS1_19radix_merge_compareILb0ELb1EsNS0_19identity_decomposerEEEEE10hipError_tT0_T1_T2_jT3_P12ihipStream_tbPNSt15iterator_traitsISG_E10value_typeEPNSM_ISH_E10value_typeEPSI_NS1_7vsmem_tEENKUlT_SG_SH_SI_E_clIS7_S7_SB_PlEESF_SV_SG_SH_SI_EUlSV_E0_NS1_11comp_targetILNS1_3genE3ELNS1_11target_archE908ELNS1_3gpuE7ELNS1_3repE0EEENS1_38merge_mergepath_config_static_selectorELNS0_4arch9wavefront6targetE1EEEvSH_.uses_flat_scratch, 0
	.set _ZN7rocprim17ROCPRIM_400000_NS6detail17trampoline_kernelINS0_14default_configENS1_38merge_sort_block_merge_config_selectorIslEEZZNS1_27merge_sort_block_merge_implIS3_PsN6thrust23THRUST_200600_302600_NS10device_ptrIlEEjNS1_19radix_merge_compareILb0ELb1EsNS0_19identity_decomposerEEEEE10hipError_tT0_T1_T2_jT3_P12ihipStream_tbPNSt15iterator_traitsISG_E10value_typeEPNSM_ISH_E10value_typeEPSI_NS1_7vsmem_tEENKUlT_SG_SH_SI_E_clIS7_S7_SB_PlEESF_SV_SG_SH_SI_EUlSV_E0_NS1_11comp_targetILNS1_3genE3ELNS1_11target_archE908ELNS1_3gpuE7ELNS1_3repE0EEENS1_38merge_mergepath_config_static_selectorELNS0_4arch9wavefront6targetE1EEEvSH_.has_dyn_sized_stack, 0
	.set _ZN7rocprim17ROCPRIM_400000_NS6detail17trampoline_kernelINS0_14default_configENS1_38merge_sort_block_merge_config_selectorIslEEZZNS1_27merge_sort_block_merge_implIS3_PsN6thrust23THRUST_200600_302600_NS10device_ptrIlEEjNS1_19radix_merge_compareILb0ELb1EsNS0_19identity_decomposerEEEEE10hipError_tT0_T1_T2_jT3_P12ihipStream_tbPNSt15iterator_traitsISG_E10value_typeEPNSM_ISH_E10value_typeEPSI_NS1_7vsmem_tEENKUlT_SG_SH_SI_E_clIS7_S7_SB_PlEESF_SV_SG_SH_SI_EUlSV_E0_NS1_11comp_targetILNS1_3genE3ELNS1_11target_archE908ELNS1_3gpuE7ELNS1_3repE0EEENS1_38merge_mergepath_config_static_selectorELNS0_4arch9wavefront6targetE1EEEvSH_.has_recursion, 0
	.set _ZN7rocprim17ROCPRIM_400000_NS6detail17trampoline_kernelINS0_14default_configENS1_38merge_sort_block_merge_config_selectorIslEEZZNS1_27merge_sort_block_merge_implIS3_PsN6thrust23THRUST_200600_302600_NS10device_ptrIlEEjNS1_19radix_merge_compareILb0ELb1EsNS0_19identity_decomposerEEEEE10hipError_tT0_T1_T2_jT3_P12ihipStream_tbPNSt15iterator_traitsISG_E10value_typeEPNSM_ISH_E10value_typeEPSI_NS1_7vsmem_tEENKUlT_SG_SH_SI_E_clIS7_S7_SB_PlEESF_SV_SG_SH_SI_EUlSV_E0_NS1_11comp_targetILNS1_3genE3ELNS1_11target_archE908ELNS1_3gpuE7ELNS1_3repE0EEENS1_38merge_mergepath_config_static_selectorELNS0_4arch9wavefront6targetE1EEEvSH_.has_indirect_call, 0
	.section	.AMDGPU.csdata,"",@progbits
; Kernel info:
; codeLenInByte = 0
; TotalNumSgprs: 4
; NumVgprs: 0
; ScratchSize: 0
; MemoryBound: 0
; FloatMode: 240
; IeeeMode: 1
; LDSByteSize: 0 bytes/workgroup (compile time only)
; SGPRBlocks: 0
; VGPRBlocks: 0
; NumSGPRsForWavesPerEU: 4
; NumVGPRsForWavesPerEU: 1
; Occupancy: 10
; WaveLimiterHint : 0
; COMPUTE_PGM_RSRC2:SCRATCH_EN: 0
; COMPUTE_PGM_RSRC2:USER_SGPR: 6
; COMPUTE_PGM_RSRC2:TRAP_HANDLER: 0
; COMPUTE_PGM_RSRC2:TGID_X_EN: 1
; COMPUTE_PGM_RSRC2:TGID_Y_EN: 0
; COMPUTE_PGM_RSRC2:TGID_Z_EN: 0
; COMPUTE_PGM_RSRC2:TIDIG_COMP_CNT: 0
	.section	.text._ZN7rocprim17ROCPRIM_400000_NS6detail17trampoline_kernelINS0_14default_configENS1_38merge_sort_block_merge_config_selectorIslEEZZNS1_27merge_sort_block_merge_implIS3_PsN6thrust23THRUST_200600_302600_NS10device_ptrIlEEjNS1_19radix_merge_compareILb0ELb1EsNS0_19identity_decomposerEEEEE10hipError_tT0_T1_T2_jT3_P12ihipStream_tbPNSt15iterator_traitsISG_E10value_typeEPNSM_ISH_E10value_typeEPSI_NS1_7vsmem_tEENKUlT_SG_SH_SI_E_clIS7_S7_SB_PlEESF_SV_SG_SH_SI_EUlSV_E0_NS1_11comp_targetILNS1_3genE2ELNS1_11target_archE906ELNS1_3gpuE6ELNS1_3repE0EEENS1_38merge_mergepath_config_static_selectorELNS0_4arch9wavefront6targetE1EEEvSH_,"axG",@progbits,_ZN7rocprim17ROCPRIM_400000_NS6detail17trampoline_kernelINS0_14default_configENS1_38merge_sort_block_merge_config_selectorIslEEZZNS1_27merge_sort_block_merge_implIS3_PsN6thrust23THRUST_200600_302600_NS10device_ptrIlEEjNS1_19radix_merge_compareILb0ELb1EsNS0_19identity_decomposerEEEEE10hipError_tT0_T1_T2_jT3_P12ihipStream_tbPNSt15iterator_traitsISG_E10value_typeEPNSM_ISH_E10value_typeEPSI_NS1_7vsmem_tEENKUlT_SG_SH_SI_E_clIS7_S7_SB_PlEESF_SV_SG_SH_SI_EUlSV_E0_NS1_11comp_targetILNS1_3genE2ELNS1_11target_archE906ELNS1_3gpuE6ELNS1_3repE0EEENS1_38merge_mergepath_config_static_selectorELNS0_4arch9wavefront6targetE1EEEvSH_,comdat
	.protected	_ZN7rocprim17ROCPRIM_400000_NS6detail17trampoline_kernelINS0_14default_configENS1_38merge_sort_block_merge_config_selectorIslEEZZNS1_27merge_sort_block_merge_implIS3_PsN6thrust23THRUST_200600_302600_NS10device_ptrIlEEjNS1_19radix_merge_compareILb0ELb1EsNS0_19identity_decomposerEEEEE10hipError_tT0_T1_T2_jT3_P12ihipStream_tbPNSt15iterator_traitsISG_E10value_typeEPNSM_ISH_E10value_typeEPSI_NS1_7vsmem_tEENKUlT_SG_SH_SI_E_clIS7_S7_SB_PlEESF_SV_SG_SH_SI_EUlSV_E0_NS1_11comp_targetILNS1_3genE2ELNS1_11target_archE906ELNS1_3gpuE6ELNS1_3repE0EEENS1_38merge_mergepath_config_static_selectorELNS0_4arch9wavefront6targetE1EEEvSH_ ; -- Begin function _ZN7rocprim17ROCPRIM_400000_NS6detail17trampoline_kernelINS0_14default_configENS1_38merge_sort_block_merge_config_selectorIslEEZZNS1_27merge_sort_block_merge_implIS3_PsN6thrust23THRUST_200600_302600_NS10device_ptrIlEEjNS1_19radix_merge_compareILb0ELb1EsNS0_19identity_decomposerEEEEE10hipError_tT0_T1_T2_jT3_P12ihipStream_tbPNSt15iterator_traitsISG_E10value_typeEPNSM_ISH_E10value_typeEPSI_NS1_7vsmem_tEENKUlT_SG_SH_SI_E_clIS7_S7_SB_PlEESF_SV_SG_SH_SI_EUlSV_E0_NS1_11comp_targetILNS1_3genE2ELNS1_11target_archE906ELNS1_3gpuE6ELNS1_3repE0EEENS1_38merge_mergepath_config_static_selectorELNS0_4arch9wavefront6targetE1EEEvSH_
	.globl	_ZN7rocprim17ROCPRIM_400000_NS6detail17trampoline_kernelINS0_14default_configENS1_38merge_sort_block_merge_config_selectorIslEEZZNS1_27merge_sort_block_merge_implIS3_PsN6thrust23THRUST_200600_302600_NS10device_ptrIlEEjNS1_19radix_merge_compareILb0ELb1EsNS0_19identity_decomposerEEEEE10hipError_tT0_T1_T2_jT3_P12ihipStream_tbPNSt15iterator_traitsISG_E10value_typeEPNSM_ISH_E10value_typeEPSI_NS1_7vsmem_tEENKUlT_SG_SH_SI_E_clIS7_S7_SB_PlEESF_SV_SG_SH_SI_EUlSV_E0_NS1_11comp_targetILNS1_3genE2ELNS1_11target_archE906ELNS1_3gpuE6ELNS1_3repE0EEENS1_38merge_mergepath_config_static_selectorELNS0_4arch9wavefront6targetE1EEEvSH_
	.p2align	8
	.type	_ZN7rocprim17ROCPRIM_400000_NS6detail17trampoline_kernelINS0_14default_configENS1_38merge_sort_block_merge_config_selectorIslEEZZNS1_27merge_sort_block_merge_implIS3_PsN6thrust23THRUST_200600_302600_NS10device_ptrIlEEjNS1_19radix_merge_compareILb0ELb1EsNS0_19identity_decomposerEEEEE10hipError_tT0_T1_T2_jT3_P12ihipStream_tbPNSt15iterator_traitsISG_E10value_typeEPNSM_ISH_E10value_typeEPSI_NS1_7vsmem_tEENKUlT_SG_SH_SI_E_clIS7_S7_SB_PlEESF_SV_SG_SH_SI_EUlSV_E0_NS1_11comp_targetILNS1_3genE2ELNS1_11target_archE906ELNS1_3gpuE6ELNS1_3repE0EEENS1_38merge_mergepath_config_static_selectorELNS0_4arch9wavefront6targetE1EEEvSH_,@function
_ZN7rocprim17ROCPRIM_400000_NS6detail17trampoline_kernelINS0_14default_configENS1_38merge_sort_block_merge_config_selectorIslEEZZNS1_27merge_sort_block_merge_implIS3_PsN6thrust23THRUST_200600_302600_NS10device_ptrIlEEjNS1_19radix_merge_compareILb0ELb1EsNS0_19identity_decomposerEEEEE10hipError_tT0_T1_T2_jT3_P12ihipStream_tbPNSt15iterator_traitsISG_E10value_typeEPNSM_ISH_E10value_typeEPSI_NS1_7vsmem_tEENKUlT_SG_SH_SI_E_clIS7_S7_SB_PlEESF_SV_SG_SH_SI_EUlSV_E0_NS1_11comp_targetILNS1_3genE2ELNS1_11target_archE906ELNS1_3gpuE6ELNS1_3repE0EEENS1_38merge_mergepath_config_static_selectorELNS0_4arch9wavefront6targetE1EEEvSH_: ; @_ZN7rocprim17ROCPRIM_400000_NS6detail17trampoline_kernelINS0_14default_configENS1_38merge_sort_block_merge_config_selectorIslEEZZNS1_27merge_sort_block_merge_implIS3_PsN6thrust23THRUST_200600_302600_NS10device_ptrIlEEjNS1_19radix_merge_compareILb0ELb1EsNS0_19identity_decomposerEEEEE10hipError_tT0_T1_T2_jT3_P12ihipStream_tbPNSt15iterator_traitsISG_E10value_typeEPNSM_ISH_E10value_typeEPSI_NS1_7vsmem_tEENKUlT_SG_SH_SI_E_clIS7_S7_SB_PlEESF_SV_SG_SH_SI_EUlSV_E0_NS1_11comp_targetILNS1_3genE2ELNS1_11target_archE906ELNS1_3gpuE6ELNS1_3repE0EEENS1_38merge_mergepath_config_static_selectorELNS0_4arch9wavefront6targetE1EEEvSH_
; %bb.0:
	s_load_dwordx2 s[24:25], s[4:5], 0x40
	s_load_dword s1, s[4:5], 0x30
	s_add_u32 s22, s4, 64
	s_addc_u32 s23, s5, 0
	s_waitcnt lgkmcnt(0)
	s_mul_i32 s0, s25, s8
	s_add_i32 s0, s0, s7
	s_mul_i32 s0, s0, s24
	s_add_i32 s0, s0, s6
	s_cmp_ge_u32 s0, s1
	s_cbranch_scc1 .LBB1369_46
; %bb.1:
	s_load_dwordx8 s[8:15], s[4:5], 0x10
	s_load_dwordx2 s[28:29], s[4:5], 0x8
	s_load_dwordx2 s[2:3], s[4:5], 0x38
	s_mov_b32 s1, 0
	v_mov_b32_e32 v2, 0
	s_waitcnt lgkmcnt(0)
	s_lshr_b32 s33, s14, 10
	s_cmp_lg_u32 s0, s33
	s_cselect_b64 s[18:19], -1, 0
	s_lshl_b64 s[16:17], s[0:1], 2
	s_add_u32 s16, s2, s16
	s_addc_u32 s17, s3, s17
	s_lshr_b32 s7, s15, 9
	s_and_b32 s7, s7, 0x7ffffe
	s_load_dwordx2 s[2:3], s[16:17], 0x0
	s_sub_i32 s7, 0, s7
	s_and_b32 s17, s0, s7
	s_lshl_b32 s21, s17, 10
	s_lshl_b32 s16, s0, 10
	;; [unrolled: 1-line block ×3, first 2 shown]
	s_sub_i32 s20, s16, s21
	s_add_i32 s17, s17, s15
	s_add_i32 s25, s17, s20
	s_waitcnt lgkmcnt(0)
	s_sub_i32 s20, s25, s2
	s_sub_i32 s25, s25, s3
	;; [unrolled: 1-line block ×3, first 2 shown]
	s_min_u32 s20, s14, s20
	s_addk_i32 s25, 0x400
	s_or_b32 s7, s0, s7
	s_min_u32 s21, s14, s17
	s_add_i32 s17, s17, s15
	s_cmp_eq_u32 s7, -1
	s_cselect_b32 s3, s21, s3
	s_cselect_b32 s7, s17, s25
	s_sub_i32 s15, s3, s2
	s_mov_b32 s3, s1
	s_min_u32 s17, s7, s14
	s_lshl_b64 s[26:27], s[2:3], 1
	s_add_u32 s26, s28, s26
	s_mov_b32 s21, s1
	s_addc_u32 s27, s29, s27
	s_lshl_b64 s[30:31], s[20:21], 1
	s_add_u32 s25, s28, s30
	global_load_dword v1, v2, s[22:23] offset:14
	s_addc_u32 s28, s29, s31
	s_cmp_lt_u32 s6, s24
	s_cselect_b32 s1, 12, 18
	s_add_u32 s6, s22, s1
	s_addc_u32 s7, s23, 0
	global_load_ushort v3, v2, s[6:7]
	s_cmp_eq_u32 s0, s33
	v_lshlrev_b32_e32 v15, 1, v0
	s_waitcnt vmcnt(1)
	v_lshrrev_b32_e32 v4, 16, v1
	v_and_b32_e32 v1, 0xffff, v1
	v_mul_lo_u32 v1, v1, v4
	s_waitcnt vmcnt(0)
	v_mul_lo_u32 v17, v1, v3
	v_add_u32_e32 v13, v17, v0
	v_add_u32_e32 v11, v13, v17
	s_cbranch_scc1 .LBB1369_3
; %bb.2:
	v_mov_b32_e32 v1, s27
	v_add_co_u32_e32 v5, vcc, s26, v15
	v_addc_co_u32_e32 v6, vcc, 0, v1, vcc
	v_subrev_co_u32_e32 v1, vcc, s15, v0
	v_lshlrev_b64 v[3:4], 1, v[1:2]
	v_mov_b32_e32 v1, s28
	v_add_co_u32_e64 v3, s[0:1], s25, v3
	v_addc_co_u32_e64 v1, s[0:1], v1, v4, s[0:1]
	v_cndmask_b32_e32 v4, v1, v6, vcc
	v_cndmask_b32_e32 v3, v3, v5, vcc
	v_mov_b32_e32 v14, v2
	global_load_ushort v5, v[3:4], off
	v_lshlrev_b64 v[3:4], 1, v[13:14]
	v_mov_b32_e32 v1, s27
	v_add_co_u32_e32 v6, vcc, s26, v3
	v_addc_co_u32_e32 v7, vcc, v1, v4, vcc
	v_subrev_co_u32_e32 v1, vcc, s15, v13
	v_lshlrev_b64 v[3:4], 1, v[1:2]
	v_mov_b32_e32 v1, s28
	v_add_co_u32_e64 v3, s[0:1], s25, v3
	v_addc_co_u32_e64 v1, s[0:1], v1, v4, s[0:1]
	v_cndmask_b32_e32 v4, v1, v7, vcc
	v_cndmask_b32_e32 v3, v3, v6, vcc
	v_mov_b32_e32 v12, v2
	global_load_ushort v6, v[3:4], off
	v_lshlrev_b64 v[3:4], 1, v[11:12]
	v_mov_b32_e32 v1, s27
	v_add_co_u32_e32 v3, vcc, s26, v3
	v_addc_co_u32_e32 v4, vcc, v1, v4, vcc
	v_subrev_co_u32_e32 v1, vcc, s15, v11
	v_lshlrev_b64 v[1:2], 1, v[1:2]
	v_mov_b32_e32 v7, s28
	v_add_co_u32_e64 v1, s[0:1], s25, v1
	v_addc_co_u32_e64 v2, s[0:1], v7, v2, s[0:1]
	v_cndmask_b32_e32 v2, v2, v4, vcc
	v_cndmask_b32_e32 v1, v1, v3, vcc
	global_load_ushort v10, v[1:2], off
	s_mov_b32 s0, 0x5040100
	v_add_u32_e32 v1, v11, v17
	s_waitcnt vmcnt(1)
	v_perm_b32 v9, v6, v5, s0
	s_mov_b64 s[0:1], -1
	s_sub_i32 s17, s17, s20
	s_cbranch_execz .LBB1369_4
	s_branch .LBB1369_9
.LBB1369_3:
	s_mov_b64 s[0:1], 0
                                        ; implicit-def: $vgpr1
                                        ; implicit-def: $vgpr9_vgpr10
	s_sub_i32 s17, s17, s20
.LBB1369_4:
	s_add_i32 s22, s17, s15
	v_mov_b32_e32 v9, 0
	v_cmp_gt_u32_e32 vcc, s22, v0
	s_waitcnt vmcnt(0)
	v_mov_b32_e32 v10, v9
	s_and_saveexec_b64 s[6:7], vcc
	s_cbranch_execnz .LBB1369_47
; %bb.5:
	s_or_b64 exec, exec, s[6:7]
	v_cmp_gt_u32_e32 vcc, s22, v13
	s_and_saveexec_b64 s[6:7], vcc
	s_cbranch_execnz .LBB1369_48
.LBB1369_6:
	s_or_b64 exec, exec, s[6:7]
	v_cmp_gt_u32_e32 vcc, s22, v11
	s_and_saveexec_b64 s[6:7], vcc
	s_cbranch_execz .LBB1369_8
.LBB1369_7:
	v_mov_b32_e32 v12, 0
	v_lshlrev_b64 v[1:2], 1, v[11:12]
	v_mov_b32_e32 v3, s27
	v_add_co_u32_e32 v4, vcc, s26, v1
	v_addc_co_u32_e32 v3, vcc, v3, v2, vcc
	v_subrev_co_u32_e32 v1, vcc, s15, v11
	v_mov_b32_e32 v2, v12
	v_lshlrev_b64 v[1:2], 1, v[1:2]
	v_mov_b32_e32 v5, s28
	v_add_co_u32_e64 v1, s[0:1], s25, v1
	v_addc_co_u32_e64 v2, s[0:1], v5, v2, s[0:1]
	v_cndmask_b32_e32 v2, v2, v3, vcc
	v_cndmask_b32_e32 v1, v1, v4, vcc
	global_load_ushort v1, v[1:2], off
	s_mov_b32 s0, 0xffff
	s_waitcnt vmcnt(0)
	v_bfi_b32 v10, s0, v1, v10
.LBB1369_8:
	s_or_b64 exec, exec, s[6:7]
	v_add_u32_e32 v1, v11, v17
	v_cmp_gt_u32_e64 s[0:1], s22, v1
.LBB1369_9:
	s_and_saveexec_b64 s[6:7], s[0:1]
	s_cbranch_execz .LBB1369_11
; %bb.10:
	v_mov_b32_e32 v2, 0
	v_lshlrev_b64 v[3:4], 1, v[1:2]
	v_mov_b32_e32 v5, s27
	v_add_co_u32_e32 v3, vcc, s26, v3
	v_addc_co_u32_e32 v4, vcc, v5, v4, vcc
	v_subrev_co_u32_e32 v1, vcc, s15, v1
	v_lshlrev_b64 v[1:2], 1, v[1:2]
	v_mov_b32_e32 v5, s28
	v_add_co_u32_e64 v1, s[0:1], s25, v1
	v_addc_co_u32_e64 v2, s[0:1], v5, v2, s[0:1]
	v_cndmask_b32_e32 v2, v2, v4, vcc
	v_cndmask_b32_e32 v1, v1, v3, vcc
	global_load_ushort v1, v[1:2], off
	s_mov_b32 s0, 0x5040100
	s_waitcnt vmcnt(0)
	v_perm_b32 v10, v1, v10, s0
.LBB1369_11:
	s_or_b64 exec, exec, s[6:7]
	s_lshl_b64 s[0:1], s[2:3], 3
	s_add_u32 s7, s10, s0
	s_addc_u32 s22, s11, s1
	s_lshl_b64 s[0:1], s[20:21], 3
	s_add_u32 s6, s10, s0
	v_mov_b32_e32 v7, 0
	v_lshrrev_b32_e32 v18, 16, v9
	s_waitcnt vmcnt(0)
	v_lshrrev_b32_e32 v19, 16, v10
	s_addc_u32 s10, s11, s1
	s_andn2_b64 vcc, exec, s[18:19]
	v_lshlrev_b32_e32 v16, 3, v0
	ds_write_b16 v15, v9
	ds_write_b16 v15, v18 offset:512
	ds_write_b16 v15, v10 offset:1024
	;; [unrolled: 1-line block ×3, first 2 shown]
	s_cbranch_vccnz .LBB1369_13
; %bb.12:
	v_mov_b32_e32 v1, s22
	v_add_co_u32_e32 v3, vcc, s7, v16
	v_addc_co_u32_e32 v4, vcc, 0, v1, vcc
	v_subrev_co_u32_e32 v6, vcc, s15, v0
	v_lshlrev_b64 v[1:2], 3, v[6:7]
	v_mov_b32_e32 v5, s10
	v_add_co_u32_e64 v1, s[0:1], s6, v1
	v_addc_co_u32_e64 v2, s[0:1], v5, v2, s[0:1]
	v_mov_b32_e32 v14, v7
	v_cndmask_b32_e32 v2, v2, v4, vcc
	v_cndmask_b32_e32 v1, v1, v3, vcc
	v_lshlrev_b64 v[3:4], 3, v[13:14]
	v_mov_b32_e32 v5, s22
	v_add_co_u32_e32 v8, vcc, s7, v3
	v_addc_co_u32_e32 v5, vcc, v5, v4, vcc
	v_subrev_co_u32_e32 v6, vcc, s15, v13
	v_lshlrev_b64 v[3:4], 3, v[6:7]
	v_mov_b32_e32 v6, s10
	v_add_co_u32_e64 v3, s[0:1], s6, v3
	v_addc_co_u32_e64 v4, s[0:1], v6, v4, s[0:1]
	v_mov_b32_e32 v12, v7
	v_cndmask_b32_e32 v4, v4, v5, vcc
	v_lshlrev_b64 v[5:6], 3, v[11:12]
	v_cndmask_b32_e32 v3, v3, v8, vcc
	v_mov_b32_e32 v8, s22
	v_add_co_u32_e32 v12, vcc, s7, v5
	v_addc_co_u32_e32 v8, vcc, v8, v6, vcc
	v_subrev_co_u32_e32 v6, vcc, s15, v11
	v_lshlrev_b64 v[5:6], 3, v[6:7]
	v_mov_b32_e32 v14, s10
	v_add_co_u32_e64 v5, s[0:1], s6, v5
	v_addc_co_u32_e64 v6, s[0:1], v14, v6, s[0:1]
	v_cndmask_b32_e32 v6, v6, v8, vcc
	v_cndmask_b32_e32 v5, v5, v12, vcc
	global_load_dwordx2 v[1:2], v[1:2], off
	s_add_i32 s11, s17, s15
	global_load_dwordx2 v[3:4], v[3:4], off
	v_mov_b32_e32 v8, v7
	global_load_dwordx2 v[5:6], v[5:6], off
	v_add_u32_e32 v12, v11, v17
	s_mov_b64 s[0:1], -1
	v_mov_b32_e32 v14, s11
	s_cbranch_execz .LBB1369_14
	s_branch .LBB1369_19
.LBB1369_13:
	s_mov_b64 s[0:1], 0
                                        ; implicit-def: $vgpr12
                                        ; implicit-def: $vgpr1_vgpr2_vgpr3_vgpr4_vgpr5_vgpr6_vgpr7_vgpr8
                                        ; implicit-def: $vgpr14
.LBB1369_14:
	s_add_i32 s11, s17, s15
	s_waitcnt vmcnt(2)
	v_mov_b32_e32 v1, 0
	v_cmp_gt_u32_e32 vcc, s11, v0
	v_mov_b32_e32 v2, v1
	s_waitcnt vmcnt(1)
	v_mov_b32_e32 v3, v1
	v_mov_b32_e32 v4, v1
	s_waitcnt vmcnt(0)
	v_mov_b32_e32 v5, v1
	v_mov_b32_e32 v6, v1
	;; [unrolled: 1-line block ×4, first 2 shown]
	s_and_saveexec_b64 s[2:3], vcc
	s_cbranch_execnz .LBB1369_49
; %bb.15:
	s_or_b64 exec, exec, s[2:3]
	v_cmp_gt_u32_e32 vcc, s11, v13
	s_and_saveexec_b64 s[2:3], vcc
	s_cbranch_execnz .LBB1369_50
.LBB1369_16:
	s_or_b64 exec, exec, s[2:3]
	v_cmp_gt_u32_e32 vcc, s11, v11
	s_and_saveexec_b64 s[2:3], vcc
	s_cbranch_execz .LBB1369_18
.LBB1369_17:
	v_mov_b32_e32 v12, 0
	v_lshlrev_b64 v[5:6], 3, v[11:12]
	v_mov_b32_e32 v13, s22
	v_add_co_u32_e32 v14, vcc, s7, v5
	v_addc_co_u32_e32 v13, vcc, v13, v6, vcc
	v_subrev_co_u32_e32 v5, vcc, s15, v11
	v_mov_b32_e32 v6, v12
	v_lshlrev_b64 v[5:6], 3, v[5:6]
	v_mov_b32_e32 v12, s10
	v_add_co_u32_e64 v5, s[0:1], s6, v5
	v_addc_co_u32_e64 v6, s[0:1], v12, v6, s[0:1]
	v_cndmask_b32_e32 v6, v6, v13, vcc
	v_cndmask_b32_e32 v5, v5, v14, vcc
	global_load_dwordx2 v[5:6], v[5:6], off
.LBB1369_18:
	s_or_b64 exec, exec, s[2:3]
	v_add_u32_e32 v12, v11, v17
	v_cmp_gt_u32_e64 s[0:1], s11, v12
	v_mov_b32_e32 v14, s11
.LBB1369_19:
	s_and_saveexec_b64 s[2:3], s[0:1]
	s_cbranch_execz .LBB1369_21
; %bb.20:
	v_mov_b32_e32 v8, 0
	v_mov_b32_e32 v13, v8
	v_lshlrev_b64 v[20:21], 3, v[12:13]
	v_mov_b32_e32 v7, s22
	v_add_co_u32_e32 v11, vcc, s7, v20
	v_addc_co_u32_e32 v13, vcc, v7, v21, vcc
	v_subrev_co_u32_e32 v7, vcc, s15, v12
	v_lshlrev_b64 v[7:8], 3, v[7:8]
	v_mov_b32_e32 v12, s10
	v_add_co_u32_e64 v7, s[0:1], s6, v7
	v_addc_co_u32_e64 v8, s[0:1], v12, v8, s[0:1]
	v_cndmask_b32_e32 v8, v8, v13, vcc
	v_cndmask_b32_e32 v7, v7, v11, vcc
	global_load_dwordx2 v[7:8], v[7:8], off
.LBB1369_21:
	s_or_b64 exec, exec, s[2:3]
	s_load_dword s20, s[4:5], 0x34
	v_lshlrev_b32_e32 v11, 2, v0
	v_min_u32_e32 v13, v14, v11
	v_sub_u32_e64 v12, v13, s17 clamp
	v_min_u32_e32 v17, s15, v13
	v_cmp_lt_u32_e32 vcc, v12, v17
	s_waitcnt vmcnt(0) lgkmcnt(0)
	s_barrier
	s_and_saveexec_b64 s[0:1], vcc
	s_cbranch_execz .LBB1369_25
; %bb.22:
	v_lshlrev_b32_e32 v20, 1, v13
	v_lshl_add_u32 v20, s15, 1, v20
	s_mov_b64 s[2:3], 0
.LBB1369_23:                            ; =>This Inner Loop Header: Depth=1
	v_add_u32_e32 v21, v17, v12
	v_lshrrev_b32_e32 v22, 1, v21
	v_not_b32_e32 v23, v22
	v_and_b32_e32 v21, -2, v21
	v_lshl_add_u32 v23, v23, 1, v20
	ds_read_u16 v21, v21
	ds_read_u16 v23, v23
	v_add_u32_e32 v24, 1, v22
	s_waitcnt lgkmcnt(1)
	v_and_b32_e32 v21, s20, v21
	s_waitcnt lgkmcnt(0)
	v_and_b32_e32 v23, s20, v23
	v_cmp_gt_i16_e32 vcc, v21, v23
	v_cndmask_b32_e32 v17, v17, v22, vcc
	v_cndmask_b32_e32 v12, v24, v12, vcc
	v_cmp_ge_u32_e32 vcc, v12, v17
	s_or_b64 s[2:3], vcc, s[2:3]
	s_andn2_b64 exec, exec, s[2:3]
	s_cbranch_execnz .LBB1369_23
; %bb.24:
	s_or_b64 exec, exec, s[2:3]
.LBB1369_25:
	s_or_b64 exec, exec, s[0:1]
	v_sub_u32_e32 v13, v13, v12
	v_add_u32_e32 v21, s15, v13
	v_cmp_ge_u32_e32 vcc, s15, v12
	v_cmp_le_u32_e64 s[0:1], v21, v14
	s_or_b64 s[0:1], vcc, s[0:1]
	v_mov_b32_e32 v22, 0
	v_mov_b32_e32 v20, 0
	;; [unrolled: 1-line block ×4, first 2 shown]
	s_and_saveexec_b64 s[10:11], s[0:1]
	s_cbranch_execz .LBB1369_31
; %bb.26:
	v_cmp_gt_u32_e32 vcc, s15, v12
                                        ; implicit-def: $vgpr9
	s_and_saveexec_b64 s[0:1], vcc
; %bb.27:
	v_lshlrev_b32_e32 v9, 1, v12
	ds_read_u16 v9, v9
; %bb.28:
	s_or_b64 exec, exec, s[0:1]
	v_cmp_ge_u32_e64 s[0:1], v21, v14
	v_cmp_lt_u32_e64 s[2:3], v21, v14
                                        ; implicit-def: $vgpr10
	s_and_saveexec_b64 s[4:5], s[2:3]
; %bb.29:
	v_lshlrev_b32_e32 v10, 1, v21
	ds_read_u16 v10, v10
; %bb.30:
	s_or_b64 exec, exec, s[4:5]
	s_waitcnt lgkmcnt(0)
	v_and_b32_e32 v13, s20, v10
	v_and_b32_e32 v17, s20, v9
	v_cmp_le_i16_e64 s[2:3], v17, v13
	s_and_b64 s[2:3], vcc, s[2:3]
	s_or_b64 vcc, s[0:1], s[2:3]
	v_mov_b32_e32 v18, s15
	v_cndmask_b32_e32 v13, v21, v12, vcc
	v_cndmask_b32_e32 v17, v14, v18, vcc
	v_add_u32_e32 v19, 1, v13
	v_add_u32_e32 v17, -1, v17
	v_min_u32_e32 v17, v19, v17
	v_lshlrev_b32_e32 v17, 1, v17
	ds_read_u16 v17, v17
	v_cndmask_b32_e32 v20, v19, v21, vcc
	v_cndmask_b32_e32 v12, v12, v19, vcc
	v_cmp_gt_u32_e64 s[2:3], s15, v12
	v_cmp_ge_u32_e64 s[0:1], v20, v14
	s_waitcnt lgkmcnt(0)
	v_cndmask_b32_e32 v22, v17, v10, vcc
	v_cndmask_b32_e32 v23, v9, v17, vcc
	v_and_b32_e32 v17, s20, v22
	v_and_b32_e32 v19, s20, v23
	v_cmp_le_i16_e64 s[4:5], v19, v17
	s_and_b64 s[2:3], s[2:3], s[4:5]
	s_or_b64 s[0:1], s[0:1], s[2:3]
	v_cndmask_b32_e64 v17, v20, v12, s[0:1]
	v_cndmask_b32_e64 v19, v14, v18, s[0:1]
	v_add_u32_e32 v21, 1, v17
	v_add_u32_e32 v19, -1, v19
	v_min_u32_e32 v19, v21, v19
	v_lshlrev_b32_e32 v19, 1, v19
	ds_read_u16 v19, v19
	v_cndmask_b32_e64 v25, v21, v20, s[0:1]
	v_cndmask_b32_e64 v12, v12, v21, s[0:1]
	v_cmp_gt_u32_e64 s[4:5], s15, v12
	v_cmp_ge_u32_e64 s[2:3], v25, v14
	s_waitcnt lgkmcnt(0)
	v_cndmask_b32_e64 v24, v19, v22, s[0:1]
	v_cndmask_b32_e64 v19, v23, v19, s[0:1]
	v_and_b32_e32 v20, s20, v24
	v_and_b32_e32 v21, s20, v19
	v_cmp_le_i16_e64 s[6:7], v21, v20
	s_and_b64 s[4:5], s[4:5], s[6:7]
	s_or_b64 s[2:3], s[2:3], s[4:5]
	v_cndmask_b32_e64 v20, v25, v12, s[2:3]
	v_cndmask_b32_e64 v18, v14, v18, s[2:3]
	v_add_u32_e32 v21, 1, v20
	v_add_u32_e32 v18, -1, v18
	v_min_u32_e32 v18, v21, v18
	v_lshlrev_b32_e32 v18, 1, v18
	ds_read_u16 v26, v18
	v_cndmask_b32_e32 v9, v10, v9, vcc
	v_cndmask_b32_e64 v18, v22, v23, s[0:1]
	v_cndmask_b32_e64 v10, v24, v19, s[2:3]
	;; [unrolled: 1-line block ×3, first 2 shown]
	s_waitcnt lgkmcnt(0)
	v_cndmask_b32_e64 v23, v26, v24, s[2:3]
	v_cndmask_b32_e64 v19, v19, v26, s[2:3]
	;; [unrolled: 1-line block ×3, first 2 shown]
	v_cmp_ge_u32_e32 vcc, v22, v14
	v_and_b32_e32 v14, s20, v23
	v_and_b32_e32 v21, s20, v19
	v_cmp_gt_u32_e64 s[0:1], s15, v12
	v_cmp_le_i16_e64 s[2:3], v21, v14
	s_and_b64 s[0:1], s[0:1], s[2:3]
	s_or_b64 vcc, vcc, s[0:1]
	v_cndmask_b32_e32 v22, v22, v12, vcc
	v_cndmask_b32_e32 v19, v23, v19, vcc
.LBB1369_31:
	s_or_b64 exec, exec, s[10:11]
	v_mad_u32_u24 v12, v0, 6, v15
	s_barrier
	ds_write2st64_b64 v12, v[1:2], v[3:4] offset1:4
	ds_write2st64_b64 v12, v[5:6], v[7:8] offset0:8 offset1:12
	v_lshrrev_b32_e32 v12, 2, v0
	v_and_b32_e32 v12, 60, v12
	s_mov_b32 s2, 0x5040100
	v_lshlrev_b32_e32 v1, 3, v13
	v_lshlrev_b32_e32 v2, 3, v17
	;; [unrolled: 1-line block ×4, first 2 shown]
	v_lshl_add_u32 v12, v11, 1, v12
	v_perm_b32 v10, v19, v10, s2
	v_perm_b32 v9, v18, v9, s2
	s_waitcnt lgkmcnt(0)
	s_barrier
	ds_read_b64 v[5:6], v1
	ds_read_b64 v[7:8], v2
	;; [unrolled: 1-line block ×4, first 2 shown]
	s_waitcnt lgkmcnt(0)
	s_barrier
	s_barrier
	ds_write2_b32 v12, v9, v10 offset1:1
	v_lshrrev_b32_e32 v9, 4, v0
	v_and_b32_e32 v9, 12, v9
	v_or_b32_e32 v22, 0x100, v0
	v_add_u32_e32 v23, v9, v15
	v_lshrrev_b32_e32 v9, 4, v22
	v_and_b32_e32 v9, 28, v9
	v_or_b32_e32 v21, 0x200, v0
	s_mov_b32 s17, 0
	v_add_u32_e32 v24, v9, v15
	v_lshrrev_b32_e32 v9, 4, v21
	s_lshl_b64 s[0:1], s[16:17], 1
	v_and_b32_e32 v9, 44, v9
	v_or_b32_e32 v20, 0x300, v0
	s_add_u32 s0, s8, s0
	v_add_u32_e32 v25, v9, v15
	v_lshrrev_b32_e32 v9, 4, v20
	s_addc_u32 s1, s9, s1
	v_and_b32_e32 v9, 60, v9
	v_add_u32_e32 v26, v9, v15
	v_mov_b32_e32 v10, s1
	v_add_co_u32_e32 v9, vcc, s0, v15
	v_addc_co_u32_e32 v10, vcc, 0, v10, vcc
	v_lshrrev_b32_e32 v14, 3, v0
	v_lshrrev_b32_e32 v13, 5, v0
	;; [unrolled: 1-line block ×5, first 2 shown]
	s_and_b64 vcc, exec, s[18:19]
	v_lshlrev_b32_e32 v15, 3, v11
	s_waitcnt lgkmcnt(0)
	s_cbranch_vccz .LBB1369_33
; %bb.32:
	s_barrier
	ds_read_u16 v11, v23
	ds_read_u16 v12, v24 offset:512
	ds_read_u16 v27, v25 offset:1024
	;; [unrolled: 1-line block ×3, first 2 shown]
	s_lshl_b64 s[0:1], s[16:17], 3
	s_add_u32 s0, s12, s0
	s_waitcnt lgkmcnt(3)
	global_store_short v[9:10], v11, off
	s_waitcnt lgkmcnt(2)
	global_store_short v[9:10], v12, off offset:512
	s_waitcnt lgkmcnt(1)
	global_store_short v[9:10], v27, off offset:1024
	s_waitcnt lgkmcnt(0)
	global_store_short v[9:10], v28, off offset:1536
	v_lshl_add_u32 v11, v14, 3, v15
	s_waitcnt vmcnt(0)
	s_barrier
	ds_write2_b64 v11, v[5:6], v[7:8] offset1:1
	ds_write2_b64 v11, v[1:2], v[3:4] offset0:2 offset1:3
	v_lshl_add_u32 v11, v13, 3, v16
	v_lshl_add_u32 v12, v17, 3, v16
	;; [unrolled: 1-line block ×3, first 2 shown]
	s_addc_u32 s1, s13, s1
	s_waitcnt lgkmcnt(0)
	s_barrier
	v_lshl_add_u32 v33, v19, 3, v16
	ds_read_b64 v[27:28], v11
	ds_read_b64 v[29:30], v12 offset:2048
	ds_read_b64 v[31:32], v31 offset:4096
	;; [unrolled: 1-line block ×3, first 2 shown]
	v_mov_b32_e32 v33, s1
	v_add_co_u32_e32 v34, vcc, s0, v16
	v_addc_co_u32_e32 v33, vcc, 0, v33, vcc
	s_waitcnt lgkmcnt(3)
	global_store_dwordx2 v16, v[27:28], s[0:1]
	s_waitcnt lgkmcnt(2)
	global_store_dwordx2 v16, v[29:30], s[0:1] offset:2048
	v_add_co_u32_e32 v27, vcc, 0x1000, v34
	v_addc_co_u32_e32 v28, vcc, 0, v33, vcc
	s_waitcnt lgkmcnt(1)
	global_store_dwordx2 v[27:28], v[31:32], off
	s_mov_b64 s[6:7], -1
	s_cbranch_execz .LBB1369_34
	s_branch .LBB1369_44
.LBB1369_33:
	s_mov_b64 s[6:7], 0
                                        ; implicit-def: $vgpr11_vgpr12
.LBB1369_34:
	s_waitcnt vmcnt(0) lgkmcnt(0)
	s_barrier
	ds_read_u16 v24, v24 offset:512
	ds_read_u16 v12, v25 offset:1024
	;; [unrolled: 1-line block ×3, first 2 shown]
	s_sub_i32 s6, s14, s16
	v_cmp_gt_u32_e32 vcc, s6, v0
	s_and_saveexec_b64 s[0:1], vcc
	s_cbranch_execnz .LBB1369_51
; %bb.35:
	s_or_b64 exec, exec, s[0:1]
	v_cmp_gt_u32_e64 s[0:1], s6, v22
	s_and_saveexec_b64 s[2:3], s[0:1]
	s_cbranch_execnz .LBB1369_52
.LBB1369_36:
	s_or_b64 exec, exec, s[2:3]
	v_cmp_gt_u32_e64 s[2:3], s6, v21
	s_and_saveexec_b64 s[4:5], s[2:3]
	s_cbranch_execnz .LBB1369_53
.LBB1369_37:
	s_or_b64 exec, exec, s[4:5]
	v_cmp_gt_u32_e64 s[6:7], s6, v20
	s_and_saveexec_b64 s[4:5], s[6:7]
	s_cbranch_execz .LBB1369_39
.LBB1369_38:
	s_waitcnt lgkmcnt(0)
	global_store_short v[9:10], v11, off offset:1536
.LBB1369_39:
	s_or_b64 exec, exec, s[4:5]
	v_lshl_add_u32 v0, v14, 3, v15
	s_waitcnt vmcnt(0) lgkmcnt(0)
	s_barrier
	ds_write2_b64 v0, v[5:6], v[7:8] offset1:1
	ds_write2_b64 v0, v[1:2], v[3:4] offset0:2 offset1:3
	v_lshl_add_u32 v0, v17, 3, v16
	v_lshl_add_u32 v1, v18, 3, v16
	s_waitcnt lgkmcnt(0)
	s_barrier
	v_lshl_add_u32 v2, v19, 3, v16
	ds_read_b64 v[4:5], v0 offset:2048
	ds_read_b64 v[0:1], v1 offset:4096
	ds_read_b64 v[11:12], v2 offset:6144
	s_lshl_b64 s[4:5], s[16:17], 3
	s_add_u32 s4, s12, s4
	s_addc_u32 s5, s13, s5
	v_mov_b32_e32 v3, s5
	v_add_co_u32_e64 v2, s[4:5], s4, v16
	v_addc_co_u32_e64 v3, s[4:5], 0, v3, s[4:5]
	s_and_saveexec_b64 s[4:5], vcc
	s_cbranch_execnz .LBB1369_54
; %bb.40:
	s_or_b64 exec, exec, s[4:5]
	s_and_saveexec_b64 s[4:5], s[0:1]
	s_cbranch_execnz .LBB1369_55
.LBB1369_41:
	s_or_b64 exec, exec, s[4:5]
	s_and_saveexec_b64 s[0:1], s[2:3]
	s_cbranch_execz .LBB1369_43
.LBB1369_42:
	v_add_co_u32_e32 v2, vcc, 0x1000, v2
	v_addc_co_u32_e32 v3, vcc, 0, v3, vcc
	s_waitcnt lgkmcnt(1)
	global_store_dwordx2 v[2:3], v[0:1], off
.LBB1369_43:
	s_or_b64 exec, exec, s[0:1]
.LBB1369_44:
	s_and_saveexec_b64 s[0:1], s[6:7]
	s_cbranch_execz .LBB1369_46
; %bb.45:
	s_lshl_b64 s[0:1], s[16:17], 3
	s_add_u32 s0, s12, s0
	s_addc_u32 s1, s13, s1
	s_waitcnt lgkmcnt(1)
	v_mov_b32_e32 v0, s1
	v_add_co_u32_e32 v1, vcc, s0, v16
	v_addc_co_u32_e32 v2, vcc, 0, v0, vcc
	v_add_co_u32_e32 v0, vcc, 0x1000, v1
	v_addc_co_u32_e32 v1, vcc, 0, v2, vcc
	s_waitcnt lgkmcnt(0)
	global_store_dwordx2 v[0:1], v[11:12], off offset:2048
.LBB1369_46:
	s_endpgm
.LBB1369_47:
	v_mov_b32_e32 v1, s27
	v_add_co_u32_e32 v3, vcc, s26, v15
	v_addc_co_u32_e32 v4, vcc, 0, v1, vcc
	v_subrev_co_u32_e32 v1, vcc, s15, v0
	v_mov_b32_e32 v2, v9
	v_lshlrev_b64 v[1:2], 1, v[1:2]
	v_mov_b32_e32 v5, s28
	v_add_co_u32_e64 v1, s[0:1], s25, v1
	v_addc_co_u32_e64 v2, s[0:1], v5, v2, s[0:1]
	v_cndmask_b32_e32 v2, v2, v4, vcc
	v_cndmask_b32_e32 v1, v1, v3, vcc
	global_load_ushort v1, v[1:2], off
	v_mov_b32_e32 v2, v9
	s_waitcnt vmcnt(0)
	v_and_b32_e32 v1, 0xffff, v1
	v_mov_b32_e32 v10, v2
	v_mov_b32_e32 v9, v1
	s_or_b64 exec, exec, s[6:7]
	v_cmp_gt_u32_e32 vcc, s22, v13
	s_and_saveexec_b64 s[6:7], vcc
	s_cbranch_execz .LBB1369_6
.LBB1369_48:
	v_mov_b32_e32 v14, 0
	v_lshlrev_b64 v[1:2], 1, v[13:14]
	v_mov_b32_e32 v3, s27
	v_add_co_u32_e32 v4, vcc, s26, v1
	v_addc_co_u32_e32 v3, vcc, v3, v2, vcc
	v_subrev_co_u32_e32 v1, vcc, s15, v13
	v_mov_b32_e32 v2, v14
	v_lshlrev_b64 v[1:2], 1, v[1:2]
	v_mov_b32_e32 v5, s28
	v_add_co_u32_e64 v1, s[0:1], s25, v1
	v_addc_co_u32_e64 v2, s[0:1], v5, v2, s[0:1]
	v_cndmask_b32_e32 v2, v2, v3, vcc
	v_cndmask_b32_e32 v1, v1, v4, vcc
	global_load_ushort v1, v[1:2], off
	s_mov_b32 s0, 0x5040100
	s_waitcnt vmcnt(0)
	v_perm_b32 v9, v1, v9, s0
	s_or_b64 exec, exec, s[6:7]
	v_cmp_gt_u32_e32 vcc, s22, v11
	s_and_saveexec_b64 s[6:7], vcc
	s_cbranch_execnz .LBB1369_7
	s_branch .LBB1369_8
.LBB1369_49:
	v_mov_b32_e32 v2, s22
	v_add_co_u32_e32 v4, vcc, s7, v16
	v_addc_co_u32_e32 v5, vcc, 0, v2, vcc
	v_subrev_co_u32_e32 v2, vcc, s15, v0
	v_mov_b32_e32 v3, v1
	v_lshlrev_b64 v[2:3], 3, v[2:3]
	v_mov_b32_e32 v6, s10
	v_add_co_u32_e64 v2, s[0:1], s6, v2
	v_addc_co_u32_e64 v3, s[0:1], v6, v3, s[0:1]
	v_cndmask_b32_e32 v3, v3, v5, vcc
	v_cndmask_b32_e32 v2, v2, v4, vcc
	global_load_dwordx2 v[20:21], v[2:3], off
	v_mov_b32_e32 v22, v1
	v_mov_b32_e32 v23, v1
	;; [unrolled: 1-line block ×6, first 2 shown]
	s_waitcnt vmcnt(0)
	v_mov_b32_e32 v1, v20
	v_mov_b32_e32 v2, v21
	;; [unrolled: 1-line block ×8, first 2 shown]
	s_or_b64 exec, exec, s[2:3]
	v_cmp_gt_u32_e32 vcc, s11, v13
	s_and_saveexec_b64 s[2:3], vcc
	s_cbranch_execz .LBB1369_16
.LBB1369_50:
	v_mov_b32_e32 v14, 0
	v_lshlrev_b64 v[3:4], 3, v[13:14]
	v_mov_b32_e32 v12, s22
	v_add_co_u32_e32 v20, vcc, s7, v3
	v_addc_co_u32_e32 v12, vcc, v12, v4, vcc
	v_subrev_co_u32_e32 v13, vcc, s15, v13
	v_lshlrev_b64 v[3:4], 3, v[13:14]
	v_mov_b32_e32 v13, s10
	v_add_co_u32_e64 v3, s[0:1], s6, v3
	v_addc_co_u32_e64 v4, s[0:1], v13, v4, s[0:1]
	v_cndmask_b32_e32 v4, v4, v12, vcc
	v_cndmask_b32_e32 v3, v3, v20, vcc
	global_load_dwordx2 v[3:4], v[3:4], off
	s_or_b64 exec, exec, s[2:3]
	v_cmp_gt_u32_e32 vcc, s11, v11
	s_and_saveexec_b64 s[2:3], vcc
	s_cbranch_execnz .LBB1369_17
	s_branch .LBB1369_18
.LBB1369_51:
	ds_read_u16 v0, v23
	s_waitcnt lgkmcnt(0)
	global_store_short v[9:10], v0, off
	s_or_b64 exec, exec, s[0:1]
	v_cmp_gt_u32_e64 s[0:1], s6, v22
	s_and_saveexec_b64 s[2:3], s[0:1]
	s_cbranch_execz .LBB1369_36
.LBB1369_52:
	s_waitcnt lgkmcnt(2)
	global_store_short v[9:10], v24, off offset:512
	s_or_b64 exec, exec, s[2:3]
	v_cmp_gt_u32_e64 s[2:3], s6, v21
	s_and_saveexec_b64 s[4:5], s[2:3]
	s_cbranch_execz .LBB1369_37
.LBB1369_53:
	s_waitcnt lgkmcnt(1)
	global_store_short v[9:10], v12, off offset:1024
	s_or_b64 exec, exec, s[4:5]
	v_cmp_gt_u32_e64 s[6:7], s6, v20
	s_and_saveexec_b64 s[4:5], s[6:7]
	s_cbranch_execnz .LBB1369_38
	s_branch .LBB1369_39
.LBB1369_54:
	v_lshl_add_u32 v6, v13, 3, v16
	ds_read_b64 v[6:7], v6
	s_waitcnt lgkmcnt(0)
	global_store_dwordx2 v[2:3], v[6:7], off
	s_or_b64 exec, exec, s[4:5]
	s_and_saveexec_b64 s[4:5], s[0:1]
	s_cbranch_execz .LBB1369_41
.LBB1369_55:
	s_waitcnt lgkmcnt(2)
	global_store_dwordx2 v[2:3], v[4:5], off offset:2048
	s_or_b64 exec, exec, s[4:5]
	s_and_saveexec_b64 s[0:1], s[2:3]
	s_cbranch_execnz .LBB1369_42
	s_branch .LBB1369_43
	.section	.rodata,"a",@progbits
	.p2align	6, 0x0
	.amdhsa_kernel _ZN7rocprim17ROCPRIM_400000_NS6detail17trampoline_kernelINS0_14default_configENS1_38merge_sort_block_merge_config_selectorIslEEZZNS1_27merge_sort_block_merge_implIS3_PsN6thrust23THRUST_200600_302600_NS10device_ptrIlEEjNS1_19radix_merge_compareILb0ELb1EsNS0_19identity_decomposerEEEEE10hipError_tT0_T1_T2_jT3_P12ihipStream_tbPNSt15iterator_traitsISG_E10value_typeEPNSM_ISH_E10value_typeEPSI_NS1_7vsmem_tEENKUlT_SG_SH_SI_E_clIS7_S7_SB_PlEESF_SV_SG_SH_SI_EUlSV_E0_NS1_11comp_targetILNS1_3genE2ELNS1_11target_archE906ELNS1_3gpuE6ELNS1_3repE0EEENS1_38merge_mergepath_config_static_selectorELNS0_4arch9wavefront6targetE1EEEvSH_
		.amdhsa_group_segment_fixed_size 8448
		.amdhsa_private_segment_fixed_size 0
		.amdhsa_kernarg_size 320
		.amdhsa_user_sgpr_count 6
		.amdhsa_user_sgpr_private_segment_buffer 1
		.amdhsa_user_sgpr_dispatch_ptr 0
		.amdhsa_user_sgpr_queue_ptr 0
		.amdhsa_user_sgpr_kernarg_segment_ptr 1
		.amdhsa_user_sgpr_dispatch_id 0
		.amdhsa_user_sgpr_flat_scratch_init 0
		.amdhsa_user_sgpr_private_segment_size 0
		.amdhsa_uses_dynamic_stack 0
		.amdhsa_system_sgpr_private_segment_wavefront_offset 0
		.amdhsa_system_sgpr_workgroup_id_x 1
		.amdhsa_system_sgpr_workgroup_id_y 1
		.amdhsa_system_sgpr_workgroup_id_z 1
		.amdhsa_system_sgpr_workgroup_info 0
		.amdhsa_system_vgpr_workitem_id 0
		.amdhsa_next_free_vgpr 35
		.amdhsa_next_free_sgpr 77
		.amdhsa_reserve_vcc 1
		.amdhsa_reserve_flat_scratch 0
		.amdhsa_float_round_mode_32 0
		.amdhsa_float_round_mode_16_64 0
		.amdhsa_float_denorm_mode_32 3
		.amdhsa_float_denorm_mode_16_64 3
		.amdhsa_dx10_clamp 1
		.amdhsa_ieee_mode 1
		.amdhsa_fp16_overflow 0
		.amdhsa_exception_fp_ieee_invalid_op 0
		.amdhsa_exception_fp_denorm_src 0
		.amdhsa_exception_fp_ieee_div_zero 0
		.amdhsa_exception_fp_ieee_overflow 0
		.amdhsa_exception_fp_ieee_underflow 0
		.amdhsa_exception_fp_ieee_inexact 0
		.amdhsa_exception_int_div_zero 0
	.end_amdhsa_kernel
	.section	.text._ZN7rocprim17ROCPRIM_400000_NS6detail17trampoline_kernelINS0_14default_configENS1_38merge_sort_block_merge_config_selectorIslEEZZNS1_27merge_sort_block_merge_implIS3_PsN6thrust23THRUST_200600_302600_NS10device_ptrIlEEjNS1_19radix_merge_compareILb0ELb1EsNS0_19identity_decomposerEEEEE10hipError_tT0_T1_T2_jT3_P12ihipStream_tbPNSt15iterator_traitsISG_E10value_typeEPNSM_ISH_E10value_typeEPSI_NS1_7vsmem_tEENKUlT_SG_SH_SI_E_clIS7_S7_SB_PlEESF_SV_SG_SH_SI_EUlSV_E0_NS1_11comp_targetILNS1_3genE2ELNS1_11target_archE906ELNS1_3gpuE6ELNS1_3repE0EEENS1_38merge_mergepath_config_static_selectorELNS0_4arch9wavefront6targetE1EEEvSH_,"axG",@progbits,_ZN7rocprim17ROCPRIM_400000_NS6detail17trampoline_kernelINS0_14default_configENS1_38merge_sort_block_merge_config_selectorIslEEZZNS1_27merge_sort_block_merge_implIS3_PsN6thrust23THRUST_200600_302600_NS10device_ptrIlEEjNS1_19radix_merge_compareILb0ELb1EsNS0_19identity_decomposerEEEEE10hipError_tT0_T1_T2_jT3_P12ihipStream_tbPNSt15iterator_traitsISG_E10value_typeEPNSM_ISH_E10value_typeEPSI_NS1_7vsmem_tEENKUlT_SG_SH_SI_E_clIS7_S7_SB_PlEESF_SV_SG_SH_SI_EUlSV_E0_NS1_11comp_targetILNS1_3genE2ELNS1_11target_archE906ELNS1_3gpuE6ELNS1_3repE0EEENS1_38merge_mergepath_config_static_selectorELNS0_4arch9wavefront6targetE1EEEvSH_,comdat
.Lfunc_end1369:
	.size	_ZN7rocprim17ROCPRIM_400000_NS6detail17trampoline_kernelINS0_14default_configENS1_38merge_sort_block_merge_config_selectorIslEEZZNS1_27merge_sort_block_merge_implIS3_PsN6thrust23THRUST_200600_302600_NS10device_ptrIlEEjNS1_19radix_merge_compareILb0ELb1EsNS0_19identity_decomposerEEEEE10hipError_tT0_T1_T2_jT3_P12ihipStream_tbPNSt15iterator_traitsISG_E10value_typeEPNSM_ISH_E10value_typeEPSI_NS1_7vsmem_tEENKUlT_SG_SH_SI_E_clIS7_S7_SB_PlEESF_SV_SG_SH_SI_EUlSV_E0_NS1_11comp_targetILNS1_3genE2ELNS1_11target_archE906ELNS1_3gpuE6ELNS1_3repE0EEENS1_38merge_mergepath_config_static_selectorELNS0_4arch9wavefront6targetE1EEEvSH_, .Lfunc_end1369-_ZN7rocprim17ROCPRIM_400000_NS6detail17trampoline_kernelINS0_14default_configENS1_38merge_sort_block_merge_config_selectorIslEEZZNS1_27merge_sort_block_merge_implIS3_PsN6thrust23THRUST_200600_302600_NS10device_ptrIlEEjNS1_19radix_merge_compareILb0ELb1EsNS0_19identity_decomposerEEEEE10hipError_tT0_T1_T2_jT3_P12ihipStream_tbPNSt15iterator_traitsISG_E10value_typeEPNSM_ISH_E10value_typeEPSI_NS1_7vsmem_tEENKUlT_SG_SH_SI_E_clIS7_S7_SB_PlEESF_SV_SG_SH_SI_EUlSV_E0_NS1_11comp_targetILNS1_3genE2ELNS1_11target_archE906ELNS1_3gpuE6ELNS1_3repE0EEENS1_38merge_mergepath_config_static_selectorELNS0_4arch9wavefront6targetE1EEEvSH_
                                        ; -- End function
	.set _ZN7rocprim17ROCPRIM_400000_NS6detail17trampoline_kernelINS0_14default_configENS1_38merge_sort_block_merge_config_selectorIslEEZZNS1_27merge_sort_block_merge_implIS3_PsN6thrust23THRUST_200600_302600_NS10device_ptrIlEEjNS1_19radix_merge_compareILb0ELb1EsNS0_19identity_decomposerEEEEE10hipError_tT0_T1_T2_jT3_P12ihipStream_tbPNSt15iterator_traitsISG_E10value_typeEPNSM_ISH_E10value_typeEPSI_NS1_7vsmem_tEENKUlT_SG_SH_SI_E_clIS7_S7_SB_PlEESF_SV_SG_SH_SI_EUlSV_E0_NS1_11comp_targetILNS1_3genE2ELNS1_11target_archE906ELNS1_3gpuE6ELNS1_3repE0EEENS1_38merge_mergepath_config_static_selectorELNS0_4arch9wavefront6targetE1EEEvSH_.num_vgpr, 35
	.set _ZN7rocprim17ROCPRIM_400000_NS6detail17trampoline_kernelINS0_14default_configENS1_38merge_sort_block_merge_config_selectorIslEEZZNS1_27merge_sort_block_merge_implIS3_PsN6thrust23THRUST_200600_302600_NS10device_ptrIlEEjNS1_19radix_merge_compareILb0ELb1EsNS0_19identity_decomposerEEEEE10hipError_tT0_T1_T2_jT3_P12ihipStream_tbPNSt15iterator_traitsISG_E10value_typeEPNSM_ISH_E10value_typeEPSI_NS1_7vsmem_tEENKUlT_SG_SH_SI_E_clIS7_S7_SB_PlEESF_SV_SG_SH_SI_EUlSV_E0_NS1_11comp_targetILNS1_3genE2ELNS1_11target_archE906ELNS1_3gpuE6ELNS1_3repE0EEENS1_38merge_mergepath_config_static_selectorELNS0_4arch9wavefront6targetE1EEEvSH_.num_agpr, 0
	.set _ZN7rocprim17ROCPRIM_400000_NS6detail17trampoline_kernelINS0_14default_configENS1_38merge_sort_block_merge_config_selectorIslEEZZNS1_27merge_sort_block_merge_implIS3_PsN6thrust23THRUST_200600_302600_NS10device_ptrIlEEjNS1_19radix_merge_compareILb0ELb1EsNS0_19identity_decomposerEEEEE10hipError_tT0_T1_T2_jT3_P12ihipStream_tbPNSt15iterator_traitsISG_E10value_typeEPNSM_ISH_E10value_typeEPSI_NS1_7vsmem_tEENKUlT_SG_SH_SI_E_clIS7_S7_SB_PlEESF_SV_SG_SH_SI_EUlSV_E0_NS1_11comp_targetILNS1_3genE2ELNS1_11target_archE906ELNS1_3gpuE6ELNS1_3repE0EEENS1_38merge_mergepath_config_static_selectorELNS0_4arch9wavefront6targetE1EEEvSH_.numbered_sgpr, 34
	.set _ZN7rocprim17ROCPRIM_400000_NS6detail17trampoline_kernelINS0_14default_configENS1_38merge_sort_block_merge_config_selectorIslEEZZNS1_27merge_sort_block_merge_implIS3_PsN6thrust23THRUST_200600_302600_NS10device_ptrIlEEjNS1_19radix_merge_compareILb0ELb1EsNS0_19identity_decomposerEEEEE10hipError_tT0_T1_T2_jT3_P12ihipStream_tbPNSt15iterator_traitsISG_E10value_typeEPNSM_ISH_E10value_typeEPSI_NS1_7vsmem_tEENKUlT_SG_SH_SI_E_clIS7_S7_SB_PlEESF_SV_SG_SH_SI_EUlSV_E0_NS1_11comp_targetILNS1_3genE2ELNS1_11target_archE906ELNS1_3gpuE6ELNS1_3repE0EEENS1_38merge_mergepath_config_static_selectorELNS0_4arch9wavefront6targetE1EEEvSH_.num_named_barrier, 0
	.set _ZN7rocprim17ROCPRIM_400000_NS6detail17trampoline_kernelINS0_14default_configENS1_38merge_sort_block_merge_config_selectorIslEEZZNS1_27merge_sort_block_merge_implIS3_PsN6thrust23THRUST_200600_302600_NS10device_ptrIlEEjNS1_19radix_merge_compareILb0ELb1EsNS0_19identity_decomposerEEEEE10hipError_tT0_T1_T2_jT3_P12ihipStream_tbPNSt15iterator_traitsISG_E10value_typeEPNSM_ISH_E10value_typeEPSI_NS1_7vsmem_tEENKUlT_SG_SH_SI_E_clIS7_S7_SB_PlEESF_SV_SG_SH_SI_EUlSV_E0_NS1_11comp_targetILNS1_3genE2ELNS1_11target_archE906ELNS1_3gpuE6ELNS1_3repE0EEENS1_38merge_mergepath_config_static_selectorELNS0_4arch9wavefront6targetE1EEEvSH_.private_seg_size, 0
	.set _ZN7rocprim17ROCPRIM_400000_NS6detail17trampoline_kernelINS0_14default_configENS1_38merge_sort_block_merge_config_selectorIslEEZZNS1_27merge_sort_block_merge_implIS3_PsN6thrust23THRUST_200600_302600_NS10device_ptrIlEEjNS1_19radix_merge_compareILb0ELb1EsNS0_19identity_decomposerEEEEE10hipError_tT0_T1_T2_jT3_P12ihipStream_tbPNSt15iterator_traitsISG_E10value_typeEPNSM_ISH_E10value_typeEPSI_NS1_7vsmem_tEENKUlT_SG_SH_SI_E_clIS7_S7_SB_PlEESF_SV_SG_SH_SI_EUlSV_E0_NS1_11comp_targetILNS1_3genE2ELNS1_11target_archE906ELNS1_3gpuE6ELNS1_3repE0EEENS1_38merge_mergepath_config_static_selectorELNS0_4arch9wavefront6targetE1EEEvSH_.uses_vcc, 1
	.set _ZN7rocprim17ROCPRIM_400000_NS6detail17trampoline_kernelINS0_14default_configENS1_38merge_sort_block_merge_config_selectorIslEEZZNS1_27merge_sort_block_merge_implIS3_PsN6thrust23THRUST_200600_302600_NS10device_ptrIlEEjNS1_19radix_merge_compareILb0ELb1EsNS0_19identity_decomposerEEEEE10hipError_tT0_T1_T2_jT3_P12ihipStream_tbPNSt15iterator_traitsISG_E10value_typeEPNSM_ISH_E10value_typeEPSI_NS1_7vsmem_tEENKUlT_SG_SH_SI_E_clIS7_S7_SB_PlEESF_SV_SG_SH_SI_EUlSV_E0_NS1_11comp_targetILNS1_3genE2ELNS1_11target_archE906ELNS1_3gpuE6ELNS1_3repE0EEENS1_38merge_mergepath_config_static_selectorELNS0_4arch9wavefront6targetE1EEEvSH_.uses_flat_scratch, 0
	.set _ZN7rocprim17ROCPRIM_400000_NS6detail17trampoline_kernelINS0_14default_configENS1_38merge_sort_block_merge_config_selectorIslEEZZNS1_27merge_sort_block_merge_implIS3_PsN6thrust23THRUST_200600_302600_NS10device_ptrIlEEjNS1_19radix_merge_compareILb0ELb1EsNS0_19identity_decomposerEEEEE10hipError_tT0_T1_T2_jT3_P12ihipStream_tbPNSt15iterator_traitsISG_E10value_typeEPNSM_ISH_E10value_typeEPSI_NS1_7vsmem_tEENKUlT_SG_SH_SI_E_clIS7_S7_SB_PlEESF_SV_SG_SH_SI_EUlSV_E0_NS1_11comp_targetILNS1_3genE2ELNS1_11target_archE906ELNS1_3gpuE6ELNS1_3repE0EEENS1_38merge_mergepath_config_static_selectorELNS0_4arch9wavefront6targetE1EEEvSH_.has_dyn_sized_stack, 0
	.set _ZN7rocprim17ROCPRIM_400000_NS6detail17trampoline_kernelINS0_14default_configENS1_38merge_sort_block_merge_config_selectorIslEEZZNS1_27merge_sort_block_merge_implIS3_PsN6thrust23THRUST_200600_302600_NS10device_ptrIlEEjNS1_19radix_merge_compareILb0ELb1EsNS0_19identity_decomposerEEEEE10hipError_tT0_T1_T2_jT3_P12ihipStream_tbPNSt15iterator_traitsISG_E10value_typeEPNSM_ISH_E10value_typeEPSI_NS1_7vsmem_tEENKUlT_SG_SH_SI_E_clIS7_S7_SB_PlEESF_SV_SG_SH_SI_EUlSV_E0_NS1_11comp_targetILNS1_3genE2ELNS1_11target_archE906ELNS1_3gpuE6ELNS1_3repE0EEENS1_38merge_mergepath_config_static_selectorELNS0_4arch9wavefront6targetE1EEEvSH_.has_recursion, 0
	.set _ZN7rocprim17ROCPRIM_400000_NS6detail17trampoline_kernelINS0_14default_configENS1_38merge_sort_block_merge_config_selectorIslEEZZNS1_27merge_sort_block_merge_implIS3_PsN6thrust23THRUST_200600_302600_NS10device_ptrIlEEjNS1_19radix_merge_compareILb0ELb1EsNS0_19identity_decomposerEEEEE10hipError_tT0_T1_T2_jT3_P12ihipStream_tbPNSt15iterator_traitsISG_E10value_typeEPNSM_ISH_E10value_typeEPSI_NS1_7vsmem_tEENKUlT_SG_SH_SI_E_clIS7_S7_SB_PlEESF_SV_SG_SH_SI_EUlSV_E0_NS1_11comp_targetILNS1_3genE2ELNS1_11target_archE906ELNS1_3gpuE6ELNS1_3repE0EEENS1_38merge_mergepath_config_static_selectorELNS0_4arch9wavefront6targetE1EEEvSH_.has_indirect_call, 0
	.section	.AMDGPU.csdata,"",@progbits
; Kernel info:
; codeLenInByte = 3668
; TotalNumSgprs: 38
; NumVgprs: 35
; ScratchSize: 0
; MemoryBound: 0
; FloatMode: 240
; IeeeMode: 1
; LDSByteSize: 8448 bytes/workgroup (compile time only)
; SGPRBlocks: 10
; VGPRBlocks: 8
; NumSGPRsForWavesPerEU: 81
; NumVGPRsForWavesPerEU: 35
; Occupancy: 7
; WaveLimiterHint : 1
; COMPUTE_PGM_RSRC2:SCRATCH_EN: 0
; COMPUTE_PGM_RSRC2:USER_SGPR: 6
; COMPUTE_PGM_RSRC2:TRAP_HANDLER: 0
; COMPUTE_PGM_RSRC2:TGID_X_EN: 1
; COMPUTE_PGM_RSRC2:TGID_Y_EN: 1
; COMPUTE_PGM_RSRC2:TGID_Z_EN: 1
; COMPUTE_PGM_RSRC2:TIDIG_COMP_CNT: 0
	.section	.text._ZN7rocprim17ROCPRIM_400000_NS6detail17trampoline_kernelINS0_14default_configENS1_38merge_sort_block_merge_config_selectorIslEEZZNS1_27merge_sort_block_merge_implIS3_PsN6thrust23THRUST_200600_302600_NS10device_ptrIlEEjNS1_19radix_merge_compareILb0ELb1EsNS0_19identity_decomposerEEEEE10hipError_tT0_T1_T2_jT3_P12ihipStream_tbPNSt15iterator_traitsISG_E10value_typeEPNSM_ISH_E10value_typeEPSI_NS1_7vsmem_tEENKUlT_SG_SH_SI_E_clIS7_S7_SB_PlEESF_SV_SG_SH_SI_EUlSV_E0_NS1_11comp_targetILNS1_3genE9ELNS1_11target_archE1100ELNS1_3gpuE3ELNS1_3repE0EEENS1_38merge_mergepath_config_static_selectorELNS0_4arch9wavefront6targetE1EEEvSH_,"axG",@progbits,_ZN7rocprim17ROCPRIM_400000_NS6detail17trampoline_kernelINS0_14default_configENS1_38merge_sort_block_merge_config_selectorIslEEZZNS1_27merge_sort_block_merge_implIS3_PsN6thrust23THRUST_200600_302600_NS10device_ptrIlEEjNS1_19radix_merge_compareILb0ELb1EsNS0_19identity_decomposerEEEEE10hipError_tT0_T1_T2_jT3_P12ihipStream_tbPNSt15iterator_traitsISG_E10value_typeEPNSM_ISH_E10value_typeEPSI_NS1_7vsmem_tEENKUlT_SG_SH_SI_E_clIS7_S7_SB_PlEESF_SV_SG_SH_SI_EUlSV_E0_NS1_11comp_targetILNS1_3genE9ELNS1_11target_archE1100ELNS1_3gpuE3ELNS1_3repE0EEENS1_38merge_mergepath_config_static_selectorELNS0_4arch9wavefront6targetE1EEEvSH_,comdat
	.protected	_ZN7rocprim17ROCPRIM_400000_NS6detail17trampoline_kernelINS0_14default_configENS1_38merge_sort_block_merge_config_selectorIslEEZZNS1_27merge_sort_block_merge_implIS3_PsN6thrust23THRUST_200600_302600_NS10device_ptrIlEEjNS1_19radix_merge_compareILb0ELb1EsNS0_19identity_decomposerEEEEE10hipError_tT0_T1_T2_jT3_P12ihipStream_tbPNSt15iterator_traitsISG_E10value_typeEPNSM_ISH_E10value_typeEPSI_NS1_7vsmem_tEENKUlT_SG_SH_SI_E_clIS7_S7_SB_PlEESF_SV_SG_SH_SI_EUlSV_E0_NS1_11comp_targetILNS1_3genE9ELNS1_11target_archE1100ELNS1_3gpuE3ELNS1_3repE0EEENS1_38merge_mergepath_config_static_selectorELNS0_4arch9wavefront6targetE1EEEvSH_ ; -- Begin function _ZN7rocprim17ROCPRIM_400000_NS6detail17trampoline_kernelINS0_14default_configENS1_38merge_sort_block_merge_config_selectorIslEEZZNS1_27merge_sort_block_merge_implIS3_PsN6thrust23THRUST_200600_302600_NS10device_ptrIlEEjNS1_19radix_merge_compareILb0ELb1EsNS0_19identity_decomposerEEEEE10hipError_tT0_T1_T2_jT3_P12ihipStream_tbPNSt15iterator_traitsISG_E10value_typeEPNSM_ISH_E10value_typeEPSI_NS1_7vsmem_tEENKUlT_SG_SH_SI_E_clIS7_S7_SB_PlEESF_SV_SG_SH_SI_EUlSV_E0_NS1_11comp_targetILNS1_3genE9ELNS1_11target_archE1100ELNS1_3gpuE3ELNS1_3repE0EEENS1_38merge_mergepath_config_static_selectorELNS0_4arch9wavefront6targetE1EEEvSH_
	.globl	_ZN7rocprim17ROCPRIM_400000_NS6detail17trampoline_kernelINS0_14default_configENS1_38merge_sort_block_merge_config_selectorIslEEZZNS1_27merge_sort_block_merge_implIS3_PsN6thrust23THRUST_200600_302600_NS10device_ptrIlEEjNS1_19radix_merge_compareILb0ELb1EsNS0_19identity_decomposerEEEEE10hipError_tT0_T1_T2_jT3_P12ihipStream_tbPNSt15iterator_traitsISG_E10value_typeEPNSM_ISH_E10value_typeEPSI_NS1_7vsmem_tEENKUlT_SG_SH_SI_E_clIS7_S7_SB_PlEESF_SV_SG_SH_SI_EUlSV_E0_NS1_11comp_targetILNS1_3genE9ELNS1_11target_archE1100ELNS1_3gpuE3ELNS1_3repE0EEENS1_38merge_mergepath_config_static_selectorELNS0_4arch9wavefront6targetE1EEEvSH_
	.p2align	8
	.type	_ZN7rocprim17ROCPRIM_400000_NS6detail17trampoline_kernelINS0_14default_configENS1_38merge_sort_block_merge_config_selectorIslEEZZNS1_27merge_sort_block_merge_implIS3_PsN6thrust23THRUST_200600_302600_NS10device_ptrIlEEjNS1_19radix_merge_compareILb0ELb1EsNS0_19identity_decomposerEEEEE10hipError_tT0_T1_T2_jT3_P12ihipStream_tbPNSt15iterator_traitsISG_E10value_typeEPNSM_ISH_E10value_typeEPSI_NS1_7vsmem_tEENKUlT_SG_SH_SI_E_clIS7_S7_SB_PlEESF_SV_SG_SH_SI_EUlSV_E0_NS1_11comp_targetILNS1_3genE9ELNS1_11target_archE1100ELNS1_3gpuE3ELNS1_3repE0EEENS1_38merge_mergepath_config_static_selectorELNS0_4arch9wavefront6targetE1EEEvSH_,@function
_ZN7rocprim17ROCPRIM_400000_NS6detail17trampoline_kernelINS0_14default_configENS1_38merge_sort_block_merge_config_selectorIslEEZZNS1_27merge_sort_block_merge_implIS3_PsN6thrust23THRUST_200600_302600_NS10device_ptrIlEEjNS1_19radix_merge_compareILb0ELb1EsNS0_19identity_decomposerEEEEE10hipError_tT0_T1_T2_jT3_P12ihipStream_tbPNSt15iterator_traitsISG_E10value_typeEPNSM_ISH_E10value_typeEPSI_NS1_7vsmem_tEENKUlT_SG_SH_SI_E_clIS7_S7_SB_PlEESF_SV_SG_SH_SI_EUlSV_E0_NS1_11comp_targetILNS1_3genE9ELNS1_11target_archE1100ELNS1_3gpuE3ELNS1_3repE0EEENS1_38merge_mergepath_config_static_selectorELNS0_4arch9wavefront6targetE1EEEvSH_: ; @_ZN7rocprim17ROCPRIM_400000_NS6detail17trampoline_kernelINS0_14default_configENS1_38merge_sort_block_merge_config_selectorIslEEZZNS1_27merge_sort_block_merge_implIS3_PsN6thrust23THRUST_200600_302600_NS10device_ptrIlEEjNS1_19radix_merge_compareILb0ELb1EsNS0_19identity_decomposerEEEEE10hipError_tT0_T1_T2_jT3_P12ihipStream_tbPNSt15iterator_traitsISG_E10value_typeEPNSM_ISH_E10value_typeEPSI_NS1_7vsmem_tEENKUlT_SG_SH_SI_E_clIS7_S7_SB_PlEESF_SV_SG_SH_SI_EUlSV_E0_NS1_11comp_targetILNS1_3genE9ELNS1_11target_archE1100ELNS1_3gpuE3ELNS1_3repE0EEENS1_38merge_mergepath_config_static_selectorELNS0_4arch9wavefront6targetE1EEEvSH_
; %bb.0:
	.section	.rodata,"a",@progbits
	.p2align	6, 0x0
	.amdhsa_kernel _ZN7rocprim17ROCPRIM_400000_NS6detail17trampoline_kernelINS0_14default_configENS1_38merge_sort_block_merge_config_selectorIslEEZZNS1_27merge_sort_block_merge_implIS3_PsN6thrust23THRUST_200600_302600_NS10device_ptrIlEEjNS1_19radix_merge_compareILb0ELb1EsNS0_19identity_decomposerEEEEE10hipError_tT0_T1_T2_jT3_P12ihipStream_tbPNSt15iterator_traitsISG_E10value_typeEPNSM_ISH_E10value_typeEPSI_NS1_7vsmem_tEENKUlT_SG_SH_SI_E_clIS7_S7_SB_PlEESF_SV_SG_SH_SI_EUlSV_E0_NS1_11comp_targetILNS1_3genE9ELNS1_11target_archE1100ELNS1_3gpuE3ELNS1_3repE0EEENS1_38merge_mergepath_config_static_selectorELNS0_4arch9wavefront6targetE1EEEvSH_
		.amdhsa_group_segment_fixed_size 0
		.amdhsa_private_segment_fixed_size 0
		.amdhsa_kernarg_size 64
		.amdhsa_user_sgpr_count 6
		.amdhsa_user_sgpr_private_segment_buffer 1
		.amdhsa_user_sgpr_dispatch_ptr 0
		.amdhsa_user_sgpr_queue_ptr 0
		.amdhsa_user_sgpr_kernarg_segment_ptr 1
		.amdhsa_user_sgpr_dispatch_id 0
		.amdhsa_user_sgpr_flat_scratch_init 0
		.amdhsa_user_sgpr_private_segment_size 0
		.amdhsa_uses_dynamic_stack 0
		.amdhsa_system_sgpr_private_segment_wavefront_offset 0
		.amdhsa_system_sgpr_workgroup_id_x 1
		.amdhsa_system_sgpr_workgroup_id_y 0
		.amdhsa_system_sgpr_workgroup_id_z 0
		.amdhsa_system_sgpr_workgroup_info 0
		.amdhsa_system_vgpr_workitem_id 0
		.amdhsa_next_free_vgpr 1
		.amdhsa_next_free_sgpr 0
		.amdhsa_reserve_vcc 0
		.amdhsa_reserve_flat_scratch 0
		.amdhsa_float_round_mode_32 0
		.amdhsa_float_round_mode_16_64 0
		.amdhsa_float_denorm_mode_32 3
		.amdhsa_float_denorm_mode_16_64 3
		.amdhsa_dx10_clamp 1
		.amdhsa_ieee_mode 1
		.amdhsa_fp16_overflow 0
		.amdhsa_exception_fp_ieee_invalid_op 0
		.amdhsa_exception_fp_denorm_src 0
		.amdhsa_exception_fp_ieee_div_zero 0
		.amdhsa_exception_fp_ieee_overflow 0
		.amdhsa_exception_fp_ieee_underflow 0
		.amdhsa_exception_fp_ieee_inexact 0
		.amdhsa_exception_int_div_zero 0
	.end_amdhsa_kernel
	.section	.text._ZN7rocprim17ROCPRIM_400000_NS6detail17trampoline_kernelINS0_14default_configENS1_38merge_sort_block_merge_config_selectorIslEEZZNS1_27merge_sort_block_merge_implIS3_PsN6thrust23THRUST_200600_302600_NS10device_ptrIlEEjNS1_19radix_merge_compareILb0ELb1EsNS0_19identity_decomposerEEEEE10hipError_tT0_T1_T2_jT3_P12ihipStream_tbPNSt15iterator_traitsISG_E10value_typeEPNSM_ISH_E10value_typeEPSI_NS1_7vsmem_tEENKUlT_SG_SH_SI_E_clIS7_S7_SB_PlEESF_SV_SG_SH_SI_EUlSV_E0_NS1_11comp_targetILNS1_3genE9ELNS1_11target_archE1100ELNS1_3gpuE3ELNS1_3repE0EEENS1_38merge_mergepath_config_static_selectorELNS0_4arch9wavefront6targetE1EEEvSH_,"axG",@progbits,_ZN7rocprim17ROCPRIM_400000_NS6detail17trampoline_kernelINS0_14default_configENS1_38merge_sort_block_merge_config_selectorIslEEZZNS1_27merge_sort_block_merge_implIS3_PsN6thrust23THRUST_200600_302600_NS10device_ptrIlEEjNS1_19radix_merge_compareILb0ELb1EsNS0_19identity_decomposerEEEEE10hipError_tT0_T1_T2_jT3_P12ihipStream_tbPNSt15iterator_traitsISG_E10value_typeEPNSM_ISH_E10value_typeEPSI_NS1_7vsmem_tEENKUlT_SG_SH_SI_E_clIS7_S7_SB_PlEESF_SV_SG_SH_SI_EUlSV_E0_NS1_11comp_targetILNS1_3genE9ELNS1_11target_archE1100ELNS1_3gpuE3ELNS1_3repE0EEENS1_38merge_mergepath_config_static_selectorELNS0_4arch9wavefront6targetE1EEEvSH_,comdat
.Lfunc_end1370:
	.size	_ZN7rocprim17ROCPRIM_400000_NS6detail17trampoline_kernelINS0_14default_configENS1_38merge_sort_block_merge_config_selectorIslEEZZNS1_27merge_sort_block_merge_implIS3_PsN6thrust23THRUST_200600_302600_NS10device_ptrIlEEjNS1_19radix_merge_compareILb0ELb1EsNS0_19identity_decomposerEEEEE10hipError_tT0_T1_T2_jT3_P12ihipStream_tbPNSt15iterator_traitsISG_E10value_typeEPNSM_ISH_E10value_typeEPSI_NS1_7vsmem_tEENKUlT_SG_SH_SI_E_clIS7_S7_SB_PlEESF_SV_SG_SH_SI_EUlSV_E0_NS1_11comp_targetILNS1_3genE9ELNS1_11target_archE1100ELNS1_3gpuE3ELNS1_3repE0EEENS1_38merge_mergepath_config_static_selectorELNS0_4arch9wavefront6targetE1EEEvSH_, .Lfunc_end1370-_ZN7rocprim17ROCPRIM_400000_NS6detail17trampoline_kernelINS0_14default_configENS1_38merge_sort_block_merge_config_selectorIslEEZZNS1_27merge_sort_block_merge_implIS3_PsN6thrust23THRUST_200600_302600_NS10device_ptrIlEEjNS1_19radix_merge_compareILb0ELb1EsNS0_19identity_decomposerEEEEE10hipError_tT0_T1_T2_jT3_P12ihipStream_tbPNSt15iterator_traitsISG_E10value_typeEPNSM_ISH_E10value_typeEPSI_NS1_7vsmem_tEENKUlT_SG_SH_SI_E_clIS7_S7_SB_PlEESF_SV_SG_SH_SI_EUlSV_E0_NS1_11comp_targetILNS1_3genE9ELNS1_11target_archE1100ELNS1_3gpuE3ELNS1_3repE0EEENS1_38merge_mergepath_config_static_selectorELNS0_4arch9wavefront6targetE1EEEvSH_
                                        ; -- End function
	.set _ZN7rocprim17ROCPRIM_400000_NS6detail17trampoline_kernelINS0_14default_configENS1_38merge_sort_block_merge_config_selectorIslEEZZNS1_27merge_sort_block_merge_implIS3_PsN6thrust23THRUST_200600_302600_NS10device_ptrIlEEjNS1_19radix_merge_compareILb0ELb1EsNS0_19identity_decomposerEEEEE10hipError_tT0_T1_T2_jT3_P12ihipStream_tbPNSt15iterator_traitsISG_E10value_typeEPNSM_ISH_E10value_typeEPSI_NS1_7vsmem_tEENKUlT_SG_SH_SI_E_clIS7_S7_SB_PlEESF_SV_SG_SH_SI_EUlSV_E0_NS1_11comp_targetILNS1_3genE9ELNS1_11target_archE1100ELNS1_3gpuE3ELNS1_3repE0EEENS1_38merge_mergepath_config_static_selectorELNS0_4arch9wavefront6targetE1EEEvSH_.num_vgpr, 0
	.set _ZN7rocprim17ROCPRIM_400000_NS6detail17trampoline_kernelINS0_14default_configENS1_38merge_sort_block_merge_config_selectorIslEEZZNS1_27merge_sort_block_merge_implIS3_PsN6thrust23THRUST_200600_302600_NS10device_ptrIlEEjNS1_19radix_merge_compareILb0ELb1EsNS0_19identity_decomposerEEEEE10hipError_tT0_T1_T2_jT3_P12ihipStream_tbPNSt15iterator_traitsISG_E10value_typeEPNSM_ISH_E10value_typeEPSI_NS1_7vsmem_tEENKUlT_SG_SH_SI_E_clIS7_S7_SB_PlEESF_SV_SG_SH_SI_EUlSV_E0_NS1_11comp_targetILNS1_3genE9ELNS1_11target_archE1100ELNS1_3gpuE3ELNS1_3repE0EEENS1_38merge_mergepath_config_static_selectorELNS0_4arch9wavefront6targetE1EEEvSH_.num_agpr, 0
	.set _ZN7rocprim17ROCPRIM_400000_NS6detail17trampoline_kernelINS0_14default_configENS1_38merge_sort_block_merge_config_selectorIslEEZZNS1_27merge_sort_block_merge_implIS3_PsN6thrust23THRUST_200600_302600_NS10device_ptrIlEEjNS1_19radix_merge_compareILb0ELb1EsNS0_19identity_decomposerEEEEE10hipError_tT0_T1_T2_jT3_P12ihipStream_tbPNSt15iterator_traitsISG_E10value_typeEPNSM_ISH_E10value_typeEPSI_NS1_7vsmem_tEENKUlT_SG_SH_SI_E_clIS7_S7_SB_PlEESF_SV_SG_SH_SI_EUlSV_E0_NS1_11comp_targetILNS1_3genE9ELNS1_11target_archE1100ELNS1_3gpuE3ELNS1_3repE0EEENS1_38merge_mergepath_config_static_selectorELNS0_4arch9wavefront6targetE1EEEvSH_.numbered_sgpr, 0
	.set _ZN7rocprim17ROCPRIM_400000_NS6detail17trampoline_kernelINS0_14default_configENS1_38merge_sort_block_merge_config_selectorIslEEZZNS1_27merge_sort_block_merge_implIS3_PsN6thrust23THRUST_200600_302600_NS10device_ptrIlEEjNS1_19radix_merge_compareILb0ELb1EsNS0_19identity_decomposerEEEEE10hipError_tT0_T1_T2_jT3_P12ihipStream_tbPNSt15iterator_traitsISG_E10value_typeEPNSM_ISH_E10value_typeEPSI_NS1_7vsmem_tEENKUlT_SG_SH_SI_E_clIS7_S7_SB_PlEESF_SV_SG_SH_SI_EUlSV_E0_NS1_11comp_targetILNS1_3genE9ELNS1_11target_archE1100ELNS1_3gpuE3ELNS1_3repE0EEENS1_38merge_mergepath_config_static_selectorELNS0_4arch9wavefront6targetE1EEEvSH_.num_named_barrier, 0
	.set _ZN7rocprim17ROCPRIM_400000_NS6detail17trampoline_kernelINS0_14default_configENS1_38merge_sort_block_merge_config_selectorIslEEZZNS1_27merge_sort_block_merge_implIS3_PsN6thrust23THRUST_200600_302600_NS10device_ptrIlEEjNS1_19radix_merge_compareILb0ELb1EsNS0_19identity_decomposerEEEEE10hipError_tT0_T1_T2_jT3_P12ihipStream_tbPNSt15iterator_traitsISG_E10value_typeEPNSM_ISH_E10value_typeEPSI_NS1_7vsmem_tEENKUlT_SG_SH_SI_E_clIS7_S7_SB_PlEESF_SV_SG_SH_SI_EUlSV_E0_NS1_11comp_targetILNS1_3genE9ELNS1_11target_archE1100ELNS1_3gpuE3ELNS1_3repE0EEENS1_38merge_mergepath_config_static_selectorELNS0_4arch9wavefront6targetE1EEEvSH_.private_seg_size, 0
	.set _ZN7rocprim17ROCPRIM_400000_NS6detail17trampoline_kernelINS0_14default_configENS1_38merge_sort_block_merge_config_selectorIslEEZZNS1_27merge_sort_block_merge_implIS3_PsN6thrust23THRUST_200600_302600_NS10device_ptrIlEEjNS1_19radix_merge_compareILb0ELb1EsNS0_19identity_decomposerEEEEE10hipError_tT0_T1_T2_jT3_P12ihipStream_tbPNSt15iterator_traitsISG_E10value_typeEPNSM_ISH_E10value_typeEPSI_NS1_7vsmem_tEENKUlT_SG_SH_SI_E_clIS7_S7_SB_PlEESF_SV_SG_SH_SI_EUlSV_E0_NS1_11comp_targetILNS1_3genE9ELNS1_11target_archE1100ELNS1_3gpuE3ELNS1_3repE0EEENS1_38merge_mergepath_config_static_selectorELNS0_4arch9wavefront6targetE1EEEvSH_.uses_vcc, 0
	.set _ZN7rocprim17ROCPRIM_400000_NS6detail17trampoline_kernelINS0_14default_configENS1_38merge_sort_block_merge_config_selectorIslEEZZNS1_27merge_sort_block_merge_implIS3_PsN6thrust23THRUST_200600_302600_NS10device_ptrIlEEjNS1_19radix_merge_compareILb0ELb1EsNS0_19identity_decomposerEEEEE10hipError_tT0_T1_T2_jT3_P12ihipStream_tbPNSt15iterator_traitsISG_E10value_typeEPNSM_ISH_E10value_typeEPSI_NS1_7vsmem_tEENKUlT_SG_SH_SI_E_clIS7_S7_SB_PlEESF_SV_SG_SH_SI_EUlSV_E0_NS1_11comp_targetILNS1_3genE9ELNS1_11target_archE1100ELNS1_3gpuE3ELNS1_3repE0EEENS1_38merge_mergepath_config_static_selectorELNS0_4arch9wavefront6targetE1EEEvSH_.uses_flat_scratch, 0
	.set _ZN7rocprim17ROCPRIM_400000_NS6detail17trampoline_kernelINS0_14default_configENS1_38merge_sort_block_merge_config_selectorIslEEZZNS1_27merge_sort_block_merge_implIS3_PsN6thrust23THRUST_200600_302600_NS10device_ptrIlEEjNS1_19radix_merge_compareILb0ELb1EsNS0_19identity_decomposerEEEEE10hipError_tT0_T1_T2_jT3_P12ihipStream_tbPNSt15iterator_traitsISG_E10value_typeEPNSM_ISH_E10value_typeEPSI_NS1_7vsmem_tEENKUlT_SG_SH_SI_E_clIS7_S7_SB_PlEESF_SV_SG_SH_SI_EUlSV_E0_NS1_11comp_targetILNS1_3genE9ELNS1_11target_archE1100ELNS1_3gpuE3ELNS1_3repE0EEENS1_38merge_mergepath_config_static_selectorELNS0_4arch9wavefront6targetE1EEEvSH_.has_dyn_sized_stack, 0
	.set _ZN7rocprim17ROCPRIM_400000_NS6detail17trampoline_kernelINS0_14default_configENS1_38merge_sort_block_merge_config_selectorIslEEZZNS1_27merge_sort_block_merge_implIS3_PsN6thrust23THRUST_200600_302600_NS10device_ptrIlEEjNS1_19radix_merge_compareILb0ELb1EsNS0_19identity_decomposerEEEEE10hipError_tT0_T1_T2_jT3_P12ihipStream_tbPNSt15iterator_traitsISG_E10value_typeEPNSM_ISH_E10value_typeEPSI_NS1_7vsmem_tEENKUlT_SG_SH_SI_E_clIS7_S7_SB_PlEESF_SV_SG_SH_SI_EUlSV_E0_NS1_11comp_targetILNS1_3genE9ELNS1_11target_archE1100ELNS1_3gpuE3ELNS1_3repE0EEENS1_38merge_mergepath_config_static_selectorELNS0_4arch9wavefront6targetE1EEEvSH_.has_recursion, 0
	.set _ZN7rocprim17ROCPRIM_400000_NS6detail17trampoline_kernelINS0_14default_configENS1_38merge_sort_block_merge_config_selectorIslEEZZNS1_27merge_sort_block_merge_implIS3_PsN6thrust23THRUST_200600_302600_NS10device_ptrIlEEjNS1_19radix_merge_compareILb0ELb1EsNS0_19identity_decomposerEEEEE10hipError_tT0_T1_T2_jT3_P12ihipStream_tbPNSt15iterator_traitsISG_E10value_typeEPNSM_ISH_E10value_typeEPSI_NS1_7vsmem_tEENKUlT_SG_SH_SI_E_clIS7_S7_SB_PlEESF_SV_SG_SH_SI_EUlSV_E0_NS1_11comp_targetILNS1_3genE9ELNS1_11target_archE1100ELNS1_3gpuE3ELNS1_3repE0EEENS1_38merge_mergepath_config_static_selectorELNS0_4arch9wavefront6targetE1EEEvSH_.has_indirect_call, 0
	.section	.AMDGPU.csdata,"",@progbits
; Kernel info:
; codeLenInByte = 0
; TotalNumSgprs: 4
; NumVgprs: 0
; ScratchSize: 0
; MemoryBound: 0
; FloatMode: 240
; IeeeMode: 1
; LDSByteSize: 0 bytes/workgroup (compile time only)
; SGPRBlocks: 0
; VGPRBlocks: 0
; NumSGPRsForWavesPerEU: 4
; NumVGPRsForWavesPerEU: 1
; Occupancy: 10
; WaveLimiterHint : 0
; COMPUTE_PGM_RSRC2:SCRATCH_EN: 0
; COMPUTE_PGM_RSRC2:USER_SGPR: 6
; COMPUTE_PGM_RSRC2:TRAP_HANDLER: 0
; COMPUTE_PGM_RSRC2:TGID_X_EN: 1
; COMPUTE_PGM_RSRC2:TGID_Y_EN: 0
; COMPUTE_PGM_RSRC2:TGID_Z_EN: 0
; COMPUTE_PGM_RSRC2:TIDIG_COMP_CNT: 0
	.section	.text._ZN7rocprim17ROCPRIM_400000_NS6detail17trampoline_kernelINS0_14default_configENS1_38merge_sort_block_merge_config_selectorIslEEZZNS1_27merge_sort_block_merge_implIS3_PsN6thrust23THRUST_200600_302600_NS10device_ptrIlEEjNS1_19radix_merge_compareILb0ELb1EsNS0_19identity_decomposerEEEEE10hipError_tT0_T1_T2_jT3_P12ihipStream_tbPNSt15iterator_traitsISG_E10value_typeEPNSM_ISH_E10value_typeEPSI_NS1_7vsmem_tEENKUlT_SG_SH_SI_E_clIS7_S7_SB_PlEESF_SV_SG_SH_SI_EUlSV_E0_NS1_11comp_targetILNS1_3genE8ELNS1_11target_archE1030ELNS1_3gpuE2ELNS1_3repE0EEENS1_38merge_mergepath_config_static_selectorELNS0_4arch9wavefront6targetE1EEEvSH_,"axG",@progbits,_ZN7rocprim17ROCPRIM_400000_NS6detail17trampoline_kernelINS0_14default_configENS1_38merge_sort_block_merge_config_selectorIslEEZZNS1_27merge_sort_block_merge_implIS3_PsN6thrust23THRUST_200600_302600_NS10device_ptrIlEEjNS1_19radix_merge_compareILb0ELb1EsNS0_19identity_decomposerEEEEE10hipError_tT0_T1_T2_jT3_P12ihipStream_tbPNSt15iterator_traitsISG_E10value_typeEPNSM_ISH_E10value_typeEPSI_NS1_7vsmem_tEENKUlT_SG_SH_SI_E_clIS7_S7_SB_PlEESF_SV_SG_SH_SI_EUlSV_E0_NS1_11comp_targetILNS1_3genE8ELNS1_11target_archE1030ELNS1_3gpuE2ELNS1_3repE0EEENS1_38merge_mergepath_config_static_selectorELNS0_4arch9wavefront6targetE1EEEvSH_,comdat
	.protected	_ZN7rocprim17ROCPRIM_400000_NS6detail17trampoline_kernelINS0_14default_configENS1_38merge_sort_block_merge_config_selectorIslEEZZNS1_27merge_sort_block_merge_implIS3_PsN6thrust23THRUST_200600_302600_NS10device_ptrIlEEjNS1_19radix_merge_compareILb0ELb1EsNS0_19identity_decomposerEEEEE10hipError_tT0_T1_T2_jT3_P12ihipStream_tbPNSt15iterator_traitsISG_E10value_typeEPNSM_ISH_E10value_typeEPSI_NS1_7vsmem_tEENKUlT_SG_SH_SI_E_clIS7_S7_SB_PlEESF_SV_SG_SH_SI_EUlSV_E0_NS1_11comp_targetILNS1_3genE8ELNS1_11target_archE1030ELNS1_3gpuE2ELNS1_3repE0EEENS1_38merge_mergepath_config_static_selectorELNS0_4arch9wavefront6targetE1EEEvSH_ ; -- Begin function _ZN7rocprim17ROCPRIM_400000_NS6detail17trampoline_kernelINS0_14default_configENS1_38merge_sort_block_merge_config_selectorIslEEZZNS1_27merge_sort_block_merge_implIS3_PsN6thrust23THRUST_200600_302600_NS10device_ptrIlEEjNS1_19radix_merge_compareILb0ELb1EsNS0_19identity_decomposerEEEEE10hipError_tT0_T1_T2_jT3_P12ihipStream_tbPNSt15iterator_traitsISG_E10value_typeEPNSM_ISH_E10value_typeEPSI_NS1_7vsmem_tEENKUlT_SG_SH_SI_E_clIS7_S7_SB_PlEESF_SV_SG_SH_SI_EUlSV_E0_NS1_11comp_targetILNS1_3genE8ELNS1_11target_archE1030ELNS1_3gpuE2ELNS1_3repE0EEENS1_38merge_mergepath_config_static_selectorELNS0_4arch9wavefront6targetE1EEEvSH_
	.globl	_ZN7rocprim17ROCPRIM_400000_NS6detail17trampoline_kernelINS0_14default_configENS1_38merge_sort_block_merge_config_selectorIslEEZZNS1_27merge_sort_block_merge_implIS3_PsN6thrust23THRUST_200600_302600_NS10device_ptrIlEEjNS1_19radix_merge_compareILb0ELb1EsNS0_19identity_decomposerEEEEE10hipError_tT0_T1_T2_jT3_P12ihipStream_tbPNSt15iterator_traitsISG_E10value_typeEPNSM_ISH_E10value_typeEPSI_NS1_7vsmem_tEENKUlT_SG_SH_SI_E_clIS7_S7_SB_PlEESF_SV_SG_SH_SI_EUlSV_E0_NS1_11comp_targetILNS1_3genE8ELNS1_11target_archE1030ELNS1_3gpuE2ELNS1_3repE0EEENS1_38merge_mergepath_config_static_selectorELNS0_4arch9wavefront6targetE1EEEvSH_
	.p2align	8
	.type	_ZN7rocprim17ROCPRIM_400000_NS6detail17trampoline_kernelINS0_14default_configENS1_38merge_sort_block_merge_config_selectorIslEEZZNS1_27merge_sort_block_merge_implIS3_PsN6thrust23THRUST_200600_302600_NS10device_ptrIlEEjNS1_19radix_merge_compareILb0ELb1EsNS0_19identity_decomposerEEEEE10hipError_tT0_T1_T2_jT3_P12ihipStream_tbPNSt15iterator_traitsISG_E10value_typeEPNSM_ISH_E10value_typeEPSI_NS1_7vsmem_tEENKUlT_SG_SH_SI_E_clIS7_S7_SB_PlEESF_SV_SG_SH_SI_EUlSV_E0_NS1_11comp_targetILNS1_3genE8ELNS1_11target_archE1030ELNS1_3gpuE2ELNS1_3repE0EEENS1_38merge_mergepath_config_static_selectorELNS0_4arch9wavefront6targetE1EEEvSH_,@function
_ZN7rocprim17ROCPRIM_400000_NS6detail17trampoline_kernelINS0_14default_configENS1_38merge_sort_block_merge_config_selectorIslEEZZNS1_27merge_sort_block_merge_implIS3_PsN6thrust23THRUST_200600_302600_NS10device_ptrIlEEjNS1_19radix_merge_compareILb0ELb1EsNS0_19identity_decomposerEEEEE10hipError_tT0_T1_T2_jT3_P12ihipStream_tbPNSt15iterator_traitsISG_E10value_typeEPNSM_ISH_E10value_typeEPSI_NS1_7vsmem_tEENKUlT_SG_SH_SI_E_clIS7_S7_SB_PlEESF_SV_SG_SH_SI_EUlSV_E0_NS1_11comp_targetILNS1_3genE8ELNS1_11target_archE1030ELNS1_3gpuE2ELNS1_3repE0EEENS1_38merge_mergepath_config_static_selectorELNS0_4arch9wavefront6targetE1EEEvSH_: ; @_ZN7rocprim17ROCPRIM_400000_NS6detail17trampoline_kernelINS0_14default_configENS1_38merge_sort_block_merge_config_selectorIslEEZZNS1_27merge_sort_block_merge_implIS3_PsN6thrust23THRUST_200600_302600_NS10device_ptrIlEEjNS1_19radix_merge_compareILb0ELb1EsNS0_19identity_decomposerEEEEE10hipError_tT0_T1_T2_jT3_P12ihipStream_tbPNSt15iterator_traitsISG_E10value_typeEPNSM_ISH_E10value_typeEPSI_NS1_7vsmem_tEENKUlT_SG_SH_SI_E_clIS7_S7_SB_PlEESF_SV_SG_SH_SI_EUlSV_E0_NS1_11comp_targetILNS1_3genE8ELNS1_11target_archE1030ELNS1_3gpuE2ELNS1_3repE0EEENS1_38merge_mergepath_config_static_selectorELNS0_4arch9wavefront6targetE1EEEvSH_
; %bb.0:
	.section	.rodata,"a",@progbits
	.p2align	6, 0x0
	.amdhsa_kernel _ZN7rocprim17ROCPRIM_400000_NS6detail17trampoline_kernelINS0_14default_configENS1_38merge_sort_block_merge_config_selectorIslEEZZNS1_27merge_sort_block_merge_implIS3_PsN6thrust23THRUST_200600_302600_NS10device_ptrIlEEjNS1_19radix_merge_compareILb0ELb1EsNS0_19identity_decomposerEEEEE10hipError_tT0_T1_T2_jT3_P12ihipStream_tbPNSt15iterator_traitsISG_E10value_typeEPNSM_ISH_E10value_typeEPSI_NS1_7vsmem_tEENKUlT_SG_SH_SI_E_clIS7_S7_SB_PlEESF_SV_SG_SH_SI_EUlSV_E0_NS1_11comp_targetILNS1_3genE8ELNS1_11target_archE1030ELNS1_3gpuE2ELNS1_3repE0EEENS1_38merge_mergepath_config_static_selectorELNS0_4arch9wavefront6targetE1EEEvSH_
		.amdhsa_group_segment_fixed_size 0
		.amdhsa_private_segment_fixed_size 0
		.amdhsa_kernarg_size 64
		.amdhsa_user_sgpr_count 6
		.amdhsa_user_sgpr_private_segment_buffer 1
		.amdhsa_user_sgpr_dispatch_ptr 0
		.amdhsa_user_sgpr_queue_ptr 0
		.amdhsa_user_sgpr_kernarg_segment_ptr 1
		.amdhsa_user_sgpr_dispatch_id 0
		.amdhsa_user_sgpr_flat_scratch_init 0
		.amdhsa_user_sgpr_private_segment_size 0
		.amdhsa_uses_dynamic_stack 0
		.amdhsa_system_sgpr_private_segment_wavefront_offset 0
		.amdhsa_system_sgpr_workgroup_id_x 1
		.amdhsa_system_sgpr_workgroup_id_y 0
		.amdhsa_system_sgpr_workgroup_id_z 0
		.amdhsa_system_sgpr_workgroup_info 0
		.amdhsa_system_vgpr_workitem_id 0
		.amdhsa_next_free_vgpr 1
		.amdhsa_next_free_sgpr 0
		.amdhsa_reserve_vcc 0
		.amdhsa_reserve_flat_scratch 0
		.amdhsa_float_round_mode_32 0
		.amdhsa_float_round_mode_16_64 0
		.amdhsa_float_denorm_mode_32 3
		.amdhsa_float_denorm_mode_16_64 3
		.amdhsa_dx10_clamp 1
		.amdhsa_ieee_mode 1
		.amdhsa_fp16_overflow 0
		.amdhsa_exception_fp_ieee_invalid_op 0
		.amdhsa_exception_fp_denorm_src 0
		.amdhsa_exception_fp_ieee_div_zero 0
		.amdhsa_exception_fp_ieee_overflow 0
		.amdhsa_exception_fp_ieee_underflow 0
		.amdhsa_exception_fp_ieee_inexact 0
		.amdhsa_exception_int_div_zero 0
	.end_amdhsa_kernel
	.section	.text._ZN7rocprim17ROCPRIM_400000_NS6detail17trampoline_kernelINS0_14default_configENS1_38merge_sort_block_merge_config_selectorIslEEZZNS1_27merge_sort_block_merge_implIS3_PsN6thrust23THRUST_200600_302600_NS10device_ptrIlEEjNS1_19radix_merge_compareILb0ELb1EsNS0_19identity_decomposerEEEEE10hipError_tT0_T1_T2_jT3_P12ihipStream_tbPNSt15iterator_traitsISG_E10value_typeEPNSM_ISH_E10value_typeEPSI_NS1_7vsmem_tEENKUlT_SG_SH_SI_E_clIS7_S7_SB_PlEESF_SV_SG_SH_SI_EUlSV_E0_NS1_11comp_targetILNS1_3genE8ELNS1_11target_archE1030ELNS1_3gpuE2ELNS1_3repE0EEENS1_38merge_mergepath_config_static_selectorELNS0_4arch9wavefront6targetE1EEEvSH_,"axG",@progbits,_ZN7rocprim17ROCPRIM_400000_NS6detail17trampoline_kernelINS0_14default_configENS1_38merge_sort_block_merge_config_selectorIslEEZZNS1_27merge_sort_block_merge_implIS3_PsN6thrust23THRUST_200600_302600_NS10device_ptrIlEEjNS1_19radix_merge_compareILb0ELb1EsNS0_19identity_decomposerEEEEE10hipError_tT0_T1_T2_jT3_P12ihipStream_tbPNSt15iterator_traitsISG_E10value_typeEPNSM_ISH_E10value_typeEPSI_NS1_7vsmem_tEENKUlT_SG_SH_SI_E_clIS7_S7_SB_PlEESF_SV_SG_SH_SI_EUlSV_E0_NS1_11comp_targetILNS1_3genE8ELNS1_11target_archE1030ELNS1_3gpuE2ELNS1_3repE0EEENS1_38merge_mergepath_config_static_selectorELNS0_4arch9wavefront6targetE1EEEvSH_,comdat
.Lfunc_end1371:
	.size	_ZN7rocprim17ROCPRIM_400000_NS6detail17trampoline_kernelINS0_14default_configENS1_38merge_sort_block_merge_config_selectorIslEEZZNS1_27merge_sort_block_merge_implIS3_PsN6thrust23THRUST_200600_302600_NS10device_ptrIlEEjNS1_19radix_merge_compareILb0ELb1EsNS0_19identity_decomposerEEEEE10hipError_tT0_T1_T2_jT3_P12ihipStream_tbPNSt15iterator_traitsISG_E10value_typeEPNSM_ISH_E10value_typeEPSI_NS1_7vsmem_tEENKUlT_SG_SH_SI_E_clIS7_S7_SB_PlEESF_SV_SG_SH_SI_EUlSV_E0_NS1_11comp_targetILNS1_3genE8ELNS1_11target_archE1030ELNS1_3gpuE2ELNS1_3repE0EEENS1_38merge_mergepath_config_static_selectorELNS0_4arch9wavefront6targetE1EEEvSH_, .Lfunc_end1371-_ZN7rocprim17ROCPRIM_400000_NS6detail17trampoline_kernelINS0_14default_configENS1_38merge_sort_block_merge_config_selectorIslEEZZNS1_27merge_sort_block_merge_implIS3_PsN6thrust23THRUST_200600_302600_NS10device_ptrIlEEjNS1_19radix_merge_compareILb0ELb1EsNS0_19identity_decomposerEEEEE10hipError_tT0_T1_T2_jT3_P12ihipStream_tbPNSt15iterator_traitsISG_E10value_typeEPNSM_ISH_E10value_typeEPSI_NS1_7vsmem_tEENKUlT_SG_SH_SI_E_clIS7_S7_SB_PlEESF_SV_SG_SH_SI_EUlSV_E0_NS1_11comp_targetILNS1_3genE8ELNS1_11target_archE1030ELNS1_3gpuE2ELNS1_3repE0EEENS1_38merge_mergepath_config_static_selectorELNS0_4arch9wavefront6targetE1EEEvSH_
                                        ; -- End function
	.set _ZN7rocprim17ROCPRIM_400000_NS6detail17trampoline_kernelINS0_14default_configENS1_38merge_sort_block_merge_config_selectorIslEEZZNS1_27merge_sort_block_merge_implIS3_PsN6thrust23THRUST_200600_302600_NS10device_ptrIlEEjNS1_19radix_merge_compareILb0ELb1EsNS0_19identity_decomposerEEEEE10hipError_tT0_T1_T2_jT3_P12ihipStream_tbPNSt15iterator_traitsISG_E10value_typeEPNSM_ISH_E10value_typeEPSI_NS1_7vsmem_tEENKUlT_SG_SH_SI_E_clIS7_S7_SB_PlEESF_SV_SG_SH_SI_EUlSV_E0_NS1_11comp_targetILNS1_3genE8ELNS1_11target_archE1030ELNS1_3gpuE2ELNS1_3repE0EEENS1_38merge_mergepath_config_static_selectorELNS0_4arch9wavefront6targetE1EEEvSH_.num_vgpr, 0
	.set _ZN7rocprim17ROCPRIM_400000_NS6detail17trampoline_kernelINS0_14default_configENS1_38merge_sort_block_merge_config_selectorIslEEZZNS1_27merge_sort_block_merge_implIS3_PsN6thrust23THRUST_200600_302600_NS10device_ptrIlEEjNS1_19radix_merge_compareILb0ELb1EsNS0_19identity_decomposerEEEEE10hipError_tT0_T1_T2_jT3_P12ihipStream_tbPNSt15iterator_traitsISG_E10value_typeEPNSM_ISH_E10value_typeEPSI_NS1_7vsmem_tEENKUlT_SG_SH_SI_E_clIS7_S7_SB_PlEESF_SV_SG_SH_SI_EUlSV_E0_NS1_11comp_targetILNS1_3genE8ELNS1_11target_archE1030ELNS1_3gpuE2ELNS1_3repE0EEENS1_38merge_mergepath_config_static_selectorELNS0_4arch9wavefront6targetE1EEEvSH_.num_agpr, 0
	.set _ZN7rocprim17ROCPRIM_400000_NS6detail17trampoline_kernelINS0_14default_configENS1_38merge_sort_block_merge_config_selectorIslEEZZNS1_27merge_sort_block_merge_implIS3_PsN6thrust23THRUST_200600_302600_NS10device_ptrIlEEjNS1_19radix_merge_compareILb0ELb1EsNS0_19identity_decomposerEEEEE10hipError_tT0_T1_T2_jT3_P12ihipStream_tbPNSt15iterator_traitsISG_E10value_typeEPNSM_ISH_E10value_typeEPSI_NS1_7vsmem_tEENKUlT_SG_SH_SI_E_clIS7_S7_SB_PlEESF_SV_SG_SH_SI_EUlSV_E0_NS1_11comp_targetILNS1_3genE8ELNS1_11target_archE1030ELNS1_3gpuE2ELNS1_3repE0EEENS1_38merge_mergepath_config_static_selectorELNS0_4arch9wavefront6targetE1EEEvSH_.numbered_sgpr, 0
	.set _ZN7rocprim17ROCPRIM_400000_NS6detail17trampoline_kernelINS0_14default_configENS1_38merge_sort_block_merge_config_selectorIslEEZZNS1_27merge_sort_block_merge_implIS3_PsN6thrust23THRUST_200600_302600_NS10device_ptrIlEEjNS1_19radix_merge_compareILb0ELb1EsNS0_19identity_decomposerEEEEE10hipError_tT0_T1_T2_jT3_P12ihipStream_tbPNSt15iterator_traitsISG_E10value_typeEPNSM_ISH_E10value_typeEPSI_NS1_7vsmem_tEENKUlT_SG_SH_SI_E_clIS7_S7_SB_PlEESF_SV_SG_SH_SI_EUlSV_E0_NS1_11comp_targetILNS1_3genE8ELNS1_11target_archE1030ELNS1_3gpuE2ELNS1_3repE0EEENS1_38merge_mergepath_config_static_selectorELNS0_4arch9wavefront6targetE1EEEvSH_.num_named_barrier, 0
	.set _ZN7rocprim17ROCPRIM_400000_NS6detail17trampoline_kernelINS0_14default_configENS1_38merge_sort_block_merge_config_selectorIslEEZZNS1_27merge_sort_block_merge_implIS3_PsN6thrust23THRUST_200600_302600_NS10device_ptrIlEEjNS1_19radix_merge_compareILb0ELb1EsNS0_19identity_decomposerEEEEE10hipError_tT0_T1_T2_jT3_P12ihipStream_tbPNSt15iterator_traitsISG_E10value_typeEPNSM_ISH_E10value_typeEPSI_NS1_7vsmem_tEENKUlT_SG_SH_SI_E_clIS7_S7_SB_PlEESF_SV_SG_SH_SI_EUlSV_E0_NS1_11comp_targetILNS1_3genE8ELNS1_11target_archE1030ELNS1_3gpuE2ELNS1_3repE0EEENS1_38merge_mergepath_config_static_selectorELNS0_4arch9wavefront6targetE1EEEvSH_.private_seg_size, 0
	.set _ZN7rocprim17ROCPRIM_400000_NS6detail17trampoline_kernelINS0_14default_configENS1_38merge_sort_block_merge_config_selectorIslEEZZNS1_27merge_sort_block_merge_implIS3_PsN6thrust23THRUST_200600_302600_NS10device_ptrIlEEjNS1_19radix_merge_compareILb0ELb1EsNS0_19identity_decomposerEEEEE10hipError_tT0_T1_T2_jT3_P12ihipStream_tbPNSt15iterator_traitsISG_E10value_typeEPNSM_ISH_E10value_typeEPSI_NS1_7vsmem_tEENKUlT_SG_SH_SI_E_clIS7_S7_SB_PlEESF_SV_SG_SH_SI_EUlSV_E0_NS1_11comp_targetILNS1_3genE8ELNS1_11target_archE1030ELNS1_3gpuE2ELNS1_3repE0EEENS1_38merge_mergepath_config_static_selectorELNS0_4arch9wavefront6targetE1EEEvSH_.uses_vcc, 0
	.set _ZN7rocprim17ROCPRIM_400000_NS6detail17trampoline_kernelINS0_14default_configENS1_38merge_sort_block_merge_config_selectorIslEEZZNS1_27merge_sort_block_merge_implIS3_PsN6thrust23THRUST_200600_302600_NS10device_ptrIlEEjNS1_19radix_merge_compareILb0ELb1EsNS0_19identity_decomposerEEEEE10hipError_tT0_T1_T2_jT3_P12ihipStream_tbPNSt15iterator_traitsISG_E10value_typeEPNSM_ISH_E10value_typeEPSI_NS1_7vsmem_tEENKUlT_SG_SH_SI_E_clIS7_S7_SB_PlEESF_SV_SG_SH_SI_EUlSV_E0_NS1_11comp_targetILNS1_3genE8ELNS1_11target_archE1030ELNS1_3gpuE2ELNS1_3repE0EEENS1_38merge_mergepath_config_static_selectorELNS0_4arch9wavefront6targetE1EEEvSH_.uses_flat_scratch, 0
	.set _ZN7rocprim17ROCPRIM_400000_NS6detail17trampoline_kernelINS0_14default_configENS1_38merge_sort_block_merge_config_selectorIslEEZZNS1_27merge_sort_block_merge_implIS3_PsN6thrust23THRUST_200600_302600_NS10device_ptrIlEEjNS1_19radix_merge_compareILb0ELb1EsNS0_19identity_decomposerEEEEE10hipError_tT0_T1_T2_jT3_P12ihipStream_tbPNSt15iterator_traitsISG_E10value_typeEPNSM_ISH_E10value_typeEPSI_NS1_7vsmem_tEENKUlT_SG_SH_SI_E_clIS7_S7_SB_PlEESF_SV_SG_SH_SI_EUlSV_E0_NS1_11comp_targetILNS1_3genE8ELNS1_11target_archE1030ELNS1_3gpuE2ELNS1_3repE0EEENS1_38merge_mergepath_config_static_selectorELNS0_4arch9wavefront6targetE1EEEvSH_.has_dyn_sized_stack, 0
	.set _ZN7rocprim17ROCPRIM_400000_NS6detail17trampoline_kernelINS0_14default_configENS1_38merge_sort_block_merge_config_selectorIslEEZZNS1_27merge_sort_block_merge_implIS3_PsN6thrust23THRUST_200600_302600_NS10device_ptrIlEEjNS1_19radix_merge_compareILb0ELb1EsNS0_19identity_decomposerEEEEE10hipError_tT0_T1_T2_jT3_P12ihipStream_tbPNSt15iterator_traitsISG_E10value_typeEPNSM_ISH_E10value_typeEPSI_NS1_7vsmem_tEENKUlT_SG_SH_SI_E_clIS7_S7_SB_PlEESF_SV_SG_SH_SI_EUlSV_E0_NS1_11comp_targetILNS1_3genE8ELNS1_11target_archE1030ELNS1_3gpuE2ELNS1_3repE0EEENS1_38merge_mergepath_config_static_selectorELNS0_4arch9wavefront6targetE1EEEvSH_.has_recursion, 0
	.set _ZN7rocprim17ROCPRIM_400000_NS6detail17trampoline_kernelINS0_14default_configENS1_38merge_sort_block_merge_config_selectorIslEEZZNS1_27merge_sort_block_merge_implIS3_PsN6thrust23THRUST_200600_302600_NS10device_ptrIlEEjNS1_19radix_merge_compareILb0ELb1EsNS0_19identity_decomposerEEEEE10hipError_tT0_T1_T2_jT3_P12ihipStream_tbPNSt15iterator_traitsISG_E10value_typeEPNSM_ISH_E10value_typeEPSI_NS1_7vsmem_tEENKUlT_SG_SH_SI_E_clIS7_S7_SB_PlEESF_SV_SG_SH_SI_EUlSV_E0_NS1_11comp_targetILNS1_3genE8ELNS1_11target_archE1030ELNS1_3gpuE2ELNS1_3repE0EEENS1_38merge_mergepath_config_static_selectorELNS0_4arch9wavefront6targetE1EEEvSH_.has_indirect_call, 0
	.section	.AMDGPU.csdata,"",@progbits
; Kernel info:
; codeLenInByte = 0
; TotalNumSgprs: 4
; NumVgprs: 0
; ScratchSize: 0
; MemoryBound: 0
; FloatMode: 240
; IeeeMode: 1
; LDSByteSize: 0 bytes/workgroup (compile time only)
; SGPRBlocks: 0
; VGPRBlocks: 0
; NumSGPRsForWavesPerEU: 4
; NumVGPRsForWavesPerEU: 1
; Occupancy: 10
; WaveLimiterHint : 0
; COMPUTE_PGM_RSRC2:SCRATCH_EN: 0
; COMPUTE_PGM_RSRC2:USER_SGPR: 6
; COMPUTE_PGM_RSRC2:TRAP_HANDLER: 0
; COMPUTE_PGM_RSRC2:TGID_X_EN: 1
; COMPUTE_PGM_RSRC2:TGID_Y_EN: 0
; COMPUTE_PGM_RSRC2:TGID_Z_EN: 0
; COMPUTE_PGM_RSRC2:TIDIG_COMP_CNT: 0
	.section	.text._ZN7rocprim17ROCPRIM_400000_NS6detail17trampoline_kernelINS0_14default_configENS1_38merge_sort_block_merge_config_selectorIslEEZZNS1_27merge_sort_block_merge_implIS3_PsN6thrust23THRUST_200600_302600_NS10device_ptrIlEEjNS1_19radix_merge_compareILb0ELb1EsNS0_19identity_decomposerEEEEE10hipError_tT0_T1_T2_jT3_P12ihipStream_tbPNSt15iterator_traitsISG_E10value_typeEPNSM_ISH_E10value_typeEPSI_NS1_7vsmem_tEENKUlT_SG_SH_SI_E_clIS7_S7_SB_PlEESF_SV_SG_SH_SI_EUlSV_E1_NS1_11comp_targetILNS1_3genE0ELNS1_11target_archE4294967295ELNS1_3gpuE0ELNS1_3repE0EEENS1_36merge_oddeven_config_static_selectorELNS0_4arch9wavefront6targetE1EEEvSH_,"axG",@progbits,_ZN7rocprim17ROCPRIM_400000_NS6detail17trampoline_kernelINS0_14default_configENS1_38merge_sort_block_merge_config_selectorIslEEZZNS1_27merge_sort_block_merge_implIS3_PsN6thrust23THRUST_200600_302600_NS10device_ptrIlEEjNS1_19radix_merge_compareILb0ELb1EsNS0_19identity_decomposerEEEEE10hipError_tT0_T1_T2_jT3_P12ihipStream_tbPNSt15iterator_traitsISG_E10value_typeEPNSM_ISH_E10value_typeEPSI_NS1_7vsmem_tEENKUlT_SG_SH_SI_E_clIS7_S7_SB_PlEESF_SV_SG_SH_SI_EUlSV_E1_NS1_11comp_targetILNS1_3genE0ELNS1_11target_archE4294967295ELNS1_3gpuE0ELNS1_3repE0EEENS1_36merge_oddeven_config_static_selectorELNS0_4arch9wavefront6targetE1EEEvSH_,comdat
	.protected	_ZN7rocprim17ROCPRIM_400000_NS6detail17trampoline_kernelINS0_14default_configENS1_38merge_sort_block_merge_config_selectorIslEEZZNS1_27merge_sort_block_merge_implIS3_PsN6thrust23THRUST_200600_302600_NS10device_ptrIlEEjNS1_19radix_merge_compareILb0ELb1EsNS0_19identity_decomposerEEEEE10hipError_tT0_T1_T2_jT3_P12ihipStream_tbPNSt15iterator_traitsISG_E10value_typeEPNSM_ISH_E10value_typeEPSI_NS1_7vsmem_tEENKUlT_SG_SH_SI_E_clIS7_S7_SB_PlEESF_SV_SG_SH_SI_EUlSV_E1_NS1_11comp_targetILNS1_3genE0ELNS1_11target_archE4294967295ELNS1_3gpuE0ELNS1_3repE0EEENS1_36merge_oddeven_config_static_selectorELNS0_4arch9wavefront6targetE1EEEvSH_ ; -- Begin function _ZN7rocprim17ROCPRIM_400000_NS6detail17trampoline_kernelINS0_14default_configENS1_38merge_sort_block_merge_config_selectorIslEEZZNS1_27merge_sort_block_merge_implIS3_PsN6thrust23THRUST_200600_302600_NS10device_ptrIlEEjNS1_19radix_merge_compareILb0ELb1EsNS0_19identity_decomposerEEEEE10hipError_tT0_T1_T2_jT3_P12ihipStream_tbPNSt15iterator_traitsISG_E10value_typeEPNSM_ISH_E10value_typeEPSI_NS1_7vsmem_tEENKUlT_SG_SH_SI_E_clIS7_S7_SB_PlEESF_SV_SG_SH_SI_EUlSV_E1_NS1_11comp_targetILNS1_3genE0ELNS1_11target_archE4294967295ELNS1_3gpuE0ELNS1_3repE0EEENS1_36merge_oddeven_config_static_selectorELNS0_4arch9wavefront6targetE1EEEvSH_
	.globl	_ZN7rocprim17ROCPRIM_400000_NS6detail17trampoline_kernelINS0_14default_configENS1_38merge_sort_block_merge_config_selectorIslEEZZNS1_27merge_sort_block_merge_implIS3_PsN6thrust23THRUST_200600_302600_NS10device_ptrIlEEjNS1_19radix_merge_compareILb0ELb1EsNS0_19identity_decomposerEEEEE10hipError_tT0_T1_T2_jT3_P12ihipStream_tbPNSt15iterator_traitsISG_E10value_typeEPNSM_ISH_E10value_typeEPSI_NS1_7vsmem_tEENKUlT_SG_SH_SI_E_clIS7_S7_SB_PlEESF_SV_SG_SH_SI_EUlSV_E1_NS1_11comp_targetILNS1_3genE0ELNS1_11target_archE4294967295ELNS1_3gpuE0ELNS1_3repE0EEENS1_36merge_oddeven_config_static_selectorELNS0_4arch9wavefront6targetE1EEEvSH_
	.p2align	8
	.type	_ZN7rocprim17ROCPRIM_400000_NS6detail17trampoline_kernelINS0_14default_configENS1_38merge_sort_block_merge_config_selectorIslEEZZNS1_27merge_sort_block_merge_implIS3_PsN6thrust23THRUST_200600_302600_NS10device_ptrIlEEjNS1_19radix_merge_compareILb0ELb1EsNS0_19identity_decomposerEEEEE10hipError_tT0_T1_T2_jT3_P12ihipStream_tbPNSt15iterator_traitsISG_E10value_typeEPNSM_ISH_E10value_typeEPSI_NS1_7vsmem_tEENKUlT_SG_SH_SI_E_clIS7_S7_SB_PlEESF_SV_SG_SH_SI_EUlSV_E1_NS1_11comp_targetILNS1_3genE0ELNS1_11target_archE4294967295ELNS1_3gpuE0ELNS1_3repE0EEENS1_36merge_oddeven_config_static_selectorELNS0_4arch9wavefront6targetE1EEEvSH_,@function
_ZN7rocprim17ROCPRIM_400000_NS6detail17trampoline_kernelINS0_14default_configENS1_38merge_sort_block_merge_config_selectorIslEEZZNS1_27merge_sort_block_merge_implIS3_PsN6thrust23THRUST_200600_302600_NS10device_ptrIlEEjNS1_19radix_merge_compareILb0ELb1EsNS0_19identity_decomposerEEEEE10hipError_tT0_T1_T2_jT3_P12ihipStream_tbPNSt15iterator_traitsISG_E10value_typeEPNSM_ISH_E10value_typeEPSI_NS1_7vsmem_tEENKUlT_SG_SH_SI_E_clIS7_S7_SB_PlEESF_SV_SG_SH_SI_EUlSV_E1_NS1_11comp_targetILNS1_3genE0ELNS1_11target_archE4294967295ELNS1_3gpuE0ELNS1_3repE0EEENS1_36merge_oddeven_config_static_selectorELNS0_4arch9wavefront6targetE1EEEvSH_: ; @_ZN7rocprim17ROCPRIM_400000_NS6detail17trampoline_kernelINS0_14default_configENS1_38merge_sort_block_merge_config_selectorIslEEZZNS1_27merge_sort_block_merge_implIS3_PsN6thrust23THRUST_200600_302600_NS10device_ptrIlEEjNS1_19radix_merge_compareILb0ELb1EsNS0_19identity_decomposerEEEEE10hipError_tT0_T1_T2_jT3_P12ihipStream_tbPNSt15iterator_traitsISG_E10value_typeEPNSM_ISH_E10value_typeEPSI_NS1_7vsmem_tEENKUlT_SG_SH_SI_E_clIS7_S7_SB_PlEESF_SV_SG_SH_SI_EUlSV_E1_NS1_11comp_targetILNS1_3genE0ELNS1_11target_archE4294967295ELNS1_3gpuE0ELNS1_3repE0EEENS1_36merge_oddeven_config_static_selectorELNS0_4arch9wavefront6targetE1EEEvSH_
; %bb.0:
	.section	.rodata,"a",@progbits
	.p2align	6, 0x0
	.amdhsa_kernel _ZN7rocprim17ROCPRIM_400000_NS6detail17trampoline_kernelINS0_14default_configENS1_38merge_sort_block_merge_config_selectorIslEEZZNS1_27merge_sort_block_merge_implIS3_PsN6thrust23THRUST_200600_302600_NS10device_ptrIlEEjNS1_19radix_merge_compareILb0ELb1EsNS0_19identity_decomposerEEEEE10hipError_tT0_T1_T2_jT3_P12ihipStream_tbPNSt15iterator_traitsISG_E10value_typeEPNSM_ISH_E10value_typeEPSI_NS1_7vsmem_tEENKUlT_SG_SH_SI_E_clIS7_S7_SB_PlEESF_SV_SG_SH_SI_EUlSV_E1_NS1_11comp_targetILNS1_3genE0ELNS1_11target_archE4294967295ELNS1_3gpuE0ELNS1_3repE0EEENS1_36merge_oddeven_config_static_selectorELNS0_4arch9wavefront6targetE1EEEvSH_
		.amdhsa_group_segment_fixed_size 0
		.amdhsa_private_segment_fixed_size 0
		.amdhsa_kernarg_size 48
		.amdhsa_user_sgpr_count 6
		.amdhsa_user_sgpr_private_segment_buffer 1
		.amdhsa_user_sgpr_dispatch_ptr 0
		.amdhsa_user_sgpr_queue_ptr 0
		.amdhsa_user_sgpr_kernarg_segment_ptr 1
		.amdhsa_user_sgpr_dispatch_id 0
		.amdhsa_user_sgpr_flat_scratch_init 0
		.amdhsa_user_sgpr_private_segment_size 0
		.amdhsa_uses_dynamic_stack 0
		.amdhsa_system_sgpr_private_segment_wavefront_offset 0
		.amdhsa_system_sgpr_workgroup_id_x 1
		.amdhsa_system_sgpr_workgroup_id_y 0
		.amdhsa_system_sgpr_workgroup_id_z 0
		.amdhsa_system_sgpr_workgroup_info 0
		.amdhsa_system_vgpr_workitem_id 0
		.amdhsa_next_free_vgpr 1
		.amdhsa_next_free_sgpr 0
		.amdhsa_reserve_vcc 0
		.amdhsa_reserve_flat_scratch 0
		.amdhsa_float_round_mode_32 0
		.amdhsa_float_round_mode_16_64 0
		.amdhsa_float_denorm_mode_32 3
		.amdhsa_float_denorm_mode_16_64 3
		.amdhsa_dx10_clamp 1
		.amdhsa_ieee_mode 1
		.amdhsa_fp16_overflow 0
		.amdhsa_exception_fp_ieee_invalid_op 0
		.amdhsa_exception_fp_denorm_src 0
		.amdhsa_exception_fp_ieee_div_zero 0
		.amdhsa_exception_fp_ieee_overflow 0
		.amdhsa_exception_fp_ieee_underflow 0
		.amdhsa_exception_fp_ieee_inexact 0
		.amdhsa_exception_int_div_zero 0
	.end_amdhsa_kernel
	.section	.text._ZN7rocprim17ROCPRIM_400000_NS6detail17trampoline_kernelINS0_14default_configENS1_38merge_sort_block_merge_config_selectorIslEEZZNS1_27merge_sort_block_merge_implIS3_PsN6thrust23THRUST_200600_302600_NS10device_ptrIlEEjNS1_19radix_merge_compareILb0ELb1EsNS0_19identity_decomposerEEEEE10hipError_tT0_T1_T2_jT3_P12ihipStream_tbPNSt15iterator_traitsISG_E10value_typeEPNSM_ISH_E10value_typeEPSI_NS1_7vsmem_tEENKUlT_SG_SH_SI_E_clIS7_S7_SB_PlEESF_SV_SG_SH_SI_EUlSV_E1_NS1_11comp_targetILNS1_3genE0ELNS1_11target_archE4294967295ELNS1_3gpuE0ELNS1_3repE0EEENS1_36merge_oddeven_config_static_selectorELNS0_4arch9wavefront6targetE1EEEvSH_,"axG",@progbits,_ZN7rocprim17ROCPRIM_400000_NS6detail17trampoline_kernelINS0_14default_configENS1_38merge_sort_block_merge_config_selectorIslEEZZNS1_27merge_sort_block_merge_implIS3_PsN6thrust23THRUST_200600_302600_NS10device_ptrIlEEjNS1_19radix_merge_compareILb0ELb1EsNS0_19identity_decomposerEEEEE10hipError_tT0_T1_T2_jT3_P12ihipStream_tbPNSt15iterator_traitsISG_E10value_typeEPNSM_ISH_E10value_typeEPSI_NS1_7vsmem_tEENKUlT_SG_SH_SI_E_clIS7_S7_SB_PlEESF_SV_SG_SH_SI_EUlSV_E1_NS1_11comp_targetILNS1_3genE0ELNS1_11target_archE4294967295ELNS1_3gpuE0ELNS1_3repE0EEENS1_36merge_oddeven_config_static_selectorELNS0_4arch9wavefront6targetE1EEEvSH_,comdat
.Lfunc_end1372:
	.size	_ZN7rocprim17ROCPRIM_400000_NS6detail17trampoline_kernelINS0_14default_configENS1_38merge_sort_block_merge_config_selectorIslEEZZNS1_27merge_sort_block_merge_implIS3_PsN6thrust23THRUST_200600_302600_NS10device_ptrIlEEjNS1_19radix_merge_compareILb0ELb1EsNS0_19identity_decomposerEEEEE10hipError_tT0_T1_T2_jT3_P12ihipStream_tbPNSt15iterator_traitsISG_E10value_typeEPNSM_ISH_E10value_typeEPSI_NS1_7vsmem_tEENKUlT_SG_SH_SI_E_clIS7_S7_SB_PlEESF_SV_SG_SH_SI_EUlSV_E1_NS1_11comp_targetILNS1_3genE0ELNS1_11target_archE4294967295ELNS1_3gpuE0ELNS1_3repE0EEENS1_36merge_oddeven_config_static_selectorELNS0_4arch9wavefront6targetE1EEEvSH_, .Lfunc_end1372-_ZN7rocprim17ROCPRIM_400000_NS6detail17trampoline_kernelINS0_14default_configENS1_38merge_sort_block_merge_config_selectorIslEEZZNS1_27merge_sort_block_merge_implIS3_PsN6thrust23THRUST_200600_302600_NS10device_ptrIlEEjNS1_19radix_merge_compareILb0ELb1EsNS0_19identity_decomposerEEEEE10hipError_tT0_T1_T2_jT3_P12ihipStream_tbPNSt15iterator_traitsISG_E10value_typeEPNSM_ISH_E10value_typeEPSI_NS1_7vsmem_tEENKUlT_SG_SH_SI_E_clIS7_S7_SB_PlEESF_SV_SG_SH_SI_EUlSV_E1_NS1_11comp_targetILNS1_3genE0ELNS1_11target_archE4294967295ELNS1_3gpuE0ELNS1_3repE0EEENS1_36merge_oddeven_config_static_selectorELNS0_4arch9wavefront6targetE1EEEvSH_
                                        ; -- End function
	.set _ZN7rocprim17ROCPRIM_400000_NS6detail17trampoline_kernelINS0_14default_configENS1_38merge_sort_block_merge_config_selectorIslEEZZNS1_27merge_sort_block_merge_implIS3_PsN6thrust23THRUST_200600_302600_NS10device_ptrIlEEjNS1_19radix_merge_compareILb0ELb1EsNS0_19identity_decomposerEEEEE10hipError_tT0_T1_T2_jT3_P12ihipStream_tbPNSt15iterator_traitsISG_E10value_typeEPNSM_ISH_E10value_typeEPSI_NS1_7vsmem_tEENKUlT_SG_SH_SI_E_clIS7_S7_SB_PlEESF_SV_SG_SH_SI_EUlSV_E1_NS1_11comp_targetILNS1_3genE0ELNS1_11target_archE4294967295ELNS1_3gpuE0ELNS1_3repE0EEENS1_36merge_oddeven_config_static_selectorELNS0_4arch9wavefront6targetE1EEEvSH_.num_vgpr, 0
	.set _ZN7rocprim17ROCPRIM_400000_NS6detail17trampoline_kernelINS0_14default_configENS1_38merge_sort_block_merge_config_selectorIslEEZZNS1_27merge_sort_block_merge_implIS3_PsN6thrust23THRUST_200600_302600_NS10device_ptrIlEEjNS1_19radix_merge_compareILb0ELb1EsNS0_19identity_decomposerEEEEE10hipError_tT0_T1_T2_jT3_P12ihipStream_tbPNSt15iterator_traitsISG_E10value_typeEPNSM_ISH_E10value_typeEPSI_NS1_7vsmem_tEENKUlT_SG_SH_SI_E_clIS7_S7_SB_PlEESF_SV_SG_SH_SI_EUlSV_E1_NS1_11comp_targetILNS1_3genE0ELNS1_11target_archE4294967295ELNS1_3gpuE0ELNS1_3repE0EEENS1_36merge_oddeven_config_static_selectorELNS0_4arch9wavefront6targetE1EEEvSH_.num_agpr, 0
	.set _ZN7rocprim17ROCPRIM_400000_NS6detail17trampoline_kernelINS0_14default_configENS1_38merge_sort_block_merge_config_selectorIslEEZZNS1_27merge_sort_block_merge_implIS3_PsN6thrust23THRUST_200600_302600_NS10device_ptrIlEEjNS1_19radix_merge_compareILb0ELb1EsNS0_19identity_decomposerEEEEE10hipError_tT0_T1_T2_jT3_P12ihipStream_tbPNSt15iterator_traitsISG_E10value_typeEPNSM_ISH_E10value_typeEPSI_NS1_7vsmem_tEENKUlT_SG_SH_SI_E_clIS7_S7_SB_PlEESF_SV_SG_SH_SI_EUlSV_E1_NS1_11comp_targetILNS1_3genE0ELNS1_11target_archE4294967295ELNS1_3gpuE0ELNS1_3repE0EEENS1_36merge_oddeven_config_static_selectorELNS0_4arch9wavefront6targetE1EEEvSH_.numbered_sgpr, 0
	.set _ZN7rocprim17ROCPRIM_400000_NS6detail17trampoline_kernelINS0_14default_configENS1_38merge_sort_block_merge_config_selectorIslEEZZNS1_27merge_sort_block_merge_implIS3_PsN6thrust23THRUST_200600_302600_NS10device_ptrIlEEjNS1_19radix_merge_compareILb0ELb1EsNS0_19identity_decomposerEEEEE10hipError_tT0_T1_T2_jT3_P12ihipStream_tbPNSt15iterator_traitsISG_E10value_typeEPNSM_ISH_E10value_typeEPSI_NS1_7vsmem_tEENKUlT_SG_SH_SI_E_clIS7_S7_SB_PlEESF_SV_SG_SH_SI_EUlSV_E1_NS1_11comp_targetILNS1_3genE0ELNS1_11target_archE4294967295ELNS1_3gpuE0ELNS1_3repE0EEENS1_36merge_oddeven_config_static_selectorELNS0_4arch9wavefront6targetE1EEEvSH_.num_named_barrier, 0
	.set _ZN7rocprim17ROCPRIM_400000_NS6detail17trampoline_kernelINS0_14default_configENS1_38merge_sort_block_merge_config_selectorIslEEZZNS1_27merge_sort_block_merge_implIS3_PsN6thrust23THRUST_200600_302600_NS10device_ptrIlEEjNS1_19radix_merge_compareILb0ELb1EsNS0_19identity_decomposerEEEEE10hipError_tT0_T1_T2_jT3_P12ihipStream_tbPNSt15iterator_traitsISG_E10value_typeEPNSM_ISH_E10value_typeEPSI_NS1_7vsmem_tEENKUlT_SG_SH_SI_E_clIS7_S7_SB_PlEESF_SV_SG_SH_SI_EUlSV_E1_NS1_11comp_targetILNS1_3genE0ELNS1_11target_archE4294967295ELNS1_3gpuE0ELNS1_3repE0EEENS1_36merge_oddeven_config_static_selectorELNS0_4arch9wavefront6targetE1EEEvSH_.private_seg_size, 0
	.set _ZN7rocprim17ROCPRIM_400000_NS6detail17trampoline_kernelINS0_14default_configENS1_38merge_sort_block_merge_config_selectorIslEEZZNS1_27merge_sort_block_merge_implIS3_PsN6thrust23THRUST_200600_302600_NS10device_ptrIlEEjNS1_19radix_merge_compareILb0ELb1EsNS0_19identity_decomposerEEEEE10hipError_tT0_T1_T2_jT3_P12ihipStream_tbPNSt15iterator_traitsISG_E10value_typeEPNSM_ISH_E10value_typeEPSI_NS1_7vsmem_tEENKUlT_SG_SH_SI_E_clIS7_S7_SB_PlEESF_SV_SG_SH_SI_EUlSV_E1_NS1_11comp_targetILNS1_3genE0ELNS1_11target_archE4294967295ELNS1_3gpuE0ELNS1_3repE0EEENS1_36merge_oddeven_config_static_selectorELNS0_4arch9wavefront6targetE1EEEvSH_.uses_vcc, 0
	.set _ZN7rocprim17ROCPRIM_400000_NS6detail17trampoline_kernelINS0_14default_configENS1_38merge_sort_block_merge_config_selectorIslEEZZNS1_27merge_sort_block_merge_implIS3_PsN6thrust23THRUST_200600_302600_NS10device_ptrIlEEjNS1_19radix_merge_compareILb0ELb1EsNS0_19identity_decomposerEEEEE10hipError_tT0_T1_T2_jT3_P12ihipStream_tbPNSt15iterator_traitsISG_E10value_typeEPNSM_ISH_E10value_typeEPSI_NS1_7vsmem_tEENKUlT_SG_SH_SI_E_clIS7_S7_SB_PlEESF_SV_SG_SH_SI_EUlSV_E1_NS1_11comp_targetILNS1_3genE0ELNS1_11target_archE4294967295ELNS1_3gpuE0ELNS1_3repE0EEENS1_36merge_oddeven_config_static_selectorELNS0_4arch9wavefront6targetE1EEEvSH_.uses_flat_scratch, 0
	.set _ZN7rocprim17ROCPRIM_400000_NS6detail17trampoline_kernelINS0_14default_configENS1_38merge_sort_block_merge_config_selectorIslEEZZNS1_27merge_sort_block_merge_implIS3_PsN6thrust23THRUST_200600_302600_NS10device_ptrIlEEjNS1_19radix_merge_compareILb0ELb1EsNS0_19identity_decomposerEEEEE10hipError_tT0_T1_T2_jT3_P12ihipStream_tbPNSt15iterator_traitsISG_E10value_typeEPNSM_ISH_E10value_typeEPSI_NS1_7vsmem_tEENKUlT_SG_SH_SI_E_clIS7_S7_SB_PlEESF_SV_SG_SH_SI_EUlSV_E1_NS1_11comp_targetILNS1_3genE0ELNS1_11target_archE4294967295ELNS1_3gpuE0ELNS1_3repE0EEENS1_36merge_oddeven_config_static_selectorELNS0_4arch9wavefront6targetE1EEEvSH_.has_dyn_sized_stack, 0
	.set _ZN7rocprim17ROCPRIM_400000_NS6detail17trampoline_kernelINS0_14default_configENS1_38merge_sort_block_merge_config_selectorIslEEZZNS1_27merge_sort_block_merge_implIS3_PsN6thrust23THRUST_200600_302600_NS10device_ptrIlEEjNS1_19radix_merge_compareILb0ELb1EsNS0_19identity_decomposerEEEEE10hipError_tT0_T1_T2_jT3_P12ihipStream_tbPNSt15iterator_traitsISG_E10value_typeEPNSM_ISH_E10value_typeEPSI_NS1_7vsmem_tEENKUlT_SG_SH_SI_E_clIS7_S7_SB_PlEESF_SV_SG_SH_SI_EUlSV_E1_NS1_11comp_targetILNS1_3genE0ELNS1_11target_archE4294967295ELNS1_3gpuE0ELNS1_3repE0EEENS1_36merge_oddeven_config_static_selectorELNS0_4arch9wavefront6targetE1EEEvSH_.has_recursion, 0
	.set _ZN7rocprim17ROCPRIM_400000_NS6detail17trampoline_kernelINS0_14default_configENS1_38merge_sort_block_merge_config_selectorIslEEZZNS1_27merge_sort_block_merge_implIS3_PsN6thrust23THRUST_200600_302600_NS10device_ptrIlEEjNS1_19radix_merge_compareILb0ELb1EsNS0_19identity_decomposerEEEEE10hipError_tT0_T1_T2_jT3_P12ihipStream_tbPNSt15iterator_traitsISG_E10value_typeEPNSM_ISH_E10value_typeEPSI_NS1_7vsmem_tEENKUlT_SG_SH_SI_E_clIS7_S7_SB_PlEESF_SV_SG_SH_SI_EUlSV_E1_NS1_11comp_targetILNS1_3genE0ELNS1_11target_archE4294967295ELNS1_3gpuE0ELNS1_3repE0EEENS1_36merge_oddeven_config_static_selectorELNS0_4arch9wavefront6targetE1EEEvSH_.has_indirect_call, 0
	.section	.AMDGPU.csdata,"",@progbits
; Kernel info:
; codeLenInByte = 0
; TotalNumSgprs: 4
; NumVgprs: 0
; ScratchSize: 0
; MemoryBound: 0
; FloatMode: 240
; IeeeMode: 1
; LDSByteSize: 0 bytes/workgroup (compile time only)
; SGPRBlocks: 0
; VGPRBlocks: 0
; NumSGPRsForWavesPerEU: 4
; NumVGPRsForWavesPerEU: 1
; Occupancy: 10
; WaveLimiterHint : 0
; COMPUTE_PGM_RSRC2:SCRATCH_EN: 0
; COMPUTE_PGM_RSRC2:USER_SGPR: 6
; COMPUTE_PGM_RSRC2:TRAP_HANDLER: 0
; COMPUTE_PGM_RSRC2:TGID_X_EN: 1
; COMPUTE_PGM_RSRC2:TGID_Y_EN: 0
; COMPUTE_PGM_RSRC2:TGID_Z_EN: 0
; COMPUTE_PGM_RSRC2:TIDIG_COMP_CNT: 0
	.section	.text._ZN7rocprim17ROCPRIM_400000_NS6detail17trampoline_kernelINS0_14default_configENS1_38merge_sort_block_merge_config_selectorIslEEZZNS1_27merge_sort_block_merge_implIS3_PsN6thrust23THRUST_200600_302600_NS10device_ptrIlEEjNS1_19radix_merge_compareILb0ELb1EsNS0_19identity_decomposerEEEEE10hipError_tT0_T1_T2_jT3_P12ihipStream_tbPNSt15iterator_traitsISG_E10value_typeEPNSM_ISH_E10value_typeEPSI_NS1_7vsmem_tEENKUlT_SG_SH_SI_E_clIS7_S7_SB_PlEESF_SV_SG_SH_SI_EUlSV_E1_NS1_11comp_targetILNS1_3genE10ELNS1_11target_archE1201ELNS1_3gpuE5ELNS1_3repE0EEENS1_36merge_oddeven_config_static_selectorELNS0_4arch9wavefront6targetE1EEEvSH_,"axG",@progbits,_ZN7rocprim17ROCPRIM_400000_NS6detail17trampoline_kernelINS0_14default_configENS1_38merge_sort_block_merge_config_selectorIslEEZZNS1_27merge_sort_block_merge_implIS3_PsN6thrust23THRUST_200600_302600_NS10device_ptrIlEEjNS1_19radix_merge_compareILb0ELb1EsNS0_19identity_decomposerEEEEE10hipError_tT0_T1_T2_jT3_P12ihipStream_tbPNSt15iterator_traitsISG_E10value_typeEPNSM_ISH_E10value_typeEPSI_NS1_7vsmem_tEENKUlT_SG_SH_SI_E_clIS7_S7_SB_PlEESF_SV_SG_SH_SI_EUlSV_E1_NS1_11comp_targetILNS1_3genE10ELNS1_11target_archE1201ELNS1_3gpuE5ELNS1_3repE0EEENS1_36merge_oddeven_config_static_selectorELNS0_4arch9wavefront6targetE1EEEvSH_,comdat
	.protected	_ZN7rocprim17ROCPRIM_400000_NS6detail17trampoline_kernelINS0_14default_configENS1_38merge_sort_block_merge_config_selectorIslEEZZNS1_27merge_sort_block_merge_implIS3_PsN6thrust23THRUST_200600_302600_NS10device_ptrIlEEjNS1_19radix_merge_compareILb0ELb1EsNS0_19identity_decomposerEEEEE10hipError_tT0_T1_T2_jT3_P12ihipStream_tbPNSt15iterator_traitsISG_E10value_typeEPNSM_ISH_E10value_typeEPSI_NS1_7vsmem_tEENKUlT_SG_SH_SI_E_clIS7_S7_SB_PlEESF_SV_SG_SH_SI_EUlSV_E1_NS1_11comp_targetILNS1_3genE10ELNS1_11target_archE1201ELNS1_3gpuE5ELNS1_3repE0EEENS1_36merge_oddeven_config_static_selectorELNS0_4arch9wavefront6targetE1EEEvSH_ ; -- Begin function _ZN7rocprim17ROCPRIM_400000_NS6detail17trampoline_kernelINS0_14default_configENS1_38merge_sort_block_merge_config_selectorIslEEZZNS1_27merge_sort_block_merge_implIS3_PsN6thrust23THRUST_200600_302600_NS10device_ptrIlEEjNS1_19radix_merge_compareILb0ELb1EsNS0_19identity_decomposerEEEEE10hipError_tT0_T1_T2_jT3_P12ihipStream_tbPNSt15iterator_traitsISG_E10value_typeEPNSM_ISH_E10value_typeEPSI_NS1_7vsmem_tEENKUlT_SG_SH_SI_E_clIS7_S7_SB_PlEESF_SV_SG_SH_SI_EUlSV_E1_NS1_11comp_targetILNS1_3genE10ELNS1_11target_archE1201ELNS1_3gpuE5ELNS1_3repE0EEENS1_36merge_oddeven_config_static_selectorELNS0_4arch9wavefront6targetE1EEEvSH_
	.globl	_ZN7rocprim17ROCPRIM_400000_NS6detail17trampoline_kernelINS0_14default_configENS1_38merge_sort_block_merge_config_selectorIslEEZZNS1_27merge_sort_block_merge_implIS3_PsN6thrust23THRUST_200600_302600_NS10device_ptrIlEEjNS1_19radix_merge_compareILb0ELb1EsNS0_19identity_decomposerEEEEE10hipError_tT0_T1_T2_jT3_P12ihipStream_tbPNSt15iterator_traitsISG_E10value_typeEPNSM_ISH_E10value_typeEPSI_NS1_7vsmem_tEENKUlT_SG_SH_SI_E_clIS7_S7_SB_PlEESF_SV_SG_SH_SI_EUlSV_E1_NS1_11comp_targetILNS1_3genE10ELNS1_11target_archE1201ELNS1_3gpuE5ELNS1_3repE0EEENS1_36merge_oddeven_config_static_selectorELNS0_4arch9wavefront6targetE1EEEvSH_
	.p2align	8
	.type	_ZN7rocprim17ROCPRIM_400000_NS6detail17trampoline_kernelINS0_14default_configENS1_38merge_sort_block_merge_config_selectorIslEEZZNS1_27merge_sort_block_merge_implIS3_PsN6thrust23THRUST_200600_302600_NS10device_ptrIlEEjNS1_19radix_merge_compareILb0ELb1EsNS0_19identity_decomposerEEEEE10hipError_tT0_T1_T2_jT3_P12ihipStream_tbPNSt15iterator_traitsISG_E10value_typeEPNSM_ISH_E10value_typeEPSI_NS1_7vsmem_tEENKUlT_SG_SH_SI_E_clIS7_S7_SB_PlEESF_SV_SG_SH_SI_EUlSV_E1_NS1_11comp_targetILNS1_3genE10ELNS1_11target_archE1201ELNS1_3gpuE5ELNS1_3repE0EEENS1_36merge_oddeven_config_static_selectorELNS0_4arch9wavefront6targetE1EEEvSH_,@function
_ZN7rocprim17ROCPRIM_400000_NS6detail17trampoline_kernelINS0_14default_configENS1_38merge_sort_block_merge_config_selectorIslEEZZNS1_27merge_sort_block_merge_implIS3_PsN6thrust23THRUST_200600_302600_NS10device_ptrIlEEjNS1_19radix_merge_compareILb0ELb1EsNS0_19identity_decomposerEEEEE10hipError_tT0_T1_T2_jT3_P12ihipStream_tbPNSt15iterator_traitsISG_E10value_typeEPNSM_ISH_E10value_typeEPSI_NS1_7vsmem_tEENKUlT_SG_SH_SI_E_clIS7_S7_SB_PlEESF_SV_SG_SH_SI_EUlSV_E1_NS1_11comp_targetILNS1_3genE10ELNS1_11target_archE1201ELNS1_3gpuE5ELNS1_3repE0EEENS1_36merge_oddeven_config_static_selectorELNS0_4arch9wavefront6targetE1EEEvSH_: ; @_ZN7rocprim17ROCPRIM_400000_NS6detail17trampoline_kernelINS0_14default_configENS1_38merge_sort_block_merge_config_selectorIslEEZZNS1_27merge_sort_block_merge_implIS3_PsN6thrust23THRUST_200600_302600_NS10device_ptrIlEEjNS1_19radix_merge_compareILb0ELb1EsNS0_19identity_decomposerEEEEE10hipError_tT0_T1_T2_jT3_P12ihipStream_tbPNSt15iterator_traitsISG_E10value_typeEPNSM_ISH_E10value_typeEPSI_NS1_7vsmem_tEENKUlT_SG_SH_SI_E_clIS7_S7_SB_PlEESF_SV_SG_SH_SI_EUlSV_E1_NS1_11comp_targetILNS1_3genE10ELNS1_11target_archE1201ELNS1_3gpuE5ELNS1_3repE0EEENS1_36merge_oddeven_config_static_selectorELNS0_4arch9wavefront6targetE1EEEvSH_
; %bb.0:
	.section	.rodata,"a",@progbits
	.p2align	6, 0x0
	.amdhsa_kernel _ZN7rocprim17ROCPRIM_400000_NS6detail17trampoline_kernelINS0_14default_configENS1_38merge_sort_block_merge_config_selectorIslEEZZNS1_27merge_sort_block_merge_implIS3_PsN6thrust23THRUST_200600_302600_NS10device_ptrIlEEjNS1_19radix_merge_compareILb0ELb1EsNS0_19identity_decomposerEEEEE10hipError_tT0_T1_T2_jT3_P12ihipStream_tbPNSt15iterator_traitsISG_E10value_typeEPNSM_ISH_E10value_typeEPSI_NS1_7vsmem_tEENKUlT_SG_SH_SI_E_clIS7_S7_SB_PlEESF_SV_SG_SH_SI_EUlSV_E1_NS1_11comp_targetILNS1_3genE10ELNS1_11target_archE1201ELNS1_3gpuE5ELNS1_3repE0EEENS1_36merge_oddeven_config_static_selectorELNS0_4arch9wavefront6targetE1EEEvSH_
		.amdhsa_group_segment_fixed_size 0
		.amdhsa_private_segment_fixed_size 0
		.amdhsa_kernarg_size 48
		.amdhsa_user_sgpr_count 6
		.amdhsa_user_sgpr_private_segment_buffer 1
		.amdhsa_user_sgpr_dispatch_ptr 0
		.amdhsa_user_sgpr_queue_ptr 0
		.amdhsa_user_sgpr_kernarg_segment_ptr 1
		.amdhsa_user_sgpr_dispatch_id 0
		.amdhsa_user_sgpr_flat_scratch_init 0
		.amdhsa_user_sgpr_private_segment_size 0
		.amdhsa_uses_dynamic_stack 0
		.amdhsa_system_sgpr_private_segment_wavefront_offset 0
		.amdhsa_system_sgpr_workgroup_id_x 1
		.amdhsa_system_sgpr_workgroup_id_y 0
		.amdhsa_system_sgpr_workgroup_id_z 0
		.amdhsa_system_sgpr_workgroup_info 0
		.amdhsa_system_vgpr_workitem_id 0
		.amdhsa_next_free_vgpr 1
		.amdhsa_next_free_sgpr 0
		.amdhsa_reserve_vcc 0
		.amdhsa_reserve_flat_scratch 0
		.amdhsa_float_round_mode_32 0
		.amdhsa_float_round_mode_16_64 0
		.amdhsa_float_denorm_mode_32 3
		.amdhsa_float_denorm_mode_16_64 3
		.amdhsa_dx10_clamp 1
		.amdhsa_ieee_mode 1
		.amdhsa_fp16_overflow 0
		.amdhsa_exception_fp_ieee_invalid_op 0
		.amdhsa_exception_fp_denorm_src 0
		.amdhsa_exception_fp_ieee_div_zero 0
		.amdhsa_exception_fp_ieee_overflow 0
		.amdhsa_exception_fp_ieee_underflow 0
		.amdhsa_exception_fp_ieee_inexact 0
		.amdhsa_exception_int_div_zero 0
	.end_amdhsa_kernel
	.section	.text._ZN7rocprim17ROCPRIM_400000_NS6detail17trampoline_kernelINS0_14default_configENS1_38merge_sort_block_merge_config_selectorIslEEZZNS1_27merge_sort_block_merge_implIS3_PsN6thrust23THRUST_200600_302600_NS10device_ptrIlEEjNS1_19radix_merge_compareILb0ELb1EsNS0_19identity_decomposerEEEEE10hipError_tT0_T1_T2_jT3_P12ihipStream_tbPNSt15iterator_traitsISG_E10value_typeEPNSM_ISH_E10value_typeEPSI_NS1_7vsmem_tEENKUlT_SG_SH_SI_E_clIS7_S7_SB_PlEESF_SV_SG_SH_SI_EUlSV_E1_NS1_11comp_targetILNS1_3genE10ELNS1_11target_archE1201ELNS1_3gpuE5ELNS1_3repE0EEENS1_36merge_oddeven_config_static_selectorELNS0_4arch9wavefront6targetE1EEEvSH_,"axG",@progbits,_ZN7rocprim17ROCPRIM_400000_NS6detail17trampoline_kernelINS0_14default_configENS1_38merge_sort_block_merge_config_selectorIslEEZZNS1_27merge_sort_block_merge_implIS3_PsN6thrust23THRUST_200600_302600_NS10device_ptrIlEEjNS1_19radix_merge_compareILb0ELb1EsNS0_19identity_decomposerEEEEE10hipError_tT0_T1_T2_jT3_P12ihipStream_tbPNSt15iterator_traitsISG_E10value_typeEPNSM_ISH_E10value_typeEPSI_NS1_7vsmem_tEENKUlT_SG_SH_SI_E_clIS7_S7_SB_PlEESF_SV_SG_SH_SI_EUlSV_E1_NS1_11comp_targetILNS1_3genE10ELNS1_11target_archE1201ELNS1_3gpuE5ELNS1_3repE0EEENS1_36merge_oddeven_config_static_selectorELNS0_4arch9wavefront6targetE1EEEvSH_,comdat
.Lfunc_end1373:
	.size	_ZN7rocprim17ROCPRIM_400000_NS6detail17trampoline_kernelINS0_14default_configENS1_38merge_sort_block_merge_config_selectorIslEEZZNS1_27merge_sort_block_merge_implIS3_PsN6thrust23THRUST_200600_302600_NS10device_ptrIlEEjNS1_19radix_merge_compareILb0ELb1EsNS0_19identity_decomposerEEEEE10hipError_tT0_T1_T2_jT3_P12ihipStream_tbPNSt15iterator_traitsISG_E10value_typeEPNSM_ISH_E10value_typeEPSI_NS1_7vsmem_tEENKUlT_SG_SH_SI_E_clIS7_S7_SB_PlEESF_SV_SG_SH_SI_EUlSV_E1_NS1_11comp_targetILNS1_3genE10ELNS1_11target_archE1201ELNS1_3gpuE5ELNS1_3repE0EEENS1_36merge_oddeven_config_static_selectorELNS0_4arch9wavefront6targetE1EEEvSH_, .Lfunc_end1373-_ZN7rocprim17ROCPRIM_400000_NS6detail17trampoline_kernelINS0_14default_configENS1_38merge_sort_block_merge_config_selectorIslEEZZNS1_27merge_sort_block_merge_implIS3_PsN6thrust23THRUST_200600_302600_NS10device_ptrIlEEjNS1_19radix_merge_compareILb0ELb1EsNS0_19identity_decomposerEEEEE10hipError_tT0_T1_T2_jT3_P12ihipStream_tbPNSt15iterator_traitsISG_E10value_typeEPNSM_ISH_E10value_typeEPSI_NS1_7vsmem_tEENKUlT_SG_SH_SI_E_clIS7_S7_SB_PlEESF_SV_SG_SH_SI_EUlSV_E1_NS1_11comp_targetILNS1_3genE10ELNS1_11target_archE1201ELNS1_3gpuE5ELNS1_3repE0EEENS1_36merge_oddeven_config_static_selectorELNS0_4arch9wavefront6targetE1EEEvSH_
                                        ; -- End function
	.set _ZN7rocprim17ROCPRIM_400000_NS6detail17trampoline_kernelINS0_14default_configENS1_38merge_sort_block_merge_config_selectorIslEEZZNS1_27merge_sort_block_merge_implIS3_PsN6thrust23THRUST_200600_302600_NS10device_ptrIlEEjNS1_19radix_merge_compareILb0ELb1EsNS0_19identity_decomposerEEEEE10hipError_tT0_T1_T2_jT3_P12ihipStream_tbPNSt15iterator_traitsISG_E10value_typeEPNSM_ISH_E10value_typeEPSI_NS1_7vsmem_tEENKUlT_SG_SH_SI_E_clIS7_S7_SB_PlEESF_SV_SG_SH_SI_EUlSV_E1_NS1_11comp_targetILNS1_3genE10ELNS1_11target_archE1201ELNS1_3gpuE5ELNS1_3repE0EEENS1_36merge_oddeven_config_static_selectorELNS0_4arch9wavefront6targetE1EEEvSH_.num_vgpr, 0
	.set _ZN7rocprim17ROCPRIM_400000_NS6detail17trampoline_kernelINS0_14default_configENS1_38merge_sort_block_merge_config_selectorIslEEZZNS1_27merge_sort_block_merge_implIS3_PsN6thrust23THRUST_200600_302600_NS10device_ptrIlEEjNS1_19radix_merge_compareILb0ELb1EsNS0_19identity_decomposerEEEEE10hipError_tT0_T1_T2_jT3_P12ihipStream_tbPNSt15iterator_traitsISG_E10value_typeEPNSM_ISH_E10value_typeEPSI_NS1_7vsmem_tEENKUlT_SG_SH_SI_E_clIS7_S7_SB_PlEESF_SV_SG_SH_SI_EUlSV_E1_NS1_11comp_targetILNS1_3genE10ELNS1_11target_archE1201ELNS1_3gpuE5ELNS1_3repE0EEENS1_36merge_oddeven_config_static_selectorELNS0_4arch9wavefront6targetE1EEEvSH_.num_agpr, 0
	.set _ZN7rocprim17ROCPRIM_400000_NS6detail17trampoline_kernelINS0_14default_configENS1_38merge_sort_block_merge_config_selectorIslEEZZNS1_27merge_sort_block_merge_implIS3_PsN6thrust23THRUST_200600_302600_NS10device_ptrIlEEjNS1_19radix_merge_compareILb0ELb1EsNS0_19identity_decomposerEEEEE10hipError_tT0_T1_T2_jT3_P12ihipStream_tbPNSt15iterator_traitsISG_E10value_typeEPNSM_ISH_E10value_typeEPSI_NS1_7vsmem_tEENKUlT_SG_SH_SI_E_clIS7_S7_SB_PlEESF_SV_SG_SH_SI_EUlSV_E1_NS1_11comp_targetILNS1_3genE10ELNS1_11target_archE1201ELNS1_3gpuE5ELNS1_3repE0EEENS1_36merge_oddeven_config_static_selectorELNS0_4arch9wavefront6targetE1EEEvSH_.numbered_sgpr, 0
	.set _ZN7rocprim17ROCPRIM_400000_NS6detail17trampoline_kernelINS0_14default_configENS1_38merge_sort_block_merge_config_selectorIslEEZZNS1_27merge_sort_block_merge_implIS3_PsN6thrust23THRUST_200600_302600_NS10device_ptrIlEEjNS1_19radix_merge_compareILb0ELb1EsNS0_19identity_decomposerEEEEE10hipError_tT0_T1_T2_jT3_P12ihipStream_tbPNSt15iterator_traitsISG_E10value_typeEPNSM_ISH_E10value_typeEPSI_NS1_7vsmem_tEENKUlT_SG_SH_SI_E_clIS7_S7_SB_PlEESF_SV_SG_SH_SI_EUlSV_E1_NS1_11comp_targetILNS1_3genE10ELNS1_11target_archE1201ELNS1_3gpuE5ELNS1_3repE0EEENS1_36merge_oddeven_config_static_selectorELNS0_4arch9wavefront6targetE1EEEvSH_.num_named_barrier, 0
	.set _ZN7rocprim17ROCPRIM_400000_NS6detail17trampoline_kernelINS0_14default_configENS1_38merge_sort_block_merge_config_selectorIslEEZZNS1_27merge_sort_block_merge_implIS3_PsN6thrust23THRUST_200600_302600_NS10device_ptrIlEEjNS1_19radix_merge_compareILb0ELb1EsNS0_19identity_decomposerEEEEE10hipError_tT0_T1_T2_jT3_P12ihipStream_tbPNSt15iterator_traitsISG_E10value_typeEPNSM_ISH_E10value_typeEPSI_NS1_7vsmem_tEENKUlT_SG_SH_SI_E_clIS7_S7_SB_PlEESF_SV_SG_SH_SI_EUlSV_E1_NS1_11comp_targetILNS1_3genE10ELNS1_11target_archE1201ELNS1_3gpuE5ELNS1_3repE0EEENS1_36merge_oddeven_config_static_selectorELNS0_4arch9wavefront6targetE1EEEvSH_.private_seg_size, 0
	.set _ZN7rocprim17ROCPRIM_400000_NS6detail17trampoline_kernelINS0_14default_configENS1_38merge_sort_block_merge_config_selectorIslEEZZNS1_27merge_sort_block_merge_implIS3_PsN6thrust23THRUST_200600_302600_NS10device_ptrIlEEjNS1_19radix_merge_compareILb0ELb1EsNS0_19identity_decomposerEEEEE10hipError_tT0_T1_T2_jT3_P12ihipStream_tbPNSt15iterator_traitsISG_E10value_typeEPNSM_ISH_E10value_typeEPSI_NS1_7vsmem_tEENKUlT_SG_SH_SI_E_clIS7_S7_SB_PlEESF_SV_SG_SH_SI_EUlSV_E1_NS1_11comp_targetILNS1_3genE10ELNS1_11target_archE1201ELNS1_3gpuE5ELNS1_3repE0EEENS1_36merge_oddeven_config_static_selectorELNS0_4arch9wavefront6targetE1EEEvSH_.uses_vcc, 0
	.set _ZN7rocprim17ROCPRIM_400000_NS6detail17trampoline_kernelINS0_14default_configENS1_38merge_sort_block_merge_config_selectorIslEEZZNS1_27merge_sort_block_merge_implIS3_PsN6thrust23THRUST_200600_302600_NS10device_ptrIlEEjNS1_19radix_merge_compareILb0ELb1EsNS0_19identity_decomposerEEEEE10hipError_tT0_T1_T2_jT3_P12ihipStream_tbPNSt15iterator_traitsISG_E10value_typeEPNSM_ISH_E10value_typeEPSI_NS1_7vsmem_tEENKUlT_SG_SH_SI_E_clIS7_S7_SB_PlEESF_SV_SG_SH_SI_EUlSV_E1_NS1_11comp_targetILNS1_3genE10ELNS1_11target_archE1201ELNS1_3gpuE5ELNS1_3repE0EEENS1_36merge_oddeven_config_static_selectorELNS0_4arch9wavefront6targetE1EEEvSH_.uses_flat_scratch, 0
	.set _ZN7rocprim17ROCPRIM_400000_NS6detail17trampoline_kernelINS0_14default_configENS1_38merge_sort_block_merge_config_selectorIslEEZZNS1_27merge_sort_block_merge_implIS3_PsN6thrust23THRUST_200600_302600_NS10device_ptrIlEEjNS1_19radix_merge_compareILb0ELb1EsNS0_19identity_decomposerEEEEE10hipError_tT0_T1_T2_jT3_P12ihipStream_tbPNSt15iterator_traitsISG_E10value_typeEPNSM_ISH_E10value_typeEPSI_NS1_7vsmem_tEENKUlT_SG_SH_SI_E_clIS7_S7_SB_PlEESF_SV_SG_SH_SI_EUlSV_E1_NS1_11comp_targetILNS1_3genE10ELNS1_11target_archE1201ELNS1_3gpuE5ELNS1_3repE0EEENS1_36merge_oddeven_config_static_selectorELNS0_4arch9wavefront6targetE1EEEvSH_.has_dyn_sized_stack, 0
	.set _ZN7rocprim17ROCPRIM_400000_NS6detail17trampoline_kernelINS0_14default_configENS1_38merge_sort_block_merge_config_selectorIslEEZZNS1_27merge_sort_block_merge_implIS3_PsN6thrust23THRUST_200600_302600_NS10device_ptrIlEEjNS1_19radix_merge_compareILb0ELb1EsNS0_19identity_decomposerEEEEE10hipError_tT0_T1_T2_jT3_P12ihipStream_tbPNSt15iterator_traitsISG_E10value_typeEPNSM_ISH_E10value_typeEPSI_NS1_7vsmem_tEENKUlT_SG_SH_SI_E_clIS7_S7_SB_PlEESF_SV_SG_SH_SI_EUlSV_E1_NS1_11comp_targetILNS1_3genE10ELNS1_11target_archE1201ELNS1_3gpuE5ELNS1_3repE0EEENS1_36merge_oddeven_config_static_selectorELNS0_4arch9wavefront6targetE1EEEvSH_.has_recursion, 0
	.set _ZN7rocprim17ROCPRIM_400000_NS6detail17trampoline_kernelINS0_14default_configENS1_38merge_sort_block_merge_config_selectorIslEEZZNS1_27merge_sort_block_merge_implIS3_PsN6thrust23THRUST_200600_302600_NS10device_ptrIlEEjNS1_19radix_merge_compareILb0ELb1EsNS0_19identity_decomposerEEEEE10hipError_tT0_T1_T2_jT3_P12ihipStream_tbPNSt15iterator_traitsISG_E10value_typeEPNSM_ISH_E10value_typeEPSI_NS1_7vsmem_tEENKUlT_SG_SH_SI_E_clIS7_S7_SB_PlEESF_SV_SG_SH_SI_EUlSV_E1_NS1_11comp_targetILNS1_3genE10ELNS1_11target_archE1201ELNS1_3gpuE5ELNS1_3repE0EEENS1_36merge_oddeven_config_static_selectorELNS0_4arch9wavefront6targetE1EEEvSH_.has_indirect_call, 0
	.section	.AMDGPU.csdata,"",@progbits
; Kernel info:
; codeLenInByte = 0
; TotalNumSgprs: 4
; NumVgprs: 0
; ScratchSize: 0
; MemoryBound: 0
; FloatMode: 240
; IeeeMode: 1
; LDSByteSize: 0 bytes/workgroup (compile time only)
; SGPRBlocks: 0
; VGPRBlocks: 0
; NumSGPRsForWavesPerEU: 4
; NumVGPRsForWavesPerEU: 1
; Occupancy: 10
; WaveLimiterHint : 0
; COMPUTE_PGM_RSRC2:SCRATCH_EN: 0
; COMPUTE_PGM_RSRC2:USER_SGPR: 6
; COMPUTE_PGM_RSRC2:TRAP_HANDLER: 0
; COMPUTE_PGM_RSRC2:TGID_X_EN: 1
; COMPUTE_PGM_RSRC2:TGID_Y_EN: 0
; COMPUTE_PGM_RSRC2:TGID_Z_EN: 0
; COMPUTE_PGM_RSRC2:TIDIG_COMP_CNT: 0
	.section	.text._ZN7rocprim17ROCPRIM_400000_NS6detail17trampoline_kernelINS0_14default_configENS1_38merge_sort_block_merge_config_selectorIslEEZZNS1_27merge_sort_block_merge_implIS3_PsN6thrust23THRUST_200600_302600_NS10device_ptrIlEEjNS1_19radix_merge_compareILb0ELb1EsNS0_19identity_decomposerEEEEE10hipError_tT0_T1_T2_jT3_P12ihipStream_tbPNSt15iterator_traitsISG_E10value_typeEPNSM_ISH_E10value_typeEPSI_NS1_7vsmem_tEENKUlT_SG_SH_SI_E_clIS7_S7_SB_PlEESF_SV_SG_SH_SI_EUlSV_E1_NS1_11comp_targetILNS1_3genE5ELNS1_11target_archE942ELNS1_3gpuE9ELNS1_3repE0EEENS1_36merge_oddeven_config_static_selectorELNS0_4arch9wavefront6targetE1EEEvSH_,"axG",@progbits,_ZN7rocprim17ROCPRIM_400000_NS6detail17trampoline_kernelINS0_14default_configENS1_38merge_sort_block_merge_config_selectorIslEEZZNS1_27merge_sort_block_merge_implIS3_PsN6thrust23THRUST_200600_302600_NS10device_ptrIlEEjNS1_19radix_merge_compareILb0ELb1EsNS0_19identity_decomposerEEEEE10hipError_tT0_T1_T2_jT3_P12ihipStream_tbPNSt15iterator_traitsISG_E10value_typeEPNSM_ISH_E10value_typeEPSI_NS1_7vsmem_tEENKUlT_SG_SH_SI_E_clIS7_S7_SB_PlEESF_SV_SG_SH_SI_EUlSV_E1_NS1_11comp_targetILNS1_3genE5ELNS1_11target_archE942ELNS1_3gpuE9ELNS1_3repE0EEENS1_36merge_oddeven_config_static_selectorELNS0_4arch9wavefront6targetE1EEEvSH_,comdat
	.protected	_ZN7rocprim17ROCPRIM_400000_NS6detail17trampoline_kernelINS0_14default_configENS1_38merge_sort_block_merge_config_selectorIslEEZZNS1_27merge_sort_block_merge_implIS3_PsN6thrust23THRUST_200600_302600_NS10device_ptrIlEEjNS1_19radix_merge_compareILb0ELb1EsNS0_19identity_decomposerEEEEE10hipError_tT0_T1_T2_jT3_P12ihipStream_tbPNSt15iterator_traitsISG_E10value_typeEPNSM_ISH_E10value_typeEPSI_NS1_7vsmem_tEENKUlT_SG_SH_SI_E_clIS7_S7_SB_PlEESF_SV_SG_SH_SI_EUlSV_E1_NS1_11comp_targetILNS1_3genE5ELNS1_11target_archE942ELNS1_3gpuE9ELNS1_3repE0EEENS1_36merge_oddeven_config_static_selectorELNS0_4arch9wavefront6targetE1EEEvSH_ ; -- Begin function _ZN7rocprim17ROCPRIM_400000_NS6detail17trampoline_kernelINS0_14default_configENS1_38merge_sort_block_merge_config_selectorIslEEZZNS1_27merge_sort_block_merge_implIS3_PsN6thrust23THRUST_200600_302600_NS10device_ptrIlEEjNS1_19radix_merge_compareILb0ELb1EsNS0_19identity_decomposerEEEEE10hipError_tT0_T1_T2_jT3_P12ihipStream_tbPNSt15iterator_traitsISG_E10value_typeEPNSM_ISH_E10value_typeEPSI_NS1_7vsmem_tEENKUlT_SG_SH_SI_E_clIS7_S7_SB_PlEESF_SV_SG_SH_SI_EUlSV_E1_NS1_11comp_targetILNS1_3genE5ELNS1_11target_archE942ELNS1_3gpuE9ELNS1_3repE0EEENS1_36merge_oddeven_config_static_selectorELNS0_4arch9wavefront6targetE1EEEvSH_
	.globl	_ZN7rocprim17ROCPRIM_400000_NS6detail17trampoline_kernelINS0_14default_configENS1_38merge_sort_block_merge_config_selectorIslEEZZNS1_27merge_sort_block_merge_implIS3_PsN6thrust23THRUST_200600_302600_NS10device_ptrIlEEjNS1_19radix_merge_compareILb0ELb1EsNS0_19identity_decomposerEEEEE10hipError_tT0_T1_T2_jT3_P12ihipStream_tbPNSt15iterator_traitsISG_E10value_typeEPNSM_ISH_E10value_typeEPSI_NS1_7vsmem_tEENKUlT_SG_SH_SI_E_clIS7_S7_SB_PlEESF_SV_SG_SH_SI_EUlSV_E1_NS1_11comp_targetILNS1_3genE5ELNS1_11target_archE942ELNS1_3gpuE9ELNS1_3repE0EEENS1_36merge_oddeven_config_static_selectorELNS0_4arch9wavefront6targetE1EEEvSH_
	.p2align	8
	.type	_ZN7rocprim17ROCPRIM_400000_NS6detail17trampoline_kernelINS0_14default_configENS1_38merge_sort_block_merge_config_selectorIslEEZZNS1_27merge_sort_block_merge_implIS3_PsN6thrust23THRUST_200600_302600_NS10device_ptrIlEEjNS1_19radix_merge_compareILb0ELb1EsNS0_19identity_decomposerEEEEE10hipError_tT0_T1_T2_jT3_P12ihipStream_tbPNSt15iterator_traitsISG_E10value_typeEPNSM_ISH_E10value_typeEPSI_NS1_7vsmem_tEENKUlT_SG_SH_SI_E_clIS7_S7_SB_PlEESF_SV_SG_SH_SI_EUlSV_E1_NS1_11comp_targetILNS1_3genE5ELNS1_11target_archE942ELNS1_3gpuE9ELNS1_3repE0EEENS1_36merge_oddeven_config_static_selectorELNS0_4arch9wavefront6targetE1EEEvSH_,@function
_ZN7rocprim17ROCPRIM_400000_NS6detail17trampoline_kernelINS0_14default_configENS1_38merge_sort_block_merge_config_selectorIslEEZZNS1_27merge_sort_block_merge_implIS3_PsN6thrust23THRUST_200600_302600_NS10device_ptrIlEEjNS1_19radix_merge_compareILb0ELb1EsNS0_19identity_decomposerEEEEE10hipError_tT0_T1_T2_jT3_P12ihipStream_tbPNSt15iterator_traitsISG_E10value_typeEPNSM_ISH_E10value_typeEPSI_NS1_7vsmem_tEENKUlT_SG_SH_SI_E_clIS7_S7_SB_PlEESF_SV_SG_SH_SI_EUlSV_E1_NS1_11comp_targetILNS1_3genE5ELNS1_11target_archE942ELNS1_3gpuE9ELNS1_3repE0EEENS1_36merge_oddeven_config_static_selectorELNS0_4arch9wavefront6targetE1EEEvSH_: ; @_ZN7rocprim17ROCPRIM_400000_NS6detail17trampoline_kernelINS0_14default_configENS1_38merge_sort_block_merge_config_selectorIslEEZZNS1_27merge_sort_block_merge_implIS3_PsN6thrust23THRUST_200600_302600_NS10device_ptrIlEEjNS1_19radix_merge_compareILb0ELb1EsNS0_19identity_decomposerEEEEE10hipError_tT0_T1_T2_jT3_P12ihipStream_tbPNSt15iterator_traitsISG_E10value_typeEPNSM_ISH_E10value_typeEPSI_NS1_7vsmem_tEENKUlT_SG_SH_SI_E_clIS7_S7_SB_PlEESF_SV_SG_SH_SI_EUlSV_E1_NS1_11comp_targetILNS1_3genE5ELNS1_11target_archE942ELNS1_3gpuE9ELNS1_3repE0EEENS1_36merge_oddeven_config_static_selectorELNS0_4arch9wavefront6targetE1EEEvSH_
; %bb.0:
	.section	.rodata,"a",@progbits
	.p2align	6, 0x0
	.amdhsa_kernel _ZN7rocprim17ROCPRIM_400000_NS6detail17trampoline_kernelINS0_14default_configENS1_38merge_sort_block_merge_config_selectorIslEEZZNS1_27merge_sort_block_merge_implIS3_PsN6thrust23THRUST_200600_302600_NS10device_ptrIlEEjNS1_19radix_merge_compareILb0ELb1EsNS0_19identity_decomposerEEEEE10hipError_tT0_T1_T2_jT3_P12ihipStream_tbPNSt15iterator_traitsISG_E10value_typeEPNSM_ISH_E10value_typeEPSI_NS1_7vsmem_tEENKUlT_SG_SH_SI_E_clIS7_S7_SB_PlEESF_SV_SG_SH_SI_EUlSV_E1_NS1_11comp_targetILNS1_3genE5ELNS1_11target_archE942ELNS1_3gpuE9ELNS1_3repE0EEENS1_36merge_oddeven_config_static_selectorELNS0_4arch9wavefront6targetE1EEEvSH_
		.amdhsa_group_segment_fixed_size 0
		.amdhsa_private_segment_fixed_size 0
		.amdhsa_kernarg_size 48
		.amdhsa_user_sgpr_count 6
		.amdhsa_user_sgpr_private_segment_buffer 1
		.amdhsa_user_sgpr_dispatch_ptr 0
		.amdhsa_user_sgpr_queue_ptr 0
		.amdhsa_user_sgpr_kernarg_segment_ptr 1
		.amdhsa_user_sgpr_dispatch_id 0
		.amdhsa_user_sgpr_flat_scratch_init 0
		.amdhsa_user_sgpr_private_segment_size 0
		.amdhsa_uses_dynamic_stack 0
		.amdhsa_system_sgpr_private_segment_wavefront_offset 0
		.amdhsa_system_sgpr_workgroup_id_x 1
		.amdhsa_system_sgpr_workgroup_id_y 0
		.amdhsa_system_sgpr_workgroup_id_z 0
		.amdhsa_system_sgpr_workgroup_info 0
		.amdhsa_system_vgpr_workitem_id 0
		.amdhsa_next_free_vgpr 1
		.amdhsa_next_free_sgpr 0
		.amdhsa_reserve_vcc 0
		.amdhsa_reserve_flat_scratch 0
		.amdhsa_float_round_mode_32 0
		.amdhsa_float_round_mode_16_64 0
		.amdhsa_float_denorm_mode_32 3
		.amdhsa_float_denorm_mode_16_64 3
		.amdhsa_dx10_clamp 1
		.amdhsa_ieee_mode 1
		.amdhsa_fp16_overflow 0
		.amdhsa_exception_fp_ieee_invalid_op 0
		.amdhsa_exception_fp_denorm_src 0
		.amdhsa_exception_fp_ieee_div_zero 0
		.amdhsa_exception_fp_ieee_overflow 0
		.amdhsa_exception_fp_ieee_underflow 0
		.amdhsa_exception_fp_ieee_inexact 0
		.amdhsa_exception_int_div_zero 0
	.end_amdhsa_kernel
	.section	.text._ZN7rocprim17ROCPRIM_400000_NS6detail17trampoline_kernelINS0_14default_configENS1_38merge_sort_block_merge_config_selectorIslEEZZNS1_27merge_sort_block_merge_implIS3_PsN6thrust23THRUST_200600_302600_NS10device_ptrIlEEjNS1_19radix_merge_compareILb0ELb1EsNS0_19identity_decomposerEEEEE10hipError_tT0_T1_T2_jT3_P12ihipStream_tbPNSt15iterator_traitsISG_E10value_typeEPNSM_ISH_E10value_typeEPSI_NS1_7vsmem_tEENKUlT_SG_SH_SI_E_clIS7_S7_SB_PlEESF_SV_SG_SH_SI_EUlSV_E1_NS1_11comp_targetILNS1_3genE5ELNS1_11target_archE942ELNS1_3gpuE9ELNS1_3repE0EEENS1_36merge_oddeven_config_static_selectorELNS0_4arch9wavefront6targetE1EEEvSH_,"axG",@progbits,_ZN7rocprim17ROCPRIM_400000_NS6detail17trampoline_kernelINS0_14default_configENS1_38merge_sort_block_merge_config_selectorIslEEZZNS1_27merge_sort_block_merge_implIS3_PsN6thrust23THRUST_200600_302600_NS10device_ptrIlEEjNS1_19radix_merge_compareILb0ELb1EsNS0_19identity_decomposerEEEEE10hipError_tT0_T1_T2_jT3_P12ihipStream_tbPNSt15iterator_traitsISG_E10value_typeEPNSM_ISH_E10value_typeEPSI_NS1_7vsmem_tEENKUlT_SG_SH_SI_E_clIS7_S7_SB_PlEESF_SV_SG_SH_SI_EUlSV_E1_NS1_11comp_targetILNS1_3genE5ELNS1_11target_archE942ELNS1_3gpuE9ELNS1_3repE0EEENS1_36merge_oddeven_config_static_selectorELNS0_4arch9wavefront6targetE1EEEvSH_,comdat
.Lfunc_end1374:
	.size	_ZN7rocprim17ROCPRIM_400000_NS6detail17trampoline_kernelINS0_14default_configENS1_38merge_sort_block_merge_config_selectorIslEEZZNS1_27merge_sort_block_merge_implIS3_PsN6thrust23THRUST_200600_302600_NS10device_ptrIlEEjNS1_19radix_merge_compareILb0ELb1EsNS0_19identity_decomposerEEEEE10hipError_tT0_T1_T2_jT3_P12ihipStream_tbPNSt15iterator_traitsISG_E10value_typeEPNSM_ISH_E10value_typeEPSI_NS1_7vsmem_tEENKUlT_SG_SH_SI_E_clIS7_S7_SB_PlEESF_SV_SG_SH_SI_EUlSV_E1_NS1_11comp_targetILNS1_3genE5ELNS1_11target_archE942ELNS1_3gpuE9ELNS1_3repE0EEENS1_36merge_oddeven_config_static_selectorELNS0_4arch9wavefront6targetE1EEEvSH_, .Lfunc_end1374-_ZN7rocprim17ROCPRIM_400000_NS6detail17trampoline_kernelINS0_14default_configENS1_38merge_sort_block_merge_config_selectorIslEEZZNS1_27merge_sort_block_merge_implIS3_PsN6thrust23THRUST_200600_302600_NS10device_ptrIlEEjNS1_19radix_merge_compareILb0ELb1EsNS0_19identity_decomposerEEEEE10hipError_tT0_T1_T2_jT3_P12ihipStream_tbPNSt15iterator_traitsISG_E10value_typeEPNSM_ISH_E10value_typeEPSI_NS1_7vsmem_tEENKUlT_SG_SH_SI_E_clIS7_S7_SB_PlEESF_SV_SG_SH_SI_EUlSV_E1_NS1_11comp_targetILNS1_3genE5ELNS1_11target_archE942ELNS1_3gpuE9ELNS1_3repE0EEENS1_36merge_oddeven_config_static_selectorELNS0_4arch9wavefront6targetE1EEEvSH_
                                        ; -- End function
	.set _ZN7rocprim17ROCPRIM_400000_NS6detail17trampoline_kernelINS0_14default_configENS1_38merge_sort_block_merge_config_selectorIslEEZZNS1_27merge_sort_block_merge_implIS3_PsN6thrust23THRUST_200600_302600_NS10device_ptrIlEEjNS1_19radix_merge_compareILb0ELb1EsNS0_19identity_decomposerEEEEE10hipError_tT0_T1_T2_jT3_P12ihipStream_tbPNSt15iterator_traitsISG_E10value_typeEPNSM_ISH_E10value_typeEPSI_NS1_7vsmem_tEENKUlT_SG_SH_SI_E_clIS7_S7_SB_PlEESF_SV_SG_SH_SI_EUlSV_E1_NS1_11comp_targetILNS1_3genE5ELNS1_11target_archE942ELNS1_3gpuE9ELNS1_3repE0EEENS1_36merge_oddeven_config_static_selectorELNS0_4arch9wavefront6targetE1EEEvSH_.num_vgpr, 0
	.set _ZN7rocprim17ROCPRIM_400000_NS6detail17trampoline_kernelINS0_14default_configENS1_38merge_sort_block_merge_config_selectorIslEEZZNS1_27merge_sort_block_merge_implIS3_PsN6thrust23THRUST_200600_302600_NS10device_ptrIlEEjNS1_19radix_merge_compareILb0ELb1EsNS0_19identity_decomposerEEEEE10hipError_tT0_T1_T2_jT3_P12ihipStream_tbPNSt15iterator_traitsISG_E10value_typeEPNSM_ISH_E10value_typeEPSI_NS1_7vsmem_tEENKUlT_SG_SH_SI_E_clIS7_S7_SB_PlEESF_SV_SG_SH_SI_EUlSV_E1_NS1_11comp_targetILNS1_3genE5ELNS1_11target_archE942ELNS1_3gpuE9ELNS1_3repE0EEENS1_36merge_oddeven_config_static_selectorELNS0_4arch9wavefront6targetE1EEEvSH_.num_agpr, 0
	.set _ZN7rocprim17ROCPRIM_400000_NS6detail17trampoline_kernelINS0_14default_configENS1_38merge_sort_block_merge_config_selectorIslEEZZNS1_27merge_sort_block_merge_implIS3_PsN6thrust23THRUST_200600_302600_NS10device_ptrIlEEjNS1_19radix_merge_compareILb0ELb1EsNS0_19identity_decomposerEEEEE10hipError_tT0_T1_T2_jT3_P12ihipStream_tbPNSt15iterator_traitsISG_E10value_typeEPNSM_ISH_E10value_typeEPSI_NS1_7vsmem_tEENKUlT_SG_SH_SI_E_clIS7_S7_SB_PlEESF_SV_SG_SH_SI_EUlSV_E1_NS1_11comp_targetILNS1_3genE5ELNS1_11target_archE942ELNS1_3gpuE9ELNS1_3repE0EEENS1_36merge_oddeven_config_static_selectorELNS0_4arch9wavefront6targetE1EEEvSH_.numbered_sgpr, 0
	.set _ZN7rocprim17ROCPRIM_400000_NS6detail17trampoline_kernelINS0_14default_configENS1_38merge_sort_block_merge_config_selectorIslEEZZNS1_27merge_sort_block_merge_implIS3_PsN6thrust23THRUST_200600_302600_NS10device_ptrIlEEjNS1_19radix_merge_compareILb0ELb1EsNS0_19identity_decomposerEEEEE10hipError_tT0_T1_T2_jT3_P12ihipStream_tbPNSt15iterator_traitsISG_E10value_typeEPNSM_ISH_E10value_typeEPSI_NS1_7vsmem_tEENKUlT_SG_SH_SI_E_clIS7_S7_SB_PlEESF_SV_SG_SH_SI_EUlSV_E1_NS1_11comp_targetILNS1_3genE5ELNS1_11target_archE942ELNS1_3gpuE9ELNS1_3repE0EEENS1_36merge_oddeven_config_static_selectorELNS0_4arch9wavefront6targetE1EEEvSH_.num_named_barrier, 0
	.set _ZN7rocprim17ROCPRIM_400000_NS6detail17trampoline_kernelINS0_14default_configENS1_38merge_sort_block_merge_config_selectorIslEEZZNS1_27merge_sort_block_merge_implIS3_PsN6thrust23THRUST_200600_302600_NS10device_ptrIlEEjNS1_19radix_merge_compareILb0ELb1EsNS0_19identity_decomposerEEEEE10hipError_tT0_T1_T2_jT3_P12ihipStream_tbPNSt15iterator_traitsISG_E10value_typeEPNSM_ISH_E10value_typeEPSI_NS1_7vsmem_tEENKUlT_SG_SH_SI_E_clIS7_S7_SB_PlEESF_SV_SG_SH_SI_EUlSV_E1_NS1_11comp_targetILNS1_3genE5ELNS1_11target_archE942ELNS1_3gpuE9ELNS1_3repE0EEENS1_36merge_oddeven_config_static_selectorELNS0_4arch9wavefront6targetE1EEEvSH_.private_seg_size, 0
	.set _ZN7rocprim17ROCPRIM_400000_NS6detail17trampoline_kernelINS0_14default_configENS1_38merge_sort_block_merge_config_selectorIslEEZZNS1_27merge_sort_block_merge_implIS3_PsN6thrust23THRUST_200600_302600_NS10device_ptrIlEEjNS1_19radix_merge_compareILb0ELb1EsNS0_19identity_decomposerEEEEE10hipError_tT0_T1_T2_jT3_P12ihipStream_tbPNSt15iterator_traitsISG_E10value_typeEPNSM_ISH_E10value_typeEPSI_NS1_7vsmem_tEENKUlT_SG_SH_SI_E_clIS7_S7_SB_PlEESF_SV_SG_SH_SI_EUlSV_E1_NS1_11comp_targetILNS1_3genE5ELNS1_11target_archE942ELNS1_3gpuE9ELNS1_3repE0EEENS1_36merge_oddeven_config_static_selectorELNS0_4arch9wavefront6targetE1EEEvSH_.uses_vcc, 0
	.set _ZN7rocprim17ROCPRIM_400000_NS6detail17trampoline_kernelINS0_14default_configENS1_38merge_sort_block_merge_config_selectorIslEEZZNS1_27merge_sort_block_merge_implIS3_PsN6thrust23THRUST_200600_302600_NS10device_ptrIlEEjNS1_19radix_merge_compareILb0ELb1EsNS0_19identity_decomposerEEEEE10hipError_tT0_T1_T2_jT3_P12ihipStream_tbPNSt15iterator_traitsISG_E10value_typeEPNSM_ISH_E10value_typeEPSI_NS1_7vsmem_tEENKUlT_SG_SH_SI_E_clIS7_S7_SB_PlEESF_SV_SG_SH_SI_EUlSV_E1_NS1_11comp_targetILNS1_3genE5ELNS1_11target_archE942ELNS1_3gpuE9ELNS1_3repE0EEENS1_36merge_oddeven_config_static_selectorELNS0_4arch9wavefront6targetE1EEEvSH_.uses_flat_scratch, 0
	.set _ZN7rocprim17ROCPRIM_400000_NS6detail17trampoline_kernelINS0_14default_configENS1_38merge_sort_block_merge_config_selectorIslEEZZNS1_27merge_sort_block_merge_implIS3_PsN6thrust23THRUST_200600_302600_NS10device_ptrIlEEjNS1_19radix_merge_compareILb0ELb1EsNS0_19identity_decomposerEEEEE10hipError_tT0_T1_T2_jT3_P12ihipStream_tbPNSt15iterator_traitsISG_E10value_typeEPNSM_ISH_E10value_typeEPSI_NS1_7vsmem_tEENKUlT_SG_SH_SI_E_clIS7_S7_SB_PlEESF_SV_SG_SH_SI_EUlSV_E1_NS1_11comp_targetILNS1_3genE5ELNS1_11target_archE942ELNS1_3gpuE9ELNS1_3repE0EEENS1_36merge_oddeven_config_static_selectorELNS0_4arch9wavefront6targetE1EEEvSH_.has_dyn_sized_stack, 0
	.set _ZN7rocprim17ROCPRIM_400000_NS6detail17trampoline_kernelINS0_14default_configENS1_38merge_sort_block_merge_config_selectorIslEEZZNS1_27merge_sort_block_merge_implIS3_PsN6thrust23THRUST_200600_302600_NS10device_ptrIlEEjNS1_19radix_merge_compareILb0ELb1EsNS0_19identity_decomposerEEEEE10hipError_tT0_T1_T2_jT3_P12ihipStream_tbPNSt15iterator_traitsISG_E10value_typeEPNSM_ISH_E10value_typeEPSI_NS1_7vsmem_tEENKUlT_SG_SH_SI_E_clIS7_S7_SB_PlEESF_SV_SG_SH_SI_EUlSV_E1_NS1_11comp_targetILNS1_3genE5ELNS1_11target_archE942ELNS1_3gpuE9ELNS1_3repE0EEENS1_36merge_oddeven_config_static_selectorELNS0_4arch9wavefront6targetE1EEEvSH_.has_recursion, 0
	.set _ZN7rocprim17ROCPRIM_400000_NS6detail17trampoline_kernelINS0_14default_configENS1_38merge_sort_block_merge_config_selectorIslEEZZNS1_27merge_sort_block_merge_implIS3_PsN6thrust23THRUST_200600_302600_NS10device_ptrIlEEjNS1_19radix_merge_compareILb0ELb1EsNS0_19identity_decomposerEEEEE10hipError_tT0_T1_T2_jT3_P12ihipStream_tbPNSt15iterator_traitsISG_E10value_typeEPNSM_ISH_E10value_typeEPSI_NS1_7vsmem_tEENKUlT_SG_SH_SI_E_clIS7_S7_SB_PlEESF_SV_SG_SH_SI_EUlSV_E1_NS1_11comp_targetILNS1_3genE5ELNS1_11target_archE942ELNS1_3gpuE9ELNS1_3repE0EEENS1_36merge_oddeven_config_static_selectorELNS0_4arch9wavefront6targetE1EEEvSH_.has_indirect_call, 0
	.section	.AMDGPU.csdata,"",@progbits
; Kernel info:
; codeLenInByte = 0
; TotalNumSgprs: 4
; NumVgprs: 0
; ScratchSize: 0
; MemoryBound: 0
; FloatMode: 240
; IeeeMode: 1
; LDSByteSize: 0 bytes/workgroup (compile time only)
; SGPRBlocks: 0
; VGPRBlocks: 0
; NumSGPRsForWavesPerEU: 4
; NumVGPRsForWavesPerEU: 1
; Occupancy: 10
; WaveLimiterHint : 0
; COMPUTE_PGM_RSRC2:SCRATCH_EN: 0
; COMPUTE_PGM_RSRC2:USER_SGPR: 6
; COMPUTE_PGM_RSRC2:TRAP_HANDLER: 0
; COMPUTE_PGM_RSRC2:TGID_X_EN: 1
; COMPUTE_PGM_RSRC2:TGID_Y_EN: 0
; COMPUTE_PGM_RSRC2:TGID_Z_EN: 0
; COMPUTE_PGM_RSRC2:TIDIG_COMP_CNT: 0
	.section	.text._ZN7rocprim17ROCPRIM_400000_NS6detail17trampoline_kernelINS0_14default_configENS1_38merge_sort_block_merge_config_selectorIslEEZZNS1_27merge_sort_block_merge_implIS3_PsN6thrust23THRUST_200600_302600_NS10device_ptrIlEEjNS1_19radix_merge_compareILb0ELb1EsNS0_19identity_decomposerEEEEE10hipError_tT0_T1_T2_jT3_P12ihipStream_tbPNSt15iterator_traitsISG_E10value_typeEPNSM_ISH_E10value_typeEPSI_NS1_7vsmem_tEENKUlT_SG_SH_SI_E_clIS7_S7_SB_PlEESF_SV_SG_SH_SI_EUlSV_E1_NS1_11comp_targetILNS1_3genE4ELNS1_11target_archE910ELNS1_3gpuE8ELNS1_3repE0EEENS1_36merge_oddeven_config_static_selectorELNS0_4arch9wavefront6targetE1EEEvSH_,"axG",@progbits,_ZN7rocprim17ROCPRIM_400000_NS6detail17trampoline_kernelINS0_14default_configENS1_38merge_sort_block_merge_config_selectorIslEEZZNS1_27merge_sort_block_merge_implIS3_PsN6thrust23THRUST_200600_302600_NS10device_ptrIlEEjNS1_19radix_merge_compareILb0ELb1EsNS0_19identity_decomposerEEEEE10hipError_tT0_T1_T2_jT3_P12ihipStream_tbPNSt15iterator_traitsISG_E10value_typeEPNSM_ISH_E10value_typeEPSI_NS1_7vsmem_tEENKUlT_SG_SH_SI_E_clIS7_S7_SB_PlEESF_SV_SG_SH_SI_EUlSV_E1_NS1_11comp_targetILNS1_3genE4ELNS1_11target_archE910ELNS1_3gpuE8ELNS1_3repE0EEENS1_36merge_oddeven_config_static_selectorELNS0_4arch9wavefront6targetE1EEEvSH_,comdat
	.protected	_ZN7rocprim17ROCPRIM_400000_NS6detail17trampoline_kernelINS0_14default_configENS1_38merge_sort_block_merge_config_selectorIslEEZZNS1_27merge_sort_block_merge_implIS3_PsN6thrust23THRUST_200600_302600_NS10device_ptrIlEEjNS1_19radix_merge_compareILb0ELb1EsNS0_19identity_decomposerEEEEE10hipError_tT0_T1_T2_jT3_P12ihipStream_tbPNSt15iterator_traitsISG_E10value_typeEPNSM_ISH_E10value_typeEPSI_NS1_7vsmem_tEENKUlT_SG_SH_SI_E_clIS7_S7_SB_PlEESF_SV_SG_SH_SI_EUlSV_E1_NS1_11comp_targetILNS1_3genE4ELNS1_11target_archE910ELNS1_3gpuE8ELNS1_3repE0EEENS1_36merge_oddeven_config_static_selectorELNS0_4arch9wavefront6targetE1EEEvSH_ ; -- Begin function _ZN7rocprim17ROCPRIM_400000_NS6detail17trampoline_kernelINS0_14default_configENS1_38merge_sort_block_merge_config_selectorIslEEZZNS1_27merge_sort_block_merge_implIS3_PsN6thrust23THRUST_200600_302600_NS10device_ptrIlEEjNS1_19radix_merge_compareILb0ELb1EsNS0_19identity_decomposerEEEEE10hipError_tT0_T1_T2_jT3_P12ihipStream_tbPNSt15iterator_traitsISG_E10value_typeEPNSM_ISH_E10value_typeEPSI_NS1_7vsmem_tEENKUlT_SG_SH_SI_E_clIS7_S7_SB_PlEESF_SV_SG_SH_SI_EUlSV_E1_NS1_11comp_targetILNS1_3genE4ELNS1_11target_archE910ELNS1_3gpuE8ELNS1_3repE0EEENS1_36merge_oddeven_config_static_selectorELNS0_4arch9wavefront6targetE1EEEvSH_
	.globl	_ZN7rocprim17ROCPRIM_400000_NS6detail17trampoline_kernelINS0_14default_configENS1_38merge_sort_block_merge_config_selectorIslEEZZNS1_27merge_sort_block_merge_implIS3_PsN6thrust23THRUST_200600_302600_NS10device_ptrIlEEjNS1_19radix_merge_compareILb0ELb1EsNS0_19identity_decomposerEEEEE10hipError_tT0_T1_T2_jT3_P12ihipStream_tbPNSt15iterator_traitsISG_E10value_typeEPNSM_ISH_E10value_typeEPSI_NS1_7vsmem_tEENKUlT_SG_SH_SI_E_clIS7_S7_SB_PlEESF_SV_SG_SH_SI_EUlSV_E1_NS1_11comp_targetILNS1_3genE4ELNS1_11target_archE910ELNS1_3gpuE8ELNS1_3repE0EEENS1_36merge_oddeven_config_static_selectorELNS0_4arch9wavefront6targetE1EEEvSH_
	.p2align	8
	.type	_ZN7rocprim17ROCPRIM_400000_NS6detail17trampoline_kernelINS0_14default_configENS1_38merge_sort_block_merge_config_selectorIslEEZZNS1_27merge_sort_block_merge_implIS3_PsN6thrust23THRUST_200600_302600_NS10device_ptrIlEEjNS1_19radix_merge_compareILb0ELb1EsNS0_19identity_decomposerEEEEE10hipError_tT0_T1_T2_jT3_P12ihipStream_tbPNSt15iterator_traitsISG_E10value_typeEPNSM_ISH_E10value_typeEPSI_NS1_7vsmem_tEENKUlT_SG_SH_SI_E_clIS7_S7_SB_PlEESF_SV_SG_SH_SI_EUlSV_E1_NS1_11comp_targetILNS1_3genE4ELNS1_11target_archE910ELNS1_3gpuE8ELNS1_3repE0EEENS1_36merge_oddeven_config_static_selectorELNS0_4arch9wavefront6targetE1EEEvSH_,@function
_ZN7rocprim17ROCPRIM_400000_NS6detail17trampoline_kernelINS0_14default_configENS1_38merge_sort_block_merge_config_selectorIslEEZZNS1_27merge_sort_block_merge_implIS3_PsN6thrust23THRUST_200600_302600_NS10device_ptrIlEEjNS1_19radix_merge_compareILb0ELb1EsNS0_19identity_decomposerEEEEE10hipError_tT0_T1_T2_jT3_P12ihipStream_tbPNSt15iterator_traitsISG_E10value_typeEPNSM_ISH_E10value_typeEPSI_NS1_7vsmem_tEENKUlT_SG_SH_SI_E_clIS7_S7_SB_PlEESF_SV_SG_SH_SI_EUlSV_E1_NS1_11comp_targetILNS1_3genE4ELNS1_11target_archE910ELNS1_3gpuE8ELNS1_3repE0EEENS1_36merge_oddeven_config_static_selectorELNS0_4arch9wavefront6targetE1EEEvSH_: ; @_ZN7rocprim17ROCPRIM_400000_NS6detail17trampoline_kernelINS0_14default_configENS1_38merge_sort_block_merge_config_selectorIslEEZZNS1_27merge_sort_block_merge_implIS3_PsN6thrust23THRUST_200600_302600_NS10device_ptrIlEEjNS1_19radix_merge_compareILb0ELb1EsNS0_19identity_decomposerEEEEE10hipError_tT0_T1_T2_jT3_P12ihipStream_tbPNSt15iterator_traitsISG_E10value_typeEPNSM_ISH_E10value_typeEPSI_NS1_7vsmem_tEENKUlT_SG_SH_SI_E_clIS7_S7_SB_PlEESF_SV_SG_SH_SI_EUlSV_E1_NS1_11comp_targetILNS1_3genE4ELNS1_11target_archE910ELNS1_3gpuE8ELNS1_3repE0EEENS1_36merge_oddeven_config_static_selectorELNS0_4arch9wavefront6targetE1EEEvSH_
; %bb.0:
	.section	.rodata,"a",@progbits
	.p2align	6, 0x0
	.amdhsa_kernel _ZN7rocprim17ROCPRIM_400000_NS6detail17trampoline_kernelINS0_14default_configENS1_38merge_sort_block_merge_config_selectorIslEEZZNS1_27merge_sort_block_merge_implIS3_PsN6thrust23THRUST_200600_302600_NS10device_ptrIlEEjNS1_19radix_merge_compareILb0ELb1EsNS0_19identity_decomposerEEEEE10hipError_tT0_T1_T2_jT3_P12ihipStream_tbPNSt15iterator_traitsISG_E10value_typeEPNSM_ISH_E10value_typeEPSI_NS1_7vsmem_tEENKUlT_SG_SH_SI_E_clIS7_S7_SB_PlEESF_SV_SG_SH_SI_EUlSV_E1_NS1_11comp_targetILNS1_3genE4ELNS1_11target_archE910ELNS1_3gpuE8ELNS1_3repE0EEENS1_36merge_oddeven_config_static_selectorELNS0_4arch9wavefront6targetE1EEEvSH_
		.amdhsa_group_segment_fixed_size 0
		.amdhsa_private_segment_fixed_size 0
		.amdhsa_kernarg_size 48
		.amdhsa_user_sgpr_count 6
		.amdhsa_user_sgpr_private_segment_buffer 1
		.amdhsa_user_sgpr_dispatch_ptr 0
		.amdhsa_user_sgpr_queue_ptr 0
		.amdhsa_user_sgpr_kernarg_segment_ptr 1
		.amdhsa_user_sgpr_dispatch_id 0
		.amdhsa_user_sgpr_flat_scratch_init 0
		.amdhsa_user_sgpr_private_segment_size 0
		.amdhsa_uses_dynamic_stack 0
		.amdhsa_system_sgpr_private_segment_wavefront_offset 0
		.amdhsa_system_sgpr_workgroup_id_x 1
		.amdhsa_system_sgpr_workgroup_id_y 0
		.amdhsa_system_sgpr_workgroup_id_z 0
		.amdhsa_system_sgpr_workgroup_info 0
		.amdhsa_system_vgpr_workitem_id 0
		.amdhsa_next_free_vgpr 1
		.amdhsa_next_free_sgpr 0
		.amdhsa_reserve_vcc 0
		.amdhsa_reserve_flat_scratch 0
		.amdhsa_float_round_mode_32 0
		.amdhsa_float_round_mode_16_64 0
		.amdhsa_float_denorm_mode_32 3
		.amdhsa_float_denorm_mode_16_64 3
		.amdhsa_dx10_clamp 1
		.amdhsa_ieee_mode 1
		.amdhsa_fp16_overflow 0
		.amdhsa_exception_fp_ieee_invalid_op 0
		.amdhsa_exception_fp_denorm_src 0
		.amdhsa_exception_fp_ieee_div_zero 0
		.amdhsa_exception_fp_ieee_overflow 0
		.amdhsa_exception_fp_ieee_underflow 0
		.amdhsa_exception_fp_ieee_inexact 0
		.amdhsa_exception_int_div_zero 0
	.end_amdhsa_kernel
	.section	.text._ZN7rocprim17ROCPRIM_400000_NS6detail17trampoline_kernelINS0_14default_configENS1_38merge_sort_block_merge_config_selectorIslEEZZNS1_27merge_sort_block_merge_implIS3_PsN6thrust23THRUST_200600_302600_NS10device_ptrIlEEjNS1_19radix_merge_compareILb0ELb1EsNS0_19identity_decomposerEEEEE10hipError_tT0_T1_T2_jT3_P12ihipStream_tbPNSt15iterator_traitsISG_E10value_typeEPNSM_ISH_E10value_typeEPSI_NS1_7vsmem_tEENKUlT_SG_SH_SI_E_clIS7_S7_SB_PlEESF_SV_SG_SH_SI_EUlSV_E1_NS1_11comp_targetILNS1_3genE4ELNS1_11target_archE910ELNS1_3gpuE8ELNS1_3repE0EEENS1_36merge_oddeven_config_static_selectorELNS0_4arch9wavefront6targetE1EEEvSH_,"axG",@progbits,_ZN7rocprim17ROCPRIM_400000_NS6detail17trampoline_kernelINS0_14default_configENS1_38merge_sort_block_merge_config_selectorIslEEZZNS1_27merge_sort_block_merge_implIS3_PsN6thrust23THRUST_200600_302600_NS10device_ptrIlEEjNS1_19radix_merge_compareILb0ELb1EsNS0_19identity_decomposerEEEEE10hipError_tT0_T1_T2_jT3_P12ihipStream_tbPNSt15iterator_traitsISG_E10value_typeEPNSM_ISH_E10value_typeEPSI_NS1_7vsmem_tEENKUlT_SG_SH_SI_E_clIS7_S7_SB_PlEESF_SV_SG_SH_SI_EUlSV_E1_NS1_11comp_targetILNS1_3genE4ELNS1_11target_archE910ELNS1_3gpuE8ELNS1_3repE0EEENS1_36merge_oddeven_config_static_selectorELNS0_4arch9wavefront6targetE1EEEvSH_,comdat
.Lfunc_end1375:
	.size	_ZN7rocprim17ROCPRIM_400000_NS6detail17trampoline_kernelINS0_14default_configENS1_38merge_sort_block_merge_config_selectorIslEEZZNS1_27merge_sort_block_merge_implIS3_PsN6thrust23THRUST_200600_302600_NS10device_ptrIlEEjNS1_19radix_merge_compareILb0ELb1EsNS0_19identity_decomposerEEEEE10hipError_tT0_T1_T2_jT3_P12ihipStream_tbPNSt15iterator_traitsISG_E10value_typeEPNSM_ISH_E10value_typeEPSI_NS1_7vsmem_tEENKUlT_SG_SH_SI_E_clIS7_S7_SB_PlEESF_SV_SG_SH_SI_EUlSV_E1_NS1_11comp_targetILNS1_3genE4ELNS1_11target_archE910ELNS1_3gpuE8ELNS1_3repE0EEENS1_36merge_oddeven_config_static_selectorELNS0_4arch9wavefront6targetE1EEEvSH_, .Lfunc_end1375-_ZN7rocprim17ROCPRIM_400000_NS6detail17trampoline_kernelINS0_14default_configENS1_38merge_sort_block_merge_config_selectorIslEEZZNS1_27merge_sort_block_merge_implIS3_PsN6thrust23THRUST_200600_302600_NS10device_ptrIlEEjNS1_19radix_merge_compareILb0ELb1EsNS0_19identity_decomposerEEEEE10hipError_tT0_T1_T2_jT3_P12ihipStream_tbPNSt15iterator_traitsISG_E10value_typeEPNSM_ISH_E10value_typeEPSI_NS1_7vsmem_tEENKUlT_SG_SH_SI_E_clIS7_S7_SB_PlEESF_SV_SG_SH_SI_EUlSV_E1_NS1_11comp_targetILNS1_3genE4ELNS1_11target_archE910ELNS1_3gpuE8ELNS1_3repE0EEENS1_36merge_oddeven_config_static_selectorELNS0_4arch9wavefront6targetE1EEEvSH_
                                        ; -- End function
	.set _ZN7rocprim17ROCPRIM_400000_NS6detail17trampoline_kernelINS0_14default_configENS1_38merge_sort_block_merge_config_selectorIslEEZZNS1_27merge_sort_block_merge_implIS3_PsN6thrust23THRUST_200600_302600_NS10device_ptrIlEEjNS1_19radix_merge_compareILb0ELb1EsNS0_19identity_decomposerEEEEE10hipError_tT0_T1_T2_jT3_P12ihipStream_tbPNSt15iterator_traitsISG_E10value_typeEPNSM_ISH_E10value_typeEPSI_NS1_7vsmem_tEENKUlT_SG_SH_SI_E_clIS7_S7_SB_PlEESF_SV_SG_SH_SI_EUlSV_E1_NS1_11comp_targetILNS1_3genE4ELNS1_11target_archE910ELNS1_3gpuE8ELNS1_3repE0EEENS1_36merge_oddeven_config_static_selectorELNS0_4arch9wavefront6targetE1EEEvSH_.num_vgpr, 0
	.set _ZN7rocprim17ROCPRIM_400000_NS6detail17trampoline_kernelINS0_14default_configENS1_38merge_sort_block_merge_config_selectorIslEEZZNS1_27merge_sort_block_merge_implIS3_PsN6thrust23THRUST_200600_302600_NS10device_ptrIlEEjNS1_19radix_merge_compareILb0ELb1EsNS0_19identity_decomposerEEEEE10hipError_tT0_T1_T2_jT3_P12ihipStream_tbPNSt15iterator_traitsISG_E10value_typeEPNSM_ISH_E10value_typeEPSI_NS1_7vsmem_tEENKUlT_SG_SH_SI_E_clIS7_S7_SB_PlEESF_SV_SG_SH_SI_EUlSV_E1_NS1_11comp_targetILNS1_3genE4ELNS1_11target_archE910ELNS1_3gpuE8ELNS1_3repE0EEENS1_36merge_oddeven_config_static_selectorELNS0_4arch9wavefront6targetE1EEEvSH_.num_agpr, 0
	.set _ZN7rocprim17ROCPRIM_400000_NS6detail17trampoline_kernelINS0_14default_configENS1_38merge_sort_block_merge_config_selectorIslEEZZNS1_27merge_sort_block_merge_implIS3_PsN6thrust23THRUST_200600_302600_NS10device_ptrIlEEjNS1_19radix_merge_compareILb0ELb1EsNS0_19identity_decomposerEEEEE10hipError_tT0_T1_T2_jT3_P12ihipStream_tbPNSt15iterator_traitsISG_E10value_typeEPNSM_ISH_E10value_typeEPSI_NS1_7vsmem_tEENKUlT_SG_SH_SI_E_clIS7_S7_SB_PlEESF_SV_SG_SH_SI_EUlSV_E1_NS1_11comp_targetILNS1_3genE4ELNS1_11target_archE910ELNS1_3gpuE8ELNS1_3repE0EEENS1_36merge_oddeven_config_static_selectorELNS0_4arch9wavefront6targetE1EEEvSH_.numbered_sgpr, 0
	.set _ZN7rocprim17ROCPRIM_400000_NS6detail17trampoline_kernelINS0_14default_configENS1_38merge_sort_block_merge_config_selectorIslEEZZNS1_27merge_sort_block_merge_implIS3_PsN6thrust23THRUST_200600_302600_NS10device_ptrIlEEjNS1_19radix_merge_compareILb0ELb1EsNS0_19identity_decomposerEEEEE10hipError_tT0_T1_T2_jT3_P12ihipStream_tbPNSt15iterator_traitsISG_E10value_typeEPNSM_ISH_E10value_typeEPSI_NS1_7vsmem_tEENKUlT_SG_SH_SI_E_clIS7_S7_SB_PlEESF_SV_SG_SH_SI_EUlSV_E1_NS1_11comp_targetILNS1_3genE4ELNS1_11target_archE910ELNS1_3gpuE8ELNS1_3repE0EEENS1_36merge_oddeven_config_static_selectorELNS0_4arch9wavefront6targetE1EEEvSH_.num_named_barrier, 0
	.set _ZN7rocprim17ROCPRIM_400000_NS6detail17trampoline_kernelINS0_14default_configENS1_38merge_sort_block_merge_config_selectorIslEEZZNS1_27merge_sort_block_merge_implIS3_PsN6thrust23THRUST_200600_302600_NS10device_ptrIlEEjNS1_19radix_merge_compareILb0ELb1EsNS0_19identity_decomposerEEEEE10hipError_tT0_T1_T2_jT3_P12ihipStream_tbPNSt15iterator_traitsISG_E10value_typeEPNSM_ISH_E10value_typeEPSI_NS1_7vsmem_tEENKUlT_SG_SH_SI_E_clIS7_S7_SB_PlEESF_SV_SG_SH_SI_EUlSV_E1_NS1_11comp_targetILNS1_3genE4ELNS1_11target_archE910ELNS1_3gpuE8ELNS1_3repE0EEENS1_36merge_oddeven_config_static_selectorELNS0_4arch9wavefront6targetE1EEEvSH_.private_seg_size, 0
	.set _ZN7rocprim17ROCPRIM_400000_NS6detail17trampoline_kernelINS0_14default_configENS1_38merge_sort_block_merge_config_selectorIslEEZZNS1_27merge_sort_block_merge_implIS3_PsN6thrust23THRUST_200600_302600_NS10device_ptrIlEEjNS1_19radix_merge_compareILb0ELb1EsNS0_19identity_decomposerEEEEE10hipError_tT0_T1_T2_jT3_P12ihipStream_tbPNSt15iterator_traitsISG_E10value_typeEPNSM_ISH_E10value_typeEPSI_NS1_7vsmem_tEENKUlT_SG_SH_SI_E_clIS7_S7_SB_PlEESF_SV_SG_SH_SI_EUlSV_E1_NS1_11comp_targetILNS1_3genE4ELNS1_11target_archE910ELNS1_3gpuE8ELNS1_3repE0EEENS1_36merge_oddeven_config_static_selectorELNS0_4arch9wavefront6targetE1EEEvSH_.uses_vcc, 0
	.set _ZN7rocprim17ROCPRIM_400000_NS6detail17trampoline_kernelINS0_14default_configENS1_38merge_sort_block_merge_config_selectorIslEEZZNS1_27merge_sort_block_merge_implIS3_PsN6thrust23THRUST_200600_302600_NS10device_ptrIlEEjNS1_19radix_merge_compareILb0ELb1EsNS0_19identity_decomposerEEEEE10hipError_tT0_T1_T2_jT3_P12ihipStream_tbPNSt15iterator_traitsISG_E10value_typeEPNSM_ISH_E10value_typeEPSI_NS1_7vsmem_tEENKUlT_SG_SH_SI_E_clIS7_S7_SB_PlEESF_SV_SG_SH_SI_EUlSV_E1_NS1_11comp_targetILNS1_3genE4ELNS1_11target_archE910ELNS1_3gpuE8ELNS1_3repE0EEENS1_36merge_oddeven_config_static_selectorELNS0_4arch9wavefront6targetE1EEEvSH_.uses_flat_scratch, 0
	.set _ZN7rocprim17ROCPRIM_400000_NS6detail17trampoline_kernelINS0_14default_configENS1_38merge_sort_block_merge_config_selectorIslEEZZNS1_27merge_sort_block_merge_implIS3_PsN6thrust23THRUST_200600_302600_NS10device_ptrIlEEjNS1_19radix_merge_compareILb0ELb1EsNS0_19identity_decomposerEEEEE10hipError_tT0_T1_T2_jT3_P12ihipStream_tbPNSt15iterator_traitsISG_E10value_typeEPNSM_ISH_E10value_typeEPSI_NS1_7vsmem_tEENKUlT_SG_SH_SI_E_clIS7_S7_SB_PlEESF_SV_SG_SH_SI_EUlSV_E1_NS1_11comp_targetILNS1_3genE4ELNS1_11target_archE910ELNS1_3gpuE8ELNS1_3repE0EEENS1_36merge_oddeven_config_static_selectorELNS0_4arch9wavefront6targetE1EEEvSH_.has_dyn_sized_stack, 0
	.set _ZN7rocprim17ROCPRIM_400000_NS6detail17trampoline_kernelINS0_14default_configENS1_38merge_sort_block_merge_config_selectorIslEEZZNS1_27merge_sort_block_merge_implIS3_PsN6thrust23THRUST_200600_302600_NS10device_ptrIlEEjNS1_19radix_merge_compareILb0ELb1EsNS0_19identity_decomposerEEEEE10hipError_tT0_T1_T2_jT3_P12ihipStream_tbPNSt15iterator_traitsISG_E10value_typeEPNSM_ISH_E10value_typeEPSI_NS1_7vsmem_tEENKUlT_SG_SH_SI_E_clIS7_S7_SB_PlEESF_SV_SG_SH_SI_EUlSV_E1_NS1_11comp_targetILNS1_3genE4ELNS1_11target_archE910ELNS1_3gpuE8ELNS1_3repE0EEENS1_36merge_oddeven_config_static_selectorELNS0_4arch9wavefront6targetE1EEEvSH_.has_recursion, 0
	.set _ZN7rocprim17ROCPRIM_400000_NS6detail17trampoline_kernelINS0_14default_configENS1_38merge_sort_block_merge_config_selectorIslEEZZNS1_27merge_sort_block_merge_implIS3_PsN6thrust23THRUST_200600_302600_NS10device_ptrIlEEjNS1_19radix_merge_compareILb0ELb1EsNS0_19identity_decomposerEEEEE10hipError_tT0_T1_T2_jT3_P12ihipStream_tbPNSt15iterator_traitsISG_E10value_typeEPNSM_ISH_E10value_typeEPSI_NS1_7vsmem_tEENKUlT_SG_SH_SI_E_clIS7_S7_SB_PlEESF_SV_SG_SH_SI_EUlSV_E1_NS1_11comp_targetILNS1_3genE4ELNS1_11target_archE910ELNS1_3gpuE8ELNS1_3repE0EEENS1_36merge_oddeven_config_static_selectorELNS0_4arch9wavefront6targetE1EEEvSH_.has_indirect_call, 0
	.section	.AMDGPU.csdata,"",@progbits
; Kernel info:
; codeLenInByte = 0
; TotalNumSgprs: 4
; NumVgprs: 0
; ScratchSize: 0
; MemoryBound: 0
; FloatMode: 240
; IeeeMode: 1
; LDSByteSize: 0 bytes/workgroup (compile time only)
; SGPRBlocks: 0
; VGPRBlocks: 0
; NumSGPRsForWavesPerEU: 4
; NumVGPRsForWavesPerEU: 1
; Occupancy: 10
; WaveLimiterHint : 0
; COMPUTE_PGM_RSRC2:SCRATCH_EN: 0
; COMPUTE_PGM_RSRC2:USER_SGPR: 6
; COMPUTE_PGM_RSRC2:TRAP_HANDLER: 0
; COMPUTE_PGM_RSRC2:TGID_X_EN: 1
; COMPUTE_PGM_RSRC2:TGID_Y_EN: 0
; COMPUTE_PGM_RSRC2:TGID_Z_EN: 0
; COMPUTE_PGM_RSRC2:TIDIG_COMP_CNT: 0
	.section	.text._ZN7rocprim17ROCPRIM_400000_NS6detail17trampoline_kernelINS0_14default_configENS1_38merge_sort_block_merge_config_selectorIslEEZZNS1_27merge_sort_block_merge_implIS3_PsN6thrust23THRUST_200600_302600_NS10device_ptrIlEEjNS1_19radix_merge_compareILb0ELb1EsNS0_19identity_decomposerEEEEE10hipError_tT0_T1_T2_jT3_P12ihipStream_tbPNSt15iterator_traitsISG_E10value_typeEPNSM_ISH_E10value_typeEPSI_NS1_7vsmem_tEENKUlT_SG_SH_SI_E_clIS7_S7_SB_PlEESF_SV_SG_SH_SI_EUlSV_E1_NS1_11comp_targetILNS1_3genE3ELNS1_11target_archE908ELNS1_3gpuE7ELNS1_3repE0EEENS1_36merge_oddeven_config_static_selectorELNS0_4arch9wavefront6targetE1EEEvSH_,"axG",@progbits,_ZN7rocprim17ROCPRIM_400000_NS6detail17trampoline_kernelINS0_14default_configENS1_38merge_sort_block_merge_config_selectorIslEEZZNS1_27merge_sort_block_merge_implIS3_PsN6thrust23THRUST_200600_302600_NS10device_ptrIlEEjNS1_19radix_merge_compareILb0ELb1EsNS0_19identity_decomposerEEEEE10hipError_tT0_T1_T2_jT3_P12ihipStream_tbPNSt15iterator_traitsISG_E10value_typeEPNSM_ISH_E10value_typeEPSI_NS1_7vsmem_tEENKUlT_SG_SH_SI_E_clIS7_S7_SB_PlEESF_SV_SG_SH_SI_EUlSV_E1_NS1_11comp_targetILNS1_3genE3ELNS1_11target_archE908ELNS1_3gpuE7ELNS1_3repE0EEENS1_36merge_oddeven_config_static_selectorELNS0_4arch9wavefront6targetE1EEEvSH_,comdat
	.protected	_ZN7rocprim17ROCPRIM_400000_NS6detail17trampoline_kernelINS0_14default_configENS1_38merge_sort_block_merge_config_selectorIslEEZZNS1_27merge_sort_block_merge_implIS3_PsN6thrust23THRUST_200600_302600_NS10device_ptrIlEEjNS1_19radix_merge_compareILb0ELb1EsNS0_19identity_decomposerEEEEE10hipError_tT0_T1_T2_jT3_P12ihipStream_tbPNSt15iterator_traitsISG_E10value_typeEPNSM_ISH_E10value_typeEPSI_NS1_7vsmem_tEENKUlT_SG_SH_SI_E_clIS7_S7_SB_PlEESF_SV_SG_SH_SI_EUlSV_E1_NS1_11comp_targetILNS1_3genE3ELNS1_11target_archE908ELNS1_3gpuE7ELNS1_3repE0EEENS1_36merge_oddeven_config_static_selectorELNS0_4arch9wavefront6targetE1EEEvSH_ ; -- Begin function _ZN7rocprim17ROCPRIM_400000_NS6detail17trampoline_kernelINS0_14default_configENS1_38merge_sort_block_merge_config_selectorIslEEZZNS1_27merge_sort_block_merge_implIS3_PsN6thrust23THRUST_200600_302600_NS10device_ptrIlEEjNS1_19radix_merge_compareILb0ELb1EsNS0_19identity_decomposerEEEEE10hipError_tT0_T1_T2_jT3_P12ihipStream_tbPNSt15iterator_traitsISG_E10value_typeEPNSM_ISH_E10value_typeEPSI_NS1_7vsmem_tEENKUlT_SG_SH_SI_E_clIS7_S7_SB_PlEESF_SV_SG_SH_SI_EUlSV_E1_NS1_11comp_targetILNS1_3genE3ELNS1_11target_archE908ELNS1_3gpuE7ELNS1_3repE0EEENS1_36merge_oddeven_config_static_selectorELNS0_4arch9wavefront6targetE1EEEvSH_
	.globl	_ZN7rocprim17ROCPRIM_400000_NS6detail17trampoline_kernelINS0_14default_configENS1_38merge_sort_block_merge_config_selectorIslEEZZNS1_27merge_sort_block_merge_implIS3_PsN6thrust23THRUST_200600_302600_NS10device_ptrIlEEjNS1_19radix_merge_compareILb0ELb1EsNS0_19identity_decomposerEEEEE10hipError_tT0_T1_T2_jT3_P12ihipStream_tbPNSt15iterator_traitsISG_E10value_typeEPNSM_ISH_E10value_typeEPSI_NS1_7vsmem_tEENKUlT_SG_SH_SI_E_clIS7_S7_SB_PlEESF_SV_SG_SH_SI_EUlSV_E1_NS1_11comp_targetILNS1_3genE3ELNS1_11target_archE908ELNS1_3gpuE7ELNS1_3repE0EEENS1_36merge_oddeven_config_static_selectorELNS0_4arch9wavefront6targetE1EEEvSH_
	.p2align	8
	.type	_ZN7rocprim17ROCPRIM_400000_NS6detail17trampoline_kernelINS0_14default_configENS1_38merge_sort_block_merge_config_selectorIslEEZZNS1_27merge_sort_block_merge_implIS3_PsN6thrust23THRUST_200600_302600_NS10device_ptrIlEEjNS1_19radix_merge_compareILb0ELb1EsNS0_19identity_decomposerEEEEE10hipError_tT0_T1_T2_jT3_P12ihipStream_tbPNSt15iterator_traitsISG_E10value_typeEPNSM_ISH_E10value_typeEPSI_NS1_7vsmem_tEENKUlT_SG_SH_SI_E_clIS7_S7_SB_PlEESF_SV_SG_SH_SI_EUlSV_E1_NS1_11comp_targetILNS1_3genE3ELNS1_11target_archE908ELNS1_3gpuE7ELNS1_3repE0EEENS1_36merge_oddeven_config_static_selectorELNS0_4arch9wavefront6targetE1EEEvSH_,@function
_ZN7rocprim17ROCPRIM_400000_NS6detail17trampoline_kernelINS0_14default_configENS1_38merge_sort_block_merge_config_selectorIslEEZZNS1_27merge_sort_block_merge_implIS3_PsN6thrust23THRUST_200600_302600_NS10device_ptrIlEEjNS1_19radix_merge_compareILb0ELb1EsNS0_19identity_decomposerEEEEE10hipError_tT0_T1_T2_jT3_P12ihipStream_tbPNSt15iterator_traitsISG_E10value_typeEPNSM_ISH_E10value_typeEPSI_NS1_7vsmem_tEENKUlT_SG_SH_SI_E_clIS7_S7_SB_PlEESF_SV_SG_SH_SI_EUlSV_E1_NS1_11comp_targetILNS1_3genE3ELNS1_11target_archE908ELNS1_3gpuE7ELNS1_3repE0EEENS1_36merge_oddeven_config_static_selectorELNS0_4arch9wavefront6targetE1EEEvSH_: ; @_ZN7rocprim17ROCPRIM_400000_NS6detail17trampoline_kernelINS0_14default_configENS1_38merge_sort_block_merge_config_selectorIslEEZZNS1_27merge_sort_block_merge_implIS3_PsN6thrust23THRUST_200600_302600_NS10device_ptrIlEEjNS1_19radix_merge_compareILb0ELb1EsNS0_19identity_decomposerEEEEE10hipError_tT0_T1_T2_jT3_P12ihipStream_tbPNSt15iterator_traitsISG_E10value_typeEPNSM_ISH_E10value_typeEPSI_NS1_7vsmem_tEENKUlT_SG_SH_SI_E_clIS7_S7_SB_PlEESF_SV_SG_SH_SI_EUlSV_E1_NS1_11comp_targetILNS1_3genE3ELNS1_11target_archE908ELNS1_3gpuE7ELNS1_3repE0EEENS1_36merge_oddeven_config_static_selectorELNS0_4arch9wavefront6targetE1EEEvSH_
; %bb.0:
	.section	.rodata,"a",@progbits
	.p2align	6, 0x0
	.amdhsa_kernel _ZN7rocprim17ROCPRIM_400000_NS6detail17trampoline_kernelINS0_14default_configENS1_38merge_sort_block_merge_config_selectorIslEEZZNS1_27merge_sort_block_merge_implIS3_PsN6thrust23THRUST_200600_302600_NS10device_ptrIlEEjNS1_19radix_merge_compareILb0ELb1EsNS0_19identity_decomposerEEEEE10hipError_tT0_T1_T2_jT3_P12ihipStream_tbPNSt15iterator_traitsISG_E10value_typeEPNSM_ISH_E10value_typeEPSI_NS1_7vsmem_tEENKUlT_SG_SH_SI_E_clIS7_S7_SB_PlEESF_SV_SG_SH_SI_EUlSV_E1_NS1_11comp_targetILNS1_3genE3ELNS1_11target_archE908ELNS1_3gpuE7ELNS1_3repE0EEENS1_36merge_oddeven_config_static_selectorELNS0_4arch9wavefront6targetE1EEEvSH_
		.amdhsa_group_segment_fixed_size 0
		.amdhsa_private_segment_fixed_size 0
		.amdhsa_kernarg_size 48
		.amdhsa_user_sgpr_count 6
		.amdhsa_user_sgpr_private_segment_buffer 1
		.amdhsa_user_sgpr_dispatch_ptr 0
		.amdhsa_user_sgpr_queue_ptr 0
		.amdhsa_user_sgpr_kernarg_segment_ptr 1
		.amdhsa_user_sgpr_dispatch_id 0
		.amdhsa_user_sgpr_flat_scratch_init 0
		.amdhsa_user_sgpr_private_segment_size 0
		.amdhsa_uses_dynamic_stack 0
		.amdhsa_system_sgpr_private_segment_wavefront_offset 0
		.amdhsa_system_sgpr_workgroup_id_x 1
		.amdhsa_system_sgpr_workgroup_id_y 0
		.amdhsa_system_sgpr_workgroup_id_z 0
		.amdhsa_system_sgpr_workgroup_info 0
		.amdhsa_system_vgpr_workitem_id 0
		.amdhsa_next_free_vgpr 1
		.amdhsa_next_free_sgpr 0
		.amdhsa_reserve_vcc 0
		.amdhsa_reserve_flat_scratch 0
		.amdhsa_float_round_mode_32 0
		.amdhsa_float_round_mode_16_64 0
		.amdhsa_float_denorm_mode_32 3
		.amdhsa_float_denorm_mode_16_64 3
		.amdhsa_dx10_clamp 1
		.amdhsa_ieee_mode 1
		.amdhsa_fp16_overflow 0
		.amdhsa_exception_fp_ieee_invalid_op 0
		.amdhsa_exception_fp_denorm_src 0
		.amdhsa_exception_fp_ieee_div_zero 0
		.amdhsa_exception_fp_ieee_overflow 0
		.amdhsa_exception_fp_ieee_underflow 0
		.amdhsa_exception_fp_ieee_inexact 0
		.amdhsa_exception_int_div_zero 0
	.end_amdhsa_kernel
	.section	.text._ZN7rocprim17ROCPRIM_400000_NS6detail17trampoline_kernelINS0_14default_configENS1_38merge_sort_block_merge_config_selectorIslEEZZNS1_27merge_sort_block_merge_implIS3_PsN6thrust23THRUST_200600_302600_NS10device_ptrIlEEjNS1_19radix_merge_compareILb0ELb1EsNS0_19identity_decomposerEEEEE10hipError_tT0_T1_T2_jT3_P12ihipStream_tbPNSt15iterator_traitsISG_E10value_typeEPNSM_ISH_E10value_typeEPSI_NS1_7vsmem_tEENKUlT_SG_SH_SI_E_clIS7_S7_SB_PlEESF_SV_SG_SH_SI_EUlSV_E1_NS1_11comp_targetILNS1_3genE3ELNS1_11target_archE908ELNS1_3gpuE7ELNS1_3repE0EEENS1_36merge_oddeven_config_static_selectorELNS0_4arch9wavefront6targetE1EEEvSH_,"axG",@progbits,_ZN7rocprim17ROCPRIM_400000_NS6detail17trampoline_kernelINS0_14default_configENS1_38merge_sort_block_merge_config_selectorIslEEZZNS1_27merge_sort_block_merge_implIS3_PsN6thrust23THRUST_200600_302600_NS10device_ptrIlEEjNS1_19radix_merge_compareILb0ELb1EsNS0_19identity_decomposerEEEEE10hipError_tT0_T1_T2_jT3_P12ihipStream_tbPNSt15iterator_traitsISG_E10value_typeEPNSM_ISH_E10value_typeEPSI_NS1_7vsmem_tEENKUlT_SG_SH_SI_E_clIS7_S7_SB_PlEESF_SV_SG_SH_SI_EUlSV_E1_NS1_11comp_targetILNS1_3genE3ELNS1_11target_archE908ELNS1_3gpuE7ELNS1_3repE0EEENS1_36merge_oddeven_config_static_selectorELNS0_4arch9wavefront6targetE1EEEvSH_,comdat
.Lfunc_end1376:
	.size	_ZN7rocprim17ROCPRIM_400000_NS6detail17trampoline_kernelINS0_14default_configENS1_38merge_sort_block_merge_config_selectorIslEEZZNS1_27merge_sort_block_merge_implIS3_PsN6thrust23THRUST_200600_302600_NS10device_ptrIlEEjNS1_19radix_merge_compareILb0ELb1EsNS0_19identity_decomposerEEEEE10hipError_tT0_T1_T2_jT3_P12ihipStream_tbPNSt15iterator_traitsISG_E10value_typeEPNSM_ISH_E10value_typeEPSI_NS1_7vsmem_tEENKUlT_SG_SH_SI_E_clIS7_S7_SB_PlEESF_SV_SG_SH_SI_EUlSV_E1_NS1_11comp_targetILNS1_3genE3ELNS1_11target_archE908ELNS1_3gpuE7ELNS1_3repE0EEENS1_36merge_oddeven_config_static_selectorELNS0_4arch9wavefront6targetE1EEEvSH_, .Lfunc_end1376-_ZN7rocprim17ROCPRIM_400000_NS6detail17trampoline_kernelINS0_14default_configENS1_38merge_sort_block_merge_config_selectorIslEEZZNS1_27merge_sort_block_merge_implIS3_PsN6thrust23THRUST_200600_302600_NS10device_ptrIlEEjNS1_19radix_merge_compareILb0ELb1EsNS0_19identity_decomposerEEEEE10hipError_tT0_T1_T2_jT3_P12ihipStream_tbPNSt15iterator_traitsISG_E10value_typeEPNSM_ISH_E10value_typeEPSI_NS1_7vsmem_tEENKUlT_SG_SH_SI_E_clIS7_S7_SB_PlEESF_SV_SG_SH_SI_EUlSV_E1_NS1_11comp_targetILNS1_3genE3ELNS1_11target_archE908ELNS1_3gpuE7ELNS1_3repE0EEENS1_36merge_oddeven_config_static_selectorELNS0_4arch9wavefront6targetE1EEEvSH_
                                        ; -- End function
	.set _ZN7rocprim17ROCPRIM_400000_NS6detail17trampoline_kernelINS0_14default_configENS1_38merge_sort_block_merge_config_selectorIslEEZZNS1_27merge_sort_block_merge_implIS3_PsN6thrust23THRUST_200600_302600_NS10device_ptrIlEEjNS1_19radix_merge_compareILb0ELb1EsNS0_19identity_decomposerEEEEE10hipError_tT0_T1_T2_jT3_P12ihipStream_tbPNSt15iterator_traitsISG_E10value_typeEPNSM_ISH_E10value_typeEPSI_NS1_7vsmem_tEENKUlT_SG_SH_SI_E_clIS7_S7_SB_PlEESF_SV_SG_SH_SI_EUlSV_E1_NS1_11comp_targetILNS1_3genE3ELNS1_11target_archE908ELNS1_3gpuE7ELNS1_3repE0EEENS1_36merge_oddeven_config_static_selectorELNS0_4arch9wavefront6targetE1EEEvSH_.num_vgpr, 0
	.set _ZN7rocprim17ROCPRIM_400000_NS6detail17trampoline_kernelINS0_14default_configENS1_38merge_sort_block_merge_config_selectorIslEEZZNS1_27merge_sort_block_merge_implIS3_PsN6thrust23THRUST_200600_302600_NS10device_ptrIlEEjNS1_19radix_merge_compareILb0ELb1EsNS0_19identity_decomposerEEEEE10hipError_tT0_T1_T2_jT3_P12ihipStream_tbPNSt15iterator_traitsISG_E10value_typeEPNSM_ISH_E10value_typeEPSI_NS1_7vsmem_tEENKUlT_SG_SH_SI_E_clIS7_S7_SB_PlEESF_SV_SG_SH_SI_EUlSV_E1_NS1_11comp_targetILNS1_3genE3ELNS1_11target_archE908ELNS1_3gpuE7ELNS1_3repE0EEENS1_36merge_oddeven_config_static_selectorELNS0_4arch9wavefront6targetE1EEEvSH_.num_agpr, 0
	.set _ZN7rocprim17ROCPRIM_400000_NS6detail17trampoline_kernelINS0_14default_configENS1_38merge_sort_block_merge_config_selectorIslEEZZNS1_27merge_sort_block_merge_implIS3_PsN6thrust23THRUST_200600_302600_NS10device_ptrIlEEjNS1_19radix_merge_compareILb0ELb1EsNS0_19identity_decomposerEEEEE10hipError_tT0_T1_T2_jT3_P12ihipStream_tbPNSt15iterator_traitsISG_E10value_typeEPNSM_ISH_E10value_typeEPSI_NS1_7vsmem_tEENKUlT_SG_SH_SI_E_clIS7_S7_SB_PlEESF_SV_SG_SH_SI_EUlSV_E1_NS1_11comp_targetILNS1_3genE3ELNS1_11target_archE908ELNS1_3gpuE7ELNS1_3repE0EEENS1_36merge_oddeven_config_static_selectorELNS0_4arch9wavefront6targetE1EEEvSH_.numbered_sgpr, 0
	.set _ZN7rocprim17ROCPRIM_400000_NS6detail17trampoline_kernelINS0_14default_configENS1_38merge_sort_block_merge_config_selectorIslEEZZNS1_27merge_sort_block_merge_implIS3_PsN6thrust23THRUST_200600_302600_NS10device_ptrIlEEjNS1_19radix_merge_compareILb0ELb1EsNS0_19identity_decomposerEEEEE10hipError_tT0_T1_T2_jT3_P12ihipStream_tbPNSt15iterator_traitsISG_E10value_typeEPNSM_ISH_E10value_typeEPSI_NS1_7vsmem_tEENKUlT_SG_SH_SI_E_clIS7_S7_SB_PlEESF_SV_SG_SH_SI_EUlSV_E1_NS1_11comp_targetILNS1_3genE3ELNS1_11target_archE908ELNS1_3gpuE7ELNS1_3repE0EEENS1_36merge_oddeven_config_static_selectorELNS0_4arch9wavefront6targetE1EEEvSH_.num_named_barrier, 0
	.set _ZN7rocprim17ROCPRIM_400000_NS6detail17trampoline_kernelINS0_14default_configENS1_38merge_sort_block_merge_config_selectorIslEEZZNS1_27merge_sort_block_merge_implIS3_PsN6thrust23THRUST_200600_302600_NS10device_ptrIlEEjNS1_19radix_merge_compareILb0ELb1EsNS0_19identity_decomposerEEEEE10hipError_tT0_T1_T2_jT3_P12ihipStream_tbPNSt15iterator_traitsISG_E10value_typeEPNSM_ISH_E10value_typeEPSI_NS1_7vsmem_tEENKUlT_SG_SH_SI_E_clIS7_S7_SB_PlEESF_SV_SG_SH_SI_EUlSV_E1_NS1_11comp_targetILNS1_3genE3ELNS1_11target_archE908ELNS1_3gpuE7ELNS1_3repE0EEENS1_36merge_oddeven_config_static_selectorELNS0_4arch9wavefront6targetE1EEEvSH_.private_seg_size, 0
	.set _ZN7rocprim17ROCPRIM_400000_NS6detail17trampoline_kernelINS0_14default_configENS1_38merge_sort_block_merge_config_selectorIslEEZZNS1_27merge_sort_block_merge_implIS3_PsN6thrust23THRUST_200600_302600_NS10device_ptrIlEEjNS1_19radix_merge_compareILb0ELb1EsNS0_19identity_decomposerEEEEE10hipError_tT0_T1_T2_jT3_P12ihipStream_tbPNSt15iterator_traitsISG_E10value_typeEPNSM_ISH_E10value_typeEPSI_NS1_7vsmem_tEENKUlT_SG_SH_SI_E_clIS7_S7_SB_PlEESF_SV_SG_SH_SI_EUlSV_E1_NS1_11comp_targetILNS1_3genE3ELNS1_11target_archE908ELNS1_3gpuE7ELNS1_3repE0EEENS1_36merge_oddeven_config_static_selectorELNS0_4arch9wavefront6targetE1EEEvSH_.uses_vcc, 0
	.set _ZN7rocprim17ROCPRIM_400000_NS6detail17trampoline_kernelINS0_14default_configENS1_38merge_sort_block_merge_config_selectorIslEEZZNS1_27merge_sort_block_merge_implIS3_PsN6thrust23THRUST_200600_302600_NS10device_ptrIlEEjNS1_19radix_merge_compareILb0ELb1EsNS0_19identity_decomposerEEEEE10hipError_tT0_T1_T2_jT3_P12ihipStream_tbPNSt15iterator_traitsISG_E10value_typeEPNSM_ISH_E10value_typeEPSI_NS1_7vsmem_tEENKUlT_SG_SH_SI_E_clIS7_S7_SB_PlEESF_SV_SG_SH_SI_EUlSV_E1_NS1_11comp_targetILNS1_3genE3ELNS1_11target_archE908ELNS1_3gpuE7ELNS1_3repE0EEENS1_36merge_oddeven_config_static_selectorELNS0_4arch9wavefront6targetE1EEEvSH_.uses_flat_scratch, 0
	.set _ZN7rocprim17ROCPRIM_400000_NS6detail17trampoline_kernelINS0_14default_configENS1_38merge_sort_block_merge_config_selectorIslEEZZNS1_27merge_sort_block_merge_implIS3_PsN6thrust23THRUST_200600_302600_NS10device_ptrIlEEjNS1_19radix_merge_compareILb0ELb1EsNS0_19identity_decomposerEEEEE10hipError_tT0_T1_T2_jT3_P12ihipStream_tbPNSt15iterator_traitsISG_E10value_typeEPNSM_ISH_E10value_typeEPSI_NS1_7vsmem_tEENKUlT_SG_SH_SI_E_clIS7_S7_SB_PlEESF_SV_SG_SH_SI_EUlSV_E1_NS1_11comp_targetILNS1_3genE3ELNS1_11target_archE908ELNS1_3gpuE7ELNS1_3repE0EEENS1_36merge_oddeven_config_static_selectorELNS0_4arch9wavefront6targetE1EEEvSH_.has_dyn_sized_stack, 0
	.set _ZN7rocprim17ROCPRIM_400000_NS6detail17trampoline_kernelINS0_14default_configENS1_38merge_sort_block_merge_config_selectorIslEEZZNS1_27merge_sort_block_merge_implIS3_PsN6thrust23THRUST_200600_302600_NS10device_ptrIlEEjNS1_19radix_merge_compareILb0ELb1EsNS0_19identity_decomposerEEEEE10hipError_tT0_T1_T2_jT3_P12ihipStream_tbPNSt15iterator_traitsISG_E10value_typeEPNSM_ISH_E10value_typeEPSI_NS1_7vsmem_tEENKUlT_SG_SH_SI_E_clIS7_S7_SB_PlEESF_SV_SG_SH_SI_EUlSV_E1_NS1_11comp_targetILNS1_3genE3ELNS1_11target_archE908ELNS1_3gpuE7ELNS1_3repE0EEENS1_36merge_oddeven_config_static_selectorELNS0_4arch9wavefront6targetE1EEEvSH_.has_recursion, 0
	.set _ZN7rocprim17ROCPRIM_400000_NS6detail17trampoline_kernelINS0_14default_configENS1_38merge_sort_block_merge_config_selectorIslEEZZNS1_27merge_sort_block_merge_implIS3_PsN6thrust23THRUST_200600_302600_NS10device_ptrIlEEjNS1_19radix_merge_compareILb0ELb1EsNS0_19identity_decomposerEEEEE10hipError_tT0_T1_T2_jT3_P12ihipStream_tbPNSt15iterator_traitsISG_E10value_typeEPNSM_ISH_E10value_typeEPSI_NS1_7vsmem_tEENKUlT_SG_SH_SI_E_clIS7_S7_SB_PlEESF_SV_SG_SH_SI_EUlSV_E1_NS1_11comp_targetILNS1_3genE3ELNS1_11target_archE908ELNS1_3gpuE7ELNS1_3repE0EEENS1_36merge_oddeven_config_static_selectorELNS0_4arch9wavefront6targetE1EEEvSH_.has_indirect_call, 0
	.section	.AMDGPU.csdata,"",@progbits
; Kernel info:
; codeLenInByte = 0
; TotalNumSgprs: 4
; NumVgprs: 0
; ScratchSize: 0
; MemoryBound: 0
; FloatMode: 240
; IeeeMode: 1
; LDSByteSize: 0 bytes/workgroup (compile time only)
; SGPRBlocks: 0
; VGPRBlocks: 0
; NumSGPRsForWavesPerEU: 4
; NumVGPRsForWavesPerEU: 1
; Occupancy: 10
; WaveLimiterHint : 0
; COMPUTE_PGM_RSRC2:SCRATCH_EN: 0
; COMPUTE_PGM_RSRC2:USER_SGPR: 6
; COMPUTE_PGM_RSRC2:TRAP_HANDLER: 0
; COMPUTE_PGM_RSRC2:TGID_X_EN: 1
; COMPUTE_PGM_RSRC2:TGID_Y_EN: 0
; COMPUTE_PGM_RSRC2:TGID_Z_EN: 0
; COMPUTE_PGM_RSRC2:TIDIG_COMP_CNT: 0
	.section	.text._ZN7rocprim17ROCPRIM_400000_NS6detail17trampoline_kernelINS0_14default_configENS1_38merge_sort_block_merge_config_selectorIslEEZZNS1_27merge_sort_block_merge_implIS3_PsN6thrust23THRUST_200600_302600_NS10device_ptrIlEEjNS1_19radix_merge_compareILb0ELb1EsNS0_19identity_decomposerEEEEE10hipError_tT0_T1_T2_jT3_P12ihipStream_tbPNSt15iterator_traitsISG_E10value_typeEPNSM_ISH_E10value_typeEPSI_NS1_7vsmem_tEENKUlT_SG_SH_SI_E_clIS7_S7_SB_PlEESF_SV_SG_SH_SI_EUlSV_E1_NS1_11comp_targetILNS1_3genE2ELNS1_11target_archE906ELNS1_3gpuE6ELNS1_3repE0EEENS1_36merge_oddeven_config_static_selectorELNS0_4arch9wavefront6targetE1EEEvSH_,"axG",@progbits,_ZN7rocprim17ROCPRIM_400000_NS6detail17trampoline_kernelINS0_14default_configENS1_38merge_sort_block_merge_config_selectorIslEEZZNS1_27merge_sort_block_merge_implIS3_PsN6thrust23THRUST_200600_302600_NS10device_ptrIlEEjNS1_19radix_merge_compareILb0ELb1EsNS0_19identity_decomposerEEEEE10hipError_tT0_T1_T2_jT3_P12ihipStream_tbPNSt15iterator_traitsISG_E10value_typeEPNSM_ISH_E10value_typeEPSI_NS1_7vsmem_tEENKUlT_SG_SH_SI_E_clIS7_S7_SB_PlEESF_SV_SG_SH_SI_EUlSV_E1_NS1_11comp_targetILNS1_3genE2ELNS1_11target_archE906ELNS1_3gpuE6ELNS1_3repE0EEENS1_36merge_oddeven_config_static_selectorELNS0_4arch9wavefront6targetE1EEEvSH_,comdat
	.protected	_ZN7rocprim17ROCPRIM_400000_NS6detail17trampoline_kernelINS0_14default_configENS1_38merge_sort_block_merge_config_selectorIslEEZZNS1_27merge_sort_block_merge_implIS3_PsN6thrust23THRUST_200600_302600_NS10device_ptrIlEEjNS1_19radix_merge_compareILb0ELb1EsNS0_19identity_decomposerEEEEE10hipError_tT0_T1_T2_jT3_P12ihipStream_tbPNSt15iterator_traitsISG_E10value_typeEPNSM_ISH_E10value_typeEPSI_NS1_7vsmem_tEENKUlT_SG_SH_SI_E_clIS7_S7_SB_PlEESF_SV_SG_SH_SI_EUlSV_E1_NS1_11comp_targetILNS1_3genE2ELNS1_11target_archE906ELNS1_3gpuE6ELNS1_3repE0EEENS1_36merge_oddeven_config_static_selectorELNS0_4arch9wavefront6targetE1EEEvSH_ ; -- Begin function _ZN7rocprim17ROCPRIM_400000_NS6detail17trampoline_kernelINS0_14default_configENS1_38merge_sort_block_merge_config_selectorIslEEZZNS1_27merge_sort_block_merge_implIS3_PsN6thrust23THRUST_200600_302600_NS10device_ptrIlEEjNS1_19radix_merge_compareILb0ELb1EsNS0_19identity_decomposerEEEEE10hipError_tT0_T1_T2_jT3_P12ihipStream_tbPNSt15iterator_traitsISG_E10value_typeEPNSM_ISH_E10value_typeEPSI_NS1_7vsmem_tEENKUlT_SG_SH_SI_E_clIS7_S7_SB_PlEESF_SV_SG_SH_SI_EUlSV_E1_NS1_11comp_targetILNS1_3genE2ELNS1_11target_archE906ELNS1_3gpuE6ELNS1_3repE0EEENS1_36merge_oddeven_config_static_selectorELNS0_4arch9wavefront6targetE1EEEvSH_
	.globl	_ZN7rocprim17ROCPRIM_400000_NS6detail17trampoline_kernelINS0_14default_configENS1_38merge_sort_block_merge_config_selectorIslEEZZNS1_27merge_sort_block_merge_implIS3_PsN6thrust23THRUST_200600_302600_NS10device_ptrIlEEjNS1_19radix_merge_compareILb0ELb1EsNS0_19identity_decomposerEEEEE10hipError_tT0_T1_T2_jT3_P12ihipStream_tbPNSt15iterator_traitsISG_E10value_typeEPNSM_ISH_E10value_typeEPSI_NS1_7vsmem_tEENKUlT_SG_SH_SI_E_clIS7_S7_SB_PlEESF_SV_SG_SH_SI_EUlSV_E1_NS1_11comp_targetILNS1_3genE2ELNS1_11target_archE906ELNS1_3gpuE6ELNS1_3repE0EEENS1_36merge_oddeven_config_static_selectorELNS0_4arch9wavefront6targetE1EEEvSH_
	.p2align	8
	.type	_ZN7rocprim17ROCPRIM_400000_NS6detail17trampoline_kernelINS0_14default_configENS1_38merge_sort_block_merge_config_selectorIslEEZZNS1_27merge_sort_block_merge_implIS3_PsN6thrust23THRUST_200600_302600_NS10device_ptrIlEEjNS1_19radix_merge_compareILb0ELb1EsNS0_19identity_decomposerEEEEE10hipError_tT0_T1_T2_jT3_P12ihipStream_tbPNSt15iterator_traitsISG_E10value_typeEPNSM_ISH_E10value_typeEPSI_NS1_7vsmem_tEENKUlT_SG_SH_SI_E_clIS7_S7_SB_PlEESF_SV_SG_SH_SI_EUlSV_E1_NS1_11comp_targetILNS1_3genE2ELNS1_11target_archE906ELNS1_3gpuE6ELNS1_3repE0EEENS1_36merge_oddeven_config_static_selectorELNS0_4arch9wavefront6targetE1EEEvSH_,@function
_ZN7rocprim17ROCPRIM_400000_NS6detail17trampoline_kernelINS0_14default_configENS1_38merge_sort_block_merge_config_selectorIslEEZZNS1_27merge_sort_block_merge_implIS3_PsN6thrust23THRUST_200600_302600_NS10device_ptrIlEEjNS1_19radix_merge_compareILb0ELb1EsNS0_19identity_decomposerEEEEE10hipError_tT0_T1_T2_jT3_P12ihipStream_tbPNSt15iterator_traitsISG_E10value_typeEPNSM_ISH_E10value_typeEPSI_NS1_7vsmem_tEENKUlT_SG_SH_SI_E_clIS7_S7_SB_PlEESF_SV_SG_SH_SI_EUlSV_E1_NS1_11comp_targetILNS1_3genE2ELNS1_11target_archE906ELNS1_3gpuE6ELNS1_3repE0EEENS1_36merge_oddeven_config_static_selectorELNS0_4arch9wavefront6targetE1EEEvSH_: ; @_ZN7rocprim17ROCPRIM_400000_NS6detail17trampoline_kernelINS0_14default_configENS1_38merge_sort_block_merge_config_selectorIslEEZZNS1_27merge_sort_block_merge_implIS3_PsN6thrust23THRUST_200600_302600_NS10device_ptrIlEEjNS1_19radix_merge_compareILb0ELb1EsNS0_19identity_decomposerEEEEE10hipError_tT0_T1_T2_jT3_P12ihipStream_tbPNSt15iterator_traitsISG_E10value_typeEPNSM_ISH_E10value_typeEPSI_NS1_7vsmem_tEENKUlT_SG_SH_SI_E_clIS7_S7_SB_PlEESF_SV_SG_SH_SI_EUlSV_E1_NS1_11comp_targetILNS1_3genE2ELNS1_11target_archE906ELNS1_3gpuE6ELNS1_3repE0EEENS1_36merge_oddeven_config_static_selectorELNS0_4arch9wavefront6targetE1EEEvSH_
; %bb.0:
	s_load_dword s20, s[4:5], 0x20
	s_waitcnt lgkmcnt(0)
	s_lshr_b32 s0, s20, 8
	s_cmp_eq_u32 s6, s0
	s_cselect_b64 s[16:17], -1, 0
	s_cmp_lg_u32 s6, s0
	s_cselect_b64 s[0:1], -1, 0
	s_lshl_b32 s18, s6, 8
	s_sub_i32 s2, s20, s18
	v_cmp_gt_u32_e64 s[2:3], s2, v0
	s_or_b64 s[0:1], s[0:1], s[2:3]
	s_and_saveexec_b64 s[8:9], s[0:1]
	s_cbranch_execz .LBB1377_24
; %bb.1:
	s_load_dwordx8 s[8:15], s[4:5], 0x0
	s_mov_b32 s19, 0
	s_lshl_b64 s[0:1], s[18:19], 1
	v_lshlrev_b32_e32 v4, 3, v0
	v_lshlrev_b32_e32 v3, 1, v0
	s_waitcnt lgkmcnt(0)
	s_add_u32 s0, s8, s0
	s_addc_u32 s1, s9, s1
	s_lshl_b64 s[22:23], s[18:19], 3
	s_add_u32 s12, s12, s22
	s_addc_u32 s13, s13, s23
	global_load_dwordx2 v[1:2], v4, s[12:13]
	global_load_ushort v5, v3, s[0:1]
	s_load_dword s13, s[4:5], 0x24
	v_add_u32_e32 v3, s18, v0
	s_waitcnt lgkmcnt(0)
	s_lshr_b32 s0, s13, 8
	s_sub_i32 s1, 0, s0
	s_and_b32 s1, s6, s1
	s_and_b32 s0, s1, s0
	s_lshl_b32 s19, s1, 8
	s_sub_i32 s12, 0, s13
	s_cmp_eq_u32 s0, 0
	s_cselect_b64 s[0:1], -1, 0
	s_and_b64 s[6:7], s[0:1], exec
	s_cselect_b32 s12, s13, s12
	s_add_i32 s12, s12, s19
	s_mov_b64 s[6:7], -1
	s_cmp_gt_u32 s20, s12
	s_cbranch_scc1 .LBB1377_9
; %bb.2:
	s_and_b64 vcc, exec, s[16:17]
	s_cbranch_vccz .LBB1377_6
; %bb.3:
	v_cmp_gt_u32_e32 vcc, s20, v3
	s_and_saveexec_b64 s[6:7], vcc
	s_cbranch_execz .LBB1377_5
; %bb.4:
	v_mov_b32_e32 v4, 0
	v_lshlrev_b64 v[6:7], 1, v[3:4]
	v_mov_b32_e32 v0, s11
	v_add_co_u32_e32 v6, vcc, s10, v6
	v_lshlrev_b64 v[8:9], 3, v[3:4]
	v_addc_co_u32_e32 v7, vcc, v0, v7, vcc
	v_mov_b32_e32 v0, s15
	v_add_co_u32_e32 v8, vcc, s14, v8
	v_addc_co_u32_e32 v9, vcc, v0, v9, vcc
	s_waitcnt vmcnt(0)
	global_store_short v[6:7], v5, off
	global_store_dwordx2 v[8:9], v[1:2], off
.LBB1377_5:
	s_or_b64 exec, exec, s[6:7]
	s_mov_b64 s[6:7], 0
.LBB1377_6:
	s_andn2_b64 vcc, exec, s[6:7]
	s_cbranch_vccnz .LBB1377_8
; %bb.7:
	v_mov_b32_e32 v4, 0
	v_lshlrev_b64 v[6:7], 1, v[3:4]
	v_mov_b32_e32 v0, s11
	v_add_co_u32_e32 v6, vcc, s10, v6
	v_lshlrev_b64 v[8:9], 3, v[3:4]
	v_addc_co_u32_e32 v7, vcc, v0, v7, vcc
	v_mov_b32_e32 v0, s15
	v_add_co_u32_e32 v8, vcc, s14, v8
	v_addc_co_u32_e32 v9, vcc, v0, v9, vcc
	s_waitcnt vmcnt(0)
	global_store_short v[6:7], v5, off
	global_store_dwordx2 v[8:9], v[1:2], off
.LBB1377_8:
	s_mov_b64 s[6:7], 0
.LBB1377_9:
	s_andn2_b64 vcc, exec, s[6:7]
	s_cbranch_vccnz .LBB1377_24
; %bb.10:
	s_load_dword s6, s[4:5], 0x28
	s_min_u32 s7, s12, s20
	s_add_i32 s4, s7, s13
	s_min_u32 s13, s4, s20
	s_min_u32 s4, s19, s7
	s_add_i32 s19, s19, s7
	v_subrev_u32_e32 v0, s19, v3
	v_add_u32_e32 v0, s4, v0
	s_waitcnt vmcnt(0) lgkmcnt(0)
	v_and_b32_e32 v3, s6, v5
	s_mov_b64 s[4:5], -1
	s_and_b64 vcc, exec, s[16:17]
	s_cbranch_vccz .LBB1377_18
; %bb.11:
	s_and_saveexec_b64 s[4:5], s[2:3]
	s_cbranch_execz .LBB1377_17
; %bb.12:
	s_cmp_ge_u32 s12, s13
	v_mov_b32_e32 v4, s7
	s_cbranch_scc1 .LBB1377_16
; %bb.13:
	s_mov_b64 s[2:3], 0
	v_mov_b32_e32 v6, s13
	v_mov_b32_e32 v4, s7
.LBB1377_14:                            ; =>This Inner Loop Header: Depth=1
	v_add_u32_e32 v7, v4, v6
	v_and_b32_e32 v8, -2, v7
	global_load_ushort v8, v8, s[8:9]
	v_lshrrev_b32_e32 v7, 1, v7
	v_add_u32_e32 v9, 1, v7
	s_waitcnt vmcnt(0)
	v_and_b32_e32 v8, s6, v8
	v_cmp_gt_i16_e32 vcc, v3, v8
	v_cndmask_b32_e64 v10, 0, 1, vcc
	v_cmp_le_i16_e32 vcc, v8, v3
	v_cndmask_b32_e64 v8, 0, 1, vcc
	v_cndmask_b32_e64 v8, v8, v10, s[0:1]
	v_and_b32_e32 v8, 1, v8
	v_cmp_eq_u32_e32 vcc, 1, v8
	v_cndmask_b32_e32 v6, v7, v6, vcc
	v_cndmask_b32_e32 v4, v4, v9, vcc
	v_cmp_ge_u32_e32 vcc, v4, v6
	s_or_b64 s[2:3], vcc, s[2:3]
	s_andn2_b64 exec, exec, s[2:3]
	s_cbranch_execnz .LBB1377_14
; %bb.15:
	s_or_b64 exec, exec, s[2:3]
.LBB1377_16:
	v_add_u32_e32 v6, v4, v0
	v_mov_b32_e32 v7, 0
	v_lshlrev_b64 v[8:9], 1, v[6:7]
	v_mov_b32_e32 v4, s11
	v_add_co_u32_e32 v8, vcc, s10, v8
	v_lshlrev_b64 v[6:7], 3, v[6:7]
	v_addc_co_u32_e32 v9, vcc, v4, v9, vcc
	v_mov_b32_e32 v4, s15
	v_add_co_u32_e32 v6, vcc, s14, v6
	v_addc_co_u32_e32 v7, vcc, v4, v7, vcc
	global_store_short v[8:9], v5, off
	global_store_dwordx2 v[6:7], v[1:2], off
.LBB1377_17:
	s_or_b64 exec, exec, s[4:5]
	s_mov_b64 s[4:5], 0
.LBB1377_18:
	s_andn2_b64 vcc, exec, s[4:5]
	s_cbranch_vccnz .LBB1377_24
; %bb.19:
	s_cmp_ge_u32 s12, s13
	v_mov_b32_e32 v4, s7
	s_cbranch_scc1 .LBB1377_23
; %bb.20:
	s_mov_b64 s[2:3], 0
	v_mov_b32_e32 v6, s13
	v_mov_b32_e32 v4, s7
.LBB1377_21:                            ; =>This Inner Loop Header: Depth=1
	v_add_u32_e32 v7, v4, v6
	v_and_b32_e32 v8, -2, v7
	global_load_ushort v8, v8, s[8:9]
	v_lshrrev_b32_e32 v7, 1, v7
	v_add_u32_e32 v9, 1, v7
	s_waitcnt vmcnt(0)
	v_and_b32_e32 v8, s6, v8
	v_cmp_gt_i16_e32 vcc, v3, v8
	v_cndmask_b32_e64 v10, 0, 1, vcc
	v_cmp_le_i16_e32 vcc, v8, v3
	v_cndmask_b32_e64 v8, 0, 1, vcc
	v_cndmask_b32_e64 v8, v8, v10, s[0:1]
	v_and_b32_e32 v8, 1, v8
	v_cmp_eq_u32_e32 vcc, 1, v8
	v_cndmask_b32_e32 v6, v7, v6, vcc
	v_cndmask_b32_e32 v4, v4, v9, vcc
	v_cmp_ge_u32_e32 vcc, v4, v6
	s_or_b64 s[2:3], vcc, s[2:3]
	s_andn2_b64 exec, exec, s[2:3]
	s_cbranch_execnz .LBB1377_21
; %bb.22:
	s_or_b64 exec, exec, s[2:3]
.LBB1377_23:
	v_add_u32_e32 v3, v4, v0
	v_mov_b32_e32 v4, 0
	v_lshlrev_b64 v[6:7], 1, v[3:4]
	v_mov_b32_e32 v0, s11
	v_add_co_u32_e32 v6, vcc, s10, v6
	v_lshlrev_b64 v[3:4], 3, v[3:4]
	v_addc_co_u32_e32 v7, vcc, v0, v7, vcc
	v_mov_b32_e32 v0, s15
	v_add_co_u32_e32 v3, vcc, s14, v3
	v_addc_co_u32_e32 v4, vcc, v0, v4, vcc
	global_store_short v[6:7], v5, off
	global_store_dwordx2 v[3:4], v[1:2], off
.LBB1377_24:
	s_endpgm
	.section	.rodata,"a",@progbits
	.p2align	6, 0x0
	.amdhsa_kernel _ZN7rocprim17ROCPRIM_400000_NS6detail17trampoline_kernelINS0_14default_configENS1_38merge_sort_block_merge_config_selectorIslEEZZNS1_27merge_sort_block_merge_implIS3_PsN6thrust23THRUST_200600_302600_NS10device_ptrIlEEjNS1_19radix_merge_compareILb0ELb1EsNS0_19identity_decomposerEEEEE10hipError_tT0_T1_T2_jT3_P12ihipStream_tbPNSt15iterator_traitsISG_E10value_typeEPNSM_ISH_E10value_typeEPSI_NS1_7vsmem_tEENKUlT_SG_SH_SI_E_clIS7_S7_SB_PlEESF_SV_SG_SH_SI_EUlSV_E1_NS1_11comp_targetILNS1_3genE2ELNS1_11target_archE906ELNS1_3gpuE6ELNS1_3repE0EEENS1_36merge_oddeven_config_static_selectorELNS0_4arch9wavefront6targetE1EEEvSH_
		.amdhsa_group_segment_fixed_size 0
		.amdhsa_private_segment_fixed_size 0
		.amdhsa_kernarg_size 48
		.amdhsa_user_sgpr_count 6
		.amdhsa_user_sgpr_private_segment_buffer 1
		.amdhsa_user_sgpr_dispatch_ptr 0
		.amdhsa_user_sgpr_queue_ptr 0
		.amdhsa_user_sgpr_kernarg_segment_ptr 1
		.amdhsa_user_sgpr_dispatch_id 0
		.amdhsa_user_sgpr_flat_scratch_init 0
		.amdhsa_user_sgpr_private_segment_size 0
		.amdhsa_uses_dynamic_stack 0
		.amdhsa_system_sgpr_private_segment_wavefront_offset 0
		.amdhsa_system_sgpr_workgroup_id_x 1
		.amdhsa_system_sgpr_workgroup_id_y 0
		.amdhsa_system_sgpr_workgroup_id_z 0
		.amdhsa_system_sgpr_workgroup_info 0
		.amdhsa_system_vgpr_workitem_id 0
		.amdhsa_next_free_vgpr 11
		.amdhsa_next_free_sgpr 24
		.amdhsa_reserve_vcc 1
		.amdhsa_reserve_flat_scratch 0
		.amdhsa_float_round_mode_32 0
		.amdhsa_float_round_mode_16_64 0
		.amdhsa_float_denorm_mode_32 3
		.amdhsa_float_denorm_mode_16_64 3
		.amdhsa_dx10_clamp 1
		.amdhsa_ieee_mode 1
		.amdhsa_fp16_overflow 0
		.amdhsa_exception_fp_ieee_invalid_op 0
		.amdhsa_exception_fp_denorm_src 0
		.amdhsa_exception_fp_ieee_div_zero 0
		.amdhsa_exception_fp_ieee_overflow 0
		.amdhsa_exception_fp_ieee_underflow 0
		.amdhsa_exception_fp_ieee_inexact 0
		.amdhsa_exception_int_div_zero 0
	.end_amdhsa_kernel
	.section	.text._ZN7rocprim17ROCPRIM_400000_NS6detail17trampoline_kernelINS0_14default_configENS1_38merge_sort_block_merge_config_selectorIslEEZZNS1_27merge_sort_block_merge_implIS3_PsN6thrust23THRUST_200600_302600_NS10device_ptrIlEEjNS1_19radix_merge_compareILb0ELb1EsNS0_19identity_decomposerEEEEE10hipError_tT0_T1_T2_jT3_P12ihipStream_tbPNSt15iterator_traitsISG_E10value_typeEPNSM_ISH_E10value_typeEPSI_NS1_7vsmem_tEENKUlT_SG_SH_SI_E_clIS7_S7_SB_PlEESF_SV_SG_SH_SI_EUlSV_E1_NS1_11comp_targetILNS1_3genE2ELNS1_11target_archE906ELNS1_3gpuE6ELNS1_3repE0EEENS1_36merge_oddeven_config_static_selectorELNS0_4arch9wavefront6targetE1EEEvSH_,"axG",@progbits,_ZN7rocprim17ROCPRIM_400000_NS6detail17trampoline_kernelINS0_14default_configENS1_38merge_sort_block_merge_config_selectorIslEEZZNS1_27merge_sort_block_merge_implIS3_PsN6thrust23THRUST_200600_302600_NS10device_ptrIlEEjNS1_19radix_merge_compareILb0ELb1EsNS0_19identity_decomposerEEEEE10hipError_tT0_T1_T2_jT3_P12ihipStream_tbPNSt15iterator_traitsISG_E10value_typeEPNSM_ISH_E10value_typeEPSI_NS1_7vsmem_tEENKUlT_SG_SH_SI_E_clIS7_S7_SB_PlEESF_SV_SG_SH_SI_EUlSV_E1_NS1_11comp_targetILNS1_3genE2ELNS1_11target_archE906ELNS1_3gpuE6ELNS1_3repE0EEENS1_36merge_oddeven_config_static_selectorELNS0_4arch9wavefront6targetE1EEEvSH_,comdat
.Lfunc_end1377:
	.size	_ZN7rocprim17ROCPRIM_400000_NS6detail17trampoline_kernelINS0_14default_configENS1_38merge_sort_block_merge_config_selectorIslEEZZNS1_27merge_sort_block_merge_implIS3_PsN6thrust23THRUST_200600_302600_NS10device_ptrIlEEjNS1_19radix_merge_compareILb0ELb1EsNS0_19identity_decomposerEEEEE10hipError_tT0_T1_T2_jT3_P12ihipStream_tbPNSt15iterator_traitsISG_E10value_typeEPNSM_ISH_E10value_typeEPSI_NS1_7vsmem_tEENKUlT_SG_SH_SI_E_clIS7_S7_SB_PlEESF_SV_SG_SH_SI_EUlSV_E1_NS1_11comp_targetILNS1_3genE2ELNS1_11target_archE906ELNS1_3gpuE6ELNS1_3repE0EEENS1_36merge_oddeven_config_static_selectorELNS0_4arch9wavefront6targetE1EEEvSH_, .Lfunc_end1377-_ZN7rocprim17ROCPRIM_400000_NS6detail17trampoline_kernelINS0_14default_configENS1_38merge_sort_block_merge_config_selectorIslEEZZNS1_27merge_sort_block_merge_implIS3_PsN6thrust23THRUST_200600_302600_NS10device_ptrIlEEjNS1_19radix_merge_compareILb0ELb1EsNS0_19identity_decomposerEEEEE10hipError_tT0_T1_T2_jT3_P12ihipStream_tbPNSt15iterator_traitsISG_E10value_typeEPNSM_ISH_E10value_typeEPSI_NS1_7vsmem_tEENKUlT_SG_SH_SI_E_clIS7_S7_SB_PlEESF_SV_SG_SH_SI_EUlSV_E1_NS1_11comp_targetILNS1_3genE2ELNS1_11target_archE906ELNS1_3gpuE6ELNS1_3repE0EEENS1_36merge_oddeven_config_static_selectorELNS0_4arch9wavefront6targetE1EEEvSH_
                                        ; -- End function
	.set _ZN7rocprim17ROCPRIM_400000_NS6detail17trampoline_kernelINS0_14default_configENS1_38merge_sort_block_merge_config_selectorIslEEZZNS1_27merge_sort_block_merge_implIS3_PsN6thrust23THRUST_200600_302600_NS10device_ptrIlEEjNS1_19radix_merge_compareILb0ELb1EsNS0_19identity_decomposerEEEEE10hipError_tT0_T1_T2_jT3_P12ihipStream_tbPNSt15iterator_traitsISG_E10value_typeEPNSM_ISH_E10value_typeEPSI_NS1_7vsmem_tEENKUlT_SG_SH_SI_E_clIS7_S7_SB_PlEESF_SV_SG_SH_SI_EUlSV_E1_NS1_11comp_targetILNS1_3genE2ELNS1_11target_archE906ELNS1_3gpuE6ELNS1_3repE0EEENS1_36merge_oddeven_config_static_selectorELNS0_4arch9wavefront6targetE1EEEvSH_.num_vgpr, 11
	.set _ZN7rocprim17ROCPRIM_400000_NS6detail17trampoline_kernelINS0_14default_configENS1_38merge_sort_block_merge_config_selectorIslEEZZNS1_27merge_sort_block_merge_implIS3_PsN6thrust23THRUST_200600_302600_NS10device_ptrIlEEjNS1_19radix_merge_compareILb0ELb1EsNS0_19identity_decomposerEEEEE10hipError_tT0_T1_T2_jT3_P12ihipStream_tbPNSt15iterator_traitsISG_E10value_typeEPNSM_ISH_E10value_typeEPSI_NS1_7vsmem_tEENKUlT_SG_SH_SI_E_clIS7_S7_SB_PlEESF_SV_SG_SH_SI_EUlSV_E1_NS1_11comp_targetILNS1_3genE2ELNS1_11target_archE906ELNS1_3gpuE6ELNS1_3repE0EEENS1_36merge_oddeven_config_static_selectorELNS0_4arch9wavefront6targetE1EEEvSH_.num_agpr, 0
	.set _ZN7rocprim17ROCPRIM_400000_NS6detail17trampoline_kernelINS0_14default_configENS1_38merge_sort_block_merge_config_selectorIslEEZZNS1_27merge_sort_block_merge_implIS3_PsN6thrust23THRUST_200600_302600_NS10device_ptrIlEEjNS1_19radix_merge_compareILb0ELb1EsNS0_19identity_decomposerEEEEE10hipError_tT0_T1_T2_jT3_P12ihipStream_tbPNSt15iterator_traitsISG_E10value_typeEPNSM_ISH_E10value_typeEPSI_NS1_7vsmem_tEENKUlT_SG_SH_SI_E_clIS7_S7_SB_PlEESF_SV_SG_SH_SI_EUlSV_E1_NS1_11comp_targetILNS1_3genE2ELNS1_11target_archE906ELNS1_3gpuE6ELNS1_3repE0EEENS1_36merge_oddeven_config_static_selectorELNS0_4arch9wavefront6targetE1EEEvSH_.numbered_sgpr, 24
	.set _ZN7rocprim17ROCPRIM_400000_NS6detail17trampoline_kernelINS0_14default_configENS1_38merge_sort_block_merge_config_selectorIslEEZZNS1_27merge_sort_block_merge_implIS3_PsN6thrust23THRUST_200600_302600_NS10device_ptrIlEEjNS1_19radix_merge_compareILb0ELb1EsNS0_19identity_decomposerEEEEE10hipError_tT0_T1_T2_jT3_P12ihipStream_tbPNSt15iterator_traitsISG_E10value_typeEPNSM_ISH_E10value_typeEPSI_NS1_7vsmem_tEENKUlT_SG_SH_SI_E_clIS7_S7_SB_PlEESF_SV_SG_SH_SI_EUlSV_E1_NS1_11comp_targetILNS1_3genE2ELNS1_11target_archE906ELNS1_3gpuE6ELNS1_3repE0EEENS1_36merge_oddeven_config_static_selectorELNS0_4arch9wavefront6targetE1EEEvSH_.num_named_barrier, 0
	.set _ZN7rocprim17ROCPRIM_400000_NS6detail17trampoline_kernelINS0_14default_configENS1_38merge_sort_block_merge_config_selectorIslEEZZNS1_27merge_sort_block_merge_implIS3_PsN6thrust23THRUST_200600_302600_NS10device_ptrIlEEjNS1_19radix_merge_compareILb0ELb1EsNS0_19identity_decomposerEEEEE10hipError_tT0_T1_T2_jT3_P12ihipStream_tbPNSt15iterator_traitsISG_E10value_typeEPNSM_ISH_E10value_typeEPSI_NS1_7vsmem_tEENKUlT_SG_SH_SI_E_clIS7_S7_SB_PlEESF_SV_SG_SH_SI_EUlSV_E1_NS1_11comp_targetILNS1_3genE2ELNS1_11target_archE906ELNS1_3gpuE6ELNS1_3repE0EEENS1_36merge_oddeven_config_static_selectorELNS0_4arch9wavefront6targetE1EEEvSH_.private_seg_size, 0
	.set _ZN7rocprim17ROCPRIM_400000_NS6detail17trampoline_kernelINS0_14default_configENS1_38merge_sort_block_merge_config_selectorIslEEZZNS1_27merge_sort_block_merge_implIS3_PsN6thrust23THRUST_200600_302600_NS10device_ptrIlEEjNS1_19radix_merge_compareILb0ELb1EsNS0_19identity_decomposerEEEEE10hipError_tT0_T1_T2_jT3_P12ihipStream_tbPNSt15iterator_traitsISG_E10value_typeEPNSM_ISH_E10value_typeEPSI_NS1_7vsmem_tEENKUlT_SG_SH_SI_E_clIS7_S7_SB_PlEESF_SV_SG_SH_SI_EUlSV_E1_NS1_11comp_targetILNS1_3genE2ELNS1_11target_archE906ELNS1_3gpuE6ELNS1_3repE0EEENS1_36merge_oddeven_config_static_selectorELNS0_4arch9wavefront6targetE1EEEvSH_.uses_vcc, 1
	.set _ZN7rocprim17ROCPRIM_400000_NS6detail17trampoline_kernelINS0_14default_configENS1_38merge_sort_block_merge_config_selectorIslEEZZNS1_27merge_sort_block_merge_implIS3_PsN6thrust23THRUST_200600_302600_NS10device_ptrIlEEjNS1_19radix_merge_compareILb0ELb1EsNS0_19identity_decomposerEEEEE10hipError_tT0_T1_T2_jT3_P12ihipStream_tbPNSt15iterator_traitsISG_E10value_typeEPNSM_ISH_E10value_typeEPSI_NS1_7vsmem_tEENKUlT_SG_SH_SI_E_clIS7_S7_SB_PlEESF_SV_SG_SH_SI_EUlSV_E1_NS1_11comp_targetILNS1_3genE2ELNS1_11target_archE906ELNS1_3gpuE6ELNS1_3repE0EEENS1_36merge_oddeven_config_static_selectorELNS0_4arch9wavefront6targetE1EEEvSH_.uses_flat_scratch, 0
	.set _ZN7rocprim17ROCPRIM_400000_NS6detail17trampoline_kernelINS0_14default_configENS1_38merge_sort_block_merge_config_selectorIslEEZZNS1_27merge_sort_block_merge_implIS3_PsN6thrust23THRUST_200600_302600_NS10device_ptrIlEEjNS1_19radix_merge_compareILb0ELb1EsNS0_19identity_decomposerEEEEE10hipError_tT0_T1_T2_jT3_P12ihipStream_tbPNSt15iterator_traitsISG_E10value_typeEPNSM_ISH_E10value_typeEPSI_NS1_7vsmem_tEENKUlT_SG_SH_SI_E_clIS7_S7_SB_PlEESF_SV_SG_SH_SI_EUlSV_E1_NS1_11comp_targetILNS1_3genE2ELNS1_11target_archE906ELNS1_3gpuE6ELNS1_3repE0EEENS1_36merge_oddeven_config_static_selectorELNS0_4arch9wavefront6targetE1EEEvSH_.has_dyn_sized_stack, 0
	.set _ZN7rocprim17ROCPRIM_400000_NS6detail17trampoline_kernelINS0_14default_configENS1_38merge_sort_block_merge_config_selectorIslEEZZNS1_27merge_sort_block_merge_implIS3_PsN6thrust23THRUST_200600_302600_NS10device_ptrIlEEjNS1_19radix_merge_compareILb0ELb1EsNS0_19identity_decomposerEEEEE10hipError_tT0_T1_T2_jT3_P12ihipStream_tbPNSt15iterator_traitsISG_E10value_typeEPNSM_ISH_E10value_typeEPSI_NS1_7vsmem_tEENKUlT_SG_SH_SI_E_clIS7_S7_SB_PlEESF_SV_SG_SH_SI_EUlSV_E1_NS1_11comp_targetILNS1_3genE2ELNS1_11target_archE906ELNS1_3gpuE6ELNS1_3repE0EEENS1_36merge_oddeven_config_static_selectorELNS0_4arch9wavefront6targetE1EEEvSH_.has_recursion, 0
	.set _ZN7rocprim17ROCPRIM_400000_NS6detail17trampoline_kernelINS0_14default_configENS1_38merge_sort_block_merge_config_selectorIslEEZZNS1_27merge_sort_block_merge_implIS3_PsN6thrust23THRUST_200600_302600_NS10device_ptrIlEEjNS1_19radix_merge_compareILb0ELb1EsNS0_19identity_decomposerEEEEE10hipError_tT0_T1_T2_jT3_P12ihipStream_tbPNSt15iterator_traitsISG_E10value_typeEPNSM_ISH_E10value_typeEPSI_NS1_7vsmem_tEENKUlT_SG_SH_SI_E_clIS7_S7_SB_PlEESF_SV_SG_SH_SI_EUlSV_E1_NS1_11comp_targetILNS1_3genE2ELNS1_11target_archE906ELNS1_3gpuE6ELNS1_3repE0EEENS1_36merge_oddeven_config_static_selectorELNS0_4arch9wavefront6targetE1EEEvSH_.has_indirect_call, 0
	.section	.AMDGPU.csdata,"",@progbits
; Kernel info:
; codeLenInByte = 832
; TotalNumSgprs: 28
; NumVgprs: 11
; ScratchSize: 0
; MemoryBound: 0
; FloatMode: 240
; IeeeMode: 1
; LDSByteSize: 0 bytes/workgroup (compile time only)
; SGPRBlocks: 3
; VGPRBlocks: 2
; NumSGPRsForWavesPerEU: 28
; NumVGPRsForWavesPerEU: 11
; Occupancy: 10
; WaveLimiterHint : 0
; COMPUTE_PGM_RSRC2:SCRATCH_EN: 0
; COMPUTE_PGM_RSRC2:USER_SGPR: 6
; COMPUTE_PGM_RSRC2:TRAP_HANDLER: 0
; COMPUTE_PGM_RSRC2:TGID_X_EN: 1
; COMPUTE_PGM_RSRC2:TGID_Y_EN: 0
; COMPUTE_PGM_RSRC2:TGID_Z_EN: 0
; COMPUTE_PGM_RSRC2:TIDIG_COMP_CNT: 0
	.section	.text._ZN7rocprim17ROCPRIM_400000_NS6detail17trampoline_kernelINS0_14default_configENS1_38merge_sort_block_merge_config_selectorIslEEZZNS1_27merge_sort_block_merge_implIS3_PsN6thrust23THRUST_200600_302600_NS10device_ptrIlEEjNS1_19radix_merge_compareILb0ELb1EsNS0_19identity_decomposerEEEEE10hipError_tT0_T1_T2_jT3_P12ihipStream_tbPNSt15iterator_traitsISG_E10value_typeEPNSM_ISH_E10value_typeEPSI_NS1_7vsmem_tEENKUlT_SG_SH_SI_E_clIS7_S7_SB_PlEESF_SV_SG_SH_SI_EUlSV_E1_NS1_11comp_targetILNS1_3genE9ELNS1_11target_archE1100ELNS1_3gpuE3ELNS1_3repE0EEENS1_36merge_oddeven_config_static_selectorELNS0_4arch9wavefront6targetE1EEEvSH_,"axG",@progbits,_ZN7rocprim17ROCPRIM_400000_NS6detail17trampoline_kernelINS0_14default_configENS1_38merge_sort_block_merge_config_selectorIslEEZZNS1_27merge_sort_block_merge_implIS3_PsN6thrust23THRUST_200600_302600_NS10device_ptrIlEEjNS1_19radix_merge_compareILb0ELb1EsNS0_19identity_decomposerEEEEE10hipError_tT0_T1_T2_jT3_P12ihipStream_tbPNSt15iterator_traitsISG_E10value_typeEPNSM_ISH_E10value_typeEPSI_NS1_7vsmem_tEENKUlT_SG_SH_SI_E_clIS7_S7_SB_PlEESF_SV_SG_SH_SI_EUlSV_E1_NS1_11comp_targetILNS1_3genE9ELNS1_11target_archE1100ELNS1_3gpuE3ELNS1_3repE0EEENS1_36merge_oddeven_config_static_selectorELNS0_4arch9wavefront6targetE1EEEvSH_,comdat
	.protected	_ZN7rocprim17ROCPRIM_400000_NS6detail17trampoline_kernelINS0_14default_configENS1_38merge_sort_block_merge_config_selectorIslEEZZNS1_27merge_sort_block_merge_implIS3_PsN6thrust23THRUST_200600_302600_NS10device_ptrIlEEjNS1_19radix_merge_compareILb0ELb1EsNS0_19identity_decomposerEEEEE10hipError_tT0_T1_T2_jT3_P12ihipStream_tbPNSt15iterator_traitsISG_E10value_typeEPNSM_ISH_E10value_typeEPSI_NS1_7vsmem_tEENKUlT_SG_SH_SI_E_clIS7_S7_SB_PlEESF_SV_SG_SH_SI_EUlSV_E1_NS1_11comp_targetILNS1_3genE9ELNS1_11target_archE1100ELNS1_3gpuE3ELNS1_3repE0EEENS1_36merge_oddeven_config_static_selectorELNS0_4arch9wavefront6targetE1EEEvSH_ ; -- Begin function _ZN7rocprim17ROCPRIM_400000_NS6detail17trampoline_kernelINS0_14default_configENS1_38merge_sort_block_merge_config_selectorIslEEZZNS1_27merge_sort_block_merge_implIS3_PsN6thrust23THRUST_200600_302600_NS10device_ptrIlEEjNS1_19radix_merge_compareILb0ELb1EsNS0_19identity_decomposerEEEEE10hipError_tT0_T1_T2_jT3_P12ihipStream_tbPNSt15iterator_traitsISG_E10value_typeEPNSM_ISH_E10value_typeEPSI_NS1_7vsmem_tEENKUlT_SG_SH_SI_E_clIS7_S7_SB_PlEESF_SV_SG_SH_SI_EUlSV_E1_NS1_11comp_targetILNS1_3genE9ELNS1_11target_archE1100ELNS1_3gpuE3ELNS1_3repE0EEENS1_36merge_oddeven_config_static_selectorELNS0_4arch9wavefront6targetE1EEEvSH_
	.globl	_ZN7rocprim17ROCPRIM_400000_NS6detail17trampoline_kernelINS0_14default_configENS1_38merge_sort_block_merge_config_selectorIslEEZZNS1_27merge_sort_block_merge_implIS3_PsN6thrust23THRUST_200600_302600_NS10device_ptrIlEEjNS1_19radix_merge_compareILb0ELb1EsNS0_19identity_decomposerEEEEE10hipError_tT0_T1_T2_jT3_P12ihipStream_tbPNSt15iterator_traitsISG_E10value_typeEPNSM_ISH_E10value_typeEPSI_NS1_7vsmem_tEENKUlT_SG_SH_SI_E_clIS7_S7_SB_PlEESF_SV_SG_SH_SI_EUlSV_E1_NS1_11comp_targetILNS1_3genE9ELNS1_11target_archE1100ELNS1_3gpuE3ELNS1_3repE0EEENS1_36merge_oddeven_config_static_selectorELNS0_4arch9wavefront6targetE1EEEvSH_
	.p2align	8
	.type	_ZN7rocprim17ROCPRIM_400000_NS6detail17trampoline_kernelINS0_14default_configENS1_38merge_sort_block_merge_config_selectorIslEEZZNS1_27merge_sort_block_merge_implIS3_PsN6thrust23THRUST_200600_302600_NS10device_ptrIlEEjNS1_19radix_merge_compareILb0ELb1EsNS0_19identity_decomposerEEEEE10hipError_tT0_T1_T2_jT3_P12ihipStream_tbPNSt15iterator_traitsISG_E10value_typeEPNSM_ISH_E10value_typeEPSI_NS1_7vsmem_tEENKUlT_SG_SH_SI_E_clIS7_S7_SB_PlEESF_SV_SG_SH_SI_EUlSV_E1_NS1_11comp_targetILNS1_3genE9ELNS1_11target_archE1100ELNS1_3gpuE3ELNS1_3repE0EEENS1_36merge_oddeven_config_static_selectorELNS0_4arch9wavefront6targetE1EEEvSH_,@function
_ZN7rocprim17ROCPRIM_400000_NS6detail17trampoline_kernelINS0_14default_configENS1_38merge_sort_block_merge_config_selectorIslEEZZNS1_27merge_sort_block_merge_implIS3_PsN6thrust23THRUST_200600_302600_NS10device_ptrIlEEjNS1_19radix_merge_compareILb0ELb1EsNS0_19identity_decomposerEEEEE10hipError_tT0_T1_T2_jT3_P12ihipStream_tbPNSt15iterator_traitsISG_E10value_typeEPNSM_ISH_E10value_typeEPSI_NS1_7vsmem_tEENKUlT_SG_SH_SI_E_clIS7_S7_SB_PlEESF_SV_SG_SH_SI_EUlSV_E1_NS1_11comp_targetILNS1_3genE9ELNS1_11target_archE1100ELNS1_3gpuE3ELNS1_3repE0EEENS1_36merge_oddeven_config_static_selectorELNS0_4arch9wavefront6targetE1EEEvSH_: ; @_ZN7rocprim17ROCPRIM_400000_NS6detail17trampoline_kernelINS0_14default_configENS1_38merge_sort_block_merge_config_selectorIslEEZZNS1_27merge_sort_block_merge_implIS3_PsN6thrust23THRUST_200600_302600_NS10device_ptrIlEEjNS1_19radix_merge_compareILb0ELb1EsNS0_19identity_decomposerEEEEE10hipError_tT0_T1_T2_jT3_P12ihipStream_tbPNSt15iterator_traitsISG_E10value_typeEPNSM_ISH_E10value_typeEPSI_NS1_7vsmem_tEENKUlT_SG_SH_SI_E_clIS7_S7_SB_PlEESF_SV_SG_SH_SI_EUlSV_E1_NS1_11comp_targetILNS1_3genE9ELNS1_11target_archE1100ELNS1_3gpuE3ELNS1_3repE0EEENS1_36merge_oddeven_config_static_selectorELNS0_4arch9wavefront6targetE1EEEvSH_
; %bb.0:
	.section	.rodata,"a",@progbits
	.p2align	6, 0x0
	.amdhsa_kernel _ZN7rocprim17ROCPRIM_400000_NS6detail17trampoline_kernelINS0_14default_configENS1_38merge_sort_block_merge_config_selectorIslEEZZNS1_27merge_sort_block_merge_implIS3_PsN6thrust23THRUST_200600_302600_NS10device_ptrIlEEjNS1_19radix_merge_compareILb0ELb1EsNS0_19identity_decomposerEEEEE10hipError_tT0_T1_T2_jT3_P12ihipStream_tbPNSt15iterator_traitsISG_E10value_typeEPNSM_ISH_E10value_typeEPSI_NS1_7vsmem_tEENKUlT_SG_SH_SI_E_clIS7_S7_SB_PlEESF_SV_SG_SH_SI_EUlSV_E1_NS1_11comp_targetILNS1_3genE9ELNS1_11target_archE1100ELNS1_3gpuE3ELNS1_3repE0EEENS1_36merge_oddeven_config_static_selectorELNS0_4arch9wavefront6targetE1EEEvSH_
		.amdhsa_group_segment_fixed_size 0
		.amdhsa_private_segment_fixed_size 0
		.amdhsa_kernarg_size 48
		.amdhsa_user_sgpr_count 6
		.amdhsa_user_sgpr_private_segment_buffer 1
		.amdhsa_user_sgpr_dispatch_ptr 0
		.amdhsa_user_sgpr_queue_ptr 0
		.amdhsa_user_sgpr_kernarg_segment_ptr 1
		.amdhsa_user_sgpr_dispatch_id 0
		.amdhsa_user_sgpr_flat_scratch_init 0
		.amdhsa_user_sgpr_private_segment_size 0
		.amdhsa_uses_dynamic_stack 0
		.amdhsa_system_sgpr_private_segment_wavefront_offset 0
		.amdhsa_system_sgpr_workgroup_id_x 1
		.amdhsa_system_sgpr_workgroup_id_y 0
		.amdhsa_system_sgpr_workgroup_id_z 0
		.amdhsa_system_sgpr_workgroup_info 0
		.amdhsa_system_vgpr_workitem_id 0
		.amdhsa_next_free_vgpr 1
		.amdhsa_next_free_sgpr 0
		.amdhsa_reserve_vcc 0
		.amdhsa_reserve_flat_scratch 0
		.amdhsa_float_round_mode_32 0
		.amdhsa_float_round_mode_16_64 0
		.amdhsa_float_denorm_mode_32 3
		.amdhsa_float_denorm_mode_16_64 3
		.amdhsa_dx10_clamp 1
		.amdhsa_ieee_mode 1
		.amdhsa_fp16_overflow 0
		.amdhsa_exception_fp_ieee_invalid_op 0
		.amdhsa_exception_fp_denorm_src 0
		.amdhsa_exception_fp_ieee_div_zero 0
		.amdhsa_exception_fp_ieee_overflow 0
		.amdhsa_exception_fp_ieee_underflow 0
		.amdhsa_exception_fp_ieee_inexact 0
		.amdhsa_exception_int_div_zero 0
	.end_amdhsa_kernel
	.section	.text._ZN7rocprim17ROCPRIM_400000_NS6detail17trampoline_kernelINS0_14default_configENS1_38merge_sort_block_merge_config_selectorIslEEZZNS1_27merge_sort_block_merge_implIS3_PsN6thrust23THRUST_200600_302600_NS10device_ptrIlEEjNS1_19radix_merge_compareILb0ELb1EsNS0_19identity_decomposerEEEEE10hipError_tT0_T1_T2_jT3_P12ihipStream_tbPNSt15iterator_traitsISG_E10value_typeEPNSM_ISH_E10value_typeEPSI_NS1_7vsmem_tEENKUlT_SG_SH_SI_E_clIS7_S7_SB_PlEESF_SV_SG_SH_SI_EUlSV_E1_NS1_11comp_targetILNS1_3genE9ELNS1_11target_archE1100ELNS1_3gpuE3ELNS1_3repE0EEENS1_36merge_oddeven_config_static_selectorELNS0_4arch9wavefront6targetE1EEEvSH_,"axG",@progbits,_ZN7rocprim17ROCPRIM_400000_NS6detail17trampoline_kernelINS0_14default_configENS1_38merge_sort_block_merge_config_selectorIslEEZZNS1_27merge_sort_block_merge_implIS3_PsN6thrust23THRUST_200600_302600_NS10device_ptrIlEEjNS1_19radix_merge_compareILb0ELb1EsNS0_19identity_decomposerEEEEE10hipError_tT0_T1_T2_jT3_P12ihipStream_tbPNSt15iterator_traitsISG_E10value_typeEPNSM_ISH_E10value_typeEPSI_NS1_7vsmem_tEENKUlT_SG_SH_SI_E_clIS7_S7_SB_PlEESF_SV_SG_SH_SI_EUlSV_E1_NS1_11comp_targetILNS1_3genE9ELNS1_11target_archE1100ELNS1_3gpuE3ELNS1_3repE0EEENS1_36merge_oddeven_config_static_selectorELNS0_4arch9wavefront6targetE1EEEvSH_,comdat
.Lfunc_end1378:
	.size	_ZN7rocprim17ROCPRIM_400000_NS6detail17trampoline_kernelINS0_14default_configENS1_38merge_sort_block_merge_config_selectorIslEEZZNS1_27merge_sort_block_merge_implIS3_PsN6thrust23THRUST_200600_302600_NS10device_ptrIlEEjNS1_19radix_merge_compareILb0ELb1EsNS0_19identity_decomposerEEEEE10hipError_tT0_T1_T2_jT3_P12ihipStream_tbPNSt15iterator_traitsISG_E10value_typeEPNSM_ISH_E10value_typeEPSI_NS1_7vsmem_tEENKUlT_SG_SH_SI_E_clIS7_S7_SB_PlEESF_SV_SG_SH_SI_EUlSV_E1_NS1_11comp_targetILNS1_3genE9ELNS1_11target_archE1100ELNS1_3gpuE3ELNS1_3repE0EEENS1_36merge_oddeven_config_static_selectorELNS0_4arch9wavefront6targetE1EEEvSH_, .Lfunc_end1378-_ZN7rocprim17ROCPRIM_400000_NS6detail17trampoline_kernelINS0_14default_configENS1_38merge_sort_block_merge_config_selectorIslEEZZNS1_27merge_sort_block_merge_implIS3_PsN6thrust23THRUST_200600_302600_NS10device_ptrIlEEjNS1_19radix_merge_compareILb0ELb1EsNS0_19identity_decomposerEEEEE10hipError_tT0_T1_T2_jT3_P12ihipStream_tbPNSt15iterator_traitsISG_E10value_typeEPNSM_ISH_E10value_typeEPSI_NS1_7vsmem_tEENKUlT_SG_SH_SI_E_clIS7_S7_SB_PlEESF_SV_SG_SH_SI_EUlSV_E1_NS1_11comp_targetILNS1_3genE9ELNS1_11target_archE1100ELNS1_3gpuE3ELNS1_3repE0EEENS1_36merge_oddeven_config_static_selectorELNS0_4arch9wavefront6targetE1EEEvSH_
                                        ; -- End function
	.set _ZN7rocprim17ROCPRIM_400000_NS6detail17trampoline_kernelINS0_14default_configENS1_38merge_sort_block_merge_config_selectorIslEEZZNS1_27merge_sort_block_merge_implIS3_PsN6thrust23THRUST_200600_302600_NS10device_ptrIlEEjNS1_19radix_merge_compareILb0ELb1EsNS0_19identity_decomposerEEEEE10hipError_tT0_T1_T2_jT3_P12ihipStream_tbPNSt15iterator_traitsISG_E10value_typeEPNSM_ISH_E10value_typeEPSI_NS1_7vsmem_tEENKUlT_SG_SH_SI_E_clIS7_S7_SB_PlEESF_SV_SG_SH_SI_EUlSV_E1_NS1_11comp_targetILNS1_3genE9ELNS1_11target_archE1100ELNS1_3gpuE3ELNS1_3repE0EEENS1_36merge_oddeven_config_static_selectorELNS0_4arch9wavefront6targetE1EEEvSH_.num_vgpr, 0
	.set _ZN7rocprim17ROCPRIM_400000_NS6detail17trampoline_kernelINS0_14default_configENS1_38merge_sort_block_merge_config_selectorIslEEZZNS1_27merge_sort_block_merge_implIS3_PsN6thrust23THRUST_200600_302600_NS10device_ptrIlEEjNS1_19radix_merge_compareILb0ELb1EsNS0_19identity_decomposerEEEEE10hipError_tT0_T1_T2_jT3_P12ihipStream_tbPNSt15iterator_traitsISG_E10value_typeEPNSM_ISH_E10value_typeEPSI_NS1_7vsmem_tEENKUlT_SG_SH_SI_E_clIS7_S7_SB_PlEESF_SV_SG_SH_SI_EUlSV_E1_NS1_11comp_targetILNS1_3genE9ELNS1_11target_archE1100ELNS1_3gpuE3ELNS1_3repE0EEENS1_36merge_oddeven_config_static_selectorELNS0_4arch9wavefront6targetE1EEEvSH_.num_agpr, 0
	.set _ZN7rocprim17ROCPRIM_400000_NS6detail17trampoline_kernelINS0_14default_configENS1_38merge_sort_block_merge_config_selectorIslEEZZNS1_27merge_sort_block_merge_implIS3_PsN6thrust23THRUST_200600_302600_NS10device_ptrIlEEjNS1_19radix_merge_compareILb0ELb1EsNS0_19identity_decomposerEEEEE10hipError_tT0_T1_T2_jT3_P12ihipStream_tbPNSt15iterator_traitsISG_E10value_typeEPNSM_ISH_E10value_typeEPSI_NS1_7vsmem_tEENKUlT_SG_SH_SI_E_clIS7_S7_SB_PlEESF_SV_SG_SH_SI_EUlSV_E1_NS1_11comp_targetILNS1_3genE9ELNS1_11target_archE1100ELNS1_3gpuE3ELNS1_3repE0EEENS1_36merge_oddeven_config_static_selectorELNS0_4arch9wavefront6targetE1EEEvSH_.numbered_sgpr, 0
	.set _ZN7rocprim17ROCPRIM_400000_NS6detail17trampoline_kernelINS0_14default_configENS1_38merge_sort_block_merge_config_selectorIslEEZZNS1_27merge_sort_block_merge_implIS3_PsN6thrust23THRUST_200600_302600_NS10device_ptrIlEEjNS1_19radix_merge_compareILb0ELb1EsNS0_19identity_decomposerEEEEE10hipError_tT0_T1_T2_jT3_P12ihipStream_tbPNSt15iterator_traitsISG_E10value_typeEPNSM_ISH_E10value_typeEPSI_NS1_7vsmem_tEENKUlT_SG_SH_SI_E_clIS7_S7_SB_PlEESF_SV_SG_SH_SI_EUlSV_E1_NS1_11comp_targetILNS1_3genE9ELNS1_11target_archE1100ELNS1_3gpuE3ELNS1_3repE0EEENS1_36merge_oddeven_config_static_selectorELNS0_4arch9wavefront6targetE1EEEvSH_.num_named_barrier, 0
	.set _ZN7rocprim17ROCPRIM_400000_NS6detail17trampoline_kernelINS0_14default_configENS1_38merge_sort_block_merge_config_selectorIslEEZZNS1_27merge_sort_block_merge_implIS3_PsN6thrust23THRUST_200600_302600_NS10device_ptrIlEEjNS1_19radix_merge_compareILb0ELb1EsNS0_19identity_decomposerEEEEE10hipError_tT0_T1_T2_jT3_P12ihipStream_tbPNSt15iterator_traitsISG_E10value_typeEPNSM_ISH_E10value_typeEPSI_NS1_7vsmem_tEENKUlT_SG_SH_SI_E_clIS7_S7_SB_PlEESF_SV_SG_SH_SI_EUlSV_E1_NS1_11comp_targetILNS1_3genE9ELNS1_11target_archE1100ELNS1_3gpuE3ELNS1_3repE0EEENS1_36merge_oddeven_config_static_selectorELNS0_4arch9wavefront6targetE1EEEvSH_.private_seg_size, 0
	.set _ZN7rocprim17ROCPRIM_400000_NS6detail17trampoline_kernelINS0_14default_configENS1_38merge_sort_block_merge_config_selectorIslEEZZNS1_27merge_sort_block_merge_implIS3_PsN6thrust23THRUST_200600_302600_NS10device_ptrIlEEjNS1_19radix_merge_compareILb0ELb1EsNS0_19identity_decomposerEEEEE10hipError_tT0_T1_T2_jT3_P12ihipStream_tbPNSt15iterator_traitsISG_E10value_typeEPNSM_ISH_E10value_typeEPSI_NS1_7vsmem_tEENKUlT_SG_SH_SI_E_clIS7_S7_SB_PlEESF_SV_SG_SH_SI_EUlSV_E1_NS1_11comp_targetILNS1_3genE9ELNS1_11target_archE1100ELNS1_3gpuE3ELNS1_3repE0EEENS1_36merge_oddeven_config_static_selectorELNS0_4arch9wavefront6targetE1EEEvSH_.uses_vcc, 0
	.set _ZN7rocprim17ROCPRIM_400000_NS6detail17trampoline_kernelINS0_14default_configENS1_38merge_sort_block_merge_config_selectorIslEEZZNS1_27merge_sort_block_merge_implIS3_PsN6thrust23THRUST_200600_302600_NS10device_ptrIlEEjNS1_19radix_merge_compareILb0ELb1EsNS0_19identity_decomposerEEEEE10hipError_tT0_T1_T2_jT3_P12ihipStream_tbPNSt15iterator_traitsISG_E10value_typeEPNSM_ISH_E10value_typeEPSI_NS1_7vsmem_tEENKUlT_SG_SH_SI_E_clIS7_S7_SB_PlEESF_SV_SG_SH_SI_EUlSV_E1_NS1_11comp_targetILNS1_3genE9ELNS1_11target_archE1100ELNS1_3gpuE3ELNS1_3repE0EEENS1_36merge_oddeven_config_static_selectorELNS0_4arch9wavefront6targetE1EEEvSH_.uses_flat_scratch, 0
	.set _ZN7rocprim17ROCPRIM_400000_NS6detail17trampoline_kernelINS0_14default_configENS1_38merge_sort_block_merge_config_selectorIslEEZZNS1_27merge_sort_block_merge_implIS3_PsN6thrust23THRUST_200600_302600_NS10device_ptrIlEEjNS1_19radix_merge_compareILb0ELb1EsNS0_19identity_decomposerEEEEE10hipError_tT0_T1_T2_jT3_P12ihipStream_tbPNSt15iterator_traitsISG_E10value_typeEPNSM_ISH_E10value_typeEPSI_NS1_7vsmem_tEENKUlT_SG_SH_SI_E_clIS7_S7_SB_PlEESF_SV_SG_SH_SI_EUlSV_E1_NS1_11comp_targetILNS1_3genE9ELNS1_11target_archE1100ELNS1_3gpuE3ELNS1_3repE0EEENS1_36merge_oddeven_config_static_selectorELNS0_4arch9wavefront6targetE1EEEvSH_.has_dyn_sized_stack, 0
	.set _ZN7rocprim17ROCPRIM_400000_NS6detail17trampoline_kernelINS0_14default_configENS1_38merge_sort_block_merge_config_selectorIslEEZZNS1_27merge_sort_block_merge_implIS3_PsN6thrust23THRUST_200600_302600_NS10device_ptrIlEEjNS1_19radix_merge_compareILb0ELb1EsNS0_19identity_decomposerEEEEE10hipError_tT0_T1_T2_jT3_P12ihipStream_tbPNSt15iterator_traitsISG_E10value_typeEPNSM_ISH_E10value_typeEPSI_NS1_7vsmem_tEENKUlT_SG_SH_SI_E_clIS7_S7_SB_PlEESF_SV_SG_SH_SI_EUlSV_E1_NS1_11comp_targetILNS1_3genE9ELNS1_11target_archE1100ELNS1_3gpuE3ELNS1_3repE0EEENS1_36merge_oddeven_config_static_selectorELNS0_4arch9wavefront6targetE1EEEvSH_.has_recursion, 0
	.set _ZN7rocprim17ROCPRIM_400000_NS6detail17trampoline_kernelINS0_14default_configENS1_38merge_sort_block_merge_config_selectorIslEEZZNS1_27merge_sort_block_merge_implIS3_PsN6thrust23THRUST_200600_302600_NS10device_ptrIlEEjNS1_19radix_merge_compareILb0ELb1EsNS0_19identity_decomposerEEEEE10hipError_tT0_T1_T2_jT3_P12ihipStream_tbPNSt15iterator_traitsISG_E10value_typeEPNSM_ISH_E10value_typeEPSI_NS1_7vsmem_tEENKUlT_SG_SH_SI_E_clIS7_S7_SB_PlEESF_SV_SG_SH_SI_EUlSV_E1_NS1_11comp_targetILNS1_3genE9ELNS1_11target_archE1100ELNS1_3gpuE3ELNS1_3repE0EEENS1_36merge_oddeven_config_static_selectorELNS0_4arch9wavefront6targetE1EEEvSH_.has_indirect_call, 0
	.section	.AMDGPU.csdata,"",@progbits
; Kernel info:
; codeLenInByte = 0
; TotalNumSgprs: 4
; NumVgprs: 0
; ScratchSize: 0
; MemoryBound: 0
; FloatMode: 240
; IeeeMode: 1
; LDSByteSize: 0 bytes/workgroup (compile time only)
; SGPRBlocks: 0
; VGPRBlocks: 0
; NumSGPRsForWavesPerEU: 4
; NumVGPRsForWavesPerEU: 1
; Occupancy: 10
; WaveLimiterHint : 0
; COMPUTE_PGM_RSRC2:SCRATCH_EN: 0
; COMPUTE_PGM_RSRC2:USER_SGPR: 6
; COMPUTE_PGM_RSRC2:TRAP_HANDLER: 0
; COMPUTE_PGM_RSRC2:TGID_X_EN: 1
; COMPUTE_PGM_RSRC2:TGID_Y_EN: 0
; COMPUTE_PGM_RSRC2:TGID_Z_EN: 0
; COMPUTE_PGM_RSRC2:TIDIG_COMP_CNT: 0
	.section	.text._ZN7rocprim17ROCPRIM_400000_NS6detail17trampoline_kernelINS0_14default_configENS1_38merge_sort_block_merge_config_selectorIslEEZZNS1_27merge_sort_block_merge_implIS3_PsN6thrust23THRUST_200600_302600_NS10device_ptrIlEEjNS1_19radix_merge_compareILb0ELb1EsNS0_19identity_decomposerEEEEE10hipError_tT0_T1_T2_jT3_P12ihipStream_tbPNSt15iterator_traitsISG_E10value_typeEPNSM_ISH_E10value_typeEPSI_NS1_7vsmem_tEENKUlT_SG_SH_SI_E_clIS7_S7_SB_PlEESF_SV_SG_SH_SI_EUlSV_E1_NS1_11comp_targetILNS1_3genE8ELNS1_11target_archE1030ELNS1_3gpuE2ELNS1_3repE0EEENS1_36merge_oddeven_config_static_selectorELNS0_4arch9wavefront6targetE1EEEvSH_,"axG",@progbits,_ZN7rocprim17ROCPRIM_400000_NS6detail17trampoline_kernelINS0_14default_configENS1_38merge_sort_block_merge_config_selectorIslEEZZNS1_27merge_sort_block_merge_implIS3_PsN6thrust23THRUST_200600_302600_NS10device_ptrIlEEjNS1_19radix_merge_compareILb0ELb1EsNS0_19identity_decomposerEEEEE10hipError_tT0_T1_T2_jT3_P12ihipStream_tbPNSt15iterator_traitsISG_E10value_typeEPNSM_ISH_E10value_typeEPSI_NS1_7vsmem_tEENKUlT_SG_SH_SI_E_clIS7_S7_SB_PlEESF_SV_SG_SH_SI_EUlSV_E1_NS1_11comp_targetILNS1_3genE8ELNS1_11target_archE1030ELNS1_3gpuE2ELNS1_3repE0EEENS1_36merge_oddeven_config_static_selectorELNS0_4arch9wavefront6targetE1EEEvSH_,comdat
	.protected	_ZN7rocprim17ROCPRIM_400000_NS6detail17trampoline_kernelINS0_14default_configENS1_38merge_sort_block_merge_config_selectorIslEEZZNS1_27merge_sort_block_merge_implIS3_PsN6thrust23THRUST_200600_302600_NS10device_ptrIlEEjNS1_19radix_merge_compareILb0ELb1EsNS0_19identity_decomposerEEEEE10hipError_tT0_T1_T2_jT3_P12ihipStream_tbPNSt15iterator_traitsISG_E10value_typeEPNSM_ISH_E10value_typeEPSI_NS1_7vsmem_tEENKUlT_SG_SH_SI_E_clIS7_S7_SB_PlEESF_SV_SG_SH_SI_EUlSV_E1_NS1_11comp_targetILNS1_3genE8ELNS1_11target_archE1030ELNS1_3gpuE2ELNS1_3repE0EEENS1_36merge_oddeven_config_static_selectorELNS0_4arch9wavefront6targetE1EEEvSH_ ; -- Begin function _ZN7rocprim17ROCPRIM_400000_NS6detail17trampoline_kernelINS0_14default_configENS1_38merge_sort_block_merge_config_selectorIslEEZZNS1_27merge_sort_block_merge_implIS3_PsN6thrust23THRUST_200600_302600_NS10device_ptrIlEEjNS1_19radix_merge_compareILb0ELb1EsNS0_19identity_decomposerEEEEE10hipError_tT0_T1_T2_jT3_P12ihipStream_tbPNSt15iterator_traitsISG_E10value_typeEPNSM_ISH_E10value_typeEPSI_NS1_7vsmem_tEENKUlT_SG_SH_SI_E_clIS7_S7_SB_PlEESF_SV_SG_SH_SI_EUlSV_E1_NS1_11comp_targetILNS1_3genE8ELNS1_11target_archE1030ELNS1_3gpuE2ELNS1_3repE0EEENS1_36merge_oddeven_config_static_selectorELNS0_4arch9wavefront6targetE1EEEvSH_
	.globl	_ZN7rocprim17ROCPRIM_400000_NS6detail17trampoline_kernelINS0_14default_configENS1_38merge_sort_block_merge_config_selectorIslEEZZNS1_27merge_sort_block_merge_implIS3_PsN6thrust23THRUST_200600_302600_NS10device_ptrIlEEjNS1_19radix_merge_compareILb0ELb1EsNS0_19identity_decomposerEEEEE10hipError_tT0_T1_T2_jT3_P12ihipStream_tbPNSt15iterator_traitsISG_E10value_typeEPNSM_ISH_E10value_typeEPSI_NS1_7vsmem_tEENKUlT_SG_SH_SI_E_clIS7_S7_SB_PlEESF_SV_SG_SH_SI_EUlSV_E1_NS1_11comp_targetILNS1_3genE8ELNS1_11target_archE1030ELNS1_3gpuE2ELNS1_3repE0EEENS1_36merge_oddeven_config_static_selectorELNS0_4arch9wavefront6targetE1EEEvSH_
	.p2align	8
	.type	_ZN7rocprim17ROCPRIM_400000_NS6detail17trampoline_kernelINS0_14default_configENS1_38merge_sort_block_merge_config_selectorIslEEZZNS1_27merge_sort_block_merge_implIS3_PsN6thrust23THRUST_200600_302600_NS10device_ptrIlEEjNS1_19radix_merge_compareILb0ELb1EsNS0_19identity_decomposerEEEEE10hipError_tT0_T1_T2_jT3_P12ihipStream_tbPNSt15iterator_traitsISG_E10value_typeEPNSM_ISH_E10value_typeEPSI_NS1_7vsmem_tEENKUlT_SG_SH_SI_E_clIS7_S7_SB_PlEESF_SV_SG_SH_SI_EUlSV_E1_NS1_11comp_targetILNS1_3genE8ELNS1_11target_archE1030ELNS1_3gpuE2ELNS1_3repE0EEENS1_36merge_oddeven_config_static_selectorELNS0_4arch9wavefront6targetE1EEEvSH_,@function
_ZN7rocprim17ROCPRIM_400000_NS6detail17trampoline_kernelINS0_14default_configENS1_38merge_sort_block_merge_config_selectorIslEEZZNS1_27merge_sort_block_merge_implIS3_PsN6thrust23THRUST_200600_302600_NS10device_ptrIlEEjNS1_19radix_merge_compareILb0ELb1EsNS0_19identity_decomposerEEEEE10hipError_tT0_T1_T2_jT3_P12ihipStream_tbPNSt15iterator_traitsISG_E10value_typeEPNSM_ISH_E10value_typeEPSI_NS1_7vsmem_tEENKUlT_SG_SH_SI_E_clIS7_S7_SB_PlEESF_SV_SG_SH_SI_EUlSV_E1_NS1_11comp_targetILNS1_3genE8ELNS1_11target_archE1030ELNS1_3gpuE2ELNS1_3repE0EEENS1_36merge_oddeven_config_static_selectorELNS0_4arch9wavefront6targetE1EEEvSH_: ; @_ZN7rocprim17ROCPRIM_400000_NS6detail17trampoline_kernelINS0_14default_configENS1_38merge_sort_block_merge_config_selectorIslEEZZNS1_27merge_sort_block_merge_implIS3_PsN6thrust23THRUST_200600_302600_NS10device_ptrIlEEjNS1_19radix_merge_compareILb0ELb1EsNS0_19identity_decomposerEEEEE10hipError_tT0_T1_T2_jT3_P12ihipStream_tbPNSt15iterator_traitsISG_E10value_typeEPNSM_ISH_E10value_typeEPSI_NS1_7vsmem_tEENKUlT_SG_SH_SI_E_clIS7_S7_SB_PlEESF_SV_SG_SH_SI_EUlSV_E1_NS1_11comp_targetILNS1_3genE8ELNS1_11target_archE1030ELNS1_3gpuE2ELNS1_3repE0EEENS1_36merge_oddeven_config_static_selectorELNS0_4arch9wavefront6targetE1EEEvSH_
; %bb.0:
	.section	.rodata,"a",@progbits
	.p2align	6, 0x0
	.amdhsa_kernel _ZN7rocprim17ROCPRIM_400000_NS6detail17trampoline_kernelINS0_14default_configENS1_38merge_sort_block_merge_config_selectorIslEEZZNS1_27merge_sort_block_merge_implIS3_PsN6thrust23THRUST_200600_302600_NS10device_ptrIlEEjNS1_19radix_merge_compareILb0ELb1EsNS0_19identity_decomposerEEEEE10hipError_tT0_T1_T2_jT3_P12ihipStream_tbPNSt15iterator_traitsISG_E10value_typeEPNSM_ISH_E10value_typeEPSI_NS1_7vsmem_tEENKUlT_SG_SH_SI_E_clIS7_S7_SB_PlEESF_SV_SG_SH_SI_EUlSV_E1_NS1_11comp_targetILNS1_3genE8ELNS1_11target_archE1030ELNS1_3gpuE2ELNS1_3repE0EEENS1_36merge_oddeven_config_static_selectorELNS0_4arch9wavefront6targetE1EEEvSH_
		.amdhsa_group_segment_fixed_size 0
		.amdhsa_private_segment_fixed_size 0
		.amdhsa_kernarg_size 48
		.amdhsa_user_sgpr_count 6
		.amdhsa_user_sgpr_private_segment_buffer 1
		.amdhsa_user_sgpr_dispatch_ptr 0
		.amdhsa_user_sgpr_queue_ptr 0
		.amdhsa_user_sgpr_kernarg_segment_ptr 1
		.amdhsa_user_sgpr_dispatch_id 0
		.amdhsa_user_sgpr_flat_scratch_init 0
		.amdhsa_user_sgpr_private_segment_size 0
		.amdhsa_uses_dynamic_stack 0
		.amdhsa_system_sgpr_private_segment_wavefront_offset 0
		.amdhsa_system_sgpr_workgroup_id_x 1
		.amdhsa_system_sgpr_workgroup_id_y 0
		.amdhsa_system_sgpr_workgroup_id_z 0
		.amdhsa_system_sgpr_workgroup_info 0
		.amdhsa_system_vgpr_workitem_id 0
		.amdhsa_next_free_vgpr 1
		.amdhsa_next_free_sgpr 0
		.amdhsa_reserve_vcc 0
		.amdhsa_reserve_flat_scratch 0
		.amdhsa_float_round_mode_32 0
		.amdhsa_float_round_mode_16_64 0
		.amdhsa_float_denorm_mode_32 3
		.amdhsa_float_denorm_mode_16_64 3
		.amdhsa_dx10_clamp 1
		.amdhsa_ieee_mode 1
		.amdhsa_fp16_overflow 0
		.amdhsa_exception_fp_ieee_invalid_op 0
		.amdhsa_exception_fp_denorm_src 0
		.amdhsa_exception_fp_ieee_div_zero 0
		.amdhsa_exception_fp_ieee_overflow 0
		.amdhsa_exception_fp_ieee_underflow 0
		.amdhsa_exception_fp_ieee_inexact 0
		.amdhsa_exception_int_div_zero 0
	.end_amdhsa_kernel
	.section	.text._ZN7rocprim17ROCPRIM_400000_NS6detail17trampoline_kernelINS0_14default_configENS1_38merge_sort_block_merge_config_selectorIslEEZZNS1_27merge_sort_block_merge_implIS3_PsN6thrust23THRUST_200600_302600_NS10device_ptrIlEEjNS1_19radix_merge_compareILb0ELb1EsNS0_19identity_decomposerEEEEE10hipError_tT0_T1_T2_jT3_P12ihipStream_tbPNSt15iterator_traitsISG_E10value_typeEPNSM_ISH_E10value_typeEPSI_NS1_7vsmem_tEENKUlT_SG_SH_SI_E_clIS7_S7_SB_PlEESF_SV_SG_SH_SI_EUlSV_E1_NS1_11comp_targetILNS1_3genE8ELNS1_11target_archE1030ELNS1_3gpuE2ELNS1_3repE0EEENS1_36merge_oddeven_config_static_selectorELNS0_4arch9wavefront6targetE1EEEvSH_,"axG",@progbits,_ZN7rocprim17ROCPRIM_400000_NS6detail17trampoline_kernelINS0_14default_configENS1_38merge_sort_block_merge_config_selectorIslEEZZNS1_27merge_sort_block_merge_implIS3_PsN6thrust23THRUST_200600_302600_NS10device_ptrIlEEjNS1_19radix_merge_compareILb0ELb1EsNS0_19identity_decomposerEEEEE10hipError_tT0_T1_T2_jT3_P12ihipStream_tbPNSt15iterator_traitsISG_E10value_typeEPNSM_ISH_E10value_typeEPSI_NS1_7vsmem_tEENKUlT_SG_SH_SI_E_clIS7_S7_SB_PlEESF_SV_SG_SH_SI_EUlSV_E1_NS1_11comp_targetILNS1_3genE8ELNS1_11target_archE1030ELNS1_3gpuE2ELNS1_3repE0EEENS1_36merge_oddeven_config_static_selectorELNS0_4arch9wavefront6targetE1EEEvSH_,comdat
.Lfunc_end1379:
	.size	_ZN7rocprim17ROCPRIM_400000_NS6detail17trampoline_kernelINS0_14default_configENS1_38merge_sort_block_merge_config_selectorIslEEZZNS1_27merge_sort_block_merge_implIS3_PsN6thrust23THRUST_200600_302600_NS10device_ptrIlEEjNS1_19radix_merge_compareILb0ELb1EsNS0_19identity_decomposerEEEEE10hipError_tT0_T1_T2_jT3_P12ihipStream_tbPNSt15iterator_traitsISG_E10value_typeEPNSM_ISH_E10value_typeEPSI_NS1_7vsmem_tEENKUlT_SG_SH_SI_E_clIS7_S7_SB_PlEESF_SV_SG_SH_SI_EUlSV_E1_NS1_11comp_targetILNS1_3genE8ELNS1_11target_archE1030ELNS1_3gpuE2ELNS1_3repE0EEENS1_36merge_oddeven_config_static_selectorELNS0_4arch9wavefront6targetE1EEEvSH_, .Lfunc_end1379-_ZN7rocprim17ROCPRIM_400000_NS6detail17trampoline_kernelINS0_14default_configENS1_38merge_sort_block_merge_config_selectorIslEEZZNS1_27merge_sort_block_merge_implIS3_PsN6thrust23THRUST_200600_302600_NS10device_ptrIlEEjNS1_19radix_merge_compareILb0ELb1EsNS0_19identity_decomposerEEEEE10hipError_tT0_T1_T2_jT3_P12ihipStream_tbPNSt15iterator_traitsISG_E10value_typeEPNSM_ISH_E10value_typeEPSI_NS1_7vsmem_tEENKUlT_SG_SH_SI_E_clIS7_S7_SB_PlEESF_SV_SG_SH_SI_EUlSV_E1_NS1_11comp_targetILNS1_3genE8ELNS1_11target_archE1030ELNS1_3gpuE2ELNS1_3repE0EEENS1_36merge_oddeven_config_static_selectorELNS0_4arch9wavefront6targetE1EEEvSH_
                                        ; -- End function
	.set _ZN7rocprim17ROCPRIM_400000_NS6detail17trampoline_kernelINS0_14default_configENS1_38merge_sort_block_merge_config_selectorIslEEZZNS1_27merge_sort_block_merge_implIS3_PsN6thrust23THRUST_200600_302600_NS10device_ptrIlEEjNS1_19radix_merge_compareILb0ELb1EsNS0_19identity_decomposerEEEEE10hipError_tT0_T1_T2_jT3_P12ihipStream_tbPNSt15iterator_traitsISG_E10value_typeEPNSM_ISH_E10value_typeEPSI_NS1_7vsmem_tEENKUlT_SG_SH_SI_E_clIS7_S7_SB_PlEESF_SV_SG_SH_SI_EUlSV_E1_NS1_11comp_targetILNS1_3genE8ELNS1_11target_archE1030ELNS1_3gpuE2ELNS1_3repE0EEENS1_36merge_oddeven_config_static_selectorELNS0_4arch9wavefront6targetE1EEEvSH_.num_vgpr, 0
	.set _ZN7rocprim17ROCPRIM_400000_NS6detail17trampoline_kernelINS0_14default_configENS1_38merge_sort_block_merge_config_selectorIslEEZZNS1_27merge_sort_block_merge_implIS3_PsN6thrust23THRUST_200600_302600_NS10device_ptrIlEEjNS1_19radix_merge_compareILb0ELb1EsNS0_19identity_decomposerEEEEE10hipError_tT0_T1_T2_jT3_P12ihipStream_tbPNSt15iterator_traitsISG_E10value_typeEPNSM_ISH_E10value_typeEPSI_NS1_7vsmem_tEENKUlT_SG_SH_SI_E_clIS7_S7_SB_PlEESF_SV_SG_SH_SI_EUlSV_E1_NS1_11comp_targetILNS1_3genE8ELNS1_11target_archE1030ELNS1_3gpuE2ELNS1_3repE0EEENS1_36merge_oddeven_config_static_selectorELNS0_4arch9wavefront6targetE1EEEvSH_.num_agpr, 0
	.set _ZN7rocprim17ROCPRIM_400000_NS6detail17trampoline_kernelINS0_14default_configENS1_38merge_sort_block_merge_config_selectorIslEEZZNS1_27merge_sort_block_merge_implIS3_PsN6thrust23THRUST_200600_302600_NS10device_ptrIlEEjNS1_19radix_merge_compareILb0ELb1EsNS0_19identity_decomposerEEEEE10hipError_tT0_T1_T2_jT3_P12ihipStream_tbPNSt15iterator_traitsISG_E10value_typeEPNSM_ISH_E10value_typeEPSI_NS1_7vsmem_tEENKUlT_SG_SH_SI_E_clIS7_S7_SB_PlEESF_SV_SG_SH_SI_EUlSV_E1_NS1_11comp_targetILNS1_3genE8ELNS1_11target_archE1030ELNS1_3gpuE2ELNS1_3repE0EEENS1_36merge_oddeven_config_static_selectorELNS0_4arch9wavefront6targetE1EEEvSH_.numbered_sgpr, 0
	.set _ZN7rocprim17ROCPRIM_400000_NS6detail17trampoline_kernelINS0_14default_configENS1_38merge_sort_block_merge_config_selectorIslEEZZNS1_27merge_sort_block_merge_implIS3_PsN6thrust23THRUST_200600_302600_NS10device_ptrIlEEjNS1_19radix_merge_compareILb0ELb1EsNS0_19identity_decomposerEEEEE10hipError_tT0_T1_T2_jT3_P12ihipStream_tbPNSt15iterator_traitsISG_E10value_typeEPNSM_ISH_E10value_typeEPSI_NS1_7vsmem_tEENKUlT_SG_SH_SI_E_clIS7_S7_SB_PlEESF_SV_SG_SH_SI_EUlSV_E1_NS1_11comp_targetILNS1_3genE8ELNS1_11target_archE1030ELNS1_3gpuE2ELNS1_3repE0EEENS1_36merge_oddeven_config_static_selectorELNS0_4arch9wavefront6targetE1EEEvSH_.num_named_barrier, 0
	.set _ZN7rocprim17ROCPRIM_400000_NS6detail17trampoline_kernelINS0_14default_configENS1_38merge_sort_block_merge_config_selectorIslEEZZNS1_27merge_sort_block_merge_implIS3_PsN6thrust23THRUST_200600_302600_NS10device_ptrIlEEjNS1_19radix_merge_compareILb0ELb1EsNS0_19identity_decomposerEEEEE10hipError_tT0_T1_T2_jT3_P12ihipStream_tbPNSt15iterator_traitsISG_E10value_typeEPNSM_ISH_E10value_typeEPSI_NS1_7vsmem_tEENKUlT_SG_SH_SI_E_clIS7_S7_SB_PlEESF_SV_SG_SH_SI_EUlSV_E1_NS1_11comp_targetILNS1_3genE8ELNS1_11target_archE1030ELNS1_3gpuE2ELNS1_3repE0EEENS1_36merge_oddeven_config_static_selectorELNS0_4arch9wavefront6targetE1EEEvSH_.private_seg_size, 0
	.set _ZN7rocprim17ROCPRIM_400000_NS6detail17trampoline_kernelINS0_14default_configENS1_38merge_sort_block_merge_config_selectorIslEEZZNS1_27merge_sort_block_merge_implIS3_PsN6thrust23THRUST_200600_302600_NS10device_ptrIlEEjNS1_19radix_merge_compareILb0ELb1EsNS0_19identity_decomposerEEEEE10hipError_tT0_T1_T2_jT3_P12ihipStream_tbPNSt15iterator_traitsISG_E10value_typeEPNSM_ISH_E10value_typeEPSI_NS1_7vsmem_tEENKUlT_SG_SH_SI_E_clIS7_S7_SB_PlEESF_SV_SG_SH_SI_EUlSV_E1_NS1_11comp_targetILNS1_3genE8ELNS1_11target_archE1030ELNS1_3gpuE2ELNS1_3repE0EEENS1_36merge_oddeven_config_static_selectorELNS0_4arch9wavefront6targetE1EEEvSH_.uses_vcc, 0
	.set _ZN7rocprim17ROCPRIM_400000_NS6detail17trampoline_kernelINS0_14default_configENS1_38merge_sort_block_merge_config_selectorIslEEZZNS1_27merge_sort_block_merge_implIS3_PsN6thrust23THRUST_200600_302600_NS10device_ptrIlEEjNS1_19radix_merge_compareILb0ELb1EsNS0_19identity_decomposerEEEEE10hipError_tT0_T1_T2_jT3_P12ihipStream_tbPNSt15iterator_traitsISG_E10value_typeEPNSM_ISH_E10value_typeEPSI_NS1_7vsmem_tEENKUlT_SG_SH_SI_E_clIS7_S7_SB_PlEESF_SV_SG_SH_SI_EUlSV_E1_NS1_11comp_targetILNS1_3genE8ELNS1_11target_archE1030ELNS1_3gpuE2ELNS1_3repE0EEENS1_36merge_oddeven_config_static_selectorELNS0_4arch9wavefront6targetE1EEEvSH_.uses_flat_scratch, 0
	.set _ZN7rocprim17ROCPRIM_400000_NS6detail17trampoline_kernelINS0_14default_configENS1_38merge_sort_block_merge_config_selectorIslEEZZNS1_27merge_sort_block_merge_implIS3_PsN6thrust23THRUST_200600_302600_NS10device_ptrIlEEjNS1_19radix_merge_compareILb0ELb1EsNS0_19identity_decomposerEEEEE10hipError_tT0_T1_T2_jT3_P12ihipStream_tbPNSt15iterator_traitsISG_E10value_typeEPNSM_ISH_E10value_typeEPSI_NS1_7vsmem_tEENKUlT_SG_SH_SI_E_clIS7_S7_SB_PlEESF_SV_SG_SH_SI_EUlSV_E1_NS1_11comp_targetILNS1_3genE8ELNS1_11target_archE1030ELNS1_3gpuE2ELNS1_3repE0EEENS1_36merge_oddeven_config_static_selectorELNS0_4arch9wavefront6targetE1EEEvSH_.has_dyn_sized_stack, 0
	.set _ZN7rocprim17ROCPRIM_400000_NS6detail17trampoline_kernelINS0_14default_configENS1_38merge_sort_block_merge_config_selectorIslEEZZNS1_27merge_sort_block_merge_implIS3_PsN6thrust23THRUST_200600_302600_NS10device_ptrIlEEjNS1_19radix_merge_compareILb0ELb1EsNS0_19identity_decomposerEEEEE10hipError_tT0_T1_T2_jT3_P12ihipStream_tbPNSt15iterator_traitsISG_E10value_typeEPNSM_ISH_E10value_typeEPSI_NS1_7vsmem_tEENKUlT_SG_SH_SI_E_clIS7_S7_SB_PlEESF_SV_SG_SH_SI_EUlSV_E1_NS1_11comp_targetILNS1_3genE8ELNS1_11target_archE1030ELNS1_3gpuE2ELNS1_3repE0EEENS1_36merge_oddeven_config_static_selectorELNS0_4arch9wavefront6targetE1EEEvSH_.has_recursion, 0
	.set _ZN7rocprim17ROCPRIM_400000_NS6detail17trampoline_kernelINS0_14default_configENS1_38merge_sort_block_merge_config_selectorIslEEZZNS1_27merge_sort_block_merge_implIS3_PsN6thrust23THRUST_200600_302600_NS10device_ptrIlEEjNS1_19radix_merge_compareILb0ELb1EsNS0_19identity_decomposerEEEEE10hipError_tT0_T1_T2_jT3_P12ihipStream_tbPNSt15iterator_traitsISG_E10value_typeEPNSM_ISH_E10value_typeEPSI_NS1_7vsmem_tEENKUlT_SG_SH_SI_E_clIS7_S7_SB_PlEESF_SV_SG_SH_SI_EUlSV_E1_NS1_11comp_targetILNS1_3genE8ELNS1_11target_archE1030ELNS1_3gpuE2ELNS1_3repE0EEENS1_36merge_oddeven_config_static_selectorELNS0_4arch9wavefront6targetE1EEEvSH_.has_indirect_call, 0
	.section	.AMDGPU.csdata,"",@progbits
; Kernel info:
; codeLenInByte = 0
; TotalNumSgprs: 4
; NumVgprs: 0
; ScratchSize: 0
; MemoryBound: 0
; FloatMode: 240
; IeeeMode: 1
; LDSByteSize: 0 bytes/workgroup (compile time only)
; SGPRBlocks: 0
; VGPRBlocks: 0
; NumSGPRsForWavesPerEU: 4
; NumVGPRsForWavesPerEU: 1
; Occupancy: 10
; WaveLimiterHint : 0
; COMPUTE_PGM_RSRC2:SCRATCH_EN: 0
; COMPUTE_PGM_RSRC2:USER_SGPR: 6
; COMPUTE_PGM_RSRC2:TRAP_HANDLER: 0
; COMPUTE_PGM_RSRC2:TGID_X_EN: 1
; COMPUTE_PGM_RSRC2:TGID_Y_EN: 0
; COMPUTE_PGM_RSRC2:TGID_Z_EN: 0
; COMPUTE_PGM_RSRC2:TIDIG_COMP_CNT: 0
	.section	.text._ZN7rocprim17ROCPRIM_400000_NS6detail17trampoline_kernelINS0_14default_configENS1_35radix_sort_onesweep_config_selectorIslEEZNS1_34radix_sort_onesweep_global_offsetsIS3_Lb0EPsN6thrust23THRUST_200600_302600_NS10device_ptrIlEEjNS0_19identity_decomposerEEE10hipError_tT1_T2_PT3_SG_jT4_jjP12ihipStream_tbEUlT_E_NS1_11comp_targetILNS1_3genE0ELNS1_11target_archE4294967295ELNS1_3gpuE0ELNS1_3repE0EEENS1_52radix_sort_onesweep_histogram_config_static_selectorELNS0_4arch9wavefront6targetE1EEEvSE_,"axG",@progbits,_ZN7rocprim17ROCPRIM_400000_NS6detail17trampoline_kernelINS0_14default_configENS1_35radix_sort_onesweep_config_selectorIslEEZNS1_34radix_sort_onesweep_global_offsetsIS3_Lb0EPsN6thrust23THRUST_200600_302600_NS10device_ptrIlEEjNS0_19identity_decomposerEEE10hipError_tT1_T2_PT3_SG_jT4_jjP12ihipStream_tbEUlT_E_NS1_11comp_targetILNS1_3genE0ELNS1_11target_archE4294967295ELNS1_3gpuE0ELNS1_3repE0EEENS1_52radix_sort_onesweep_histogram_config_static_selectorELNS0_4arch9wavefront6targetE1EEEvSE_,comdat
	.protected	_ZN7rocprim17ROCPRIM_400000_NS6detail17trampoline_kernelINS0_14default_configENS1_35radix_sort_onesweep_config_selectorIslEEZNS1_34radix_sort_onesweep_global_offsetsIS3_Lb0EPsN6thrust23THRUST_200600_302600_NS10device_ptrIlEEjNS0_19identity_decomposerEEE10hipError_tT1_T2_PT3_SG_jT4_jjP12ihipStream_tbEUlT_E_NS1_11comp_targetILNS1_3genE0ELNS1_11target_archE4294967295ELNS1_3gpuE0ELNS1_3repE0EEENS1_52radix_sort_onesweep_histogram_config_static_selectorELNS0_4arch9wavefront6targetE1EEEvSE_ ; -- Begin function _ZN7rocprim17ROCPRIM_400000_NS6detail17trampoline_kernelINS0_14default_configENS1_35radix_sort_onesweep_config_selectorIslEEZNS1_34radix_sort_onesweep_global_offsetsIS3_Lb0EPsN6thrust23THRUST_200600_302600_NS10device_ptrIlEEjNS0_19identity_decomposerEEE10hipError_tT1_T2_PT3_SG_jT4_jjP12ihipStream_tbEUlT_E_NS1_11comp_targetILNS1_3genE0ELNS1_11target_archE4294967295ELNS1_3gpuE0ELNS1_3repE0EEENS1_52radix_sort_onesweep_histogram_config_static_selectorELNS0_4arch9wavefront6targetE1EEEvSE_
	.globl	_ZN7rocprim17ROCPRIM_400000_NS6detail17trampoline_kernelINS0_14default_configENS1_35radix_sort_onesweep_config_selectorIslEEZNS1_34radix_sort_onesweep_global_offsetsIS3_Lb0EPsN6thrust23THRUST_200600_302600_NS10device_ptrIlEEjNS0_19identity_decomposerEEE10hipError_tT1_T2_PT3_SG_jT4_jjP12ihipStream_tbEUlT_E_NS1_11comp_targetILNS1_3genE0ELNS1_11target_archE4294967295ELNS1_3gpuE0ELNS1_3repE0EEENS1_52radix_sort_onesweep_histogram_config_static_selectorELNS0_4arch9wavefront6targetE1EEEvSE_
	.p2align	8
	.type	_ZN7rocprim17ROCPRIM_400000_NS6detail17trampoline_kernelINS0_14default_configENS1_35radix_sort_onesweep_config_selectorIslEEZNS1_34radix_sort_onesweep_global_offsetsIS3_Lb0EPsN6thrust23THRUST_200600_302600_NS10device_ptrIlEEjNS0_19identity_decomposerEEE10hipError_tT1_T2_PT3_SG_jT4_jjP12ihipStream_tbEUlT_E_NS1_11comp_targetILNS1_3genE0ELNS1_11target_archE4294967295ELNS1_3gpuE0ELNS1_3repE0EEENS1_52radix_sort_onesweep_histogram_config_static_selectorELNS0_4arch9wavefront6targetE1EEEvSE_,@function
_ZN7rocprim17ROCPRIM_400000_NS6detail17trampoline_kernelINS0_14default_configENS1_35radix_sort_onesweep_config_selectorIslEEZNS1_34radix_sort_onesweep_global_offsetsIS3_Lb0EPsN6thrust23THRUST_200600_302600_NS10device_ptrIlEEjNS0_19identity_decomposerEEE10hipError_tT1_T2_PT3_SG_jT4_jjP12ihipStream_tbEUlT_E_NS1_11comp_targetILNS1_3genE0ELNS1_11target_archE4294967295ELNS1_3gpuE0ELNS1_3repE0EEENS1_52radix_sort_onesweep_histogram_config_static_selectorELNS0_4arch9wavefront6targetE1EEEvSE_: ; @_ZN7rocprim17ROCPRIM_400000_NS6detail17trampoline_kernelINS0_14default_configENS1_35radix_sort_onesweep_config_selectorIslEEZNS1_34radix_sort_onesweep_global_offsetsIS3_Lb0EPsN6thrust23THRUST_200600_302600_NS10device_ptrIlEEjNS0_19identity_decomposerEEE10hipError_tT1_T2_PT3_SG_jT4_jjP12ihipStream_tbEUlT_E_NS1_11comp_targetILNS1_3genE0ELNS1_11target_archE4294967295ELNS1_3gpuE0ELNS1_3repE0EEENS1_52radix_sort_onesweep_histogram_config_static_selectorELNS0_4arch9wavefront6targetE1EEEvSE_
; %bb.0:
	.section	.rodata,"a",@progbits
	.p2align	6, 0x0
	.amdhsa_kernel _ZN7rocprim17ROCPRIM_400000_NS6detail17trampoline_kernelINS0_14default_configENS1_35radix_sort_onesweep_config_selectorIslEEZNS1_34radix_sort_onesweep_global_offsetsIS3_Lb0EPsN6thrust23THRUST_200600_302600_NS10device_ptrIlEEjNS0_19identity_decomposerEEE10hipError_tT1_T2_PT3_SG_jT4_jjP12ihipStream_tbEUlT_E_NS1_11comp_targetILNS1_3genE0ELNS1_11target_archE4294967295ELNS1_3gpuE0ELNS1_3repE0EEENS1_52radix_sort_onesweep_histogram_config_static_selectorELNS0_4arch9wavefront6targetE1EEEvSE_
		.amdhsa_group_segment_fixed_size 0
		.amdhsa_private_segment_fixed_size 0
		.amdhsa_kernarg_size 40
		.amdhsa_user_sgpr_count 6
		.amdhsa_user_sgpr_private_segment_buffer 1
		.amdhsa_user_sgpr_dispatch_ptr 0
		.amdhsa_user_sgpr_queue_ptr 0
		.amdhsa_user_sgpr_kernarg_segment_ptr 1
		.amdhsa_user_sgpr_dispatch_id 0
		.amdhsa_user_sgpr_flat_scratch_init 0
		.amdhsa_user_sgpr_private_segment_size 0
		.amdhsa_uses_dynamic_stack 0
		.amdhsa_system_sgpr_private_segment_wavefront_offset 0
		.amdhsa_system_sgpr_workgroup_id_x 1
		.amdhsa_system_sgpr_workgroup_id_y 0
		.amdhsa_system_sgpr_workgroup_id_z 0
		.amdhsa_system_sgpr_workgroup_info 0
		.amdhsa_system_vgpr_workitem_id 0
		.amdhsa_next_free_vgpr 1
		.amdhsa_next_free_sgpr 0
		.amdhsa_reserve_vcc 0
		.amdhsa_reserve_flat_scratch 0
		.amdhsa_float_round_mode_32 0
		.amdhsa_float_round_mode_16_64 0
		.amdhsa_float_denorm_mode_32 3
		.amdhsa_float_denorm_mode_16_64 3
		.amdhsa_dx10_clamp 1
		.amdhsa_ieee_mode 1
		.amdhsa_fp16_overflow 0
		.amdhsa_exception_fp_ieee_invalid_op 0
		.amdhsa_exception_fp_denorm_src 0
		.amdhsa_exception_fp_ieee_div_zero 0
		.amdhsa_exception_fp_ieee_overflow 0
		.amdhsa_exception_fp_ieee_underflow 0
		.amdhsa_exception_fp_ieee_inexact 0
		.amdhsa_exception_int_div_zero 0
	.end_amdhsa_kernel
	.section	.text._ZN7rocprim17ROCPRIM_400000_NS6detail17trampoline_kernelINS0_14default_configENS1_35radix_sort_onesweep_config_selectorIslEEZNS1_34radix_sort_onesweep_global_offsetsIS3_Lb0EPsN6thrust23THRUST_200600_302600_NS10device_ptrIlEEjNS0_19identity_decomposerEEE10hipError_tT1_T2_PT3_SG_jT4_jjP12ihipStream_tbEUlT_E_NS1_11comp_targetILNS1_3genE0ELNS1_11target_archE4294967295ELNS1_3gpuE0ELNS1_3repE0EEENS1_52radix_sort_onesweep_histogram_config_static_selectorELNS0_4arch9wavefront6targetE1EEEvSE_,"axG",@progbits,_ZN7rocprim17ROCPRIM_400000_NS6detail17trampoline_kernelINS0_14default_configENS1_35radix_sort_onesweep_config_selectorIslEEZNS1_34radix_sort_onesweep_global_offsetsIS3_Lb0EPsN6thrust23THRUST_200600_302600_NS10device_ptrIlEEjNS0_19identity_decomposerEEE10hipError_tT1_T2_PT3_SG_jT4_jjP12ihipStream_tbEUlT_E_NS1_11comp_targetILNS1_3genE0ELNS1_11target_archE4294967295ELNS1_3gpuE0ELNS1_3repE0EEENS1_52radix_sort_onesweep_histogram_config_static_selectorELNS0_4arch9wavefront6targetE1EEEvSE_,comdat
.Lfunc_end1380:
	.size	_ZN7rocprim17ROCPRIM_400000_NS6detail17trampoline_kernelINS0_14default_configENS1_35radix_sort_onesweep_config_selectorIslEEZNS1_34radix_sort_onesweep_global_offsetsIS3_Lb0EPsN6thrust23THRUST_200600_302600_NS10device_ptrIlEEjNS0_19identity_decomposerEEE10hipError_tT1_T2_PT3_SG_jT4_jjP12ihipStream_tbEUlT_E_NS1_11comp_targetILNS1_3genE0ELNS1_11target_archE4294967295ELNS1_3gpuE0ELNS1_3repE0EEENS1_52radix_sort_onesweep_histogram_config_static_selectorELNS0_4arch9wavefront6targetE1EEEvSE_, .Lfunc_end1380-_ZN7rocprim17ROCPRIM_400000_NS6detail17trampoline_kernelINS0_14default_configENS1_35radix_sort_onesweep_config_selectorIslEEZNS1_34radix_sort_onesweep_global_offsetsIS3_Lb0EPsN6thrust23THRUST_200600_302600_NS10device_ptrIlEEjNS0_19identity_decomposerEEE10hipError_tT1_T2_PT3_SG_jT4_jjP12ihipStream_tbEUlT_E_NS1_11comp_targetILNS1_3genE0ELNS1_11target_archE4294967295ELNS1_3gpuE0ELNS1_3repE0EEENS1_52radix_sort_onesweep_histogram_config_static_selectorELNS0_4arch9wavefront6targetE1EEEvSE_
                                        ; -- End function
	.set _ZN7rocprim17ROCPRIM_400000_NS6detail17trampoline_kernelINS0_14default_configENS1_35radix_sort_onesweep_config_selectorIslEEZNS1_34radix_sort_onesweep_global_offsetsIS3_Lb0EPsN6thrust23THRUST_200600_302600_NS10device_ptrIlEEjNS0_19identity_decomposerEEE10hipError_tT1_T2_PT3_SG_jT4_jjP12ihipStream_tbEUlT_E_NS1_11comp_targetILNS1_3genE0ELNS1_11target_archE4294967295ELNS1_3gpuE0ELNS1_3repE0EEENS1_52radix_sort_onesweep_histogram_config_static_selectorELNS0_4arch9wavefront6targetE1EEEvSE_.num_vgpr, 0
	.set _ZN7rocprim17ROCPRIM_400000_NS6detail17trampoline_kernelINS0_14default_configENS1_35radix_sort_onesweep_config_selectorIslEEZNS1_34radix_sort_onesweep_global_offsetsIS3_Lb0EPsN6thrust23THRUST_200600_302600_NS10device_ptrIlEEjNS0_19identity_decomposerEEE10hipError_tT1_T2_PT3_SG_jT4_jjP12ihipStream_tbEUlT_E_NS1_11comp_targetILNS1_3genE0ELNS1_11target_archE4294967295ELNS1_3gpuE0ELNS1_3repE0EEENS1_52radix_sort_onesweep_histogram_config_static_selectorELNS0_4arch9wavefront6targetE1EEEvSE_.num_agpr, 0
	.set _ZN7rocprim17ROCPRIM_400000_NS6detail17trampoline_kernelINS0_14default_configENS1_35radix_sort_onesweep_config_selectorIslEEZNS1_34radix_sort_onesweep_global_offsetsIS3_Lb0EPsN6thrust23THRUST_200600_302600_NS10device_ptrIlEEjNS0_19identity_decomposerEEE10hipError_tT1_T2_PT3_SG_jT4_jjP12ihipStream_tbEUlT_E_NS1_11comp_targetILNS1_3genE0ELNS1_11target_archE4294967295ELNS1_3gpuE0ELNS1_3repE0EEENS1_52radix_sort_onesweep_histogram_config_static_selectorELNS0_4arch9wavefront6targetE1EEEvSE_.numbered_sgpr, 0
	.set _ZN7rocprim17ROCPRIM_400000_NS6detail17trampoline_kernelINS0_14default_configENS1_35radix_sort_onesweep_config_selectorIslEEZNS1_34radix_sort_onesweep_global_offsetsIS3_Lb0EPsN6thrust23THRUST_200600_302600_NS10device_ptrIlEEjNS0_19identity_decomposerEEE10hipError_tT1_T2_PT3_SG_jT4_jjP12ihipStream_tbEUlT_E_NS1_11comp_targetILNS1_3genE0ELNS1_11target_archE4294967295ELNS1_3gpuE0ELNS1_3repE0EEENS1_52radix_sort_onesweep_histogram_config_static_selectorELNS0_4arch9wavefront6targetE1EEEvSE_.num_named_barrier, 0
	.set _ZN7rocprim17ROCPRIM_400000_NS6detail17trampoline_kernelINS0_14default_configENS1_35radix_sort_onesweep_config_selectorIslEEZNS1_34radix_sort_onesweep_global_offsetsIS3_Lb0EPsN6thrust23THRUST_200600_302600_NS10device_ptrIlEEjNS0_19identity_decomposerEEE10hipError_tT1_T2_PT3_SG_jT4_jjP12ihipStream_tbEUlT_E_NS1_11comp_targetILNS1_3genE0ELNS1_11target_archE4294967295ELNS1_3gpuE0ELNS1_3repE0EEENS1_52radix_sort_onesweep_histogram_config_static_selectorELNS0_4arch9wavefront6targetE1EEEvSE_.private_seg_size, 0
	.set _ZN7rocprim17ROCPRIM_400000_NS6detail17trampoline_kernelINS0_14default_configENS1_35radix_sort_onesweep_config_selectorIslEEZNS1_34radix_sort_onesweep_global_offsetsIS3_Lb0EPsN6thrust23THRUST_200600_302600_NS10device_ptrIlEEjNS0_19identity_decomposerEEE10hipError_tT1_T2_PT3_SG_jT4_jjP12ihipStream_tbEUlT_E_NS1_11comp_targetILNS1_3genE0ELNS1_11target_archE4294967295ELNS1_3gpuE0ELNS1_3repE0EEENS1_52radix_sort_onesweep_histogram_config_static_selectorELNS0_4arch9wavefront6targetE1EEEvSE_.uses_vcc, 0
	.set _ZN7rocprim17ROCPRIM_400000_NS6detail17trampoline_kernelINS0_14default_configENS1_35radix_sort_onesweep_config_selectorIslEEZNS1_34radix_sort_onesweep_global_offsetsIS3_Lb0EPsN6thrust23THRUST_200600_302600_NS10device_ptrIlEEjNS0_19identity_decomposerEEE10hipError_tT1_T2_PT3_SG_jT4_jjP12ihipStream_tbEUlT_E_NS1_11comp_targetILNS1_3genE0ELNS1_11target_archE4294967295ELNS1_3gpuE0ELNS1_3repE0EEENS1_52radix_sort_onesweep_histogram_config_static_selectorELNS0_4arch9wavefront6targetE1EEEvSE_.uses_flat_scratch, 0
	.set _ZN7rocprim17ROCPRIM_400000_NS6detail17trampoline_kernelINS0_14default_configENS1_35radix_sort_onesweep_config_selectorIslEEZNS1_34radix_sort_onesweep_global_offsetsIS3_Lb0EPsN6thrust23THRUST_200600_302600_NS10device_ptrIlEEjNS0_19identity_decomposerEEE10hipError_tT1_T2_PT3_SG_jT4_jjP12ihipStream_tbEUlT_E_NS1_11comp_targetILNS1_3genE0ELNS1_11target_archE4294967295ELNS1_3gpuE0ELNS1_3repE0EEENS1_52radix_sort_onesweep_histogram_config_static_selectorELNS0_4arch9wavefront6targetE1EEEvSE_.has_dyn_sized_stack, 0
	.set _ZN7rocprim17ROCPRIM_400000_NS6detail17trampoline_kernelINS0_14default_configENS1_35radix_sort_onesweep_config_selectorIslEEZNS1_34radix_sort_onesweep_global_offsetsIS3_Lb0EPsN6thrust23THRUST_200600_302600_NS10device_ptrIlEEjNS0_19identity_decomposerEEE10hipError_tT1_T2_PT3_SG_jT4_jjP12ihipStream_tbEUlT_E_NS1_11comp_targetILNS1_3genE0ELNS1_11target_archE4294967295ELNS1_3gpuE0ELNS1_3repE0EEENS1_52radix_sort_onesweep_histogram_config_static_selectorELNS0_4arch9wavefront6targetE1EEEvSE_.has_recursion, 0
	.set _ZN7rocprim17ROCPRIM_400000_NS6detail17trampoline_kernelINS0_14default_configENS1_35radix_sort_onesweep_config_selectorIslEEZNS1_34radix_sort_onesweep_global_offsetsIS3_Lb0EPsN6thrust23THRUST_200600_302600_NS10device_ptrIlEEjNS0_19identity_decomposerEEE10hipError_tT1_T2_PT3_SG_jT4_jjP12ihipStream_tbEUlT_E_NS1_11comp_targetILNS1_3genE0ELNS1_11target_archE4294967295ELNS1_3gpuE0ELNS1_3repE0EEENS1_52radix_sort_onesweep_histogram_config_static_selectorELNS0_4arch9wavefront6targetE1EEEvSE_.has_indirect_call, 0
	.section	.AMDGPU.csdata,"",@progbits
; Kernel info:
; codeLenInByte = 0
; TotalNumSgprs: 4
; NumVgprs: 0
; ScratchSize: 0
; MemoryBound: 0
; FloatMode: 240
; IeeeMode: 1
; LDSByteSize: 0 bytes/workgroup (compile time only)
; SGPRBlocks: 0
; VGPRBlocks: 0
; NumSGPRsForWavesPerEU: 4
; NumVGPRsForWavesPerEU: 1
; Occupancy: 10
; WaveLimiterHint : 0
; COMPUTE_PGM_RSRC2:SCRATCH_EN: 0
; COMPUTE_PGM_RSRC2:USER_SGPR: 6
; COMPUTE_PGM_RSRC2:TRAP_HANDLER: 0
; COMPUTE_PGM_RSRC2:TGID_X_EN: 1
; COMPUTE_PGM_RSRC2:TGID_Y_EN: 0
; COMPUTE_PGM_RSRC2:TGID_Z_EN: 0
; COMPUTE_PGM_RSRC2:TIDIG_COMP_CNT: 0
	.section	.text._ZN7rocprim17ROCPRIM_400000_NS6detail17trampoline_kernelINS0_14default_configENS1_35radix_sort_onesweep_config_selectorIslEEZNS1_34radix_sort_onesweep_global_offsetsIS3_Lb0EPsN6thrust23THRUST_200600_302600_NS10device_ptrIlEEjNS0_19identity_decomposerEEE10hipError_tT1_T2_PT3_SG_jT4_jjP12ihipStream_tbEUlT_E_NS1_11comp_targetILNS1_3genE6ELNS1_11target_archE950ELNS1_3gpuE13ELNS1_3repE0EEENS1_52radix_sort_onesweep_histogram_config_static_selectorELNS0_4arch9wavefront6targetE1EEEvSE_,"axG",@progbits,_ZN7rocprim17ROCPRIM_400000_NS6detail17trampoline_kernelINS0_14default_configENS1_35radix_sort_onesweep_config_selectorIslEEZNS1_34radix_sort_onesweep_global_offsetsIS3_Lb0EPsN6thrust23THRUST_200600_302600_NS10device_ptrIlEEjNS0_19identity_decomposerEEE10hipError_tT1_T2_PT3_SG_jT4_jjP12ihipStream_tbEUlT_E_NS1_11comp_targetILNS1_3genE6ELNS1_11target_archE950ELNS1_3gpuE13ELNS1_3repE0EEENS1_52radix_sort_onesweep_histogram_config_static_selectorELNS0_4arch9wavefront6targetE1EEEvSE_,comdat
	.protected	_ZN7rocprim17ROCPRIM_400000_NS6detail17trampoline_kernelINS0_14default_configENS1_35radix_sort_onesweep_config_selectorIslEEZNS1_34radix_sort_onesweep_global_offsetsIS3_Lb0EPsN6thrust23THRUST_200600_302600_NS10device_ptrIlEEjNS0_19identity_decomposerEEE10hipError_tT1_T2_PT3_SG_jT4_jjP12ihipStream_tbEUlT_E_NS1_11comp_targetILNS1_3genE6ELNS1_11target_archE950ELNS1_3gpuE13ELNS1_3repE0EEENS1_52radix_sort_onesweep_histogram_config_static_selectorELNS0_4arch9wavefront6targetE1EEEvSE_ ; -- Begin function _ZN7rocprim17ROCPRIM_400000_NS6detail17trampoline_kernelINS0_14default_configENS1_35radix_sort_onesweep_config_selectorIslEEZNS1_34radix_sort_onesweep_global_offsetsIS3_Lb0EPsN6thrust23THRUST_200600_302600_NS10device_ptrIlEEjNS0_19identity_decomposerEEE10hipError_tT1_T2_PT3_SG_jT4_jjP12ihipStream_tbEUlT_E_NS1_11comp_targetILNS1_3genE6ELNS1_11target_archE950ELNS1_3gpuE13ELNS1_3repE0EEENS1_52radix_sort_onesweep_histogram_config_static_selectorELNS0_4arch9wavefront6targetE1EEEvSE_
	.globl	_ZN7rocprim17ROCPRIM_400000_NS6detail17trampoline_kernelINS0_14default_configENS1_35radix_sort_onesweep_config_selectorIslEEZNS1_34radix_sort_onesweep_global_offsetsIS3_Lb0EPsN6thrust23THRUST_200600_302600_NS10device_ptrIlEEjNS0_19identity_decomposerEEE10hipError_tT1_T2_PT3_SG_jT4_jjP12ihipStream_tbEUlT_E_NS1_11comp_targetILNS1_3genE6ELNS1_11target_archE950ELNS1_3gpuE13ELNS1_3repE0EEENS1_52radix_sort_onesweep_histogram_config_static_selectorELNS0_4arch9wavefront6targetE1EEEvSE_
	.p2align	8
	.type	_ZN7rocprim17ROCPRIM_400000_NS6detail17trampoline_kernelINS0_14default_configENS1_35radix_sort_onesweep_config_selectorIslEEZNS1_34radix_sort_onesweep_global_offsetsIS3_Lb0EPsN6thrust23THRUST_200600_302600_NS10device_ptrIlEEjNS0_19identity_decomposerEEE10hipError_tT1_T2_PT3_SG_jT4_jjP12ihipStream_tbEUlT_E_NS1_11comp_targetILNS1_3genE6ELNS1_11target_archE950ELNS1_3gpuE13ELNS1_3repE0EEENS1_52radix_sort_onesweep_histogram_config_static_selectorELNS0_4arch9wavefront6targetE1EEEvSE_,@function
_ZN7rocprim17ROCPRIM_400000_NS6detail17trampoline_kernelINS0_14default_configENS1_35radix_sort_onesweep_config_selectorIslEEZNS1_34radix_sort_onesweep_global_offsetsIS3_Lb0EPsN6thrust23THRUST_200600_302600_NS10device_ptrIlEEjNS0_19identity_decomposerEEE10hipError_tT1_T2_PT3_SG_jT4_jjP12ihipStream_tbEUlT_E_NS1_11comp_targetILNS1_3genE6ELNS1_11target_archE950ELNS1_3gpuE13ELNS1_3repE0EEENS1_52radix_sort_onesweep_histogram_config_static_selectorELNS0_4arch9wavefront6targetE1EEEvSE_: ; @_ZN7rocprim17ROCPRIM_400000_NS6detail17trampoline_kernelINS0_14default_configENS1_35radix_sort_onesweep_config_selectorIslEEZNS1_34radix_sort_onesweep_global_offsetsIS3_Lb0EPsN6thrust23THRUST_200600_302600_NS10device_ptrIlEEjNS0_19identity_decomposerEEE10hipError_tT1_T2_PT3_SG_jT4_jjP12ihipStream_tbEUlT_E_NS1_11comp_targetILNS1_3genE6ELNS1_11target_archE950ELNS1_3gpuE13ELNS1_3repE0EEENS1_52radix_sort_onesweep_histogram_config_static_selectorELNS0_4arch9wavefront6targetE1EEEvSE_
; %bb.0:
	.section	.rodata,"a",@progbits
	.p2align	6, 0x0
	.amdhsa_kernel _ZN7rocprim17ROCPRIM_400000_NS6detail17trampoline_kernelINS0_14default_configENS1_35radix_sort_onesweep_config_selectorIslEEZNS1_34radix_sort_onesweep_global_offsetsIS3_Lb0EPsN6thrust23THRUST_200600_302600_NS10device_ptrIlEEjNS0_19identity_decomposerEEE10hipError_tT1_T2_PT3_SG_jT4_jjP12ihipStream_tbEUlT_E_NS1_11comp_targetILNS1_3genE6ELNS1_11target_archE950ELNS1_3gpuE13ELNS1_3repE0EEENS1_52radix_sort_onesweep_histogram_config_static_selectorELNS0_4arch9wavefront6targetE1EEEvSE_
		.amdhsa_group_segment_fixed_size 0
		.amdhsa_private_segment_fixed_size 0
		.amdhsa_kernarg_size 40
		.amdhsa_user_sgpr_count 6
		.amdhsa_user_sgpr_private_segment_buffer 1
		.amdhsa_user_sgpr_dispatch_ptr 0
		.amdhsa_user_sgpr_queue_ptr 0
		.amdhsa_user_sgpr_kernarg_segment_ptr 1
		.amdhsa_user_sgpr_dispatch_id 0
		.amdhsa_user_sgpr_flat_scratch_init 0
		.amdhsa_user_sgpr_private_segment_size 0
		.amdhsa_uses_dynamic_stack 0
		.amdhsa_system_sgpr_private_segment_wavefront_offset 0
		.amdhsa_system_sgpr_workgroup_id_x 1
		.amdhsa_system_sgpr_workgroup_id_y 0
		.amdhsa_system_sgpr_workgroup_id_z 0
		.amdhsa_system_sgpr_workgroup_info 0
		.amdhsa_system_vgpr_workitem_id 0
		.amdhsa_next_free_vgpr 1
		.amdhsa_next_free_sgpr 0
		.amdhsa_reserve_vcc 0
		.amdhsa_reserve_flat_scratch 0
		.amdhsa_float_round_mode_32 0
		.amdhsa_float_round_mode_16_64 0
		.amdhsa_float_denorm_mode_32 3
		.amdhsa_float_denorm_mode_16_64 3
		.amdhsa_dx10_clamp 1
		.amdhsa_ieee_mode 1
		.amdhsa_fp16_overflow 0
		.amdhsa_exception_fp_ieee_invalid_op 0
		.amdhsa_exception_fp_denorm_src 0
		.amdhsa_exception_fp_ieee_div_zero 0
		.amdhsa_exception_fp_ieee_overflow 0
		.amdhsa_exception_fp_ieee_underflow 0
		.amdhsa_exception_fp_ieee_inexact 0
		.amdhsa_exception_int_div_zero 0
	.end_amdhsa_kernel
	.section	.text._ZN7rocprim17ROCPRIM_400000_NS6detail17trampoline_kernelINS0_14default_configENS1_35radix_sort_onesweep_config_selectorIslEEZNS1_34radix_sort_onesweep_global_offsetsIS3_Lb0EPsN6thrust23THRUST_200600_302600_NS10device_ptrIlEEjNS0_19identity_decomposerEEE10hipError_tT1_T2_PT3_SG_jT4_jjP12ihipStream_tbEUlT_E_NS1_11comp_targetILNS1_3genE6ELNS1_11target_archE950ELNS1_3gpuE13ELNS1_3repE0EEENS1_52radix_sort_onesweep_histogram_config_static_selectorELNS0_4arch9wavefront6targetE1EEEvSE_,"axG",@progbits,_ZN7rocprim17ROCPRIM_400000_NS6detail17trampoline_kernelINS0_14default_configENS1_35radix_sort_onesweep_config_selectorIslEEZNS1_34radix_sort_onesweep_global_offsetsIS3_Lb0EPsN6thrust23THRUST_200600_302600_NS10device_ptrIlEEjNS0_19identity_decomposerEEE10hipError_tT1_T2_PT3_SG_jT4_jjP12ihipStream_tbEUlT_E_NS1_11comp_targetILNS1_3genE6ELNS1_11target_archE950ELNS1_3gpuE13ELNS1_3repE0EEENS1_52radix_sort_onesweep_histogram_config_static_selectorELNS0_4arch9wavefront6targetE1EEEvSE_,comdat
.Lfunc_end1381:
	.size	_ZN7rocprim17ROCPRIM_400000_NS6detail17trampoline_kernelINS0_14default_configENS1_35radix_sort_onesweep_config_selectorIslEEZNS1_34radix_sort_onesweep_global_offsetsIS3_Lb0EPsN6thrust23THRUST_200600_302600_NS10device_ptrIlEEjNS0_19identity_decomposerEEE10hipError_tT1_T2_PT3_SG_jT4_jjP12ihipStream_tbEUlT_E_NS1_11comp_targetILNS1_3genE6ELNS1_11target_archE950ELNS1_3gpuE13ELNS1_3repE0EEENS1_52radix_sort_onesweep_histogram_config_static_selectorELNS0_4arch9wavefront6targetE1EEEvSE_, .Lfunc_end1381-_ZN7rocprim17ROCPRIM_400000_NS6detail17trampoline_kernelINS0_14default_configENS1_35radix_sort_onesweep_config_selectorIslEEZNS1_34radix_sort_onesweep_global_offsetsIS3_Lb0EPsN6thrust23THRUST_200600_302600_NS10device_ptrIlEEjNS0_19identity_decomposerEEE10hipError_tT1_T2_PT3_SG_jT4_jjP12ihipStream_tbEUlT_E_NS1_11comp_targetILNS1_3genE6ELNS1_11target_archE950ELNS1_3gpuE13ELNS1_3repE0EEENS1_52radix_sort_onesweep_histogram_config_static_selectorELNS0_4arch9wavefront6targetE1EEEvSE_
                                        ; -- End function
	.set _ZN7rocprim17ROCPRIM_400000_NS6detail17trampoline_kernelINS0_14default_configENS1_35radix_sort_onesweep_config_selectorIslEEZNS1_34radix_sort_onesweep_global_offsetsIS3_Lb0EPsN6thrust23THRUST_200600_302600_NS10device_ptrIlEEjNS0_19identity_decomposerEEE10hipError_tT1_T2_PT3_SG_jT4_jjP12ihipStream_tbEUlT_E_NS1_11comp_targetILNS1_3genE6ELNS1_11target_archE950ELNS1_3gpuE13ELNS1_3repE0EEENS1_52radix_sort_onesweep_histogram_config_static_selectorELNS0_4arch9wavefront6targetE1EEEvSE_.num_vgpr, 0
	.set _ZN7rocprim17ROCPRIM_400000_NS6detail17trampoline_kernelINS0_14default_configENS1_35radix_sort_onesweep_config_selectorIslEEZNS1_34radix_sort_onesweep_global_offsetsIS3_Lb0EPsN6thrust23THRUST_200600_302600_NS10device_ptrIlEEjNS0_19identity_decomposerEEE10hipError_tT1_T2_PT3_SG_jT4_jjP12ihipStream_tbEUlT_E_NS1_11comp_targetILNS1_3genE6ELNS1_11target_archE950ELNS1_3gpuE13ELNS1_3repE0EEENS1_52radix_sort_onesweep_histogram_config_static_selectorELNS0_4arch9wavefront6targetE1EEEvSE_.num_agpr, 0
	.set _ZN7rocprim17ROCPRIM_400000_NS6detail17trampoline_kernelINS0_14default_configENS1_35radix_sort_onesweep_config_selectorIslEEZNS1_34radix_sort_onesweep_global_offsetsIS3_Lb0EPsN6thrust23THRUST_200600_302600_NS10device_ptrIlEEjNS0_19identity_decomposerEEE10hipError_tT1_T2_PT3_SG_jT4_jjP12ihipStream_tbEUlT_E_NS1_11comp_targetILNS1_3genE6ELNS1_11target_archE950ELNS1_3gpuE13ELNS1_3repE0EEENS1_52radix_sort_onesweep_histogram_config_static_selectorELNS0_4arch9wavefront6targetE1EEEvSE_.numbered_sgpr, 0
	.set _ZN7rocprim17ROCPRIM_400000_NS6detail17trampoline_kernelINS0_14default_configENS1_35radix_sort_onesweep_config_selectorIslEEZNS1_34radix_sort_onesweep_global_offsetsIS3_Lb0EPsN6thrust23THRUST_200600_302600_NS10device_ptrIlEEjNS0_19identity_decomposerEEE10hipError_tT1_T2_PT3_SG_jT4_jjP12ihipStream_tbEUlT_E_NS1_11comp_targetILNS1_3genE6ELNS1_11target_archE950ELNS1_3gpuE13ELNS1_3repE0EEENS1_52radix_sort_onesweep_histogram_config_static_selectorELNS0_4arch9wavefront6targetE1EEEvSE_.num_named_barrier, 0
	.set _ZN7rocprim17ROCPRIM_400000_NS6detail17trampoline_kernelINS0_14default_configENS1_35radix_sort_onesweep_config_selectorIslEEZNS1_34radix_sort_onesweep_global_offsetsIS3_Lb0EPsN6thrust23THRUST_200600_302600_NS10device_ptrIlEEjNS0_19identity_decomposerEEE10hipError_tT1_T2_PT3_SG_jT4_jjP12ihipStream_tbEUlT_E_NS1_11comp_targetILNS1_3genE6ELNS1_11target_archE950ELNS1_3gpuE13ELNS1_3repE0EEENS1_52radix_sort_onesweep_histogram_config_static_selectorELNS0_4arch9wavefront6targetE1EEEvSE_.private_seg_size, 0
	.set _ZN7rocprim17ROCPRIM_400000_NS6detail17trampoline_kernelINS0_14default_configENS1_35radix_sort_onesweep_config_selectorIslEEZNS1_34radix_sort_onesweep_global_offsetsIS3_Lb0EPsN6thrust23THRUST_200600_302600_NS10device_ptrIlEEjNS0_19identity_decomposerEEE10hipError_tT1_T2_PT3_SG_jT4_jjP12ihipStream_tbEUlT_E_NS1_11comp_targetILNS1_3genE6ELNS1_11target_archE950ELNS1_3gpuE13ELNS1_3repE0EEENS1_52radix_sort_onesweep_histogram_config_static_selectorELNS0_4arch9wavefront6targetE1EEEvSE_.uses_vcc, 0
	.set _ZN7rocprim17ROCPRIM_400000_NS6detail17trampoline_kernelINS0_14default_configENS1_35radix_sort_onesweep_config_selectorIslEEZNS1_34radix_sort_onesweep_global_offsetsIS3_Lb0EPsN6thrust23THRUST_200600_302600_NS10device_ptrIlEEjNS0_19identity_decomposerEEE10hipError_tT1_T2_PT3_SG_jT4_jjP12ihipStream_tbEUlT_E_NS1_11comp_targetILNS1_3genE6ELNS1_11target_archE950ELNS1_3gpuE13ELNS1_3repE0EEENS1_52radix_sort_onesweep_histogram_config_static_selectorELNS0_4arch9wavefront6targetE1EEEvSE_.uses_flat_scratch, 0
	.set _ZN7rocprim17ROCPRIM_400000_NS6detail17trampoline_kernelINS0_14default_configENS1_35radix_sort_onesweep_config_selectorIslEEZNS1_34radix_sort_onesweep_global_offsetsIS3_Lb0EPsN6thrust23THRUST_200600_302600_NS10device_ptrIlEEjNS0_19identity_decomposerEEE10hipError_tT1_T2_PT3_SG_jT4_jjP12ihipStream_tbEUlT_E_NS1_11comp_targetILNS1_3genE6ELNS1_11target_archE950ELNS1_3gpuE13ELNS1_3repE0EEENS1_52radix_sort_onesweep_histogram_config_static_selectorELNS0_4arch9wavefront6targetE1EEEvSE_.has_dyn_sized_stack, 0
	.set _ZN7rocprim17ROCPRIM_400000_NS6detail17trampoline_kernelINS0_14default_configENS1_35radix_sort_onesweep_config_selectorIslEEZNS1_34radix_sort_onesweep_global_offsetsIS3_Lb0EPsN6thrust23THRUST_200600_302600_NS10device_ptrIlEEjNS0_19identity_decomposerEEE10hipError_tT1_T2_PT3_SG_jT4_jjP12ihipStream_tbEUlT_E_NS1_11comp_targetILNS1_3genE6ELNS1_11target_archE950ELNS1_3gpuE13ELNS1_3repE0EEENS1_52radix_sort_onesweep_histogram_config_static_selectorELNS0_4arch9wavefront6targetE1EEEvSE_.has_recursion, 0
	.set _ZN7rocprim17ROCPRIM_400000_NS6detail17trampoline_kernelINS0_14default_configENS1_35radix_sort_onesweep_config_selectorIslEEZNS1_34radix_sort_onesweep_global_offsetsIS3_Lb0EPsN6thrust23THRUST_200600_302600_NS10device_ptrIlEEjNS0_19identity_decomposerEEE10hipError_tT1_T2_PT3_SG_jT4_jjP12ihipStream_tbEUlT_E_NS1_11comp_targetILNS1_3genE6ELNS1_11target_archE950ELNS1_3gpuE13ELNS1_3repE0EEENS1_52radix_sort_onesweep_histogram_config_static_selectorELNS0_4arch9wavefront6targetE1EEEvSE_.has_indirect_call, 0
	.section	.AMDGPU.csdata,"",@progbits
; Kernel info:
; codeLenInByte = 0
; TotalNumSgprs: 4
; NumVgprs: 0
; ScratchSize: 0
; MemoryBound: 0
; FloatMode: 240
; IeeeMode: 1
; LDSByteSize: 0 bytes/workgroup (compile time only)
; SGPRBlocks: 0
; VGPRBlocks: 0
; NumSGPRsForWavesPerEU: 4
; NumVGPRsForWavesPerEU: 1
; Occupancy: 10
; WaveLimiterHint : 0
; COMPUTE_PGM_RSRC2:SCRATCH_EN: 0
; COMPUTE_PGM_RSRC2:USER_SGPR: 6
; COMPUTE_PGM_RSRC2:TRAP_HANDLER: 0
; COMPUTE_PGM_RSRC2:TGID_X_EN: 1
; COMPUTE_PGM_RSRC2:TGID_Y_EN: 0
; COMPUTE_PGM_RSRC2:TGID_Z_EN: 0
; COMPUTE_PGM_RSRC2:TIDIG_COMP_CNT: 0
	.section	.text._ZN7rocprim17ROCPRIM_400000_NS6detail17trampoline_kernelINS0_14default_configENS1_35radix_sort_onesweep_config_selectorIslEEZNS1_34radix_sort_onesweep_global_offsetsIS3_Lb0EPsN6thrust23THRUST_200600_302600_NS10device_ptrIlEEjNS0_19identity_decomposerEEE10hipError_tT1_T2_PT3_SG_jT4_jjP12ihipStream_tbEUlT_E_NS1_11comp_targetILNS1_3genE5ELNS1_11target_archE942ELNS1_3gpuE9ELNS1_3repE0EEENS1_52radix_sort_onesweep_histogram_config_static_selectorELNS0_4arch9wavefront6targetE1EEEvSE_,"axG",@progbits,_ZN7rocprim17ROCPRIM_400000_NS6detail17trampoline_kernelINS0_14default_configENS1_35radix_sort_onesweep_config_selectorIslEEZNS1_34radix_sort_onesweep_global_offsetsIS3_Lb0EPsN6thrust23THRUST_200600_302600_NS10device_ptrIlEEjNS0_19identity_decomposerEEE10hipError_tT1_T2_PT3_SG_jT4_jjP12ihipStream_tbEUlT_E_NS1_11comp_targetILNS1_3genE5ELNS1_11target_archE942ELNS1_3gpuE9ELNS1_3repE0EEENS1_52radix_sort_onesweep_histogram_config_static_selectorELNS0_4arch9wavefront6targetE1EEEvSE_,comdat
	.protected	_ZN7rocprim17ROCPRIM_400000_NS6detail17trampoline_kernelINS0_14default_configENS1_35radix_sort_onesweep_config_selectorIslEEZNS1_34radix_sort_onesweep_global_offsetsIS3_Lb0EPsN6thrust23THRUST_200600_302600_NS10device_ptrIlEEjNS0_19identity_decomposerEEE10hipError_tT1_T2_PT3_SG_jT4_jjP12ihipStream_tbEUlT_E_NS1_11comp_targetILNS1_3genE5ELNS1_11target_archE942ELNS1_3gpuE9ELNS1_3repE0EEENS1_52radix_sort_onesweep_histogram_config_static_selectorELNS0_4arch9wavefront6targetE1EEEvSE_ ; -- Begin function _ZN7rocprim17ROCPRIM_400000_NS6detail17trampoline_kernelINS0_14default_configENS1_35radix_sort_onesweep_config_selectorIslEEZNS1_34radix_sort_onesweep_global_offsetsIS3_Lb0EPsN6thrust23THRUST_200600_302600_NS10device_ptrIlEEjNS0_19identity_decomposerEEE10hipError_tT1_T2_PT3_SG_jT4_jjP12ihipStream_tbEUlT_E_NS1_11comp_targetILNS1_3genE5ELNS1_11target_archE942ELNS1_3gpuE9ELNS1_3repE0EEENS1_52radix_sort_onesweep_histogram_config_static_selectorELNS0_4arch9wavefront6targetE1EEEvSE_
	.globl	_ZN7rocprim17ROCPRIM_400000_NS6detail17trampoline_kernelINS0_14default_configENS1_35radix_sort_onesweep_config_selectorIslEEZNS1_34radix_sort_onesweep_global_offsetsIS3_Lb0EPsN6thrust23THRUST_200600_302600_NS10device_ptrIlEEjNS0_19identity_decomposerEEE10hipError_tT1_T2_PT3_SG_jT4_jjP12ihipStream_tbEUlT_E_NS1_11comp_targetILNS1_3genE5ELNS1_11target_archE942ELNS1_3gpuE9ELNS1_3repE0EEENS1_52radix_sort_onesweep_histogram_config_static_selectorELNS0_4arch9wavefront6targetE1EEEvSE_
	.p2align	8
	.type	_ZN7rocprim17ROCPRIM_400000_NS6detail17trampoline_kernelINS0_14default_configENS1_35radix_sort_onesweep_config_selectorIslEEZNS1_34radix_sort_onesweep_global_offsetsIS3_Lb0EPsN6thrust23THRUST_200600_302600_NS10device_ptrIlEEjNS0_19identity_decomposerEEE10hipError_tT1_T2_PT3_SG_jT4_jjP12ihipStream_tbEUlT_E_NS1_11comp_targetILNS1_3genE5ELNS1_11target_archE942ELNS1_3gpuE9ELNS1_3repE0EEENS1_52radix_sort_onesweep_histogram_config_static_selectorELNS0_4arch9wavefront6targetE1EEEvSE_,@function
_ZN7rocprim17ROCPRIM_400000_NS6detail17trampoline_kernelINS0_14default_configENS1_35radix_sort_onesweep_config_selectorIslEEZNS1_34radix_sort_onesweep_global_offsetsIS3_Lb0EPsN6thrust23THRUST_200600_302600_NS10device_ptrIlEEjNS0_19identity_decomposerEEE10hipError_tT1_T2_PT3_SG_jT4_jjP12ihipStream_tbEUlT_E_NS1_11comp_targetILNS1_3genE5ELNS1_11target_archE942ELNS1_3gpuE9ELNS1_3repE0EEENS1_52radix_sort_onesweep_histogram_config_static_selectorELNS0_4arch9wavefront6targetE1EEEvSE_: ; @_ZN7rocprim17ROCPRIM_400000_NS6detail17trampoline_kernelINS0_14default_configENS1_35radix_sort_onesweep_config_selectorIslEEZNS1_34radix_sort_onesweep_global_offsetsIS3_Lb0EPsN6thrust23THRUST_200600_302600_NS10device_ptrIlEEjNS0_19identity_decomposerEEE10hipError_tT1_T2_PT3_SG_jT4_jjP12ihipStream_tbEUlT_E_NS1_11comp_targetILNS1_3genE5ELNS1_11target_archE942ELNS1_3gpuE9ELNS1_3repE0EEENS1_52radix_sort_onesweep_histogram_config_static_selectorELNS0_4arch9wavefront6targetE1EEEvSE_
; %bb.0:
	.section	.rodata,"a",@progbits
	.p2align	6, 0x0
	.amdhsa_kernel _ZN7rocprim17ROCPRIM_400000_NS6detail17trampoline_kernelINS0_14default_configENS1_35radix_sort_onesweep_config_selectorIslEEZNS1_34radix_sort_onesweep_global_offsetsIS3_Lb0EPsN6thrust23THRUST_200600_302600_NS10device_ptrIlEEjNS0_19identity_decomposerEEE10hipError_tT1_T2_PT3_SG_jT4_jjP12ihipStream_tbEUlT_E_NS1_11comp_targetILNS1_3genE5ELNS1_11target_archE942ELNS1_3gpuE9ELNS1_3repE0EEENS1_52radix_sort_onesweep_histogram_config_static_selectorELNS0_4arch9wavefront6targetE1EEEvSE_
		.amdhsa_group_segment_fixed_size 0
		.amdhsa_private_segment_fixed_size 0
		.amdhsa_kernarg_size 40
		.amdhsa_user_sgpr_count 6
		.amdhsa_user_sgpr_private_segment_buffer 1
		.amdhsa_user_sgpr_dispatch_ptr 0
		.amdhsa_user_sgpr_queue_ptr 0
		.amdhsa_user_sgpr_kernarg_segment_ptr 1
		.amdhsa_user_sgpr_dispatch_id 0
		.amdhsa_user_sgpr_flat_scratch_init 0
		.amdhsa_user_sgpr_private_segment_size 0
		.amdhsa_uses_dynamic_stack 0
		.amdhsa_system_sgpr_private_segment_wavefront_offset 0
		.amdhsa_system_sgpr_workgroup_id_x 1
		.amdhsa_system_sgpr_workgroup_id_y 0
		.amdhsa_system_sgpr_workgroup_id_z 0
		.amdhsa_system_sgpr_workgroup_info 0
		.amdhsa_system_vgpr_workitem_id 0
		.amdhsa_next_free_vgpr 1
		.amdhsa_next_free_sgpr 0
		.amdhsa_reserve_vcc 0
		.amdhsa_reserve_flat_scratch 0
		.amdhsa_float_round_mode_32 0
		.amdhsa_float_round_mode_16_64 0
		.amdhsa_float_denorm_mode_32 3
		.amdhsa_float_denorm_mode_16_64 3
		.amdhsa_dx10_clamp 1
		.amdhsa_ieee_mode 1
		.amdhsa_fp16_overflow 0
		.amdhsa_exception_fp_ieee_invalid_op 0
		.amdhsa_exception_fp_denorm_src 0
		.amdhsa_exception_fp_ieee_div_zero 0
		.amdhsa_exception_fp_ieee_overflow 0
		.amdhsa_exception_fp_ieee_underflow 0
		.amdhsa_exception_fp_ieee_inexact 0
		.amdhsa_exception_int_div_zero 0
	.end_amdhsa_kernel
	.section	.text._ZN7rocprim17ROCPRIM_400000_NS6detail17trampoline_kernelINS0_14default_configENS1_35radix_sort_onesweep_config_selectorIslEEZNS1_34radix_sort_onesweep_global_offsetsIS3_Lb0EPsN6thrust23THRUST_200600_302600_NS10device_ptrIlEEjNS0_19identity_decomposerEEE10hipError_tT1_T2_PT3_SG_jT4_jjP12ihipStream_tbEUlT_E_NS1_11comp_targetILNS1_3genE5ELNS1_11target_archE942ELNS1_3gpuE9ELNS1_3repE0EEENS1_52radix_sort_onesweep_histogram_config_static_selectorELNS0_4arch9wavefront6targetE1EEEvSE_,"axG",@progbits,_ZN7rocprim17ROCPRIM_400000_NS6detail17trampoline_kernelINS0_14default_configENS1_35radix_sort_onesweep_config_selectorIslEEZNS1_34radix_sort_onesweep_global_offsetsIS3_Lb0EPsN6thrust23THRUST_200600_302600_NS10device_ptrIlEEjNS0_19identity_decomposerEEE10hipError_tT1_T2_PT3_SG_jT4_jjP12ihipStream_tbEUlT_E_NS1_11comp_targetILNS1_3genE5ELNS1_11target_archE942ELNS1_3gpuE9ELNS1_3repE0EEENS1_52radix_sort_onesweep_histogram_config_static_selectorELNS0_4arch9wavefront6targetE1EEEvSE_,comdat
.Lfunc_end1382:
	.size	_ZN7rocprim17ROCPRIM_400000_NS6detail17trampoline_kernelINS0_14default_configENS1_35radix_sort_onesweep_config_selectorIslEEZNS1_34radix_sort_onesweep_global_offsetsIS3_Lb0EPsN6thrust23THRUST_200600_302600_NS10device_ptrIlEEjNS0_19identity_decomposerEEE10hipError_tT1_T2_PT3_SG_jT4_jjP12ihipStream_tbEUlT_E_NS1_11comp_targetILNS1_3genE5ELNS1_11target_archE942ELNS1_3gpuE9ELNS1_3repE0EEENS1_52radix_sort_onesweep_histogram_config_static_selectorELNS0_4arch9wavefront6targetE1EEEvSE_, .Lfunc_end1382-_ZN7rocprim17ROCPRIM_400000_NS6detail17trampoline_kernelINS0_14default_configENS1_35radix_sort_onesweep_config_selectorIslEEZNS1_34radix_sort_onesweep_global_offsetsIS3_Lb0EPsN6thrust23THRUST_200600_302600_NS10device_ptrIlEEjNS0_19identity_decomposerEEE10hipError_tT1_T2_PT3_SG_jT4_jjP12ihipStream_tbEUlT_E_NS1_11comp_targetILNS1_3genE5ELNS1_11target_archE942ELNS1_3gpuE9ELNS1_3repE0EEENS1_52radix_sort_onesweep_histogram_config_static_selectorELNS0_4arch9wavefront6targetE1EEEvSE_
                                        ; -- End function
	.set _ZN7rocprim17ROCPRIM_400000_NS6detail17trampoline_kernelINS0_14default_configENS1_35radix_sort_onesweep_config_selectorIslEEZNS1_34radix_sort_onesweep_global_offsetsIS3_Lb0EPsN6thrust23THRUST_200600_302600_NS10device_ptrIlEEjNS0_19identity_decomposerEEE10hipError_tT1_T2_PT3_SG_jT4_jjP12ihipStream_tbEUlT_E_NS1_11comp_targetILNS1_3genE5ELNS1_11target_archE942ELNS1_3gpuE9ELNS1_3repE0EEENS1_52radix_sort_onesweep_histogram_config_static_selectorELNS0_4arch9wavefront6targetE1EEEvSE_.num_vgpr, 0
	.set _ZN7rocprim17ROCPRIM_400000_NS6detail17trampoline_kernelINS0_14default_configENS1_35radix_sort_onesweep_config_selectorIslEEZNS1_34radix_sort_onesweep_global_offsetsIS3_Lb0EPsN6thrust23THRUST_200600_302600_NS10device_ptrIlEEjNS0_19identity_decomposerEEE10hipError_tT1_T2_PT3_SG_jT4_jjP12ihipStream_tbEUlT_E_NS1_11comp_targetILNS1_3genE5ELNS1_11target_archE942ELNS1_3gpuE9ELNS1_3repE0EEENS1_52radix_sort_onesweep_histogram_config_static_selectorELNS0_4arch9wavefront6targetE1EEEvSE_.num_agpr, 0
	.set _ZN7rocprim17ROCPRIM_400000_NS6detail17trampoline_kernelINS0_14default_configENS1_35radix_sort_onesweep_config_selectorIslEEZNS1_34radix_sort_onesweep_global_offsetsIS3_Lb0EPsN6thrust23THRUST_200600_302600_NS10device_ptrIlEEjNS0_19identity_decomposerEEE10hipError_tT1_T2_PT3_SG_jT4_jjP12ihipStream_tbEUlT_E_NS1_11comp_targetILNS1_3genE5ELNS1_11target_archE942ELNS1_3gpuE9ELNS1_3repE0EEENS1_52radix_sort_onesweep_histogram_config_static_selectorELNS0_4arch9wavefront6targetE1EEEvSE_.numbered_sgpr, 0
	.set _ZN7rocprim17ROCPRIM_400000_NS6detail17trampoline_kernelINS0_14default_configENS1_35radix_sort_onesweep_config_selectorIslEEZNS1_34radix_sort_onesweep_global_offsetsIS3_Lb0EPsN6thrust23THRUST_200600_302600_NS10device_ptrIlEEjNS0_19identity_decomposerEEE10hipError_tT1_T2_PT3_SG_jT4_jjP12ihipStream_tbEUlT_E_NS1_11comp_targetILNS1_3genE5ELNS1_11target_archE942ELNS1_3gpuE9ELNS1_3repE0EEENS1_52radix_sort_onesweep_histogram_config_static_selectorELNS0_4arch9wavefront6targetE1EEEvSE_.num_named_barrier, 0
	.set _ZN7rocprim17ROCPRIM_400000_NS6detail17trampoline_kernelINS0_14default_configENS1_35radix_sort_onesweep_config_selectorIslEEZNS1_34radix_sort_onesweep_global_offsetsIS3_Lb0EPsN6thrust23THRUST_200600_302600_NS10device_ptrIlEEjNS0_19identity_decomposerEEE10hipError_tT1_T2_PT3_SG_jT4_jjP12ihipStream_tbEUlT_E_NS1_11comp_targetILNS1_3genE5ELNS1_11target_archE942ELNS1_3gpuE9ELNS1_3repE0EEENS1_52radix_sort_onesweep_histogram_config_static_selectorELNS0_4arch9wavefront6targetE1EEEvSE_.private_seg_size, 0
	.set _ZN7rocprim17ROCPRIM_400000_NS6detail17trampoline_kernelINS0_14default_configENS1_35radix_sort_onesweep_config_selectorIslEEZNS1_34radix_sort_onesweep_global_offsetsIS3_Lb0EPsN6thrust23THRUST_200600_302600_NS10device_ptrIlEEjNS0_19identity_decomposerEEE10hipError_tT1_T2_PT3_SG_jT4_jjP12ihipStream_tbEUlT_E_NS1_11comp_targetILNS1_3genE5ELNS1_11target_archE942ELNS1_3gpuE9ELNS1_3repE0EEENS1_52radix_sort_onesweep_histogram_config_static_selectorELNS0_4arch9wavefront6targetE1EEEvSE_.uses_vcc, 0
	.set _ZN7rocprim17ROCPRIM_400000_NS6detail17trampoline_kernelINS0_14default_configENS1_35radix_sort_onesweep_config_selectorIslEEZNS1_34radix_sort_onesweep_global_offsetsIS3_Lb0EPsN6thrust23THRUST_200600_302600_NS10device_ptrIlEEjNS0_19identity_decomposerEEE10hipError_tT1_T2_PT3_SG_jT4_jjP12ihipStream_tbEUlT_E_NS1_11comp_targetILNS1_3genE5ELNS1_11target_archE942ELNS1_3gpuE9ELNS1_3repE0EEENS1_52radix_sort_onesweep_histogram_config_static_selectorELNS0_4arch9wavefront6targetE1EEEvSE_.uses_flat_scratch, 0
	.set _ZN7rocprim17ROCPRIM_400000_NS6detail17trampoline_kernelINS0_14default_configENS1_35radix_sort_onesweep_config_selectorIslEEZNS1_34radix_sort_onesweep_global_offsetsIS3_Lb0EPsN6thrust23THRUST_200600_302600_NS10device_ptrIlEEjNS0_19identity_decomposerEEE10hipError_tT1_T2_PT3_SG_jT4_jjP12ihipStream_tbEUlT_E_NS1_11comp_targetILNS1_3genE5ELNS1_11target_archE942ELNS1_3gpuE9ELNS1_3repE0EEENS1_52radix_sort_onesweep_histogram_config_static_selectorELNS0_4arch9wavefront6targetE1EEEvSE_.has_dyn_sized_stack, 0
	.set _ZN7rocprim17ROCPRIM_400000_NS6detail17trampoline_kernelINS0_14default_configENS1_35radix_sort_onesweep_config_selectorIslEEZNS1_34radix_sort_onesweep_global_offsetsIS3_Lb0EPsN6thrust23THRUST_200600_302600_NS10device_ptrIlEEjNS0_19identity_decomposerEEE10hipError_tT1_T2_PT3_SG_jT4_jjP12ihipStream_tbEUlT_E_NS1_11comp_targetILNS1_3genE5ELNS1_11target_archE942ELNS1_3gpuE9ELNS1_3repE0EEENS1_52radix_sort_onesweep_histogram_config_static_selectorELNS0_4arch9wavefront6targetE1EEEvSE_.has_recursion, 0
	.set _ZN7rocprim17ROCPRIM_400000_NS6detail17trampoline_kernelINS0_14default_configENS1_35radix_sort_onesweep_config_selectorIslEEZNS1_34radix_sort_onesweep_global_offsetsIS3_Lb0EPsN6thrust23THRUST_200600_302600_NS10device_ptrIlEEjNS0_19identity_decomposerEEE10hipError_tT1_T2_PT3_SG_jT4_jjP12ihipStream_tbEUlT_E_NS1_11comp_targetILNS1_3genE5ELNS1_11target_archE942ELNS1_3gpuE9ELNS1_3repE0EEENS1_52radix_sort_onesweep_histogram_config_static_selectorELNS0_4arch9wavefront6targetE1EEEvSE_.has_indirect_call, 0
	.section	.AMDGPU.csdata,"",@progbits
; Kernel info:
; codeLenInByte = 0
; TotalNumSgprs: 4
; NumVgprs: 0
; ScratchSize: 0
; MemoryBound: 0
; FloatMode: 240
; IeeeMode: 1
; LDSByteSize: 0 bytes/workgroup (compile time only)
; SGPRBlocks: 0
; VGPRBlocks: 0
; NumSGPRsForWavesPerEU: 4
; NumVGPRsForWavesPerEU: 1
; Occupancy: 10
; WaveLimiterHint : 0
; COMPUTE_PGM_RSRC2:SCRATCH_EN: 0
; COMPUTE_PGM_RSRC2:USER_SGPR: 6
; COMPUTE_PGM_RSRC2:TRAP_HANDLER: 0
; COMPUTE_PGM_RSRC2:TGID_X_EN: 1
; COMPUTE_PGM_RSRC2:TGID_Y_EN: 0
; COMPUTE_PGM_RSRC2:TGID_Z_EN: 0
; COMPUTE_PGM_RSRC2:TIDIG_COMP_CNT: 0
	.section	.text._ZN7rocprim17ROCPRIM_400000_NS6detail17trampoline_kernelINS0_14default_configENS1_35radix_sort_onesweep_config_selectorIslEEZNS1_34radix_sort_onesweep_global_offsetsIS3_Lb0EPsN6thrust23THRUST_200600_302600_NS10device_ptrIlEEjNS0_19identity_decomposerEEE10hipError_tT1_T2_PT3_SG_jT4_jjP12ihipStream_tbEUlT_E_NS1_11comp_targetILNS1_3genE2ELNS1_11target_archE906ELNS1_3gpuE6ELNS1_3repE0EEENS1_52radix_sort_onesweep_histogram_config_static_selectorELNS0_4arch9wavefront6targetE1EEEvSE_,"axG",@progbits,_ZN7rocprim17ROCPRIM_400000_NS6detail17trampoline_kernelINS0_14default_configENS1_35radix_sort_onesweep_config_selectorIslEEZNS1_34radix_sort_onesweep_global_offsetsIS3_Lb0EPsN6thrust23THRUST_200600_302600_NS10device_ptrIlEEjNS0_19identity_decomposerEEE10hipError_tT1_T2_PT3_SG_jT4_jjP12ihipStream_tbEUlT_E_NS1_11comp_targetILNS1_3genE2ELNS1_11target_archE906ELNS1_3gpuE6ELNS1_3repE0EEENS1_52radix_sort_onesweep_histogram_config_static_selectorELNS0_4arch9wavefront6targetE1EEEvSE_,comdat
	.protected	_ZN7rocprim17ROCPRIM_400000_NS6detail17trampoline_kernelINS0_14default_configENS1_35radix_sort_onesweep_config_selectorIslEEZNS1_34radix_sort_onesweep_global_offsetsIS3_Lb0EPsN6thrust23THRUST_200600_302600_NS10device_ptrIlEEjNS0_19identity_decomposerEEE10hipError_tT1_T2_PT3_SG_jT4_jjP12ihipStream_tbEUlT_E_NS1_11comp_targetILNS1_3genE2ELNS1_11target_archE906ELNS1_3gpuE6ELNS1_3repE0EEENS1_52radix_sort_onesweep_histogram_config_static_selectorELNS0_4arch9wavefront6targetE1EEEvSE_ ; -- Begin function _ZN7rocprim17ROCPRIM_400000_NS6detail17trampoline_kernelINS0_14default_configENS1_35radix_sort_onesweep_config_selectorIslEEZNS1_34radix_sort_onesweep_global_offsetsIS3_Lb0EPsN6thrust23THRUST_200600_302600_NS10device_ptrIlEEjNS0_19identity_decomposerEEE10hipError_tT1_T2_PT3_SG_jT4_jjP12ihipStream_tbEUlT_E_NS1_11comp_targetILNS1_3genE2ELNS1_11target_archE906ELNS1_3gpuE6ELNS1_3repE0EEENS1_52radix_sort_onesweep_histogram_config_static_selectorELNS0_4arch9wavefront6targetE1EEEvSE_
	.globl	_ZN7rocprim17ROCPRIM_400000_NS6detail17trampoline_kernelINS0_14default_configENS1_35radix_sort_onesweep_config_selectorIslEEZNS1_34radix_sort_onesweep_global_offsetsIS3_Lb0EPsN6thrust23THRUST_200600_302600_NS10device_ptrIlEEjNS0_19identity_decomposerEEE10hipError_tT1_T2_PT3_SG_jT4_jjP12ihipStream_tbEUlT_E_NS1_11comp_targetILNS1_3genE2ELNS1_11target_archE906ELNS1_3gpuE6ELNS1_3repE0EEENS1_52radix_sort_onesweep_histogram_config_static_selectorELNS0_4arch9wavefront6targetE1EEEvSE_
	.p2align	8
	.type	_ZN7rocprim17ROCPRIM_400000_NS6detail17trampoline_kernelINS0_14default_configENS1_35radix_sort_onesweep_config_selectorIslEEZNS1_34radix_sort_onesweep_global_offsetsIS3_Lb0EPsN6thrust23THRUST_200600_302600_NS10device_ptrIlEEjNS0_19identity_decomposerEEE10hipError_tT1_T2_PT3_SG_jT4_jjP12ihipStream_tbEUlT_E_NS1_11comp_targetILNS1_3genE2ELNS1_11target_archE906ELNS1_3gpuE6ELNS1_3repE0EEENS1_52radix_sort_onesweep_histogram_config_static_selectorELNS0_4arch9wavefront6targetE1EEEvSE_,@function
_ZN7rocprim17ROCPRIM_400000_NS6detail17trampoline_kernelINS0_14default_configENS1_35radix_sort_onesweep_config_selectorIslEEZNS1_34radix_sort_onesweep_global_offsetsIS3_Lb0EPsN6thrust23THRUST_200600_302600_NS10device_ptrIlEEjNS0_19identity_decomposerEEE10hipError_tT1_T2_PT3_SG_jT4_jjP12ihipStream_tbEUlT_E_NS1_11comp_targetILNS1_3genE2ELNS1_11target_archE906ELNS1_3gpuE6ELNS1_3repE0EEENS1_52radix_sort_onesweep_histogram_config_static_selectorELNS0_4arch9wavefront6targetE1EEEvSE_: ; @_ZN7rocprim17ROCPRIM_400000_NS6detail17trampoline_kernelINS0_14default_configENS1_35radix_sort_onesweep_config_selectorIslEEZNS1_34radix_sort_onesweep_global_offsetsIS3_Lb0EPsN6thrust23THRUST_200600_302600_NS10device_ptrIlEEjNS0_19identity_decomposerEEE10hipError_tT1_T2_PT3_SG_jT4_jjP12ihipStream_tbEUlT_E_NS1_11comp_targetILNS1_3genE2ELNS1_11target_archE906ELNS1_3gpuE6ELNS1_3repE0EEENS1_52radix_sort_onesweep_histogram_config_static_selectorELNS0_4arch9wavefront6targetE1EEEvSE_
; %bb.0:
	s_load_dword s7, s[4:5], 0x14
	s_load_dwordx4 s[8:11], s[4:5], 0x0
	s_load_dwordx2 s[2:3], s[4:5], 0x1c
	s_mul_i32 s12, s6, 0xc00
	s_mov_b64 s[0:1], -1
	s_waitcnt lgkmcnt(0)
	s_cmp_ge_u32 s6, s7
	s_cbranch_scc0 .LBB1383_63
; %bb.1:
	s_load_dword s4, s[4:5], 0x10
	s_mulk_i32 s7, 0xf400
	s_mov_b32 s13, 0
	s_lshl_b64 s[0:1], s[12:13], 1
	v_mov_b32_e32 v1, 0
	s_waitcnt lgkmcnt(0)
	s_add_i32 s13, s4, s7
	s_add_u32 s0, s8, s0
	v_cmp_gt_u32_e32 vcc, s13, v0
	s_addc_u32 s1, s9, s1
	v_mov_b32_e32 v2, v1
	v_mov_b32_e32 v3, v1
	s_and_saveexec_b64 s[4:5], vcc
	s_cbranch_execz .LBB1383_3
; %bb.2:
	v_lshlrev_b32_e32 v2, 1, v0
	global_load_ushort v2, v2, s[0:1]
	v_mov_b32_e32 v3, v1
	v_mov_b32_e32 v4, v1
	s_waitcnt vmcnt(0)
	v_and_b32_e32 v2, 0xffff, v2
	v_mov_b32_e32 v1, v2
	v_mov_b32_e32 v2, v3
	;; [unrolled: 1-line block ×4, first 2 shown]
.LBB1383_3:
	s_or_b64 exec, exec, s[4:5]
	v_or_b32_e32 v9, 0x200, v0
	v_cmp_gt_u32_e32 vcc, s13, v9
	s_and_saveexec_b64 s[4:5], vcc
	s_cbranch_execz .LBB1383_5
; %bb.4:
	v_lshlrev_b32_e32 v4, 1, v0
	global_load_ushort v4, v4, s[0:1] offset:1024
	s_mov_b32 s6, 0x5040100
	s_waitcnt vmcnt(0)
	v_perm_b32 v1, v4, v1, s6
.LBB1383_5:
	s_or_b64 exec, exec, s[4:5]
	v_or_b32_e32 v8, 0x400, v0
	v_cmp_gt_u32_e32 vcc, s13, v8
	s_and_saveexec_b64 s[4:5], vcc
	s_cbranch_execz .LBB1383_7
; %bb.6:
	v_lshlrev_b32_e32 v4, 1, v0
	global_load_ushort v4, v4, s[0:1] offset:2048
	s_mov_b32 s6, 0xffff
	s_waitcnt vmcnt(0)
	v_bfi_b32 v2, s6, v4, v2
.LBB1383_7:
	s_or_b64 exec, exec, s[4:5]
	v_or_b32_e32 v7, 0x600, v0
	v_cmp_gt_u32_e32 vcc, s13, v7
	s_and_saveexec_b64 s[4:5], vcc
	s_cbranch_execz .LBB1383_9
; %bb.8:
	v_lshlrev_b32_e32 v4, 1, v0
	global_load_ushort v4, v4, s[0:1] offset:3072
	s_mov_b32 s6, 0x5040100
	s_waitcnt vmcnt(0)
	v_perm_b32 v2, v4, v2, s6
.LBB1383_9:
	s_or_b64 exec, exec, s[4:5]
	v_or_b32_e32 v6, 0x800, v0
	v_cmp_gt_u32_e32 vcc, s13, v6
	s_and_saveexec_b64 s[4:5], vcc
	s_cbranch_execz .LBB1383_11
; %bb.10:
	v_lshlrev_b32_e32 v4, 1, v6
	global_load_ushort v4, v4, s[0:1]
	s_mov_b32 s6, 0xffff
	s_waitcnt vmcnt(0)
	v_bfi_b32 v3, s6, v4, v3
.LBB1383_11:
	s_or_b64 exec, exec, s[4:5]
	v_or_b32_e32 v5, 0xa00, v0
	v_cmp_gt_u32_e32 vcc, s13, v5
	s_and_saveexec_b64 s[4:5], vcc
	s_cbranch_execz .LBB1383_13
; %bb.12:
	v_lshlrev_b32_e32 v4, 1, v5
	global_load_ushort v4, v4, s[0:1]
	s_mov_b32 s0, 0x5040100
	s_waitcnt vmcnt(0)
	v_perm_b32 v3, v4, v3, s0
.LBB1383_13:
	s_or_b64 exec, exec, s[4:5]
	v_or_b32_e32 v4, 0xfffffe00, v0
	v_lshlrev_b32_e32 v10, 2, v0
	s_mov_b64 s[0:1], 0
	v_mov_b32_e32 v11, 0
	s_movk_i32 s4, 0x5ff
.LBB1383_14:                            ; =>This Inner Loop Header: Depth=1
	v_add_u32_e32 v4, 0x200, v4
	v_cmp_lt_u32_e32 vcc, s4, v4
	ds_write_b32 v10, v11
	s_or_b64 s[0:1], vcc, s[0:1]
	v_add_u32_e32 v10, 0x800, v10
	s_andn2_b64 exec, exec, s[0:1]
	s_cbranch_execnz .LBB1383_14
; %bb.15:
	s_or_b64 exec, exec, s[0:1]
	s_cmp_le_u32 s3, s2
	s_cselect_b64 s[4:5], -1, 0
	s_and_b64 s[0:1], s[4:5], exec
	v_cmp_le_u32_e32 vcc, s13, v0
	s_cselect_b32 s16, 8, 10
	v_and_b32_e32 v4, 3, v0
	v_xor_b32_e32 v10, 0xffff8000, v1
	s_nor_b64 s[6:7], s[4:5], vcc
	v_mov_b32_e32 v11, s16
	s_waitcnt lgkmcnt(0)
	s_barrier
	s_and_saveexec_b64 s[0:1], s[6:7]
	s_cbranch_execz .LBB1383_17
; %bb.16:
	s_sub_i32 s6, s3, s2
	s_min_u32 s6, s6, 8
	v_lshrrev_b32_sdwa v11, s2, v10 dst_sel:DWORD dst_unused:UNUSED_PAD src0_sel:DWORD src1_sel:WORD_0
	v_bfe_u32 v11, v11, 0, s6
	v_lshlrev_b32_e32 v12, 2, v4
	v_lshl_or_b32 v11, v11, 4, v12
	v_mov_b32_e32 v12, 1
	ds_add_u32 v11, v12
	v_mov_b32_e32 v11, 0
.LBB1383_17:
	s_or_b64 exec, exec, s[0:1]
	v_cmp_gt_i32_e64 s[0:1], 10, v11
	s_mov_b64 s[6:7], -1
	s_and_saveexec_b64 s[14:15], s[0:1]
; %bb.18:
	v_cmp_eq_u32_e64 s[0:1], 0, v11
	s_orn2_b64 s[6:7], s[0:1], exec
; %bb.19:
	s_or_b64 exec, exec, s[14:15]
	s_and_saveexec_b64 s[0:1], s[6:7]
	s_cbranch_execz .LBB1383_22
; %bb.20:
	s_add_i32 s6, s2, 8
	s_cmp_gt_u32 s3, s6
	s_cselect_b64 s[14:15], -1, 0
	s_xor_b64 s[18:19], vcc, -1
	s_and_b64 s[14:15], s[14:15], s[18:19]
	s_and_b64 exec, exec, s[14:15]
	s_cbranch_execz .LBB1383_22
; %bb.21:
	s_sub_i32 s7, s3, s6
	s_min_u32 s7, s7, 8
	v_lshrrev_b32_sdwa v10, s6, v10 dst_sel:DWORD dst_unused:UNUSED_PAD src0_sel:DWORD src1_sel:WORD_0
	v_bfe_u32 v10, v10, 0, s7
	v_lshlrev_b32_e32 v11, 2, v4
	v_lshl_or_b32 v10, v10, 4, v11
	v_mov_b32_e32 v11, 1
	ds_add_u32 v10, v11 offset:4096
.LBB1383_22:
	s_or_b64 exec, exec, s[0:1]
	s_movk_i32 s0, 0x8000
	v_cmp_le_u32_e32 vcc, s13, v9
	v_xor_b32_sdwa v1, v1, s0 dst_sel:DWORD dst_unused:UNUSED_PAD src0_sel:WORD_1 src1_sel:DWORD
	s_nor_b64 s[6:7], s[4:5], vcc
	v_mov_b32_e32 v9, s16
	s_and_saveexec_b64 s[0:1], s[6:7]
	s_cbranch_execz .LBB1383_24
; %bb.23:
	s_sub_i32 s6, s3, s2
	s_min_u32 s6, s6, 8
	v_lshrrev_b32_sdwa v9, s2, v1 dst_sel:DWORD dst_unused:UNUSED_PAD src0_sel:DWORD src1_sel:WORD_0
	v_bfe_u32 v9, v9, 0, s6
	v_lshlrev_b32_e32 v10, 2, v4
	v_lshl_or_b32 v9, v9, 4, v10
	v_mov_b32_e32 v10, 1
	ds_add_u32 v9, v10
	v_mov_b32_e32 v9, 0
.LBB1383_24:
	s_or_b64 exec, exec, s[0:1]
	v_cmp_gt_i32_e64 s[0:1], 10, v9
	s_mov_b64 s[6:7], -1
	s_and_saveexec_b64 s[14:15], s[0:1]
; %bb.25:
	v_cmp_eq_u32_e64 s[0:1], 0, v9
	s_orn2_b64 s[6:7], s[0:1], exec
; %bb.26:
	s_or_b64 exec, exec, s[14:15]
	s_and_saveexec_b64 s[0:1], s[6:7]
	s_cbranch_execz .LBB1383_29
; %bb.27:
	s_add_i32 s6, s2, 8
	s_cmp_gt_u32 s3, s6
	s_cselect_b64 s[14:15], -1, 0
	s_xor_b64 s[18:19], vcc, -1
	s_and_b64 s[14:15], s[14:15], s[18:19]
	s_and_b64 exec, exec, s[14:15]
	s_cbranch_execz .LBB1383_29
; %bb.28:
	s_sub_i32 s7, s3, s6
	s_min_u32 s7, s7, 8
	v_lshrrev_b32_sdwa v1, s6, v1 dst_sel:DWORD dst_unused:UNUSED_PAD src0_sel:DWORD src1_sel:WORD_0
	v_bfe_u32 v1, v1, 0, s7
	v_lshlrev_b32_e32 v9, 2, v4
	v_lshl_or_b32 v1, v1, 4, v9
	v_mov_b32_e32 v9, 1
	ds_add_u32 v1, v9 offset:4096
.LBB1383_29:
	s_or_b64 exec, exec, s[0:1]
	v_cmp_le_u32_e32 vcc, s13, v8
	v_xor_b32_e32 v1, 0xffff8000, v2
	s_nor_b64 s[6:7], s[4:5], vcc
	v_mov_b32_e32 v8, s16
	s_and_saveexec_b64 s[0:1], s[6:7]
	s_cbranch_execz .LBB1383_31
; %bb.30:
	s_sub_i32 s6, s3, s2
	s_min_u32 s6, s6, 8
	v_lshrrev_b32_sdwa v8, s2, v1 dst_sel:DWORD dst_unused:UNUSED_PAD src0_sel:DWORD src1_sel:WORD_0
	v_bfe_u32 v8, v8, 0, s6
	v_lshlrev_b32_e32 v9, 2, v4
	v_lshl_or_b32 v8, v8, 4, v9
	v_mov_b32_e32 v9, 1
	ds_add_u32 v8, v9
	v_mov_b32_e32 v8, 0
.LBB1383_31:
	s_or_b64 exec, exec, s[0:1]
	v_cmp_gt_i32_e64 s[0:1], 10, v8
	s_mov_b64 s[6:7], -1
	s_and_saveexec_b64 s[14:15], s[0:1]
; %bb.32:
	v_cmp_eq_u32_e64 s[0:1], 0, v8
	s_orn2_b64 s[6:7], s[0:1], exec
; %bb.33:
	s_or_b64 exec, exec, s[14:15]
	s_and_saveexec_b64 s[0:1], s[6:7]
	s_cbranch_execz .LBB1383_36
; %bb.34:
	s_add_i32 s6, s2, 8
	s_cmp_gt_u32 s3, s6
	s_cselect_b64 s[14:15], -1, 0
	s_xor_b64 s[18:19], vcc, -1
	s_and_b64 s[14:15], s[14:15], s[18:19]
	s_and_b64 exec, exec, s[14:15]
	s_cbranch_execz .LBB1383_36
; %bb.35:
	s_sub_i32 s7, s3, s6
	s_min_u32 s7, s7, 8
	v_lshrrev_b32_sdwa v1, s6, v1 dst_sel:DWORD dst_unused:UNUSED_PAD src0_sel:DWORD src1_sel:WORD_0
	v_bfe_u32 v1, v1, 0, s7
	v_lshlrev_b32_e32 v8, 2, v4
	v_lshl_or_b32 v1, v1, 4, v8
	v_mov_b32_e32 v8, 1
	ds_add_u32 v1, v8 offset:4096
.LBB1383_36:
	s_or_b64 exec, exec, s[0:1]
	s_movk_i32 s0, 0x8000
	v_cmp_le_u32_e32 vcc, s13, v7
	v_xor_b32_sdwa v1, v2, s0 dst_sel:DWORD dst_unused:UNUSED_PAD src0_sel:WORD_1 src1_sel:DWORD
	s_nor_b64 s[6:7], s[4:5], vcc
	v_mov_b32_e32 v2, s16
	s_and_saveexec_b64 s[0:1], s[6:7]
	s_cbranch_execz .LBB1383_38
; %bb.37:
	s_sub_i32 s6, s3, s2
	s_min_u32 s6, s6, 8
	v_lshrrev_b32_sdwa v2, s2, v1 dst_sel:DWORD dst_unused:UNUSED_PAD src0_sel:DWORD src1_sel:WORD_0
	v_bfe_u32 v2, v2, 0, s6
	v_lshlrev_b32_e32 v7, 2, v4
	v_lshl_or_b32 v2, v2, 4, v7
	v_mov_b32_e32 v7, 1
	ds_add_u32 v2, v7
	v_mov_b32_e32 v2, 0
.LBB1383_38:
	s_or_b64 exec, exec, s[0:1]
	v_cmp_gt_i32_e64 s[0:1], 10, v2
	s_mov_b64 s[6:7], -1
	s_and_saveexec_b64 s[14:15], s[0:1]
; %bb.39:
	v_cmp_eq_u32_e64 s[0:1], 0, v2
	s_orn2_b64 s[6:7], s[0:1], exec
; %bb.40:
	s_or_b64 exec, exec, s[14:15]
	s_and_saveexec_b64 s[0:1], s[6:7]
	s_cbranch_execz .LBB1383_43
; %bb.41:
	s_add_i32 s6, s2, 8
	s_cmp_gt_u32 s3, s6
	s_cselect_b64 s[14:15], -1, 0
	s_xor_b64 s[18:19], vcc, -1
	s_and_b64 s[14:15], s[14:15], s[18:19]
	s_and_b64 exec, exec, s[14:15]
	s_cbranch_execz .LBB1383_43
; %bb.42:
	s_sub_i32 s7, s3, s6
	s_min_u32 s7, s7, 8
	v_lshrrev_b32_sdwa v1, s6, v1 dst_sel:DWORD dst_unused:UNUSED_PAD src0_sel:DWORD src1_sel:WORD_0
	v_bfe_u32 v1, v1, 0, s7
	v_lshlrev_b32_e32 v2, 2, v4
	v_lshl_or_b32 v1, v1, 4, v2
	v_mov_b32_e32 v2, 1
	ds_add_u32 v1, v2 offset:4096
.LBB1383_43:
	s_or_b64 exec, exec, s[0:1]
	v_cmp_le_u32_e32 vcc, s13, v6
	v_xor_b32_e32 v1, 0xffff8000, v3
	s_nor_b64 s[6:7], s[4:5], vcc
	v_mov_b32_e32 v2, s16
	s_and_saveexec_b64 s[0:1], s[6:7]
	s_cbranch_execz .LBB1383_45
; %bb.44:
	s_sub_i32 s6, s3, s2
	s_min_u32 s6, s6, 8
	v_lshrrev_b32_sdwa v2, s2, v1 dst_sel:DWORD dst_unused:UNUSED_PAD src0_sel:DWORD src1_sel:WORD_0
	v_bfe_u32 v2, v2, 0, s6
	v_lshlrev_b32_e32 v6, 2, v4
	v_lshl_or_b32 v2, v2, 4, v6
	v_mov_b32_e32 v6, 1
	ds_add_u32 v2, v6
	v_mov_b32_e32 v2, 0
.LBB1383_45:
	s_or_b64 exec, exec, s[0:1]
	v_cmp_gt_i32_e64 s[0:1], 10, v2
	s_mov_b64 s[6:7], -1
	s_and_saveexec_b64 s[14:15], s[0:1]
; %bb.46:
	v_cmp_eq_u32_e64 s[0:1], 0, v2
	s_orn2_b64 s[6:7], s[0:1], exec
; %bb.47:
	s_or_b64 exec, exec, s[14:15]
	s_and_saveexec_b64 s[0:1], s[6:7]
	s_cbranch_execz .LBB1383_50
; %bb.48:
	s_add_i32 s6, s2, 8
	s_cmp_gt_u32 s3, s6
	s_cselect_b64 s[14:15], -1, 0
	s_xor_b64 s[18:19], vcc, -1
	s_and_b64 s[14:15], s[14:15], s[18:19]
	s_and_b64 exec, exec, s[14:15]
	s_cbranch_execz .LBB1383_50
; %bb.49:
	s_sub_i32 s7, s3, s6
	s_min_u32 s7, s7, 8
	v_lshrrev_b32_sdwa v1, s6, v1 dst_sel:DWORD dst_unused:UNUSED_PAD src0_sel:DWORD src1_sel:WORD_0
	v_bfe_u32 v1, v1, 0, s7
	v_lshlrev_b32_e32 v2, 2, v4
	v_lshl_or_b32 v1, v1, 4, v2
	v_mov_b32_e32 v2, 1
	ds_add_u32 v1, v2 offset:4096
.LBB1383_50:
	s_or_b64 exec, exec, s[0:1]
	s_movk_i32 s0, 0x8000
	v_cmp_le_u32_e32 vcc, s13, v5
	v_xor_b32_sdwa v1, v3, s0 dst_sel:DWORD dst_unused:UNUSED_PAD src0_sel:WORD_1 src1_sel:DWORD
	s_nor_b64 s[4:5], s[4:5], vcc
	v_mov_b32_e32 v2, s16
	s_and_saveexec_b64 s[0:1], s[4:5]
	s_cbranch_execz .LBB1383_52
; %bb.51:
	s_sub_i32 s4, s3, s2
	s_min_u32 s4, s4, 8
	v_lshrrev_b32_sdwa v2, s2, v1 dst_sel:DWORD dst_unused:UNUSED_PAD src0_sel:DWORD src1_sel:WORD_0
	v_bfe_u32 v2, v2, 0, s4
	v_lshlrev_b32_e32 v3, 2, v4
	v_lshl_or_b32 v2, v2, 4, v3
	v_mov_b32_e32 v3, 1
	ds_add_u32 v2, v3
	v_mov_b32_e32 v2, 0
.LBB1383_52:
	s_or_b64 exec, exec, s[0:1]
	v_cmp_gt_i32_e64 s[0:1], 10, v2
	s_mov_b64 s[4:5], -1
	s_and_saveexec_b64 s[6:7], s[0:1]
; %bb.53:
	v_cmp_eq_u32_e64 s[0:1], 0, v2
	s_orn2_b64 s[4:5], s[0:1], exec
; %bb.54:
	s_or_b64 exec, exec, s[6:7]
	s_and_saveexec_b64 s[0:1], s[4:5]
	s_cbranch_execz .LBB1383_57
; %bb.55:
	s_add_i32 s4, s2, 8
	s_cmp_gt_u32 s3, s4
	s_cselect_b64 s[6:7], -1, 0
	s_xor_b64 s[14:15], vcc, -1
	s_and_b64 s[6:7], s[6:7], s[14:15]
	s_and_b64 exec, exec, s[6:7]
	s_cbranch_execz .LBB1383_57
; %bb.56:
	s_sub_i32 s5, s3, s4
	s_min_u32 s5, s5, 8
	v_lshrrev_b32_sdwa v1, s4, v1 dst_sel:DWORD dst_unused:UNUSED_PAD src0_sel:DWORD src1_sel:WORD_0
	v_bfe_u32 v1, v1, 0, s5
	v_lshlrev_b32_e32 v2, 2, v4
	v_lshl_or_b32 v1, v1, 4, v2
	v_mov_b32_e32 v2, 1
	ds_add_u32 v1, v2 offset:4096
.LBB1383_57:
	s_or_b64 exec, exec, s[0:1]
	s_cmp_gt_u32 s3, s2
	s_waitcnt lgkmcnt(0)
	s_barrier
	s_cbranch_scc0 .LBB1383_62
; %bb.58:
	s_movk_i32 s0, 0x100
	v_cmp_gt_u32_e32 vcc, s0, v0
	v_lshlrev_b32_e32 v3, 4, v0
	v_mov_b32_e32 v2, 0
	v_mov_b32_e32 v1, v0
	s_mov_b32 s6, s2
	s_branch .LBB1383_60
.LBB1383_59:                            ;   in Loop: Header=BB1383_60 Depth=1
	s_or_b64 exec, exec, s[4:5]
	s_add_i32 s6, s6, 8
	v_add_u32_e32 v1, 0x100, v1
	s_cmp_lt_u32 s6, s3
	v_add_u32_e32 v3, 0x1000, v3
	s_cbranch_scc0 .LBB1383_62
.LBB1383_60:                            ; =>This Inner Loop Header: Depth=1
	s_and_saveexec_b64 s[4:5], vcc
	s_cbranch_execz .LBB1383_59
; %bb.61:                               ;   in Loop: Header=BB1383_60 Depth=1
	ds_read2_b32 v[4:5], v3 offset1:1
	ds_read2_b32 v[6:7], v3 offset0:2 offset1:3
	v_lshlrev_b64 v[8:9], 2, v[1:2]
	v_mov_b32_e32 v10, s11
	s_waitcnt lgkmcnt(1)
	v_add_u32_e32 v4, v5, v4
	s_waitcnt lgkmcnt(0)
	v_add3_u32 v6, v4, v6, v7
	v_add_co_u32_e64 v4, s[0:1], s10, v8
	v_addc_co_u32_e64 v5, s[0:1], v10, v9, s[0:1]
	global_atomic_add v[4:5], v6, off
	s_branch .LBB1383_59
.LBB1383_62:
	s_mov_b64 s[0:1], 0
.LBB1383_63:
	s_and_b64 vcc, exec, s[0:1]
	s_cbranch_vccz .LBB1383_92
; %bb.64:
	s_cmp_eq_u32 s2, 0
	s_cselect_b64 s[0:1], -1, 0
	s_cmp_eq_u32 s3, 16
	s_mov_b32 s13, 0
	s_cselect_b64 s[4:5], -1, 0
	s_and_b64 s[4:5], s[0:1], s[4:5]
	s_lshl_b64 s[0:1], s[12:13], 1
	s_add_u32 s0, s8, s0
	s_addc_u32 s1, s9, s1
	v_lshlrev_b32_e32 v9, 1, v0
	v_mov_b32_e32 v1, s1
	v_add_co_u32_e32 v2, vcc, s0, v9
	v_addc_co_u32_e32 v3, vcc, 0, v1, vcc
	v_add_co_u32_e32 v1, vcc, 0x1000, v2
	v_addc_co_u32_e32 v2, vcc, 0, v3, vcc
	global_load_ushort v3, v9, s[0:1]
	global_load_ushort v4, v9, s[0:1] offset:1024
	global_load_ushort v5, v9, s[0:1] offset:2048
	;; [unrolled: 1-line block ×3, first 2 shown]
	global_load_ushort v7, v[1:2], off
	global_load_ushort v8, v[1:2], off offset:1024
	v_mov_b32_e32 v1, 0
	s_mov_b64 s[0:1], -1
	s_and_b64 vcc, exec, s[4:5]
	v_lshlrev_b32_e32 v9, 2, v0
	s_cbranch_vccnz .LBB1383_87
; %bb.65:
	v_or_b32_e32 v2, 0xfffffe00, v0
	v_lshlrev_b32_e32 v10, 2, v0
	s_mov_b64 s[0:1], 0
	s_movk_i32 s4, 0x5ff
.LBB1383_66:                            ; =>This Inner Loop Header: Depth=1
	v_add_u32_e32 v2, 0x200, v2
	v_cmp_lt_u32_e32 vcc, s4, v2
	ds_write_b32 v10, v1
	s_or_b64 s[0:1], vcc, s[0:1]
	v_add_u32_e32 v10, 0x800, v10
	s_andn2_b64 exec, exec, s[0:1]
	s_cbranch_execnz .LBB1383_66
; %bb.67:
	s_or_b64 exec, exec, s[0:1]
	s_cmp_gt_u32 s3, s2
	s_cselect_b64 s[0:1], -1, 0
	s_and_b64 vcc, exec, s[0:1]
	s_waitcnt vmcnt(0) lgkmcnt(0)
	s_barrier
	s_cbranch_vccz .LBB1383_81
; %bb.68:
	s_sub_i32 s4, s3, s2
	s_min_u32 s4, s4, 8
	v_xor_b32_e32 v11, 0xffff8000, v3
	s_lshl_b32 s4, -1, s4
	v_and_b32_e32 v1, 3, v0
	s_not_b32 s8, s4
	v_lshrrev_b32_sdwa v2, s2, v11 dst_sel:DWORD dst_unused:UNUSED_PAD src0_sel:DWORD src1_sel:WORD_0
	v_and_b32_e32 v12, s8, v2
	v_lshlrev_b32_e32 v2, 2, v1
	v_lshl_or_b32 v12, v12, 4, v2
	v_mov_b32_e32 v13, 1
	ds_add_u32 v12, v13
	s_add_i32 s9, s2, 8
	s_cmp_le_u32 s3, s9
	v_xor_b32_e32 v10, 0xffff8000, v4
	s_cselect_b64 s[4:5], -1, 0
	s_and_b64 vcc, exec, s[4:5]
	v_lshrrev_b32_sdwa v12, s2, v10 dst_sel:DWORD dst_unused:UNUSED_PAD src0_sel:DWORD src1_sel:WORD_0
	s_cbranch_vccz .LBB1383_70
; %bb.69:
	v_and_b32_e32 v13, s8, v12
	v_lshlrev_b32_e32 v13, 4, v13
	s_cbranch_execz .LBB1383_71
	s_branch .LBB1383_72
.LBB1383_70:
                                        ; implicit-def: $vgpr13
.LBB1383_71:
	s_sub_i32 s6, s3, s9
	s_min_u32 s6, s6, 8
	s_lshl_b32 s6, -1, s6
	s_not_b32 s6, s6
	v_lshrrev_b32_sdwa v11, s9, v11 dst_sel:DWORD dst_unused:UNUSED_PAD src0_sel:DWORD src1_sel:WORD_0
	v_and_b32_e32 v11, s6, v11
	v_lshl_or_b32 v11, v11, 4, v2
	v_mov_b32_e32 v13, 1
	ds_add_u32 v11, v13 offset:4096
	v_and_b32_e32 v11, s8, v12
	v_lshl_or_b32 v11, v11, 4, v2
	ds_add_u32 v11, v13
	v_lshrrev_b32_sdwa v10, s9, v10 dst_sel:DWORD dst_unused:UNUSED_PAD src0_sel:DWORD src1_sel:WORD_0
	v_and_b32_e32 v10, s6, v10
	v_mov_b32_e32 v11, 0x1000
	v_lshl_add_u32 v13, v10, 4, v11
.LBB1383_72:
	v_xor_b32_e32 v11, 0xffff8000, v5
	v_add_u32_e32 v12, v13, v2
	v_mov_b32_e32 v13, 1
	ds_add_u32 v12, v13
	v_lshrrev_b32_sdwa v12, s2, v11 dst_sel:DWORD dst_unused:UNUSED_PAD src0_sel:DWORD src1_sel:WORD_0
	v_and_b32_e32 v12, s8, v12
	v_lshl_or_b32 v12, v12, 4, v2
	ds_add_u32 v12, v13
	v_xor_b32_e32 v10, 0xffff8000, v6
	s_and_b64 vcc, exec, s[4:5]
	v_lshrrev_b32_sdwa v12, s2, v10 dst_sel:DWORD dst_unused:UNUSED_PAD src0_sel:DWORD src1_sel:WORD_0
	s_cbranch_vccz .LBB1383_74
; %bb.73:
	v_and_b32_e32 v13, s8, v12
	v_lshlrev_b32_e32 v13, 4, v13
	s_cbranch_execz .LBB1383_75
	s_branch .LBB1383_76
.LBB1383_74:
                                        ; implicit-def: $vgpr13
.LBB1383_75:
	s_sub_i32 s6, s3, s9
	s_min_u32 s6, s6, 8
	s_lshl_b32 s6, -1, s6
	s_not_b32 s6, s6
	v_lshrrev_b32_sdwa v11, s9, v11 dst_sel:DWORD dst_unused:UNUSED_PAD src0_sel:DWORD src1_sel:WORD_0
	v_and_b32_e32 v11, s6, v11
	v_lshl_or_b32 v11, v11, 4, v2
	v_mov_b32_e32 v13, 1
	ds_add_u32 v11, v13 offset:4096
	v_and_b32_e32 v11, s8, v12
	v_lshl_or_b32 v11, v11, 4, v2
	ds_add_u32 v11, v13
	v_lshrrev_b32_sdwa v10, s9, v10 dst_sel:DWORD dst_unused:UNUSED_PAD src0_sel:DWORD src1_sel:WORD_0
	v_and_b32_e32 v10, s6, v10
	v_mov_b32_e32 v11, 0x1000
	v_lshl_add_u32 v13, v10, 4, v11
.LBB1383_76:
	v_xor_b32_e32 v11, 0xffff8000, v7
	v_add_u32_e32 v12, v13, v2
	v_mov_b32_e32 v13, 1
	ds_add_u32 v12, v13
	v_lshrrev_b32_sdwa v12, s2, v11 dst_sel:DWORD dst_unused:UNUSED_PAD src0_sel:DWORD src1_sel:WORD_0
	v_and_b32_e32 v12, s8, v12
	v_lshl_or_b32 v12, v12, 4, v2
	ds_add_u32 v12, v13
	v_xor_b32_e32 v10, 0xffff8000, v8
	s_and_b64 vcc, exec, s[4:5]
	v_lshrrev_b32_sdwa v12, s2, v10 dst_sel:DWORD dst_unused:UNUSED_PAD src0_sel:DWORD src1_sel:WORD_0
	s_cbranch_vccz .LBB1383_78
; %bb.77:
	v_and_b32_e32 v13, s8, v12
	v_lshlrev_b32_e32 v13, 4, v13
	s_cbranch_execz .LBB1383_79
	s_branch .LBB1383_80
.LBB1383_78:
                                        ; implicit-def: $vgpr13
.LBB1383_79:
	s_sub_i32 s4, s3, s9
	s_min_u32 s4, s4, 8
	s_lshl_b32 s4, -1, s4
	s_not_b32 s4, s4
	v_lshrrev_b32_sdwa v11, s9, v11 dst_sel:DWORD dst_unused:UNUSED_PAD src0_sel:DWORD src1_sel:WORD_0
	v_and_b32_e32 v11, s4, v11
	v_lshl_or_b32 v11, v11, 4, v2
	v_mov_b32_e32 v13, 1
	ds_add_u32 v11, v13 offset:4096
	v_and_b32_e32 v11, s8, v12
	v_lshl_or_b32 v2, v11, 4, v2
	ds_add_u32 v2, v13
	v_lshrrev_b32_sdwa v2, s9, v10 dst_sel:DWORD dst_unused:UNUSED_PAD src0_sel:DWORD src1_sel:WORD_0
	v_and_b32_e32 v2, s4, v2
	v_mov_b32_e32 v10, 0x1000
	v_lshl_add_u32 v13, v2, 4, v10
.LBB1383_80:
	v_lshl_add_u32 v1, v1, 2, v13
	v_mov_b32_e32 v2, 1
	ds_add_u32 v1, v2
.LBB1383_81:
	s_and_b64 vcc, exec, s[0:1]
	s_waitcnt lgkmcnt(0)
	s_barrier
	s_cbranch_vccz .LBB1383_86
; %bb.82:
	s_movk_i32 s0, 0x100
	v_cmp_gt_u32_e32 vcc, s0, v0
	v_lshlrev_b32_e32 v10, 4, v0
	v_mov_b32_e32 v2, 0
	v_mov_b32_e32 v1, v0
	s_branch .LBB1383_84
.LBB1383_83:                            ;   in Loop: Header=BB1383_84 Depth=1
	s_or_b64 exec, exec, s[4:5]
	s_add_i32 s2, s2, 8
	v_add_u32_e32 v1, 0x100, v1
	s_cmp_ge_u32 s2, s3
	v_add_u32_e32 v10, 0x1000, v10
	s_cbranch_scc1 .LBB1383_86
.LBB1383_84:                            ; =>This Inner Loop Header: Depth=1
	s_and_saveexec_b64 s[4:5], vcc
	s_cbranch_execz .LBB1383_83
; %bb.85:                               ;   in Loop: Header=BB1383_84 Depth=1
	ds_read2_b32 v[11:12], v10 offset1:1
	ds_read2_b32 v[13:14], v10 offset0:2 offset1:3
	v_lshlrev_b64 v[15:16], 2, v[1:2]
	v_mov_b32_e32 v17, s11
	s_waitcnt lgkmcnt(1)
	v_add_u32_e32 v11, v12, v11
	s_waitcnt lgkmcnt(0)
	v_add3_u32 v13, v11, v13, v14
	v_add_co_u32_e64 v11, s[0:1], s10, v15
	v_addc_co_u32_e64 v12, s[0:1], v17, v16, s[0:1]
	global_atomic_add v[11:12], v13, off
	s_branch .LBB1383_83
.LBB1383_86:
	s_mov_b64 s[0:1], 0
.LBB1383_87:
	s_and_b64 vcc, exec, s[0:1]
	s_cbranch_vccz .LBB1383_92
; %bb.88:
	v_or_b32_e32 v1, 0xfffffe00, v0
	s_mov_b64 s[0:1], 0
	v_mov_b32_e32 v2, 0
	s_movk_i32 s2, 0x5ff
.LBB1383_89:                            ; =>This Inner Loop Header: Depth=1
	v_add_u32_e32 v1, 0x200, v1
	v_cmp_lt_u32_e32 vcc, s2, v1
	ds_write_b32 v9, v2
	s_or_b64 s[0:1], vcc, s[0:1]
	v_add_u32_e32 v9, 0x800, v9
	s_andn2_b64 exec, exec, s[0:1]
	s_cbranch_execnz .LBB1383_89
; %bb.90:
	s_or_b64 exec, exec, s[0:1]
	s_waitcnt vmcnt(5)
	v_xor_b32_e32 v1, 0xffff8000, v3
	s_waitcnt vmcnt(3)
	v_xor_b32_e32 v3, 0xffff8000, v5
	;; [unrolled: 2-line block ×3, first 2 shown]
	v_and_b32_e32 v7, 3, v0
	v_and_b32_e32 v1, 0xffff, v1
	v_xor_b32_e32 v2, 0xffff8000, v4
	v_xor_b32_e32 v4, 0xffff8000, v6
	s_waitcnt vmcnt(0)
	v_xor_b32_e32 v6, 0xffff8000, v8
	v_lshlrev_b32_e32 v8, 4, v1
	v_lshlrev_b32_e32 v7, 2, v7
	s_movk_i32 s0, 0xff0
	v_and_or_b32 v8, v8, s0, v7
	v_mov_b32_e32 v9, 1
	v_bfe_u32 v1, v1, 8, 8
	s_waitcnt lgkmcnt(0)
	s_barrier
	ds_add_u32 v8, v9
	v_lshl_or_b32 v1, v1, 4, v7
	ds_add_u32 v1, v9 offset:4096
	v_and_b32_e32 v1, 0xffff, v2
	v_lshlrev_b32_e32 v2, 4, v1
	v_and_or_b32 v2, v2, s0, v7
	v_bfe_u32 v1, v1, 8, 8
	ds_add_u32 v2, v9
	v_lshl_or_b32 v1, v1, 4, v7
	ds_add_u32 v1, v9 offset:4096
	v_and_b32_e32 v1, 0xffff, v3
	v_lshlrev_b32_e32 v2, 4, v1
	v_and_or_b32 v2, v2, s0, v7
	v_bfe_u32 v1, v1, 8, 8
	;; [unrolled: 7-line block ×5, first 2 shown]
	ds_add_u32 v2, v9
	v_lshl_or_b32 v1, v1, 4, v7
	ds_add_u32 v1, v9 offset:4096
	s_movk_i32 s0, 0x100
	v_cmp_gt_u32_e32 vcc, s0, v0
	s_waitcnt lgkmcnt(0)
	s_barrier
	s_and_saveexec_b64 s[0:1], vcc
	s_cbranch_execz .LBB1383_92
; %bb.91:
	v_lshlrev_b32_e32 v5, 4, v0
	ds_read2_b32 v[1:2], v5 offset1:1
	ds_read2_b32 v[3:4], v5 offset0:2 offset1:3
	v_lshlrev_b32_e32 v6, 2, v0
	v_add_u32_e32 v0, 0x1000, v5
	s_waitcnt lgkmcnt(1)
	v_add_u32_e32 v1, v2, v1
	s_waitcnt lgkmcnt(0)
	v_add3_u32 v1, v1, v3, v4
	global_atomic_add v6, v1, s[10:11]
	v_add_u32_e32 v2, 0x1008, v5
	ds_read2_b32 v[0:1], v0 offset1:1
	ds_read2_b32 v[2:3], v2 offset1:1
	s_waitcnt lgkmcnt(1)
	v_add_u32_e32 v0, v1, v0
	s_waitcnt lgkmcnt(0)
	v_add3_u32 v0, v0, v2, v3
	global_atomic_add v6, v0, s[10:11] offset:1024
.LBB1383_92:
	s_endpgm
	.section	.rodata,"a",@progbits
	.p2align	6, 0x0
	.amdhsa_kernel _ZN7rocprim17ROCPRIM_400000_NS6detail17trampoline_kernelINS0_14default_configENS1_35radix_sort_onesweep_config_selectorIslEEZNS1_34radix_sort_onesweep_global_offsetsIS3_Lb0EPsN6thrust23THRUST_200600_302600_NS10device_ptrIlEEjNS0_19identity_decomposerEEE10hipError_tT1_T2_PT3_SG_jT4_jjP12ihipStream_tbEUlT_E_NS1_11comp_targetILNS1_3genE2ELNS1_11target_archE906ELNS1_3gpuE6ELNS1_3repE0EEENS1_52radix_sort_onesweep_histogram_config_static_selectorELNS0_4arch9wavefront6targetE1EEEvSE_
		.amdhsa_group_segment_fixed_size 8192
		.amdhsa_private_segment_fixed_size 0
		.amdhsa_kernarg_size 40
		.amdhsa_user_sgpr_count 6
		.amdhsa_user_sgpr_private_segment_buffer 1
		.amdhsa_user_sgpr_dispatch_ptr 0
		.amdhsa_user_sgpr_queue_ptr 0
		.amdhsa_user_sgpr_kernarg_segment_ptr 1
		.amdhsa_user_sgpr_dispatch_id 0
		.amdhsa_user_sgpr_flat_scratch_init 0
		.amdhsa_user_sgpr_private_segment_size 0
		.amdhsa_uses_dynamic_stack 0
		.amdhsa_system_sgpr_private_segment_wavefront_offset 0
		.amdhsa_system_sgpr_workgroup_id_x 1
		.amdhsa_system_sgpr_workgroup_id_y 0
		.amdhsa_system_sgpr_workgroup_id_z 0
		.amdhsa_system_sgpr_workgroup_info 0
		.amdhsa_system_vgpr_workitem_id 0
		.amdhsa_next_free_vgpr 18
		.amdhsa_next_free_sgpr 20
		.amdhsa_reserve_vcc 1
		.amdhsa_reserve_flat_scratch 0
		.amdhsa_float_round_mode_32 0
		.amdhsa_float_round_mode_16_64 0
		.amdhsa_float_denorm_mode_32 3
		.amdhsa_float_denorm_mode_16_64 3
		.amdhsa_dx10_clamp 1
		.amdhsa_ieee_mode 1
		.amdhsa_fp16_overflow 0
		.amdhsa_exception_fp_ieee_invalid_op 0
		.amdhsa_exception_fp_denorm_src 0
		.amdhsa_exception_fp_ieee_div_zero 0
		.amdhsa_exception_fp_ieee_overflow 0
		.amdhsa_exception_fp_ieee_underflow 0
		.amdhsa_exception_fp_ieee_inexact 0
		.amdhsa_exception_int_div_zero 0
	.end_amdhsa_kernel
	.section	.text._ZN7rocprim17ROCPRIM_400000_NS6detail17trampoline_kernelINS0_14default_configENS1_35radix_sort_onesweep_config_selectorIslEEZNS1_34radix_sort_onesweep_global_offsetsIS3_Lb0EPsN6thrust23THRUST_200600_302600_NS10device_ptrIlEEjNS0_19identity_decomposerEEE10hipError_tT1_T2_PT3_SG_jT4_jjP12ihipStream_tbEUlT_E_NS1_11comp_targetILNS1_3genE2ELNS1_11target_archE906ELNS1_3gpuE6ELNS1_3repE0EEENS1_52radix_sort_onesweep_histogram_config_static_selectorELNS0_4arch9wavefront6targetE1EEEvSE_,"axG",@progbits,_ZN7rocprim17ROCPRIM_400000_NS6detail17trampoline_kernelINS0_14default_configENS1_35radix_sort_onesweep_config_selectorIslEEZNS1_34radix_sort_onesweep_global_offsetsIS3_Lb0EPsN6thrust23THRUST_200600_302600_NS10device_ptrIlEEjNS0_19identity_decomposerEEE10hipError_tT1_T2_PT3_SG_jT4_jjP12ihipStream_tbEUlT_E_NS1_11comp_targetILNS1_3genE2ELNS1_11target_archE906ELNS1_3gpuE6ELNS1_3repE0EEENS1_52radix_sort_onesweep_histogram_config_static_selectorELNS0_4arch9wavefront6targetE1EEEvSE_,comdat
.Lfunc_end1383:
	.size	_ZN7rocprim17ROCPRIM_400000_NS6detail17trampoline_kernelINS0_14default_configENS1_35radix_sort_onesweep_config_selectorIslEEZNS1_34radix_sort_onesweep_global_offsetsIS3_Lb0EPsN6thrust23THRUST_200600_302600_NS10device_ptrIlEEjNS0_19identity_decomposerEEE10hipError_tT1_T2_PT3_SG_jT4_jjP12ihipStream_tbEUlT_E_NS1_11comp_targetILNS1_3genE2ELNS1_11target_archE906ELNS1_3gpuE6ELNS1_3repE0EEENS1_52radix_sort_onesweep_histogram_config_static_selectorELNS0_4arch9wavefront6targetE1EEEvSE_, .Lfunc_end1383-_ZN7rocprim17ROCPRIM_400000_NS6detail17trampoline_kernelINS0_14default_configENS1_35radix_sort_onesweep_config_selectorIslEEZNS1_34radix_sort_onesweep_global_offsetsIS3_Lb0EPsN6thrust23THRUST_200600_302600_NS10device_ptrIlEEjNS0_19identity_decomposerEEE10hipError_tT1_T2_PT3_SG_jT4_jjP12ihipStream_tbEUlT_E_NS1_11comp_targetILNS1_3genE2ELNS1_11target_archE906ELNS1_3gpuE6ELNS1_3repE0EEENS1_52radix_sort_onesweep_histogram_config_static_selectorELNS0_4arch9wavefront6targetE1EEEvSE_
                                        ; -- End function
	.set _ZN7rocprim17ROCPRIM_400000_NS6detail17trampoline_kernelINS0_14default_configENS1_35radix_sort_onesweep_config_selectorIslEEZNS1_34radix_sort_onesweep_global_offsetsIS3_Lb0EPsN6thrust23THRUST_200600_302600_NS10device_ptrIlEEjNS0_19identity_decomposerEEE10hipError_tT1_T2_PT3_SG_jT4_jjP12ihipStream_tbEUlT_E_NS1_11comp_targetILNS1_3genE2ELNS1_11target_archE906ELNS1_3gpuE6ELNS1_3repE0EEENS1_52radix_sort_onesweep_histogram_config_static_selectorELNS0_4arch9wavefront6targetE1EEEvSE_.num_vgpr, 18
	.set _ZN7rocprim17ROCPRIM_400000_NS6detail17trampoline_kernelINS0_14default_configENS1_35radix_sort_onesweep_config_selectorIslEEZNS1_34radix_sort_onesweep_global_offsetsIS3_Lb0EPsN6thrust23THRUST_200600_302600_NS10device_ptrIlEEjNS0_19identity_decomposerEEE10hipError_tT1_T2_PT3_SG_jT4_jjP12ihipStream_tbEUlT_E_NS1_11comp_targetILNS1_3genE2ELNS1_11target_archE906ELNS1_3gpuE6ELNS1_3repE0EEENS1_52radix_sort_onesweep_histogram_config_static_selectorELNS0_4arch9wavefront6targetE1EEEvSE_.num_agpr, 0
	.set _ZN7rocprim17ROCPRIM_400000_NS6detail17trampoline_kernelINS0_14default_configENS1_35radix_sort_onesweep_config_selectorIslEEZNS1_34radix_sort_onesweep_global_offsetsIS3_Lb0EPsN6thrust23THRUST_200600_302600_NS10device_ptrIlEEjNS0_19identity_decomposerEEE10hipError_tT1_T2_PT3_SG_jT4_jjP12ihipStream_tbEUlT_E_NS1_11comp_targetILNS1_3genE2ELNS1_11target_archE906ELNS1_3gpuE6ELNS1_3repE0EEENS1_52radix_sort_onesweep_histogram_config_static_selectorELNS0_4arch9wavefront6targetE1EEEvSE_.numbered_sgpr, 20
	.set _ZN7rocprim17ROCPRIM_400000_NS6detail17trampoline_kernelINS0_14default_configENS1_35radix_sort_onesweep_config_selectorIslEEZNS1_34radix_sort_onesweep_global_offsetsIS3_Lb0EPsN6thrust23THRUST_200600_302600_NS10device_ptrIlEEjNS0_19identity_decomposerEEE10hipError_tT1_T2_PT3_SG_jT4_jjP12ihipStream_tbEUlT_E_NS1_11comp_targetILNS1_3genE2ELNS1_11target_archE906ELNS1_3gpuE6ELNS1_3repE0EEENS1_52radix_sort_onesweep_histogram_config_static_selectorELNS0_4arch9wavefront6targetE1EEEvSE_.num_named_barrier, 0
	.set _ZN7rocprim17ROCPRIM_400000_NS6detail17trampoline_kernelINS0_14default_configENS1_35radix_sort_onesweep_config_selectorIslEEZNS1_34radix_sort_onesweep_global_offsetsIS3_Lb0EPsN6thrust23THRUST_200600_302600_NS10device_ptrIlEEjNS0_19identity_decomposerEEE10hipError_tT1_T2_PT3_SG_jT4_jjP12ihipStream_tbEUlT_E_NS1_11comp_targetILNS1_3genE2ELNS1_11target_archE906ELNS1_3gpuE6ELNS1_3repE0EEENS1_52radix_sort_onesweep_histogram_config_static_selectorELNS0_4arch9wavefront6targetE1EEEvSE_.private_seg_size, 0
	.set _ZN7rocprim17ROCPRIM_400000_NS6detail17trampoline_kernelINS0_14default_configENS1_35radix_sort_onesweep_config_selectorIslEEZNS1_34radix_sort_onesweep_global_offsetsIS3_Lb0EPsN6thrust23THRUST_200600_302600_NS10device_ptrIlEEjNS0_19identity_decomposerEEE10hipError_tT1_T2_PT3_SG_jT4_jjP12ihipStream_tbEUlT_E_NS1_11comp_targetILNS1_3genE2ELNS1_11target_archE906ELNS1_3gpuE6ELNS1_3repE0EEENS1_52radix_sort_onesweep_histogram_config_static_selectorELNS0_4arch9wavefront6targetE1EEEvSE_.uses_vcc, 1
	.set _ZN7rocprim17ROCPRIM_400000_NS6detail17trampoline_kernelINS0_14default_configENS1_35radix_sort_onesweep_config_selectorIslEEZNS1_34radix_sort_onesweep_global_offsetsIS3_Lb0EPsN6thrust23THRUST_200600_302600_NS10device_ptrIlEEjNS0_19identity_decomposerEEE10hipError_tT1_T2_PT3_SG_jT4_jjP12ihipStream_tbEUlT_E_NS1_11comp_targetILNS1_3genE2ELNS1_11target_archE906ELNS1_3gpuE6ELNS1_3repE0EEENS1_52radix_sort_onesweep_histogram_config_static_selectorELNS0_4arch9wavefront6targetE1EEEvSE_.uses_flat_scratch, 0
	.set _ZN7rocprim17ROCPRIM_400000_NS6detail17trampoline_kernelINS0_14default_configENS1_35radix_sort_onesweep_config_selectorIslEEZNS1_34radix_sort_onesweep_global_offsetsIS3_Lb0EPsN6thrust23THRUST_200600_302600_NS10device_ptrIlEEjNS0_19identity_decomposerEEE10hipError_tT1_T2_PT3_SG_jT4_jjP12ihipStream_tbEUlT_E_NS1_11comp_targetILNS1_3genE2ELNS1_11target_archE906ELNS1_3gpuE6ELNS1_3repE0EEENS1_52radix_sort_onesweep_histogram_config_static_selectorELNS0_4arch9wavefront6targetE1EEEvSE_.has_dyn_sized_stack, 0
	.set _ZN7rocprim17ROCPRIM_400000_NS6detail17trampoline_kernelINS0_14default_configENS1_35radix_sort_onesweep_config_selectorIslEEZNS1_34radix_sort_onesweep_global_offsetsIS3_Lb0EPsN6thrust23THRUST_200600_302600_NS10device_ptrIlEEjNS0_19identity_decomposerEEE10hipError_tT1_T2_PT3_SG_jT4_jjP12ihipStream_tbEUlT_E_NS1_11comp_targetILNS1_3genE2ELNS1_11target_archE906ELNS1_3gpuE6ELNS1_3repE0EEENS1_52radix_sort_onesweep_histogram_config_static_selectorELNS0_4arch9wavefront6targetE1EEEvSE_.has_recursion, 0
	.set _ZN7rocprim17ROCPRIM_400000_NS6detail17trampoline_kernelINS0_14default_configENS1_35radix_sort_onesweep_config_selectorIslEEZNS1_34radix_sort_onesweep_global_offsetsIS3_Lb0EPsN6thrust23THRUST_200600_302600_NS10device_ptrIlEEjNS0_19identity_decomposerEEE10hipError_tT1_T2_PT3_SG_jT4_jjP12ihipStream_tbEUlT_E_NS1_11comp_targetILNS1_3genE2ELNS1_11target_archE906ELNS1_3gpuE6ELNS1_3repE0EEENS1_52radix_sort_onesweep_histogram_config_static_selectorELNS0_4arch9wavefront6targetE1EEEvSE_.has_indirect_call, 0
	.section	.AMDGPU.csdata,"",@progbits
; Kernel info:
; codeLenInByte = 3544
; TotalNumSgprs: 24
; NumVgprs: 18
; ScratchSize: 0
; MemoryBound: 0
; FloatMode: 240
; IeeeMode: 1
; LDSByteSize: 8192 bytes/workgroup (compile time only)
; SGPRBlocks: 2
; VGPRBlocks: 4
; NumSGPRsForWavesPerEU: 24
; NumVGPRsForWavesPerEU: 18
; Occupancy: 10
; WaveLimiterHint : 1
; COMPUTE_PGM_RSRC2:SCRATCH_EN: 0
; COMPUTE_PGM_RSRC2:USER_SGPR: 6
; COMPUTE_PGM_RSRC2:TRAP_HANDLER: 0
; COMPUTE_PGM_RSRC2:TGID_X_EN: 1
; COMPUTE_PGM_RSRC2:TGID_Y_EN: 0
; COMPUTE_PGM_RSRC2:TGID_Z_EN: 0
; COMPUTE_PGM_RSRC2:TIDIG_COMP_CNT: 0
	.section	.text._ZN7rocprim17ROCPRIM_400000_NS6detail17trampoline_kernelINS0_14default_configENS1_35radix_sort_onesweep_config_selectorIslEEZNS1_34radix_sort_onesweep_global_offsetsIS3_Lb0EPsN6thrust23THRUST_200600_302600_NS10device_ptrIlEEjNS0_19identity_decomposerEEE10hipError_tT1_T2_PT3_SG_jT4_jjP12ihipStream_tbEUlT_E_NS1_11comp_targetILNS1_3genE4ELNS1_11target_archE910ELNS1_3gpuE8ELNS1_3repE0EEENS1_52radix_sort_onesweep_histogram_config_static_selectorELNS0_4arch9wavefront6targetE1EEEvSE_,"axG",@progbits,_ZN7rocprim17ROCPRIM_400000_NS6detail17trampoline_kernelINS0_14default_configENS1_35radix_sort_onesweep_config_selectorIslEEZNS1_34radix_sort_onesweep_global_offsetsIS3_Lb0EPsN6thrust23THRUST_200600_302600_NS10device_ptrIlEEjNS0_19identity_decomposerEEE10hipError_tT1_T2_PT3_SG_jT4_jjP12ihipStream_tbEUlT_E_NS1_11comp_targetILNS1_3genE4ELNS1_11target_archE910ELNS1_3gpuE8ELNS1_3repE0EEENS1_52radix_sort_onesweep_histogram_config_static_selectorELNS0_4arch9wavefront6targetE1EEEvSE_,comdat
	.protected	_ZN7rocprim17ROCPRIM_400000_NS6detail17trampoline_kernelINS0_14default_configENS1_35radix_sort_onesweep_config_selectorIslEEZNS1_34radix_sort_onesweep_global_offsetsIS3_Lb0EPsN6thrust23THRUST_200600_302600_NS10device_ptrIlEEjNS0_19identity_decomposerEEE10hipError_tT1_T2_PT3_SG_jT4_jjP12ihipStream_tbEUlT_E_NS1_11comp_targetILNS1_3genE4ELNS1_11target_archE910ELNS1_3gpuE8ELNS1_3repE0EEENS1_52radix_sort_onesweep_histogram_config_static_selectorELNS0_4arch9wavefront6targetE1EEEvSE_ ; -- Begin function _ZN7rocprim17ROCPRIM_400000_NS6detail17trampoline_kernelINS0_14default_configENS1_35radix_sort_onesweep_config_selectorIslEEZNS1_34radix_sort_onesweep_global_offsetsIS3_Lb0EPsN6thrust23THRUST_200600_302600_NS10device_ptrIlEEjNS0_19identity_decomposerEEE10hipError_tT1_T2_PT3_SG_jT4_jjP12ihipStream_tbEUlT_E_NS1_11comp_targetILNS1_3genE4ELNS1_11target_archE910ELNS1_3gpuE8ELNS1_3repE0EEENS1_52radix_sort_onesweep_histogram_config_static_selectorELNS0_4arch9wavefront6targetE1EEEvSE_
	.globl	_ZN7rocprim17ROCPRIM_400000_NS6detail17trampoline_kernelINS0_14default_configENS1_35radix_sort_onesweep_config_selectorIslEEZNS1_34radix_sort_onesweep_global_offsetsIS3_Lb0EPsN6thrust23THRUST_200600_302600_NS10device_ptrIlEEjNS0_19identity_decomposerEEE10hipError_tT1_T2_PT3_SG_jT4_jjP12ihipStream_tbEUlT_E_NS1_11comp_targetILNS1_3genE4ELNS1_11target_archE910ELNS1_3gpuE8ELNS1_3repE0EEENS1_52radix_sort_onesweep_histogram_config_static_selectorELNS0_4arch9wavefront6targetE1EEEvSE_
	.p2align	8
	.type	_ZN7rocprim17ROCPRIM_400000_NS6detail17trampoline_kernelINS0_14default_configENS1_35radix_sort_onesweep_config_selectorIslEEZNS1_34radix_sort_onesweep_global_offsetsIS3_Lb0EPsN6thrust23THRUST_200600_302600_NS10device_ptrIlEEjNS0_19identity_decomposerEEE10hipError_tT1_T2_PT3_SG_jT4_jjP12ihipStream_tbEUlT_E_NS1_11comp_targetILNS1_3genE4ELNS1_11target_archE910ELNS1_3gpuE8ELNS1_3repE0EEENS1_52radix_sort_onesweep_histogram_config_static_selectorELNS0_4arch9wavefront6targetE1EEEvSE_,@function
_ZN7rocprim17ROCPRIM_400000_NS6detail17trampoline_kernelINS0_14default_configENS1_35radix_sort_onesweep_config_selectorIslEEZNS1_34radix_sort_onesweep_global_offsetsIS3_Lb0EPsN6thrust23THRUST_200600_302600_NS10device_ptrIlEEjNS0_19identity_decomposerEEE10hipError_tT1_T2_PT3_SG_jT4_jjP12ihipStream_tbEUlT_E_NS1_11comp_targetILNS1_3genE4ELNS1_11target_archE910ELNS1_3gpuE8ELNS1_3repE0EEENS1_52radix_sort_onesweep_histogram_config_static_selectorELNS0_4arch9wavefront6targetE1EEEvSE_: ; @_ZN7rocprim17ROCPRIM_400000_NS6detail17trampoline_kernelINS0_14default_configENS1_35radix_sort_onesweep_config_selectorIslEEZNS1_34radix_sort_onesweep_global_offsetsIS3_Lb0EPsN6thrust23THRUST_200600_302600_NS10device_ptrIlEEjNS0_19identity_decomposerEEE10hipError_tT1_T2_PT3_SG_jT4_jjP12ihipStream_tbEUlT_E_NS1_11comp_targetILNS1_3genE4ELNS1_11target_archE910ELNS1_3gpuE8ELNS1_3repE0EEENS1_52radix_sort_onesweep_histogram_config_static_selectorELNS0_4arch9wavefront6targetE1EEEvSE_
; %bb.0:
	.section	.rodata,"a",@progbits
	.p2align	6, 0x0
	.amdhsa_kernel _ZN7rocprim17ROCPRIM_400000_NS6detail17trampoline_kernelINS0_14default_configENS1_35radix_sort_onesweep_config_selectorIslEEZNS1_34radix_sort_onesweep_global_offsetsIS3_Lb0EPsN6thrust23THRUST_200600_302600_NS10device_ptrIlEEjNS0_19identity_decomposerEEE10hipError_tT1_T2_PT3_SG_jT4_jjP12ihipStream_tbEUlT_E_NS1_11comp_targetILNS1_3genE4ELNS1_11target_archE910ELNS1_3gpuE8ELNS1_3repE0EEENS1_52radix_sort_onesweep_histogram_config_static_selectorELNS0_4arch9wavefront6targetE1EEEvSE_
		.amdhsa_group_segment_fixed_size 0
		.amdhsa_private_segment_fixed_size 0
		.amdhsa_kernarg_size 40
		.amdhsa_user_sgpr_count 6
		.amdhsa_user_sgpr_private_segment_buffer 1
		.amdhsa_user_sgpr_dispatch_ptr 0
		.amdhsa_user_sgpr_queue_ptr 0
		.amdhsa_user_sgpr_kernarg_segment_ptr 1
		.amdhsa_user_sgpr_dispatch_id 0
		.amdhsa_user_sgpr_flat_scratch_init 0
		.amdhsa_user_sgpr_private_segment_size 0
		.amdhsa_uses_dynamic_stack 0
		.amdhsa_system_sgpr_private_segment_wavefront_offset 0
		.amdhsa_system_sgpr_workgroup_id_x 1
		.amdhsa_system_sgpr_workgroup_id_y 0
		.amdhsa_system_sgpr_workgroup_id_z 0
		.amdhsa_system_sgpr_workgroup_info 0
		.amdhsa_system_vgpr_workitem_id 0
		.amdhsa_next_free_vgpr 1
		.amdhsa_next_free_sgpr 0
		.amdhsa_reserve_vcc 0
		.amdhsa_reserve_flat_scratch 0
		.amdhsa_float_round_mode_32 0
		.amdhsa_float_round_mode_16_64 0
		.amdhsa_float_denorm_mode_32 3
		.amdhsa_float_denorm_mode_16_64 3
		.amdhsa_dx10_clamp 1
		.amdhsa_ieee_mode 1
		.amdhsa_fp16_overflow 0
		.amdhsa_exception_fp_ieee_invalid_op 0
		.amdhsa_exception_fp_denorm_src 0
		.amdhsa_exception_fp_ieee_div_zero 0
		.amdhsa_exception_fp_ieee_overflow 0
		.amdhsa_exception_fp_ieee_underflow 0
		.amdhsa_exception_fp_ieee_inexact 0
		.amdhsa_exception_int_div_zero 0
	.end_amdhsa_kernel
	.section	.text._ZN7rocprim17ROCPRIM_400000_NS6detail17trampoline_kernelINS0_14default_configENS1_35radix_sort_onesweep_config_selectorIslEEZNS1_34radix_sort_onesweep_global_offsetsIS3_Lb0EPsN6thrust23THRUST_200600_302600_NS10device_ptrIlEEjNS0_19identity_decomposerEEE10hipError_tT1_T2_PT3_SG_jT4_jjP12ihipStream_tbEUlT_E_NS1_11comp_targetILNS1_3genE4ELNS1_11target_archE910ELNS1_3gpuE8ELNS1_3repE0EEENS1_52radix_sort_onesweep_histogram_config_static_selectorELNS0_4arch9wavefront6targetE1EEEvSE_,"axG",@progbits,_ZN7rocprim17ROCPRIM_400000_NS6detail17trampoline_kernelINS0_14default_configENS1_35radix_sort_onesweep_config_selectorIslEEZNS1_34radix_sort_onesweep_global_offsetsIS3_Lb0EPsN6thrust23THRUST_200600_302600_NS10device_ptrIlEEjNS0_19identity_decomposerEEE10hipError_tT1_T2_PT3_SG_jT4_jjP12ihipStream_tbEUlT_E_NS1_11comp_targetILNS1_3genE4ELNS1_11target_archE910ELNS1_3gpuE8ELNS1_3repE0EEENS1_52radix_sort_onesweep_histogram_config_static_selectorELNS0_4arch9wavefront6targetE1EEEvSE_,comdat
.Lfunc_end1384:
	.size	_ZN7rocprim17ROCPRIM_400000_NS6detail17trampoline_kernelINS0_14default_configENS1_35radix_sort_onesweep_config_selectorIslEEZNS1_34radix_sort_onesweep_global_offsetsIS3_Lb0EPsN6thrust23THRUST_200600_302600_NS10device_ptrIlEEjNS0_19identity_decomposerEEE10hipError_tT1_T2_PT3_SG_jT4_jjP12ihipStream_tbEUlT_E_NS1_11comp_targetILNS1_3genE4ELNS1_11target_archE910ELNS1_3gpuE8ELNS1_3repE0EEENS1_52radix_sort_onesweep_histogram_config_static_selectorELNS0_4arch9wavefront6targetE1EEEvSE_, .Lfunc_end1384-_ZN7rocprim17ROCPRIM_400000_NS6detail17trampoline_kernelINS0_14default_configENS1_35radix_sort_onesweep_config_selectorIslEEZNS1_34radix_sort_onesweep_global_offsetsIS3_Lb0EPsN6thrust23THRUST_200600_302600_NS10device_ptrIlEEjNS0_19identity_decomposerEEE10hipError_tT1_T2_PT3_SG_jT4_jjP12ihipStream_tbEUlT_E_NS1_11comp_targetILNS1_3genE4ELNS1_11target_archE910ELNS1_3gpuE8ELNS1_3repE0EEENS1_52radix_sort_onesweep_histogram_config_static_selectorELNS0_4arch9wavefront6targetE1EEEvSE_
                                        ; -- End function
	.set _ZN7rocprim17ROCPRIM_400000_NS6detail17trampoline_kernelINS0_14default_configENS1_35radix_sort_onesweep_config_selectorIslEEZNS1_34radix_sort_onesweep_global_offsetsIS3_Lb0EPsN6thrust23THRUST_200600_302600_NS10device_ptrIlEEjNS0_19identity_decomposerEEE10hipError_tT1_T2_PT3_SG_jT4_jjP12ihipStream_tbEUlT_E_NS1_11comp_targetILNS1_3genE4ELNS1_11target_archE910ELNS1_3gpuE8ELNS1_3repE0EEENS1_52radix_sort_onesweep_histogram_config_static_selectorELNS0_4arch9wavefront6targetE1EEEvSE_.num_vgpr, 0
	.set _ZN7rocprim17ROCPRIM_400000_NS6detail17trampoline_kernelINS0_14default_configENS1_35radix_sort_onesweep_config_selectorIslEEZNS1_34radix_sort_onesweep_global_offsetsIS3_Lb0EPsN6thrust23THRUST_200600_302600_NS10device_ptrIlEEjNS0_19identity_decomposerEEE10hipError_tT1_T2_PT3_SG_jT4_jjP12ihipStream_tbEUlT_E_NS1_11comp_targetILNS1_3genE4ELNS1_11target_archE910ELNS1_3gpuE8ELNS1_3repE0EEENS1_52radix_sort_onesweep_histogram_config_static_selectorELNS0_4arch9wavefront6targetE1EEEvSE_.num_agpr, 0
	.set _ZN7rocprim17ROCPRIM_400000_NS6detail17trampoline_kernelINS0_14default_configENS1_35radix_sort_onesweep_config_selectorIslEEZNS1_34radix_sort_onesweep_global_offsetsIS3_Lb0EPsN6thrust23THRUST_200600_302600_NS10device_ptrIlEEjNS0_19identity_decomposerEEE10hipError_tT1_T2_PT3_SG_jT4_jjP12ihipStream_tbEUlT_E_NS1_11comp_targetILNS1_3genE4ELNS1_11target_archE910ELNS1_3gpuE8ELNS1_3repE0EEENS1_52radix_sort_onesweep_histogram_config_static_selectorELNS0_4arch9wavefront6targetE1EEEvSE_.numbered_sgpr, 0
	.set _ZN7rocprim17ROCPRIM_400000_NS6detail17trampoline_kernelINS0_14default_configENS1_35radix_sort_onesweep_config_selectorIslEEZNS1_34radix_sort_onesweep_global_offsetsIS3_Lb0EPsN6thrust23THRUST_200600_302600_NS10device_ptrIlEEjNS0_19identity_decomposerEEE10hipError_tT1_T2_PT3_SG_jT4_jjP12ihipStream_tbEUlT_E_NS1_11comp_targetILNS1_3genE4ELNS1_11target_archE910ELNS1_3gpuE8ELNS1_3repE0EEENS1_52radix_sort_onesweep_histogram_config_static_selectorELNS0_4arch9wavefront6targetE1EEEvSE_.num_named_barrier, 0
	.set _ZN7rocprim17ROCPRIM_400000_NS6detail17trampoline_kernelINS0_14default_configENS1_35radix_sort_onesweep_config_selectorIslEEZNS1_34radix_sort_onesweep_global_offsetsIS3_Lb0EPsN6thrust23THRUST_200600_302600_NS10device_ptrIlEEjNS0_19identity_decomposerEEE10hipError_tT1_T2_PT3_SG_jT4_jjP12ihipStream_tbEUlT_E_NS1_11comp_targetILNS1_3genE4ELNS1_11target_archE910ELNS1_3gpuE8ELNS1_3repE0EEENS1_52radix_sort_onesweep_histogram_config_static_selectorELNS0_4arch9wavefront6targetE1EEEvSE_.private_seg_size, 0
	.set _ZN7rocprim17ROCPRIM_400000_NS6detail17trampoline_kernelINS0_14default_configENS1_35radix_sort_onesweep_config_selectorIslEEZNS1_34radix_sort_onesweep_global_offsetsIS3_Lb0EPsN6thrust23THRUST_200600_302600_NS10device_ptrIlEEjNS0_19identity_decomposerEEE10hipError_tT1_T2_PT3_SG_jT4_jjP12ihipStream_tbEUlT_E_NS1_11comp_targetILNS1_3genE4ELNS1_11target_archE910ELNS1_3gpuE8ELNS1_3repE0EEENS1_52radix_sort_onesweep_histogram_config_static_selectorELNS0_4arch9wavefront6targetE1EEEvSE_.uses_vcc, 0
	.set _ZN7rocprim17ROCPRIM_400000_NS6detail17trampoline_kernelINS0_14default_configENS1_35radix_sort_onesweep_config_selectorIslEEZNS1_34radix_sort_onesweep_global_offsetsIS3_Lb0EPsN6thrust23THRUST_200600_302600_NS10device_ptrIlEEjNS0_19identity_decomposerEEE10hipError_tT1_T2_PT3_SG_jT4_jjP12ihipStream_tbEUlT_E_NS1_11comp_targetILNS1_3genE4ELNS1_11target_archE910ELNS1_3gpuE8ELNS1_3repE0EEENS1_52radix_sort_onesweep_histogram_config_static_selectorELNS0_4arch9wavefront6targetE1EEEvSE_.uses_flat_scratch, 0
	.set _ZN7rocprim17ROCPRIM_400000_NS6detail17trampoline_kernelINS0_14default_configENS1_35radix_sort_onesweep_config_selectorIslEEZNS1_34radix_sort_onesweep_global_offsetsIS3_Lb0EPsN6thrust23THRUST_200600_302600_NS10device_ptrIlEEjNS0_19identity_decomposerEEE10hipError_tT1_T2_PT3_SG_jT4_jjP12ihipStream_tbEUlT_E_NS1_11comp_targetILNS1_3genE4ELNS1_11target_archE910ELNS1_3gpuE8ELNS1_3repE0EEENS1_52radix_sort_onesweep_histogram_config_static_selectorELNS0_4arch9wavefront6targetE1EEEvSE_.has_dyn_sized_stack, 0
	.set _ZN7rocprim17ROCPRIM_400000_NS6detail17trampoline_kernelINS0_14default_configENS1_35radix_sort_onesweep_config_selectorIslEEZNS1_34radix_sort_onesweep_global_offsetsIS3_Lb0EPsN6thrust23THRUST_200600_302600_NS10device_ptrIlEEjNS0_19identity_decomposerEEE10hipError_tT1_T2_PT3_SG_jT4_jjP12ihipStream_tbEUlT_E_NS1_11comp_targetILNS1_3genE4ELNS1_11target_archE910ELNS1_3gpuE8ELNS1_3repE0EEENS1_52radix_sort_onesweep_histogram_config_static_selectorELNS0_4arch9wavefront6targetE1EEEvSE_.has_recursion, 0
	.set _ZN7rocprim17ROCPRIM_400000_NS6detail17trampoline_kernelINS0_14default_configENS1_35radix_sort_onesweep_config_selectorIslEEZNS1_34radix_sort_onesweep_global_offsetsIS3_Lb0EPsN6thrust23THRUST_200600_302600_NS10device_ptrIlEEjNS0_19identity_decomposerEEE10hipError_tT1_T2_PT3_SG_jT4_jjP12ihipStream_tbEUlT_E_NS1_11comp_targetILNS1_3genE4ELNS1_11target_archE910ELNS1_3gpuE8ELNS1_3repE0EEENS1_52radix_sort_onesweep_histogram_config_static_selectorELNS0_4arch9wavefront6targetE1EEEvSE_.has_indirect_call, 0
	.section	.AMDGPU.csdata,"",@progbits
; Kernel info:
; codeLenInByte = 0
; TotalNumSgprs: 4
; NumVgprs: 0
; ScratchSize: 0
; MemoryBound: 0
; FloatMode: 240
; IeeeMode: 1
; LDSByteSize: 0 bytes/workgroup (compile time only)
; SGPRBlocks: 0
; VGPRBlocks: 0
; NumSGPRsForWavesPerEU: 4
; NumVGPRsForWavesPerEU: 1
; Occupancy: 10
; WaveLimiterHint : 0
; COMPUTE_PGM_RSRC2:SCRATCH_EN: 0
; COMPUTE_PGM_RSRC2:USER_SGPR: 6
; COMPUTE_PGM_RSRC2:TRAP_HANDLER: 0
; COMPUTE_PGM_RSRC2:TGID_X_EN: 1
; COMPUTE_PGM_RSRC2:TGID_Y_EN: 0
; COMPUTE_PGM_RSRC2:TGID_Z_EN: 0
; COMPUTE_PGM_RSRC2:TIDIG_COMP_CNT: 0
	.section	.text._ZN7rocprim17ROCPRIM_400000_NS6detail17trampoline_kernelINS0_14default_configENS1_35radix_sort_onesweep_config_selectorIslEEZNS1_34radix_sort_onesweep_global_offsetsIS3_Lb0EPsN6thrust23THRUST_200600_302600_NS10device_ptrIlEEjNS0_19identity_decomposerEEE10hipError_tT1_T2_PT3_SG_jT4_jjP12ihipStream_tbEUlT_E_NS1_11comp_targetILNS1_3genE3ELNS1_11target_archE908ELNS1_3gpuE7ELNS1_3repE0EEENS1_52radix_sort_onesweep_histogram_config_static_selectorELNS0_4arch9wavefront6targetE1EEEvSE_,"axG",@progbits,_ZN7rocprim17ROCPRIM_400000_NS6detail17trampoline_kernelINS0_14default_configENS1_35radix_sort_onesweep_config_selectorIslEEZNS1_34radix_sort_onesweep_global_offsetsIS3_Lb0EPsN6thrust23THRUST_200600_302600_NS10device_ptrIlEEjNS0_19identity_decomposerEEE10hipError_tT1_T2_PT3_SG_jT4_jjP12ihipStream_tbEUlT_E_NS1_11comp_targetILNS1_3genE3ELNS1_11target_archE908ELNS1_3gpuE7ELNS1_3repE0EEENS1_52radix_sort_onesweep_histogram_config_static_selectorELNS0_4arch9wavefront6targetE1EEEvSE_,comdat
	.protected	_ZN7rocprim17ROCPRIM_400000_NS6detail17trampoline_kernelINS0_14default_configENS1_35radix_sort_onesweep_config_selectorIslEEZNS1_34radix_sort_onesweep_global_offsetsIS3_Lb0EPsN6thrust23THRUST_200600_302600_NS10device_ptrIlEEjNS0_19identity_decomposerEEE10hipError_tT1_T2_PT3_SG_jT4_jjP12ihipStream_tbEUlT_E_NS1_11comp_targetILNS1_3genE3ELNS1_11target_archE908ELNS1_3gpuE7ELNS1_3repE0EEENS1_52radix_sort_onesweep_histogram_config_static_selectorELNS0_4arch9wavefront6targetE1EEEvSE_ ; -- Begin function _ZN7rocprim17ROCPRIM_400000_NS6detail17trampoline_kernelINS0_14default_configENS1_35radix_sort_onesweep_config_selectorIslEEZNS1_34radix_sort_onesweep_global_offsetsIS3_Lb0EPsN6thrust23THRUST_200600_302600_NS10device_ptrIlEEjNS0_19identity_decomposerEEE10hipError_tT1_T2_PT3_SG_jT4_jjP12ihipStream_tbEUlT_E_NS1_11comp_targetILNS1_3genE3ELNS1_11target_archE908ELNS1_3gpuE7ELNS1_3repE0EEENS1_52radix_sort_onesweep_histogram_config_static_selectorELNS0_4arch9wavefront6targetE1EEEvSE_
	.globl	_ZN7rocprim17ROCPRIM_400000_NS6detail17trampoline_kernelINS0_14default_configENS1_35radix_sort_onesweep_config_selectorIslEEZNS1_34radix_sort_onesweep_global_offsetsIS3_Lb0EPsN6thrust23THRUST_200600_302600_NS10device_ptrIlEEjNS0_19identity_decomposerEEE10hipError_tT1_T2_PT3_SG_jT4_jjP12ihipStream_tbEUlT_E_NS1_11comp_targetILNS1_3genE3ELNS1_11target_archE908ELNS1_3gpuE7ELNS1_3repE0EEENS1_52radix_sort_onesweep_histogram_config_static_selectorELNS0_4arch9wavefront6targetE1EEEvSE_
	.p2align	8
	.type	_ZN7rocprim17ROCPRIM_400000_NS6detail17trampoline_kernelINS0_14default_configENS1_35radix_sort_onesweep_config_selectorIslEEZNS1_34radix_sort_onesweep_global_offsetsIS3_Lb0EPsN6thrust23THRUST_200600_302600_NS10device_ptrIlEEjNS0_19identity_decomposerEEE10hipError_tT1_T2_PT3_SG_jT4_jjP12ihipStream_tbEUlT_E_NS1_11comp_targetILNS1_3genE3ELNS1_11target_archE908ELNS1_3gpuE7ELNS1_3repE0EEENS1_52radix_sort_onesweep_histogram_config_static_selectorELNS0_4arch9wavefront6targetE1EEEvSE_,@function
_ZN7rocprim17ROCPRIM_400000_NS6detail17trampoline_kernelINS0_14default_configENS1_35radix_sort_onesweep_config_selectorIslEEZNS1_34radix_sort_onesweep_global_offsetsIS3_Lb0EPsN6thrust23THRUST_200600_302600_NS10device_ptrIlEEjNS0_19identity_decomposerEEE10hipError_tT1_T2_PT3_SG_jT4_jjP12ihipStream_tbEUlT_E_NS1_11comp_targetILNS1_3genE3ELNS1_11target_archE908ELNS1_3gpuE7ELNS1_3repE0EEENS1_52radix_sort_onesweep_histogram_config_static_selectorELNS0_4arch9wavefront6targetE1EEEvSE_: ; @_ZN7rocprim17ROCPRIM_400000_NS6detail17trampoline_kernelINS0_14default_configENS1_35radix_sort_onesweep_config_selectorIslEEZNS1_34radix_sort_onesweep_global_offsetsIS3_Lb0EPsN6thrust23THRUST_200600_302600_NS10device_ptrIlEEjNS0_19identity_decomposerEEE10hipError_tT1_T2_PT3_SG_jT4_jjP12ihipStream_tbEUlT_E_NS1_11comp_targetILNS1_3genE3ELNS1_11target_archE908ELNS1_3gpuE7ELNS1_3repE0EEENS1_52radix_sort_onesweep_histogram_config_static_selectorELNS0_4arch9wavefront6targetE1EEEvSE_
; %bb.0:
	.section	.rodata,"a",@progbits
	.p2align	6, 0x0
	.amdhsa_kernel _ZN7rocprim17ROCPRIM_400000_NS6detail17trampoline_kernelINS0_14default_configENS1_35radix_sort_onesweep_config_selectorIslEEZNS1_34radix_sort_onesweep_global_offsetsIS3_Lb0EPsN6thrust23THRUST_200600_302600_NS10device_ptrIlEEjNS0_19identity_decomposerEEE10hipError_tT1_T2_PT3_SG_jT4_jjP12ihipStream_tbEUlT_E_NS1_11comp_targetILNS1_3genE3ELNS1_11target_archE908ELNS1_3gpuE7ELNS1_3repE0EEENS1_52radix_sort_onesweep_histogram_config_static_selectorELNS0_4arch9wavefront6targetE1EEEvSE_
		.amdhsa_group_segment_fixed_size 0
		.amdhsa_private_segment_fixed_size 0
		.amdhsa_kernarg_size 40
		.amdhsa_user_sgpr_count 6
		.amdhsa_user_sgpr_private_segment_buffer 1
		.amdhsa_user_sgpr_dispatch_ptr 0
		.amdhsa_user_sgpr_queue_ptr 0
		.amdhsa_user_sgpr_kernarg_segment_ptr 1
		.amdhsa_user_sgpr_dispatch_id 0
		.amdhsa_user_sgpr_flat_scratch_init 0
		.amdhsa_user_sgpr_private_segment_size 0
		.amdhsa_uses_dynamic_stack 0
		.amdhsa_system_sgpr_private_segment_wavefront_offset 0
		.amdhsa_system_sgpr_workgroup_id_x 1
		.amdhsa_system_sgpr_workgroup_id_y 0
		.amdhsa_system_sgpr_workgroup_id_z 0
		.amdhsa_system_sgpr_workgroup_info 0
		.amdhsa_system_vgpr_workitem_id 0
		.amdhsa_next_free_vgpr 1
		.amdhsa_next_free_sgpr 0
		.amdhsa_reserve_vcc 0
		.amdhsa_reserve_flat_scratch 0
		.amdhsa_float_round_mode_32 0
		.amdhsa_float_round_mode_16_64 0
		.amdhsa_float_denorm_mode_32 3
		.amdhsa_float_denorm_mode_16_64 3
		.amdhsa_dx10_clamp 1
		.amdhsa_ieee_mode 1
		.amdhsa_fp16_overflow 0
		.amdhsa_exception_fp_ieee_invalid_op 0
		.amdhsa_exception_fp_denorm_src 0
		.amdhsa_exception_fp_ieee_div_zero 0
		.amdhsa_exception_fp_ieee_overflow 0
		.amdhsa_exception_fp_ieee_underflow 0
		.amdhsa_exception_fp_ieee_inexact 0
		.amdhsa_exception_int_div_zero 0
	.end_amdhsa_kernel
	.section	.text._ZN7rocprim17ROCPRIM_400000_NS6detail17trampoline_kernelINS0_14default_configENS1_35radix_sort_onesweep_config_selectorIslEEZNS1_34radix_sort_onesweep_global_offsetsIS3_Lb0EPsN6thrust23THRUST_200600_302600_NS10device_ptrIlEEjNS0_19identity_decomposerEEE10hipError_tT1_T2_PT3_SG_jT4_jjP12ihipStream_tbEUlT_E_NS1_11comp_targetILNS1_3genE3ELNS1_11target_archE908ELNS1_3gpuE7ELNS1_3repE0EEENS1_52radix_sort_onesweep_histogram_config_static_selectorELNS0_4arch9wavefront6targetE1EEEvSE_,"axG",@progbits,_ZN7rocprim17ROCPRIM_400000_NS6detail17trampoline_kernelINS0_14default_configENS1_35radix_sort_onesweep_config_selectorIslEEZNS1_34radix_sort_onesweep_global_offsetsIS3_Lb0EPsN6thrust23THRUST_200600_302600_NS10device_ptrIlEEjNS0_19identity_decomposerEEE10hipError_tT1_T2_PT3_SG_jT4_jjP12ihipStream_tbEUlT_E_NS1_11comp_targetILNS1_3genE3ELNS1_11target_archE908ELNS1_3gpuE7ELNS1_3repE0EEENS1_52radix_sort_onesweep_histogram_config_static_selectorELNS0_4arch9wavefront6targetE1EEEvSE_,comdat
.Lfunc_end1385:
	.size	_ZN7rocprim17ROCPRIM_400000_NS6detail17trampoline_kernelINS0_14default_configENS1_35radix_sort_onesweep_config_selectorIslEEZNS1_34radix_sort_onesweep_global_offsetsIS3_Lb0EPsN6thrust23THRUST_200600_302600_NS10device_ptrIlEEjNS0_19identity_decomposerEEE10hipError_tT1_T2_PT3_SG_jT4_jjP12ihipStream_tbEUlT_E_NS1_11comp_targetILNS1_3genE3ELNS1_11target_archE908ELNS1_3gpuE7ELNS1_3repE0EEENS1_52radix_sort_onesweep_histogram_config_static_selectorELNS0_4arch9wavefront6targetE1EEEvSE_, .Lfunc_end1385-_ZN7rocprim17ROCPRIM_400000_NS6detail17trampoline_kernelINS0_14default_configENS1_35radix_sort_onesweep_config_selectorIslEEZNS1_34radix_sort_onesweep_global_offsetsIS3_Lb0EPsN6thrust23THRUST_200600_302600_NS10device_ptrIlEEjNS0_19identity_decomposerEEE10hipError_tT1_T2_PT3_SG_jT4_jjP12ihipStream_tbEUlT_E_NS1_11comp_targetILNS1_3genE3ELNS1_11target_archE908ELNS1_3gpuE7ELNS1_3repE0EEENS1_52radix_sort_onesweep_histogram_config_static_selectorELNS0_4arch9wavefront6targetE1EEEvSE_
                                        ; -- End function
	.set _ZN7rocprim17ROCPRIM_400000_NS6detail17trampoline_kernelINS0_14default_configENS1_35radix_sort_onesweep_config_selectorIslEEZNS1_34radix_sort_onesweep_global_offsetsIS3_Lb0EPsN6thrust23THRUST_200600_302600_NS10device_ptrIlEEjNS0_19identity_decomposerEEE10hipError_tT1_T2_PT3_SG_jT4_jjP12ihipStream_tbEUlT_E_NS1_11comp_targetILNS1_3genE3ELNS1_11target_archE908ELNS1_3gpuE7ELNS1_3repE0EEENS1_52radix_sort_onesweep_histogram_config_static_selectorELNS0_4arch9wavefront6targetE1EEEvSE_.num_vgpr, 0
	.set _ZN7rocprim17ROCPRIM_400000_NS6detail17trampoline_kernelINS0_14default_configENS1_35radix_sort_onesweep_config_selectorIslEEZNS1_34radix_sort_onesweep_global_offsetsIS3_Lb0EPsN6thrust23THRUST_200600_302600_NS10device_ptrIlEEjNS0_19identity_decomposerEEE10hipError_tT1_T2_PT3_SG_jT4_jjP12ihipStream_tbEUlT_E_NS1_11comp_targetILNS1_3genE3ELNS1_11target_archE908ELNS1_3gpuE7ELNS1_3repE0EEENS1_52radix_sort_onesweep_histogram_config_static_selectorELNS0_4arch9wavefront6targetE1EEEvSE_.num_agpr, 0
	.set _ZN7rocprim17ROCPRIM_400000_NS6detail17trampoline_kernelINS0_14default_configENS1_35radix_sort_onesweep_config_selectorIslEEZNS1_34radix_sort_onesweep_global_offsetsIS3_Lb0EPsN6thrust23THRUST_200600_302600_NS10device_ptrIlEEjNS0_19identity_decomposerEEE10hipError_tT1_T2_PT3_SG_jT4_jjP12ihipStream_tbEUlT_E_NS1_11comp_targetILNS1_3genE3ELNS1_11target_archE908ELNS1_3gpuE7ELNS1_3repE0EEENS1_52radix_sort_onesweep_histogram_config_static_selectorELNS0_4arch9wavefront6targetE1EEEvSE_.numbered_sgpr, 0
	.set _ZN7rocprim17ROCPRIM_400000_NS6detail17trampoline_kernelINS0_14default_configENS1_35radix_sort_onesweep_config_selectorIslEEZNS1_34radix_sort_onesweep_global_offsetsIS3_Lb0EPsN6thrust23THRUST_200600_302600_NS10device_ptrIlEEjNS0_19identity_decomposerEEE10hipError_tT1_T2_PT3_SG_jT4_jjP12ihipStream_tbEUlT_E_NS1_11comp_targetILNS1_3genE3ELNS1_11target_archE908ELNS1_3gpuE7ELNS1_3repE0EEENS1_52radix_sort_onesweep_histogram_config_static_selectorELNS0_4arch9wavefront6targetE1EEEvSE_.num_named_barrier, 0
	.set _ZN7rocprim17ROCPRIM_400000_NS6detail17trampoline_kernelINS0_14default_configENS1_35radix_sort_onesweep_config_selectorIslEEZNS1_34radix_sort_onesweep_global_offsetsIS3_Lb0EPsN6thrust23THRUST_200600_302600_NS10device_ptrIlEEjNS0_19identity_decomposerEEE10hipError_tT1_T2_PT3_SG_jT4_jjP12ihipStream_tbEUlT_E_NS1_11comp_targetILNS1_3genE3ELNS1_11target_archE908ELNS1_3gpuE7ELNS1_3repE0EEENS1_52radix_sort_onesweep_histogram_config_static_selectorELNS0_4arch9wavefront6targetE1EEEvSE_.private_seg_size, 0
	.set _ZN7rocprim17ROCPRIM_400000_NS6detail17trampoline_kernelINS0_14default_configENS1_35radix_sort_onesweep_config_selectorIslEEZNS1_34radix_sort_onesweep_global_offsetsIS3_Lb0EPsN6thrust23THRUST_200600_302600_NS10device_ptrIlEEjNS0_19identity_decomposerEEE10hipError_tT1_T2_PT3_SG_jT4_jjP12ihipStream_tbEUlT_E_NS1_11comp_targetILNS1_3genE3ELNS1_11target_archE908ELNS1_3gpuE7ELNS1_3repE0EEENS1_52radix_sort_onesweep_histogram_config_static_selectorELNS0_4arch9wavefront6targetE1EEEvSE_.uses_vcc, 0
	.set _ZN7rocprim17ROCPRIM_400000_NS6detail17trampoline_kernelINS0_14default_configENS1_35radix_sort_onesweep_config_selectorIslEEZNS1_34radix_sort_onesweep_global_offsetsIS3_Lb0EPsN6thrust23THRUST_200600_302600_NS10device_ptrIlEEjNS0_19identity_decomposerEEE10hipError_tT1_T2_PT3_SG_jT4_jjP12ihipStream_tbEUlT_E_NS1_11comp_targetILNS1_3genE3ELNS1_11target_archE908ELNS1_3gpuE7ELNS1_3repE0EEENS1_52radix_sort_onesweep_histogram_config_static_selectorELNS0_4arch9wavefront6targetE1EEEvSE_.uses_flat_scratch, 0
	.set _ZN7rocprim17ROCPRIM_400000_NS6detail17trampoline_kernelINS0_14default_configENS1_35radix_sort_onesweep_config_selectorIslEEZNS1_34radix_sort_onesweep_global_offsetsIS3_Lb0EPsN6thrust23THRUST_200600_302600_NS10device_ptrIlEEjNS0_19identity_decomposerEEE10hipError_tT1_T2_PT3_SG_jT4_jjP12ihipStream_tbEUlT_E_NS1_11comp_targetILNS1_3genE3ELNS1_11target_archE908ELNS1_3gpuE7ELNS1_3repE0EEENS1_52radix_sort_onesweep_histogram_config_static_selectorELNS0_4arch9wavefront6targetE1EEEvSE_.has_dyn_sized_stack, 0
	.set _ZN7rocprim17ROCPRIM_400000_NS6detail17trampoline_kernelINS0_14default_configENS1_35radix_sort_onesweep_config_selectorIslEEZNS1_34radix_sort_onesweep_global_offsetsIS3_Lb0EPsN6thrust23THRUST_200600_302600_NS10device_ptrIlEEjNS0_19identity_decomposerEEE10hipError_tT1_T2_PT3_SG_jT4_jjP12ihipStream_tbEUlT_E_NS1_11comp_targetILNS1_3genE3ELNS1_11target_archE908ELNS1_3gpuE7ELNS1_3repE0EEENS1_52radix_sort_onesweep_histogram_config_static_selectorELNS0_4arch9wavefront6targetE1EEEvSE_.has_recursion, 0
	.set _ZN7rocprim17ROCPRIM_400000_NS6detail17trampoline_kernelINS0_14default_configENS1_35radix_sort_onesweep_config_selectorIslEEZNS1_34radix_sort_onesweep_global_offsetsIS3_Lb0EPsN6thrust23THRUST_200600_302600_NS10device_ptrIlEEjNS0_19identity_decomposerEEE10hipError_tT1_T2_PT3_SG_jT4_jjP12ihipStream_tbEUlT_E_NS1_11comp_targetILNS1_3genE3ELNS1_11target_archE908ELNS1_3gpuE7ELNS1_3repE0EEENS1_52radix_sort_onesweep_histogram_config_static_selectorELNS0_4arch9wavefront6targetE1EEEvSE_.has_indirect_call, 0
	.section	.AMDGPU.csdata,"",@progbits
; Kernel info:
; codeLenInByte = 0
; TotalNumSgprs: 4
; NumVgprs: 0
; ScratchSize: 0
; MemoryBound: 0
; FloatMode: 240
; IeeeMode: 1
; LDSByteSize: 0 bytes/workgroup (compile time only)
; SGPRBlocks: 0
; VGPRBlocks: 0
; NumSGPRsForWavesPerEU: 4
; NumVGPRsForWavesPerEU: 1
; Occupancy: 10
; WaveLimiterHint : 0
; COMPUTE_PGM_RSRC2:SCRATCH_EN: 0
; COMPUTE_PGM_RSRC2:USER_SGPR: 6
; COMPUTE_PGM_RSRC2:TRAP_HANDLER: 0
; COMPUTE_PGM_RSRC2:TGID_X_EN: 1
; COMPUTE_PGM_RSRC2:TGID_Y_EN: 0
; COMPUTE_PGM_RSRC2:TGID_Z_EN: 0
; COMPUTE_PGM_RSRC2:TIDIG_COMP_CNT: 0
	.section	.text._ZN7rocprim17ROCPRIM_400000_NS6detail17trampoline_kernelINS0_14default_configENS1_35radix_sort_onesweep_config_selectorIslEEZNS1_34radix_sort_onesweep_global_offsetsIS3_Lb0EPsN6thrust23THRUST_200600_302600_NS10device_ptrIlEEjNS0_19identity_decomposerEEE10hipError_tT1_T2_PT3_SG_jT4_jjP12ihipStream_tbEUlT_E_NS1_11comp_targetILNS1_3genE10ELNS1_11target_archE1201ELNS1_3gpuE5ELNS1_3repE0EEENS1_52radix_sort_onesweep_histogram_config_static_selectorELNS0_4arch9wavefront6targetE1EEEvSE_,"axG",@progbits,_ZN7rocprim17ROCPRIM_400000_NS6detail17trampoline_kernelINS0_14default_configENS1_35radix_sort_onesweep_config_selectorIslEEZNS1_34radix_sort_onesweep_global_offsetsIS3_Lb0EPsN6thrust23THRUST_200600_302600_NS10device_ptrIlEEjNS0_19identity_decomposerEEE10hipError_tT1_T2_PT3_SG_jT4_jjP12ihipStream_tbEUlT_E_NS1_11comp_targetILNS1_3genE10ELNS1_11target_archE1201ELNS1_3gpuE5ELNS1_3repE0EEENS1_52radix_sort_onesweep_histogram_config_static_selectorELNS0_4arch9wavefront6targetE1EEEvSE_,comdat
	.protected	_ZN7rocprim17ROCPRIM_400000_NS6detail17trampoline_kernelINS0_14default_configENS1_35radix_sort_onesweep_config_selectorIslEEZNS1_34radix_sort_onesweep_global_offsetsIS3_Lb0EPsN6thrust23THRUST_200600_302600_NS10device_ptrIlEEjNS0_19identity_decomposerEEE10hipError_tT1_T2_PT3_SG_jT4_jjP12ihipStream_tbEUlT_E_NS1_11comp_targetILNS1_3genE10ELNS1_11target_archE1201ELNS1_3gpuE5ELNS1_3repE0EEENS1_52radix_sort_onesweep_histogram_config_static_selectorELNS0_4arch9wavefront6targetE1EEEvSE_ ; -- Begin function _ZN7rocprim17ROCPRIM_400000_NS6detail17trampoline_kernelINS0_14default_configENS1_35radix_sort_onesweep_config_selectorIslEEZNS1_34radix_sort_onesweep_global_offsetsIS3_Lb0EPsN6thrust23THRUST_200600_302600_NS10device_ptrIlEEjNS0_19identity_decomposerEEE10hipError_tT1_T2_PT3_SG_jT4_jjP12ihipStream_tbEUlT_E_NS1_11comp_targetILNS1_3genE10ELNS1_11target_archE1201ELNS1_3gpuE5ELNS1_3repE0EEENS1_52radix_sort_onesweep_histogram_config_static_selectorELNS0_4arch9wavefront6targetE1EEEvSE_
	.globl	_ZN7rocprim17ROCPRIM_400000_NS6detail17trampoline_kernelINS0_14default_configENS1_35radix_sort_onesweep_config_selectorIslEEZNS1_34radix_sort_onesweep_global_offsetsIS3_Lb0EPsN6thrust23THRUST_200600_302600_NS10device_ptrIlEEjNS0_19identity_decomposerEEE10hipError_tT1_T2_PT3_SG_jT4_jjP12ihipStream_tbEUlT_E_NS1_11comp_targetILNS1_3genE10ELNS1_11target_archE1201ELNS1_3gpuE5ELNS1_3repE0EEENS1_52radix_sort_onesweep_histogram_config_static_selectorELNS0_4arch9wavefront6targetE1EEEvSE_
	.p2align	8
	.type	_ZN7rocprim17ROCPRIM_400000_NS6detail17trampoline_kernelINS0_14default_configENS1_35radix_sort_onesweep_config_selectorIslEEZNS1_34radix_sort_onesweep_global_offsetsIS3_Lb0EPsN6thrust23THRUST_200600_302600_NS10device_ptrIlEEjNS0_19identity_decomposerEEE10hipError_tT1_T2_PT3_SG_jT4_jjP12ihipStream_tbEUlT_E_NS1_11comp_targetILNS1_3genE10ELNS1_11target_archE1201ELNS1_3gpuE5ELNS1_3repE0EEENS1_52radix_sort_onesweep_histogram_config_static_selectorELNS0_4arch9wavefront6targetE1EEEvSE_,@function
_ZN7rocprim17ROCPRIM_400000_NS6detail17trampoline_kernelINS0_14default_configENS1_35radix_sort_onesweep_config_selectorIslEEZNS1_34radix_sort_onesweep_global_offsetsIS3_Lb0EPsN6thrust23THRUST_200600_302600_NS10device_ptrIlEEjNS0_19identity_decomposerEEE10hipError_tT1_T2_PT3_SG_jT4_jjP12ihipStream_tbEUlT_E_NS1_11comp_targetILNS1_3genE10ELNS1_11target_archE1201ELNS1_3gpuE5ELNS1_3repE0EEENS1_52radix_sort_onesweep_histogram_config_static_selectorELNS0_4arch9wavefront6targetE1EEEvSE_: ; @_ZN7rocprim17ROCPRIM_400000_NS6detail17trampoline_kernelINS0_14default_configENS1_35radix_sort_onesweep_config_selectorIslEEZNS1_34radix_sort_onesweep_global_offsetsIS3_Lb0EPsN6thrust23THRUST_200600_302600_NS10device_ptrIlEEjNS0_19identity_decomposerEEE10hipError_tT1_T2_PT3_SG_jT4_jjP12ihipStream_tbEUlT_E_NS1_11comp_targetILNS1_3genE10ELNS1_11target_archE1201ELNS1_3gpuE5ELNS1_3repE0EEENS1_52radix_sort_onesweep_histogram_config_static_selectorELNS0_4arch9wavefront6targetE1EEEvSE_
; %bb.0:
	.section	.rodata,"a",@progbits
	.p2align	6, 0x0
	.amdhsa_kernel _ZN7rocprim17ROCPRIM_400000_NS6detail17trampoline_kernelINS0_14default_configENS1_35radix_sort_onesweep_config_selectorIslEEZNS1_34radix_sort_onesweep_global_offsetsIS3_Lb0EPsN6thrust23THRUST_200600_302600_NS10device_ptrIlEEjNS0_19identity_decomposerEEE10hipError_tT1_T2_PT3_SG_jT4_jjP12ihipStream_tbEUlT_E_NS1_11comp_targetILNS1_3genE10ELNS1_11target_archE1201ELNS1_3gpuE5ELNS1_3repE0EEENS1_52radix_sort_onesweep_histogram_config_static_selectorELNS0_4arch9wavefront6targetE1EEEvSE_
		.amdhsa_group_segment_fixed_size 0
		.amdhsa_private_segment_fixed_size 0
		.amdhsa_kernarg_size 40
		.amdhsa_user_sgpr_count 6
		.amdhsa_user_sgpr_private_segment_buffer 1
		.amdhsa_user_sgpr_dispatch_ptr 0
		.amdhsa_user_sgpr_queue_ptr 0
		.amdhsa_user_sgpr_kernarg_segment_ptr 1
		.amdhsa_user_sgpr_dispatch_id 0
		.amdhsa_user_sgpr_flat_scratch_init 0
		.amdhsa_user_sgpr_private_segment_size 0
		.amdhsa_uses_dynamic_stack 0
		.amdhsa_system_sgpr_private_segment_wavefront_offset 0
		.amdhsa_system_sgpr_workgroup_id_x 1
		.amdhsa_system_sgpr_workgroup_id_y 0
		.amdhsa_system_sgpr_workgroup_id_z 0
		.amdhsa_system_sgpr_workgroup_info 0
		.amdhsa_system_vgpr_workitem_id 0
		.amdhsa_next_free_vgpr 1
		.amdhsa_next_free_sgpr 0
		.amdhsa_reserve_vcc 0
		.amdhsa_reserve_flat_scratch 0
		.amdhsa_float_round_mode_32 0
		.amdhsa_float_round_mode_16_64 0
		.amdhsa_float_denorm_mode_32 3
		.amdhsa_float_denorm_mode_16_64 3
		.amdhsa_dx10_clamp 1
		.amdhsa_ieee_mode 1
		.amdhsa_fp16_overflow 0
		.amdhsa_exception_fp_ieee_invalid_op 0
		.amdhsa_exception_fp_denorm_src 0
		.amdhsa_exception_fp_ieee_div_zero 0
		.amdhsa_exception_fp_ieee_overflow 0
		.amdhsa_exception_fp_ieee_underflow 0
		.amdhsa_exception_fp_ieee_inexact 0
		.amdhsa_exception_int_div_zero 0
	.end_amdhsa_kernel
	.section	.text._ZN7rocprim17ROCPRIM_400000_NS6detail17trampoline_kernelINS0_14default_configENS1_35radix_sort_onesweep_config_selectorIslEEZNS1_34radix_sort_onesweep_global_offsetsIS3_Lb0EPsN6thrust23THRUST_200600_302600_NS10device_ptrIlEEjNS0_19identity_decomposerEEE10hipError_tT1_T2_PT3_SG_jT4_jjP12ihipStream_tbEUlT_E_NS1_11comp_targetILNS1_3genE10ELNS1_11target_archE1201ELNS1_3gpuE5ELNS1_3repE0EEENS1_52radix_sort_onesweep_histogram_config_static_selectorELNS0_4arch9wavefront6targetE1EEEvSE_,"axG",@progbits,_ZN7rocprim17ROCPRIM_400000_NS6detail17trampoline_kernelINS0_14default_configENS1_35radix_sort_onesweep_config_selectorIslEEZNS1_34radix_sort_onesweep_global_offsetsIS3_Lb0EPsN6thrust23THRUST_200600_302600_NS10device_ptrIlEEjNS0_19identity_decomposerEEE10hipError_tT1_T2_PT3_SG_jT4_jjP12ihipStream_tbEUlT_E_NS1_11comp_targetILNS1_3genE10ELNS1_11target_archE1201ELNS1_3gpuE5ELNS1_3repE0EEENS1_52radix_sort_onesweep_histogram_config_static_selectorELNS0_4arch9wavefront6targetE1EEEvSE_,comdat
.Lfunc_end1386:
	.size	_ZN7rocprim17ROCPRIM_400000_NS6detail17trampoline_kernelINS0_14default_configENS1_35radix_sort_onesweep_config_selectorIslEEZNS1_34radix_sort_onesweep_global_offsetsIS3_Lb0EPsN6thrust23THRUST_200600_302600_NS10device_ptrIlEEjNS0_19identity_decomposerEEE10hipError_tT1_T2_PT3_SG_jT4_jjP12ihipStream_tbEUlT_E_NS1_11comp_targetILNS1_3genE10ELNS1_11target_archE1201ELNS1_3gpuE5ELNS1_3repE0EEENS1_52radix_sort_onesweep_histogram_config_static_selectorELNS0_4arch9wavefront6targetE1EEEvSE_, .Lfunc_end1386-_ZN7rocprim17ROCPRIM_400000_NS6detail17trampoline_kernelINS0_14default_configENS1_35radix_sort_onesweep_config_selectorIslEEZNS1_34radix_sort_onesweep_global_offsetsIS3_Lb0EPsN6thrust23THRUST_200600_302600_NS10device_ptrIlEEjNS0_19identity_decomposerEEE10hipError_tT1_T2_PT3_SG_jT4_jjP12ihipStream_tbEUlT_E_NS1_11comp_targetILNS1_3genE10ELNS1_11target_archE1201ELNS1_3gpuE5ELNS1_3repE0EEENS1_52radix_sort_onesweep_histogram_config_static_selectorELNS0_4arch9wavefront6targetE1EEEvSE_
                                        ; -- End function
	.set _ZN7rocprim17ROCPRIM_400000_NS6detail17trampoline_kernelINS0_14default_configENS1_35radix_sort_onesweep_config_selectorIslEEZNS1_34radix_sort_onesweep_global_offsetsIS3_Lb0EPsN6thrust23THRUST_200600_302600_NS10device_ptrIlEEjNS0_19identity_decomposerEEE10hipError_tT1_T2_PT3_SG_jT4_jjP12ihipStream_tbEUlT_E_NS1_11comp_targetILNS1_3genE10ELNS1_11target_archE1201ELNS1_3gpuE5ELNS1_3repE0EEENS1_52radix_sort_onesweep_histogram_config_static_selectorELNS0_4arch9wavefront6targetE1EEEvSE_.num_vgpr, 0
	.set _ZN7rocprim17ROCPRIM_400000_NS6detail17trampoline_kernelINS0_14default_configENS1_35radix_sort_onesweep_config_selectorIslEEZNS1_34radix_sort_onesweep_global_offsetsIS3_Lb0EPsN6thrust23THRUST_200600_302600_NS10device_ptrIlEEjNS0_19identity_decomposerEEE10hipError_tT1_T2_PT3_SG_jT4_jjP12ihipStream_tbEUlT_E_NS1_11comp_targetILNS1_3genE10ELNS1_11target_archE1201ELNS1_3gpuE5ELNS1_3repE0EEENS1_52radix_sort_onesweep_histogram_config_static_selectorELNS0_4arch9wavefront6targetE1EEEvSE_.num_agpr, 0
	.set _ZN7rocprim17ROCPRIM_400000_NS6detail17trampoline_kernelINS0_14default_configENS1_35radix_sort_onesweep_config_selectorIslEEZNS1_34radix_sort_onesweep_global_offsetsIS3_Lb0EPsN6thrust23THRUST_200600_302600_NS10device_ptrIlEEjNS0_19identity_decomposerEEE10hipError_tT1_T2_PT3_SG_jT4_jjP12ihipStream_tbEUlT_E_NS1_11comp_targetILNS1_3genE10ELNS1_11target_archE1201ELNS1_3gpuE5ELNS1_3repE0EEENS1_52radix_sort_onesweep_histogram_config_static_selectorELNS0_4arch9wavefront6targetE1EEEvSE_.numbered_sgpr, 0
	.set _ZN7rocprim17ROCPRIM_400000_NS6detail17trampoline_kernelINS0_14default_configENS1_35radix_sort_onesweep_config_selectorIslEEZNS1_34radix_sort_onesweep_global_offsetsIS3_Lb0EPsN6thrust23THRUST_200600_302600_NS10device_ptrIlEEjNS0_19identity_decomposerEEE10hipError_tT1_T2_PT3_SG_jT4_jjP12ihipStream_tbEUlT_E_NS1_11comp_targetILNS1_3genE10ELNS1_11target_archE1201ELNS1_3gpuE5ELNS1_3repE0EEENS1_52radix_sort_onesweep_histogram_config_static_selectorELNS0_4arch9wavefront6targetE1EEEvSE_.num_named_barrier, 0
	.set _ZN7rocprim17ROCPRIM_400000_NS6detail17trampoline_kernelINS0_14default_configENS1_35radix_sort_onesweep_config_selectorIslEEZNS1_34radix_sort_onesweep_global_offsetsIS3_Lb0EPsN6thrust23THRUST_200600_302600_NS10device_ptrIlEEjNS0_19identity_decomposerEEE10hipError_tT1_T2_PT3_SG_jT4_jjP12ihipStream_tbEUlT_E_NS1_11comp_targetILNS1_3genE10ELNS1_11target_archE1201ELNS1_3gpuE5ELNS1_3repE0EEENS1_52radix_sort_onesweep_histogram_config_static_selectorELNS0_4arch9wavefront6targetE1EEEvSE_.private_seg_size, 0
	.set _ZN7rocprim17ROCPRIM_400000_NS6detail17trampoline_kernelINS0_14default_configENS1_35radix_sort_onesweep_config_selectorIslEEZNS1_34radix_sort_onesweep_global_offsetsIS3_Lb0EPsN6thrust23THRUST_200600_302600_NS10device_ptrIlEEjNS0_19identity_decomposerEEE10hipError_tT1_T2_PT3_SG_jT4_jjP12ihipStream_tbEUlT_E_NS1_11comp_targetILNS1_3genE10ELNS1_11target_archE1201ELNS1_3gpuE5ELNS1_3repE0EEENS1_52radix_sort_onesweep_histogram_config_static_selectorELNS0_4arch9wavefront6targetE1EEEvSE_.uses_vcc, 0
	.set _ZN7rocprim17ROCPRIM_400000_NS6detail17trampoline_kernelINS0_14default_configENS1_35radix_sort_onesweep_config_selectorIslEEZNS1_34radix_sort_onesweep_global_offsetsIS3_Lb0EPsN6thrust23THRUST_200600_302600_NS10device_ptrIlEEjNS0_19identity_decomposerEEE10hipError_tT1_T2_PT3_SG_jT4_jjP12ihipStream_tbEUlT_E_NS1_11comp_targetILNS1_3genE10ELNS1_11target_archE1201ELNS1_3gpuE5ELNS1_3repE0EEENS1_52radix_sort_onesweep_histogram_config_static_selectorELNS0_4arch9wavefront6targetE1EEEvSE_.uses_flat_scratch, 0
	.set _ZN7rocprim17ROCPRIM_400000_NS6detail17trampoline_kernelINS0_14default_configENS1_35radix_sort_onesweep_config_selectorIslEEZNS1_34radix_sort_onesweep_global_offsetsIS3_Lb0EPsN6thrust23THRUST_200600_302600_NS10device_ptrIlEEjNS0_19identity_decomposerEEE10hipError_tT1_T2_PT3_SG_jT4_jjP12ihipStream_tbEUlT_E_NS1_11comp_targetILNS1_3genE10ELNS1_11target_archE1201ELNS1_3gpuE5ELNS1_3repE0EEENS1_52radix_sort_onesweep_histogram_config_static_selectorELNS0_4arch9wavefront6targetE1EEEvSE_.has_dyn_sized_stack, 0
	.set _ZN7rocprim17ROCPRIM_400000_NS6detail17trampoline_kernelINS0_14default_configENS1_35radix_sort_onesweep_config_selectorIslEEZNS1_34radix_sort_onesweep_global_offsetsIS3_Lb0EPsN6thrust23THRUST_200600_302600_NS10device_ptrIlEEjNS0_19identity_decomposerEEE10hipError_tT1_T2_PT3_SG_jT4_jjP12ihipStream_tbEUlT_E_NS1_11comp_targetILNS1_3genE10ELNS1_11target_archE1201ELNS1_3gpuE5ELNS1_3repE0EEENS1_52radix_sort_onesweep_histogram_config_static_selectorELNS0_4arch9wavefront6targetE1EEEvSE_.has_recursion, 0
	.set _ZN7rocprim17ROCPRIM_400000_NS6detail17trampoline_kernelINS0_14default_configENS1_35radix_sort_onesweep_config_selectorIslEEZNS1_34radix_sort_onesweep_global_offsetsIS3_Lb0EPsN6thrust23THRUST_200600_302600_NS10device_ptrIlEEjNS0_19identity_decomposerEEE10hipError_tT1_T2_PT3_SG_jT4_jjP12ihipStream_tbEUlT_E_NS1_11comp_targetILNS1_3genE10ELNS1_11target_archE1201ELNS1_3gpuE5ELNS1_3repE0EEENS1_52radix_sort_onesweep_histogram_config_static_selectorELNS0_4arch9wavefront6targetE1EEEvSE_.has_indirect_call, 0
	.section	.AMDGPU.csdata,"",@progbits
; Kernel info:
; codeLenInByte = 0
; TotalNumSgprs: 4
; NumVgprs: 0
; ScratchSize: 0
; MemoryBound: 0
; FloatMode: 240
; IeeeMode: 1
; LDSByteSize: 0 bytes/workgroup (compile time only)
; SGPRBlocks: 0
; VGPRBlocks: 0
; NumSGPRsForWavesPerEU: 4
; NumVGPRsForWavesPerEU: 1
; Occupancy: 10
; WaveLimiterHint : 0
; COMPUTE_PGM_RSRC2:SCRATCH_EN: 0
; COMPUTE_PGM_RSRC2:USER_SGPR: 6
; COMPUTE_PGM_RSRC2:TRAP_HANDLER: 0
; COMPUTE_PGM_RSRC2:TGID_X_EN: 1
; COMPUTE_PGM_RSRC2:TGID_Y_EN: 0
; COMPUTE_PGM_RSRC2:TGID_Z_EN: 0
; COMPUTE_PGM_RSRC2:TIDIG_COMP_CNT: 0
	.section	.text._ZN7rocprim17ROCPRIM_400000_NS6detail17trampoline_kernelINS0_14default_configENS1_35radix_sort_onesweep_config_selectorIslEEZNS1_34radix_sort_onesweep_global_offsetsIS3_Lb0EPsN6thrust23THRUST_200600_302600_NS10device_ptrIlEEjNS0_19identity_decomposerEEE10hipError_tT1_T2_PT3_SG_jT4_jjP12ihipStream_tbEUlT_E_NS1_11comp_targetILNS1_3genE9ELNS1_11target_archE1100ELNS1_3gpuE3ELNS1_3repE0EEENS1_52radix_sort_onesweep_histogram_config_static_selectorELNS0_4arch9wavefront6targetE1EEEvSE_,"axG",@progbits,_ZN7rocprim17ROCPRIM_400000_NS6detail17trampoline_kernelINS0_14default_configENS1_35radix_sort_onesweep_config_selectorIslEEZNS1_34radix_sort_onesweep_global_offsetsIS3_Lb0EPsN6thrust23THRUST_200600_302600_NS10device_ptrIlEEjNS0_19identity_decomposerEEE10hipError_tT1_T2_PT3_SG_jT4_jjP12ihipStream_tbEUlT_E_NS1_11comp_targetILNS1_3genE9ELNS1_11target_archE1100ELNS1_3gpuE3ELNS1_3repE0EEENS1_52radix_sort_onesweep_histogram_config_static_selectorELNS0_4arch9wavefront6targetE1EEEvSE_,comdat
	.protected	_ZN7rocprim17ROCPRIM_400000_NS6detail17trampoline_kernelINS0_14default_configENS1_35radix_sort_onesweep_config_selectorIslEEZNS1_34radix_sort_onesweep_global_offsetsIS3_Lb0EPsN6thrust23THRUST_200600_302600_NS10device_ptrIlEEjNS0_19identity_decomposerEEE10hipError_tT1_T2_PT3_SG_jT4_jjP12ihipStream_tbEUlT_E_NS1_11comp_targetILNS1_3genE9ELNS1_11target_archE1100ELNS1_3gpuE3ELNS1_3repE0EEENS1_52radix_sort_onesweep_histogram_config_static_selectorELNS0_4arch9wavefront6targetE1EEEvSE_ ; -- Begin function _ZN7rocprim17ROCPRIM_400000_NS6detail17trampoline_kernelINS0_14default_configENS1_35radix_sort_onesweep_config_selectorIslEEZNS1_34radix_sort_onesweep_global_offsetsIS3_Lb0EPsN6thrust23THRUST_200600_302600_NS10device_ptrIlEEjNS0_19identity_decomposerEEE10hipError_tT1_T2_PT3_SG_jT4_jjP12ihipStream_tbEUlT_E_NS1_11comp_targetILNS1_3genE9ELNS1_11target_archE1100ELNS1_3gpuE3ELNS1_3repE0EEENS1_52radix_sort_onesweep_histogram_config_static_selectorELNS0_4arch9wavefront6targetE1EEEvSE_
	.globl	_ZN7rocprim17ROCPRIM_400000_NS6detail17trampoline_kernelINS0_14default_configENS1_35radix_sort_onesweep_config_selectorIslEEZNS1_34radix_sort_onesweep_global_offsetsIS3_Lb0EPsN6thrust23THRUST_200600_302600_NS10device_ptrIlEEjNS0_19identity_decomposerEEE10hipError_tT1_T2_PT3_SG_jT4_jjP12ihipStream_tbEUlT_E_NS1_11comp_targetILNS1_3genE9ELNS1_11target_archE1100ELNS1_3gpuE3ELNS1_3repE0EEENS1_52radix_sort_onesweep_histogram_config_static_selectorELNS0_4arch9wavefront6targetE1EEEvSE_
	.p2align	8
	.type	_ZN7rocprim17ROCPRIM_400000_NS6detail17trampoline_kernelINS0_14default_configENS1_35radix_sort_onesweep_config_selectorIslEEZNS1_34radix_sort_onesweep_global_offsetsIS3_Lb0EPsN6thrust23THRUST_200600_302600_NS10device_ptrIlEEjNS0_19identity_decomposerEEE10hipError_tT1_T2_PT3_SG_jT4_jjP12ihipStream_tbEUlT_E_NS1_11comp_targetILNS1_3genE9ELNS1_11target_archE1100ELNS1_3gpuE3ELNS1_3repE0EEENS1_52radix_sort_onesweep_histogram_config_static_selectorELNS0_4arch9wavefront6targetE1EEEvSE_,@function
_ZN7rocprim17ROCPRIM_400000_NS6detail17trampoline_kernelINS0_14default_configENS1_35radix_sort_onesweep_config_selectorIslEEZNS1_34radix_sort_onesweep_global_offsetsIS3_Lb0EPsN6thrust23THRUST_200600_302600_NS10device_ptrIlEEjNS0_19identity_decomposerEEE10hipError_tT1_T2_PT3_SG_jT4_jjP12ihipStream_tbEUlT_E_NS1_11comp_targetILNS1_3genE9ELNS1_11target_archE1100ELNS1_3gpuE3ELNS1_3repE0EEENS1_52radix_sort_onesweep_histogram_config_static_selectorELNS0_4arch9wavefront6targetE1EEEvSE_: ; @_ZN7rocprim17ROCPRIM_400000_NS6detail17trampoline_kernelINS0_14default_configENS1_35radix_sort_onesweep_config_selectorIslEEZNS1_34radix_sort_onesweep_global_offsetsIS3_Lb0EPsN6thrust23THRUST_200600_302600_NS10device_ptrIlEEjNS0_19identity_decomposerEEE10hipError_tT1_T2_PT3_SG_jT4_jjP12ihipStream_tbEUlT_E_NS1_11comp_targetILNS1_3genE9ELNS1_11target_archE1100ELNS1_3gpuE3ELNS1_3repE0EEENS1_52radix_sort_onesweep_histogram_config_static_selectorELNS0_4arch9wavefront6targetE1EEEvSE_
; %bb.0:
	.section	.rodata,"a",@progbits
	.p2align	6, 0x0
	.amdhsa_kernel _ZN7rocprim17ROCPRIM_400000_NS6detail17trampoline_kernelINS0_14default_configENS1_35radix_sort_onesweep_config_selectorIslEEZNS1_34radix_sort_onesweep_global_offsetsIS3_Lb0EPsN6thrust23THRUST_200600_302600_NS10device_ptrIlEEjNS0_19identity_decomposerEEE10hipError_tT1_T2_PT3_SG_jT4_jjP12ihipStream_tbEUlT_E_NS1_11comp_targetILNS1_3genE9ELNS1_11target_archE1100ELNS1_3gpuE3ELNS1_3repE0EEENS1_52radix_sort_onesweep_histogram_config_static_selectorELNS0_4arch9wavefront6targetE1EEEvSE_
		.amdhsa_group_segment_fixed_size 0
		.amdhsa_private_segment_fixed_size 0
		.amdhsa_kernarg_size 40
		.amdhsa_user_sgpr_count 6
		.amdhsa_user_sgpr_private_segment_buffer 1
		.amdhsa_user_sgpr_dispatch_ptr 0
		.amdhsa_user_sgpr_queue_ptr 0
		.amdhsa_user_sgpr_kernarg_segment_ptr 1
		.amdhsa_user_sgpr_dispatch_id 0
		.amdhsa_user_sgpr_flat_scratch_init 0
		.amdhsa_user_sgpr_private_segment_size 0
		.amdhsa_uses_dynamic_stack 0
		.amdhsa_system_sgpr_private_segment_wavefront_offset 0
		.amdhsa_system_sgpr_workgroup_id_x 1
		.amdhsa_system_sgpr_workgroup_id_y 0
		.amdhsa_system_sgpr_workgroup_id_z 0
		.amdhsa_system_sgpr_workgroup_info 0
		.amdhsa_system_vgpr_workitem_id 0
		.amdhsa_next_free_vgpr 1
		.amdhsa_next_free_sgpr 0
		.amdhsa_reserve_vcc 0
		.amdhsa_reserve_flat_scratch 0
		.amdhsa_float_round_mode_32 0
		.amdhsa_float_round_mode_16_64 0
		.amdhsa_float_denorm_mode_32 3
		.amdhsa_float_denorm_mode_16_64 3
		.amdhsa_dx10_clamp 1
		.amdhsa_ieee_mode 1
		.amdhsa_fp16_overflow 0
		.amdhsa_exception_fp_ieee_invalid_op 0
		.amdhsa_exception_fp_denorm_src 0
		.amdhsa_exception_fp_ieee_div_zero 0
		.amdhsa_exception_fp_ieee_overflow 0
		.amdhsa_exception_fp_ieee_underflow 0
		.amdhsa_exception_fp_ieee_inexact 0
		.amdhsa_exception_int_div_zero 0
	.end_amdhsa_kernel
	.section	.text._ZN7rocprim17ROCPRIM_400000_NS6detail17trampoline_kernelINS0_14default_configENS1_35radix_sort_onesweep_config_selectorIslEEZNS1_34radix_sort_onesweep_global_offsetsIS3_Lb0EPsN6thrust23THRUST_200600_302600_NS10device_ptrIlEEjNS0_19identity_decomposerEEE10hipError_tT1_T2_PT3_SG_jT4_jjP12ihipStream_tbEUlT_E_NS1_11comp_targetILNS1_3genE9ELNS1_11target_archE1100ELNS1_3gpuE3ELNS1_3repE0EEENS1_52radix_sort_onesweep_histogram_config_static_selectorELNS0_4arch9wavefront6targetE1EEEvSE_,"axG",@progbits,_ZN7rocprim17ROCPRIM_400000_NS6detail17trampoline_kernelINS0_14default_configENS1_35radix_sort_onesweep_config_selectorIslEEZNS1_34radix_sort_onesweep_global_offsetsIS3_Lb0EPsN6thrust23THRUST_200600_302600_NS10device_ptrIlEEjNS0_19identity_decomposerEEE10hipError_tT1_T2_PT3_SG_jT4_jjP12ihipStream_tbEUlT_E_NS1_11comp_targetILNS1_3genE9ELNS1_11target_archE1100ELNS1_3gpuE3ELNS1_3repE0EEENS1_52radix_sort_onesweep_histogram_config_static_selectorELNS0_4arch9wavefront6targetE1EEEvSE_,comdat
.Lfunc_end1387:
	.size	_ZN7rocprim17ROCPRIM_400000_NS6detail17trampoline_kernelINS0_14default_configENS1_35radix_sort_onesweep_config_selectorIslEEZNS1_34radix_sort_onesweep_global_offsetsIS3_Lb0EPsN6thrust23THRUST_200600_302600_NS10device_ptrIlEEjNS0_19identity_decomposerEEE10hipError_tT1_T2_PT3_SG_jT4_jjP12ihipStream_tbEUlT_E_NS1_11comp_targetILNS1_3genE9ELNS1_11target_archE1100ELNS1_3gpuE3ELNS1_3repE0EEENS1_52radix_sort_onesweep_histogram_config_static_selectorELNS0_4arch9wavefront6targetE1EEEvSE_, .Lfunc_end1387-_ZN7rocprim17ROCPRIM_400000_NS6detail17trampoline_kernelINS0_14default_configENS1_35radix_sort_onesweep_config_selectorIslEEZNS1_34radix_sort_onesweep_global_offsetsIS3_Lb0EPsN6thrust23THRUST_200600_302600_NS10device_ptrIlEEjNS0_19identity_decomposerEEE10hipError_tT1_T2_PT3_SG_jT4_jjP12ihipStream_tbEUlT_E_NS1_11comp_targetILNS1_3genE9ELNS1_11target_archE1100ELNS1_3gpuE3ELNS1_3repE0EEENS1_52radix_sort_onesweep_histogram_config_static_selectorELNS0_4arch9wavefront6targetE1EEEvSE_
                                        ; -- End function
	.set _ZN7rocprim17ROCPRIM_400000_NS6detail17trampoline_kernelINS0_14default_configENS1_35radix_sort_onesweep_config_selectorIslEEZNS1_34radix_sort_onesweep_global_offsetsIS3_Lb0EPsN6thrust23THRUST_200600_302600_NS10device_ptrIlEEjNS0_19identity_decomposerEEE10hipError_tT1_T2_PT3_SG_jT4_jjP12ihipStream_tbEUlT_E_NS1_11comp_targetILNS1_3genE9ELNS1_11target_archE1100ELNS1_3gpuE3ELNS1_3repE0EEENS1_52radix_sort_onesweep_histogram_config_static_selectorELNS0_4arch9wavefront6targetE1EEEvSE_.num_vgpr, 0
	.set _ZN7rocprim17ROCPRIM_400000_NS6detail17trampoline_kernelINS0_14default_configENS1_35radix_sort_onesweep_config_selectorIslEEZNS1_34radix_sort_onesweep_global_offsetsIS3_Lb0EPsN6thrust23THRUST_200600_302600_NS10device_ptrIlEEjNS0_19identity_decomposerEEE10hipError_tT1_T2_PT3_SG_jT4_jjP12ihipStream_tbEUlT_E_NS1_11comp_targetILNS1_3genE9ELNS1_11target_archE1100ELNS1_3gpuE3ELNS1_3repE0EEENS1_52radix_sort_onesweep_histogram_config_static_selectorELNS0_4arch9wavefront6targetE1EEEvSE_.num_agpr, 0
	.set _ZN7rocprim17ROCPRIM_400000_NS6detail17trampoline_kernelINS0_14default_configENS1_35radix_sort_onesweep_config_selectorIslEEZNS1_34radix_sort_onesweep_global_offsetsIS3_Lb0EPsN6thrust23THRUST_200600_302600_NS10device_ptrIlEEjNS0_19identity_decomposerEEE10hipError_tT1_T2_PT3_SG_jT4_jjP12ihipStream_tbEUlT_E_NS1_11comp_targetILNS1_3genE9ELNS1_11target_archE1100ELNS1_3gpuE3ELNS1_3repE0EEENS1_52radix_sort_onesweep_histogram_config_static_selectorELNS0_4arch9wavefront6targetE1EEEvSE_.numbered_sgpr, 0
	.set _ZN7rocprim17ROCPRIM_400000_NS6detail17trampoline_kernelINS0_14default_configENS1_35radix_sort_onesweep_config_selectorIslEEZNS1_34radix_sort_onesweep_global_offsetsIS3_Lb0EPsN6thrust23THRUST_200600_302600_NS10device_ptrIlEEjNS0_19identity_decomposerEEE10hipError_tT1_T2_PT3_SG_jT4_jjP12ihipStream_tbEUlT_E_NS1_11comp_targetILNS1_3genE9ELNS1_11target_archE1100ELNS1_3gpuE3ELNS1_3repE0EEENS1_52radix_sort_onesweep_histogram_config_static_selectorELNS0_4arch9wavefront6targetE1EEEvSE_.num_named_barrier, 0
	.set _ZN7rocprim17ROCPRIM_400000_NS6detail17trampoline_kernelINS0_14default_configENS1_35radix_sort_onesweep_config_selectorIslEEZNS1_34radix_sort_onesweep_global_offsetsIS3_Lb0EPsN6thrust23THRUST_200600_302600_NS10device_ptrIlEEjNS0_19identity_decomposerEEE10hipError_tT1_T2_PT3_SG_jT4_jjP12ihipStream_tbEUlT_E_NS1_11comp_targetILNS1_3genE9ELNS1_11target_archE1100ELNS1_3gpuE3ELNS1_3repE0EEENS1_52radix_sort_onesweep_histogram_config_static_selectorELNS0_4arch9wavefront6targetE1EEEvSE_.private_seg_size, 0
	.set _ZN7rocprim17ROCPRIM_400000_NS6detail17trampoline_kernelINS0_14default_configENS1_35radix_sort_onesweep_config_selectorIslEEZNS1_34radix_sort_onesweep_global_offsetsIS3_Lb0EPsN6thrust23THRUST_200600_302600_NS10device_ptrIlEEjNS0_19identity_decomposerEEE10hipError_tT1_T2_PT3_SG_jT4_jjP12ihipStream_tbEUlT_E_NS1_11comp_targetILNS1_3genE9ELNS1_11target_archE1100ELNS1_3gpuE3ELNS1_3repE0EEENS1_52radix_sort_onesweep_histogram_config_static_selectorELNS0_4arch9wavefront6targetE1EEEvSE_.uses_vcc, 0
	.set _ZN7rocprim17ROCPRIM_400000_NS6detail17trampoline_kernelINS0_14default_configENS1_35radix_sort_onesweep_config_selectorIslEEZNS1_34radix_sort_onesweep_global_offsetsIS3_Lb0EPsN6thrust23THRUST_200600_302600_NS10device_ptrIlEEjNS0_19identity_decomposerEEE10hipError_tT1_T2_PT3_SG_jT4_jjP12ihipStream_tbEUlT_E_NS1_11comp_targetILNS1_3genE9ELNS1_11target_archE1100ELNS1_3gpuE3ELNS1_3repE0EEENS1_52radix_sort_onesweep_histogram_config_static_selectorELNS0_4arch9wavefront6targetE1EEEvSE_.uses_flat_scratch, 0
	.set _ZN7rocprim17ROCPRIM_400000_NS6detail17trampoline_kernelINS0_14default_configENS1_35radix_sort_onesweep_config_selectorIslEEZNS1_34radix_sort_onesweep_global_offsetsIS3_Lb0EPsN6thrust23THRUST_200600_302600_NS10device_ptrIlEEjNS0_19identity_decomposerEEE10hipError_tT1_T2_PT3_SG_jT4_jjP12ihipStream_tbEUlT_E_NS1_11comp_targetILNS1_3genE9ELNS1_11target_archE1100ELNS1_3gpuE3ELNS1_3repE0EEENS1_52radix_sort_onesweep_histogram_config_static_selectorELNS0_4arch9wavefront6targetE1EEEvSE_.has_dyn_sized_stack, 0
	.set _ZN7rocprim17ROCPRIM_400000_NS6detail17trampoline_kernelINS0_14default_configENS1_35radix_sort_onesweep_config_selectorIslEEZNS1_34radix_sort_onesweep_global_offsetsIS3_Lb0EPsN6thrust23THRUST_200600_302600_NS10device_ptrIlEEjNS0_19identity_decomposerEEE10hipError_tT1_T2_PT3_SG_jT4_jjP12ihipStream_tbEUlT_E_NS1_11comp_targetILNS1_3genE9ELNS1_11target_archE1100ELNS1_3gpuE3ELNS1_3repE0EEENS1_52radix_sort_onesweep_histogram_config_static_selectorELNS0_4arch9wavefront6targetE1EEEvSE_.has_recursion, 0
	.set _ZN7rocprim17ROCPRIM_400000_NS6detail17trampoline_kernelINS0_14default_configENS1_35radix_sort_onesweep_config_selectorIslEEZNS1_34radix_sort_onesweep_global_offsetsIS3_Lb0EPsN6thrust23THRUST_200600_302600_NS10device_ptrIlEEjNS0_19identity_decomposerEEE10hipError_tT1_T2_PT3_SG_jT4_jjP12ihipStream_tbEUlT_E_NS1_11comp_targetILNS1_3genE9ELNS1_11target_archE1100ELNS1_3gpuE3ELNS1_3repE0EEENS1_52radix_sort_onesweep_histogram_config_static_selectorELNS0_4arch9wavefront6targetE1EEEvSE_.has_indirect_call, 0
	.section	.AMDGPU.csdata,"",@progbits
; Kernel info:
; codeLenInByte = 0
; TotalNumSgprs: 4
; NumVgprs: 0
; ScratchSize: 0
; MemoryBound: 0
; FloatMode: 240
; IeeeMode: 1
; LDSByteSize: 0 bytes/workgroup (compile time only)
; SGPRBlocks: 0
; VGPRBlocks: 0
; NumSGPRsForWavesPerEU: 4
; NumVGPRsForWavesPerEU: 1
; Occupancy: 10
; WaveLimiterHint : 0
; COMPUTE_PGM_RSRC2:SCRATCH_EN: 0
; COMPUTE_PGM_RSRC2:USER_SGPR: 6
; COMPUTE_PGM_RSRC2:TRAP_HANDLER: 0
; COMPUTE_PGM_RSRC2:TGID_X_EN: 1
; COMPUTE_PGM_RSRC2:TGID_Y_EN: 0
; COMPUTE_PGM_RSRC2:TGID_Z_EN: 0
; COMPUTE_PGM_RSRC2:TIDIG_COMP_CNT: 0
	.section	.text._ZN7rocprim17ROCPRIM_400000_NS6detail17trampoline_kernelINS0_14default_configENS1_35radix_sort_onesweep_config_selectorIslEEZNS1_34radix_sort_onesweep_global_offsetsIS3_Lb0EPsN6thrust23THRUST_200600_302600_NS10device_ptrIlEEjNS0_19identity_decomposerEEE10hipError_tT1_T2_PT3_SG_jT4_jjP12ihipStream_tbEUlT_E_NS1_11comp_targetILNS1_3genE8ELNS1_11target_archE1030ELNS1_3gpuE2ELNS1_3repE0EEENS1_52radix_sort_onesweep_histogram_config_static_selectorELNS0_4arch9wavefront6targetE1EEEvSE_,"axG",@progbits,_ZN7rocprim17ROCPRIM_400000_NS6detail17trampoline_kernelINS0_14default_configENS1_35radix_sort_onesweep_config_selectorIslEEZNS1_34radix_sort_onesweep_global_offsetsIS3_Lb0EPsN6thrust23THRUST_200600_302600_NS10device_ptrIlEEjNS0_19identity_decomposerEEE10hipError_tT1_T2_PT3_SG_jT4_jjP12ihipStream_tbEUlT_E_NS1_11comp_targetILNS1_3genE8ELNS1_11target_archE1030ELNS1_3gpuE2ELNS1_3repE0EEENS1_52radix_sort_onesweep_histogram_config_static_selectorELNS0_4arch9wavefront6targetE1EEEvSE_,comdat
	.protected	_ZN7rocprim17ROCPRIM_400000_NS6detail17trampoline_kernelINS0_14default_configENS1_35radix_sort_onesweep_config_selectorIslEEZNS1_34radix_sort_onesweep_global_offsetsIS3_Lb0EPsN6thrust23THRUST_200600_302600_NS10device_ptrIlEEjNS0_19identity_decomposerEEE10hipError_tT1_T2_PT3_SG_jT4_jjP12ihipStream_tbEUlT_E_NS1_11comp_targetILNS1_3genE8ELNS1_11target_archE1030ELNS1_3gpuE2ELNS1_3repE0EEENS1_52radix_sort_onesweep_histogram_config_static_selectorELNS0_4arch9wavefront6targetE1EEEvSE_ ; -- Begin function _ZN7rocprim17ROCPRIM_400000_NS6detail17trampoline_kernelINS0_14default_configENS1_35radix_sort_onesweep_config_selectorIslEEZNS1_34radix_sort_onesweep_global_offsetsIS3_Lb0EPsN6thrust23THRUST_200600_302600_NS10device_ptrIlEEjNS0_19identity_decomposerEEE10hipError_tT1_T2_PT3_SG_jT4_jjP12ihipStream_tbEUlT_E_NS1_11comp_targetILNS1_3genE8ELNS1_11target_archE1030ELNS1_3gpuE2ELNS1_3repE0EEENS1_52radix_sort_onesweep_histogram_config_static_selectorELNS0_4arch9wavefront6targetE1EEEvSE_
	.globl	_ZN7rocprim17ROCPRIM_400000_NS6detail17trampoline_kernelINS0_14default_configENS1_35radix_sort_onesweep_config_selectorIslEEZNS1_34radix_sort_onesweep_global_offsetsIS3_Lb0EPsN6thrust23THRUST_200600_302600_NS10device_ptrIlEEjNS0_19identity_decomposerEEE10hipError_tT1_T2_PT3_SG_jT4_jjP12ihipStream_tbEUlT_E_NS1_11comp_targetILNS1_3genE8ELNS1_11target_archE1030ELNS1_3gpuE2ELNS1_3repE0EEENS1_52radix_sort_onesweep_histogram_config_static_selectorELNS0_4arch9wavefront6targetE1EEEvSE_
	.p2align	8
	.type	_ZN7rocprim17ROCPRIM_400000_NS6detail17trampoline_kernelINS0_14default_configENS1_35radix_sort_onesweep_config_selectorIslEEZNS1_34radix_sort_onesweep_global_offsetsIS3_Lb0EPsN6thrust23THRUST_200600_302600_NS10device_ptrIlEEjNS0_19identity_decomposerEEE10hipError_tT1_T2_PT3_SG_jT4_jjP12ihipStream_tbEUlT_E_NS1_11comp_targetILNS1_3genE8ELNS1_11target_archE1030ELNS1_3gpuE2ELNS1_3repE0EEENS1_52radix_sort_onesweep_histogram_config_static_selectorELNS0_4arch9wavefront6targetE1EEEvSE_,@function
_ZN7rocprim17ROCPRIM_400000_NS6detail17trampoline_kernelINS0_14default_configENS1_35radix_sort_onesweep_config_selectorIslEEZNS1_34radix_sort_onesweep_global_offsetsIS3_Lb0EPsN6thrust23THRUST_200600_302600_NS10device_ptrIlEEjNS0_19identity_decomposerEEE10hipError_tT1_T2_PT3_SG_jT4_jjP12ihipStream_tbEUlT_E_NS1_11comp_targetILNS1_3genE8ELNS1_11target_archE1030ELNS1_3gpuE2ELNS1_3repE0EEENS1_52radix_sort_onesweep_histogram_config_static_selectorELNS0_4arch9wavefront6targetE1EEEvSE_: ; @_ZN7rocprim17ROCPRIM_400000_NS6detail17trampoline_kernelINS0_14default_configENS1_35radix_sort_onesweep_config_selectorIslEEZNS1_34radix_sort_onesweep_global_offsetsIS3_Lb0EPsN6thrust23THRUST_200600_302600_NS10device_ptrIlEEjNS0_19identity_decomposerEEE10hipError_tT1_T2_PT3_SG_jT4_jjP12ihipStream_tbEUlT_E_NS1_11comp_targetILNS1_3genE8ELNS1_11target_archE1030ELNS1_3gpuE2ELNS1_3repE0EEENS1_52radix_sort_onesweep_histogram_config_static_selectorELNS0_4arch9wavefront6targetE1EEEvSE_
; %bb.0:
	.section	.rodata,"a",@progbits
	.p2align	6, 0x0
	.amdhsa_kernel _ZN7rocprim17ROCPRIM_400000_NS6detail17trampoline_kernelINS0_14default_configENS1_35radix_sort_onesweep_config_selectorIslEEZNS1_34radix_sort_onesweep_global_offsetsIS3_Lb0EPsN6thrust23THRUST_200600_302600_NS10device_ptrIlEEjNS0_19identity_decomposerEEE10hipError_tT1_T2_PT3_SG_jT4_jjP12ihipStream_tbEUlT_E_NS1_11comp_targetILNS1_3genE8ELNS1_11target_archE1030ELNS1_3gpuE2ELNS1_3repE0EEENS1_52radix_sort_onesweep_histogram_config_static_selectorELNS0_4arch9wavefront6targetE1EEEvSE_
		.amdhsa_group_segment_fixed_size 0
		.amdhsa_private_segment_fixed_size 0
		.amdhsa_kernarg_size 40
		.amdhsa_user_sgpr_count 6
		.amdhsa_user_sgpr_private_segment_buffer 1
		.amdhsa_user_sgpr_dispatch_ptr 0
		.amdhsa_user_sgpr_queue_ptr 0
		.amdhsa_user_sgpr_kernarg_segment_ptr 1
		.amdhsa_user_sgpr_dispatch_id 0
		.amdhsa_user_sgpr_flat_scratch_init 0
		.amdhsa_user_sgpr_private_segment_size 0
		.amdhsa_uses_dynamic_stack 0
		.amdhsa_system_sgpr_private_segment_wavefront_offset 0
		.amdhsa_system_sgpr_workgroup_id_x 1
		.amdhsa_system_sgpr_workgroup_id_y 0
		.amdhsa_system_sgpr_workgroup_id_z 0
		.amdhsa_system_sgpr_workgroup_info 0
		.amdhsa_system_vgpr_workitem_id 0
		.amdhsa_next_free_vgpr 1
		.amdhsa_next_free_sgpr 0
		.amdhsa_reserve_vcc 0
		.amdhsa_reserve_flat_scratch 0
		.amdhsa_float_round_mode_32 0
		.amdhsa_float_round_mode_16_64 0
		.amdhsa_float_denorm_mode_32 3
		.amdhsa_float_denorm_mode_16_64 3
		.amdhsa_dx10_clamp 1
		.amdhsa_ieee_mode 1
		.amdhsa_fp16_overflow 0
		.amdhsa_exception_fp_ieee_invalid_op 0
		.amdhsa_exception_fp_denorm_src 0
		.amdhsa_exception_fp_ieee_div_zero 0
		.amdhsa_exception_fp_ieee_overflow 0
		.amdhsa_exception_fp_ieee_underflow 0
		.amdhsa_exception_fp_ieee_inexact 0
		.amdhsa_exception_int_div_zero 0
	.end_amdhsa_kernel
	.section	.text._ZN7rocprim17ROCPRIM_400000_NS6detail17trampoline_kernelINS0_14default_configENS1_35radix_sort_onesweep_config_selectorIslEEZNS1_34radix_sort_onesweep_global_offsetsIS3_Lb0EPsN6thrust23THRUST_200600_302600_NS10device_ptrIlEEjNS0_19identity_decomposerEEE10hipError_tT1_T2_PT3_SG_jT4_jjP12ihipStream_tbEUlT_E_NS1_11comp_targetILNS1_3genE8ELNS1_11target_archE1030ELNS1_3gpuE2ELNS1_3repE0EEENS1_52radix_sort_onesweep_histogram_config_static_selectorELNS0_4arch9wavefront6targetE1EEEvSE_,"axG",@progbits,_ZN7rocprim17ROCPRIM_400000_NS6detail17trampoline_kernelINS0_14default_configENS1_35radix_sort_onesweep_config_selectorIslEEZNS1_34radix_sort_onesweep_global_offsetsIS3_Lb0EPsN6thrust23THRUST_200600_302600_NS10device_ptrIlEEjNS0_19identity_decomposerEEE10hipError_tT1_T2_PT3_SG_jT4_jjP12ihipStream_tbEUlT_E_NS1_11comp_targetILNS1_3genE8ELNS1_11target_archE1030ELNS1_3gpuE2ELNS1_3repE0EEENS1_52radix_sort_onesweep_histogram_config_static_selectorELNS0_4arch9wavefront6targetE1EEEvSE_,comdat
.Lfunc_end1388:
	.size	_ZN7rocprim17ROCPRIM_400000_NS6detail17trampoline_kernelINS0_14default_configENS1_35radix_sort_onesweep_config_selectorIslEEZNS1_34radix_sort_onesweep_global_offsetsIS3_Lb0EPsN6thrust23THRUST_200600_302600_NS10device_ptrIlEEjNS0_19identity_decomposerEEE10hipError_tT1_T2_PT3_SG_jT4_jjP12ihipStream_tbEUlT_E_NS1_11comp_targetILNS1_3genE8ELNS1_11target_archE1030ELNS1_3gpuE2ELNS1_3repE0EEENS1_52radix_sort_onesweep_histogram_config_static_selectorELNS0_4arch9wavefront6targetE1EEEvSE_, .Lfunc_end1388-_ZN7rocprim17ROCPRIM_400000_NS6detail17trampoline_kernelINS0_14default_configENS1_35radix_sort_onesweep_config_selectorIslEEZNS1_34radix_sort_onesweep_global_offsetsIS3_Lb0EPsN6thrust23THRUST_200600_302600_NS10device_ptrIlEEjNS0_19identity_decomposerEEE10hipError_tT1_T2_PT3_SG_jT4_jjP12ihipStream_tbEUlT_E_NS1_11comp_targetILNS1_3genE8ELNS1_11target_archE1030ELNS1_3gpuE2ELNS1_3repE0EEENS1_52radix_sort_onesweep_histogram_config_static_selectorELNS0_4arch9wavefront6targetE1EEEvSE_
                                        ; -- End function
	.set _ZN7rocprim17ROCPRIM_400000_NS6detail17trampoline_kernelINS0_14default_configENS1_35radix_sort_onesweep_config_selectorIslEEZNS1_34radix_sort_onesweep_global_offsetsIS3_Lb0EPsN6thrust23THRUST_200600_302600_NS10device_ptrIlEEjNS0_19identity_decomposerEEE10hipError_tT1_T2_PT3_SG_jT4_jjP12ihipStream_tbEUlT_E_NS1_11comp_targetILNS1_3genE8ELNS1_11target_archE1030ELNS1_3gpuE2ELNS1_3repE0EEENS1_52radix_sort_onesweep_histogram_config_static_selectorELNS0_4arch9wavefront6targetE1EEEvSE_.num_vgpr, 0
	.set _ZN7rocprim17ROCPRIM_400000_NS6detail17trampoline_kernelINS0_14default_configENS1_35radix_sort_onesweep_config_selectorIslEEZNS1_34radix_sort_onesweep_global_offsetsIS3_Lb0EPsN6thrust23THRUST_200600_302600_NS10device_ptrIlEEjNS0_19identity_decomposerEEE10hipError_tT1_T2_PT3_SG_jT4_jjP12ihipStream_tbEUlT_E_NS1_11comp_targetILNS1_3genE8ELNS1_11target_archE1030ELNS1_3gpuE2ELNS1_3repE0EEENS1_52radix_sort_onesweep_histogram_config_static_selectorELNS0_4arch9wavefront6targetE1EEEvSE_.num_agpr, 0
	.set _ZN7rocprim17ROCPRIM_400000_NS6detail17trampoline_kernelINS0_14default_configENS1_35radix_sort_onesweep_config_selectorIslEEZNS1_34radix_sort_onesweep_global_offsetsIS3_Lb0EPsN6thrust23THRUST_200600_302600_NS10device_ptrIlEEjNS0_19identity_decomposerEEE10hipError_tT1_T2_PT3_SG_jT4_jjP12ihipStream_tbEUlT_E_NS1_11comp_targetILNS1_3genE8ELNS1_11target_archE1030ELNS1_3gpuE2ELNS1_3repE0EEENS1_52radix_sort_onesweep_histogram_config_static_selectorELNS0_4arch9wavefront6targetE1EEEvSE_.numbered_sgpr, 0
	.set _ZN7rocprim17ROCPRIM_400000_NS6detail17trampoline_kernelINS0_14default_configENS1_35radix_sort_onesweep_config_selectorIslEEZNS1_34radix_sort_onesweep_global_offsetsIS3_Lb0EPsN6thrust23THRUST_200600_302600_NS10device_ptrIlEEjNS0_19identity_decomposerEEE10hipError_tT1_T2_PT3_SG_jT4_jjP12ihipStream_tbEUlT_E_NS1_11comp_targetILNS1_3genE8ELNS1_11target_archE1030ELNS1_3gpuE2ELNS1_3repE0EEENS1_52radix_sort_onesweep_histogram_config_static_selectorELNS0_4arch9wavefront6targetE1EEEvSE_.num_named_barrier, 0
	.set _ZN7rocprim17ROCPRIM_400000_NS6detail17trampoline_kernelINS0_14default_configENS1_35radix_sort_onesweep_config_selectorIslEEZNS1_34radix_sort_onesweep_global_offsetsIS3_Lb0EPsN6thrust23THRUST_200600_302600_NS10device_ptrIlEEjNS0_19identity_decomposerEEE10hipError_tT1_T2_PT3_SG_jT4_jjP12ihipStream_tbEUlT_E_NS1_11comp_targetILNS1_3genE8ELNS1_11target_archE1030ELNS1_3gpuE2ELNS1_3repE0EEENS1_52radix_sort_onesweep_histogram_config_static_selectorELNS0_4arch9wavefront6targetE1EEEvSE_.private_seg_size, 0
	.set _ZN7rocprim17ROCPRIM_400000_NS6detail17trampoline_kernelINS0_14default_configENS1_35radix_sort_onesweep_config_selectorIslEEZNS1_34radix_sort_onesweep_global_offsetsIS3_Lb0EPsN6thrust23THRUST_200600_302600_NS10device_ptrIlEEjNS0_19identity_decomposerEEE10hipError_tT1_T2_PT3_SG_jT4_jjP12ihipStream_tbEUlT_E_NS1_11comp_targetILNS1_3genE8ELNS1_11target_archE1030ELNS1_3gpuE2ELNS1_3repE0EEENS1_52radix_sort_onesweep_histogram_config_static_selectorELNS0_4arch9wavefront6targetE1EEEvSE_.uses_vcc, 0
	.set _ZN7rocprim17ROCPRIM_400000_NS6detail17trampoline_kernelINS0_14default_configENS1_35radix_sort_onesweep_config_selectorIslEEZNS1_34radix_sort_onesweep_global_offsetsIS3_Lb0EPsN6thrust23THRUST_200600_302600_NS10device_ptrIlEEjNS0_19identity_decomposerEEE10hipError_tT1_T2_PT3_SG_jT4_jjP12ihipStream_tbEUlT_E_NS1_11comp_targetILNS1_3genE8ELNS1_11target_archE1030ELNS1_3gpuE2ELNS1_3repE0EEENS1_52radix_sort_onesweep_histogram_config_static_selectorELNS0_4arch9wavefront6targetE1EEEvSE_.uses_flat_scratch, 0
	.set _ZN7rocprim17ROCPRIM_400000_NS6detail17trampoline_kernelINS0_14default_configENS1_35radix_sort_onesweep_config_selectorIslEEZNS1_34radix_sort_onesweep_global_offsetsIS3_Lb0EPsN6thrust23THRUST_200600_302600_NS10device_ptrIlEEjNS0_19identity_decomposerEEE10hipError_tT1_T2_PT3_SG_jT4_jjP12ihipStream_tbEUlT_E_NS1_11comp_targetILNS1_3genE8ELNS1_11target_archE1030ELNS1_3gpuE2ELNS1_3repE0EEENS1_52radix_sort_onesweep_histogram_config_static_selectorELNS0_4arch9wavefront6targetE1EEEvSE_.has_dyn_sized_stack, 0
	.set _ZN7rocprim17ROCPRIM_400000_NS6detail17trampoline_kernelINS0_14default_configENS1_35radix_sort_onesweep_config_selectorIslEEZNS1_34radix_sort_onesweep_global_offsetsIS3_Lb0EPsN6thrust23THRUST_200600_302600_NS10device_ptrIlEEjNS0_19identity_decomposerEEE10hipError_tT1_T2_PT3_SG_jT4_jjP12ihipStream_tbEUlT_E_NS1_11comp_targetILNS1_3genE8ELNS1_11target_archE1030ELNS1_3gpuE2ELNS1_3repE0EEENS1_52radix_sort_onesweep_histogram_config_static_selectorELNS0_4arch9wavefront6targetE1EEEvSE_.has_recursion, 0
	.set _ZN7rocprim17ROCPRIM_400000_NS6detail17trampoline_kernelINS0_14default_configENS1_35radix_sort_onesweep_config_selectorIslEEZNS1_34radix_sort_onesweep_global_offsetsIS3_Lb0EPsN6thrust23THRUST_200600_302600_NS10device_ptrIlEEjNS0_19identity_decomposerEEE10hipError_tT1_T2_PT3_SG_jT4_jjP12ihipStream_tbEUlT_E_NS1_11comp_targetILNS1_3genE8ELNS1_11target_archE1030ELNS1_3gpuE2ELNS1_3repE0EEENS1_52radix_sort_onesweep_histogram_config_static_selectorELNS0_4arch9wavefront6targetE1EEEvSE_.has_indirect_call, 0
	.section	.AMDGPU.csdata,"",@progbits
; Kernel info:
; codeLenInByte = 0
; TotalNumSgprs: 4
; NumVgprs: 0
; ScratchSize: 0
; MemoryBound: 0
; FloatMode: 240
; IeeeMode: 1
; LDSByteSize: 0 bytes/workgroup (compile time only)
; SGPRBlocks: 0
; VGPRBlocks: 0
; NumSGPRsForWavesPerEU: 4
; NumVGPRsForWavesPerEU: 1
; Occupancy: 10
; WaveLimiterHint : 0
; COMPUTE_PGM_RSRC2:SCRATCH_EN: 0
; COMPUTE_PGM_RSRC2:USER_SGPR: 6
; COMPUTE_PGM_RSRC2:TRAP_HANDLER: 0
; COMPUTE_PGM_RSRC2:TGID_X_EN: 1
; COMPUTE_PGM_RSRC2:TGID_Y_EN: 0
; COMPUTE_PGM_RSRC2:TGID_Z_EN: 0
; COMPUTE_PGM_RSRC2:TIDIG_COMP_CNT: 0
	.section	.text._ZN7rocprim17ROCPRIM_400000_NS6detail17trampoline_kernelINS0_14default_configENS1_35radix_sort_onesweep_config_selectorIslEEZNS1_34radix_sort_onesweep_global_offsetsIS3_Lb0EPsN6thrust23THRUST_200600_302600_NS10device_ptrIlEEjNS0_19identity_decomposerEEE10hipError_tT1_T2_PT3_SG_jT4_jjP12ihipStream_tbEUlT_E0_NS1_11comp_targetILNS1_3genE0ELNS1_11target_archE4294967295ELNS1_3gpuE0ELNS1_3repE0EEENS1_52radix_sort_onesweep_histogram_config_static_selectorELNS0_4arch9wavefront6targetE1EEEvSE_,"axG",@progbits,_ZN7rocprim17ROCPRIM_400000_NS6detail17trampoline_kernelINS0_14default_configENS1_35radix_sort_onesweep_config_selectorIslEEZNS1_34radix_sort_onesweep_global_offsetsIS3_Lb0EPsN6thrust23THRUST_200600_302600_NS10device_ptrIlEEjNS0_19identity_decomposerEEE10hipError_tT1_T2_PT3_SG_jT4_jjP12ihipStream_tbEUlT_E0_NS1_11comp_targetILNS1_3genE0ELNS1_11target_archE4294967295ELNS1_3gpuE0ELNS1_3repE0EEENS1_52radix_sort_onesweep_histogram_config_static_selectorELNS0_4arch9wavefront6targetE1EEEvSE_,comdat
	.protected	_ZN7rocprim17ROCPRIM_400000_NS6detail17trampoline_kernelINS0_14default_configENS1_35radix_sort_onesweep_config_selectorIslEEZNS1_34radix_sort_onesweep_global_offsetsIS3_Lb0EPsN6thrust23THRUST_200600_302600_NS10device_ptrIlEEjNS0_19identity_decomposerEEE10hipError_tT1_T2_PT3_SG_jT4_jjP12ihipStream_tbEUlT_E0_NS1_11comp_targetILNS1_3genE0ELNS1_11target_archE4294967295ELNS1_3gpuE0ELNS1_3repE0EEENS1_52radix_sort_onesweep_histogram_config_static_selectorELNS0_4arch9wavefront6targetE1EEEvSE_ ; -- Begin function _ZN7rocprim17ROCPRIM_400000_NS6detail17trampoline_kernelINS0_14default_configENS1_35radix_sort_onesweep_config_selectorIslEEZNS1_34radix_sort_onesweep_global_offsetsIS3_Lb0EPsN6thrust23THRUST_200600_302600_NS10device_ptrIlEEjNS0_19identity_decomposerEEE10hipError_tT1_T2_PT3_SG_jT4_jjP12ihipStream_tbEUlT_E0_NS1_11comp_targetILNS1_3genE0ELNS1_11target_archE4294967295ELNS1_3gpuE0ELNS1_3repE0EEENS1_52radix_sort_onesweep_histogram_config_static_selectorELNS0_4arch9wavefront6targetE1EEEvSE_
	.globl	_ZN7rocprim17ROCPRIM_400000_NS6detail17trampoline_kernelINS0_14default_configENS1_35radix_sort_onesweep_config_selectorIslEEZNS1_34radix_sort_onesweep_global_offsetsIS3_Lb0EPsN6thrust23THRUST_200600_302600_NS10device_ptrIlEEjNS0_19identity_decomposerEEE10hipError_tT1_T2_PT3_SG_jT4_jjP12ihipStream_tbEUlT_E0_NS1_11comp_targetILNS1_3genE0ELNS1_11target_archE4294967295ELNS1_3gpuE0ELNS1_3repE0EEENS1_52radix_sort_onesweep_histogram_config_static_selectorELNS0_4arch9wavefront6targetE1EEEvSE_
	.p2align	8
	.type	_ZN7rocprim17ROCPRIM_400000_NS6detail17trampoline_kernelINS0_14default_configENS1_35radix_sort_onesweep_config_selectorIslEEZNS1_34radix_sort_onesweep_global_offsetsIS3_Lb0EPsN6thrust23THRUST_200600_302600_NS10device_ptrIlEEjNS0_19identity_decomposerEEE10hipError_tT1_T2_PT3_SG_jT4_jjP12ihipStream_tbEUlT_E0_NS1_11comp_targetILNS1_3genE0ELNS1_11target_archE4294967295ELNS1_3gpuE0ELNS1_3repE0EEENS1_52radix_sort_onesweep_histogram_config_static_selectorELNS0_4arch9wavefront6targetE1EEEvSE_,@function
_ZN7rocprim17ROCPRIM_400000_NS6detail17trampoline_kernelINS0_14default_configENS1_35radix_sort_onesweep_config_selectorIslEEZNS1_34radix_sort_onesweep_global_offsetsIS3_Lb0EPsN6thrust23THRUST_200600_302600_NS10device_ptrIlEEjNS0_19identity_decomposerEEE10hipError_tT1_T2_PT3_SG_jT4_jjP12ihipStream_tbEUlT_E0_NS1_11comp_targetILNS1_3genE0ELNS1_11target_archE4294967295ELNS1_3gpuE0ELNS1_3repE0EEENS1_52radix_sort_onesweep_histogram_config_static_selectorELNS0_4arch9wavefront6targetE1EEEvSE_: ; @_ZN7rocprim17ROCPRIM_400000_NS6detail17trampoline_kernelINS0_14default_configENS1_35radix_sort_onesweep_config_selectorIslEEZNS1_34radix_sort_onesweep_global_offsetsIS3_Lb0EPsN6thrust23THRUST_200600_302600_NS10device_ptrIlEEjNS0_19identity_decomposerEEE10hipError_tT1_T2_PT3_SG_jT4_jjP12ihipStream_tbEUlT_E0_NS1_11comp_targetILNS1_3genE0ELNS1_11target_archE4294967295ELNS1_3gpuE0ELNS1_3repE0EEENS1_52radix_sort_onesweep_histogram_config_static_selectorELNS0_4arch9wavefront6targetE1EEEvSE_
; %bb.0:
	.section	.rodata,"a",@progbits
	.p2align	6, 0x0
	.amdhsa_kernel _ZN7rocprim17ROCPRIM_400000_NS6detail17trampoline_kernelINS0_14default_configENS1_35radix_sort_onesweep_config_selectorIslEEZNS1_34radix_sort_onesweep_global_offsetsIS3_Lb0EPsN6thrust23THRUST_200600_302600_NS10device_ptrIlEEjNS0_19identity_decomposerEEE10hipError_tT1_T2_PT3_SG_jT4_jjP12ihipStream_tbEUlT_E0_NS1_11comp_targetILNS1_3genE0ELNS1_11target_archE4294967295ELNS1_3gpuE0ELNS1_3repE0EEENS1_52radix_sort_onesweep_histogram_config_static_selectorELNS0_4arch9wavefront6targetE1EEEvSE_
		.amdhsa_group_segment_fixed_size 0
		.amdhsa_private_segment_fixed_size 0
		.amdhsa_kernarg_size 8
		.amdhsa_user_sgpr_count 6
		.amdhsa_user_sgpr_private_segment_buffer 1
		.amdhsa_user_sgpr_dispatch_ptr 0
		.amdhsa_user_sgpr_queue_ptr 0
		.amdhsa_user_sgpr_kernarg_segment_ptr 1
		.amdhsa_user_sgpr_dispatch_id 0
		.amdhsa_user_sgpr_flat_scratch_init 0
		.amdhsa_user_sgpr_private_segment_size 0
		.amdhsa_uses_dynamic_stack 0
		.amdhsa_system_sgpr_private_segment_wavefront_offset 0
		.amdhsa_system_sgpr_workgroup_id_x 1
		.amdhsa_system_sgpr_workgroup_id_y 0
		.amdhsa_system_sgpr_workgroup_id_z 0
		.amdhsa_system_sgpr_workgroup_info 0
		.amdhsa_system_vgpr_workitem_id 0
		.amdhsa_next_free_vgpr 1
		.amdhsa_next_free_sgpr 0
		.amdhsa_reserve_vcc 0
		.amdhsa_reserve_flat_scratch 0
		.amdhsa_float_round_mode_32 0
		.amdhsa_float_round_mode_16_64 0
		.amdhsa_float_denorm_mode_32 3
		.amdhsa_float_denorm_mode_16_64 3
		.amdhsa_dx10_clamp 1
		.amdhsa_ieee_mode 1
		.amdhsa_fp16_overflow 0
		.amdhsa_exception_fp_ieee_invalid_op 0
		.amdhsa_exception_fp_denorm_src 0
		.amdhsa_exception_fp_ieee_div_zero 0
		.amdhsa_exception_fp_ieee_overflow 0
		.amdhsa_exception_fp_ieee_underflow 0
		.amdhsa_exception_fp_ieee_inexact 0
		.amdhsa_exception_int_div_zero 0
	.end_amdhsa_kernel
	.section	.text._ZN7rocprim17ROCPRIM_400000_NS6detail17trampoline_kernelINS0_14default_configENS1_35radix_sort_onesweep_config_selectorIslEEZNS1_34radix_sort_onesweep_global_offsetsIS3_Lb0EPsN6thrust23THRUST_200600_302600_NS10device_ptrIlEEjNS0_19identity_decomposerEEE10hipError_tT1_T2_PT3_SG_jT4_jjP12ihipStream_tbEUlT_E0_NS1_11comp_targetILNS1_3genE0ELNS1_11target_archE4294967295ELNS1_3gpuE0ELNS1_3repE0EEENS1_52radix_sort_onesweep_histogram_config_static_selectorELNS0_4arch9wavefront6targetE1EEEvSE_,"axG",@progbits,_ZN7rocprim17ROCPRIM_400000_NS6detail17trampoline_kernelINS0_14default_configENS1_35radix_sort_onesweep_config_selectorIslEEZNS1_34radix_sort_onesweep_global_offsetsIS3_Lb0EPsN6thrust23THRUST_200600_302600_NS10device_ptrIlEEjNS0_19identity_decomposerEEE10hipError_tT1_T2_PT3_SG_jT4_jjP12ihipStream_tbEUlT_E0_NS1_11comp_targetILNS1_3genE0ELNS1_11target_archE4294967295ELNS1_3gpuE0ELNS1_3repE0EEENS1_52radix_sort_onesweep_histogram_config_static_selectorELNS0_4arch9wavefront6targetE1EEEvSE_,comdat
.Lfunc_end1389:
	.size	_ZN7rocprim17ROCPRIM_400000_NS6detail17trampoline_kernelINS0_14default_configENS1_35radix_sort_onesweep_config_selectorIslEEZNS1_34radix_sort_onesweep_global_offsetsIS3_Lb0EPsN6thrust23THRUST_200600_302600_NS10device_ptrIlEEjNS0_19identity_decomposerEEE10hipError_tT1_T2_PT3_SG_jT4_jjP12ihipStream_tbEUlT_E0_NS1_11comp_targetILNS1_3genE0ELNS1_11target_archE4294967295ELNS1_3gpuE0ELNS1_3repE0EEENS1_52radix_sort_onesweep_histogram_config_static_selectorELNS0_4arch9wavefront6targetE1EEEvSE_, .Lfunc_end1389-_ZN7rocprim17ROCPRIM_400000_NS6detail17trampoline_kernelINS0_14default_configENS1_35radix_sort_onesweep_config_selectorIslEEZNS1_34radix_sort_onesweep_global_offsetsIS3_Lb0EPsN6thrust23THRUST_200600_302600_NS10device_ptrIlEEjNS0_19identity_decomposerEEE10hipError_tT1_T2_PT3_SG_jT4_jjP12ihipStream_tbEUlT_E0_NS1_11comp_targetILNS1_3genE0ELNS1_11target_archE4294967295ELNS1_3gpuE0ELNS1_3repE0EEENS1_52radix_sort_onesweep_histogram_config_static_selectorELNS0_4arch9wavefront6targetE1EEEvSE_
                                        ; -- End function
	.set _ZN7rocprim17ROCPRIM_400000_NS6detail17trampoline_kernelINS0_14default_configENS1_35radix_sort_onesweep_config_selectorIslEEZNS1_34radix_sort_onesweep_global_offsetsIS3_Lb0EPsN6thrust23THRUST_200600_302600_NS10device_ptrIlEEjNS0_19identity_decomposerEEE10hipError_tT1_T2_PT3_SG_jT4_jjP12ihipStream_tbEUlT_E0_NS1_11comp_targetILNS1_3genE0ELNS1_11target_archE4294967295ELNS1_3gpuE0ELNS1_3repE0EEENS1_52radix_sort_onesweep_histogram_config_static_selectorELNS0_4arch9wavefront6targetE1EEEvSE_.num_vgpr, 0
	.set _ZN7rocprim17ROCPRIM_400000_NS6detail17trampoline_kernelINS0_14default_configENS1_35radix_sort_onesweep_config_selectorIslEEZNS1_34radix_sort_onesweep_global_offsetsIS3_Lb0EPsN6thrust23THRUST_200600_302600_NS10device_ptrIlEEjNS0_19identity_decomposerEEE10hipError_tT1_T2_PT3_SG_jT4_jjP12ihipStream_tbEUlT_E0_NS1_11comp_targetILNS1_3genE0ELNS1_11target_archE4294967295ELNS1_3gpuE0ELNS1_3repE0EEENS1_52radix_sort_onesweep_histogram_config_static_selectorELNS0_4arch9wavefront6targetE1EEEvSE_.num_agpr, 0
	.set _ZN7rocprim17ROCPRIM_400000_NS6detail17trampoline_kernelINS0_14default_configENS1_35radix_sort_onesweep_config_selectorIslEEZNS1_34radix_sort_onesweep_global_offsetsIS3_Lb0EPsN6thrust23THRUST_200600_302600_NS10device_ptrIlEEjNS0_19identity_decomposerEEE10hipError_tT1_T2_PT3_SG_jT4_jjP12ihipStream_tbEUlT_E0_NS1_11comp_targetILNS1_3genE0ELNS1_11target_archE4294967295ELNS1_3gpuE0ELNS1_3repE0EEENS1_52radix_sort_onesweep_histogram_config_static_selectorELNS0_4arch9wavefront6targetE1EEEvSE_.numbered_sgpr, 0
	.set _ZN7rocprim17ROCPRIM_400000_NS6detail17trampoline_kernelINS0_14default_configENS1_35radix_sort_onesweep_config_selectorIslEEZNS1_34radix_sort_onesweep_global_offsetsIS3_Lb0EPsN6thrust23THRUST_200600_302600_NS10device_ptrIlEEjNS0_19identity_decomposerEEE10hipError_tT1_T2_PT3_SG_jT4_jjP12ihipStream_tbEUlT_E0_NS1_11comp_targetILNS1_3genE0ELNS1_11target_archE4294967295ELNS1_3gpuE0ELNS1_3repE0EEENS1_52radix_sort_onesweep_histogram_config_static_selectorELNS0_4arch9wavefront6targetE1EEEvSE_.num_named_barrier, 0
	.set _ZN7rocprim17ROCPRIM_400000_NS6detail17trampoline_kernelINS0_14default_configENS1_35radix_sort_onesweep_config_selectorIslEEZNS1_34radix_sort_onesweep_global_offsetsIS3_Lb0EPsN6thrust23THRUST_200600_302600_NS10device_ptrIlEEjNS0_19identity_decomposerEEE10hipError_tT1_T2_PT3_SG_jT4_jjP12ihipStream_tbEUlT_E0_NS1_11comp_targetILNS1_3genE0ELNS1_11target_archE4294967295ELNS1_3gpuE0ELNS1_3repE0EEENS1_52radix_sort_onesweep_histogram_config_static_selectorELNS0_4arch9wavefront6targetE1EEEvSE_.private_seg_size, 0
	.set _ZN7rocprim17ROCPRIM_400000_NS6detail17trampoline_kernelINS0_14default_configENS1_35radix_sort_onesweep_config_selectorIslEEZNS1_34radix_sort_onesweep_global_offsetsIS3_Lb0EPsN6thrust23THRUST_200600_302600_NS10device_ptrIlEEjNS0_19identity_decomposerEEE10hipError_tT1_T2_PT3_SG_jT4_jjP12ihipStream_tbEUlT_E0_NS1_11comp_targetILNS1_3genE0ELNS1_11target_archE4294967295ELNS1_3gpuE0ELNS1_3repE0EEENS1_52radix_sort_onesweep_histogram_config_static_selectorELNS0_4arch9wavefront6targetE1EEEvSE_.uses_vcc, 0
	.set _ZN7rocprim17ROCPRIM_400000_NS6detail17trampoline_kernelINS0_14default_configENS1_35radix_sort_onesweep_config_selectorIslEEZNS1_34radix_sort_onesweep_global_offsetsIS3_Lb0EPsN6thrust23THRUST_200600_302600_NS10device_ptrIlEEjNS0_19identity_decomposerEEE10hipError_tT1_T2_PT3_SG_jT4_jjP12ihipStream_tbEUlT_E0_NS1_11comp_targetILNS1_3genE0ELNS1_11target_archE4294967295ELNS1_3gpuE0ELNS1_3repE0EEENS1_52radix_sort_onesweep_histogram_config_static_selectorELNS0_4arch9wavefront6targetE1EEEvSE_.uses_flat_scratch, 0
	.set _ZN7rocprim17ROCPRIM_400000_NS6detail17trampoline_kernelINS0_14default_configENS1_35radix_sort_onesweep_config_selectorIslEEZNS1_34radix_sort_onesweep_global_offsetsIS3_Lb0EPsN6thrust23THRUST_200600_302600_NS10device_ptrIlEEjNS0_19identity_decomposerEEE10hipError_tT1_T2_PT3_SG_jT4_jjP12ihipStream_tbEUlT_E0_NS1_11comp_targetILNS1_3genE0ELNS1_11target_archE4294967295ELNS1_3gpuE0ELNS1_3repE0EEENS1_52radix_sort_onesweep_histogram_config_static_selectorELNS0_4arch9wavefront6targetE1EEEvSE_.has_dyn_sized_stack, 0
	.set _ZN7rocprim17ROCPRIM_400000_NS6detail17trampoline_kernelINS0_14default_configENS1_35radix_sort_onesweep_config_selectorIslEEZNS1_34radix_sort_onesweep_global_offsetsIS3_Lb0EPsN6thrust23THRUST_200600_302600_NS10device_ptrIlEEjNS0_19identity_decomposerEEE10hipError_tT1_T2_PT3_SG_jT4_jjP12ihipStream_tbEUlT_E0_NS1_11comp_targetILNS1_3genE0ELNS1_11target_archE4294967295ELNS1_3gpuE0ELNS1_3repE0EEENS1_52radix_sort_onesweep_histogram_config_static_selectorELNS0_4arch9wavefront6targetE1EEEvSE_.has_recursion, 0
	.set _ZN7rocprim17ROCPRIM_400000_NS6detail17trampoline_kernelINS0_14default_configENS1_35radix_sort_onesweep_config_selectorIslEEZNS1_34radix_sort_onesweep_global_offsetsIS3_Lb0EPsN6thrust23THRUST_200600_302600_NS10device_ptrIlEEjNS0_19identity_decomposerEEE10hipError_tT1_T2_PT3_SG_jT4_jjP12ihipStream_tbEUlT_E0_NS1_11comp_targetILNS1_3genE0ELNS1_11target_archE4294967295ELNS1_3gpuE0ELNS1_3repE0EEENS1_52radix_sort_onesweep_histogram_config_static_selectorELNS0_4arch9wavefront6targetE1EEEvSE_.has_indirect_call, 0
	.section	.AMDGPU.csdata,"",@progbits
; Kernel info:
; codeLenInByte = 0
; TotalNumSgprs: 4
; NumVgprs: 0
; ScratchSize: 0
; MemoryBound: 0
; FloatMode: 240
; IeeeMode: 1
; LDSByteSize: 0 bytes/workgroup (compile time only)
; SGPRBlocks: 0
; VGPRBlocks: 0
; NumSGPRsForWavesPerEU: 4
; NumVGPRsForWavesPerEU: 1
; Occupancy: 10
; WaveLimiterHint : 0
; COMPUTE_PGM_RSRC2:SCRATCH_EN: 0
; COMPUTE_PGM_RSRC2:USER_SGPR: 6
; COMPUTE_PGM_RSRC2:TRAP_HANDLER: 0
; COMPUTE_PGM_RSRC2:TGID_X_EN: 1
; COMPUTE_PGM_RSRC2:TGID_Y_EN: 0
; COMPUTE_PGM_RSRC2:TGID_Z_EN: 0
; COMPUTE_PGM_RSRC2:TIDIG_COMP_CNT: 0
	.section	.text._ZN7rocprim17ROCPRIM_400000_NS6detail17trampoline_kernelINS0_14default_configENS1_35radix_sort_onesweep_config_selectorIslEEZNS1_34radix_sort_onesweep_global_offsetsIS3_Lb0EPsN6thrust23THRUST_200600_302600_NS10device_ptrIlEEjNS0_19identity_decomposerEEE10hipError_tT1_T2_PT3_SG_jT4_jjP12ihipStream_tbEUlT_E0_NS1_11comp_targetILNS1_3genE6ELNS1_11target_archE950ELNS1_3gpuE13ELNS1_3repE0EEENS1_52radix_sort_onesweep_histogram_config_static_selectorELNS0_4arch9wavefront6targetE1EEEvSE_,"axG",@progbits,_ZN7rocprim17ROCPRIM_400000_NS6detail17trampoline_kernelINS0_14default_configENS1_35radix_sort_onesweep_config_selectorIslEEZNS1_34radix_sort_onesweep_global_offsetsIS3_Lb0EPsN6thrust23THRUST_200600_302600_NS10device_ptrIlEEjNS0_19identity_decomposerEEE10hipError_tT1_T2_PT3_SG_jT4_jjP12ihipStream_tbEUlT_E0_NS1_11comp_targetILNS1_3genE6ELNS1_11target_archE950ELNS1_3gpuE13ELNS1_3repE0EEENS1_52radix_sort_onesweep_histogram_config_static_selectorELNS0_4arch9wavefront6targetE1EEEvSE_,comdat
	.protected	_ZN7rocprim17ROCPRIM_400000_NS6detail17trampoline_kernelINS0_14default_configENS1_35radix_sort_onesweep_config_selectorIslEEZNS1_34radix_sort_onesweep_global_offsetsIS3_Lb0EPsN6thrust23THRUST_200600_302600_NS10device_ptrIlEEjNS0_19identity_decomposerEEE10hipError_tT1_T2_PT3_SG_jT4_jjP12ihipStream_tbEUlT_E0_NS1_11comp_targetILNS1_3genE6ELNS1_11target_archE950ELNS1_3gpuE13ELNS1_3repE0EEENS1_52radix_sort_onesweep_histogram_config_static_selectorELNS0_4arch9wavefront6targetE1EEEvSE_ ; -- Begin function _ZN7rocprim17ROCPRIM_400000_NS6detail17trampoline_kernelINS0_14default_configENS1_35radix_sort_onesweep_config_selectorIslEEZNS1_34radix_sort_onesweep_global_offsetsIS3_Lb0EPsN6thrust23THRUST_200600_302600_NS10device_ptrIlEEjNS0_19identity_decomposerEEE10hipError_tT1_T2_PT3_SG_jT4_jjP12ihipStream_tbEUlT_E0_NS1_11comp_targetILNS1_3genE6ELNS1_11target_archE950ELNS1_3gpuE13ELNS1_3repE0EEENS1_52radix_sort_onesweep_histogram_config_static_selectorELNS0_4arch9wavefront6targetE1EEEvSE_
	.globl	_ZN7rocprim17ROCPRIM_400000_NS6detail17trampoline_kernelINS0_14default_configENS1_35radix_sort_onesweep_config_selectorIslEEZNS1_34radix_sort_onesweep_global_offsetsIS3_Lb0EPsN6thrust23THRUST_200600_302600_NS10device_ptrIlEEjNS0_19identity_decomposerEEE10hipError_tT1_T2_PT3_SG_jT4_jjP12ihipStream_tbEUlT_E0_NS1_11comp_targetILNS1_3genE6ELNS1_11target_archE950ELNS1_3gpuE13ELNS1_3repE0EEENS1_52radix_sort_onesweep_histogram_config_static_selectorELNS0_4arch9wavefront6targetE1EEEvSE_
	.p2align	8
	.type	_ZN7rocprim17ROCPRIM_400000_NS6detail17trampoline_kernelINS0_14default_configENS1_35radix_sort_onesweep_config_selectorIslEEZNS1_34radix_sort_onesweep_global_offsetsIS3_Lb0EPsN6thrust23THRUST_200600_302600_NS10device_ptrIlEEjNS0_19identity_decomposerEEE10hipError_tT1_T2_PT3_SG_jT4_jjP12ihipStream_tbEUlT_E0_NS1_11comp_targetILNS1_3genE6ELNS1_11target_archE950ELNS1_3gpuE13ELNS1_3repE0EEENS1_52radix_sort_onesweep_histogram_config_static_selectorELNS0_4arch9wavefront6targetE1EEEvSE_,@function
_ZN7rocprim17ROCPRIM_400000_NS6detail17trampoline_kernelINS0_14default_configENS1_35radix_sort_onesweep_config_selectorIslEEZNS1_34radix_sort_onesweep_global_offsetsIS3_Lb0EPsN6thrust23THRUST_200600_302600_NS10device_ptrIlEEjNS0_19identity_decomposerEEE10hipError_tT1_T2_PT3_SG_jT4_jjP12ihipStream_tbEUlT_E0_NS1_11comp_targetILNS1_3genE6ELNS1_11target_archE950ELNS1_3gpuE13ELNS1_3repE0EEENS1_52radix_sort_onesweep_histogram_config_static_selectorELNS0_4arch9wavefront6targetE1EEEvSE_: ; @_ZN7rocprim17ROCPRIM_400000_NS6detail17trampoline_kernelINS0_14default_configENS1_35radix_sort_onesweep_config_selectorIslEEZNS1_34radix_sort_onesweep_global_offsetsIS3_Lb0EPsN6thrust23THRUST_200600_302600_NS10device_ptrIlEEjNS0_19identity_decomposerEEE10hipError_tT1_T2_PT3_SG_jT4_jjP12ihipStream_tbEUlT_E0_NS1_11comp_targetILNS1_3genE6ELNS1_11target_archE950ELNS1_3gpuE13ELNS1_3repE0EEENS1_52radix_sort_onesweep_histogram_config_static_selectorELNS0_4arch9wavefront6targetE1EEEvSE_
; %bb.0:
	.section	.rodata,"a",@progbits
	.p2align	6, 0x0
	.amdhsa_kernel _ZN7rocprim17ROCPRIM_400000_NS6detail17trampoline_kernelINS0_14default_configENS1_35radix_sort_onesweep_config_selectorIslEEZNS1_34radix_sort_onesweep_global_offsetsIS3_Lb0EPsN6thrust23THRUST_200600_302600_NS10device_ptrIlEEjNS0_19identity_decomposerEEE10hipError_tT1_T2_PT3_SG_jT4_jjP12ihipStream_tbEUlT_E0_NS1_11comp_targetILNS1_3genE6ELNS1_11target_archE950ELNS1_3gpuE13ELNS1_3repE0EEENS1_52radix_sort_onesweep_histogram_config_static_selectorELNS0_4arch9wavefront6targetE1EEEvSE_
		.amdhsa_group_segment_fixed_size 0
		.amdhsa_private_segment_fixed_size 0
		.amdhsa_kernarg_size 8
		.amdhsa_user_sgpr_count 6
		.amdhsa_user_sgpr_private_segment_buffer 1
		.amdhsa_user_sgpr_dispatch_ptr 0
		.amdhsa_user_sgpr_queue_ptr 0
		.amdhsa_user_sgpr_kernarg_segment_ptr 1
		.amdhsa_user_sgpr_dispatch_id 0
		.amdhsa_user_sgpr_flat_scratch_init 0
		.amdhsa_user_sgpr_private_segment_size 0
		.amdhsa_uses_dynamic_stack 0
		.amdhsa_system_sgpr_private_segment_wavefront_offset 0
		.amdhsa_system_sgpr_workgroup_id_x 1
		.amdhsa_system_sgpr_workgroup_id_y 0
		.amdhsa_system_sgpr_workgroup_id_z 0
		.amdhsa_system_sgpr_workgroup_info 0
		.amdhsa_system_vgpr_workitem_id 0
		.amdhsa_next_free_vgpr 1
		.amdhsa_next_free_sgpr 0
		.amdhsa_reserve_vcc 0
		.amdhsa_reserve_flat_scratch 0
		.amdhsa_float_round_mode_32 0
		.amdhsa_float_round_mode_16_64 0
		.amdhsa_float_denorm_mode_32 3
		.amdhsa_float_denorm_mode_16_64 3
		.amdhsa_dx10_clamp 1
		.amdhsa_ieee_mode 1
		.amdhsa_fp16_overflow 0
		.amdhsa_exception_fp_ieee_invalid_op 0
		.amdhsa_exception_fp_denorm_src 0
		.amdhsa_exception_fp_ieee_div_zero 0
		.amdhsa_exception_fp_ieee_overflow 0
		.amdhsa_exception_fp_ieee_underflow 0
		.amdhsa_exception_fp_ieee_inexact 0
		.amdhsa_exception_int_div_zero 0
	.end_amdhsa_kernel
	.section	.text._ZN7rocprim17ROCPRIM_400000_NS6detail17trampoline_kernelINS0_14default_configENS1_35radix_sort_onesweep_config_selectorIslEEZNS1_34radix_sort_onesweep_global_offsetsIS3_Lb0EPsN6thrust23THRUST_200600_302600_NS10device_ptrIlEEjNS0_19identity_decomposerEEE10hipError_tT1_T2_PT3_SG_jT4_jjP12ihipStream_tbEUlT_E0_NS1_11comp_targetILNS1_3genE6ELNS1_11target_archE950ELNS1_3gpuE13ELNS1_3repE0EEENS1_52radix_sort_onesweep_histogram_config_static_selectorELNS0_4arch9wavefront6targetE1EEEvSE_,"axG",@progbits,_ZN7rocprim17ROCPRIM_400000_NS6detail17trampoline_kernelINS0_14default_configENS1_35radix_sort_onesweep_config_selectorIslEEZNS1_34radix_sort_onesweep_global_offsetsIS3_Lb0EPsN6thrust23THRUST_200600_302600_NS10device_ptrIlEEjNS0_19identity_decomposerEEE10hipError_tT1_T2_PT3_SG_jT4_jjP12ihipStream_tbEUlT_E0_NS1_11comp_targetILNS1_3genE6ELNS1_11target_archE950ELNS1_3gpuE13ELNS1_3repE0EEENS1_52radix_sort_onesweep_histogram_config_static_selectorELNS0_4arch9wavefront6targetE1EEEvSE_,comdat
.Lfunc_end1390:
	.size	_ZN7rocprim17ROCPRIM_400000_NS6detail17trampoline_kernelINS0_14default_configENS1_35radix_sort_onesweep_config_selectorIslEEZNS1_34radix_sort_onesweep_global_offsetsIS3_Lb0EPsN6thrust23THRUST_200600_302600_NS10device_ptrIlEEjNS0_19identity_decomposerEEE10hipError_tT1_T2_PT3_SG_jT4_jjP12ihipStream_tbEUlT_E0_NS1_11comp_targetILNS1_3genE6ELNS1_11target_archE950ELNS1_3gpuE13ELNS1_3repE0EEENS1_52radix_sort_onesweep_histogram_config_static_selectorELNS0_4arch9wavefront6targetE1EEEvSE_, .Lfunc_end1390-_ZN7rocprim17ROCPRIM_400000_NS6detail17trampoline_kernelINS0_14default_configENS1_35radix_sort_onesweep_config_selectorIslEEZNS1_34radix_sort_onesweep_global_offsetsIS3_Lb0EPsN6thrust23THRUST_200600_302600_NS10device_ptrIlEEjNS0_19identity_decomposerEEE10hipError_tT1_T2_PT3_SG_jT4_jjP12ihipStream_tbEUlT_E0_NS1_11comp_targetILNS1_3genE6ELNS1_11target_archE950ELNS1_3gpuE13ELNS1_3repE0EEENS1_52radix_sort_onesweep_histogram_config_static_selectorELNS0_4arch9wavefront6targetE1EEEvSE_
                                        ; -- End function
	.set _ZN7rocprim17ROCPRIM_400000_NS6detail17trampoline_kernelINS0_14default_configENS1_35radix_sort_onesweep_config_selectorIslEEZNS1_34radix_sort_onesweep_global_offsetsIS3_Lb0EPsN6thrust23THRUST_200600_302600_NS10device_ptrIlEEjNS0_19identity_decomposerEEE10hipError_tT1_T2_PT3_SG_jT4_jjP12ihipStream_tbEUlT_E0_NS1_11comp_targetILNS1_3genE6ELNS1_11target_archE950ELNS1_3gpuE13ELNS1_3repE0EEENS1_52radix_sort_onesweep_histogram_config_static_selectorELNS0_4arch9wavefront6targetE1EEEvSE_.num_vgpr, 0
	.set _ZN7rocprim17ROCPRIM_400000_NS6detail17trampoline_kernelINS0_14default_configENS1_35radix_sort_onesweep_config_selectorIslEEZNS1_34radix_sort_onesweep_global_offsetsIS3_Lb0EPsN6thrust23THRUST_200600_302600_NS10device_ptrIlEEjNS0_19identity_decomposerEEE10hipError_tT1_T2_PT3_SG_jT4_jjP12ihipStream_tbEUlT_E0_NS1_11comp_targetILNS1_3genE6ELNS1_11target_archE950ELNS1_3gpuE13ELNS1_3repE0EEENS1_52radix_sort_onesweep_histogram_config_static_selectorELNS0_4arch9wavefront6targetE1EEEvSE_.num_agpr, 0
	.set _ZN7rocprim17ROCPRIM_400000_NS6detail17trampoline_kernelINS0_14default_configENS1_35radix_sort_onesweep_config_selectorIslEEZNS1_34radix_sort_onesweep_global_offsetsIS3_Lb0EPsN6thrust23THRUST_200600_302600_NS10device_ptrIlEEjNS0_19identity_decomposerEEE10hipError_tT1_T2_PT3_SG_jT4_jjP12ihipStream_tbEUlT_E0_NS1_11comp_targetILNS1_3genE6ELNS1_11target_archE950ELNS1_3gpuE13ELNS1_3repE0EEENS1_52radix_sort_onesweep_histogram_config_static_selectorELNS0_4arch9wavefront6targetE1EEEvSE_.numbered_sgpr, 0
	.set _ZN7rocprim17ROCPRIM_400000_NS6detail17trampoline_kernelINS0_14default_configENS1_35radix_sort_onesweep_config_selectorIslEEZNS1_34radix_sort_onesweep_global_offsetsIS3_Lb0EPsN6thrust23THRUST_200600_302600_NS10device_ptrIlEEjNS0_19identity_decomposerEEE10hipError_tT1_T2_PT3_SG_jT4_jjP12ihipStream_tbEUlT_E0_NS1_11comp_targetILNS1_3genE6ELNS1_11target_archE950ELNS1_3gpuE13ELNS1_3repE0EEENS1_52radix_sort_onesweep_histogram_config_static_selectorELNS0_4arch9wavefront6targetE1EEEvSE_.num_named_barrier, 0
	.set _ZN7rocprim17ROCPRIM_400000_NS6detail17trampoline_kernelINS0_14default_configENS1_35radix_sort_onesweep_config_selectorIslEEZNS1_34radix_sort_onesweep_global_offsetsIS3_Lb0EPsN6thrust23THRUST_200600_302600_NS10device_ptrIlEEjNS0_19identity_decomposerEEE10hipError_tT1_T2_PT3_SG_jT4_jjP12ihipStream_tbEUlT_E0_NS1_11comp_targetILNS1_3genE6ELNS1_11target_archE950ELNS1_3gpuE13ELNS1_3repE0EEENS1_52radix_sort_onesweep_histogram_config_static_selectorELNS0_4arch9wavefront6targetE1EEEvSE_.private_seg_size, 0
	.set _ZN7rocprim17ROCPRIM_400000_NS6detail17trampoline_kernelINS0_14default_configENS1_35radix_sort_onesweep_config_selectorIslEEZNS1_34radix_sort_onesweep_global_offsetsIS3_Lb0EPsN6thrust23THRUST_200600_302600_NS10device_ptrIlEEjNS0_19identity_decomposerEEE10hipError_tT1_T2_PT3_SG_jT4_jjP12ihipStream_tbEUlT_E0_NS1_11comp_targetILNS1_3genE6ELNS1_11target_archE950ELNS1_3gpuE13ELNS1_3repE0EEENS1_52radix_sort_onesweep_histogram_config_static_selectorELNS0_4arch9wavefront6targetE1EEEvSE_.uses_vcc, 0
	.set _ZN7rocprim17ROCPRIM_400000_NS6detail17trampoline_kernelINS0_14default_configENS1_35radix_sort_onesweep_config_selectorIslEEZNS1_34radix_sort_onesweep_global_offsetsIS3_Lb0EPsN6thrust23THRUST_200600_302600_NS10device_ptrIlEEjNS0_19identity_decomposerEEE10hipError_tT1_T2_PT3_SG_jT4_jjP12ihipStream_tbEUlT_E0_NS1_11comp_targetILNS1_3genE6ELNS1_11target_archE950ELNS1_3gpuE13ELNS1_3repE0EEENS1_52radix_sort_onesweep_histogram_config_static_selectorELNS0_4arch9wavefront6targetE1EEEvSE_.uses_flat_scratch, 0
	.set _ZN7rocprim17ROCPRIM_400000_NS6detail17trampoline_kernelINS0_14default_configENS1_35radix_sort_onesweep_config_selectorIslEEZNS1_34radix_sort_onesweep_global_offsetsIS3_Lb0EPsN6thrust23THRUST_200600_302600_NS10device_ptrIlEEjNS0_19identity_decomposerEEE10hipError_tT1_T2_PT3_SG_jT4_jjP12ihipStream_tbEUlT_E0_NS1_11comp_targetILNS1_3genE6ELNS1_11target_archE950ELNS1_3gpuE13ELNS1_3repE0EEENS1_52radix_sort_onesweep_histogram_config_static_selectorELNS0_4arch9wavefront6targetE1EEEvSE_.has_dyn_sized_stack, 0
	.set _ZN7rocprim17ROCPRIM_400000_NS6detail17trampoline_kernelINS0_14default_configENS1_35radix_sort_onesweep_config_selectorIslEEZNS1_34radix_sort_onesweep_global_offsetsIS3_Lb0EPsN6thrust23THRUST_200600_302600_NS10device_ptrIlEEjNS0_19identity_decomposerEEE10hipError_tT1_T2_PT3_SG_jT4_jjP12ihipStream_tbEUlT_E0_NS1_11comp_targetILNS1_3genE6ELNS1_11target_archE950ELNS1_3gpuE13ELNS1_3repE0EEENS1_52radix_sort_onesweep_histogram_config_static_selectorELNS0_4arch9wavefront6targetE1EEEvSE_.has_recursion, 0
	.set _ZN7rocprim17ROCPRIM_400000_NS6detail17trampoline_kernelINS0_14default_configENS1_35radix_sort_onesweep_config_selectorIslEEZNS1_34radix_sort_onesweep_global_offsetsIS3_Lb0EPsN6thrust23THRUST_200600_302600_NS10device_ptrIlEEjNS0_19identity_decomposerEEE10hipError_tT1_T2_PT3_SG_jT4_jjP12ihipStream_tbEUlT_E0_NS1_11comp_targetILNS1_3genE6ELNS1_11target_archE950ELNS1_3gpuE13ELNS1_3repE0EEENS1_52radix_sort_onesweep_histogram_config_static_selectorELNS0_4arch9wavefront6targetE1EEEvSE_.has_indirect_call, 0
	.section	.AMDGPU.csdata,"",@progbits
; Kernel info:
; codeLenInByte = 0
; TotalNumSgprs: 4
; NumVgprs: 0
; ScratchSize: 0
; MemoryBound: 0
; FloatMode: 240
; IeeeMode: 1
; LDSByteSize: 0 bytes/workgroup (compile time only)
; SGPRBlocks: 0
; VGPRBlocks: 0
; NumSGPRsForWavesPerEU: 4
; NumVGPRsForWavesPerEU: 1
; Occupancy: 10
; WaveLimiterHint : 0
; COMPUTE_PGM_RSRC2:SCRATCH_EN: 0
; COMPUTE_PGM_RSRC2:USER_SGPR: 6
; COMPUTE_PGM_RSRC2:TRAP_HANDLER: 0
; COMPUTE_PGM_RSRC2:TGID_X_EN: 1
; COMPUTE_PGM_RSRC2:TGID_Y_EN: 0
; COMPUTE_PGM_RSRC2:TGID_Z_EN: 0
; COMPUTE_PGM_RSRC2:TIDIG_COMP_CNT: 0
	.section	.text._ZN7rocprim17ROCPRIM_400000_NS6detail17trampoline_kernelINS0_14default_configENS1_35radix_sort_onesweep_config_selectorIslEEZNS1_34radix_sort_onesweep_global_offsetsIS3_Lb0EPsN6thrust23THRUST_200600_302600_NS10device_ptrIlEEjNS0_19identity_decomposerEEE10hipError_tT1_T2_PT3_SG_jT4_jjP12ihipStream_tbEUlT_E0_NS1_11comp_targetILNS1_3genE5ELNS1_11target_archE942ELNS1_3gpuE9ELNS1_3repE0EEENS1_52radix_sort_onesweep_histogram_config_static_selectorELNS0_4arch9wavefront6targetE1EEEvSE_,"axG",@progbits,_ZN7rocprim17ROCPRIM_400000_NS6detail17trampoline_kernelINS0_14default_configENS1_35radix_sort_onesweep_config_selectorIslEEZNS1_34radix_sort_onesweep_global_offsetsIS3_Lb0EPsN6thrust23THRUST_200600_302600_NS10device_ptrIlEEjNS0_19identity_decomposerEEE10hipError_tT1_T2_PT3_SG_jT4_jjP12ihipStream_tbEUlT_E0_NS1_11comp_targetILNS1_3genE5ELNS1_11target_archE942ELNS1_3gpuE9ELNS1_3repE0EEENS1_52radix_sort_onesweep_histogram_config_static_selectorELNS0_4arch9wavefront6targetE1EEEvSE_,comdat
	.protected	_ZN7rocprim17ROCPRIM_400000_NS6detail17trampoline_kernelINS0_14default_configENS1_35radix_sort_onesweep_config_selectorIslEEZNS1_34radix_sort_onesweep_global_offsetsIS3_Lb0EPsN6thrust23THRUST_200600_302600_NS10device_ptrIlEEjNS0_19identity_decomposerEEE10hipError_tT1_T2_PT3_SG_jT4_jjP12ihipStream_tbEUlT_E0_NS1_11comp_targetILNS1_3genE5ELNS1_11target_archE942ELNS1_3gpuE9ELNS1_3repE0EEENS1_52radix_sort_onesweep_histogram_config_static_selectorELNS0_4arch9wavefront6targetE1EEEvSE_ ; -- Begin function _ZN7rocprim17ROCPRIM_400000_NS6detail17trampoline_kernelINS0_14default_configENS1_35radix_sort_onesweep_config_selectorIslEEZNS1_34radix_sort_onesweep_global_offsetsIS3_Lb0EPsN6thrust23THRUST_200600_302600_NS10device_ptrIlEEjNS0_19identity_decomposerEEE10hipError_tT1_T2_PT3_SG_jT4_jjP12ihipStream_tbEUlT_E0_NS1_11comp_targetILNS1_3genE5ELNS1_11target_archE942ELNS1_3gpuE9ELNS1_3repE0EEENS1_52radix_sort_onesweep_histogram_config_static_selectorELNS0_4arch9wavefront6targetE1EEEvSE_
	.globl	_ZN7rocprim17ROCPRIM_400000_NS6detail17trampoline_kernelINS0_14default_configENS1_35radix_sort_onesweep_config_selectorIslEEZNS1_34radix_sort_onesweep_global_offsetsIS3_Lb0EPsN6thrust23THRUST_200600_302600_NS10device_ptrIlEEjNS0_19identity_decomposerEEE10hipError_tT1_T2_PT3_SG_jT4_jjP12ihipStream_tbEUlT_E0_NS1_11comp_targetILNS1_3genE5ELNS1_11target_archE942ELNS1_3gpuE9ELNS1_3repE0EEENS1_52radix_sort_onesweep_histogram_config_static_selectorELNS0_4arch9wavefront6targetE1EEEvSE_
	.p2align	8
	.type	_ZN7rocprim17ROCPRIM_400000_NS6detail17trampoline_kernelINS0_14default_configENS1_35radix_sort_onesweep_config_selectorIslEEZNS1_34radix_sort_onesweep_global_offsetsIS3_Lb0EPsN6thrust23THRUST_200600_302600_NS10device_ptrIlEEjNS0_19identity_decomposerEEE10hipError_tT1_T2_PT3_SG_jT4_jjP12ihipStream_tbEUlT_E0_NS1_11comp_targetILNS1_3genE5ELNS1_11target_archE942ELNS1_3gpuE9ELNS1_3repE0EEENS1_52radix_sort_onesweep_histogram_config_static_selectorELNS0_4arch9wavefront6targetE1EEEvSE_,@function
_ZN7rocprim17ROCPRIM_400000_NS6detail17trampoline_kernelINS0_14default_configENS1_35radix_sort_onesweep_config_selectorIslEEZNS1_34radix_sort_onesweep_global_offsetsIS3_Lb0EPsN6thrust23THRUST_200600_302600_NS10device_ptrIlEEjNS0_19identity_decomposerEEE10hipError_tT1_T2_PT3_SG_jT4_jjP12ihipStream_tbEUlT_E0_NS1_11comp_targetILNS1_3genE5ELNS1_11target_archE942ELNS1_3gpuE9ELNS1_3repE0EEENS1_52radix_sort_onesweep_histogram_config_static_selectorELNS0_4arch9wavefront6targetE1EEEvSE_: ; @_ZN7rocprim17ROCPRIM_400000_NS6detail17trampoline_kernelINS0_14default_configENS1_35radix_sort_onesweep_config_selectorIslEEZNS1_34radix_sort_onesweep_global_offsetsIS3_Lb0EPsN6thrust23THRUST_200600_302600_NS10device_ptrIlEEjNS0_19identity_decomposerEEE10hipError_tT1_T2_PT3_SG_jT4_jjP12ihipStream_tbEUlT_E0_NS1_11comp_targetILNS1_3genE5ELNS1_11target_archE942ELNS1_3gpuE9ELNS1_3repE0EEENS1_52radix_sort_onesweep_histogram_config_static_selectorELNS0_4arch9wavefront6targetE1EEEvSE_
; %bb.0:
	.section	.rodata,"a",@progbits
	.p2align	6, 0x0
	.amdhsa_kernel _ZN7rocprim17ROCPRIM_400000_NS6detail17trampoline_kernelINS0_14default_configENS1_35radix_sort_onesweep_config_selectorIslEEZNS1_34radix_sort_onesweep_global_offsetsIS3_Lb0EPsN6thrust23THRUST_200600_302600_NS10device_ptrIlEEjNS0_19identity_decomposerEEE10hipError_tT1_T2_PT3_SG_jT4_jjP12ihipStream_tbEUlT_E0_NS1_11comp_targetILNS1_3genE5ELNS1_11target_archE942ELNS1_3gpuE9ELNS1_3repE0EEENS1_52radix_sort_onesweep_histogram_config_static_selectorELNS0_4arch9wavefront6targetE1EEEvSE_
		.amdhsa_group_segment_fixed_size 0
		.amdhsa_private_segment_fixed_size 0
		.amdhsa_kernarg_size 8
		.amdhsa_user_sgpr_count 6
		.amdhsa_user_sgpr_private_segment_buffer 1
		.amdhsa_user_sgpr_dispatch_ptr 0
		.amdhsa_user_sgpr_queue_ptr 0
		.amdhsa_user_sgpr_kernarg_segment_ptr 1
		.amdhsa_user_sgpr_dispatch_id 0
		.amdhsa_user_sgpr_flat_scratch_init 0
		.amdhsa_user_sgpr_private_segment_size 0
		.amdhsa_uses_dynamic_stack 0
		.amdhsa_system_sgpr_private_segment_wavefront_offset 0
		.amdhsa_system_sgpr_workgroup_id_x 1
		.amdhsa_system_sgpr_workgroup_id_y 0
		.amdhsa_system_sgpr_workgroup_id_z 0
		.amdhsa_system_sgpr_workgroup_info 0
		.amdhsa_system_vgpr_workitem_id 0
		.amdhsa_next_free_vgpr 1
		.amdhsa_next_free_sgpr 0
		.amdhsa_reserve_vcc 0
		.amdhsa_reserve_flat_scratch 0
		.amdhsa_float_round_mode_32 0
		.amdhsa_float_round_mode_16_64 0
		.amdhsa_float_denorm_mode_32 3
		.amdhsa_float_denorm_mode_16_64 3
		.amdhsa_dx10_clamp 1
		.amdhsa_ieee_mode 1
		.amdhsa_fp16_overflow 0
		.amdhsa_exception_fp_ieee_invalid_op 0
		.amdhsa_exception_fp_denorm_src 0
		.amdhsa_exception_fp_ieee_div_zero 0
		.amdhsa_exception_fp_ieee_overflow 0
		.amdhsa_exception_fp_ieee_underflow 0
		.amdhsa_exception_fp_ieee_inexact 0
		.amdhsa_exception_int_div_zero 0
	.end_amdhsa_kernel
	.section	.text._ZN7rocprim17ROCPRIM_400000_NS6detail17trampoline_kernelINS0_14default_configENS1_35radix_sort_onesweep_config_selectorIslEEZNS1_34radix_sort_onesweep_global_offsetsIS3_Lb0EPsN6thrust23THRUST_200600_302600_NS10device_ptrIlEEjNS0_19identity_decomposerEEE10hipError_tT1_T2_PT3_SG_jT4_jjP12ihipStream_tbEUlT_E0_NS1_11comp_targetILNS1_3genE5ELNS1_11target_archE942ELNS1_3gpuE9ELNS1_3repE0EEENS1_52radix_sort_onesweep_histogram_config_static_selectorELNS0_4arch9wavefront6targetE1EEEvSE_,"axG",@progbits,_ZN7rocprim17ROCPRIM_400000_NS6detail17trampoline_kernelINS0_14default_configENS1_35radix_sort_onesweep_config_selectorIslEEZNS1_34radix_sort_onesweep_global_offsetsIS3_Lb0EPsN6thrust23THRUST_200600_302600_NS10device_ptrIlEEjNS0_19identity_decomposerEEE10hipError_tT1_T2_PT3_SG_jT4_jjP12ihipStream_tbEUlT_E0_NS1_11comp_targetILNS1_3genE5ELNS1_11target_archE942ELNS1_3gpuE9ELNS1_3repE0EEENS1_52radix_sort_onesweep_histogram_config_static_selectorELNS0_4arch9wavefront6targetE1EEEvSE_,comdat
.Lfunc_end1391:
	.size	_ZN7rocprim17ROCPRIM_400000_NS6detail17trampoline_kernelINS0_14default_configENS1_35radix_sort_onesweep_config_selectorIslEEZNS1_34radix_sort_onesweep_global_offsetsIS3_Lb0EPsN6thrust23THRUST_200600_302600_NS10device_ptrIlEEjNS0_19identity_decomposerEEE10hipError_tT1_T2_PT3_SG_jT4_jjP12ihipStream_tbEUlT_E0_NS1_11comp_targetILNS1_3genE5ELNS1_11target_archE942ELNS1_3gpuE9ELNS1_3repE0EEENS1_52radix_sort_onesweep_histogram_config_static_selectorELNS0_4arch9wavefront6targetE1EEEvSE_, .Lfunc_end1391-_ZN7rocprim17ROCPRIM_400000_NS6detail17trampoline_kernelINS0_14default_configENS1_35radix_sort_onesweep_config_selectorIslEEZNS1_34radix_sort_onesweep_global_offsetsIS3_Lb0EPsN6thrust23THRUST_200600_302600_NS10device_ptrIlEEjNS0_19identity_decomposerEEE10hipError_tT1_T2_PT3_SG_jT4_jjP12ihipStream_tbEUlT_E0_NS1_11comp_targetILNS1_3genE5ELNS1_11target_archE942ELNS1_3gpuE9ELNS1_3repE0EEENS1_52radix_sort_onesweep_histogram_config_static_selectorELNS0_4arch9wavefront6targetE1EEEvSE_
                                        ; -- End function
	.set _ZN7rocprim17ROCPRIM_400000_NS6detail17trampoline_kernelINS0_14default_configENS1_35radix_sort_onesweep_config_selectorIslEEZNS1_34radix_sort_onesweep_global_offsetsIS3_Lb0EPsN6thrust23THRUST_200600_302600_NS10device_ptrIlEEjNS0_19identity_decomposerEEE10hipError_tT1_T2_PT3_SG_jT4_jjP12ihipStream_tbEUlT_E0_NS1_11comp_targetILNS1_3genE5ELNS1_11target_archE942ELNS1_3gpuE9ELNS1_3repE0EEENS1_52radix_sort_onesweep_histogram_config_static_selectorELNS0_4arch9wavefront6targetE1EEEvSE_.num_vgpr, 0
	.set _ZN7rocprim17ROCPRIM_400000_NS6detail17trampoline_kernelINS0_14default_configENS1_35radix_sort_onesweep_config_selectorIslEEZNS1_34radix_sort_onesweep_global_offsetsIS3_Lb0EPsN6thrust23THRUST_200600_302600_NS10device_ptrIlEEjNS0_19identity_decomposerEEE10hipError_tT1_T2_PT3_SG_jT4_jjP12ihipStream_tbEUlT_E0_NS1_11comp_targetILNS1_3genE5ELNS1_11target_archE942ELNS1_3gpuE9ELNS1_3repE0EEENS1_52radix_sort_onesweep_histogram_config_static_selectorELNS0_4arch9wavefront6targetE1EEEvSE_.num_agpr, 0
	.set _ZN7rocprim17ROCPRIM_400000_NS6detail17trampoline_kernelINS0_14default_configENS1_35radix_sort_onesweep_config_selectorIslEEZNS1_34radix_sort_onesweep_global_offsetsIS3_Lb0EPsN6thrust23THRUST_200600_302600_NS10device_ptrIlEEjNS0_19identity_decomposerEEE10hipError_tT1_T2_PT3_SG_jT4_jjP12ihipStream_tbEUlT_E0_NS1_11comp_targetILNS1_3genE5ELNS1_11target_archE942ELNS1_3gpuE9ELNS1_3repE0EEENS1_52radix_sort_onesweep_histogram_config_static_selectorELNS0_4arch9wavefront6targetE1EEEvSE_.numbered_sgpr, 0
	.set _ZN7rocprim17ROCPRIM_400000_NS6detail17trampoline_kernelINS0_14default_configENS1_35radix_sort_onesweep_config_selectorIslEEZNS1_34radix_sort_onesweep_global_offsetsIS3_Lb0EPsN6thrust23THRUST_200600_302600_NS10device_ptrIlEEjNS0_19identity_decomposerEEE10hipError_tT1_T2_PT3_SG_jT4_jjP12ihipStream_tbEUlT_E0_NS1_11comp_targetILNS1_3genE5ELNS1_11target_archE942ELNS1_3gpuE9ELNS1_3repE0EEENS1_52radix_sort_onesweep_histogram_config_static_selectorELNS0_4arch9wavefront6targetE1EEEvSE_.num_named_barrier, 0
	.set _ZN7rocprim17ROCPRIM_400000_NS6detail17trampoline_kernelINS0_14default_configENS1_35radix_sort_onesweep_config_selectorIslEEZNS1_34radix_sort_onesweep_global_offsetsIS3_Lb0EPsN6thrust23THRUST_200600_302600_NS10device_ptrIlEEjNS0_19identity_decomposerEEE10hipError_tT1_T2_PT3_SG_jT4_jjP12ihipStream_tbEUlT_E0_NS1_11comp_targetILNS1_3genE5ELNS1_11target_archE942ELNS1_3gpuE9ELNS1_3repE0EEENS1_52radix_sort_onesweep_histogram_config_static_selectorELNS0_4arch9wavefront6targetE1EEEvSE_.private_seg_size, 0
	.set _ZN7rocprim17ROCPRIM_400000_NS6detail17trampoline_kernelINS0_14default_configENS1_35radix_sort_onesweep_config_selectorIslEEZNS1_34radix_sort_onesweep_global_offsetsIS3_Lb0EPsN6thrust23THRUST_200600_302600_NS10device_ptrIlEEjNS0_19identity_decomposerEEE10hipError_tT1_T2_PT3_SG_jT4_jjP12ihipStream_tbEUlT_E0_NS1_11comp_targetILNS1_3genE5ELNS1_11target_archE942ELNS1_3gpuE9ELNS1_3repE0EEENS1_52radix_sort_onesweep_histogram_config_static_selectorELNS0_4arch9wavefront6targetE1EEEvSE_.uses_vcc, 0
	.set _ZN7rocprim17ROCPRIM_400000_NS6detail17trampoline_kernelINS0_14default_configENS1_35radix_sort_onesweep_config_selectorIslEEZNS1_34radix_sort_onesweep_global_offsetsIS3_Lb0EPsN6thrust23THRUST_200600_302600_NS10device_ptrIlEEjNS0_19identity_decomposerEEE10hipError_tT1_T2_PT3_SG_jT4_jjP12ihipStream_tbEUlT_E0_NS1_11comp_targetILNS1_3genE5ELNS1_11target_archE942ELNS1_3gpuE9ELNS1_3repE0EEENS1_52radix_sort_onesweep_histogram_config_static_selectorELNS0_4arch9wavefront6targetE1EEEvSE_.uses_flat_scratch, 0
	.set _ZN7rocprim17ROCPRIM_400000_NS6detail17trampoline_kernelINS0_14default_configENS1_35radix_sort_onesweep_config_selectorIslEEZNS1_34radix_sort_onesweep_global_offsetsIS3_Lb0EPsN6thrust23THRUST_200600_302600_NS10device_ptrIlEEjNS0_19identity_decomposerEEE10hipError_tT1_T2_PT3_SG_jT4_jjP12ihipStream_tbEUlT_E0_NS1_11comp_targetILNS1_3genE5ELNS1_11target_archE942ELNS1_3gpuE9ELNS1_3repE0EEENS1_52radix_sort_onesweep_histogram_config_static_selectorELNS0_4arch9wavefront6targetE1EEEvSE_.has_dyn_sized_stack, 0
	.set _ZN7rocprim17ROCPRIM_400000_NS6detail17trampoline_kernelINS0_14default_configENS1_35radix_sort_onesweep_config_selectorIslEEZNS1_34radix_sort_onesweep_global_offsetsIS3_Lb0EPsN6thrust23THRUST_200600_302600_NS10device_ptrIlEEjNS0_19identity_decomposerEEE10hipError_tT1_T2_PT3_SG_jT4_jjP12ihipStream_tbEUlT_E0_NS1_11comp_targetILNS1_3genE5ELNS1_11target_archE942ELNS1_3gpuE9ELNS1_3repE0EEENS1_52radix_sort_onesweep_histogram_config_static_selectorELNS0_4arch9wavefront6targetE1EEEvSE_.has_recursion, 0
	.set _ZN7rocprim17ROCPRIM_400000_NS6detail17trampoline_kernelINS0_14default_configENS1_35radix_sort_onesweep_config_selectorIslEEZNS1_34radix_sort_onesweep_global_offsetsIS3_Lb0EPsN6thrust23THRUST_200600_302600_NS10device_ptrIlEEjNS0_19identity_decomposerEEE10hipError_tT1_T2_PT3_SG_jT4_jjP12ihipStream_tbEUlT_E0_NS1_11comp_targetILNS1_3genE5ELNS1_11target_archE942ELNS1_3gpuE9ELNS1_3repE0EEENS1_52radix_sort_onesweep_histogram_config_static_selectorELNS0_4arch9wavefront6targetE1EEEvSE_.has_indirect_call, 0
	.section	.AMDGPU.csdata,"",@progbits
; Kernel info:
; codeLenInByte = 0
; TotalNumSgprs: 4
; NumVgprs: 0
; ScratchSize: 0
; MemoryBound: 0
; FloatMode: 240
; IeeeMode: 1
; LDSByteSize: 0 bytes/workgroup (compile time only)
; SGPRBlocks: 0
; VGPRBlocks: 0
; NumSGPRsForWavesPerEU: 4
; NumVGPRsForWavesPerEU: 1
; Occupancy: 10
; WaveLimiterHint : 0
; COMPUTE_PGM_RSRC2:SCRATCH_EN: 0
; COMPUTE_PGM_RSRC2:USER_SGPR: 6
; COMPUTE_PGM_RSRC2:TRAP_HANDLER: 0
; COMPUTE_PGM_RSRC2:TGID_X_EN: 1
; COMPUTE_PGM_RSRC2:TGID_Y_EN: 0
; COMPUTE_PGM_RSRC2:TGID_Z_EN: 0
; COMPUTE_PGM_RSRC2:TIDIG_COMP_CNT: 0
	.section	.text._ZN7rocprim17ROCPRIM_400000_NS6detail17trampoline_kernelINS0_14default_configENS1_35radix_sort_onesweep_config_selectorIslEEZNS1_34radix_sort_onesweep_global_offsetsIS3_Lb0EPsN6thrust23THRUST_200600_302600_NS10device_ptrIlEEjNS0_19identity_decomposerEEE10hipError_tT1_T2_PT3_SG_jT4_jjP12ihipStream_tbEUlT_E0_NS1_11comp_targetILNS1_3genE2ELNS1_11target_archE906ELNS1_3gpuE6ELNS1_3repE0EEENS1_52radix_sort_onesweep_histogram_config_static_selectorELNS0_4arch9wavefront6targetE1EEEvSE_,"axG",@progbits,_ZN7rocprim17ROCPRIM_400000_NS6detail17trampoline_kernelINS0_14default_configENS1_35radix_sort_onesweep_config_selectorIslEEZNS1_34radix_sort_onesweep_global_offsetsIS3_Lb0EPsN6thrust23THRUST_200600_302600_NS10device_ptrIlEEjNS0_19identity_decomposerEEE10hipError_tT1_T2_PT3_SG_jT4_jjP12ihipStream_tbEUlT_E0_NS1_11comp_targetILNS1_3genE2ELNS1_11target_archE906ELNS1_3gpuE6ELNS1_3repE0EEENS1_52radix_sort_onesweep_histogram_config_static_selectorELNS0_4arch9wavefront6targetE1EEEvSE_,comdat
	.protected	_ZN7rocprim17ROCPRIM_400000_NS6detail17trampoline_kernelINS0_14default_configENS1_35radix_sort_onesweep_config_selectorIslEEZNS1_34radix_sort_onesweep_global_offsetsIS3_Lb0EPsN6thrust23THRUST_200600_302600_NS10device_ptrIlEEjNS0_19identity_decomposerEEE10hipError_tT1_T2_PT3_SG_jT4_jjP12ihipStream_tbEUlT_E0_NS1_11comp_targetILNS1_3genE2ELNS1_11target_archE906ELNS1_3gpuE6ELNS1_3repE0EEENS1_52radix_sort_onesweep_histogram_config_static_selectorELNS0_4arch9wavefront6targetE1EEEvSE_ ; -- Begin function _ZN7rocprim17ROCPRIM_400000_NS6detail17trampoline_kernelINS0_14default_configENS1_35radix_sort_onesweep_config_selectorIslEEZNS1_34radix_sort_onesweep_global_offsetsIS3_Lb0EPsN6thrust23THRUST_200600_302600_NS10device_ptrIlEEjNS0_19identity_decomposerEEE10hipError_tT1_T2_PT3_SG_jT4_jjP12ihipStream_tbEUlT_E0_NS1_11comp_targetILNS1_3genE2ELNS1_11target_archE906ELNS1_3gpuE6ELNS1_3repE0EEENS1_52radix_sort_onesweep_histogram_config_static_selectorELNS0_4arch9wavefront6targetE1EEEvSE_
	.globl	_ZN7rocprim17ROCPRIM_400000_NS6detail17trampoline_kernelINS0_14default_configENS1_35radix_sort_onesweep_config_selectorIslEEZNS1_34radix_sort_onesweep_global_offsetsIS3_Lb0EPsN6thrust23THRUST_200600_302600_NS10device_ptrIlEEjNS0_19identity_decomposerEEE10hipError_tT1_T2_PT3_SG_jT4_jjP12ihipStream_tbEUlT_E0_NS1_11comp_targetILNS1_3genE2ELNS1_11target_archE906ELNS1_3gpuE6ELNS1_3repE0EEENS1_52radix_sort_onesweep_histogram_config_static_selectorELNS0_4arch9wavefront6targetE1EEEvSE_
	.p2align	8
	.type	_ZN7rocprim17ROCPRIM_400000_NS6detail17trampoline_kernelINS0_14default_configENS1_35radix_sort_onesweep_config_selectorIslEEZNS1_34radix_sort_onesweep_global_offsetsIS3_Lb0EPsN6thrust23THRUST_200600_302600_NS10device_ptrIlEEjNS0_19identity_decomposerEEE10hipError_tT1_T2_PT3_SG_jT4_jjP12ihipStream_tbEUlT_E0_NS1_11comp_targetILNS1_3genE2ELNS1_11target_archE906ELNS1_3gpuE6ELNS1_3repE0EEENS1_52radix_sort_onesweep_histogram_config_static_selectorELNS0_4arch9wavefront6targetE1EEEvSE_,@function
_ZN7rocprim17ROCPRIM_400000_NS6detail17trampoline_kernelINS0_14default_configENS1_35radix_sort_onesweep_config_selectorIslEEZNS1_34radix_sort_onesweep_global_offsetsIS3_Lb0EPsN6thrust23THRUST_200600_302600_NS10device_ptrIlEEjNS0_19identity_decomposerEEE10hipError_tT1_T2_PT3_SG_jT4_jjP12ihipStream_tbEUlT_E0_NS1_11comp_targetILNS1_3genE2ELNS1_11target_archE906ELNS1_3gpuE6ELNS1_3repE0EEENS1_52radix_sort_onesweep_histogram_config_static_selectorELNS0_4arch9wavefront6targetE1EEEvSE_: ; @_ZN7rocprim17ROCPRIM_400000_NS6detail17trampoline_kernelINS0_14default_configENS1_35radix_sort_onesweep_config_selectorIslEEZNS1_34radix_sort_onesweep_global_offsetsIS3_Lb0EPsN6thrust23THRUST_200600_302600_NS10device_ptrIlEEjNS0_19identity_decomposerEEE10hipError_tT1_T2_PT3_SG_jT4_jjP12ihipStream_tbEUlT_E0_NS1_11comp_targetILNS1_3genE2ELNS1_11target_archE906ELNS1_3gpuE6ELNS1_3repE0EEENS1_52radix_sort_onesweep_histogram_config_static_selectorELNS0_4arch9wavefront6targetE1EEEvSE_
; %bb.0:
	s_load_dwordx2 s[0:1], s[4:5], 0x0
	s_lshl_b32 s2, s6, 8
	s_mov_b32 s3, 0
	s_lshl_b64 s[2:3], s[2:3], 2
	v_lshlrev_b32_e32 v1, 2, v0
	s_waitcnt lgkmcnt(0)
	s_add_u32 s2, s0, s2
	s_movk_i32 s0, 0x100
	s_addc_u32 s3, s1, s3
	v_cmp_gt_u32_e32 vcc, s0, v0
                                        ; implicit-def: $vgpr3
	s_and_saveexec_b64 s[0:1], vcc
	s_cbranch_execz .LBB1392_2
; %bb.1:
	global_load_dword v3, v1, s[2:3]
.LBB1392_2:
	s_or_b64 exec, exec, s[0:1]
	v_mbcnt_lo_u32_b32 v2, -1, 0
	v_mbcnt_hi_u32_b32 v2, -1, v2
	v_and_b32_e32 v4, 15, v2
	s_waitcnt vmcnt(0)
	v_mov_b32_dpp v5, v3 row_shr:1 row_mask:0xf bank_mask:0xf
	v_cmp_ne_u32_e64 s[0:1], 0, v4
	v_cndmask_b32_e64 v5, 0, v5, s[0:1]
	v_add_u32_e32 v3, v5, v3
	v_cmp_lt_u32_e64 s[0:1], 1, v4
	s_nop 0
	v_mov_b32_dpp v5, v3 row_shr:2 row_mask:0xf bank_mask:0xf
	v_cndmask_b32_e64 v5, 0, v5, s[0:1]
	v_add_u32_e32 v3, v3, v5
	v_cmp_lt_u32_e64 s[0:1], 3, v4
	s_nop 0
	v_mov_b32_dpp v5, v3 row_shr:4 row_mask:0xf bank_mask:0xf
	;; [unrolled: 5-line block ×3, first 2 shown]
	v_cndmask_b32_e64 v4, 0, v5, s[0:1]
	v_add_u32_e32 v3, v3, v4
	v_bfe_i32 v5, v2, 4, 1
	v_cmp_lt_u32_e64 s[0:1], 31, v2
	v_mov_b32_dpp v4, v3 row_bcast:15 row_mask:0xf bank_mask:0xf
	v_and_b32_e32 v4, v5, v4
	v_add_u32_e32 v3, v3, v4
	v_or_b32_e32 v5, 63, v0
	s_nop 0
	v_mov_b32_dpp v4, v3 row_bcast:31 row_mask:0xf bank_mask:0xf
	v_cndmask_b32_e64 v4, 0, v4, s[0:1]
	v_add_u32_e32 v3, v3, v4
	v_lshrrev_b32_e32 v4, 6, v0
	v_cmp_eq_u32_e64 s[0:1], v0, v5
	s_and_saveexec_b64 s[4:5], s[0:1]
; %bb.3:
	v_lshlrev_b32_e32 v5, 2, v4
	ds_write_b32 v5, v3
; %bb.4:
	s_or_b64 exec, exec, s[4:5]
	v_cmp_gt_u32_e64 s[0:1], 8, v0
	s_waitcnt lgkmcnt(0)
	s_barrier
	s_and_saveexec_b64 s[4:5], s[0:1]
	s_cbranch_execz .LBB1392_6
; %bb.5:
	ds_read_b32 v5, v1
	v_and_b32_e32 v6, 7, v2
	v_cmp_ne_u32_e64 s[0:1], 0, v6
	s_waitcnt lgkmcnt(0)
	v_mov_b32_dpp v7, v5 row_shr:1 row_mask:0xf bank_mask:0xf
	v_cndmask_b32_e64 v7, 0, v7, s[0:1]
	v_add_u32_e32 v5, v7, v5
	v_cmp_lt_u32_e64 s[0:1], 1, v6
	s_nop 0
	v_mov_b32_dpp v7, v5 row_shr:2 row_mask:0xf bank_mask:0xf
	v_cndmask_b32_e64 v7, 0, v7, s[0:1]
	v_add_u32_e32 v5, v5, v7
	v_cmp_lt_u32_e64 s[0:1], 3, v6
	s_nop 0
	v_mov_b32_dpp v7, v5 row_shr:4 row_mask:0xf bank_mask:0xf
	v_cndmask_b32_e64 v6, 0, v7, s[0:1]
	v_add_u32_e32 v5, v5, v6
	ds_write_b32 v1, v5
.LBB1392_6:
	s_or_b64 exec, exec, s[4:5]
	v_cmp_lt_u32_e64 s[0:1], 63, v0
	v_mov_b32_e32 v0, 0
	s_waitcnt lgkmcnt(0)
	s_barrier
	s_and_saveexec_b64 s[4:5], s[0:1]
; %bb.7:
	v_lshl_add_u32 v0, v4, 2, -4
	ds_read_b32 v0, v0
; %bb.8:
	s_or_b64 exec, exec, s[4:5]
	v_add_u32_e32 v4, -1, v2
	v_and_b32_e32 v5, 64, v2
	v_cmp_lt_i32_e64 s[0:1], v4, v5
	v_cndmask_b32_e64 v4, v4, v2, s[0:1]
	s_waitcnt lgkmcnt(0)
	v_add_u32_e32 v3, v0, v3
	v_lshlrev_b32_e32 v4, 2, v4
	ds_bpermute_b32 v3, v4, v3
	s_and_saveexec_b64 s[0:1], vcc
	s_cbranch_execz .LBB1392_10
; %bb.9:
	v_cmp_eq_u32_e32 vcc, 0, v2
	s_waitcnt lgkmcnt(0)
	v_cndmask_b32_e32 v0, v3, v0, vcc
	global_store_dword v1, v0, s[2:3]
.LBB1392_10:
	s_endpgm
	.section	.rodata,"a",@progbits
	.p2align	6, 0x0
	.amdhsa_kernel _ZN7rocprim17ROCPRIM_400000_NS6detail17trampoline_kernelINS0_14default_configENS1_35radix_sort_onesweep_config_selectorIslEEZNS1_34radix_sort_onesweep_global_offsetsIS3_Lb0EPsN6thrust23THRUST_200600_302600_NS10device_ptrIlEEjNS0_19identity_decomposerEEE10hipError_tT1_T2_PT3_SG_jT4_jjP12ihipStream_tbEUlT_E0_NS1_11comp_targetILNS1_3genE2ELNS1_11target_archE906ELNS1_3gpuE6ELNS1_3repE0EEENS1_52radix_sort_onesweep_histogram_config_static_selectorELNS0_4arch9wavefront6targetE1EEEvSE_
		.amdhsa_group_segment_fixed_size 32
		.amdhsa_private_segment_fixed_size 0
		.amdhsa_kernarg_size 8
		.amdhsa_user_sgpr_count 6
		.amdhsa_user_sgpr_private_segment_buffer 1
		.amdhsa_user_sgpr_dispatch_ptr 0
		.amdhsa_user_sgpr_queue_ptr 0
		.amdhsa_user_sgpr_kernarg_segment_ptr 1
		.amdhsa_user_sgpr_dispatch_id 0
		.amdhsa_user_sgpr_flat_scratch_init 0
		.amdhsa_user_sgpr_private_segment_size 0
		.amdhsa_uses_dynamic_stack 0
		.amdhsa_system_sgpr_private_segment_wavefront_offset 0
		.amdhsa_system_sgpr_workgroup_id_x 1
		.amdhsa_system_sgpr_workgroup_id_y 0
		.amdhsa_system_sgpr_workgroup_id_z 0
		.amdhsa_system_sgpr_workgroup_info 0
		.amdhsa_system_vgpr_workitem_id 0
		.amdhsa_next_free_vgpr 8
		.amdhsa_next_free_sgpr 7
		.amdhsa_reserve_vcc 1
		.amdhsa_reserve_flat_scratch 0
		.amdhsa_float_round_mode_32 0
		.amdhsa_float_round_mode_16_64 0
		.amdhsa_float_denorm_mode_32 3
		.amdhsa_float_denorm_mode_16_64 3
		.amdhsa_dx10_clamp 1
		.amdhsa_ieee_mode 1
		.amdhsa_fp16_overflow 0
		.amdhsa_exception_fp_ieee_invalid_op 0
		.amdhsa_exception_fp_denorm_src 0
		.amdhsa_exception_fp_ieee_div_zero 0
		.amdhsa_exception_fp_ieee_overflow 0
		.amdhsa_exception_fp_ieee_underflow 0
		.amdhsa_exception_fp_ieee_inexact 0
		.amdhsa_exception_int_div_zero 0
	.end_amdhsa_kernel
	.section	.text._ZN7rocprim17ROCPRIM_400000_NS6detail17trampoline_kernelINS0_14default_configENS1_35radix_sort_onesweep_config_selectorIslEEZNS1_34radix_sort_onesweep_global_offsetsIS3_Lb0EPsN6thrust23THRUST_200600_302600_NS10device_ptrIlEEjNS0_19identity_decomposerEEE10hipError_tT1_T2_PT3_SG_jT4_jjP12ihipStream_tbEUlT_E0_NS1_11comp_targetILNS1_3genE2ELNS1_11target_archE906ELNS1_3gpuE6ELNS1_3repE0EEENS1_52radix_sort_onesweep_histogram_config_static_selectorELNS0_4arch9wavefront6targetE1EEEvSE_,"axG",@progbits,_ZN7rocprim17ROCPRIM_400000_NS6detail17trampoline_kernelINS0_14default_configENS1_35radix_sort_onesweep_config_selectorIslEEZNS1_34radix_sort_onesweep_global_offsetsIS3_Lb0EPsN6thrust23THRUST_200600_302600_NS10device_ptrIlEEjNS0_19identity_decomposerEEE10hipError_tT1_T2_PT3_SG_jT4_jjP12ihipStream_tbEUlT_E0_NS1_11comp_targetILNS1_3genE2ELNS1_11target_archE906ELNS1_3gpuE6ELNS1_3repE0EEENS1_52radix_sort_onesweep_histogram_config_static_selectorELNS0_4arch9wavefront6targetE1EEEvSE_,comdat
.Lfunc_end1392:
	.size	_ZN7rocprim17ROCPRIM_400000_NS6detail17trampoline_kernelINS0_14default_configENS1_35radix_sort_onesweep_config_selectorIslEEZNS1_34radix_sort_onesweep_global_offsetsIS3_Lb0EPsN6thrust23THRUST_200600_302600_NS10device_ptrIlEEjNS0_19identity_decomposerEEE10hipError_tT1_T2_PT3_SG_jT4_jjP12ihipStream_tbEUlT_E0_NS1_11comp_targetILNS1_3genE2ELNS1_11target_archE906ELNS1_3gpuE6ELNS1_3repE0EEENS1_52radix_sort_onesweep_histogram_config_static_selectorELNS0_4arch9wavefront6targetE1EEEvSE_, .Lfunc_end1392-_ZN7rocprim17ROCPRIM_400000_NS6detail17trampoline_kernelINS0_14default_configENS1_35radix_sort_onesweep_config_selectorIslEEZNS1_34radix_sort_onesweep_global_offsetsIS3_Lb0EPsN6thrust23THRUST_200600_302600_NS10device_ptrIlEEjNS0_19identity_decomposerEEE10hipError_tT1_T2_PT3_SG_jT4_jjP12ihipStream_tbEUlT_E0_NS1_11comp_targetILNS1_3genE2ELNS1_11target_archE906ELNS1_3gpuE6ELNS1_3repE0EEENS1_52radix_sort_onesweep_histogram_config_static_selectorELNS0_4arch9wavefront6targetE1EEEvSE_
                                        ; -- End function
	.set _ZN7rocprim17ROCPRIM_400000_NS6detail17trampoline_kernelINS0_14default_configENS1_35radix_sort_onesweep_config_selectorIslEEZNS1_34radix_sort_onesweep_global_offsetsIS3_Lb0EPsN6thrust23THRUST_200600_302600_NS10device_ptrIlEEjNS0_19identity_decomposerEEE10hipError_tT1_T2_PT3_SG_jT4_jjP12ihipStream_tbEUlT_E0_NS1_11comp_targetILNS1_3genE2ELNS1_11target_archE906ELNS1_3gpuE6ELNS1_3repE0EEENS1_52radix_sort_onesweep_histogram_config_static_selectorELNS0_4arch9wavefront6targetE1EEEvSE_.num_vgpr, 8
	.set _ZN7rocprim17ROCPRIM_400000_NS6detail17trampoline_kernelINS0_14default_configENS1_35radix_sort_onesweep_config_selectorIslEEZNS1_34radix_sort_onesweep_global_offsetsIS3_Lb0EPsN6thrust23THRUST_200600_302600_NS10device_ptrIlEEjNS0_19identity_decomposerEEE10hipError_tT1_T2_PT3_SG_jT4_jjP12ihipStream_tbEUlT_E0_NS1_11comp_targetILNS1_3genE2ELNS1_11target_archE906ELNS1_3gpuE6ELNS1_3repE0EEENS1_52radix_sort_onesweep_histogram_config_static_selectorELNS0_4arch9wavefront6targetE1EEEvSE_.num_agpr, 0
	.set _ZN7rocprim17ROCPRIM_400000_NS6detail17trampoline_kernelINS0_14default_configENS1_35radix_sort_onesweep_config_selectorIslEEZNS1_34radix_sort_onesweep_global_offsetsIS3_Lb0EPsN6thrust23THRUST_200600_302600_NS10device_ptrIlEEjNS0_19identity_decomposerEEE10hipError_tT1_T2_PT3_SG_jT4_jjP12ihipStream_tbEUlT_E0_NS1_11comp_targetILNS1_3genE2ELNS1_11target_archE906ELNS1_3gpuE6ELNS1_3repE0EEENS1_52radix_sort_onesweep_histogram_config_static_selectorELNS0_4arch9wavefront6targetE1EEEvSE_.numbered_sgpr, 7
	.set _ZN7rocprim17ROCPRIM_400000_NS6detail17trampoline_kernelINS0_14default_configENS1_35radix_sort_onesweep_config_selectorIslEEZNS1_34radix_sort_onesweep_global_offsetsIS3_Lb0EPsN6thrust23THRUST_200600_302600_NS10device_ptrIlEEjNS0_19identity_decomposerEEE10hipError_tT1_T2_PT3_SG_jT4_jjP12ihipStream_tbEUlT_E0_NS1_11comp_targetILNS1_3genE2ELNS1_11target_archE906ELNS1_3gpuE6ELNS1_3repE0EEENS1_52radix_sort_onesweep_histogram_config_static_selectorELNS0_4arch9wavefront6targetE1EEEvSE_.num_named_barrier, 0
	.set _ZN7rocprim17ROCPRIM_400000_NS6detail17trampoline_kernelINS0_14default_configENS1_35radix_sort_onesweep_config_selectorIslEEZNS1_34radix_sort_onesweep_global_offsetsIS3_Lb0EPsN6thrust23THRUST_200600_302600_NS10device_ptrIlEEjNS0_19identity_decomposerEEE10hipError_tT1_T2_PT3_SG_jT4_jjP12ihipStream_tbEUlT_E0_NS1_11comp_targetILNS1_3genE2ELNS1_11target_archE906ELNS1_3gpuE6ELNS1_3repE0EEENS1_52radix_sort_onesweep_histogram_config_static_selectorELNS0_4arch9wavefront6targetE1EEEvSE_.private_seg_size, 0
	.set _ZN7rocprim17ROCPRIM_400000_NS6detail17trampoline_kernelINS0_14default_configENS1_35radix_sort_onesweep_config_selectorIslEEZNS1_34radix_sort_onesweep_global_offsetsIS3_Lb0EPsN6thrust23THRUST_200600_302600_NS10device_ptrIlEEjNS0_19identity_decomposerEEE10hipError_tT1_T2_PT3_SG_jT4_jjP12ihipStream_tbEUlT_E0_NS1_11comp_targetILNS1_3genE2ELNS1_11target_archE906ELNS1_3gpuE6ELNS1_3repE0EEENS1_52radix_sort_onesweep_histogram_config_static_selectorELNS0_4arch9wavefront6targetE1EEEvSE_.uses_vcc, 1
	.set _ZN7rocprim17ROCPRIM_400000_NS6detail17trampoline_kernelINS0_14default_configENS1_35radix_sort_onesweep_config_selectorIslEEZNS1_34radix_sort_onesweep_global_offsetsIS3_Lb0EPsN6thrust23THRUST_200600_302600_NS10device_ptrIlEEjNS0_19identity_decomposerEEE10hipError_tT1_T2_PT3_SG_jT4_jjP12ihipStream_tbEUlT_E0_NS1_11comp_targetILNS1_3genE2ELNS1_11target_archE906ELNS1_3gpuE6ELNS1_3repE0EEENS1_52radix_sort_onesweep_histogram_config_static_selectorELNS0_4arch9wavefront6targetE1EEEvSE_.uses_flat_scratch, 0
	.set _ZN7rocprim17ROCPRIM_400000_NS6detail17trampoline_kernelINS0_14default_configENS1_35radix_sort_onesweep_config_selectorIslEEZNS1_34radix_sort_onesweep_global_offsetsIS3_Lb0EPsN6thrust23THRUST_200600_302600_NS10device_ptrIlEEjNS0_19identity_decomposerEEE10hipError_tT1_T2_PT3_SG_jT4_jjP12ihipStream_tbEUlT_E0_NS1_11comp_targetILNS1_3genE2ELNS1_11target_archE906ELNS1_3gpuE6ELNS1_3repE0EEENS1_52radix_sort_onesweep_histogram_config_static_selectorELNS0_4arch9wavefront6targetE1EEEvSE_.has_dyn_sized_stack, 0
	.set _ZN7rocprim17ROCPRIM_400000_NS6detail17trampoline_kernelINS0_14default_configENS1_35radix_sort_onesweep_config_selectorIslEEZNS1_34radix_sort_onesweep_global_offsetsIS3_Lb0EPsN6thrust23THRUST_200600_302600_NS10device_ptrIlEEjNS0_19identity_decomposerEEE10hipError_tT1_T2_PT3_SG_jT4_jjP12ihipStream_tbEUlT_E0_NS1_11comp_targetILNS1_3genE2ELNS1_11target_archE906ELNS1_3gpuE6ELNS1_3repE0EEENS1_52radix_sort_onesweep_histogram_config_static_selectorELNS0_4arch9wavefront6targetE1EEEvSE_.has_recursion, 0
	.set _ZN7rocprim17ROCPRIM_400000_NS6detail17trampoline_kernelINS0_14default_configENS1_35radix_sort_onesweep_config_selectorIslEEZNS1_34radix_sort_onesweep_global_offsetsIS3_Lb0EPsN6thrust23THRUST_200600_302600_NS10device_ptrIlEEjNS0_19identity_decomposerEEE10hipError_tT1_T2_PT3_SG_jT4_jjP12ihipStream_tbEUlT_E0_NS1_11comp_targetILNS1_3genE2ELNS1_11target_archE906ELNS1_3gpuE6ELNS1_3repE0EEENS1_52radix_sort_onesweep_histogram_config_static_selectorELNS0_4arch9wavefront6targetE1EEEvSE_.has_indirect_call, 0
	.section	.AMDGPU.csdata,"",@progbits
; Kernel info:
; codeLenInByte = 568
; TotalNumSgprs: 11
; NumVgprs: 8
; ScratchSize: 0
; MemoryBound: 0
; FloatMode: 240
; IeeeMode: 1
; LDSByteSize: 32 bytes/workgroup (compile time only)
; SGPRBlocks: 1
; VGPRBlocks: 1
; NumSGPRsForWavesPerEU: 11
; NumVGPRsForWavesPerEU: 8
; Occupancy: 10
; WaveLimiterHint : 0
; COMPUTE_PGM_RSRC2:SCRATCH_EN: 0
; COMPUTE_PGM_RSRC2:USER_SGPR: 6
; COMPUTE_PGM_RSRC2:TRAP_HANDLER: 0
; COMPUTE_PGM_RSRC2:TGID_X_EN: 1
; COMPUTE_PGM_RSRC2:TGID_Y_EN: 0
; COMPUTE_PGM_RSRC2:TGID_Z_EN: 0
; COMPUTE_PGM_RSRC2:TIDIG_COMP_CNT: 0
	.section	.text._ZN7rocprim17ROCPRIM_400000_NS6detail17trampoline_kernelINS0_14default_configENS1_35radix_sort_onesweep_config_selectorIslEEZNS1_34radix_sort_onesweep_global_offsetsIS3_Lb0EPsN6thrust23THRUST_200600_302600_NS10device_ptrIlEEjNS0_19identity_decomposerEEE10hipError_tT1_T2_PT3_SG_jT4_jjP12ihipStream_tbEUlT_E0_NS1_11comp_targetILNS1_3genE4ELNS1_11target_archE910ELNS1_3gpuE8ELNS1_3repE0EEENS1_52radix_sort_onesweep_histogram_config_static_selectorELNS0_4arch9wavefront6targetE1EEEvSE_,"axG",@progbits,_ZN7rocprim17ROCPRIM_400000_NS6detail17trampoline_kernelINS0_14default_configENS1_35radix_sort_onesweep_config_selectorIslEEZNS1_34radix_sort_onesweep_global_offsetsIS3_Lb0EPsN6thrust23THRUST_200600_302600_NS10device_ptrIlEEjNS0_19identity_decomposerEEE10hipError_tT1_T2_PT3_SG_jT4_jjP12ihipStream_tbEUlT_E0_NS1_11comp_targetILNS1_3genE4ELNS1_11target_archE910ELNS1_3gpuE8ELNS1_3repE0EEENS1_52radix_sort_onesweep_histogram_config_static_selectorELNS0_4arch9wavefront6targetE1EEEvSE_,comdat
	.protected	_ZN7rocprim17ROCPRIM_400000_NS6detail17trampoline_kernelINS0_14default_configENS1_35radix_sort_onesweep_config_selectorIslEEZNS1_34radix_sort_onesweep_global_offsetsIS3_Lb0EPsN6thrust23THRUST_200600_302600_NS10device_ptrIlEEjNS0_19identity_decomposerEEE10hipError_tT1_T2_PT3_SG_jT4_jjP12ihipStream_tbEUlT_E0_NS1_11comp_targetILNS1_3genE4ELNS1_11target_archE910ELNS1_3gpuE8ELNS1_3repE0EEENS1_52radix_sort_onesweep_histogram_config_static_selectorELNS0_4arch9wavefront6targetE1EEEvSE_ ; -- Begin function _ZN7rocprim17ROCPRIM_400000_NS6detail17trampoline_kernelINS0_14default_configENS1_35radix_sort_onesweep_config_selectorIslEEZNS1_34radix_sort_onesweep_global_offsetsIS3_Lb0EPsN6thrust23THRUST_200600_302600_NS10device_ptrIlEEjNS0_19identity_decomposerEEE10hipError_tT1_T2_PT3_SG_jT4_jjP12ihipStream_tbEUlT_E0_NS1_11comp_targetILNS1_3genE4ELNS1_11target_archE910ELNS1_3gpuE8ELNS1_3repE0EEENS1_52radix_sort_onesweep_histogram_config_static_selectorELNS0_4arch9wavefront6targetE1EEEvSE_
	.globl	_ZN7rocprim17ROCPRIM_400000_NS6detail17trampoline_kernelINS0_14default_configENS1_35radix_sort_onesweep_config_selectorIslEEZNS1_34radix_sort_onesweep_global_offsetsIS3_Lb0EPsN6thrust23THRUST_200600_302600_NS10device_ptrIlEEjNS0_19identity_decomposerEEE10hipError_tT1_T2_PT3_SG_jT4_jjP12ihipStream_tbEUlT_E0_NS1_11comp_targetILNS1_3genE4ELNS1_11target_archE910ELNS1_3gpuE8ELNS1_3repE0EEENS1_52radix_sort_onesweep_histogram_config_static_selectorELNS0_4arch9wavefront6targetE1EEEvSE_
	.p2align	8
	.type	_ZN7rocprim17ROCPRIM_400000_NS6detail17trampoline_kernelINS0_14default_configENS1_35radix_sort_onesweep_config_selectorIslEEZNS1_34radix_sort_onesweep_global_offsetsIS3_Lb0EPsN6thrust23THRUST_200600_302600_NS10device_ptrIlEEjNS0_19identity_decomposerEEE10hipError_tT1_T2_PT3_SG_jT4_jjP12ihipStream_tbEUlT_E0_NS1_11comp_targetILNS1_3genE4ELNS1_11target_archE910ELNS1_3gpuE8ELNS1_3repE0EEENS1_52radix_sort_onesweep_histogram_config_static_selectorELNS0_4arch9wavefront6targetE1EEEvSE_,@function
_ZN7rocprim17ROCPRIM_400000_NS6detail17trampoline_kernelINS0_14default_configENS1_35radix_sort_onesweep_config_selectorIslEEZNS1_34radix_sort_onesweep_global_offsetsIS3_Lb0EPsN6thrust23THRUST_200600_302600_NS10device_ptrIlEEjNS0_19identity_decomposerEEE10hipError_tT1_T2_PT3_SG_jT4_jjP12ihipStream_tbEUlT_E0_NS1_11comp_targetILNS1_3genE4ELNS1_11target_archE910ELNS1_3gpuE8ELNS1_3repE0EEENS1_52radix_sort_onesweep_histogram_config_static_selectorELNS0_4arch9wavefront6targetE1EEEvSE_: ; @_ZN7rocprim17ROCPRIM_400000_NS6detail17trampoline_kernelINS0_14default_configENS1_35radix_sort_onesweep_config_selectorIslEEZNS1_34radix_sort_onesweep_global_offsetsIS3_Lb0EPsN6thrust23THRUST_200600_302600_NS10device_ptrIlEEjNS0_19identity_decomposerEEE10hipError_tT1_T2_PT3_SG_jT4_jjP12ihipStream_tbEUlT_E0_NS1_11comp_targetILNS1_3genE4ELNS1_11target_archE910ELNS1_3gpuE8ELNS1_3repE0EEENS1_52radix_sort_onesweep_histogram_config_static_selectorELNS0_4arch9wavefront6targetE1EEEvSE_
; %bb.0:
	.section	.rodata,"a",@progbits
	.p2align	6, 0x0
	.amdhsa_kernel _ZN7rocprim17ROCPRIM_400000_NS6detail17trampoline_kernelINS0_14default_configENS1_35radix_sort_onesweep_config_selectorIslEEZNS1_34radix_sort_onesweep_global_offsetsIS3_Lb0EPsN6thrust23THRUST_200600_302600_NS10device_ptrIlEEjNS0_19identity_decomposerEEE10hipError_tT1_T2_PT3_SG_jT4_jjP12ihipStream_tbEUlT_E0_NS1_11comp_targetILNS1_3genE4ELNS1_11target_archE910ELNS1_3gpuE8ELNS1_3repE0EEENS1_52radix_sort_onesweep_histogram_config_static_selectorELNS0_4arch9wavefront6targetE1EEEvSE_
		.amdhsa_group_segment_fixed_size 0
		.amdhsa_private_segment_fixed_size 0
		.amdhsa_kernarg_size 8
		.amdhsa_user_sgpr_count 6
		.amdhsa_user_sgpr_private_segment_buffer 1
		.amdhsa_user_sgpr_dispatch_ptr 0
		.amdhsa_user_sgpr_queue_ptr 0
		.amdhsa_user_sgpr_kernarg_segment_ptr 1
		.amdhsa_user_sgpr_dispatch_id 0
		.amdhsa_user_sgpr_flat_scratch_init 0
		.amdhsa_user_sgpr_private_segment_size 0
		.amdhsa_uses_dynamic_stack 0
		.amdhsa_system_sgpr_private_segment_wavefront_offset 0
		.amdhsa_system_sgpr_workgroup_id_x 1
		.amdhsa_system_sgpr_workgroup_id_y 0
		.amdhsa_system_sgpr_workgroup_id_z 0
		.amdhsa_system_sgpr_workgroup_info 0
		.amdhsa_system_vgpr_workitem_id 0
		.amdhsa_next_free_vgpr 1
		.amdhsa_next_free_sgpr 0
		.amdhsa_reserve_vcc 0
		.amdhsa_reserve_flat_scratch 0
		.amdhsa_float_round_mode_32 0
		.amdhsa_float_round_mode_16_64 0
		.amdhsa_float_denorm_mode_32 3
		.amdhsa_float_denorm_mode_16_64 3
		.amdhsa_dx10_clamp 1
		.amdhsa_ieee_mode 1
		.amdhsa_fp16_overflow 0
		.amdhsa_exception_fp_ieee_invalid_op 0
		.amdhsa_exception_fp_denorm_src 0
		.amdhsa_exception_fp_ieee_div_zero 0
		.amdhsa_exception_fp_ieee_overflow 0
		.amdhsa_exception_fp_ieee_underflow 0
		.amdhsa_exception_fp_ieee_inexact 0
		.amdhsa_exception_int_div_zero 0
	.end_amdhsa_kernel
	.section	.text._ZN7rocprim17ROCPRIM_400000_NS6detail17trampoline_kernelINS0_14default_configENS1_35radix_sort_onesweep_config_selectorIslEEZNS1_34radix_sort_onesweep_global_offsetsIS3_Lb0EPsN6thrust23THRUST_200600_302600_NS10device_ptrIlEEjNS0_19identity_decomposerEEE10hipError_tT1_T2_PT3_SG_jT4_jjP12ihipStream_tbEUlT_E0_NS1_11comp_targetILNS1_3genE4ELNS1_11target_archE910ELNS1_3gpuE8ELNS1_3repE0EEENS1_52radix_sort_onesweep_histogram_config_static_selectorELNS0_4arch9wavefront6targetE1EEEvSE_,"axG",@progbits,_ZN7rocprim17ROCPRIM_400000_NS6detail17trampoline_kernelINS0_14default_configENS1_35radix_sort_onesweep_config_selectorIslEEZNS1_34radix_sort_onesweep_global_offsetsIS3_Lb0EPsN6thrust23THRUST_200600_302600_NS10device_ptrIlEEjNS0_19identity_decomposerEEE10hipError_tT1_T2_PT3_SG_jT4_jjP12ihipStream_tbEUlT_E0_NS1_11comp_targetILNS1_3genE4ELNS1_11target_archE910ELNS1_3gpuE8ELNS1_3repE0EEENS1_52radix_sort_onesweep_histogram_config_static_selectorELNS0_4arch9wavefront6targetE1EEEvSE_,comdat
.Lfunc_end1393:
	.size	_ZN7rocprim17ROCPRIM_400000_NS6detail17trampoline_kernelINS0_14default_configENS1_35radix_sort_onesweep_config_selectorIslEEZNS1_34radix_sort_onesweep_global_offsetsIS3_Lb0EPsN6thrust23THRUST_200600_302600_NS10device_ptrIlEEjNS0_19identity_decomposerEEE10hipError_tT1_T2_PT3_SG_jT4_jjP12ihipStream_tbEUlT_E0_NS1_11comp_targetILNS1_3genE4ELNS1_11target_archE910ELNS1_3gpuE8ELNS1_3repE0EEENS1_52radix_sort_onesweep_histogram_config_static_selectorELNS0_4arch9wavefront6targetE1EEEvSE_, .Lfunc_end1393-_ZN7rocprim17ROCPRIM_400000_NS6detail17trampoline_kernelINS0_14default_configENS1_35radix_sort_onesweep_config_selectorIslEEZNS1_34radix_sort_onesweep_global_offsetsIS3_Lb0EPsN6thrust23THRUST_200600_302600_NS10device_ptrIlEEjNS0_19identity_decomposerEEE10hipError_tT1_T2_PT3_SG_jT4_jjP12ihipStream_tbEUlT_E0_NS1_11comp_targetILNS1_3genE4ELNS1_11target_archE910ELNS1_3gpuE8ELNS1_3repE0EEENS1_52radix_sort_onesweep_histogram_config_static_selectorELNS0_4arch9wavefront6targetE1EEEvSE_
                                        ; -- End function
	.set _ZN7rocprim17ROCPRIM_400000_NS6detail17trampoline_kernelINS0_14default_configENS1_35radix_sort_onesweep_config_selectorIslEEZNS1_34radix_sort_onesweep_global_offsetsIS3_Lb0EPsN6thrust23THRUST_200600_302600_NS10device_ptrIlEEjNS0_19identity_decomposerEEE10hipError_tT1_T2_PT3_SG_jT4_jjP12ihipStream_tbEUlT_E0_NS1_11comp_targetILNS1_3genE4ELNS1_11target_archE910ELNS1_3gpuE8ELNS1_3repE0EEENS1_52radix_sort_onesweep_histogram_config_static_selectorELNS0_4arch9wavefront6targetE1EEEvSE_.num_vgpr, 0
	.set _ZN7rocprim17ROCPRIM_400000_NS6detail17trampoline_kernelINS0_14default_configENS1_35radix_sort_onesweep_config_selectorIslEEZNS1_34radix_sort_onesweep_global_offsetsIS3_Lb0EPsN6thrust23THRUST_200600_302600_NS10device_ptrIlEEjNS0_19identity_decomposerEEE10hipError_tT1_T2_PT3_SG_jT4_jjP12ihipStream_tbEUlT_E0_NS1_11comp_targetILNS1_3genE4ELNS1_11target_archE910ELNS1_3gpuE8ELNS1_3repE0EEENS1_52radix_sort_onesweep_histogram_config_static_selectorELNS0_4arch9wavefront6targetE1EEEvSE_.num_agpr, 0
	.set _ZN7rocprim17ROCPRIM_400000_NS6detail17trampoline_kernelINS0_14default_configENS1_35radix_sort_onesweep_config_selectorIslEEZNS1_34radix_sort_onesweep_global_offsetsIS3_Lb0EPsN6thrust23THRUST_200600_302600_NS10device_ptrIlEEjNS0_19identity_decomposerEEE10hipError_tT1_T2_PT3_SG_jT4_jjP12ihipStream_tbEUlT_E0_NS1_11comp_targetILNS1_3genE4ELNS1_11target_archE910ELNS1_3gpuE8ELNS1_3repE0EEENS1_52radix_sort_onesweep_histogram_config_static_selectorELNS0_4arch9wavefront6targetE1EEEvSE_.numbered_sgpr, 0
	.set _ZN7rocprim17ROCPRIM_400000_NS6detail17trampoline_kernelINS0_14default_configENS1_35radix_sort_onesweep_config_selectorIslEEZNS1_34radix_sort_onesweep_global_offsetsIS3_Lb0EPsN6thrust23THRUST_200600_302600_NS10device_ptrIlEEjNS0_19identity_decomposerEEE10hipError_tT1_T2_PT3_SG_jT4_jjP12ihipStream_tbEUlT_E0_NS1_11comp_targetILNS1_3genE4ELNS1_11target_archE910ELNS1_3gpuE8ELNS1_3repE0EEENS1_52radix_sort_onesweep_histogram_config_static_selectorELNS0_4arch9wavefront6targetE1EEEvSE_.num_named_barrier, 0
	.set _ZN7rocprim17ROCPRIM_400000_NS6detail17trampoline_kernelINS0_14default_configENS1_35radix_sort_onesweep_config_selectorIslEEZNS1_34radix_sort_onesweep_global_offsetsIS3_Lb0EPsN6thrust23THRUST_200600_302600_NS10device_ptrIlEEjNS0_19identity_decomposerEEE10hipError_tT1_T2_PT3_SG_jT4_jjP12ihipStream_tbEUlT_E0_NS1_11comp_targetILNS1_3genE4ELNS1_11target_archE910ELNS1_3gpuE8ELNS1_3repE0EEENS1_52radix_sort_onesweep_histogram_config_static_selectorELNS0_4arch9wavefront6targetE1EEEvSE_.private_seg_size, 0
	.set _ZN7rocprim17ROCPRIM_400000_NS6detail17trampoline_kernelINS0_14default_configENS1_35radix_sort_onesweep_config_selectorIslEEZNS1_34radix_sort_onesweep_global_offsetsIS3_Lb0EPsN6thrust23THRUST_200600_302600_NS10device_ptrIlEEjNS0_19identity_decomposerEEE10hipError_tT1_T2_PT3_SG_jT4_jjP12ihipStream_tbEUlT_E0_NS1_11comp_targetILNS1_3genE4ELNS1_11target_archE910ELNS1_3gpuE8ELNS1_3repE0EEENS1_52radix_sort_onesweep_histogram_config_static_selectorELNS0_4arch9wavefront6targetE1EEEvSE_.uses_vcc, 0
	.set _ZN7rocprim17ROCPRIM_400000_NS6detail17trampoline_kernelINS0_14default_configENS1_35radix_sort_onesweep_config_selectorIslEEZNS1_34radix_sort_onesweep_global_offsetsIS3_Lb0EPsN6thrust23THRUST_200600_302600_NS10device_ptrIlEEjNS0_19identity_decomposerEEE10hipError_tT1_T2_PT3_SG_jT4_jjP12ihipStream_tbEUlT_E0_NS1_11comp_targetILNS1_3genE4ELNS1_11target_archE910ELNS1_3gpuE8ELNS1_3repE0EEENS1_52radix_sort_onesweep_histogram_config_static_selectorELNS0_4arch9wavefront6targetE1EEEvSE_.uses_flat_scratch, 0
	.set _ZN7rocprim17ROCPRIM_400000_NS6detail17trampoline_kernelINS0_14default_configENS1_35radix_sort_onesweep_config_selectorIslEEZNS1_34radix_sort_onesweep_global_offsetsIS3_Lb0EPsN6thrust23THRUST_200600_302600_NS10device_ptrIlEEjNS0_19identity_decomposerEEE10hipError_tT1_T2_PT3_SG_jT4_jjP12ihipStream_tbEUlT_E0_NS1_11comp_targetILNS1_3genE4ELNS1_11target_archE910ELNS1_3gpuE8ELNS1_3repE0EEENS1_52radix_sort_onesweep_histogram_config_static_selectorELNS0_4arch9wavefront6targetE1EEEvSE_.has_dyn_sized_stack, 0
	.set _ZN7rocprim17ROCPRIM_400000_NS6detail17trampoline_kernelINS0_14default_configENS1_35radix_sort_onesweep_config_selectorIslEEZNS1_34radix_sort_onesweep_global_offsetsIS3_Lb0EPsN6thrust23THRUST_200600_302600_NS10device_ptrIlEEjNS0_19identity_decomposerEEE10hipError_tT1_T2_PT3_SG_jT4_jjP12ihipStream_tbEUlT_E0_NS1_11comp_targetILNS1_3genE4ELNS1_11target_archE910ELNS1_3gpuE8ELNS1_3repE0EEENS1_52radix_sort_onesweep_histogram_config_static_selectorELNS0_4arch9wavefront6targetE1EEEvSE_.has_recursion, 0
	.set _ZN7rocprim17ROCPRIM_400000_NS6detail17trampoline_kernelINS0_14default_configENS1_35radix_sort_onesweep_config_selectorIslEEZNS1_34radix_sort_onesweep_global_offsetsIS3_Lb0EPsN6thrust23THRUST_200600_302600_NS10device_ptrIlEEjNS0_19identity_decomposerEEE10hipError_tT1_T2_PT3_SG_jT4_jjP12ihipStream_tbEUlT_E0_NS1_11comp_targetILNS1_3genE4ELNS1_11target_archE910ELNS1_3gpuE8ELNS1_3repE0EEENS1_52radix_sort_onesweep_histogram_config_static_selectorELNS0_4arch9wavefront6targetE1EEEvSE_.has_indirect_call, 0
	.section	.AMDGPU.csdata,"",@progbits
; Kernel info:
; codeLenInByte = 0
; TotalNumSgprs: 4
; NumVgprs: 0
; ScratchSize: 0
; MemoryBound: 0
; FloatMode: 240
; IeeeMode: 1
; LDSByteSize: 0 bytes/workgroup (compile time only)
; SGPRBlocks: 0
; VGPRBlocks: 0
; NumSGPRsForWavesPerEU: 4
; NumVGPRsForWavesPerEU: 1
; Occupancy: 10
; WaveLimiterHint : 0
; COMPUTE_PGM_RSRC2:SCRATCH_EN: 0
; COMPUTE_PGM_RSRC2:USER_SGPR: 6
; COMPUTE_PGM_RSRC2:TRAP_HANDLER: 0
; COMPUTE_PGM_RSRC2:TGID_X_EN: 1
; COMPUTE_PGM_RSRC2:TGID_Y_EN: 0
; COMPUTE_PGM_RSRC2:TGID_Z_EN: 0
; COMPUTE_PGM_RSRC2:TIDIG_COMP_CNT: 0
	.section	.text._ZN7rocprim17ROCPRIM_400000_NS6detail17trampoline_kernelINS0_14default_configENS1_35radix_sort_onesweep_config_selectorIslEEZNS1_34radix_sort_onesweep_global_offsetsIS3_Lb0EPsN6thrust23THRUST_200600_302600_NS10device_ptrIlEEjNS0_19identity_decomposerEEE10hipError_tT1_T2_PT3_SG_jT4_jjP12ihipStream_tbEUlT_E0_NS1_11comp_targetILNS1_3genE3ELNS1_11target_archE908ELNS1_3gpuE7ELNS1_3repE0EEENS1_52radix_sort_onesweep_histogram_config_static_selectorELNS0_4arch9wavefront6targetE1EEEvSE_,"axG",@progbits,_ZN7rocprim17ROCPRIM_400000_NS6detail17trampoline_kernelINS0_14default_configENS1_35radix_sort_onesweep_config_selectorIslEEZNS1_34radix_sort_onesweep_global_offsetsIS3_Lb0EPsN6thrust23THRUST_200600_302600_NS10device_ptrIlEEjNS0_19identity_decomposerEEE10hipError_tT1_T2_PT3_SG_jT4_jjP12ihipStream_tbEUlT_E0_NS1_11comp_targetILNS1_3genE3ELNS1_11target_archE908ELNS1_3gpuE7ELNS1_3repE0EEENS1_52radix_sort_onesweep_histogram_config_static_selectorELNS0_4arch9wavefront6targetE1EEEvSE_,comdat
	.protected	_ZN7rocprim17ROCPRIM_400000_NS6detail17trampoline_kernelINS0_14default_configENS1_35radix_sort_onesweep_config_selectorIslEEZNS1_34radix_sort_onesweep_global_offsetsIS3_Lb0EPsN6thrust23THRUST_200600_302600_NS10device_ptrIlEEjNS0_19identity_decomposerEEE10hipError_tT1_T2_PT3_SG_jT4_jjP12ihipStream_tbEUlT_E0_NS1_11comp_targetILNS1_3genE3ELNS1_11target_archE908ELNS1_3gpuE7ELNS1_3repE0EEENS1_52radix_sort_onesweep_histogram_config_static_selectorELNS0_4arch9wavefront6targetE1EEEvSE_ ; -- Begin function _ZN7rocprim17ROCPRIM_400000_NS6detail17trampoline_kernelINS0_14default_configENS1_35radix_sort_onesweep_config_selectorIslEEZNS1_34radix_sort_onesweep_global_offsetsIS3_Lb0EPsN6thrust23THRUST_200600_302600_NS10device_ptrIlEEjNS0_19identity_decomposerEEE10hipError_tT1_T2_PT3_SG_jT4_jjP12ihipStream_tbEUlT_E0_NS1_11comp_targetILNS1_3genE3ELNS1_11target_archE908ELNS1_3gpuE7ELNS1_3repE0EEENS1_52radix_sort_onesweep_histogram_config_static_selectorELNS0_4arch9wavefront6targetE1EEEvSE_
	.globl	_ZN7rocprim17ROCPRIM_400000_NS6detail17trampoline_kernelINS0_14default_configENS1_35radix_sort_onesweep_config_selectorIslEEZNS1_34radix_sort_onesweep_global_offsetsIS3_Lb0EPsN6thrust23THRUST_200600_302600_NS10device_ptrIlEEjNS0_19identity_decomposerEEE10hipError_tT1_T2_PT3_SG_jT4_jjP12ihipStream_tbEUlT_E0_NS1_11comp_targetILNS1_3genE3ELNS1_11target_archE908ELNS1_3gpuE7ELNS1_3repE0EEENS1_52radix_sort_onesweep_histogram_config_static_selectorELNS0_4arch9wavefront6targetE1EEEvSE_
	.p2align	8
	.type	_ZN7rocprim17ROCPRIM_400000_NS6detail17trampoline_kernelINS0_14default_configENS1_35radix_sort_onesweep_config_selectorIslEEZNS1_34radix_sort_onesweep_global_offsetsIS3_Lb0EPsN6thrust23THRUST_200600_302600_NS10device_ptrIlEEjNS0_19identity_decomposerEEE10hipError_tT1_T2_PT3_SG_jT4_jjP12ihipStream_tbEUlT_E0_NS1_11comp_targetILNS1_3genE3ELNS1_11target_archE908ELNS1_3gpuE7ELNS1_3repE0EEENS1_52radix_sort_onesweep_histogram_config_static_selectorELNS0_4arch9wavefront6targetE1EEEvSE_,@function
_ZN7rocprim17ROCPRIM_400000_NS6detail17trampoline_kernelINS0_14default_configENS1_35radix_sort_onesweep_config_selectorIslEEZNS1_34radix_sort_onesweep_global_offsetsIS3_Lb0EPsN6thrust23THRUST_200600_302600_NS10device_ptrIlEEjNS0_19identity_decomposerEEE10hipError_tT1_T2_PT3_SG_jT4_jjP12ihipStream_tbEUlT_E0_NS1_11comp_targetILNS1_3genE3ELNS1_11target_archE908ELNS1_3gpuE7ELNS1_3repE0EEENS1_52radix_sort_onesweep_histogram_config_static_selectorELNS0_4arch9wavefront6targetE1EEEvSE_: ; @_ZN7rocprim17ROCPRIM_400000_NS6detail17trampoline_kernelINS0_14default_configENS1_35radix_sort_onesweep_config_selectorIslEEZNS1_34radix_sort_onesweep_global_offsetsIS3_Lb0EPsN6thrust23THRUST_200600_302600_NS10device_ptrIlEEjNS0_19identity_decomposerEEE10hipError_tT1_T2_PT3_SG_jT4_jjP12ihipStream_tbEUlT_E0_NS1_11comp_targetILNS1_3genE3ELNS1_11target_archE908ELNS1_3gpuE7ELNS1_3repE0EEENS1_52radix_sort_onesweep_histogram_config_static_selectorELNS0_4arch9wavefront6targetE1EEEvSE_
; %bb.0:
	.section	.rodata,"a",@progbits
	.p2align	6, 0x0
	.amdhsa_kernel _ZN7rocprim17ROCPRIM_400000_NS6detail17trampoline_kernelINS0_14default_configENS1_35radix_sort_onesweep_config_selectorIslEEZNS1_34radix_sort_onesweep_global_offsetsIS3_Lb0EPsN6thrust23THRUST_200600_302600_NS10device_ptrIlEEjNS0_19identity_decomposerEEE10hipError_tT1_T2_PT3_SG_jT4_jjP12ihipStream_tbEUlT_E0_NS1_11comp_targetILNS1_3genE3ELNS1_11target_archE908ELNS1_3gpuE7ELNS1_3repE0EEENS1_52radix_sort_onesweep_histogram_config_static_selectorELNS0_4arch9wavefront6targetE1EEEvSE_
		.amdhsa_group_segment_fixed_size 0
		.amdhsa_private_segment_fixed_size 0
		.amdhsa_kernarg_size 8
		.amdhsa_user_sgpr_count 6
		.amdhsa_user_sgpr_private_segment_buffer 1
		.amdhsa_user_sgpr_dispatch_ptr 0
		.amdhsa_user_sgpr_queue_ptr 0
		.amdhsa_user_sgpr_kernarg_segment_ptr 1
		.amdhsa_user_sgpr_dispatch_id 0
		.amdhsa_user_sgpr_flat_scratch_init 0
		.amdhsa_user_sgpr_private_segment_size 0
		.amdhsa_uses_dynamic_stack 0
		.amdhsa_system_sgpr_private_segment_wavefront_offset 0
		.amdhsa_system_sgpr_workgroup_id_x 1
		.amdhsa_system_sgpr_workgroup_id_y 0
		.amdhsa_system_sgpr_workgroup_id_z 0
		.amdhsa_system_sgpr_workgroup_info 0
		.amdhsa_system_vgpr_workitem_id 0
		.amdhsa_next_free_vgpr 1
		.amdhsa_next_free_sgpr 0
		.amdhsa_reserve_vcc 0
		.amdhsa_reserve_flat_scratch 0
		.amdhsa_float_round_mode_32 0
		.amdhsa_float_round_mode_16_64 0
		.amdhsa_float_denorm_mode_32 3
		.amdhsa_float_denorm_mode_16_64 3
		.amdhsa_dx10_clamp 1
		.amdhsa_ieee_mode 1
		.amdhsa_fp16_overflow 0
		.amdhsa_exception_fp_ieee_invalid_op 0
		.amdhsa_exception_fp_denorm_src 0
		.amdhsa_exception_fp_ieee_div_zero 0
		.amdhsa_exception_fp_ieee_overflow 0
		.amdhsa_exception_fp_ieee_underflow 0
		.amdhsa_exception_fp_ieee_inexact 0
		.amdhsa_exception_int_div_zero 0
	.end_amdhsa_kernel
	.section	.text._ZN7rocprim17ROCPRIM_400000_NS6detail17trampoline_kernelINS0_14default_configENS1_35radix_sort_onesweep_config_selectorIslEEZNS1_34radix_sort_onesweep_global_offsetsIS3_Lb0EPsN6thrust23THRUST_200600_302600_NS10device_ptrIlEEjNS0_19identity_decomposerEEE10hipError_tT1_T2_PT3_SG_jT4_jjP12ihipStream_tbEUlT_E0_NS1_11comp_targetILNS1_3genE3ELNS1_11target_archE908ELNS1_3gpuE7ELNS1_3repE0EEENS1_52radix_sort_onesweep_histogram_config_static_selectorELNS0_4arch9wavefront6targetE1EEEvSE_,"axG",@progbits,_ZN7rocprim17ROCPRIM_400000_NS6detail17trampoline_kernelINS0_14default_configENS1_35radix_sort_onesweep_config_selectorIslEEZNS1_34radix_sort_onesweep_global_offsetsIS3_Lb0EPsN6thrust23THRUST_200600_302600_NS10device_ptrIlEEjNS0_19identity_decomposerEEE10hipError_tT1_T2_PT3_SG_jT4_jjP12ihipStream_tbEUlT_E0_NS1_11comp_targetILNS1_3genE3ELNS1_11target_archE908ELNS1_3gpuE7ELNS1_3repE0EEENS1_52radix_sort_onesweep_histogram_config_static_selectorELNS0_4arch9wavefront6targetE1EEEvSE_,comdat
.Lfunc_end1394:
	.size	_ZN7rocprim17ROCPRIM_400000_NS6detail17trampoline_kernelINS0_14default_configENS1_35radix_sort_onesweep_config_selectorIslEEZNS1_34radix_sort_onesweep_global_offsetsIS3_Lb0EPsN6thrust23THRUST_200600_302600_NS10device_ptrIlEEjNS0_19identity_decomposerEEE10hipError_tT1_T2_PT3_SG_jT4_jjP12ihipStream_tbEUlT_E0_NS1_11comp_targetILNS1_3genE3ELNS1_11target_archE908ELNS1_3gpuE7ELNS1_3repE0EEENS1_52radix_sort_onesweep_histogram_config_static_selectorELNS0_4arch9wavefront6targetE1EEEvSE_, .Lfunc_end1394-_ZN7rocprim17ROCPRIM_400000_NS6detail17trampoline_kernelINS0_14default_configENS1_35radix_sort_onesweep_config_selectorIslEEZNS1_34radix_sort_onesweep_global_offsetsIS3_Lb0EPsN6thrust23THRUST_200600_302600_NS10device_ptrIlEEjNS0_19identity_decomposerEEE10hipError_tT1_T2_PT3_SG_jT4_jjP12ihipStream_tbEUlT_E0_NS1_11comp_targetILNS1_3genE3ELNS1_11target_archE908ELNS1_3gpuE7ELNS1_3repE0EEENS1_52radix_sort_onesweep_histogram_config_static_selectorELNS0_4arch9wavefront6targetE1EEEvSE_
                                        ; -- End function
	.set _ZN7rocprim17ROCPRIM_400000_NS6detail17trampoline_kernelINS0_14default_configENS1_35radix_sort_onesweep_config_selectorIslEEZNS1_34radix_sort_onesweep_global_offsetsIS3_Lb0EPsN6thrust23THRUST_200600_302600_NS10device_ptrIlEEjNS0_19identity_decomposerEEE10hipError_tT1_T2_PT3_SG_jT4_jjP12ihipStream_tbEUlT_E0_NS1_11comp_targetILNS1_3genE3ELNS1_11target_archE908ELNS1_3gpuE7ELNS1_3repE0EEENS1_52radix_sort_onesweep_histogram_config_static_selectorELNS0_4arch9wavefront6targetE1EEEvSE_.num_vgpr, 0
	.set _ZN7rocprim17ROCPRIM_400000_NS6detail17trampoline_kernelINS0_14default_configENS1_35radix_sort_onesweep_config_selectorIslEEZNS1_34radix_sort_onesweep_global_offsetsIS3_Lb0EPsN6thrust23THRUST_200600_302600_NS10device_ptrIlEEjNS0_19identity_decomposerEEE10hipError_tT1_T2_PT3_SG_jT4_jjP12ihipStream_tbEUlT_E0_NS1_11comp_targetILNS1_3genE3ELNS1_11target_archE908ELNS1_3gpuE7ELNS1_3repE0EEENS1_52radix_sort_onesweep_histogram_config_static_selectorELNS0_4arch9wavefront6targetE1EEEvSE_.num_agpr, 0
	.set _ZN7rocprim17ROCPRIM_400000_NS6detail17trampoline_kernelINS0_14default_configENS1_35radix_sort_onesweep_config_selectorIslEEZNS1_34radix_sort_onesweep_global_offsetsIS3_Lb0EPsN6thrust23THRUST_200600_302600_NS10device_ptrIlEEjNS0_19identity_decomposerEEE10hipError_tT1_T2_PT3_SG_jT4_jjP12ihipStream_tbEUlT_E0_NS1_11comp_targetILNS1_3genE3ELNS1_11target_archE908ELNS1_3gpuE7ELNS1_3repE0EEENS1_52radix_sort_onesweep_histogram_config_static_selectorELNS0_4arch9wavefront6targetE1EEEvSE_.numbered_sgpr, 0
	.set _ZN7rocprim17ROCPRIM_400000_NS6detail17trampoline_kernelINS0_14default_configENS1_35radix_sort_onesweep_config_selectorIslEEZNS1_34radix_sort_onesweep_global_offsetsIS3_Lb0EPsN6thrust23THRUST_200600_302600_NS10device_ptrIlEEjNS0_19identity_decomposerEEE10hipError_tT1_T2_PT3_SG_jT4_jjP12ihipStream_tbEUlT_E0_NS1_11comp_targetILNS1_3genE3ELNS1_11target_archE908ELNS1_3gpuE7ELNS1_3repE0EEENS1_52radix_sort_onesweep_histogram_config_static_selectorELNS0_4arch9wavefront6targetE1EEEvSE_.num_named_barrier, 0
	.set _ZN7rocprim17ROCPRIM_400000_NS6detail17trampoline_kernelINS0_14default_configENS1_35radix_sort_onesweep_config_selectorIslEEZNS1_34radix_sort_onesweep_global_offsetsIS3_Lb0EPsN6thrust23THRUST_200600_302600_NS10device_ptrIlEEjNS0_19identity_decomposerEEE10hipError_tT1_T2_PT3_SG_jT4_jjP12ihipStream_tbEUlT_E0_NS1_11comp_targetILNS1_3genE3ELNS1_11target_archE908ELNS1_3gpuE7ELNS1_3repE0EEENS1_52radix_sort_onesweep_histogram_config_static_selectorELNS0_4arch9wavefront6targetE1EEEvSE_.private_seg_size, 0
	.set _ZN7rocprim17ROCPRIM_400000_NS6detail17trampoline_kernelINS0_14default_configENS1_35radix_sort_onesweep_config_selectorIslEEZNS1_34radix_sort_onesweep_global_offsetsIS3_Lb0EPsN6thrust23THRUST_200600_302600_NS10device_ptrIlEEjNS0_19identity_decomposerEEE10hipError_tT1_T2_PT3_SG_jT4_jjP12ihipStream_tbEUlT_E0_NS1_11comp_targetILNS1_3genE3ELNS1_11target_archE908ELNS1_3gpuE7ELNS1_3repE0EEENS1_52radix_sort_onesweep_histogram_config_static_selectorELNS0_4arch9wavefront6targetE1EEEvSE_.uses_vcc, 0
	.set _ZN7rocprim17ROCPRIM_400000_NS6detail17trampoline_kernelINS0_14default_configENS1_35radix_sort_onesweep_config_selectorIslEEZNS1_34radix_sort_onesweep_global_offsetsIS3_Lb0EPsN6thrust23THRUST_200600_302600_NS10device_ptrIlEEjNS0_19identity_decomposerEEE10hipError_tT1_T2_PT3_SG_jT4_jjP12ihipStream_tbEUlT_E0_NS1_11comp_targetILNS1_3genE3ELNS1_11target_archE908ELNS1_3gpuE7ELNS1_3repE0EEENS1_52radix_sort_onesweep_histogram_config_static_selectorELNS0_4arch9wavefront6targetE1EEEvSE_.uses_flat_scratch, 0
	.set _ZN7rocprim17ROCPRIM_400000_NS6detail17trampoline_kernelINS0_14default_configENS1_35radix_sort_onesweep_config_selectorIslEEZNS1_34radix_sort_onesweep_global_offsetsIS3_Lb0EPsN6thrust23THRUST_200600_302600_NS10device_ptrIlEEjNS0_19identity_decomposerEEE10hipError_tT1_T2_PT3_SG_jT4_jjP12ihipStream_tbEUlT_E0_NS1_11comp_targetILNS1_3genE3ELNS1_11target_archE908ELNS1_3gpuE7ELNS1_3repE0EEENS1_52radix_sort_onesweep_histogram_config_static_selectorELNS0_4arch9wavefront6targetE1EEEvSE_.has_dyn_sized_stack, 0
	.set _ZN7rocprim17ROCPRIM_400000_NS6detail17trampoline_kernelINS0_14default_configENS1_35radix_sort_onesweep_config_selectorIslEEZNS1_34radix_sort_onesweep_global_offsetsIS3_Lb0EPsN6thrust23THRUST_200600_302600_NS10device_ptrIlEEjNS0_19identity_decomposerEEE10hipError_tT1_T2_PT3_SG_jT4_jjP12ihipStream_tbEUlT_E0_NS1_11comp_targetILNS1_3genE3ELNS1_11target_archE908ELNS1_3gpuE7ELNS1_3repE0EEENS1_52radix_sort_onesweep_histogram_config_static_selectorELNS0_4arch9wavefront6targetE1EEEvSE_.has_recursion, 0
	.set _ZN7rocprim17ROCPRIM_400000_NS6detail17trampoline_kernelINS0_14default_configENS1_35radix_sort_onesweep_config_selectorIslEEZNS1_34radix_sort_onesweep_global_offsetsIS3_Lb0EPsN6thrust23THRUST_200600_302600_NS10device_ptrIlEEjNS0_19identity_decomposerEEE10hipError_tT1_T2_PT3_SG_jT4_jjP12ihipStream_tbEUlT_E0_NS1_11comp_targetILNS1_3genE3ELNS1_11target_archE908ELNS1_3gpuE7ELNS1_3repE0EEENS1_52radix_sort_onesweep_histogram_config_static_selectorELNS0_4arch9wavefront6targetE1EEEvSE_.has_indirect_call, 0
	.section	.AMDGPU.csdata,"",@progbits
; Kernel info:
; codeLenInByte = 0
; TotalNumSgprs: 4
; NumVgprs: 0
; ScratchSize: 0
; MemoryBound: 0
; FloatMode: 240
; IeeeMode: 1
; LDSByteSize: 0 bytes/workgroup (compile time only)
; SGPRBlocks: 0
; VGPRBlocks: 0
; NumSGPRsForWavesPerEU: 4
; NumVGPRsForWavesPerEU: 1
; Occupancy: 10
; WaveLimiterHint : 0
; COMPUTE_PGM_RSRC2:SCRATCH_EN: 0
; COMPUTE_PGM_RSRC2:USER_SGPR: 6
; COMPUTE_PGM_RSRC2:TRAP_HANDLER: 0
; COMPUTE_PGM_RSRC2:TGID_X_EN: 1
; COMPUTE_PGM_RSRC2:TGID_Y_EN: 0
; COMPUTE_PGM_RSRC2:TGID_Z_EN: 0
; COMPUTE_PGM_RSRC2:TIDIG_COMP_CNT: 0
	.section	.text._ZN7rocprim17ROCPRIM_400000_NS6detail17trampoline_kernelINS0_14default_configENS1_35radix_sort_onesweep_config_selectorIslEEZNS1_34radix_sort_onesweep_global_offsetsIS3_Lb0EPsN6thrust23THRUST_200600_302600_NS10device_ptrIlEEjNS0_19identity_decomposerEEE10hipError_tT1_T2_PT3_SG_jT4_jjP12ihipStream_tbEUlT_E0_NS1_11comp_targetILNS1_3genE10ELNS1_11target_archE1201ELNS1_3gpuE5ELNS1_3repE0EEENS1_52radix_sort_onesweep_histogram_config_static_selectorELNS0_4arch9wavefront6targetE1EEEvSE_,"axG",@progbits,_ZN7rocprim17ROCPRIM_400000_NS6detail17trampoline_kernelINS0_14default_configENS1_35radix_sort_onesweep_config_selectorIslEEZNS1_34radix_sort_onesweep_global_offsetsIS3_Lb0EPsN6thrust23THRUST_200600_302600_NS10device_ptrIlEEjNS0_19identity_decomposerEEE10hipError_tT1_T2_PT3_SG_jT4_jjP12ihipStream_tbEUlT_E0_NS1_11comp_targetILNS1_3genE10ELNS1_11target_archE1201ELNS1_3gpuE5ELNS1_3repE0EEENS1_52radix_sort_onesweep_histogram_config_static_selectorELNS0_4arch9wavefront6targetE1EEEvSE_,comdat
	.protected	_ZN7rocprim17ROCPRIM_400000_NS6detail17trampoline_kernelINS0_14default_configENS1_35radix_sort_onesweep_config_selectorIslEEZNS1_34radix_sort_onesweep_global_offsetsIS3_Lb0EPsN6thrust23THRUST_200600_302600_NS10device_ptrIlEEjNS0_19identity_decomposerEEE10hipError_tT1_T2_PT3_SG_jT4_jjP12ihipStream_tbEUlT_E0_NS1_11comp_targetILNS1_3genE10ELNS1_11target_archE1201ELNS1_3gpuE5ELNS1_3repE0EEENS1_52radix_sort_onesweep_histogram_config_static_selectorELNS0_4arch9wavefront6targetE1EEEvSE_ ; -- Begin function _ZN7rocprim17ROCPRIM_400000_NS6detail17trampoline_kernelINS0_14default_configENS1_35radix_sort_onesweep_config_selectorIslEEZNS1_34radix_sort_onesweep_global_offsetsIS3_Lb0EPsN6thrust23THRUST_200600_302600_NS10device_ptrIlEEjNS0_19identity_decomposerEEE10hipError_tT1_T2_PT3_SG_jT4_jjP12ihipStream_tbEUlT_E0_NS1_11comp_targetILNS1_3genE10ELNS1_11target_archE1201ELNS1_3gpuE5ELNS1_3repE0EEENS1_52radix_sort_onesweep_histogram_config_static_selectorELNS0_4arch9wavefront6targetE1EEEvSE_
	.globl	_ZN7rocprim17ROCPRIM_400000_NS6detail17trampoline_kernelINS0_14default_configENS1_35radix_sort_onesweep_config_selectorIslEEZNS1_34radix_sort_onesweep_global_offsetsIS3_Lb0EPsN6thrust23THRUST_200600_302600_NS10device_ptrIlEEjNS0_19identity_decomposerEEE10hipError_tT1_T2_PT3_SG_jT4_jjP12ihipStream_tbEUlT_E0_NS1_11comp_targetILNS1_3genE10ELNS1_11target_archE1201ELNS1_3gpuE5ELNS1_3repE0EEENS1_52radix_sort_onesweep_histogram_config_static_selectorELNS0_4arch9wavefront6targetE1EEEvSE_
	.p2align	8
	.type	_ZN7rocprim17ROCPRIM_400000_NS6detail17trampoline_kernelINS0_14default_configENS1_35radix_sort_onesweep_config_selectorIslEEZNS1_34radix_sort_onesweep_global_offsetsIS3_Lb0EPsN6thrust23THRUST_200600_302600_NS10device_ptrIlEEjNS0_19identity_decomposerEEE10hipError_tT1_T2_PT3_SG_jT4_jjP12ihipStream_tbEUlT_E0_NS1_11comp_targetILNS1_3genE10ELNS1_11target_archE1201ELNS1_3gpuE5ELNS1_3repE0EEENS1_52radix_sort_onesweep_histogram_config_static_selectorELNS0_4arch9wavefront6targetE1EEEvSE_,@function
_ZN7rocprim17ROCPRIM_400000_NS6detail17trampoline_kernelINS0_14default_configENS1_35radix_sort_onesweep_config_selectorIslEEZNS1_34radix_sort_onesweep_global_offsetsIS3_Lb0EPsN6thrust23THRUST_200600_302600_NS10device_ptrIlEEjNS0_19identity_decomposerEEE10hipError_tT1_T2_PT3_SG_jT4_jjP12ihipStream_tbEUlT_E0_NS1_11comp_targetILNS1_3genE10ELNS1_11target_archE1201ELNS1_3gpuE5ELNS1_3repE0EEENS1_52radix_sort_onesweep_histogram_config_static_selectorELNS0_4arch9wavefront6targetE1EEEvSE_: ; @_ZN7rocprim17ROCPRIM_400000_NS6detail17trampoline_kernelINS0_14default_configENS1_35radix_sort_onesweep_config_selectorIslEEZNS1_34radix_sort_onesweep_global_offsetsIS3_Lb0EPsN6thrust23THRUST_200600_302600_NS10device_ptrIlEEjNS0_19identity_decomposerEEE10hipError_tT1_T2_PT3_SG_jT4_jjP12ihipStream_tbEUlT_E0_NS1_11comp_targetILNS1_3genE10ELNS1_11target_archE1201ELNS1_3gpuE5ELNS1_3repE0EEENS1_52radix_sort_onesweep_histogram_config_static_selectorELNS0_4arch9wavefront6targetE1EEEvSE_
; %bb.0:
	.section	.rodata,"a",@progbits
	.p2align	6, 0x0
	.amdhsa_kernel _ZN7rocprim17ROCPRIM_400000_NS6detail17trampoline_kernelINS0_14default_configENS1_35radix_sort_onesweep_config_selectorIslEEZNS1_34radix_sort_onesweep_global_offsetsIS3_Lb0EPsN6thrust23THRUST_200600_302600_NS10device_ptrIlEEjNS0_19identity_decomposerEEE10hipError_tT1_T2_PT3_SG_jT4_jjP12ihipStream_tbEUlT_E0_NS1_11comp_targetILNS1_3genE10ELNS1_11target_archE1201ELNS1_3gpuE5ELNS1_3repE0EEENS1_52radix_sort_onesweep_histogram_config_static_selectorELNS0_4arch9wavefront6targetE1EEEvSE_
		.amdhsa_group_segment_fixed_size 0
		.amdhsa_private_segment_fixed_size 0
		.amdhsa_kernarg_size 8
		.amdhsa_user_sgpr_count 6
		.amdhsa_user_sgpr_private_segment_buffer 1
		.amdhsa_user_sgpr_dispatch_ptr 0
		.amdhsa_user_sgpr_queue_ptr 0
		.amdhsa_user_sgpr_kernarg_segment_ptr 1
		.amdhsa_user_sgpr_dispatch_id 0
		.amdhsa_user_sgpr_flat_scratch_init 0
		.amdhsa_user_sgpr_private_segment_size 0
		.amdhsa_uses_dynamic_stack 0
		.amdhsa_system_sgpr_private_segment_wavefront_offset 0
		.amdhsa_system_sgpr_workgroup_id_x 1
		.amdhsa_system_sgpr_workgroup_id_y 0
		.amdhsa_system_sgpr_workgroup_id_z 0
		.amdhsa_system_sgpr_workgroup_info 0
		.amdhsa_system_vgpr_workitem_id 0
		.amdhsa_next_free_vgpr 1
		.amdhsa_next_free_sgpr 0
		.amdhsa_reserve_vcc 0
		.amdhsa_reserve_flat_scratch 0
		.amdhsa_float_round_mode_32 0
		.amdhsa_float_round_mode_16_64 0
		.amdhsa_float_denorm_mode_32 3
		.amdhsa_float_denorm_mode_16_64 3
		.amdhsa_dx10_clamp 1
		.amdhsa_ieee_mode 1
		.amdhsa_fp16_overflow 0
		.amdhsa_exception_fp_ieee_invalid_op 0
		.amdhsa_exception_fp_denorm_src 0
		.amdhsa_exception_fp_ieee_div_zero 0
		.amdhsa_exception_fp_ieee_overflow 0
		.amdhsa_exception_fp_ieee_underflow 0
		.amdhsa_exception_fp_ieee_inexact 0
		.amdhsa_exception_int_div_zero 0
	.end_amdhsa_kernel
	.section	.text._ZN7rocprim17ROCPRIM_400000_NS6detail17trampoline_kernelINS0_14default_configENS1_35radix_sort_onesweep_config_selectorIslEEZNS1_34radix_sort_onesweep_global_offsetsIS3_Lb0EPsN6thrust23THRUST_200600_302600_NS10device_ptrIlEEjNS0_19identity_decomposerEEE10hipError_tT1_T2_PT3_SG_jT4_jjP12ihipStream_tbEUlT_E0_NS1_11comp_targetILNS1_3genE10ELNS1_11target_archE1201ELNS1_3gpuE5ELNS1_3repE0EEENS1_52radix_sort_onesweep_histogram_config_static_selectorELNS0_4arch9wavefront6targetE1EEEvSE_,"axG",@progbits,_ZN7rocprim17ROCPRIM_400000_NS6detail17trampoline_kernelINS0_14default_configENS1_35radix_sort_onesweep_config_selectorIslEEZNS1_34radix_sort_onesweep_global_offsetsIS3_Lb0EPsN6thrust23THRUST_200600_302600_NS10device_ptrIlEEjNS0_19identity_decomposerEEE10hipError_tT1_T2_PT3_SG_jT4_jjP12ihipStream_tbEUlT_E0_NS1_11comp_targetILNS1_3genE10ELNS1_11target_archE1201ELNS1_3gpuE5ELNS1_3repE0EEENS1_52radix_sort_onesweep_histogram_config_static_selectorELNS0_4arch9wavefront6targetE1EEEvSE_,comdat
.Lfunc_end1395:
	.size	_ZN7rocprim17ROCPRIM_400000_NS6detail17trampoline_kernelINS0_14default_configENS1_35radix_sort_onesweep_config_selectorIslEEZNS1_34radix_sort_onesweep_global_offsetsIS3_Lb0EPsN6thrust23THRUST_200600_302600_NS10device_ptrIlEEjNS0_19identity_decomposerEEE10hipError_tT1_T2_PT3_SG_jT4_jjP12ihipStream_tbEUlT_E0_NS1_11comp_targetILNS1_3genE10ELNS1_11target_archE1201ELNS1_3gpuE5ELNS1_3repE0EEENS1_52radix_sort_onesweep_histogram_config_static_selectorELNS0_4arch9wavefront6targetE1EEEvSE_, .Lfunc_end1395-_ZN7rocprim17ROCPRIM_400000_NS6detail17trampoline_kernelINS0_14default_configENS1_35radix_sort_onesweep_config_selectorIslEEZNS1_34radix_sort_onesweep_global_offsetsIS3_Lb0EPsN6thrust23THRUST_200600_302600_NS10device_ptrIlEEjNS0_19identity_decomposerEEE10hipError_tT1_T2_PT3_SG_jT4_jjP12ihipStream_tbEUlT_E0_NS1_11comp_targetILNS1_3genE10ELNS1_11target_archE1201ELNS1_3gpuE5ELNS1_3repE0EEENS1_52radix_sort_onesweep_histogram_config_static_selectorELNS0_4arch9wavefront6targetE1EEEvSE_
                                        ; -- End function
	.set _ZN7rocprim17ROCPRIM_400000_NS6detail17trampoline_kernelINS0_14default_configENS1_35radix_sort_onesweep_config_selectorIslEEZNS1_34radix_sort_onesweep_global_offsetsIS3_Lb0EPsN6thrust23THRUST_200600_302600_NS10device_ptrIlEEjNS0_19identity_decomposerEEE10hipError_tT1_T2_PT3_SG_jT4_jjP12ihipStream_tbEUlT_E0_NS1_11comp_targetILNS1_3genE10ELNS1_11target_archE1201ELNS1_3gpuE5ELNS1_3repE0EEENS1_52radix_sort_onesweep_histogram_config_static_selectorELNS0_4arch9wavefront6targetE1EEEvSE_.num_vgpr, 0
	.set _ZN7rocprim17ROCPRIM_400000_NS6detail17trampoline_kernelINS0_14default_configENS1_35radix_sort_onesweep_config_selectorIslEEZNS1_34radix_sort_onesweep_global_offsetsIS3_Lb0EPsN6thrust23THRUST_200600_302600_NS10device_ptrIlEEjNS0_19identity_decomposerEEE10hipError_tT1_T2_PT3_SG_jT4_jjP12ihipStream_tbEUlT_E0_NS1_11comp_targetILNS1_3genE10ELNS1_11target_archE1201ELNS1_3gpuE5ELNS1_3repE0EEENS1_52radix_sort_onesweep_histogram_config_static_selectorELNS0_4arch9wavefront6targetE1EEEvSE_.num_agpr, 0
	.set _ZN7rocprim17ROCPRIM_400000_NS6detail17trampoline_kernelINS0_14default_configENS1_35radix_sort_onesweep_config_selectorIslEEZNS1_34radix_sort_onesweep_global_offsetsIS3_Lb0EPsN6thrust23THRUST_200600_302600_NS10device_ptrIlEEjNS0_19identity_decomposerEEE10hipError_tT1_T2_PT3_SG_jT4_jjP12ihipStream_tbEUlT_E0_NS1_11comp_targetILNS1_3genE10ELNS1_11target_archE1201ELNS1_3gpuE5ELNS1_3repE0EEENS1_52radix_sort_onesweep_histogram_config_static_selectorELNS0_4arch9wavefront6targetE1EEEvSE_.numbered_sgpr, 0
	.set _ZN7rocprim17ROCPRIM_400000_NS6detail17trampoline_kernelINS0_14default_configENS1_35radix_sort_onesweep_config_selectorIslEEZNS1_34radix_sort_onesweep_global_offsetsIS3_Lb0EPsN6thrust23THRUST_200600_302600_NS10device_ptrIlEEjNS0_19identity_decomposerEEE10hipError_tT1_T2_PT3_SG_jT4_jjP12ihipStream_tbEUlT_E0_NS1_11comp_targetILNS1_3genE10ELNS1_11target_archE1201ELNS1_3gpuE5ELNS1_3repE0EEENS1_52radix_sort_onesweep_histogram_config_static_selectorELNS0_4arch9wavefront6targetE1EEEvSE_.num_named_barrier, 0
	.set _ZN7rocprim17ROCPRIM_400000_NS6detail17trampoline_kernelINS0_14default_configENS1_35radix_sort_onesweep_config_selectorIslEEZNS1_34radix_sort_onesweep_global_offsetsIS3_Lb0EPsN6thrust23THRUST_200600_302600_NS10device_ptrIlEEjNS0_19identity_decomposerEEE10hipError_tT1_T2_PT3_SG_jT4_jjP12ihipStream_tbEUlT_E0_NS1_11comp_targetILNS1_3genE10ELNS1_11target_archE1201ELNS1_3gpuE5ELNS1_3repE0EEENS1_52radix_sort_onesweep_histogram_config_static_selectorELNS0_4arch9wavefront6targetE1EEEvSE_.private_seg_size, 0
	.set _ZN7rocprim17ROCPRIM_400000_NS6detail17trampoline_kernelINS0_14default_configENS1_35radix_sort_onesweep_config_selectorIslEEZNS1_34radix_sort_onesweep_global_offsetsIS3_Lb0EPsN6thrust23THRUST_200600_302600_NS10device_ptrIlEEjNS0_19identity_decomposerEEE10hipError_tT1_T2_PT3_SG_jT4_jjP12ihipStream_tbEUlT_E0_NS1_11comp_targetILNS1_3genE10ELNS1_11target_archE1201ELNS1_3gpuE5ELNS1_3repE0EEENS1_52radix_sort_onesweep_histogram_config_static_selectorELNS0_4arch9wavefront6targetE1EEEvSE_.uses_vcc, 0
	.set _ZN7rocprim17ROCPRIM_400000_NS6detail17trampoline_kernelINS0_14default_configENS1_35radix_sort_onesweep_config_selectorIslEEZNS1_34radix_sort_onesweep_global_offsetsIS3_Lb0EPsN6thrust23THRUST_200600_302600_NS10device_ptrIlEEjNS0_19identity_decomposerEEE10hipError_tT1_T2_PT3_SG_jT4_jjP12ihipStream_tbEUlT_E0_NS1_11comp_targetILNS1_3genE10ELNS1_11target_archE1201ELNS1_3gpuE5ELNS1_3repE0EEENS1_52radix_sort_onesweep_histogram_config_static_selectorELNS0_4arch9wavefront6targetE1EEEvSE_.uses_flat_scratch, 0
	.set _ZN7rocprim17ROCPRIM_400000_NS6detail17trampoline_kernelINS0_14default_configENS1_35radix_sort_onesweep_config_selectorIslEEZNS1_34radix_sort_onesweep_global_offsetsIS3_Lb0EPsN6thrust23THRUST_200600_302600_NS10device_ptrIlEEjNS0_19identity_decomposerEEE10hipError_tT1_T2_PT3_SG_jT4_jjP12ihipStream_tbEUlT_E0_NS1_11comp_targetILNS1_3genE10ELNS1_11target_archE1201ELNS1_3gpuE5ELNS1_3repE0EEENS1_52radix_sort_onesweep_histogram_config_static_selectorELNS0_4arch9wavefront6targetE1EEEvSE_.has_dyn_sized_stack, 0
	.set _ZN7rocprim17ROCPRIM_400000_NS6detail17trampoline_kernelINS0_14default_configENS1_35radix_sort_onesweep_config_selectorIslEEZNS1_34radix_sort_onesweep_global_offsetsIS3_Lb0EPsN6thrust23THRUST_200600_302600_NS10device_ptrIlEEjNS0_19identity_decomposerEEE10hipError_tT1_T2_PT3_SG_jT4_jjP12ihipStream_tbEUlT_E0_NS1_11comp_targetILNS1_3genE10ELNS1_11target_archE1201ELNS1_3gpuE5ELNS1_3repE0EEENS1_52radix_sort_onesweep_histogram_config_static_selectorELNS0_4arch9wavefront6targetE1EEEvSE_.has_recursion, 0
	.set _ZN7rocprim17ROCPRIM_400000_NS6detail17trampoline_kernelINS0_14default_configENS1_35radix_sort_onesweep_config_selectorIslEEZNS1_34radix_sort_onesweep_global_offsetsIS3_Lb0EPsN6thrust23THRUST_200600_302600_NS10device_ptrIlEEjNS0_19identity_decomposerEEE10hipError_tT1_T2_PT3_SG_jT4_jjP12ihipStream_tbEUlT_E0_NS1_11comp_targetILNS1_3genE10ELNS1_11target_archE1201ELNS1_3gpuE5ELNS1_3repE0EEENS1_52radix_sort_onesweep_histogram_config_static_selectorELNS0_4arch9wavefront6targetE1EEEvSE_.has_indirect_call, 0
	.section	.AMDGPU.csdata,"",@progbits
; Kernel info:
; codeLenInByte = 0
; TotalNumSgprs: 4
; NumVgprs: 0
; ScratchSize: 0
; MemoryBound: 0
; FloatMode: 240
; IeeeMode: 1
; LDSByteSize: 0 bytes/workgroup (compile time only)
; SGPRBlocks: 0
; VGPRBlocks: 0
; NumSGPRsForWavesPerEU: 4
; NumVGPRsForWavesPerEU: 1
; Occupancy: 10
; WaveLimiterHint : 0
; COMPUTE_PGM_RSRC2:SCRATCH_EN: 0
; COMPUTE_PGM_RSRC2:USER_SGPR: 6
; COMPUTE_PGM_RSRC2:TRAP_HANDLER: 0
; COMPUTE_PGM_RSRC2:TGID_X_EN: 1
; COMPUTE_PGM_RSRC2:TGID_Y_EN: 0
; COMPUTE_PGM_RSRC2:TGID_Z_EN: 0
; COMPUTE_PGM_RSRC2:TIDIG_COMP_CNT: 0
	.section	.text._ZN7rocprim17ROCPRIM_400000_NS6detail17trampoline_kernelINS0_14default_configENS1_35radix_sort_onesweep_config_selectorIslEEZNS1_34radix_sort_onesweep_global_offsetsIS3_Lb0EPsN6thrust23THRUST_200600_302600_NS10device_ptrIlEEjNS0_19identity_decomposerEEE10hipError_tT1_T2_PT3_SG_jT4_jjP12ihipStream_tbEUlT_E0_NS1_11comp_targetILNS1_3genE9ELNS1_11target_archE1100ELNS1_3gpuE3ELNS1_3repE0EEENS1_52radix_sort_onesweep_histogram_config_static_selectorELNS0_4arch9wavefront6targetE1EEEvSE_,"axG",@progbits,_ZN7rocprim17ROCPRIM_400000_NS6detail17trampoline_kernelINS0_14default_configENS1_35radix_sort_onesweep_config_selectorIslEEZNS1_34radix_sort_onesweep_global_offsetsIS3_Lb0EPsN6thrust23THRUST_200600_302600_NS10device_ptrIlEEjNS0_19identity_decomposerEEE10hipError_tT1_T2_PT3_SG_jT4_jjP12ihipStream_tbEUlT_E0_NS1_11comp_targetILNS1_3genE9ELNS1_11target_archE1100ELNS1_3gpuE3ELNS1_3repE0EEENS1_52radix_sort_onesweep_histogram_config_static_selectorELNS0_4arch9wavefront6targetE1EEEvSE_,comdat
	.protected	_ZN7rocprim17ROCPRIM_400000_NS6detail17trampoline_kernelINS0_14default_configENS1_35radix_sort_onesweep_config_selectorIslEEZNS1_34radix_sort_onesweep_global_offsetsIS3_Lb0EPsN6thrust23THRUST_200600_302600_NS10device_ptrIlEEjNS0_19identity_decomposerEEE10hipError_tT1_T2_PT3_SG_jT4_jjP12ihipStream_tbEUlT_E0_NS1_11comp_targetILNS1_3genE9ELNS1_11target_archE1100ELNS1_3gpuE3ELNS1_3repE0EEENS1_52radix_sort_onesweep_histogram_config_static_selectorELNS0_4arch9wavefront6targetE1EEEvSE_ ; -- Begin function _ZN7rocprim17ROCPRIM_400000_NS6detail17trampoline_kernelINS0_14default_configENS1_35radix_sort_onesweep_config_selectorIslEEZNS1_34radix_sort_onesweep_global_offsetsIS3_Lb0EPsN6thrust23THRUST_200600_302600_NS10device_ptrIlEEjNS0_19identity_decomposerEEE10hipError_tT1_T2_PT3_SG_jT4_jjP12ihipStream_tbEUlT_E0_NS1_11comp_targetILNS1_3genE9ELNS1_11target_archE1100ELNS1_3gpuE3ELNS1_3repE0EEENS1_52radix_sort_onesweep_histogram_config_static_selectorELNS0_4arch9wavefront6targetE1EEEvSE_
	.globl	_ZN7rocprim17ROCPRIM_400000_NS6detail17trampoline_kernelINS0_14default_configENS1_35radix_sort_onesweep_config_selectorIslEEZNS1_34radix_sort_onesweep_global_offsetsIS3_Lb0EPsN6thrust23THRUST_200600_302600_NS10device_ptrIlEEjNS0_19identity_decomposerEEE10hipError_tT1_T2_PT3_SG_jT4_jjP12ihipStream_tbEUlT_E0_NS1_11comp_targetILNS1_3genE9ELNS1_11target_archE1100ELNS1_3gpuE3ELNS1_3repE0EEENS1_52radix_sort_onesweep_histogram_config_static_selectorELNS0_4arch9wavefront6targetE1EEEvSE_
	.p2align	8
	.type	_ZN7rocprim17ROCPRIM_400000_NS6detail17trampoline_kernelINS0_14default_configENS1_35radix_sort_onesweep_config_selectorIslEEZNS1_34radix_sort_onesweep_global_offsetsIS3_Lb0EPsN6thrust23THRUST_200600_302600_NS10device_ptrIlEEjNS0_19identity_decomposerEEE10hipError_tT1_T2_PT3_SG_jT4_jjP12ihipStream_tbEUlT_E0_NS1_11comp_targetILNS1_3genE9ELNS1_11target_archE1100ELNS1_3gpuE3ELNS1_3repE0EEENS1_52radix_sort_onesweep_histogram_config_static_selectorELNS0_4arch9wavefront6targetE1EEEvSE_,@function
_ZN7rocprim17ROCPRIM_400000_NS6detail17trampoline_kernelINS0_14default_configENS1_35radix_sort_onesweep_config_selectorIslEEZNS1_34radix_sort_onesweep_global_offsetsIS3_Lb0EPsN6thrust23THRUST_200600_302600_NS10device_ptrIlEEjNS0_19identity_decomposerEEE10hipError_tT1_T2_PT3_SG_jT4_jjP12ihipStream_tbEUlT_E0_NS1_11comp_targetILNS1_3genE9ELNS1_11target_archE1100ELNS1_3gpuE3ELNS1_3repE0EEENS1_52radix_sort_onesweep_histogram_config_static_selectorELNS0_4arch9wavefront6targetE1EEEvSE_: ; @_ZN7rocprim17ROCPRIM_400000_NS6detail17trampoline_kernelINS0_14default_configENS1_35radix_sort_onesweep_config_selectorIslEEZNS1_34radix_sort_onesweep_global_offsetsIS3_Lb0EPsN6thrust23THRUST_200600_302600_NS10device_ptrIlEEjNS0_19identity_decomposerEEE10hipError_tT1_T2_PT3_SG_jT4_jjP12ihipStream_tbEUlT_E0_NS1_11comp_targetILNS1_3genE9ELNS1_11target_archE1100ELNS1_3gpuE3ELNS1_3repE0EEENS1_52radix_sort_onesweep_histogram_config_static_selectorELNS0_4arch9wavefront6targetE1EEEvSE_
; %bb.0:
	.section	.rodata,"a",@progbits
	.p2align	6, 0x0
	.amdhsa_kernel _ZN7rocprim17ROCPRIM_400000_NS6detail17trampoline_kernelINS0_14default_configENS1_35radix_sort_onesweep_config_selectorIslEEZNS1_34radix_sort_onesweep_global_offsetsIS3_Lb0EPsN6thrust23THRUST_200600_302600_NS10device_ptrIlEEjNS0_19identity_decomposerEEE10hipError_tT1_T2_PT3_SG_jT4_jjP12ihipStream_tbEUlT_E0_NS1_11comp_targetILNS1_3genE9ELNS1_11target_archE1100ELNS1_3gpuE3ELNS1_3repE0EEENS1_52radix_sort_onesweep_histogram_config_static_selectorELNS0_4arch9wavefront6targetE1EEEvSE_
		.amdhsa_group_segment_fixed_size 0
		.amdhsa_private_segment_fixed_size 0
		.amdhsa_kernarg_size 8
		.amdhsa_user_sgpr_count 6
		.amdhsa_user_sgpr_private_segment_buffer 1
		.amdhsa_user_sgpr_dispatch_ptr 0
		.amdhsa_user_sgpr_queue_ptr 0
		.amdhsa_user_sgpr_kernarg_segment_ptr 1
		.amdhsa_user_sgpr_dispatch_id 0
		.amdhsa_user_sgpr_flat_scratch_init 0
		.amdhsa_user_sgpr_private_segment_size 0
		.amdhsa_uses_dynamic_stack 0
		.amdhsa_system_sgpr_private_segment_wavefront_offset 0
		.amdhsa_system_sgpr_workgroup_id_x 1
		.amdhsa_system_sgpr_workgroup_id_y 0
		.amdhsa_system_sgpr_workgroup_id_z 0
		.amdhsa_system_sgpr_workgroup_info 0
		.amdhsa_system_vgpr_workitem_id 0
		.amdhsa_next_free_vgpr 1
		.amdhsa_next_free_sgpr 0
		.amdhsa_reserve_vcc 0
		.amdhsa_reserve_flat_scratch 0
		.amdhsa_float_round_mode_32 0
		.amdhsa_float_round_mode_16_64 0
		.amdhsa_float_denorm_mode_32 3
		.amdhsa_float_denorm_mode_16_64 3
		.amdhsa_dx10_clamp 1
		.amdhsa_ieee_mode 1
		.amdhsa_fp16_overflow 0
		.amdhsa_exception_fp_ieee_invalid_op 0
		.amdhsa_exception_fp_denorm_src 0
		.amdhsa_exception_fp_ieee_div_zero 0
		.amdhsa_exception_fp_ieee_overflow 0
		.amdhsa_exception_fp_ieee_underflow 0
		.amdhsa_exception_fp_ieee_inexact 0
		.amdhsa_exception_int_div_zero 0
	.end_amdhsa_kernel
	.section	.text._ZN7rocprim17ROCPRIM_400000_NS6detail17trampoline_kernelINS0_14default_configENS1_35radix_sort_onesweep_config_selectorIslEEZNS1_34radix_sort_onesweep_global_offsetsIS3_Lb0EPsN6thrust23THRUST_200600_302600_NS10device_ptrIlEEjNS0_19identity_decomposerEEE10hipError_tT1_T2_PT3_SG_jT4_jjP12ihipStream_tbEUlT_E0_NS1_11comp_targetILNS1_3genE9ELNS1_11target_archE1100ELNS1_3gpuE3ELNS1_3repE0EEENS1_52radix_sort_onesweep_histogram_config_static_selectorELNS0_4arch9wavefront6targetE1EEEvSE_,"axG",@progbits,_ZN7rocprim17ROCPRIM_400000_NS6detail17trampoline_kernelINS0_14default_configENS1_35radix_sort_onesweep_config_selectorIslEEZNS1_34radix_sort_onesweep_global_offsetsIS3_Lb0EPsN6thrust23THRUST_200600_302600_NS10device_ptrIlEEjNS0_19identity_decomposerEEE10hipError_tT1_T2_PT3_SG_jT4_jjP12ihipStream_tbEUlT_E0_NS1_11comp_targetILNS1_3genE9ELNS1_11target_archE1100ELNS1_3gpuE3ELNS1_3repE0EEENS1_52radix_sort_onesweep_histogram_config_static_selectorELNS0_4arch9wavefront6targetE1EEEvSE_,comdat
.Lfunc_end1396:
	.size	_ZN7rocprim17ROCPRIM_400000_NS6detail17trampoline_kernelINS0_14default_configENS1_35radix_sort_onesweep_config_selectorIslEEZNS1_34radix_sort_onesweep_global_offsetsIS3_Lb0EPsN6thrust23THRUST_200600_302600_NS10device_ptrIlEEjNS0_19identity_decomposerEEE10hipError_tT1_T2_PT3_SG_jT4_jjP12ihipStream_tbEUlT_E0_NS1_11comp_targetILNS1_3genE9ELNS1_11target_archE1100ELNS1_3gpuE3ELNS1_3repE0EEENS1_52radix_sort_onesweep_histogram_config_static_selectorELNS0_4arch9wavefront6targetE1EEEvSE_, .Lfunc_end1396-_ZN7rocprim17ROCPRIM_400000_NS6detail17trampoline_kernelINS0_14default_configENS1_35radix_sort_onesweep_config_selectorIslEEZNS1_34radix_sort_onesweep_global_offsetsIS3_Lb0EPsN6thrust23THRUST_200600_302600_NS10device_ptrIlEEjNS0_19identity_decomposerEEE10hipError_tT1_T2_PT3_SG_jT4_jjP12ihipStream_tbEUlT_E0_NS1_11comp_targetILNS1_3genE9ELNS1_11target_archE1100ELNS1_3gpuE3ELNS1_3repE0EEENS1_52radix_sort_onesweep_histogram_config_static_selectorELNS0_4arch9wavefront6targetE1EEEvSE_
                                        ; -- End function
	.set _ZN7rocprim17ROCPRIM_400000_NS6detail17trampoline_kernelINS0_14default_configENS1_35radix_sort_onesweep_config_selectorIslEEZNS1_34radix_sort_onesweep_global_offsetsIS3_Lb0EPsN6thrust23THRUST_200600_302600_NS10device_ptrIlEEjNS0_19identity_decomposerEEE10hipError_tT1_T2_PT3_SG_jT4_jjP12ihipStream_tbEUlT_E0_NS1_11comp_targetILNS1_3genE9ELNS1_11target_archE1100ELNS1_3gpuE3ELNS1_3repE0EEENS1_52radix_sort_onesweep_histogram_config_static_selectorELNS0_4arch9wavefront6targetE1EEEvSE_.num_vgpr, 0
	.set _ZN7rocprim17ROCPRIM_400000_NS6detail17trampoline_kernelINS0_14default_configENS1_35radix_sort_onesweep_config_selectorIslEEZNS1_34radix_sort_onesweep_global_offsetsIS3_Lb0EPsN6thrust23THRUST_200600_302600_NS10device_ptrIlEEjNS0_19identity_decomposerEEE10hipError_tT1_T2_PT3_SG_jT4_jjP12ihipStream_tbEUlT_E0_NS1_11comp_targetILNS1_3genE9ELNS1_11target_archE1100ELNS1_3gpuE3ELNS1_3repE0EEENS1_52radix_sort_onesweep_histogram_config_static_selectorELNS0_4arch9wavefront6targetE1EEEvSE_.num_agpr, 0
	.set _ZN7rocprim17ROCPRIM_400000_NS6detail17trampoline_kernelINS0_14default_configENS1_35radix_sort_onesweep_config_selectorIslEEZNS1_34radix_sort_onesweep_global_offsetsIS3_Lb0EPsN6thrust23THRUST_200600_302600_NS10device_ptrIlEEjNS0_19identity_decomposerEEE10hipError_tT1_T2_PT3_SG_jT4_jjP12ihipStream_tbEUlT_E0_NS1_11comp_targetILNS1_3genE9ELNS1_11target_archE1100ELNS1_3gpuE3ELNS1_3repE0EEENS1_52radix_sort_onesweep_histogram_config_static_selectorELNS0_4arch9wavefront6targetE1EEEvSE_.numbered_sgpr, 0
	.set _ZN7rocprim17ROCPRIM_400000_NS6detail17trampoline_kernelINS0_14default_configENS1_35radix_sort_onesweep_config_selectorIslEEZNS1_34radix_sort_onesweep_global_offsetsIS3_Lb0EPsN6thrust23THRUST_200600_302600_NS10device_ptrIlEEjNS0_19identity_decomposerEEE10hipError_tT1_T2_PT3_SG_jT4_jjP12ihipStream_tbEUlT_E0_NS1_11comp_targetILNS1_3genE9ELNS1_11target_archE1100ELNS1_3gpuE3ELNS1_3repE0EEENS1_52radix_sort_onesweep_histogram_config_static_selectorELNS0_4arch9wavefront6targetE1EEEvSE_.num_named_barrier, 0
	.set _ZN7rocprim17ROCPRIM_400000_NS6detail17trampoline_kernelINS0_14default_configENS1_35radix_sort_onesweep_config_selectorIslEEZNS1_34radix_sort_onesweep_global_offsetsIS3_Lb0EPsN6thrust23THRUST_200600_302600_NS10device_ptrIlEEjNS0_19identity_decomposerEEE10hipError_tT1_T2_PT3_SG_jT4_jjP12ihipStream_tbEUlT_E0_NS1_11comp_targetILNS1_3genE9ELNS1_11target_archE1100ELNS1_3gpuE3ELNS1_3repE0EEENS1_52radix_sort_onesweep_histogram_config_static_selectorELNS0_4arch9wavefront6targetE1EEEvSE_.private_seg_size, 0
	.set _ZN7rocprim17ROCPRIM_400000_NS6detail17trampoline_kernelINS0_14default_configENS1_35radix_sort_onesweep_config_selectorIslEEZNS1_34radix_sort_onesweep_global_offsetsIS3_Lb0EPsN6thrust23THRUST_200600_302600_NS10device_ptrIlEEjNS0_19identity_decomposerEEE10hipError_tT1_T2_PT3_SG_jT4_jjP12ihipStream_tbEUlT_E0_NS1_11comp_targetILNS1_3genE9ELNS1_11target_archE1100ELNS1_3gpuE3ELNS1_3repE0EEENS1_52radix_sort_onesweep_histogram_config_static_selectorELNS0_4arch9wavefront6targetE1EEEvSE_.uses_vcc, 0
	.set _ZN7rocprim17ROCPRIM_400000_NS6detail17trampoline_kernelINS0_14default_configENS1_35radix_sort_onesweep_config_selectorIslEEZNS1_34radix_sort_onesweep_global_offsetsIS3_Lb0EPsN6thrust23THRUST_200600_302600_NS10device_ptrIlEEjNS0_19identity_decomposerEEE10hipError_tT1_T2_PT3_SG_jT4_jjP12ihipStream_tbEUlT_E0_NS1_11comp_targetILNS1_3genE9ELNS1_11target_archE1100ELNS1_3gpuE3ELNS1_3repE0EEENS1_52radix_sort_onesweep_histogram_config_static_selectorELNS0_4arch9wavefront6targetE1EEEvSE_.uses_flat_scratch, 0
	.set _ZN7rocprim17ROCPRIM_400000_NS6detail17trampoline_kernelINS0_14default_configENS1_35radix_sort_onesweep_config_selectorIslEEZNS1_34radix_sort_onesweep_global_offsetsIS3_Lb0EPsN6thrust23THRUST_200600_302600_NS10device_ptrIlEEjNS0_19identity_decomposerEEE10hipError_tT1_T2_PT3_SG_jT4_jjP12ihipStream_tbEUlT_E0_NS1_11comp_targetILNS1_3genE9ELNS1_11target_archE1100ELNS1_3gpuE3ELNS1_3repE0EEENS1_52radix_sort_onesweep_histogram_config_static_selectorELNS0_4arch9wavefront6targetE1EEEvSE_.has_dyn_sized_stack, 0
	.set _ZN7rocprim17ROCPRIM_400000_NS6detail17trampoline_kernelINS0_14default_configENS1_35radix_sort_onesweep_config_selectorIslEEZNS1_34radix_sort_onesweep_global_offsetsIS3_Lb0EPsN6thrust23THRUST_200600_302600_NS10device_ptrIlEEjNS0_19identity_decomposerEEE10hipError_tT1_T2_PT3_SG_jT4_jjP12ihipStream_tbEUlT_E0_NS1_11comp_targetILNS1_3genE9ELNS1_11target_archE1100ELNS1_3gpuE3ELNS1_3repE0EEENS1_52radix_sort_onesweep_histogram_config_static_selectorELNS0_4arch9wavefront6targetE1EEEvSE_.has_recursion, 0
	.set _ZN7rocprim17ROCPRIM_400000_NS6detail17trampoline_kernelINS0_14default_configENS1_35radix_sort_onesweep_config_selectorIslEEZNS1_34radix_sort_onesweep_global_offsetsIS3_Lb0EPsN6thrust23THRUST_200600_302600_NS10device_ptrIlEEjNS0_19identity_decomposerEEE10hipError_tT1_T2_PT3_SG_jT4_jjP12ihipStream_tbEUlT_E0_NS1_11comp_targetILNS1_3genE9ELNS1_11target_archE1100ELNS1_3gpuE3ELNS1_3repE0EEENS1_52radix_sort_onesweep_histogram_config_static_selectorELNS0_4arch9wavefront6targetE1EEEvSE_.has_indirect_call, 0
	.section	.AMDGPU.csdata,"",@progbits
; Kernel info:
; codeLenInByte = 0
; TotalNumSgprs: 4
; NumVgprs: 0
; ScratchSize: 0
; MemoryBound: 0
; FloatMode: 240
; IeeeMode: 1
; LDSByteSize: 0 bytes/workgroup (compile time only)
; SGPRBlocks: 0
; VGPRBlocks: 0
; NumSGPRsForWavesPerEU: 4
; NumVGPRsForWavesPerEU: 1
; Occupancy: 10
; WaveLimiterHint : 0
; COMPUTE_PGM_RSRC2:SCRATCH_EN: 0
; COMPUTE_PGM_RSRC2:USER_SGPR: 6
; COMPUTE_PGM_RSRC2:TRAP_HANDLER: 0
; COMPUTE_PGM_RSRC2:TGID_X_EN: 1
; COMPUTE_PGM_RSRC2:TGID_Y_EN: 0
; COMPUTE_PGM_RSRC2:TGID_Z_EN: 0
; COMPUTE_PGM_RSRC2:TIDIG_COMP_CNT: 0
	.section	.text._ZN7rocprim17ROCPRIM_400000_NS6detail17trampoline_kernelINS0_14default_configENS1_35radix_sort_onesweep_config_selectorIslEEZNS1_34radix_sort_onesweep_global_offsetsIS3_Lb0EPsN6thrust23THRUST_200600_302600_NS10device_ptrIlEEjNS0_19identity_decomposerEEE10hipError_tT1_T2_PT3_SG_jT4_jjP12ihipStream_tbEUlT_E0_NS1_11comp_targetILNS1_3genE8ELNS1_11target_archE1030ELNS1_3gpuE2ELNS1_3repE0EEENS1_52radix_sort_onesweep_histogram_config_static_selectorELNS0_4arch9wavefront6targetE1EEEvSE_,"axG",@progbits,_ZN7rocprim17ROCPRIM_400000_NS6detail17trampoline_kernelINS0_14default_configENS1_35radix_sort_onesweep_config_selectorIslEEZNS1_34radix_sort_onesweep_global_offsetsIS3_Lb0EPsN6thrust23THRUST_200600_302600_NS10device_ptrIlEEjNS0_19identity_decomposerEEE10hipError_tT1_T2_PT3_SG_jT4_jjP12ihipStream_tbEUlT_E0_NS1_11comp_targetILNS1_3genE8ELNS1_11target_archE1030ELNS1_3gpuE2ELNS1_3repE0EEENS1_52radix_sort_onesweep_histogram_config_static_selectorELNS0_4arch9wavefront6targetE1EEEvSE_,comdat
	.protected	_ZN7rocprim17ROCPRIM_400000_NS6detail17trampoline_kernelINS0_14default_configENS1_35radix_sort_onesweep_config_selectorIslEEZNS1_34radix_sort_onesweep_global_offsetsIS3_Lb0EPsN6thrust23THRUST_200600_302600_NS10device_ptrIlEEjNS0_19identity_decomposerEEE10hipError_tT1_T2_PT3_SG_jT4_jjP12ihipStream_tbEUlT_E0_NS1_11comp_targetILNS1_3genE8ELNS1_11target_archE1030ELNS1_3gpuE2ELNS1_3repE0EEENS1_52radix_sort_onesweep_histogram_config_static_selectorELNS0_4arch9wavefront6targetE1EEEvSE_ ; -- Begin function _ZN7rocprim17ROCPRIM_400000_NS6detail17trampoline_kernelINS0_14default_configENS1_35radix_sort_onesweep_config_selectorIslEEZNS1_34radix_sort_onesweep_global_offsetsIS3_Lb0EPsN6thrust23THRUST_200600_302600_NS10device_ptrIlEEjNS0_19identity_decomposerEEE10hipError_tT1_T2_PT3_SG_jT4_jjP12ihipStream_tbEUlT_E0_NS1_11comp_targetILNS1_3genE8ELNS1_11target_archE1030ELNS1_3gpuE2ELNS1_3repE0EEENS1_52radix_sort_onesweep_histogram_config_static_selectorELNS0_4arch9wavefront6targetE1EEEvSE_
	.globl	_ZN7rocprim17ROCPRIM_400000_NS6detail17trampoline_kernelINS0_14default_configENS1_35radix_sort_onesweep_config_selectorIslEEZNS1_34radix_sort_onesweep_global_offsetsIS3_Lb0EPsN6thrust23THRUST_200600_302600_NS10device_ptrIlEEjNS0_19identity_decomposerEEE10hipError_tT1_T2_PT3_SG_jT4_jjP12ihipStream_tbEUlT_E0_NS1_11comp_targetILNS1_3genE8ELNS1_11target_archE1030ELNS1_3gpuE2ELNS1_3repE0EEENS1_52radix_sort_onesweep_histogram_config_static_selectorELNS0_4arch9wavefront6targetE1EEEvSE_
	.p2align	8
	.type	_ZN7rocprim17ROCPRIM_400000_NS6detail17trampoline_kernelINS0_14default_configENS1_35radix_sort_onesweep_config_selectorIslEEZNS1_34radix_sort_onesweep_global_offsetsIS3_Lb0EPsN6thrust23THRUST_200600_302600_NS10device_ptrIlEEjNS0_19identity_decomposerEEE10hipError_tT1_T2_PT3_SG_jT4_jjP12ihipStream_tbEUlT_E0_NS1_11comp_targetILNS1_3genE8ELNS1_11target_archE1030ELNS1_3gpuE2ELNS1_3repE0EEENS1_52radix_sort_onesweep_histogram_config_static_selectorELNS0_4arch9wavefront6targetE1EEEvSE_,@function
_ZN7rocprim17ROCPRIM_400000_NS6detail17trampoline_kernelINS0_14default_configENS1_35radix_sort_onesweep_config_selectorIslEEZNS1_34radix_sort_onesweep_global_offsetsIS3_Lb0EPsN6thrust23THRUST_200600_302600_NS10device_ptrIlEEjNS0_19identity_decomposerEEE10hipError_tT1_T2_PT3_SG_jT4_jjP12ihipStream_tbEUlT_E0_NS1_11comp_targetILNS1_3genE8ELNS1_11target_archE1030ELNS1_3gpuE2ELNS1_3repE0EEENS1_52radix_sort_onesweep_histogram_config_static_selectorELNS0_4arch9wavefront6targetE1EEEvSE_: ; @_ZN7rocprim17ROCPRIM_400000_NS6detail17trampoline_kernelINS0_14default_configENS1_35radix_sort_onesweep_config_selectorIslEEZNS1_34radix_sort_onesweep_global_offsetsIS3_Lb0EPsN6thrust23THRUST_200600_302600_NS10device_ptrIlEEjNS0_19identity_decomposerEEE10hipError_tT1_T2_PT3_SG_jT4_jjP12ihipStream_tbEUlT_E0_NS1_11comp_targetILNS1_3genE8ELNS1_11target_archE1030ELNS1_3gpuE2ELNS1_3repE0EEENS1_52radix_sort_onesweep_histogram_config_static_selectorELNS0_4arch9wavefront6targetE1EEEvSE_
; %bb.0:
	.section	.rodata,"a",@progbits
	.p2align	6, 0x0
	.amdhsa_kernel _ZN7rocprim17ROCPRIM_400000_NS6detail17trampoline_kernelINS0_14default_configENS1_35radix_sort_onesweep_config_selectorIslEEZNS1_34radix_sort_onesweep_global_offsetsIS3_Lb0EPsN6thrust23THRUST_200600_302600_NS10device_ptrIlEEjNS0_19identity_decomposerEEE10hipError_tT1_T2_PT3_SG_jT4_jjP12ihipStream_tbEUlT_E0_NS1_11comp_targetILNS1_3genE8ELNS1_11target_archE1030ELNS1_3gpuE2ELNS1_3repE0EEENS1_52radix_sort_onesweep_histogram_config_static_selectorELNS0_4arch9wavefront6targetE1EEEvSE_
		.amdhsa_group_segment_fixed_size 0
		.amdhsa_private_segment_fixed_size 0
		.amdhsa_kernarg_size 8
		.amdhsa_user_sgpr_count 6
		.amdhsa_user_sgpr_private_segment_buffer 1
		.amdhsa_user_sgpr_dispatch_ptr 0
		.amdhsa_user_sgpr_queue_ptr 0
		.amdhsa_user_sgpr_kernarg_segment_ptr 1
		.amdhsa_user_sgpr_dispatch_id 0
		.amdhsa_user_sgpr_flat_scratch_init 0
		.amdhsa_user_sgpr_private_segment_size 0
		.amdhsa_uses_dynamic_stack 0
		.amdhsa_system_sgpr_private_segment_wavefront_offset 0
		.amdhsa_system_sgpr_workgroup_id_x 1
		.amdhsa_system_sgpr_workgroup_id_y 0
		.amdhsa_system_sgpr_workgroup_id_z 0
		.amdhsa_system_sgpr_workgroup_info 0
		.amdhsa_system_vgpr_workitem_id 0
		.amdhsa_next_free_vgpr 1
		.amdhsa_next_free_sgpr 0
		.amdhsa_reserve_vcc 0
		.amdhsa_reserve_flat_scratch 0
		.amdhsa_float_round_mode_32 0
		.amdhsa_float_round_mode_16_64 0
		.amdhsa_float_denorm_mode_32 3
		.amdhsa_float_denorm_mode_16_64 3
		.amdhsa_dx10_clamp 1
		.amdhsa_ieee_mode 1
		.amdhsa_fp16_overflow 0
		.amdhsa_exception_fp_ieee_invalid_op 0
		.amdhsa_exception_fp_denorm_src 0
		.amdhsa_exception_fp_ieee_div_zero 0
		.amdhsa_exception_fp_ieee_overflow 0
		.amdhsa_exception_fp_ieee_underflow 0
		.amdhsa_exception_fp_ieee_inexact 0
		.amdhsa_exception_int_div_zero 0
	.end_amdhsa_kernel
	.section	.text._ZN7rocprim17ROCPRIM_400000_NS6detail17trampoline_kernelINS0_14default_configENS1_35radix_sort_onesweep_config_selectorIslEEZNS1_34radix_sort_onesweep_global_offsetsIS3_Lb0EPsN6thrust23THRUST_200600_302600_NS10device_ptrIlEEjNS0_19identity_decomposerEEE10hipError_tT1_T2_PT3_SG_jT4_jjP12ihipStream_tbEUlT_E0_NS1_11comp_targetILNS1_3genE8ELNS1_11target_archE1030ELNS1_3gpuE2ELNS1_3repE0EEENS1_52radix_sort_onesweep_histogram_config_static_selectorELNS0_4arch9wavefront6targetE1EEEvSE_,"axG",@progbits,_ZN7rocprim17ROCPRIM_400000_NS6detail17trampoline_kernelINS0_14default_configENS1_35radix_sort_onesweep_config_selectorIslEEZNS1_34radix_sort_onesweep_global_offsetsIS3_Lb0EPsN6thrust23THRUST_200600_302600_NS10device_ptrIlEEjNS0_19identity_decomposerEEE10hipError_tT1_T2_PT3_SG_jT4_jjP12ihipStream_tbEUlT_E0_NS1_11comp_targetILNS1_3genE8ELNS1_11target_archE1030ELNS1_3gpuE2ELNS1_3repE0EEENS1_52radix_sort_onesweep_histogram_config_static_selectorELNS0_4arch9wavefront6targetE1EEEvSE_,comdat
.Lfunc_end1397:
	.size	_ZN7rocprim17ROCPRIM_400000_NS6detail17trampoline_kernelINS0_14default_configENS1_35radix_sort_onesweep_config_selectorIslEEZNS1_34radix_sort_onesweep_global_offsetsIS3_Lb0EPsN6thrust23THRUST_200600_302600_NS10device_ptrIlEEjNS0_19identity_decomposerEEE10hipError_tT1_T2_PT3_SG_jT4_jjP12ihipStream_tbEUlT_E0_NS1_11comp_targetILNS1_3genE8ELNS1_11target_archE1030ELNS1_3gpuE2ELNS1_3repE0EEENS1_52radix_sort_onesweep_histogram_config_static_selectorELNS0_4arch9wavefront6targetE1EEEvSE_, .Lfunc_end1397-_ZN7rocprim17ROCPRIM_400000_NS6detail17trampoline_kernelINS0_14default_configENS1_35radix_sort_onesweep_config_selectorIslEEZNS1_34radix_sort_onesweep_global_offsetsIS3_Lb0EPsN6thrust23THRUST_200600_302600_NS10device_ptrIlEEjNS0_19identity_decomposerEEE10hipError_tT1_T2_PT3_SG_jT4_jjP12ihipStream_tbEUlT_E0_NS1_11comp_targetILNS1_3genE8ELNS1_11target_archE1030ELNS1_3gpuE2ELNS1_3repE0EEENS1_52radix_sort_onesweep_histogram_config_static_selectorELNS0_4arch9wavefront6targetE1EEEvSE_
                                        ; -- End function
	.set _ZN7rocprim17ROCPRIM_400000_NS6detail17trampoline_kernelINS0_14default_configENS1_35radix_sort_onesweep_config_selectorIslEEZNS1_34radix_sort_onesweep_global_offsetsIS3_Lb0EPsN6thrust23THRUST_200600_302600_NS10device_ptrIlEEjNS0_19identity_decomposerEEE10hipError_tT1_T2_PT3_SG_jT4_jjP12ihipStream_tbEUlT_E0_NS1_11comp_targetILNS1_3genE8ELNS1_11target_archE1030ELNS1_3gpuE2ELNS1_3repE0EEENS1_52radix_sort_onesweep_histogram_config_static_selectorELNS0_4arch9wavefront6targetE1EEEvSE_.num_vgpr, 0
	.set _ZN7rocprim17ROCPRIM_400000_NS6detail17trampoline_kernelINS0_14default_configENS1_35radix_sort_onesweep_config_selectorIslEEZNS1_34radix_sort_onesweep_global_offsetsIS3_Lb0EPsN6thrust23THRUST_200600_302600_NS10device_ptrIlEEjNS0_19identity_decomposerEEE10hipError_tT1_T2_PT3_SG_jT4_jjP12ihipStream_tbEUlT_E0_NS1_11comp_targetILNS1_3genE8ELNS1_11target_archE1030ELNS1_3gpuE2ELNS1_3repE0EEENS1_52radix_sort_onesweep_histogram_config_static_selectorELNS0_4arch9wavefront6targetE1EEEvSE_.num_agpr, 0
	.set _ZN7rocprim17ROCPRIM_400000_NS6detail17trampoline_kernelINS0_14default_configENS1_35radix_sort_onesweep_config_selectorIslEEZNS1_34radix_sort_onesweep_global_offsetsIS3_Lb0EPsN6thrust23THRUST_200600_302600_NS10device_ptrIlEEjNS0_19identity_decomposerEEE10hipError_tT1_T2_PT3_SG_jT4_jjP12ihipStream_tbEUlT_E0_NS1_11comp_targetILNS1_3genE8ELNS1_11target_archE1030ELNS1_3gpuE2ELNS1_3repE0EEENS1_52radix_sort_onesweep_histogram_config_static_selectorELNS0_4arch9wavefront6targetE1EEEvSE_.numbered_sgpr, 0
	.set _ZN7rocprim17ROCPRIM_400000_NS6detail17trampoline_kernelINS0_14default_configENS1_35radix_sort_onesweep_config_selectorIslEEZNS1_34radix_sort_onesweep_global_offsetsIS3_Lb0EPsN6thrust23THRUST_200600_302600_NS10device_ptrIlEEjNS0_19identity_decomposerEEE10hipError_tT1_T2_PT3_SG_jT4_jjP12ihipStream_tbEUlT_E0_NS1_11comp_targetILNS1_3genE8ELNS1_11target_archE1030ELNS1_3gpuE2ELNS1_3repE0EEENS1_52radix_sort_onesweep_histogram_config_static_selectorELNS0_4arch9wavefront6targetE1EEEvSE_.num_named_barrier, 0
	.set _ZN7rocprim17ROCPRIM_400000_NS6detail17trampoline_kernelINS0_14default_configENS1_35radix_sort_onesweep_config_selectorIslEEZNS1_34radix_sort_onesweep_global_offsetsIS3_Lb0EPsN6thrust23THRUST_200600_302600_NS10device_ptrIlEEjNS0_19identity_decomposerEEE10hipError_tT1_T2_PT3_SG_jT4_jjP12ihipStream_tbEUlT_E0_NS1_11comp_targetILNS1_3genE8ELNS1_11target_archE1030ELNS1_3gpuE2ELNS1_3repE0EEENS1_52radix_sort_onesweep_histogram_config_static_selectorELNS0_4arch9wavefront6targetE1EEEvSE_.private_seg_size, 0
	.set _ZN7rocprim17ROCPRIM_400000_NS6detail17trampoline_kernelINS0_14default_configENS1_35radix_sort_onesweep_config_selectorIslEEZNS1_34radix_sort_onesweep_global_offsetsIS3_Lb0EPsN6thrust23THRUST_200600_302600_NS10device_ptrIlEEjNS0_19identity_decomposerEEE10hipError_tT1_T2_PT3_SG_jT4_jjP12ihipStream_tbEUlT_E0_NS1_11comp_targetILNS1_3genE8ELNS1_11target_archE1030ELNS1_3gpuE2ELNS1_3repE0EEENS1_52radix_sort_onesweep_histogram_config_static_selectorELNS0_4arch9wavefront6targetE1EEEvSE_.uses_vcc, 0
	.set _ZN7rocprim17ROCPRIM_400000_NS6detail17trampoline_kernelINS0_14default_configENS1_35radix_sort_onesweep_config_selectorIslEEZNS1_34radix_sort_onesweep_global_offsetsIS3_Lb0EPsN6thrust23THRUST_200600_302600_NS10device_ptrIlEEjNS0_19identity_decomposerEEE10hipError_tT1_T2_PT3_SG_jT4_jjP12ihipStream_tbEUlT_E0_NS1_11comp_targetILNS1_3genE8ELNS1_11target_archE1030ELNS1_3gpuE2ELNS1_3repE0EEENS1_52radix_sort_onesweep_histogram_config_static_selectorELNS0_4arch9wavefront6targetE1EEEvSE_.uses_flat_scratch, 0
	.set _ZN7rocprim17ROCPRIM_400000_NS6detail17trampoline_kernelINS0_14default_configENS1_35radix_sort_onesweep_config_selectorIslEEZNS1_34radix_sort_onesweep_global_offsetsIS3_Lb0EPsN6thrust23THRUST_200600_302600_NS10device_ptrIlEEjNS0_19identity_decomposerEEE10hipError_tT1_T2_PT3_SG_jT4_jjP12ihipStream_tbEUlT_E0_NS1_11comp_targetILNS1_3genE8ELNS1_11target_archE1030ELNS1_3gpuE2ELNS1_3repE0EEENS1_52radix_sort_onesweep_histogram_config_static_selectorELNS0_4arch9wavefront6targetE1EEEvSE_.has_dyn_sized_stack, 0
	.set _ZN7rocprim17ROCPRIM_400000_NS6detail17trampoline_kernelINS0_14default_configENS1_35radix_sort_onesweep_config_selectorIslEEZNS1_34radix_sort_onesweep_global_offsetsIS3_Lb0EPsN6thrust23THRUST_200600_302600_NS10device_ptrIlEEjNS0_19identity_decomposerEEE10hipError_tT1_T2_PT3_SG_jT4_jjP12ihipStream_tbEUlT_E0_NS1_11comp_targetILNS1_3genE8ELNS1_11target_archE1030ELNS1_3gpuE2ELNS1_3repE0EEENS1_52radix_sort_onesweep_histogram_config_static_selectorELNS0_4arch9wavefront6targetE1EEEvSE_.has_recursion, 0
	.set _ZN7rocprim17ROCPRIM_400000_NS6detail17trampoline_kernelINS0_14default_configENS1_35radix_sort_onesweep_config_selectorIslEEZNS1_34radix_sort_onesweep_global_offsetsIS3_Lb0EPsN6thrust23THRUST_200600_302600_NS10device_ptrIlEEjNS0_19identity_decomposerEEE10hipError_tT1_T2_PT3_SG_jT4_jjP12ihipStream_tbEUlT_E0_NS1_11comp_targetILNS1_3genE8ELNS1_11target_archE1030ELNS1_3gpuE2ELNS1_3repE0EEENS1_52radix_sort_onesweep_histogram_config_static_selectorELNS0_4arch9wavefront6targetE1EEEvSE_.has_indirect_call, 0
	.section	.AMDGPU.csdata,"",@progbits
; Kernel info:
; codeLenInByte = 0
; TotalNumSgprs: 4
; NumVgprs: 0
; ScratchSize: 0
; MemoryBound: 0
; FloatMode: 240
; IeeeMode: 1
; LDSByteSize: 0 bytes/workgroup (compile time only)
; SGPRBlocks: 0
; VGPRBlocks: 0
; NumSGPRsForWavesPerEU: 4
; NumVGPRsForWavesPerEU: 1
; Occupancy: 10
; WaveLimiterHint : 0
; COMPUTE_PGM_RSRC2:SCRATCH_EN: 0
; COMPUTE_PGM_RSRC2:USER_SGPR: 6
; COMPUTE_PGM_RSRC2:TRAP_HANDLER: 0
; COMPUTE_PGM_RSRC2:TGID_X_EN: 1
; COMPUTE_PGM_RSRC2:TGID_Y_EN: 0
; COMPUTE_PGM_RSRC2:TGID_Z_EN: 0
; COMPUTE_PGM_RSRC2:TIDIG_COMP_CNT: 0
	.section	.text._ZN7rocprim17ROCPRIM_400000_NS6detail17trampoline_kernelINS0_14default_configENS1_35radix_sort_onesweep_config_selectorIslEEZZNS1_29radix_sort_onesweep_iterationIS3_Lb0EPsS7_N6thrust23THRUST_200600_302600_NS10device_ptrIlEESB_jNS0_19identity_decomposerENS1_16block_id_wrapperIjLb1EEEEE10hipError_tT1_PNSt15iterator_traitsISG_E10value_typeET2_T3_PNSH_ISM_E10value_typeET4_T5_PSR_SS_PNS1_23onesweep_lookback_stateEbbT6_jjT7_P12ihipStream_tbENKUlT_T0_SG_SL_E_clIS7_S7_SB_SB_EEDaSZ_S10_SG_SL_EUlSZ_E_NS1_11comp_targetILNS1_3genE0ELNS1_11target_archE4294967295ELNS1_3gpuE0ELNS1_3repE0EEENS1_47radix_sort_onesweep_sort_config_static_selectorELNS0_4arch9wavefront6targetE1EEEvSG_,"axG",@progbits,_ZN7rocprim17ROCPRIM_400000_NS6detail17trampoline_kernelINS0_14default_configENS1_35radix_sort_onesweep_config_selectorIslEEZZNS1_29radix_sort_onesweep_iterationIS3_Lb0EPsS7_N6thrust23THRUST_200600_302600_NS10device_ptrIlEESB_jNS0_19identity_decomposerENS1_16block_id_wrapperIjLb1EEEEE10hipError_tT1_PNSt15iterator_traitsISG_E10value_typeET2_T3_PNSH_ISM_E10value_typeET4_T5_PSR_SS_PNS1_23onesweep_lookback_stateEbbT6_jjT7_P12ihipStream_tbENKUlT_T0_SG_SL_E_clIS7_S7_SB_SB_EEDaSZ_S10_SG_SL_EUlSZ_E_NS1_11comp_targetILNS1_3genE0ELNS1_11target_archE4294967295ELNS1_3gpuE0ELNS1_3repE0EEENS1_47radix_sort_onesweep_sort_config_static_selectorELNS0_4arch9wavefront6targetE1EEEvSG_,comdat
	.protected	_ZN7rocprim17ROCPRIM_400000_NS6detail17trampoline_kernelINS0_14default_configENS1_35radix_sort_onesweep_config_selectorIslEEZZNS1_29radix_sort_onesweep_iterationIS3_Lb0EPsS7_N6thrust23THRUST_200600_302600_NS10device_ptrIlEESB_jNS0_19identity_decomposerENS1_16block_id_wrapperIjLb1EEEEE10hipError_tT1_PNSt15iterator_traitsISG_E10value_typeET2_T3_PNSH_ISM_E10value_typeET4_T5_PSR_SS_PNS1_23onesweep_lookback_stateEbbT6_jjT7_P12ihipStream_tbENKUlT_T0_SG_SL_E_clIS7_S7_SB_SB_EEDaSZ_S10_SG_SL_EUlSZ_E_NS1_11comp_targetILNS1_3genE0ELNS1_11target_archE4294967295ELNS1_3gpuE0ELNS1_3repE0EEENS1_47radix_sort_onesweep_sort_config_static_selectorELNS0_4arch9wavefront6targetE1EEEvSG_ ; -- Begin function _ZN7rocprim17ROCPRIM_400000_NS6detail17trampoline_kernelINS0_14default_configENS1_35radix_sort_onesweep_config_selectorIslEEZZNS1_29radix_sort_onesweep_iterationIS3_Lb0EPsS7_N6thrust23THRUST_200600_302600_NS10device_ptrIlEESB_jNS0_19identity_decomposerENS1_16block_id_wrapperIjLb1EEEEE10hipError_tT1_PNSt15iterator_traitsISG_E10value_typeET2_T3_PNSH_ISM_E10value_typeET4_T5_PSR_SS_PNS1_23onesweep_lookback_stateEbbT6_jjT7_P12ihipStream_tbENKUlT_T0_SG_SL_E_clIS7_S7_SB_SB_EEDaSZ_S10_SG_SL_EUlSZ_E_NS1_11comp_targetILNS1_3genE0ELNS1_11target_archE4294967295ELNS1_3gpuE0ELNS1_3repE0EEENS1_47radix_sort_onesweep_sort_config_static_selectorELNS0_4arch9wavefront6targetE1EEEvSG_
	.globl	_ZN7rocprim17ROCPRIM_400000_NS6detail17trampoline_kernelINS0_14default_configENS1_35radix_sort_onesweep_config_selectorIslEEZZNS1_29radix_sort_onesweep_iterationIS3_Lb0EPsS7_N6thrust23THRUST_200600_302600_NS10device_ptrIlEESB_jNS0_19identity_decomposerENS1_16block_id_wrapperIjLb1EEEEE10hipError_tT1_PNSt15iterator_traitsISG_E10value_typeET2_T3_PNSH_ISM_E10value_typeET4_T5_PSR_SS_PNS1_23onesweep_lookback_stateEbbT6_jjT7_P12ihipStream_tbENKUlT_T0_SG_SL_E_clIS7_S7_SB_SB_EEDaSZ_S10_SG_SL_EUlSZ_E_NS1_11comp_targetILNS1_3genE0ELNS1_11target_archE4294967295ELNS1_3gpuE0ELNS1_3repE0EEENS1_47radix_sort_onesweep_sort_config_static_selectorELNS0_4arch9wavefront6targetE1EEEvSG_
	.p2align	8
	.type	_ZN7rocprim17ROCPRIM_400000_NS6detail17trampoline_kernelINS0_14default_configENS1_35radix_sort_onesweep_config_selectorIslEEZZNS1_29radix_sort_onesweep_iterationIS3_Lb0EPsS7_N6thrust23THRUST_200600_302600_NS10device_ptrIlEESB_jNS0_19identity_decomposerENS1_16block_id_wrapperIjLb1EEEEE10hipError_tT1_PNSt15iterator_traitsISG_E10value_typeET2_T3_PNSH_ISM_E10value_typeET4_T5_PSR_SS_PNS1_23onesweep_lookback_stateEbbT6_jjT7_P12ihipStream_tbENKUlT_T0_SG_SL_E_clIS7_S7_SB_SB_EEDaSZ_S10_SG_SL_EUlSZ_E_NS1_11comp_targetILNS1_3genE0ELNS1_11target_archE4294967295ELNS1_3gpuE0ELNS1_3repE0EEENS1_47radix_sort_onesweep_sort_config_static_selectorELNS0_4arch9wavefront6targetE1EEEvSG_,@function
_ZN7rocprim17ROCPRIM_400000_NS6detail17trampoline_kernelINS0_14default_configENS1_35radix_sort_onesweep_config_selectorIslEEZZNS1_29radix_sort_onesweep_iterationIS3_Lb0EPsS7_N6thrust23THRUST_200600_302600_NS10device_ptrIlEESB_jNS0_19identity_decomposerENS1_16block_id_wrapperIjLb1EEEEE10hipError_tT1_PNSt15iterator_traitsISG_E10value_typeET2_T3_PNSH_ISM_E10value_typeET4_T5_PSR_SS_PNS1_23onesweep_lookback_stateEbbT6_jjT7_P12ihipStream_tbENKUlT_T0_SG_SL_E_clIS7_S7_SB_SB_EEDaSZ_S10_SG_SL_EUlSZ_E_NS1_11comp_targetILNS1_3genE0ELNS1_11target_archE4294967295ELNS1_3gpuE0ELNS1_3repE0EEENS1_47radix_sort_onesweep_sort_config_static_selectorELNS0_4arch9wavefront6targetE1EEEvSG_: ; @_ZN7rocprim17ROCPRIM_400000_NS6detail17trampoline_kernelINS0_14default_configENS1_35radix_sort_onesweep_config_selectorIslEEZZNS1_29radix_sort_onesweep_iterationIS3_Lb0EPsS7_N6thrust23THRUST_200600_302600_NS10device_ptrIlEESB_jNS0_19identity_decomposerENS1_16block_id_wrapperIjLb1EEEEE10hipError_tT1_PNSt15iterator_traitsISG_E10value_typeET2_T3_PNSH_ISM_E10value_typeET4_T5_PSR_SS_PNS1_23onesweep_lookback_stateEbbT6_jjT7_P12ihipStream_tbENKUlT_T0_SG_SL_E_clIS7_S7_SB_SB_EEDaSZ_S10_SG_SL_EUlSZ_E_NS1_11comp_targetILNS1_3genE0ELNS1_11target_archE4294967295ELNS1_3gpuE0ELNS1_3repE0EEENS1_47radix_sort_onesweep_sort_config_static_selectorELNS0_4arch9wavefront6targetE1EEEvSG_
; %bb.0:
	.section	.rodata,"a",@progbits
	.p2align	6, 0x0
	.amdhsa_kernel _ZN7rocprim17ROCPRIM_400000_NS6detail17trampoline_kernelINS0_14default_configENS1_35radix_sort_onesweep_config_selectorIslEEZZNS1_29radix_sort_onesweep_iterationIS3_Lb0EPsS7_N6thrust23THRUST_200600_302600_NS10device_ptrIlEESB_jNS0_19identity_decomposerENS1_16block_id_wrapperIjLb1EEEEE10hipError_tT1_PNSt15iterator_traitsISG_E10value_typeET2_T3_PNSH_ISM_E10value_typeET4_T5_PSR_SS_PNS1_23onesweep_lookback_stateEbbT6_jjT7_P12ihipStream_tbENKUlT_T0_SG_SL_E_clIS7_S7_SB_SB_EEDaSZ_S10_SG_SL_EUlSZ_E_NS1_11comp_targetILNS1_3genE0ELNS1_11target_archE4294967295ELNS1_3gpuE0ELNS1_3repE0EEENS1_47radix_sort_onesweep_sort_config_static_selectorELNS0_4arch9wavefront6targetE1EEEvSG_
		.amdhsa_group_segment_fixed_size 0
		.amdhsa_private_segment_fixed_size 0
		.amdhsa_kernarg_size 88
		.amdhsa_user_sgpr_count 6
		.amdhsa_user_sgpr_private_segment_buffer 1
		.amdhsa_user_sgpr_dispatch_ptr 0
		.amdhsa_user_sgpr_queue_ptr 0
		.amdhsa_user_sgpr_kernarg_segment_ptr 1
		.amdhsa_user_sgpr_dispatch_id 0
		.amdhsa_user_sgpr_flat_scratch_init 0
		.amdhsa_user_sgpr_private_segment_size 0
		.amdhsa_uses_dynamic_stack 0
		.amdhsa_system_sgpr_private_segment_wavefront_offset 0
		.amdhsa_system_sgpr_workgroup_id_x 1
		.amdhsa_system_sgpr_workgroup_id_y 0
		.amdhsa_system_sgpr_workgroup_id_z 0
		.amdhsa_system_sgpr_workgroup_info 0
		.amdhsa_system_vgpr_workitem_id 0
		.amdhsa_next_free_vgpr 1
		.amdhsa_next_free_sgpr 0
		.amdhsa_reserve_vcc 0
		.amdhsa_reserve_flat_scratch 0
		.amdhsa_float_round_mode_32 0
		.amdhsa_float_round_mode_16_64 0
		.amdhsa_float_denorm_mode_32 3
		.amdhsa_float_denorm_mode_16_64 3
		.amdhsa_dx10_clamp 1
		.amdhsa_ieee_mode 1
		.amdhsa_fp16_overflow 0
		.amdhsa_exception_fp_ieee_invalid_op 0
		.amdhsa_exception_fp_denorm_src 0
		.amdhsa_exception_fp_ieee_div_zero 0
		.amdhsa_exception_fp_ieee_overflow 0
		.amdhsa_exception_fp_ieee_underflow 0
		.amdhsa_exception_fp_ieee_inexact 0
		.amdhsa_exception_int_div_zero 0
	.end_amdhsa_kernel
	.section	.text._ZN7rocprim17ROCPRIM_400000_NS6detail17trampoline_kernelINS0_14default_configENS1_35radix_sort_onesweep_config_selectorIslEEZZNS1_29radix_sort_onesweep_iterationIS3_Lb0EPsS7_N6thrust23THRUST_200600_302600_NS10device_ptrIlEESB_jNS0_19identity_decomposerENS1_16block_id_wrapperIjLb1EEEEE10hipError_tT1_PNSt15iterator_traitsISG_E10value_typeET2_T3_PNSH_ISM_E10value_typeET4_T5_PSR_SS_PNS1_23onesweep_lookback_stateEbbT6_jjT7_P12ihipStream_tbENKUlT_T0_SG_SL_E_clIS7_S7_SB_SB_EEDaSZ_S10_SG_SL_EUlSZ_E_NS1_11comp_targetILNS1_3genE0ELNS1_11target_archE4294967295ELNS1_3gpuE0ELNS1_3repE0EEENS1_47radix_sort_onesweep_sort_config_static_selectorELNS0_4arch9wavefront6targetE1EEEvSG_,"axG",@progbits,_ZN7rocprim17ROCPRIM_400000_NS6detail17trampoline_kernelINS0_14default_configENS1_35radix_sort_onesweep_config_selectorIslEEZZNS1_29radix_sort_onesweep_iterationIS3_Lb0EPsS7_N6thrust23THRUST_200600_302600_NS10device_ptrIlEESB_jNS0_19identity_decomposerENS1_16block_id_wrapperIjLb1EEEEE10hipError_tT1_PNSt15iterator_traitsISG_E10value_typeET2_T3_PNSH_ISM_E10value_typeET4_T5_PSR_SS_PNS1_23onesweep_lookback_stateEbbT6_jjT7_P12ihipStream_tbENKUlT_T0_SG_SL_E_clIS7_S7_SB_SB_EEDaSZ_S10_SG_SL_EUlSZ_E_NS1_11comp_targetILNS1_3genE0ELNS1_11target_archE4294967295ELNS1_3gpuE0ELNS1_3repE0EEENS1_47radix_sort_onesweep_sort_config_static_selectorELNS0_4arch9wavefront6targetE1EEEvSG_,comdat
.Lfunc_end1398:
	.size	_ZN7rocprim17ROCPRIM_400000_NS6detail17trampoline_kernelINS0_14default_configENS1_35radix_sort_onesweep_config_selectorIslEEZZNS1_29radix_sort_onesweep_iterationIS3_Lb0EPsS7_N6thrust23THRUST_200600_302600_NS10device_ptrIlEESB_jNS0_19identity_decomposerENS1_16block_id_wrapperIjLb1EEEEE10hipError_tT1_PNSt15iterator_traitsISG_E10value_typeET2_T3_PNSH_ISM_E10value_typeET4_T5_PSR_SS_PNS1_23onesweep_lookback_stateEbbT6_jjT7_P12ihipStream_tbENKUlT_T0_SG_SL_E_clIS7_S7_SB_SB_EEDaSZ_S10_SG_SL_EUlSZ_E_NS1_11comp_targetILNS1_3genE0ELNS1_11target_archE4294967295ELNS1_3gpuE0ELNS1_3repE0EEENS1_47radix_sort_onesweep_sort_config_static_selectorELNS0_4arch9wavefront6targetE1EEEvSG_, .Lfunc_end1398-_ZN7rocprim17ROCPRIM_400000_NS6detail17trampoline_kernelINS0_14default_configENS1_35radix_sort_onesweep_config_selectorIslEEZZNS1_29radix_sort_onesweep_iterationIS3_Lb0EPsS7_N6thrust23THRUST_200600_302600_NS10device_ptrIlEESB_jNS0_19identity_decomposerENS1_16block_id_wrapperIjLb1EEEEE10hipError_tT1_PNSt15iterator_traitsISG_E10value_typeET2_T3_PNSH_ISM_E10value_typeET4_T5_PSR_SS_PNS1_23onesweep_lookback_stateEbbT6_jjT7_P12ihipStream_tbENKUlT_T0_SG_SL_E_clIS7_S7_SB_SB_EEDaSZ_S10_SG_SL_EUlSZ_E_NS1_11comp_targetILNS1_3genE0ELNS1_11target_archE4294967295ELNS1_3gpuE0ELNS1_3repE0EEENS1_47radix_sort_onesweep_sort_config_static_selectorELNS0_4arch9wavefront6targetE1EEEvSG_
                                        ; -- End function
	.set _ZN7rocprim17ROCPRIM_400000_NS6detail17trampoline_kernelINS0_14default_configENS1_35radix_sort_onesweep_config_selectorIslEEZZNS1_29radix_sort_onesweep_iterationIS3_Lb0EPsS7_N6thrust23THRUST_200600_302600_NS10device_ptrIlEESB_jNS0_19identity_decomposerENS1_16block_id_wrapperIjLb1EEEEE10hipError_tT1_PNSt15iterator_traitsISG_E10value_typeET2_T3_PNSH_ISM_E10value_typeET4_T5_PSR_SS_PNS1_23onesweep_lookback_stateEbbT6_jjT7_P12ihipStream_tbENKUlT_T0_SG_SL_E_clIS7_S7_SB_SB_EEDaSZ_S10_SG_SL_EUlSZ_E_NS1_11comp_targetILNS1_3genE0ELNS1_11target_archE4294967295ELNS1_3gpuE0ELNS1_3repE0EEENS1_47radix_sort_onesweep_sort_config_static_selectorELNS0_4arch9wavefront6targetE1EEEvSG_.num_vgpr, 0
	.set _ZN7rocprim17ROCPRIM_400000_NS6detail17trampoline_kernelINS0_14default_configENS1_35radix_sort_onesweep_config_selectorIslEEZZNS1_29radix_sort_onesweep_iterationIS3_Lb0EPsS7_N6thrust23THRUST_200600_302600_NS10device_ptrIlEESB_jNS0_19identity_decomposerENS1_16block_id_wrapperIjLb1EEEEE10hipError_tT1_PNSt15iterator_traitsISG_E10value_typeET2_T3_PNSH_ISM_E10value_typeET4_T5_PSR_SS_PNS1_23onesweep_lookback_stateEbbT6_jjT7_P12ihipStream_tbENKUlT_T0_SG_SL_E_clIS7_S7_SB_SB_EEDaSZ_S10_SG_SL_EUlSZ_E_NS1_11comp_targetILNS1_3genE0ELNS1_11target_archE4294967295ELNS1_3gpuE0ELNS1_3repE0EEENS1_47radix_sort_onesweep_sort_config_static_selectorELNS0_4arch9wavefront6targetE1EEEvSG_.num_agpr, 0
	.set _ZN7rocprim17ROCPRIM_400000_NS6detail17trampoline_kernelINS0_14default_configENS1_35radix_sort_onesweep_config_selectorIslEEZZNS1_29radix_sort_onesweep_iterationIS3_Lb0EPsS7_N6thrust23THRUST_200600_302600_NS10device_ptrIlEESB_jNS0_19identity_decomposerENS1_16block_id_wrapperIjLb1EEEEE10hipError_tT1_PNSt15iterator_traitsISG_E10value_typeET2_T3_PNSH_ISM_E10value_typeET4_T5_PSR_SS_PNS1_23onesweep_lookback_stateEbbT6_jjT7_P12ihipStream_tbENKUlT_T0_SG_SL_E_clIS7_S7_SB_SB_EEDaSZ_S10_SG_SL_EUlSZ_E_NS1_11comp_targetILNS1_3genE0ELNS1_11target_archE4294967295ELNS1_3gpuE0ELNS1_3repE0EEENS1_47radix_sort_onesweep_sort_config_static_selectorELNS0_4arch9wavefront6targetE1EEEvSG_.numbered_sgpr, 0
	.set _ZN7rocprim17ROCPRIM_400000_NS6detail17trampoline_kernelINS0_14default_configENS1_35radix_sort_onesweep_config_selectorIslEEZZNS1_29radix_sort_onesweep_iterationIS3_Lb0EPsS7_N6thrust23THRUST_200600_302600_NS10device_ptrIlEESB_jNS0_19identity_decomposerENS1_16block_id_wrapperIjLb1EEEEE10hipError_tT1_PNSt15iterator_traitsISG_E10value_typeET2_T3_PNSH_ISM_E10value_typeET4_T5_PSR_SS_PNS1_23onesweep_lookback_stateEbbT6_jjT7_P12ihipStream_tbENKUlT_T0_SG_SL_E_clIS7_S7_SB_SB_EEDaSZ_S10_SG_SL_EUlSZ_E_NS1_11comp_targetILNS1_3genE0ELNS1_11target_archE4294967295ELNS1_3gpuE0ELNS1_3repE0EEENS1_47radix_sort_onesweep_sort_config_static_selectorELNS0_4arch9wavefront6targetE1EEEvSG_.num_named_barrier, 0
	.set _ZN7rocprim17ROCPRIM_400000_NS6detail17trampoline_kernelINS0_14default_configENS1_35radix_sort_onesweep_config_selectorIslEEZZNS1_29radix_sort_onesweep_iterationIS3_Lb0EPsS7_N6thrust23THRUST_200600_302600_NS10device_ptrIlEESB_jNS0_19identity_decomposerENS1_16block_id_wrapperIjLb1EEEEE10hipError_tT1_PNSt15iterator_traitsISG_E10value_typeET2_T3_PNSH_ISM_E10value_typeET4_T5_PSR_SS_PNS1_23onesweep_lookback_stateEbbT6_jjT7_P12ihipStream_tbENKUlT_T0_SG_SL_E_clIS7_S7_SB_SB_EEDaSZ_S10_SG_SL_EUlSZ_E_NS1_11comp_targetILNS1_3genE0ELNS1_11target_archE4294967295ELNS1_3gpuE0ELNS1_3repE0EEENS1_47radix_sort_onesweep_sort_config_static_selectorELNS0_4arch9wavefront6targetE1EEEvSG_.private_seg_size, 0
	.set _ZN7rocprim17ROCPRIM_400000_NS6detail17trampoline_kernelINS0_14default_configENS1_35radix_sort_onesweep_config_selectorIslEEZZNS1_29radix_sort_onesweep_iterationIS3_Lb0EPsS7_N6thrust23THRUST_200600_302600_NS10device_ptrIlEESB_jNS0_19identity_decomposerENS1_16block_id_wrapperIjLb1EEEEE10hipError_tT1_PNSt15iterator_traitsISG_E10value_typeET2_T3_PNSH_ISM_E10value_typeET4_T5_PSR_SS_PNS1_23onesweep_lookback_stateEbbT6_jjT7_P12ihipStream_tbENKUlT_T0_SG_SL_E_clIS7_S7_SB_SB_EEDaSZ_S10_SG_SL_EUlSZ_E_NS1_11comp_targetILNS1_3genE0ELNS1_11target_archE4294967295ELNS1_3gpuE0ELNS1_3repE0EEENS1_47radix_sort_onesweep_sort_config_static_selectorELNS0_4arch9wavefront6targetE1EEEvSG_.uses_vcc, 0
	.set _ZN7rocprim17ROCPRIM_400000_NS6detail17trampoline_kernelINS0_14default_configENS1_35radix_sort_onesweep_config_selectorIslEEZZNS1_29radix_sort_onesweep_iterationIS3_Lb0EPsS7_N6thrust23THRUST_200600_302600_NS10device_ptrIlEESB_jNS0_19identity_decomposerENS1_16block_id_wrapperIjLb1EEEEE10hipError_tT1_PNSt15iterator_traitsISG_E10value_typeET2_T3_PNSH_ISM_E10value_typeET4_T5_PSR_SS_PNS1_23onesweep_lookback_stateEbbT6_jjT7_P12ihipStream_tbENKUlT_T0_SG_SL_E_clIS7_S7_SB_SB_EEDaSZ_S10_SG_SL_EUlSZ_E_NS1_11comp_targetILNS1_3genE0ELNS1_11target_archE4294967295ELNS1_3gpuE0ELNS1_3repE0EEENS1_47radix_sort_onesweep_sort_config_static_selectorELNS0_4arch9wavefront6targetE1EEEvSG_.uses_flat_scratch, 0
	.set _ZN7rocprim17ROCPRIM_400000_NS6detail17trampoline_kernelINS0_14default_configENS1_35radix_sort_onesweep_config_selectorIslEEZZNS1_29radix_sort_onesweep_iterationIS3_Lb0EPsS7_N6thrust23THRUST_200600_302600_NS10device_ptrIlEESB_jNS0_19identity_decomposerENS1_16block_id_wrapperIjLb1EEEEE10hipError_tT1_PNSt15iterator_traitsISG_E10value_typeET2_T3_PNSH_ISM_E10value_typeET4_T5_PSR_SS_PNS1_23onesweep_lookback_stateEbbT6_jjT7_P12ihipStream_tbENKUlT_T0_SG_SL_E_clIS7_S7_SB_SB_EEDaSZ_S10_SG_SL_EUlSZ_E_NS1_11comp_targetILNS1_3genE0ELNS1_11target_archE4294967295ELNS1_3gpuE0ELNS1_3repE0EEENS1_47radix_sort_onesweep_sort_config_static_selectorELNS0_4arch9wavefront6targetE1EEEvSG_.has_dyn_sized_stack, 0
	.set _ZN7rocprim17ROCPRIM_400000_NS6detail17trampoline_kernelINS0_14default_configENS1_35radix_sort_onesweep_config_selectorIslEEZZNS1_29radix_sort_onesweep_iterationIS3_Lb0EPsS7_N6thrust23THRUST_200600_302600_NS10device_ptrIlEESB_jNS0_19identity_decomposerENS1_16block_id_wrapperIjLb1EEEEE10hipError_tT1_PNSt15iterator_traitsISG_E10value_typeET2_T3_PNSH_ISM_E10value_typeET4_T5_PSR_SS_PNS1_23onesweep_lookback_stateEbbT6_jjT7_P12ihipStream_tbENKUlT_T0_SG_SL_E_clIS7_S7_SB_SB_EEDaSZ_S10_SG_SL_EUlSZ_E_NS1_11comp_targetILNS1_3genE0ELNS1_11target_archE4294967295ELNS1_3gpuE0ELNS1_3repE0EEENS1_47radix_sort_onesweep_sort_config_static_selectorELNS0_4arch9wavefront6targetE1EEEvSG_.has_recursion, 0
	.set _ZN7rocprim17ROCPRIM_400000_NS6detail17trampoline_kernelINS0_14default_configENS1_35radix_sort_onesweep_config_selectorIslEEZZNS1_29radix_sort_onesweep_iterationIS3_Lb0EPsS7_N6thrust23THRUST_200600_302600_NS10device_ptrIlEESB_jNS0_19identity_decomposerENS1_16block_id_wrapperIjLb1EEEEE10hipError_tT1_PNSt15iterator_traitsISG_E10value_typeET2_T3_PNSH_ISM_E10value_typeET4_T5_PSR_SS_PNS1_23onesweep_lookback_stateEbbT6_jjT7_P12ihipStream_tbENKUlT_T0_SG_SL_E_clIS7_S7_SB_SB_EEDaSZ_S10_SG_SL_EUlSZ_E_NS1_11comp_targetILNS1_3genE0ELNS1_11target_archE4294967295ELNS1_3gpuE0ELNS1_3repE0EEENS1_47radix_sort_onesweep_sort_config_static_selectorELNS0_4arch9wavefront6targetE1EEEvSG_.has_indirect_call, 0
	.section	.AMDGPU.csdata,"",@progbits
; Kernel info:
; codeLenInByte = 0
; TotalNumSgprs: 4
; NumVgprs: 0
; ScratchSize: 0
; MemoryBound: 0
; FloatMode: 240
; IeeeMode: 1
; LDSByteSize: 0 bytes/workgroup (compile time only)
; SGPRBlocks: 0
; VGPRBlocks: 0
; NumSGPRsForWavesPerEU: 4
; NumVGPRsForWavesPerEU: 1
; Occupancy: 10
; WaveLimiterHint : 0
; COMPUTE_PGM_RSRC2:SCRATCH_EN: 0
; COMPUTE_PGM_RSRC2:USER_SGPR: 6
; COMPUTE_PGM_RSRC2:TRAP_HANDLER: 0
; COMPUTE_PGM_RSRC2:TGID_X_EN: 1
; COMPUTE_PGM_RSRC2:TGID_Y_EN: 0
; COMPUTE_PGM_RSRC2:TGID_Z_EN: 0
; COMPUTE_PGM_RSRC2:TIDIG_COMP_CNT: 0
	.section	.text._ZN7rocprim17ROCPRIM_400000_NS6detail17trampoline_kernelINS0_14default_configENS1_35radix_sort_onesweep_config_selectorIslEEZZNS1_29radix_sort_onesweep_iterationIS3_Lb0EPsS7_N6thrust23THRUST_200600_302600_NS10device_ptrIlEESB_jNS0_19identity_decomposerENS1_16block_id_wrapperIjLb1EEEEE10hipError_tT1_PNSt15iterator_traitsISG_E10value_typeET2_T3_PNSH_ISM_E10value_typeET4_T5_PSR_SS_PNS1_23onesweep_lookback_stateEbbT6_jjT7_P12ihipStream_tbENKUlT_T0_SG_SL_E_clIS7_S7_SB_SB_EEDaSZ_S10_SG_SL_EUlSZ_E_NS1_11comp_targetILNS1_3genE6ELNS1_11target_archE950ELNS1_3gpuE13ELNS1_3repE0EEENS1_47radix_sort_onesweep_sort_config_static_selectorELNS0_4arch9wavefront6targetE1EEEvSG_,"axG",@progbits,_ZN7rocprim17ROCPRIM_400000_NS6detail17trampoline_kernelINS0_14default_configENS1_35radix_sort_onesweep_config_selectorIslEEZZNS1_29radix_sort_onesweep_iterationIS3_Lb0EPsS7_N6thrust23THRUST_200600_302600_NS10device_ptrIlEESB_jNS0_19identity_decomposerENS1_16block_id_wrapperIjLb1EEEEE10hipError_tT1_PNSt15iterator_traitsISG_E10value_typeET2_T3_PNSH_ISM_E10value_typeET4_T5_PSR_SS_PNS1_23onesweep_lookback_stateEbbT6_jjT7_P12ihipStream_tbENKUlT_T0_SG_SL_E_clIS7_S7_SB_SB_EEDaSZ_S10_SG_SL_EUlSZ_E_NS1_11comp_targetILNS1_3genE6ELNS1_11target_archE950ELNS1_3gpuE13ELNS1_3repE0EEENS1_47radix_sort_onesweep_sort_config_static_selectorELNS0_4arch9wavefront6targetE1EEEvSG_,comdat
	.protected	_ZN7rocprim17ROCPRIM_400000_NS6detail17trampoline_kernelINS0_14default_configENS1_35radix_sort_onesweep_config_selectorIslEEZZNS1_29radix_sort_onesweep_iterationIS3_Lb0EPsS7_N6thrust23THRUST_200600_302600_NS10device_ptrIlEESB_jNS0_19identity_decomposerENS1_16block_id_wrapperIjLb1EEEEE10hipError_tT1_PNSt15iterator_traitsISG_E10value_typeET2_T3_PNSH_ISM_E10value_typeET4_T5_PSR_SS_PNS1_23onesweep_lookback_stateEbbT6_jjT7_P12ihipStream_tbENKUlT_T0_SG_SL_E_clIS7_S7_SB_SB_EEDaSZ_S10_SG_SL_EUlSZ_E_NS1_11comp_targetILNS1_3genE6ELNS1_11target_archE950ELNS1_3gpuE13ELNS1_3repE0EEENS1_47radix_sort_onesweep_sort_config_static_selectorELNS0_4arch9wavefront6targetE1EEEvSG_ ; -- Begin function _ZN7rocprim17ROCPRIM_400000_NS6detail17trampoline_kernelINS0_14default_configENS1_35radix_sort_onesweep_config_selectorIslEEZZNS1_29radix_sort_onesweep_iterationIS3_Lb0EPsS7_N6thrust23THRUST_200600_302600_NS10device_ptrIlEESB_jNS0_19identity_decomposerENS1_16block_id_wrapperIjLb1EEEEE10hipError_tT1_PNSt15iterator_traitsISG_E10value_typeET2_T3_PNSH_ISM_E10value_typeET4_T5_PSR_SS_PNS1_23onesweep_lookback_stateEbbT6_jjT7_P12ihipStream_tbENKUlT_T0_SG_SL_E_clIS7_S7_SB_SB_EEDaSZ_S10_SG_SL_EUlSZ_E_NS1_11comp_targetILNS1_3genE6ELNS1_11target_archE950ELNS1_3gpuE13ELNS1_3repE0EEENS1_47radix_sort_onesweep_sort_config_static_selectorELNS0_4arch9wavefront6targetE1EEEvSG_
	.globl	_ZN7rocprim17ROCPRIM_400000_NS6detail17trampoline_kernelINS0_14default_configENS1_35radix_sort_onesweep_config_selectorIslEEZZNS1_29radix_sort_onesweep_iterationIS3_Lb0EPsS7_N6thrust23THRUST_200600_302600_NS10device_ptrIlEESB_jNS0_19identity_decomposerENS1_16block_id_wrapperIjLb1EEEEE10hipError_tT1_PNSt15iterator_traitsISG_E10value_typeET2_T3_PNSH_ISM_E10value_typeET4_T5_PSR_SS_PNS1_23onesweep_lookback_stateEbbT6_jjT7_P12ihipStream_tbENKUlT_T0_SG_SL_E_clIS7_S7_SB_SB_EEDaSZ_S10_SG_SL_EUlSZ_E_NS1_11comp_targetILNS1_3genE6ELNS1_11target_archE950ELNS1_3gpuE13ELNS1_3repE0EEENS1_47radix_sort_onesweep_sort_config_static_selectorELNS0_4arch9wavefront6targetE1EEEvSG_
	.p2align	8
	.type	_ZN7rocprim17ROCPRIM_400000_NS6detail17trampoline_kernelINS0_14default_configENS1_35radix_sort_onesweep_config_selectorIslEEZZNS1_29radix_sort_onesweep_iterationIS3_Lb0EPsS7_N6thrust23THRUST_200600_302600_NS10device_ptrIlEESB_jNS0_19identity_decomposerENS1_16block_id_wrapperIjLb1EEEEE10hipError_tT1_PNSt15iterator_traitsISG_E10value_typeET2_T3_PNSH_ISM_E10value_typeET4_T5_PSR_SS_PNS1_23onesweep_lookback_stateEbbT6_jjT7_P12ihipStream_tbENKUlT_T0_SG_SL_E_clIS7_S7_SB_SB_EEDaSZ_S10_SG_SL_EUlSZ_E_NS1_11comp_targetILNS1_3genE6ELNS1_11target_archE950ELNS1_3gpuE13ELNS1_3repE0EEENS1_47radix_sort_onesweep_sort_config_static_selectorELNS0_4arch9wavefront6targetE1EEEvSG_,@function
_ZN7rocprim17ROCPRIM_400000_NS6detail17trampoline_kernelINS0_14default_configENS1_35radix_sort_onesweep_config_selectorIslEEZZNS1_29radix_sort_onesweep_iterationIS3_Lb0EPsS7_N6thrust23THRUST_200600_302600_NS10device_ptrIlEESB_jNS0_19identity_decomposerENS1_16block_id_wrapperIjLb1EEEEE10hipError_tT1_PNSt15iterator_traitsISG_E10value_typeET2_T3_PNSH_ISM_E10value_typeET4_T5_PSR_SS_PNS1_23onesweep_lookback_stateEbbT6_jjT7_P12ihipStream_tbENKUlT_T0_SG_SL_E_clIS7_S7_SB_SB_EEDaSZ_S10_SG_SL_EUlSZ_E_NS1_11comp_targetILNS1_3genE6ELNS1_11target_archE950ELNS1_3gpuE13ELNS1_3repE0EEENS1_47radix_sort_onesweep_sort_config_static_selectorELNS0_4arch9wavefront6targetE1EEEvSG_: ; @_ZN7rocprim17ROCPRIM_400000_NS6detail17trampoline_kernelINS0_14default_configENS1_35radix_sort_onesweep_config_selectorIslEEZZNS1_29radix_sort_onesweep_iterationIS3_Lb0EPsS7_N6thrust23THRUST_200600_302600_NS10device_ptrIlEESB_jNS0_19identity_decomposerENS1_16block_id_wrapperIjLb1EEEEE10hipError_tT1_PNSt15iterator_traitsISG_E10value_typeET2_T3_PNSH_ISM_E10value_typeET4_T5_PSR_SS_PNS1_23onesweep_lookback_stateEbbT6_jjT7_P12ihipStream_tbENKUlT_T0_SG_SL_E_clIS7_S7_SB_SB_EEDaSZ_S10_SG_SL_EUlSZ_E_NS1_11comp_targetILNS1_3genE6ELNS1_11target_archE950ELNS1_3gpuE13ELNS1_3repE0EEENS1_47radix_sort_onesweep_sort_config_static_selectorELNS0_4arch9wavefront6targetE1EEEvSG_
; %bb.0:
	.section	.rodata,"a",@progbits
	.p2align	6, 0x0
	.amdhsa_kernel _ZN7rocprim17ROCPRIM_400000_NS6detail17trampoline_kernelINS0_14default_configENS1_35radix_sort_onesweep_config_selectorIslEEZZNS1_29radix_sort_onesweep_iterationIS3_Lb0EPsS7_N6thrust23THRUST_200600_302600_NS10device_ptrIlEESB_jNS0_19identity_decomposerENS1_16block_id_wrapperIjLb1EEEEE10hipError_tT1_PNSt15iterator_traitsISG_E10value_typeET2_T3_PNSH_ISM_E10value_typeET4_T5_PSR_SS_PNS1_23onesweep_lookback_stateEbbT6_jjT7_P12ihipStream_tbENKUlT_T0_SG_SL_E_clIS7_S7_SB_SB_EEDaSZ_S10_SG_SL_EUlSZ_E_NS1_11comp_targetILNS1_3genE6ELNS1_11target_archE950ELNS1_3gpuE13ELNS1_3repE0EEENS1_47radix_sort_onesweep_sort_config_static_selectorELNS0_4arch9wavefront6targetE1EEEvSG_
		.amdhsa_group_segment_fixed_size 0
		.amdhsa_private_segment_fixed_size 0
		.amdhsa_kernarg_size 88
		.amdhsa_user_sgpr_count 6
		.amdhsa_user_sgpr_private_segment_buffer 1
		.amdhsa_user_sgpr_dispatch_ptr 0
		.amdhsa_user_sgpr_queue_ptr 0
		.amdhsa_user_sgpr_kernarg_segment_ptr 1
		.amdhsa_user_sgpr_dispatch_id 0
		.amdhsa_user_sgpr_flat_scratch_init 0
		.amdhsa_user_sgpr_private_segment_size 0
		.amdhsa_uses_dynamic_stack 0
		.amdhsa_system_sgpr_private_segment_wavefront_offset 0
		.amdhsa_system_sgpr_workgroup_id_x 1
		.amdhsa_system_sgpr_workgroup_id_y 0
		.amdhsa_system_sgpr_workgroup_id_z 0
		.amdhsa_system_sgpr_workgroup_info 0
		.amdhsa_system_vgpr_workitem_id 0
		.amdhsa_next_free_vgpr 1
		.amdhsa_next_free_sgpr 0
		.amdhsa_reserve_vcc 0
		.amdhsa_reserve_flat_scratch 0
		.amdhsa_float_round_mode_32 0
		.amdhsa_float_round_mode_16_64 0
		.amdhsa_float_denorm_mode_32 3
		.amdhsa_float_denorm_mode_16_64 3
		.amdhsa_dx10_clamp 1
		.amdhsa_ieee_mode 1
		.amdhsa_fp16_overflow 0
		.amdhsa_exception_fp_ieee_invalid_op 0
		.amdhsa_exception_fp_denorm_src 0
		.amdhsa_exception_fp_ieee_div_zero 0
		.amdhsa_exception_fp_ieee_overflow 0
		.amdhsa_exception_fp_ieee_underflow 0
		.amdhsa_exception_fp_ieee_inexact 0
		.amdhsa_exception_int_div_zero 0
	.end_amdhsa_kernel
	.section	.text._ZN7rocprim17ROCPRIM_400000_NS6detail17trampoline_kernelINS0_14default_configENS1_35radix_sort_onesweep_config_selectorIslEEZZNS1_29radix_sort_onesweep_iterationIS3_Lb0EPsS7_N6thrust23THRUST_200600_302600_NS10device_ptrIlEESB_jNS0_19identity_decomposerENS1_16block_id_wrapperIjLb1EEEEE10hipError_tT1_PNSt15iterator_traitsISG_E10value_typeET2_T3_PNSH_ISM_E10value_typeET4_T5_PSR_SS_PNS1_23onesweep_lookback_stateEbbT6_jjT7_P12ihipStream_tbENKUlT_T0_SG_SL_E_clIS7_S7_SB_SB_EEDaSZ_S10_SG_SL_EUlSZ_E_NS1_11comp_targetILNS1_3genE6ELNS1_11target_archE950ELNS1_3gpuE13ELNS1_3repE0EEENS1_47radix_sort_onesweep_sort_config_static_selectorELNS0_4arch9wavefront6targetE1EEEvSG_,"axG",@progbits,_ZN7rocprim17ROCPRIM_400000_NS6detail17trampoline_kernelINS0_14default_configENS1_35radix_sort_onesweep_config_selectorIslEEZZNS1_29radix_sort_onesweep_iterationIS3_Lb0EPsS7_N6thrust23THRUST_200600_302600_NS10device_ptrIlEESB_jNS0_19identity_decomposerENS1_16block_id_wrapperIjLb1EEEEE10hipError_tT1_PNSt15iterator_traitsISG_E10value_typeET2_T3_PNSH_ISM_E10value_typeET4_T5_PSR_SS_PNS1_23onesweep_lookback_stateEbbT6_jjT7_P12ihipStream_tbENKUlT_T0_SG_SL_E_clIS7_S7_SB_SB_EEDaSZ_S10_SG_SL_EUlSZ_E_NS1_11comp_targetILNS1_3genE6ELNS1_11target_archE950ELNS1_3gpuE13ELNS1_3repE0EEENS1_47radix_sort_onesweep_sort_config_static_selectorELNS0_4arch9wavefront6targetE1EEEvSG_,comdat
.Lfunc_end1399:
	.size	_ZN7rocprim17ROCPRIM_400000_NS6detail17trampoline_kernelINS0_14default_configENS1_35radix_sort_onesweep_config_selectorIslEEZZNS1_29radix_sort_onesweep_iterationIS3_Lb0EPsS7_N6thrust23THRUST_200600_302600_NS10device_ptrIlEESB_jNS0_19identity_decomposerENS1_16block_id_wrapperIjLb1EEEEE10hipError_tT1_PNSt15iterator_traitsISG_E10value_typeET2_T3_PNSH_ISM_E10value_typeET4_T5_PSR_SS_PNS1_23onesweep_lookback_stateEbbT6_jjT7_P12ihipStream_tbENKUlT_T0_SG_SL_E_clIS7_S7_SB_SB_EEDaSZ_S10_SG_SL_EUlSZ_E_NS1_11comp_targetILNS1_3genE6ELNS1_11target_archE950ELNS1_3gpuE13ELNS1_3repE0EEENS1_47radix_sort_onesweep_sort_config_static_selectorELNS0_4arch9wavefront6targetE1EEEvSG_, .Lfunc_end1399-_ZN7rocprim17ROCPRIM_400000_NS6detail17trampoline_kernelINS0_14default_configENS1_35radix_sort_onesweep_config_selectorIslEEZZNS1_29radix_sort_onesweep_iterationIS3_Lb0EPsS7_N6thrust23THRUST_200600_302600_NS10device_ptrIlEESB_jNS0_19identity_decomposerENS1_16block_id_wrapperIjLb1EEEEE10hipError_tT1_PNSt15iterator_traitsISG_E10value_typeET2_T3_PNSH_ISM_E10value_typeET4_T5_PSR_SS_PNS1_23onesweep_lookback_stateEbbT6_jjT7_P12ihipStream_tbENKUlT_T0_SG_SL_E_clIS7_S7_SB_SB_EEDaSZ_S10_SG_SL_EUlSZ_E_NS1_11comp_targetILNS1_3genE6ELNS1_11target_archE950ELNS1_3gpuE13ELNS1_3repE0EEENS1_47radix_sort_onesweep_sort_config_static_selectorELNS0_4arch9wavefront6targetE1EEEvSG_
                                        ; -- End function
	.set _ZN7rocprim17ROCPRIM_400000_NS6detail17trampoline_kernelINS0_14default_configENS1_35radix_sort_onesweep_config_selectorIslEEZZNS1_29radix_sort_onesweep_iterationIS3_Lb0EPsS7_N6thrust23THRUST_200600_302600_NS10device_ptrIlEESB_jNS0_19identity_decomposerENS1_16block_id_wrapperIjLb1EEEEE10hipError_tT1_PNSt15iterator_traitsISG_E10value_typeET2_T3_PNSH_ISM_E10value_typeET4_T5_PSR_SS_PNS1_23onesweep_lookback_stateEbbT6_jjT7_P12ihipStream_tbENKUlT_T0_SG_SL_E_clIS7_S7_SB_SB_EEDaSZ_S10_SG_SL_EUlSZ_E_NS1_11comp_targetILNS1_3genE6ELNS1_11target_archE950ELNS1_3gpuE13ELNS1_3repE0EEENS1_47radix_sort_onesweep_sort_config_static_selectorELNS0_4arch9wavefront6targetE1EEEvSG_.num_vgpr, 0
	.set _ZN7rocprim17ROCPRIM_400000_NS6detail17trampoline_kernelINS0_14default_configENS1_35radix_sort_onesweep_config_selectorIslEEZZNS1_29radix_sort_onesweep_iterationIS3_Lb0EPsS7_N6thrust23THRUST_200600_302600_NS10device_ptrIlEESB_jNS0_19identity_decomposerENS1_16block_id_wrapperIjLb1EEEEE10hipError_tT1_PNSt15iterator_traitsISG_E10value_typeET2_T3_PNSH_ISM_E10value_typeET4_T5_PSR_SS_PNS1_23onesweep_lookback_stateEbbT6_jjT7_P12ihipStream_tbENKUlT_T0_SG_SL_E_clIS7_S7_SB_SB_EEDaSZ_S10_SG_SL_EUlSZ_E_NS1_11comp_targetILNS1_3genE6ELNS1_11target_archE950ELNS1_3gpuE13ELNS1_3repE0EEENS1_47radix_sort_onesweep_sort_config_static_selectorELNS0_4arch9wavefront6targetE1EEEvSG_.num_agpr, 0
	.set _ZN7rocprim17ROCPRIM_400000_NS6detail17trampoline_kernelINS0_14default_configENS1_35radix_sort_onesweep_config_selectorIslEEZZNS1_29radix_sort_onesweep_iterationIS3_Lb0EPsS7_N6thrust23THRUST_200600_302600_NS10device_ptrIlEESB_jNS0_19identity_decomposerENS1_16block_id_wrapperIjLb1EEEEE10hipError_tT1_PNSt15iterator_traitsISG_E10value_typeET2_T3_PNSH_ISM_E10value_typeET4_T5_PSR_SS_PNS1_23onesweep_lookback_stateEbbT6_jjT7_P12ihipStream_tbENKUlT_T0_SG_SL_E_clIS7_S7_SB_SB_EEDaSZ_S10_SG_SL_EUlSZ_E_NS1_11comp_targetILNS1_3genE6ELNS1_11target_archE950ELNS1_3gpuE13ELNS1_3repE0EEENS1_47radix_sort_onesweep_sort_config_static_selectorELNS0_4arch9wavefront6targetE1EEEvSG_.numbered_sgpr, 0
	.set _ZN7rocprim17ROCPRIM_400000_NS6detail17trampoline_kernelINS0_14default_configENS1_35radix_sort_onesweep_config_selectorIslEEZZNS1_29radix_sort_onesweep_iterationIS3_Lb0EPsS7_N6thrust23THRUST_200600_302600_NS10device_ptrIlEESB_jNS0_19identity_decomposerENS1_16block_id_wrapperIjLb1EEEEE10hipError_tT1_PNSt15iterator_traitsISG_E10value_typeET2_T3_PNSH_ISM_E10value_typeET4_T5_PSR_SS_PNS1_23onesweep_lookback_stateEbbT6_jjT7_P12ihipStream_tbENKUlT_T0_SG_SL_E_clIS7_S7_SB_SB_EEDaSZ_S10_SG_SL_EUlSZ_E_NS1_11comp_targetILNS1_3genE6ELNS1_11target_archE950ELNS1_3gpuE13ELNS1_3repE0EEENS1_47radix_sort_onesweep_sort_config_static_selectorELNS0_4arch9wavefront6targetE1EEEvSG_.num_named_barrier, 0
	.set _ZN7rocprim17ROCPRIM_400000_NS6detail17trampoline_kernelINS0_14default_configENS1_35radix_sort_onesweep_config_selectorIslEEZZNS1_29radix_sort_onesweep_iterationIS3_Lb0EPsS7_N6thrust23THRUST_200600_302600_NS10device_ptrIlEESB_jNS0_19identity_decomposerENS1_16block_id_wrapperIjLb1EEEEE10hipError_tT1_PNSt15iterator_traitsISG_E10value_typeET2_T3_PNSH_ISM_E10value_typeET4_T5_PSR_SS_PNS1_23onesweep_lookback_stateEbbT6_jjT7_P12ihipStream_tbENKUlT_T0_SG_SL_E_clIS7_S7_SB_SB_EEDaSZ_S10_SG_SL_EUlSZ_E_NS1_11comp_targetILNS1_3genE6ELNS1_11target_archE950ELNS1_3gpuE13ELNS1_3repE0EEENS1_47radix_sort_onesweep_sort_config_static_selectorELNS0_4arch9wavefront6targetE1EEEvSG_.private_seg_size, 0
	.set _ZN7rocprim17ROCPRIM_400000_NS6detail17trampoline_kernelINS0_14default_configENS1_35radix_sort_onesweep_config_selectorIslEEZZNS1_29radix_sort_onesweep_iterationIS3_Lb0EPsS7_N6thrust23THRUST_200600_302600_NS10device_ptrIlEESB_jNS0_19identity_decomposerENS1_16block_id_wrapperIjLb1EEEEE10hipError_tT1_PNSt15iterator_traitsISG_E10value_typeET2_T3_PNSH_ISM_E10value_typeET4_T5_PSR_SS_PNS1_23onesweep_lookback_stateEbbT6_jjT7_P12ihipStream_tbENKUlT_T0_SG_SL_E_clIS7_S7_SB_SB_EEDaSZ_S10_SG_SL_EUlSZ_E_NS1_11comp_targetILNS1_3genE6ELNS1_11target_archE950ELNS1_3gpuE13ELNS1_3repE0EEENS1_47radix_sort_onesweep_sort_config_static_selectorELNS0_4arch9wavefront6targetE1EEEvSG_.uses_vcc, 0
	.set _ZN7rocprim17ROCPRIM_400000_NS6detail17trampoline_kernelINS0_14default_configENS1_35radix_sort_onesweep_config_selectorIslEEZZNS1_29radix_sort_onesweep_iterationIS3_Lb0EPsS7_N6thrust23THRUST_200600_302600_NS10device_ptrIlEESB_jNS0_19identity_decomposerENS1_16block_id_wrapperIjLb1EEEEE10hipError_tT1_PNSt15iterator_traitsISG_E10value_typeET2_T3_PNSH_ISM_E10value_typeET4_T5_PSR_SS_PNS1_23onesweep_lookback_stateEbbT6_jjT7_P12ihipStream_tbENKUlT_T0_SG_SL_E_clIS7_S7_SB_SB_EEDaSZ_S10_SG_SL_EUlSZ_E_NS1_11comp_targetILNS1_3genE6ELNS1_11target_archE950ELNS1_3gpuE13ELNS1_3repE0EEENS1_47radix_sort_onesweep_sort_config_static_selectorELNS0_4arch9wavefront6targetE1EEEvSG_.uses_flat_scratch, 0
	.set _ZN7rocprim17ROCPRIM_400000_NS6detail17trampoline_kernelINS0_14default_configENS1_35radix_sort_onesweep_config_selectorIslEEZZNS1_29radix_sort_onesweep_iterationIS3_Lb0EPsS7_N6thrust23THRUST_200600_302600_NS10device_ptrIlEESB_jNS0_19identity_decomposerENS1_16block_id_wrapperIjLb1EEEEE10hipError_tT1_PNSt15iterator_traitsISG_E10value_typeET2_T3_PNSH_ISM_E10value_typeET4_T5_PSR_SS_PNS1_23onesweep_lookback_stateEbbT6_jjT7_P12ihipStream_tbENKUlT_T0_SG_SL_E_clIS7_S7_SB_SB_EEDaSZ_S10_SG_SL_EUlSZ_E_NS1_11comp_targetILNS1_3genE6ELNS1_11target_archE950ELNS1_3gpuE13ELNS1_3repE0EEENS1_47radix_sort_onesweep_sort_config_static_selectorELNS0_4arch9wavefront6targetE1EEEvSG_.has_dyn_sized_stack, 0
	.set _ZN7rocprim17ROCPRIM_400000_NS6detail17trampoline_kernelINS0_14default_configENS1_35radix_sort_onesweep_config_selectorIslEEZZNS1_29radix_sort_onesweep_iterationIS3_Lb0EPsS7_N6thrust23THRUST_200600_302600_NS10device_ptrIlEESB_jNS0_19identity_decomposerENS1_16block_id_wrapperIjLb1EEEEE10hipError_tT1_PNSt15iterator_traitsISG_E10value_typeET2_T3_PNSH_ISM_E10value_typeET4_T5_PSR_SS_PNS1_23onesweep_lookback_stateEbbT6_jjT7_P12ihipStream_tbENKUlT_T0_SG_SL_E_clIS7_S7_SB_SB_EEDaSZ_S10_SG_SL_EUlSZ_E_NS1_11comp_targetILNS1_3genE6ELNS1_11target_archE950ELNS1_3gpuE13ELNS1_3repE0EEENS1_47radix_sort_onesweep_sort_config_static_selectorELNS0_4arch9wavefront6targetE1EEEvSG_.has_recursion, 0
	.set _ZN7rocprim17ROCPRIM_400000_NS6detail17trampoline_kernelINS0_14default_configENS1_35radix_sort_onesweep_config_selectorIslEEZZNS1_29radix_sort_onesweep_iterationIS3_Lb0EPsS7_N6thrust23THRUST_200600_302600_NS10device_ptrIlEESB_jNS0_19identity_decomposerENS1_16block_id_wrapperIjLb1EEEEE10hipError_tT1_PNSt15iterator_traitsISG_E10value_typeET2_T3_PNSH_ISM_E10value_typeET4_T5_PSR_SS_PNS1_23onesweep_lookback_stateEbbT6_jjT7_P12ihipStream_tbENKUlT_T0_SG_SL_E_clIS7_S7_SB_SB_EEDaSZ_S10_SG_SL_EUlSZ_E_NS1_11comp_targetILNS1_3genE6ELNS1_11target_archE950ELNS1_3gpuE13ELNS1_3repE0EEENS1_47radix_sort_onesweep_sort_config_static_selectorELNS0_4arch9wavefront6targetE1EEEvSG_.has_indirect_call, 0
	.section	.AMDGPU.csdata,"",@progbits
; Kernel info:
; codeLenInByte = 0
; TotalNumSgprs: 4
; NumVgprs: 0
; ScratchSize: 0
; MemoryBound: 0
; FloatMode: 240
; IeeeMode: 1
; LDSByteSize: 0 bytes/workgroup (compile time only)
; SGPRBlocks: 0
; VGPRBlocks: 0
; NumSGPRsForWavesPerEU: 4
; NumVGPRsForWavesPerEU: 1
; Occupancy: 10
; WaveLimiterHint : 0
; COMPUTE_PGM_RSRC2:SCRATCH_EN: 0
; COMPUTE_PGM_RSRC2:USER_SGPR: 6
; COMPUTE_PGM_RSRC2:TRAP_HANDLER: 0
; COMPUTE_PGM_RSRC2:TGID_X_EN: 1
; COMPUTE_PGM_RSRC2:TGID_Y_EN: 0
; COMPUTE_PGM_RSRC2:TGID_Z_EN: 0
; COMPUTE_PGM_RSRC2:TIDIG_COMP_CNT: 0
	.section	.text._ZN7rocprim17ROCPRIM_400000_NS6detail17trampoline_kernelINS0_14default_configENS1_35radix_sort_onesweep_config_selectorIslEEZZNS1_29radix_sort_onesweep_iterationIS3_Lb0EPsS7_N6thrust23THRUST_200600_302600_NS10device_ptrIlEESB_jNS0_19identity_decomposerENS1_16block_id_wrapperIjLb1EEEEE10hipError_tT1_PNSt15iterator_traitsISG_E10value_typeET2_T3_PNSH_ISM_E10value_typeET4_T5_PSR_SS_PNS1_23onesweep_lookback_stateEbbT6_jjT7_P12ihipStream_tbENKUlT_T0_SG_SL_E_clIS7_S7_SB_SB_EEDaSZ_S10_SG_SL_EUlSZ_E_NS1_11comp_targetILNS1_3genE5ELNS1_11target_archE942ELNS1_3gpuE9ELNS1_3repE0EEENS1_47radix_sort_onesweep_sort_config_static_selectorELNS0_4arch9wavefront6targetE1EEEvSG_,"axG",@progbits,_ZN7rocprim17ROCPRIM_400000_NS6detail17trampoline_kernelINS0_14default_configENS1_35radix_sort_onesweep_config_selectorIslEEZZNS1_29radix_sort_onesweep_iterationIS3_Lb0EPsS7_N6thrust23THRUST_200600_302600_NS10device_ptrIlEESB_jNS0_19identity_decomposerENS1_16block_id_wrapperIjLb1EEEEE10hipError_tT1_PNSt15iterator_traitsISG_E10value_typeET2_T3_PNSH_ISM_E10value_typeET4_T5_PSR_SS_PNS1_23onesweep_lookback_stateEbbT6_jjT7_P12ihipStream_tbENKUlT_T0_SG_SL_E_clIS7_S7_SB_SB_EEDaSZ_S10_SG_SL_EUlSZ_E_NS1_11comp_targetILNS1_3genE5ELNS1_11target_archE942ELNS1_3gpuE9ELNS1_3repE0EEENS1_47radix_sort_onesweep_sort_config_static_selectorELNS0_4arch9wavefront6targetE1EEEvSG_,comdat
	.protected	_ZN7rocprim17ROCPRIM_400000_NS6detail17trampoline_kernelINS0_14default_configENS1_35radix_sort_onesweep_config_selectorIslEEZZNS1_29radix_sort_onesweep_iterationIS3_Lb0EPsS7_N6thrust23THRUST_200600_302600_NS10device_ptrIlEESB_jNS0_19identity_decomposerENS1_16block_id_wrapperIjLb1EEEEE10hipError_tT1_PNSt15iterator_traitsISG_E10value_typeET2_T3_PNSH_ISM_E10value_typeET4_T5_PSR_SS_PNS1_23onesweep_lookback_stateEbbT6_jjT7_P12ihipStream_tbENKUlT_T0_SG_SL_E_clIS7_S7_SB_SB_EEDaSZ_S10_SG_SL_EUlSZ_E_NS1_11comp_targetILNS1_3genE5ELNS1_11target_archE942ELNS1_3gpuE9ELNS1_3repE0EEENS1_47radix_sort_onesweep_sort_config_static_selectorELNS0_4arch9wavefront6targetE1EEEvSG_ ; -- Begin function _ZN7rocprim17ROCPRIM_400000_NS6detail17trampoline_kernelINS0_14default_configENS1_35radix_sort_onesweep_config_selectorIslEEZZNS1_29radix_sort_onesweep_iterationIS3_Lb0EPsS7_N6thrust23THRUST_200600_302600_NS10device_ptrIlEESB_jNS0_19identity_decomposerENS1_16block_id_wrapperIjLb1EEEEE10hipError_tT1_PNSt15iterator_traitsISG_E10value_typeET2_T3_PNSH_ISM_E10value_typeET4_T5_PSR_SS_PNS1_23onesweep_lookback_stateEbbT6_jjT7_P12ihipStream_tbENKUlT_T0_SG_SL_E_clIS7_S7_SB_SB_EEDaSZ_S10_SG_SL_EUlSZ_E_NS1_11comp_targetILNS1_3genE5ELNS1_11target_archE942ELNS1_3gpuE9ELNS1_3repE0EEENS1_47radix_sort_onesweep_sort_config_static_selectorELNS0_4arch9wavefront6targetE1EEEvSG_
	.globl	_ZN7rocprim17ROCPRIM_400000_NS6detail17trampoline_kernelINS0_14default_configENS1_35radix_sort_onesweep_config_selectorIslEEZZNS1_29radix_sort_onesweep_iterationIS3_Lb0EPsS7_N6thrust23THRUST_200600_302600_NS10device_ptrIlEESB_jNS0_19identity_decomposerENS1_16block_id_wrapperIjLb1EEEEE10hipError_tT1_PNSt15iterator_traitsISG_E10value_typeET2_T3_PNSH_ISM_E10value_typeET4_T5_PSR_SS_PNS1_23onesweep_lookback_stateEbbT6_jjT7_P12ihipStream_tbENKUlT_T0_SG_SL_E_clIS7_S7_SB_SB_EEDaSZ_S10_SG_SL_EUlSZ_E_NS1_11comp_targetILNS1_3genE5ELNS1_11target_archE942ELNS1_3gpuE9ELNS1_3repE0EEENS1_47radix_sort_onesweep_sort_config_static_selectorELNS0_4arch9wavefront6targetE1EEEvSG_
	.p2align	8
	.type	_ZN7rocprim17ROCPRIM_400000_NS6detail17trampoline_kernelINS0_14default_configENS1_35radix_sort_onesweep_config_selectorIslEEZZNS1_29radix_sort_onesweep_iterationIS3_Lb0EPsS7_N6thrust23THRUST_200600_302600_NS10device_ptrIlEESB_jNS0_19identity_decomposerENS1_16block_id_wrapperIjLb1EEEEE10hipError_tT1_PNSt15iterator_traitsISG_E10value_typeET2_T3_PNSH_ISM_E10value_typeET4_T5_PSR_SS_PNS1_23onesweep_lookback_stateEbbT6_jjT7_P12ihipStream_tbENKUlT_T0_SG_SL_E_clIS7_S7_SB_SB_EEDaSZ_S10_SG_SL_EUlSZ_E_NS1_11comp_targetILNS1_3genE5ELNS1_11target_archE942ELNS1_3gpuE9ELNS1_3repE0EEENS1_47radix_sort_onesweep_sort_config_static_selectorELNS0_4arch9wavefront6targetE1EEEvSG_,@function
_ZN7rocprim17ROCPRIM_400000_NS6detail17trampoline_kernelINS0_14default_configENS1_35radix_sort_onesweep_config_selectorIslEEZZNS1_29radix_sort_onesweep_iterationIS3_Lb0EPsS7_N6thrust23THRUST_200600_302600_NS10device_ptrIlEESB_jNS0_19identity_decomposerENS1_16block_id_wrapperIjLb1EEEEE10hipError_tT1_PNSt15iterator_traitsISG_E10value_typeET2_T3_PNSH_ISM_E10value_typeET4_T5_PSR_SS_PNS1_23onesweep_lookback_stateEbbT6_jjT7_P12ihipStream_tbENKUlT_T0_SG_SL_E_clIS7_S7_SB_SB_EEDaSZ_S10_SG_SL_EUlSZ_E_NS1_11comp_targetILNS1_3genE5ELNS1_11target_archE942ELNS1_3gpuE9ELNS1_3repE0EEENS1_47radix_sort_onesweep_sort_config_static_selectorELNS0_4arch9wavefront6targetE1EEEvSG_: ; @_ZN7rocprim17ROCPRIM_400000_NS6detail17trampoline_kernelINS0_14default_configENS1_35radix_sort_onesweep_config_selectorIslEEZZNS1_29radix_sort_onesweep_iterationIS3_Lb0EPsS7_N6thrust23THRUST_200600_302600_NS10device_ptrIlEESB_jNS0_19identity_decomposerENS1_16block_id_wrapperIjLb1EEEEE10hipError_tT1_PNSt15iterator_traitsISG_E10value_typeET2_T3_PNSH_ISM_E10value_typeET4_T5_PSR_SS_PNS1_23onesweep_lookback_stateEbbT6_jjT7_P12ihipStream_tbENKUlT_T0_SG_SL_E_clIS7_S7_SB_SB_EEDaSZ_S10_SG_SL_EUlSZ_E_NS1_11comp_targetILNS1_3genE5ELNS1_11target_archE942ELNS1_3gpuE9ELNS1_3repE0EEENS1_47radix_sort_onesweep_sort_config_static_selectorELNS0_4arch9wavefront6targetE1EEEvSG_
; %bb.0:
	.section	.rodata,"a",@progbits
	.p2align	6, 0x0
	.amdhsa_kernel _ZN7rocprim17ROCPRIM_400000_NS6detail17trampoline_kernelINS0_14default_configENS1_35radix_sort_onesweep_config_selectorIslEEZZNS1_29radix_sort_onesweep_iterationIS3_Lb0EPsS7_N6thrust23THRUST_200600_302600_NS10device_ptrIlEESB_jNS0_19identity_decomposerENS1_16block_id_wrapperIjLb1EEEEE10hipError_tT1_PNSt15iterator_traitsISG_E10value_typeET2_T3_PNSH_ISM_E10value_typeET4_T5_PSR_SS_PNS1_23onesweep_lookback_stateEbbT6_jjT7_P12ihipStream_tbENKUlT_T0_SG_SL_E_clIS7_S7_SB_SB_EEDaSZ_S10_SG_SL_EUlSZ_E_NS1_11comp_targetILNS1_3genE5ELNS1_11target_archE942ELNS1_3gpuE9ELNS1_3repE0EEENS1_47radix_sort_onesweep_sort_config_static_selectorELNS0_4arch9wavefront6targetE1EEEvSG_
		.amdhsa_group_segment_fixed_size 0
		.amdhsa_private_segment_fixed_size 0
		.amdhsa_kernarg_size 88
		.amdhsa_user_sgpr_count 6
		.amdhsa_user_sgpr_private_segment_buffer 1
		.amdhsa_user_sgpr_dispatch_ptr 0
		.amdhsa_user_sgpr_queue_ptr 0
		.amdhsa_user_sgpr_kernarg_segment_ptr 1
		.amdhsa_user_sgpr_dispatch_id 0
		.amdhsa_user_sgpr_flat_scratch_init 0
		.amdhsa_user_sgpr_private_segment_size 0
		.amdhsa_uses_dynamic_stack 0
		.amdhsa_system_sgpr_private_segment_wavefront_offset 0
		.amdhsa_system_sgpr_workgroup_id_x 1
		.amdhsa_system_sgpr_workgroup_id_y 0
		.amdhsa_system_sgpr_workgroup_id_z 0
		.amdhsa_system_sgpr_workgroup_info 0
		.amdhsa_system_vgpr_workitem_id 0
		.amdhsa_next_free_vgpr 1
		.amdhsa_next_free_sgpr 0
		.amdhsa_reserve_vcc 0
		.amdhsa_reserve_flat_scratch 0
		.amdhsa_float_round_mode_32 0
		.amdhsa_float_round_mode_16_64 0
		.amdhsa_float_denorm_mode_32 3
		.amdhsa_float_denorm_mode_16_64 3
		.amdhsa_dx10_clamp 1
		.amdhsa_ieee_mode 1
		.amdhsa_fp16_overflow 0
		.amdhsa_exception_fp_ieee_invalid_op 0
		.amdhsa_exception_fp_denorm_src 0
		.amdhsa_exception_fp_ieee_div_zero 0
		.amdhsa_exception_fp_ieee_overflow 0
		.amdhsa_exception_fp_ieee_underflow 0
		.amdhsa_exception_fp_ieee_inexact 0
		.amdhsa_exception_int_div_zero 0
	.end_amdhsa_kernel
	.section	.text._ZN7rocprim17ROCPRIM_400000_NS6detail17trampoline_kernelINS0_14default_configENS1_35radix_sort_onesweep_config_selectorIslEEZZNS1_29radix_sort_onesweep_iterationIS3_Lb0EPsS7_N6thrust23THRUST_200600_302600_NS10device_ptrIlEESB_jNS0_19identity_decomposerENS1_16block_id_wrapperIjLb1EEEEE10hipError_tT1_PNSt15iterator_traitsISG_E10value_typeET2_T3_PNSH_ISM_E10value_typeET4_T5_PSR_SS_PNS1_23onesweep_lookback_stateEbbT6_jjT7_P12ihipStream_tbENKUlT_T0_SG_SL_E_clIS7_S7_SB_SB_EEDaSZ_S10_SG_SL_EUlSZ_E_NS1_11comp_targetILNS1_3genE5ELNS1_11target_archE942ELNS1_3gpuE9ELNS1_3repE0EEENS1_47radix_sort_onesweep_sort_config_static_selectorELNS0_4arch9wavefront6targetE1EEEvSG_,"axG",@progbits,_ZN7rocprim17ROCPRIM_400000_NS6detail17trampoline_kernelINS0_14default_configENS1_35radix_sort_onesweep_config_selectorIslEEZZNS1_29radix_sort_onesweep_iterationIS3_Lb0EPsS7_N6thrust23THRUST_200600_302600_NS10device_ptrIlEESB_jNS0_19identity_decomposerENS1_16block_id_wrapperIjLb1EEEEE10hipError_tT1_PNSt15iterator_traitsISG_E10value_typeET2_T3_PNSH_ISM_E10value_typeET4_T5_PSR_SS_PNS1_23onesweep_lookback_stateEbbT6_jjT7_P12ihipStream_tbENKUlT_T0_SG_SL_E_clIS7_S7_SB_SB_EEDaSZ_S10_SG_SL_EUlSZ_E_NS1_11comp_targetILNS1_3genE5ELNS1_11target_archE942ELNS1_3gpuE9ELNS1_3repE0EEENS1_47radix_sort_onesweep_sort_config_static_selectorELNS0_4arch9wavefront6targetE1EEEvSG_,comdat
.Lfunc_end1400:
	.size	_ZN7rocprim17ROCPRIM_400000_NS6detail17trampoline_kernelINS0_14default_configENS1_35radix_sort_onesweep_config_selectorIslEEZZNS1_29radix_sort_onesweep_iterationIS3_Lb0EPsS7_N6thrust23THRUST_200600_302600_NS10device_ptrIlEESB_jNS0_19identity_decomposerENS1_16block_id_wrapperIjLb1EEEEE10hipError_tT1_PNSt15iterator_traitsISG_E10value_typeET2_T3_PNSH_ISM_E10value_typeET4_T5_PSR_SS_PNS1_23onesweep_lookback_stateEbbT6_jjT7_P12ihipStream_tbENKUlT_T0_SG_SL_E_clIS7_S7_SB_SB_EEDaSZ_S10_SG_SL_EUlSZ_E_NS1_11comp_targetILNS1_3genE5ELNS1_11target_archE942ELNS1_3gpuE9ELNS1_3repE0EEENS1_47radix_sort_onesweep_sort_config_static_selectorELNS0_4arch9wavefront6targetE1EEEvSG_, .Lfunc_end1400-_ZN7rocprim17ROCPRIM_400000_NS6detail17trampoline_kernelINS0_14default_configENS1_35radix_sort_onesweep_config_selectorIslEEZZNS1_29radix_sort_onesweep_iterationIS3_Lb0EPsS7_N6thrust23THRUST_200600_302600_NS10device_ptrIlEESB_jNS0_19identity_decomposerENS1_16block_id_wrapperIjLb1EEEEE10hipError_tT1_PNSt15iterator_traitsISG_E10value_typeET2_T3_PNSH_ISM_E10value_typeET4_T5_PSR_SS_PNS1_23onesweep_lookback_stateEbbT6_jjT7_P12ihipStream_tbENKUlT_T0_SG_SL_E_clIS7_S7_SB_SB_EEDaSZ_S10_SG_SL_EUlSZ_E_NS1_11comp_targetILNS1_3genE5ELNS1_11target_archE942ELNS1_3gpuE9ELNS1_3repE0EEENS1_47radix_sort_onesweep_sort_config_static_selectorELNS0_4arch9wavefront6targetE1EEEvSG_
                                        ; -- End function
	.set _ZN7rocprim17ROCPRIM_400000_NS6detail17trampoline_kernelINS0_14default_configENS1_35radix_sort_onesweep_config_selectorIslEEZZNS1_29radix_sort_onesweep_iterationIS3_Lb0EPsS7_N6thrust23THRUST_200600_302600_NS10device_ptrIlEESB_jNS0_19identity_decomposerENS1_16block_id_wrapperIjLb1EEEEE10hipError_tT1_PNSt15iterator_traitsISG_E10value_typeET2_T3_PNSH_ISM_E10value_typeET4_T5_PSR_SS_PNS1_23onesweep_lookback_stateEbbT6_jjT7_P12ihipStream_tbENKUlT_T0_SG_SL_E_clIS7_S7_SB_SB_EEDaSZ_S10_SG_SL_EUlSZ_E_NS1_11comp_targetILNS1_3genE5ELNS1_11target_archE942ELNS1_3gpuE9ELNS1_3repE0EEENS1_47radix_sort_onesweep_sort_config_static_selectorELNS0_4arch9wavefront6targetE1EEEvSG_.num_vgpr, 0
	.set _ZN7rocprim17ROCPRIM_400000_NS6detail17trampoline_kernelINS0_14default_configENS1_35radix_sort_onesweep_config_selectorIslEEZZNS1_29radix_sort_onesweep_iterationIS3_Lb0EPsS7_N6thrust23THRUST_200600_302600_NS10device_ptrIlEESB_jNS0_19identity_decomposerENS1_16block_id_wrapperIjLb1EEEEE10hipError_tT1_PNSt15iterator_traitsISG_E10value_typeET2_T3_PNSH_ISM_E10value_typeET4_T5_PSR_SS_PNS1_23onesweep_lookback_stateEbbT6_jjT7_P12ihipStream_tbENKUlT_T0_SG_SL_E_clIS7_S7_SB_SB_EEDaSZ_S10_SG_SL_EUlSZ_E_NS1_11comp_targetILNS1_3genE5ELNS1_11target_archE942ELNS1_3gpuE9ELNS1_3repE0EEENS1_47radix_sort_onesweep_sort_config_static_selectorELNS0_4arch9wavefront6targetE1EEEvSG_.num_agpr, 0
	.set _ZN7rocprim17ROCPRIM_400000_NS6detail17trampoline_kernelINS0_14default_configENS1_35radix_sort_onesweep_config_selectorIslEEZZNS1_29radix_sort_onesweep_iterationIS3_Lb0EPsS7_N6thrust23THRUST_200600_302600_NS10device_ptrIlEESB_jNS0_19identity_decomposerENS1_16block_id_wrapperIjLb1EEEEE10hipError_tT1_PNSt15iterator_traitsISG_E10value_typeET2_T3_PNSH_ISM_E10value_typeET4_T5_PSR_SS_PNS1_23onesweep_lookback_stateEbbT6_jjT7_P12ihipStream_tbENKUlT_T0_SG_SL_E_clIS7_S7_SB_SB_EEDaSZ_S10_SG_SL_EUlSZ_E_NS1_11comp_targetILNS1_3genE5ELNS1_11target_archE942ELNS1_3gpuE9ELNS1_3repE0EEENS1_47radix_sort_onesweep_sort_config_static_selectorELNS0_4arch9wavefront6targetE1EEEvSG_.numbered_sgpr, 0
	.set _ZN7rocprim17ROCPRIM_400000_NS6detail17trampoline_kernelINS0_14default_configENS1_35radix_sort_onesweep_config_selectorIslEEZZNS1_29radix_sort_onesweep_iterationIS3_Lb0EPsS7_N6thrust23THRUST_200600_302600_NS10device_ptrIlEESB_jNS0_19identity_decomposerENS1_16block_id_wrapperIjLb1EEEEE10hipError_tT1_PNSt15iterator_traitsISG_E10value_typeET2_T3_PNSH_ISM_E10value_typeET4_T5_PSR_SS_PNS1_23onesweep_lookback_stateEbbT6_jjT7_P12ihipStream_tbENKUlT_T0_SG_SL_E_clIS7_S7_SB_SB_EEDaSZ_S10_SG_SL_EUlSZ_E_NS1_11comp_targetILNS1_3genE5ELNS1_11target_archE942ELNS1_3gpuE9ELNS1_3repE0EEENS1_47radix_sort_onesweep_sort_config_static_selectorELNS0_4arch9wavefront6targetE1EEEvSG_.num_named_barrier, 0
	.set _ZN7rocprim17ROCPRIM_400000_NS6detail17trampoline_kernelINS0_14default_configENS1_35radix_sort_onesweep_config_selectorIslEEZZNS1_29radix_sort_onesweep_iterationIS3_Lb0EPsS7_N6thrust23THRUST_200600_302600_NS10device_ptrIlEESB_jNS0_19identity_decomposerENS1_16block_id_wrapperIjLb1EEEEE10hipError_tT1_PNSt15iterator_traitsISG_E10value_typeET2_T3_PNSH_ISM_E10value_typeET4_T5_PSR_SS_PNS1_23onesweep_lookback_stateEbbT6_jjT7_P12ihipStream_tbENKUlT_T0_SG_SL_E_clIS7_S7_SB_SB_EEDaSZ_S10_SG_SL_EUlSZ_E_NS1_11comp_targetILNS1_3genE5ELNS1_11target_archE942ELNS1_3gpuE9ELNS1_3repE0EEENS1_47radix_sort_onesweep_sort_config_static_selectorELNS0_4arch9wavefront6targetE1EEEvSG_.private_seg_size, 0
	.set _ZN7rocprim17ROCPRIM_400000_NS6detail17trampoline_kernelINS0_14default_configENS1_35radix_sort_onesweep_config_selectorIslEEZZNS1_29radix_sort_onesweep_iterationIS3_Lb0EPsS7_N6thrust23THRUST_200600_302600_NS10device_ptrIlEESB_jNS0_19identity_decomposerENS1_16block_id_wrapperIjLb1EEEEE10hipError_tT1_PNSt15iterator_traitsISG_E10value_typeET2_T3_PNSH_ISM_E10value_typeET4_T5_PSR_SS_PNS1_23onesweep_lookback_stateEbbT6_jjT7_P12ihipStream_tbENKUlT_T0_SG_SL_E_clIS7_S7_SB_SB_EEDaSZ_S10_SG_SL_EUlSZ_E_NS1_11comp_targetILNS1_3genE5ELNS1_11target_archE942ELNS1_3gpuE9ELNS1_3repE0EEENS1_47radix_sort_onesweep_sort_config_static_selectorELNS0_4arch9wavefront6targetE1EEEvSG_.uses_vcc, 0
	.set _ZN7rocprim17ROCPRIM_400000_NS6detail17trampoline_kernelINS0_14default_configENS1_35radix_sort_onesweep_config_selectorIslEEZZNS1_29radix_sort_onesweep_iterationIS3_Lb0EPsS7_N6thrust23THRUST_200600_302600_NS10device_ptrIlEESB_jNS0_19identity_decomposerENS1_16block_id_wrapperIjLb1EEEEE10hipError_tT1_PNSt15iterator_traitsISG_E10value_typeET2_T3_PNSH_ISM_E10value_typeET4_T5_PSR_SS_PNS1_23onesweep_lookback_stateEbbT6_jjT7_P12ihipStream_tbENKUlT_T0_SG_SL_E_clIS7_S7_SB_SB_EEDaSZ_S10_SG_SL_EUlSZ_E_NS1_11comp_targetILNS1_3genE5ELNS1_11target_archE942ELNS1_3gpuE9ELNS1_3repE0EEENS1_47radix_sort_onesweep_sort_config_static_selectorELNS0_4arch9wavefront6targetE1EEEvSG_.uses_flat_scratch, 0
	.set _ZN7rocprim17ROCPRIM_400000_NS6detail17trampoline_kernelINS0_14default_configENS1_35radix_sort_onesweep_config_selectorIslEEZZNS1_29radix_sort_onesweep_iterationIS3_Lb0EPsS7_N6thrust23THRUST_200600_302600_NS10device_ptrIlEESB_jNS0_19identity_decomposerENS1_16block_id_wrapperIjLb1EEEEE10hipError_tT1_PNSt15iterator_traitsISG_E10value_typeET2_T3_PNSH_ISM_E10value_typeET4_T5_PSR_SS_PNS1_23onesweep_lookback_stateEbbT6_jjT7_P12ihipStream_tbENKUlT_T0_SG_SL_E_clIS7_S7_SB_SB_EEDaSZ_S10_SG_SL_EUlSZ_E_NS1_11comp_targetILNS1_3genE5ELNS1_11target_archE942ELNS1_3gpuE9ELNS1_3repE0EEENS1_47radix_sort_onesweep_sort_config_static_selectorELNS0_4arch9wavefront6targetE1EEEvSG_.has_dyn_sized_stack, 0
	.set _ZN7rocprim17ROCPRIM_400000_NS6detail17trampoline_kernelINS0_14default_configENS1_35radix_sort_onesweep_config_selectorIslEEZZNS1_29radix_sort_onesweep_iterationIS3_Lb0EPsS7_N6thrust23THRUST_200600_302600_NS10device_ptrIlEESB_jNS0_19identity_decomposerENS1_16block_id_wrapperIjLb1EEEEE10hipError_tT1_PNSt15iterator_traitsISG_E10value_typeET2_T3_PNSH_ISM_E10value_typeET4_T5_PSR_SS_PNS1_23onesweep_lookback_stateEbbT6_jjT7_P12ihipStream_tbENKUlT_T0_SG_SL_E_clIS7_S7_SB_SB_EEDaSZ_S10_SG_SL_EUlSZ_E_NS1_11comp_targetILNS1_3genE5ELNS1_11target_archE942ELNS1_3gpuE9ELNS1_3repE0EEENS1_47radix_sort_onesweep_sort_config_static_selectorELNS0_4arch9wavefront6targetE1EEEvSG_.has_recursion, 0
	.set _ZN7rocprim17ROCPRIM_400000_NS6detail17trampoline_kernelINS0_14default_configENS1_35radix_sort_onesweep_config_selectorIslEEZZNS1_29radix_sort_onesweep_iterationIS3_Lb0EPsS7_N6thrust23THRUST_200600_302600_NS10device_ptrIlEESB_jNS0_19identity_decomposerENS1_16block_id_wrapperIjLb1EEEEE10hipError_tT1_PNSt15iterator_traitsISG_E10value_typeET2_T3_PNSH_ISM_E10value_typeET4_T5_PSR_SS_PNS1_23onesweep_lookback_stateEbbT6_jjT7_P12ihipStream_tbENKUlT_T0_SG_SL_E_clIS7_S7_SB_SB_EEDaSZ_S10_SG_SL_EUlSZ_E_NS1_11comp_targetILNS1_3genE5ELNS1_11target_archE942ELNS1_3gpuE9ELNS1_3repE0EEENS1_47radix_sort_onesweep_sort_config_static_selectorELNS0_4arch9wavefront6targetE1EEEvSG_.has_indirect_call, 0
	.section	.AMDGPU.csdata,"",@progbits
; Kernel info:
; codeLenInByte = 0
; TotalNumSgprs: 4
; NumVgprs: 0
; ScratchSize: 0
; MemoryBound: 0
; FloatMode: 240
; IeeeMode: 1
; LDSByteSize: 0 bytes/workgroup (compile time only)
; SGPRBlocks: 0
; VGPRBlocks: 0
; NumSGPRsForWavesPerEU: 4
; NumVGPRsForWavesPerEU: 1
; Occupancy: 10
; WaveLimiterHint : 0
; COMPUTE_PGM_RSRC2:SCRATCH_EN: 0
; COMPUTE_PGM_RSRC2:USER_SGPR: 6
; COMPUTE_PGM_RSRC2:TRAP_HANDLER: 0
; COMPUTE_PGM_RSRC2:TGID_X_EN: 1
; COMPUTE_PGM_RSRC2:TGID_Y_EN: 0
; COMPUTE_PGM_RSRC2:TGID_Z_EN: 0
; COMPUTE_PGM_RSRC2:TIDIG_COMP_CNT: 0
	.section	.text._ZN7rocprim17ROCPRIM_400000_NS6detail17trampoline_kernelINS0_14default_configENS1_35radix_sort_onesweep_config_selectorIslEEZZNS1_29radix_sort_onesweep_iterationIS3_Lb0EPsS7_N6thrust23THRUST_200600_302600_NS10device_ptrIlEESB_jNS0_19identity_decomposerENS1_16block_id_wrapperIjLb1EEEEE10hipError_tT1_PNSt15iterator_traitsISG_E10value_typeET2_T3_PNSH_ISM_E10value_typeET4_T5_PSR_SS_PNS1_23onesweep_lookback_stateEbbT6_jjT7_P12ihipStream_tbENKUlT_T0_SG_SL_E_clIS7_S7_SB_SB_EEDaSZ_S10_SG_SL_EUlSZ_E_NS1_11comp_targetILNS1_3genE2ELNS1_11target_archE906ELNS1_3gpuE6ELNS1_3repE0EEENS1_47radix_sort_onesweep_sort_config_static_selectorELNS0_4arch9wavefront6targetE1EEEvSG_,"axG",@progbits,_ZN7rocprim17ROCPRIM_400000_NS6detail17trampoline_kernelINS0_14default_configENS1_35radix_sort_onesweep_config_selectorIslEEZZNS1_29radix_sort_onesweep_iterationIS3_Lb0EPsS7_N6thrust23THRUST_200600_302600_NS10device_ptrIlEESB_jNS0_19identity_decomposerENS1_16block_id_wrapperIjLb1EEEEE10hipError_tT1_PNSt15iterator_traitsISG_E10value_typeET2_T3_PNSH_ISM_E10value_typeET4_T5_PSR_SS_PNS1_23onesweep_lookback_stateEbbT6_jjT7_P12ihipStream_tbENKUlT_T0_SG_SL_E_clIS7_S7_SB_SB_EEDaSZ_S10_SG_SL_EUlSZ_E_NS1_11comp_targetILNS1_3genE2ELNS1_11target_archE906ELNS1_3gpuE6ELNS1_3repE0EEENS1_47radix_sort_onesweep_sort_config_static_selectorELNS0_4arch9wavefront6targetE1EEEvSG_,comdat
	.protected	_ZN7rocprim17ROCPRIM_400000_NS6detail17trampoline_kernelINS0_14default_configENS1_35radix_sort_onesweep_config_selectorIslEEZZNS1_29radix_sort_onesweep_iterationIS3_Lb0EPsS7_N6thrust23THRUST_200600_302600_NS10device_ptrIlEESB_jNS0_19identity_decomposerENS1_16block_id_wrapperIjLb1EEEEE10hipError_tT1_PNSt15iterator_traitsISG_E10value_typeET2_T3_PNSH_ISM_E10value_typeET4_T5_PSR_SS_PNS1_23onesweep_lookback_stateEbbT6_jjT7_P12ihipStream_tbENKUlT_T0_SG_SL_E_clIS7_S7_SB_SB_EEDaSZ_S10_SG_SL_EUlSZ_E_NS1_11comp_targetILNS1_3genE2ELNS1_11target_archE906ELNS1_3gpuE6ELNS1_3repE0EEENS1_47radix_sort_onesweep_sort_config_static_selectorELNS0_4arch9wavefront6targetE1EEEvSG_ ; -- Begin function _ZN7rocprim17ROCPRIM_400000_NS6detail17trampoline_kernelINS0_14default_configENS1_35radix_sort_onesweep_config_selectorIslEEZZNS1_29radix_sort_onesweep_iterationIS3_Lb0EPsS7_N6thrust23THRUST_200600_302600_NS10device_ptrIlEESB_jNS0_19identity_decomposerENS1_16block_id_wrapperIjLb1EEEEE10hipError_tT1_PNSt15iterator_traitsISG_E10value_typeET2_T3_PNSH_ISM_E10value_typeET4_T5_PSR_SS_PNS1_23onesweep_lookback_stateEbbT6_jjT7_P12ihipStream_tbENKUlT_T0_SG_SL_E_clIS7_S7_SB_SB_EEDaSZ_S10_SG_SL_EUlSZ_E_NS1_11comp_targetILNS1_3genE2ELNS1_11target_archE906ELNS1_3gpuE6ELNS1_3repE0EEENS1_47radix_sort_onesweep_sort_config_static_selectorELNS0_4arch9wavefront6targetE1EEEvSG_
	.globl	_ZN7rocprim17ROCPRIM_400000_NS6detail17trampoline_kernelINS0_14default_configENS1_35radix_sort_onesweep_config_selectorIslEEZZNS1_29radix_sort_onesweep_iterationIS3_Lb0EPsS7_N6thrust23THRUST_200600_302600_NS10device_ptrIlEESB_jNS0_19identity_decomposerENS1_16block_id_wrapperIjLb1EEEEE10hipError_tT1_PNSt15iterator_traitsISG_E10value_typeET2_T3_PNSH_ISM_E10value_typeET4_T5_PSR_SS_PNS1_23onesweep_lookback_stateEbbT6_jjT7_P12ihipStream_tbENKUlT_T0_SG_SL_E_clIS7_S7_SB_SB_EEDaSZ_S10_SG_SL_EUlSZ_E_NS1_11comp_targetILNS1_3genE2ELNS1_11target_archE906ELNS1_3gpuE6ELNS1_3repE0EEENS1_47radix_sort_onesweep_sort_config_static_selectorELNS0_4arch9wavefront6targetE1EEEvSG_
	.p2align	8
	.type	_ZN7rocprim17ROCPRIM_400000_NS6detail17trampoline_kernelINS0_14default_configENS1_35radix_sort_onesweep_config_selectorIslEEZZNS1_29radix_sort_onesweep_iterationIS3_Lb0EPsS7_N6thrust23THRUST_200600_302600_NS10device_ptrIlEESB_jNS0_19identity_decomposerENS1_16block_id_wrapperIjLb1EEEEE10hipError_tT1_PNSt15iterator_traitsISG_E10value_typeET2_T3_PNSH_ISM_E10value_typeET4_T5_PSR_SS_PNS1_23onesweep_lookback_stateEbbT6_jjT7_P12ihipStream_tbENKUlT_T0_SG_SL_E_clIS7_S7_SB_SB_EEDaSZ_S10_SG_SL_EUlSZ_E_NS1_11comp_targetILNS1_3genE2ELNS1_11target_archE906ELNS1_3gpuE6ELNS1_3repE0EEENS1_47radix_sort_onesweep_sort_config_static_selectorELNS0_4arch9wavefront6targetE1EEEvSG_,@function
_ZN7rocprim17ROCPRIM_400000_NS6detail17trampoline_kernelINS0_14default_configENS1_35radix_sort_onesweep_config_selectorIslEEZZNS1_29radix_sort_onesweep_iterationIS3_Lb0EPsS7_N6thrust23THRUST_200600_302600_NS10device_ptrIlEESB_jNS0_19identity_decomposerENS1_16block_id_wrapperIjLb1EEEEE10hipError_tT1_PNSt15iterator_traitsISG_E10value_typeET2_T3_PNSH_ISM_E10value_typeET4_T5_PSR_SS_PNS1_23onesweep_lookback_stateEbbT6_jjT7_P12ihipStream_tbENKUlT_T0_SG_SL_E_clIS7_S7_SB_SB_EEDaSZ_S10_SG_SL_EUlSZ_E_NS1_11comp_targetILNS1_3genE2ELNS1_11target_archE906ELNS1_3gpuE6ELNS1_3repE0EEENS1_47radix_sort_onesweep_sort_config_static_selectorELNS0_4arch9wavefront6targetE1EEEvSG_: ; @_ZN7rocprim17ROCPRIM_400000_NS6detail17trampoline_kernelINS0_14default_configENS1_35radix_sort_onesweep_config_selectorIslEEZZNS1_29radix_sort_onesweep_iterationIS3_Lb0EPsS7_N6thrust23THRUST_200600_302600_NS10device_ptrIlEESB_jNS0_19identity_decomposerENS1_16block_id_wrapperIjLb1EEEEE10hipError_tT1_PNSt15iterator_traitsISG_E10value_typeET2_T3_PNSH_ISM_E10value_typeET4_T5_PSR_SS_PNS1_23onesweep_lookback_stateEbbT6_jjT7_P12ihipStream_tbENKUlT_T0_SG_SL_E_clIS7_S7_SB_SB_EEDaSZ_S10_SG_SL_EUlSZ_E_NS1_11comp_targetILNS1_3genE2ELNS1_11target_archE906ELNS1_3gpuE6ELNS1_3repE0EEENS1_47radix_sort_onesweep_sort_config_static_selectorELNS0_4arch9wavefront6targetE1EEEvSG_
; %bb.0:
	s_load_dwordx4 s[28:31], s[4:5], 0x28
	s_load_dwordx2 s[34:35], s[4:5], 0x38
	s_load_dwordx4 s[44:47], s[4:5], 0x44
	s_add_u32 s0, s0, s7
	s_addc_u32 s1, s1, 0
	v_cmp_eq_u32_e64 s[22:23], 0, v0
	s_and_saveexec_b64 s[8:9], s[22:23]
	s_cbranch_execz .LBB1401_4
; %bb.1:
	s_mov_b64 s[12:13], exec
	v_mbcnt_lo_u32_b32 v3, s12, 0
	v_mbcnt_hi_u32_b32 v3, s13, v3
	v_cmp_eq_u32_e32 vcc, 0, v3
                                        ; implicit-def: $vgpr4
	s_and_saveexec_b64 s[10:11], vcc
	s_cbranch_execz .LBB1401_3
; %bb.2:
	s_load_dwordx2 s[14:15], s[4:5], 0x50
	s_bcnt1_i32_b64 s7, s[12:13]
	v_mov_b32_e32 v4, 0
	v_mov_b32_e32 v5, s7
	s_waitcnt lgkmcnt(0)
	global_atomic_add v4, v4, v5, s[14:15] glc
.LBB1401_3:
	s_or_b64 exec, exec, s[10:11]
	s_waitcnt vmcnt(0)
	v_readfirstlane_b32 s7, v4
	v_add_u32_e32 v3, s7, v3
	v_mov_b32_e32 v4, 0
	ds_write_b32 v4, v3 offset:10272
.LBB1401_4:
	s_or_b64 exec, exec, s[8:9]
	v_mov_b32_e32 v3, 0
	s_load_dwordx8 s[36:43], s[4:5], 0x0
	s_load_dword s7, s[4:5], 0x20
	s_waitcnt lgkmcnt(0)
	s_barrier
	ds_read_b32 v3, v3 offset:10272
	s_mov_b64 s[8:9], -1
	v_mbcnt_lo_u32_b32 v17, -1, 0
	s_waitcnt lgkmcnt(0)
	s_barrier
	v_readfirstlane_b32 s33, v3
	v_cmp_le_u32_e32 vcc, s46, v3
	s_mul_i32 s26, s33, 0xc00
	s_cbranch_vccz .LBB1401_82
; %bb.5:
	s_mul_i32 s8, s46, 0xfffff400
	s_mov_b32 s27, 0
	s_add_i32 s7, s8, s7
	s_lshl_b64 s[8:9], s[26:27], 1
	v_mbcnt_hi_u32_b32 v11, -1, v17
	s_add_u32 s8, s36, s8
	v_and_b32_e32 v10, 63, v11
	s_addc_u32 s9, s37, s9
	v_and_b32_e32 v12, 0x1c0, v0
	v_lshlrev_b32_e32 v3, 1, v10
	v_mul_u32_u24_e32 v9, 6, v12
	v_mov_b32_e32 v4, s9
	v_add_co_u32_e32 v3, vcc, s8, v3
	v_addc_co_u32_e32 v4, vcc, 0, v4, vcc
	v_lshlrev_b32_e32 v5, 1, v9
	v_add_co_u32_e32 v7, vcc, v3, v5
	v_addc_co_u32_e32 v8, vcc, 0, v4, vcc
	v_or_b32_e32 v13, v10, v9
	v_mov_b32_e32 v3, 0x7fff7fff
	v_cmp_gt_u32_e32 vcc, s7, v13
	v_mov_b32_e32 v4, v3
	v_mov_b32_e32 v5, v3
	s_and_saveexec_b64 s[8:9], vcc
	s_cbranch_execz .LBB1401_7
; %bb.6:
	global_load_ushort v4, v[7:8], off
	s_movk_i32 s10, 0x7fff
	v_mov_b32_e32 v6, 0x5040100
	v_mov_b32_e32 v5, v3
	s_waitcnt vmcnt(0)
	v_perm_b32 v4, s10, v4, v6
	v_mov_b32_e32 v6, v3
	v_mov_b32_e32 v3, v4
	;; [unrolled: 1-line block ×5, first 2 shown]
.LBB1401_7:
	s_or_b64 exec, exec, s[8:9]
	v_or_b32_e32 v6, 64, v13
	v_cmp_gt_u32_e64 s[8:9], s7, v6
	s_and_saveexec_b64 s[10:11], s[8:9]
	s_cbranch_execz .LBB1401_9
; %bb.8:
	global_load_ushort v6, v[7:8], off offset:128
	s_mov_b32 s12, 0x5040100
	s_waitcnt vmcnt(0)
	v_perm_b32 v3, v6, v3, s12
.LBB1401_9:
	s_or_b64 exec, exec, s[10:11]
	v_add_u32_e32 v6, 0x80, v13
	v_cmp_gt_u32_e64 s[10:11], s7, v6
	s_and_saveexec_b64 s[12:13], s[10:11]
	s_cbranch_execz .LBB1401_11
; %bb.10:
	global_load_ushort v6, v[7:8], off offset:256
	s_mov_b32 s14, 0xffff
	s_waitcnt vmcnt(0)
	v_bfi_b32 v4, s14, v6, v4
.LBB1401_11:
	s_or_b64 exec, exec, s[12:13]
	v_add_u32_e32 v6, 0xc0, v13
	v_cmp_gt_u32_e64 s[12:13], s7, v6
	s_and_saveexec_b64 s[14:15], s[12:13]
	s_cbranch_execz .LBB1401_13
; %bb.12:
	global_load_ushort v6, v[7:8], off offset:384
	s_mov_b32 s16, 0x5040100
	s_waitcnt vmcnt(0)
	v_perm_b32 v4, v6, v4, s16
.LBB1401_13:
	s_or_b64 exec, exec, s[14:15]
	v_add_u32_e32 v6, 0x100, v13
	v_cmp_gt_u32_e64 s[14:15], s7, v6
	s_and_saveexec_b64 s[16:17], s[14:15]
	s_cbranch_execz .LBB1401_15
; %bb.14:
	global_load_ushort v6, v[7:8], off offset:512
	s_mov_b32 s18, 0xffff
	s_waitcnt vmcnt(0)
	v_bfi_b32 v5, s18, v6, v5
.LBB1401_15:
	s_or_b64 exec, exec, s[16:17]
	v_add_u32_e32 v6, 0x140, v13
	v_cmp_gt_u32_e64 s[16:17], s7, v6
	s_and_saveexec_b64 s[18:19], s[16:17]
	s_cbranch_execz .LBB1401_17
; %bb.16:
	global_load_ushort v6, v[7:8], off offset:640
	s_mov_b32 s20, 0x5040100
	s_waitcnt vmcnt(0)
	v_perm_b32 v5, v6, v5, s20
.LBB1401_17:
	s_or_b64 exec, exec, s[18:19]
	s_load_dword s18, s[4:5], 0x64
	s_load_dword s52, s[4:5], 0x58
	s_add_u32 s19, s4, 0x58
	s_addc_u32 s20, s5, 0
	v_mov_b32_e32 v6, 0
	s_waitcnt lgkmcnt(0)
	s_lshr_b32 s21, s18, 16
	s_cmp_lt_u32 s6, s52
	s_cselect_b32 s18, 12, 18
	s_add_u32 s18, s19, s18
	s_addc_u32 s19, s20, 0
	global_load_ushort v8, v6, s[18:19]
	v_xor_b32_e32 v13, 0xffff8000, v3
	s_lshl_b32 s18, -1, s45
	v_lshrrev_b32_sdwa v7, s44, v13 dst_sel:DWORD dst_unused:UNUSED_PAD src0_sel:DWORD src1_sel:WORD_0
	s_not_b32 s53, s18
	v_and_b32_e32 v16, s53, v7
	v_and_b32_e32 v19, 1, v16
	v_add_co_u32_e64 v20, s[18:19], -1, v19
	v_lshlrev_b32_e32 v7, 30, v16
	v_addc_co_u32_e64 v21, s[18:19], 0, -1, s[18:19]
	v_mad_u32_u24 v15, v2, s21, v1
	v_cmp_ne_u32_e64 s[18:19], 0, v19
	v_cmp_gt_i64_e64 s[20:21], 0, v[6:7]
	v_not_b32_e32 v19, v7
	v_lshlrev_b32_e32 v7, 29, v16
	v_xor_b32_e32 v21, s19, v21
	v_xor_b32_e32 v20, s18, v20
	v_ashrrev_i32_e32 v19, 31, v19
	v_cmp_gt_i64_e64 s[18:19], 0, v[6:7]
	v_not_b32_e32 v22, v7
	v_lshlrev_b32_e32 v7, 28, v16
	v_and_b32_e32 v21, exec_hi, v21
	v_and_b32_e32 v20, exec_lo, v20
	v_xor_b32_e32 v23, s21, v19
	v_xor_b32_e32 v19, s20, v19
	v_ashrrev_i32_e32 v22, 31, v22
	v_cmp_gt_i64_e64 s[20:21], 0, v[6:7]
	v_not_b32_e32 v24, v7
	v_lshlrev_b32_e32 v7, 27, v16
	v_and_b32_e32 v21, v21, v23
	v_and_b32_e32 v19, v20, v19
	v_xor_b32_e32 v20, s19, v22
	v_xor_b32_e32 v22, s18, v22
	v_ashrrev_i32_e32 v23, 31, v24
	v_cmp_gt_i64_e64 s[18:19], 0, v[6:7]
	v_not_b32_e32 v24, v7
	v_lshlrev_b32_e32 v7, 26, v16
	v_and_b32_e32 v20, v21, v20
	v_and_b32_e32 v19, v19, v22
	v_xor_b32_e32 v21, s21, v23
	v_xor_b32_e32 v22, s20, v23
	v_ashrrev_i32_e32 v23, 31, v24
	v_cmp_gt_i64_e64 s[20:21], 0, v[6:7]
	v_not_b32_e32 v24, v7
	v_lshlrev_b32_e32 v7, 25, v16
	v_and_b32_e32 v20, v20, v21
	v_and_b32_e32 v19, v19, v22
	v_xor_b32_e32 v21, s19, v23
	v_xor_b32_e32 v22, s18, v23
	v_ashrrev_i32_e32 v23, 31, v24
	v_cmp_gt_i64_e64 s[18:19], 0, v[6:7]
	v_not_b32_e32 v24, v7
	v_mul_u32_u24_e32 v18, 36, v16
	v_lshlrev_b32_e32 v7, 24, v16
	v_and_b32_e32 v16, v20, v21
	v_and_b32_e32 v19, v19, v22
	v_xor_b32_e32 v20, s21, v23
	v_ashrrev_i32_e32 v22, 31, v24
	v_xor_b32_e32 v21, s20, v23
	v_and_b32_e32 v16, v16, v20
	v_xor_b32_e32 v20, s19, v22
	v_and_b32_e32 v19, v19, v21
	;; [unrolled: 2-line block ×3, first 2 shown]
	v_cmp_gt_i64_e64 s[20:21], 0, v[6:7]
	v_not_b32_e32 v7, v7
	v_ashrrev_i32_e32 v7, 31, v7
	v_and_b32_e32 v19, v19, v21
	v_xor_b32_e32 v21, s21, v7
	v_xor_b32_e32 v7, s20, v7
	v_and_b32_e32 v7, v19, v7
	s_movk_i32 s24, 0x8000
	v_mul_u32_u24_e32 v14, 20, v0
	ds_write2_b32 v14, v6, v6 offset0:8 offset1:9
	ds_write2_b32 v14, v6, v6 offset0:10 offset1:11
	ds_write_b32 v14, v6 offset:48
	s_waitcnt vmcnt(0) lgkmcnt(0)
	s_barrier
	v_mad_u64_u32 v[15:16], s[18:19], v15, v8, v[0:1]
	v_and_b32_e32 v8, v20, v21
	v_cmp_ne_u64_e64 s[18:19], 0, v[7:8]
	v_lshrrev_b32_e32 v15, 4, v15
	v_and_b32_e32 v31, 0xffffffc, v15
	v_mbcnt_lo_u32_b32 v15, v7, 0
	v_mbcnt_hi_u32_b32 v15, v8, v15
	v_cmp_eq_u32_e64 s[20:21], 0, v15
	s_and_b64 s[20:21], s[18:19], s[20:21]
	v_add_u32_e32 v27, v31, v18
	; wave barrier
	s_and_saveexec_b64 s[18:19], s[20:21]
; %bb.18:
	v_bcnt_u32_b32 v7, v7, 0
	v_bcnt_u32_b32 v7, v8, v7
	ds_write_b32 v27, v7 offset:32
; %bb.19:
	s_or_b64 exec, exec, s[18:19]
	v_xor_b32_sdwa v16, v3, s24 dst_sel:DWORD dst_unused:UNUSED_PAD src0_sel:WORD_1 src1_sel:DWORD
	v_lshrrev_b32_sdwa v3, s44, v16 dst_sel:DWORD dst_unused:UNUSED_PAD src0_sel:DWORD src1_sel:WORD_0
	v_and_b32_e32 v3, s53, v3
	v_mad_u32_u24 v7, v3, 36, v31
	; wave barrier
	ds_read_b32 v18, v7 offset:32
	v_and_b32_e32 v7, 1, v3
	v_add_co_u32_e64 v19, s[18:19], -1, v7
	v_addc_co_u32_e64 v20, s[18:19], 0, -1, s[18:19]
	v_cmp_ne_u32_e64 s[18:19], 0, v7
	v_xor_b32_e32 v7, s19, v20
	v_and_b32_e32 v20, exec_hi, v7
	v_lshlrev_b32_e32 v7, 30, v3
	v_xor_b32_e32 v19, s18, v19
	v_cmp_gt_i64_e64 s[18:19], 0, v[6:7]
	v_not_b32_e32 v7, v7
	v_ashrrev_i32_e32 v7, 31, v7
	v_and_b32_e32 v19, exec_lo, v19
	v_xor_b32_e32 v21, s19, v7
	v_xor_b32_e32 v7, s18, v7
	v_and_b32_e32 v19, v19, v7
	v_lshlrev_b32_e32 v7, 29, v3
	v_cmp_gt_i64_e64 s[18:19], 0, v[6:7]
	v_not_b32_e32 v7, v7
	v_ashrrev_i32_e32 v7, 31, v7
	v_and_b32_e32 v20, v20, v21
	v_xor_b32_e32 v21, s19, v7
	v_xor_b32_e32 v7, s18, v7
	v_and_b32_e32 v19, v19, v7
	v_lshlrev_b32_e32 v7, 28, v3
	v_cmp_gt_i64_e64 s[18:19], 0, v[6:7]
	v_not_b32_e32 v7, v7
	v_ashrrev_i32_e32 v7, 31, v7
	v_and_b32_e32 v20, v20, v21
	;; [unrolled: 8-line block ×5, first 2 shown]
	v_xor_b32_e32 v21, s19, v7
	v_xor_b32_e32 v7, s18, v7
	v_and_b32_e32 v19, v19, v7
	v_lshlrev_b32_e32 v7, 24, v3
	v_mul_u32_u24_e32 v8, 36, v3
	v_cmp_gt_i64_e64 s[18:19], 0, v[6:7]
	v_not_b32_e32 v3, v7
	v_ashrrev_i32_e32 v3, 31, v3
	v_and_b32_e32 v20, v20, v21
	v_xor_b32_e32 v6, s19, v3
	v_xor_b32_e32 v3, s18, v3
	v_and_b32_e32 v7, v20, v6
	v_and_b32_e32 v6, v19, v3
	v_mbcnt_lo_u32_b32 v3, v6, 0
	v_mbcnt_hi_u32_b32 v19, v7, v3
	v_cmp_ne_u64_e64 s[18:19], 0, v[6:7]
	v_cmp_eq_u32_e64 s[20:21], 0, v19
	s_and_b64 s[20:21], s[18:19], s[20:21]
	v_add_u32_e32 v30, v31, v8
	; wave barrier
	s_and_saveexec_b64 s[18:19], s[20:21]
	s_cbranch_execz .LBB1401_21
; %bb.20:
	v_bcnt_u32_b32 v3, v6, 0
	v_bcnt_u32_b32 v3, v7, v3
	s_waitcnt lgkmcnt(0)
	v_add_u32_e32 v3, v18, v3
	ds_write_b32 v30, v3 offset:32
.LBB1401_21:
	s_or_b64 exec, exec, s[18:19]
	v_xor_b32_e32 v28, 0xffff8000, v4
	v_lshrrev_b32_sdwa v3, s44, v28 dst_sel:DWORD dst_unused:UNUSED_PAD src0_sel:DWORD src1_sel:WORD_0
	v_and_b32_e32 v3, s53, v3
	v_and_b32_e32 v7, 1, v3
	v_add_co_u32_e64 v8, s[18:19], -1, v7
	v_addc_co_u32_e64 v21, s[18:19], 0, -1, s[18:19]
	v_cmp_ne_u32_e64 s[18:19], 0, v7
	v_mad_u32_u24 v6, v3, 36, v31
	v_xor_b32_e32 v7, s19, v21
	; wave barrier
	ds_read_b32 v20, v6 offset:32
	v_mov_b32_e32 v6, 0
	v_and_b32_e32 v21, exec_hi, v7
	v_lshlrev_b32_e32 v7, 30, v3
	v_xor_b32_e32 v8, s18, v8
	v_cmp_gt_i64_e64 s[18:19], 0, v[6:7]
	v_not_b32_e32 v7, v7
	v_ashrrev_i32_e32 v7, 31, v7
	v_and_b32_e32 v8, exec_lo, v8
	v_xor_b32_e32 v23, s19, v7
	v_xor_b32_e32 v7, s18, v7
	v_and_b32_e32 v8, v8, v7
	v_lshlrev_b32_e32 v7, 29, v3
	v_cmp_gt_i64_e64 s[18:19], 0, v[6:7]
	v_not_b32_e32 v7, v7
	v_ashrrev_i32_e32 v7, 31, v7
	v_and_b32_e32 v21, v21, v23
	v_xor_b32_e32 v23, s19, v7
	v_xor_b32_e32 v7, s18, v7
	v_and_b32_e32 v8, v8, v7
	v_lshlrev_b32_e32 v7, 28, v3
	v_cmp_gt_i64_e64 s[18:19], 0, v[6:7]
	v_not_b32_e32 v7, v7
	v_ashrrev_i32_e32 v7, 31, v7
	v_and_b32_e32 v21, v21, v23
	;; [unrolled: 8-line block ×5, first 2 shown]
	v_xor_b32_e32 v23, s19, v7
	v_xor_b32_e32 v7, s18, v7
	v_and_b32_e32 v21, v21, v23
	v_and_b32_e32 v23, v8, v7
	v_lshlrev_b32_e32 v7, 24, v3
	v_mul_u32_u24_e32 v22, 36, v3
	v_cmp_gt_i64_e64 s[18:19], 0, v[6:7]
	v_not_b32_e32 v3, v7
	v_ashrrev_i32_e32 v3, 31, v3
	v_xor_b32_e32 v7, s19, v3
	v_xor_b32_e32 v3, s18, v3
	v_and_b32_e32 v8, v21, v7
	v_and_b32_e32 v7, v23, v3
	v_mbcnt_lo_u32_b32 v3, v7, 0
	v_mbcnt_hi_u32_b32 v21, v8, v3
	v_cmp_ne_u64_e64 s[18:19], 0, v[7:8]
	v_cmp_eq_u32_e64 s[20:21], 0, v21
	s_and_b64 s[20:21], s[18:19], s[20:21]
	v_add_u32_e32 v33, v31, v22
	; wave barrier
	s_and_saveexec_b64 s[18:19], s[20:21]
	s_cbranch_execz .LBB1401_23
; %bb.22:
	v_bcnt_u32_b32 v3, v7, 0
	v_bcnt_u32_b32 v3, v8, v3
	s_waitcnt lgkmcnt(0)
	v_add_u32_e32 v3, v20, v3
	ds_write_b32 v33, v3 offset:32
.LBB1401_23:
	s_or_b64 exec, exec, s[18:19]
	v_xor_b32_sdwa v8, v4, s24 dst_sel:DWORD dst_unused:UNUSED_PAD src0_sel:WORD_1 src1_sel:DWORD
	v_lshrrev_b32_sdwa v3, s44, v8 dst_sel:DWORD dst_unused:UNUSED_PAD src0_sel:DWORD src1_sel:WORD_0
	v_and_b32_e32 v3, s53, v3
	v_mad_u32_u24 v4, v3, 36, v31
	; wave barrier
	ds_read_b32 v22, v4 offset:32
	v_and_b32_e32 v4, 1, v3
	v_add_co_u32_e64 v7, s[18:19], -1, v4
	v_addc_co_u32_e64 v23, s[18:19], 0, -1, s[18:19]
	v_cmp_ne_u32_e64 s[18:19], 0, v4
	v_xor_b32_e32 v7, s18, v7
	v_xor_b32_e32 v4, s19, v23
	v_and_b32_e32 v23, exec_lo, v7
	v_lshlrev_b32_e32 v7, 30, v3
	v_cmp_gt_i64_e64 s[18:19], 0, v[6:7]
	v_not_b32_e32 v7, v7
	v_ashrrev_i32_e32 v7, 31, v7
	v_xor_b32_e32 v25, s19, v7
	v_xor_b32_e32 v7, s18, v7
	v_and_b32_e32 v23, v23, v7
	v_lshlrev_b32_e32 v7, 29, v3
	v_cmp_gt_i64_e64 s[18:19], 0, v[6:7]
	v_not_b32_e32 v7, v7
	v_and_b32_e32 v4, exec_hi, v4
	v_ashrrev_i32_e32 v7, 31, v7
	v_and_b32_e32 v4, v4, v25
	v_xor_b32_e32 v25, s19, v7
	v_xor_b32_e32 v7, s18, v7
	v_and_b32_e32 v23, v23, v7
	v_lshlrev_b32_e32 v7, 28, v3
	v_cmp_gt_i64_e64 s[18:19], 0, v[6:7]
	v_not_b32_e32 v7, v7
	v_ashrrev_i32_e32 v7, 31, v7
	v_and_b32_e32 v4, v4, v25
	v_xor_b32_e32 v25, s19, v7
	v_xor_b32_e32 v7, s18, v7
	v_and_b32_e32 v23, v23, v7
	v_lshlrev_b32_e32 v7, 27, v3
	v_cmp_gt_i64_e64 s[18:19], 0, v[6:7]
	v_not_b32_e32 v7, v7
	;; [unrolled: 8-line block ×4, first 2 shown]
	v_ashrrev_i32_e32 v7, 31, v7
	v_and_b32_e32 v4, v4, v25
	v_xor_b32_e32 v25, s19, v7
	v_xor_b32_e32 v7, s18, v7
	v_and_b32_e32 v23, v23, v7
	v_lshlrev_b32_e32 v7, 24, v3
	v_mul_u32_u24_e32 v24, 36, v3
	v_cmp_gt_i64_e64 s[18:19], 0, v[6:7]
	v_not_b32_e32 v3, v7
	v_ashrrev_i32_e32 v3, 31, v3
	v_xor_b32_e32 v6, s19, v3
	v_xor_b32_e32 v3, s18, v3
	v_and_b32_e32 v4, v4, v25
	v_and_b32_e32 v3, v23, v3
	;; [unrolled: 1-line block ×3, first 2 shown]
	v_mbcnt_lo_u32_b32 v6, v3, 0
	v_mbcnt_hi_u32_b32 v23, v4, v6
	v_cmp_ne_u64_e64 s[18:19], 0, v[3:4]
	v_cmp_eq_u32_e64 s[20:21], 0, v23
	s_and_b64 s[20:21], s[18:19], s[20:21]
	v_add_u32_e32 v34, v31, v24
	; wave barrier
	s_and_saveexec_b64 s[18:19], s[20:21]
	s_cbranch_execz .LBB1401_25
; %bb.24:
	v_bcnt_u32_b32 v3, v3, 0
	v_bcnt_u32_b32 v3, v4, v3
	s_waitcnt lgkmcnt(0)
	v_add_u32_e32 v3, v22, v3
	ds_write_b32 v34, v3 offset:32
.LBB1401_25:
	s_or_b64 exec, exec, s[18:19]
	v_xor_b32_e32 v37, 0xffff8000, v5
	v_lshrrev_b32_sdwa v3, s44, v37 dst_sel:DWORD dst_unused:UNUSED_PAD src0_sel:DWORD src1_sel:WORD_0
	v_and_b32_e32 v6, s53, v3
	v_and_b32_e32 v4, 1, v6
	v_add_co_u32_e64 v7, s[18:19], -1, v4
	v_addc_co_u32_e64 v25, s[18:19], 0, -1, s[18:19]
	v_cmp_ne_u32_e64 s[18:19], 0, v4
	v_mad_u32_u24 v3, v6, 36, v31
	v_xor_b32_e32 v4, s19, v25
	; wave barrier
	ds_read_b32 v24, v3 offset:32
	v_mov_b32_e32 v3, 0
	v_and_b32_e32 v25, exec_hi, v4
	v_lshlrev_b32_e32 v4, 30, v6
	v_xor_b32_e32 v7, s18, v7
	v_cmp_gt_i64_e64 s[18:19], 0, v[3:4]
	v_not_b32_e32 v4, v4
	v_ashrrev_i32_e32 v4, 31, v4
	v_and_b32_e32 v7, exec_lo, v7
	v_xor_b32_e32 v29, s19, v4
	v_xor_b32_e32 v4, s18, v4
	v_and_b32_e32 v7, v7, v4
	v_lshlrev_b32_e32 v4, 29, v6
	v_cmp_gt_i64_e64 s[18:19], 0, v[3:4]
	v_not_b32_e32 v4, v4
	v_ashrrev_i32_e32 v4, 31, v4
	v_and_b32_e32 v25, v25, v29
	v_xor_b32_e32 v29, s19, v4
	v_xor_b32_e32 v4, s18, v4
	v_and_b32_e32 v7, v7, v4
	v_lshlrev_b32_e32 v4, 28, v6
	v_cmp_gt_i64_e64 s[18:19], 0, v[3:4]
	v_not_b32_e32 v4, v4
	v_ashrrev_i32_e32 v4, 31, v4
	v_and_b32_e32 v25, v25, v29
	;; [unrolled: 8-line block ×5, first 2 shown]
	v_xor_b32_e32 v29, s19, v4
	v_xor_b32_e32 v4, s18, v4
	v_and_b32_e32 v25, v25, v29
	v_and_b32_e32 v29, v7, v4
	v_lshlrev_b32_e32 v4, 24, v6
	v_cmp_gt_i64_e64 s[18:19], 0, v[3:4]
	v_not_b32_e32 v4, v4
	v_ashrrev_i32_e32 v4, 31, v4
	v_mul_u32_u24_e32 v26, 36, v6
	v_xor_b32_e32 v6, s19, v4
	v_xor_b32_e32 v4, s18, v4
	v_and_b32_e32 v7, v25, v6
	v_and_b32_e32 v6, v29, v4
	v_mbcnt_lo_u32_b32 v4, v6, 0
	v_mbcnt_hi_u32_b32 v25, v7, v4
	v_cmp_ne_u64_e64 s[18:19], 0, v[6:7]
	v_cmp_eq_u32_e64 s[20:21], 0, v25
	s_and_b64 s[20:21], s[18:19], s[20:21]
	v_add_u32_e32 v35, v31, v26
	; wave barrier
	s_and_saveexec_b64 s[18:19], s[20:21]
	s_cbranch_execz .LBB1401_27
; %bb.26:
	v_bcnt_u32_b32 v4, v6, 0
	v_bcnt_u32_b32 v4, v7, v4
	s_waitcnt lgkmcnt(0)
	v_add_u32_e32 v4, v24, v4
	ds_write_b32 v35, v4 offset:32
.LBB1401_27:
	s_or_b64 exec, exec, s[18:19]
	v_xor_b32_sdwa v7, v5, s24 dst_sel:DWORD dst_unused:UNUSED_PAD src0_sel:WORD_1 src1_sel:DWORD
	v_lshrrev_b32_sdwa v4, s44, v7 dst_sel:DWORD dst_unused:UNUSED_PAD src0_sel:DWORD src1_sel:WORD_0
	v_and_b32_e32 v5, s53, v4
	v_mad_u32_u24 v4, v5, 36, v31
	; wave barrier
	ds_read_b32 v26, v4 offset:32
	v_and_b32_e32 v4, 1, v5
	v_add_co_u32_e64 v29, s[18:19], -1, v4
	v_addc_co_u32_e64 v32, s[18:19], 0, -1, s[18:19]
	v_cmp_ne_u32_e64 s[18:19], 0, v4
	v_xor_b32_e32 v4, s19, v32
	v_and_b32_e32 v32, exec_hi, v4
	v_lshlrev_b32_e32 v4, 30, v5
	v_xor_b32_e32 v29, s18, v29
	v_cmp_gt_i64_e64 s[18:19], 0, v[3:4]
	v_not_b32_e32 v4, v4
	v_ashrrev_i32_e32 v4, 31, v4
	v_and_b32_e32 v29, exec_lo, v29
	v_xor_b32_e32 v36, s19, v4
	v_xor_b32_e32 v4, s18, v4
	v_and_b32_e32 v29, v29, v4
	v_lshlrev_b32_e32 v4, 29, v5
	v_cmp_gt_i64_e64 s[18:19], 0, v[3:4]
	v_not_b32_e32 v4, v4
	v_ashrrev_i32_e32 v4, 31, v4
	v_and_b32_e32 v32, v32, v36
	v_xor_b32_e32 v36, s19, v4
	v_xor_b32_e32 v4, s18, v4
	v_and_b32_e32 v29, v29, v4
	v_lshlrev_b32_e32 v4, 28, v5
	v_cmp_gt_i64_e64 s[18:19], 0, v[3:4]
	v_not_b32_e32 v4, v4
	v_ashrrev_i32_e32 v4, 31, v4
	v_and_b32_e32 v32, v32, v36
	;; [unrolled: 8-line block ×5, first 2 shown]
	v_xor_b32_e32 v36, s19, v4
	v_xor_b32_e32 v4, s18, v4
	v_and_b32_e32 v29, v29, v4
	v_lshlrev_b32_e32 v4, 24, v5
	v_cmp_gt_i64_e64 s[18:19], 0, v[3:4]
	v_not_b32_e32 v3, v4
	v_ashrrev_i32_e32 v3, 31, v3
	v_xor_b32_e32 v4, s19, v3
	v_xor_b32_e32 v3, s18, v3
	v_and_b32_e32 v32, v32, v36
	v_and_b32_e32 v3, v29, v3
	v_mul_u32_u24_e32 v6, 36, v5
	v_and_b32_e32 v4, v32, v4
	v_mbcnt_lo_u32_b32 v5, v3, 0
	v_mbcnt_hi_u32_b32 v29, v4, v5
	v_cmp_ne_u64_e64 s[18:19], 0, v[3:4]
	v_cmp_eq_u32_e64 s[20:21], 0, v29
	s_and_b64 s[20:21], s[18:19], s[20:21]
	v_add_u32_e32 v31, v31, v6
	; wave barrier
	s_and_saveexec_b64 s[18:19], s[20:21]
	s_cbranch_execz .LBB1401_29
; %bb.28:
	v_bcnt_u32_b32 v3, v3, 0
	v_bcnt_u32_b32 v3, v4, v3
	s_waitcnt lgkmcnt(0)
	v_add_u32_e32 v3, v26, v3
	ds_write_b32 v31, v3 offset:32
.LBB1401_29:
	s_or_b64 exec, exec, s[18:19]
	; wave barrier
	s_waitcnt lgkmcnt(0)
	s_barrier
	ds_read2_b32 v[5:6], v14 offset0:8 offset1:9
	ds_read2_b32 v[3:4], v14 offset0:10 offset1:11
	ds_read_b32 v32, v14 offset:48
	v_min_u32_e32 v12, 0x1c0, v12
	v_or_b32_e32 v12, 63, v12
	s_waitcnt lgkmcnt(1)
	v_add3_u32 v36, v6, v5, v3
	s_waitcnt lgkmcnt(0)
	v_add3_u32 v32, v36, v4, v32
	v_and_b32_e32 v36, 15, v11
	v_cmp_ne_u32_e64 s[18:19], 0, v36
	v_mov_b32_dpp v38, v32 row_shr:1 row_mask:0xf bank_mask:0xf
	v_cndmask_b32_e64 v38, 0, v38, s[18:19]
	v_add_u32_e32 v32, v38, v32
	v_cmp_lt_u32_e64 s[18:19], 1, v36
	s_nop 0
	v_mov_b32_dpp v38, v32 row_shr:2 row_mask:0xf bank_mask:0xf
	v_cndmask_b32_e64 v38, 0, v38, s[18:19]
	v_add_u32_e32 v32, v32, v38
	v_cmp_lt_u32_e64 s[18:19], 3, v36
	s_nop 0
	;; [unrolled: 5-line block ×3, first 2 shown]
	v_mov_b32_dpp v38, v32 row_shr:8 row_mask:0xf bank_mask:0xf
	v_cndmask_b32_e64 v36, 0, v38, s[18:19]
	v_add_u32_e32 v32, v32, v36
	v_bfe_i32 v38, v11, 4, 1
	v_cmp_lt_u32_e64 s[18:19], 31, v11
	v_mov_b32_dpp v36, v32 row_bcast:15 row_mask:0xf bank_mask:0xf
	v_and_b32_e32 v36, v38, v36
	v_add_u32_e32 v32, v32, v36
	s_nop 1
	v_mov_b32_dpp v36, v32 row_bcast:31 row_mask:0xf bank_mask:0xf
	v_cndmask_b32_e64 v36, 0, v36, s[18:19]
	v_add_u32_e32 v32, v32, v36
	v_lshrrev_b32_e32 v36, 6, v0
	v_cmp_eq_u32_e64 s[18:19], v0, v12
	s_and_saveexec_b64 s[20:21], s[18:19]
; %bb.30:
	v_lshlrev_b32_e32 v12, 2, v36
	ds_write_b32 v12, v32
; %bb.31:
	s_or_b64 exec, exec, s[20:21]
	v_cmp_gt_u32_e64 s[18:19], 8, v0
	s_waitcnt lgkmcnt(0)
	s_barrier
	s_and_saveexec_b64 s[24:25], s[18:19]
	s_cbranch_execz .LBB1401_33
; %bb.32:
	v_lshlrev_b32_e32 v12, 2, v0
	ds_read_b32 v38, v12
	v_and_b32_e32 v39, 7, v11
	v_cmp_ne_u32_e64 s[18:19], 0, v39
	v_cmp_lt_u32_e64 s[20:21], 1, v39
	s_waitcnt lgkmcnt(0)
	v_mov_b32_dpp v40, v38 row_shr:1 row_mask:0xf bank_mask:0xf
	v_cndmask_b32_e64 v40, 0, v40, s[18:19]
	v_add_u32_e32 v38, v40, v38
	v_cmp_lt_u32_e64 s[18:19], 3, v39
	s_nop 0
	v_mov_b32_dpp v40, v38 row_shr:2 row_mask:0xf bank_mask:0xf
	v_cndmask_b32_e64 v40, 0, v40, s[20:21]
	v_add_u32_e32 v38, v38, v40
	s_nop 1
	v_mov_b32_dpp v40, v38 row_shr:4 row_mask:0xf bank_mask:0xf
	v_cndmask_b32_e64 v39, 0, v40, s[18:19]
	v_add_u32_e32 v38, v38, v39
	ds_write_b32 v12, v38
.LBB1401_33:
	s_or_b64 exec, exec, s[24:25]
	v_cmp_lt_u32_e64 s[18:19], 63, v0
	v_mov_b32_e32 v12, 0
	s_waitcnt lgkmcnt(0)
	s_barrier
	s_and_saveexec_b64 s[20:21], s[18:19]
; %bb.34:
	v_lshl_add_u32 v12, v36, 2, -4
	ds_read_b32 v12, v12
; %bb.35:
	s_or_b64 exec, exec, s[20:21]
	v_subrev_co_u32_e64 v36, s[18:19], 1, v11
	v_and_b32_e32 v38, 64, v11
	v_cmp_lt_i32_e64 s[20:21], v36, v38
	v_cndmask_b32_e64 v11, v36, v11, s[20:21]
	s_waitcnt lgkmcnt(0)
	v_add_u32_e32 v32, v12, v32
	v_lshlrev_b32_e32 v11, 2, v11
	ds_bpermute_b32 v11, v11, v32
	s_movk_i32 s24, 0x100
	v_cmp_gt_u32_e64 s[20:21], s24, v0
	s_waitcnt lgkmcnt(0)
	v_cndmask_b32_e64 v11, v11, v12, s[18:19]
	v_cndmask_b32_e64 v11, v11, 0, s[22:23]
	v_add_u32_e32 v5, v11, v5
	v_add_u32_e32 v6, v5, v6
	;; [unrolled: 1-line block ×4, first 2 shown]
	ds_write2_b32 v14, v11, v5 offset0:8 offset1:9
	ds_write2_b32 v14, v6, v3 offset0:10 offset1:11
	ds_write_b32 v14, v4 offset:48
	s_waitcnt lgkmcnt(0)
	s_barrier
	ds_read_b32 v3, v27 offset:32
	ds_read_b32 v32, v30 offset:32
	;; [unrolled: 1-line block ×6, first 2 shown]
	s_movk_i32 s18, 0xff
	v_cmp_lt_u32_e64 s[18:19], s18, v0
                                        ; implicit-def: $vgpr27
                                        ; implicit-def: $vgpr30
	s_and_saveexec_b64 s[46:47], s[20:21]
	s_cbranch_execz .LBB1401_39
; %bb.36:
	v_mul_u32_u24_e32 v4, 36, v0
	ds_read_b32 v27, v4 offset:32
	v_add_u32_e32 v5, 1, v0
	v_cmp_ne_u32_e64 s[24:25], s24, v5
	v_mov_b32_e32 v4, 0xc00
	s_and_saveexec_b64 s[48:49], s[24:25]
; %bb.37:
	v_mul_u32_u24_e32 v4, 36, v5
	ds_read_b32 v4, v4 offset:32
; %bb.38:
	s_or_b64 exec, exec, s[48:49]
	s_waitcnt lgkmcnt(0)
	v_sub_u32_e32 v30, v4, v27
.LBB1401_39:
	s_or_b64 exec, exec, s[46:47]
	s_waitcnt lgkmcnt(5)
	v_add_u32_e32 v31, v3, v15
	v_add_u32_e32 v12, v19, v18
	v_lshlrev_b32_e32 v3, 1, v31
	v_add_u32_e32 v11, v21, v20
	s_waitcnt lgkmcnt(0)
	s_barrier
	ds_write_b16 v3, v13 offset:1024
	v_add_lshl_u32 v3, v12, v32, 1
	v_add_u32_e32 v6, v23, v22
	ds_write_b16 v3, v16 offset:1024
	v_add_lshl_u32 v3, v11, v33, 1
	v_add_u32_e32 v5, v25, v24
	;; [unrolled: 3-line block ×3, first 2 shown]
	ds_write_b16 v3, v8 offset:1024
	v_add_lshl_u32 v3, v5, v35, 1
	ds_write_b16 v3, v37 offset:1024
	v_add_lshl_u32 v3, v4, v36, 1
	v_mov_b32_e32 v4, 0
	v_lshlrev_b32_e32 v28, 2, v0
	ds_write_b16 v3, v7 offset:1024
	s_and_saveexec_b64 s[24:25], s[20:21]
	s_cbranch_execz .LBB1401_49
; %bb.40:
	v_lshl_add_u32 v3, s33, 8, v0
	v_lshlrev_b64 v[5:6], 2, v[3:4]
	v_mov_b32_e32 v11, s35
	v_add_co_u32_e64 v5, s[20:21], s34, v5
	v_addc_co_u32_e64 v6, s[20:21], v11, v6, s[20:21]
	v_or_b32_e32 v3, 2.0, v30
	s_mov_b64 s[46:47], 0
	s_brev_b32 s54, -4
	s_mov_b32 s55, s33
	v_mov_b32_e32 v12, 0
	global_store_dword v[5:6], v3, off
                                        ; implicit-def: $sgpr20_sgpr21
	s_branch .LBB1401_43
.LBB1401_41:                            ;   in Loop: Header=BB1401_43 Depth=1
	s_or_b64 exec, exec, s[50:51]
.LBB1401_42:                            ;   in Loop: Header=BB1401_43 Depth=1
	s_or_b64 exec, exec, s[48:49]
	v_and_b32_e32 v7, 0x3fffffff, v3
	v_add_u32_e32 v12, v7, v12
	v_cmp_gt_i32_e64 s[20:21], -2.0, v3
	s_and_b64 s[48:49], exec, s[20:21]
	s_or_b64 s[46:47], s[48:49], s[46:47]
	s_andn2_b64 exec, exec, s[46:47]
	s_cbranch_execz .LBB1401_48
.LBB1401_43:                            ; =>This Loop Header: Depth=1
                                        ;     Child Loop BB1401_46 Depth 2
	s_or_b64 s[20:21], s[20:21], exec
	s_cmp_eq_u32 s55, 0
	s_cbranch_scc1 .LBB1401_47
; %bb.44:                               ;   in Loop: Header=BB1401_43 Depth=1
	s_add_i32 s55, s55, -1
	v_lshl_or_b32 v3, s55, 8, v0
	v_lshlrev_b64 v[7:8], 2, v[3:4]
	v_add_co_u32_e64 v7, s[20:21], s34, v7
	v_addc_co_u32_e64 v8, s[20:21], v11, v8, s[20:21]
	global_load_dword v3, v[7:8], off glc
	s_waitcnt vmcnt(0)
	v_cmp_gt_u32_e64 s[20:21], 2.0, v3
	s_and_saveexec_b64 s[48:49], s[20:21]
	s_cbranch_execz .LBB1401_42
; %bb.45:                               ;   in Loop: Header=BB1401_43 Depth=1
	s_mov_b64 s[50:51], 0
.LBB1401_46:                            ;   Parent Loop BB1401_43 Depth=1
                                        ; =>  This Inner Loop Header: Depth=2
	global_load_dword v3, v[7:8], off glc
	s_waitcnt vmcnt(0)
	v_cmp_lt_u32_e64 s[20:21], s54, v3
	s_or_b64 s[50:51], s[20:21], s[50:51]
	s_andn2_b64 exec, exec, s[50:51]
	s_cbranch_execnz .LBB1401_46
	s_branch .LBB1401_41
.LBB1401_47:                            ;   in Loop: Header=BB1401_43 Depth=1
                                        ; implicit-def: $sgpr55
	s_and_b64 s[48:49], exec, s[20:21]
	s_or_b64 s[46:47], s[48:49], s[46:47]
	s_andn2_b64 exec, exec, s[46:47]
	s_cbranch_execnz .LBB1401_43
.LBB1401_48:
	s_or_b64 exec, exec, s[46:47]
	v_add_u32_e32 v3, v12, v30
	v_or_b32_e32 v3, 0x80000000, v3
	global_store_dword v[5:6], v3, off
	global_load_dword v3, v28, s[28:29]
	v_sub_u32_e32 v4, v12, v27
	s_waitcnt vmcnt(0)
	v_add_u32_e32 v3, v4, v3
	ds_write_b32 v28, v3
.LBB1401_49:
	s_or_b64 exec, exec, s[24:25]
	v_cmp_gt_u32_e64 s[20:21], s7, v0
	s_waitcnt lgkmcnt(0)
	s_barrier
	s_and_saveexec_b64 s[24:25], s[20:21]
	s_cbranch_execz .LBB1401_51
; %bb.50:
	v_lshlrev_b32_e32 v3, 1, v0
	v_sub_u32_e32 v3, v28, v3
	ds_read_u16 v3, v3 offset:1024
	v_mov_b32_e32 v7, s39
	s_waitcnt lgkmcnt(0)
	v_lshrrev_b32_sdwa v4, s44, v3 dst_sel:DWORD dst_unused:UNUSED_PAD src0_sel:DWORD src1_sel:WORD_0
	v_and_b32_e32 v5, s53, v4
	v_lshlrev_b32_e32 v4, 2, v5
	ds_read_b32 v6, v4
	v_mov_b32_e32 v4, 0
	v_xor_b32_e32 v8, 0xffff8000, v3
	buffer_store_dword v5, off, s[0:3], 0
	s_waitcnt lgkmcnt(0)
	v_add_u32_e32 v3, v6, v0
	v_lshlrev_b64 v[3:4], 1, v[3:4]
	v_add_co_u32_e64 v3, s[20:21], s38, v3
	v_addc_co_u32_e64 v4, s[20:21], v7, v4, s[20:21]
	global_store_short v[3:4], v8, off
.LBB1401_51:
	s_or_b64 exec, exec, s[24:25]
	v_or_b32_e32 v3, 0x200, v0
	v_cmp_gt_u32_e64 s[20:21], s7, v3
	s_and_saveexec_b64 s[24:25], s[20:21]
	s_cbranch_execz .LBB1401_53
; %bb.52:
	v_lshlrev_b32_e32 v4, 1, v0
	v_sub_u32_e32 v4, v28, v4
	ds_read_u16 v5, v4 offset:2048
	v_mov_b32_e32 v8, s39
	s_waitcnt lgkmcnt(0)
	v_lshrrev_b32_sdwa v4, s44, v5 dst_sel:DWORD dst_unused:UNUSED_PAD src0_sel:DWORD src1_sel:WORD_0
	v_and_b32_e32 v6, s53, v4
	v_lshlrev_b32_e32 v4, 2, v6
	ds_read_b32 v7, v4
	v_mov_b32_e32 v4, 0
	v_xor_b32_e32 v5, 0xffff8000, v5
	buffer_store_dword v6, off, s[0:3], 0 offset:4
	s_waitcnt lgkmcnt(0)
	v_add_u32_e32 v3, v7, v3
	v_lshlrev_b64 v[3:4], 1, v[3:4]
	v_add_co_u32_e64 v3, s[20:21], s38, v3
	v_addc_co_u32_e64 v4, s[20:21], v8, v4, s[20:21]
	global_store_short v[3:4], v5, off
.LBB1401_53:
	s_or_b64 exec, exec, s[24:25]
	v_or_b32_e32 v3, 0x400, v0
	v_cmp_gt_u32_e64 s[20:21], s7, v3
	s_and_saveexec_b64 s[24:25], s[20:21]
	s_cbranch_execz .LBB1401_55
; %bb.54:
	v_lshlrev_b32_e32 v4, 1, v0
	v_sub_u32_e32 v4, v28, v4
	ds_read_u16 v5, v4 offset:3072
	v_mov_b32_e32 v8, s39
	s_waitcnt lgkmcnt(0)
	v_lshrrev_b32_sdwa v4, s44, v5 dst_sel:DWORD dst_unused:UNUSED_PAD src0_sel:DWORD src1_sel:WORD_0
	v_and_b32_e32 v6, s53, v4
	v_lshlrev_b32_e32 v4, 2, v6
	ds_read_b32 v7, v4
	v_mov_b32_e32 v4, 0
	v_xor_b32_e32 v5, 0xffff8000, v5
	buffer_store_dword v6, off, s[0:3], 0 offset:8
	s_waitcnt lgkmcnt(0)
	v_add_u32_e32 v3, v7, v3
	v_lshlrev_b64 v[3:4], 1, v[3:4]
	v_add_co_u32_e64 v3, s[20:21], s38, v3
	v_addc_co_u32_e64 v4, s[20:21], v8, v4, s[20:21]
	global_store_short v[3:4], v5, off
.LBB1401_55:
	;; [unrolled: 25-line block ×5, first 2 shown]
	s_or_b64 exec, exec, s[24:25]
	s_lshl_b64 s[20:21], s[26:27], 3
	s_add_u32 s20, s40, s20
	s_addc_u32 s21, s41, s21
	v_lshlrev_b32_e32 v3, 3, v10
	v_mov_b32_e32 v4, s21
	v_add_co_u32_e64 v3, s[20:21], s20, v3
	v_addc_co_u32_e64 v4, s[20:21], 0, v4, s[20:21]
	v_lshlrev_b32_e32 v5, 3, v9
	v_add_co_u32_e64 v15, s[20:21], v3, v5
	v_addc_co_u32_e64 v16, s[20:21], 0, v4, s[20:21]
                                        ; implicit-def: $vgpr3_vgpr4
	s_and_saveexec_b64 s[20:21], vcc
	s_xor_b64 s[20:21], exec, s[20:21]
	s_cbranch_execz .LBB1401_67
; %bb.62:
	global_load_dwordx2 v[3:4], v[15:16], off
	s_or_b64 exec, exec, s[20:21]
                                        ; implicit-def: $vgpr5_vgpr6
	s_and_saveexec_b64 s[20:21], s[8:9]
	s_cbranch_execnz .LBB1401_68
.LBB1401_63:
	s_or_b64 exec, exec, s[20:21]
                                        ; implicit-def: $vgpr7_vgpr8
	s_and_saveexec_b64 s[8:9], s[10:11]
	s_cbranch_execz .LBB1401_69
.LBB1401_64:
	global_load_dwordx2 v[7:8], v[15:16], off offset:1024
	s_or_b64 exec, exec, s[8:9]
                                        ; implicit-def: $vgpr9_vgpr10
	s_and_saveexec_b64 s[8:9], s[12:13]
	s_cbranch_execnz .LBB1401_70
.LBB1401_65:
	s_or_b64 exec, exec, s[8:9]
                                        ; implicit-def: $vgpr11_vgpr12
	s_and_saveexec_b64 s[8:9], s[14:15]
	s_cbranch_execz .LBB1401_71
.LBB1401_66:
	global_load_dwordx2 v[11:12], v[15:16], off offset:2048
	s_or_b64 exec, exec, s[8:9]
                                        ; implicit-def: $vgpr13_vgpr14
	s_and_saveexec_b64 s[8:9], s[16:17]
	s_cbranch_execnz .LBB1401_72
	s_branch .LBB1401_73
.LBB1401_67:
	s_or_b64 exec, exec, s[20:21]
                                        ; implicit-def: $vgpr5_vgpr6
	s_and_saveexec_b64 s[20:21], s[8:9]
	s_cbranch_execz .LBB1401_63
.LBB1401_68:
	global_load_dwordx2 v[5:6], v[15:16], off offset:512
	s_or_b64 exec, exec, s[20:21]
                                        ; implicit-def: $vgpr7_vgpr8
	s_and_saveexec_b64 s[8:9], s[10:11]
	s_cbranch_execnz .LBB1401_64
.LBB1401_69:
	s_or_b64 exec, exec, s[8:9]
                                        ; implicit-def: $vgpr9_vgpr10
	s_and_saveexec_b64 s[8:9], s[12:13]
	s_cbranch_execz .LBB1401_65
.LBB1401_70:
	global_load_dwordx2 v[9:10], v[15:16], off offset:1536
	s_or_b64 exec, exec, s[8:9]
                                        ; implicit-def: $vgpr11_vgpr12
	s_and_saveexec_b64 s[8:9], s[14:15]
	s_cbranch_execnz .LBB1401_66
.LBB1401_71:
	s_or_b64 exec, exec, s[8:9]
                                        ; implicit-def: $vgpr13_vgpr14
	s_and_saveexec_b64 s[8:9], s[16:17]
	s_cbranch_execz .LBB1401_73
.LBB1401_72:
	global_load_dwordx2 v[13:14], v[15:16], off offset:2560
.LBB1401_73:
	s_or_b64 exec, exec, s[8:9]
	v_lshlrev_b32_e32 v37, 3, v0
	v_add3_u32 v26, v29, v36, v26
	v_add3_u32 v24, v25, v35, v24
	;; [unrolled: 1-line block ×5, first 2 shown]
	s_mov_b32 s10, 0
	s_mov_b32 s11, 0
	v_mov_b32_e32 v16, 0
	s_movk_i32 s12, 0x200
	v_mov_b32_e32 v19, v0
	s_waitcnt vmcnt(0)
	s_barrier
	s_branch .LBB1401_75
.LBB1401_74:                            ;   in Loop: Header=BB1401_75 Depth=1
	s_or_b64 exec, exec, s[8:9]
	s_addk_i32 s11, 0xfc00
	s_add_i32 s10, s10, 8
	s_cmpk_eq_i32 s11, 0xf400
	v_add_u32_e32 v19, 0x400, v19
	s_waitcnt vmcnt(0)
	s_barrier
	s_cbranch_scc1 .LBB1401_79
.LBB1401_75:                            ; =>This Inner Loop Header: Depth=1
	v_add_u32_e32 v15, s11, v31
	v_min_u32_e32 v15, 0x400, v15
	v_lshlrev_b32_e32 v15, 3, v15
	ds_write_b64 v15, v[3:4] offset:1024
	v_add_u32_e32 v15, s11, v18
	v_min_u32_e32 v15, 0x400, v15
	v_lshlrev_b32_e32 v15, 3, v15
	ds_write_b64 v15, v[5:6] offset:1024
	;; [unrolled: 4-line block ×5, first 2 shown]
	v_add_u32_e32 v15, s11, v26
	v_min_u32_e32 v15, 0x400, v15
	v_lshlrev_b32_e32 v15, 3, v15
	v_cmp_gt_u32_e32 vcc, s7, v19
	ds_write_b64 v15, v[13:14] offset:1024
	s_waitcnt lgkmcnt(0)
	s_barrier
	s_and_saveexec_b64 s[8:9], vcc
	s_cbranch_execz .LBB1401_77
; %bb.76:                               ;   in Loop: Header=BB1401_75 Depth=1
	v_mov_b32_e32 v15, s10
	buffer_load_dword v15, v15, s[0:3], 0 offen
	v_mov_b32_e32 v21, s43
	s_waitcnt vmcnt(0)
	v_lshlrev_b32_e32 v15, 2, v15
	ds_read_b32 v15, v15
	ds_read_b64 v[32:33], v37 offset:1024
	s_waitcnt lgkmcnt(1)
	v_add_u32_e32 v15, v19, v15
	v_lshlrev_b64 v[34:35], 3, v[15:16]
	v_add_co_u32_e32 v34, vcc, s42, v34
	v_addc_co_u32_e32 v35, vcc, v21, v35, vcc
	s_waitcnt lgkmcnt(0)
	global_store_dwordx2 v[34:35], v[32:33], off
.LBB1401_77:                            ;   in Loop: Header=BB1401_75 Depth=1
	s_or_b64 exec, exec, s[8:9]
	v_add_u32_e32 v15, 0x200, v19
	v_cmp_gt_u32_e32 vcc, s7, v15
	s_and_saveexec_b64 s[8:9], vcc
	s_cbranch_execz .LBB1401_74
; %bb.78:                               ;   in Loop: Header=BB1401_75 Depth=1
	v_mov_b32_e32 v15, s10
	buffer_load_dword v15, v15, s[0:3], 0 offen offset:4
	v_mov_b32_e32 v21, s43
	s_waitcnt vmcnt(0)
	v_lshlrev_b32_e32 v15, 2, v15
	ds_read_b32 v15, v15
	ds_read_b64 v[32:33], v37 offset:5120
	s_waitcnt lgkmcnt(1)
	v_add3_u32 v15, v19, v15, s12
	v_lshlrev_b64 v[34:35], 3, v[15:16]
	v_add_co_u32_e32 v34, vcc, s42, v34
	v_addc_co_u32_e32 v35, vcc, v21, v35, vcc
	s_waitcnt lgkmcnt(0)
	global_store_dwordx2 v[34:35], v[32:33], off
	s_branch .LBB1401_74
.LBB1401_79:
	s_add_i32 s52, s52, -1
	s_cmp_eq_u32 s33, s52
	s_cselect_b64 s[8:9], -1, 0
	s_xor_b64 s[10:11], s[18:19], -1
	s_and_b64 s[10:11], s[10:11], s[8:9]
	s_and_saveexec_b64 s[8:9], s[10:11]
	s_cbranch_execz .LBB1401_81
; %bb.80:
	ds_read_b32 v3, v28
	s_waitcnt lgkmcnt(0)
	v_add3_u32 v3, v27, v30, v3
	global_store_dword v28, v3, s[30:31]
.LBB1401_81:
	s_or_b64 exec, exec, s[8:9]
	s_mov_b64 s[8:9], 0
.LBB1401_82:
	s_and_b64 vcc, exec, s[8:9]
	s_cbranch_vccz .LBB1401_119
; %bb.83:
	s_mov_b32 s27, 0
	s_lshl_b64 s[8:9], s[26:27], 1
	v_mbcnt_hi_u32_b32 v6, -1, v17
	s_add_u32 s7, s36, s8
	v_and_b32_e32 v8, 63, v6
	s_addc_u32 s8, s37, s9
	v_and_b32_e32 v9, 0x1c0, v0
	v_lshlrev_b32_e32 v3, 1, v8
	v_mul_u32_u24_e32 v7, 6, v9
	v_mov_b32_e32 v4, s8
	v_add_co_u32_e32 v3, vcc, s7, v3
	v_addc_co_u32_e32 v5, vcc, 0, v4, vcc
	v_lshlrev_b32_e32 v4, 1, v7
	v_add_co_u32_e32 v4, vcc, v3, v4
	v_addc_co_u32_e32 v5, vcc, 0, v5, vcc
	global_load_ushort v10, v[4:5], off
	s_load_dword s7, s[4:5], 0x64
	s_load_dword s14, s[4:5], 0x58
	s_add_u32 s4, s4, 0x58
	s_addc_u32 s5, s5, 0
	v_mov_b32_e32 v3, 0
	s_waitcnt lgkmcnt(0)
	s_lshr_b32 s7, s7, 16
	s_cmp_lt_u32 s6, s14
	s_cselect_b32 s6, 12, 18
	s_add_u32 s4, s4, s6
	s_addc_u32 s5, s5, 0
	global_load_ushort v11, v3, s[4:5]
	global_load_ushort v14, v[4:5], off offset:128
	global_load_ushort v17, v[4:5], off offset:256
	;; [unrolled: 1-line block ×5, first 2 shown]
	s_lshl_b32 s4, -1, s45
	s_not_b32 s15, s4
	v_mad_u32_u24 v1, v2, s7, v1
	s_waitcnt vmcnt(6)
	v_xor_b32_e32 v10, 0xffff8000, v10
	v_lshrrev_b32_sdwa v4, s44, v10 dst_sel:DWORD dst_unused:UNUSED_PAD src0_sel:DWORD src1_sel:WORD_0
	v_and_b32_e32 v13, s15, v4
	v_and_b32_e32 v5, 1, v13
	v_add_co_u32_e32 v12, vcc, -1, v5
	v_lshlrev_b32_e32 v4, 30, v13
	v_addc_co_u32_e64 v15, s[4:5], 0, -1, vcc
	v_cmp_ne_u32_e32 vcc, 0, v5
	v_cmp_gt_i64_e64 s[4:5], 0, v[3:4]
	v_not_b32_e32 v5, v4
	v_lshlrev_b32_e32 v4, 29, v13
	v_xor_b32_e32 v15, vcc_hi, v15
	v_ashrrev_i32_e32 v5, 31, v5
	v_xor_b32_e32 v12, vcc_lo, v12
	v_cmp_gt_i64_e32 vcc, 0, v[3:4]
	v_not_b32_e32 v16, v4
	v_lshlrev_b32_e32 v4, 28, v13
	v_and_b32_e32 v15, exec_hi, v15
	v_xor_b32_e32 v18, s5, v5
	v_and_b32_e32 v12, exec_lo, v12
	v_xor_b32_e32 v5, s4, v5
	v_ashrrev_i32_e32 v16, 31, v16
	v_cmp_gt_i64_e64 s[4:5], 0, v[3:4]
	v_not_b32_e32 v20, v4
	v_lshlrev_b32_e32 v4, 27, v13
	v_and_b32_e32 v15, v15, v18
	v_and_b32_e32 v5, v12, v5
	v_xor_b32_e32 v12, vcc_hi, v16
	v_xor_b32_e32 v16, vcc_lo, v16
	v_ashrrev_i32_e32 v18, 31, v20
	v_cmp_gt_i64_e32 vcc, 0, v[3:4]
	v_not_b32_e32 v20, v4
	v_lshlrev_b32_e32 v4, 26, v13
	v_and_b32_e32 v12, v15, v12
	v_and_b32_e32 v5, v5, v16
	v_xor_b32_e32 v15, s5, v18
	v_xor_b32_e32 v16, s4, v18
	v_ashrrev_i32_e32 v18, 31, v20
	v_cmp_gt_i64_e64 s[4:5], 0, v[3:4]
	v_not_b32_e32 v20, v4
	v_lshlrev_b32_e32 v4, 25, v13
	v_and_b32_e32 v12, v12, v15
	v_and_b32_e32 v5, v5, v16
	v_xor_b32_e32 v15, vcc_hi, v18
	v_xor_b32_e32 v16, vcc_lo, v18
	v_ashrrev_i32_e32 v18, 31, v20
	v_cmp_gt_i64_e32 vcc, 0, v[3:4]
	v_not_b32_e32 v20, v4
	v_lshlrev_b32_e32 v4, 24, v13
	v_and_b32_e32 v12, v12, v15
	v_and_b32_e32 v5, v5, v16
	v_xor_b32_e32 v15, s5, v18
	v_xor_b32_e32 v16, s4, v18
	v_ashrrev_i32_e32 v18, 31, v20
	v_cmp_gt_i64_e64 s[4:5], 0, v[3:4]
	v_not_b32_e32 v4, v4
	v_and_b32_e32 v12, v12, v15
	v_and_b32_e32 v5, v5, v16
	v_xor_b32_e32 v15, vcc_hi, v18
	v_xor_b32_e32 v16, vcc_lo, v18
	v_ashrrev_i32_e32 v4, 31, v4
	v_and_b32_e32 v12, v12, v15
	v_and_b32_e32 v15, v5, v16
	v_xor_b32_e32 v5, s5, v4
	v_xor_b32_e32 v4, s4, v4
	s_waitcnt vmcnt(5)
	v_mad_u64_u32 v[1:2], s[4:5], v1, v11, v[0:1]
	v_and_b32_e32 v4, v15, v4
	v_and_b32_e32 v5, v12, v5
	v_lshrrev_b32_e32 v1, 6, v1
	v_lshlrev_b32_e32 v24, 2, v1
	v_mbcnt_lo_u32_b32 v1, v4, 0
	v_mbcnt_hi_u32_b32 v11, v5, v1
	v_cmp_ne_u64_e32 vcc, 0, v[4:5]
	v_cmp_eq_u32_e64 s[4:5], 0, v11
	v_mul_u32_u24_e32 v12, 20, v0
	v_mad_u32_u24 v13, v13, 36, v24
	s_and_b64 s[6:7], vcc, s[4:5]
	ds_write2_b32 v12, v3, v3 offset0:8 offset1:9
	ds_write2_b32 v12, v3, v3 offset0:10 offset1:11
	ds_write_b32 v12, v3 offset:48
	s_waitcnt vmcnt(0) lgkmcnt(0)
	s_barrier
	; wave barrier
	s_and_saveexec_b64 s[4:5], s[6:7]
; %bb.84:
	v_bcnt_u32_b32 v1, v4, 0
	v_bcnt_u32_b32 v1, v5, v1
	ds_write_b32 v13, v1 offset:32
; %bb.85:
	s_or_b64 exec, exec, s[4:5]
	v_xor_b32_e32 v5, 0xffff8000, v14
	v_lshrrev_b32_sdwa v1, s44, v5 dst_sel:DWORD dst_unused:UNUSED_PAD src0_sel:DWORD src1_sel:WORD_0
	v_and_b32_e32 v1, s15, v1
	v_and_b32_e32 v2, 1, v1
	v_add_co_u32_e32 v4, vcc, -1, v2
	v_addc_co_u32_e64 v16, s[4:5], 0, -1, vcc
	v_cmp_ne_u32_e32 vcc, 0, v2
	v_xor_b32_e32 v4, vcc_lo, v4
	v_xor_b32_e32 v2, vcc_hi, v16
	v_and_b32_e32 v16, exec_lo, v4
	v_lshlrev_b32_e32 v4, 30, v1
	v_cmp_gt_i64_e32 vcc, 0, v[3:4]
	v_not_b32_e32 v4, v4
	v_ashrrev_i32_e32 v4, 31, v4
	v_xor_b32_e32 v18, vcc_hi, v4
	v_xor_b32_e32 v4, vcc_lo, v4
	v_and_b32_e32 v16, v16, v4
	v_lshlrev_b32_e32 v4, 29, v1
	v_cmp_gt_i64_e32 vcc, 0, v[3:4]
	v_not_b32_e32 v4, v4
	v_and_b32_e32 v2, exec_hi, v2
	v_ashrrev_i32_e32 v4, 31, v4
	v_and_b32_e32 v2, v2, v18
	v_xor_b32_e32 v18, vcc_hi, v4
	v_xor_b32_e32 v4, vcc_lo, v4
	v_and_b32_e32 v16, v16, v4
	v_lshlrev_b32_e32 v4, 28, v1
	v_cmp_gt_i64_e32 vcc, 0, v[3:4]
	v_not_b32_e32 v4, v4
	v_ashrrev_i32_e32 v4, 31, v4
	v_and_b32_e32 v2, v2, v18
	v_xor_b32_e32 v18, vcc_hi, v4
	v_xor_b32_e32 v4, vcc_lo, v4
	v_and_b32_e32 v16, v16, v4
	v_lshlrev_b32_e32 v4, 27, v1
	v_cmp_gt_i64_e32 vcc, 0, v[3:4]
	v_not_b32_e32 v4, v4
	;; [unrolled: 8-line block ×4, first 2 shown]
	v_ashrrev_i32_e32 v4, 31, v4
	v_and_b32_e32 v2, v2, v18
	v_xor_b32_e32 v18, vcc_hi, v4
	v_xor_b32_e32 v4, vcc_lo, v4
	v_and_b32_e32 v16, v16, v4
	v_lshlrev_b32_e32 v4, 24, v1
	v_mad_u32_u24 v14, v1, 36, v24
	v_cmp_gt_i64_e32 vcc, 0, v[3:4]
	v_not_b32_e32 v1, v4
	v_ashrrev_i32_e32 v1, 31, v1
	v_xor_b32_e32 v3, vcc_hi, v1
	v_xor_b32_e32 v1, vcc_lo, v1
	; wave barrier
	ds_read_b32 v15, v14 offset:32
	v_and_b32_e32 v2, v2, v18
	v_and_b32_e32 v1, v16, v1
	;; [unrolled: 1-line block ×3, first 2 shown]
	v_mbcnt_lo_u32_b32 v3, v1, 0
	v_mbcnt_hi_u32_b32 v16, v2, v3
	v_cmp_ne_u64_e32 vcc, 0, v[1:2]
	v_cmp_eq_u32_e64 s[4:5], 0, v16
	s_and_b64 s[6:7], vcc, s[4:5]
	; wave barrier
	s_and_saveexec_b64 s[4:5], s[6:7]
	s_cbranch_execz .LBB1401_87
; %bb.86:
	v_bcnt_u32_b32 v1, v1, 0
	v_bcnt_u32_b32 v1, v2, v1
	s_waitcnt lgkmcnt(0)
	v_add_u32_e32 v1, v15, v1
	ds_write_b32 v14, v1 offset:32
.LBB1401_87:
	s_or_b64 exec, exec, s[4:5]
	v_xor_b32_e32 v25, 0xffff8000, v17
	v_lshrrev_b32_sdwa v1, s44, v25 dst_sel:DWORD dst_unused:UNUSED_PAD src0_sel:DWORD src1_sel:WORD_0
	v_and_b32_e32 v3, s15, v1
	v_and_b32_e32 v2, 1, v3
	v_add_co_u32_e32 v4, vcc, -1, v2
	v_addc_co_u32_e64 v18, s[4:5], 0, -1, vcc
	v_cmp_ne_u32_e32 vcc, 0, v2
	v_xor_b32_e32 v2, vcc_hi, v18
	v_mov_b32_e32 v1, 0
	v_and_b32_e32 v18, exec_hi, v2
	v_lshlrev_b32_e32 v2, 30, v3
	v_xor_b32_e32 v4, vcc_lo, v4
	v_cmp_gt_i64_e32 vcc, 0, v[1:2]
	v_not_b32_e32 v2, v2
	v_ashrrev_i32_e32 v2, 31, v2
	v_and_b32_e32 v4, exec_lo, v4
	v_xor_b32_e32 v20, vcc_hi, v2
	v_xor_b32_e32 v2, vcc_lo, v2
	v_and_b32_e32 v4, v4, v2
	v_lshlrev_b32_e32 v2, 29, v3
	v_cmp_gt_i64_e32 vcc, 0, v[1:2]
	v_not_b32_e32 v2, v2
	v_ashrrev_i32_e32 v2, 31, v2
	v_and_b32_e32 v18, v18, v20
	v_xor_b32_e32 v20, vcc_hi, v2
	v_xor_b32_e32 v2, vcc_lo, v2
	v_and_b32_e32 v4, v4, v2
	v_lshlrev_b32_e32 v2, 28, v3
	v_cmp_gt_i64_e32 vcc, 0, v[1:2]
	v_not_b32_e32 v2, v2
	v_ashrrev_i32_e32 v2, 31, v2
	v_and_b32_e32 v18, v18, v20
	v_xor_b32_e32 v20, vcc_hi, v2
	v_xor_b32_e32 v2, vcc_lo, v2
	v_and_b32_e32 v4, v4, v2
	v_lshlrev_b32_e32 v2, 27, v3
	v_cmp_gt_i64_e32 vcc, 0, v[1:2]
	v_not_b32_e32 v2, v2
	v_ashrrev_i32_e32 v2, 31, v2
	v_and_b32_e32 v18, v18, v20
	v_xor_b32_e32 v20, vcc_hi, v2
	v_xor_b32_e32 v2, vcc_lo, v2
	v_and_b32_e32 v4, v4, v2
	v_lshlrev_b32_e32 v2, 26, v3
	v_cmp_gt_i64_e32 vcc, 0, v[1:2]
	v_not_b32_e32 v2, v2
	v_ashrrev_i32_e32 v2, 31, v2
	v_and_b32_e32 v18, v18, v20
	v_xor_b32_e32 v20, vcc_hi, v2
	v_xor_b32_e32 v2, vcc_lo, v2
	v_and_b32_e32 v4, v4, v2
	v_lshlrev_b32_e32 v2, 25, v3
	v_cmp_gt_i64_e32 vcc, 0, v[1:2]
	v_not_b32_e32 v2, v2
	v_ashrrev_i32_e32 v2, 31, v2
	v_and_b32_e32 v18, v18, v20
	v_xor_b32_e32 v20, vcc_hi, v2
	v_xor_b32_e32 v2, vcc_lo, v2
	v_and_b32_e32 v4, v4, v2
	v_lshlrev_b32_e32 v2, 24, v3
	v_cmp_gt_i64_e32 vcc, 0, v[1:2]
	v_not_b32_e32 v2, v2
	v_ashrrev_i32_e32 v2, 31, v2
	v_mad_u32_u24 v27, v3, 36, v24
	v_xor_b32_e32 v3, vcc_hi, v2
	v_xor_b32_e32 v2, vcc_lo, v2
	; wave barrier
	ds_read_b32 v17, v27 offset:32
	v_and_b32_e32 v18, v18, v20
	v_and_b32_e32 v2, v4, v2
	;; [unrolled: 1-line block ×3, first 2 shown]
	v_mbcnt_lo_u32_b32 v4, v2, 0
	v_mbcnt_hi_u32_b32 v18, v3, v4
	v_cmp_ne_u64_e32 vcc, 0, v[2:3]
	v_cmp_eq_u32_e64 s[4:5], 0, v18
	s_and_b64 s[6:7], vcc, s[4:5]
	; wave barrier
	s_and_saveexec_b64 s[4:5], s[6:7]
	s_cbranch_execz .LBB1401_89
; %bb.88:
	v_bcnt_u32_b32 v2, v2, 0
	v_bcnt_u32_b32 v2, v3, v2
	s_waitcnt lgkmcnt(0)
	v_add_u32_e32 v2, v17, v2
	ds_write_b32 v27, v2 offset:32
.LBB1401_89:
	s_or_b64 exec, exec, s[4:5]
	v_xor_b32_e32 v30, 0xffff8000, v19
	v_lshrrev_b32_sdwa v2, s44, v30 dst_sel:DWORD dst_unused:UNUSED_PAD src0_sel:DWORD src1_sel:WORD_0
	v_and_b32_e32 v3, s15, v2
	v_and_b32_e32 v2, 1, v3
	v_add_co_u32_e32 v4, vcc, -1, v2
	v_addc_co_u32_e64 v20, s[4:5], 0, -1, vcc
	v_cmp_ne_u32_e32 vcc, 0, v2
	v_xor_b32_e32 v2, vcc_hi, v20
	v_and_b32_e32 v20, exec_hi, v2
	v_lshlrev_b32_e32 v2, 30, v3
	v_xor_b32_e32 v4, vcc_lo, v4
	v_cmp_gt_i64_e32 vcc, 0, v[1:2]
	v_not_b32_e32 v2, v2
	v_ashrrev_i32_e32 v2, 31, v2
	v_and_b32_e32 v4, exec_lo, v4
	v_xor_b32_e32 v22, vcc_hi, v2
	v_xor_b32_e32 v2, vcc_lo, v2
	v_and_b32_e32 v4, v4, v2
	v_lshlrev_b32_e32 v2, 29, v3
	v_cmp_gt_i64_e32 vcc, 0, v[1:2]
	v_not_b32_e32 v2, v2
	v_ashrrev_i32_e32 v2, 31, v2
	v_and_b32_e32 v20, v20, v22
	v_xor_b32_e32 v22, vcc_hi, v2
	v_xor_b32_e32 v2, vcc_lo, v2
	v_and_b32_e32 v4, v4, v2
	v_lshlrev_b32_e32 v2, 28, v3
	v_cmp_gt_i64_e32 vcc, 0, v[1:2]
	v_not_b32_e32 v2, v2
	v_ashrrev_i32_e32 v2, 31, v2
	v_and_b32_e32 v20, v20, v22
	v_xor_b32_e32 v22, vcc_hi, v2
	v_xor_b32_e32 v2, vcc_lo, v2
	v_and_b32_e32 v4, v4, v2
	v_lshlrev_b32_e32 v2, 27, v3
	v_cmp_gt_i64_e32 vcc, 0, v[1:2]
	v_not_b32_e32 v2, v2
	v_ashrrev_i32_e32 v2, 31, v2
	v_and_b32_e32 v20, v20, v22
	v_xor_b32_e32 v22, vcc_hi, v2
	v_xor_b32_e32 v2, vcc_lo, v2
	v_and_b32_e32 v4, v4, v2
	v_lshlrev_b32_e32 v2, 26, v3
	v_cmp_gt_i64_e32 vcc, 0, v[1:2]
	v_not_b32_e32 v2, v2
	v_ashrrev_i32_e32 v2, 31, v2
	v_and_b32_e32 v20, v20, v22
	v_xor_b32_e32 v22, vcc_hi, v2
	v_xor_b32_e32 v2, vcc_lo, v2
	v_and_b32_e32 v4, v4, v2
	v_lshlrev_b32_e32 v2, 25, v3
	v_cmp_gt_i64_e32 vcc, 0, v[1:2]
	v_not_b32_e32 v2, v2
	v_ashrrev_i32_e32 v2, 31, v2
	v_and_b32_e32 v20, v20, v22
	v_xor_b32_e32 v22, vcc_hi, v2
	v_xor_b32_e32 v2, vcc_lo, v2
	v_and_b32_e32 v4, v4, v2
	v_lshlrev_b32_e32 v2, 24, v3
	v_cmp_gt_i64_e32 vcc, 0, v[1:2]
	v_not_b32_e32 v1, v2
	v_ashrrev_i32_e32 v1, 31, v1
	v_mad_u32_u24 v28, v3, 36, v24
	v_xor_b32_e32 v2, vcc_hi, v1
	v_xor_b32_e32 v1, vcc_lo, v1
	; wave barrier
	ds_read_b32 v19, v28 offset:32
	v_and_b32_e32 v20, v20, v22
	v_and_b32_e32 v1, v4, v1
	;; [unrolled: 1-line block ×3, first 2 shown]
	v_mbcnt_lo_u32_b32 v3, v1, 0
	v_mbcnt_hi_u32_b32 v20, v2, v3
	v_cmp_ne_u64_e32 vcc, 0, v[1:2]
	v_cmp_eq_u32_e64 s[4:5], 0, v20
	s_and_b64 s[6:7], vcc, s[4:5]
	; wave barrier
	s_and_saveexec_b64 s[4:5], s[6:7]
	s_cbranch_execz .LBB1401_91
; %bb.90:
	v_bcnt_u32_b32 v1, v1, 0
	v_bcnt_u32_b32 v1, v2, v1
	s_waitcnt lgkmcnt(0)
	v_add_u32_e32 v1, v19, v1
	ds_write_b32 v28, v1 offset:32
.LBB1401_91:
	s_or_b64 exec, exec, s[4:5]
	v_xor_b32_e32 v36, 0xffff8000, v21
	v_lshrrev_b32_sdwa v1, s44, v36 dst_sel:DWORD dst_unused:UNUSED_PAD src0_sel:DWORD src1_sel:WORD_0
	v_and_b32_e32 v3, s15, v1
	v_and_b32_e32 v2, 1, v3
	v_add_co_u32_e32 v4, vcc, -1, v2
	v_addc_co_u32_e64 v22, s[4:5], 0, -1, vcc
	v_cmp_ne_u32_e32 vcc, 0, v2
	v_xor_b32_e32 v2, vcc_hi, v22
	v_mov_b32_e32 v1, 0
	v_and_b32_e32 v22, exec_hi, v2
	v_lshlrev_b32_e32 v2, 30, v3
	v_xor_b32_e32 v4, vcc_lo, v4
	v_cmp_gt_i64_e32 vcc, 0, v[1:2]
	v_not_b32_e32 v2, v2
	v_ashrrev_i32_e32 v2, 31, v2
	v_and_b32_e32 v4, exec_lo, v4
	v_xor_b32_e32 v26, vcc_hi, v2
	v_xor_b32_e32 v2, vcc_lo, v2
	v_and_b32_e32 v4, v4, v2
	v_lshlrev_b32_e32 v2, 29, v3
	v_cmp_gt_i64_e32 vcc, 0, v[1:2]
	v_not_b32_e32 v2, v2
	v_ashrrev_i32_e32 v2, 31, v2
	v_and_b32_e32 v22, v22, v26
	v_xor_b32_e32 v26, vcc_hi, v2
	v_xor_b32_e32 v2, vcc_lo, v2
	v_and_b32_e32 v4, v4, v2
	v_lshlrev_b32_e32 v2, 28, v3
	v_cmp_gt_i64_e32 vcc, 0, v[1:2]
	v_not_b32_e32 v2, v2
	v_ashrrev_i32_e32 v2, 31, v2
	v_and_b32_e32 v22, v22, v26
	;; [unrolled: 8-line block ×5, first 2 shown]
	v_xor_b32_e32 v26, vcc_hi, v2
	v_xor_b32_e32 v2, vcc_lo, v2
	v_and_b32_e32 v4, v4, v2
	v_lshlrev_b32_e32 v2, 24, v3
	v_cmp_gt_i64_e32 vcc, 0, v[1:2]
	v_not_b32_e32 v2, v2
	v_ashrrev_i32_e32 v2, 31, v2
	v_mad_u32_u24 v29, v3, 36, v24
	v_xor_b32_e32 v3, vcc_hi, v2
	v_xor_b32_e32 v2, vcc_lo, v2
	; wave barrier
	ds_read_b32 v21, v29 offset:32
	v_and_b32_e32 v22, v22, v26
	v_and_b32_e32 v2, v4, v2
	;; [unrolled: 1-line block ×3, first 2 shown]
	v_mbcnt_lo_u32_b32 v4, v2, 0
	v_mbcnt_hi_u32_b32 v22, v3, v4
	v_cmp_ne_u64_e32 vcc, 0, v[2:3]
	v_cmp_eq_u32_e64 s[4:5], 0, v22
	s_and_b64 s[6:7], vcc, s[4:5]
	; wave barrier
	s_and_saveexec_b64 s[4:5], s[6:7]
	s_cbranch_execz .LBB1401_93
; %bb.92:
	v_bcnt_u32_b32 v2, v2, 0
	v_bcnt_u32_b32 v2, v3, v2
	s_waitcnt lgkmcnt(0)
	v_add_u32_e32 v2, v21, v2
	ds_write_b32 v29, v2 offset:32
.LBB1401_93:
	s_or_b64 exec, exec, s[4:5]
	v_xor_b32_e32 v37, 0xffff8000, v23
	v_lshrrev_b32_sdwa v2, s44, v37 dst_sel:DWORD dst_unused:UNUSED_PAD src0_sel:DWORD src1_sel:WORD_0
	v_and_b32_e32 v3, s15, v2
	v_and_b32_e32 v2, 1, v3
	v_add_co_u32_e32 v4, vcc, -1, v2
	v_mad_u32_u24 v35, v3, 36, v24
	v_addc_co_u32_e64 v24, s[4:5], 0, -1, vcc
	v_cmp_ne_u32_e32 vcc, 0, v2
	v_xor_b32_e32 v2, vcc_hi, v24
	v_and_b32_e32 v24, exec_hi, v2
	v_lshlrev_b32_e32 v2, 30, v3
	v_xor_b32_e32 v4, vcc_lo, v4
	v_cmp_gt_i64_e32 vcc, 0, v[1:2]
	v_not_b32_e32 v2, v2
	v_ashrrev_i32_e32 v2, 31, v2
	v_and_b32_e32 v4, exec_lo, v4
	v_xor_b32_e32 v26, vcc_hi, v2
	v_xor_b32_e32 v2, vcc_lo, v2
	v_and_b32_e32 v4, v4, v2
	v_lshlrev_b32_e32 v2, 29, v3
	v_cmp_gt_i64_e32 vcc, 0, v[1:2]
	v_not_b32_e32 v2, v2
	v_ashrrev_i32_e32 v2, 31, v2
	v_and_b32_e32 v24, v24, v26
	v_xor_b32_e32 v26, vcc_hi, v2
	v_xor_b32_e32 v2, vcc_lo, v2
	v_and_b32_e32 v4, v4, v2
	v_lshlrev_b32_e32 v2, 28, v3
	v_cmp_gt_i64_e32 vcc, 0, v[1:2]
	v_not_b32_e32 v2, v2
	v_ashrrev_i32_e32 v2, 31, v2
	v_and_b32_e32 v24, v24, v26
	;; [unrolled: 8-line block ×5, first 2 shown]
	v_xor_b32_e32 v26, vcc_hi, v2
	v_xor_b32_e32 v2, vcc_lo, v2
	v_and_b32_e32 v4, v4, v2
	v_lshlrev_b32_e32 v2, 24, v3
	v_cmp_gt_i64_e32 vcc, 0, v[1:2]
	v_not_b32_e32 v1, v2
	v_ashrrev_i32_e32 v1, 31, v1
	v_xor_b32_e32 v2, vcc_hi, v1
	v_xor_b32_e32 v1, vcc_lo, v1
	; wave barrier
	ds_read_b32 v23, v35 offset:32
	v_and_b32_e32 v24, v24, v26
	v_and_b32_e32 v1, v4, v1
	v_and_b32_e32 v2, v24, v2
	v_mbcnt_lo_u32_b32 v3, v1, 0
	v_mbcnt_hi_u32_b32 v26, v2, v3
	v_cmp_ne_u64_e32 vcc, 0, v[1:2]
	v_cmp_eq_u32_e64 s[4:5], 0, v26
	s_and_b64 s[6:7], vcc, s[4:5]
	; wave barrier
	s_and_saveexec_b64 s[4:5], s[6:7]
	s_cbranch_execz .LBB1401_95
; %bb.94:
	v_bcnt_u32_b32 v1, v1, 0
	v_bcnt_u32_b32 v1, v2, v1
	s_waitcnt lgkmcnt(0)
	v_add_u32_e32 v1, v23, v1
	ds_write_b32 v35, v1 offset:32
.LBB1401_95:
	s_or_b64 exec, exec, s[4:5]
	; wave barrier
	s_waitcnt lgkmcnt(0)
	s_barrier
	ds_read2_b32 v[3:4], v12 offset0:8 offset1:9
	ds_read2_b32 v[1:2], v12 offset0:10 offset1:11
	ds_read_b32 v24, v12 offset:48
	v_min_u32_e32 v9, 0x1c0, v9
	v_or_b32_e32 v9, 63, v9
	s_waitcnt lgkmcnt(1)
	v_add3_u32 v31, v4, v3, v1
	s_waitcnt lgkmcnt(0)
	v_add3_u32 v24, v31, v2, v24
	v_and_b32_e32 v31, 15, v6
	v_cmp_ne_u32_e32 vcc, 0, v31
	v_mov_b32_dpp v32, v24 row_shr:1 row_mask:0xf bank_mask:0xf
	v_cndmask_b32_e32 v32, 0, v32, vcc
	v_add_u32_e32 v24, v32, v24
	v_cmp_lt_u32_e32 vcc, 1, v31
	s_nop 0
	v_mov_b32_dpp v32, v24 row_shr:2 row_mask:0xf bank_mask:0xf
	v_cndmask_b32_e32 v32, 0, v32, vcc
	v_add_u32_e32 v24, v24, v32
	v_cmp_lt_u32_e32 vcc, 3, v31
	s_nop 0
	;; [unrolled: 5-line block ×3, first 2 shown]
	v_mov_b32_dpp v32, v24 row_shr:8 row_mask:0xf bank_mask:0xf
	v_cndmask_b32_e32 v31, 0, v32, vcc
	v_add_u32_e32 v24, v24, v31
	v_bfe_i32 v32, v6, 4, 1
	v_cmp_lt_u32_e32 vcc, 31, v6
	v_mov_b32_dpp v31, v24 row_bcast:15 row_mask:0xf bank_mask:0xf
	v_and_b32_e32 v31, v32, v31
	v_add_u32_e32 v24, v24, v31
	v_lshrrev_b32_e32 v32, 6, v0
	s_nop 0
	v_mov_b32_dpp v31, v24 row_bcast:31 row_mask:0xf bank_mask:0xf
	v_cndmask_b32_e32 v31, 0, v31, vcc
	v_add_u32_e32 v31, v24, v31
	v_cmp_eq_u32_e32 vcc, v0, v9
	s_and_saveexec_b64 s[4:5], vcc
; %bb.96:
	v_lshlrev_b32_e32 v9, 2, v32
	ds_write_b32 v9, v31
; %bb.97:
	s_or_b64 exec, exec, s[4:5]
	v_cmp_gt_u32_e32 vcc, 8, v0
	v_lshlrev_b32_e32 v24, 2, v0
	s_waitcnt lgkmcnt(0)
	s_barrier
	s_and_saveexec_b64 s[4:5], vcc
	s_cbranch_execz .LBB1401_99
; %bb.98:
	ds_read_b32 v9, v24
	v_and_b32_e32 v33, 7, v6
	v_cmp_ne_u32_e32 vcc, 0, v33
	s_waitcnt lgkmcnt(0)
	v_mov_b32_dpp v34, v9 row_shr:1 row_mask:0xf bank_mask:0xf
	v_cndmask_b32_e32 v34, 0, v34, vcc
	v_add_u32_e32 v9, v34, v9
	v_cmp_lt_u32_e32 vcc, 1, v33
	s_nop 0
	v_mov_b32_dpp v34, v9 row_shr:2 row_mask:0xf bank_mask:0xf
	v_cndmask_b32_e32 v34, 0, v34, vcc
	v_add_u32_e32 v9, v9, v34
	v_cmp_lt_u32_e32 vcc, 3, v33
	s_nop 0
	v_mov_b32_dpp v34, v9 row_shr:4 row_mask:0xf bank_mask:0xf
	v_cndmask_b32_e32 v33, 0, v34, vcc
	v_add_u32_e32 v9, v9, v33
	ds_write_b32 v24, v9
.LBB1401_99:
	s_or_b64 exec, exec, s[4:5]
	v_cmp_lt_u32_e32 vcc, 63, v0
	v_mov_b32_e32 v9, 0
	s_waitcnt lgkmcnt(0)
	s_barrier
	s_and_saveexec_b64 s[4:5], vcc
; %bb.100:
	v_lshl_add_u32 v9, v32, 2, -4
	ds_read_b32 v9, v9
; %bb.101:
	s_or_b64 exec, exec, s[4:5]
	v_subrev_co_u32_e32 v32, vcc, 1, v6
	v_and_b32_e32 v33, 64, v6
	v_cmp_lt_i32_e64 s[4:5], v32, v33
	v_cndmask_b32_e64 v6, v32, v6, s[4:5]
	s_waitcnt lgkmcnt(0)
	v_add_u32_e32 v31, v9, v31
	v_lshlrev_b32_e32 v6, 2, v6
	ds_bpermute_b32 v6, v6, v31
	s_movk_i32 s4, 0xff
	s_movk_i32 s6, 0x100
	s_waitcnt lgkmcnt(0)
	v_cndmask_b32_e32 v6, v6, v9, vcc
	v_cndmask_b32_e64 v6, v6, 0, s[22:23]
	v_add_u32_e32 v3, v6, v3
	v_add_u32_e32 v4, v3, v4
	;; [unrolled: 1-line block ×4, first 2 shown]
	ds_write2_b32 v12, v6, v3 offset0:8 offset1:9
	ds_write2_b32 v12, v4, v1 offset0:10 offset1:11
	ds_write_b32 v12, v2 offset:48
	s_waitcnt lgkmcnt(0)
	s_barrier
	ds_read_b32 v1, v13 offset:32
	ds_read_b32 v31, v14 offset:32
	;; [unrolled: 1-line block ×6, first 2 shown]
	v_cmp_lt_u32_e32 vcc, s4, v0
	v_cmp_gt_u32_e64 s[4:5], s6, v0
                                        ; implicit-def: $vgpr27
                                        ; implicit-def: $vgpr28
	s_and_saveexec_b64 s[8:9], s[4:5]
	s_cbranch_execz .LBB1401_105
; %bb.102:
	v_mul_u32_u24_e32 v2, 36, v0
	ds_read_b32 v27, v2 offset:32
	v_add_u32_e32 v3, 1, v0
	v_cmp_ne_u32_e64 s[6:7], s6, v3
	v_mov_b32_e32 v2, 0xc00
	s_and_saveexec_b64 s[10:11], s[6:7]
; %bb.103:
	v_mul_u32_u24_e32 v2, 36, v3
	ds_read_b32 v2, v2 offset:32
; %bb.104:
	s_or_b64 exec, exec, s[10:11]
	s_waitcnt lgkmcnt(0)
	v_sub_u32_e32 v28, v2, v27
.LBB1401_105:
	s_or_b64 exec, exec, s[8:9]
	s_waitcnt lgkmcnt(5)
	v_add_u32_e32 v29, v1, v11
	v_add_u32_e32 v9, v16, v15
	v_lshlrev_b32_e32 v1, 1, v29
	v_add_u32_e32 v6, v18, v17
	s_waitcnt lgkmcnt(0)
	s_barrier
	ds_write_b16 v1, v10 offset:1024
	v_add_lshl_u32 v1, v9, v31, 1
	v_add_u32_e32 v4, v20, v19
	ds_write_b16 v1, v5 offset:1024
	v_add_lshl_u32 v1, v6, v32, 1
	v_add_u32_e32 v3, v22, v21
	;; [unrolled: 3-line block ×3, first 2 shown]
	ds_write_b16 v1, v30 offset:1024
	v_add_lshl_u32 v1, v3, v34, 1
	ds_write_b16 v1, v36 offset:1024
	v_add_lshl_u32 v1, v2, v35, 1
	v_mov_b32_e32 v2, 0
	ds_write_b16 v1, v37 offset:1024
	s_and_saveexec_b64 s[6:7], s[4:5]
	s_cbranch_execz .LBB1401_115
; %bb.106:
	v_lshl_add_u32 v1, s33, 8, v0
	v_lshlrev_b64 v[3:4], 2, v[1:2]
	v_mov_b32_e32 v9, s35
	v_add_co_u32_e64 v3, s[4:5], s34, v3
	v_addc_co_u32_e64 v4, s[4:5], v9, v4, s[4:5]
	v_or_b32_e32 v1, 2.0, v28
	s_mov_b64 s[8:9], 0
	s_brev_b32 s16, -4
	s_mov_b32 s17, s33
	v_mov_b32_e32 v10, 0
	global_store_dword v[3:4], v1, off
                                        ; implicit-def: $sgpr4_sgpr5
	s_branch .LBB1401_109
.LBB1401_107:                           ;   in Loop: Header=BB1401_109 Depth=1
	s_or_b64 exec, exec, s[12:13]
.LBB1401_108:                           ;   in Loop: Header=BB1401_109 Depth=1
	s_or_b64 exec, exec, s[10:11]
	v_and_b32_e32 v5, 0x3fffffff, v1
	v_add_u32_e32 v10, v5, v10
	v_cmp_gt_i32_e64 s[4:5], -2.0, v1
	s_and_b64 s[10:11], exec, s[4:5]
	s_or_b64 s[8:9], s[10:11], s[8:9]
	s_andn2_b64 exec, exec, s[8:9]
	s_cbranch_execz .LBB1401_114
.LBB1401_109:                           ; =>This Loop Header: Depth=1
                                        ;     Child Loop BB1401_112 Depth 2
	s_or_b64 s[4:5], s[4:5], exec
	s_cmp_eq_u32 s17, 0
	s_cbranch_scc1 .LBB1401_113
; %bb.110:                              ;   in Loop: Header=BB1401_109 Depth=1
	s_add_i32 s17, s17, -1
	v_lshl_or_b32 v1, s17, 8, v0
	v_lshlrev_b64 v[5:6], 2, v[1:2]
	v_add_co_u32_e64 v5, s[4:5], s34, v5
	v_addc_co_u32_e64 v6, s[4:5], v9, v6, s[4:5]
	global_load_dword v1, v[5:6], off glc
	s_waitcnt vmcnt(0)
	v_cmp_gt_u32_e64 s[4:5], 2.0, v1
	s_and_saveexec_b64 s[10:11], s[4:5]
	s_cbranch_execz .LBB1401_108
; %bb.111:                              ;   in Loop: Header=BB1401_109 Depth=1
	s_mov_b64 s[12:13], 0
.LBB1401_112:                           ;   Parent Loop BB1401_109 Depth=1
                                        ; =>  This Inner Loop Header: Depth=2
	global_load_dword v1, v[5:6], off glc
	s_waitcnt vmcnt(0)
	v_cmp_lt_u32_e64 s[4:5], s16, v1
	s_or_b64 s[12:13], s[4:5], s[12:13]
	s_andn2_b64 exec, exec, s[12:13]
	s_cbranch_execnz .LBB1401_112
	s_branch .LBB1401_107
.LBB1401_113:                           ;   in Loop: Header=BB1401_109 Depth=1
                                        ; implicit-def: $sgpr17
	s_and_b64 s[10:11], exec, s[4:5]
	s_or_b64 s[8:9], s[10:11], s[8:9]
	s_andn2_b64 exec, exec, s[8:9]
	s_cbranch_execnz .LBB1401_109
.LBB1401_114:
	s_or_b64 exec, exec, s[8:9]
	v_add_u32_e32 v1, v10, v28
	v_or_b32_e32 v1, 0x80000000, v1
	global_store_dword v[3:4], v1, off
	global_load_dword v1, v24, s[28:29]
	v_sub_u32_e32 v2, v10, v27
	s_waitcnt vmcnt(0)
	v_add_u32_e32 v1, v2, v1
	ds_write_b32 v24, v1
.LBB1401_115:
	s_or_b64 exec, exec, s[6:7]
	v_lshlrev_b32_e32 v1, 1, v0
	v_sub_u32_e32 v25, v24, v1
	s_waitcnt lgkmcnt(0)
	s_barrier
	ds_read_u16 v5, v25 offset:1024
	ds_read_u16 v6, v25 offset:2048
	;; [unrolled: 1-line block ×6, first 2 shown]
	s_waitcnt lgkmcnt(5)
	v_lshrrev_b32_sdwa v1, s44, v5 dst_sel:DWORD dst_unused:UNUSED_PAD src0_sel:DWORD src1_sel:WORD_0
	v_and_b32_e32 v30, s15, v1
	s_waitcnt lgkmcnt(4)
	v_lshrrev_b32_sdwa v2, s44, v6 dst_sel:DWORD dst_unused:UNUSED_PAD src0_sel:DWORD src1_sel:WORD_0
	s_waitcnt lgkmcnt(1)
	v_lshrrev_b32_sdwa v13, s44, v11 dst_sel:DWORD dst_unused:UNUSED_PAD src0_sel:DWORD src1_sel:WORD_0
	;; [unrolled: 2-line block ×3, first 2 shown]
	v_lshrrev_b32_sdwa v3, s44, v9 dst_sel:DWORD dst_unused:UNUSED_PAD src0_sel:DWORD src1_sel:WORD_0
	v_lshrrev_b32_sdwa v4, s44, v10 dst_sel:DWORD dst_unused:UNUSED_PAD src0_sel:DWORD src1_sel:WORD_0
	v_and_b32_e32 v41, s15, v13
	v_and_b32_e32 v42, s15, v14
	v_lshlrev_b32_e32 v1, 2, v30
	v_and_b32_e32 v38, s15, v2
	v_and_b32_e32 v39, s15, v3
	;; [unrolled: 1-line block ×3, first 2 shown]
	v_lshlrev_b32_e32 v13, 2, v41
	v_lshlrev_b32_e32 v14, 2, v42
	;; [unrolled: 1-line block ×5, first 2 shown]
	ds_read_b32 v1, v1
	ds_read_b32 v36, v2
	;; [unrolled: 1-line block ×6, first 2 shown]
	s_waitcnt lgkmcnt(5)
	v_add_u32_e32 v1, v1, v0
	v_mov_b32_e32 v2, 0
	v_lshlrev_b64 v[3:4], 1, v[1:2]
	v_mov_b32_e32 v44, s39
	v_add_co_u32_e64 v3, s[4:5], s38, v3
	v_addc_co_u32_e64 v4, s[4:5], v44, v4, s[4:5]
	v_xor_b32_e32 v1, 0xffff8000, v5
	s_movk_i32 s6, 0x200
	global_store_short v[3:4], v1, off
	s_waitcnt lgkmcnt(4)
	v_add3_u32 v1, v0, v36, s6
	v_lshlrev_b64 v[3:4], 1, v[1:2]
	v_mov_b32_e32 v5, s39
	v_add_co_u32_e64 v3, s[4:5], s38, v3
	v_addc_co_u32_e64 v4, s[4:5], v5, v4, s[4:5]
	v_xor_b32_e32 v1, 0xffff8000, v6
	s_movk_i32 s4, 0x400
	global_store_short v[3:4], v1, off
	s_waitcnt lgkmcnt(3)
	v_add3_u32 v1, v37, v0, s4
	v_lshlrev_b64 v[3:4], 1, v[1:2]
	v_xor_b32_e32 v1, 0xffff8000, v9
	v_add_co_u32_e64 v3, s[4:5], s38, v3
	v_addc_co_u32_e64 v4, s[4:5], v5, v4, s[4:5]
	s_movk_i32 s4, 0x600
	global_store_short v[3:4], v1, off
	s_waitcnt lgkmcnt(2)
	v_add3_u32 v1, v0, v43, s4
	v_lshlrev_b64 v[3:4], 1, v[1:2]
	v_mov_b32_e32 v1, s39
	v_add_co_u32_e64 v3, s[4:5], s38, v3
	v_addc_co_u32_e64 v4, s[4:5], v1, v4, s[4:5]
	s_movk_i32 s4, 0x800
	v_xor_b32_e32 v5, 0xffff8000, v10
	s_waitcnt lgkmcnt(1)
	v_add3_u32 v1, v13, v0, s4
	global_store_short v[3:4], v5, off
	v_lshlrev_b64 v[3:4], 1, v[1:2]
	v_mov_b32_e32 v1, s39
	v_add_co_u32_e64 v3, s[4:5], s38, v3
	v_addc_co_u32_e64 v4, s[4:5], v1, v4, s[4:5]
	s_movk_i32 s4, 0xa00
	v_xor_b32_e32 v5, 0xffff8000, v11
	s_waitcnt lgkmcnt(0)
	v_add3_u32 v1, v0, v14, s4
	global_store_short v[3:4], v5, off
	v_lshlrev_b64 v[3:4], 1, v[1:2]
	v_mov_b32_e32 v1, s39
	v_add_co_u32_e64 v3, s[4:5], s38, v3
	v_addc_co_u32_e64 v4, s[4:5], v1, v4, s[4:5]
	s_lshl_b64 s[4:5], s[26:27], 3
	s_add_u32 s4, s40, s4
	v_xor_b32_e32 v5, 0xffff8000, v12
	s_addc_u32 s5, s41, s5
	v_lshlrev_b32_e32 v1, 3, v8
	global_store_short v[3:4], v5, off
	v_mov_b32_e32 v3, s5
	v_add_co_u32_e64 v1, s[4:5], s4, v1
	v_addc_co_u32_e64 v3, s[4:5], 0, v3, s[4:5]
	v_lshlrev_b32_e32 v4, 3, v7
	v_add_co_u32_e64 v36, s[4:5], v1, v4
	v_addc_co_u32_e64 v37, s[4:5], 0, v3, s[4:5]
	global_load_dwordx2 v[3:4], v[36:37], off
	global_load_dwordx2 v[5:6], v[36:37], off offset:512
	global_load_dwordx2 v[7:8], v[36:37], off offset:1024
	;; [unrolled: 1-line block ×5, first 2 shown]
	v_mul_u32_u24_e32 v1, 6, v0
	v_add3_u32 v23, v26, v35, v23
	v_add3_u32 v21, v22, v34, v21
	;; [unrolled: 1-line block ×5, first 2 shown]
	s_mov_b32 s7, 0
	s_mov_b32 s8, 0
	v_add_u32_e32 v16, v25, v1
	v_mov_b32_e32 v18, s43
	buffer_store_dword v30, off, s[0:3], 0
	buffer_store_dword v38, off, s[0:3], 0 offset:4
	buffer_store_dword v39, off, s[0:3], 0 offset:8
	;; [unrolled: 1-line block ×5, first 2 shown]
	s_waitcnt vmcnt(0)
	s_barrier
.LBB1401_116:                           ; =>This Inner Loop Header: Depth=1
	v_add_u32_e32 v1, s8, v29
	v_add_u32_e32 v20, s8, v15
	;; [unrolled: 1-line block ×6, first 2 shown]
	v_min_u32_e32 v1, 0x400, v1
	v_min_u32_e32 v20, 0x400, v20
	v_mov_b32_e32 v31, s7
	v_min_u32_e32 v22, 0x400, v22
	v_min_u32_e32 v25, 0x400, v25
	;; [unrolled: 1-line block ×4, first 2 shown]
	v_lshlrev_b32_e32 v1, 3, v1
	v_lshlrev_b32_e32 v20, 3, v20
	;; [unrolled: 1-line block ×6, first 2 shown]
	ds_write_b64 v1, v[3:4] offset:1024
	ds_write_b64 v20, v[5:6] offset:1024
	;; [unrolled: 1-line block ×6, first 2 shown]
	s_waitcnt lgkmcnt(0)
	s_barrier
	buffer_load_dword v1, v31, s[0:3], 0 offen
	buffer_load_dword v20, v31, s[0:3], 0 offen offset:4
	ds_read2st64_b64 v[30:33], v16 offset0:2 offset1:10
	s_addk_i32 s8, 0xfc00
	s_add_i32 s7, s7, 8
	s_cmpk_lg_i32 s8, 0xf400
	s_waitcnt vmcnt(1)
	v_lshlrev_b32_e32 v1, 2, v1
	s_waitcnt vmcnt(0)
	v_lshlrev_b32_e32 v20, 2, v20
	ds_read_b32 v1, v1
	ds_read_b32 v20, v20
	s_waitcnt lgkmcnt(1)
	v_add_u32_e32 v1, v0, v1
	v_lshlrev_b64 v[25:26], 3, v[1:2]
	s_waitcnt lgkmcnt(0)
	v_add3_u32 v1, v0, v20, s6
	v_lshlrev_b64 v[34:35], 3, v[1:2]
	v_add_co_u32_e64 v25, s[4:5], s42, v25
	v_addc_co_u32_e64 v26, s[4:5], v18, v26, s[4:5]
	global_store_dwordx2 v[25:26], v[30:31], off
	v_add_co_u32_e64 v25, s[4:5], s42, v34
	v_add_u32_e32 v0, 0x400, v0
	v_addc_co_u32_e64 v26, s[4:5], v18, v35, s[4:5]
	global_store_dwordx2 v[25:26], v[32:33], off
	s_waitcnt vmcnt(0)
	s_barrier
	s_cbranch_scc1 .LBB1401_116
; %bb.117:
	s_add_i32 s14, s14, -1
	s_cmp_eq_u32 s33, s14
	s_cselect_b64 s[4:5], -1, 0
	s_xor_b64 s[6:7], vcc, -1
	s_and_b64 s[4:5], s[6:7], s[4:5]
	s_and_saveexec_b64 s[6:7], s[4:5]
	s_cbranch_execz .LBB1401_119
; %bb.118:
	ds_read_b32 v0, v24
	s_waitcnt lgkmcnt(0)
	v_add3_u32 v0, v27, v28, v0
	global_store_dword v24, v0, s[30:31]
.LBB1401_119:
	s_endpgm
	.section	.rodata,"a",@progbits
	.p2align	6, 0x0
	.amdhsa_kernel _ZN7rocprim17ROCPRIM_400000_NS6detail17trampoline_kernelINS0_14default_configENS1_35radix_sort_onesweep_config_selectorIslEEZZNS1_29radix_sort_onesweep_iterationIS3_Lb0EPsS7_N6thrust23THRUST_200600_302600_NS10device_ptrIlEESB_jNS0_19identity_decomposerENS1_16block_id_wrapperIjLb1EEEEE10hipError_tT1_PNSt15iterator_traitsISG_E10value_typeET2_T3_PNSH_ISM_E10value_typeET4_T5_PSR_SS_PNS1_23onesweep_lookback_stateEbbT6_jjT7_P12ihipStream_tbENKUlT_T0_SG_SL_E_clIS7_S7_SB_SB_EEDaSZ_S10_SG_SL_EUlSZ_E_NS1_11comp_targetILNS1_3genE2ELNS1_11target_archE906ELNS1_3gpuE6ELNS1_3repE0EEENS1_47radix_sort_onesweep_sort_config_static_selectorELNS0_4arch9wavefront6targetE1EEEvSG_
		.amdhsa_group_segment_fixed_size 10280
		.amdhsa_private_segment_fixed_size 32
		.amdhsa_kernarg_size 344
		.amdhsa_user_sgpr_count 6
		.amdhsa_user_sgpr_private_segment_buffer 1
		.amdhsa_user_sgpr_dispatch_ptr 0
		.amdhsa_user_sgpr_queue_ptr 0
		.amdhsa_user_sgpr_kernarg_segment_ptr 1
		.amdhsa_user_sgpr_dispatch_id 0
		.amdhsa_user_sgpr_flat_scratch_init 0
		.amdhsa_user_sgpr_private_segment_size 0
		.amdhsa_uses_dynamic_stack 0
		.amdhsa_system_sgpr_private_segment_wavefront_offset 1
		.amdhsa_system_sgpr_workgroup_id_x 1
		.amdhsa_system_sgpr_workgroup_id_y 0
		.amdhsa_system_sgpr_workgroup_id_z 0
		.amdhsa_system_sgpr_workgroup_info 0
		.amdhsa_system_vgpr_workitem_id 2
		.amdhsa_next_free_vgpr 45
		.amdhsa_next_free_sgpr 56
		.amdhsa_reserve_vcc 1
		.amdhsa_reserve_flat_scratch 0
		.amdhsa_float_round_mode_32 0
		.amdhsa_float_round_mode_16_64 0
		.amdhsa_float_denorm_mode_32 3
		.amdhsa_float_denorm_mode_16_64 3
		.amdhsa_dx10_clamp 1
		.amdhsa_ieee_mode 1
		.amdhsa_fp16_overflow 0
		.amdhsa_exception_fp_ieee_invalid_op 0
		.amdhsa_exception_fp_denorm_src 0
		.amdhsa_exception_fp_ieee_div_zero 0
		.amdhsa_exception_fp_ieee_overflow 0
		.amdhsa_exception_fp_ieee_underflow 0
		.amdhsa_exception_fp_ieee_inexact 0
		.amdhsa_exception_int_div_zero 0
	.end_amdhsa_kernel
	.section	.text._ZN7rocprim17ROCPRIM_400000_NS6detail17trampoline_kernelINS0_14default_configENS1_35radix_sort_onesweep_config_selectorIslEEZZNS1_29radix_sort_onesweep_iterationIS3_Lb0EPsS7_N6thrust23THRUST_200600_302600_NS10device_ptrIlEESB_jNS0_19identity_decomposerENS1_16block_id_wrapperIjLb1EEEEE10hipError_tT1_PNSt15iterator_traitsISG_E10value_typeET2_T3_PNSH_ISM_E10value_typeET4_T5_PSR_SS_PNS1_23onesweep_lookback_stateEbbT6_jjT7_P12ihipStream_tbENKUlT_T0_SG_SL_E_clIS7_S7_SB_SB_EEDaSZ_S10_SG_SL_EUlSZ_E_NS1_11comp_targetILNS1_3genE2ELNS1_11target_archE906ELNS1_3gpuE6ELNS1_3repE0EEENS1_47radix_sort_onesweep_sort_config_static_selectorELNS0_4arch9wavefront6targetE1EEEvSG_,"axG",@progbits,_ZN7rocprim17ROCPRIM_400000_NS6detail17trampoline_kernelINS0_14default_configENS1_35radix_sort_onesweep_config_selectorIslEEZZNS1_29radix_sort_onesweep_iterationIS3_Lb0EPsS7_N6thrust23THRUST_200600_302600_NS10device_ptrIlEESB_jNS0_19identity_decomposerENS1_16block_id_wrapperIjLb1EEEEE10hipError_tT1_PNSt15iterator_traitsISG_E10value_typeET2_T3_PNSH_ISM_E10value_typeET4_T5_PSR_SS_PNS1_23onesweep_lookback_stateEbbT6_jjT7_P12ihipStream_tbENKUlT_T0_SG_SL_E_clIS7_S7_SB_SB_EEDaSZ_S10_SG_SL_EUlSZ_E_NS1_11comp_targetILNS1_3genE2ELNS1_11target_archE906ELNS1_3gpuE6ELNS1_3repE0EEENS1_47radix_sort_onesweep_sort_config_static_selectorELNS0_4arch9wavefront6targetE1EEEvSG_,comdat
.Lfunc_end1401:
	.size	_ZN7rocprim17ROCPRIM_400000_NS6detail17trampoline_kernelINS0_14default_configENS1_35radix_sort_onesweep_config_selectorIslEEZZNS1_29radix_sort_onesweep_iterationIS3_Lb0EPsS7_N6thrust23THRUST_200600_302600_NS10device_ptrIlEESB_jNS0_19identity_decomposerENS1_16block_id_wrapperIjLb1EEEEE10hipError_tT1_PNSt15iterator_traitsISG_E10value_typeET2_T3_PNSH_ISM_E10value_typeET4_T5_PSR_SS_PNS1_23onesweep_lookback_stateEbbT6_jjT7_P12ihipStream_tbENKUlT_T0_SG_SL_E_clIS7_S7_SB_SB_EEDaSZ_S10_SG_SL_EUlSZ_E_NS1_11comp_targetILNS1_3genE2ELNS1_11target_archE906ELNS1_3gpuE6ELNS1_3repE0EEENS1_47radix_sort_onesweep_sort_config_static_selectorELNS0_4arch9wavefront6targetE1EEEvSG_, .Lfunc_end1401-_ZN7rocprim17ROCPRIM_400000_NS6detail17trampoline_kernelINS0_14default_configENS1_35radix_sort_onesweep_config_selectorIslEEZZNS1_29radix_sort_onesweep_iterationIS3_Lb0EPsS7_N6thrust23THRUST_200600_302600_NS10device_ptrIlEESB_jNS0_19identity_decomposerENS1_16block_id_wrapperIjLb1EEEEE10hipError_tT1_PNSt15iterator_traitsISG_E10value_typeET2_T3_PNSH_ISM_E10value_typeET4_T5_PSR_SS_PNS1_23onesweep_lookback_stateEbbT6_jjT7_P12ihipStream_tbENKUlT_T0_SG_SL_E_clIS7_S7_SB_SB_EEDaSZ_S10_SG_SL_EUlSZ_E_NS1_11comp_targetILNS1_3genE2ELNS1_11target_archE906ELNS1_3gpuE6ELNS1_3repE0EEENS1_47radix_sort_onesweep_sort_config_static_selectorELNS0_4arch9wavefront6targetE1EEEvSG_
                                        ; -- End function
	.set _ZN7rocprim17ROCPRIM_400000_NS6detail17trampoline_kernelINS0_14default_configENS1_35radix_sort_onesweep_config_selectorIslEEZZNS1_29radix_sort_onesweep_iterationIS3_Lb0EPsS7_N6thrust23THRUST_200600_302600_NS10device_ptrIlEESB_jNS0_19identity_decomposerENS1_16block_id_wrapperIjLb1EEEEE10hipError_tT1_PNSt15iterator_traitsISG_E10value_typeET2_T3_PNSH_ISM_E10value_typeET4_T5_PSR_SS_PNS1_23onesweep_lookback_stateEbbT6_jjT7_P12ihipStream_tbENKUlT_T0_SG_SL_E_clIS7_S7_SB_SB_EEDaSZ_S10_SG_SL_EUlSZ_E_NS1_11comp_targetILNS1_3genE2ELNS1_11target_archE906ELNS1_3gpuE6ELNS1_3repE0EEENS1_47radix_sort_onesweep_sort_config_static_selectorELNS0_4arch9wavefront6targetE1EEEvSG_.num_vgpr, 45
	.set _ZN7rocprim17ROCPRIM_400000_NS6detail17trampoline_kernelINS0_14default_configENS1_35radix_sort_onesweep_config_selectorIslEEZZNS1_29radix_sort_onesweep_iterationIS3_Lb0EPsS7_N6thrust23THRUST_200600_302600_NS10device_ptrIlEESB_jNS0_19identity_decomposerENS1_16block_id_wrapperIjLb1EEEEE10hipError_tT1_PNSt15iterator_traitsISG_E10value_typeET2_T3_PNSH_ISM_E10value_typeET4_T5_PSR_SS_PNS1_23onesweep_lookback_stateEbbT6_jjT7_P12ihipStream_tbENKUlT_T0_SG_SL_E_clIS7_S7_SB_SB_EEDaSZ_S10_SG_SL_EUlSZ_E_NS1_11comp_targetILNS1_3genE2ELNS1_11target_archE906ELNS1_3gpuE6ELNS1_3repE0EEENS1_47radix_sort_onesweep_sort_config_static_selectorELNS0_4arch9wavefront6targetE1EEEvSG_.num_agpr, 0
	.set _ZN7rocprim17ROCPRIM_400000_NS6detail17trampoline_kernelINS0_14default_configENS1_35radix_sort_onesweep_config_selectorIslEEZZNS1_29radix_sort_onesweep_iterationIS3_Lb0EPsS7_N6thrust23THRUST_200600_302600_NS10device_ptrIlEESB_jNS0_19identity_decomposerENS1_16block_id_wrapperIjLb1EEEEE10hipError_tT1_PNSt15iterator_traitsISG_E10value_typeET2_T3_PNSH_ISM_E10value_typeET4_T5_PSR_SS_PNS1_23onesweep_lookback_stateEbbT6_jjT7_P12ihipStream_tbENKUlT_T0_SG_SL_E_clIS7_S7_SB_SB_EEDaSZ_S10_SG_SL_EUlSZ_E_NS1_11comp_targetILNS1_3genE2ELNS1_11target_archE906ELNS1_3gpuE6ELNS1_3repE0EEENS1_47radix_sort_onesweep_sort_config_static_selectorELNS0_4arch9wavefront6targetE1EEEvSG_.numbered_sgpr, 56
	.set _ZN7rocprim17ROCPRIM_400000_NS6detail17trampoline_kernelINS0_14default_configENS1_35radix_sort_onesweep_config_selectorIslEEZZNS1_29radix_sort_onesweep_iterationIS3_Lb0EPsS7_N6thrust23THRUST_200600_302600_NS10device_ptrIlEESB_jNS0_19identity_decomposerENS1_16block_id_wrapperIjLb1EEEEE10hipError_tT1_PNSt15iterator_traitsISG_E10value_typeET2_T3_PNSH_ISM_E10value_typeET4_T5_PSR_SS_PNS1_23onesweep_lookback_stateEbbT6_jjT7_P12ihipStream_tbENKUlT_T0_SG_SL_E_clIS7_S7_SB_SB_EEDaSZ_S10_SG_SL_EUlSZ_E_NS1_11comp_targetILNS1_3genE2ELNS1_11target_archE906ELNS1_3gpuE6ELNS1_3repE0EEENS1_47radix_sort_onesweep_sort_config_static_selectorELNS0_4arch9wavefront6targetE1EEEvSG_.num_named_barrier, 0
	.set _ZN7rocprim17ROCPRIM_400000_NS6detail17trampoline_kernelINS0_14default_configENS1_35radix_sort_onesweep_config_selectorIslEEZZNS1_29radix_sort_onesweep_iterationIS3_Lb0EPsS7_N6thrust23THRUST_200600_302600_NS10device_ptrIlEESB_jNS0_19identity_decomposerENS1_16block_id_wrapperIjLb1EEEEE10hipError_tT1_PNSt15iterator_traitsISG_E10value_typeET2_T3_PNSH_ISM_E10value_typeET4_T5_PSR_SS_PNS1_23onesweep_lookback_stateEbbT6_jjT7_P12ihipStream_tbENKUlT_T0_SG_SL_E_clIS7_S7_SB_SB_EEDaSZ_S10_SG_SL_EUlSZ_E_NS1_11comp_targetILNS1_3genE2ELNS1_11target_archE906ELNS1_3gpuE6ELNS1_3repE0EEENS1_47radix_sort_onesweep_sort_config_static_selectorELNS0_4arch9wavefront6targetE1EEEvSG_.private_seg_size, 32
	.set _ZN7rocprim17ROCPRIM_400000_NS6detail17trampoline_kernelINS0_14default_configENS1_35radix_sort_onesweep_config_selectorIslEEZZNS1_29radix_sort_onesweep_iterationIS3_Lb0EPsS7_N6thrust23THRUST_200600_302600_NS10device_ptrIlEESB_jNS0_19identity_decomposerENS1_16block_id_wrapperIjLb1EEEEE10hipError_tT1_PNSt15iterator_traitsISG_E10value_typeET2_T3_PNSH_ISM_E10value_typeET4_T5_PSR_SS_PNS1_23onesweep_lookback_stateEbbT6_jjT7_P12ihipStream_tbENKUlT_T0_SG_SL_E_clIS7_S7_SB_SB_EEDaSZ_S10_SG_SL_EUlSZ_E_NS1_11comp_targetILNS1_3genE2ELNS1_11target_archE906ELNS1_3gpuE6ELNS1_3repE0EEENS1_47radix_sort_onesweep_sort_config_static_selectorELNS0_4arch9wavefront6targetE1EEEvSG_.uses_vcc, 1
	.set _ZN7rocprim17ROCPRIM_400000_NS6detail17trampoline_kernelINS0_14default_configENS1_35radix_sort_onesweep_config_selectorIslEEZZNS1_29radix_sort_onesweep_iterationIS3_Lb0EPsS7_N6thrust23THRUST_200600_302600_NS10device_ptrIlEESB_jNS0_19identity_decomposerENS1_16block_id_wrapperIjLb1EEEEE10hipError_tT1_PNSt15iterator_traitsISG_E10value_typeET2_T3_PNSH_ISM_E10value_typeET4_T5_PSR_SS_PNS1_23onesweep_lookback_stateEbbT6_jjT7_P12ihipStream_tbENKUlT_T0_SG_SL_E_clIS7_S7_SB_SB_EEDaSZ_S10_SG_SL_EUlSZ_E_NS1_11comp_targetILNS1_3genE2ELNS1_11target_archE906ELNS1_3gpuE6ELNS1_3repE0EEENS1_47radix_sort_onesweep_sort_config_static_selectorELNS0_4arch9wavefront6targetE1EEEvSG_.uses_flat_scratch, 0
	.set _ZN7rocprim17ROCPRIM_400000_NS6detail17trampoline_kernelINS0_14default_configENS1_35radix_sort_onesweep_config_selectorIslEEZZNS1_29radix_sort_onesweep_iterationIS3_Lb0EPsS7_N6thrust23THRUST_200600_302600_NS10device_ptrIlEESB_jNS0_19identity_decomposerENS1_16block_id_wrapperIjLb1EEEEE10hipError_tT1_PNSt15iterator_traitsISG_E10value_typeET2_T3_PNSH_ISM_E10value_typeET4_T5_PSR_SS_PNS1_23onesweep_lookback_stateEbbT6_jjT7_P12ihipStream_tbENKUlT_T0_SG_SL_E_clIS7_S7_SB_SB_EEDaSZ_S10_SG_SL_EUlSZ_E_NS1_11comp_targetILNS1_3genE2ELNS1_11target_archE906ELNS1_3gpuE6ELNS1_3repE0EEENS1_47radix_sort_onesweep_sort_config_static_selectorELNS0_4arch9wavefront6targetE1EEEvSG_.has_dyn_sized_stack, 0
	.set _ZN7rocprim17ROCPRIM_400000_NS6detail17trampoline_kernelINS0_14default_configENS1_35radix_sort_onesweep_config_selectorIslEEZZNS1_29radix_sort_onesweep_iterationIS3_Lb0EPsS7_N6thrust23THRUST_200600_302600_NS10device_ptrIlEESB_jNS0_19identity_decomposerENS1_16block_id_wrapperIjLb1EEEEE10hipError_tT1_PNSt15iterator_traitsISG_E10value_typeET2_T3_PNSH_ISM_E10value_typeET4_T5_PSR_SS_PNS1_23onesweep_lookback_stateEbbT6_jjT7_P12ihipStream_tbENKUlT_T0_SG_SL_E_clIS7_S7_SB_SB_EEDaSZ_S10_SG_SL_EUlSZ_E_NS1_11comp_targetILNS1_3genE2ELNS1_11target_archE906ELNS1_3gpuE6ELNS1_3repE0EEENS1_47radix_sort_onesweep_sort_config_static_selectorELNS0_4arch9wavefront6targetE1EEEvSG_.has_recursion, 0
	.set _ZN7rocprim17ROCPRIM_400000_NS6detail17trampoline_kernelINS0_14default_configENS1_35radix_sort_onesweep_config_selectorIslEEZZNS1_29radix_sort_onesweep_iterationIS3_Lb0EPsS7_N6thrust23THRUST_200600_302600_NS10device_ptrIlEESB_jNS0_19identity_decomposerENS1_16block_id_wrapperIjLb1EEEEE10hipError_tT1_PNSt15iterator_traitsISG_E10value_typeET2_T3_PNSH_ISM_E10value_typeET4_T5_PSR_SS_PNS1_23onesweep_lookback_stateEbbT6_jjT7_P12ihipStream_tbENKUlT_T0_SG_SL_E_clIS7_S7_SB_SB_EEDaSZ_S10_SG_SL_EUlSZ_E_NS1_11comp_targetILNS1_3genE2ELNS1_11target_archE906ELNS1_3gpuE6ELNS1_3repE0EEENS1_47radix_sort_onesweep_sort_config_static_selectorELNS0_4arch9wavefront6targetE1EEEvSG_.has_indirect_call, 0
	.section	.AMDGPU.csdata,"",@progbits
; Kernel info:
; codeLenInByte = 10844
; TotalNumSgprs: 60
; NumVgprs: 45
; ScratchSize: 32
; MemoryBound: 0
; FloatMode: 240
; IeeeMode: 1
; LDSByteSize: 10280 bytes/workgroup (compile time only)
; SGPRBlocks: 7
; VGPRBlocks: 11
; NumSGPRsForWavesPerEU: 60
; NumVGPRsForWavesPerEU: 45
; Occupancy: 5
; WaveLimiterHint : 1
; COMPUTE_PGM_RSRC2:SCRATCH_EN: 1
; COMPUTE_PGM_RSRC2:USER_SGPR: 6
; COMPUTE_PGM_RSRC2:TRAP_HANDLER: 0
; COMPUTE_PGM_RSRC2:TGID_X_EN: 1
; COMPUTE_PGM_RSRC2:TGID_Y_EN: 0
; COMPUTE_PGM_RSRC2:TGID_Z_EN: 0
; COMPUTE_PGM_RSRC2:TIDIG_COMP_CNT: 2
	.section	.text._ZN7rocprim17ROCPRIM_400000_NS6detail17trampoline_kernelINS0_14default_configENS1_35radix_sort_onesweep_config_selectorIslEEZZNS1_29radix_sort_onesweep_iterationIS3_Lb0EPsS7_N6thrust23THRUST_200600_302600_NS10device_ptrIlEESB_jNS0_19identity_decomposerENS1_16block_id_wrapperIjLb1EEEEE10hipError_tT1_PNSt15iterator_traitsISG_E10value_typeET2_T3_PNSH_ISM_E10value_typeET4_T5_PSR_SS_PNS1_23onesweep_lookback_stateEbbT6_jjT7_P12ihipStream_tbENKUlT_T0_SG_SL_E_clIS7_S7_SB_SB_EEDaSZ_S10_SG_SL_EUlSZ_E_NS1_11comp_targetILNS1_3genE4ELNS1_11target_archE910ELNS1_3gpuE8ELNS1_3repE0EEENS1_47radix_sort_onesweep_sort_config_static_selectorELNS0_4arch9wavefront6targetE1EEEvSG_,"axG",@progbits,_ZN7rocprim17ROCPRIM_400000_NS6detail17trampoline_kernelINS0_14default_configENS1_35radix_sort_onesweep_config_selectorIslEEZZNS1_29radix_sort_onesweep_iterationIS3_Lb0EPsS7_N6thrust23THRUST_200600_302600_NS10device_ptrIlEESB_jNS0_19identity_decomposerENS1_16block_id_wrapperIjLb1EEEEE10hipError_tT1_PNSt15iterator_traitsISG_E10value_typeET2_T3_PNSH_ISM_E10value_typeET4_T5_PSR_SS_PNS1_23onesweep_lookback_stateEbbT6_jjT7_P12ihipStream_tbENKUlT_T0_SG_SL_E_clIS7_S7_SB_SB_EEDaSZ_S10_SG_SL_EUlSZ_E_NS1_11comp_targetILNS1_3genE4ELNS1_11target_archE910ELNS1_3gpuE8ELNS1_3repE0EEENS1_47radix_sort_onesweep_sort_config_static_selectorELNS0_4arch9wavefront6targetE1EEEvSG_,comdat
	.protected	_ZN7rocprim17ROCPRIM_400000_NS6detail17trampoline_kernelINS0_14default_configENS1_35radix_sort_onesweep_config_selectorIslEEZZNS1_29radix_sort_onesweep_iterationIS3_Lb0EPsS7_N6thrust23THRUST_200600_302600_NS10device_ptrIlEESB_jNS0_19identity_decomposerENS1_16block_id_wrapperIjLb1EEEEE10hipError_tT1_PNSt15iterator_traitsISG_E10value_typeET2_T3_PNSH_ISM_E10value_typeET4_T5_PSR_SS_PNS1_23onesweep_lookback_stateEbbT6_jjT7_P12ihipStream_tbENKUlT_T0_SG_SL_E_clIS7_S7_SB_SB_EEDaSZ_S10_SG_SL_EUlSZ_E_NS1_11comp_targetILNS1_3genE4ELNS1_11target_archE910ELNS1_3gpuE8ELNS1_3repE0EEENS1_47radix_sort_onesweep_sort_config_static_selectorELNS0_4arch9wavefront6targetE1EEEvSG_ ; -- Begin function _ZN7rocprim17ROCPRIM_400000_NS6detail17trampoline_kernelINS0_14default_configENS1_35radix_sort_onesweep_config_selectorIslEEZZNS1_29radix_sort_onesweep_iterationIS3_Lb0EPsS7_N6thrust23THRUST_200600_302600_NS10device_ptrIlEESB_jNS0_19identity_decomposerENS1_16block_id_wrapperIjLb1EEEEE10hipError_tT1_PNSt15iterator_traitsISG_E10value_typeET2_T3_PNSH_ISM_E10value_typeET4_T5_PSR_SS_PNS1_23onesweep_lookback_stateEbbT6_jjT7_P12ihipStream_tbENKUlT_T0_SG_SL_E_clIS7_S7_SB_SB_EEDaSZ_S10_SG_SL_EUlSZ_E_NS1_11comp_targetILNS1_3genE4ELNS1_11target_archE910ELNS1_3gpuE8ELNS1_3repE0EEENS1_47radix_sort_onesweep_sort_config_static_selectorELNS0_4arch9wavefront6targetE1EEEvSG_
	.globl	_ZN7rocprim17ROCPRIM_400000_NS6detail17trampoline_kernelINS0_14default_configENS1_35radix_sort_onesweep_config_selectorIslEEZZNS1_29radix_sort_onesweep_iterationIS3_Lb0EPsS7_N6thrust23THRUST_200600_302600_NS10device_ptrIlEESB_jNS0_19identity_decomposerENS1_16block_id_wrapperIjLb1EEEEE10hipError_tT1_PNSt15iterator_traitsISG_E10value_typeET2_T3_PNSH_ISM_E10value_typeET4_T5_PSR_SS_PNS1_23onesweep_lookback_stateEbbT6_jjT7_P12ihipStream_tbENKUlT_T0_SG_SL_E_clIS7_S7_SB_SB_EEDaSZ_S10_SG_SL_EUlSZ_E_NS1_11comp_targetILNS1_3genE4ELNS1_11target_archE910ELNS1_3gpuE8ELNS1_3repE0EEENS1_47radix_sort_onesweep_sort_config_static_selectorELNS0_4arch9wavefront6targetE1EEEvSG_
	.p2align	8
	.type	_ZN7rocprim17ROCPRIM_400000_NS6detail17trampoline_kernelINS0_14default_configENS1_35radix_sort_onesweep_config_selectorIslEEZZNS1_29radix_sort_onesweep_iterationIS3_Lb0EPsS7_N6thrust23THRUST_200600_302600_NS10device_ptrIlEESB_jNS0_19identity_decomposerENS1_16block_id_wrapperIjLb1EEEEE10hipError_tT1_PNSt15iterator_traitsISG_E10value_typeET2_T3_PNSH_ISM_E10value_typeET4_T5_PSR_SS_PNS1_23onesweep_lookback_stateEbbT6_jjT7_P12ihipStream_tbENKUlT_T0_SG_SL_E_clIS7_S7_SB_SB_EEDaSZ_S10_SG_SL_EUlSZ_E_NS1_11comp_targetILNS1_3genE4ELNS1_11target_archE910ELNS1_3gpuE8ELNS1_3repE0EEENS1_47radix_sort_onesweep_sort_config_static_selectorELNS0_4arch9wavefront6targetE1EEEvSG_,@function
_ZN7rocprim17ROCPRIM_400000_NS6detail17trampoline_kernelINS0_14default_configENS1_35radix_sort_onesweep_config_selectorIslEEZZNS1_29radix_sort_onesweep_iterationIS3_Lb0EPsS7_N6thrust23THRUST_200600_302600_NS10device_ptrIlEESB_jNS0_19identity_decomposerENS1_16block_id_wrapperIjLb1EEEEE10hipError_tT1_PNSt15iterator_traitsISG_E10value_typeET2_T3_PNSH_ISM_E10value_typeET4_T5_PSR_SS_PNS1_23onesweep_lookback_stateEbbT6_jjT7_P12ihipStream_tbENKUlT_T0_SG_SL_E_clIS7_S7_SB_SB_EEDaSZ_S10_SG_SL_EUlSZ_E_NS1_11comp_targetILNS1_3genE4ELNS1_11target_archE910ELNS1_3gpuE8ELNS1_3repE0EEENS1_47radix_sort_onesweep_sort_config_static_selectorELNS0_4arch9wavefront6targetE1EEEvSG_: ; @_ZN7rocprim17ROCPRIM_400000_NS6detail17trampoline_kernelINS0_14default_configENS1_35radix_sort_onesweep_config_selectorIslEEZZNS1_29radix_sort_onesweep_iterationIS3_Lb0EPsS7_N6thrust23THRUST_200600_302600_NS10device_ptrIlEESB_jNS0_19identity_decomposerENS1_16block_id_wrapperIjLb1EEEEE10hipError_tT1_PNSt15iterator_traitsISG_E10value_typeET2_T3_PNSH_ISM_E10value_typeET4_T5_PSR_SS_PNS1_23onesweep_lookback_stateEbbT6_jjT7_P12ihipStream_tbENKUlT_T0_SG_SL_E_clIS7_S7_SB_SB_EEDaSZ_S10_SG_SL_EUlSZ_E_NS1_11comp_targetILNS1_3genE4ELNS1_11target_archE910ELNS1_3gpuE8ELNS1_3repE0EEENS1_47radix_sort_onesweep_sort_config_static_selectorELNS0_4arch9wavefront6targetE1EEEvSG_
; %bb.0:
	.section	.rodata,"a",@progbits
	.p2align	6, 0x0
	.amdhsa_kernel _ZN7rocprim17ROCPRIM_400000_NS6detail17trampoline_kernelINS0_14default_configENS1_35radix_sort_onesweep_config_selectorIslEEZZNS1_29radix_sort_onesweep_iterationIS3_Lb0EPsS7_N6thrust23THRUST_200600_302600_NS10device_ptrIlEESB_jNS0_19identity_decomposerENS1_16block_id_wrapperIjLb1EEEEE10hipError_tT1_PNSt15iterator_traitsISG_E10value_typeET2_T3_PNSH_ISM_E10value_typeET4_T5_PSR_SS_PNS1_23onesweep_lookback_stateEbbT6_jjT7_P12ihipStream_tbENKUlT_T0_SG_SL_E_clIS7_S7_SB_SB_EEDaSZ_S10_SG_SL_EUlSZ_E_NS1_11comp_targetILNS1_3genE4ELNS1_11target_archE910ELNS1_3gpuE8ELNS1_3repE0EEENS1_47radix_sort_onesweep_sort_config_static_selectorELNS0_4arch9wavefront6targetE1EEEvSG_
		.amdhsa_group_segment_fixed_size 0
		.amdhsa_private_segment_fixed_size 0
		.amdhsa_kernarg_size 88
		.amdhsa_user_sgpr_count 6
		.amdhsa_user_sgpr_private_segment_buffer 1
		.amdhsa_user_sgpr_dispatch_ptr 0
		.amdhsa_user_sgpr_queue_ptr 0
		.amdhsa_user_sgpr_kernarg_segment_ptr 1
		.amdhsa_user_sgpr_dispatch_id 0
		.amdhsa_user_sgpr_flat_scratch_init 0
		.amdhsa_user_sgpr_private_segment_size 0
		.amdhsa_uses_dynamic_stack 0
		.amdhsa_system_sgpr_private_segment_wavefront_offset 0
		.amdhsa_system_sgpr_workgroup_id_x 1
		.amdhsa_system_sgpr_workgroup_id_y 0
		.amdhsa_system_sgpr_workgroup_id_z 0
		.amdhsa_system_sgpr_workgroup_info 0
		.amdhsa_system_vgpr_workitem_id 0
		.amdhsa_next_free_vgpr 1
		.amdhsa_next_free_sgpr 0
		.amdhsa_reserve_vcc 0
		.amdhsa_reserve_flat_scratch 0
		.amdhsa_float_round_mode_32 0
		.amdhsa_float_round_mode_16_64 0
		.amdhsa_float_denorm_mode_32 3
		.amdhsa_float_denorm_mode_16_64 3
		.amdhsa_dx10_clamp 1
		.amdhsa_ieee_mode 1
		.amdhsa_fp16_overflow 0
		.amdhsa_exception_fp_ieee_invalid_op 0
		.amdhsa_exception_fp_denorm_src 0
		.amdhsa_exception_fp_ieee_div_zero 0
		.amdhsa_exception_fp_ieee_overflow 0
		.amdhsa_exception_fp_ieee_underflow 0
		.amdhsa_exception_fp_ieee_inexact 0
		.amdhsa_exception_int_div_zero 0
	.end_amdhsa_kernel
	.section	.text._ZN7rocprim17ROCPRIM_400000_NS6detail17trampoline_kernelINS0_14default_configENS1_35radix_sort_onesweep_config_selectorIslEEZZNS1_29radix_sort_onesweep_iterationIS3_Lb0EPsS7_N6thrust23THRUST_200600_302600_NS10device_ptrIlEESB_jNS0_19identity_decomposerENS1_16block_id_wrapperIjLb1EEEEE10hipError_tT1_PNSt15iterator_traitsISG_E10value_typeET2_T3_PNSH_ISM_E10value_typeET4_T5_PSR_SS_PNS1_23onesweep_lookback_stateEbbT6_jjT7_P12ihipStream_tbENKUlT_T0_SG_SL_E_clIS7_S7_SB_SB_EEDaSZ_S10_SG_SL_EUlSZ_E_NS1_11comp_targetILNS1_3genE4ELNS1_11target_archE910ELNS1_3gpuE8ELNS1_3repE0EEENS1_47radix_sort_onesweep_sort_config_static_selectorELNS0_4arch9wavefront6targetE1EEEvSG_,"axG",@progbits,_ZN7rocprim17ROCPRIM_400000_NS6detail17trampoline_kernelINS0_14default_configENS1_35radix_sort_onesweep_config_selectorIslEEZZNS1_29radix_sort_onesweep_iterationIS3_Lb0EPsS7_N6thrust23THRUST_200600_302600_NS10device_ptrIlEESB_jNS0_19identity_decomposerENS1_16block_id_wrapperIjLb1EEEEE10hipError_tT1_PNSt15iterator_traitsISG_E10value_typeET2_T3_PNSH_ISM_E10value_typeET4_T5_PSR_SS_PNS1_23onesweep_lookback_stateEbbT6_jjT7_P12ihipStream_tbENKUlT_T0_SG_SL_E_clIS7_S7_SB_SB_EEDaSZ_S10_SG_SL_EUlSZ_E_NS1_11comp_targetILNS1_3genE4ELNS1_11target_archE910ELNS1_3gpuE8ELNS1_3repE0EEENS1_47radix_sort_onesweep_sort_config_static_selectorELNS0_4arch9wavefront6targetE1EEEvSG_,comdat
.Lfunc_end1402:
	.size	_ZN7rocprim17ROCPRIM_400000_NS6detail17trampoline_kernelINS0_14default_configENS1_35radix_sort_onesweep_config_selectorIslEEZZNS1_29radix_sort_onesweep_iterationIS3_Lb0EPsS7_N6thrust23THRUST_200600_302600_NS10device_ptrIlEESB_jNS0_19identity_decomposerENS1_16block_id_wrapperIjLb1EEEEE10hipError_tT1_PNSt15iterator_traitsISG_E10value_typeET2_T3_PNSH_ISM_E10value_typeET4_T5_PSR_SS_PNS1_23onesweep_lookback_stateEbbT6_jjT7_P12ihipStream_tbENKUlT_T0_SG_SL_E_clIS7_S7_SB_SB_EEDaSZ_S10_SG_SL_EUlSZ_E_NS1_11comp_targetILNS1_3genE4ELNS1_11target_archE910ELNS1_3gpuE8ELNS1_3repE0EEENS1_47radix_sort_onesweep_sort_config_static_selectorELNS0_4arch9wavefront6targetE1EEEvSG_, .Lfunc_end1402-_ZN7rocprim17ROCPRIM_400000_NS6detail17trampoline_kernelINS0_14default_configENS1_35radix_sort_onesweep_config_selectorIslEEZZNS1_29radix_sort_onesweep_iterationIS3_Lb0EPsS7_N6thrust23THRUST_200600_302600_NS10device_ptrIlEESB_jNS0_19identity_decomposerENS1_16block_id_wrapperIjLb1EEEEE10hipError_tT1_PNSt15iterator_traitsISG_E10value_typeET2_T3_PNSH_ISM_E10value_typeET4_T5_PSR_SS_PNS1_23onesweep_lookback_stateEbbT6_jjT7_P12ihipStream_tbENKUlT_T0_SG_SL_E_clIS7_S7_SB_SB_EEDaSZ_S10_SG_SL_EUlSZ_E_NS1_11comp_targetILNS1_3genE4ELNS1_11target_archE910ELNS1_3gpuE8ELNS1_3repE0EEENS1_47radix_sort_onesweep_sort_config_static_selectorELNS0_4arch9wavefront6targetE1EEEvSG_
                                        ; -- End function
	.set _ZN7rocprim17ROCPRIM_400000_NS6detail17trampoline_kernelINS0_14default_configENS1_35radix_sort_onesweep_config_selectorIslEEZZNS1_29radix_sort_onesweep_iterationIS3_Lb0EPsS7_N6thrust23THRUST_200600_302600_NS10device_ptrIlEESB_jNS0_19identity_decomposerENS1_16block_id_wrapperIjLb1EEEEE10hipError_tT1_PNSt15iterator_traitsISG_E10value_typeET2_T3_PNSH_ISM_E10value_typeET4_T5_PSR_SS_PNS1_23onesweep_lookback_stateEbbT6_jjT7_P12ihipStream_tbENKUlT_T0_SG_SL_E_clIS7_S7_SB_SB_EEDaSZ_S10_SG_SL_EUlSZ_E_NS1_11comp_targetILNS1_3genE4ELNS1_11target_archE910ELNS1_3gpuE8ELNS1_3repE0EEENS1_47radix_sort_onesweep_sort_config_static_selectorELNS0_4arch9wavefront6targetE1EEEvSG_.num_vgpr, 0
	.set _ZN7rocprim17ROCPRIM_400000_NS6detail17trampoline_kernelINS0_14default_configENS1_35radix_sort_onesweep_config_selectorIslEEZZNS1_29radix_sort_onesweep_iterationIS3_Lb0EPsS7_N6thrust23THRUST_200600_302600_NS10device_ptrIlEESB_jNS0_19identity_decomposerENS1_16block_id_wrapperIjLb1EEEEE10hipError_tT1_PNSt15iterator_traitsISG_E10value_typeET2_T3_PNSH_ISM_E10value_typeET4_T5_PSR_SS_PNS1_23onesweep_lookback_stateEbbT6_jjT7_P12ihipStream_tbENKUlT_T0_SG_SL_E_clIS7_S7_SB_SB_EEDaSZ_S10_SG_SL_EUlSZ_E_NS1_11comp_targetILNS1_3genE4ELNS1_11target_archE910ELNS1_3gpuE8ELNS1_3repE0EEENS1_47radix_sort_onesweep_sort_config_static_selectorELNS0_4arch9wavefront6targetE1EEEvSG_.num_agpr, 0
	.set _ZN7rocprim17ROCPRIM_400000_NS6detail17trampoline_kernelINS0_14default_configENS1_35radix_sort_onesweep_config_selectorIslEEZZNS1_29radix_sort_onesweep_iterationIS3_Lb0EPsS7_N6thrust23THRUST_200600_302600_NS10device_ptrIlEESB_jNS0_19identity_decomposerENS1_16block_id_wrapperIjLb1EEEEE10hipError_tT1_PNSt15iterator_traitsISG_E10value_typeET2_T3_PNSH_ISM_E10value_typeET4_T5_PSR_SS_PNS1_23onesweep_lookback_stateEbbT6_jjT7_P12ihipStream_tbENKUlT_T0_SG_SL_E_clIS7_S7_SB_SB_EEDaSZ_S10_SG_SL_EUlSZ_E_NS1_11comp_targetILNS1_3genE4ELNS1_11target_archE910ELNS1_3gpuE8ELNS1_3repE0EEENS1_47radix_sort_onesweep_sort_config_static_selectorELNS0_4arch9wavefront6targetE1EEEvSG_.numbered_sgpr, 0
	.set _ZN7rocprim17ROCPRIM_400000_NS6detail17trampoline_kernelINS0_14default_configENS1_35radix_sort_onesweep_config_selectorIslEEZZNS1_29radix_sort_onesweep_iterationIS3_Lb0EPsS7_N6thrust23THRUST_200600_302600_NS10device_ptrIlEESB_jNS0_19identity_decomposerENS1_16block_id_wrapperIjLb1EEEEE10hipError_tT1_PNSt15iterator_traitsISG_E10value_typeET2_T3_PNSH_ISM_E10value_typeET4_T5_PSR_SS_PNS1_23onesweep_lookback_stateEbbT6_jjT7_P12ihipStream_tbENKUlT_T0_SG_SL_E_clIS7_S7_SB_SB_EEDaSZ_S10_SG_SL_EUlSZ_E_NS1_11comp_targetILNS1_3genE4ELNS1_11target_archE910ELNS1_3gpuE8ELNS1_3repE0EEENS1_47radix_sort_onesweep_sort_config_static_selectorELNS0_4arch9wavefront6targetE1EEEvSG_.num_named_barrier, 0
	.set _ZN7rocprim17ROCPRIM_400000_NS6detail17trampoline_kernelINS0_14default_configENS1_35radix_sort_onesweep_config_selectorIslEEZZNS1_29radix_sort_onesweep_iterationIS3_Lb0EPsS7_N6thrust23THRUST_200600_302600_NS10device_ptrIlEESB_jNS0_19identity_decomposerENS1_16block_id_wrapperIjLb1EEEEE10hipError_tT1_PNSt15iterator_traitsISG_E10value_typeET2_T3_PNSH_ISM_E10value_typeET4_T5_PSR_SS_PNS1_23onesweep_lookback_stateEbbT6_jjT7_P12ihipStream_tbENKUlT_T0_SG_SL_E_clIS7_S7_SB_SB_EEDaSZ_S10_SG_SL_EUlSZ_E_NS1_11comp_targetILNS1_3genE4ELNS1_11target_archE910ELNS1_3gpuE8ELNS1_3repE0EEENS1_47radix_sort_onesweep_sort_config_static_selectorELNS0_4arch9wavefront6targetE1EEEvSG_.private_seg_size, 0
	.set _ZN7rocprim17ROCPRIM_400000_NS6detail17trampoline_kernelINS0_14default_configENS1_35radix_sort_onesweep_config_selectorIslEEZZNS1_29radix_sort_onesweep_iterationIS3_Lb0EPsS7_N6thrust23THRUST_200600_302600_NS10device_ptrIlEESB_jNS0_19identity_decomposerENS1_16block_id_wrapperIjLb1EEEEE10hipError_tT1_PNSt15iterator_traitsISG_E10value_typeET2_T3_PNSH_ISM_E10value_typeET4_T5_PSR_SS_PNS1_23onesweep_lookback_stateEbbT6_jjT7_P12ihipStream_tbENKUlT_T0_SG_SL_E_clIS7_S7_SB_SB_EEDaSZ_S10_SG_SL_EUlSZ_E_NS1_11comp_targetILNS1_3genE4ELNS1_11target_archE910ELNS1_3gpuE8ELNS1_3repE0EEENS1_47radix_sort_onesweep_sort_config_static_selectorELNS0_4arch9wavefront6targetE1EEEvSG_.uses_vcc, 0
	.set _ZN7rocprim17ROCPRIM_400000_NS6detail17trampoline_kernelINS0_14default_configENS1_35radix_sort_onesweep_config_selectorIslEEZZNS1_29radix_sort_onesweep_iterationIS3_Lb0EPsS7_N6thrust23THRUST_200600_302600_NS10device_ptrIlEESB_jNS0_19identity_decomposerENS1_16block_id_wrapperIjLb1EEEEE10hipError_tT1_PNSt15iterator_traitsISG_E10value_typeET2_T3_PNSH_ISM_E10value_typeET4_T5_PSR_SS_PNS1_23onesweep_lookback_stateEbbT6_jjT7_P12ihipStream_tbENKUlT_T0_SG_SL_E_clIS7_S7_SB_SB_EEDaSZ_S10_SG_SL_EUlSZ_E_NS1_11comp_targetILNS1_3genE4ELNS1_11target_archE910ELNS1_3gpuE8ELNS1_3repE0EEENS1_47radix_sort_onesweep_sort_config_static_selectorELNS0_4arch9wavefront6targetE1EEEvSG_.uses_flat_scratch, 0
	.set _ZN7rocprim17ROCPRIM_400000_NS6detail17trampoline_kernelINS0_14default_configENS1_35radix_sort_onesweep_config_selectorIslEEZZNS1_29radix_sort_onesweep_iterationIS3_Lb0EPsS7_N6thrust23THRUST_200600_302600_NS10device_ptrIlEESB_jNS0_19identity_decomposerENS1_16block_id_wrapperIjLb1EEEEE10hipError_tT1_PNSt15iterator_traitsISG_E10value_typeET2_T3_PNSH_ISM_E10value_typeET4_T5_PSR_SS_PNS1_23onesweep_lookback_stateEbbT6_jjT7_P12ihipStream_tbENKUlT_T0_SG_SL_E_clIS7_S7_SB_SB_EEDaSZ_S10_SG_SL_EUlSZ_E_NS1_11comp_targetILNS1_3genE4ELNS1_11target_archE910ELNS1_3gpuE8ELNS1_3repE0EEENS1_47radix_sort_onesweep_sort_config_static_selectorELNS0_4arch9wavefront6targetE1EEEvSG_.has_dyn_sized_stack, 0
	.set _ZN7rocprim17ROCPRIM_400000_NS6detail17trampoline_kernelINS0_14default_configENS1_35radix_sort_onesweep_config_selectorIslEEZZNS1_29radix_sort_onesweep_iterationIS3_Lb0EPsS7_N6thrust23THRUST_200600_302600_NS10device_ptrIlEESB_jNS0_19identity_decomposerENS1_16block_id_wrapperIjLb1EEEEE10hipError_tT1_PNSt15iterator_traitsISG_E10value_typeET2_T3_PNSH_ISM_E10value_typeET4_T5_PSR_SS_PNS1_23onesweep_lookback_stateEbbT6_jjT7_P12ihipStream_tbENKUlT_T0_SG_SL_E_clIS7_S7_SB_SB_EEDaSZ_S10_SG_SL_EUlSZ_E_NS1_11comp_targetILNS1_3genE4ELNS1_11target_archE910ELNS1_3gpuE8ELNS1_3repE0EEENS1_47radix_sort_onesweep_sort_config_static_selectorELNS0_4arch9wavefront6targetE1EEEvSG_.has_recursion, 0
	.set _ZN7rocprim17ROCPRIM_400000_NS6detail17trampoline_kernelINS0_14default_configENS1_35radix_sort_onesweep_config_selectorIslEEZZNS1_29radix_sort_onesweep_iterationIS3_Lb0EPsS7_N6thrust23THRUST_200600_302600_NS10device_ptrIlEESB_jNS0_19identity_decomposerENS1_16block_id_wrapperIjLb1EEEEE10hipError_tT1_PNSt15iterator_traitsISG_E10value_typeET2_T3_PNSH_ISM_E10value_typeET4_T5_PSR_SS_PNS1_23onesweep_lookback_stateEbbT6_jjT7_P12ihipStream_tbENKUlT_T0_SG_SL_E_clIS7_S7_SB_SB_EEDaSZ_S10_SG_SL_EUlSZ_E_NS1_11comp_targetILNS1_3genE4ELNS1_11target_archE910ELNS1_3gpuE8ELNS1_3repE0EEENS1_47radix_sort_onesweep_sort_config_static_selectorELNS0_4arch9wavefront6targetE1EEEvSG_.has_indirect_call, 0
	.section	.AMDGPU.csdata,"",@progbits
; Kernel info:
; codeLenInByte = 0
; TotalNumSgprs: 4
; NumVgprs: 0
; ScratchSize: 0
; MemoryBound: 0
; FloatMode: 240
; IeeeMode: 1
; LDSByteSize: 0 bytes/workgroup (compile time only)
; SGPRBlocks: 0
; VGPRBlocks: 0
; NumSGPRsForWavesPerEU: 4
; NumVGPRsForWavesPerEU: 1
; Occupancy: 10
; WaveLimiterHint : 0
; COMPUTE_PGM_RSRC2:SCRATCH_EN: 0
; COMPUTE_PGM_RSRC2:USER_SGPR: 6
; COMPUTE_PGM_RSRC2:TRAP_HANDLER: 0
; COMPUTE_PGM_RSRC2:TGID_X_EN: 1
; COMPUTE_PGM_RSRC2:TGID_Y_EN: 0
; COMPUTE_PGM_RSRC2:TGID_Z_EN: 0
; COMPUTE_PGM_RSRC2:TIDIG_COMP_CNT: 0
	.section	.text._ZN7rocprim17ROCPRIM_400000_NS6detail17trampoline_kernelINS0_14default_configENS1_35radix_sort_onesweep_config_selectorIslEEZZNS1_29radix_sort_onesweep_iterationIS3_Lb0EPsS7_N6thrust23THRUST_200600_302600_NS10device_ptrIlEESB_jNS0_19identity_decomposerENS1_16block_id_wrapperIjLb1EEEEE10hipError_tT1_PNSt15iterator_traitsISG_E10value_typeET2_T3_PNSH_ISM_E10value_typeET4_T5_PSR_SS_PNS1_23onesweep_lookback_stateEbbT6_jjT7_P12ihipStream_tbENKUlT_T0_SG_SL_E_clIS7_S7_SB_SB_EEDaSZ_S10_SG_SL_EUlSZ_E_NS1_11comp_targetILNS1_3genE3ELNS1_11target_archE908ELNS1_3gpuE7ELNS1_3repE0EEENS1_47radix_sort_onesweep_sort_config_static_selectorELNS0_4arch9wavefront6targetE1EEEvSG_,"axG",@progbits,_ZN7rocprim17ROCPRIM_400000_NS6detail17trampoline_kernelINS0_14default_configENS1_35radix_sort_onesweep_config_selectorIslEEZZNS1_29radix_sort_onesweep_iterationIS3_Lb0EPsS7_N6thrust23THRUST_200600_302600_NS10device_ptrIlEESB_jNS0_19identity_decomposerENS1_16block_id_wrapperIjLb1EEEEE10hipError_tT1_PNSt15iterator_traitsISG_E10value_typeET2_T3_PNSH_ISM_E10value_typeET4_T5_PSR_SS_PNS1_23onesweep_lookback_stateEbbT6_jjT7_P12ihipStream_tbENKUlT_T0_SG_SL_E_clIS7_S7_SB_SB_EEDaSZ_S10_SG_SL_EUlSZ_E_NS1_11comp_targetILNS1_3genE3ELNS1_11target_archE908ELNS1_3gpuE7ELNS1_3repE0EEENS1_47radix_sort_onesweep_sort_config_static_selectorELNS0_4arch9wavefront6targetE1EEEvSG_,comdat
	.protected	_ZN7rocprim17ROCPRIM_400000_NS6detail17trampoline_kernelINS0_14default_configENS1_35radix_sort_onesweep_config_selectorIslEEZZNS1_29radix_sort_onesweep_iterationIS3_Lb0EPsS7_N6thrust23THRUST_200600_302600_NS10device_ptrIlEESB_jNS0_19identity_decomposerENS1_16block_id_wrapperIjLb1EEEEE10hipError_tT1_PNSt15iterator_traitsISG_E10value_typeET2_T3_PNSH_ISM_E10value_typeET4_T5_PSR_SS_PNS1_23onesweep_lookback_stateEbbT6_jjT7_P12ihipStream_tbENKUlT_T0_SG_SL_E_clIS7_S7_SB_SB_EEDaSZ_S10_SG_SL_EUlSZ_E_NS1_11comp_targetILNS1_3genE3ELNS1_11target_archE908ELNS1_3gpuE7ELNS1_3repE0EEENS1_47radix_sort_onesweep_sort_config_static_selectorELNS0_4arch9wavefront6targetE1EEEvSG_ ; -- Begin function _ZN7rocprim17ROCPRIM_400000_NS6detail17trampoline_kernelINS0_14default_configENS1_35radix_sort_onesweep_config_selectorIslEEZZNS1_29radix_sort_onesweep_iterationIS3_Lb0EPsS7_N6thrust23THRUST_200600_302600_NS10device_ptrIlEESB_jNS0_19identity_decomposerENS1_16block_id_wrapperIjLb1EEEEE10hipError_tT1_PNSt15iterator_traitsISG_E10value_typeET2_T3_PNSH_ISM_E10value_typeET4_T5_PSR_SS_PNS1_23onesweep_lookback_stateEbbT6_jjT7_P12ihipStream_tbENKUlT_T0_SG_SL_E_clIS7_S7_SB_SB_EEDaSZ_S10_SG_SL_EUlSZ_E_NS1_11comp_targetILNS1_3genE3ELNS1_11target_archE908ELNS1_3gpuE7ELNS1_3repE0EEENS1_47radix_sort_onesweep_sort_config_static_selectorELNS0_4arch9wavefront6targetE1EEEvSG_
	.globl	_ZN7rocprim17ROCPRIM_400000_NS6detail17trampoline_kernelINS0_14default_configENS1_35radix_sort_onesweep_config_selectorIslEEZZNS1_29radix_sort_onesweep_iterationIS3_Lb0EPsS7_N6thrust23THRUST_200600_302600_NS10device_ptrIlEESB_jNS0_19identity_decomposerENS1_16block_id_wrapperIjLb1EEEEE10hipError_tT1_PNSt15iterator_traitsISG_E10value_typeET2_T3_PNSH_ISM_E10value_typeET4_T5_PSR_SS_PNS1_23onesweep_lookback_stateEbbT6_jjT7_P12ihipStream_tbENKUlT_T0_SG_SL_E_clIS7_S7_SB_SB_EEDaSZ_S10_SG_SL_EUlSZ_E_NS1_11comp_targetILNS1_3genE3ELNS1_11target_archE908ELNS1_3gpuE7ELNS1_3repE0EEENS1_47radix_sort_onesweep_sort_config_static_selectorELNS0_4arch9wavefront6targetE1EEEvSG_
	.p2align	8
	.type	_ZN7rocprim17ROCPRIM_400000_NS6detail17trampoline_kernelINS0_14default_configENS1_35radix_sort_onesweep_config_selectorIslEEZZNS1_29radix_sort_onesweep_iterationIS3_Lb0EPsS7_N6thrust23THRUST_200600_302600_NS10device_ptrIlEESB_jNS0_19identity_decomposerENS1_16block_id_wrapperIjLb1EEEEE10hipError_tT1_PNSt15iterator_traitsISG_E10value_typeET2_T3_PNSH_ISM_E10value_typeET4_T5_PSR_SS_PNS1_23onesweep_lookback_stateEbbT6_jjT7_P12ihipStream_tbENKUlT_T0_SG_SL_E_clIS7_S7_SB_SB_EEDaSZ_S10_SG_SL_EUlSZ_E_NS1_11comp_targetILNS1_3genE3ELNS1_11target_archE908ELNS1_3gpuE7ELNS1_3repE0EEENS1_47radix_sort_onesweep_sort_config_static_selectorELNS0_4arch9wavefront6targetE1EEEvSG_,@function
_ZN7rocprim17ROCPRIM_400000_NS6detail17trampoline_kernelINS0_14default_configENS1_35radix_sort_onesweep_config_selectorIslEEZZNS1_29radix_sort_onesweep_iterationIS3_Lb0EPsS7_N6thrust23THRUST_200600_302600_NS10device_ptrIlEESB_jNS0_19identity_decomposerENS1_16block_id_wrapperIjLb1EEEEE10hipError_tT1_PNSt15iterator_traitsISG_E10value_typeET2_T3_PNSH_ISM_E10value_typeET4_T5_PSR_SS_PNS1_23onesweep_lookback_stateEbbT6_jjT7_P12ihipStream_tbENKUlT_T0_SG_SL_E_clIS7_S7_SB_SB_EEDaSZ_S10_SG_SL_EUlSZ_E_NS1_11comp_targetILNS1_3genE3ELNS1_11target_archE908ELNS1_3gpuE7ELNS1_3repE0EEENS1_47radix_sort_onesweep_sort_config_static_selectorELNS0_4arch9wavefront6targetE1EEEvSG_: ; @_ZN7rocprim17ROCPRIM_400000_NS6detail17trampoline_kernelINS0_14default_configENS1_35radix_sort_onesweep_config_selectorIslEEZZNS1_29radix_sort_onesweep_iterationIS3_Lb0EPsS7_N6thrust23THRUST_200600_302600_NS10device_ptrIlEESB_jNS0_19identity_decomposerENS1_16block_id_wrapperIjLb1EEEEE10hipError_tT1_PNSt15iterator_traitsISG_E10value_typeET2_T3_PNSH_ISM_E10value_typeET4_T5_PSR_SS_PNS1_23onesweep_lookback_stateEbbT6_jjT7_P12ihipStream_tbENKUlT_T0_SG_SL_E_clIS7_S7_SB_SB_EEDaSZ_S10_SG_SL_EUlSZ_E_NS1_11comp_targetILNS1_3genE3ELNS1_11target_archE908ELNS1_3gpuE7ELNS1_3repE0EEENS1_47radix_sort_onesweep_sort_config_static_selectorELNS0_4arch9wavefront6targetE1EEEvSG_
; %bb.0:
	.section	.rodata,"a",@progbits
	.p2align	6, 0x0
	.amdhsa_kernel _ZN7rocprim17ROCPRIM_400000_NS6detail17trampoline_kernelINS0_14default_configENS1_35radix_sort_onesweep_config_selectorIslEEZZNS1_29radix_sort_onesweep_iterationIS3_Lb0EPsS7_N6thrust23THRUST_200600_302600_NS10device_ptrIlEESB_jNS0_19identity_decomposerENS1_16block_id_wrapperIjLb1EEEEE10hipError_tT1_PNSt15iterator_traitsISG_E10value_typeET2_T3_PNSH_ISM_E10value_typeET4_T5_PSR_SS_PNS1_23onesweep_lookback_stateEbbT6_jjT7_P12ihipStream_tbENKUlT_T0_SG_SL_E_clIS7_S7_SB_SB_EEDaSZ_S10_SG_SL_EUlSZ_E_NS1_11comp_targetILNS1_3genE3ELNS1_11target_archE908ELNS1_3gpuE7ELNS1_3repE0EEENS1_47radix_sort_onesweep_sort_config_static_selectorELNS0_4arch9wavefront6targetE1EEEvSG_
		.amdhsa_group_segment_fixed_size 0
		.amdhsa_private_segment_fixed_size 0
		.amdhsa_kernarg_size 88
		.amdhsa_user_sgpr_count 6
		.amdhsa_user_sgpr_private_segment_buffer 1
		.amdhsa_user_sgpr_dispatch_ptr 0
		.amdhsa_user_sgpr_queue_ptr 0
		.amdhsa_user_sgpr_kernarg_segment_ptr 1
		.amdhsa_user_sgpr_dispatch_id 0
		.amdhsa_user_sgpr_flat_scratch_init 0
		.amdhsa_user_sgpr_private_segment_size 0
		.amdhsa_uses_dynamic_stack 0
		.amdhsa_system_sgpr_private_segment_wavefront_offset 0
		.amdhsa_system_sgpr_workgroup_id_x 1
		.amdhsa_system_sgpr_workgroup_id_y 0
		.amdhsa_system_sgpr_workgroup_id_z 0
		.amdhsa_system_sgpr_workgroup_info 0
		.amdhsa_system_vgpr_workitem_id 0
		.amdhsa_next_free_vgpr 1
		.amdhsa_next_free_sgpr 0
		.amdhsa_reserve_vcc 0
		.amdhsa_reserve_flat_scratch 0
		.amdhsa_float_round_mode_32 0
		.amdhsa_float_round_mode_16_64 0
		.amdhsa_float_denorm_mode_32 3
		.amdhsa_float_denorm_mode_16_64 3
		.amdhsa_dx10_clamp 1
		.amdhsa_ieee_mode 1
		.amdhsa_fp16_overflow 0
		.amdhsa_exception_fp_ieee_invalid_op 0
		.amdhsa_exception_fp_denorm_src 0
		.amdhsa_exception_fp_ieee_div_zero 0
		.amdhsa_exception_fp_ieee_overflow 0
		.amdhsa_exception_fp_ieee_underflow 0
		.amdhsa_exception_fp_ieee_inexact 0
		.amdhsa_exception_int_div_zero 0
	.end_amdhsa_kernel
	.section	.text._ZN7rocprim17ROCPRIM_400000_NS6detail17trampoline_kernelINS0_14default_configENS1_35radix_sort_onesweep_config_selectorIslEEZZNS1_29radix_sort_onesweep_iterationIS3_Lb0EPsS7_N6thrust23THRUST_200600_302600_NS10device_ptrIlEESB_jNS0_19identity_decomposerENS1_16block_id_wrapperIjLb1EEEEE10hipError_tT1_PNSt15iterator_traitsISG_E10value_typeET2_T3_PNSH_ISM_E10value_typeET4_T5_PSR_SS_PNS1_23onesweep_lookback_stateEbbT6_jjT7_P12ihipStream_tbENKUlT_T0_SG_SL_E_clIS7_S7_SB_SB_EEDaSZ_S10_SG_SL_EUlSZ_E_NS1_11comp_targetILNS1_3genE3ELNS1_11target_archE908ELNS1_3gpuE7ELNS1_3repE0EEENS1_47radix_sort_onesweep_sort_config_static_selectorELNS0_4arch9wavefront6targetE1EEEvSG_,"axG",@progbits,_ZN7rocprim17ROCPRIM_400000_NS6detail17trampoline_kernelINS0_14default_configENS1_35radix_sort_onesweep_config_selectorIslEEZZNS1_29radix_sort_onesweep_iterationIS3_Lb0EPsS7_N6thrust23THRUST_200600_302600_NS10device_ptrIlEESB_jNS0_19identity_decomposerENS1_16block_id_wrapperIjLb1EEEEE10hipError_tT1_PNSt15iterator_traitsISG_E10value_typeET2_T3_PNSH_ISM_E10value_typeET4_T5_PSR_SS_PNS1_23onesweep_lookback_stateEbbT6_jjT7_P12ihipStream_tbENKUlT_T0_SG_SL_E_clIS7_S7_SB_SB_EEDaSZ_S10_SG_SL_EUlSZ_E_NS1_11comp_targetILNS1_3genE3ELNS1_11target_archE908ELNS1_3gpuE7ELNS1_3repE0EEENS1_47radix_sort_onesweep_sort_config_static_selectorELNS0_4arch9wavefront6targetE1EEEvSG_,comdat
.Lfunc_end1403:
	.size	_ZN7rocprim17ROCPRIM_400000_NS6detail17trampoline_kernelINS0_14default_configENS1_35radix_sort_onesweep_config_selectorIslEEZZNS1_29radix_sort_onesweep_iterationIS3_Lb0EPsS7_N6thrust23THRUST_200600_302600_NS10device_ptrIlEESB_jNS0_19identity_decomposerENS1_16block_id_wrapperIjLb1EEEEE10hipError_tT1_PNSt15iterator_traitsISG_E10value_typeET2_T3_PNSH_ISM_E10value_typeET4_T5_PSR_SS_PNS1_23onesweep_lookback_stateEbbT6_jjT7_P12ihipStream_tbENKUlT_T0_SG_SL_E_clIS7_S7_SB_SB_EEDaSZ_S10_SG_SL_EUlSZ_E_NS1_11comp_targetILNS1_3genE3ELNS1_11target_archE908ELNS1_3gpuE7ELNS1_3repE0EEENS1_47radix_sort_onesweep_sort_config_static_selectorELNS0_4arch9wavefront6targetE1EEEvSG_, .Lfunc_end1403-_ZN7rocprim17ROCPRIM_400000_NS6detail17trampoline_kernelINS0_14default_configENS1_35radix_sort_onesweep_config_selectorIslEEZZNS1_29radix_sort_onesweep_iterationIS3_Lb0EPsS7_N6thrust23THRUST_200600_302600_NS10device_ptrIlEESB_jNS0_19identity_decomposerENS1_16block_id_wrapperIjLb1EEEEE10hipError_tT1_PNSt15iterator_traitsISG_E10value_typeET2_T3_PNSH_ISM_E10value_typeET4_T5_PSR_SS_PNS1_23onesweep_lookback_stateEbbT6_jjT7_P12ihipStream_tbENKUlT_T0_SG_SL_E_clIS7_S7_SB_SB_EEDaSZ_S10_SG_SL_EUlSZ_E_NS1_11comp_targetILNS1_3genE3ELNS1_11target_archE908ELNS1_3gpuE7ELNS1_3repE0EEENS1_47radix_sort_onesweep_sort_config_static_selectorELNS0_4arch9wavefront6targetE1EEEvSG_
                                        ; -- End function
	.set _ZN7rocprim17ROCPRIM_400000_NS6detail17trampoline_kernelINS0_14default_configENS1_35radix_sort_onesweep_config_selectorIslEEZZNS1_29radix_sort_onesweep_iterationIS3_Lb0EPsS7_N6thrust23THRUST_200600_302600_NS10device_ptrIlEESB_jNS0_19identity_decomposerENS1_16block_id_wrapperIjLb1EEEEE10hipError_tT1_PNSt15iterator_traitsISG_E10value_typeET2_T3_PNSH_ISM_E10value_typeET4_T5_PSR_SS_PNS1_23onesweep_lookback_stateEbbT6_jjT7_P12ihipStream_tbENKUlT_T0_SG_SL_E_clIS7_S7_SB_SB_EEDaSZ_S10_SG_SL_EUlSZ_E_NS1_11comp_targetILNS1_3genE3ELNS1_11target_archE908ELNS1_3gpuE7ELNS1_3repE0EEENS1_47radix_sort_onesweep_sort_config_static_selectorELNS0_4arch9wavefront6targetE1EEEvSG_.num_vgpr, 0
	.set _ZN7rocprim17ROCPRIM_400000_NS6detail17trampoline_kernelINS0_14default_configENS1_35radix_sort_onesweep_config_selectorIslEEZZNS1_29radix_sort_onesweep_iterationIS3_Lb0EPsS7_N6thrust23THRUST_200600_302600_NS10device_ptrIlEESB_jNS0_19identity_decomposerENS1_16block_id_wrapperIjLb1EEEEE10hipError_tT1_PNSt15iterator_traitsISG_E10value_typeET2_T3_PNSH_ISM_E10value_typeET4_T5_PSR_SS_PNS1_23onesweep_lookback_stateEbbT6_jjT7_P12ihipStream_tbENKUlT_T0_SG_SL_E_clIS7_S7_SB_SB_EEDaSZ_S10_SG_SL_EUlSZ_E_NS1_11comp_targetILNS1_3genE3ELNS1_11target_archE908ELNS1_3gpuE7ELNS1_3repE0EEENS1_47radix_sort_onesweep_sort_config_static_selectorELNS0_4arch9wavefront6targetE1EEEvSG_.num_agpr, 0
	.set _ZN7rocprim17ROCPRIM_400000_NS6detail17trampoline_kernelINS0_14default_configENS1_35radix_sort_onesweep_config_selectorIslEEZZNS1_29radix_sort_onesweep_iterationIS3_Lb0EPsS7_N6thrust23THRUST_200600_302600_NS10device_ptrIlEESB_jNS0_19identity_decomposerENS1_16block_id_wrapperIjLb1EEEEE10hipError_tT1_PNSt15iterator_traitsISG_E10value_typeET2_T3_PNSH_ISM_E10value_typeET4_T5_PSR_SS_PNS1_23onesweep_lookback_stateEbbT6_jjT7_P12ihipStream_tbENKUlT_T0_SG_SL_E_clIS7_S7_SB_SB_EEDaSZ_S10_SG_SL_EUlSZ_E_NS1_11comp_targetILNS1_3genE3ELNS1_11target_archE908ELNS1_3gpuE7ELNS1_3repE0EEENS1_47radix_sort_onesweep_sort_config_static_selectorELNS0_4arch9wavefront6targetE1EEEvSG_.numbered_sgpr, 0
	.set _ZN7rocprim17ROCPRIM_400000_NS6detail17trampoline_kernelINS0_14default_configENS1_35radix_sort_onesweep_config_selectorIslEEZZNS1_29radix_sort_onesweep_iterationIS3_Lb0EPsS7_N6thrust23THRUST_200600_302600_NS10device_ptrIlEESB_jNS0_19identity_decomposerENS1_16block_id_wrapperIjLb1EEEEE10hipError_tT1_PNSt15iterator_traitsISG_E10value_typeET2_T3_PNSH_ISM_E10value_typeET4_T5_PSR_SS_PNS1_23onesweep_lookback_stateEbbT6_jjT7_P12ihipStream_tbENKUlT_T0_SG_SL_E_clIS7_S7_SB_SB_EEDaSZ_S10_SG_SL_EUlSZ_E_NS1_11comp_targetILNS1_3genE3ELNS1_11target_archE908ELNS1_3gpuE7ELNS1_3repE0EEENS1_47radix_sort_onesweep_sort_config_static_selectorELNS0_4arch9wavefront6targetE1EEEvSG_.num_named_barrier, 0
	.set _ZN7rocprim17ROCPRIM_400000_NS6detail17trampoline_kernelINS0_14default_configENS1_35radix_sort_onesweep_config_selectorIslEEZZNS1_29radix_sort_onesweep_iterationIS3_Lb0EPsS7_N6thrust23THRUST_200600_302600_NS10device_ptrIlEESB_jNS0_19identity_decomposerENS1_16block_id_wrapperIjLb1EEEEE10hipError_tT1_PNSt15iterator_traitsISG_E10value_typeET2_T3_PNSH_ISM_E10value_typeET4_T5_PSR_SS_PNS1_23onesweep_lookback_stateEbbT6_jjT7_P12ihipStream_tbENKUlT_T0_SG_SL_E_clIS7_S7_SB_SB_EEDaSZ_S10_SG_SL_EUlSZ_E_NS1_11comp_targetILNS1_3genE3ELNS1_11target_archE908ELNS1_3gpuE7ELNS1_3repE0EEENS1_47radix_sort_onesweep_sort_config_static_selectorELNS0_4arch9wavefront6targetE1EEEvSG_.private_seg_size, 0
	.set _ZN7rocprim17ROCPRIM_400000_NS6detail17trampoline_kernelINS0_14default_configENS1_35radix_sort_onesweep_config_selectorIslEEZZNS1_29radix_sort_onesweep_iterationIS3_Lb0EPsS7_N6thrust23THRUST_200600_302600_NS10device_ptrIlEESB_jNS0_19identity_decomposerENS1_16block_id_wrapperIjLb1EEEEE10hipError_tT1_PNSt15iterator_traitsISG_E10value_typeET2_T3_PNSH_ISM_E10value_typeET4_T5_PSR_SS_PNS1_23onesweep_lookback_stateEbbT6_jjT7_P12ihipStream_tbENKUlT_T0_SG_SL_E_clIS7_S7_SB_SB_EEDaSZ_S10_SG_SL_EUlSZ_E_NS1_11comp_targetILNS1_3genE3ELNS1_11target_archE908ELNS1_3gpuE7ELNS1_3repE0EEENS1_47radix_sort_onesweep_sort_config_static_selectorELNS0_4arch9wavefront6targetE1EEEvSG_.uses_vcc, 0
	.set _ZN7rocprim17ROCPRIM_400000_NS6detail17trampoline_kernelINS0_14default_configENS1_35radix_sort_onesweep_config_selectorIslEEZZNS1_29radix_sort_onesweep_iterationIS3_Lb0EPsS7_N6thrust23THRUST_200600_302600_NS10device_ptrIlEESB_jNS0_19identity_decomposerENS1_16block_id_wrapperIjLb1EEEEE10hipError_tT1_PNSt15iterator_traitsISG_E10value_typeET2_T3_PNSH_ISM_E10value_typeET4_T5_PSR_SS_PNS1_23onesweep_lookback_stateEbbT6_jjT7_P12ihipStream_tbENKUlT_T0_SG_SL_E_clIS7_S7_SB_SB_EEDaSZ_S10_SG_SL_EUlSZ_E_NS1_11comp_targetILNS1_3genE3ELNS1_11target_archE908ELNS1_3gpuE7ELNS1_3repE0EEENS1_47radix_sort_onesweep_sort_config_static_selectorELNS0_4arch9wavefront6targetE1EEEvSG_.uses_flat_scratch, 0
	.set _ZN7rocprim17ROCPRIM_400000_NS6detail17trampoline_kernelINS0_14default_configENS1_35radix_sort_onesweep_config_selectorIslEEZZNS1_29radix_sort_onesweep_iterationIS3_Lb0EPsS7_N6thrust23THRUST_200600_302600_NS10device_ptrIlEESB_jNS0_19identity_decomposerENS1_16block_id_wrapperIjLb1EEEEE10hipError_tT1_PNSt15iterator_traitsISG_E10value_typeET2_T3_PNSH_ISM_E10value_typeET4_T5_PSR_SS_PNS1_23onesweep_lookback_stateEbbT6_jjT7_P12ihipStream_tbENKUlT_T0_SG_SL_E_clIS7_S7_SB_SB_EEDaSZ_S10_SG_SL_EUlSZ_E_NS1_11comp_targetILNS1_3genE3ELNS1_11target_archE908ELNS1_3gpuE7ELNS1_3repE0EEENS1_47radix_sort_onesweep_sort_config_static_selectorELNS0_4arch9wavefront6targetE1EEEvSG_.has_dyn_sized_stack, 0
	.set _ZN7rocprim17ROCPRIM_400000_NS6detail17trampoline_kernelINS0_14default_configENS1_35radix_sort_onesweep_config_selectorIslEEZZNS1_29radix_sort_onesweep_iterationIS3_Lb0EPsS7_N6thrust23THRUST_200600_302600_NS10device_ptrIlEESB_jNS0_19identity_decomposerENS1_16block_id_wrapperIjLb1EEEEE10hipError_tT1_PNSt15iterator_traitsISG_E10value_typeET2_T3_PNSH_ISM_E10value_typeET4_T5_PSR_SS_PNS1_23onesweep_lookback_stateEbbT6_jjT7_P12ihipStream_tbENKUlT_T0_SG_SL_E_clIS7_S7_SB_SB_EEDaSZ_S10_SG_SL_EUlSZ_E_NS1_11comp_targetILNS1_3genE3ELNS1_11target_archE908ELNS1_3gpuE7ELNS1_3repE0EEENS1_47radix_sort_onesweep_sort_config_static_selectorELNS0_4arch9wavefront6targetE1EEEvSG_.has_recursion, 0
	.set _ZN7rocprim17ROCPRIM_400000_NS6detail17trampoline_kernelINS0_14default_configENS1_35radix_sort_onesweep_config_selectorIslEEZZNS1_29radix_sort_onesweep_iterationIS3_Lb0EPsS7_N6thrust23THRUST_200600_302600_NS10device_ptrIlEESB_jNS0_19identity_decomposerENS1_16block_id_wrapperIjLb1EEEEE10hipError_tT1_PNSt15iterator_traitsISG_E10value_typeET2_T3_PNSH_ISM_E10value_typeET4_T5_PSR_SS_PNS1_23onesweep_lookback_stateEbbT6_jjT7_P12ihipStream_tbENKUlT_T0_SG_SL_E_clIS7_S7_SB_SB_EEDaSZ_S10_SG_SL_EUlSZ_E_NS1_11comp_targetILNS1_3genE3ELNS1_11target_archE908ELNS1_3gpuE7ELNS1_3repE0EEENS1_47radix_sort_onesweep_sort_config_static_selectorELNS0_4arch9wavefront6targetE1EEEvSG_.has_indirect_call, 0
	.section	.AMDGPU.csdata,"",@progbits
; Kernel info:
; codeLenInByte = 0
; TotalNumSgprs: 4
; NumVgprs: 0
; ScratchSize: 0
; MemoryBound: 0
; FloatMode: 240
; IeeeMode: 1
; LDSByteSize: 0 bytes/workgroup (compile time only)
; SGPRBlocks: 0
; VGPRBlocks: 0
; NumSGPRsForWavesPerEU: 4
; NumVGPRsForWavesPerEU: 1
; Occupancy: 10
; WaveLimiterHint : 0
; COMPUTE_PGM_RSRC2:SCRATCH_EN: 0
; COMPUTE_PGM_RSRC2:USER_SGPR: 6
; COMPUTE_PGM_RSRC2:TRAP_HANDLER: 0
; COMPUTE_PGM_RSRC2:TGID_X_EN: 1
; COMPUTE_PGM_RSRC2:TGID_Y_EN: 0
; COMPUTE_PGM_RSRC2:TGID_Z_EN: 0
; COMPUTE_PGM_RSRC2:TIDIG_COMP_CNT: 0
	.section	.text._ZN7rocprim17ROCPRIM_400000_NS6detail17trampoline_kernelINS0_14default_configENS1_35radix_sort_onesweep_config_selectorIslEEZZNS1_29radix_sort_onesweep_iterationIS3_Lb0EPsS7_N6thrust23THRUST_200600_302600_NS10device_ptrIlEESB_jNS0_19identity_decomposerENS1_16block_id_wrapperIjLb1EEEEE10hipError_tT1_PNSt15iterator_traitsISG_E10value_typeET2_T3_PNSH_ISM_E10value_typeET4_T5_PSR_SS_PNS1_23onesweep_lookback_stateEbbT6_jjT7_P12ihipStream_tbENKUlT_T0_SG_SL_E_clIS7_S7_SB_SB_EEDaSZ_S10_SG_SL_EUlSZ_E_NS1_11comp_targetILNS1_3genE10ELNS1_11target_archE1201ELNS1_3gpuE5ELNS1_3repE0EEENS1_47radix_sort_onesweep_sort_config_static_selectorELNS0_4arch9wavefront6targetE1EEEvSG_,"axG",@progbits,_ZN7rocprim17ROCPRIM_400000_NS6detail17trampoline_kernelINS0_14default_configENS1_35radix_sort_onesweep_config_selectorIslEEZZNS1_29radix_sort_onesweep_iterationIS3_Lb0EPsS7_N6thrust23THRUST_200600_302600_NS10device_ptrIlEESB_jNS0_19identity_decomposerENS1_16block_id_wrapperIjLb1EEEEE10hipError_tT1_PNSt15iterator_traitsISG_E10value_typeET2_T3_PNSH_ISM_E10value_typeET4_T5_PSR_SS_PNS1_23onesweep_lookback_stateEbbT6_jjT7_P12ihipStream_tbENKUlT_T0_SG_SL_E_clIS7_S7_SB_SB_EEDaSZ_S10_SG_SL_EUlSZ_E_NS1_11comp_targetILNS1_3genE10ELNS1_11target_archE1201ELNS1_3gpuE5ELNS1_3repE0EEENS1_47radix_sort_onesweep_sort_config_static_selectorELNS0_4arch9wavefront6targetE1EEEvSG_,comdat
	.protected	_ZN7rocprim17ROCPRIM_400000_NS6detail17trampoline_kernelINS0_14default_configENS1_35radix_sort_onesweep_config_selectorIslEEZZNS1_29radix_sort_onesweep_iterationIS3_Lb0EPsS7_N6thrust23THRUST_200600_302600_NS10device_ptrIlEESB_jNS0_19identity_decomposerENS1_16block_id_wrapperIjLb1EEEEE10hipError_tT1_PNSt15iterator_traitsISG_E10value_typeET2_T3_PNSH_ISM_E10value_typeET4_T5_PSR_SS_PNS1_23onesweep_lookback_stateEbbT6_jjT7_P12ihipStream_tbENKUlT_T0_SG_SL_E_clIS7_S7_SB_SB_EEDaSZ_S10_SG_SL_EUlSZ_E_NS1_11comp_targetILNS1_3genE10ELNS1_11target_archE1201ELNS1_3gpuE5ELNS1_3repE0EEENS1_47radix_sort_onesweep_sort_config_static_selectorELNS0_4arch9wavefront6targetE1EEEvSG_ ; -- Begin function _ZN7rocprim17ROCPRIM_400000_NS6detail17trampoline_kernelINS0_14default_configENS1_35radix_sort_onesweep_config_selectorIslEEZZNS1_29radix_sort_onesweep_iterationIS3_Lb0EPsS7_N6thrust23THRUST_200600_302600_NS10device_ptrIlEESB_jNS0_19identity_decomposerENS1_16block_id_wrapperIjLb1EEEEE10hipError_tT1_PNSt15iterator_traitsISG_E10value_typeET2_T3_PNSH_ISM_E10value_typeET4_T5_PSR_SS_PNS1_23onesweep_lookback_stateEbbT6_jjT7_P12ihipStream_tbENKUlT_T0_SG_SL_E_clIS7_S7_SB_SB_EEDaSZ_S10_SG_SL_EUlSZ_E_NS1_11comp_targetILNS1_3genE10ELNS1_11target_archE1201ELNS1_3gpuE5ELNS1_3repE0EEENS1_47radix_sort_onesweep_sort_config_static_selectorELNS0_4arch9wavefront6targetE1EEEvSG_
	.globl	_ZN7rocprim17ROCPRIM_400000_NS6detail17trampoline_kernelINS0_14default_configENS1_35radix_sort_onesweep_config_selectorIslEEZZNS1_29radix_sort_onesweep_iterationIS3_Lb0EPsS7_N6thrust23THRUST_200600_302600_NS10device_ptrIlEESB_jNS0_19identity_decomposerENS1_16block_id_wrapperIjLb1EEEEE10hipError_tT1_PNSt15iterator_traitsISG_E10value_typeET2_T3_PNSH_ISM_E10value_typeET4_T5_PSR_SS_PNS1_23onesweep_lookback_stateEbbT6_jjT7_P12ihipStream_tbENKUlT_T0_SG_SL_E_clIS7_S7_SB_SB_EEDaSZ_S10_SG_SL_EUlSZ_E_NS1_11comp_targetILNS1_3genE10ELNS1_11target_archE1201ELNS1_3gpuE5ELNS1_3repE0EEENS1_47radix_sort_onesweep_sort_config_static_selectorELNS0_4arch9wavefront6targetE1EEEvSG_
	.p2align	8
	.type	_ZN7rocprim17ROCPRIM_400000_NS6detail17trampoline_kernelINS0_14default_configENS1_35radix_sort_onesweep_config_selectorIslEEZZNS1_29radix_sort_onesweep_iterationIS3_Lb0EPsS7_N6thrust23THRUST_200600_302600_NS10device_ptrIlEESB_jNS0_19identity_decomposerENS1_16block_id_wrapperIjLb1EEEEE10hipError_tT1_PNSt15iterator_traitsISG_E10value_typeET2_T3_PNSH_ISM_E10value_typeET4_T5_PSR_SS_PNS1_23onesweep_lookback_stateEbbT6_jjT7_P12ihipStream_tbENKUlT_T0_SG_SL_E_clIS7_S7_SB_SB_EEDaSZ_S10_SG_SL_EUlSZ_E_NS1_11comp_targetILNS1_3genE10ELNS1_11target_archE1201ELNS1_3gpuE5ELNS1_3repE0EEENS1_47radix_sort_onesweep_sort_config_static_selectorELNS0_4arch9wavefront6targetE1EEEvSG_,@function
_ZN7rocprim17ROCPRIM_400000_NS6detail17trampoline_kernelINS0_14default_configENS1_35radix_sort_onesweep_config_selectorIslEEZZNS1_29radix_sort_onesweep_iterationIS3_Lb0EPsS7_N6thrust23THRUST_200600_302600_NS10device_ptrIlEESB_jNS0_19identity_decomposerENS1_16block_id_wrapperIjLb1EEEEE10hipError_tT1_PNSt15iterator_traitsISG_E10value_typeET2_T3_PNSH_ISM_E10value_typeET4_T5_PSR_SS_PNS1_23onesweep_lookback_stateEbbT6_jjT7_P12ihipStream_tbENKUlT_T0_SG_SL_E_clIS7_S7_SB_SB_EEDaSZ_S10_SG_SL_EUlSZ_E_NS1_11comp_targetILNS1_3genE10ELNS1_11target_archE1201ELNS1_3gpuE5ELNS1_3repE0EEENS1_47radix_sort_onesweep_sort_config_static_selectorELNS0_4arch9wavefront6targetE1EEEvSG_: ; @_ZN7rocprim17ROCPRIM_400000_NS6detail17trampoline_kernelINS0_14default_configENS1_35radix_sort_onesweep_config_selectorIslEEZZNS1_29radix_sort_onesweep_iterationIS3_Lb0EPsS7_N6thrust23THRUST_200600_302600_NS10device_ptrIlEESB_jNS0_19identity_decomposerENS1_16block_id_wrapperIjLb1EEEEE10hipError_tT1_PNSt15iterator_traitsISG_E10value_typeET2_T3_PNSH_ISM_E10value_typeET4_T5_PSR_SS_PNS1_23onesweep_lookback_stateEbbT6_jjT7_P12ihipStream_tbENKUlT_T0_SG_SL_E_clIS7_S7_SB_SB_EEDaSZ_S10_SG_SL_EUlSZ_E_NS1_11comp_targetILNS1_3genE10ELNS1_11target_archE1201ELNS1_3gpuE5ELNS1_3repE0EEENS1_47radix_sort_onesweep_sort_config_static_selectorELNS0_4arch9wavefront6targetE1EEEvSG_
; %bb.0:
	.section	.rodata,"a",@progbits
	.p2align	6, 0x0
	.amdhsa_kernel _ZN7rocprim17ROCPRIM_400000_NS6detail17trampoline_kernelINS0_14default_configENS1_35radix_sort_onesweep_config_selectorIslEEZZNS1_29radix_sort_onesweep_iterationIS3_Lb0EPsS7_N6thrust23THRUST_200600_302600_NS10device_ptrIlEESB_jNS0_19identity_decomposerENS1_16block_id_wrapperIjLb1EEEEE10hipError_tT1_PNSt15iterator_traitsISG_E10value_typeET2_T3_PNSH_ISM_E10value_typeET4_T5_PSR_SS_PNS1_23onesweep_lookback_stateEbbT6_jjT7_P12ihipStream_tbENKUlT_T0_SG_SL_E_clIS7_S7_SB_SB_EEDaSZ_S10_SG_SL_EUlSZ_E_NS1_11comp_targetILNS1_3genE10ELNS1_11target_archE1201ELNS1_3gpuE5ELNS1_3repE0EEENS1_47radix_sort_onesweep_sort_config_static_selectorELNS0_4arch9wavefront6targetE1EEEvSG_
		.amdhsa_group_segment_fixed_size 0
		.amdhsa_private_segment_fixed_size 0
		.amdhsa_kernarg_size 88
		.amdhsa_user_sgpr_count 6
		.amdhsa_user_sgpr_private_segment_buffer 1
		.amdhsa_user_sgpr_dispatch_ptr 0
		.amdhsa_user_sgpr_queue_ptr 0
		.amdhsa_user_sgpr_kernarg_segment_ptr 1
		.amdhsa_user_sgpr_dispatch_id 0
		.amdhsa_user_sgpr_flat_scratch_init 0
		.amdhsa_user_sgpr_private_segment_size 0
		.amdhsa_uses_dynamic_stack 0
		.amdhsa_system_sgpr_private_segment_wavefront_offset 0
		.amdhsa_system_sgpr_workgroup_id_x 1
		.amdhsa_system_sgpr_workgroup_id_y 0
		.amdhsa_system_sgpr_workgroup_id_z 0
		.amdhsa_system_sgpr_workgroup_info 0
		.amdhsa_system_vgpr_workitem_id 0
		.amdhsa_next_free_vgpr 1
		.amdhsa_next_free_sgpr 0
		.amdhsa_reserve_vcc 0
		.amdhsa_reserve_flat_scratch 0
		.amdhsa_float_round_mode_32 0
		.amdhsa_float_round_mode_16_64 0
		.amdhsa_float_denorm_mode_32 3
		.amdhsa_float_denorm_mode_16_64 3
		.amdhsa_dx10_clamp 1
		.amdhsa_ieee_mode 1
		.amdhsa_fp16_overflow 0
		.amdhsa_exception_fp_ieee_invalid_op 0
		.amdhsa_exception_fp_denorm_src 0
		.amdhsa_exception_fp_ieee_div_zero 0
		.amdhsa_exception_fp_ieee_overflow 0
		.amdhsa_exception_fp_ieee_underflow 0
		.amdhsa_exception_fp_ieee_inexact 0
		.amdhsa_exception_int_div_zero 0
	.end_amdhsa_kernel
	.section	.text._ZN7rocprim17ROCPRIM_400000_NS6detail17trampoline_kernelINS0_14default_configENS1_35radix_sort_onesweep_config_selectorIslEEZZNS1_29radix_sort_onesweep_iterationIS3_Lb0EPsS7_N6thrust23THRUST_200600_302600_NS10device_ptrIlEESB_jNS0_19identity_decomposerENS1_16block_id_wrapperIjLb1EEEEE10hipError_tT1_PNSt15iterator_traitsISG_E10value_typeET2_T3_PNSH_ISM_E10value_typeET4_T5_PSR_SS_PNS1_23onesweep_lookback_stateEbbT6_jjT7_P12ihipStream_tbENKUlT_T0_SG_SL_E_clIS7_S7_SB_SB_EEDaSZ_S10_SG_SL_EUlSZ_E_NS1_11comp_targetILNS1_3genE10ELNS1_11target_archE1201ELNS1_3gpuE5ELNS1_3repE0EEENS1_47radix_sort_onesweep_sort_config_static_selectorELNS0_4arch9wavefront6targetE1EEEvSG_,"axG",@progbits,_ZN7rocprim17ROCPRIM_400000_NS6detail17trampoline_kernelINS0_14default_configENS1_35radix_sort_onesweep_config_selectorIslEEZZNS1_29radix_sort_onesweep_iterationIS3_Lb0EPsS7_N6thrust23THRUST_200600_302600_NS10device_ptrIlEESB_jNS0_19identity_decomposerENS1_16block_id_wrapperIjLb1EEEEE10hipError_tT1_PNSt15iterator_traitsISG_E10value_typeET2_T3_PNSH_ISM_E10value_typeET4_T5_PSR_SS_PNS1_23onesweep_lookback_stateEbbT6_jjT7_P12ihipStream_tbENKUlT_T0_SG_SL_E_clIS7_S7_SB_SB_EEDaSZ_S10_SG_SL_EUlSZ_E_NS1_11comp_targetILNS1_3genE10ELNS1_11target_archE1201ELNS1_3gpuE5ELNS1_3repE0EEENS1_47radix_sort_onesweep_sort_config_static_selectorELNS0_4arch9wavefront6targetE1EEEvSG_,comdat
.Lfunc_end1404:
	.size	_ZN7rocprim17ROCPRIM_400000_NS6detail17trampoline_kernelINS0_14default_configENS1_35radix_sort_onesweep_config_selectorIslEEZZNS1_29radix_sort_onesweep_iterationIS3_Lb0EPsS7_N6thrust23THRUST_200600_302600_NS10device_ptrIlEESB_jNS0_19identity_decomposerENS1_16block_id_wrapperIjLb1EEEEE10hipError_tT1_PNSt15iterator_traitsISG_E10value_typeET2_T3_PNSH_ISM_E10value_typeET4_T5_PSR_SS_PNS1_23onesweep_lookback_stateEbbT6_jjT7_P12ihipStream_tbENKUlT_T0_SG_SL_E_clIS7_S7_SB_SB_EEDaSZ_S10_SG_SL_EUlSZ_E_NS1_11comp_targetILNS1_3genE10ELNS1_11target_archE1201ELNS1_3gpuE5ELNS1_3repE0EEENS1_47radix_sort_onesweep_sort_config_static_selectorELNS0_4arch9wavefront6targetE1EEEvSG_, .Lfunc_end1404-_ZN7rocprim17ROCPRIM_400000_NS6detail17trampoline_kernelINS0_14default_configENS1_35radix_sort_onesweep_config_selectorIslEEZZNS1_29radix_sort_onesweep_iterationIS3_Lb0EPsS7_N6thrust23THRUST_200600_302600_NS10device_ptrIlEESB_jNS0_19identity_decomposerENS1_16block_id_wrapperIjLb1EEEEE10hipError_tT1_PNSt15iterator_traitsISG_E10value_typeET2_T3_PNSH_ISM_E10value_typeET4_T5_PSR_SS_PNS1_23onesweep_lookback_stateEbbT6_jjT7_P12ihipStream_tbENKUlT_T0_SG_SL_E_clIS7_S7_SB_SB_EEDaSZ_S10_SG_SL_EUlSZ_E_NS1_11comp_targetILNS1_3genE10ELNS1_11target_archE1201ELNS1_3gpuE5ELNS1_3repE0EEENS1_47radix_sort_onesweep_sort_config_static_selectorELNS0_4arch9wavefront6targetE1EEEvSG_
                                        ; -- End function
	.set _ZN7rocprim17ROCPRIM_400000_NS6detail17trampoline_kernelINS0_14default_configENS1_35radix_sort_onesweep_config_selectorIslEEZZNS1_29radix_sort_onesweep_iterationIS3_Lb0EPsS7_N6thrust23THRUST_200600_302600_NS10device_ptrIlEESB_jNS0_19identity_decomposerENS1_16block_id_wrapperIjLb1EEEEE10hipError_tT1_PNSt15iterator_traitsISG_E10value_typeET2_T3_PNSH_ISM_E10value_typeET4_T5_PSR_SS_PNS1_23onesweep_lookback_stateEbbT6_jjT7_P12ihipStream_tbENKUlT_T0_SG_SL_E_clIS7_S7_SB_SB_EEDaSZ_S10_SG_SL_EUlSZ_E_NS1_11comp_targetILNS1_3genE10ELNS1_11target_archE1201ELNS1_3gpuE5ELNS1_3repE0EEENS1_47radix_sort_onesweep_sort_config_static_selectorELNS0_4arch9wavefront6targetE1EEEvSG_.num_vgpr, 0
	.set _ZN7rocprim17ROCPRIM_400000_NS6detail17trampoline_kernelINS0_14default_configENS1_35radix_sort_onesweep_config_selectorIslEEZZNS1_29radix_sort_onesweep_iterationIS3_Lb0EPsS7_N6thrust23THRUST_200600_302600_NS10device_ptrIlEESB_jNS0_19identity_decomposerENS1_16block_id_wrapperIjLb1EEEEE10hipError_tT1_PNSt15iterator_traitsISG_E10value_typeET2_T3_PNSH_ISM_E10value_typeET4_T5_PSR_SS_PNS1_23onesweep_lookback_stateEbbT6_jjT7_P12ihipStream_tbENKUlT_T0_SG_SL_E_clIS7_S7_SB_SB_EEDaSZ_S10_SG_SL_EUlSZ_E_NS1_11comp_targetILNS1_3genE10ELNS1_11target_archE1201ELNS1_3gpuE5ELNS1_3repE0EEENS1_47radix_sort_onesweep_sort_config_static_selectorELNS0_4arch9wavefront6targetE1EEEvSG_.num_agpr, 0
	.set _ZN7rocprim17ROCPRIM_400000_NS6detail17trampoline_kernelINS0_14default_configENS1_35radix_sort_onesweep_config_selectorIslEEZZNS1_29radix_sort_onesweep_iterationIS3_Lb0EPsS7_N6thrust23THRUST_200600_302600_NS10device_ptrIlEESB_jNS0_19identity_decomposerENS1_16block_id_wrapperIjLb1EEEEE10hipError_tT1_PNSt15iterator_traitsISG_E10value_typeET2_T3_PNSH_ISM_E10value_typeET4_T5_PSR_SS_PNS1_23onesweep_lookback_stateEbbT6_jjT7_P12ihipStream_tbENKUlT_T0_SG_SL_E_clIS7_S7_SB_SB_EEDaSZ_S10_SG_SL_EUlSZ_E_NS1_11comp_targetILNS1_3genE10ELNS1_11target_archE1201ELNS1_3gpuE5ELNS1_3repE0EEENS1_47radix_sort_onesweep_sort_config_static_selectorELNS0_4arch9wavefront6targetE1EEEvSG_.numbered_sgpr, 0
	.set _ZN7rocprim17ROCPRIM_400000_NS6detail17trampoline_kernelINS0_14default_configENS1_35radix_sort_onesweep_config_selectorIslEEZZNS1_29radix_sort_onesweep_iterationIS3_Lb0EPsS7_N6thrust23THRUST_200600_302600_NS10device_ptrIlEESB_jNS0_19identity_decomposerENS1_16block_id_wrapperIjLb1EEEEE10hipError_tT1_PNSt15iterator_traitsISG_E10value_typeET2_T3_PNSH_ISM_E10value_typeET4_T5_PSR_SS_PNS1_23onesweep_lookback_stateEbbT6_jjT7_P12ihipStream_tbENKUlT_T0_SG_SL_E_clIS7_S7_SB_SB_EEDaSZ_S10_SG_SL_EUlSZ_E_NS1_11comp_targetILNS1_3genE10ELNS1_11target_archE1201ELNS1_3gpuE5ELNS1_3repE0EEENS1_47radix_sort_onesweep_sort_config_static_selectorELNS0_4arch9wavefront6targetE1EEEvSG_.num_named_barrier, 0
	.set _ZN7rocprim17ROCPRIM_400000_NS6detail17trampoline_kernelINS0_14default_configENS1_35radix_sort_onesweep_config_selectorIslEEZZNS1_29radix_sort_onesweep_iterationIS3_Lb0EPsS7_N6thrust23THRUST_200600_302600_NS10device_ptrIlEESB_jNS0_19identity_decomposerENS1_16block_id_wrapperIjLb1EEEEE10hipError_tT1_PNSt15iterator_traitsISG_E10value_typeET2_T3_PNSH_ISM_E10value_typeET4_T5_PSR_SS_PNS1_23onesweep_lookback_stateEbbT6_jjT7_P12ihipStream_tbENKUlT_T0_SG_SL_E_clIS7_S7_SB_SB_EEDaSZ_S10_SG_SL_EUlSZ_E_NS1_11comp_targetILNS1_3genE10ELNS1_11target_archE1201ELNS1_3gpuE5ELNS1_3repE0EEENS1_47radix_sort_onesweep_sort_config_static_selectorELNS0_4arch9wavefront6targetE1EEEvSG_.private_seg_size, 0
	.set _ZN7rocprim17ROCPRIM_400000_NS6detail17trampoline_kernelINS0_14default_configENS1_35radix_sort_onesweep_config_selectorIslEEZZNS1_29radix_sort_onesweep_iterationIS3_Lb0EPsS7_N6thrust23THRUST_200600_302600_NS10device_ptrIlEESB_jNS0_19identity_decomposerENS1_16block_id_wrapperIjLb1EEEEE10hipError_tT1_PNSt15iterator_traitsISG_E10value_typeET2_T3_PNSH_ISM_E10value_typeET4_T5_PSR_SS_PNS1_23onesweep_lookback_stateEbbT6_jjT7_P12ihipStream_tbENKUlT_T0_SG_SL_E_clIS7_S7_SB_SB_EEDaSZ_S10_SG_SL_EUlSZ_E_NS1_11comp_targetILNS1_3genE10ELNS1_11target_archE1201ELNS1_3gpuE5ELNS1_3repE0EEENS1_47radix_sort_onesweep_sort_config_static_selectorELNS0_4arch9wavefront6targetE1EEEvSG_.uses_vcc, 0
	.set _ZN7rocprim17ROCPRIM_400000_NS6detail17trampoline_kernelINS0_14default_configENS1_35radix_sort_onesweep_config_selectorIslEEZZNS1_29radix_sort_onesweep_iterationIS3_Lb0EPsS7_N6thrust23THRUST_200600_302600_NS10device_ptrIlEESB_jNS0_19identity_decomposerENS1_16block_id_wrapperIjLb1EEEEE10hipError_tT1_PNSt15iterator_traitsISG_E10value_typeET2_T3_PNSH_ISM_E10value_typeET4_T5_PSR_SS_PNS1_23onesweep_lookback_stateEbbT6_jjT7_P12ihipStream_tbENKUlT_T0_SG_SL_E_clIS7_S7_SB_SB_EEDaSZ_S10_SG_SL_EUlSZ_E_NS1_11comp_targetILNS1_3genE10ELNS1_11target_archE1201ELNS1_3gpuE5ELNS1_3repE0EEENS1_47radix_sort_onesweep_sort_config_static_selectorELNS0_4arch9wavefront6targetE1EEEvSG_.uses_flat_scratch, 0
	.set _ZN7rocprim17ROCPRIM_400000_NS6detail17trampoline_kernelINS0_14default_configENS1_35radix_sort_onesweep_config_selectorIslEEZZNS1_29radix_sort_onesweep_iterationIS3_Lb0EPsS7_N6thrust23THRUST_200600_302600_NS10device_ptrIlEESB_jNS0_19identity_decomposerENS1_16block_id_wrapperIjLb1EEEEE10hipError_tT1_PNSt15iterator_traitsISG_E10value_typeET2_T3_PNSH_ISM_E10value_typeET4_T5_PSR_SS_PNS1_23onesweep_lookback_stateEbbT6_jjT7_P12ihipStream_tbENKUlT_T0_SG_SL_E_clIS7_S7_SB_SB_EEDaSZ_S10_SG_SL_EUlSZ_E_NS1_11comp_targetILNS1_3genE10ELNS1_11target_archE1201ELNS1_3gpuE5ELNS1_3repE0EEENS1_47radix_sort_onesweep_sort_config_static_selectorELNS0_4arch9wavefront6targetE1EEEvSG_.has_dyn_sized_stack, 0
	.set _ZN7rocprim17ROCPRIM_400000_NS6detail17trampoline_kernelINS0_14default_configENS1_35radix_sort_onesweep_config_selectorIslEEZZNS1_29radix_sort_onesweep_iterationIS3_Lb0EPsS7_N6thrust23THRUST_200600_302600_NS10device_ptrIlEESB_jNS0_19identity_decomposerENS1_16block_id_wrapperIjLb1EEEEE10hipError_tT1_PNSt15iterator_traitsISG_E10value_typeET2_T3_PNSH_ISM_E10value_typeET4_T5_PSR_SS_PNS1_23onesweep_lookback_stateEbbT6_jjT7_P12ihipStream_tbENKUlT_T0_SG_SL_E_clIS7_S7_SB_SB_EEDaSZ_S10_SG_SL_EUlSZ_E_NS1_11comp_targetILNS1_3genE10ELNS1_11target_archE1201ELNS1_3gpuE5ELNS1_3repE0EEENS1_47radix_sort_onesweep_sort_config_static_selectorELNS0_4arch9wavefront6targetE1EEEvSG_.has_recursion, 0
	.set _ZN7rocprim17ROCPRIM_400000_NS6detail17trampoline_kernelINS0_14default_configENS1_35radix_sort_onesweep_config_selectorIslEEZZNS1_29radix_sort_onesweep_iterationIS3_Lb0EPsS7_N6thrust23THRUST_200600_302600_NS10device_ptrIlEESB_jNS0_19identity_decomposerENS1_16block_id_wrapperIjLb1EEEEE10hipError_tT1_PNSt15iterator_traitsISG_E10value_typeET2_T3_PNSH_ISM_E10value_typeET4_T5_PSR_SS_PNS1_23onesweep_lookback_stateEbbT6_jjT7_P12ihipStream_tbENKUlT_T0_SG_SL_E_clIS7_S7_SB_SB_EEDaSZ_S10_SG_SL_EUlSZ_E_NS1_11comp_targetILNS1_3genE10ELNS1_11target_archE1201ELNS1_3gpuE5ELNS1_3repE0EEENS1_47radix_sort_onesweep_sort_config_static_selectorELNS0_4arch9wavefront6targetE1EEEvSG_.has_indirect_call, 0
	.section	.AMDGPU.csdata,"",@progbits
; Kernel info:
; codeLenInByte = 0
; TotalNumSgprs: 4
; NumVgprs: 0
; ScratchSize: 0
; MemoryBound: 0
; FloatMode: 240
; IeeeMode: 1
; LDSByteSize: 0 bytes/workgroup (compile time only)
; SGPRBlocks: 0
; VGPRBlocks: 0
; NumSGPRsForWavesPerEU: 4
; NumVGPRsForWavesPerEU: 1
; Occupancy: 10
; WaveLimiterHint : 0
; COMPUTE_PGM_RSRC2:SCRATCH_EN: 0
; COMPUTE_PGM_RSRC2:USER_SGPR: 6
; COMPUTE_PGM_RSRC2:TRAP_HANDLER: 0
; COMPUTE_PGM_RSRC2:TGID_X_EN: 1
; COMPUTE_PGM_RSRC2:TGID_Y_EN: 0
; COMPUTE_PGM_RSRC2:TGID_Z_EN: 0
; COMPUTE_PGM_RSRC2:TIDIG_COMP_CNT: 0
	.section	.text._ZN7rocprim17ROCPRIM_400000_NS6detail17trampoline_kernelINS0_14default_configENS1_35radix_sort_onesweep_config_selectorIslEEZZNS1_29radix_sort_onesweep_iterationIS3_Lb0EPsS7_N6thrust23THRUST_200600_302600_NS10device_ptrIlEESB_jNS0_19identity_decomposerENS1_16block_id_wrapperIjLb1EEEEE10hipError_tT1_PNSt15iterator_traitsISG_E10value_typeET2_T3_PNSH_ISM_E10value_typeET4_T5_PSR_SS_PNS1_23onesweep_lookback_stateEbbT6_jjT7_P12ihipStream_tbENKUlT_T0_SG_SL_E_clIS7_S7_SB_SB_EEDaSZ_S10_SG_SL_EUlSZ_E_NS1_11comp_targetILNS1_3genE9ELNS1_11target_archE1100ELNS1_3gpuE3ELNS1_3repE0EEENS1_47radix_sort_onesweep_sort_config_static_selectorELNS0_4arch9wavefront6targetE1EEEvSG_,"axG",@progbits,_ZN7rocprim17ROCPRIM_400000_NS6detail17trampoline_kernelINS0_14default_configENS1_35radix_sort_onesweep_config_selectorIslEEZZNS1_29radix_sort_onesweep_iterationIS3_Lb0EPsS7_N6thrust23THRUST_200600_302600_NS10device_ptrIlEESB_jNS0_19identity_decomposerENS1_16block_id_wrapperIjLb1EEEEE10hipError_tT1_PNSt15iterator_traitsISG_E10value_typeET2_T3_PNSH_ISM_E10value_typeET4_T5_PSR_SS_PNS1_23onesweep_lookback_stateEbbT6_jjT7_P12ihipStream_tbENKUlT_T0_SG_SL_E_clIS7_S7_SB_SB_EEDaSZ_S10_SG_SL_EUlSZ_E_NS1_11comp_targetILNS1_3genE9ELNS1_11target_archE1100ELNS1_3gpuE3ELNS1_3repE0EEENS1_47radix_sort_onesweep_sort_config_static_selectorELNS0_4arch9wavefront6targetE1EEEvSG_,comdat
	.protected	_ZN7rocprim17ROCPRIM_400000_NS6detail17trampoline_kernelINS0_14default_configENS1_35radix_sort_onesweep_config_selectorIslEEZZNS1_29radix_sort_onesweep_iterationIS3_Lb0EPsS7_N6thrust23THRUST_200600_302600_NS10device_ptrIlEESB_jNS0_19identity_decomposerENS1_16block_id_wrapperIjLb1EEEEE10hipError_tT1_PNSt15iterator_traitsISG_E10value_typeET2_T3_PNSH_ISM_E10value_typeET4_T5_PSR_SS_PNS1_23onesweep_lookback_stateEbbT6_jjT7_P12ihipStream_tbENKUlT_T0_SG_SL_E_clIS7_S7_SB_SB_EEDaSZ_S10_SG_SL_EUlSZ_E_NS1_11comp_targetILNS1_3genE9ELNS1_11target_archE1100ELNS1_3gpuE3ELNS1_3repE0EEENS1_47radix_sort_onesweep_sort_config_static_selectorELNS0_4arch9wavefront6targetE1EEEvSG_ ; -- Begin function _ZN7rocprim17ROCPRIM_400000_NS6detail17trampoline_kernelINS0_14default_configENS1_35radix_sort_onesweep_config_selectorIslEEZZNS1_29radix_sort_onesweep_iterationIS3_Lb0EPsS7_N6thrust23THRUST_200600_302600_NS10device_ptrIlEESB_jNS0_19identity_decomposerENS1_16block_id_wrapperIjLb1EEEEE10hipError_tT1_PNSt15iterator_traitsISG_E10value_typeET2_T3_PNSH_ISM_E10value_typeET4_T5_PSR_SS_PNS1_23onesweep_lookback_stateEbbT6_jjT7_P12ihipStream_tbENKUlT_T0_SG_SL_E_clIS7_S7_SB_SB_EEDaSZ_S10_SG_SL_EUlSZ_E_NS1_11comp_targetILNS1_3genE9ELNS1_11target_archE1100ELNS1_3gpuE3ELNS1_3repE0EEENS1_47radix_sort_onesweep_sort_config_static_selectorELNS0_4arch9wavefront6targetE1EEEvSG_
	.globl	_ZN7rocprim17ROCPRIM_400000_NS6detail17trampoline_kernelINS0_14default_configENS1_35radix_sort_onesweep_config_selectorIslEEZZNS1_29radix_sort_onesweep_iterationIS3_Lb0EPsS7_N6thrust23THRUST_200600_302600_NS10device_ptrIlEESB_jNS0_19identity_decomposerENS1_16block_id_wrapperIjLb1EEEEE10hipError_tT1_PNSt15iterator_traitsISG_E10value_typeET2_T3_PNSH_ISM_E10value_typeET4_T5_PSR_SS_PNS1_23onesweep_lookback_stateEbbT6_jjT7_P12ihipStream_tbENKUlT_T0_SG_SL_E_clIS7_S7_SB_SB_EEDaSZ_S10_SG_SL_EUlSZ_E_NS1_11comp_targetILNS1_3genE9ELNS1_11target_archE1100ELNS1_3gpuE3ELNS1_3repE0EEENS1_47radix_sort_onesweep_sort_config_static_selectorELNS0_4arch9wavefront6targetE1EEEvSG_
	.p2align	8
	.type	_ZN7rocprim17ROCPRIM_400000_NS6detail17trampoline_kernelINS0_14default_configENS1_35radix_sort_onesweep_config_selectorIslEEZZNS1_29radix_sort_onesweep_iterationIS3_Lb0EPsS7_N6thrust23THRUST_200600_302600_NS10device_ptrIlEESB_jNS0_19identity_decomposerENS1_16block_id_wrapperIjLb1EEEEE10hipError_tT1_PNSt15iterator_traitsISG_E10value_typeET2_T3_PNSH_ISM_E10value_typeET4_T5_PSR_SS_PNS1_23onesweep_lookback_stateEbbT6_jjT7_P12ihipStream_tbENKUlT_T0_SG_SL_E_clIS7_S7_SB_SB_EEDaSZ_S10_SG_SL_EUlSZ_E_NS1_11comp_targetILNS1_3genE9ELNS1_11target_archE1100ELNS1_3gpuE3ELNS1_3repE0EEENS1_47radix_sort_onesweep_sort_config_static_selectorELNS0_4arch9wavefront6targetE1EEEvSG_,@function
_ZN7rocprim17ROCPRIM_400000_NS6detail17trampoline_kernelINS0_14default_configENS1_35radix_sort_onesweep_config_selectorIslEEZZNS1_29radix_sort_onesweep_iterationIS3_Lb0EPsS7_N6thrust23THRUST_200600_302600_NS10device_ptrIlEESB_jNS0_19identity_decomposerENS1_16block_id_wrapperIjLb1EEEEE10hipError_tT1_PNSt15iterator_traitsISG_E10value_typeET2_T3_PNSH_ISM_E10value_typeET4_T5_PSR_SS_PNS1_23onesweep_lookback_stateEbbT6_jjT7_P12ihipStream_tbENKUlT_T0_SG_SL_E_clIS7_S7_SB_SB_EEDaSZ_S10_SG_SL_EUlSZ_E_NS1_11comp_targetILNS1_3genE9ELNS1_11target_archE1100ELNS1_3gpuE3ELNS1_3repE0EEENS1_47radix_sort_onesweep_sort_config_static_selectorELNS0_4arch9wavefront6targetE1EEEvSG_: ; @_ZN7rocprim17ROCPRIM_400000_NS6detail17trampoline_kernelINS0_14default_configENS1_35radix_sort_onesweep_config_selectorIslEEZZNS1_29radix_sort_onesweep_iterationIS3_Lb0EPsS7_N6thrust23THRUST_200600_302600_NS10device_ptrIlEESB_jNS0_19identity_decomposerENS1_16block_id_wrapperIjLb1EEEEE10hipError_tT1_PNSt15iterator_traitsISG_E10value_typeET2_T3_PNSH_ISM_E10value_typeET4_T5_PSR_SS_PNS1_23onesweep_lookback_stateEbbT6_jjT7_P12ihipStream_tbENKUlT_T0_SG_SL_E_clIS7_S7_SB_SB_EEDaSZ_S10_SG_SL_EUlSZ_E_NS1_11comp_targetILNS1_3genE9ELNS1_11target_archE1100ELNS1_3gpuE3ELNS1_3repE0EEENS1_47radix_sort_onesweep_sort_config_static_selectorELNS0_4arch9wavefront6targetE1EEEvSG_
; %bb.0:
	.section	.rodata,"a",@progbits
	.p2align	6, 0x0
	.amdhsa_kernel _ZN7rocprim17ROCPRIM_400000_NS6detail17trampoline_kernelINS0_14default_configENS1_35radix_sort_onesweep_config_selectorIslEEZZNS1_29radix_sort_onesweep_iterationIS3_Lb0EPsS7_N6thrust23THRUST_200600_302600_NS10device_ptrIlEESB_jNS0_19identity_decomposerENS1_16block_id_wrapperIjLb1EEEEE10hipError_tT1_PNSt15iterator_traitsISG_E10value_typeET2_T3_PNSH_ISM_E10value_typeET4_T5_PSR_SS_PNS1_23onesweep_lookback_stateEbbT6_jjT7_P12ihipStream_tbENKUlT_T0_SG_SL_E_clIS7_S7_SB_SB_EEDaSZ_S10_SG_SL_EUlSZ_E_NS1_11comp_targetILNS1_3genE9ELNS1_11target_archE1100ELNS1_3gpuE3ELNS1_3repE0EEENS1_47radix_sort_onesweep_sort_config_static_selectorELNS0_4arch9wavefront6targetE1EEEvSG_
		.amdhsa_group_segment_fixed_size 0
		.amdhsa_private_segment_fixed_size 0
		.amdhsa_kernarg_size 88
		.amdhsa_user_sgpr_count 6
		.amdhsa_user_sgpr_private_segment_buffer 1
		.amdhsa_user_sgpr_dispatch_ptr 0
		.amdhsa_user_sgpr_queue_ptr 0
		.amdhsa_user_sgpr_kernarg_segment_ptr 1
		.amdhsa_user_sgpr_dispatch_id 0
		.amdhsa_user_sgpr_flat_scratch_init 0
		.amdhsa_user_sgpr_private_segment_size 0
		.amdhsa_uses_dynamic_stack 0
		.amdhsa_system_sgpr_private_segment_wavefront_offset 0
		.amdhsa_system_sgpr_workgroup_id_x 1
		.amdhsa_system_sgpr_workgroup_id_y 0
		.amdhsa_system_sgpr_workgroup_id_z 0
		.amdhsa_system_sgpr_workgroup_info 0
		.amdhsa_system_vgpr_workitem_id 0
		.amdhsa_next_free_vgpr 1
		.amdhsa_next_free_sgpr 0
		.amdhsa_reserve_vcc 0
		.amdhsa_reserve_flat_scratch 0
		.amdhsa_float_round_mode_32 0
		.amdhsa_float_round_mode_16_64 0
		.amdhsa_float_denorm_mode_32 3
		.amdhsa_float_denorm_mode_16_64 3
		.amdhsa_dx10_clamp 1
		.amdhsa_ieee_mode 1
		.amdhsa_fp16_overflow 0
		.amdhsa_exception_fp_ieee_invalid_op 0
		.amdhsa_exception_fp_denorm_src 0
		.amdhsa_exception_fp_ieee_div_zero 0
		.amdhsa_exception_fp_ieee_overflow 0
		.amdhsa_exception_fp_ieee_underflow 0
		.amdhsa_exception_fp_ieee_inexact 0
		.amdhsa_exception_int_div_zero 0
	.end_amdhsa_kernel
	.section	.text._ZN7rocprim17ROCPRIM_400000_NS6detail17trampoline_kernelINS0_14default_configENS1_35radix_sort_onesweep_config_selectorIslEEZZNS1_29radix_sort_onesweep_iterationIS3_Lb0EPsS7_N6thrust23THRUST_200600_302600_NS10device_ptrIlEESB_jNS0_19identity_decomposerENS1_16block_id_wrapperIjLb1EEEEE10hipError_tT1_PNSt15iterator_traitsISG_E10value_typeET2_T3_PNSH_ISM_E10value_typeET4_T5_PSR_SS_PNS1_23onesweep_lookback_stateEbbT6_jjT7_P12ihipStream_tbENKUlT_T0_SG_SL_E_clIS7_S7_SB_SB_EEDaSZ_S10_SG_SL_EUlSZ_E_NS1_11comp_targetILNS1_3genE9ELNS1_11target_archE1100ELNS1_3gpuE3ELNS1_3repE0EEENS1_47radix_sort_onesweep_sort_config_static_selectorELNS0_4arch9wavefront6targetE1EEEvSG_,"axG",@progbits,_ZN7rocprim17ROCPRIM_400000_NS6detail17trampoline_kernelINS0_14default_configENS1_35radix_sort_onesweep_config_selectorIslEEZZNS1_29radix_sort_onesweep_iterationIS3_Lb0EPsS7_N6thrust23THRUST_200600_302600_NS10device_ptrIlEESB_jNS0_19identity_decomposerENS1_16block_id_wrapperIjLb1EEEEE10hipError_tT1_PNSt15iterator_traitsISG_E10value_typeET2_T3_PNSH_ISM_E10value_typeET4_T5_PSR_SS_PNS1_23onesweep_lookback_stateEbbT6_jjT7_P12ihipStream_tbENKUlT_T0_SG_SL_E_clIS7_S7_SB_SB_EEDaSZ_S10_SG_SL_EUlSZ_E_NS1_11comp_targetILNS1_3genE9ELNS1_11target_archE1100ELNS1_3gpuE3ELNS1_3repE0EEENS1_47radix_sort_onesweep_sort_config_static_selectorELNS0_4arch9wavefront6targetE1EEEvSG_,comdat
.Lfunc_end1405:
	.size	_ZN7rocprim17ROCPRIM_400000_NS6detail17trampoline_kernelINS0_14default_configENS1_35radix_sort_onesweep_config_selectorIslEEZZNS1_29radix_sort_onesweep_iterationIS3_Lb0EPsS7_N6thrust23THRUST_200600_302600_NS10device_ptrIlEESB_jNS0_19identity_decomposerENS1_16block_id_wrapperIjLb1EEEEE10hipError_tT1_PNSt15iterator_traitsISG_E10value_typeET2_T3_PNSH_ISM_E10value_typeET4_T5_PSR_SS_PNS1_23onesweep_lookback_stateEbbT6_jjT7_P12ihipStream_tbENKUlT_T0_SG_SL_E_clIS7_S7_SB_SB_EEDaSZ_S10_SG_SL_EUlSZ_E_NS1_11comp_targetILNS1_3genE9ELNS1_11target_archE1100ELNS1_3gpuE3ELNS1_3repE0EEENS1_47radix_sort_onesweep_sort_config_static_selectorELNS0_4arch9wavefront6targetE1EEEvSG_, .Lfunc_end1405-_ZN7rocprim17ROCPRIM_400000_NS6detail17trampoline_kernelINS0_14default_configENS1_35radix_sort_onesweep_config_selectorIslEEZZNS1_29radix_sort_onesweep_iterationIS3_Lb0EPsS7_N6thrust23THRUST_200600_302600_NS10device_ptrIlEESB_jNS0_19identity_decomposerENS1_16block_id_wrapperIjLb1EEEEE10hipError_tT1_PNSt15iterator_traitsISG_E10value_typeET2_T3_PNSH_ISM_E10value_typeET4_T5_PSR_SS_PNS1_23onesweep_lookback_stateEbbT6_jjT7_P12ihipStream_tbENKUlT_T0_SG_SL_E_clIS7_S7_SB_SB_EEDaSZ_S10_SG_SL_EUlSZ_E_NS1_11comp_targetILNS1_3genE9ELNS1_11target_archE1100ELNS1_3gpuE3ELNS1_3repE0EEENS1_47radix_sort_onesweep_sort_config_static_selectorELNS0_4arch9wavefront6targetE1EEEvSG_
                                        ; -- End function
	.set _ZN7rocprim17ROCPRIM_400000_NS6detail17trampoline_kernelINS0_14default_configENS1_35radix_sort_onesweep_config_selectorIslEEZZNS1_29radix_sort_onesweep_iterationIS3_Lb0EPsS7_N6thrust23THRUST_200600_302600_NS10device_ptrIlEESB_jNS0_19identity_decomposerENS1_16block_id_wrapperIjLb1EEEEE10hipError_tT1_PNSt15iterator_traitsISG_E10value_typeET2_T3_PNSH_ISM_E10value_typeET4_T5_PSR_SS_PNS1_23onesweep_lookback_stateEbbT6_jjT7_P12ihipStream_tbENKUlT_T0_SG_SL_E_clIS7_S7_SB_SB_EEDaSZ_S10_SG_SL_EUlSZ_E_NS1_11comp_targetILNS1_3genE9ELNS1_11target_archE1100ELNS1_3gpuE3ELNS1_3repE0EEENS1_47radix_sort_onesweep_sort_config_static_selectorELNS0_4arch9wavefront6targetE1EEEvSG_.num_vgpr, 0
	.set _ZN7rocprim17ROCPRIM_400000_NS6detail17trampoline_kernelINS0_14default_configENS1_35radix_sort_onesweep_config_selectorIslEEZZNS1_29radix_sort_onesweep_iterationIS3_Lb0EPsS7_N6thrust23THRUST_200600_302600_NS10device_ptrIlEESB_jNS0_19identity_decomposerENS1_16block_id_wrapperIjLb1EEEEE10hipError_tT1_PNSt15iterator_traitsISG_E10value_typeET2_T3_PNSH_ISM_E10value_typeET4_T5_PSR_SS_PNS1_23onesweep_lookback_stateEbbT6_jjT7_P12ihipStream_tbENKUlT_T0_SG_SL_E_clIS7_S7_SB_SB_EEDaSZ_S10_SG_SL_EUlSZ_E_NS1_11comp_targetILNS1_3genE9ELNS1_11target_archE1100ELNS1_3gpuE3ELNS1_3repE0EEENS1_47radix_sort_onesweep_sort_config_static_selectorELNS0_4arch9wavefront6targetE1EEEvSG_.num_agpr, 0
	.set _ZN7rocprim17ROCPRIM_400000_NS6detail17trampoline_kernelINS0_14default_configENS1_35radix_sort_onesweep_config_selectorIslEEZZNS1_29radix_sort_onesweep_iterationIS3_Lb0EPsS7_N6thrust23THRUST_200600_302600_NS10device_ptrIlEESB_jNS0_19identity_decomposerENS1_16block_id_wrapperIjLb1EEEEE10hipError_tT1_PNSt15iterator_traitsISG_E10value_typeET2_T3_PNSH_ISM_E10value_typeET4_T5_PSR_SS_PNS1_23onesweep_lookback_stateEbbT6_jjT7_P12ihipStream_tbENKUlT_T0_SG_SL_E_clIS7_S7_SB_SB_EEDaSZ_S10_SG_SL_EUlSZ_E_NS1_11comp_targetILNS1_3genE9ELNS1_11target_archE1100ELNS1_3gpuE3ELNS1_3repE0EEENS1_47radix_sort_onesweep_sort_config_static_selectorELNS0_4arch9wavefront6targetE1EEEvSG_.numbered_sgpr, 0
	.set _ZN7rocprim17ROCPRIM_400000_NS6detail17trampoline_kernelINS0_14default_configENS1_35radix_sort_onesweep_config_selectorIslEEZZNS1_29radix_sort_onesweep_iterationIS3_Lb0EPsS7_N6thrust23THRUST_200600_302600_NS10device_ptrIlEESB_jNS0_19identity_decomposerENS1_16block_id_wrapperIjLb1EEEEE10hipError_tT1_PNSt15iterator_traitsISG_E10value_typeET2_T3_PNSH_ISM_E10value_typeET4_T5_PSR_SS_PNS1_23onesweep_lookback_stateEbbT6_jjT7_P12ihipStream_tbENKUlT_T0_SG_SL_E_clIS7_S7_SB_SB_EEDaSZ_S10_SG_SL_EUlSZ_E_NS1_11comp_targetILNS1_3genE9ELNS1_11target_archE1100ELNS1_3gpuE3ELNS1_3repE0EEENS1_47radix_sort_onesweep_sort_config_static_selectorELNS0_4arch9wavefront6targetE1EEEvSG_.num_named_barrier, 0
	.set _ZN7rocprim17ROCPRIM_400000_NS6detail17trampoline_kernelINS0_14default_configENS1_35radix_sort_onesweep_config_selectorIslEEZZNS1_29radix_sort_onesweep_iterationIS3_Lb0EPsS7_N6thrust23THRUST_200600_302600_NS10device_ptrIlEESB_jNS0_19identity_decomposerENS1_16block_id_wrapperIjLb1EEEEE10hipError_tT1_PNSt15iterator_traitsISG_E10value_typeET2_T3_PNSH_ISM_E10value_typeET4_T5_PSR_SS_PNS1_23onesweep_lookback_stateEbbT6_jjT7_P12ihipStream_tbENKUlT_T0_SG_SL_E_clIS7_S7_SB_SB_EEDaSZ_S10_SG_SL_EUlSZ_E_NS1_11comp_targetILNS1_3genE9ELNS1_11target_archE1100ELNS1_3gpuE3ELNS1_3repE0EEENS1_47radix_sort_onesweep_sort_config_static_selectorELNS0_4arch9wavefront6targetE1EEEvSG_.private_seg_size, 0
	.set _ZN7rocprim17ROCPRIM_400000_NS6detail17trampoline_kernelINS0_14default_configENS1_35radix_sort_onesweep_config_selectorIslEEZZNS1_29radix_sort_onesweep_iterationIS3_Lb0EPsS7_N6thrust23THRUST_200600_302600_NS10device_ptrIlEESB_jNS0_19identity_decomposerENS1_16block_id_wrapperIjLb1EEEEE10hipError_tT1_PNSt15iterator_traitsISG_E10value_typeET2_T3_PNSH_ISM_E10value_typeET4_T5_PSR_SS_PNS1_23onesweep_lookback_stateEbbT6_jjT7_P12ihipStream_tbENKUlT_T0_SG_SL_E_clIS7_S7_SB_SB_EEDaSZ_S10_SG_SL_EUlSZ_E_NS1_11comp_targetILNS1_3genE9ELNS1_11target_archE1100ELNS1_3gpuE3ELNS1_3repE0EEENS1_47radix_sort_onesweep_sort_config_static_selectorELNS0_4arch9wavefront6targetE1EEEvSG_.uses_vcc, 0
	.set _ZN7rocprim17ROCPRIM_400000_NS6detail17trampoline_kernelINS0_14default_configENS1_35radix_sort_onesweep_config_selectorIslEEZZNS1_29radix_sort_onesweep_iterationIS3_Lb0EPsS7_N6thrust23THRUST_200600_302600_NS10device_ptrIlEESB_jNS0_19identity_decomposerENS1_16block_id_wrapperIjLb1EEEEE10hipError_tT1_PNSt15iterator_traitsISG_E10value_typeET2_T3_PNSH_ISM_E10value_typeET4_T5_PSR_SS_PNS1_23onesweep_lookback_stateEbbT6_jjT7_P12ihipStream_tbENKUlT_T0_SG_SL_E_clIS7_S7_SB_SB_EEDaSZ_S10_SG_SL_EUlSZ_E_NS1_11comp_targetILNS1_3genE9ELNS1_11target_archE1100ELNS1_3gpuE3ELNS1_3repE0EEENS1_47radix_sort_onesweep_sort_config_static_selectorELNS0_4arch9wavefront6targetE1EEEvSG_.uses_flat_scratch, 0
	.set _ZN7rocprim17ROCPRIM_400000_NS6detail17trampoline_kernelINS0_14default_configENS1_35radix_sort_onesweep_config_selectorIslEEZZNS1_29radix_sort_onesweep_iterationIS3_Lb0EPsS7_N6thrust23THRUST_200600_302600_NS10device_ptrIlEESB_jNS0_19identity_decomposerENS1_16block_id_wrapperIjLb1EEEEE10hipError_tT1_PNSt15iterator_traitsISG_E10value_typeET2_T3_PNSH_ISM_E10value_typeET4_T5_PSR_SS_PNS1_23onesweep_lookback_stateEbbT6_jjT7_P12ihipStream_tbENKUlT_T0_SG_SL_E_clIS7_S7_SB_SB_EEDaSZ_S10_SG_SL_EUlSZ_E_NS1_11comp_targetILNS1_3genE9ELNS1_11target_archE1100ELNS1_3gpuE3ELNS1_3repE0EEENS1_47radix_sort_onesweep_sort_config_static_selectorELNS0_4arch9wavefront6targetE1EEEvSG_.has_dyn_sized_stack, 0
	.set _ZN7rocprim17ROCPRIM_400000_NS6detail17trampoline_kernelINS0_14default_configENS1_35radix_sort_onesweep_config_selectorIslEEZZNS1_29radix_sort_onesweep_iterationIS3_Lb0EPsS7_N6thrust23THRUST_200600_302600_NS10device_ptrIlEESB_jNS0_19identity_decomposerENS1_16block_id_wrapperIjLb1EEEEE10hipError_tT1_PNSt15iterator_traitsISG_E10value_typeET2_T3_PNSH_ISM_E10value_typeET4_T5_PSR_SS_PNS1_23onesweep_lookback_stateEbbT6_jjT7_P12ihipStream_tbENKUlT_T0_SG_SL_E_clIS7_S7_SB_SB_EEDaSZ_S10_SG_SL_EUlSZ_E_NS1_11comp_targetILNS1_3genE9ELNS1_11target_archE1100ELNS1_3gpuE3ELNS1_3repE0EEENS1_47radix_sort_onesweep_sort_config_static_selectorELNS0_4arch9wavefront6targetE1EEEvSG_.has_recursion, 0
	.set _ZN7rocprim17ROCPRIM_400000_NS6detail17trampoline_kernelINS0_14default_configENS1_35radix_sort_onesweep_config_selectorIslEEZZNS1_29radix_sort_onesweep_iterationIS3_Lb0EPsS7_N6thrust23THRUST_200600_302600_NS10device_ptrIlEESB_jNS0_19identity_decomposerENS1_16block_id_wrapperIjLb1EEEEE10hipError_tT1_PNSt15iterator_traitsISG_E10value_typeET2_T3_PNSH_ISM_E10value_typeET4_T5_PSR_SS_PNS1_23onesweep_lookback_stateEbbT6_jjT7_P12ihipStream_tbENKUlT_T0_SG_SL_E_clIS7_S7_SB_SB_EEDaSZ_S10_SG_SL_EUlSZ_E_NS1_11comp_targetILNS1_3genE9ELNS1_11target_archE1100ELNS1_3gpuE3ELNS1_3repE0EEENS1_47radix_sort_onesweep_sort_config_static_selectorELNS0_4arch9wavefront6targetE1EEEvSG_.has_indirect_call, 0
	.section	.AMDGPU.csdata,"",@progbits
; Kernel info:
; codeLenInByte = 0
; TotalNumSgprs: 4
; NumVgprs: 0
; ScratchSize: 0
; MemoryBound: 0
; FloatMode: 240
; IeeeMode: 1
; LDSByteSize: 0 bytes/workgroup (compile time only)
; SGPRBlocks: 0
; VGPRBlocks: 0
; NumSGPRsForWavesPerEU: 4
; NumVGPRsForWavesPerEU: 1
; Occupancy: 10
; WaveLimiterHint : 0
; COMPUTE_PGM_RSRC2:SCRATCH_EN: 0
; COMPUTE_PGM_RSRC2:USER_SGPR: 6
; COMPUTE_PGM_RSRC2:TRAP_HANDLER: 0
; COMPUTE_PGM_RSRC2:TGID_X_EN: 1
; COMPUTE_PGM_RSRC2:TGID_Y_EN: 0
; COMPUTE_PGM_RSRC2:TGID_Z_EN: 0
; COMPUTE_PGM_RSRC2:TIDIG_COMP_CNT: 0
	.section	.text._ZN7rocprim17ROCPRIM_400000_NS6detail17trampoline_kernelINS0_14default_configENS1_35radix_sort_onesweep_config_selectorIslEEZZNS1_29radix_sort_onesweep_iterationIS3_Lb0EPsS7_N6thrust23THRUST_200600_302600_NS10device_ptrIlEESB_jNS0_19identity_decomposerENS1_16block_id_wrapperIjLb1EEEEE10hipError_tT1_PNSt15iterator_traitsISG_E10value_typeET2_T3_PNSH_ISM_E10value_typeET4_T5_PSR_SS_PNS1_23onesweep_lookback_stateEbbT6_jjT7_P12ihipStream_tbENKUlT_T0_SG_SL_E_clIS7_S7_SB_SB_EEDaSZ_S10_SG_SL_EUlSZ_E_NS1_11comp_targetILNS1_3genE8ELNS1_11target_archE1030ELNS1_3gpuE2ELNS1_3repE0EEENS1_47radix_sort_onesweep_sort_config_static_selectorELNS0_4arch9wavefront6targetE1EEEvSG_,"axG",@progbits,_ZN7rocprim17ROCPRIM_400000_NS6detail17trampoline_kernelINS0_14default_configENS1_35radix_sort_onesweep_config_selectorIslEEZZNS1_29radix_sort_onesweep_iterationIS3_Lb0EPsS7_N6thrust23THRUST_200600_302600_NS10device_ptrIlEESB_jNS0_19identity_decomposerENS1_16block_id_wrapperIjLb1EEEEE10hipError_tT1_PNSt15iterator_traitsISG_E10value_typeET2_T3_PNSH_ISM_E10value_typeET4_T5_PSR_SS_PNS1_23onesweep_lookback_stateEbbT6_jjT7_P12ihipStream_tbENKUlT_T0_SG_SL_E_clIS7_S7_SB_SB_EEDaSZ_S10_SG_SL_EUlSZ_E_NS1_11comp_targetILNS1_3genE8ELNS1_11target_archE1030ELNS1_3gpuE2ELNS1_3repE0EEENS1_47radix_sort_onesweep_sort_config_static_selectorELNS0_4arch9wavefront6targetE1EEEvSG_,comdat
	.protected	_ZN7rocprim17ROCPRIM_400000_NS6detail17trampoline_kernelINS0_14default_configENS1_35radix_sort_onesweep_config_selectorIslEEZZNS1_29radix_sort_onesweep_iterationIS3_Lb0EPsS7_N6thrust23THRUST_200600_302600_NS10device_ptrIlEESB_jNS0_19identity_decomposerENS1_16block_id_wrapperIjLb1EEEEE10hipError_tT1_PNSt15iterator_traitsISG_E10value_typeET2_T3_PNSH_ISM_E10value_typeET4_T5_PSR_SS_PNS1_23onesweep_lookback_stateEbbT6_jjT7_P12ihipStream_tbENKUlT_T0_SG_SL_E_clIS7_S7_SB_SB_EEDaSZ_S10_SG_SL_EUlSZ_E_NS1_11comp_targetILNS1_3genE8ELNS1_11target_archE1030ELNS1_3gpuE2ELNS1_3repE0EEENS1_47radix_sort_onesweep_sort_config_static_selectorELNS0_4arch9wavefront6targetE1EEEvSG_ ; -- Begin function _ZN7rocprim17ROCPRIM_400000_NS6detail17trampoline_kernelINS0_14default_configENS1_35radix_sort_onesweep_config_selectorIslEEZZNS1_29radix_sort_onesweep_iterationIS3_Lb0EPsS7_N6thrust23THRUST_200600_302600_NS10device_ptrIlEESB_jNS0_19identity_decomposerENS1_16block_id_wrapperIjLb1EEEEE10hipError_tT1_PNSt15iterator_traitsISG_E10value_typeET2_T3_PNSH_ISM_E10value_typeET4_T5_PSR_SS_PNS1_23onesweep_lookback_stateEbbT6_jjT7_P12ihipStream_tbENKUlT_T0_SG_SL_E_clIS7_S7_SB_SB_EEDaSZ_S10_SG_SL_EUlSZ_E_NS1_11comp_targetILNS1_3genE8ELNS1_11target_archE1030ELNS1_3gpuE2ELNS1_3repE0EEENS1_47radix_sort_onesweep_sort_config_static_selectorELNS0_4arch9wavefront6targetE1EEEvSG_
	.globl	_ZN7rocprim17ROCPRIM_400000_NS6detail17trampoline_kernelINS0_14default_configENS1_35radix_sort_onesweep_config_selectorIslEEZZNS1_29radix_sort_onesweep_iterationIS3_Lb0EPsS7_N6thrust23THRUST_200600_302600_NS10device_ptrIlEESB_jNS0_19identity_decomposerENS1_16block_id_wrapperIjLb1EEEEE10hipError_tT1_PNSt15iterator_traitsISG_E10value_typeET2_T3_PNSH_ISM_E10value_typeET4_T5_PSR_SS_PNS1_23onesweep_lookback_stateEbbT6_jjT7_P12ihipStream_tbENKUlT_T0_SG_SL_E_clIS7_S7_SB_SB_EEDaSZ_S10_SG_SL_EUlSZ_E_NS1_11comp_targetILNS1_3genE8ELNS1_11target_archE1030ELNS1_3gpuE2ELNS1_3repE0EEENS1_47radix_sort_onesweep_sort_config_static_selectorELNS0_4arch9wavefront6targetE1EEEvSG_
	.p2align	8
	.type	_ZN7rocprim17ROCPRIM_400000_NS6detail17trampoline_kernelINS0_14default_configENS1_35radix_sort_onesweep_config_selectorIslEEZZNS1_29radix_sort_onesweep_iterationIS3_Lb0EPsS7_N6thrust23THRUST_200600_302600_NS10device_ptrIlEESB_jNS0_19identity_decomposerENS1_16block_id_wrapperIjLb1EEEEE10hipError_tT1_PNSt15iterator_traitsISG_E10value_typeET2_T3_PNSH_ISM_E10value_typeET4_T5_PSR_SS_PNS1_23onesweep_lookback_stateEbbT6_jjT7_P12ihipStream_tbENKUlT_T0_SG_SL_E_clIS7_S7_SB_SB_EEDaSZ_S10_SG_SL_EUlSZ_E_NS1_11comp_targetILNS1_3genE8ELNS1_11target_archE1030ELNS1_3gpuE2ELNS1_3repE0EEENS1_47radix_sort_onesweep_sort_config_static_selectorELNS0_4arch9wavefront6targetE1EEEvSG_,@function
_ZN7rocprim17ROCPRIM_400000_NS6detail17trampoline_kernelINS0_14default_configENS1_35radix_sort_onesweep_config_selectorIslEEZZNS1_29radix_sort_onesweep_iterationIS3_Lb0EPsS7_N6thrust23THRUST_200600_302600_NS10device_ptrIlEESB_jNS0_19identity_decomposerENS1_16block_id_wrapperIjLb1EEEEE10hipError_tT1_PNSt15iterator_traitsISG_E10value_typeET2_T3_PNSH_ISM_E10value_typeET4_T5_PSR_SS_PNS1_23onesweep_lookback_stateEbbT6_jjT7_P12ihipStream_tbENKUlT_T0_SG_SL_E_clIS7_S7_SB_SB_EEDaSZ_S10_SG_SL_EUlSZ_E_NS1_11comp_targetILNS1_3genE8ELNS1_11target_archE1030ELNS1_3gpuE2ELNS1_3repE0EEENS1_47radix_sort_onesweep_sort_config_static_selectorELNS0_4arch9wavefront6targetE1EEEvSG_: ; @_ZN7rocprim17ROCPRIM_400000_NS6detail17trampoline_kernelINS0_14default_configENS1_35radix_sort_onesweep_config_selectorIslEEZZNS1_29radix_sort_onesweep_iterationIS3_Lb0EPsS7_N6thrust23THRUST_200600_302600_NS10device_ptrIlEESB_jNS0_19identity_decomposerENS1_16block_id_wrapperIjLb1EEEEE10hipError_tT1_PNSt15iterator_traitsISG_E10value_typeET2_T3_PNSH_ISM_E10value_typeET4_T5_PSR_SS_PNS1_23onesweep_lookback_stateEbbT6_jjT7_P12ihipStream_tbENKUlT_T0_SG_SL_E_clIS7_S7_SB_SB_EEDaSZ_S10_SG_SL_EUlSZ_E_NS1_11comp_targetILNS1_3genE8ELNS1_11target_archE1030ELNS1_3gpuE2ELNS1_3repE0EEENS1_47radix_sort_onesweep_sort_config_static_selectorELNS0_4arch9wavefront6targetE1EEEvSG_
; %bb.0:
	.section	.rodata,"a",@progbits
	.p2align	6, 0x0
	.amdhsa_kernel _ZN7rocprim17ROCPRIM_400000_NS6detail17trampoline_kernelINS0_14default_configENS1_35radix_sort_onesweep_config_selectorIslEEZZNS1_29radix_sort_onesweep_iterationIS3_Lb0EPsS7_N6thrust23THRUST_200600_302600_NS10device_ptrIlEESB_jNS0_19identity_decomposerENS1_16block_id_wrapperIjLb1EEEEE10hipError_tT1_PNSt15iterator_traitsISG_E10value_typeET2_T3_PNSH_ISM_E10value_typeET4_T5_PSR_SS_PNS1_23onesweep_lookback_stateEbbT6_jjT7_P12ihipStream_tbENKUlT_T0_SG_SL_E_clIS7_S7_SB_SB_EEDaSZ_S10_SG_SL_EUlSZ_E_NS1_11comp_targetILNS1_3genE8ELNS1_11target_archE1030ELNS1_3gpuE2ELNS1_3repE0EEENS1_47radix_sort_onesweep_sort_config_static_selectorELNS0_4arch9wavefront6targetE1EEEvSG_
		.amdhsa_group_segment_fixed_size 0
		.amdhsa_private_segment_fixed_size 0
		.amdhsa_kernarg_size 88
		.amdhsa_user_sgpr_count 6
		.amdhsa_user_sgpr_private_segment_buffer 1
		.amdhsa_user_sgpr_dispatch_ptr 0
		.amdhsa_user_sgpr_queue_ptr 0
		.amdhsa_user_sgpr_kernarg_segment_ptr 1
		.amdhsa_user_sgpr_dispatch_id 0
		.amdhsa_user_sgpr_flat_scratch_init 0
		.amdhsa_user_sgpr_private_segment_size 0
		.amdhsa_uses_dynamic_stack 0
		.amdhsa_system_sgpr_private_segment_wavefront_offset 0
		.amdhsa_system_sgpr_workgroup_id_x 1
		.amdhsa_system_sgpr_workgroup_id_y 0
		.amdhsa_system_sgpr_workgroup_id_z 0
		.amdhsa_system_sgpr_workgroup_info 0
		.amdhsa_system_vgpr_workitem_id 0
		.amdhsa_next_free_vgpr 1
		.amdhsa_next_free_sgpr 0
		.amdhsa_reserve_vcc 0
		.amdhsa_reserve_flat_scratch 0
		.amdhsa_float_round_mode_32 0
		.amdhsa_float_round_mode_16_64 0
		.amdhsa_float_denorm_mode_32 3
		.amdhsa_float_denorm_mode_16_64 3
		.amdhsa_dx10_clamp 1
		.amdhsa_ieee_mode 1
		.amdhsa_fp16_overflow 0
		.amdhsa_exception_fp_ieee_invalid_op 0
		.amdhsa_exception_fp_denorm_src 0
		.amdhsa_exception_fp_ieee_div_zero 0
		.amdhsa_exception_fp_ieee_overflow 0
		.amdhsa_exception_fp_ieee_underflow 0
		.amdhsa_exception_fp_ieee_inexact 0
		.amdhsa_exception_int_div_zero 0
	.end_amdhsa_kernel
	.section	.text._ZN7rocprim17ROCPRIM_400000_NS6detail17trampoline_kernelINS0_14default_configENS1_35radix_sort_onesweep_config_selectorIslEEZZNS1_29radix_sort_onesweep_iterationIS3_Lb0EPsS7_N6thrust23THRUST_200600_302600_NS10device_ptrIlEESB_jNS0_19identity_decomposerENS1_16block_id_wrapperIjLb1EEEEE10hipError_tT1_PNSt15iterator_traitsISG_E10value_typeET2_T3_PNSH_ISM_E10value_typeET4_T5_PSR_SS_PNS1_23onesweep_lookback_stateEbbT6_jjT7_P12ihipStream_tbENKUlT_T0_SG_SL_E_clIS7_S7_SB_SB_EEDaSZ_S10_SG_SL_EUlSZ_E_NS1_11comp_targetILNS1_3genE8ELNS1_11target_archE1030ELNS1_3gpuE2ELNS1_3repE0EEENS1_47radix_sort_onesweep_sort_config_static_selectorELNS0_4arch9wavefront6targetE1EEEvSG_,"axG",@progbits,_ZN7rocprim17ROCPRIM_400000_NS6detail17trampoline_kernelINS0_14default_configENS1_35radix_sort_onesweep_config_selectorIslEEZZNS1_29radix_sort_onesweep_iterationIS3_Lb0EPsS7_N6thrust23THRUST_200600_302600_NS10device_ptrIlEESB_jNS0_19identity_decomposerENS1_16block_id_wrapperIjLb1EEEEE10hipError_tT1_PNSt15iterator_traitsISG_E10value_typeET2_T3_PNSH_ISM_E10value_typeET4_T5_PSR_SS_PNS1_23onesweep_lookback_stateEbbT6_jjT7_P12ihipStream_tbENKUlT_T0_SG_SL_E_clIS7_S7_SB_SB_EEDaSZ_S10_SG_SL_EUlSZ_E_NS1_11comp_targetILNS1_3genE8ELNS1_11target_archE1030ELNS1_3gpuE2ELNS1_3repE0EEENS1_47radix_sort_onesweep_sort_config_static_selectorELNS0_4arch9wavefront6targetE1EEEvSG_,comdat
.Lfunc_end1406:
	.size	_ZN7rocprim17ROCPRIM_400000_NS6detail17trampoline_kernelINS0_14default_configENS1_35radix_sort_onesweep_config_selectorIslEEZZNS1_29radix_sort_onesweep_iterationIS3_Lb0EPsS7_N6thrust23THRUST_200600_302600_NS10device_ptrIlEESB_jNS0_19identity_decomposerENS1_16block_id_wrapperIjLb1EEEEE10hipError_tT1_PNSt15iterator_traitsISG_E10value_typeET2_T3_PNSH_ISM_E10value_typeET4_T5_PSR_SS_PNS1_23onesweep_lookback_stateEbbT6_jjT7_P12ihipStream_tbENKUlT_T0_SG_SL_E_clIS7_S7_SB_SB_EEDaSZ_S10_SG_SL_EUlSZ_E_NS1_11comp_targetILNS1_3genE8ELNS1_11target_archE1030ELNS1_3gpuE2ELNS1_3repE0EEENS1_47radix_sort_onesweep_sort_config_static_selectorELNS0_4arch9wavefront6targetE1EEEvSG_, .Lfunc_end1406-_ZN7rocprim17ROCPRIM_400000_NS6detail17trampoline_kernelINS0_14default_configENS1_35radix_sort_onesweep_config_selectorIslEEZZNS1_29radix_sort_onesweep_iterationIS3_Lb0EPsS7_N6thrust23THRUST_200600_302600_NS10device_ptrIlEESB_jNS0_19identity_decomposerENS1_16block_id_wrapperIjLb1EEEEE10hipError_tT1_PNSt15iterator_traitsISG_E10value_typeET2_T3_PNSH_ISM_E10value_typeET4_T5_PSR_SS_PNS1_23onesweep_lookback_stateEbbT6_jjT7_P12ihipStream_tbENKUlT_T0_SG_SL_E_clIS7_S7_SB_SB_EEDaSZ_S10_SG_SL_EUlSZ_E_NS1_11comp_targetILNS1_3genE8ELNS1_11target_archE1030ELNS1_3gpuE2ELNS1_3repE0EEENS1_47radix_sort_onesweep_sort_config_static_selectorELNS0_4arch9wavefront6targetE1EEEvSG_
                                        ; -- End function
	.set _ZN7rocprim17ROCPRIM_400000_NS6detail17trampoline_kernelINS0_14default_configENS1_35radix_sort_onesweep_config_selectorIslEEZZNS1_29radix_sort_onesweep_iterationIS3_Lb0EPsS7_N6thrust23THRUST_200600_302600_NS10device_ptrIlEESB_jNS0_19identity_decomposerENS1_16block_id_wrapperIjLb1EEEEE10hipError_tT1_PNSt15iterator_traitsISG_E10value_typeET2_T3_PNSH_ISM_E10value_typeET4_T5_PSR_SS_PNS1_23onesweep_lookback_stateEbbT6_jjT7_P12ihipStream_tbENKUlT_T0_SG_SL_E_clIS7_S7_SB_SB_EEDaSZ_S10_SG_SL_EUlSZ_E_NS1_11comp_targetILNS1_3genE8ELNS1_11target_archE1030ELNS1_3gpuE2ELNS1_3repE0EEENS1_47radix_sort_onesweep_sort_config_static_selectorELNS0_4arch9wavefront6targetE1EEEvSG_.num_vgpr, 0
	.set _ZN7rocprim17ROCPRIM_400000_NS6detail17trampoline_kernelINS0_14default_configENS1_35radix_sort_onesweep_config_selectorIslEEZZNS1_29radix_sort_onesweep_iterationIS3_Lb0EPsS7_N6thrust23THRUST_200600_302600_NS10device_ptrIlEESB_jNS0_19identity_decomposerENS1_16block_id_wrapperIjLb1EEEEE10hipError_tT1_PNSt15iterator_traitsISG_E10value_typeET2_T3_PNSH_ISM_E10value_typeET4_T5_PSR_SS_PNS1_23onesweep_lookback_stateEbbT6_jjT7_P12ihipStream_tbENKUlT_T0_SG_SL_E_clIS7_S7_SB_SB_EEDaSZ_S10_SG_SL_EUlSZ_E_NS1_11comp_targetILNS1_3genE8ELNS1_11target_archE1030ELNS1_3gpuE2ELNS1_3repE0EEENS1_47radix_sort_onesweep_sort_config_static_selectorELNS0_4arch9wavefront6targetE1EEEvSG_.num_agpr, 0
	.set _ZN7rocprim17ROCPRIM_400000_NS6detail17trampoline_kernelINS0_14default_configENS1_35radix_sort_onesweep_config_selectorIslEEZZNS1_29radix_sort_onesweep_iterationIS3_Lb0EPsS7_N6thrust23THRUST_200600_302600_NS10device_ptrIlEESB_jNS0_19identity_decomposerENS1_16block_id_wrapperIjLb1EEEEE10hipError_tT1_PNSt15iterator_traitsISG_E10value_typeET2_T3_PNSH_ISM_E10value_typeET4_T5_PSR_SS_PNS1_23onesweep_lookback_stateEbbT6_jjT7_P12ihipStream_tbENKUlT_T0_SG_SL_E_clIS7_S7_SB_SB_EEDaSZ_S10_SG_SL_EUlSZ_E_NS1_11comp_targetILNS1_3genE8ELNS1_11target_archE1030ELNS1_3gpuE2ELNS1_3repE0EEENS1_47radix_sort_onesweep_sort_config_static_selectorELNS0_4arch9wavefront6targetE1EEEvSG_.numbered_sgpr, 0
	.set _ZN7rocprim17ROCPRIM_400000_NS6detail17trampoline_kernelINS0_14default_configENS1_35radix_sort_onesweep_config_selectorIslEEZZNS1_29radix_sort_onesweep_iterationIS3_Lb0EPsS7_N6thrust23THRUST_200600_302600_NS10device_ptrIlEESB_jNS0_19identity_decomposerENS1_16block_id_wrapperIjLb1EEEEE10hipError_tT1_PNSt15iterator_traitsISG_E10value_typeET2_T3_PNSH_ISM_E10value_typeET4_T5_PSR_SS_PNS1_23onesweep_lookback_stateEbbT6_jjT7_P12ihipStream_tbENKUlT_T0_SG_SL_E_clIS7_S7_SB_SB_EEDaSZ_S10_SG_SL_EUlSZ_E_NS1_11comp_targetILNS1_3genE8ELNS1_11target_archE1030ELNS1_3gpuE2ELNS1_3repE0EEENS1_47radix_sort_onesweep_sort_config_static_selectorELNS0_4arch9wavefront6targetE1EEEvSG_.num_named_barrier, 0
	.set _ZN7rocprim17ROCPRIM_400000_NS6detail17trampoline_kernelINS0_14default_configENS1_35radix_sort_onesweep_config_selectorIslEEZZNS1_29radix_sort_onesweep_iterationIS3_Lb0EPsS7_N6thrust23THRUST_200600_302600_NS10device_ptrIlEESB_jNS0_19identity_decomposerENS1_16block_id_wrapperIjLb1EEEEE10hipError_tT1_PNSt15iterator_traitsISG_E10value_typeET2_T3_PNSH_ISM_E10value_typeET4_T5_PSR_SS_PNS1_23onesweep_lookback_stateEbbT6_jjT7_P12ihipStream_tbENKUlT_T0_SG_SL_E_clIS7_S7_SB_SB_EEDaSZ_S10_SG_SL_EUlSZ_E_NS1_11comp_targetILNS1_3genE8ELNS1_11target_archE1030ELNS1_3gpuE2ELNS1_3repE0EEENS1_47radix_sort_onesweep_sort_config_static_selectorELNS0_4arch9wavefront6targetE1EEEvSG_.private_seg_size, 0
	.set _ZN7rocprim17ROCPRIM_400000_NS6detail17trampoline_kernelINS0_14default_configENS1_35radix_sort_onesweep_config_selectorIslEEZZNS1_29radix_sort_onesweep_iterationIS3_Lb0EPsS7_N6thrust23THRUST_200600_302600_NS10device_ptrIlEESB_jNS0_19identity_decomposerENS1_16block_id_wrapperIjLb1EEEEE10hipError_tT1_PNSt15iterator_traitsISG_E10value_typeET2_T3_PNSH_ISM_E10value_typeET4_T5_PSR_SS_PNS1_23onesweep_lookback_stateEbbT6_jjT7_P12ihipStream_tbENKUlT_T0_SG_SL_E_clIS7_S7_SB_SB_EEDaSZ_S10_SG_SL_EUlSZ_E_NS1_11comp_targetILNS1_3genE8ELNS1_11target_archE1030ELNS1_3gpuE2ELNS1_3repE0EEENS1_47radix_sort_onesweep_sort_config_static_selectorELNS0_4arch9wavefront6targetE1EEEvSG_.uses_vcc, 0
	.set _ZN7rocprim17ROCPRIM_400000_NS6detail17trampoline_kernelINS0_14default_configENS1_35radix_sort_onesweep_config_selectorIslEEZZNS1_29radix_sort_onesweep_iterationIS3_Lb0EPsS7_N6thrust23THRUST_200600_302600_NS10device_ptrIlEESB_jNS0_19identity_decomposerENS1_16block_id_wrapperIjLb1EEEEE10hipError_tT1_PNSt15iterator_traitsISG_E10value_typeET2_T3_PNSH_ISM_E10value_typeET4_T5_PSR_SS_PNS1_23onesweep_lookback_stateEbbT6_jjT7_P12ihipStream_tbENKUlT_T0_SG_SL_E_clIS7_S7_SB_SB_EEDaSZ_S10_SG_SL_EUlSZ_E_NS1_11comp_targetILNS1_3genE8ELNS1_11target_archE1030ELNS1_3gpuE2ELNS1_3repE0EEENS1_47radix_sort_onesweep_sort_config_static_selectorELNS0_4arch9wavefront6targetE1EEEvSG_.uses_flat_scratch, 0
	.set _ZN7rocprim17ROCPRIM_400000_NS6detail17trampoline_kernelINS0_14default_configENS1_35radix_sort_onesweep_config_selectorIslEEZZNS1_29radix_sort_onesweep_iterationIS3_Lb0EPsS7_N6thrust23THRUST_200600_302600_NS10device_ptrIlEESB_jNS0_19identity_decomposerENS1_16block_id_wrapperIjLb1EEEEE10hipError_tT1_PNSt15iterator_traitsISG_E10value_typeET2_T3_PNSH_ISM_E10value_typeET4_T5_PSR_SS_PNS1_23onesweep_lookback_stateEbbT6_jjT7_P12ihipStream_tbENKUlT_T0_SG_SL_E_clIS7_S7_SB_SB_EEDaSZ_S10_SG_SL_EUlSZ_E_NS1_11comp_targetILNS1_3genE8ELNS1_11target_archE1030ELNS1_3gpuE2ELNS1_3repE0EEENS1_47radix_sort_onesweep_sort_config_static_selectorELNS0_4arch9wavefront6targetE1EEEvSG_.has_dyn_sized_stack, 0
	.set _ZN7rocprim17ROCPRIM_400000_NS6detail17trampoline_kernelINS0_14default_configENS1_35radix_sort_onesweep_config_selectorIslEEZZNS1_29radix_sort_onesweep_iterationIS3_Lb0EPsS7_N6thrust23THRUST_200600_302600_NS10device_ptrIlEESB_jNS0_19identity_decomposerENS1_16block_id_wrapperIjLb1EEEEE10hipError_tT1_PNSt15iterator_traitsISG_E10value_typeET2_T3_PNSH_ISM_E10value_typeET4_T5_PSR_SS_PNS1_23onesweep_lookback_stateEbbT6_jjT7_P12ihipStream_tbENKUlT_T0_SG_SL_E_clIS7_S7_SB_SB_EEDaSZ_S10_SG_SL_EUlSZ_E_NS1_11comp_targetILNS1_3genE8ELNS1_11target_archE1030ELNS1_3gpuE2ELNS1_3repE0EEENS1_47radix_sort_onesweep_sort_config_static_selectorELNS0_4arch9wavefront6targetE1EEEvSG_.has_recursion, 0
	.set _ZN7rocprim17ROCPRIM_400000_NS6detail17trampoline_kernelINS0_14default_configENS1_35radix_sort_onesweep_config_selectorIslEEZZNS1_29radix_sort_onesweep_iterationIS3_Lb0EPsS7_N6thrust23THRUST_200600_302600_NS10device_ptrIlEESB_jNS0_19identity_decomposerENS1_16block_id_wrapperIjLb1EEEEE10hipError_tT1_PNSt15iterator_traitsISG_E10value_typeET2_T3_PNSH_ISM_E10value_typeET4_T5_PSR_SS_PNS1_23onesweep_lookback_stateEbbT6_jjT7_P12ihipStream_tbENKUlT_T0_SG_SL_E_clIS7_S7_SB_SB_EEDaSZ_S10_SG_SL_EUlSZ_E_NS1_11comp_targetILNS1_3genE8ELNS1_11target_archE1030ELNS1_3gpuE2ELNS1_3repE0EEENS1_47radix_sort_onesweep_sort_config_static_selectorELNS0_4arch9wavefront6targetE1EEEvSG_.has_indirect_call, 0
	.section	.AMDGPU.csdata,"",@progbits
; Kernel info:
; codeLenInByte = 0
; TotalNumSgprs: 4
; NumVgprs: 0
; ScratchSize: 0
; MemoryBound: 0
; FloatMode: 240
; IeeeMode: 1
; LDSByteSize: 0 bytes/workgroup (compile time only)
; SGPRBlocks: 0
; VGPRBlocks: 0
; NumSGPRsForWavesPerEU: 4
; NumVGPRsForWavesPerEU: 1
; Occupancy: 10
; WaveLimiterHint : 0
; COMPUTE_PGM_RSRC2:SCRATCH_EN: 0
; COMPUTE_PGM_RSRC2:USER_SGPR: 6
; COMPUTE_PGM_RSRC2:TRAP_HANDLER: 0
; COMPUTE_PGM_RSRC2:TGID_X_EN: 1
; COMPUTE_PGM_RSRC2:TGID_Y_EN: 0
; COMPUTE_PGM_RSRC2:TGID_Z_EN: 0
; COMPUTE_PGM_RSRC2:TIDIG_COMP_CNT: 0
	.section	.text._ZN7rocprim17ROCPRIM_400000_NS6detail17trampoline_kernelINS0_14default_configENS1_35radix_sort_onesweep_config_selectorIslEEZZNS1_29radix_sort_onesweep_iterationIS3_Lb0EPsS7_N6thrust23THRUST_200600_302600_NS10device_ptrIlEESB_jNS0_19identity_decomposerENS1_16block_id_wrapperIjLb1EEEEE10hipError_tT1_PNSt15iterator_traitsISG_E10value_typeET2_T3_PNSH_ISM_E10value_typeET4_T5_PSR_SS_PNS1_23onesweep_lookback_stateEbbT6_jjT7_P12ihipStream_tbENKUlT_T0_SG_SL_E_clIS7_S7_SB_PlEEDaSZ_S10_SG_SL_EUlSZ_E_NS1_11comp_targetILNS1_3genE0ELNS1_11target_archE4294967295ELNS1_3gpuE0ELNS1_3repE0EEENS1_47radix_sort_onesweep_sort_config_static_selectorELNS0_4arch9wavefront6targetE1EEEvSG_,"axG",@progbits,_ZN7rocprim17ROCPRIM_400000_NS6detail17trampoline_kernelINS0_14default_configENS1_35radix_sort_onesweep_config_selectorIslEEZZNS1_29radix_sort_onesweep_iterationIS3_Lb0EPsS7_N6thrust23THRUST_200600_302600_NS10device_ptrIlEESB_jNS0_19identity_decomposerENS1_16block_id_wrapperIjLb1EEEEE10hipError_tT1_PNSt15iterator_traitsISG_E10value_typeET2_T3_PNSH_ISM_E10value_typeET4_T5_PSR_SS_PNS1_23onesweep_lookback_stateEbbT6_jjT7_P12ihipStream_tbENKUlT_T0_SG_SL_E_clIS7_S7_SB_PlEEDaSZ_S10_SG_SL_EUlSZ_E_NS1_11comp_targetILNS1_3genE0ELNS1_11target_archE4294967295ELNS1_3gpuE0ELNS1_3repE0EEENS1_47radix_sort_onesweep_sort_config_static_selectorELNS0_4arch9wavefront6targetE1EEEvSG_,comdat
	.protected	_ZN7rocprim17ROCPRIM_400000_NS6detail17trampoline_kernelINS0_14default_configENS1_35radix_sort_onesweep_config_selectorIslEEZZNS1_29radix_sort_onesweep_iterationIS3_Lb0EPsS7_N6thrust23THRUST_200600_302600_NS10device_ptrIlEESB_jNS0_19identity_decomposerENS1_16block_id_wrapperIjLb1EEEEE10hipError_tT1_PNSt15iterator_traitsISG_E10value_typeET2_T3_PNSH_ISM_E10value_typeET4_T5_PSR_SS_PNS1_23onesweep_lookback_stateEbbT6_jjT7_P12ihipStream_tbENKUlT_T0_SG_SL_E_clIS7_S7_SB_PlEEDaSZ_S10_SG_SL_EUlSZ_E_NS1_11comp_targetILNS1_3genE0ELNS1_11target_archE4294967295ELNS1_3gpuE0ELNS1_3repE0EEENS1_47radix_sort_onesweep_sort_config_static_selectorELNS0_4arch9wavefront6targetE1EEEvSG_ ; -- Begin function _ZN7rocprim17ROCPRIM_400000_NS6detail17trampoline_kernelINS0_14default_configENS1_35radix_sort_onesweep_config_selectorIslEEZZNS1_29radix_sort_onesweep_iterationIS3_Lb0EPsS7_N6thrust23THRUST_200600_302600_NS10device_ptrIlEESB_jNS0_19identity_decomposerENS1_16block_id_wrapperIjLb1EEEEE10hipError_tT1_PNSt15iterator_traitsISG_E10value_typeET2_T3_PNSH_ISM_E10value_typeET4_T5_PSR_SS_PNS1_23onesweep_lookback_stateEbbT6_jjT7_P12ihipStream_tbENKUlT_T0_SG_SL_E_clIS7_S7_SB_PlEEDaSZ_S10_SG_SL_EUlSZ_E_NS1_11comp_targetILNS1_3genE0ELNS1_11target_archE4294967295ELNS1_3gpuE0ELNS1_3repE0EEENS1_47radix_sort_onesweep_sort_config_static_selectorELNS0_4arch9wavefront6targetE1EEEvSG_
	.globl	_ZN7rocprim17ROCPRIM_400000_NS6detail17trampoline_kernelINS0_14default_configENS1_35radix_sort_onesweep_config_selectorIslEEZZNS1_29radix_sort_onesweep_iterationIS3_Lb0EPsS7_N6thrust23THRUST_200600_302600_NS10device_ptrIlEESB_jNS0_19identity_decomposerENS1_16block_id_wrapperIjLb1EEEEE10hipError_tT1_PNSt15iterator_traitsISG_E10value_typeET2_T3_PNSH_ISM_E10value_typeET4_T5_PSR_SS_PNS1_23onesweep_lookback_stateEbbT6_jjT7_P12ihipStream_tbENKUlT_T0_SG_SL_E_clIS7_S7_SB_PlEEDaSZ_S10_SG_SL_EUlSZ_E_NS1_11comp_targetILNS1_3genE0ELNS1_11target_archE4294967295ELNS1_3gpuE0ELNS1_3repE0EEENS1_47radix_sort_onesweep_sort_config_static_selectorELNS0_4arch9wavefront6targetE1EEEvSG_
	.p2align	8
	.type	_ZN7rocprim17ROCPRIM_400000_NS6detail17trampoline_kernelINS0_14default_configENS1_35radix_sort_onesweep_config_selectorIslEEZZNS1_29radix_sort_onesweep_iterationIS3_Lb0EPsS7_N6thrust23THRUST_200600_302600_NS10device_ptrIlEESB_jNS0_19identity_decomposerENS1_16block_id_wrapperIjLb1EEEEE10hipError_tT1_PNSt15iterator_traitsISG_E10value_typeET2_T3_PNSH_ISM_E10value_typeET4_T5_PSR_SS_PNS1_23onesweep_lookback_stateEbbT6_jjT7_P12ihipStream_tbENKUlT_T0_SG_SL_E_clIS7_S7_SB_PlEEDaSZ_S10_SG_SL_EUlSZ_E_NS1_11comp_targetILNS1_3genE0ELNS1_11target_archE4294967295ELNS1_3gpuE0ELNS1_3repE0EEENS1_47radix_sort_onesweep_sort_config_static_selectorELNS0_4arch9wavefront6targetE1EEEvSG_,@function
_ZN7rocprim17ROCPRIM_400000_NS6detail17trampoline_kernelINS0_14default_configENS1_35radix_sort_onesweep_config_selectorIslEEZZNS1_29radix_sort_onesweep_iterationIS3_Lb0EPsS7_N6thrust23THRUST_200600_302600_NS10device_ptrIlEESB_jNS0_19identity_decomposerENS1_16block_id_wrapperIjLb1EEEEE10hipError_tT1_PNSt15iterator_traitsISG_E10value_typeET2_T3_PNSH_ISM_E10value_typeET4_T5_PSR_SS_PNS1_23onesweep_lookback_stateEbbT6_jjT7_P12ihipStream_tbENKUlT_T0_SG_SL_E_clIS7_S7_SB_PlEEDaSZ_S10_SG_SL_EUlSZ_E_NS1_11comp_targetILNS1_3genE0ELNS1_11target_archE4294967295ELNS1_3gpuE0ELNS1_3repE0EEENS1_47radix_sort_onesweep_sort_config_static_selectorELNS0_4arch9wavefront6targetE1EEEvSG_: ; @_ZN7rocprim17ROCPRIM_400000_NS6detail17trampoline_kernelINS0_14default_configENS1_35radix_sort_onesweep_config_selectorIslEEZZNS1_29radix_sort_onesweep_iterationIS3_Lb0EPsS7_N6thrust23THRUST_200600_302600_NS10device_ptrIlEESB_jNS0_19identity_decomposerENS1_16block_id_wrapperIjLb1EEEEE10hipError_tT1_PNSt15iterator_traitsISG_E10value_typeET2_T3_PNSH_ISM_E10value_typeET4_T5_PSR_SS_PNS1_23onesweep_lookback_stateEbbT6_jjT7_P12ihipStream_tbENKUlT_T0_SG_SL_E_clIS7_S7_SB_PlEEDaSZ_S10_SG_SL_EUlSZ_E_NS1_11comp_targetILNS1_3genE0ELNS1_11target_archE4294967295ELNS1_3gpuE0ELNS1_3repE0EEENS1_47radix_sort_onesweep_sort_config_static_selectorELNS0_4arch9wavefront6targetE1EEEvSG_
; %bb.0:
	.section	.rodata,"a",@progbits
	.p2align	6, 0x0
	.amdhsa_kernel _ZN7rocprim17ROCPRIM_400000_NS6detail17trampoline_kernelINS0_14default_configENS1_35radix_sort_onesweep_config_selectorIslEEZZNS1_29radix_sort_onesweep_iterationIS3_Lb0EPsS7_N6thrust23THRUST_200600_302600_NS10device_ptrIlEESB_jNS0_19identity_decomposerENS1_16block_id_wrapperIjLb1EEEEE10hipError_tT1_PNSt15iterator_traitsISG_E10value_typeET2_T3_PNSH_ISM_E10value_typeET4_T5_PSR_SS_PNS1_23onesweep_lookback_stateEbbT6_jjT7_P12ihipStream_tbENKUlT_T0_SG_SL_E_clIS7_S7_SB_PlEEDaSZ_S10_SG_SL_EUlSZ_E_NS1_11comp_targetILNS1_3genE0ELNS1_11target_archE4294967295ELNS1_3gpuE0ELNS1_3repE0EEENS1_47radix_sort_onesweep_sort_config_static_selectorELNS0_4arch9wavefront6targetE1EEEvSG_
		.amdhsa_group_segment_fixed_size 0
		.amdhsa_private_segment_fixed_size 0
		.amdhsa_kernarg_size 88
		.amdhsa_user_sgpr_count 6
		.amdhsa_user_sgpr_private_segment_buffer 1
		.amdhsa_user_sgpr_dispatch_ptr 0
		.amdhsa_user_sgpr_queue_ptr 0
		.amdhsa_user_sgpr_kernarg_segment_ptr 1
		.amdhsa_user_sgpr_dispatch_id 0
		.amdhsa_user_sgpr_flat_scratch_init 0
		.amdhsa_user_sgpr_private_segment_size 0
		.amdhsa_uses_dynamic_stack 0
		.amdhsa_system_sgpr_private_segment_wavefront_offset 0
		.amdhsa_system_sgpr_workgroup_id_x 1
		.amdhsa_system_sgpr_workgroup_id_y 0
		.amdhsa_system_sgpr_workgroup_id_z 0
		.amdhsa_system_sgpr_workgroup_info 0
		.amdhsa_system_vgpr_workitem_id 0
		.amdhsa_next_free_vgpr 1
		.amdhsa_next_free_sgpr 0
		.amdhsa_reserve_vcc 0
		.amdhsa_reserve_flat_scratch 0
		.amdhsa_float_round_mode_32 0
		.amdhsa_float_round_mode_16_64 0
		.amdhsa_float_denorm_mode_32 3
		.amdhsa_float_denorm_mode_16_64 3
		.amdhsa_dx10_clamp 1
		.amdhsa_ieee_mode 1
		.amdhsa_fp16_overflow 0
		.amdhsa_exception_fp_ieee_invalid_op 0
		.amdhsa_exception_fp_denorm_src 0
		.amdhsa_exception_fp_ieee_div_zero 0
		.amdhsa_exception_fp_ieee_overflow 0
		.amdhsa_exception_fp_ieee_underflow 0
		.amdhsa_exception_fp_ieee_inexact 0
		.amdhsa_exception_int_div_zero 0
	.end_amdhsa_kernel
	.section	.text._ZN7rocprim17ROCPRIM_400000_NS6detail17trampoline_kernelINS0_14default_configENS1_35radix_sort_onesweep_config_selectorIslEEZZNS1_29radix_sort_onesweep_iterationIS3_Lb0EPsS7_N6thrust23THRUST_200600_302600_NS10device_ptrIlEESB_jNS0_19identity_decomposerENS1_16block_id_wrapperIjLb1EEEEE10hipError_tT1_PNSt15iterator_traitsISG_E10value_typeET2_T3_PNSH_ISM_E10value_typeET4_T5_PSR_SS_PNS1_23onesweep_lookback_stateEbbT6_jjT7_P12ihipStream_tbENKUlT_T0_SG_SL_E_clIS7_S7_SB_PlEEDaSZ_S10_SG_SL_EUlSZ_E_NS1_11comp_targetILNS1_3genE0ELNS1_11target_archE4294967295ELNS1_3gpuE0ELNS1_3repE0EEENS1_47radix_sort_onesweep_sort_config_static_selectorELNS0_4arch9wavefront6targetE1EEEvSG_,"axG",@progbits,_ZN7rocprim17ROCPRIM_400000_NS6detail17trampoline_kernelINS0_14default_configENS1_35radix_sort_onesweep_config_selectorIslEEZZNS1_29radix_sort_onesweep_iterationIS3_Lb0EPsS7_N6thrust23THRUST_200600_302600_NS10device_ptrIlEESB_jNS0_19identity_decomposerENS1_16block_id_wrapperIjLb1EEEEE10hipError_tT1_PNSt15iterator_traitsISG_E10value_typeET2_T3_PNSH_ISM_E10value_typeET4_T5_PSR_SS_PNS1_23onesweep_lookback_stateEbbT6_jjT7_P12ihipStream_tbENKUlT_T0_SG_SL_E_clIS7_S7_SB_PlEEDaSZ_S10_SG_SL_EUlSZ_E_NS1_11comp_targetILNS1_3genE0ELNS1_11target_archE4294967295ELNS1_3gpuE0ELNS1_3repE0EEENS1_47radix_sort_onesweep_sort_config_static_selectorELNS0_4arch9wavefront6targetE1EEEvSG_,comdat
.Lfunc_end1407:
	.size	_ZN7rocprim17ROCPRIM_400000_NS6detail17trampoline_kernelINS0_14default_configENS1_35radix_sort_onesweep_config_selectorIslEEZZNS1_29radix_sort_onesweep_iterationIS3_Lb0EPsS7_N6thrust23THRUST_200600_302600_NS10device_ptrIlEESB_jNS0_19identity_decomposerENS1_16block_id_wrapperIjLb1EEEEE10hipError_tT1_PNSt15iterator_traitsISG_E10value_typeET2_T3_PNSH_ISM_E10value_typeET4_T5_PSR_SS_PNS1_23onesweep_lookback_stateEbbT6_jjT7_P12ihipStream_tbENKUlT_T0_SG_SL_E_clIS7_S7_SB_PlEEDaSZ_S10_SG_SL_EUlSZ_E_NS1_11comp_targetILNS1_3genE0ELNS1_11target_archE4294967295ELNS1_3gpuE0ELNS1_3repE0EEENS1_47radix_sort_onesweep_sort_config_static_selectorELNS0_4arch9wavefront6targetE1EEEvSG_, .Lfunc_end1407-_ZN7rocprim17ROCPRIM_400000_NS6detail17trampoline_kernelINS0_14default_configENS1_35radix_sort_onesweep_config_selectorIslEEZZNS1_29radix_sort_onesweep_iterationIS3_Lb0EPsS7_N6thrust23THRUST_200600_302600_NS10device_ptrIlEESB_jNS0_19identity_decomposerENS1_16block_id_wrapperIjLb1EEEEE10hipError_tT1_PNSt15iterator_traitsISG_E10value_typeET2_T3_PNSH_ISM_E10value_typeET4_T5_PSR_SS_PNS1_23onesweep_lookback_stateEbbT6_jjT7_P12ihipStream_tbENKUlT_T0_SG_SL_E_clIS7_S7_SB_PlEEDaSZ_S10_SG_SL_EUlSZ_E_NS1_11comp_targetILNS1_3genE0ELNS1_11target_archE4294967295ELNS1_3gpuE0ELNS1_3repE0EEENS1_47radix_sort_onesweep_sort_config_static_selectorELNS0_4arch9wavefront6targetE1EEEvSG_
                                        ; -- End function
	.set _ZN7rocprim17ROCPRIM_400000_NS6detail17trampoline_kernelINS0_14default_configENS1_35radix_sort_onesweep_config_selectorIslEEZZNS1_29radix_sort_onesweep_iterationIS3_Lb0EPsS7_N6thrust23THRUST_200600_302600_NS10device_ptrIlEESB_jNS0_19identity_decomposerENS1_16block_id_wrapperIjLb1EEEEE10hipError_tT1_PNSt15iterator_traitsISG_E10value_typeET2_T3_PNSH_ISM_E10value_typeET4_T5_PSR_SS_PNS1_23onesweep_lookback_stateEbbT6_jjT7_P12ihipStream_tbENKUlT_T0_SG_SL_E_clIS7_S7_SB_PlEEDaSZ_S10_SG_SL_EUlSZ_E_NS1_11comp_targetILNS1_3genE0ELNS1_11target_archE4294967295ELNS1_3gpuE0ELNS1_3repE0EEENS1_47radix_sort_onesweep_sort_config_static_selectorELNS0_4arch9wavefront6targetE1EEEvSG_.num_vgpr, 0
	.set _ZN7rocprim17ROCPRIM_400000_NS6detail17trampoline_kernelINS0_14default_configENS1_35radix_sort_onesweep_config_selectorIslEEZZNS1_29radix_sort_onesweep_iterationIS3_Lb0EPsS7_N6thrust23THRUST_200600_302600_NS10device_ptrIlEESB_jNS0_19identity_decomposerENS1_16block_id_wrapperIjLb1EEEEE10hipError_tT1_PNSt15iterator_traitsISG_E10value_typeET2_T3_PNSH_ISM_E10value_typeET4_T5_PSR_SS_PNS1_23onesweep_lookback_stateEbbT6_jjT7_P12ihipStream_tbENKUlT_T0_SG_SL_E_clIS7_S7_SB_PlEEDaSZ_S10_SG_SL_EUlSZ_E_NS1_11comp_targetILNS1_3genE0ELNS1_11target_archE4294967295ELNS1_3gpuE0ELNS1_3repE0EEENS1_47radix_sort_onesweep_sort_config_static_selectorELNS0_4arch9wavefront6targetE1EEEvSG_.num_agpr, 0
	.set _ZN7rocprim17ROCPRIM_400000_NS6detail17trampoline_kernelINS0_14default_configENS1_35radix_sort_onesweep_config_selectorIslEEZZNS1_29radix_sort_onesweep_iterationIS3_Lb0EPsS7_N6thrust23THRUST_200600_302600_NS10device_ptrIlEESB_jNS0_19identity_decomposerENS1_16block_id_wrapperIjLb1EEEEE10hipError_tT1_PNSt15iterator_traitsISG_E10value_typeET2_T3_PNSH_ISM_E10value_typeET4_T5_PSR_SS_PNS1_23onesweep_lookback_stateEbbT6_jjT7_P12ihipStream_tbENKUlT_T0_SG_SL_E_clIS7_S7_SB_PlEEDaSZ_S10_SG_SL_EUlSZ_E_NS1_11comp_targetILNS1_3genE0ELNS1_11target_archE4294967295ELNS1_3gpuE0ELNS1_3repE0EEENS1_47radix_sort_onesweep_sort_config_static_selectorELNS0_4arch9wavefront6targetE1EEEvSG_.numbered_sgpr, 0
	.set _ZN7rocprim17ROCPRIM_400000_NS6detail17trampoline_kernelINS0_14default_configENS1_35radix_sort_onesweep_config_selectorIslEEZZNS1_29radix_sort_onesweep_iterationIS3_Lb0EPsS7_N6thrust23THRUST_200600_302600_NS10device_ptrIlEESB_jNS0_19identity_decomposerENS1_16block_id_wrapperIjLb1EEEEE10hipError_tT1_PNSt15iterator_traitsISG_E10value_typeET2_T3_PNSH_ISM_E10value_typeET4_T5_PSR_SS_PNS1_23onesweep_lookback_stateEbbT6_jjT7_P12ihipStream_tbENKUlT_T0_SG_SL_E_clIS7_S7_SB_PlEEDaSZ_S10_SG_SL_EUlSZ_E_NS1_11comp_targetILNS1_3genE0ELNS1_11target_archE4294967295ELNS1_3gpuE0ELNS1_3repE0EEENS1_47radix_sort_onesweep_sort_config_static_selectorELNS0_4arch9wavefront6targetE1EEEvSG_.num_named_barrier, 0
	.set _ZN7rocprim17ROCPRIM_400000_NS6detail17trampoline_kernelINS0_14default_configENS1_35radix_sort_onesweep_config_selectorIslEEZZNS1_29radix_sort_onesweep_iterationIS3_Lb0EPsS7_N6thrust23THRUST_200600_302600_NS10device_ptrIlEESB_jNS0_19identity_decomposerENS1_16block_id_wrapperIjLb1EEEEE10hipError_tT1_PNSt15iterator_traitsISG_E10value_typeET2_T3_PNSH_ISM_E10value_typeET4_T5_PSR_SS_PNS1_23onesweep_lookback_stateEbbT6_jjT7_P12ihipStream_tbENKUlT_T0_SG_SL_E_clIS7_S7_SB_PlEEDaSZ_S10_SG_SL_EUlSZ_E_NS1_11comp_targetILNS1_3genE0ELNS1_11target_archE4294967295ELNS1_3gpuE0ELNS1_3repE0EEENS1_47radix_sort_onesweep_sort_config_static_selectorELNS0_4arch9wavefront6targetE1EEEvSG_.private_seg_size, 0
	.set _ZN7rocprim17ROCPRIM_400000_NS6detail17trampoline_kernelINS0_14default_configENS1_35radix_sort_onesweep_config_selectorIslEEZZNS1_29radix_sort_onesweep_iterationIS3_Lb0EPsS7_N6thrust23THRUST_200600_302600_NS10device_ptrIlEESB_jNS0_19identity_decomposerENS1_16block_id_wrapperIjLb1EEEEE10hipError_tT1_PNSt15iterator_traitsISG_E10value_typeET2_T3_PNSH_ISM_E10value_typeET4_T5_PSR_SS_PNS1_23onesweep_lookback_stateEbbT6_jjT7_P12ihipStream_tbENKUlT_T0_SG_SL_E_clIS7_S7_SB_PlEEDaSZ_S10_SG_SL_EUlSZ_E_NS1_11comp_targetILNS1_3genE0ELNS1_11target_archE4294967295ELNS1_3gpuE0ELNS1_3repE0EEENS1_47radix_sort_onesweep_sort_config_static_selectorELNS0_4arch9wavefront6targetE1EEEvSG_.uses_vcc, 0
	.set _ZN7rocprim17ROCPRIM_400000_NS6detail17trampoline_kernelINS0_14default_configENS1_35radix_sort_onesweep_config_selectorIslEEZZNS1_29radix_sort_onesweep_iterationIS3_Lb0EPsS7_N6thrust23THRUST_200600_302600_NS10device_ptrIlEESB_jNS0_19identity_decomposerENS1_16block_id_wrapperIjLb1EEEEE10hipError_tT1_PNSt15iterator_traitsISG_E10value_typeET2_T3_PNSH_ISM_E10value_typeET4_T5_PSR_SS_PNS1_23onesweep_lookback_stateEbbT6_jjT7_P12ihipStream_tbENKUlT_T0_SG_SL_E_clIS7_S7_SB_PlEEDaSZ_S10_SG_SL_EUlSZ_E_NS1_11comp_targetILNS1_3genE0ELNS1_11target_archE4294967295ELNS1_3gpuE0ELNS1_3repE0EEENS1_47radix_sort_onesweep_sort_config_static_selectorELNS0_4arch9wavefront6targetE1EEEvSG_.uses_flat_scratch, 0
	.set _ZN7rocprim17ROCPRIM_400000_NS6detail17trampoline_kernelINS0_14default_configENS1_35radix_sort_onesweep_config_selectorIslEEZZNS1_29radix_sort_onesweep_iterationIS3_Lb0EPsS7_N6thrust23THRUST_200600_302600_NS10device_ptrIlEESB_jNS0_19identity_decomposerENS1_16block_id_wrapperIjLb1EEEEE10hipError_tT1_PNSt15iterator_traitsISG_E10value_typeET2_T3_PNSH_ISM_E10value_typeET4_T5_PSR_SS_PNS1_23onesweep_lookback_stateEbbT6_jjT7_P12ihipStream_tbENKUlT_T0_SG_SL_E_clIS7_S7_SB_PlEEDaSZ_S10_SG_SL_EUlSZ_E_NS1_11comp_targetILNS1_3genE0ELNS1_11target_archE4294967295ELNS1_3gpuE0ELNS1_3repE0EEENS1_47radix_sort_onesweep_sort_config_static_selectorELNS0_4arch9wavefront6targetE1EEEvSG_.has_dyn_sized_stack, 0
	.set _ZN7rocprim17ROCPRIM_400000_NS6detail17trampoline_kernelINS0_14default_configENS1_35radix_sort_onesweep_config_selectorIslEEZZNS1_29radix_sort_onesweep_iterationIS3_Lb0EPsS7_N6thrust23THRUST_200600_302600_NS10device_ptrIlEESB_jNS0_19identity_decomposerENS1_16block_id_wrapperIjLb1EEEEE10hipError_tT1_PNSt15iterator_traitsISG_E10value_typeET2_T3_PNSH_ISM_E10value_typeET4_T5_PSR_SS_PNS1_23onesweep_lookback_stateEbbT6_jjT7_P12ihipStream_tbENKUlT_T0_SG_SL_E_clIS7_S7_SB_PlEEDaSZ_S10_SG_SL_EUlSZ_E_NS1_11comp_targetILNS1_3genE0ELNS1_11target_archE4294967295ELNS1_3gpuE0ELNS1_3repE0EEENS1_47radix_sort_onesweep_sort_config_static_selectorELNS0_4arch9wavefront6targetE1EEEvSG_.has_recursion, 0
	.set _ZN7rocprim17ROCPRIM_400000_NS6detail17trampoline_kernelINS0_14default_configENS1_35radix_sort_onesweep_config_selectorIslEEZZNS1_29radix_sort_onesweep_iterationIS3_Lb0EPsS7_N6thrust23THRUST_200600_302600_NS10device_ptrIlEESB_jNS0_19identity_decomposerENS1_16block_id_wrapperIjLb1EEEEE10hipError_tT1_PNSt15iterator_traitsISG_E10value_typeET2_T3_PNSH_ISM_E10value_typeET4_T5_PSR_SS_PNS1_23onesweep_lookback_stateEbbT6_jjT7_P12ihipStream_tbENKUlT_T0_SG_SL_E_clIS7_S7_SB_PlEEDaSZ_S10_SG_SL_EUlSZ_E_NS1_11comp_targetILNS1_3genE0ELNS1_11target_archE4294967295ELNS1_3gpuE0ELNS1_3repE0EEENS1_47radix_sort_onesweep_sort_config_static_selectorELNS0_4arch9wavefront6targetE1EEEvSG_.has_indirect_call, 0
	.section	.AMDGPU.csdata,"",@progbits
; Kernel info:
; codeLenInByte = 0
; TotalNumSgprs: 4
; NumVgprs: 0
; ScratchSize: 0
; MemoryBound: 0
; FloatMode: 240
; IeeeMode: 1
; LDSByteSize: 0 bytes/workgroup (compile time only)
; SGPRBlocks: 0
; VGPRBlocks: 0
; NumSGPRsForWavesPerEU: 4
; NumVGPRsForWavesPerEU: 1
; Occupancy: 10
; WaveLimiterHint : 0
; COMPUTE_PGM_RSRC2:SCRATCH_EN: 0
; COMPUTE_PGM_RSRC2:USER_SGPR: 6
; COMPUTE_PGM_RSRC2:TRAP_HANDLER: 0
; COMPUTE_PGM_RSRC2:TGID_X_EN: 1
; COMPUTE_PGM_RSRC2:TGID_Y_EN: 0
; COMPUTE_PGM_RSRC2:TGID_Z_EN: 0
; COMPUTE_PGM_RSRC2:TIDIG_COMP_CNT: 0
	.section	.text._ZN7rocprim17ROCPRIM_400000_NS6detail17trampoline_kernelINS0_14default_configENS1_35radix_sort_onesweep_config_selectorIslEEZZNS1_29radix_sort_onesweep_iterationIS3_Lb0EPsS7_N6thrust23THRUST_200600_302600_NS10device_ptrIlEESB_jNS0_19identity_decomposerENS1_16block_id_wrapperIjLb1EEEEE10hipError_tT1_PNSt15iterator_traitsISG_E10value_typeET2_T3_PNSH_ISM_E10value_typeET4_T5_PSR_SS_PNS1_23onesweep_lookback_stateEbbT6_jjT7_P12ihipStream_tbENKUlT_T0_SG_SL_E_clIS7_S7_SB_PlEEDaSZ_S10_SG_SL_EUlSZ_E_NS1_11comp_targetILNS1_3genE6ELNS1_11target_archE950ELNS1_3gpuE13ELNS1_3repE0EEENS1_47radix_sort_onesweep_sort_config_static_selectorELNS0_4arch9wavefront6targetE1EEEvSG_,"axG",@progbits,_ZN7rocprim17ROCPRIM_400000_NS6detail17trampoline_kernelINS0_14default_configENS1_35radix_sort_onesweep_config_selectorIslEEZZNS1_29radix_sort_onesweep_iterationIS3_Lb0EPsS7_N6thrust23THRUST_200600_302600_NS10device_ptrIlEESB_jNS0_19identity_decomposerENS1_16block_id_wrapperIjLb1EEEEE10hipError_tT1_PNSt15iterator_traitsISG_E10value_typeET2_T3_PNSH_ISM_E10value_typeET4_T5_PSR_SS_PNS1_23onesweep_lookback_stateEbbT6_jjT7_P12ihipStream_tbENKUlT_T0_SG_SL_E_clIS7_S7_SB_PlEEDaSZ_S10_SG_SL_EUlSZ_E_NS1_11comp_targetILNS1_3genE6ELNS1_11target_archE950ELNS1_3gpuE13ELNS1_3repE0EEENS1_47radix_sort_onesweep_sort_config_static_selectorELNS0_4arch9wavefront6targetE1EEEvSG_,comdat
	.protected	_ZN7rocprim17ROCPRIM_400000_NS6detail17trampoline_kernelINS0_14default_configENS1_35radix_sort_onesweep_config_selectorIslEEZZNS1_29radix_sort_onesweep_iterationIS3_Lb0EPsS7_N6thrust23THRUST_200600_302600_NS10device_ptrIlEESB_jNS0_19identity_decomposerENS1_16block_id_wrapperIjLb1EEEEE10hipError_tT1_PNSt15iterator_traitsISG_E10value_typeET2_T3_PNSH_ISM_E10value_typeET4_T5_PSR_SS_PNS1_23onesweep_lookback_stateEbbT6_jjT7_P12ihipStream_tbENKUlT_T0_SG_SL_E_clIS7_S7_SB_PlEEDaSZ_S10_SG_SL_EUlSZ_E_NS1_11comp_targetILNS1_3genE6ELNS1_11target_archE950ELNS1_3gpuE13ELNS1_3repE0EEENS1_47radix_sort_onesweep_sort_config_static_selectorELNS0_4arch9wavefront6targetE1EEEvSG_ ; -- Begin function _ZN7rocprim17ROCPRIM_400000_NS6detail17trampoline_kernelINS0_14default_configENS1_35radix_sort_onesweep_config_selectorIslEEZZNS1_29radix_sort_onesweep_iterationIS3_Lb0EPsS7_N6thrust23THRUST_200600_302600_NS10device_ptrIlEESB_jNS0_19identity_decomposerENS1_16block_id_wrapperIjLb1EEEEE10hipError_tT1_PNSt15iterator_traitsISG_E10value_typeET2_T3_PNSH_ISM_E10value_typeET4_T5_PSR_SS_PNS1_23onesweep_lookback_stateEbbT6_jjT7_P12ihipStream_tbENKUlT_T0_SG_SL_E_clIS7_S7_SB_PlEEDaSZ_S10_SG_SL_EUlSZ_E_NS1_11comp_targetILNS1_3genE6ELNS1_11target_archE950ELNS1_3gpuE13ELNS1_3repE0EEENS1_47radix_sort_onesweep_sort_config_static_selectorELNS0_4arch9wavefront6targetE1EEEvSG_
	.globl	_ZN7rocprim17ROCPRIM_400000_NS6detail17trampoline_kernelINS0_14default_configENS1_35radix_sort_onesweep_config_selectorIslEEZZNS1_29radix_sort_onesweep_iterationIS3_Lb0EPsS7_N6thrust23THRUST_200600_302600_NS10device_ptrIlEESB_jNS0_19identity_decomposerENS1_16block_id_wrapperIjLb1EEEEE10hipError_tT1_PNSt15iterator_traitsISG_E10value_typeET2_T3_PNSH_ISM_E10value_typeET4_T5_PSR_SS_PNS1_23onesweep_lookback_stateEbbT6_jjT7_P12ihipStream_tbENKUlT_T0_SG_SL_E_clIS7_S7_SB_PlEEDaSZ_S10_SG_SL_EUlSZ_E_NS1_11comp_targetILNS1_3genE6ELNS1_11target_archE950ELNS1_3gpuE13ELNS1_3repE0EEENS1_47radix_sort_onesweep_sort_config_static_selectorELNS0_4arch9wavefront6targetE1EEEvSG_
	.p2align	8
	.type	_ZN7rocprim17ROCPRIM_400000_NS6detail17trampoline_kernelINS0_14default_configENS1_35radix_sort_onesweep_config_selectorIslEEZZNS1_29radix_sort_onesweep_iterationIS3_Lb0EPsS7_N6thrust23THRUST_200600_302600_NS10device_ptrIlEESB_jNS0_19identity_decomposerENS1_16block_id_wrapperIjLb1EEEEE10hipError_tT1_PNSt15iterator_traitsISG_E10value_typeET2_T3_PNSH_ISM_E10value_typeET4_T5_PSR_SS_PNS1_23onesweep_lookback_stateEbbT6_jjT7_P12ihipStream_tbENKUlT_T0_SG_SL_E_clIS7_S7_SB_PlEEDaSZ_S10_SG_SL_EUlSZ_E_NS1_11comp_targetILNS1_3genE6ELNS1_11target_archE950ELNS1_3gpuE13ELNS1_3repE0EEENS1_47radix_sort_onesweep_sort_config_static_selectorELNS0_4arch9wavefront6targetE1EEEvSG_,@function
_ZN7rocprim17ROCPRIM_400000_NS6detail17trampoline_kernelINS0_14default_configENS1_35radix_sort_onesweep_config_selectorIslEEZZNS1_29radix_sort_onesweep_iterationIS3_Lb0EPsS7_N6thrust23THRUST_200600_302600_NS10device_ptrIlEESB_jNS0_19identity_decomposerENS1_16block_id_wrapperIjLb1EEEEE10hipError_tT1_PNSt15iterator_traitsISG_E10value_typeET2_T3_PNSH_ISM_E10value_typeET4_T5_PSR_SS_PNS1_23onesweep_lookback_stateEbbT6_jjT7_P12ihipStream_tbENKUlT_T0_SG_SL_E_clIS7_S7_SB_PlEEDaSZ_S10_SG_SL_EUlSZ_E_NS1_11comp_targetILNS1_3genE6ELNS1_11target_archE950ELNS1_3gpuE13ELNS1_3repE0EEENS1_47radix_sort_onesweep_sort_config_static_selectorELNS0_4arch9wavefront6targetE1EEEvSG_: ; @_ZN7rocprim17ROCPRIM_400000_NS6detail17trampoline_kernelINS0_14default_configENS1_35radix_sort_onesweep_config_selectorIslEEZZNS1_29radix_sort_onesweep_iterationIS3_Lb0EPsS7_N6thrust23THRUST_200600_302600_NS10device_ptrIlEESB_jNS0_19identity_decomposerENS1_16block_id_wrapperIjLb1EEEEE10hipError_tT1_PNSt15iterator_traitsISG_E10value_typeET2_T3_PNSH_ISM_E10value_typeET4_T5_PSR_SS_PNS1_23onesweep_lookback_stateEbbT6_jjT7_P12ihipStream_tbENKUlT_T0_SG_SL_E_clIS7_S7_SB_PlEEDaSZ_S10_SG_SL_EUlSZ_E_NS1_11comp_targetILNS1_3genE6ELNS1_11target_archE950ELNS1_3gpuE13ELNS1_3repE0EEENS1_47radix_sort_onesweep_sort_config_static_selectorELNS0_4arch9wavefront6targetE1EEEvSG_
; %bb.0:
	.section	.rodata,"a",@progbits
	.p2align	6, 0x0
	.amdhsa_kernel _ZN7rocprim17ROCPRIM_400000_NS6detail17trampoline_kernelINS0_14default_configENS1_35radix_sort_onesweep_config_selectorIslEEZZNS1_29radix_sort_onesweep_iterationIS3_Lb0EPsS7_N6thrust23THRUST_200600_302600_NS10device_ptrIlEESB_jNS0_19identity_decomposerENS1_16block_id_wrapperIjLb1EEEEE10hipError_tT1_PNSt15iterator_traitsISG_E10value_typeET2_T3_PNSH_ISM_E10value_typeET4_T5_PSR_SS_PNS1_23onesweep_lookback_stateEbbT6_jjT7_P12ihipStream_tbENKUlT_T0_SG_SL_E_clIS7_S7_SB_PlEEDaSZ_S10_SG_SL_EUlSZ_E_NS1_11comp_targetILNS1_3genE6ELNS1_11target_archE950ELNS1_3gpuE13ELNS1_3repE0EEENS1_47radix_sort_onesweep_sort_config_static_selectorELNS0_4arch9wavefront6targetE1EEEvSG_
		.amdhsa_group_segment_fixed_size 0
		.amdhsa_private_segment_fixed_size 0
		.amdhsa_kernarg_size 88
		.amdhsa_user_sgpr_count 6
		.amdhsa_user_sgpr_private_segment_buffer 1
		.amdhsa_user_sgpr_dispatch_ptr 0
		.amdhsa_user_sgpr_queue_ptr 0
		.amdhsa_user_sgpr_kernarg_segment_ptr 1
		.amdhsa_user_sgpr_dispatch_id 0
		.amdhsa_user_sgpr_flat_scratch_init 0
		.amdhsa_user_sgpr_private_segment_size 0
		.amdhsa_uses_dynamic_stack 0
		.amdhsa_system_sgpr_private_segment_wavefront_offset 0
		.amdhsa_system_sgpr_workgroup_id_x 1
		.amdhsa_system_sgpr_workgroup_id_y 0
		.amdhsa_system_sgpr_workgroup_id_z 0
		.amdhsa_system_sgpr_workgroup_info 0
		.amdhsa_system_vgpr_workitem_id 0
		.amdhsa_next_free_vgpr 1
		.amdhsa_next_free_sgpr 0
		.amdhsa_reserve_vcc 0
		.amdhsa_reserve_flat_scratch 0
		.amdhsa_float_round_mode_32 0
		.amdhsa_float_round_mode_16_64 0
		.amdhsa_float_denorm_mode_32 3
		.amdhsa_float_denorm_mode_16_64 3
		.amdhsa_dx10_clamp 1
		.amdhsa_ieee_mode 1
		.amdhsa_fp16_overflow 0
		.amdhsa_exception_fp_ieee_invalid_op 0
		.amdhsa_exception_fp_denorm_src 0
		.amdhsa_exception_fp_ieee_div_zero 0
		.amdhsa_exception_fp_ieee_overflow 0
		.amdhsa_exception_fp_ieee_underflow 0
		.amdhsa_exception_fp_ieee_inexact 0
		.amdhsa_exception_int_div_zero 0
	.end_amdhsa_kernel
	.section	.text._ZN7rocprim17ROCPRIM_400000_NS6detail17trampoline_kernelINS0_14default_configENS1_35radix_sort_onesweep_config_selectorIslEEZZNS1_29radix_sort_onesweep_iterationIS3_Lb0EPsS7_N6thrust23THRUST_200600_302600_NS10device_ptrIlEESB_jNS0_19identity_decomposerENS1_16block_id_wrapperIjLb1EEEEE10hipError_tT1_PNSt15iterator_traitsISG_E10value_typeET2_T3_PNSH_ISM_E10value_typeET4_T5_PSR_SS_PNS1_23onesweep_lookback_stateEbbT6_jjT7_P12ihipStream_tbENKUlT_T0_SG_SL_E_clIS7_S7_SB_PlEEDaSZ_S10_SG_SL_EUlSZ_E_NS1_11comp_targetILNS1_3genE6ELNS1_11target_archE950ELNS1_3gpuE13ELNS1_3repE0EEENS1_47radix_sort_onesweep_sort_config_static_selectorELNS0_4arch9wavefront6targetE1EEEvSG_,"axG",@progbits,_ZN7rocprim17ROCPRIM_400000_NS6detail17trampoline_kernelINS0_14default_configENS1_35radix_sort_onesweep_config_selectorIslEEZZNS1_29radix_sort_onesweep_iterationIS3_Lb0EPsS7_N6thrust23THRUST_200600_302600_NS10device_ptrIlEESB_jNS0_19identity_decomposerENS1_16block_id_wrapperIjLb1EEEEE10hipError_tT1_PNSt15iterator_traitsISG_E10value_typeET2_T3_PNSH_ISM_E10value_typeET4_T5_PSR_SS_PNS1_23onesweep_lookback_stateEbbT6_jjT7_P12ihipStream_tbENKUlT_T0_SG_SL_E_clIS7_S7_SB_PlEEDaSZ_S10_SG_SL_EUlSZ_E_NS1_11comp_targetILNS1_3genE6ELNS1_11target_archE950ELNS1_3gpuE13ELNS1_3repE0EEENS1_47radix_sort_onesweep_sort_config_static_selectorELNS0_4arch9wavefront6targetE1EEEvSG_,comdat
.Lfunc_end1408:
	.size	_ZN7rocprim17ROCPRIM_400000_NS6detail17trampoline_kernelINS0_14default_configENS1_35radix_sort_onesweep_config_selectorIslEEZZNS1_29radix_sort_onesweep_iterationIS3_Lb0EPsS7_N6thrust23THRUST_200600_302600_NS10device_ptrIlEESB_jNS0_19identity_decomposerENS1_16block_id_wrapperIjLb1EEEEE10hipError_tT1_PNSt15iterator_traitsISG_E10value_typeET2_T3_PNSH_ISM_E10value_typeET4_T5_PSR_SS_PNS1_23onesweep_lookback_stateEbbT6_jjT7_P12ihipStream_tbENKUlT_T0_SG_SL_E_clIS7_S7_SB_PlEEDaSZ_S10_SG_SL_EUlSZ_E_NS1_11comp_targetILNS1_3genE6ELNS1_11target_archE950ELNS1_3gpuE13ELNS1_3repE0EEENS1_47radix_sort_onesweep_sort_config_static_selectorELNS0_4arch9wavefront6targetE1EEEvSG_, .Lfunc_end1408-_ZN7rocprim17ROCPRIM_400000_NS6detail17trampoline_kernelINS0_14default_configENS1_35radix_sort_onesweep_config_selectorIslEEZZNS1_29radix_sort_onesweep_iterationIS3_Lb0EPsS7_N6thrust23THRUST_200600_302600_NS10device_ptrIlEESB_jNS0_19identity_decomposerENS1_16block_id_wrapperIjLb1EEEEE10hipError_tT1_PNSt15iterator_traitsISG_E10value_typeET2_T3_PNSH_ISM_E10value_typeET4_T5_PSR_SS_PNS1_23onesweep_lookback_stateEbbT6_jjT7_P12ihipStream_tbENKUlT_T0_SG_SL_E_clIS7_S7_SB_PlEEDaSZ_S10_SG_SL_EUlSZ_E_NS1_11comp_targetILNS1_3genE6ELNS1_11target_archE950ELNS1_3gpuE13ELNS1_3repE0EEENS1_47radix_sort_onesweep_sort_config_static_selectorELNS0_4arch9wavefront6targetE1EEEvSG_
                                        ; -- End function
	.set _ZN7rocprim17ROCPRIM_400000_NS6detail17trampoline_kernelINS0_14default_configENS1_35radix_sort_onesweep_config_selectorIslEEZZNS1_29radix_sort_onesweep_iterationIS3_Lb0EPsS7_N6thrust23THRUST_200600_302600_NS10device_ptrIlEESB_jNS0_19identity_decomposerENS1_16block_id_wrapperIjLb1EEEEE10hipError_tT1_PNSt15iterator_traitsISG_E10value_typeET2_T3_PNSH_ISM_E10value_typeET4_T5_PSR_SS_PNS1_23onesweep_lookback_stateEbbT6_jjT7_P12ihipStream_tbENKUlT_T0_SG_SL_E_clIS7_S7_SB_PlEEDaSZ_S10_SG_SL_EUlSZ_E_NS1_11comp_targetILNS1_3genE6ELNS1_11target_archE950ELNS1_3gpuE13ELNS1_3repE0EEENS1_47radix_sort_onesweep_sort_config_static_selectorELNS0_4arch9wavefront6targetE1EEEvSG_.num_vgpr, 0
	.set _ZN7rocprim17ROCPRIM_400000_NS6detail17trampoline_kernelINS0_14default_configENS1_35radix_sort_onesweep_config_selectorIslEEZZNS1_29radix_sort_onesweep_iterationIS3_Lb0EPsS7_N6thrust23THRUST_200600_302600_NS10device_ptrIlEESB_jNS0_19identity_decomposerENS1_16block_id_wrapperIjLb1EEEEE10hipError_tT1_PNSt15iterator_traitsISG_E10value_typeET2_T3_PNSH_ISM_E10value_typeET4_T5_PSR_SS_PNS1_23onesweep_lookback_stateEbbT6_jjT7_P12ihipStream_tbENKUlT_T0_SG_SL_E_clIS7_S7_SB_PlEEDaSZ_S10_SG_SL_EUlSZ_E_NS1_11comp_targetILNS1_3genE6ELNS1_11target_archE950ELNS1_3gpuE13ELNS1_3repE0EEENS1_47radix_sort_onesweep_sort_config_static_selectorELNS0_4arch9wavefront6targetE1EEEvSG_.num_agpr, 0
	.set _ZN7rocprim17ROCPRIM_400000_NS6detail17trampoline_kernelINS0_14default_configENS1_35radix_sort_onesweep_config_selectorIslEEZZNS1_29radix_sort_onesweep_iterationIS3_Lb0EPsS7_N6thrust23THRUST_200600_302600_NS10device_ptrIlEESB_jNS0_19identity_decomposerENS1_16block_id_wrapperIjLb1EEEEE10hipError_tT1_PNSt15iterator_traitsISG_E10value_typeET2_T3_PNSH_ISM_E10value_typeET4_T5_PSR_SS_PNS1_23onesweep_lookback_stateEbbT6_jjT7_P12ihipStream_tbENKUlT_T0_SG_SL_E_clIS7_S7_SB_PlEEDaSZ_S10_SG_SL_EUlSZ_E_NS1_11comp_targetILNS1_3genE6ELNS1_11target_archE950ELNS1_3gpuE13ELNS1_3repE0EEENS1_47radix_sort_onesweep_sort_config_static_selectorELNS0_4arch9wavefront6targetE1EEEvSG_.numbered_sgpr, 0
	.set _ZN7rocprim17ROCPRIM_400000_NS6detail17trampoline_kernelINS0_14default_configENS1_35radix_sort_onesweep_config_selectorIslEEZZNS1_29radix_sort_onesweep_iterationIS3_Lb0EPsS7_N6thrust23THRUST_200600_302600_NS10device_ptrIlEESB_jNS0_19identity_decomposerENS1_16block_id_wrapperIjLb1EEEEE10hipError_tT1_PNSt15iterator_traitsISG_E10value_typeET2_T3_PNSH_ISM_E10value_typeET4_T5_PSR_SS_PNS1_23onesweep_lookback_stateEbbT6_jjT7_P12ihipStream_tbENKUlT_T0_SG_SL_E_clIS7_S7_SB_PlEEDaSZ_S10_SG_SL_EUlSZ_E_NS1_11comp_targetILNS1_3genE6ELNS1_11target_archE950ELNS1_3gpuE13ELNS1_3repE0EEENS1_47radix_sort_onesweep_sort_config_static_selectorELNS0_4arch9wavefront6targetE1EEEvSG_.num_named_barrier, 0
	.set _ZN7rocprim17ROCPRIM_400000_NS6detail17trampoline_kernelINS0_14default_configENS1_35radix_sort_onesweep_config_selectorIslEEZZNS1_29radix_sort_onesweep_iterationIS3_Lb0EPsS7_N6thrust23THRUST_200600_302600_NS10device_ptrIlEESB_jNS0_19identity_decomposerENS1_16block_id_wrapperIjLb1EEEEE10hipError_tT1_PNSt15iterator_traitsISG_E10value_typeET2_T3_PNSH_ISM_E10value_typeET4_T5_PSR_SS_PNS1_23onesweep_lookback_stateEbbT6_jjT7_P12ihipStream_tbENKUlT_T0_SG_SL_E_clIS7_S7_SB_PlEEDaSZ_S10_SG_SL_EUlSZ_E_NS1_11comp_targetILNS1_3genE6ELNS1_11target_archE950ELNS1_3gpuE13ELNS1_3repE0EEENS1_47radix_sort_onesweep_sort_config_static_selectorELNS0_4arch9wavefront6targetE1EEEvSG_.private_seg_size, 0
	.set _ZN7rocprim17ROCPRIM_400000_NS6detail17trampoline_kernelINS0_14default_configENS1_35radix_sort_onesweep_config_selectorIslEEZZNS1_29radix_sort_onesweep_iterationIS3_Lb0EPsS7_N6thrust23THRUST_200600_302600_NS10device_ptrIlEESB_jNS0_19identity_decomposerENS1_16block_id_wrapperIjLb1EEEEE10hipError_tT1_PNSt15iterator_traitsISG_E10value_typeET2_T3_PNSH_ISM_E10value_typeET4_T5_PSR_SS_PNS1_23onesweep_lookback_stateEbbT6_jjT7_P12ihipStream_tbENKUlT_T0_SG_SL_E_clIS7_S7_SB_PlEEDaSZ_S10_SG_SL_EUlSZ_E_NS1_11comp_targetILNS1_3genE6ELNS1_11target_archE950ELNS1_3gpuE13ELNS1_3repE0EEENS1_47radix_sort_onesweep_sort_config_static_selectorELNS0_4arch9wavefront6targetE1EEEvSG_.uses_vcc, 0
	.set _ZN7rocprim17ROCPRIM_400000_NS6detail17trampoline_kernelINS0_14default_configENS1_35radix_sort_onesweep_config_selectorIslEEZZNS1_29radix_sort_onesweep_iterationIS3_Lb0EPsS7_N6thrust23THRUST_200600_302600_NS10device_ptrIlEESB_jNS0_19identity_decomposerENS1_16block_id_wrapperIjLb1EEEEE10hipError_tT1_PNSt15iterator_traitsISG_E10value_typeET2_T3_PNSH_ISM_E10value_typeET4_T5_PSR_SS_PNS1_23onesweep_lookback_stateEbbT6_jjT7_P12ihipStream_tbENKUlT_T0_SG_SL_E_clIS7_S7_SB_PlEEDaSZ_S10_SG_SL_EUlSZ_E_NS1_11comp_targetILNS1_3genE6ELNS1_11target_archE950ELNS1_3gpuE13ELNS1_3repE0EEENS1_47radix_sort_onesweep_sort_config_static_selectorELNS0_4arch9wavefront6targetE1EEEvSG_.uses_flat_scratch, 0
	.set _ZN7rocprim17ROCPRIM_400000_NS6detail17trampoline_kernelINS0_14default_configENS1_35radix_sort_onesweep_config_selectorIslEEZZNS1_29radix_sort_onesweep_iterationIS3_Lb0EPsS7_N6thrust23THRUST_200600_302600_NS10device_ptrIlEESB_jNS0_19identity_decomposerENS1_16block_id_wrapperIjLb1EEEEE10hipError_tT1_PNSt15iterator_traitsISG_E10value_typeET2_T3_PNSH_ISM_E10value_typeET4_T5_PSR_SS_PNS1_23onesweep_lookback_stateEbbT6_jjT7_P12ihipStream_tbENKUlT_T0_SG_SL_E_clIS7_S7_SB_PlEEDaSZ_S10_SG_SL_EUlSZ_E_NS1_11comp_targetILNS1_3genE6ELNS1_11target_archE950ELNS1_3gpuE13ELNS1_3repE0EEENS1_47radix_sort_onesweep_sort_config_static_selectorELNS0_4arch9wavefront6targetE1EEEvSG_.has_dyn_sized_stack, 0
	.set _ZN7rocprim17ROCPRIM_400000_NS6detail17trampoline_kernelINS0_14default_configENS1_35radix_sort_onesweep_config_selectorIslEEZZNS1_29radix_sort_onesweep_iterationIS3_Lb0EPsS7_N6thrust23THRUST_200600_302600_NS10device_ptrIlEESB_jNS0_19identity_decomposerENS1_16block_id_wrapperIjLb1EEEEE10hipError_tT1_PNSt15iterator_traitsISG_E10value_typeET2_T3_PNSH_ISM_E10value_typeET4_T5_PSR_SS_PNS1_23onesweep_lookback_stateEbbT6_jjT7_P12ihipStream_tbENKUlT_T0_SG_SL_E_clIS7_S7_SB_PlEEDaSZ_S10_SG_SL_EUlSZ_E_NS1_11comp_targetILNS1_3genE6ELNS1_11target_archE950ELNS1_3gpuE13ELNS1_3repE0EEENS1_47radix_sort_onesweep_sort_config_static_selectorELNS0_4arch9wavefront6targetE1EEEvSG_.has_recursion, 0
	.set _ZN7rocprim17ROCPRIM_400000_NS6detail17trampoline_kernelINS0_14default_configENS1_35radix_sort_onesweep_config_selectorIslEEZZNS1_29radix_sort_onesweep_iterationIS3_Lb0EPsS7_N6thrust23THRUST_200600_302600_NS10device_ptrIlEESB_jNS0_19identity_decomposerENS1_16block_id_wrapperIjLb1EEEEE10hipError_tT1_PNSt15iterator_traitsISG_E10value_typeET2_T3_PNSH_ISM_E10value_typeET4_T5_PSR_SS_PNS1_23onesweep_lookback_stateEbbT6_jjT7_P12ihipStream_tbENKUlT_T0_SG_SL_E_clIS7_S7_SB_PlEEDaSZ_S10_SG_SL_EUlSZ_E_NS1_11comp_targetILNS1_3genE6ELNS1_11target_archE950ELNS1_3gpuE13ELNS1_3repE0EEENS1_47radix_sort_onesweep_sort_config_static_selectorELNS0_4arch9wavefront6targetE1EEEvSG_.has_indirect_call, 0
	.section	.AMDGPU.csdata,"",@progbits
; Kernel info:
; codeLenInByte = 0
; TotalNumSgprs: 4
; NumVgprs: 0
; ScratchSize: 0
; MemoryBound: 0
; FloatMode: 240
; IeeeMode: 1
; LDSByteSize: 0 bytes/workgroup (compile time only)
; SGPRBlocks: 0
; VGPRBlocks: 0
; NumSGPRsForWavesPerEU: 4
; NumVGPRsForWavesPerEU: 1
; Occupancy: 10
; WaveLimiterHint : 0
; COMPUTE_PGM_RSRC2:SCRATCH_EN: 0
; COMPUTE_PGM_RSRC2:USER_SGPR: 6
; COMPUTE_PGM_RSRC2:TRAP_HANDLER: 0
; COMPUTE_PGM_RSRC2:TGID_X_EN: 1
; COMPUTE_PGM_RSRC2:TGID_Y_EN: 0
; COMPUTE_PGM_RSRC2:TGID_Z_EN: 0
; COMPUTE_PGM_RSRC2:TIDIG_COMP_CNT: 0
	.section	.text._ZN7rocprim17ROCPRIM_400000_NS6detail17trampoline_kernelINS0_14default_configENS1_35radix_sort_onesweep_config_selectorIslEEZZNS1_29radix_sort_onesweep_iterationIS3_Lb0EPsS7_N6thrust23THRUST_200600_302600_NS10device_ptrIlEESB_jNS0_19identity_decomposerENS1_16block_id_wrapperIjLb1EEEEE10hipError_tT1_PNSt15iterator_traitsISG_E10value_typeET2_T3_PNSH_ISM_E10value_typeET4_T5_PSR_SS_PNS1_23onesweep_lookback_stateEbbT6_jjT7_P12ihipStream_tbENKUlT_T0_SG_SL_E_clIS7_S7_SB_PlEEDaSZ_S10_SG_SL_EUlSZ_E_NS1_11comp_targetILNS1_3genE5ELNS1_11target_archE942ELNS1_3gpuE9ELNS1_3repE0EEENS1_47radix_sort_onesweep_sort_config_static_selectorELNS0_4arch9wavefront6targetE1EEEvSG_,"axG",@progbits,_ZN7rocprim17ROCPRIM_400000_NS6detail17trampoline_kernelINS0_14default_configENS1_35radix_sort_onesweep_config_selectorIslEEZZNS1_29radix_sort_onesweep_iterationIS3_Lb0EPsS7_N6thrust23THRUST_200600_302600_NS10device_ptrIlEESB_jNS0_19identity_decomposerENS1_16block_id_wrapperIjLb1EEEEE10hipError_tT1_PNSt15iterator_traitsISG_E10value_typeET2_T3_PNSH_ISM_E10value_typeET4_T5_PSR_SS_PNS1_23onesweep_lookback_stateEbbT6_jjT7_P12ihipStream_tbENKUlT_T0_SG_SL_E_clIS7_S7_SB_PlEEDaSZ_S10_SG_SL_EUlSZ_E_NS1_11comp_targetILNS1_3genE5ELNS1_11target_archE942ELNS1_3gpuE9ELNS1_3repE0EEENS1_47radix_sort_onesweep_sort_config_static_selectorELNS0_4arch9wavefront6targetE1EEEvSG_,comdat
	.protected	_ZN7rocprim17ROCPRIM_400000_NS6detail17trampoline_kernelINS0_14default_configENS1_35radix_sort_onesweep_config_selectorIslEEZZNS1_29radix_sort_onesweep_iterationIS3_Lb0EPsS7_N6thrust23THRUST_200600_302600_NS10device_ptrIlEESB_jNS0_19identity_decomposerENS1_16block_id_wrapperIjLb1EEEEE10hipError_tT1_PNSt15iterator_traitsISG_E10value_typeET2_T3_PNSH_ISM_E10value_typeET4_T5_PSR_SS_PNS1_23onesweep_lookback_stateEbbT6_jjT7_P12ihipStream_tbENKUlT_T0_SG_SL_E_clIS7_S7_SB_PlEEDaSZ_S10_SG_SL_EUlSZ_E_NS1_11comp_targetILNS1_3genE5ELNS1_11target_archE942ELNS1_3gpuE9ELNS1_3repE0EEENS1_47radix_sort_onesweep_sort_config_static_selectorELNS0_4arch9wavefront6targetE1EEEvSG_ ; -- Begin function _ZN7rocprim17ROCPRIM_400000_NS6detail17trampoline_kernelINS0_14default_configENS1_35radix_sort_onesweep_config_selectorIslEEZZNS1_29radix_sort_onesweep_iterationIS3_Lb0EPsS7_N6thrust23THRUST_200600_302600_NS10device_ptrIlEESB_jNS0_19identity_decomposerENS1_16block_id_wrapperIjLb1EEEEE10hipError_tT1_PNSt15iterator_traitsISG_E10value_typeET2_T3_PNSH_ISM_E10value_typeET4_T5_PSR_SS_PNS1_23onesweep_lookback_stateEbbT6_jjT7_P12ihipStream_tbENKUlT_T0_SG_SL_E_clIS7_S7_SB_PlEEDaSZ_S10_SG_SL_EUlSZ_E_NS1_11comp_targetILNS1_3genE5ELNS1_11target_archE942ELNS1_3gpuE9ELNS1_3repE0EEENS1_47radix_sort_onesweep_sort_config_static_selectorELNS0_4arch9wavefront6targetE1EEEvSG_
	.globl	_ZN7rocprim17ROCPRIM_400000_NS6detail17trampoline_kernelINS0_14default_configENS1_35radix_sort_onesweep_config_selectorIslEEZZNS1_29radix_sort_onesweep_iterationIS3_Lb0EPsS7_N6thrust23THRUST_200600_302600_NS10device_ptrIlEESB_jNS0_19identity_decomposerENS1_16block_id_wrapperIjLb1EEEEE10hipError_tT1_PNSt15iterator_traitsISG_E10value_typeET2_T3_PNSH_ISM_E10value_typeET4_T5_PSR_SS_PNS1_23onesweep_lookback_stateEbbT6_jjT7_P12ihipStream_tbENKUlT_T0_SG_SL_E_clIS7_S7_SB_PlEEDaSZ_S10_SG_SL_EUlSZ_E_NS1_11comp_targetILNS1_3genE5ELNS1_11target_archE942ELNS1_3gpuE9ELNS1_3repE0EEENS1_47radix_sort_onesweep_sort_config_static_selectorELNS0_4arch9wavefront6targetE1EEEvSG_
	.p2align	8
	.type	_ZN7rocprim17ROCPRIM_400000_NS6detail17trampoline_kernelINS0_14default_configENS1_35radix_sort_onesweep_config_selectorIslEEZZNS1_29radix_sort_onesweep_iterationIS3_Lb0EPsS7_N6thrust23THRUST_200600_302600_NS10device_ptrIlEESB_jNS0_19identity_decomposerENS1_16block_id_wrapperIjLb1EEEEE10hipError_tT1_PNSt15iterator_traitsISG_E10value_typeET2_T3_PNSH_ISM_E10value_typeET4_T5_PSR_SS_PNS1_23onesweep_lookback_stateEbbT6_jjT7_P12ihipStream_tbENKUlT_T0_SG_SL_E_clIS7_S7_SB_PlEEDaSZ_S10_SG_SL_EUlSZ_E_NS1_11comp_targetILNS1_3genE5ELNS1_11target_archE942ELNS1_3gpuE9ELNS1_3repE0EEENS1_47radix_sort_onesweep_sort_config_static_selectorELNS0_4arch9wavefront6targetE1EEEvSG_,@function
_ZN7rocprim17ROCPRIM_400000_NS6detail17trampoline_kernelINS0_14default_configENS1_35radix_sort_onesweep_config_selectorIslEEZZNS1_29radix_sort_onesweep_iterationIS3_Lb0EPsS7_N6thrust23THRUST_200600_302600_NS10device_ptrIlEESB_jNS0_19identity_decomposerENS1_16block_id_wrapperIjLb1EEEEE10hipError_tT1_PNSt15iterator_traitsISG_E10value_typeET2_T3_PNSH_ISM_E10value_typeET4_T5_PSR_SS_PNS1_23onesweep_lookback_stateEbbT6_jjT7_P12ihipStream_tbENKUlT_T0_SG_SL_E_clIS7_S7_SB_PlEEDaSZ_S10_SG_SL_EUlSZ_E_NS1_11comp_targetILNS1_3genE5ELNS1_11target_archE942ELNS1_3gpuE9ELNS1_3repE0EEENS1_47radix_sort_onesweep_sort_config_static_selectorELNS0_4arch9wavefront6targetE1EEEvSG_: ; @_ZN7rocprim17ROCPRIM_400000_NS6detail17trampoline_kernelINS0_14default_configENS1_35radix_sort_onesweep_config_selectorIslEEZZNS1_29radix_sort_onesweep_iterationIS3_Lb0EPsS7_N6thrust23THRUST_200600_302600_NS10device_ptrIlEESB_jNS0_19identity_decomposerENS1_16block_id_wrapperIjLb1EEEEE10hipError_tT1_PNSt15iterator_traitsISG_E10value_typeET2_T3_PNSH_ISM_E10value_typeET4_T5_PSR_SS_PNS1_23onesweep_lookback_stateEbbT6_jjT7_P12ihipStream_tbENKUlT_T0_SG_SL_E_clIS7_S7_SB_PlEEDaSZ_S10_SG_SL_EUlSZ_E_NS1_11comp_targetILNS1_3genE5ELNS1_11target_archE942ELNS1_3gpuE9ELNS1_3repE0EEENS1_47radix_sort_onesweep_sort_config_static_selectorELNS0_4arch9wavefront6targetE1EEEvSG_
; %bb.0:
	.section	.rodata,"a",@progbits
	.p2align	6, 0x0
	.amdhsa_kernel _ZN7rocprim17ROCPRIM_400000_NS6detail17trampoline_kernelINS0_14default_configENS1_35radix_sort_onesweep_config_selectorIslEEZZNS1_29radix_sort_onesweep_iterationIS3_Lb0EPsS7_N6thrust23THRUST_200600_302600_NS10device_ptrIlEESB_jNS0_19identity_decomposerENS1_16block_id_wrapperIjLb1EEEEE10hipError_tT1_PNSt15iterator_traitsISG_E10value_typeET2_T3_PNSH_ISM_E10value_typeET4_T5_PSR_SS_PNS1_23onesweep_lookback_stateEbbT6_jjT7_P12ihipStream_tbENKUlT_T0_SG_SL_E_clIS7_S7_SB_PlEEDaSZ_S10_SG_SL_EUlSZ_E_NS1_11comp_targetILNS1_3genE5ELNS1_11target_archE942ELNS1_3gpuE9ELNS1_3repE0EEENS1_47radix_sort_onesweep_sort_config_static_selectorELNS0_4arch9wavefront6targetE1EEEvSG_
		.amdhsa_group_segment_fixed_size 0
		.amdhsa_private_segment_fixed_size 0
		.amdhsa_kernarg_size 88
		.amdhsa_user_sgpr_count 6
		.amdhsa_user_sgpr_private_segment_buffer 1
		.amdhsa_user_sgpr_dispatch_ptr 0
		.amdhsa_user_sgpr_queue_ptr 0
		.amdhsa_user_sgpr_kernarg_segment_ptr 1
		.amdhsa_user_sgpr_dispatch_id 0
		.amdhsa_user_sgpr_flat_scratch_init 0
		.amdhsa_user_sgpr_private_segment_size 0
		.amdhsa_uses_dynamic_stack 0
		.amdhsa_system_sgpr_private_segment_wavefront_offset 0
		.amdhsa_system_sgpr_workgroup_id_x 1
		.amdhsa_system_sgpr_workgroup_id_y 0
		.amdhsa_system_sgpr_workgroup_id_z 0
		.amdhsa_system_sgpr_workgroup_info 0
		.amdhsa_system_vgpr_workitem_id 0
		.amdhsa_next_free_vgpr 1
		.amdhsa_next_free_sgpr 0
		.amdhsa_reserve_vcc 0
		.amdhsa_reserve_flat_scratch 0
		.amdhsa_float_round_mode_32 0
		.amdhsa_float_round_mode_16_64 0
		.amdhsa_float_denorm_mode_32 3
		.amdhsa_float_denorm_mode_16_64 3
		.amdhsa_dx10_clamp 1
		.amdhsa_ieee_mode 1
		.amdhsa_fp16_overflow 0
		.amdhsa_exception_fp_ieee_invalid_op 0
		.amdhsa_exception_fp_denorm_src 0
		.amdhsa_exception_fp_ieee_div_zero 0
		.amdhsa_exception_fp_ieee_overflow 0
		.amdhsa_exception_fp_ieee_underflow 0
		.amdhsa_exception_fp_ieee_inexact 0
		.amdhsa_exception_int_div_zero 0
	.end_amdhsa_kernel
	.section	.text._ZN7rocprim17ROCPRIM_400000_NS6detail17trampoline_kernelINS0_14default_configENS1_35radix_sort_onesweep_config_selectorIslEEZZNS1_29radix_sort_onesweep_iterationIS3_Lb0EPsS7_N6thrust23THRUST_200600_302600_NS10device_ptrIlEESB_jNS0_19identity_decomposerENS1_16block_id_wrapperIjLb1EEEEE10hipError_tT1_PNSt15iterator_traitsISG_E10value_typeET2_T3_PNSH_ISM_E10value_typeET4_T5_PSR_SS_PNS1_23onesweep_lookback_stateEbbT6_jjT7_P12ihipStream_tbENKUlT_T0_SG_SL_E_clIS7_S7_SB_PlEEDaSZ_S10_SG_SL_EUlSZ_E_NS1_11comp_targetILNS1_3genE5ELNS1_11target_archE942ELNS1_3gpuE9ELNS1_3repE0EEENS1_47radix_sort_onesweep_sort_config_static_selectorELNS0_4arch9wavefront6targetE1EEEvSG_,"axG",@progbits,_ZN7rocprim17ROCPRIM_400000_NS6detail17trampoline_kernelINS0_14default_configENS1_35radix_sort_onesweep_config_selectorIslEEZZNS1_29radix_sort_onesweep_iterationIS3_Lb0EPsS7_N6thrust23THRUST_200600_302600_NS10device_ptrIlEESB_jNS0_19identity_decomposerENS1_16block_id_wrapperIjLb1EEEEE10hipError_tT1_PNSt15iterator_traitsISG_E10value_typeET2_T3_PNSH_ISM_E10value_typeET4_T5_PSR_SS_PNS1_23onesweep_lookback_stateEbbT6_jjT7_P12ihipStream_tbENKUlT_T0_SG_SL_E_clIS7_S7_SB_PlEEDaSZ_S10_SG_SL_EUlSZ_E_NS1_11comp_targetILNS1_3genE5ELNS1_11target_archE942ELNS1_3gpuE9ELNS1_3repE0EEENS1_47radix_sort_onesweep_sort_config_static_selectorELNS0_4arch9wavefront6targetE1EEEvSG_,comdat
.Lfunc_end1409:
	.size	_ZN7rocprim17ROCPRIM_400000_NS6detail17trampoline_kernelINS0_14default_configENS1_35radix_sort_onesweep_config_selectorIslEEZZNS1_29radix_sort_onesweep_iterationIS3_Lb0EPsS7_N6thrust23THRUST_200600_302600_NS10device_ptrIlEESB_jNS0_19identity_decomposerENS1_16block_id_wrapperIjLb1EEEEE10hipError_tT1_PNSt15iterator_traitsISG_E10value_typeET2_T3_PNSH_ISM_E10value_typeET4_T5_PSR_SS_PNS1_23onesweep_lookback_stateEbbT6_jjT7_P12ihipStream_tbENKUlT_T0_SG_SL_E_clIS7_S7_SB_PlEEDaSZ_S10_SG_SL_EUlSZ_E_NS1_11comp_targetILNS1_3genE5ELNS1_11target_archE942ELNS1_3gpuE9ELNS1_3repE0EEENS1_47radix_sort_onesweep_sort_config_static_selectorELNS0_4arch9wavefront6targetE1EEEvSG_, .Lfunc_end1409-_ZN7rocprim17ROCPRIM_400000_NS6detail17trampoline_kernelINS0_14default_configENS1_35radix_sort_onesweep_config_selectorIslEEZZNS1_29radix_sort_onesweep_iterationIS3_Lb0EPsS7_N6thrust23THRUST_200600_302600_NS10device_ptrIlEESB_jNS0_19identity_decomposerENS1_16block_id_wrapperIjLb1EEEEE10hipError_tT1_PNSt15iterator_traitsISG_E10value_typeET2_T3_PNSH_ISM_E10value_typeET4_T5_PSR_SS_PNS1_23onesweep_lookback_stateEbbT6_jjT7_P12ihipStream_tbENKUlT_T0_SG_SL_E_clIS7_S7_SB_PlEEDaSZ_S10_SG_SL_EUlSZ_E_NS1_11comp_targetILNS1_3genE5ELNS1_11target_archE942ELNS1_3gpuE9ELNS1_3repE0EEENS1_47radix_sort_onesweep_sort_config_static_selectorELNS0_4arch9wavefront6targetE1EEEvSG_
                                        ; -- End function
	.set _ZN7rocprim17ROCPRIM_400000_NS6detail17trampoline_kernelINS0_14default_configENS1_35radix_sort_onesweep_config_selectorIslEEZZNS1_29radix_sort_onesweep_iterationIS3_Lb0EPsS7_N6thrust23THRUST_200600_302600_NS10device_ptrIlEESB_jNS0_19identity_decomposerENS1_16block_id_wrapperIjLb1EEEEE10hipError_tT1_PNSt15iterator_traitsISG_E10value_typeET2_T3_PNSH_ISM_E10value_typeET4_T5_PSR_SS_PNS1_23onesweep_lookback_stateEbbT6_jjT7_P12ihipStream_tbENKUlT_T0_SG_SL_E_clIS7_S7_SB_PlEEDaSZ_S10_SG_SL_EUlSZ_E_NS1_11comp_targetILNS1_3genE5ELNS1_11target_archE942ELNS1_3gpuE9ELNS1_3repE0EEENS1_47radix_sort_onesweep_sort_config_static_selectorELNS0_4arch9wavefront6targetE1EEEvSG_.num_vgpr, 0
	.set _ZN7rocprim17ROCPRIM_400000_NS6detail17trampoline_kernelINS0_14default_configENS1_35radix_sort_onesweep_config_selectorIslEEZZNS1_29radix_sort_onesweep_iterationIS3_Lb0EPsS7_N6thrust23THRUST_200600_302600_NS10device_ptrIlEESB_jNS0_19identity_decomposerENS1_16block_id_wrapperIjLb1EEEEE10hipError_tT1_PNSt15iterator_traitsISG_E10value_typeET2_T3_PNSH_ISM_E10value_typeET4_T5_PSR_SS_PNS1_23onesweep_lookback_stateEbbT6_jjT7_P12ihipStream_tbENKUlT_T0_SG_SL_E_clIS7_S7_SB_PlEEDaSZ_S10_SG_SL_EUlSZ_E_NS1_11comp_targetILNS1_3genE5ELNS1_11target_archE942ELNS1_3gpuE9ELNS1_3repE0EEENS1_47radix_sort_onesweep_sort_config_static_selectorELNS0_4arch9wavefront6targetE1EEEvSG_.num_agpr, 0
	.set _ZN7rocprim17ROCPRIM_400000_NS6detail17trampoline_kernelINS0_14default_configENS1_35radix_sort_onesweep_config_selectorIslEEZZNS1_29radix_sort_onesweep_iterationIS3_Lb0EPsS7_N6thrust23THRUST_200600_302600_NS10device_ptrIlEESB_jNS0_19identity_decomposerENS1_16block_id_wrapperIjLb1EEEEE10hipError_tT1_PNSt15iterator_traitsISG_E10value_typeET2_T3_PNSH_ISM_E10value_typeET4_T5_PSR_SS_PNS1_23onesweep_lookback_stateEbbT6_jjT7_P12ihipStream_tbENKUlT_T0_SG_SL_E_clIS7_S7_SB_PlEEDaSZ_S10_SG_SL_EUlSZ_E_NS1_11comp_targetILNS1_3genE5ELNS1_11target_archE942ELNS1_3gpuE9ELNS1_3repE0EEENS1_47radix_sort_onesweep_sort_config_static_selectorELNS0_4arch9wavefront6targetE1EEEvSG_.numbered_sgpr, 0
	.set _ZN7rocprim17ROCPRIM_400000_NS6detail17trampoline_kernelINS0_14default_configENS1_35radix_sort_onesweep_config_selectorIslEEZZNS1_29radix_sort_onesweep_iterationIS3_Lb0EPsS7_N6thrust23THRUST_200600_302600_NS10device_ptrIlEESB_jNS0_19identity_decomposerENS1_16block_id_wrapperIjLb1EEEEE10hipError_tT1_PNSt15iterator_traitsISG_E10value_typeET2_T3_PNSH_ISM_E10value_typeET4_T5_PSR_SS_PNS1_23onesweep_lookback_stateEbbT6_jjT7_P12ihipStream_tbENKUlT_T0_SG_SL_E_clIS7_S7_SB_PlEEDaSZ_S10_SG_SL_EUlSZ_E_NS1_11comp_targetILNS1_3genE5ELNS1_11target_archE942ELNS1_3gpuE9ELNS1_3repE0EEENS1_47radix_sort_onesweep_sort_config_static_selectorELNS0_4arch9wavefront6targetE1EEEvSG_.num_named_barrier, 0
	.set _ZN7rocprim17ROCPRIM_400000_NS6detail17trampoline_kernelINS0_14default_configENS1_35radix_sort_onesweep_config_selectorIslEEZZNS1_29radix_sort_onesweep_iterationIS3_Lb0EPsS7_N6thrust23THRUST_200600_302600_NS10device_ptrIlEESB_jNS0_19identity_decomposerENS1_16block_id_wrapperIjLb1EEEEE10hipError_tT1_PNSt15iterator_traitsISG_E10value_typeET2_T3_PNSH_ISM_E10value_typeET4_T5_PSR_SS_PNS1_23onesweep_lookback_stateEbbT6_jjT7_P12ihipStream_tbENKUlT_T0_SG_SL_E_clIS7_S7_SB_PlEEDaSZ_S10_SG_SL_EUlSZ_E_NS1_11comp_targetILNS1_3genE5ELNS1_11target_archE942ELNS1_3gpuE9ELNS1_3repE0EEENS1_47radix_sort_onesweep_sort_config_static_selectorELNS0_4arch9wavefront6targetE1EEEvSG_.private_seg_size, 0
	.set _ZN7rocprim17ROCPRIM_400000_NS6detail17trampoline_kernelINS0_14default_configENS1_35radix_sort_onesweep_config_selectorIslEEZZNS1_29radix_sort_onesweep_iterationIS3_Lb0EPsS7_N6thrust23THRUST_200600_302600_NS10device_ptrIlEESB_jNS0_19identity_decomposerENS1_16block_id_wrapperIjLb1EEEEE10hipError_tT1_PNSt15iterator_traitsISG_E10value_typeET2_T3_PNSH_ISM_E10value_typeET4_T5_PSR_SS_PNS1_23onesweep_lookback_stateEbbT6_jjT7_P12ihipStream_tbENKUlT_T0_SG_SL_E_clIS7_S7_SB_PlEEDaSZ_S10_SG_SL_EUlSZ_E_NS1_11comp_targetILNS1_3genE5ELNS1_11target_archE942ELNS1_3gpuE9ELNS1_3repE0EEENS1_47radix_sort_onesweep_sort_config_static_selectorELNS0_4arch9wavefront6targetE1EEEvSG_.uses_vcc, 0
	.set _ZN7rocprim17ROCPRIM_400000_NS6detail17trampoline_kernelINS0_14default_configENS1_35radix_sort_onesweep_config_selectorIslEEZZNS1_29radix_sort_onesweep_iterationIS3_Lb0EPsS7_N6thrust23THRUST_200600_302600_NS10device_ptrIlEESB_jNS0_19identity_decomposerENS1_16block_id_wrapperIjLb1EEEEE10hipError_tT1_PNSt15iterator_traitsISG_E10value_typeET2_T3_PNSH_ISM_E10value_typeET4_T5_PSR_SS_PNS1_23onesweep_lookback_stateEbbT6_jjT7_P12ihipStream_tbENKUlT_T0_SG_SL_E_clIS7_S7_SB_PlEEDaSZ_S10_SG_SL_EUlSZ_E_NS1_11comp_targetILNS1_3genE5ELNS1_11target_archE942ELNS1_3gpuE9ELNS1_3repE0EEENS1_47radix_sort_onesweep_sort_config_static_selectorELNS0_4arch9wavefront6targetE1EEEvSG_.uses_flat_scratch, 0
	.set _ZN7rocprim17ROCPRIM_400000_NS6detail17trampoline_kernelINS0_14default_configENS1_35radix_sort_onesweep_config_selectorIslEEZZNS1_29radix_sort_onesweep_iterationIS3_Lb0EPsS7_N6thrust23THRUST_200600_302600_NS10device_ptrIlEESB_jNS0_19identity_decomposerENS1_16block_id_wrapperIjLb1EEEEE10hipError_tT1_PNSt15iterator_traitsISG_E10value_typeET2_T3_PNSH_ISM_E10value_typeET4_T5_PSR_SS_PNS1_23onesweep_lookback_stateEbbT6_jjT7_P12ihipStream_tbENKUlT_T0_SG_SL_E_clIS7_S7_SB_PlEEDaSZ_S10_SG_SL_EUlSZ_E_NS1_11comp_targetILNS1_3genE5ELNS1_11target_archE942ELNS1_3gpuE9ELNS1_3repE0EEENS1_47radix_sort_onesweep_sort_config_static_selectorELNS0_4arch9wavefront6targetE1EEEvSG_.has_dyn_sized_stack, 0
	.set _ZN7rocprim17ROCPRIM_400000_NS6detail17trampoline_kernelINS0_14default_configENS1_35radix_sort_onesweep_config_selectorIslEEZZNS1_29radix_sort_onesweep_iterationIS3_Lb0EPsS7_N6thrust23THRUST_200600_302600_NS10device_ptrIlEESB_jNS0_19identity_decomposerENS1_16block_id_wrapperIjLb1EEEEE10hipError_tT1_PNSt15iterator_traitsISG_E10value_typeET2_T3_PNSH_ISM_E10value_typeET4_T5_PSR_SS_PNS1_23onesweep_lookback_stateEbbT6_jjT7_P12ihipStream_tbENKUlT_T0_SG_SL_E_clIS7_S7_SB_PlEEDaSZ_S10_SG_SL_EUlSZ_E_NS1_11comp_targetILNS1_3genE5ELNS1_11target_archE942ELNS1_3gpuE9ELNS1_3repE0EEENS1_47radix_sort_onesweep_sort_config_static_selectorELNS0_4arch9wavefront6targetE1EEEvSG_.has_recursion, 0
	.set _ZN7rocprim17ROCPRIM_400000_NS6detail17trampoline_kernelINS0_14default_configENS1_35radix_sort_onesweep_config_selectorIslEEZZNS1_29radix_sort_onesweep_iterationIS3_Lb0EPsS7_N6thrust23THRUST_200600_302600_NS10device_ptrIlEESB_jNS0_19identity_decomposerENS1_16block_id_wrapperIjLb1EEEEE10hipError_tT1_PNSt15iterator_traitsISG_E10value_typeET2_T3_PNSH_ISM_E10value_typeET4_T5_PSR_SS_PNS1_23onesweep_lookback_stateEbbT6_jjT7_P12ihipStream_tbENKUlT_T0_SG_SL_E_clIS7_S7_SB_PlEEDaSZ_S10_SG_SL_EUlSZ_E_NS1_11comp_targetILNS1_3genE5ELNS1_11target_archE942ELNS1_3gpuE9ELNS1_3repE0EEENS1_47radix_sort_onesweep_sort_config_static_selectorELNS0_4arch9wavefront6targetE1EEEvSG_.has_indirect_call, 0
	.section	.AMDGPU.csdata,"",@progbits
; Kernel info:
; codeLenInByte = 0
; TotalNumSgprs: 4
; NumVgprs: 0
; ScratchSize: 0
; MemoryBound: 0
; FloatMode: 240
; IeeeMode: 1
; LDSByteSize: 0 bytes/workgroup (compile time only)
; SGPRBlocks: 0
; VGPRBlocks: 0
; NumSGPRsForWavesPerEU: 4
; NumVGPRsForWavesPerEU: 1
; Occupancy: 10
; WaveLimiterHint : 0
; COMPUTE_PGM_RSRC2:SCRATCH_EN: 0
; COMPUTE_PGM_RSRC2:USER_SGPR: 6
; COMPUTE_PGM_RSRC2:TRAP_HANDLER: 0
; COMPUTE_PGM_RSRC2:TGID_X_EN: 1
; COMPUTE_PGM_RSRC2:TGID_Y_EN: 0
; COMPUTE_PGM_RSRC2:TGID_Z_EN: 0
; COMPUTE_PGM_RSRC2:TIDIG_COMP_CNT: 0
	.section	.text._ZN7rocprim17ROCPRIM_400000_NS6detail17trampoline_kernelINS0_14default_configENS1_35radix_sort_onesweep_config_selectorIslEEZZNS1_29radix_sort_onesweep_iterationIS3_Lb0EPsS7_N6thrust23THRUST_200600_302600_NS10device_ptrIlEESB_jNS0_19identity_decomposerENS1_16block_id_wrapperIjLb1EEEEE10hipError_tT1_PNSt15iterator_traitsISG_E10value_typeET2_T3_PNSH_ISM_E10value_typeET4_T5_PSR_SS_PNS1_23onesweep_lookback_stateEbbT6_jjT7_P12ihipStream_tbENKUlT_T0_SG_SL_E_clIS7_S7_SB_PlEEDaSZ_S10_SG_SL_EUlSZ_E_NS1_11comp_targetILNS1_3genE2ELNS1_11target_archE906ELNS1_3gpuE6ELNS1_3repE0EEENS1_47radix_sort_onesweep_sort_config_static_selectorELNS0_4arch9wavefront6targetE1EEEvSG_,"axG",@progbits,_ZN7rocprim17ROCPRIM_400000_NS6detail17trampoline_kernelINS0_14default_configENS1_35radix_sort_onesweep_config_selectorIslEEZZNS1_29radix_sort_onesweep_iterationIS3_Lb0EPsS7_N6thrust23THRUST_200600_302600_NS10device_ptrIlEESB_jNS0_19identity_decomposerENS1_16block_id_wrapperIjLb1EEEEE10hipError_tT1_PNSt15iterator_traitsISG_E10value_typeET2_T3_PNSH_ISM_E10value_typeET4_T5_PSR_SS_PNS1_23onesweep_lookback_stateEbbT6_jjT7_P12ihipStream_tbENKUlT_T0_SG_SL_E_clIS7_S7_SB_PlEEDaSZ_S10_SG_SL_EUlSZ_E_NS1_11comp_targetILNS1_3genE2ELNS1_11target_archE906ELNS1_3gpuE6ELNS1_3repE0EEENS1_47radix_sort_onesweep_sort_config_static_selectorELNS0_4arch9wavefront6targetE1EEEvSG_,comdat
	.protected	_ZN7rocprim17ROCPRIM_400000_NS6detail17trampoline_kernelINS0_14default_configENS1_35radix_sort_onesweep_config_selectorIslEEZZNS1_29radix_sort_onesweep_iterationIS3_Lb0EPsS7_N6thrust23THRUST_200600_302600_NS10device_ptrIlEESB_jNS0_19identity_decomposerENS1_16block_id_wrapperIjLb1EEEEE10hipError_tT1_PNSt15iterator_traitsISG_E10value_typeET2_T3_PNSH_ISM_E10value_typeET4_T5_PSR_SS_PNS1_23onesweep_lookback_stateEbbT6_jjT7_P12ihipStream_tbENKUlT_T0_SG_SL_E_clIS7_S7_SB_PlEEDaSZ_S10_SG_SL_EUlSZ_E_NS1_11comp_targetILNS1_3genE2ELNS1_11target_archE906ELNS1_3gpuE6ELNS1_3repE0EEENS1_47radix_sort_onesweep_sort_config_static_selectorELNS0_4arch9wavefront6targetE1EEEvSG_ ; -- Begin function _ZN7rocprim17ROCPRIM_400000_NS6detail17trampoline_kernelINS0_14default_configENS1_35radix_sort_onesweep_config_selectorIslEEZZNS1_29radix_sort_onesweep_iterationIS3_Lb0EPsS7_N6thrust23THRUST_200600_302600_NS10device_ptrIlEESB_jNS0_19identity_decomposerENS1_16block_id_wrapperIjLb1EEEEE10hipError_tT1_PNSt15iterator_traitsISG_E10value_typeET2_T3_PNSH_ISM_E10value_typeET4_T5_PSR_SS_PNS1_23onesweep_lookback_stateEbbT6_jjT7_P12ihipStream_tbENKUlT_T0_SG_SL_E_clIS7_S7_SB_PlEEDaSZ_S10_SG_SL_EUlSZ_E_NS1_11comp_targetILNS1_3genE2ELNS1_11target_archE906ELNS1_3gpuE6ELNS1_3repE0EEENS1_47radix_sort_onesweep_sort_config_static_selectorELNS0_4arch9wavefront6targetE1EEEvSG_
	.globl	_ZN7rocprim17ROCPRIM_400000_NS6detail17trampoline_kernelINS0_14default_configENS1_35radix_sort_onesweep_config_selectorIslEEZZNS1_29radix_sort_onesweep_iterationIS3_Lb0EPsS7_N6thrust23THRUST_200600_302600_NS10device_ptrIlEESB_jNS0_19identity_decomposerENS1_16block_id_wrapperIjLb1EEEEE10hipError_tT1_PNSt15iterator_traitsISG_E10value_typeET2_T3_PNSH_ISM_E10value_typeET4_T5_PSR_SS_PNS1_23onesweep_lookback_stateEbbT6_jjT7_P12ihipStream_tbENKUlT_T0_SG_SL_E_clIS7_S7_SB_PlEEDaSZ_S10_SG_SL_EUlSZ_E_NS1_11comp_targetILNS1_3genE2ELNS1_11target_archE906ELNS1_3gpuE6ELNS1_3repE0EEENS1_47radix_sort_onesweep_sort_config_static_selectorELNS0_4arch9wavefront6targetE1EEEvSG_
	.p2align	8
	.type	_ZN7rocprim17ROCPRIM_400000_NS6detail17trampoline_kernelINS0_14default_configENS1_35radix_sort_onesweep_config_selectorIslEEZZNS1_29radix_sort_onesweep_iterationIS3_Lb0EPsS7_N6thrust23THRUST_200600_302600_NS10device_ptrIlEESB_jNS0_19identity_decomposerENS1_16block_id_wrapperIjLb1EEEEE10hipError_tT1_PNSt15iterator_traitsISG_E10value_typeET2_T3_PNSH_ISM_E10value_typeET4_T5_PSR_SS_PNS1_23onesweep_lookback_stateEbbT6_jjT7_P12ihipStream_tbENKUlT_T0_SG_SL_E_clIS7_S7_SB_PlEEDaSZ_S10_SG_SL_EUlSZ_E_NS1_11comp_targetILNS1_3genE2ELNS1_11target_archE906ELNS1_3gpuE6ELNS1_3repE0EEENS1_47radix_sort_onesweep_sort_config_static_selectorELNS0_4arch9wavefront6targetE1EEEvSG_,@function
_ZN7rocprim17ROCPRIM_400000_NS6detail17trampoline_kernelINS0_14default_configENS1_35radix_sort_onesweep_config_selectorIslEEZZNS1_29radix_sort_onesweep_iterationIS3_Lb0EPsS7_N6thrust23THRUST_200600_302600_NS10device_ptrIlEESB_jNS0_19identity_decomposerENS1_16block_id_wrapperIjLb1EEEEE10hipError_tT1_PNSt15iterator_traitsISG_E10value_typeET2_T3_PNSH_ISM_E10value_typeET4_T5_PSR_SS_PNS1_23onesweep_lookback_stateEbbT6_jjT7_P12ihipStream_tbENKUlT_T0_SG_SL_E_clIS7_S7_SB_PlEEDaSZ_S10_SG_SL_EUlSZ_E_NS1_11comp_targetILNS1_3genE2ELNS1_11target_archE906ELNS1_3gpuE6ELNS1_3repE0EEENS1_47radix_sort_onesweep_sort_config_static_selectorELNS0_4arch9wavefront6targetE1EEEvSG_: ; @_ZN7rocprim17ROCPRIM_400000_NS6detail17trampoline_kernelINS0_14default_configENS1_35radix_sort_onesweep_config_selectorIslEEZZNS1_29radix_sort_onesweep_iterationIS3_Lb0EPsS7_N6thrust23THRUST_200600_302600_NS10device_ptrIlEESB_jNS0_19identity_decomposerENS1_16block_id_wrapperIjLb1EEEEE10hipError_tT1_PNSt15iterator_traitsISG_E10value_typeET2_T3_PNSH_ISM_E10value_typeET4_T5_PSR_SS_PNS1_23onesweep_lookback_stateEbbT6_jjT7_P12ihipStream_tbENKUlT_T0_SG_SL_E_clIS7_S7_SB_PlEEDaSZ_S10_SG_SL_EUlSZ_E_NS1_11comp_targetILNS1_3genE2ELNS1_11target_archE906ELNS1_3gpuE6ELNS1_3repE0EEENS1_47radix_sort_onesweep_sort_config_static_selectorELNS0_4arch9wavefront6targetE1EEEvSG_
; %bb.0:
	s_load_dwordx4 s[28:31], s[4:5], 0x28
	s_load_dwordx2 s[34:35], s[4:5], 0x38
	s_load_dwordx4 s[44:47], s[4:5], 0x44
	s_add_u32 s0, s0, s7
	s_addc_u32 s1, s1, 0
	v_cmp_eq_u32_e64 s[22:23], 0, v0
	s_and_saveexec_b64 s[8:9], s[22:23]
	s_cbranch_execz .LBB1410_4
; %bb.1:
	s_mov_b64 s[12:13], exec
	v_mbcnt_lo_u32_b32 v3, s12, 0
	v_mbcnt_hi_u32_b32 v3, s13, v3
	v_cmp_eq_u32_e32 vcc, 0, v3
                                        ; implicit-def: $vgpr4
	s_and_saveexec_b64 s[10:11], vcc
	s_cbranch_execz .LBB1410_3
; %bb.2:
	s_load_dwordx2 s[14:15], s[4:5], 0x50
	s_bcnt1_i32_b64 s7, s[12:13]
	v_mov_b32_e32 v4, 0
	v_mov_b32_e32 v5, s7
	s_waitcnt lgkmcnt(0)
	global_atomic_add v4, v4, v5, s[14:15] glc
.LBB1410_3:
	s_or_b64 exec, exec, s[10:11]
	s_waitcnt vmcnt(0)
	v_readfirstlane_b32 s7, v4
	v_add_u32_e32 v3, s7, v3
	v_mov_b32_e32 v4, 0
	ds_write_b32 v4, v3 offset:10272
.LBB1410_4:
	s_or_b64 exec, exec, s[8:9]
	v_mov_b32_e32 v3, 0
	s_load_dwordx8 s[36:43], s[4:5], 0x0
	s_load_dword s7, s[4:5], 0x20
	s_waitcnt lgkmcnt(0)
	s_barrier
	ds_read_b32 v3, v3 offset:10272
	s_mov_b64 s[8:9], -1
	v_mbcnt_lo_u32_b32 v17, -1, 0
	s_waitcnt lgkmcnt(0)
	s_barrier
	v_readfirstlane_b32 s33, v3
	v_cmp_le_u32_e32 vcc, s46, v3
	s_mul_i32 s26, s33, 0xc00
	s_cbranch_vccz .LBB1410_82
; %bb.5:
	s_mul_i32 s8, s46, 0xfffff400
	s_mov_b32 s27, 0
	s_add_i32 s7, s8, s7
	s_lshl_b64 s[8:9], s[26:27], 1
	v_mbcnt_hi_u32_b32 v11, -1, v17
	s_add_u32 s8, s36, s8
	v_and_b32_e32 v10, 63, v11
	s_addc_u32 s9, s37, s9
	v_and_b32_e32 v12, 0x1c0, v0
	v_lshlrev_b32_e32 v3, 1, v10
	v_mul_u32_u24_e32 v9, 6, v12
	v_mov_b32_e32 v4, s9
	v_add_co_u32_e32 v3, vcc, s8, v3
	v_addc_co_u32_e32 v4, vcc, 0, v4, vcc
	v_lshlrev_b32_e32 v5, 1, v9
	v_add_co_u32_e32 v7, vcc, v3, v5
	v_addc_co_u32_e32 v8, vcc, 0, v4, vcc
	v_or_b32_e32 v13, v10, v9
	v_mov_b32_e32 v3, 0x7fff7fff
	v_cmp_gt_u32_e32 vcc, s7, v13
	v_mov_b32_e32 v4, v3
	v_mov_b32_e32 v5, v3
	s_and_saveexec_b64 s[8:9], vcc
	s_cbranch_execz .LBB1410_7
; %bb.6:
	global_load_ushort v4, v[7:8], off
	s_movk_i32 s10, 0x7fff
	v_mov_b32_e32 v6, 0x5040100
	v_mov_b32_e32 v5, v3
	s_waitcnt vmcnt(0)
	v_perm_b32 v4, s10, v4, v6
	v_mov_b32_e32 v6, v3
	v_mov_b32_e32 v3, v4
	;; [unrolled: 1-line block ×5, first 2 shown]
.LBB1410_7:
	s_or_b64 exec, exec, s[8:9]
	v_or_b32_e32 v6, 64, v13
	v_cmp_gt_u32_e64 s[8:9], s7, v6
	s_and_saveexec_b64 s[10:11], s[8:9]
	s_cbranch_execz .LBB1410_9
; %bb.8:
	global_load_ushort v6, v[7:8], off offset:128
	s_mov_b32 s12, 0x5040100
	s_waitcnt vmcnt(0)
	v_perm_b32 v3, v6, v3, s12
.LBB1410_9:
	s_or_b64 exec, exec, s[10:11]
	v_add_u32_e32 v6, 0x80, v13
	v_cmp_gt_u32_e64 s[10:11], s7, v6
	s_and_saveexec_b64 s[12:13], s[10:11]
	s_cbranch_execz .LBB1410_11
; %bb.10:
	global_load_ushort v6, v[7:8], off offset:256
	s_mov_b32 s14, 0xffff
	s_waitcnt vmcnt(0)
	v_bfi_b32 v4, s14, v6, v4
.LBB1410_11:
	s_or_b64 exec, exec, s[12:13]
	v_add_u32_e32 v6, 0xc0, v13
	v_cmp_gt_u32_e64 s[12:13], s7, v6
	s_and_saveexec_b64 s[14:15], s[12:13]
	s_cbranch_execz .LBB1410_13
; %bb.12:
	global_load_ushort v6, v[7:8], off offset:384
	s_mov_b32 s16, 0x5040100
	s_waitcnt vmcnt(0)
	v_perm_b32 v4, v6, v4, s16
.LBB1410_13:
	s_or_b64 exec, exec, s[14:15]
	v_add_u32_e32 v6, 0x100, v13
	v_cmp_gt_u32_e64 s[14:15], s7, v6
	s_and_saveexec_b64 s[16:17], s[14:15]
	s_cbranch_execz .LBB1410_15
; %bb.14:
	global_load_ushort v6, v[7:8], off offset:512
	s_mov_b32 s18, 0xffff
	s_waitcnt vmcnt(0)
	v_bfi_b32 v5, s18, v6, v5
.LBB1410_15:
	s_or_b64 exec, exec, s[16:17]
	v_add_u32_e32 v6, 0x140, v13
	v_cmp_gt_u32_e64 s[16:17], s7, v6
	s_and_saveexec_b64 s[18:19], s[16:17]
	s_cbranch_execz .LBB1410_17
; %bb.16:
	global_load_ushort v6, v[7:8], off offset:640
	s_mov_b32 s20, 0x5040100
	s_waitcnt vmcnt(0)
	v_perm_b32 v5, v6, v5, s20
.LBB1410_17:
	s_or_b64 exec, exec, s[18:19]
	s_load_dword s18, s[4:5], 0x64
	s_load_dword s52, s[4:5], 0x58
	s_add_u32 s19, s4, 0x58
	s_addc_u32 s20, s5, 0
	v_mov_b32_e32 v6, 0
	s_waitcnt lgkmcnt(0)
	s_lshr_b32 s21, s18, 16
	s_cmp_lt_u32 s6, s52
	s_cselect_b32 s18, 12, 18
	s_add_u32 s18, s19, s18
	s_addc_u32 s19, s20, 0
	global_load_ushort v8, v6, s[18:19]
	v_xor_b32_e32 v13, 0xffff8000, v3
	s_lshl_b32 s18, -1, s45
	v_lshrrev_b32_sdwa v7, s44, v13 dst_sel:DWORD dst_unused:UNUSED_PAD src0_sel:DWORD src1_sel:WORD_0
	s_not_b32 s53, s18
	v_and_b32_e32 v16, s53, v7
	v_and_b32_e32 v19, 1, v16
	v_add_co_u32_e64 v20, s[18:19], -1, v19
	v_lshlrev_b32_e32 v7, 30, v16
	v_addc_co_u32_e64 v21, s[18:19], 0, -1, s[18:19]
	v_mad_u32_u24 v15, v2, s21, v1
	v_cmp_ne_u32_e64 s[18:19], 0, v19
	v_cmp_gt_i64_e64 s[20:21], 0, v[6:7]
	v_not_b32_e32 v19, v7
	v_lshlrev_b32_e32 v7, 29, v16
	v_xor_b32_e32 v21, s19, v21
	v_xor_b32_e32 v20, s18, v20
	v_ashrrev_i32_e32 v19, 31, v19
	v_cmp_gt_i64_e64 s[18:19], 0, v[6:7]
	v_not_b32_e32 v22, v7
	v_lshlrev_b32_e32 v7, 28, v16
	v_and_b32_e32 v21, exec_hi, v21
	v_and_b32_e32 v20, exec_lo, v20
	v_xor_b32_e32 v23, s21, v19
	v_xor_b32_e32 v19, s20, v19
	v_ashrrev_i32_e32 v22, 31, v22
	v_cmp_gt_i64_e64 s[20:21], 0, v[6:7]
	v_not_b32_e32 v24, v7
	v_lshlrev_b32_e32 v7, 27, v16
	v_and_b32_e32 v21, v21, v23
	v_and_b32_e32 v19, v20, v19
	v_xor_b32_e32 v20, s19, v22
	v_xor_b32_e32 v22, s18, v22
	v_ashrrev_i32_e32 v23, 31, v24
	v_cmp_gt_i64_e64 s[18:19], 0, v[6:7]
	v_not_b32_e32 v24, v7
	v_lshlrev_b32_e32 v7, 26, v16
	v_and_b32_e32 v20, v21, v20
	v_and_b32_e32 v19, v19, v22
	;; [unrolled: 8-line block ×3, first 2 shown]
	v_xor_b32_e32 v21, s19, v23
	v_xor_b32_e32 v22, s18, v23
	v_ashrrev_i32_e32 v23, 31, v24
	v_cmp_gt_i64_e64 s[18:19], 0, v[6:7]
	v_not_b32_e32 v24, v7
	v_mul_u32_u24_e32 v18, 36, v16
	v_lshlrev_b32_e32 v7, 24, v16
	v_and_b32_e32 v16, v20, v21
	v_and_b32_e32 v19, v19, v22
	v_xor_b32_e32 v20, s21, v23
	v_ashrrev_i32_e32 v22, 31, v24
	v_xor_b32_e32 v21, s20, v23
	v_and_b32_e32 v16, v16, v20
	v_xor_b32_e32 v20, s19, v22
	v_and_b32_e32 v19, v19, v21
	v_xor_b32_e32 v21, s18, v22
	v_and_b32_e32 v20, v16, v20
	v_cmp_gt_i64_e64 s[20:21], 0, v[6:7]
	v_not_b32_e32 v7, v7
	v_ashrrev_i32_e32 v7, 31, v7
	v_and_b32_e32 v19, v19, v21
	v_xor_b32_e32 v21, s21, v7
	v_xor_b32_e32 v7, s20, v7
	v_and_b32_e32 v7, v19, v7
	s_movk_i32 s24, 0x8000
	v_mul_u32_u24_e32 v14, 20, v0
	ds_write2_b32 v14, v6, v6 offset0:8 offset1:9
	ds_write2_b32 v14, v6, v6 offset0:10 offset1:11
	ds_write_b32 v14, v6 offset:48
	s_waitcnt vmcnt(0) lgkmcnt(0)
	s_barrier
	v_mad_u64_u32 v[15:16], s[18:19], v15, v8, v[0:1]
	v_and_b32_e32 v8, v20, v21
	v_cmp_ne_u64_e64 s[18:19], 0, v[7:8]
	v_lshrrev_b32_e32 v15, 4, v15
	v_and_b32_e32 v31, 0xffffffc, v15
	v_mbcnt_lo_u32_b32 v15, v7, 0
	v_mbcnt_hi_u32_b32 v15, v8, v15
	v_cmp_eq_u32_e64 s[20:21], 0, v15
	s_and_b64 s[20:21], s[18:19], s[20:21]
	v_add_u32_e32 v27, v31, v18
	; wave barrier
	s_and_saveexec_b64 s[18:19], s[20:21]
; %bb.18:
	v_bcnt_u32_b32 v7, v7, 0
	v_bcnt_u32_b32 v7, v8, v7
	ds_write_b32 v27, v7 offset:32
; %bb.19:
	s_or_b64 exec, exec, s[18:19]
	v_xor_b32_sdwa v16, v3, s24 dst_sel:DWORD dst_unused:UNUSED_PAD src0_sel:WORD_1 src1_sel:DWORD
	v_lshrrev_b32_sdwa v3, s44, v16 dst_sel:DWORD dst_unused:UNUSED_PAD src0_sel:DWORD src1_sel:WORD_0
	v_and_b32_e32 v3, s53, v3
	v_mad_u32_u24 v7, v3, 36, v31
	; wave barrier
	ds_read_b32 v18, v7 offset:32
	v_and_b32_e32 v7, 1, v3
	v_add_co_u32_e64 v19, s[18:19], -1, v7
	v_addc_co_u32_e64 v20, s[18:19], 0, -1, s[18:19]
	v_cmp_ne_u32_e64 s[18:19], 0, v7
	v_xor_b32_e32 v7, s19, v20
	v_and_b32_e32 v20, exec_hi, v7
	v_lshlrev_b32_e32 v7, 30, v3
	v_xor_b32_e32 v19, s18, v19
	v_cmp_gt_i64_e64 s[18:19], 0, v[6:7]
	v_not_b32_e32 v7, v7
	v_ashrrev_i32_e32 v7, 31, v7
	v_and_b32_e32 v19, exec_lo, v19
	v_xor_b32_e32 v21, s19, v7
	v_xor_b32_e32 v7, s18, v7
	v_and_b32_e32 v19, v19, v7
	v_lshlrev_b32_e32 v7, 29, v3
	v_cmp_gt_i64_e64 s[18:19], 0, v[6:7]
	v_not_b32_e32 v7, v7
	v_ashrrev_i32_e32 v7, 31, v7
	v_and_b32_e32 v20, v20, v21
	v_xor_b32_e32 v21, s19, v7
	v_xor_b32_e32 v7, s18, v7
	v_and_b32_e32 v19, v19, v7
	v_lshlrev_b32_e32 v7, 28, v3
	v_cmp_gt_i64_e64 s[18:19], 0, v[6:7]
	v_not_b32_e32 v7, v7
	v_ashrrev_i32_e32 v7, 31, v7
	v_and_b32_e32 v20, v20, v21
	;; [unrolled: 8-line block ×5, first 2 shown]
	v_xor_b32_e32 v21, s19, v7
	v_xor_b32_e32 v7, s18, v7
	v_and_b32_e32 v19, v19, v7
	v_lshlrev_b32_e32 v7, 24, v3
	v_mul_u32_u24_e32 v8, 36, v3
	v_cmp_gt_i64_e64 s[18:19], 0, v[6:7]
	v_not_b32_e32 v3, v7
	v_ashrrev_i32_e32 v3, 31, v3
	v_and_b32_e32 v20, v20, v21
	v_xor_b32_e32 v6, s19, v3
	v_xor_b32_e32 v3, s18, v3
	v_and_b32_e32 v7, v20, v6
	v_and_b32_e32 v6, v19, v3
	v_mbcnt_lo_u32_b32 v3, v6, 0
	v_mbcnt_hi_u32_b32 v19, v7, v3
	v_cmp_ne_u64_e64 s[18:19], 0, v[6:7]
	v_cmp_eq_u32_e64 s[20:21], 0, v19
	s_and_b64 s[20:21], s[18:19], s[20:21]
	v_add_u32_e32 v30, v31, v8
	; wave barrier
	s_and_saveexec_b64 s[18:19], s[20:21]
	s_cbranch_execz .LBB1410_21
; %bb.20:
	v_bcnt_u32_b32 v3, v6, 0
	v_bcnt_u32_b32 v3, v7, v3
	s_waitcnt lgkmcnt(0)
	v_add_u32_e32 v3, v18, v3
	ds_write_b32 v30, v3 offset:32
.LBB1410_21:
	s_or_b64 exec, exec, s[18:19]
	v_xor_b32_e32 v28, 0xffff8000, v4
	v_lshrrev_b32_sdwa v3, s44, v28 dst_sel:DWORD dst_unused:UNUSED_PAD src0_sel:DWORD src1_sel:WORD_0
	v_and_b32_e32 v3, s53, v3
	v_and_b32_e32 v7, 1, v3
	v_add_co_u32_e64 v8, s[18:19], -1, v7
	v_addc_co_u32_e64 v21, s[18:19], 0, -1, s[18:19]
	v_cmp_ne_u32_e64 s[18:19], 0, v7
	v_mad_u32_u24 v6, v3, 36, v31
	v_xor_b32_e32 v7, s19, v21
	; wave barrier
	ds_read_b32 v20, v6 offset:32
	v_mov_b32_e32 v6, 0
	v_and_b32_e32 v21, exec_hi, v7
	v_lshlrev_b32_e32 v7, 30, v3
	v_xor_b32_e32 v8, s18, v8
	v_cmp_gt_i64_e64 s[18:19], 0, v[6:7]
	v_not_b32_e32 v7, v7
	v_ashrrev_i32_e32 v7, 31, v7
	v_and_b32_e32 v8, exec_lo, v8
	v_xor_b32_e32 v23, s19, v7
	v_xor_b32_e32 v7, s18, v7
	v_and_b32_e32 v8, v8, v7
	v_lshlrev_b32_e32 v7, 29, v3
	v_cmp_gt_i64_e64 s[18:19], 0, v[6:7]
	v_not_b32_e32 v7, v7
	v_ashrrev_i32_e32 v7, 31, v7
	v_and_b32_e32 v21, v21, v23
	v_xor_b32_e32 v23, s19, v7
	v_xor_b32_e32 v7, s18, v7
	v_and_b32_e32 v8, v8, v7
	v_lshlrev_b32_e32 v7, 28, v3
	v_cmp_gt_i64_e64 s[18:19], 0, v[6:7]
	v_not_b32_e32 v7, v7
	v_ashrrev_i32_e32 v7, 31, v7
	v_and_b32_e32 v21, v21, v23
	;; [unrolled: 8-line block ×5, first 2 shown]
	v_xor_b32_e32 v23, s19, v7
	v_xor_b32_e32 v7, s18, v7
	v_and_b32_e32 v21, v21, v23
	v_and_b32_e32 v23, v8, v7
	v_lshlrev_b32_e32 v7, 24, v3
	v_mul_u32_u24_e32 v22, 36, v3
	v_cmp_gt_i64_e64 s[18:19], 0, v[6:7]
	v_not_b32_e32 v3, v7
	v_ashrrev_i32_e32 v3, 31, v3
	v_xor_b32_e32 v7, s19, v3
	v_xor_b32_e32 v3, s18, v3
	v_and_b32_e32 v8, v21, v7
	v_and_b32_e32 v7, v23, v3
	v_mbcnt_lo_u32_b32 v3, v7, 0
	v_mbcnt_hi_u32_b32 v21, v8, v3
	v_cmp_ne_u64_e64 s[18:19], 0, v[7:8]
	v_cmp_eq_u32_e64 s[20:21], 0, v21
	s_and_b64 s[20:21], s[18:19], s[20:21]
	v_add_u32_e32 v33, v31, v22
	; wave barrier
	s_and_saveexec_b64 s[18:19], s[20:21]
	s_cbranch_execz .LBB1410_23
; %bb.22:
	v_bcnt_u32_b32 v3, v7, 0
	v_bcnt_u32_b32 v3, v8, v3
	s_waitcnt lgkmcnt(0)
	v_add_u32_e32 v3, v20, v3
	ds_write_b32 v33, v3 offset:32
.LBB1410_23:
	s_or_b64 exec, exec, s[18:19]
	v_xor_b32_sdwa v8, v4, s24 dst_sel:DWORD dst_unused:UNUSED_PAD src0_sel:WORD_1 src1_sel:DWORD
	v_lshrrev_b32_sdwa v3, s44, v8 dst_sel:DWORD dst_unused:UNUSED_PAD src0_sel:DWORD src1_sel:WORD_0
	v_and_b32_e32 v3, s53, v3
	v_mad_u32_u24 v4, v3, 36, v31
	; wave barrier
	ds_read_b32 v22, v4 offset:32
	v_and_b32_e32 v4, 1, v3
	v_add_co_u32_e64 v7, s[18:19], -1, v4
	v_addc_co_u32_e64 v23, s[18:19], 0, -1, s[18:19]
	v_cmp_ne_u32_e64 s[18:19], 0, v4
	v_xor_b32_e32 v7, s18, v7
	v_xor_b32_e32 v4, s19, v23
	v_and_b32_e32 v23, exec_lo, v7
	v_lshlrev_b32_e32 v7, 30, v3
	v_cmp_gt_i64_e64 s[18:19], 0, v[6:7]
	v_not_b32_e32 v7, v7
	v_ashrrev_i32_e32 v7, 31, v7
	v_xor_b32_e32 v25, s19, v7
	v_xor_b32_e32 v7, s18, v7
	v_and_b32_e32 v23, v23, v7
	v_lshlrev_b32_e32 v7, 29, v3
	v_cmp_gt_i64_e64 s[18:19], 0, v[6:7]
	v_not_b32_e32 v7, v7
	v_and_b32_e32 v4, exec_hi, v4
	v_ashrrev_i32_e32 v7, 31, v7
	v_and_b32_e32 v4, v4, v25
	v_xor_b32_e32 v25, s19, v7
	v_xor_b32_e32 v7, s18, v7
	v_and_b32_e32 v23, v23, v7
	v_lshlrev_b32_e32 v7, 28, v3
	v_cmp_gt_i64_e64 s[18:19], 0, v[6:7]
	v_not_b32_e32 v7, v7
	v_ashrrev_i32_e32 v7, 31, v7
	v_and_b32_e32 v4, v4, v25
	v_xor_b32_e32 v25, s19, v7
	v_xor_b32_e32 v7, s18, v7
	v_and_b32_e32 v23, v23, v7
	v_lshlrev_b32_e32 v7, 27, v3
	v_cmp_gt_i64_e64 s[18:19], 0, v[6:7]
	v_not_b32_e32 v7, v7
	;; [unrolled: 8-line block ×4, first 2 shown]
	v_ashrrev_i32_e32 v7, 31, v7
	v_and_b32_e32 v4, v4, v25
	v_xor_b32_e32 v25, s19, v7
	v_xor_b32_e32 v7, s18, v7
	v_and_b32_e32 v23, v23, v7
	v_lshlrev_b32_e32 v7, 24, v3
	v_mul_u32_u24_e32 v24, 36, v3
	v_cmp_gt_i64_e64 s[18:19], 0, v[6:7]
	v_not_b32_e32 v3, v7
	v_ashrrev_i32_e32 v3, 31, v3
	v_xor_b32_e32 v6, s19, v3
	v_xor_b32_e32 v3, s18, v3
	v_and_b32_e32 v4, v4, v25
	v_and_b32_e32 v3, v23, v3
	;; [unrolled: 1-line block ×3, first 2 shown]
	v_mbcnt_lo_u32_b32 v6, v3, 0
	v_mbcnt_hi_u32_b32 v23, v4, v6
	v_cmp_ne_u64_e64 s[18:19], 0, v[3:4]
	v_cmp_eq_u32_e64 s[20:21], 0, v23
	s_and_b64 s[20:21], s[18:19], s[20:21]
	v_add_u32_e32 v34, v31, v24
	; wave barrier
	s_and_saveexec_b64 s[18:19], s[20:21]
	s_cbranch_execz .LBB1410_25
; %bb.24:
	v_bcnt_u32_b32 v3, v3, 0
	v_bcnt_u32_b32 v3, v4, v3
	s_waitcnt lgkmcnt(0)
	v_add_u32_e32 v3, v22, v3
	ds_write_b32 v34, v3 offset:32
.LBB1410_25:
	s_or_b64 exec, exec, s[18:19]
	v_xor_b32_e32 v37, 0xffff8000, v5
	v_lshrrev_b32_sdwa v3, s44, v37 dst_sel:DWORD dst_unused:UNUSED_PAD src0_sel:DWORD src1_sel:WORD_0
	v_and_b32_e32 v6, s53, v3
	v_and_b32_e32 v4, 1, v6
	v_add_co_u32_e64 v7, s[18:19], -1, v4
	v_addc_co_u32_e64 v25, s[18:19], 0, -1, s[18:19]
	v_cmp_ne_u32_e64 s[18:19], 0, v4
	v_mad_u32_u24 v3, v6, 36, v31
	v_xor_b32_e32 v4, s19, v25
	; wave barrier
	ds_read_b32 v24, v3 offset:32
	v_mov_b32_e32 v3, 0
	v_and_b32_e32 v25, exec_hi, v4
	v_lshlrev_b32_e32 v4, 30, v6
	v_xor_b32_e32 v7, s18, v7
	v_cmp_gt_i64_e64 s[18:19], 0, v[3:4]
	v_not_b32_e32 v4, v4
	v_ashrrev_i32_e32 v4, 31, v4
	v_and_b32_e32 v7, exec_lo, v7
	v_xor_b32_e32 v29, s19, v4
	v_xor_b32_e32 v4, s18, v4
	v_and_b32_e32 v7, v7, v4
	v_lshlrev_b32_e32 v4, 29, v6
	v_cmp_gt_i64_e64 s[18:19], 0, v[3:4]
	v_not_b32_e32 v4, v4
	v_ashrrev_i32_e32 v4, 31, v4
	v_and_b32_e32 v25, v25, v29
	v_xor_b32_e32 v29, s19, v4
	v_xor_b32_e32 v4, s18, v4
	v_and_b32_e32 v7, v7, v4
	v_lshlrev_b32_e32 v4, 28, v6
	v_cmp_gt_i64_e64 s[18:19], 0, v[3:4]
	v_not_b32_e32 v4, v4
	v_ashrrev_i32_e32 v4, 31, v4
	v_and_b32_e32 v25, v25, v29
	;; [unrolled: 8-line block ×5, first 2 shown]
	v_xor_b32_e32 v29, s19, v4
	v_xor_b32_e32 v4, s18, v4
	v_and_b32_e32 v25, v25, v29
	v_and_b32_e32 v29, v7, v4
	v_lshlrev_b32_e32 v4, 24, v6
	v_cmp_gt_i64_e64 s[18:19], 0, v[3:4]
	v_not_b32_e32 v4, v4
	v_ashrrev_i32_e32 v4, 31, v4
	v_mul_u32_u24_e32 v26, 36, v6
	v_xor_b32_e32 v6, s19, v4
	v_xor_b32_e32 v4, s18, v4
	v_and_b32_e32 v7, v25, v6
	v_and_b32_e32 v6, v29, v4
	v_mbcnt_lo_u32_b32 v4, v6, 0
	v_mbcnt_hi_u32_b32 v25, v7, v4
	v_cmp_ne_u64_e64 s[18:19], 0, v[6:7]
	v_cmp_eq_u32_e64 s[20:21], 0, v25
	s_and_b64 s[20:21], s[18:19], s[20:21]
	v_add_u32_e32 v35, v31, v26
	; wave barrier
	s_and_saveexec_b64 s[18:19], s[20:21]
	s_cbranch_execz .LBB1410_27
; %bb.26:
	v_bcnt_u32_b32 v4, v6, 0
	v_bcnt_u32_b32 v4, v7, v4
	s_waitcnt lgkmcnt(0)
	v_add_u32_e32 v4, v24, v4
	ds_write_b32 v35, v4 offset:32
.LBB1410_27:
	s_or_b64 exec, exec, s[18:19]
	v_xor_b32_sdwa v7, v5, s24 dst_sel:DWORD dst_unused:UNUSED_PAD src0_sel:WORD_1 src1_sel:DWORD
	v_lshrrev_b32_sdwa v4, s44, v7 dst_sel:DWORD dst_unused:UNUSED_PAD src0_sel:DWORD src1_sel:WORD_0
	v_and_b32_e32 v5, s53, v4
	v_mad_u32_u24 v4, v5, 36, v31
	; wave barrier
	ds_read_b32 v26, v4 offset:32
	v_and_b32_e32 v4, 1, v5
	v_add_co_u32_e64 v29, s[18:19], -1, v4
	v_addc_co_u32_e64 v32, s[18:19], 0, -1, s[18:19]
	v_cmp_ne_u32_e64 s[18:19], 0, v4
	v_xor_b32_e32 v4, s19, v32
	v_and_b32_e32 v32, exec_hi, v4
	v_lshlrev_b32_e32 v4, 30, v5
	v_xor_b32_e32 v29, s18, v29
	v_cmp_gt_i64_e64 s[18:19], 0, v[3:4]
	v_not_b32_e32 v4, v4
	v_ashrrev_i32_e32 v4, 31, v4
	v_and_b32_e32 v29, exec_lo, v29
	v_xor_b32_e32 v36, s19, v4
	v_xor_b32_e32 v4, s18, v4
	v_and_b32_e32 v29, v29, v4
	v_lshlrev_b32_e32 v4, 29, v5
	v_cmp_gt_i64_e64 s[18:19], 0, v[3:4]
	v_not_b32_e32 v4, v4
	v_ashrrev_i32_e32 v4, 31, v4
	v_and_b32_e32 v32, v32, v36
	v_xor_b32_e32 v36, s19, v4
	v_xor_b32_e32 v4, s18, v4
	v_and_b32_e32 v29, v29, v4
	v_lshlrev_b32_e32 v4, 28, v5
	v_cmp_gt_i64_e64 s[18:19], 0, v[3:4]
	v_not_b32_e32 v4, v4
	v_ashrrev_i32_e32 v4, 31, v4
	v_and_b32_e32 v32, v32, v36
	;; [unrolled: 8-line block ×5, first 2 shown]
	v_xor_b32_e32 v36, s19, v4
	v_xor_b32_e32 v4, s18, v4
	v_and_b32_e32 v29, v29, v4
	v_lshlrev_b32_e32 v4, 24, v5
	v_cmp_gt_i64_e64 s[18:19], 0, v[3:4]
	v_not_b32_e32 v3, v4
	v_ashrrev_i32_e32 v3, 31, v3
	v_xor_b32_e32 v4, s19, v3
	v_xor_b32_e32 v3, s18, v3
	v_and_b32_e32 v32, v32, v36
	v_and_b32_e32 v3, v29, v3
	v_mul_u32_u24_e32 v6, 36, v5
	v_and_b32_e32 v4, v32, v4
	v_mbcnt_lo_u32_b32 v5, v3, 0
	v_mbcnt_hi_u32_b32 v29, v4, v5
	v_cmp_ne_u64_e64 s[18:19], 0, v[3:4]
	v_cmp_eq_u32_e64 s[20:21], 0, v29
	s_and_b64 s[20:21], s[18:19], s[20:21]
	v_add_u32_e32 v31, v31, v6
	; wave barrier
	s_and_saveexec_b64 s[18:19], s[20:21]
	s_cbranch_execz .LBB1410_29
; %bb.28:
	v_bcnt_u32_b32 v3, v3, 0
	v_bcnt_u32_b32 v3, v4, v3
	s_waitcnt lgkmcnt(0)
	v_add_u32_e32 v3, v26, v3
	ds_write_b32 v31, v3 offset:32
.LBB1410_29:
	s_or_b64 exec, exec, s[18:19]
	; wave barrier
	s_waitcnt lgkmcnt(0)
	s_barrier
	ds_read2_b32 v[5:6], v14 offset0:8 offset1:9
	ds_read2_b32 v[3:4], v14 offset0:10 offset1:11
	ds_read_b32 v32, v14 offset:48
	v_min_u32_e32 v12, 0x1c0, v12
	v_or_b32_e32 v12, 63, v12
	s_waitcnt lgkmcnt(1)
	v_add3_u32 v36, v6, v5, v3
	s_waitcnt lgkmcnt(0)
	v_add3_u32 v32, v36, v4, v32
	v_and_b32_e32 v36, 15, v11
	v_cmp_ne_u32_e64 s[18:19], 0, v36
	v_mov_b32_dpp v38, v32 row_shr:1 row_mask:0xf bank_mask:0xf
	v_cndmask_b32_e64 v38, 0, v38, s[18:19]
	v_add_u32_e32 v32, v38, v32
	v_cmp_lt_u32_e64 s[18:19], 1, v36
	s_nop 0
	v_mov_b32_dpp v38, v32 row_shr:2 row_mask:0xf bank_mask:0xf
	v_cndmask_b32_e64 v38, 0, v38, s[18:19]
	v_add_u32_e32 v32, v32, v38
	v_cmp_lt_u32_e64 s[18:19], 3, v36
	s_nop 0
	;; [unrolled: 5-line block ×3, first 2 shown]
	v_mov_b32_dpp v38, v32 row_shr:8 row_mask:0xf bank_mask:0xf
	v_cndmask_b32_e64 v36, 0, v38, s[18:19]
	v_add_u32_e32 v32, v32, v36
	v_bfe_i32 v38, v11, 4, 1
	v_cmp_lt_u32_e64 s[18:19], 31, v11
	v_mov_b32_dpp v36, v32 row_bcast:15 row_mask:0xf bank_mask:0xf
	v_and_b32_e32 v36, v38, v36
	v_add_u32_e32 v32, v32, v36
	s_nop 1
	v_mov_b32_dpp v36, v32 row_bcast:31 row_mask:0xf bank_mask:0xf
	v_cndmask_b32_e64 v36, 0, v36, s[18:19]
	v_add_u32_e32 v32, v32, v36
	v_lshrrev_b32_e32 v36, 6, v0
	v_cmp_eq_u32_e64 s[18:19], v0, v12
	s_and_saveexec_b64 s[20:21], s[18:19]
; %bb.30:
	v_lshlrev_b32_e32 v12, 2, v36
	ds_write_b32 v12, v32
; %bb.31:
	s_or_b64 exec, exec, s[20:21]
	v_cmp_gt_u32_e64 s[18:19], 8, v0
	s_waitcnt lgkmcnt(0)
	s_barrier
	s_and_saveexec_b64 s[24:25], s[18:19]
	s_cbranch_execz .LBB1410_33
; %bb.32:
	v_lshlrev_b32_e32 v12, 2, v0
	ds_read_b32 v38, v12
	v_and_b32_e32 v39, 7, v11
	v_cmp_ne_u32_e64 s[18:19], 0, v39
	v_cmp_lt_u32_e64 s[20:21], 1, v39
	s_waitcnt lgkmcnt(0)
	v_mov_b32_dpp v40, v38 row_shr:1 row_mask:0xf bank_mask:0xf
	v_cndmask_b32_e64 v40, 0, v40, s[18:19]
	v_add_u32_e32 v38, v40, v38
	v_cmp_lt_u32_e64 s[18:19], 3, v39
	s_nop 0
	v_mov_b32_dpp v40, v38 row_shr:2 row_mask:0xf bank_mask:0xf
	v_cndmask_b32_e64 v40, 0, v40, s[20:21]
	v_add_u32_e32 v38, v38, v40
	s_nop 1
	v_mov_b32_dpp v40, v38 row_shr:4 row_mask:0xf bank_mask:0xf
	v_cndmask_b32_e64 v39, 0, v40, s[18:19]
	v_add_u32_e32 v38, v38, v39
	ds_write_b32 v12, v38
.LBB1410_33:
	s_or_b64 exec, exec, s[24:25]
	v_cmp_lt_u32_e64 s[18:19], 63, v0
	v_mov_b32_e32 v12, 0
	s_waitcnt lgkmcnt(0)
	s_barrier
	s_and_saveexec_b64 s[20:21], s[18:19]
; %bb.34:
	v_lshl_add_u32 v12, v36, 2, -4
	ds_read_b32 v12, v12
; %bb.35:
	s_or_b64 exec, exec, s[20:21]
	v_subrev_co_u32_e64 v36, s[18:19], 1, v11
	v_and_b32_e32 v38, 64, v11
	v_cmp_lt_i32_e64 s[20:21], v36, v38
	v_cndmask_b32_e64 v11, v36, v11, s[20:21]
	s_waitcnt lgkmcnt(0)
	v_add_u32_e32 v32, v12, v32
	v_lshlrev_b32_e32 v11, 2, v11
	ds_bpermute_b32 v11, v11, v32
	s_movk_i32 s24, 0x100
	v_cmp_gt_u32_e64 s[20:21], s24, v0
	s_waitcnt lgkmcnt(0)
	v_cndmask_b32_e64 v11, v11, v12, s[18:19]
	v_cndmask_b32_e64 v11, v11, 0, s[22:23]
	v_add_u32_e32 v5, v11, v5
	v_add_u32_e32 v6, v5, v6
	;; [unrolled: 1-line block ×4, first 2 shown]
	ds_write2_b32 v14, v11, v5 offset0:8 offset1:9
	ds_write2_b32 v14, v6, v3 offset0:10 offset1:11
	ds_write_b32 v14, v4 offset:48
	s_waitcnt lgkmcnt(0)
	s_barrier
	ds_read_b32 v3, v27 offset:32
	ds_read_b32 v32, v30 offset:32
	;; [unrolled: 1-line block ×6, first 2 shown]
	s_movk_i32 s18, 0xff
	v_cmp_lt_u32_e64 s[18:19], s18, v0
                                        ; implicit-def: $vgpr27
                                        ; implicit-def: $vgpr30
	s_and_saveexec_b64 s[46:47], s[20:21]
	s_cbranch_execz .LBB1410_39
; %bb.36:
	v_mul_u32_u24_e32 v4, 36, v0
	ds_read_b32 v27, v4 offset:32
	v_add_u32_e32 v5, 1, v0
	v_cmp_ne_u32_e64 s[24:25], s24, v5
	v_mov_b32_e32 v4, 0xc00
	s_and_saveexec_b64 s[48:49], s[24:25]
; %bb.37:
	v_mul_u32_u24_e32 v4, 36, v5
	ds_read_b32 v4, v4 offset:32
; %bb.38:
	s_or_b64 exec, exec, s[48:49]
	s_waitcnt lgkmcnt(0)
	v_sub_u32_e32 v30, v4, v27
.LBB1410_39:
	s_or_b64 exec, exec, s[46:47]
	s_waitcnt lgkmcnt(5)
	v_add_u32_e32 v31, v3, v15
	v_add_u32_e32 v12, v19, v18
	v_lshlrev_b32_e32 v3, 1, v31
	v_add_u32_e32 v11, v21, v20
	s_waitcnt lgkmcnt(0)
	s_barrier
	ds_write_b16 v3, v13 offset:1024
	v_add_lshl_u32 v3, v12, v32, 1
	v_add_u32_e32 v6, v23, v22
	ds_write_b16 v3, v16 offset:1024
	v_add_lshl_u32 v3, v11, v33, 1
	v_add_u32_e32 v5, v25, v24
	ds_write_b16 v3, v28 offset:1024
	v_add_lshl_u32 v3, v6, v34, 1
	v_add_u32_e32 v4, v29, v26
	ds_write_b16 v3, v8 offset:1024
	v_add_lshl_u32 v3, v5, v35, 1
	ds_write_b16 v3, v37 offset:1024
	v_add_lshl_u32 v3, v4, v36, 1
	v_mov_b32_e32 v4, 0
	v_lshlrev_b32_e32 v28, 2, v0
	ds_write_b16 v3, v7 offset:1024
	s_and_saveexec_b64 s[24:25], s[20:21]
	s_cbranch_execz .LBB1410_49
; %bb.40:
	v_lshl_add_u32 v3, s33, 8, v0
	v_lshlrev_b64 v[5:6], 2, v[3:4]
	v_mov_b32_e32 v11, s35
	v_add_co_u32_e64 v5, s[20:21], s34, v5
	v_addc_co_u32_e64 v6, s[20:21], v11, v6, s[20:21]
	v_or_b32_e32 v3, 2.0, v30
	s_mov_b64 s[46:47], 0
	s_brev_b32 s54, -4
	s_mov_b32 s55, s33
	v_mov_b32_e32 v12, 0
	global_store_dword v[5:6], v3, off
                                        ; implicit-def: $sgpr20_sgpr21
	s_branch .LBB1410_43
.LBB1410_41:                            ;   in Loop: Header=BB1410_43 Depth=1
	s_or_b64 exec, exec, s[50:51]
.LBB1410_42:                            ;   in Loop: Header=BB1410_43 Depth=1
	s_or_b64 exec, exec, s[48:49]
	v_and_b32_e32 v7, 0x3fffffff, v3
	v_add_u32_e32 v12, v7, v12
	v_cmp_gt_i32_e64 s[20:21], -2.0, v3
	s_and_b64 s[48:49], exec, s[20:21]
	s_or_b64 s[46:47], s[48:49], s[46:47]
	s_andn2_b64 exec, exec, s[46:47]
	s_cbranch_execz .LBB1410_48
.LBB1410_43:                            ; =>This Loop Header: Depth=1
                                        ;     Child Loop BB1410_46 Depth 2
	s_or_b64 s[20:21], s[20:21], exec
	s_cmp_eq_u32 s55, 0
	s_cbranch_scc1 .LBB1410_47
; %bb.44:                               ;   in Loop: Header=BB1410_43 Depth=1
	s_add_i32 s55, s55, -1
	v_lshl_or_b32 v3, s55, 8, v0
	v_lshlrev_b64 v[7:8], 2, v[3:4]
	v_add_co_u32_e64 v7, s[20:21], s34, v7
	v_addc_co_u32_e64 v8, s[20:21], v11, v8, s[20:21]
	global_load_dword v3, v[7:8], off glc
	s_waitcnt vmcnt(0)
	v_cmp_gt_u32_e64 s[20:21], 2.0, v3
	s_and_saveexec_b64 s[48:49], s[20:21]
	s_cbranch_execz .LBB1410_42
; %bb.45:                               ;   in Loop: Header=BB1410_43 Depth=1
	s_mov_b64 s[50:51], 0
.LBB1410_46:                            ;   Parent Loop BB1410_43 Depth=1
                                        ; =>  This Inner Loop Header: Depth=2
	global_load_dword v3, v[7:8], off glc
	s_waitcnt vmcnt(0)
	v_cmp_lt_u32_e64 s[20:21], s54, v3
	s_or_b64 s[50:51], s[20:21], s[50:51]
	s_andn2_b64 exec, exec, s[50:51]
	s_cbranch_execnz .LBB1410_46
	s_branch .LBB1410_41
.LBB1410_47:                            ;   in Loop: Header=BB1410_43 Depth=1
                                        ; implicit-def: $sgpr55
	s_and_b64 s[48:49], exec, s[20:21]
	s_or_b64 s[46:47], s[48:49], s[46:47]
	s_andn2_b64 exec, exec, s[46:47]
	s_cbranch_execnz .LBB1410_43
.LBB1410_48:
	s_or_b64 exec, exec, s[46:47]
	v_add_u32_e32 v3, v12, v30
	v_or_b32_e32 v3, 0x80000000, v3
	global_store_dword v[5:6], v3, off
	global_load_dword v3, v28, s[28:29]
	v_sub_u32_e32 v4, v12, v27
	s_waitcnt vmcnt(0)
	v_add_u32_e32 v3, v4, v3
	ds_write_b32 v28, v3
.LBB1410_49:
	s_or_b64 exec, exec, s[24:25]
	v_cmp_gt_u32_e64 s[20:21], s7, v0
	s_waitcnt lgkmcnt(0)
	s_barrier
	s_and_saveexec_b64 s[24:25], s[20:21]
	s_cbranch_execz .LBB1410_51
; %bb.50:
	v_lshlrev_b32_e32 v3, 1, v0
	v_sub_u32_e32 v3, v28, v3
	ds_read_u16 v3, v3 offset:1024
	v_mov_b32_e32 v7, s39
	s_waitcnt lgkmcnt(0)
	v_lshrrev_b32_sdwa v4, s44, v3 dst_sel:DWORD dst_unused:UNUSED_PAD src0_sel:DWORD src1_sel:WORD_0
	v_and_b32_e32 v5, s53, v4
	v_lshlrev_b32_e32 v4, 2, v5
	ds_read_b32 v6, v4
	v_mov_b32_e32 v4, 0
	v_xor_b32_e32 v8, 0xffff8000, v3
	buffer_store_dword v5, off, s[0:3], 0
	s_waitcnt lgkmcnt(0)
	v_add_u32_e32 v3, v6, v0
	v_lshlrev_b64 v[3:4], 1, v[3:4]
	v_add_co_u32_e64 v3, s[20:21], s38, v3
	v_addc_co_u32_e64 v4, s[20:21], v7, v4, s[20:21]
	global_store_short v[3:4], v8, off
.LBB1410_51:
	s_or_b64 exec, exec, s[24:25]
	v_or_b32_e32 v3, 0x200, v0
	v_cmp_gt_u32_e64 s[20:21], s7, v3
	s_and_saveexec_b64 s[24:25], s[20:21]
	s_cbranch_execz .LBB1410_53
; %bb.52:
	v_lshlrev_b32_e32 v4, 1, v0
	v_sub_u32_e32 v4, v28, v4
	ds_read_u16 v5, v4 offset:2048
	v_mov_b32_e32 v8, s39
	s_waitcnt lgkmcnt(0)
	v_lshrrev_b32_sdwa v4, s44, v5 dst_sel:DWORD dst_unused:UNUSED_PAD src0_sel:DWORD src1_sel:WORD_0
	v_and_b32_e32 v6, s53, v4
	v_lshlrev_b32_e32 v4, 2, v6
	ds_read_b32 v7, v4
	v_mov_b32_e32 v4, 0
	v_xor_b32_e32 v5, 0xffff8000, v5
	buffer_store_dword v6, off, s[0:3], 0 offset:4
	s_waitcnt lgkmcnt(0)
	v_add_u32_e32 v3, v7, v3
	v_lshlrev_b64 v[3:4], 1, v[3:4]
	v_add_co_u32_e64 v3, s[20:21], s38, v3
	v_addc_co_u32_e64 v4, s[20:21], v8, v4, s[20:21]
	global_store_short v[3:4], v5, off
.LBB1410_53:
	s_or_b64 exec, exec, s[24:25]
	v_or_b32_e32 v3, 0x400, v0
	v_cmp_gt_u32_e64 s[20:21], s7, v3
	s_and_saveexec_b64 s[24:25], s[20:21]
	s_cbranch_execz .LBB1410_55
; %bb.54:
	v_lshlrev_b32_e32 v4, 1, v0
	v_sub_u32_e32 v4, v28, v4
	ds_read_u16 v5, v4 offset:3072
	v_mov_b32_e32 v8, s39
	s_waitcnt lgkmcnt(0)
	v_lshrrev_b32_sdwa v4, s44, v5 dst_sel:DWORD dst_unused:UNUSED_PAD src0_sel:DWORD src1_sel:WORD_0
	v_and_b32_e32 v6, s53, v4
	v_lshlrev_b32_e32 v4, 2, v6
	ds_read_b32 v7, v4
	v_mov_b32_e32 v4, 0
	v_xor_b32_e32 v5, 0xffff8000, v5
	buffer_store_dword v6, off, s[0:3], 0 offset:8
	s_waitcnt lgkmcnt(0)
	v_add_u32_e32 v3, v7, v3
	v_lshlrev_b64 v[3:4], 1, v[3:4]
	v_add_co_u32_e64 v3, s[20:21], s38, v3
	v_addc_co_u32_e64 v4, s[20:21], v8, v4, s[20:21]
	global_store_short v[3:4], v5, off
.LBB1410_55:
	s_or_b64 exec, exec, s[24:25]
	v_or_b32_e32 v3, 0x600, v0
	v_cmp_gt_u32_e64 s[20:21], s7, v3
	s_and_saveexec_b64 s[24:25], s[20:21]
	s_cbranch_execz .LBB1410_57
; %bb.56:
	v_lshlrev_b32_e32 v4, 1, v0
	v_sub_u32_e32 v4, v28, v4
	ds_read_u16 v5, v4 offset:4096
	v_mov_b32_e32 v8, s39
	s_waitcnt lgkmcnt(0)
	v_lshrrev_b32_sdwa v4, s44, v5 dst_sel:DWORD dst_unused:UNUSED_PAD src0_sel:DWORD src1_sel:WORD_0
	v_and_b32_e32 v6, s53, v4
	v_lshlrev_b32_e32 v4, 2, v6
	ds_read_b32 v7, v4
	v_mov_b32_e32 v4, 0
	v_xor_b32_e32 v5, 0xffff8000, v5
	buffer_store_dword v6, off, s[0:3], 0 offset:12
	s_waitcnt lgkmcnt(0)
	v_add_u32_e32 v3, v7, v3
	v_lshlrev_b64 v[3:4], 1, v[3:4]
	v_add_co_u32_e64 v3, s[20:21], s38, v3
	v_addc_co_u32_e64 v4, s[20:21], v8, v4, s[20:21]
	global_store_short v[3:4], v5, off
.LBB1410_57:
	s_or_b64 exec, exec, s[24:25]
	v_or_b32_e32 v3, 0x800, v0
	v_cmp_gt_u32_e64 s[20:21], s7, v3
	s_and_saveexec_b64 s[24:25], s[20:21]
	s_cbranch_execz .LBB1410_59
; %bb.58:
	v_lshlrev_b32_e32 v4, 1, v0
	v_sub_u32_e32 v4, v28, v4
	ds_read_u16 v5, v4 offset:5120
	v_mov_b32_e32 v8, s39
	s_waitcnt lgkmcnt(0)
	v_lshrrev_b32_sdwa v4, s44, v5 dst_sel:DWORD dst_unused:UNUSED_PAD src0_sel:DWORD src1_sel:WORD_0
	v_and_b32_e32 v6, s53, v4
	v_lshlrev_b32_e32 v4, 2, v6
	ds_read_b32 v7, v4
	v_mov_b32_e32 v4, 0
	v_xor_b32_e32 v5, 0xffff8000, v5
	buffer_store_dword v6, off, s[0:3], 0 offset:16
	s_waitcnt lgkmcnt(0)
	v_add_u32_e32 v3, v7, v3
	v_lshlrev_b64 v[3:4], 1, v[3:4]
	v_add_co_u32_e64 v3, s[20:21], s38, v3
	v_addc_co_u32_e64 v4, s[20:21], v8, v4, s[20:21]
	global_store_short v[3:4], v5, off
.LBB1410_59:
	s_or_b64 exec, exec, s[24:25]
	v_or_b32_e32 v3, 0xa00, v0
	v_cmp_gt_u32_e64 s[20:21], s7, v3
	s_and_saveexec_b64 s[24:25], s[20:21]
	s_cbranch_execz .LBB1410_61
; %bb.60:
	v_lshlrev_b32_e32 v4, 1, v0
	v_sub_u32_e32 v4, v28, v4
	ds_read_u16 v5, v4 offset:6144
	v_mov_b32_e32 v8, s39
	s_waitcnt lgkmcnt(0)
	v_lshrrev_b32_sdwa v4, s44, v5 dst_sel:DWORD dst_unused:UNUSED_PAD src0_sel:DWORD src1_sel:WORD_0
	v_and_b32_e32 v6, s53, v4
	v_lshlrev_b32_e32 v4, 2, v6
	ds_read_b32 v7, v4
	v_mov_b32_e32 v4, 0
	v_xor_b32_e32 v5, 0xffff8000, v5
	buffer_store_dword v6, off, s[0:3], 0 offset:20
	s_waitcnt lgkmcnt(0)
	v_add_u32_e32 v3, v7, v3
	v_lshlrev_b64 v[3:4], 1, v[3:4]
	v_add_co_u32_e64 v3, s[20:21], s38, v3
	v_addc_co_u32_e64 v4, s[20:21], v8, v4, s[20:21]
	global_store_short v[3:4], v5, off
.LBB1410_61:
	s_or_b64 exec, exec, s[24:25]
	s_lshl_b64 s[20:21], s[26:27], 3
	s_add_u32 s20, s40, s20
	s_addc_u32 s21, s41, s21
	v_lshlrev_b32_e32 v3, 3, v10
	v_mov_b32_e32 v4, s21
	v_add_co_u32_e64 v3, s[20:21], s20, v3
	v_addc_co_u32_e64 v4, s[20:21], 0, v4, s[20:21]
	v_lshlrev_b32_e32 v5, 3, v9
	v_add_co_u32_e64 v15, s[20:21], v3, v5
	v_addc_co_u32_e64 v16, s[20:21], 0, v4, s[20:21]
                                        ; implicit-def: $vgpr3_vgpr4
	s_and_saveexec_b64 s[20:21], vcc
	s_xor_b64 s[20:21], exec, s[20:21]
	s_cbranch_execz .LBB1410_67
; %bb.62:
	global_load_dwordx2 v[3:4], v[15:16], off
	s_or_b64 exec, exec, s[20:21]
                                        ; implicit-def: $vgpr5_vgpr6
	s_and_saveexec_b64 s[20:21], s[8:9]
	s_cbranch_execnz .LBB1410_68
.LBB1410_63:
	s_or_b64 exec, exec, s[20:21]
                                        ; implicit-def: $vgpr7_vgpr8
	s_and_saveexec_b64 s[8:9], s[10:11]
	s_cbranch_execz .LBB1410_69
.LBB1410_64:
	global_load_dwordx2 v[7:8], v[15:16], off offset:1024
	s_or_b64 exec, exec, s[8:9]
                                        ; implicit-def: $vgpr9_vgpr10
	s_and_saveexec_b64 s[8:9], s[12:13]
	s_cbranch_execnz .LBB1410_70
.LBB1410_65:
	s_or_b64 exec, exec, s[8:9]
                                        ; implicit-def: $vgpr11_vgpr12
	s_and_saveexec_b64 s[8:9], s[14:15]
	s_cbranch_execz .LBB1410_71
.LBB1410_66:
	global_load_dwordx2 v[11:12], v[15:16], off offset:2048
	s_or_b64 exec, exec, s[8:9]
                                        ; implicit-def: $vgpr13_vgpr14
	s_and_saveexec_b64 s[8:9], s[16:17]
	s_cbranch_execnz .LBB1410_72
	s_branch .LBB1410_73
.LBB1410_67:
	s_or_b64 exec, exec, s[20:21]
                                        ; implicit-def: $vgpr5_vgpr6
	s_and_saveexec_b64 s[20:21], s[8:9]
	s_cbranch_execz .LBB1410_63
.LBB1410_68:
	global_load_dwordx2 v[5:6], v[15:16], off offset:512
	s_or_b64 exec, exec, s[20:21]
                                        ; implicit-def: $vgpr7_vgpr8
	s_and_saveexec_b64 s[8:9], s[10:11]
	s_cbranch_execnz .LBB1410_64
.LBB1410_69:
	s_or_b64 exec, exec, s[8:9]
                                        ; implicit-def: $vgpr9_vgpr10
	s_and_saveexec_b64 s[8:9], s[12:13]
	s_cbranch_execz .LBB1410_65
.LBB1410_70:
	global_load_dwordx2 v[9:10], v[15:16], off offset:1536
	s_or_b64 exec, exec, s[8:9]
                                        ; implicit-def: $vgpr11_vgpr12
	s_and_saveexec_b64 s[8:9], s[14:15]
	s_cbranch_execnz .LBB1410_66
.LBB1410_71:
	s_or_b64 exec, exec, s[8:9]
                                        ; implicit-def: $vgpr13_vgpr14
	s_and_saveexec_b64 s[8:9], s[16:17]
	s_cbranch_execz .LBB1410_73
.LBB1410_72:
	global_load_dwordx2 v[13:14], v[15:16], off offset:2560
.LBB1410_73:
	s_or_b64 exec, exec, s[8:9]
	v_lshlrev_b32_e32 v37, 3, v0
	v_add3_u32 v26, v29, v36, v26
	v_add3_u32 v24, v25, v35, v24
	;; [unrolled: 1-line block ×5, first 2 shown]
	s_mov_b32 s10, 0
	s_mov_b32 s11, 0
	v_mov_b32_e32 v16, 0
	s_movk_i32 s12, 0x200
	v_mov_b32_e32 v19, v0
	s_waitcnt vmcnt(0)
	s_barrier
	s_branch .LBB1410_75
.LBB1410_74:                            ;   in Loop: Header=BB1410_75 Depth=1
	s_or_b64 exec, exec, s[8:9]
	s_addk_i32 s11, 0xfc00
	s_add_i32 s10, s10, 8
	s_cmpk_eq_i32 s11, 0xf400
	v_add_u32_e32 v19, 0x400, v19
	s_waitcnt vmcnt(0)
	s_barrier
	s_cbranch_scc1 .LBB1410_79
.LBB1410_75:                            ; =>This Inner Loop Header: Depth=1
	v_add_u32_e32 v15, s11, v31
	v_min_u32_e32 v15, 0x400, v15
	v_lshlrev_b32_e32 v15, 3, v15
	ds_write_b64 v15, v[3:4] offset:1024
	v_add_u32_e32 v15, s11, v18
	v_min_u32_e32 v15, 0x400, v15
	v_lshlrev_b32_e32 v15, 3, v15
	ds_write_b64 v15, v[5:6] offset:1024
	;; [unrolled: 4-line block ×5, first 2 shown]
	v_add_u32_e32 v15, s11, v26
	v_min_u32_e32 v15, 0x400, v15
	v_lshlrev_b32_e32 v15, 3, v15
	v_cmp_gt_u32_e32 vcc, s7, v19
	ds_write_b64 v15, v[13:14] offset:1024
	s_waitcnt lgkmcnt(0)
	s_barrier
	s_and_saveexec_b64 s[8:9], vcc
	s_cbranch_execz .LBB1410_77
; %bb.76:                               ;   in Loop: Header=BB1410_75 Depth=1
	v_mov_b32_e32 v15, s10
	buffer_load_dword v15, v15, s[0:3], 0 offen
	v_mov_b32_e32 v21, s43
	s_waitcnt vmcnt(0)
	v_lshlrev_b32_e32 v15, 2, v15
	ds_read_b32 v15, v15
	ds_read_b64 v[32:33], v37 offset:1024
	s_waitcnt lgkmcnt(1)
	v_add_u32_e32 v15, v19, v15
	v_lshlrev_b64 v[34:35], 3, v[15:16]
	v_add_co_u32_e32 v34, vcc, s42, v34
	v_addc_co_u32_e32 v35, vcc, v21, v35, vcc
	s_waitcnt lgkmcnt(0)
	global_store_dwordx2 v[34:35], v[32:33], off
.LBB1410_77:                            ;   in Loop: Header=BB1410_75 Depth=1
	s_or_b64 exec, exec, s[8:9]
	v_add_u32_e32 v15, 0x200, v19
	v_cmp_gt_u32_e32 vcc, s7, v15
	s_and_saveexec_b64 s[8:9], vcc
	s_cbranch_execz .LBB1410_74
; %bb.78:                               ;   in Loop: Header=BB1410_75 Depth=1
	v_mov_b32_e32 v15, s10
	buffer_load_dword v15, v15, s[0:3], 0 offen offset:4
	v_mov_b32_e32 v21, s43
	s_waitcnt vmcnt(0)
	v_lshlrev_b32_e32 v15, 2, v15
	ds_read_b32 v15, v15
	ds_read_b64 v[32:33], v37 offset:5120
	s_waitcnt lgkmcnt(1)
	v_add3_u32 v15, v19, v15, s12
	v_lshlrev_b64 v[34:35], 3, v[15:16]
	v_add_co_u32_e32 v34, vcc, s42, v34
	v_addc_co_u32_e32 v35, vcc, v21, v35, vcc
	s_waitcnt lgkmcnt(0)
	global_store_dwordx2 v[34:35], v[32:33], off
	s_branch .LBB1410_74
.LBB1410_79:
	s_add_i32 s52, s52, -1
	s_cmp_eq_u32 s33, s52
	s_cselect_b64 s[8:9], -1, 0
	s_xor_b64 s[10:11], s[18:19], -1
	s_and_b64 s[10:11], s[10:11], s[8:9]
	s_and_saveexec_b64 s[8:9], s[10:11]
	s_cbranch_execz .LBB1410_81
; %bb.80:
	ds_read_b32 v3, v28
	s_waitcnt lgkmcnt(0)
	v_add3_u32 v3, v27, v30, v3
	global_store_dword v28, v3, s[30:31]
.LBB1410_81:
	s_or_b64 exec, exec, s[8:9]
	s_mov_b64 s[8:9], 0
.LBB1410_82:
	s_and_b64 vcc, exec, s[8:9]
	s_cbranch_vccz .LBB1410_119
; %bb.83:
	s_mov_b32 s27, 0
	s_lshl_b64 s[8:9], s[26:27], 1
	v_mbcnt_hi_u32_b32 v6, -1, v17
	s_add_u32 s7, s36, s8
	v_and_b32_e32 v8, 63, v6
	s_addc_u32 s8, s37, s9
	v_and_b32_e32 v9, 0x1c0, v0
	v_lshlrev_b32_e32 v3, 1, v8
	v_mul_u32_u24_e32 v7, 6, v9
	v_mov_b32_e32 v4, s8
	v_add_co_u32_e32 v3, vcc, s7, v3
	v_addc_co_u32_e32 v5, vcc, 0, v4, vcc
	v_lshlrev_b32_e32 v4, 1, v7
	v_add_co_u32_e32 v4, vcc, v3, v4
	v_addc_co_u32_e32 v5, vcc, 0, v5, vcc
	global_load_ushort v10, v[4:5], off
	s_load_dword s7, s[4:5], 0x64
	s_load_dword s14, s[4:5], 0x58
	s_add_u32 s4, s4, 0x58
	s_addc_u32 s5, s5, 0
	v_mov_b32_e32 v3, 0
	s_waitcnt lgkmcnt(0)
	s_lshr_b32 s7, s7, 16
	s_cmp_lt_u32 s6, s14
	s_cselect_b32 s6, 12, 18
	s_add_u32 s4, s4, s6
	s_addc_u32 s5, s5, 0
	global_load_ushort v11, v3, s[4:5]
	global_load_ushort v14, v[4:5], off offset:128
	global_load_ushort v17, v[4:5], off offset:256
	;; [unrolled: 1-line block ×5, first 2 shown]
	s_lshl_b32 s4, -1, s45
	s_not_b32 s15, s4
	v_mad_u32_u24 v1, v2, s7, v1
	s_waitcnt vmcnt(6)
	v_xor_b32_e32 v10, 0xffff8000, v10
	v_lshrrev_b32_sdwa v4, s44, v10 dst_sel:DWORD dst_unused:UNUSED_PAD src0_sel:DWORD src1_sel:WORD_0
	v_and_b32_e32 v13, s15, v4
	v_and_b32_e32 v5, 1, v13
	v_add_co_u32_e32 v12, vcc, -1, v5
	v_lshlrev_b32_e32 v4, 30, v13
	v_addc_co_u32_e64 v15, s[4:5], 0, -1, vcc
	v_cmp_ne_u32_e32 vcc, 0, v5
	v_cmp_gt_i64_e64 s[4:5], 0, v[3:4]
	v_not_b32_e32 v5, v4
	v_lshlrev_b32_e32 v4, 29, v13
	v_xor_b32_e32 v15, vcc_hi, v15
	v_ashrrev_i32_e32 v5, 31, v5
	v_xor_b32_e32 v12, vcc_lo, v12
	v_cmp_gt_i64_e32 vcc, 0, v[3:4]
	v_not_b32_e32 v16, v4
	v_lshlrev_b32_e32 v4, 28, v13
	v_and_b32_e32 v15, exec_hi, v15
	v_xor_b32_e32 v18, s5, v5
	v_and_b32_e32 v12, exec_lo, v12
	v_xor_b32_e32 v5, s4, v5
	v_ashrrev_i32_e32 v16, 31, v16
	v_cmp_gt_i64_e64 s[4:5], 0, v[3:4]
	v_not_b32_e32 v20, v4
	v_lshlrev_b32_e32 v4, 27, v13
	v_and_b32_e32 v15, v15, v18
	v_and_b32_e32 v5, v12, v5
	v_xor_b32_e32 v12, vcc_hi, v16
	v_xor_b32_e32 v16, vcc_lo, v16
	v_ashrrev_i32_e32 v18, 31, v20
	v_cmp_gt_i64_e32 vcc, 0, v[3:4]
	v_not_b32_e32 v20, v4
	v_lshlrev_b32_e32 v4, 26, v13
	v_and_b32_e32 v12, v15, v12
	v_and_b32_e32 v5, v5, v16
	v_xor_b32_e32 v15, s5, v18
	v_xor_b32_e32 v16, s4, v18
	v_ashrrev_i32_e32 v18, 31, v20
	v_cmp_gt_i64_e64 s[4:5], 0, v[3:4]
	v_not_b32_e32 v20, v4
	v_lshlrev_b32_e32 v4, 25, v13
	v_and_b32_e32 v12, v12, v15
	v_and_b32_e32 v5, v5, v16
	v_xor_b32_e32 v15, vcc_hi, v18
	v_xor_b32_e32 v16, vcc_lo, v18
	v_ashrrev_i32_e32 v18, 31, v20
	v_cmp_gt_i64_e32 vcc, 0, v[3:4]
	v_not_b32_e32 v20, v4
	v_lshlrev_b32_e32 v4, 24, v13
	v_and_b32_e32 v12, v12, v15
	v_and_b32_e32 v5, v5, v16
	v_xor_b32_e32 v15, s5, v18
	v_xor_b32_e32 v16, s4, v18
	v_ashrrev_i32_e32 v18, 31, v20
	v_cmp_gt_i64_e64 s[4:5], 0, v[3:4]
	v_not_b32_e32 v4, v4
	v_and_b32_e32 v12, v12, v15
	v_and_b32_e32 v5, v5, v16
	v_xor_b32_e32 v15, vcc_hi, v18
	v_xor_b32_e32 v16, vcc_lo, v18
	v_ashrrev_i32_e32 v4, 31, v4
	v_and_b32_e32 v12, v12, v15
	v_and_b32_e32 v15, v5, v16
	v_xor_b32_e32 v5, s5, v4
	v_xor_b32_e32 v4, s4, v4
	s_waitcnt vmcnt(5)
	v_mad_u64_u32 v[1:2], s[4:5], v1, v11, v[0:1]
	v_and_b32_e32 v4, v15, v4
	v_and_b32_e32 v5, v12, v5
	v_lshrrev_b32_e32 v1, 6, v1
	v_lshlrev_b32_e32 v24, 2, v1
	v_mbcnt_lo_u32_b32 v1, v4, 0
	v_mbcnt_hi_u32_b32 v11, v5, v1
	v_cmp_ne_u64_e32 vcc, 0, v[4:5]
	v_cmp_eq_u32_e64 s[4:5], 0, v11
	v_mul_u32_u24_e32 v12, 20, v0
	v_mad_u32_u24 v13, v13, 36, v24
	s_and_b64 s[6:7], vcc, s[4:5]
	ds_write2_b32 v12, v3, v3 offset0:8 offset1:9
	ds_write2_b32 v12, v3, v3 offset0:10 offset1:11
	ds_write_b32 v12, v3 offset:48
	s_waitcnt vmcnt(0) lgkmcnt(0)
	s_barrier
	; wave barrier
	s_and_saveexec_b64 s[4:5], s[6:7]
; %bb.84:
	v_bcnt_u32_b32 v1, v4, 0
	v_bcnt_u32_b32 v1, v5, v1
	ds_write_b32 v13, v1 offset:32
; %bb.85:
	s_or_b64 exec, exec, s[4:5]
	v_xor_b32_e32 v5, 0xffff8000, v14
	v_lshrrev_b32_sdwa v1, s44, v5 dst_sel:DWORD dst_unused:UNUSED_PAD src0_sel:DWORD src1_sel:WORD_0
	v_and_b32_e32 v1, s15, v1
	v_and_b32_e32 v2, 1, v1
	v_add_co_u32_e32 v4, vcc, -1, v2
	v_addc_co_u32_e64 v16, s[4:5], 0, -1, vcc
	v_cmp_ne_u32_e32 vcc, 0, v2
	v_xor_b32_e32 v4, vcc_lo, v4
	v_xor_b32_e32 v2, vcc_hi, v16
	v_and_b32_e32 v16, exec_lo, v4
	v_lshlrev_b32_e32 v4, 30, v1
	v_cmp_gt_i64_e32 vcc, 0, v[3:4]
	v_not_b32_e32 v4, v4
	v_ashrrev_i32_e32 v4, 31, v4
	v_xor_b32_e32 v18, vcc_hi, v4
	v_xor_b32_e32 v4, vcc_lo, v4
	v_and_b32_e32 v16, v16, v4
	v_lshlrev_b32_e32 v4, 29, v1
	v_cmp_gt_i64_e32 vcc, 0, v[3:4]
	v_not_b32_e32 v4, v4
	v_and_b32_e32 v2, exec_hi, v2
	v_ashrrev_i32_e32 v4, 31, v4
	v_and_b32_e32 v2, v2, v18
	v_xor_b32_e32 v18, vcc_hi, v4
	v_xor_b32_e32 v4, vcc_lo, v4
	v_and_b32_e32 v16, v16, v4
	v_lshlrev_b32_e32 v4, 28, v1
	v_cmp_gt_i64_e32 vcc, 0, v[3:4]
	v_not_b32_e32 v4, v4
	v_ashrrev_i32_e32 v4, 31, v4
	v_and_b32_e32 v2, v2, v18
	v_xor_b32_e32 v18, vcc_hi, v4
	v_xor_b32_e32 v4, vcc_lo, v4
	v_and_b32_e32 v16, v16, v4
	v_lshlrev_b32_e32 v4, 27, v1
	v_cmp_gt_i64_e32 vcc, 0, v[3:4]
	v_not_b32_e32 v4, v4
	;; [unrolled: 8-line block ×4, first 2 shown]
	v_ashrrev_i32_e32 v4, 31, v4
	v_and_b32_e32 v2, v2, v18
	v_xor_b32_e32 v18, vcc_hi, v4
	v_xor_b32_e32 v4, vcc_lo, v4
	v_and_b32_e32 v16, v16, v4
	v_lshlrev_b32_e32 v4, 24, v1
	v_mad_u32_u24 v14, v1, 36, v24
	v_cmp_gt_i64_e32 vcc, 0, v[3:4]
	v_not_b32_e32 v1, v4
	v_ashrrev_i32_e32 v1, 31, v1
	v_xor_b32_e32 v3, vcc_hi, v1
	v_xor_b32_e32 v1, vcc_lo, v1
	; wave barrier
	ds_read_b32 v15, v14 offset:32
	v_and_b32_e32 v2, v2, v18
	v_and_b32_e32 v1, v16, v1
	;; [unrolled: 1-line block ×3, first 2 shown]
	v_mbcnt_lo_u32_b32 v3, v1, 0
	v_mbcnt_hi_u32_b32 v16, v2, v3
	v_cmp_ne_u64_e32 vcc, 0, v[1:2]
	v_cmp_eq_u32_e64 s[4:5], 0, v16
	s_and_b64 s[6:7], vcc, s[4:5]
	; wave barrier
	s_and_saveexec_b64 s[4:5], s[6:7]
	s_cbranch_execz .LBB1410_87
; %bb.86:
	v_bcnt_u32_b32 v1, v1, 0
	v_bcnt_u32_b32 v1, v2, v1
	s_waitcnt lgkmcnt(0)
	v_add_u32_e32 v1, v15, v1
	ds_write_b32 v14, v1 offset:32
.LBB1410_87:
	s_or_b64 exec, exec, s[4:5]
	v_xor_b32_e32 v25, 0xffff8000, v17
	v_lshrrev_b32_sdwa v1, s44, v25 dst_sel:DWORD dst_unused:UNUSED_PAD src0_sel:DWORD src1_sel:WORD_0
	v_and_b32_e32 v3, s15, v1
	v_and_b32_e32 v2, 1, v3
	v_add_co_u32_e32 v4, vcc, -1, v2
	v_addc_co_u32_e64 v18, s[4:5], 0, -1, vcc
	v_cmp_ne_u32_e32 vcc, 0, v2
	v_xor_b32_e32 v2, vcc_hi, v18
	v_mov_b32_e32 v1, 0
	v_and_b32_e32 v18, exec_hi, v2
	v_lshlrev_b32_e32 v2, 30, v3
	v_xor_b32_e32 v4, vcc_lo, v4
	v_cmp_gt_i64_e32 vcc, 0, v[1:2]
	v_not_b32_e32 v2, v2
	v_ashrrev_i32_e32 v2, 31, v2
	v_and_b32_e32 v4, exec_lo, v4
	v_xor_b32_e32 v20, vcc_hi, v2
	v_xor_b32_e32 v2, vcc_lo, v2
	v_and_b32_e32 v4, v4, v2
	v_lshlrev_b32_e32 v2, 29, v3
	v_cmp_gt_i64_e32 vcc, 0, v[1:2]
	v_not_b32_e32 v2, v2
	v_ashrrev_i32_e32 v2, 31, v2
	v_and_b32_e32 v18, v18, v20
	v_xor_b32_e32 v20, vcc_hi, v2
	v_xor_b32_e32 v2, vcc_lo, v2
	v_and_b32_e32 v4, v4, v2
	v_lshlrev_b32_e32 v2, 28, v3
	v_cmp_gt_i64_e32 vcc, 0, v[1:2]
	v_not_b32_e32 v2, v2
	v_ashrrev_i32_e32 v2, 31, v2
	v_and_b32_e32 v18, v18, v20
	v_xor_b32_e32 v20, vcc_hi, v2
	v_xor_b32_e32 v2, vcc_lo, v2
	v_and_b32_e32 v4, v4, v2
	v_lshlrev_b32_e32 v2, 27, v3
	v_cmp_gt_i64_e32 vcc, 0, v[1:2]
	v_not_b32_e32 v2, v2
	v_ashrrev_i32_e32 v2, 31, v2
	v_and_b32_e32 v18, v18, v20
	v_xor_b32_e32 v20, vcc_hi, v2
	v_xor_b32_e32 v2, vcc_lo, v2
	v_and_b32_e32 v4, v4, v2
	v_lshlrev_b32_e32 v2, 26, v3
	v_cmp_gt_i64_e32 vcc, 0, v[1:2]
	v_not_b32_e32 v2, v2
	v_ashrrev_i32_e32 v2, 31, v2
	v_and_b32_e32 v18, v18, v20
	v_xor_b32_e32 v20, vcc_hi, v2
	v_xor_b32_e32 v2, vcc_lo, v2
	v_and_b32_e32 v4, v4, v2
	v_lshlrev_b32_e32 v2, 25, v3
	v_cmp_gt_i64_e32 vcc, 0, v[1:2]
	v_not_b32_e32 v2, v2
	v_ashrrev_i32_e32 v2, 31, v2
	v_and_b32_e32 v18, v18, v20
	v_xor_b32_e32 v20, vcc_hi, v2
	v_xor_b32_e32 v2, vcc_lo, v2
	v_and_b32_e32 v4, v4, v2
	v_lshlrev_b32_e32 v2, 24, v3
	v_cmp_gt_i64_e32 vcc, 0, v[1:2]
	v_not_b32_e32 v2, v2
	v_ashrrev_i32_e32 v2, 31, v2
	v_mad_u32_u24 v27, v3, 36, v24
	v_xor_b32_e32 v3, vcc_hi, v2
	v_xor_b32_e32 v2, vcc_lo, v2
	; wave barrier
	ds_read_b32 v17, v27 offset:32
	v_and_b32_e32 v18, v18, v20
	v_and_b32_e32 v2, v4, v2
	;; [unrolled: 1-line block ×3, first 2 shown]
	v_mbcnt_lo_u32_b32 v4, v2, 0
	v_mbcnt_hi_u32_b32 v18, v3, v4
	v_cmp_ne_u64_e32 vcc, 0, v[2:3]
	v_cmp_eq_u32_e64 s[4:5], 0, v18
	s_and_b64 s[6:7], vcc, s[4:5]
	; wave barrier
	s_and_saveexec_b64 s[4:5], s[6:7]
	s_cbranch_execz .LBB1410_89
; %bb.88:
	v_bcnt_u32_b32 v2, v2, 0
	v_bcnt_u32_b32 v2, v3, v2
	s_waitcnt lgkmcnt(0)
	v_add_u32_e32 v2, v17, v2
	ds_write_b32 v27, v2 offset:32
.LBB1410_89:
	s_or_b64 exec, exec, s[4:5]
	v_xor_b32_e32 v30, 0xffff8000, v19
	v_lshrrev_b32_sdwa v2, s44, v30 dst_sel:DWORD dst_unused:UNUSED_PAD src0_sel:DWORD src1_sel:WORD_0
	v_and_b32_e32 v3, s15, v2
	v_and_b32_e32 v2, 1, v3
	v_add_co_u32_e32 v4, vcc, -1, v2
	v_addc_co_u32_e64 v20, s[4:5], 0, -1, vcc
	v_cmp_ne_u32_e32 vcc, 0, v2
	v_xor_b32_e32 v2, vcc_hi, v20
	v_and_b32_e32 v20, exec_hi, v2
	v_lshlrev_b32_e32 v2, 30, v3
	v_xor_b32_e32 v4, vcc_lo, v4
	v_cmp_gt_i64_e32 vcc, 0, v[1:2]
	v_not_b32_e32 v2, v2
	v_ashrrev_i32_e32 v2, 31, v2
	v_and_b32_e32 v4, exec_lo, v4
	v_xor_b32_e32 v22, vcc_hi, v2
	v_xor_b32_e32 v2, vcc_lo, v2
	v_and_b32_e32 v4, v4, v2
	v_lshlrev_b32_e32 v2, 29, v3
	v_cmp_gt_i64_e32 vcc, 0, v[1:2]
	v_not_b32_e32 v2, v2
	v_ashrrev_i32_e32 v2, 31, v2
	v_and_b32_e32 v20, v20, v22
	v_xor_b32_e32 v22, vcc_hi, v2
	v_xor_b32_e32 v2, vcc_lo, v2
	v_and_b32_e32 v4, v4, v2
	v_lshlrev_b32_e32 v2, 28, v3
	v_cmp_gt_i64_e32 vcc, 0, v[1:2]
	v_not_b32_e32 v2, v2
	v_ashrrev_i32_e32 v2, 31, v2
	v_and_b32_e32 v20, v20, v22
	;; [unrolled: 8-line block ×5, first 2 shown]
	v_xor_b32_e32 v22, vcc_hi, v2
	v_xor_b32_e32 v2, vcc_lo, v2
	v_and_b32_e32 v4, v4, v2
	v_lshlrev_b32_e32 v2, 24, v3
	v_cmp_gt_i64_e32 vcc, 0, v[1:2]
	v_not_b32_e32 v1, v2
	v_ashrrev_i32_e32 v1, 31, v1
	v_mad_u32_u24 v28, v3, 36, v24
	v_xor_b32_e32 v2, vcc_hi, v1
	v_xor_b32_e32 v1, vcc_lo, v1
	; wave barrier
	ds_read_b32 v19, v28 offset:32
	v_and_b32_e32 v20, v20, v22
	v_and_b32_e32 v1, v4, v1
	v_and_b32_e32 v2, v20, v2
	v_mbcnt_lo_u32_b32 v3, v1, 0
	v_mbcnt_hi_u32_b32 v20, v2, v3
	v_cmp_ne_u64_e32 vcc, 0, v[1:2]
	v_cmp_eq_u32_e64 s[4:5], 0, v20
	s_and_b64 s[6:7], vcc, s[4:5]
	; wave barrier
	s_and_saveexec_b64 s[4:5], s[6:7]
	s_cbranch_execz .LBB1410_91
; %bb.90:
	v_bcnt_u32_b32 v1, v1, 0
	v_bcnt_u32_b32 v1, v2, v1
	s_waitcnt lgkmcnt(0)
	v_add_u32_e32 v1, v19, v1
	ds_write_b32 v28, v1 offset:32
.LBB1410_91:
	s_or_b64 exec, exec, s[4:5]
	v_xor_b32_e32 v36, 0xffff8000, v21
	v_lshrrev_b32_sdwa v1, s44, v36 dst_sel:DWORD dst_unused:UNUSED_PAD src0_sel:DWORD src1_sel:WORD_0
	v_and_b32_e32 v3, s15, v1
	v_and_b32_e32 v2, 1, v3
	v_add_co_u32_e32 v4, vcc, -1, v2
	v_addc_co_u32_e64 v22, s[4:5], 0, -1, vcc
	v_cmp_ne_u32_e32 vcc, 0, v2
	v_xor_b32_e32 v2, vcc_hi, v22
	v_mov_b32_e32 v1, 0
	v_and_b32_e32 v22, exec_hi, v2
	v_lshlrev_b32_e32 v2, 30, v3
	v_xor_b32_e32 v4, vcc_lo, v4
	v_cmp_gt_i64_e32 vcc, 0, v[1:2]
	v_not_b32_e32 v2, v2
	v_ashrrev_i32_e32 v2, 31, v2
	v_and_b32_e32 v4, exec_lo, v4
	v_xor_b32_e32 v26, vcc_hi, v2
	v_xor_b32_e32 v2, vcc_lo, v2
	v_and_b32_e32 v4, v4, v2
	v_lshlrev_b32_e32 v2, 29, v3
	v_cmp_gt_i64_e32 vcc, 0, v[1:2]
	v_not_b32_e32 v2, v2
	v_ashrrev_i32_e32 v2, 31, v2
	v_and_b32_e32 v22, v22, v26
	v_xor_b32_e32 v26, vcc_hi, v2
	v_xor_b32_e32 v2, vcc_lo, v2
	v_and_b32_e32 v4, v4, v2
	v_lshlrev_b32_e32 v2, 28, v3
	v_cmp_gt_i64_e32 vcc, 0, v[1:2]
	v_not_b32_e32 v2, v2
	v_ashrrev_i32_e32 v2, 31, v2
	v_and_b32_e32 v22, v22, v26
	;; [unrolled: 8-line block ×5, first 2 shown]
	v_xor_b32_e32 v26, vcc_hi, v2
	v_xor_b32_e32 v2, vcc_lo, v2
	v_and_b32_e32 v4, v4, v2
	v_lshlrev_b32_e32 v2, 24, v3
	v_cmp_gt_i64_e32 vcc, 0, v[1:2]
	v_not_b32_e32 v2, v2
	v_ashrrev_i32_e32 v2, 31, v2
	v_mad_u32_u24 v29, v3, 36, v24
	v_xor_b32_e32 v3, vcc_hi, v2
	v_xor_b32_e32 v2, vcc_lo, v2
	; wave barrier
	ds_read_b32 v21, v29 offset:32
	v_and_b32_e32 v22, v22, v26
	v_and_b32_e32 v2, v4, v2
	;; [unrolled: 1-line block ×3, first 2 shown]
	v_mbcnt_lo_u32_b32 v4, v2, 0
	v_mbcnt_hi_u32_b32 v22, v3, v4
	v_cmp_ne_u64_e32 vcc, 0, v[2:3]
	v_cmp_eq_u32_e64 s[4:5], 0, v22
	s_and_b64 s[6:7], vcc, s[4:5]
	; wave barrier
	s_and_saveexec_b64 s[4:5], s[6:7]
	s_cbranch_execz .LBB1410_93
; %bb.92:
	v_bcnt_u32_b32 v2, v2, 0
	v_bcnt_u32_b32 v2, v3, v2
	s_waitcnt lgkmcnt(0)
	v_add_u32_e32 v2, v21, v2
	ds_write_b32 v29, v2 offset:32
.LBB1410_93:
	s_or_b64 exec, exec, s[4:5]
	v_xor_b32_e32 v37, 0xffff8000, v23
	v_lshrrev_b32_sdwa v2, s44, v37 dst_sel:DWORD dst_unused:UNUSED_PAD src0_sel:DWORD src1_sel:WORD_0
	v_and_b32_e32 v3, s15, v2
	v_and_b32_e32 v2, 1, v3
	v_add_co_u32_e32 v4, vcc, -1, v2
	v_mad_u32_u24 v35, v3, 36, v24
	v_addc_co_u32_e64 v24, s[4:5], 0, -1, vcc
	v_cmp_ne_u32_e32 vcc, 0, v2
	v_xor_b32_e32 v2, vcc_hi, v24
	v_and_b32_e32 v24, exec_hi, v2
	v_lshlrev_b32_e32 v2, 30, v3
	v_xor_b32_e32 v4, vcc_lo, v4
	v_cmp_gt_i64_e32 vcc, 0, v[1:2]
	v_not_b32_e32 v2, v2
	v_ashrrev_i32_e32 v2, 31, v2
	v_and_b32_e32 v4, exec_lo, v4
	v_xor_b32_e32 v26, vcc_hi, v2
	v_xor_b32_e32 v2, vcc_lo, v2
	v_and_b32_e32 v4, v4, v2
	v_lshlrev_b32_e32 v2, 29, v3
	v_cmp_gt_i64_e32 vcc, 0, v[1:2]
	v_not_b32_e32 v2, v2
	v_ashrrev_i32_e32 v2, 31, v2
	v_and_b32_e32 v24, v24, v26
	v_xor_b32_e32 v26, vcc_hi, v2
	v_xor_b32_e32 v2, vcc_lo, v2
	v_and_b32_e32 v4, v4, v2
	v_lshlrev_b32_e32 v2, 28, v3
	v_cmp_gt_i64_e32 vcc, 0, v[1:2]
	v_not_b32_e32 v2, v2
	v_ashrrev_i32_e32 v2, 31, v2
	v_and_b32_e32 v24, v24, v26
	;; [unrolled: 8-line block ×5, first 2 shown]
	v_xor_b32_e32 v26, vcc_hi, v2
	v_xor_b32_e32 v2, vcc_lo, v2
	v_and_b32_e32 v4, v4, v2
	v_lshlrev_b32_e32 v2, 24, v3
	v_cmp_gt_i64_e32 vcc, 0, v[1:2]
	v_not_b32_e32 v1, v2
	v_ashrrev_i32_e32 v1, 31, v1
	v_xor_b32_e32 v2, vcc_hi, v1
	v_xor_b32_e32 v1, vcc_lo, v1
	; wave barrier
	ds_read_b32 v23, v35 offset:32
	v_and_b32_e32 v24, v24, v26
	v_and_b32_e32 v1, v4, v1
	;; [unrolled: 1-line block ×3, first 2 shown]
	v_mbcnt_lo_u32_b32 v3, v1, 0
	v_mbcnt_hi_u32_b32 v26, v2, v3
	v_cmp_ne_u64_e32 vcc, 0, v[1:2]
	v_cmp_eq_u32_e64 s[4:5], 0, v26
	s_and_b64 s[6:7], vcc, s[4:5]
	; wave barrier
	s_and_saveexec_b64 s[4:5], s[6:7]
	s_cbranch_execz .LBB1410_95
; %bb.94:
	v_bcnt_u32_b32 v1, v1, 0
	v_bcnt_u32_b32 v1, v2, v1
	s_waitcnt lgkmcnt(0)
	v_add_u32_e32 v1, v23, v1
	ds_write_b32 v35, v1 offset:32
.LBB1410_95:
	s_or_b64 exec, exec, s[4:5]
	; wave barrier
	s_waitcnt lgkmcnt(0)
	s_barrier
	ds_read2_b32 v[3:4], v12 offset0:8 offset1:9
	ds_read2_b32 v[1:2], v12 offset0:10 offset1:11
	ds_read_b32 v24, v12 offset:48
	v_min_u32_e32 v9, 0x1c0, v9
	v_or_b32_e32 v9, 63, v9
	s_waitcnt lgkmcnt(1)
	v_add3_u32 v31, v4, v3, v1
	s_waitcnt lgkmcnt(0)
	v_add3_u32 v24, v31, v2, v24
	v_and_b32_e32 v31, 15, v6
	v_cmp_ne_u32_e32 vcc, 0, v31
	v_mov_b32_dpp v32, v24 row_shr:1 row_mask:0xf bank_mask:0xf
	v_cndmask_b32_e32 v32, 0, v32, vcc
	v_add_u32_e32 v24, v32, v24
	v_cmp_lt_u32_e32 vcc, 1, v31
	s_nop 0
	v_mov_b32_dpp v32, v24 row_shr:2 row_mask:0xf bank_mask:0xf
	v_cndmask_b32_e32 v32, 0, v32, vcc
	v_add_u32_e32 v24, v24, v32
	v_cmp_lt_u32_e32 vcc, 3, v31
	s_nop 0
	;; [unrolled: 5-line block ×3, first 2 shown]
	v_mov_b32_dpp v32, v24 row_shr:8 row_mask:0xf bank_mask:0xf
	v_cndmask_b32_e32 v31, 0, v32, vcc
	v_add_u32_e32 v24, v24, v31
	v_bfe_i32 v32, v6, 4, 1
	v_cmp_lt_u32_e32 vcc, 31, v6
	v_mov_b32_dpp v31, v24 row_bcast:15 row_mask:0xf bank_mask:0xf
	v_and_b32_e32 v31, v32, v31
	v_add_u32_e32 v24, v24, v31
	v_lshrrev_b32_e32 v32, 6, v0
	s_nop 0
	v_mov_b32_dpp v31, v24 row_bcast:31 row_mask:0xf bank_mask:0xf
	v_cndmask_b32_e32 v31, 0, v31, vcc
	v_add_u32_e32 v31, v24, v31
	v_cmp_eq_u32_e32 vcc, v0, v9
	s_and_saveexec_b64 s[4:5], vcc
; %bb.96:
	v_lshlrev_b32_e32 v9, 2, v32
	ds_write_b32 v9, v31
; %bb.97:
	s_or_b64 exec, exec, s[4:5]
	v_cmp_gt_u32_e32 vcc, 8, v0
	v_lshlrev_b32_e32 v24, 2, v0
	s_waitcnt lgkmcnt(0)
	s_barrier
	s_and_saveexec_b64 s[4:5], vcc
	s_cbranch_execz .LBB1410_99
; %bb.98:
	ds_read_b32 v9, v24
	v_and_b32_e32 v33, 7, v6
	v_cmp_ne_u32_e32 vcc, 0, v33
	s_waitcnt lgkmcnt(0)
	v_mov_b32_dpp v34, v9 row_shr:1 row_mask:0xf bank_mask:0xf
	v_cndmask_b32_e32 v34, 0, v34, vcc
	v_add_u32_e32 v9, v34, v9
	v_cmp_lt_u32_e32 vcc, 1, v33
	s_nop 0
	v_mov_b32_dpp v34, v9 row_shr:2 row_mask:0xf bank_mask:0xf
	v_cndmask_b32_e32 v34, 0, v34, vcc
	v_add_u32_e32 v9, v9, v34
	v_cmp_lt_u32_e32 vcc, 3, v33
	s_nop 0
	v_mov_b32_dpp v34, v9 row_shr:4 row_mask:0xf bank_mask:0xf
	v_cndmask_b32_e32 v33, 0, v34, vcc
	v_add_u32_e32 v9, v9, v33
	ds_write_b32 v24, v9
.LBB1410_99:
	s_or_b64 exec, exec, s[4:5]
	v_cmp_lt_u32_e32 vcc, 63, v0
	v_mov_b32_e32 v9, 0
	s_waitcnt lgkmcnt(0)
	s_barrier
	s_and_saveexec_b64 s[4:5], vcc
; %bb.100:
	v_lshl_add_u32 v9, v32, 2, -4
	ds_read_b32 v9, v9
; %bb.101:
	s_or_b64 exec, exec, s[4:5]
	v_subrev_co_u32_e32 v32, vcc, 1, v6
	v_and_b32_e32 v33, 64, v6
	v_cmp_lt_i32_e64 s[4:5], v32, v33
	v_cndmask_b32_e64 v6, v32, v6, s[4:5]
	s_waitcnt lgkmcnt(0)
	v_add_u32_e32 v31, v9, v31
	v_lshlrev_b32_e32 v6, 2, v6
	ds_bpermute_b32 v6, v6, v31
	s_movk_i32 s4, 0xff
	s_movk_i32 s6, 0x100
	s_waitcnt lgkmcnt(0)
	v_cndmask_b32_e32 v6, v6, v9, vcc
	v_cndmask_b32_e64 v6, v6, 0, s[22:23]
	v_add_u32_e32 v3, v6, v3
	v_add_u32_e32 v4, v3, v4
	;; [unrolled: 1-line block ×4, first 2 shown]
	ds_write2_b32 v12, v6, v3 offset0:8 offset1:9
	ds_write2_b32 v12, v4, v1 offset0:10 offset1:11
	ds_write_b32 v12, v2 offset:48
	s_waitcnt lgkmcnt(0)
	s_barrier
	ds_read_b32 v1, v13 offset:32
	ds_read_b32 v31, v14 offset:32
	;; [unrolled: 1-line block ×6, first 2 shown]
	v_cmp_lt_u32_e32 vcc, s4, v0
	v_cmp_gt_u32_e64 s[4:5], s6, v0
                                        ; implicit-def: $vgpr27
                                        ; implicit-def: $vgpr28
	s_and_saveexec_b64 s[8:9], s[4:5]
	s_cbranch_execz .LBB1410_105
; %bb.102:
	v_mul_u32_u24_e32 v2, 36, v0
	ds_read_b32 v27, v2 offset:32
	v_add_u32_e32 v3, 1, v0
	v_cmp_ne_u32_e64 s[6:7], s6, v3
	v_mov_b32_e32 v2, 0xc00
	s_and_saveexec_b64 s[10:11], s[6:7]
; %bb.103:
	v_mul_u32_u24_e32 v2, 36, v3
	ds_read_b32 v2, v2 offset:32
; %bb.104:
	s_or_b64 exec, exec, s[10:11]
	s_waitcnt lgkmcnt(0)
	v_sub_u32_e32 v28, v2, v27
.LBB1410_105:
	s_or_b64 exec, exec, s[8:9]
	s_waitcnt lgkmcnt(5)
	v_add_u32_e32 v29, v1, v11
	v_add_u32_e32 v9, v16, v15
	v_lshlrev_b32_e32 v1, 1, v29
	v_add_u32_e32 v6, v18, v17
	s_waitcnt lgkmcnt(0)
	s_barrier
	ds_write_b16 v1, v10 offset:1024
	v_add_lshl_u32 v1, v9, v31, 1
	v_add_u32_e32 v4, v20, v19
	ds_write_b16 v1, v5 offset:1024
	v_add_lshl_u32 v1, v6, v32, 1
	v_add_u32_e32 v3, v22, v21
	;; [unrolled: 3-line block ×3, first 2 shown]
	ds_write_b16 v1, v30 offset:1024
	v_add_lshl_u32 v1, v3, v34, 1
	ds_write_b16 v1, v36 offset:1024
	v_add_lshl_u32 v1, v2, v35, 1
	v_mov_b32_e32 v2, 0
	ds_write_b16 v1, v37 offset:1024
	s_and_saveexec_b64 s[6:7], s[4:5]
	s_cbranch_execz .LBB1410_115
; %bb.106:
	v_lshl_add_u32 v1, s33, 8, v0
	v_lshlrev_b64 v[3:4], 2, v[1:2]
	v_mov_b32_e32 v9, s35
	v_add_co_u32_e64 v3, s[4:5], s34, v3
	v_addc_co_u32_e64 v4, s[4:5], v9, v4, s[4:5]
	v_or_b32_e32 v1, 2.0, v28
	s_mov_b64 s[8:9], 0
	s_brev_b32 s16, -4
	s_mov_b32 s17, s33
	v_mov_b32_e32 v10, 0
	global_store_dword v[3:4], v1, off
                                        ; implicit-def: $sgpr4_sgpr5
	s_branch .LBB1410_109
.LBB1410_107:                           ;   in Loop: Header=BB1410_109 Depth=1
	s_or_b64 exec, exec, s[12:13]
.LBB1410_108:                           ;   in Loop: Header=BB1410_109 Depth=1
	s_or_b64 exec, exec, s[10:11]
	v_and_b32_e32 v5, 0x3fffffff, v1
	v_add_u32_e32 v10, v5, v10
	v_cmp_gt_i32_e64 s[4:5], -2.0, v1
	s_and_b64 s[10:11], exec, s[4:5]
	s_or_b64 s[8:9], s[10:11], s[8:9]
	s_andn2_b64 exec, exec, s[8:9]
	s_cbranch_execz .LBB1410_114
.LBB1410_109:                           ; =>This Loop Header: Depth=1
                                        ;     Child Loop BB1410_112 Depth 2
	s_or_b64 s[4:5], s[4:5], exec
	s_cmp_eq_u32 s17, 0
	s_cbranch_scc1 .LBB1410_113
; %bb.110:                              ;   in Loop: Header=BB1410_109 Depth=1
	s_add_i32 s17, s17, -1
	v_lshl_or_b32 v1, s17, 8, v0
	v_lshlrev_b64 v[5:6], 2, v[1:2]
	v_add_co_u32_e64 v5, s[4:5], s34, v5
	v_addc_co_u32_e64 v6, s[4:5], v9, v6, s[4:5]
	global_load_dword v1, v[5:6], off glc
	s_waitcnt vmcnt(0)
	v_cmp_gt_u32_e64 s[4:5], 2.0, v1
	s_and_saveexec_b64 s[10:11], s[4:5]
	s_cbranch_execz .LBB1410_108
; %bb.111:                              ;   in Loop: Header=BB1410_109 Depth=1
	s_mov_b64 s[12:13], 0
.LBB1410_112:                           ;   Parent Loop BB1410_109 Depth=1
                                        ; =>  This Inner Loop Header: Depth=2
	global_load_dword v1, v[5:6], off glc
	s_waitcnt vmcnt(0)
	v_cmp_lt_u32_e64 s[4:5], s16, v1
	s_or_b64 s[12:13], s[4:5], s[12:13]
	s_andn2_b64 exec, exec, s[12:13]
	s_cbranch_execnz .LBB1410_112
	s_branch .LBB1410_107
.LBB1410_113:                           ;   in Loop: Header=BB1410_109 Depth=1
                                        ; implicit-def: $sgpr17
	s_and_b64 s[10:11], exec, s[4:5]
	s_or_b64 s[8:9], s[10:11], s[8:9]
	s_andn2_b64 exec, exec, s[8:9]
	s_cbranch_execnz .LBB1410_109
.LBB1410_114:
	s_or_b64 exec, exec, s[8:9]
	v_add_u32_e32 v1, v10, v28
	v_or_b32_e32 v1, 0x80000000, v1
	global_store_dword v[3:4], v1, off
	global_load_dword v1, v24, s[28:29]
	v_sub_u32_e32 v2, v10, v27
	s_waitcnt vmcnt(0)
	v_add_u32_e32 v1, v2, v1
	ds_write_b32 v24, v1
.LBB1410_115:
	s_or_b64 exec, exec, s[6:7]
	v_lshlrev_b32_e32 v1, 1, v0
	v_sub_u32_e32 v25, v24, v1
	s_waitcnt lgkmcnt(0)
	s_barrier
	ds_read_u16 v5, v25 offset:1024
	ds_read_u16 v6, v25 offset:2048
	;; [unrolled: 1-line block ×6, first 2 shown]
	s_waitcnt lgkmcnt(5)
	v_lshrrev_b32_sdwa v1, s44, v5 dst_sel:DWORD dst_unused:UNUSED_PAD src0_sel:DWORD src1_sel:WORD_0
	v_and_b32_e32 v30, s15, v1
	s_waitcnt lgkmcnt(4)
	v_lshrrev_b32_sdwa v2, s44, v6 dst_sel:DWORD dst_unused:UNUSED_PAD src0_sel:DWORD src1_sel:WORD_0
	s_waitcnt lgkmcnt(1)
	v_lshrrev_b32_sdwa v13, s44, v11 dst_sel:DWORD dst_unused:UNUSED_PAD src0_sel:DWORD src1_sel:WORD_0
	;; [unrolled: 2-line block ×3, first 2 shown]
	v_lshrrev_b32_sdwa v3, s44, v9 dst_sel:DWORD dst_unused:UNUSED_PAD src0_sel:DWORD src1_sel:WORD_0
	v_lshrrev_b32_sdwa v4, s44, v10 dst_sel:DWORD dst_unused:UNUSED_PAD src0_sel:DWORD src1_sel:WORD_0
	v_and_b32_e32 v41, s15, v13
	v_and_b32_e32 v42, s15, v14
	v_lshlrev_b32_e32 v1, 2, v30
	v_and_b32_e32 v38, s15, v2
	v_and_b32_e32 v39, s15, v3
	;; [unrolled: 1-line block ×3, first 2 shown]
	v_lshlrev_b32_e32 v13, 2, v41
	v_lshlrev_b32_e32 v14, 2, v42
	;; [unrolled: 1-line block ×5, first 2 shown]
	ds_read_b32 v1, v1
	ds_read_b32 v36, v2
	;; [unrolled: 1-line block ×6, first 2 shown]
	s_waitcnt lgkmcnt(5)
	v_add_u32_e32 v1, v1, v0
	v_mov_b32_e32 v2, 0
	v_lshlrev_b64 v[3:4], 1, v[1:2]
	v_mov_b32_e32 v44, s39
	v_add_co_u32_e64 v3, s[4:5], s38, v3
	v_addc_co_u32_e64 v4, s[4:5], v44, v4, s[4:5]
	v_xor_b32_e32 v1, 0xffff8000, v5
	s_movk_i32 s6, 0x200
	global_store_short v[3:4], v1, off
	s_waitcnt lgkmcnt(4)
	v_add3_u32 v1, v0, v36, s6
	v_lshlrev_b64 v[3:4], 1, v[1:2]
	v_mov_b32_e32 v5, s39
	v_add_co_u32_e64 v3, s[4:5], s38, v3
	v_addc_co_u32_e64 v4, s[4:5], v5, v4, s[4:5]
	v_xor_b32_e32 v1, 0xffff8000, v6
	s_movk_i32 s4, 0x400
	global_store_short v[3:4], v1, off
	s_waitcnt lgkmcnt(3)
	v_add3_u32 v1, v37, v0, s4
	v_lshlrev_b64 v[3:4], 1, v[1:2]
	v_xor_b32_e32 v1, 0xffff8000, v9
	v_add_co_u32_e64 v3, s[4:5], s38, v3
	v_addc_co_u32_e64 v4, s[4:5], v5, v4, s[4:5]
	s_movk_i32 s4, 0x600
	global_store_short v[3:4], v1, off
	s_waitcnt lgkmcnt(2)
	v_add3_u32 v1, v0, v43, s4
	v_lshlrev_b64 v[3:4], 1, v[1:2]
	v_mov_b32_e32 v1, s39
	v_add_co_u32_e64 v3, s[4:5], s38, v3
	v_addc_co_u32_e64 v4, s[4:5], v1, v4, s[4:5]
	s_movk_i32 s4, 0x800
	v_xor_b32_e32 v5, 0xffff8000, v10
	s_waitcnt lgkmcnt(1)
	v_add3_u32 v1, v13, v0, s4
	global_store_short v[3:4], v5, off
	v_lshlrev_b64 v[3:4], 1, v[1:2]
	v_mov_b32_e32 v1, s39
	v_add_co_u32_e64 v3, s[4:5], s38, v3
	v_addc_co_u32_e64 v4, s[4:5], v1, v4, s[4:5]
	s_movk_i32 s4, 0xa00
	v_xor_b32_e32 v5, 0xffff8000, v11
	s_waitcnt lgkmcnt(0)
	v_add3_u32 v1, v0, v14, s4
	global_store_short v[3:4], v5, off
	v_lshlrev_b64 v[3:4], 1, v[1:2]
	v_mov_b32_e32 v1, s39
	v_add_co_u32_e64 v3, s[4:5], s38, v3
	v_addc_co_u32_e64 v4, s[4:5], v1, v4, s[4:5]
	s_lshl_b64 s[4:5], s[26:27], 3
	s_add_u32 s4, s40, s4
	v_xor_b32_e32 v5, 0xffff8000, v12
	s_addc_u32 s5, s41, s5
	v_lshlrev_b32_e32 v1, 3, v8
	global_store_short v[3:4], v5, off
	v_mov_b32_e32 v3, s5
	v_add_co_u32_e64 v1, s[4:5], s4, v1
	v_addc_co_u32_e64 v3, s[4:5], 0, v3, s[4:5]
	v_lshlrev_b32_e32 v4, 3, v7
	v_add_co_u32_e64 v36, s[4:5], v1, v4
	v_addc_co_u32_e64 v37, s[4:5], 0, v3, s[4:5]
	global_load_dwordx2 v[3:4], v[36:37], off
	global_load_dwordx2 v[5:6], v[36:37], off offset:512
	global_load_dwordx2 v[7:8], v[36:37], off offset:1024
	;; [unrolled: 1-line block ×5, first 2 shown]
	v_mul_u32_u24_e32 v1, 6, v0
	v_add3_u32 v23, v26, v35, v23
	v_add3_u32 v21, v22, v34, v21
	;; [unrolled: 1-line block ×5, first 2 shown]
	s_mov_b32 s7, 0
	s_mov_b32 s8, 0
	v_add_u32_e32 v16, v25, v1
	v_mov_b32_e32 v18, s43
	buffer_store_dword v30, off, s[0:3], 0
	buffer_store_dword v38, off, s[0:3], 0 offset:4
	buffer_store_dword v39, off, s[0:3], 0 offset:8
	;; [unrolled: 1-line block ×5, first 2 shown]
	s_waitcnt vmcnt(0)
	s_barrier
.LBB1410_116:                           ; =>This Inner Loop Header: Depth=1
	v_add_u32_e32 v1, s8, v29
	v_add_u32_e32 v20, s8, v15
	;; [unrolled: 1-line block ×6, first 2 shown]
	v_min_u32_e32 v1, 0x400, v1
	v_min_u32_e32 v20, 0x400, v20
	v_mov_b32_e32 v31, s7
	v_min_u32_e32 v22, 0x400, v22
	v_min_u32_e32 v25, 0x400, v25
	;; [unrolled: 1-line block ×4, first 2 shown]
	v_lshlrev_b32_e32 v1, 3, v1
	v_lshlrev_b32_e32 v20, 3, v20
	;; [unrolled: 1-line block ×6, first 2 shown]
	ds_write_b64 v1, v[3:4] offset:1024
	ds_write_b64 v20, v[5:6] offset:1024
	;; [unrolled: 1-line block ×6, first 2 shown]
	s_waitcnt lgkmcnt(0)
	s_barrier
	buffer_load_dword v1, v31, s[0:3], 0 offen
	buffer_load_dword v20, v31, s[0:3], 0 offen offset:4
	ds_read2st64_b64 v[30:33], v16 offset0:2 offset1:10
	s_addk_i32 s8, 0xfc00
	s_add_i32 s7, s7, 8
	s_cmpk_lg_i32 s8, 0xf400
	s_waitcnt vmcnt(1)
	v_lshlrev_b32_e32 v1, 2, v1
	s_waitcnt vmcnt(0)
	v_lshlrev_b32_e32 v20, 2, v20
	ds_read_b32 v1, v1
	ds_read_b32 v20, v20
	s_waitcnt lgkmcnt(1)
	v_add_u32_e32 v1, v0, v1
	v_lshlrev_b64 v[25:26], 3, v[1:2]
	s_waitcnt lgkmcnt(0)
	v_add3_u32 v1, v0, v20, s6
	v_lshlrev_b64 v[34:35], 3, v[1:2]
	v_add_co_u32_e64 v25, s[4:5], s42, v25
	v_addc_co_u32_e64 v26, s[4:5], v18, v26, s[4:5]
	global_store_dwordx2 v[25:26], v[30:31], off
	v_add_co_u32_e64 v25, s[4:5], s42, v34
	v_add_u32_e32 v0, 0x400, v0
	v_addc_co_u32_e64 v26, s[4:5], v18, v35, s[4:5]
	global_store_dwordx2 v[25:26], v[32:33], off
	s_waitcnt vmcnt(0)
	s_barrier
	s_cbranch_scc1 .LBB1410_116
; %bb.117:
	s_add_i32 s14, s14, -1
	s_cmp_eq_u32 s33, s14
	s_cselect_b64 s[4:5], -1, 0
	s_xor_b64 s[6:7], vcc, -1
	s_and_b64 s[4:5], s[6:7], s[4:5]
	s_and_saveexec_b64 s[6:7], s[4:5]
	s_cbranch_execz .LBB1410_119
; %bb.118:
	ds_read_b32 v0, v24
	s_waitcnt lgkmcnt(0)
	v_add3_u32 v0, v27, v28, v0
	global_store_dword v24, v0, s[30:31]
.LBB1410_119:
	s_endpgm
	.section	.rodata,"a",@progbits
	.p2align	6, 0x0
	.amdhsa_kernel _ZN7rocprim17ROCPRIM_400000_NS6detail17trampoline_kernelINS0_14default_configENS1_35radix_sort_onesweep_config_selectorIslEEZZNS1_29radix_sort_onesweep_iterationIS3_Lb0EPsS7_N6thrust23THRUST_200600_302600_NS10device_ptrIlEESB_jNS0_19identity_decomposerENS1_16block_id_wrapperIjLb1EEEEE10hipError_tT1_PNSt15iterator_traitsISG_E10value_typeET2_T3_PNSH_ISM_E10value_typeET4_T5_PSR_SS_PNS1_23onesweep_lookback_stateEbbT6_jjT7_P12ihipStream_tbENKUlT_T0_SG_SL_E_clIS7_S7_SB_PlEEDaSZ_S10_SG_SL_EUlSZ_E_NS1_11comp_targetILNS1_3genE2ELNS1_11target_archE906ELNS1_3gpuE6ELNS1_3repE0EEENS1_47radix_sort_onesweep_sort_config_static_selectorELNS0_4arch9wavefront6targetE1EEEvSG_
		.amdhsa_group_segment_fixed_size 10280
		.amdhsa_private_segment_fixed_size 32
		.amdhsa_kernarg_size 344
		.amdhsa_user_sgpr_count 6
		.amdhsa_user_sgpr_private_segment_buffer 1
		.amdhsa_user_sgpr_dispatch_ptr 0
		.amdhsa_user_sgpr_queue_ptr 0
		.amdhsa_user_sgpr_kernarg_segment_ptr 1
		.amdhsa_user_sgpr_dispatch_id 0
		.amdhsa_user_sgpr_flat_scratch_init 0
		.amdhsa_user_sgpr_private_segment_size 0
		.amdhsa_uses_dynamic_stack 0
		.amdhsa_system_sgpr_private_segment_wavefront_offset 1
		.amdhsa_system_sgpr_workgroup_id_x 1
		.amdhsa_system_sgpr_workgroup_id_y 0
		.amdhsa_system_sgpr_workgroup_id_z 0
		.amdhsa_system_sgpr_workgroup_info 0
		.amdhsa_system_vgpr_workitem_id 2
		.amdhsa_next_free_vgpr 45
		.amdhsa_next_free_sgpr 56
		.amdhsa_reserve_vcc 1
		.amdhsa_reserve_flat_scratch 0
		.amdhsa_float_round_mode_32 0
		.amdhsa_float_round_mode_16_64 0
		.amdhsa_float_denorm_mode_32 3
		.amdhsa_float_denorm_mode_16_64 3
		.amdhsa_dx10_clamp 1
		.amdhsa_ieee_mode 1
		.amdhsa_fp16_overflow 0
		.amdhsa_exception_fp_ieee_invalid_op 0
		.amdhsa_exception_fp_denorm_src 0
		.amdhsa_exception_fp_ieee_div_zero 0
		.amdhsa_exception_fp_ieee_overflow 0
		.amdhsa_exception_fp_ieee_underflow 0
		.amdhsa_exception_fp_ieee_inexact 0
		.amdhsa_exception_int_div_zero 0
	.end_amdhsa_kernel
	.section	.text._ZN7rocprim17ROCPRIM_400000_NS6detail17trampoline_kernelINS0_14default_configENS1_35radix_sort_onesweep_config_selectorIslEEZZNS1_29radix_sort_onesweep_iterationIS3_Lb0EPsS7_N6thrust23THRUST_200600_302600_NS10device_ptrIlEESB_jNS0_19identity_decomposerENS1_16block_id_wrapperIjLb1EEEEE10hipError_tT1_PNSt15iterator_traitsISG_E10value_typeET2_T3_PNSH_ISM_E10value_typeET4_T5_PSR_SS_PNS1_23onesweep_lookback_stateEbbT6_jjT7_P12ihipStream_tbENKUlT_T0_SG_SL_E_clIS7_S7_SB_PlEEDaSZ_S10_SG_SL_EUlSZ_E_NS1_11comp_targetILNS1_3genE2ELNS1_11target_archE906ELNS1_3gpuE6ELNS1_3repE0EEENS1_47radix_sort_onesweep_sort_config_static_selectorELNS0_4arch9wavefront6targetE1EEEvSG_,"axG",@progbits,_ZN7rocprim17ROCPRIM_400000_NS6detail17trampoline_kernelINS0_14default_configENS1_35radix_sort_onesweep_config_selectorIslEEZZNS1_29radix_sort_onesweep_iterationIS3_Lb0EPsS7_N6thrust23THRUST_200600_302600_NS10device_ptrIlEESB_jNS0_19identity_decomposerENS1_16block_id_wrapperIjLb1EEEEE10hipError_tT1_PNSt15iterator_traitsISG_E10value_typeET2_T3_PNSH_ISM_E10value_typeET4_T5_PSR_SS_PNS1_23onesweep_lookback_stateEbbT6_jjT7_P12ihipStream_tbENKUlT_T0_SG_SL_E_clIS7_S7_SB_PlEEDaSZ_S10_SG_SL_EUlSZ_E_NS1_11comp_targetILNS1_3genE2ELNS1_11target_archE906ELNS1_3gpuE6ELNS1_3repE0EEENS1_47radix_sort_onesweep_sort_config_static_selectorELNS0_4arch9wavefront6targetE1EEEvSG_,comdat
.Lfunc_end1410:
	.size	_ZN7rocprim17ROCPRIM_400000_NS6detail17trampoline_kernelINS0_14default_configENS1_35radix_sort_onesweep_config_selectorIslEEZZNS1_29radix_sort_onesweep_iterationIS3_Lb0EPsS7_N6thrust23THRUST_200600_302600_NS10device_ptrIlEESB_jNS0_19identity_decomposerENS1_16block_id_wrapperIjLb1EEEEE10hipError_tT1_PNSt15iterator_traitsISG_E10value_typeET2_T3_PNSH_ISM_E10value_typeET4_T5_PSR_SS_PNS1_23onesweep_lookback_stateEbbT6_jjT7_P12ihipStream_tbENKUlT_T0_SG_SL_E_clIS7_S7_SB_PlEEDaSZ_S10_SG_SL_EUlSZ_E_NS1_11comp_targetILNS1_3genE2ELNS1_11target_archE906ELNS1_3gpuE6ELNS1_3repE0EEENS1_47radix_sort_onesweep_sort_config_static_selectorELNS0_4arch9wavefront6targetE1EEEvSG_, .Lfunc_end1410-_ZN7rocprim17ROCPRIM_400000_NS6detail17trampoline_kernelINS0_14default_configENS1_35radix_sort_onesweep_config_selectorIslEEZZNS1_29radix_sort_onesweep_iterationIS3_Lb0EPsS7_N6thrust23THRUST_200600_302600_NS10device_ptrIlEESB_jNS0_19identity_decomposerENS1_16block_id_wrapperIjLb1EEEEE10hipError_tT1_PNSt15iterator_traitsISG_E10value_typeET2_T3_PNSH_ISM_E10value_typeET4_T5_PSR_SS_PNS1_23onesweep_lookback_stateEbbT6_jjT7_P12ihipStream_tbENKUlT_T0_SG_SL_E_clIS7_S7_SB_PlEEDaSZ_S10_SG_SL_EUlSZ_E_NS1_11comp_targetILNS1_3genE2ELNS1_11target_archE906ELNS1_3gpuE6ELNS1_3repE0EEENS1_47radix_sort_onesweep_sort_config_static_selectorELNS0_4arch9wavefront6targetE1EEEvSG_
                                        ; -- End function
	.set _ZN7rocprim17ROCPRIM_400000_NS6detail17trampoline_kernelINS0_14default_configENS1_35radix_sort_onesweep_config_selectorIslEEZZNS1_29radix_sort_onesweep_iterationIS3_Lb0EPsS7_N6thrust23THRUST_200600_302600_NS10device_ptrIlEESB_jNS0_19identity_decomposerENS1_16block_id_wrapperIjLb1EEEEE10hipError_tT1_PNSt15iterator_traitsISG_E10value_typeET2_T3_PNSH_ISM_E10value_typeET4_T5_PSR_SS_PNS1_23onesweep_lookback_stateEbbT6_jjT7_P12ihipStream_tbENKUlT_T0_SG_SL_E_clIS7_S7_SB_PlEEDaSZ_S10_SG_SL_EUlSZ_E_NS1_11comp_targetILNS1_3genE2ELNS1_11target_archE906ELNS1_3gpuE6ELNS1_3repE0EEENS1_47radix_sort_onesweep_sort_config_static_selectorELNS0_4arch9wavefront6targetE1EEEvSG_.num_vgpr, 45
	.set _ZN7rocprim17ROCPRIM_400000_NS6detail17trampoline_kernelINS0_14default_configENS1_35radix_sort_onesweep_config_selectorIslEEZZNS1_29radix_sort_onesweep_iterationIS3_Lb0EPsS7_N6thrust23THRUST_200600_302600_NS10device_ptrIlEESB_jNS0_19identity_decomposerENS1_16block_id_wrapperIjLb1EEEEE10hipError_tT1_PNSt15iterator_traitsISG_E10value_typeET2_T3_PNSH_ISM_E10value_typeET4_T5_PSR_SS_PNS1_23onesweep_lookback_stateEbbT6_jjT7_P12ihipStream_tbENKUlT_T0_SG_SL_E_clIS7_S7_SB_PlEEDaSZ_S10_SG_SL_EUlSZ_E_NS1_11comp_targetILNS1_3genE2ELNS1_11target_archE906ELNS1_3gpuE6ELNS1_3repE0EEENS1_47radix_sort_onesweep_sort_config_static_selectorELNS0_4arch9wavefront6targetE1EEEvSG_.num_agpr, 0
	.set _ZN7rocprim17ROCPRIM_400000_NS6detail17trampoline_kernelINS0_14default_configENS1_35radix_sort_onesweep_config_selectorIslEEZZNS1_29radix_sort_onesweep_iterationIS3_Lb0EPsS7_N6thrust23THRUST_200600_302600_NS10device_ptrIlEESB_jNS0_19identity_decomposerENS1_16block_id_wrapperIjLb1EEEEE10hipError_tT1_PNSt15iterator_traitsISG_E10value_typeET2_T3_PNSH_ISM_E10value_typeET4_T5_PSR_SS_PNS1_23onesweep_lookback_stateEbbT6_jjT7_P12ihipStream_tbENKUlT_T0_SG_SL_E_clIS7_S7_SB_PlEEDaSZ_S10_SG_SL_EUlSZ_E_NS1_11comp_targetILNS1_3genE2ELNS1_11target_archE906ELNS1_3gpuE6ELNS1_3repE0EEENS1_47radix_sort_onesweep_sort_config_static_selectorELNS0_4arch9wavefront6targetE1EEEvSG_.numbered_sgpr, 56
	.set _ZN7rocprim17ROCPRIM_400000_NS6detail17trampoline_kernelINS0_14default_configENS1_35radix_sort_onesweep_config_selectorIslEEZZNS1_29radix_sort_onesweep_iterationIS3_Lb0EPsS7_N6thrust23THRUST_200600_302600_NS10device_ptrIlEESB_jNS0_19identity_decomposerENS1_16block_id_wrapperIjLb1EEEEE10hipError_tT1_PNSt15iterator_traitsISG_E10value_typeET2_T3_PNSH_ISM_E10value_typeET4_T5_PSR_SS_PNS1_23onesweep_lookback_stateEbbT6_jjT7_P12ihipStream_tbENKUlT_T0_SG_SL_E_clIS7_S7_SB_PlEEDaSZ_S10_SG_SL_EUlSZ_E_NS1_11comp_targetILNS1_3genE2ELNS1_11target_archE906ELNS1_3gpuE6ELNS1_3repE0EEENS1_47radix_sort_onesweep_sort_config_static_selectorELNS0_4arch9wavefront6targetE1EEEvSG_.num_named_barrier, 0
	.set _ZN7rocprim17ROCPRIM_400000_NS6detail17trampoline_kernelINS0_14default_configENS1_35radix_sort_onesweep_config_selectorIslEEZZNS1_29radix_sort_onesweep_iterationIS3_Lb0EPsS7_N6thrust23THRUST_200600_302600_NS10device_ptrIlEESB_jNS0_19identity_decomposerENS1_16block_id_wrapperIjLb1EEEEE10hipError_tT1_PNSt15iterator_traitsISG_E10value_typeET2_T3_PNSH_ISM_E10value_typeET4_T5_PSR_SS_PNS1_23onesweep_lookback_stateEbbT6_jjT7_P12ihipStream_tbENKUlT_T0_SG_SL_E_clIS7_S7_SB_PlEEDaSZ_S10_SG_SL_EUlSZ_E_NS1_11comp_targetILNS1_3genE2ELNS1_11target_archE906ELNS1_3gpuE6ELNS1_3repE0EEENS1_47radix_sort_onesweep_sort_config_static_selectorELNS0_4arch9wavefront6targetE1EEEvSG_.private_seg_size, 32
	.set _ZN7rocprim17ROCPRIM_400000_NS6detail17trampoline_kernelINS0_14default_configENS1_35radix_sort_onesweep_config_selectorIslEEZZNS1_29radix_sort_onesweep_iterationIS3_Lb0EPsS7_N6thrust23THRUST_200600_302600_NS10device_ptrIlEESB_jNS0_19identity_decomposerENS1_16block_id_wrapperIjLb1EEEEE10hipError_tT1_PNSt15iterator_traitsISG_E10value_typeET2_T3_PNSH_ISM_E10value_typeET4_T5_PSR_SS_PNS1_23onesweep_lookback_stateEbbT6_jjT7_P12ihipStream_tbENKUlT_T0_SG_SL_E_clIS7_S7_SB_PlEEDaSZ_S10_SG_SL_EUlSZ_E_NS1_11comp_targetILNS1_3genE2ELNS1_11target_archE906ELNS1_3gpuE6ELNS1_3repE0EEENS1_47radix_sort_onesweep_sort_config_static_selectorELNS0_4arch9wavefront6targetE1EEEvSG_.uses_vcc, 1
	.set _ZN7rocprim17ROCPRIM_400000_NS6detail17trampoline_kernelINS0_14default_configENS1_35radix_sort_onesweep_config_selectorIslEEZZNS1_29radix_sort_onesweep_iterationIS3_Lb0EPsS7_N6thrust23THRUST_200600_302600_NS10device_ptrIlEESB_jNS0_19identity_decomposerENS1_16block_id_wrapperIjLb1EEEEE10hipError_tT1_PNSt15iterator_traitsISG_E10value_typeET2_T3_PNSH_ISM_E10value_typeET4_T5_PSR_SS_PNS1_23onesweep_lookback_stateEbbT6_jjT7_P12ihipStream_tbENKUlT_T0_SG_SL_E_clIS7_S7_SB_PlEEDaSZ_S10_SG_SL_EUlSZ_E_NS1_11comp_targetILNS1_3genE2ELNS1_11target_archE906ELNS1_3gpuE6ELNS1_3repE0EEENS1_47radix_sort_onesweep_sort_config_static_selectorELNS0_4arch9wavefront6targetE1EEEvSG_.uses_flat_scratch, 0
	.set _ZN7rocprim17ROCPRIM_400000_NS6detail17trampoline_kernelINS0_14default_configENS1_35radix_sort_onesweep_config_selectorIslEEZZNS1_29radix_sort_onesweep_iterationIS3_Lb0EPsS7_N6thrust23THRUST_200600_302600_NS10device_ptrIlEESB_jNS0_19identity_decomposerENS1_16block_id_wrapperIjLb1EEEEE10hipError_tT1_PNSt15iterator_traitsISG_E10value_typeET2_T3_PNSH_ISM_E10value_typeET4_T5_PSR_SS_PNS1_23onesweep_lookback_stateEbbT6_jjT7_P12ihipStream_tbENKUlT_T0_SG_SL_E_clIS7_S7_SB_PlEEDaSZ_S10_SG_SL_EUlSZ_E_NS1_11comp_targetILNS1_3genE2ELNS1_11target_archE906ELNS1_3gpuE6ELNS1_3repE0EEENS1_47radix_sort_onesweep_sort_config_static_selectorELNS0_4arch9wavefront6targetE1EEEvSG_.has_dyn_sized_stack, 0
	.set _ZN7rocprim17ROCPRIM_400000_NS6detail17trampoline_kernelINS0_14default_configENS1_35radix_sort_onesweep_config_selectorIslEEZZNS1_29radix_sort_onesweep_iterationIS3_Lb0EPsS7_N6thrust23THRUST_200600_302600_NS10device_ptrIlEESB_jNS0_19identity_decomposerENS1_16block_id_wrapperIjLb1EEEEE10hipError_tT1_PNSt15iterator_traitsISG_E10value_typeET2_T3_PNSH_ISM_E10value_typeET4_T5_PSR_SS_PNS1_23onesweep_lookback_stateEbbT6_jjT7_P12ihipStream_tbENKUlT_T0_SG_SL_E_clIS7_S7_SB_PlEEDaSZ_S10_SG_SL_EUlSZ_E_NS1_11comp_targetILNS1_3genE2ELNS1_11target_archE906ELNS1_3gpuE6ELNS1_3repE0EEENS1_47radix_sort_onesweep_sort_config_static_selectorELNS0_4arch9wavefront6targetE1EEEvSG_.has_recursion, 0
	.set _ZN7rocprim17ROCPRIM_400000_NS6detail17trampoline_kernelINS0_14default_configENS1_35radix_sort_onesweep_config_selectorIslEEZZNS1_29radix_sort_onesweep_iterationIS3_Lb0EPsS7_N6thrust23THRUST_200600_302600_NS10device_ptrIlEESB_jNS0_19identity_decomposerENS1_16block_id_wrapperIjLb1EEEEE10hipError_tT1_PNSt15iterator_traitsISG_E10value_typeET2_T3_PNSH_ISM_E10value_typeET4_T5_PSR_SS_PNS1_23onesweep_lookback_stateEbbT6_jjT7_P12ihipStream_tbENKUlT_T0_SG_SL_E_clIS7_S7_SB_PlEEDaSZ_S10_SG_SL_EUlSZ_E_NS1_11comp_targetILNS1_3genE2ELNS1_11target_archE906ELNS1_3gpuE6ELNS1_3repE0EEENS1_47radix_sort_onesweep_sort_config_static_selectorELNS0_4arch9wavefront6targetE1EEEvSG_.has_indirect_call, 0
	.section	.AMDGPU.csdata,"",@progbits
; Kernel info:
; codeLenInByte = 10844
; TotalNumSgprs: 60
; NumVgprs: 45
; ScratchSize: 32
; MemoryBound: 0
; FloatMode: 240
; IeeeMode: 1
; LDSByteSize: 10280 bytes/workgroup (compile time only)
; SGPRBlocks: 7
; VGPRBlocks: 11
; NumSGPRsForWavesPerEU: 60
; NumVGPRsForWavesPerEU: 45
; Occupancy: 5
; WaveLimiterHint : 1
; COMPUTE_PGM_RSRC2:SCRATCH_EN: 1
; COMPUTE_PGM_RSRC2:USER_SGPR: 6
; COMPUTE_PGM_RSRC2:TRAP_HANDLER: 0
; COMPUTE_PGM_RSRC2:TGID_X_EN: 1
; COMPUTE_PGM_RSRC2:TGID_Y_EN: 0
; COMPUTE_PGM_RSRC2:TGID_Z_EN: 0
; COMPUTE_PGM_RSRC2:TIDIG_COMP_CNT: 2
	.section	.text._ZN7rocprim17ROCPRIM_400000_NS6detail17trampoline_kernelINS0_14default_configENS1_35radix_sort_onesweep_config_selectorIslEEZZNS1_29radix_sort_onesweep_iterationIS3_Lb0EPsS7_N6thrust23THRUST_200600_302600_NS10device_ptrIlEESB_jNS0_19identity_decomposerENS1_16block_id_wrapperIjLb1EEEEE10hipError_tT1_PNSt15iterator_traitsISG_E10value_typeET2_T3_PNSH_ISM_E10value_typeET4_T5_PSR_SS_PNS1_23onesweep_lookback_stateEbbT6_jjT7_P12ihipStream_tbENKUlT_T0_SG_SL_E_clIS7_S7_SB_PlEEDaSZ_S10_SG_SL_EUlSZ_E_NS1_11comp_targetILNS1_3genE4ELNS1_11target_archE910ELNS1_3gpuE8ELNS1_3repE0EEENS1_47radix_sort_onesweep_sort_config_static_selectorELNS0_4arch9wavefront6targetE1EEEvSG_,"axG",@progbits,_ZN7rocprim17ROCPRIM_400000_NS6detail17trampoline_kernelINS0_14default_configENS1_35radix_sort_onesweep_config_selectorIslEEZZNS1_29radix_sort_onesweep_iterationIS3_Lb0EPsS7_N6thrust23THRUST_200600_302600_NS10device_ptrIlEESB_jNS0_19identity_decomposerENS1_16block_id_wrapperIjLb1EEEEE10hipError_tT1_PNSt15iterator_traitsISG_E10value_typeET2_T3_PNSH_ISM_E10value_typeET4_T5_PSR_SS_PNS1_23onesweep_lookback_stateEbbT6_jjT7_P12ihipStream_tbENKUlT_T0_SG_SL_E_clIS7_S7_SB_PlEEDaSZ_S10_SG_SL_EUlSZ_E_NS1_11comp_targetILNS1_3genE4ELNS1_11target_archE910ELNS1_3gpuE8ELNS1_3repE0EEENS1_47radix_sort_onesweep_sort_config_static_selectorELNS0_4arch9wavefront6targetE1EEEvSG_,comdat
	.protected	_ZN7rocprim17ROCPRIM_400000_NS6detail17trampoline_kernelINS0_14default_configENS1_35radix_sort_onesweep_config_selectorIslEEZZNS1_29radix_sort_onesweep_iterationIS3_Lb0EPsS7_N6thrust23THRUST_200600_302600_NS10device_ptrIlEESB_jNS0_19identity_decomposerENS1_16block_id_wrapperIjLb1EEEEE10hipError_tT1_PNSt15iterator_traitsISG_E10value_typeET2_T3_PNSH_ISM_E10value_typeET4_T5_PSR_SS_PNS1_23onesweep_lookback_stateEbbT6_jjT7_P12ihipStream_tbENKUlT_T0_SG_SL_E_clIS7_S7_SB_PlEEDaSZ_S10_SG_SL_EUlSZ_E_NS1_11comp_targetILNS1_3genE4ELNS1_11target_archE910ELNS1_3gpuE8ELNS1_3repE0EEENS1_47radix_sort_onesweep_sort_config_static_selectorELNS0_4arch9wavefront6targetE1EEEvSG_ ; -- Begin function _ZN7rocprim17ROCPRIM_400000_NS6detail17trampoline_kernelINS0_14default_configENS1_35radix_sort_onesweep_config_selectorIslEEZZNS1_29radix_sort_onesweep_iterationIS3_Lb0EPsS7_N6thrust23THRUST_200600_302600_NS10device_ptrIlEESB_jNS0_19identity_decomposerENS1_16block_id_wrapperIjLb1EEEEE10hipError_tT1_PNSt15iterator_traitsISG_E10value_typeET2_T3_PNSH_ISM_E10value_typeET4_T5_PSR_SS_PNS1_23onesweep_lookback_stateEbbT6_jjT7_P12ihipStream_tbENKUlT_T0_SG_SL_E_clIS7_S7_SB_PlEEDaSZ_S10_SG_SL_EUlSZ_E_NS1_11comp_targetILNS1_3genE4ELNS1_11target_archE910ELNS1_3gpuE8ELNS1_3repE0EEENS1_47radix_sort_onesweep_sort_config_static_selectorELNS0_4arch9wavefront6targetE1EEEvSG_
	.globl	_ZN7rocprim17ROCPRIM_400000_NS6detail17trampoline_kernelINS0_14default_configENS1_35radix_sort_onesweep_config_selectorIslEEZZNS1_29radix_sort_onesweep_iterationIS3_Lb0EPsS7_N6thrust23THRUST_200600_302600_NS10device_ptrIlEESB_jNS0_19identity_decomposerENS1_16block_id_wrapperIjLb1EEEEE10hipError_tT1_PNSt15iterator_traitsISG_E10value_typeET2_T3_PNSH_ISM_E10value_typeET4_T5_PSR_SS_PNS1_23onesweep_lookback_stateEbbT6_jjT7_P12ihipStream_tbENKUlT_T0_SG_SL_E_clIS7_S7_SB_PlEEDaSZ_S10_SG_SL_EUlSZ_E_NS1_11comp_targetILNS1_3genE4ELNS1_11target_archE910ELNS1_3gpuE8ELNS1_3repE0EEENS1_47radix_sort_onesweep_sort_config_static_selectorELNS0_4arch9wavefront6targetE1EEEvSG_
	.p2align	8
	.type	_ZN7rocprim17ROCPRIM_400000_NS6detail17trampoline_kernelINS0_14default_configENS1_35radix_sort_onesweep_config_selectorIslEEZZNS1_29radix_sort_onesweep_iterationIS3_Lb0EPsS7_N6thrust23THRUST_200600_302600_NS10device_ptrIlEESB_jNS0_19identity_decomposerENS1_16block_id_wrapperIjLb1EEEEE10hipError_tT1_PNSt15iterator_traitsISG_E10value_typeET2_T3_PNSH_ISM_E10value_typeET4_T5_PSR_SS_PNS1_23onesweep_lookback_stateEbbT6_jjT7_P12ihipStream_tbENKUlT_T0_SG_SL_E_clIS7_S7_SB_PlEEDaSZ_S10_SG_SL_EUlSZ_E_NS1_11comp_targetILNS1_3genE4ELNS1_11target_archE910ELNS1_3gpuE8ELNS1_3repE0EEENS1_47radix_sort_onesweep_sort_config_static_selectorELNS0_4arch9wavefront6targetE1EEEvSG_,@function
_ZN7rocprim17ROCPRIM_400000_NS6detail17trampoline_kernelINS0_14default_configENS1_35radix_sort_onesweep_config_selectorIslEEZZNS1_29radix_sort_onesweep_iterationIS3_Lb0EPsS7_N6thrust23THRUST_200600_302600_NS10device_ptrIlEESB_jNS0_19identity_decomposerENS1_16block_id_wrapperIjLb1EEEEE10hipError_tT1_PNSt15iterator_traitsISG_E10value_typeET2_T3_PNSH_ISM_E10value_typeET4_T5_PSR_SS_PNS1_23onesweep_lookback_stateEbbT6_jjT7_P12ihipStream_tbENKUlT_T0_SG_SL_E_clIS7_S7_SB_PlEEDaSZ_S10_SG_SL_EUlSZ_E_NS1_11comp_targetILNS1_3genE4ELNS1_11target_archE910ELNS1_3gpuE8ELNS1_3repE0EEENS1_47radix_sort_onesweep_sort_config_static_selectorELNS0_4arch9wavefront6targetE1EEEvSG_: ; @_ZN7rocprim17ROCPRIM_400000_NS6detail17trampoline_kernelINS0_14default_configENS1_35radix_sort_onesweep_config_selectorIslEEZZNS1_29radix_sort_onesweep_iterationIS3_Lb0EPsS7_N6thrust23THRUST_200600_302600_NS10device_ptrIlEESB_jNS0_19identity_decomposerENS1_16block_id_wrapperIjLb1EEEEE10hipError_tT1_PNSt15iterator_traitsISG_E10value_typeET2_T3_PNSH_ISM_E10value_typeET4_T5_PSR_SS_PNS1_23onesweep_lookback_stateEbbT6_jjT7_P12ihipStream_tbENKUlT_T0_SG_SL_E_clIS7_S7_SB_PlEEDaSZ_S10_SG_SL_EUlSZ_E_NS1_11comp_targetILNS1_3genE4ELNS1_11target_archE910ELNS1_3gpuE8ELNS1_3repE0EEENS1_47radix_sort_onesweep_sort_config_static_selectorELNS0_4arch9wavefront6targetE1EEEvSG_
; %bb.0:
	.section	.rodata,"a",@progbits
	.p2align	6, 0x0
	.amdhsa_kernel _ZN7rocprim17ROCPRIM_400000_NS6detail17trampoline_kernelINS0_14default_configENS1_35radix_sort_onesweep_config_selectorIslEEZZNS1_29radix_sort_onesweep_iterationIS3_Lb0EPsS7_N6thrust23THRUST_200600_302600_NS10device_ptrIlEESB_jNS0_19identity_decomposerENS1_16block_id_wrapperIjLb1EEEEE10hipError_tT1_PNSt15iterator_traitsISG_E10value_typeET2_T3_PNSH_ISM_E10value_typeET4_T5_PSR_SS_PNS1_23onesweep_lookback_stateEbbT6_jjT7_P12ihipStream_tbENKUlT_T0_SG_SL_E_clIS7_S7_SB_PlEEDaSZ_S10_SG_SL_EUlSZ_E_NS1_11comp_targetILNS1_3genE4ELNS1_11target_archE910ELNS1_3gpuE8ELNS1_3repE0EEENS1_47radix_sort_onesweep_sort_config_static_selectorELNS0_4arch9wavefront6targetE1EEEvSG_
		.amdhsa_group_segment_fixed_size 0
		.amdhsa_private_segment_fixed_size 0
		.amdhsa_kernarg_size 88
		.amdhsa_user_sgpr_count 6
		.amdhsa_user_sgpr_private_segment_buffer 1
		.amdhsa_user_sgpr_dispatch_ptr 0
		.amdhsa_user_sgpr_queue_ptr 0
		.amdhsa_user_sgpr_kernarg_segment_ptr 1
		.amdhsa_user_sgpr_dispatch_id 0
		.amdhsa_user_sgpr_flat_scratch_init 0
		.amdhsa_user_sgpr_private_segment_size 0
		.amdhsa_uses_dynamic_stack 0
		.amdhsa_system_sgpr_private_segment_wavefront_offset 0
		.amdhsa_system_sgpr_workgroup_id_x 1
		.amdhsa_system_sgpr_workgroup_id_y 0
		.amdhsa_system_sgpr_workgroup_id_z 0
		.amdhsa_system_sgpr_workgroup_info 0
		.amdhsa_system_vgpr_workitem_id 0
		.amdhsa_next_free_vgpr 1
		.amdhsa_next_free_sgpr 0
		.amdhsa_reserve_vcc 0
		.amdhsa_reserve_flat_scratch 0
		.amdhsa_float_round_mode_32 0
		.amdhsa_float_round_mode_16_64 0
		.amdhsa_float_denorm_mode_32 3
		.amdhsa_float_denorm_mode_16_64 3
		.amdhsa_dx10_clamp 1
		.amdhsa_ieee_mode 1
		.amdhsa_fp16_overflow 0
		.amdhsa_exception_fp_ieee_invalid_op 0
		.amdhsa_exception_fp_denorm_src 0
		.amdhsa_exception_fp_ieee_div_zero 0
		.amdhsa_exception_fp_ieee_overflow 0
		.amdhsa_exception_fp_ieee_underflow 0
		.amdhsa_exception_fp_ieee_inexact 0
		.amdhsa_exception_int_div_zero 0
	.end_amdhsa_kernel
	.section	.text._ZN7rocprim17ROCPRIM_400000_NS6detail17trampoline_kernelINS0_14default_configENS1_35radix_sort_onesweep_config_selectorIslEEZZNS1_29radix_sort_onesweep_iterationIS3_Lb0EPsS7_N6thrust23THRUST_200600_302600_NS10device_ptrIlEESB_jNS0_19identity_decomposerENS1_16block_id_wrapperIjLb1EEEEE10hipError_tT1_PNSt15iterator_traitsISG_E10value_typeET2_T3_PNSH_ISM_E10value_typeET4_T5_PSR_SS_PNS1_23onesweep_lookback_stateEbbT6_jjT7_P12ihipStream_tbENKUlT_T0_SG_SL_E_clIS7_S7_SB_PlEEDaSZ_S10_SG_SL_EUlSZ_E_NS1_11comp_targetILNS1_3genE4ELNS1_11target_archE910ELNS1_3gpuE8ELNS1_3repE0EEENS1_47radix_sort_onesweep_sort_config_static_selectorELNS0_4arch9wavefront6targetE1EEEvSG_,"axG",@progbits,_ZN7rocprim17ROCPRIM_400000_NS6detail17trampoline_kernelINS0_14default_configENS1_35radix_sort_onesweep_config_selectorIslEEZZNS1_29radix_sort_onesweep_iterationIS3_Lb0EPsS7_N6thrust23THRUST_200600_302600_NS10device_ptrIlEESB_jNS0_19identity_decomposerENS1_16block_id_wrapperIjLb1EEEEE10hipError_tT1_PNSt15iterator_traitsISG_E10value_typeET2_T3_PNSH_ISM_E10value_typeET4_T5_PSR_SS_PNS1_23onesweep_lookback_stateEbbT6_jjT7_P12ihipStream_tbENKUlT_T0_SG_SL_E_clIS7_S7_SB_PlEEDaSZ_S10_SG_SL_EUlSZ_E_NS1_11comp_targetILNS1_3genE4ELNS1_11target_archE910ELNS1_3gpuE8ELNS1_3repE0EEENS1_47radix_sort_onesweep_sort_config_static_selectorELNS0_4arch9wavefront6targetE1EEEvSG_,comdat
.Lfunc_end1411:
	.size	_ZN7rocprim17ROCPRIM_400000_NS6detail17trampoline_kernelINS0_14default_configENS1_35radix_sort_onesweep_config_selectorIslEEZZNS1_29radix_sort_onesweep_iterationIS3_Lb0EPsS7_N6thrust23THRUST_200600_302600_NS10device_ptrIlEESB_jNS0_19identity_decomposerENS1_16block_id_wrapperIjLb1EEEEE10hipError_tT1_PNSt15iterator_traitsISG_E10value_typeET2_T3_PNSH_ISM_E10value_typeET4_T5_PSR_SS_PNS1_23onesweep_lookback_stateEbbT6_jjT7_P12ihipStream_tbENKUlT_T0_SG_SL_E_clIS7_S7_SB_PlEEDaSZ_S10_SG_SL_EUlSZ_E_NS1_11comp_targetILNS1_3genE4ELNS1_11target_archE910ELNS1_3gpuE8ELNS1_3repE0EEENS1_47radix_sort_onesweep_sort_config_static_selectorELNS0_4arch9wavefront6targetE1EEEvSG_, .Lfunc_end1411-_ZN7rocprim17ROCPRIM_400000_NS6detail17trampoline_kernelINS0_14default_configENS1_35radix_sort_onesweep_config_selectorIslEEZZNS1_29radix_sort_onesweep_iterationIS3_Lb0EPsS7_N6thrust23THRUST_200600_302600_NS10device_ptrIlEESB_jNS0_19identity_decomposerENS1_16block_id_wrapperIjLb1EEEEE10hipError_tT1_PNSt15iterator_traitsISG_E10value_typeET2_T3_PNSH_ISM_E10value_typeET4_T5_PSR_SS_PNS1_23onesweep_lookback_stateEbbT6_jjT7_P12ihipStream_tbENKUlT_T0_SG_SL_E_clIS7_S7_SB_PlEEDaSZ_S10_SG_SL_EUlSZ_E_NS1_11comp_targetILNS1_3genE4ELNS1_11target_archE910ELNS1_3gpuE8ELNS1_3repE0EEENS1_47radix_sort_onesweep_sort_config_static_selectorELNS0_4arch9wavefront6targetE1EEEvSG_
                                        ; -- End function
	.set _ZN7rocprim17ROCPRIM_400000_NS6detail17trampoline_kernelINS0_14default_configENS1_35radix_sort_onesweep_config_selectorIslEEZZNS1_29radix_sort_onesweep_iterationIS3_Lb0EPsS7_N6thrust23THRUST_200600_302600_NS10device_ptrIlEESB_jNS0_19identity_decomposerENS1_16block_id_wrapperIjLb1EEEEE10hipError_tT1_PNSt15iterator_traitsISG_E10value_typeET2_T3_PNSH_ISM_E10value_typeET4_T5_PSR_SS_PNS1_23onesweep_lookback_stateEbbT6_jjT7_P12ihipStream_tbENKUlT_T0_SG_SL_E_clIS7_S7_SB_PlEEDaSZ_S10_SG_SL_EUlSZ_E_NS1_11comp_targetILNS1_3genE4ELNS1_11target_archE910ELNS1_3gpuE8ELNS1_3repE0EEENS1_47radix_sort_onesweep_sort_config_static_selectorELNS0_4arch9wavefront6targetE1EEEvSG_.num_vgpr, 0
	.set _ZN7rocprim17ROCPRIM_400000_NS6detail17trampoline_kernelINS0_14default_configENS1_35radix_sort_onesweep_config_selectorIslEEZZNS1_29radix_sort_onesweep_iterationIS3_Lb0EPsS7_N6thrust23THRUST_200600_302600_NS10device_ptrIlEESB_jNS0_19identity_decomposerENS1_16block_id_wrapperIjLb1EEEEE10hipError_tT1_PNSt15iterator_traitsISG_E10value_typeET2_T3_PNSH_ISM_E10value_typeET4_T5_PSR_SS_PNS1_23onesweep_lookback_stateEbbT6_jjT7_P12ihipStream_tbENKUlT_T0_SG_SL_E_clIS7_S7_SB_PlEEDaSZ_S10_SG_SL_EUlSZ_E_NS1_11comp_targetILNS1_3genE4ELNS1_11target_archE910ELNS1_3gpuE8ELNS1_3repE0EEENS1_47radix_sort_onesweep_sort_config_static_selectorELNS0_4arch9wavefront6targetE1EEEvSG_.num_agpr, 0
	.set _ZN7rocprim17ROCPRIM_400000_NS6detail17trampoline_kernelINS0_14default_configENS1_35radix_sort_onesweep_config_selectorIslEEZZNS1_29radix_sort_onesweep_iterationIS3_Lb0EPsS7_N6thrust23THRUST_200600_302600_NS10device_ptrIlEESB_jNS0_19identity_decomposerENS1_16block_id_wrapperIjLb1EEEEE10hipError_tT1_PNSt15iterator_traitsISG_E10value_typeET2_T3_PNSH_ISM_E10value_typeET4_T5_PSR_SS_PNS1_23onesweep_lookback_stateEbbT6_jjT7_P12ihipStream_tbENKUlT_T0_SG_SL_E_clIS7_S7_SB_PlEEDaSZ_S10_SG_SL_EUlSZ_E_NS1_11comp_targetILNS1_3genE4ELNS1_11target_archE910ELNS1_3gpuE8ELNS1_3repE0EEENS1_47radix_sort_onesweep_sort_config_static_selectorELNS0_4arch9wavefront6targetE1EEEvSG_.numbered_sgpr, 0
	.set _ZN7rocprim17ROCPRIM_400000_NS6detail17trampoline_kernelINS0_14default_configENS1_35radix_sort_onesweep_config_selectorIslEEZZNS1_29radix_sort_onesweep_iterationIS3_Lb0EPsS7_N6thrust23THRUST_200600_302600_NS10device_ptrIlEESB_jNS0_19identity_decomposerENS1_16block_id_wrapperIjLb1EEEEE10hipError_tT1_PNSt15iterator_traitsISG_E10value_typeET2_T3_PNSH_ISM_E10value_typeET4_T5_PSR_SS_PNS1_23onesweep_lookback_stateEbbT6_jjT7_P12ihipStream_tbENKUlT_T0_SG_SL_E_clIS7_S7_SB_PlEEDaSZ_S10_SG_SL_EUlSZ_E_NS1_11comp_targetILNS1_3genE4ELNS1_11target_archE910ELNS1_3gpuE8ELNS1_3repE0EEENS1_47radix_sort_onesweep_sort_config_static_selectorELNS0_4arch9wavefront6targetE1EEEvSG_.num_named_barrier, 0
	.set _ZN7rocprim17ROCPRIM_400000_NS6detail17trampoline_kernelINS0_14default_configENS1_35radix_sort_onesweep_config_selectorIslEEZZNS1_29radix_sort_onesweep_iterationIS3_Lb0EPsS7_N6thrust23THRUST_200600_302600_NS10device_ptrIlEESB_jNS0_19identity_decomposerENS1_16block_id_wrapperIjLb1EEEEE10hipError_tT1_PNSt15iterator_traitsISG_E10value_typeET2_T3_PNSH_ISM_E10value_typeET4_T5_PSR_SS_PNS1_23onesweep_lookback_stateEbbT6_jjT7_P12ihipStream_tbENKUlT_T0_SG_SL_E_clIS7_S7_SB_PlEEDaSZ_S10_SG_SL_EUlSZ_E_NS1_11comp_targetILNS1_3genE4ELNS1_11target_archE910ELNS1_3gpuE8ELNS1_3repE0EEENS1_47radix_sort_onesweep_sort_config_static_selectorELNS0_4arch9wavefront6targetE1EEEvSG_.private_seg_size, 0
	.set _ZN7rocprim17ROCPRIM_400000_NS6detail17trampoline_kernelINS0_14default_configENS1_35radix_sort_onesweep_config_selectorIslEEZZNS1_29radix_sort_onesweep_iterationIS3_Lb0EPsS7_N6thrust23THRUST_200600_302600_NS10device_ptrIlEESB_jNS0_19identity_decomposerENS1_16block_id_wrapperIjLb1EEEEE10hipError_tT1_PNSt15iterator_traitsISG_E10value_typeET2_T3_PNSH_ISM_E10value_typeET4_T5_PSR_SS_PNS1_23onesweep_lookback_stateEbbT6_jjT7_P12ihipStream_tbENKUlT_T0_SG_SL_E_clIS7_S7_SB_PlEEDaSZ_S10_SG_SL_EUlSZ_E_NS1_11comp_targetILNS1_3genE4ELNS1_11target_archE910ELNS1_3gpuE8ELNS1_3repE0EEENS1_47radix_sort_onesweep_sort_config_static_selectorELNS0_4arch9wavefront6targetE1EEEvSG_.uses_vcc, 0
	.set _ZN7rocprim17ROCPRIM_400000_NS6detail17trampoline_kernelINS0_14default_configENS1_35radix_sort_onesweep_config_selectorIslEEZZNS1_29radix_sort_onesweep_iterationIS3_Lb0EPsS7_N6thrust23THRUST_200600_302600_NS10device_ptrIlEESB_jNS0_19identity_decomposerENS1_16block_id_wrapperIjLb1EEEEE10hipError_tT1_PNSt15iterator_traitsISG_E10value_typeET2_T3_PNSH_ISM_E10value_typeET4_T5_PSR_SS_PNS1_23onesweep_lookback_stateEbbT6_jjT7_P12ihipStream_tbENKUlT_T0_SG_SL_E_clIS7_S7_SB_PlEEDaSZ_S10_SG_SL_EUlSZ_E_NS1_11comp_targetILNS1_3genE4ELNS1_11target_archE910ELNS1_3gpuE8ELNS1_3repE0EEENS1_47radix_sort_onesweep_sort_config_static_selectorELNS0_4arch9wavefront6targetE1EEEvSG_.uses_flat_scratch, 0
	.set _ZN7rocprim17ROCPRIM_400000_NS6detail17trampoline_kernelINS0_14default_configENS1_35radix_sort_onesweep_config_selectorIslEEZZNS1_29radix_sort_onesweep_iterationIS3_Lb0EPsS7_N6thrust23THRUST_200600_302600_NS10device_ptrIlEESB_jNS0_19identity_decomposerENS1_16block_id_wrapperIjLb1EEEEE10hipError_tT1_PNSt15iterator_traitsISG_E10value_typeET2_T3_PNSH_ISM_E10value_typeET4_T5_PSR_SS_PNS1_23onesweep_lookback_stateEbbT6_jjT7_P12ihipStream_tbENKUlT_T0_SG_SL_E_clIS7_S7_SB_PlEEDaSZ_S10_SG_SL_EUlSZ_E_NS1_11comp_targetILNS1_3genE4ELNS1_11target_archE910ELNS1_3gpuE8ELNS1_3repE0EEENS1_47radix_sort_onesweep_sort_config_static_selectorELNS0_4arch9wavefront6targetE1EEEvSG_.has_dyn_sized_stack, 0
	.set _ZN7rocprim17ROCPRIM_400000_NS6detail17trampoline_kernelINS0_14default_configENS1_35radix_sort_onesweep_config_selectorIslEEZZNS1_29radix_sort_onesweep_iterationIS3_Lb0EPsS7_N6thrust23THRUST_200600_302600_NS10device_ptrIlEESB_jNS0_19identity_decomposerENS1_16block_id_wrapperIjLb1EEEEE10hipError_tT1_PNSt15iterator_traitsISG_E10value_typeET2_T3_PNSH_ISM_E10value_typeET4_T5_PSR_SS_PNS1_23onesweep_lookback_stateEbbT6_jjT7_P12ihipStream_tbENKUlT_T0_SG_SL_E_clIS7_S7_SB_PlEEDaSZ_S10_SG_SL_EUlSZ_E_NS1_11comp_targetILNS1_3genE4ELNS1_11target_archE910ELNS1_3gpuE8ELNS1_3repE0EEENS1_47radix_sort_onesweep_sort_config_static_selectorELNS0_4arch9wavefront6targetE1EEEvSG_.has_recursion, 0
	.set _ZN7rocprim17ROCPRIM_400000_NS6detail17trampoline_kernelINS0_14default_configENS1_35radix_sort_onesweep_config_selectorIslEEZZNS1_29radix_sort_onesweep_iterationIS3_Lb0EPsS7_N6thrust23THRUST_200600_302600_NS10device_ptrIlEESB_jNS0_19identity_decomposerENS1_16block_id_wrapperIjLb1EEEEE10hipError_tT1_PNSt15iterator_traitsISG_E10value_typeET2_T3_PNSH_ISM_E10value_typeET4_T5_PSR_SS_PNS1_23onesweep_lookback_stateEbbT6_jjT7_P12ihipStream_tbENKUlT_T0_SG_SL_E_clIS7_S7_SB_PlEEDaSZ_S10_SG_SL_EUlSZ_E_NS1_11comp_targetILNS1_3genE4ELNS1_11target_archE910ELNS1_3gpuE8ELNS1_3repE0EEENS1_47radix_sort_onesweep_sort_config_static_selectorELNS0_4arch9wavefront6targetE1EEEvSG_.has_indirect_call, 0
	.section	.AMDGPU.csdata,"",@progbits
; Kernel info:
; codeLenInByte = 0
; TotalNumSgprs: 4
; NumVgprs: 0
; ScratchSize: 0
; MemoryBound: 0
; FloatMode: 240
; IeeeMode: 1
; LDSByteSize: 0 bytes/workgroup (compile time only)
; SGPRBlocks: 0
; VGPRBlocks: 0
; NumSGPRsForWavesPerEU: 4
; NumVGPRsForWavesPerEU: 1
; Occupancy: 10
; WaveLimiterHint : 0
; COMPUTE_PGM_RSRC2:SCRATCH_EN: 0
; COMPUTE_PGM_RSRC2:USER_SGPR: 6
; COMPUTE_PGM_RSRC2:TRAP_HANDLER: 0
; COMPUTE_PGM_RSRC2:TGID_X_EN: 1
; COMPUTE_PGM_RSRC2:TGID_Y_EN: 0
; COMPUTE_PGM_RSRC2:TGID_Z_EN: 0
; COMPUTE_PGM_RSRC2:TIDIG_COMP_CNT: 0
	.section	.text._ZN7rocprim17ROCPRIM_400000_NS6detail17trampoline_kernelINS0_14default_configENS1_35radix_sort_onesweep_config_selectorIslEEZZNS1_29radix_sort_onesweep_iterationIS3_Lb0EPsS7_N6thrust23THRUST_200600_302600_NS10device_ptrIlEESB_jNS0_19identity_decomposerENS1_16block_id_wrapperIjLb1EEEEE10hipError_tT1_PNSt15iterator_traitsISG_E10value_typeET2_T3_PNSH_ISM_E10value_typeET4_T5_PSR_SS_PNS1_23onesweep_lookback_stateEbbT6_jjT7_P12ihipStream_tbENKUlT_T0_SG_SL_E_clIS7_S7_SB_PlEEDaSZ_S10_SG_SL_EUlSZ_E_NS1_11comp_targetILNS1_3genE3ELNS1_11target_archE908ELNS1_3gpuE7ELNS1_3repE0EEENS1_47radix_sort_onesweep_sort_config_static_selectorELNS0_4arch9wavefront6targetE1EEEvSG_,"axG",@progbits,_ZN7rocprim17ROCPRIM_400000_NS6detail17trampoline_kernelINS0_14default_configENS1_35radix_sort_onesweep_config_selectorIslEEZZNS1_29radix_sort_onesweep_iterationIS3_Lb0EPsS7_N6thrust23THRUST_200600_302600_NS10device_ptrIlEESB_jNS0_19identity_decomposerENS1_16block_id_wrapperIjLb1EEEEE10hipError_tT1_PNSt15iterator_traitsISG_E10value_typeET2_T3_PNSH_ISM_E10value_typeET4_T5_PSR_SS_PNS1_23onesweep_lookback_stateEbbT6_jjT7_P12ihipStream_tbENKUlT_T0_SG_SL_E_clIS7_S7_SB_PlEEDaSZ_S10_SG_SL_EUlSZ_E_NS1_11comp_targetILNS1_3genE3ELNS1_11target_archE908ELNS1_3gpuE7ELNS1_3repE0EEENS1_47radix_sort_onesweep_sort_config_static_selectorELNS0_4arch9wavefront6targetE1EEEvSG_,comdat
	.protected	_ZN7rocprim17ROCPRIM_400000_NS6detail17trampoline_kernelINS0_14default_configENS1_35radix_sort_onesweep_config_selectorIslEEZZNS1_29radix_sort_onesweep_iterationIS3_Lb0EPsS7_N6thrust23THRUST_200600_302600_NS10device_ptrIlEESB_jNS0_19identity_decomposerENS1_16block_id_wrapperIjLb1EEEEE10hipError_tT1_PNSt15iterator_traitsISG_E10value_typeET2_T3_PNSH_ISM_E10value_typeET4_T5_PSR_SS_PNS1_23onesweep_lookback_stateEbbT6_jjT7_P12ihipStream_tbENKUlT_T0_SG_SL_E_clIS7_S7_SB_PlEEDaSZ_S10_SG_SL_EUlSZ_E_NS1_11comp_targetILNS1_3genE3ELNS1_11target_archE908ELNS1_3gpuE7ELNS1_3repE0EEENS1_47radix_sort_onesweep_sort_config_static_selectorELNS0_4arch9wavefront6targetE1EEEvSG_ ; -- Begin function _ZN7rocprim17ROCPRIM_400000_NS6detail17trampoline_kernelINS0_14default_configENS1_35radix_sort_onesweep_config_selectorIslEEZZNS1_29radix_sort_onesweep_iterationIS3_Lb0EPsS7_N6thrust23THRUST_200600_302600_NS10device_ptrIlEESB_jNS0_19identity_decomposerENS1_16block_id_wrapperIjLb1EEEEE10hipError_tT1_PNSt15iterator_traitsISG_E10value_typeET2_T3_PNSH_ISM_E10value_typeET4_T5_PSR_SS_PNS1_23onesweep_lookback_stateEbbT6_jjT7_P12ihipStream_tbENKUlT_T0_SG_SL_E_clIS7_S7_SB_PlEEDaSZ_S10_SG_SL_EUlSZ_E_NS1_11comp_targetILNS1_3genE3ELNS1_11target_archE908ELNS1_3gpuE7ELNS1_3repE0EEENS1_47radix_sort_onesweep_sort_config_static_selectorELNS0_4arch9wavefront6targetE1EEEvSG_
	.globl	_ZN7rocprim17ROCPRIM_400000_NS6detail17trampoline_kernelINS0_14default_configENS1_35radix_sort_onesweep_config_selectorIslEEZZNS1_29radix_sort_onesweep_iterationIS3_Lb0EPsS7_N6thrust23THRUST_200600_302600_NS10device_ptrIlEESB_jNS0_19identity_decomposerENS1_16block_id_wrapperIjLb1EEEEE10hipError_tT1_PNSt15iterator_traitsISG_E10value_typeET2_T3_PNSH_ISM_E10value_typeET4_T5_PSR_SS_PNS1_23onesweep_lookback_stateEbbT6_jjT7_P12ihipStream_tbENKUlT_T0_SG_SL_E_clIS7_S7_SB_PlEEDaSZ_S10_SG_SL_EUlSZ_E_NS1_11comp_targetILNS1_3genE3ELNS1_11target_archE908ELNS1_3gpuE7ELNS1_3repE0EEENS1_47radix_sort_onesweep_sort_config_static_selectorELNS0_4arch9wavefront6targetE1EEEvSG_
	.p2align	8
	.type	_ZN7rocprim17ROCPRIM_400000_NS6detail17trampoline_kernelINS0_14default_configENS1_35radix_sort_onesweep_config_selectorIslEEZZNS1_29radix_sort_onesweep_iterationIS3_Lb0EPsS7_N6thrust23THRUST_200600_302600_NS10device_ptrIlEESB_jNS0_19identity_decomposerENS1_16block_id_wrapperIjLb1EEEEE10hipError_tT1_PNSt15iterator_traitsISG_E10value_typeET2_T3_PNSH_ISM_E10value_typeET4_T5_PSR_SS_PNS1_23onesweep_lookback_stateEbbT6_jjT7_P12ihipStream_tbENKUlT_T0_SG_SL_E_clIS7_S7_SB_PlEEDaSZ_S10_SG_SL_EUlSZ_E_NS1_11comp_targetILNS1_3genE3ELNS1_11target_archE908ELNS1_3gpuE7ELNS1_3repE0EEENS1_47radix_sort_onesweep_sort_config_static_selectorELNS0_4arch9wavefront6targetE1EEEvSG_,@function
_ZN7rocprim17ROCPRIM_400000_NS6detail17trampoline_kernelINS0_14default_configENS1_35radix_sort_onesweep_config_selectorIslEEZZNS1_29radix_sort_onesweep_iterationIS3_Lb0EPsS7_N6thrust23THRUST_200600_302600_NS10device_ptrIlEESB_jNS0_19identity_decomposerENS1_16block_id_wrapperIjLb1EEEEE10hipError_tT1_PNSt15iterator_traitsISG_E10value_typeET2_T3_PNSH_ISM_E10value_typeET4_T5_PSR_SS_PNS1_23onesweep_lookback_stateEbbT6_jjT7_P12ihipStream_tbENKUlT_T0_SG_SL_E_clIS7_S7_SB_PlEEDaSZ_S10_SG_SL_EUlSZ_E_NS1_11comp_targetILNS1_3genE3ELNS1_11target_archE908ELNS1_3gpuE7ELNS1_3repE0EEENS1_47radix_sort_onesweep_sort_config_static_selectorELNS0_4arch9wavefront6targetE1EEEvSG_: ; @_ZN7rocprim17ROCPRIM_400000_NS6detail17trampoline_kernelINS0_14default_configENS1_35radix_sort_onesweep_config_selectorIslEEZZNS1_29radix_sort_onesweep_iterationIS3_Lb0EPsS7_N6thrust23THRUST_200600_302600_NS10device_ptrIlEESB_jNS0_19identity_decomposerENS1_16block_id_wrapperIjLb1EEEEE10hipError_tT1_PNSt15iterator_traitsISG_E10value_typeET2_T3_PNSH_ISM_E10value_typeET4_T5_PSR_SS_PNS1_23onesweep_lookback_stateEbbT6_jjT7_P12ihipStream_tbENKUlT_T0_SG_SL_E_clIS7_S7_SB_PlEEDaSZ_S10_SG_SL_EUlSZ_E_NS1_11comp_targetILNS1_3genE3ELNS1_11target_archE908ELNS1_3gpuE7ELNS1_3repE0EEENS1_47radix_sort_onesweep_sort_config_static_selectorELNS0_4arch9wavefront6targetE1EEEvSG_
; %bb.0:
	.section	.rodata,"a",@progbits
	.p2align	6, 0x0
	.amdhsa_kernel _ZN7rocprim17ROCPRIM_400000_NS6detail17trampoline_kernelINS0_14default_configENS1_35radix_sort_onesweep_config_selectorIslEEZZNS1_29radix_sort_onesweep_iterationIS3_Lb0EPsS7_N6thrust23THRUST_200600_302600_NS10device_ptrIlEESB_jNS0_19identity_decomposerENS1_16block_id_wrapperIjLb1EEEEE10hipError_tT1_PNSt15iterator_traitsISG_E10value_typeET2_T3_PNSH_ISM_E10value_typeET4_T5_PSR_SS_PNS1_23onesweep_lookback_stateEbbT6_jjT7_P12ihipStream_tbENKUlT_T0_SG_SL_E_clIS7_S7_SB_PlEEDaSZ_S10_SG_SL_EUlSZ_E_NS1_11comp_targetILNS1_3genE3ELNS1_11target_archE908ELNS1_3gpuE7ELNS1_3repE0EEENS1_47radix_sort_onesweep_sort_config_static_selectorELNS0_4arch9wavefront6targetE1EEEvSG_
		.amdhsa_group_segment_fixed_size 0
		.amdhsa_private_segment_fixed_size 0
		.amdhsa_kernarg_size 88
		.amdhsa_user_sgpr_count 6
		.amdhsa_user_sgpr_private_segment_buffer 1
		.amdhsa_user_sgpr_dispatch_ptr 0
		.amdhsa_user_sgpr_queue_ptr 0
		.amdhsa_user_sgpr_kernarg_segment_ptr 1
		.amdhsa_user_sgpr_dispatch_id 0
		.amdhsa_user_sgpr_flat_scratch_init 0
		.amdhsa_user_sgpr_private_segment_size 0
		.amdhsa_uses_dynamic_stack 0
		.amdhsa_system_sgpr_private_segment_wavefront_offset 0
		.amdhsa_system_sgpr_workgroup_id_x 1
		.amdhsa_system_sgpr_workgroup_id_y 0
		.amdhsa_system_sgpr_workgroup_id_z 0
		.amdhsa_system_sgpr_workgroup_info 0
		.amdhsa_system_vgpr_workitem_id 0
		.amdhsa_next_free_vgpr 1
		.amdhsa_next_free_sgpr 0
		.amdhsa_reserve_vcc 0
		.amdhsa_reserve_flat_scratch 0
		.amdhsa_float_round_mode_32 0
		.amdhsa_float_round_mode_16_64 0
		.amdhsa_float_denorm_mode_32 3
		.amdhsa_float_denorm_mode_16_64 3
		.amdhsa_dx10_clamp 1
		.amdhsa_ieee_mode 1
		.amdhsa_fp16_overflow 0
		.amdhsa_exception_fp_ieee_invalid_op 0
		.amdhsa_exception_fp_denorm_src 0
		.amdhsa_exception_fp_ieee_div_zero 0
		.amdhsa_exception_fp_ieee_overflow 0
		.amdhsa_exception_fp_ieee_underflow 0
		.amdhsa_exception_fp_ieee_inexact 0
		.amdhsa_exception_int_div_zero 0
	.end_amdhsa_kernel
	.section	.text._ZN7rocprim17ROCPRIM_400000_NS6detail17trampoline_kernelINS0_14default_configENS1_35radix_sort_onesweep_config_selectorIslEEZZNS1_29radix_sort_onesweep_iterationIS3_Lb0EPsS7_N6thrust23THRUST_200600_302600_NS10device_ptrIlEESB_jNS0_19identity_decomposerENS1_16block_id_wrapperIjLb1EEEEE10hipError_tT1_PNSt15iterator_traitsISG_E10value_typeET2_T3_PNSH_ISM_E10value_typeET4_T5_PSR_SS_PNS1_23onesweep_lookback_stateEbbT6_jjT7_P12ihipStream_tbENKUlT_T0_SG_SL_E_clIS7_S7_SB_PlEEDaSZ_S10_SG_SL_EUlSZ_E_NS1_11comp_targetILNS1_3genE3ELNS1_11target_archE908ELNS1_3gpuE7ELNS1_3repE0EEENS1_47radix_sort_onesweep_sort_config_static_selectorELNS0_4arch9wavefront6targetE1EEEvSG_,"axG",@progbits,_ZN7rocprim17ROCPRIM_400000_NS6detail17trampoline_kernelINS0_14default_configENS1_35radix_sort_onesweep_config_selectorIslEEZZNS1_29radix_sort_onesweep_iterationIS3_Lb0EPsS7_N6thrust23THRUST_200600_302600_NS10device_ptrIlEESB_jNS0_19identity_decomposerENS1_16block_id_wrapperIjLb1EEEEE10hipError_tT1_PNSt15iterator_traitsISG_E10value_typeET2_T3_PNSH_ISM_E10value_typeET4_T5_PSR_SS_PNS1_23onesweep_lookback_stateEbbT6_jjT7_P12ihipStream_tbENKUlT_T0_SG_SL_E_clIS7_S7_SB_PlEEDaSZ_S10_SG_SL_EUlSZ_E_NS1_11comp_targetILNS1_3genE3ELNS1_11target_archE908ELNS1_3gpuE7ELNS1_3repE0EEENS1_47radix_sort_onesweep_sort_config_static_selectorELNS0_4arch9wavefront6targetE1EEEvSG_,comdat
.Lfunc_end1412:
	.size	_ZN7rocprim17ROCPRIM_400000_NS6detail17trampoline_kernelINS0_14default_configENS1_35radix_sort_onesweep_config_selectorIslEEZZNS1_29radix_sort_onesweep_iterationIS3_Lb0EPsS7_N6thrust23THRUST_200600_302600_NS10device_ptrIlEESB_jNS0_19identity_decomposerENS1_16block_id_wrapperIjLb1EEEEE10hipError_tT1_PNSt15iterator_traitsISG_E10value_typeET2_T3_PNSH_ISM_E10value_typeET4_T5_PSR_SS_PNS1_23onesweep_lookback_stateEbbT6_jjT7_P12ihipStream_tbENKUlT_T0_SG_SL_E_clIS7_S7_SB_PlEEDaSZ_S10_SG_SL_EUlSZ_E_NS1_11comp_targetILNS1_3genE3ELNS1_11target_archE908ELNS1_3gpuE7ELNS1_3repE0EEENS1_47radix_sort_onesweep_sort_config_static_selectorELNS0_4arch9wavefront6targetE1EEEvSG_, .Lfunc_end1412-_ZN7rocprim17ROCPRIM_400000_NS6detail17trampoline_kernelINS0_14default_configENS1_35radix_sort_onesweep_config_selectorIslEEZZNS1_29radix_sort_onesweep_iterationIS3_Lb0EPsS7_N6thrust23THRUST_200600_302600_NS10device_ptrIlEESB_jNS0_19identity_decomposerENS1_16block_id_wrapperIjLb1EEEEE10hipError_tT1_PNSt15iterator_traitsISG_E10value_typeET2_T3_PNSH_ISM_E10value_typeET4_T5_PSR_SS_PNS1_23onesweep_lookback_stateEbbT6_jjT7_P12ihipStream_tbENKUlT_T0_SG_SL_E_clIS7_S7_SB_PlEEDaSZ_S10_SG_SL_EUlSZ_E_NS1_11comp_targetILNS1_3genE3ELNS1_11target_archE908ELNS1_3gpuE7ELNS1_3repE0EEENS1_47radix_sort_onesweep_sort_config_static_selectorELNS0_4arch9wavefront6targetE1EEEvSG_
                                        ; -- End function
	.set _ZN7rocprim17ROCPRIM_400000_NS6detail17trampoline_kernelINS0_14default_configENS1_35radix_sort_onesweep_config_selectorIslEEZZNS1_29radix_sort_onesweep_iterationIS3_Lb0EPsS7_N6thrust23THRUST_200600_302600_NS10device_ptrIlEESB_jNS0_19identity_decomposerENS1_16block_id_wrapperIjLb1EEEEE10hipError_tT1_PNSt15iterator_traitsISG_E10value_typeET2_T3_PNSH_ISM_E10value_typeET4_T5_PSR_SS_PNS1_23onesweep_lookback_stateEbbT6_jjT7_P12ihipStream_tbENKUlT_T0_SG_SL_E_clIS7_S7_SB_PlEEDaSZ_S10_SG_SL_EUlSZ_E_NS1_11comp_targetILNS1_3genE3ELNS1_11target_archE908ELNS1_3gpuE7ELNS1_3repE0EEENS1_47radix_sort_onesweep_sort_config_static_selectorELNS0_4arch9wavefront6targetE1EEEvSG_.num_vgpr, 0
	.set _ZN7rocprim17ROCPRIM_400000_NS6detail17trampoline_kernelINS0_14default_configENS1_35radix_sort_onesweep_config_selectorIslEEZZNS1_29radix_sort_onesweep_iterationIS3_Lb0EPsS7_N6thrust23THRUST_200600_302600_NS10device_ptrIlEESB_jNS0_19identity_decomposerENS1_16block_id_wrapperIjLb1EEEEE10hipError_tT1_PNSt15iterator_traitsISG_E10value_typeET2_T3_PNSH_ISM_E10value_typeET4_T5_PSR_SS_PNS1_23onesweep_lookback_stateEbbT6_jjT7_P12ihipStream_tbENKUlT_T0_SG_SL_E_clIS7_S7_SB_PlEEDaSZ_S10_SG_SL_EUlSZ_E_NS1_11comp_targetILNS1_3genE3ELNS1_11target_archE908ELNS1_3gpuE7ELNS1_3repE0EEENS1_47radix_sort_onesweep_sort_config_static_selectorELNS0_4arch9wavefront6targetE1EEEvSG_.num_agpr, 0
	.set _ZN7rocprim17ROCPRIM_400000_NS6detail17trampoline_kernelINS0_14default_configENS1_35radix_sort_onesweep_config_selectorIslEEZZNS1_29radix_sort_onesweep_iterationIS3_Lb0EPsS7_N6thrust23THRUST_200600_302600_NS10device_ptrIlEESB_jNS0_19identity_decomposerENS1_16block_id_wrapperIjLb1EEEEE10hipError_tT1_PNSt15iterator_traitsISG_E10value_typeET2_T3_PNSH_ISM_E10value_typeET4_T5_PSR_SS_PNS1_23onesweep_lookback_stateEbbT6_jjT7_P12ihipStream_tbENKUlT_T0_SG_SL_E_clIS7_S7_SB_PlEEDaSZ_S10_SG_SL_EUlSZ_E_NS1_11comp_targetILNS1_3genE3ELNS1_11target_archE908ELNS1_3gpuE7ELNS1_3repE0EEENS1_47radix_sort_onesweep_sort_config_static_selectorELNS0_4arch9wavefront6targetE1EEEvSG_.numbered_sgpr, 0
	.set _ZN7rocprim17ROCPRIM_400000_NS6detail17trampoline_kernelINS0_14default_configENS1_35radix_sort_onesweep_config_selectorIslEEZZNS1_29radix_sort_onesweep_iterationIS3_Lb0EPsS7_N6thrust23THRUST_200600_302600_NS10device_ptrIlEESB_jNS0_19identity_decomposerENS1_16block_id_wrapperIjLb1EEEEE10hipError_tT1_PNSt15iterator_traitsISG_E10value_typeET2_T3_PNSH_ISM_E10value_typeET4_T5_PSR_SS_PNS1_23onesweep_lookback_stateEbbT6_jjT7_P12ihipStream_tbENKUlT_T0_SG_SL_E_clIS7_S7_SB_PlEEDaSZ_S10_SG_SL_EUlSZ_E_NS1_11comp_targetILNS1_3genE3ELNS1_11target_archE908ELNS1_3gpuE7ELNS1_3repE0EEENS1_47radix_sort_onesweep_sort_config_static_selectorELNS0_4arch9wavefront6targetE1EEEvSG_.num_named_barrier, 0
	.set _ZN7rocprim17ROCPRIM_400000_NS6detail17trampoline_kernelINS0_14default_configENS1_35radix_sort_onesweep_config_selectorIslEEZZNS1_29radix_sort_onesweep_iterationIS3_Lb0EPsS7_N6thrust23THRUST_200600_302600_NS10device_ptrIlEESB_jNS0_19identity_decomposerENS1_16block_id_wrapperIjLb1EEEEE10hipError_tT1_PNSt15iterator_traitsISG_E10value_typeET2_T3_PNSH_ISM_E10value_typeET4_T5_PSR_SS_PNS1_23onesweep_lookback_stateEbbT6_jjT7_P12ihipStream_tbENKUlT_T0_SG_SL_E_clIS7_S7_SB_PlEEDaSZ_S10_SG_SL_EUlSZ_E_NS1_11comp_targetILNS1_3genE3ELNS1_11target_archE908ELNS1_3gpuE7ELNS1_3repE0EEENS1_47radix_sort_onesweep_sort_config_static_selectorELNS0_4arch9wavefront6targetE1EEEvSG_.private_seg_size, 0
	.set _ZN7rocprim17ROCPRIM_400000_NS6detail17trampoline_kernelINS0_14default_configENS1_35radix_sort_onesweep_config_selectorIslEEZZNS1_29radix_sort_onesweep_iterationIS3_Lb0EPsS7_N6thrust23THRUST_200600_302600_NS10device_ptrIlEESB_jNS0_19identity_decomposerENS1_16block_id_wrapperIjLb1EEEEE10hipError_tT1_PNSt15iterator_traitsISG_E10value_typeET2_T3_PNSH_ISM_E10value_typeET4_T5_PSR_SS_PNS1_23onesweep_lookback_stateEbbT6_jjT7_P12ihipStream_tbENKUlT_T0_SG_SL_E_clIS7_S7_SB_PlEEDaSZ_S10_SG_SL_EUlSZ_E_NS1_11comp_targetILNS1_3genE3ELNS1_11target_archE908ELNS1_3gpuE7ELNS1_3repE0EEENS1_47radix_sort_onesweep_sort_config_static_selectorELNS0_4arch9wavefront6targetE1EEEvSG_.uses_vcc, 0
	.set _ZN7rocprim17ROCPRIM_400000_NS6detail17trampoline_kernelINS0_14default_configENS1_35radix_sort_onesweep_config_selectorIslEEZZNS1_29radix_sort_onesweep_iterationIS3_Lb0EPsS7_N6thrust23THRUST_200600_302600_NS10device_ptrIlEESB_jNS0_19identity_decomposerENS1_16block_id_wrapperIjLb1EEEEE10hipError_tT1_PNSt15iterator_traitsISG_E10value_typeET2_T3_PNSH_ISM_E10value_typeET4_T5_PSR_SS_PNS1_23onesweep_lookback_stateEbbT6_jjT7_P12ihipStream_tbENKUlT_T0_SG_SL_E_clIS7_S7_SB_PlEEDaSZ_S10_SG_SL_EUlSZ_E_NS1_11comp_targetILNS1_3genE3ELNS1_11target_archE908ELNS1_3gpuE7ELNS1_3repE0EEENS1_47radix_sort_onesweep_sort_config_static_selectorELNS0_4arch9wavefront6targetE1EEEvSG_.uses_flat_scratch, 0
	.set _ZN7rocprim17ROCPRIM_400000_NS6detail17trampoline_kernelINS0_14default_configENS1_35radix_sort_onesweep_config_selectorIslEEZZNS1_29radix_sort_onesweep_iterationIS3_Lb0EPsS7_N6thrust23THRUST_200600_302600_NS10device_ptrIlEESB_jNS0_19identity_decomposerENS1_16block_id_wrapperIjLb1EEEEE10hipError_tT1_PNSt15iterator_traitsISG_E10value_typeET2_T3_PNSH_ISM_E10value_typeET4_T5_PSR_SS_PNS1_23onesweep_lookback_stateEbbT6_jjT7_P12ihipStream_tbENKUlT_T0_SG_SL_E_clIS7_S7_SB_PlEEDaSZ_S10_SG_SL_EUlSZ_E_NS1_11comp_targetILNS1_3genE3ELNS1_11target_archE908ELNS1_3gpuE7ELNS1_3repE0EEENS1_47radix_sort_onesweep_sort_config_static_selectorELNS0_4arch9wavefront6targetE1EEEvSG_.has_dyn_sized_stack, 0
	.set _ZN7rocprim17ROCPRIM_400000_NS6detail17trampoline_kernelINS0_14default_configENS1_35radix_sort_onesweep_config_selectorIslEEZZNS1_29radix_sort_onesweep_iterationIS3_Lb0EPsS7_N6thrust23THRUST_200600_302600_NS10device_ptrIlEESB_jNS0_19identity_decomposerENS1_16block_id_wrapperIjLb1EEEEE10hipError_tT1_PNSt15iterator_traitsISG_E10value_typeET2_T3_PNSH_ISM_E10value_typeET4_T5_PSR_SS_PNS1_23onesweep_lookback_stateEbbT6_jjT7_P12ihipStream_tbENKUlT_T0_SG_SL_E_clIS7_S7_SB_PlEEDaSZ_S10_SG_SL_EUlSZ_E_NS1_11comp_targetILNS1_3genE3ELNS1_11target_archE908ELNS1_3gpuE7ELNS1_3repE0EEENS1_47radix_sort_onesweep_sort_config_static_selectorELNS0_4arch9wavefront6targetE1EEEvSG_.has_recursion, 0
	.set _ZN7rocprim17ROCPRIM_400000_NS6detail17trampoline_kernelINS0_14default_configENS1_35radix_sort_onesweep_config_selectorIslEEZZNS1_29radix_sort_onesweep_iterationIS3_Lb0EPsS7_N6thrust23THRUST_200600_302600_NS10device_ptrIlEESB_jNS0_19identity_decomposerENS1_16block_id_wrapperIjLb1EEEEE10hipError_tT1_PNSt15iterator_traitsISG_E10value_typeET2_T3_PNSH_ISM_E10value_typeET4_T5_PSR_SS_PNS1_23onesweep_lookback_stateEbbT6_jjT7_P12ihipStream_tbENKUlT_T0_SG_SL_E_clIS7_S7_SB_PlEEDaSZ_S10_SG_SL_EUlSZ_E_NS1_11comp_targetILNS1_3genE3ELNS1_11target_archE908ELNS1_3gpuE7ELNS1_3repE0EEENS1_47radix_sort_onesweep_sort_config_static_selectorELNS0_4arch9wavefront6targetE1EEEvSG_.has_indirect_call, 0
	.section	.AMDGPU.csdata,"",@progbits
; Kernel info:
; codeLenInByte = 0
; TotalNumSgprs: 4
; NumVgprs: 0
; ScratchSize: 0
; MemoryBound: 0
; FloatMode: 240
; IeeeMode: 1
; LDSByteSize: 0 bytes/workgroup (compile time only)
; SGPRBlocks: 0
; VGPRBlocks: 0
; NumSGPRsForWavesPerEU: 4
; NumVGPRsForWavesPerEU: 1
; Occupancy: 10
; WaveLimiterHint : 0
; COMPUTE_PGM_RSRC2:SCRATCH_EN: 0
; COMPUTE_PGM_RSRC2:USER_SGPR: 6
; COMPUTE_PGM_RSRC2:TRAP_HANDLER: 0
; COMPUTE_PGM_RSRC2:TGID_X_EN: 1
; COMPUTE_PGM_RSRC2:TGID_Y_EN: 0
; COMPUTE_PGM_RSRC2:TGID_Z_EN: 0
; COMPUTE_PGM_RSRC2:TIDIG_COMP_CNT: 0
	.section	.text._ZN7rocprim17ROCPRIM_400000_NS6detail17trampoline_kernelINS0_14default_configENS1_35radix_sort_onesweep_config_selectorIslEEZZNS1_29radix_sort_onesweep_iterationIS3_Lb0EPsS7_N6thrust23THRUST_200600_302600_NS10device_ptrIlEESB_jNS0_19identity_decomposerENS1_16block_id_wrapperIjLb1EEEEE10hipError_tT1_PNSt15iterator_traitsISG_E10value_typeET2_T3_PNSH_ISM_E10value_typeET4_T5_PSR_SS_PNS1_23onesweep_lookback_stateEbbT6_jjT7_P12ihipStream_tbENKUlT_T0_SG_SL_E_clIS7_S7_SB_PlEEDaSZ_S10_SG_SL_EUlSZ_E_NS1_11comp_targetILNS1_3genE10ELNS1_11target_archE1201ELNS1_3gpuE5ELNS1_3repE0EEENS1_47radix_sort_onesweep_sort_config_static_selectorELNS0_4arch9wavefront6targetE1EEEvSG_,"axG",@progbits,_ZN7rocprim17ROCPRIM_400000_NS6detail17trampoline_kernelINS0_14default_configENS1_35radix_sort_onesweep_config_selectorIslEEZZNS1_29radix_sort_onesweep_iterationIS3_Lb0EPsS7_N6thrust23THRUST_200600_302600_NS10device_ptrIlEESB_jNS0_19identity_decomposerENS1_16block_id_wrapperIjLb1EEEEE10hipError_tT1_PNSt15iterator_traitsISG_E10value_typeET2_T3_PNSH_ISM_E10value_typeET4_T5_PSR_SS_PNS1_23onesweep_lookback_stateEbbT6_jjT7_P12ihipStream_tbENKUlT_T0_SG_SL_E_clIS7_S7_SB_PlEEDaSZ_S10_SG_SL_EUlSZ_E_NS1_11comp_targetILNS1_3genE10ELNS1_11target_archE1201ELNS1_3gpuE5ELNS1_3repE0EEENS1_47radix_sort_onesweep_sort_config_static_selectorELNS0_4arch9wavefront6targetE1EEEvSG_,comdat
	.protected	_ZN7rocprim17ROCPRIM_400000_NS6detail17trampoline_kernelINS0_14default_configENS1_35radix_sort_onesweep_config_selectorIslEEZZNS1_29radix_sort_onesweep_iterationIS3_Lb0EPsS7_N6thrust23THRUST_200600_302600_NS10device_ptrIlEESB_jNS0_19identity_decomposerENS1_16block_id_wrapperIjLb1EEEEE10hipError_tT1_PNSt15iterator_traitsISG_E10value_typeET2_T3_PNSH_ISM_E10value_typeET4_T5_PSR_SS_PNS1_23onesweep_lookback_stateEbbT6_jjT7_P12ihipStream_tbENKUlT_T0_SG_SL_E_clIS7_S7_SB_PlEEDaSZ_S10_SG_SL_EUlSZ_E_NS1_11comp_targetILNS1_3genE10ELNS1_11target_archE1201ELNS1_3gpuE5ELNS1_3repE0EEENS1_47radix_sort_onesweep_sort_config_static_selectorELNS0_4arch9wavefront6targetE1EEEvSG_ ; -- Begin function _ZN7rocprim17ROCPRIM_400000_NS6detail17trampoline_kernelINS0_14default_configENS1_35radix_sort_onesweep_config_selectorIslEEZZNS1_29radix_sort_onesweep_iterationIS3_Lb0EPsS7_N6thrust23THRUST_200600_302600_NS10device_ptrIlEESB_jNS0_19identity_decomposerENS1_16block_id_wrapperIjLb1EEEEE10hipError_tT1_PNSt15iterator_traitsISG_E10value_typeET2_T3_PNSH_ISM_E10value_typeET4_T5_PSR_SS_PNS1_23onesweep_lookback_stateEbbT6_jjT7_P12ihipStream_tbENKUlT_T0_SG_SL_E_clIS7_S7_SB_PlEEDaSZ_S10_SG_SL_EUlSZ_E_NS1_11comp_targetILNS1_3genE10ELNS1_11target_archE1201ELNS1_3gpuE5ELNS1_3repE0EEENS1_47radix_sort_onesweep_sort_config_static_selectorELNS0_4arch9wavefront6targetE1EEEvSG_
	.globl	_ZN7rocprim17ROCPRIM_400000_NS6detail17trampoline_kernelINS0_14default_configENS1_35radix_sort_onesweep_config_selectorIslEEZZNS1_29radix_sort_onesweep_iterationIS3_Lb0EPsS7_N6thrust23THRUST_200600_302600_NS10device_ptrIlEESB_jNS0_19identity_decomposerENS1_16block_id_wrapperIjLb1EEEEE10hipError_tT1_PNSt15iterator_traitsISG_E10value_typeET2_T3_PNSH_ISM_E10value_typeET4_T5_PSR_SS_PNS1_23onesweep_lookback_stateEbbT6_jjT7_P12ihipStream_tbENKUlT_T0_SG_SL_E_clIS7_S7_SB_PlEEDaSZ_S10_SG_SL_EUlSZ_E_NS1_11comp_targetILNS1_3genE10ELNS1_11target_archE1201ELNS1_3gpuE5ELNS1_3repE0EEENS1_47radix_sort_onesweep_sort_config_static_selectorELNS0_4arch9wavefront6targetE1EEEvSG_
	.p2align	8
	.type	_ZN7rocprim17ROCPRIM_400000_NS6detail17trampoline_kernelINS0_14default_configENS1_35radix_sort_onesweep_config_selectorIslEEZZNS1_29radix_sort_onesweep_iterationIS3_Lb0EPsS7_N6thrust23THRUST_200600_302600_NS10device_ptrIlEESB_jNS0_19identity_decomposerENS1_16block_id_wrapperIjLb1EEEEE10hipError_tT1_PNSt15iterator_traitsISG_E10value_typeET2_T3_PNSH_ISM_E10value_typeET4_T5_PSR_SS_PNS1_23onesweep_lookback_stateEbbT6_jjT7_P12ihipStream_tbENKUlT_T0_SG_SL_E_clIS7_S7_SB_PlEEDaSZ_S10_SG_SL_EUlSZ_E_NS1_11comp_targetILNS1_3genE10ELNS1_11target_archE1201ELNS1_3gpuE5ELNS1_3repE0EEENS1_47radix_sort_onesweep_sort_config_static_selectorELNS0_4arch9wavefront6targetE1EEEvSG_,@function
_ZN7rocprim17ROCPRIM_400000_NS6detail17trampoline_kernelINS0_14default_configENS1_35radix_sort_onesweep_config_selectorIslEEZZNS1_29radix_sort_onesweep_iterationIS3_Lb0EPsS7_N6thrust23THRUST_200600_302600_NS10device_ptrIlEESB_jNS0_19identity_decomposerENS1_16block_id_wrapperIjLb1EEEEE10hipError_tT1_PNSt15iterator_traitsISG_E10value_typeET2_T3_PNSH_ISM_E10value_typeET4_T5_PSR_SS_PNS1_23onesweep_lookback_stateEbbT6_jjT7_P12ihipStream_tbENKUlT_T0_SG_SL_E_clIS7_S7_SB_PlEEDaSZ_S10_SG_SL_EUlSZ_E_NS1_11comp_targetILNS1_3genE10ELNS1_11target_archE1201ELNS1_3gpuE5ELNS1_3repE0EEENS1_47radix_sort_onesweep_sort_config_static_selectorELNS0_4arch9wavefront6targetE1EEEvSG_: ; @_ZN7rocprim17ROCPRIM_400000_NS6detail17trampoline_kernelINS0_14default_configENS1_35radix_sort_onesweep_config_selectorIslEEZZNS1_29radix_sort_onesweep_iterationIS3_Lb0EPsS7_N6thrust23THRUST_200600_302600_NS10device_ptrIlEESB_jNS0_19identity_decomposerENS1_16block_id_wrapperIjLb1EEEEE10hipError_tT1_PNSt15iterator_traitsISG_E10value_typeET2_T3_PNSH_ISM_E10value_typeET4_T5_PSR_SS_PNS1_23onesweep_lookback_stateEbbT6_jjT7_P12ihipStream_tbENKUlT_T0_SG_SL_E_clIS7_S7_SB_PlEEDaSZ_S10_SG_SL_EUlSZ_E_NS1_11comp_targetILNS1_3genE10ELNS1_11target_archE1201ELNS1_3gpuE5ELNS1_3repE0EEENS1_47radix_sort_onesweep_sort_config_static_selectorELNS0_4arch9wavefront6targetE1EEEvSG_
; %bb.0:
	.section	.rodata,"a",@progbits
	.p2align	6, 0x0
	.amdhsa_kernel _ZN7rocprim17ROCPRIM_400000_NS6detail17trampoline_kernelINS0_14default_configENS1_35radix_sort_onesweep_config_selectorIslEEZZNS1_29radix_sort_onesweep_iterationIS3_Lb0EPsS7_N6thrust23THRUST_200600_302600_NS10device_ptrIlEESB_jNS0_19identity_decomposerENS1_16block_id_wrapperIjLb1EEEEE10hipError_tT1_PNSt15iterator_traitsISG_E10value_typeET2_T3_PNSH_ISM_E10value_typeET4_T5_PSR_SS_PNS1_23onesweep_lookback_stateEbbT6_jjT7_P12ihipStream_tbENKUlT_T0_SG_SL_E_clIS7_S7_SB_PlEEDaSZ_S10_SG_SL_EUlSZ_E_NS1_11comp_targetILNS1_3genE10ELNS1_11target_archE1201ELNS1_3gpuE5ELNS1_3repE0EEENS1_47radix_sort_onesweep_sort_config_static_selectorELNS0_4arch9wavefront6targetE1EEEvSG_
		.amdhsa_group_segment_fixed_size 0
		.amdhsa_private_segment_fixed_size 0
		.amdhsa_kernarg_size 88
		.amdhsa_user_sgpr_count 6
		.amdhsa_user_sgpr_private_segment_buffer 1
		.amdhsa_user_sgpr_dispatch_ptr 0
		.amdhsa_user_sgpr_queue_ptr 0
		.amdhsa_user_sgpr_kernarg_segment_ptr 1
		.amdhsa_user_sgpr_dispatch_id 0
		.amdhsa_user_sgpr_flat_scratch_init 0
		.amdhsa_user_sgpr_private_segment_size 0
		.amdhsa_uses_dynamic_stack 0
		.amdhsa_system_sgpr_private_segment_wavefront_offset 0
		.amdhsa_system_sgpr_workgroup_id_x 1
		.amdhsa_system_sgpr_workgroup_id_y 0
		.amdhsa_system_sgpr_workgroup_id_z 0
		.amdhsa_system_sgpr_workgroup_info 0
		.amdhsa_system_vgpr_workitem_id 0
		.amdhsa_next_free_vgpr 1
		.amdhsa_next_free_sgpr 0
		.amdhsa_reserve_vcc 0
		.amdhsa_reserve_flat_scratch 0
		.amdhsa_float_round_mode_32 0
		.amdhsa_float_round_mode_16_64 0
		.amdhsa_float_denorm_mode_32 3
		.amdhsa_float_denorm_mode_16_64 3
		.amdhsa_dx10_clamp 1
		.amdhsa_ieee_mode 1
		.amdhsa_fp16_overflow 0
		.amdhsa_exception_fp_ieee_invalid_op 0
		.amdhsa_exception_fp_denorm_src 0
		.amdhsa_exception_fp_ieee_div_zero 0
		.amdhsa_exception_fp_ieee_overflow 0
		.amdhsa_exception_fp_ieee_underflow 0
		.amdhsa_exception_fp_ieee_inexact 0
		.amdhsa_exception_int_div_zero 0
	.end_amdhsa_kernel
	.section	.text._ZN7rocprim17ROCPRIM_400000_NS6detail17trampoline_kernelINS0_14default_configENS1_35radix_sort_onesweep_config_selectorIslEEZZNS1_29radix_sort_onesweep_iterationIS3_Lb0EPsS7_N6thrust23THRUST_200600_302600_NS10device_ptrIlEESB_jNS0_19identity_decomposerENS1_16block_id_wrapperIjLb1EEEEE10hipError_tT1_PNSt15iterator_traitsISG_E10value_typeET2_T3_PNSH_ISM_E10value_typeET4_T5_PSR_SS_PNS1_23onesweep_lookback_stateEbbT6_jjT7_P12ihipStream_tbENKUlT_T0_SG_SL_E_clIS7_S7_SB_PlEEDaSZ_S10_SG_SL_EUlSZ_E_NS1_11comp_targetILNS1_3genE10ELNS1_11target_archE1201ELNS1_3gpuE5ELNS1_3repE0EEENS1_47radix_sort_onesweep_sort_config_static_selectorELNS0_4arch9wavefront6targetE1EEEvSG_,"axG",@progbits,_ZN7rocprim17ROCPRIM_400000_NS6detail17trampoline_kernelINS0_14default_configENS1_35radix_sort_onesweep_config_selectorIslEEZZNS1_29radix_sort_onesweep_iterationIS3_Lb0EPsS7_N6thrust23THRUST_200600_302600_NS10device_ptrIlEESB_jNS0_19identity_decomposerENS1_16block_id_wrapperIjLb1EEEEE10hipError_tT1_PNSt15iterator_traitsISG_E10value_typeET2_T3_PNSH_ISM_E10value_typeET4_T5_PSR_SS_PNS1_23onesweep_lookback_stateEbbT6_jjT7_P12ihipStream_tbENKUlT_T0_SG_SL_E_clIS7_S7_SB_PlEEDaSZ_S10_SG_SL_EUlSZ_E_NS1_11comp_targetILNS1_3genE10ELNS1_11target_archE1201ELNS1_3gpuE5ELNS1_3repE0EEENS1_47radix_sort_onesweep_sort_config_static_selectorELNS0_4arch9wavefront6targetE1EEEvSG_,comdat
.Lfunc_end1413:
	.size	_ZN7rocprim17ROCPRIM_400000_NS6detail17trampoline_kernelINS0_14default_configENS1_35radix_sort_onesweep_config_selectorIslEEZZNS1_29radix_sort_onesweep_iterationIS3_Lb0EPsS7_N6thrust23THRUST_200600_302600_NS10device_ptrIlEESB_jNS0_19identity_decomposerENS1_16block_id_wrapperIjLb1EEEEE10hipError_tT1_PNSt15iterator_traitsISG_E10value_typeET2_T3_PNSH_ISM_E10value_typeET4_T5_PSR_SS_PNS1_23onesweep_lookback_stateEbbT6_jjT7_P12ihipStream_tbENKUlT_T0_SG_SL_E_clIS7_S7_SB_PlEEDaSZ_S10_SG_SL_EUlSZ_E_NS1_11comp_targetILNS1_3genE10ELNS1_11target_archE1201ELNS1_3gpuE5ELNS1_3repE0EEENS1_47radix_sort_onesweep_sort_config_static_selectorELNS0_4arch9wavefront6targetE1EEEvSG_, .Lfunc_end1413-_ZN7rocprim17ROCPRIM_400000_NS6detail17trampoline_kernelINS0_14default_configENS1_35radix_sort_onesweep_config_selectorIslEEZZNS1_29radix_sort_onesweep_iterationIS3_Lb0EPsS7_N6thrust23THRUST_200600_302600_NS10device_ptrIlEESB_jNS0_19identity_decomposerENS1_16block_id_wrapperIjLb1EEEEE10hipError_tT1_PNSt15iterator_traitsISG_E10value_typeET2_T3_PNSH_ISM_E10value_typeET4_T5_PSR_SS_PNS1_23onesweep_lookback_stateEbbT6_jjT7_P12ihipStream_tbENKUlT_T0_SG_SL_E_clIS7_S7_SB_PlEEDaSZ_S10_SG_SL_EUlSZ_E_NS1_11comp_targetILNS1_3genE10ELNS1_11target_archE1201ELNS1_3gpuE5ELNS1_3repE0EEENS1_47radix_sort_onesweep_sort_config_static_selectorELNS0_4arch9wavefront6targetE1EEEvSG_
                                        ; -- End function
	.set _ZN7rocprim17ROCPRIM_400000_NS6detail17trampoline_kernelINS0_14default_configENS1_35radix_sort_onesweep_config_selectorIslEEZZNS1_29radix_sort_onesweep_iterationIS3_Lb0EPsS7_N6thrust23THRUST_200600_302600_NS10device_ptrIlEESB_jNS0_19identity_decomposerENS1_16block_id_wrapperIjLb1EEEEE10hipError_tT1_PNSt15iterator_traitsISG_E10value_typeET2_T3_PNSH_ISM_E10value_typeET4_T5_PSR_SS_PNS1_23onesweep_lookback_stateEbbT6_jjT7_P12ihipStream_tbENKUlT_T0_SG_SL_E_clIS7_S7_SB_PlEEDaSZ_S10_SG_SL_EUlSZ_E_NS1_11comp_targetILNS1_3genE10ELNS1_11target_archE1201ELNS1_3gpuE5ELNS1_3repE0EEENS1_47radix_sort_onesweep_sort_config_static_selectorELNS0_4arch9wavefront6targetE1EEEvSG_.num_vgpr, 0
	.set _ZN7rocprim17ROCPRIM_400000_NS6detail17trampoline_kernelINS0_14default_configENS1_35radix_sort_onesweep_config_selectorIslEEZZNS1_29radix_sort_onesweep_iterationIS3_Lb0EPsS7_N6thrust23THRUST_200600_302600_NS10device_ptrIlEESB_jNS0_19identity_decomposerENS1_16block_id_wrapperIjLb1EEEEE10hipError_tT1_PNSt15iterator_traitsISG_E10value_typeET2_T3_PNSH_ISM_E10value_typeET4_T5_PSR_SS_PNS1_23onesweep_lookback_stateEbbT6_jjT7_P12ihipStream_tbENKUlT_T0_SG_SL_E_clIS7_S7_SB_PlEEDaSZ_S10_SG_SL_EUlSZ_E_NS1_11comp_targetILNS1_3genE10ELNS1_11target_archE1201ELNS1_3gpuE5ELNS1_3repE0EEENS1_47radix_sort_onesweep_sort_config_static_selectorELNS0_4arch9wavefront6targetE1EEEvSG_.num_agpr, 0
	.set _ZN7rocprim17ROCPRIM_400000_NS6detail17trampoline_kernelINS0_14default_configENS1_35radix_sort_onesweep_config_selectorIslEEZZNS1_29radix_sort_onesweep_iterationIS3_Lb0EPsS7_N6thrust23THRUST_200600_302600_NS10device_ptrIlEESB_jNS0_19identity_decomposerENS1_16block_id_wrapperIjLb1EEEEE10hipError_tT1_PNSt15iterator_traitsISG_E10value_typeET2_T3_PNSH_ISM_E10value_typeET4_T5_PSR_SS_PNS1_23onesweep_lookback_stateEbbT6_jjT7_P12ihipStream_tbENKUlT_T0_SG_SL_E_clIS7_S7_SB_PlEEDaSZ_S10_SG_SL_EUlSZ_E_NS1_11comp_targetILNS1_3genE10ELNS1_11target_archE1201ELNS1_3gpuE5ELNS1_3repE0EEENS1_47radix_sort_onesweep_sort_config_static_selectorELNS0_4arch9wavefront6targetE1EEEvSG_.numbered_sgpr, 0
	.set _ZN7rocprim17ROCPRIM_400000_NS6detail17trampoline_kernelINS0_14default_configENS1_35radix_sort_onesweep_config_selectorIslEEZZNS1_29radix_sort_onesweep_iterationIS3_Lb0EPsS7_N6thrust23THRUST_200600_302600_NS10device_ptrIlEESB_jNS0_19identity_decomposerENS1_16block_id_wrapperIjLb1EEEEE10hipError_tT1_PNSt15iterator_traitsISG_E10value_typeET2_T3_PNSH_ISM_E10value_typeET4_T5_PSR_SS_PNS1_23onesweep_lookback_stateEbbT6_jjT7_P12ihipStream_tbENKUlT_T0_SG_SL_E_clIS7_S7_SB_PlEEDaSZ_S10_SG_SL_EUlSZ_E_NS1_11comp_targetILNS1_3genE10ELNS1_11target_archE1201ELNS1_3gpuE5ELNS1_3repE0EEENS1_47radix_sort_onesweep_sort_config_static_selectorELNS0_4arch9wavefront6targetE1EEEvSG_.num_named_barrier, 0
	.set _ZN7rocprim17ROCPRIM_400000_NS6detail17trampoline_kernelINS0_14default_configENS1_35radix_sort_onesweep_config_selectorIslEEZZNS1_29radix_sort_onesweep_iterationIS3_Lb0EPsS7_N6thrust23THRUST_200600_302600_NS10device_ptrIlEESB_jNS0_19identity_decomposerENS1_16block_id_wrapperIjLb1EEEEE10hipError_tT1_PNSt15iterator_traitsISG_E10value_typeET2_T3_PNSH_ISM_E10value_typeET4_T5_PSR_SS_PNS1_23onesweep_lookback_stateEbbT6_jjT7_P12ihipStream_tbENKUlT_T0_SG_SL_E_clIS7_S7_SB_PlEEDaSZ_S10_SG_SL_EUlSZ_E_NS1_11comp_targetILNS1_3genE10ELNS1_11target_archE1201ELNS1_3gpuE5ELNS1_3repE0EEENS1_47radix_sort_onesweep_sort_config_static_selectorELNS0_4arch9wavefront6targetE1EEEvSG_.private_seg_size, 0
	.set _ZN7rocprim17ROCPRIM_400000_NS6detail17trampoline_kernelINS0_14default_configENS1_35radix_sort_onesweep_config_selectorIslEEZZNS1_29radix_sort_onesweep_iterationIS3_Lb0EPsS7_N6thrust23THRUST_200600_302600_NS10device_ptrIlEESB_jNS0_19identity_decomposerENS1_16block_id_wrapperIjLb1EEEEE10hipError_tT1_PNSt15iterator_traitsISG_E10value_typeET2_T3_PNSH_ISM_E10value_typeET4_T5_PSR_SS_PNS1_23onesweep_lookback_stateEbbT6_jjT7_P12ihipStream_tbENKUlT_T0_SG_SL_E_clIS7_S7_SB_PlEEDaSZ_S10_SG_SL_EUlSZ_E_NS1_11comp_targetILNS1_3genE10ELNS1_11target_archE1201ELNS1_3gpuE5ELNS1_3repE0EEENS1_47radix_sort_onesweep_sort_config_static_selectorELNS0_4arch9wavefront6targetE1EEEvSG_.uses_vcc, 0
	.set _ZN7rocprim17ROCPRIM_400000_NS6detail17trampoline_kernelINS0_14default_configENS1_35radix_sort_onesweep_config_selectorIslEEZZNS1_29radix_sort_onesweep_iterationIS3_Lb0EPsS7_N6thrust23THRUST_200600_302600_NS10device_ptrIlEESB_jNS0_19identity_decomposerENS1_16block_id_wrapperIjLb1EEEEE10hipError_tT1_PNSt15iterator_traitsISG_E10value_typeET2_T3_PNSH_ISM_E10value_typeET4_T5_PSR_SS_PNS1_23onesweep_lookback_stateEbbT6_jjT7_P12ihipStream_tbENKUlT_T0_SG_SL_E_clIS7_S7_SB_PlEEDaSZ_S10_SG_SL_EUlSZ_E_NS1_11comp_targetILNS1_3genE10ELNS1_11target_archE1201ELNS1_3gpuE5ELNS1_3repE0EEENS1_47radix_sort_onesweep_sort_config_static_selectorELNS0_4arch9wavefront6targetE1EEEvSG_.uses_flat_scratch, 0
	.set _ZN7rocprim17ROCPRIM_400000_NS6detail17trampoline_kernelINS0_14default_configENS1_35radix_sort_onesweep_config_selectorIslEEZZNS1_29radix_sort_onesweep_iterationIS3_Lb0EPsS7_N6thrust23THRUST_200600_302600_NS10device_ptrIlEESB_jNS0_19identity_decomposerENS1_16block_id_wrapperIjLb1EEEEE10hipError_tT1_PNSt15iterator_traitsISG_E10value_typeET2_T3_PNSH_ISM_E10value_typeET4_T5_PSR_SS_PNS1_23onesweep_lookback_stateEbbT6_jjT7_P12ihipStream_tbENKUlT_T0_SG_SL_E_clIS7_S7_SB_PlEEDaSZ_S10_SG_SL_EUlSZ_E_NS1_11comp_targetILNS1_3genE10ELNS1_11target_archE1201ELNS1_3gpuE5ELNS1_3repE0EEENS1_47radix_sort_onesweep_sort_config_static_selectorELNS0_4arch9wavefront6targetE1EEEvSG_.has_dyn_sized_stack, 0
	.set _ZN7rocprim17ROCPRIM_400000_NS6detail17trampoline_kernelINS0_14default_configENS1_35radix_sort_onesweep_config_selectorIslEEZZNS1_29radix_sort_onesweep_iterationIS3_Lb0EPsS7_N6thrust23THRUST_200600_302600_NS10device_ptrIlEESB_jNS0_19identity_decomposerENS1_16block_id_wrapperIjLb1EEEEE10hipError_tT1_PNSt15iterator_traitsISG_E10value_typeET2_T3_PNSH_ISM_E10value_typeET4_T5_PSR_SS_PNS1_23onesweep_lookback_stateEbbT6_jjT7_P12ihipStream_tbENKUlT_T0_SG_SL_E_clIS7_S7_SB_PlEEDaSZ_S10_SG_SL_EUlSZ_E_NS1_11comp_targetILNS1_3genE10ELNS1_11target_archE1201ELNS1_3gpuE5ELNS1_3repE0EEENS1_47radix_sort_onesweep_sort_config_static_selectorELNS0_4arch9wavefront6targetE1EEEvSG_.has_recursion, 0
	.set _ZN7rocprim17ROCPRIM_400000_NS6detail17trampoline_kernelINS0_14default_configENS1_35radix_sort_onesweep_config_selectorIslEEZZNS1_29radix_sort_onesweep_iterationIS3_Lb0EPsS7_N6thrust23THRUST_200600_302600_NS10device_ptrIlEESB_jNS0_19identity_decomposerENS1_16block_id_wrapperIjLb1EEEEE10hipError_tT1_PNSt15iterator_traitsISG_E10value_typeET2_T3_PNSH_ISM_E10value_typeET4_T5_PSR_SS_PNS1_23onesweep_lookback_stateEbbT6_jjT7_P12ihipStream_tbENKUlT_T0_SG_SL_E_clIS7_S7_SB_PlEEDaSZ_S10_SG_SL_EUlSZ_E_NS1_11comp_targetILNS1_3genE10ELNS1_11target_archE1201ELNS1_3gpuE5ELNS1_3repE0EEENS1_47radix_sort_onesweep_sort_config_static_selectorELNS0_4arch9wavefront6targetE1EEEvSG_.has_indirect_call, 0
	.section	.AMDGPU.csdata,"",@progbits
; Kernel info:
; codeLenInByte = 0
; TotalNumSgprs: 4
; NumVgprs: 0
; ScratchSize: 0
; MemoryBound: 0
; FloatMode: 240
; IeeeMode: 1
; LDSByteSize: 0 bytes/workgroup (compile time only)
; SGPRBlocks: 0
; VGPRBlocks: 0
; NumSGPRsForWavesPerEU: 4
; NumVGPRsForWavesPerEU: 1
; Occupancy: 10
; WaveLimiterHint : 0
; COMPUTE_PGM_RSRC2:SCRATCH_EN: 0
; COMPUTE_PGM_RSRC2:USER_SGPR: 6
; COMPUTE_PGM_RSRC2:TRAP_HANDLER: 0
; COMPUTE_PGM_RSRC2:TGID_X_EN: 1
; COMPUTE_PGM_RSRC2:TGID_Y_EN: 0
; COMPUTE_PGM_RSRC2:TGID_Z_EN: 0
; COMPUTE_PGM_RSRC2:TIDIG_COMP_CNT: 0
	.section	.text._ZN7rocprim17ROCPRIM_400000_NS6detail17trampoline_kernelINS0_14default_configENS1_35radix_sort_onesweep_config_selectorIslEEZZNS1_29radix_sort_onesweep_iterationIS3_Lb0EPsS7_N6thrust23THRUST_200600_302600_NS10device_ptrIlEESB_jNS0_19identity_decomposerENS1_16block_id_wrapperIjLb1EEEEE10hipError_tT1_PNSt15iterator_traitsISG_E10value_typeET2_T3_PNSH_ISM_E10value_typeET4_T5_PSR_SS_PNS1_23onesweep_lookback_stateEbbT6_jjT7_P12ihipStream_tbENKUlT_T0_SG_SL_E_clIS7_S7_SB_PlEEDaSZ_S10_SG_SL_EUlSZ_E_NS1_11comp_targetILNS1_3genE9ELNS1_11target_archE1100ELNS1_3gpuE3ELNS1_3repE0EEENS1_47radix_sort_onesweep_sort_config_static_selectorELNS0_4arch9wavefront6targetE1EEEvSG_,"axG",@progbits,_ZN7rocprim17ROCPRIM_400000_NS6detail17trampoline_kernelINS0_14default_configENS1_35radix_sort_onesweep_config_selectorIslEEZZNS1_29radix_sort_onesweep_iterationIS3_Lb0EPsS7_N6thrust23THRUST_200600_302600_NS10device_ptrIlEESB_jNS0_19identity_decomposerENS1_16block_id_wrapperIjLb1EEEEE10hipError_tT1_PNSt15iterator_traitsISG_E10value_typeET2_T3_PNSH_ISM_E10value_typeET4_T5_PSR_SS_PNS1_23onesweep_lookback_stateEbbT6_jjT7_P12ihipStream_tbENKUlT_T0_SG_SL_E_clIS7_S7_SB_PlEEDaSZ_S10_SG_SL_EUlSZ_E_NS1_11comp_targetILNS1_3genE9ELNS1_11target_archE1100ELNS1_3gpuE3ELNS1_3repE0EEENS1_47radix_sort_onesweep_sort_config_static_selectorELNS0_4arch9wavefront6targetE1EEEvSG_,comdat
	.protected	_ZN7rocprim17ROCPRIM_400000_NS6detail17trampoline_kernelINS0_14default_configENS1_35radix_sort_onesweep_config_selectorIslEEZZNS1_29radix_sort_onesweep_iterationIS3_Lb0EPsS7_N6thrust23THRUST_200600_302600_NS10device_ptrIlEESB_jNS0_19identity_decomposerENS1_16block_id_wrapperIjLb1EEEEE10hipError_tT1_PNSt15iterator_traitsISG_E10value_typeET2_T3_PNSH_ISM_E10value_typeET4_T5_PSR_SS_PNS1_23onesweep_lookback_stateEbbT6_jjT7_P12ihipStream_tbENKUlT_T0_SG_SL_E_clIS7_S7_SB_PlEEDaSZ_S10_SG_SL_EUlSZ_E_NS1_11comp_targetILNS1_3genE9ELNS1_11target_archE1100ELNS1_3gpuE3ELNS1_3repE0EEENS1_47radix_sort_onesweep_sort_config_static_selectorELNS0_4arch9wavefront6targetE1EEEvSG_ ; -- Begin function _ZN7rocprim17ROCPRIM_400000_NS6detail17trampoline_kernelINS0_14default_configENS1_35radix_sort_onesweep_config_selectorIslEEZZNS1_29radix_sort_onesweep_iterationIS3_Lb0EPsS7_N6thrust23THRUST_200600_302600_NS10device_ptrIlEESB_jNS0_19identity_decomposerENS1_16block_id_wrapperIjLb1EEEEE10hipError_tT1_PNSt15iterator_traitsISG_E10value_typeET2_T3_PNSH_ISM_E10value_typeET4_T5_PSR_SS_PNS1_23onesweep_lookback_stateEbbT6_jjT7_P12ihipStream_tbENKUlT_T0_SG_SL_E_clIS7_S7_SB_PlEEDaSZ_S10_SG_SL_EUlSZ_E_NS1_11comp_targetILNS1_3genE9ELNS1_11target_archE1100ELNS1_3gpuE3ELNS1_3repE0EEENS1_47radix_sort_onesweep_sort_config_static_selectorELNS0_4arch9wavefront6targetE1EEEvSG_
	.globl	_ZN7rocprim17ROCPRIM_400000_NS6detail17trampoline_kernelINS0_14default_configENS1_35radix_sort_onesweep_config_selectorIslEEZZNS1_29radix_sort_onesweep_iterationIS3_Lb0EPsS7_N6thrust23THRUST_200600_302600_NS10device_ptrIlEESB_jNS0_19identity_decomposerENS1_16block_id_wrapperIjLb1EEEEE10hipError_tT1_PNSt15iterator_traitsISG_E10value_typeET2_T3_PNSH_ISM_E10value_typeET4_T5_PSR_SS_PNS1_23onesweep_lookback_stateEbbT6_jjT7_P12ihipStream_tbENKUlT_T0_SG_SL_E_clIS7_S7_SB_PlEEDaSZ_S10_SG_SL_EUlSZ_E_NS1_11comp_targetILNS1_3genE9ELNS1_11target_archE1100ELNS1_3gpuE3ELNS1_3repE0EEENS1_47radix_sort_onesweep_sort_config_static_selectorELNS0_4arch9wavefront6targetE1EEEvSG_
	.p2align	8
	.type	_ZN7rocprim17ROCPRIM_400000_NS6detail17trampoline_kernelINS0_14default_configENS1_35radix_sort_onesweep_config_selectorIslEEZZNS1_29radix_sort_onesweep_iterationIS3_Lb0EPsS7_N6thrust23THRUST_200600_302600_NS10device_ptrIlEESB_jNS0_19identity_decomposerENS1_16block_id_wrapperIjLb1EEEEE10hipError_tT1_PNSt15iterator_traitsISG_E10value_typeET2_T3_PNSH_ISM_E10value_typeET4_T5_PSR_SS_PNS1_23onesweep_lookback_stateEbbT6_jjT7_P12ihipStream_tbENKUlT_T0_SG_SL_E_clIS7_S7_SB_PlEEDaSZ_S10_SG_SL_EUlSZ_E_NS1_11comp_targetILNS1_3genE9ELNS1_11target_archE1100ELNS1_3gpuE3ELNS1_3repE0EEENS1_47radix_sort_onesweep_sort_config_static_selectorELNS0_4arch9wavefront6targetE1EEEvSG_,@function
_ZN7rocprim17ROCPRIM_400000_NS6detail17trampoline_kernelINS0_14default_configENS1_35radix_sort_onesweep_config_selectorIslEEZZNS1_29radix_sort_onesweep_iterationIS3_Lb0EPsS7_N6thrust23THRUST_200600_302600_NS10device_ptrIlEESB_jNS0_19identity_decomposerENS1_16block_id_wrapperIjLb1EEEEE10hipError_tT1_PNSt15iterator_traitsISG_E10value_typeET2_T3_PNSH_ISM_E10value_typeET4_T5_PSR_SS_PNS1_23onesweep_lookback_stateEbbT6_jjT7_P12ihipStream_tbENKUlT_T0_SG_SL_E_clIS7_S7_SB_PlEEDaSZ_S10_SG_SL_EUlSZ_E_NS1_11comp_targetILNS1_3genE9ELNS1_11target_archE1100ELNS1_3gpuE3ELNS1_3repE0EEENS1_47radix_sort_onesweep_sort_config_static_selectorELNS0_4arch9wavefront6targetE1EEEvSG_: ; @_ZN7rocprim17ROCPRIM_400000_NS6detail17trampoline_kernelINS0_14default_configENS1_35radix_sort_onesweep_config_selectorIslEEZZNS1_29radix_sort_onesweep_iterationIS3_Lb0EPsS7_N6thrust23THRUST_200600_302600_NS10device_ptrIlEESB_jNS0_19identity_decomposerENS1_16block_id_wrapperIjLb1EEEEE10hipError_tT1_PNSt15iterator_traitsISG_E10value_typeET2_T3_PNSH_ISM_E10value_typeET4_T5_PSR_SS_PNS1_23onesweep_lookback_stateEbbT6_jjT7_P12ihipStream_tbENKUlT_T0_SG_SL_E_clIS7_S7_SB_PlEEDaSZ_S10_SG_SL_EUlSZ_E_NS1_11comp_targetILNS1_3genE9ELNS1_11target_archE1100ELNS1_3gpuE3ELNS1_3repE0EEENS1_47radix_sort_onesweep_sort_config_static_selectorELNS0_4arch9wavefront6targetE1EEEvSG_
; %bb.0:
	.section	.rodata,"a",@progbits
	.p2align	6, 0x0
	.amdhsa_kernel _ZN7rocprim17ROCPRIM_400000_NS6detail17trampoline_kernelINS0_14default_configENS1_35radix_sort_onesweep_config_selectorIslEEZZNS1_29radix_sort_onesweep_iterationIS3_Lb0EPsS7_N6thrust23THRUST_200600_302600_NS10device_ptrIlEESB_jNS0_19identity_decomposerENS1_16block_id_wrapperIjLb1EEEEE10hipError_tT1_PNSt15iterator_traitsISG_E10value_typeET2_T3_PNSH_ISM_E10value_typeET4_T5_PSR_SS_PNS1_23onesweep_lookback_stateEbbT6_jjT7_P12ihipStream_tbENKUlT_T0_SG_SL_E_clIS7_S7_SB_PlEEDaSZ_S10_SG_SL_EUlSZ_E_NS1_11comp_targetILNS1_3genE9ELNS1_11target_archE1100ELNS1_3gpuE3ELNS1_3repE0EEENS1_47radix_sort_onesweep_sort_config_static_selectorELNS0_4arch9wavefront6targetE1EEEvSG_
		.amdhsa_group_segment_fixed_size 0
		.amdhsa_private_segment_fixed_size 0
		.amdhsa_kernarg_size 88
		.amdhsa_user_sgpr_count 6
		.amdhsa_user_sgpr_private_segment_buffer 1
		.amdhsa_user_sgpr_dispatch_ptr 0
		.amdhsa_user_sgpr_queue_ptr 0
		.amdhsa_user_sgpr_kernarg_segment_ptr 1
		.amdhsa_user_sgpr_dispatch_id 0
		.amdhsa_user_sgpr_flat_scratch_init 0
		.amdhsa_user_sgpr_private_segment_size 0
		.amdhsa_uses_dynamic_stack 0
		.amdhsa_system_sgpr_private_segment_wavefront_offset 0
		.amdhsa_system_sgpr_workgroup_id_x 1
		.amdhsa_system_sgpr_workgroup_id_y 0
		.amdhsa_system_sgpr_workgroup_id_z 0
		.amdhsa_system_sgpr_workgroup_info 0
		.amdhsa_system_vgpr_workitem_id 0
		.amdhsa_next_free_vgpr 1
		.amdhsa_next_free_sgpr 0
		.amdhsa_reserve_vcc 0
		.amdhsa_reserve_flat_scratch 0
		.amdhsa_float_round_mode_32 0
		.amdhsa_float_round_mode_16_64 0
		.amdhsa_float_denorm_mode_32 3
		.amdhsa_float_denorm_mode_16_64 3
		.amdhsa_dx10_clamp 1
		.amdhsa_ieee_mode 1
		.amdhsa_fp16_overflow 0
		.amdhsa_exception_fp_ieee_invalid_op 0
		.amdhsa_exception_fp_denorm_src 0
		.amdhsa_exception_fp_ieee_div_zero 0
		.amdhsa_exception_fp_ieee_overflow 0
		.amdhsa_exception_fp_ieee_underflow 0
		.amdhsa_exception_fp_ieee_inexact 0
		.amdhsa_exception_int_div_zero 0
	.end_amdhsa_kernel
	.section	.text._ZN7rocprim17ROCPRIM_400000_NS6detail17trampoline_kernelINS0_14default_configENS1_35radix_sort_onesweep_config_selectorIslEEZZNS1_29radix_sort_onesweep_iterationIS3_Lb0EPsS7_N6thrust23THRUST_200600_302600_NS10device_ptrIlEESB_jNS0_19identity_decomposerENS1_16block_id_wrapperIjLb1EEEEE10hipError_tT1_PNSt15iterator_traitsISG_E10value_typeET2_T3_PNSH_ISM_E10value_typeET4_T5_PSR_SS_PNS1_23onesweep_lookback_stateEbbT6_jjT7_P12ihipStream_tbENKUlT_T0_SG_SL_E_clIS7_S7_SB_PlEEDaSZ_S10_SG_SL_EUlSZ_E_NS1_11comp_targetILNS1_3genE9ELNS1_11target_archE1100ELNS1_3gpuE3ELNS1_3repE0EEENS1_47radix_sort_onesweep_sort_config_static_selectorELNS0_4arch9wavefront6targetE1EEEvSG_,"axG",@progbits,_ZN7rocprim17ROCPRIM_400000_NS6detail17trampoline_kernelINS0_14default_configENS1_35radix_sort_onesweep_config_selectorIslEEZZNS1_29radix_sort_onesweep_iterationIS3_Lb0EPsS7_N6thrust23THRUST_200600_302600_NS10device_ptrIlEESB_jNS0_19identity_decomposerENS1_16block_id_wrapperIjLb1EEEEE10hipError_tT1_PNSt15iterator_traitsISG_E10value_typeET2_T3_PNSH_ISM_E10value_typeET4_T5_PSR_SS_PNS1_23onesweep_lookback_stateEbbT6_jjT7_P12ihipStream_tbENKUlT_T0_SG_SL_E_clIS7_S7_SB_PlEEDaSZ_S10_SG_SL_EUlSZ_E_NS1_11comp_targetILNS1_3genE9ELNS1_11target_archE1100ELNS1_3gpuE3ELNS1_3repE0EEENS1_47radix_sort_onesweep_sort_config_static_selectorELNS0_4arch9wavefront6targetE1EEEvSG_,comdat
.Lfunc_end1414:
	.size	_ZN7rocprim17ROCPRIM_400000_NS6detail17trampoline_kernelINS0_14default_configENS1_35radix_sort_onesweep_config_selectorIslEEZZNS1_29radix_sort_onesweep_iterationIS3_Lb0EPsS7_N6thrust23THRUST_200600_302600_NS10device_ptrIlEESB_jNS0_19identity_decomposerENS1_16block_id_wrapperIjLb1EEEEE10hipError_tT1_PNSt15iterator_traitsISG_E10value_typeET2_T3_PNSH_ISM_E10value_typeET4_T5_PSR_SS_PNS1_23onesweep_lookback_stateEbbT6_jjT7_P12ihipStream_tbENKUlT_T0_SG_SL_E_clIS7_S7_SB_PlEEDaSZ_S10_SG_SL_EUlSZ_E_NS1_11comp_targetILNS1_3genE9ELNS1_11target_archE1100ELNS1_3gpuE3ELNS1_3repE0EEENS1_47radix_sort_onesweep_sort_config_static_selectorELNS0_4arch9wavefront6targetE1EEEvSG_, .Lfunc_end1414-_ZN7rocprim17ROCPRIM_400000_NS6detail17trampoline_kernelINS0_14default_configENS1_35radix_sort_onesweep_config_selectorIslEEZZNS1_29radix_sort_onesweep_iterationIS3_Lb0EPsS7_N6thrust23THRUST_200600_302600_NS10device_ptrIlEESB_jNS0_19identity_decomposerENS1_16block_id_wrapperIjLb1EEEEE10hipError_tT1_PNSt15iterator_traitsISG_E10value_typeET2_T3_PNSH_ISM_E10value_typeET4_T5_PSR_SS_PNS1_23onesweep_lookback_stateEbbT6_jjT7_P12ihipStream_tbENKUlT_T0_SG_SL_E_clIS7_S7_SB_PlEEDaSZ_S10_SG_SL_EUlSZ_E_NS1_11comp_targetILNS1_3genE9ELNS1_11target_archE1100ELNS1_3gpuE3ELNS1_3repE0EEENS1_47radix_sort_onesweep_sort_config_static_selectorELNS0_4arch9wavefront6targetE1EEEvSG_
                                        ; -- End function
	.set _ZN7rocprim17ROCPRIM_400000_NS6detail17trampoline_kernelINS0_14default_configENS1_35radix_sort_onesweep_config_selectorIslEEZZNS1_29radix_sort_onesweep_iterationIS3_Lb0EPsS7_N6thrust23THRUST_200600_302600_NS10device_ptrIlEESB_jNS0_19identity_decomposerENS1_16block_id_wrapperIjLb1EEEEE10hipError_tT1_PNSt15iterator_traitsISG_E10value_typeET2_T3_PNSH_ISM_E10value_typeET4_T5_PSR_SS_PNS1_23onesweep_lookback_stateEbbT6_jjT7_P12ihipStream_tbENKUlT_T0_SG_SL_E_clIS7_S7_SB_PlEEDaSZ_S10_SG_SL_EUlSZ_E_NS1_11comp_targetILNS1_3genE9ELNS1_11target_archE1100ELNS1_3gpuE3ELNS1_3repE0EEENS1_47radix_sort_onesweep_sort_config_static_selectorELNS0_4arch9wavefront6targetE1EEEvSG_.num_vgpr, 0
	.set _ZN7rocprim17ROCPRIM_400000_NS6detail17trampoline_kernelINS0_14default_configENS1_35radix_sort_onesweep_config_selectorIslEEZZNS1_29radix_sort_onesweep_iterationIS3_Lb0EPsS7_N6thrust23THRUST_200600_302600_NS10device_ptrIlEESB_jNS0_19identity_decomposerENS1_16block_id_wrapperIjLb1EEEEE10hipError_tT1_PNSt15iterator_traitsISG_E10value_typeET2_T3_PNSH_ISM_E10value_typeET4_T5_PSR_SS_PNS1_23onesweep_lookback_stateEbbT6_jjT7_P12ihipStream_tbENKUlT_T0_SG_SL_E_clIS7_S7_SB_PlEEDaSZ_S10_SG_SL_EUlSZ_E_NS1_11comp_targetILNS1_3genE9ELNS1_11target_archE1100ELNS1_3gpuE3ELNS1_3repE0EEENS1_47radix_sort_onesweep_sort_config_static_selectorELNS0_4arch9wavefront6targetE1EEEvSG_.num_agpr, 0
	.set _ZN7rocprim17ROCPRIM_400000_NS6detail17trampoline_kernelINS0_14default_configENS1_35radix_sort_onesweep_config_selectorIslEEZZNS1_29radix_sort_onesweep_iterationIS3_Lb0EPsS7_N6thrust23THRUST_200600_302600_NS10device_ptrIlEESB_jNS0_19identity_decomposerENS1_16block_id_wrapperIjLb1EEEEE10hipError_tT1_PNSt15iterator_traitsISG_E10value_typeET2_T3_PNSH_ISM_E10value_typeET4_T5_PSR_SS_PNS1_23onesweep_lookback_stateEbbT6_jjT7_P12ihipStream_tbENKUlT_T0_SG_SL_E_clIS7_S7_SB_PlEEDaSZ_S10_SG_SL_EUlSZ_E_NS1_11comp_targetILNS1_3genE9ELNS1_11target_archE1100ELNS1_3gpuE3ELNS1_3repE0EEENS1_47radix_sort_onesweep_sort_config_static_selectorELNS0_4arch9wavefront6targetE1EEEvSG_.numbered_sgpr, 0
	.set _ZN7rocprim17ROCPRIM_400000_NS6detail17trampoline_kernelINS0_14default_configENS1_35radix_sort_onesweep_config_selectorIslEEZZNS1_29radix_sort_onesweep_iterationIS3_Lb0EPsS7_N6thrust23THRUST_200600_302600_NS10device_ptrIlEESB_jNS0_19identity_decomposerENS1_16block_id_wrapperIjLb1EEEEE10hipError_tT1_PNSt15iterator_traitsISG_E10value_typeET2_T3_PNSH_ISM_E10value_typeET4_T5_PSR_SS_PNS1_23onesweep_lookback_stateEbbT6_jjT7_P12ihipStream_tbENKUlT_T0_SG_SL_E_clIS7_S7_SB_PlEEDaSZ_S10_SG_SL_EUlSZ_E_NS1_11comp_targetILNS1_3genE9ELNS1_11target_archE1100ELNS1_3gpuE3ELNS1_3repE0EEENS1_47radix_sort_onesweep_sort_config_static_selectorELNS0_4arch9wavefront6targetE1EEEvSG_.num_named_barrier, 0
	.set _ZN7rocprim17ROCPRIM_400000_NS6detail17trampoline_kernelINS0_14default_configENS1_35radix_sort_onesweep_config_selectorIslEEZZNS1_29radix_sort_onesweep_iterationIS3_Lb0EPsS7_N6thrust23THRUST_200600_302600_NS10device_ptrIlEESB_jNS0_19identity_decomposerENS1_16block_id_wrapperIjLb1EEEEE10hipError_tT1_PNSt15iterator_traitsISG_E10value_typeET2_T3_PNSH_ISM_E10value_typeET4_T5_PSR_SS_PNS1_23onesweep_lookback_stateEbbT6_jjT7_P12ihipStream_tbENKUlT_T0_SG_SL_E_clIS7_S7_SB_PlEEDaSZ_S10_SG_SL_EUlSZ_E_NS1_11comp_targetILNS1_3genE9ELNS1_11target_archE1100ELNS1_3gpuE3ELNS1_3repE0EEENS1_47radix_sort_onesweep_sort_config_static_selectorELNS0_4arch9wavefront6targetE1EEEvSG_.private_seg_size, 0
	.set _ZN7rocprim17ROCPRIM_400000_NS6detail17trampoline_kernelINS0_14default_configENS1_35radix_sort_onesweep_config_selectorIslEEZZNS1_29radix_sort_onesweep_iterationIS3_Lb0EPsS7_N6thrust23THRUST_200600_302600_NS10device_ptrIlEESB_jNS0_19identity_decomposerENS1_16block_id_wrapperIjLb1EEEEE10hipError_tT1_PNSt15iterator_traitsISG_E10value_typeET2_T3_PNSH_ISM_E10value_typeET4_T5_PSR_SS_PNS1_23onesweep_lookback_stateEbbT6_jjT7_P12ihipStream_tbENKUlT_T0_SG_SL_E_clIS7_S7_SB_PlEEDaSZ_S10_SG_SL_EUlSZ_E_NS1_11comp_targetILNS1_3genE9ELNS1_11target_archE1100ELNS1_3gpuE3ELNS1_3repE0EEENS1_47radix_sort_onesweep_sort_config_static_selectorELNS0_4arch9wavefront6targetE1EEEvSG_.uses_vcc, 0
	.set _ZN7rocprim17ROCPRIM_400000_NS6detail17trampoline_kernelINS0_14default_configENS1_35radix_sort_onesweep_config_selectorIslEEZZNS1_29radix_sort_onesweep_iterationIS3_Lb0EPsS7_N6thrust23THRUST_200600_302600_NS10device_ptrIlEESB_jNS0_19identity_decomposerENS1_16block_id_wrapperIjLb1EEEEE10hipError_tT1_PNSt15iterator_traitsISG_E10value_typeET2_T3_PNSH_ISM_E10value_typeET4_T5_PSR_SS_PNS1_23onesweep_lookback_stateEbbT6_jjT7_P12ihipStream_tbENKUlT_T0_SG_SL_E_clIS7_S7_SB_PlEEDaSZ_S10_SG_SL_EUlSZ_E_NS1_11comp_targetILNS1_3genE9ELNS1_11target_archE1100ELNS1_3gpuE3ELNS1_3repE0EEENS1_47radix_sort_onesweep_sort_config_static_selectorELNS0_4arch9wavefront6targetE1EEEvSG_.uses_flat_scratch, 0
	.set _ZN7rocprim17ROCPRIM_400000_NS6detail17trampoline_kernelINS0_14default_configENS1_35radix_sort_onesweep_config_selectorIslEEZZNS1_29radix_sort_onesweep_iterationIS3_Lb0EPsS7_N6thrust23THRUST_200600_302600_NS10device_ptrIlEESB_jNS0_19identity_decomposerENS1_16block_id_wrapperIjLb1EEEEE10hipError_tT1_PNSt15iterator_traitsISG_E10value_typeET2_T3_PNSH_ISM_E10value_typeET4_T5_PSR_SS_PNS1_23onesweep_lookback_stateEbbT6_jjT7_P12ihipStream_tbENKUlT_T0_SG_SL_E_clIS7_S7_SB_PlEEDaSZ_S10_SG_SL_EUlSZ_E_NS1_11comp_targetILNS1_3genE9ELNS1_11target_archE1100ELNS1_3gpuE3ELNS1_3repE0EEENS1_47radix_sort_onesweep_sort_config_static_selectorELNS0_4arch9wavefront6targetE1EEEvSG_.has_dyn_sized_stack, 0
	.set _ZN7rocprim17ROCPRIM_400000_NS6detail17trampoline_kernelINS0_14default_configENS1_35radix_sort_onesweep_config_selectorIslEEZZNS1_29radix_sort_onesweep_iterationIS3_Lb0EPsS7_N6thrust23THRUST_200600_302600_NS10device_ptrIlEESB_jNS0_19identity_decomposerENS1_16block_id_wrapperIjLb1EEEEE10hipError_tT1_PNSt15iterator_traitsISG_E10value_typeET2_T3_PNSH_ISM_E10value_typeET4_T5_PSR_SS_PNS1_23onesweep_lookback_stateEbbT6_jjT7_P12ihipStream_tbENKUlT_T0_SG_SL_E_clIS7_S7_SB_PlEEDaSZ_S10_SG_SL_EUlSZ_E_NS1_11comp_targetILNS1_3genE9ELNS1_11target_archE1100ELNS1_3gpuE3ELNS1_3repE0EEENS1_47radix_sort_onesweep_sort_config_static_selectorELNS0_4arch9wavefront6targetE1EEEvSG_.has_recursion, 0
	.set _ZN7rocprim17ROCPRIM_400000_NS6detail17trampoline_kernelINS0_14default_configENS1_35radix_sort_onesweep_config_selectorIslEEZZNS1_29radix_sort_onesweep_iterationIS3_Lb0EPsS7_N6thrust23THRUST_200600_302600_NS10device_ptrIlEESB_jNS0_19identity_decomposerENS1_16block_id_wrapperIjLb1EEEEE10hipError_tT1_PNSt15iterator_traitsISG_E10value_typeET2_T3_PNSH_ISM_E10value_typeET4_T5_PSR_SS_PNS1_23onesweep_lookback_stateEbbT6_jjT7_P12ihipStream_tbENKUlT_T0_SG_SL_E_clIS7_S7_SB_PlEEDaSZ_S10_SG_SL_EUlSZ_E_NS1_11comp_targetILNS1_3genE9ELNS1_11target_archE1100ELNS1_3gpuE3ELNS1_3repE0EEENS1_47radix_sort_onesweep_sort_config_static_selectorELNS0_4arch9wavefront6targetE1EEEvSG_.has_indirect_call, 0
	.section	.AMDGPU.csdata,"",@progbits
; Kernel info:
; codeLenInByte = 0
; TotalNumSgprs: 4
; NumVgprs: 0
; ScratchSize: 0
; MemoryBound: 0
; FloatMode: 240
; IeeeMode: 1
; LDSByteSize: 0 bytes/workgroup (compile time only)
; SGPRBlocks: 0
; VGPRBlocks: 0
; NumSGPRsForWavesPerEU: 4
; NumVGPRsForWavesPerEU: 1
; Occupancy: 10
; WaveLimiterHint : 0
; COMPUTE_PGM_RSRC2:SCRATCH_EN: 0
; COMPUTE_PGM_RSRC2:USER_SGPR: 6
; COMPUTE_PGM_RSRC2:TRAP_HANDLER: 0
; COMPUTE_PGM_RSRC2:TGID_X_EN: 1
; COMPUTE_PGM_RSRC2:TGID_Y_EN: 0
; COMPUTE_PGM_RSRC2:TGID_Z_EN: 0
; COMPUTE_PGM_RSRC2:TIDIG_COMP_CNT: 0
	.section	.text._ZN7rocprim17ROCPRIM_400000_NS6detail17trampoline_kernelINS0_14default_configENS1_35radix_sort_onesweep_config_selectorIslEEZZNS1_29radix_sort_onesweep_iterationIS3_Lb0EPsS7_N6thrust23THRUST_200600_302600_NS10device_ptrIlEESB_jNS0_19identity_decomposerENS1_16block_id_wrapperIjLb1EEEEE10hipError_tT1_PNSt15iterator_traitsISG_E10value_typeET2_T3_PNSH_ISM_E10value_typeET4_T5_PSR_SS_PNS1_23onesweep_lookback_stateEbbT6_jjT7_P12ihipStream_tbENKUlT_T0_SG_SL_E_clIS7_S7_SB_PlEEDaSZ_S10_SG_SL_EUlSZ_E_NS1_11comp_targetILNS1_3genE8ELNS1_11target_archE1030ELNS1_3gpuE2ELNS1_3repE0EEENS1_47radix_sort_onesweep_sort_config_static_selectorELNS0_4arch9wavefront6targetE1EEEvSG_,"axG",@progbits,_ZN7rocprim17ROCPRIM_400000_NS6detail17trampoline_kernelINS0_14default_configENS1_35radix_sort_onesweep_config_selectorIslEEZZNS1_29radix_sort_onesweep_iterationIS3_Lb0EPsS7_N6thrust23THRUST_200600_302600_NS10device_ptrIlEESB_jNS0_19identity_decomposerENS1_16block_id_wrapperIjLb1EEEEE10hipError_tT1_PNSt15iterator_traitsISG_E10value_typeET2_T3_PNSH_ISM_E10value_typeET4_T5_PSR_SS_PNS1_23onesweep_lookback_stateEbbT6_jjT7_P12ihipStream_tbENKUlT_T0_SG_SL_E_clIS7_S7_SB_PlEEDaSZ_S10_SG_SL_EUlSZ_E_NS1_11comp_targetILNS1_3genE8ELNS1_11target_archE1030ELNS1_3gpuE2ELNS1_3repE0EEENS1_47radix_sort_onesweep_sort_config_static_selectorELNS0_4arch9wavefront6targetE1EEEvSG_,comdat
	.protected	_ZN7rocprim17ROCPRIM_400000_NS6detail17trampoline_kernelINS0_14default_configENS1_35radix_sort_onesweep_config_selectorIslEEZZNS1_29radix_sort_onesweep_iterationIS3_Lb0EPsS7_N6thrust23THRUST_200600_302600_NS10device_ptrIlEESB_jNS0_19identity_decomposerENS1_16block_id_wrapperIjLb1EEEEE10hipError_tT1_PNSt15iterator_traitsISG_E10value_typeET2_T3_PNSH_ISM_E10value_typeET4_T5_PSR_SS_PNS1_23onesweep_lookback_stateEbbT6_jjT7_P12ihipStream_tbENKUlT_T0_SG_SL_E_clIS7_S7_SB_PlEEDaSZ_S10_SG_SL_EUlSZ_E_NS1_11comp_targetILNS1_3genE8ELNS1_11target_archE1030ELNS1_3gpuE2ELNS1_3repE0EEENS1_47radix_sort_onesweep_sort_config_static_selectorELNS0_4arch9wavefront6targetE1EEEvSG_ ; -- Begin function _ZN7rocprim17ROCPRIM_400000_NS6detail17trampoline_kernelINS0_14default_configENS1_35radix_sort_onesweep_config_selectorIslEEZZNS1_29radix_sort_onesweep_iterationIS3_Lb0EPsS7_N6thrust23THRUST_200600_302600_NS10device_ptrIlEESB_jNS0_19identity_decomposerENS1_16block_id_wrapperIjLb1EEEEE10hipError_tT1_PNSt15iterator_traitsISG_E10value_typeET2_T3_PNSH_ISM_E10value_typeET4_T5_PSR_SS_PNS1_23onesweep_lookback_stateEbbT6_jjT7_P12ihipStream_tbENKUlT_T0_SG_SL_E_clIS7_S7_SB_PlEEDaSZ_S10_SG_SL_EUlSZ_E_NS1_11comp_targetILNS1_3genE8ELNS1_11target_archE1030ELNS1_3gpuE2ELNS1_3repE0EEENS1_47radix_sort_onesweep_sort_config_static_selectorELNS0_4arch9wavefront6targetE1EEEvSG_
	.globl	_ZN7rocprim17ROCPRIM_400000_NS6detail17trampoline_kernelINS0_14default_configENS1_35radix_sort_onesweep_config_selectorIslEEZZNS1_29radix_sort_onesweep_iterationIS3_Lb0EPsS7_N6thrust23THRUST_200600_302600_NS10device_ptrIlEESB_jNS0_19identity_decomposerENS1_16block_id_wrapperIjLb1EEEEE10hipError_tT1_PNSt15iterator_traitsISG_E10value_typeET2_T3_PNSH_ISM_E10value_typeET4_T5_PSR_SS_PNS1_23onesweep_lookback_stateEbbT6_jjT7_P12ihipStream_tbENKUlT_T0_SG_SL_E_clIS7_S7_SB_PlEEDaSZ_S10_SG_SL_EUlSZ_E_NS1_11comp_targetILNS1_3genE8ELNS1_11target_archE1030ELNS1_3gpuE2ELNS1_3repE0EEENS1_47radix_sort_onesweep_sort_config_static_selectorELNS0_4arch9wavefront6targetE1EEEvSG_
	.p2align	8
	.type	_ZN7rocprim17ROCPRIM_400000_NS6detail17trampoline_kernelINS0_14default_configENS1_35radix_sort_onesweep_config_selectorIslEEZZNS1_29radix_sort_onesweep_iterationIS3_Lb0EPsS7_N6thrust23THRUST_200600_302600_NS10device_ptrIlEESB_jNS0_19identity_decomposerENS1_16block_id_wrapperIjLb1EEEEE10hipError_tT1_PNSt15iterator_traitsISG_E10value_typeET2_T3_PNSH_ISM_E10value_typeET4_T5_PSR_SS_PNS1_23onesweep_lookback_stateEbbT6_jjT7_P12ihipStream_tbENKUlT_T0_SG_SL_E_clIS7_S7_SB_PlEEDaSZ_S10_SG_SL_EUlSZ_E_NS1_11comp_targetILNS1_3genE8ELNS1_11target_archE1030ELNS1_3gpuE2ELNS1_3repE0EEENS1_47radix_sort_onesweep_sort_config_static_selectorELNS0_4arch9wavefront6targetE1EEEvSG_,@function
_ZN7rocprim17ROCPRIM_400000_NS6detail17trampoline_kernelINS0_14default_configENS1_35radix_sort_onesweep_config_selectorIslEEZZNS1_29radix_sort_onesweep_iterationIS3_Lb0EPsS7_N6thrust23THRUST_200600_302600_NS10device_ptrIlEESB_jNS0_19identity_decomposerENS1_16block_id_wrapperIjLb1EEEEE10hipError_tT1_PNSt15iterator_traitsISG_E10value_typeET2_T3_PNSH_ISM_E10value_typeET4_T5_PSR_SS_PNS1_23onesweep_lookback_stateEbbT6_jjT7_P12ihipStream_tbENKUlT_T0_SG_SL_E_clIS7_S7_SB_PlEEDaSZ_S10_SG_SL_EUlSZ_E_NS1_11comp_targetILNS1_3genE8ELNS1_11target_archE1030ELNS1_3gpuE2ELNS1_3repE0EEENS1_47radix_sort_onesweep_sort_config_static_selectorELNS0_4arch9wavefront6targetE1EEEvSG_: ; @_ZN7rocprim17ROCPRIM_400000_NS6detail17trampoline_kernelINS0_14default_configENS1_35radix_sort_onesweep_config_selectorIslEEZZNS1_29radix_sort_onesweep_iterationIS3_Lb0EPsS7_N6thrust23THRUST_200600_302600_NS10device_ptrIlEESB_jNS0_19identity_decomposerENS1_16block_id_wrapperIjLb1EEEEE10hipError_tT1_PNSt15iterator_traitsISG_E10value_typeET2_T3_PNSH_ISM_E10value_typeET4_T5_PSR_SS_PNS1_23onesweep_lookback_stateEbbT6_jjT7_P12ihipStream_tbENKUlT_T0_SG_SL_E_clIS7_S7_SB_PlEEDaSZ_S10_SG_SL_EUlSZ_E_NS1_11comp_targetILNS1_3genE8ELNS1_11target_archE1030ELNS1_3gpuE2ELNS1_3repE0EEENS1_47radix_sort_onesweep_sort_config_static_selectorELNS0_4arch9wavefront6targetE1EEEvSG_
; %bb.0:
	.section	.rodata,"a",@progbits
	.p2align	6, 0x0
	.amdhsa_kernel _ZN7rocprim17ROCPRIM_400000_NS6detail17trampoline_kernelINS0_14default_configENS1_35radix_sort_onesweep_config_selectorIslEEZZNS1_29radix_sort_onesweep_iterationIS3_Lb0EPsS7_N6thrust23THRUST_200600_302600_NS10device_ptrIlEESB_jNS0_19identity_decomposerENS1_16block_id_wrapperIjLb1EEEEE10hipError_tT1_PNSt15iterator_traitsISG_E10value_typeET2_T3_PNSH_ISM_E10value_typeET4_T5_PSR_SS_PNS1_23onesweep_lookback_stateEbbT6_jjT7_P12ihipStream_tbENKUlT_T0_SG_SL_E_clIS7_S7_SB_PlEEDaSZ_S10_SG_SL_EUlSZ_E_NS1_11comp_targetILNS1_3genE8ELNS1_11target_archE1030ELNS1_3gpuE2ELNS1_3repE0EEENS1_47radix_sort_onesweep_sort_config_static_selectorELNS0_4arch9wavefront6targetE1EEEvSG_
		.amdhsa_group_segment_fixed_size 0
		.amdhsa_private_segment_fixed_size 0
		.amdhsa_kernarg_size 88
		.amdhsa_user_sgpr_count 6
		.amdhsa_user_sgpr_private_segment_buffer 1
		.amdhsa_user_sgpr_dispatch_ptr 0
		.amdhsa_user_sgpr_queue_ptr 0
		.amdhsa_user_sgpr_kernarg_segment_ptr 1
		.amdhsa_user_sgpr_dispatch_id 0
		.amdhsa_user_sgpr_flat_scratch_init 0
		.amdhsa_user_sgpr_private_segment_size 0
		.amdhsa_uses_dynamic_stack 0
		.amdhsa_system_sgpr_private_segment_wavefront_offset 0
		.amdhsa_system_sgpr_workgroup_id_x 1
		.amdhsa_system_sgpr_workgroup_id_y 0
		.amdhsa_system_sgpr_workgroup_id_z 0
		.amdhsa_system_sgpr_workgroup_info 0
		.amdhsa_system_vgpr_workitem_id 0
		.amdhsa_next_free_vgpr 1
		.amdhsa_next_free_sgpr 0
		.amdhsa_reserve_vcc 0
		.amdhsa_reserve_flat_scratch 0
		.amdhsa_float_round_mode_32 0
		.amdhsa_float_round_mode_16_64 0
		.amdhsa_float_denorm_mode_32 3
		.amdhsa_float_denorm_mode_16_64 3
		.amdhsa_dx10_clamp 1
		.amdhsa_ieee_mode 1
		.amdhsa_fp16_overflow 0
		.amdhsa_exception_fp_ieee_invalid_op 0
		.amdhsa_exception_fp_denorm_src 0
		.amdhsa_exception_fp_ieee_div_zero 0
		.amdhsa_exception_fp_ieee_overflow 0
		.amdhsa_exception_fp_ieee_underflow 0
		.amdhsa_exception_fp_ieee_inexact 0
		.amdhsa_exception_int_div_zero 0
	.end_amdhsa_kernel
	.section	.text._ZN7rocprim17ROCPRIM_400000_NS6detail17trampoline_kernelINS0_14default_configENS1_35radix_sort_onesweep_config_selectorIslEEZZNS1_29radix_sort_onesweep_iterationIS3_Lb0EPsS7_N6thrust23THRUST_200600_302600_NS10device_ptrIlEESB_jNS0_19identity_decomposerENS1_16block_id_wrapperIjLb1EEEEE10hipError_tT1_PNSt15iterator_traitsISG_E10value_typeET2_T3_PNSH_ISM_E10value_typeET4_T5_PSR_SS_PNS1_23onesweep_lookback_stateEbbT6_jjT7_P12ihipStream_tbENKUlT_T0_SG_SL_E_clIS7_S7_SB_PlEEDaSZ_S10_SG_SL_EUlSZ_E_NS1_11comp_targetILNS1_3genE8ELNS1_11target_archE1030ELNS1_3gpuE2ELNS1_3repE0EEENS1_47radix_sort_onesweep_sort_config_static_selectorELNS0_4arch9wavefront6targetE1EEEvSG_,"axG",@progbits,_ZN7rocprim17ROCPRIM_400000_NS6detail17trampoline_kernelINS0_14default_configENS1_35radix_sort_onesweep_config_selectorIslEEZZNS1_29radix_sort_onesweep_iterationIS3_Lb0EPsS7_N6thrust23THRUST_200600_302600_NS10device_ptrIlEESB_jNS0_19identity_decomposerENS1_16block_id_wrapperIjLb1EEEEE10hipError_tT1_PNSt15iterator_traitsISG_E10value_typeET2_T3_PNSH_ISM_E10value_typeET4_T5_PSR_SS_PNS1_23onesweep_lookback_stateEbbT6_jjT7_P12ihipStream_tbENKUlT_T0_SG_SL_E_clIS7_S7_SB_PlEEDaSZ_S10_SG_SL_EUlSZ_E_NS1_11comp_targetILNS1_3genE8ELNS1_11target_archE1030ELNS1_3gpuE2ELNS1_3repE0EEENS1_47radix_sort_onesweep_sort_config_static_selectorELNS0_4arch9wavefront6targetE1EEEvSG_,comdat
.Lfunc_end1415:
	.size	_ZN7rocprim17ROCPRIM_400000_NS6detail17trampoline_kernelINS0_14default_configENS1_35radix_sort_onesweep_config_selectorIslEEZZNS1_29radix_sort_onesweep_iterationIS3_Lb0EPsS7_N6thrust23THRUST_200600_302600_NS10device_ptrIlEESB_jNS0_19identity_decomposerENS1_16block_id_wrapperIjLb1EEEEE10hipError_tT1_PNSt15iterator_traitsISG_E10value_typeET2_T3_PNSH_ISM_E10value_typeET4_T5_PSR_SS_PNS1_23onesweep_lookback_stateEbbT6_jjT7_P12ihipStream_tbENKUlT_T0_SG_SL_E_clIS7_S7_SB_PlEEDaSZ_S10_SG_SL_EUlSZ_E_NS1_11comp_targetILNS1_3genE8ELNS1_11target_archE1030ELNS1_3gpuE2ELNS1_3repE0EEENS1_47radix_sort_onesweep_sort_config_static_selectorELNS0_4arch9wavefront6targetE1EEEvSG_, .Lfunc_end1415-_ZN7rocprim17ROCPRIM_400000_NS6detail17trampoline_kernelINS0_14default_configENS1_35radix_sort_onesweep_config_selectorIslEEZZNS1_29radix_sort_onesweep_iterationIS3_Lb0EPsS7_N6thrust23THRUST_200600_302600_NS10device_ptrIlEESB_jNS0_19identity_decomposerENS1_16block_id_wrapperIjLb1EEEEE10hipError_tT1_PNSt15iterator_traitsISG_E10value_typeET2_T3_PNSH_ISM_E10value_typeET4_T5_PSR_SS_PNS1_23onesweep_lookback_stateEbbT6_jjT7_P12ihipStream_tbENKUlT_T0_SG_SL_E_clIS7_S7_SB_PlEEDaSZ_S10_SG_SL_EUlSZ_E_NS1_11comp_targetILNS1_3genE8ELNS1_11target_archE1030ELNS1_3gpuE2ELNS1_3repE0EEENS1_47radix_sort_onesweep_sort_config_static_selectorELNS0_4arch9wavefront6targetE1EEEvSG_
                                        ; -- End function
	.set _ZN7rocprim17ROCPRIM_400000_NS6detail17trampoline_kernelINS0_14default_configENS1_35radix_sort_onesweep_config_selectorIslEEZZNS1_29radix_sort_onesweep_iterationIS3_Lb0EPsS7_N6thrust23THRUST_200600_302600_NS10device_ptrIlEESB_jNS0_19identity_decomposerENS1_16block_id_wrapperIjLb1EEEEE10hipError_tT1_PNSt15iterator_traitsISG_E10value_typeET2_T3_PNSH_ISM_E10value_typeET4_T5_PSR_SS_PNS1_23onesweep_lookback_stateEbbT6_jjT7_P12ihipStream_tbENKUlT_T0_SG_SL_E_clIS7_S7_SB_PlEEDaSZ_S10_SG_SL_EUlSZ_E_NS1_11comp_targetILNS1_3genE8ELNS1_11target_archE1030ELNS1_3gpuE2ELNS1_3repE0EEENS1_47radix_sort_onesweep_sort_config_static_selectorELNS0_4arch9wavefront6targetE1EEEvSG_.num_vgpr, 0
	.set _ZN7rocprim17ROCPRIM_400000_NS6detail17trampoline_kernelINS0_14default_configENS1_35radix_sort_onesweep_config_selectorIslEEZZNS1_29radix_sort_onesweep_iterationIS3_Lb0EPsS7_N6thrust23THRUST_200600_302600_NS10device_ptrIlEESB_jNS0_19identity_decomposerENS1_16block_id_wrapperIjLb1EEEEE10hipError_tT1_PNSt15iterator_traitsISG_E10value_typeET2_T3_PNSH_ISM_E10value_typeET4_T5_PSR_SS_PNS1_23onesweep_lookback_stateEbbT6_jjT7_P12ihipStream_tbENKUlT_T0_SG_SL_E_clIS7_S7_SB_PlEEDaSZ_S10_SG_SL_EUlSZ_E_NS1_11comp_targetILNS1_3genE8ELNS1_11target_archE1030ELNS1_3gpuE2ELNS1_3repE0EEENS1_47radix_sort_onesweep_sort_config_static_selectorELNS0_4arch9wavefront6targetE1EEEvSG_.num_agpr, 0
	.set _ZN7rocprim17ROCPRIM_400000_NS6detail17trampoline_kernelINS0_14default_configENS1_35radix_sort_onesweep_config_selectorIslEEZZNS1_29radix_sort_onesweep_iterationIS3_Lb0EPsS7_N6thrust23THRUST_200600_302600_NS10device_ptrIlEESB_jNS0_19identity_decomposerENS1_16block_id_wrapperIjLb1EEEEE10hipError_tT1_PNSt15iterator_traitsISG_E10value_typeET2_T3_PNSH_ISM_E10value_typeET4_T5_PSR_SS_PNS1_23onesweep_lookback_stateEbbT6_jjT7_P12ihipStream_tbENKUlT_T0_SG_SL_E_clIS7_S7_SB_PlEEDaSZ_S10_SG_SL_EUlSZ_E_NS1_11comp_targetILNS1_3genE8ELNS1_11target_archE1030ELNS1_3gpuE2ELNS1_3repE0EEENS1_47radix_sort_onesweep_sort_config_static_selectorELNS0_4arch9wavefront6targetE1EEEvSG_.numbered_sgpr, 0
	.set _ZN7rocprim17ROCPRIM_400000_NS6detail17trampoline_kernelINS0_14default_configENS1_35radix_sort_onesweep_config_selectorIslEEZZNS1_29radix_sort_onesweep_iterationIS3_Lb0EPsS7_N6thrust23THRUST_200600_302600_NS10device_ptrIlEESB_jNS0_19identity_decomposerENS1_16block_id_wrapperIjLb1EEEEE10hipError_tT1_PNSt15iterator_traitsISG_E10value_typeET2_T3_PNSH_ISM_E10value_typeET4_T5_PSR_SS_PNS1_23onesweep_lookback_stateEbbT6_jjT7_P12ihipStream_tbENKUlT_T0_SG_SL_E_clIS7_S7_SB_PlEEDaSZ_S10_SG_SL_EUlSZ_E_NS1_11comp_targetILNS1_3genE8ELNS1_11target_archE1030ELNS1_3gpuE2ELNS1_3repE0EEENS1_47radix_sort_onesweep_sort_config_static_selectorELNS0_4arch9wavefront6targetE1EEEvSG_.num_named_barrier, 0
	.set _ZN7rocprim17ROCPRIM_400000_NS6detail17trampoline_kernelINS0_14default_configENS1_35radix_sort_onesweep_config_selectorIslEEZZNS1_29radix_sort_onesweep_iterationIS3_Lb0EPsS7_N6thrust23THRUST_200600_302600_NS10device_ptrIlEESB_jNS0_19identity_decomposerENS1_16block_id_wrapperIjLb1EEEEE10hipError_tT1_PNSt15iterator_traitsISG_E10value_typeET2_T3_PNSH_ISM_E10value_typeET4_T5_PSR_SS_PNS1_23onesweep_lookback_stateEbbT6_jjT7_P12ihipStream_tbENKUlT_T0_SG_SL_E_clIS7_S7_SB_PlEEDaSZ_S10_SG_SL_EUlSZ_E_NS1_11comp_targetILNS1_3genE8ELNS1_11target_archE1030ELNS1_3gpuE2ELNS1_3repE0EEENS1_47radix_sort_onesweep_sort_config_static_selectorELNS0_4arch9wavefront6targetE1EEEvSG_.private_seg_size, 0
	.set _ZN7rocprim17ROCPRIM_400000_NS6detail17trampoline_kernelINS0_14default_configENS1_35radix_sort_onesweep_config_selectorIslEEZZNS1_29radix_sort_onesweep_iterationIS3_Lb0EPsS7_N6thrust23THRUST_200600_302600_NS10device_ptrIlEESB_jNS0_19identity_decomposerENS1_16block_id_wrapperIjLb1EEEEE10hipError_tT1_PNSt15iterator_traitsISG_E10value_typeET2_T3_PNSH_ISM_E10value_typeET4_T5_PSR_SS_PNS1_23onesweep_lookback_stateEbbT6_jjT7_P12ihipStream_tbENKUlT_T0_SG_SL_E_clIS7_S7_SB_PlEEDaSZ_S10_SG_SL_EUlSZ_E_NS1_11comp_targetILNS1_3genE8ELNS1_11target_archE1030ELNS1_3gpuE2ELNS1_3repE0EEENS1_47radix_sort_onesweep_sort_config_static_selectorELNS0_4arch9wavefront6targetE1EEEvSG_.uses_vcc, 0
	.set _ZN7rocprim17ROCPRIM_400000_NS6detail17trampoline_kernelINS0_14default_configENS1_35radix_sort_onesweep_config_selectorIslEEZZNS1_29radix_sort_onesweep_iterationIS3_Lb0EPsS7_N6thrust23THRUST_200600_302600_NS10device_ptrIlEESB_jNS0_19identity_decomposerENS1_16block_id_wrapperIjLb1EEEEE10hipError_tT1_PNSt15iterator_traitsISG_E10value_typeET2_T3_PNSH_ISM_E10value_typeET4_T5_PSR_SS_PNS1_23onesweep_lookback_stateEbbT6_jjT7_P12ihipStream_tbENKUlT_T0_SG_SL_E_clIS7_S7_SB_PlEEDaSZ_S10_SG_SL_EUlSZ_E_NS1_11comp_targetILNS1_3genE8ELNS1_11target_archE1030ELNS1_3gpuE2ELNS1_3repE0EEENS1_47radix_sort_onesweep_sort_config_static_selectorELNS0_4arch9wavefront6targetE1EEEvSG_.uses_flat_scratch, 0
	.set _ZN7rocprim17ROCPRIM_400000_NS6detail17trampoline_kernelINS0_14default_configENS1_35radix_sort_onesweep_config_selectorIslEEZZNS1_29radix_sort_onesweep_iterationIS3_Lb0EPsS7_N6thrust23THRUST_200600_302600_NS10device_ptrIlEESB_jNS0_19identity_decomposerENS1_16block_id_wrapperIjLb1EEEEE10hipError_tT1_PNSt15iterator_traitsISG_E10value_typeET2_T3_PNSH_ISM_E10value_typeET4_T5_PSR_SS_PNS1_23onesweep_lookback_stateEbbT6_jjT7_P12ihipStream_tbENKUlT_T0_SG_SL_E_clIS7_S7_SB_PlEEDaSZ_S10_SG_SL_EUlSZ_E_NS1_11comp_targetILNS1_3genE8ELNS1_11target_archE1030ELNS1_3gpuE2ELNS1_3repE0EEENS1_47radix_sort_onesweep_sort_config_static_selectorELNS0_4arch9wavefront6targetE1EEEvSG_.has_dyn_sized_stack, 0
	.set _ZN7rocprim17ROCPRIM_400000_NS6detail17trampoline_kernelINS0_14default_configENS1_35radix_sort_onesweep_config_selectorIslEEZZNS1_29radix_sort_onesweep_iterationIS3_Lb0EPsS7_N6thrust23THRUST_200600_302600_NS10device_ptrIlEESB_jNS0_19identity_decomposerENS1_16block_id_wrapperIjLb1EEEEE10hipError_tT1_PNSt15iterator_traitsISG_E10value_typeET2_T3_PNSH_ISM_E10value_typeET4_T5_PSR_SS_PNS1_23onesweep_lookback_stateEbbT6_jjT7_P12ihipStream_tbENKUlT_T0_SG_SL_E_clIS7_S7_SB_PlEEDaSZ_S10_SG_SL_EUlSZ_E_NS1_11comp_targetILNS1_3genE8ELNS1_11target_archE1030ELNS1_3gpuE2ELNS1_3repE0EEENS1_47radix_sort_onesweep_sort_config_static_selectorELNS0_4arch9wavefront6targetE1EEEvSG_.has_recursion, 0
	.set _ZN7rocprim17ROCPRIM_400000_NS6detail17trampoline_kernelINS0_14default_configENS1_35radix_sort_onesweep_config_selectorIslEEZZNS1_29radix_sort_onesweep_iterationIS3_Lb0EPsS7_N6thrust23THRUST_200600_302600_NS10device_ptrIlEESB_jNS0_19identity_decomposerENS1_16block_id_wrapperIjLb1EEEEE10hipError_tT1_PNSt15iterator_traitsISG_E10value_typeET2_T3_PNSH_ISM_E10value_typeET4_T5_PSR_SS_PNS1_23onesweep_lookback_stateEbbT6_jjT7_P12ihipStream_tbENKUlT_T0_SG_SL_E_clIS7_S7_SB_PlEEDaSZ_S10_SG_SL_EUlSZ_E_NS1_11comp_targetILNS1_3genE8ELNS1_11target_archE1030ELNS1_3gpuE2ELNS1_3repE0EEENS1_47radix_sort_onesweep_sort_config_static_selectorELNS0_4arch9wavefront6targetE1EEEvSG_.has_indirect_call, 0
	.section	.AMDGPU.csdata,"",@progbits
; Kernel info:
; codeLenInByte = 0
; TotalNumSgprs: 4
; NumVgprs: 0
; ScratchSize: 0
; MemoryBound: 0
; FloatMode: 240
; IeeeMode: 1
; LDSByteSize: 0 bytes/workgroup (compile time only)
; SGPRBlocks: 0
; VGPRBlocks: 0
; NumSGPRsForWavesPerEU: 4
; NumVGPRsForWavesPerEU: 1
; Occupancy: 10
; WaveLimiterHint : 0
; COMPUTE_PGM_RSRC2:SCRATCH_EN: 0
; COMPUTE_PGM_RSRC2:USER_SGPR: 6
; COMPUTE_PGM_RSRC2:TRAP_HANDLER: 0
; COMPUTE_PGM_RSRC2:TGID_X_EN: 1
; COMPUTE_PGM_RSRC2:TGID_Y_EN: 0
; COMPUTE_PGM_RSRC2:TGID_Z_EN: 0
; COMPUTE_PGM_RSRC2:TIDIG_COMP_CNT: 0
	.section	.text._ZN7rocprim17ROCPRIM_400000_NS6detail17trampoline_kernelINS0_14default_configENS1_35radix_sort_onesweep_config_selectorIslEEZZNS1_29radix_sort_onesweep_iterationIS3_Lb0EPsS7_N6thrust23THRUST_200600_302600_NS10device_ptrIlEESB_jNS0_19identity_decomposerENS1_16block_id_wrapperIjLb1EEEEE10hipError_tT1_PNSt15iterator_traitsISG_E10value_typeET2_T3_PNSH_ISM_E10value_typeET4_T5_PSR_SS_PNS1_23onesweep_lookback_stateEbbT6_jjT7_P12ihipStream_tbENKUlT_T0_SG_SL_E_clIS7_S7_PlSB_EEDaSZ_S10_SG_SL_EUlSZ_E_NS1_11comp_targetILNS1_3genE0ELNS1_11target_archE4294967295ELNS1_3gpuE0ELNS1_3repE0EEENS1_47radix_sort_onesweep_sort_config_static_selectorELNS0_4arch9wavefront6targetE1EEEvSG_,"axG",@progbits,_ZN7rocprim17ROCPRIM_400000_NS6detail17trampoline_kernelINS0_14default_configENS1_35radix_sort_onesweep_config_selectorIslEEZZNS1_29radix_sort_onesweep_iterationIS3_Lb0EPsS7_N6thrust23THRUST_200600_302600_NS10device_ptrIlEESB_jNS0_19identity_decomposerENS1_16block_id_wrapperIjLb1EEEEE10hipError_tT1_PNSt15iterator_traitsISG_E10value_typeET2_T3_PNSH_ISM_E10value_typeET4_T5_PSR_SS_PNS1_23onesweep_lookback_stateEbbT6_jjT7_P12ihipStream_tbENKUlT_T0_SG_SL_E_clIS7_S7_PlSB_EEDaSZ_S10_SG_SL_EUlSZ_E_NS1_11comp_targetILNS1_3genE0ELNS1_11target_archE4294967295ELNS1_3gpuE0ELNS1_3repE0EEENS1_47radix_sort_onesweep_sort_config_static_selectorELNS0_4arch9wavefront6targetE1EEEvSG_,comdat
	.protected	_ZN7rocprim17ROCPRIM_400000_NS6detail17trampoline_kernelINS0_14default_configENS1_35radix_sort_onesweep_config_selectorIslEEZZNS1_29radix_sort_onesweep_iterationIS3_Lb0EPsS7_N6thrust23THRUST_200600_302600_NS10device_ptrIlEESB_jNS0_19identity_decomposerENS1_16block_id_wrapperIjLb1EEEEE10hipError_tT1_PNSt15iterator_traitsISG_E10value_typeET2_T3_PNSH_ISM_E10value_typeET4_T5_PSR_SS_PNS1_23onesweep_lookback_stateEbbT6_jjT7_P12ihipStream_tbENKUlT_T0_SG_SL_E_clIS7_S7_PlSB_EEDaSZ_S10_SG_SL_EUlSZ_E_NS1_11comp_targetILNS1_3genE0ELNS1_11target_archE4294967295ELNS1_3gpuE0ELNS1_3repE0EEENS1_47radix_sort_onesweep_sort_config_static_selectorELNS0_4arch9wavefront6targetE1EEEvSG_ ; -- Begin function _ZN7rocprim17ROCPRIM_400000_NS6detail17trampoline_kernelINS0_14default_configENS1_35radix_sort_onesweep_config_selectorIslEEZZNS1_29radix_sort_onesweep_iterationIS3_Lb0EPsS7_N6thrust23THRUST_200600_302600_NS10device_ptrIlEESB_jNS0_19identity_decomposerENS1_16block_id_wrapperIjLb1EEEEE10hipError_tT1_PNSt15iterator_traitsISG_E10value_typeET2_T3_PNSH_ISM_E10value_typeET4_T5_PSR_SS_PNS1_23onesweep_lookback_stateEbbT6_jjT7_P12ihipStream_tbENKUlT_T0_SG_SL_E_clIS7_S7_PlSB_EEDaSZ_S10_SG_SL_EUlSZ_E_NS1_11comp_targetILNS1_3genE0ELNS1_11target_archE4294967295ELNS1_3gpuE0ELNS1_3repE0EEENS1_47radix_sort_onesweep_sort_config_static_selectorELNS0_4arch9wavefront6targetE1EEEvSG_
	.globl	_ZN7rocprim17ROCPRIM_400000_NS6detail17trampoline_kernelINS0_14default_configENS1_35radix_sort_onesweep_config_selectorIslEEZZNS1_29radix_sort_onesweep_iterationIS3_Lb0EPsS7_N6thrust23THRUST_200600_302600_NS10device_ptrIlEESB_jNS0_19identity_decomposerENS1_16block_id_wrapperIjLb1EEEEE10hipError_tT1_PNSt15iterator_traitsISG_E10value_typeET2_T3_PNSH_ISM_E10value_typeET4_T5_PSR_SS_PNS1_23onesweep_lookback_stateEbbT6_jjT7_P12ihipStream_tbENKUlT_T0_SG_SL_E_clIS7_S7_PlSB_EEDaSZ_S10_SG_SL_EUlSZ_E_NS1_11comp_targetILNS1_3genE0ELNS1_11target_archE4294967295ELNS1_3gpuE0ELNS1_3repE0EEENS1_47radix_sort_onesweep_sort_config_static_selectorELNS0_4arch9wavefront6targetE1EEEvSG_
	.p2align	8
	.type	_ZN7rocprim17ROCPRIM_400000_NS6detail17trampoline_kernelINS0_14default_configENS1_35radix_sort_onesweep_config_selectorIslEEZZNS1_29radix_sort_onesweep_iterationIS3_Lb0EPsS7_N6thrust23THRUST_200600_302600_NS10device_ptrIlEESB_jNS0_19identity_decomposerENS1_16block_id_wrapperIjLb1EEEEE10hipError_tT1_PNSt15iterator_traitsISG_E10value_typeET2_T3_PNSH_ISM_E10value_typeET4_T5_PSR_SS_PNS1_23onesweep_lookback_stateEbbT6_jjT7_P12ihipStream_tbENKUlT_T0_SG_SL_E_clIS7_S7_PlSB_EEDaSZ_S10_SG_SL_EUlSZ_E_NS1_11comp_targetILNS1_3genE0ELNS1_11target_archE4294967295ELNS1_3gpuE0ELNS1_3repE0EEENS1_47radix_sort_onesweep_sort_config_static_selectorELNS0_4arch9wavefront6targetE1EEEvSG_,@function
_ZN7rocprim17ROCPRIM_400000_NS6detail17trampoline_kernelINS0_14default_configENS1_35radix_sort_onesweep_config_selectorIslEEZZNS1_29radix_sort_onesweep_iterationIS3_Lb0EPsS7_N6thrust23THRUST_200600_302600_NS10device_ptrIlEESB_jNS0_19identity_decomposerENS1_16block_id_wrapperIjLb1EEEEE10hipError_tT1_PNSt15iterator_traitsISG_E10value_typeET2_T3_PNSH_ISM_E10value_typeET4_T5_PSR_SS_PNS1_23onesweep_lookback_stateEbbT6_jjT7_P12ihipStream_tbENKUlT_T0_SG_SL_E_clIS7_S7_PlSB_EEDaSZ_S10_SG_SL_EUlSZ_E_NS1_11comp_targetILNS1_3genE0ELNS1_11target_archE4294967295ELNS1_3gpuE0ELNS1_3repE0EEENS1_47radix_sort_onesweep_sort_config_static_selectorELNS0_4arch9wavefront6targetE1EEEvSG_: ; @_ZN7rocprim17ROCPRIM_400000_NS6detail17trampoline_kernelINS0_14default_configENS1_35radix_sort_onesweep_config_selectorIslEEZZNS1_29radix_sort_onesweep_iterationIS3_Lb0EPsS7_N6thrust23THRUST_200600_302600_NS10device_ptrIlEESB_jNS0_19identity_decomposerENS1_16block_id_wrapperIjLb1EEEEE10hipError_tT1_PNSt15iterator_traitsISG_E10value_typeET2_T3_PNSH_ISM_E10value_typeET4_T5_PSR_SS_PNS1_23onesweep_lookback_stateEbbT6_jjT7_P12ihipStream_tbENKUlT_T0_SG_SL_E_clIS7_S7_PlSB_EEDaSZ_S10_SG_SL_EUlSZ_E_NS1_11comp_targetILNS1_3genE0ELNS1_11target_archE4294967295ELNS1_3gpuE0ELNS1_3repE0EEENS1_47radix_sort_onesweep_sort_config_static_selectorELNS0_4arch9wavefront6targetE1EEEvSG_
; %bb.0:
	.section	.rodata,"a",@progbits
	.p2align	6, 0x0
	.amdhsa_kernel _ZN7rocprim17ROCPRIM_400000_NS6detail17trampoline_kernelINS0_14default_configENS1_35radix_sort_onesweep_config_selectorIslEEZZNS1_29radix_sort_onesweep_iterationIS3_Lb0EPsS7_N6thrust23THRUST_200600_302600_NS10device_ptrIlEESB_jNS0_19identity_decomposerENS1_16block_id_wrapperIjLb1EEEEE10hipError_tT1_PNSt15iterator_traitsISG_E10value_typeET2_T3_PNSH_ISM_E10value_typeET4_T5_PSR_SS_PNS1_23onesweep_lookback_stateEbbT6_jjT7_P12ihipStream_tbENKUlT_T0_SG_SL_E_clIS7_S7_PlSB_EEDaSZ_S10_SG_SL_EUlSZ_E_NS1_11comp_targetILNS1_3genE0ELNS1_11target_archE4294967295ELNS1_3gpuE0ELNS1_3repE0EEENS1_47radix_sort_onesweep_sort_config_static_selectorELNS0_4arch9wavefront6targetE1EEEvSG_
		.amdhsa_group_segment_fixed_size 0
		.amdhsa_private_segment_fixed_size 0
		.amdhsa_kernarg_size 88
		.amdhsa_user_sgpr_count 6
		.amdhsa_user_sgpr_private_segment_buffer 1
		.amdhsa_user_sgpr_dispatch_ptr 0
		.amdhsa_user_sgpr_queue_ptr 0
		.amdhsa_user_sgpr_kernarg_segment_ptr 1
		.amdhsa_user_sgpr_dispatch_id 0
		.amdhsa_user_sgpr_flat_scratch_init 0
		.amdhsa_user_sgpr_private_segment_size 0
		.amdhsa_uses_dynamic_stack 0
		.amdhsa_system_sgpr_private_segment_wavefront_offset 0
		.amdhsa_system_sgpr_workgroup_id_x 1
		.amdhsa_system_sgpr_workgroup_id_y 0
		.amdhsa_system_sgpr_workgroup_id_z 0
		.amdhsa_system_sgpr_workgroup_info 0
		.amdhsa_system_vgpr_workitem_id 0
		.amdhsa_next_free_vgpr 1
		.amdhsa_next_free_sgpr 0
		.amdhsa_reserve_vcc 0
		.amdhsa_reserve_flat_scratch 0
		.amdhsa_float_round_mode_32 0
		.amdhsa_float_round_mode_16_64 0
		.amdhsa_float_denorm_mode_32 3
		.amdhsa_float_denorm_mode_16_64 3
		.amdhsa_dx10_clamp 1
		.amdhsa_ieee_mode 1
		.amdhsa_fp16_overflow 0
		.amdhsa_exception_fp_ieee_invalid_op 0
		.amdhsa_exception_fp_denorm_src 0
		.amdhsa_exception_fp_ieee_div_zero 0
		.amdhsa_exception_fp_ieee_overflow 0
		.amdhsa_exception_fp_ieee_underflow 0
		.amdhsa_exception_fp_ieee_inexact 0
		.amdhsa_exception_int_div_zero 0
	.end_amdhsa_kernel
	.section	.text._ZN7rocprim17ROCPRIM_400000_NS6detail17trampoline_kernelINS0_14default_configENS1_35radix_sort_onesweep_config_selectorIslEEZZNS1_29radix_sort_onesweep_iterationIS3_Lb0EPsS7_N6thrust23THRUST_200600_302600_NS10device_ptrIlEESB_jNS0_19identity_decomposerENS1_16block_id_wrapperIjLb1EEEEE10hipError_tT1_PNSt15iterator_traitsISG_E10value_typeET2_T3_PNSH_ISM_E10value_typeET4_T5_PSR_SS_PNS1_23onesweep_lookback_stateEbbT6_jjT7_P12ihipStream_tbENKUlT_T0_SG_SL_E_clIS7_S7_PlSB_EEDaSZ_S10_SG_SL_EUlSZ_E_NS1_11comp_targetILNS1_3genE0ELNS1_11target_archE4294967295ELNS1_3gpuE0ELNS1_3repE0EEENS1_47radix_sort_onesweep_sort_config_static_selectorELNS0_4arch9wavefront6targetE1EEEvSG_,"axG",@progbits,_ZN7rocprim17ROCPRIM_400000_NS6detail17trampoline_kernelINS0_14default_configENS1_35radix_sort_onesweep_config_selectorIslEEZZNS1_29radix_sort_onesweep_iterationIS3_Lb0EPsS7_N6thrust23THRUST_200600_302600_NS10device_ptrIlEESB_jNS0_19identity_decomposerENS1_16block_id_wrapperIjLb1EEEEE10hipError_tT1_PNSt15iterator_traitsISG_E10value_typeET2_T3_PNSH_ISM_E10value_typeET4_T5_PSR_SS_PNS1_23onesweep_lookback_stateEbbT6_jjT7_P12ihipStream_tbENKUlT_T0_SG_SL_E_clIS7_S7_PlSB_EEDaSZ_S10_SG_SL_EUlSZ_E_NS1_11comp_targetILNS1_3genE0ELNS1_11target_archE4294967295ELNS1_3gpuE0ELNS1_3repE0EEENS1_47radix_sort_onesweep_sort_config_static_selectorELNS0_4arch9wavefront6targetE1EEEvSG_,comdat
.Lfunc_end1416:
	.size	_ZN7rocprim17ROCPRIM_400000_NS6detail17trampoline_kernelINS0_14default_configENS1_35radix_sort_onesweep_config_selectorIslEEZZNS1_29radix_sort_onesweep_iterationIS3_Lb0EPsS7_N6thrust23THRUST_200600_302600_NS10device_ptrIlEESB_jNS0_19identity_decomposerENS1_16block_id_wrapperIjLb1EEEEE10hipError_tT1_PNSt15iterator_traitsISG_E10value_typeET2_T3_PNSH_ISM_E10value_typeET4_T5_PSR_SS_PNS1_23onesweep_lookback_stateEbbT6_jjT7_P12ihipStream_tbENKUlT_T0_SG_SL_E_clIS7_S7_PlSB_EEDaSZ_S10_SG_SL_EUlSZ_E_NS1_11comp_targetILNS1_3genE0ELNS1_11target_archE4294967295ELNS1_3gpuE0ELNS1_3repE0EEENS1_47radix_sort_onesweep_sort_config_static_selectorELNS0_4arch9wavefront6targetE1EEEvSG_, .Lfunc_end1416-_ZN7rocprim17ROCPRIM_400000_NS6detail17trampoline_kernelINS0_14default_configENS1_35radix_sort_onesweep_config_selectorIslEEZZNS1_29radix_sort_onesweep_iterationIS3_Lb0EPsS7_N6thrust23THRUST_200600_302600_NS10device_ptrIlEESB_jNS0_19identity_decomposerENS1_16block_id_wrapperIjLb1EEEEE10hipError_tT1_PNSt15iterator_traitsISG_E10value_typeET2_T3_PNSH_ISM_E10value_typeET4_T5_PSR_SS_PNS1_23onesweep_lookback_stateEbbT6_jjT7_P12ihipStream_tbENKUlT_T0_SG_SL_E_clIS7_S7_PlSB_EEDaSZ_S10_SG_SL_EUlSZ_E_NS1_11comp_targetILNS1_3genE0ELNS1_11target_archE4294967295ELNS1_3gpuE0ELNS1_3repE0EEENS1_47radix_sort_onesweep_sort_config_static_selectorELNS0_4arch9wavefront6targetE1EEEvSG_
                                        ; -- End function
	.set _ZN7rocprim17ROCPRIM_400000_NS6detail17trampoline_kernelINS0_14default_configENS1_35radix_sort_onesweep_config_selectorIslEEZZNS1_29radix_sort_onesweep_iterationIS3_Lb0EPsS7_N6thrust23THRUST_200600_302600_NS10device_ptrIlEESB_jNS0_19identity_decomposerENS1_16block_id_wrapperIjLb1EEEEE10hipError_tT1_PNSt15iterator_traitsISG_E10value_typeET2_T3_PNSH_ISM_E10value_typeET4_T5_PSR_SS_PNS1_23onesweep_lookback_stateEbbT6_jjT7_P12ihipStream_tbENKUlT_T0_SG_SL_E_clIS7_S7_PlSB_EEDaSZ_S10_SG_SL_EUlSZ_E_NS1_11comp_targetILNS1_3genE0ELNS1_11target_archE4294967295ELNS1_3gpuE0ELNS1_3repE0EEENS1_47radix_sort_onesweep_sort_config_static_selectorELNS0_4arch9wavefront6targetE1EEEvSG_.num_vgpr, 0
	.set _ZN7rocprim17ROCPRIM_400000_NS6detail17trampoline_kernelINS0_14default_configENS1_35radix_sort_onesweep_config_selectorIslEEZZNS1_29radix_sort_onesweep_iterationIS3_Lb0EPsS7_N6thrust23THRUST_200600_302600_NS10device_ptrIlEESB_jNS0_19identity_decomposerENS1_16block_id_wrapperIjLb1EEEEE10hipError_tT1_PNSt15iterator_traitsISG_E10value_typeET2_T3_PNSH_ISM_E10value_typeET4_T5_PSR_SS_PNS1_23onesweep_lookback_stateEbbT6_jjT7_P12ihipStream_tbENKUlT_T0_SG_SL_E_clIS7_S7_PlSB_EEDaSZ_S10_SG_SL_EUlSZ_E_NS1_11comp_targetILNS1_3genE0ELNS1_11target_archE4294967295ELNS1_3gpuE0ELNS1_3repE0EEENS1_47radix_sort_onesweep_sort_config_static_selectorELNS0_4arch9wavefront6targetE1EEEvSG_.num_agpr, 0
	.set _ZN7rocprim17ROCPRIM_400000_NS6detail17trampoline_kernelINS0_14default_configENS1_35radix_sort_onesweep_config_selectorIslEEZZNS1_29radix_sort_onesweep_iterationIS3_Lb0EPsS7_N6thrust23THRUST_200600_302600_NS10device_ptrIlEESB_jNS0_19identity_decomposerENS1_16block_id_wrapperIjLb1EEEEE10hipError_tT1_PNSt15iterator_traitsISG_E10value_typeET2_T3_PNSH_ISM_E10value_typeET4_T5_PSR_SS_PNS1_23onesweep_lookback_stateEbbT6_jjT7_P12ihipStream_tbENKUlT_T0_SG_SL_E_clIS7_S7_PlSB_EEDaSZ_S10_SG_SL_EUlSZ_E_NS1_11comp_targetILNS1_3genE0ELNS1_11target_archE4294967295ELNS1_3gpuE0ELNS1_3repE0EEENS1_47radix_sort_onesweep_sort_config_static_selectorELNS0_4arch9wavefront6targetE1EEEvSG_.numbered_sgpr, 0
	.set _ZN7rocprim17ROCPRIM_400000_NS6detail17trampoline_kernelINS0_14default_configENS1_35radix_sort_onesweep_config_selectorIslEEZZNS1_29radix_sort_onesweep_iterationIS3_Lb0EPsS7_N6thrust23THRUST_200600_302600_NS10device_ptrIlEESB_jNS0_19identity_decomposerENS1_16block_id_wrapperIjLb1EEEEE10hipError_tT1_PNSt15iterator_traitsISG_E10value_typeET2_T3_PNSH_ISM_E10value_typeET4_T5_PSR_SS_PNS1_23onesweep_lookback_stateEbbT6_jjT7_P12ihipStream_tbENKUlT_T0_SG_SL_E_clIS7_S7_PlSB_EEDaSZ_S10_SG_SL_EUlSZ_E_NS1_11comp_targetILNS1_3genE0ELNS1_11target_archE4294967295ELNS1_3gpuE0ELNS1_3repE0EEENS1_47radix_sort_onesweep_sort_config_static_selectorELNS0_4arch9wavefront6targetE1EEEvSG_.num_named_barrier, 0
	.set _ZN7rocprim17ROCPRIM_400000_NS6detail17trampoline_kernelINS0_14default_configENS1_35radix_sort_onesweep_config_selectorIslEEZZNS1_29radix_sort_onesweep_iterationIS3_Lb0EPsS7_N6thrust23THRUST_200600_302600_NS10device_ptrIlEESB_jNS0_19identity_decomposerENS1_16block_id_wrapperIjLb1EEEEE10hipError_tT1_PNSt15iterator_traitsISG_E10value_typeET2_T3_PNSH_ISM_E10value_typeET4_T5_PSR_SS_PNS1_23onesweep_lookback_stateEbbT6_jjT7_P12ihipStream_tbENKUlT_T0_SG_SL_E_clIS7_S7_PlSB_EEDaSZ_S10_SG_SL_EUlSZ_E_NS1_11comp_targetILNS1_3genE0ELNS1_11target_archE4294967295ELNS1_3gpuE0ELNS1_3repE0EEENS1_47radix_sort_onesweep_sort_config_static_selectorELNS0_4arch9wavefront6targetE1EEEvSG_.private_seg_size, 0
	.set _ZN7rocprim17ROCPRIM_400000_NS6detail17trampoline_kernelINS0_14default_configENS1_35radix_sort_onesweep_config_selectorIslEEZZNS1_29radix_sort_onesweep_iterationIS3_Lb0EPsS7_N6thrust23THRUST_200600_302600_NS10device_ptrIlEESB_jNS0_19identity_decomposerENS1_16block_id_wrapperIjLb1EEEEE10hipError_tT1_PNSt15iterator_traitsISG_E10value_typeET2_T3_PNSH_ISM_E10value_typeET4_T5_PSR_SS_PNS1_23onesweep_lookback_stateEbbT6_jjT7_P12ihipStream_tbENKUlT_T0_SG_SL_E_clIS7_S7_PlSB_EEDaSZ_S10_SG_SL_EUlSZ_E_NS1_11comp_targetILNS1_3genE0ELNS1_11target_archE4294967295ELNS1_3gpuE0ELNS1_3repE0EEENS1_47radix_sort_onesweep_sort_config_static_selectorELNS0_4arch9wavefront6targetE1EEEvSG_.uses_vcc, 0
	.set _ZN7rocprim17ROCPRIM_400000_NS6detail17trampoline_kernelINS0_14default_configENS1_35radix_sort_onesweep_config_selectorIslEEZZNS1_29radix_sort_onesweep_iterationIS3_Lb0EPsS7_N6thrust23THRUST_200600_302600_NS10device_ptrIlEESB_jNS0_19identity_decomposerENS1_16block_id_wrapperIjLb1EEEEE10hipError_tT1_PNSt15iterator_traitsISG_E10value_typeET2_T3_PNSH_ISM_E10value_typeET4_T5_PSR_SS_PNS1_23onesweep_lookback_stateEbbT6_jjT7_P12ihipStream_tbENKUlT_T0_SG_SL_E_clIS7_S7_PlSB_EEDaSZ_S10_SG_SL_EUlSZ_E_NS1_11comp_targetILNS1_3genE0ELNS1_11target_archE4294967295ELNS1_3gpuE0ELNS1_3repE0EEENS1_47radix_sort_onesweep_sort_config_static_selectorELNS0_4arch9wavefront6targetE1EEEvSG_.uses_flat_scratch, 0
	.set _ZN7rocprim17ROCPRIM_400000_NS6detail17trampoline_kernelINS0_14default_configENS1_35radix_sort_onesweep_config_selectorIslEEZZNS1_29radix_sort_onesweep_iterationIS3_Lb0EPsS7_N6thrust23THRUST_200600_302600_NS10device_ptrIlEESB_jNS0_19identity_decomposerENS1_16block_id_wrapperIjLb1EEEEE10hipError_tT1_PNSt15iterator_traitsISG_E10value_typeET2_T3_PNSH_ISM_E10value_typeET4_T5_PSR_SS_PNS1_23onesweep_lookback_stateEbbT6_jjT7_P12ihipStream_tbENKUlT_T0_SG_SL_E_clIS7_S7_PlSB_EEDaSZ_S10_SG_SL_EUlSZ_E_NS1_11comp_targetILNS1_3genE0ELNS1_11target_archE4294967295ELNS1_3gpuE0ELNS1_3repE0EEENS1_47radix_sort_onesweep_sort_config_static_selectorELNS0_4arch9wavefront6targetE1EEEvSG_.has_dyn_sized_stack, 0
	.set _ZN7rocprim17ROCPRIM_400000_NS6detail17trampoline_kernelINS0_14default_configENS1_35radix_sort_onesweep_config_selectorIslEEZZNS1_29radix_sort_onesweep_iterationIS3_Lb0EPsS7_N6thrust23THRUST_200600_302600_NS10device_ptrIlEESB_jNS0_19identity_decomposerENS1_16block_id_wrapperIjLb1EEEEE10hipError_tT1_PNSt15iterator_traitsISG_E10value_typeET2_T3_PNSH_ISM_E10value_typeET4_T5_PSR_SS_PNS1_23onesweep_lookback_stateEbbT6_jjT7_P12ihipStream_tbENKUlT_T0_SG_SL_E_clIS7_S7_PlSB_EEDaSZ_S10_SG_SL_EUlSZ_E_NS1_11comp_targetILNS1_3genE0ELNS1_11target_archE4294967295ELNS1_3gpuE0ELNS1_3repE0EEENS1_47radix_sort_onesweep_sort_config_static_selectorELNS0_4arch9wavefront6targetE1EEEvSG_.has_recursion, 0
	.set _ZN7rocprim17ROCPRIM_400000_NS6detail17trampoline_kernelINS0_14default_configENS1_35radix_sort_onesweep_config_selectorIslEEZZNS1_29radix_sort_onesweep_iterationIS3_Lb0EPsS7_N6thrust23THRUST_200600_302600_NS10device_ptrIlEESB_jNS0_19identity_decomposerENS1_16block_id_wrapperIjLb1EEEEE10hipError_tT1_PNSt15iterator_traitsISG_E10value_typeET2_T3_PNSH_ISM_E10value_typeET4_T5_PSR_SS_PNS1_23onesweep_lookback_stateEbbT6_jjT7_P12ihipStream_tbENKUlT_T0_SG_SL_E_clIS7_S7_PlSB_EEDaSZ_S10_SG_SL_EUlSZ_E_NS1_11comp_targetILNS1_3genE0ELNS1_11target_archE4294967295ELNS1_3gpuE0ELNS1_3repE0EEENS1_47radix_sort_onesweep_sort_config_static_selectorELNS0_4arch9wavefront6targetE1EEEvSG_.has_indirect_call, 0
	.section	.AMDGPU.csdata,"",@progbits
; Kernel info:
; codeLenInByte = 0
; TotalNumSgprs: 4
; NumVgprs: 0
; ScratchSize: 0
; MemoryBound: 0
; FloatMode: 240
; IeeeMode: 1
; LDSByteSize: 0 bytes/workgroup (compile time only)
; SGPRBlocks: 0
; VGPRBlocks: 0
; NumSGPRsForWavesPerEU: 4
; NumVGPRsForWavesPerEU: 1
; Occupancy: 10
; WaveLimiterHint : 0
; COMPUTE_PGM_RSRC2:SCRATCH_EN: 0
; COMPUTE_PGM_RSRC2:USER_SGPR: 6
; COMPUTE_PGM_RSRC2:TRAP_HANDLER: 0
; COMPUTE_PGM_RSRC2:TGID_X_EN: 1
; COMPUTE_PGM_RSRC2:TGID_Y_EN: 0
; COMPUTE_PGM_RSRC2:TGID_Z_EN: 0
; COMPUTE_PGM_RSRC2:TIDIG_COMP_CNT: 0
	.section	.text._ZN7rocprim17ROCPRIM_400000_NS6detail17trampoline_kernelINS0_14default_configENS1_35radix_sort_onesweep_config_selectorIslEEZZNS1_29radix_sort_onesweep_iterationIS3_Lb0EPsS7_N6thrust23THRUST_200600_302600_NS10device_ptrIlEESB_jNS0_19identity_decomposerENS1_16block_id_wrapperIjLb1EEEEE10hipError_tT1_PNSt15iterator_traitsISG_E10value_typeET2_T3_PNSH_ISM_E10value_typeET4_T5_PSR_SS_PNS1_23onesweep_lookback_stateEbbT6_jjT7_P12ihipStream_tbENKUlT_T0_SG_SL_E_clIS7_S7_PlSB_EEDaSZ_S10_SG_SL_EUlSZ_E_NS1_11comp_targetILNS1_3genE6ELNS1_11target_archE950ELNS1_3gpuE13ELNS1_3repE0EEENS1_47radix_sort_onesweep_sort_config_static_selectorELNS0_4arch9wavefront6targetE1EEEvSG_,"axG",@progbits,_ZN7rocprim17ROCPRIM_400000_NS6detail17trampoline_kernelINS0_14default_configENS1_35radix_sort_onesweep_config_selectorIslEEZZNS1_29radix_sort_onesweep_iterationIS3_Lb0EPsS7_N6thrust23THRUST_200600_302600_NS10device_ptrIlEESB_jNS0_19identity_decomposerENS1_16block_id_wrapperIjLb1EEEEE10hipError_tT1_PNSt15iterator_traitsISG_E10value_typeET2_T3_PNSH_ISM_E10value_typeET4_T5_PSR_SS_PNS1_23onesweep_lookback_stateEbbT6_jjT7_P12ihipStream_tbENKUlT_T0_SG_SL_E_clIS7_S7_PlSB_EEDaSZ_S10_SG_SL_EUlSZ_E_NS1_11comp_targetILNS1_3genE6ELNS1_11target_archE950ELNS1_3gpuE13ELNS1_3repE0EEENS1_47radix_sort_onesweep_sort_config_static_selectorELNS0_4arch9wavefront6targetE1EEEvSG_,comdat
	.protected	_ZN7rocprim17ROCPRIM_400000_NS6detail17trampoline_kernelINS0_14default_configENS1_35radix_sort_onesweep_config_selectorIslEEZZNS1_29radix_sort_onesweep_iterationIS3_Lb0EPsS7_N6thrust23THRUST_200600_302600_NS10device_ptrIlEESB_jNS0_19identity_decomposerENS1_16block_id_wrapperIjLb1EEEEE10hipError_tT1_PNSt15iterator_traitsISG_E10value_typeET2_T3_PNSH_ISM_E10value_typeET4_T5_PSR_SS_PNS1_23onesweep_lookback_stateEbbT6_jjT7_P12ihipStream_tbENKUlT_T0_SG_SL_E_clIS7_S7_PlSB_EEDaSZ_S10_SG_SL_EUlSZ_E_NS1_11comp_targetILNS1_3genE6ELNS1_11target_archE950ELNS1_3gpuE13ELNS1_3repE0EEENS1_47radix_sort_onesweep_sort_config_static_selectorELNS0_4arch9wavefront6targetE1EEEvSG_ ; -- Begin function _ZN7rocprim17ROCPRIM_400000_NS6detail17trampoline_kernelINS0_14default_configENS1_35radix_sort_onesweep_config_selectorIslEEZZNS1_29radix_sort_onesweep_iterationIS3_Lb0EPsS7_N6thrust23THRUST_200600_302600_NS10device_ptrIlEESB_jNS0_19identity_decomposerENS1_16block_id_wrapperIjLb1EEEEE10hipError_tT1_PNSt15iterator_traitsISG_E10value_typeET2_T3_PNSH_ISM_E10value_typeET4_T5_PSR_SS_PNS1_23onesweep_lookback_stateEbbT6_jjT7_P12ihipStream_tbENKUlT_T0_SG_SL_E_clIS7_S7_PlSB_EEDaSZ_S10_SG_SL_EUlSZ_E_NS1_11comp_targetILNS1_3genE6ELNS1_11target_archE950ELNS1_3gpuE13ELNS1_3repE0EEENS1_47radix_sort_onesweep_sort_config_static_selectorELNS0_4arch9wavefront6targetE1EEEvSG_
	.globl	_ZN7rocprim17ROCPRIM_400000_NS6detail17trampoline_kernelINS0_14default_configENS1_35radix_sort_onesweep_config_selectorIslEEZZNS1_29radix_sort_onesweep_iterationIS3_Lb0EPsS7_N6thrust23THRUST_200600_302600_NS10device_ptrIlEESB_jNS0_19identity_decomposerENS1_16block_id_wrapperIjLb1EEEEE10hipError_tT1_PNSt15iterator_traitsISG_E10value_typeET2_T3_PNSH_ISM_E10value_typeET4_T5_PSR_SS_PNS1_23onesweep_lookback_stateEbbT6_jjT7_P12ihipStream_tbENKUlT_T0_SG_SL_E_clIS7_S7_PlSB_EEDaSZ_S10_SG_SL_EUlSZ_E_NS1_11comp_targetILNS1_3genE6ELNS1_11target_archE950ELNS1_3gpuE13ELNS1_3repE0EEENS1_47radix_sort_onesweep_sort_config_static_selectorELNS0_4arch9wavefront6targetE1EEEvSG_
	.p2align	8
	.type	_ZN7rocprim17ROCPRIM_400000_NS6detail17trampoline_kernelINS0_14default_configENS1_35radix_sort_onesweep_config_selectorIslEEZZNS1_29radix_sort_onesweep_iterationIS3_Lb0EPsS7_N6thrust23THRUST_200600_302600_NS10device_ptrIlEESB_jNS0_19identity_decomposerENS1_16block_id_wrapperIjLb1EEEEE10hipError_tT1_PNSt15iterator_traitsISG_E10value_typeET2_T3_PNSH_ISM_E10value_typeET4_T5_PSR_SS_PNS1_23onesweep_lookback_stateEbbT6_jjT7_P12ihipStream_tbENKUlT_T0_SG_SL_E_clIS7_S7_PlSB_EEDaSZ_S10_SG_SL_EUlSZ_E_NS1_11comp_targetILNS1_3genE6ELNS1_11target_archE950ELNS1_3gpuE13ELNS1_3repE0EEENS1_47radix_sort_onesweep_sort_config_static_selectorELNS0_4arch9wavefront6targetE1EEEvSG_,@function
_ZN7rocprim17ROCPRIM_400000_NS6detail17trampoline_kernelINS0_14default_configENS1_35radix_sort_onesweep_config_selectorIslEEZZNS1_29radix_sort_onesweep_iterationIS3_Lb0EPsS7_N6thrust23THRUST_200600_302600_NS10device_ptrIlEESB_jNS0_19identity_decomposerENS1_16block_id_wrapperIjLb1EEEEE10hipError_tT1_PNSt15iterator_traitsISG_E10value_typeET2_T3_PNSH_ISM_E10value_typeET4_T5_PSR_SS_PNS1_23onesweep_lookback_stateEbbT6_jjT7_P12ihipStream_tbENKUlT_T0_SG_SL_E_clIS7_S7_PlSB_EEDaSZ_S10_SG_SL_EUlSZ_E_NS1_11comp_targetILNS1_3genE6ELNS1_11target_archE950ELNS1_3gpuE13ELNS1_3repE0EEENS1_47radix_sort_onesweep_sort_config_static_selectorELNS0_4arch9wavefront6targetE1EEEvSG_: ; @_ZN7rocprim17ROCPRIM_400000_NS6detail17trampoline_kernelINS0_14default_configENS1_35radix_sort_onesweep_config_selectorIslEEZZNS1_29radix_sort_onesweep_iterationIS3_Lb0EPsS7_N6thrust23THRUST_200600_302600_NS10device_ptrIlEESB_jNS0_19identity_decomposerENS1_16block_id_wrapperIjLb1EEEEE10hipError_tT1_PNSt15iterator_traitsISG_E10value_typeET2_T3_PNSH_ISM_E10value_typeET4_T5_PSR_SS_PNS1_23onesweep_lookback_stateEbbT6_jjT7_P12ihipStream_tbENKUlT_T0_SG_SL_E_clIS7_S7_PlSB_EEDaSZ_S10_SG_SL_EUlSZ_E_NS1_11comp_targetILNS1_3genE6ELNS1_11target_archE950ELNS1_3gpuE13ELNS1_3repE0EEENS1_47radix_sort_onesweep_sort_config_static_selectorELNS0_4arch9wavefront6targetE1EEEvSG_
; %bb.0:
	.section	.rodata,"a",@progbits
	.p2align	6, 0x0
	.amdhsa_kernel _ZN7rocprim17ROCPRIM_400000_NS6detail17trampoline_kernelINS0_14default_configENS1_35radix_sort_onesweep_config_selectorIslEEZZNS1_29radix_sort_onesweep_iterationIS3_Lb0EPsS7_N6thrust23THRUST_200600_302600_NS10device_ptrIlEESB_jNS0_19identity_decomposerENS1_16block_id_wrapperIjLb1EEEEE10hipError_tT1_PNSt15iterator_traitsISG_E10value_typeET2_T3_PNSH_ISM_E10value_typeET4_T5_PSR_SS_PNS1_23onesweep_lookback_stateEbbT6_jjT7_P12ihipStream_tbENKUlT_T0_SG_SL_E_clIS7_S7_PlSB_EEDaSZ_S10_SG_SL_EUlSZ_E_NS1_11comp_targetILNS1_3genE6ELNS1_11target_archE950ELNS1_3gpuE13ELNS1_3repE0EEENS1_47radix_sort_onesweep_sort_config_static_selectorELNS0_4arch9wavefront6targetE1EEEvSG_
		.amdhsa_group_segment_fixed_size 0
		.amdhsa_private_segment_fixed_size 0
		.amdhsa_kernarg_size 88
		.amdhsa_user_sgpr_count 6
		.amdhsa_user_sgpr_private_segment_buffer 1
		.amdhsa_user_sgpr_dispatch_ptr 0
		.amdhsa_user_sgpr_queue_ptr 0
		.amdhsa_user_sgpr_kernarg_segment_ptr 1
		.amdhsa_user_sgpr_dispatch_id 0
		.amdhsa_user_sgpr_flat_scratch_init 0
		.amdhsa_user_sgpr_private_segment_size 0
		.amdhsa_uses_dynamic_stack 0
		.amdhsa_system_sgpr_private_segment_wavefront_offset 0
		.amdhsa_system_sgpr_workgroup_id_x 1
		.amdhsa_system_sgpr_workgroup_id_y 0
		.amdhsa_system_sgpr_workgroup_id_z 0
		.amdhsa_system_sgpr_workgroup_info 0
		.amdhsa_system_vgpr_workitem_id 0
		.amdhsa_next_free_vgpr 1
		.amdhsa_next_free_sgpr 0
		.amdhsa_reserve_vcc 0
		.amdhsa_reserve_flat_scratch 0
		.amdhsa_float_round_mode_32 0
		.amdhsa_float_round_mode_16_64 0
		.amdhsa_float_denorm_mode_32 3
		.amdhsa_float_denorm_mode_16_64 3
		.amdhsa_dx10_clamp 1
		.amdhsa_ieee_mode 1
		.amdhsa_fp16_overflow 0
		.amdhsa_exception_fp_ieee_invalid_op 0
		.amdhsa_exception_fp_denorm_src 0
		.amdhsa_exception_fp_ieee_div_zero 0
		.amdhsa_exception_fp_ieee_overflow 0
		.amdhsa_exception_fp_ieee_underflow 0
		.amdhsa_exception_fp_ieee_inexact 0
		.amdhsa_exception_int_div_zero 0
	.end_amdhsa_kernel
	.section	.text._ZN7rocprim17ROCPRIM_400000_NS6detail17trampoline_kernelINS0_14default_configENS1_35radix_sort_onesweep_config_selectorIslEEZZNS1_29radix_sort_onesweep_iterationIS3_Lb0EPsS7_N6thrust23THRUST_200600_302600_NS10device_ptrIlEESB_jNS0_19identity_decomposerENS1_16block_id_wrapperIjLb1EEEEE10hipError_tT1_PNSt15iterator_traitsISG_E10value_typeET2_T3_PNSH_ISM_E10value_typeET4_T5_PSR_SS_PNS1_23onesweep_lookback_stateEbbT6_jjT7_P12ihipStream_tbENKUlT_T0_SG_SL_E_clIS7_S7_PlSB_EEDaSZ_S10_SG_SL_EUlSZ_E_NS1_11comp_targetILNS1_3genE6ELNS1_11target_archE950ELNS1_3gpuE13ELNS1_3repE0EEENS1_47radix_sort_onesweep_sort_config_static_selectorELNS0_4arch9wavefront6targetE1EEEvSG_,"axG",@progbits,_ZN7rocprim17ROCPRIM_400000_NS6detail17trampoline_kernelINS0_14default_configENS1_35radix_sort_onesweep_config_selectorIslEEZZNS1_29radix_sort_onesweep_iterationIS3_Lb0EPsS7_N6thrust23THRUST_200600_302600_NS10device_ptrIlEESB_jNS0_19identity_decomposerENS1_16block_id_wrapperIjLb1EEEEE10hipError_tT1_PNSt15iterator_traitsISG_E10value_typeET2_T3_PNSH_ISM_E10value_typeET4_T5_PSR_SS_PNS1_23onesweep_lookback_stateEbbT6_jjT7_P12ihipStream_tbENKUlT_T0_SG_SL_E_clIS7_S7_PlSB_EEDaSZ_S10_SG_SL_EUlSZ_E_NS1_11comp_targetILNS1_3genE6ELNS1_11target_archE950ELNS1_3gpuE13ELNS1_3repE0EEENS1_47radix_sort_onesweep_sort_config_static_selectorELNS0_4arch9wavefront6targetE1EEEvSG_,comdat
.Lfunc_end1417:
	.size	_ZN7rocprim17ROCPRIM_400000_NS6detail17trampoline_kernelINS0_14default_configENS1_35radix_sort_onesweep_config_selectorIslEEZZNS1_29radix_sort_onesweep_iterationIS3_Lb0EPsS7_N6thrust23THRUST_200600_302600_NS10device_ptrIlEESB_jNS0_19identity_decomposerENS1_16block_id_wrapperIjLb1EEEEE10hipError_tT1_PNSt15iterator_traitsISG_E10value_typeET2_T3_PNSH_ISM_E10value_typeET4_T5_PSR_SS_PNS1_23onesweep_lookback_stateEbbT6_jjT7_P12ihipStream_tbENKUlT_T0_SG_SL_E_clIS7_S7_PlSB_EEDaSZ_S10_SG_SL_EUlSZ_E_NS1_11comp_targetILNS1_3genE6ELNS1_11target_archE950ELNS1_3gpuE13ELNS1_3repE0EEENS1_47radix_sort_onesweep_sort_config_static_selectorELNS0_4arch9wavefront6targetE1EEEvSG_, .Lfunc_end1417-_ZN7rocprim17ROCPRIM_400000_NS6detail17trampoline_kernelINS0_14default_configENS1_35radix_sort_onesweep_config_selectorIslEEZZNS1_29radix_sort_onesweep_iterationIS3_Lb0EPsS7_N6thrust23THRUST_200600_302600_NS10device_ptrIlEESB_jNS0_19identity_decomposerENS1_16block_id_wrapperIjLb1EEEEE10hipError_tT1_PNSt15iterator_traitsISG_E10value_typeET2_T3_PNSH_ISM_E10value_typeET4_T5_PSR_SS_PNS1_23onesweep_lookback_stateEbbT6_jjT7_P12ihipStream_tbENKUlT_T0_SG_SL_E_clIS7_S7_PlSB_EEDaSZ_S10_SG_SL_EUlSZ_E_NS1_11comp_targetILNS1_3genE6ELNS1_11target_archE950ELNS1_3gpuE13ELNS1_3repE0EEENS1_47radix_sort_onesweep_sort_config_static_selectorELNS0_4arch9wavefront6targetE1EEEvSG_
                                        ; -- End function
	.set _ZN7rocprim17ROCPRIM_400000_NS6detail17trampoline_kernelINS0_14default_configENS1_35radix_sort_onesweep_config_selectorIslEEZZNS1_29radix_sort_onesweep_iterationIS3_Lb0EPsS7_N6thrust23THRUST_200600_302600_NS10device_ptrIlEESB_jNS0_19identity_decomposerENS1_16block_id_wrapperIjLb1EEEEE10hipError_tT1_PNSt15iterator_traitsISG_E10value_typeET2_T3_PNSH_ISM_E10value_typeET4_T5_PSR_SS_PNS1_23onesweep_lookback_stateEbbT6_jjT7_P12ihipStream_tbENKUlT_T0_SG_SL_E_clIS7_S7_PlSB_EEDaSZ_S10_SG_SL_EUlSZ_E_NS1_11comp_targetILNS1_3genE6ELNS1_11target_archE950ELNS1_3gpuE13ELNS1_3repE0EEENS1_47radix_sort_onesweep_sort_config_static_selectorELNS0_4arch9wavefront6targetE1EEEvSG_.num_vgpr, 0
	.set _ZN7rocprim17ROCPRIM_400000_NS6detail17trampoline_kernelINS0_14default_configENS1_35radix_sort_onesweep_config_selectorIslEEZZNS1_29radix_sort_onesweep_iterationIS3_Lb0EPsS7_N6thrust23THRUST_200600_302600_NS10device_ptrIlEESB_jNS0_19identity_decomposerENS1_16block_id_wrapperIjLb1EEEEE10hipError_tT1_PNSt15iterator_traitsISG_E10value_typeET2_T3_PNSH_ISM_E10value_typeET4_T5_PSR_SS_PNS1_23onesweep_lookback_stateEbbT6_jjT7_P12ihipStream_tbENKUlT_T0_SG_SL_E_clIS7_S7_PlSB_EEDaSZ_S10_SG_SL_EUlSZ_E_NS1_11comp_targetILNS1_3genE6ELNS1_11target_archE950ELNS1_3gpuE13ELNS1_3repE0EEENS1_47radix_sort_onesweep_sort_config_static_selectorELNS0_4arch9wavefront6targetE1EEEvSG_.num_agpr, 0
	.set _ZN7rocprim17ROCPRIM_400000_NS6detail17trampoline_kernelINS0_14default_configENS1_35radix_sort_onesweep_config_selectorIslEEZZNS1_29radix_sort_onesweep_iterationIS3_Lb0EPsS7_N6thrust23THRUST_200600_302600_NS10device_ptrIlEESB_jNS0_19identity_decomposerENS1_16block_id_wrapperIjLb1EEEEE10hipError_tT1_PNSt15iterator_traitsISG_E10value_typeET2_T3_PNSH_ISM_E10value_typeET4_T5_PSR_SS_PNS1_23onesweep_lookback_stateEbbT6_jjT7_P12ihipStream_tbENKUlT_T0_SG_SL_E_clIS7_S7_PlSB_EEDaSZ_S10_SG_SL_EUlSZ_E_NS1_11comp_targetILNS1_3genE6ELNS1_11target_archE950ELNS1_3gpuE13ELNS1_3repE0EEENS1_47radix_sort_onesweep_sort_config_static_selectorELNS0_4arch9wavefront6targetE1EEEvSG_.numbered_sgpr, 0
	.set _ZN7rocprim17ROCPRIM_400000_NS6detail17trampoline_kernelINS0_14default_configENS1_35radix_sort_onesweep_config_selectorIslEEZZNS1_29radix_sort_onesweep_iterationIS3_Lb0EPsS7_N6thrust23THRUST_200600_302600_NS10device_ptrIlEESB_jNS0_19identity_decomposerENS1_16block_id_wrapperIjLb1EEEEE10hipError_tT1_PNSt15iterator_traitsISG_E10value_typeET2_T3_PNSH_ISM_E10value_typeET4_T5_PSR_SS_PNS1_23onesweep_lookback_stateEbbT6_jjT7_P12ihipStream_tbENKUlT_T0_SG_SL_E_clIS7_S7_PlSB_EEDaSZ_S10_SG_SL_EUlSZ_E_NS1_11comp_targetILNS1_3genE6ELNS1_11target_archE950ELNS1_3gpuE13ELNS1_3repE0EEENS1_47radix_sort_onesweep_sort_config_static_selectorELNS0_4arch9wavefront6targetE1EEEvSG_.num_named_barrier, 0
	.set _ZN7rocprim17ROCPRIM_400000_NS6detail17trampoline_kernelINS0_14default_configENS1_35radix_sort_onesweep_config_selectorIslEEZZNS1_29radix_sort_onesweep_iterationIS3_Lb0EPsS7_N6thrust23THRUST_200600_302600_NS10device_ptrIlEESB_jNS0_19identity_decomposerENS1_16block_id_wrapperIjLb1EEEEE10hipError_tT1_PNSt15iterator_traitsISG_E10value_typeET2_T3_PNSH_ISM_E10value_typeET4_T5_PSR_SS_PNS1_23onesweep_lookback_stateEbbT6_jjT7_P12ihipStream_tbENKUlT_T0_SG_SL_E_clIS7_S7_PlSB_EEDaSZ_S10_SG_SL_EUlSZ_E_NS1_11comp_targetILNS1_3genE6ELNS1_11target_archE950ELNS1_3gpuE13ELNS1_3repE0EEENS1_47radix_sort_onesweep_sort_config_static_selectorELNS0_4arch9wavefront6targetE1EEEvSG_.private_seg_size, 0
	.set _ZN7rocprim17ROCPRIM_400000_NS6detail17trampoline_kernelINS0_14default_configENS1_35radix_sort_onesweep_config_selectorIslEEZZNS1_29radix_sort_onesweep_iterationIS3_Lb0EPsS7_N6thrust23THRUST_200600_302600_NS10device_ptrIlEESB_jNS0_19identity_decomposerENS1_16block_id_wrapperIjLb1EEEEE10hipError_tT1_PNSt15iterator_traitsISG_E10value_typeET2_T3_PNSH_ISM_E10value_typeET4_T5_PSR_SS_PNS1_23onesweep_lookback_stateEbbT6_jjT7_P12ihipStream_tbENKUlT_T0_SG_SL_E_clIS7_S7_PlSB_EEDaSZ_S10_SG_SL_EUlSZ_E_NS1_11comp_targetILNS1_3genE6ELNS1_11target_archE950ELNS1_3gpuE13ELNS1_3repE0EEENS1_47radix_sort_onesweep_sort_config_static_selectorELNS0_4arch9wavefront6targetE1EEEvSG_.uses_vcc, 0
	.set _ZN7rocprim17ROCPRIM_400000_NS6detail17trampoline_kernelINS0_14default_configENS1_35radix_sort_onesweep_config_selectorIslEEZZNS1_29radix_sort_onesweep_iterationIS3_Lb0EPsS7_N6thrust23THRUST_200600_302600_NS10device_ptrIlEESB_jNS0_19identity_decomposerENS1_16block_id_wrapperIjLb1EEEEE10hipError_tT1_PNSt15iterator_traitsISG_E10value_typeET2_T3_PNSH_ISM_E10value_typeET4_T5_PSR_SS_PNS1_23onesweep_lookback_stateEbbT6_jjT7_P12ihipStream_tbENKUlT_T0_SG_SL_E_clIS7_S7_PlSB_EEDaSZ_S10_SG_SL_EUlSZ_E_NS1_11comp_targetILNS1_3genE6ELNS1_11target_archE950ELNS1_3gpuE13ELNS1_3repE0EEENS1_47radix_sort_onesweep_sort_config_static_selectorELNS0_4arch9wavefront6targetE1EEEvSG_.uses_flat_scratch, 0
	.set _ZN7rocprim17ROCPRIM_400000_NS6detail17trampoline_kernelINS0_14default_configENS1_35radix_sort_onesweep_config_selectorIslEEZZNS1_29radix_sort_onesweep_iterationIS3_Lb0EPsS7_N6thrust23THRUST_200600_302600_NS10device_ptrIlEESB_jNS0_19identity_decomposerENS1_16block_id_wrapperIjLb1EEEEE10hipError_tT1_PNSt15iterator_traitsISG_E10value_typeET2_T3_PNSH_ISM_E10value_typeET4_T5_PSR_SS_PNS1_23onesweep_lookback_stateEbbT6_jjT7_P12ihipStream_tbENKUlT_T0_SG_SL_E_clIS7_S7_PlSB_EEDaSZ_S10_SG_SL_EUlSZ_E_NS1_11comp_targetILNS1_3genE6ELNS1_11target_archE950ELNS1_3gpuE13ELNS1_3repE0EEENS1_47radix_sort_onesweep_sort_config_static_selectorELNS0_4arch9wavefront6targetE1EEEvSG_.has_dyn_sized_stack, 0
	.set _ZN7rocprim17ROCPRIM_400000_NS6detail17trampoline_kernelINS0_14default_configENS1_35radix_sort_onesweep_config_selectorIslEEZZNS1_29radix_sort_onesweep_iterationIS3_Lb0EPsS7_N6thrust23THRUST_200600_302600_NS10device_ptrIlEESB_jNS0_19identity_decomposerENS1_16block_id_wrapperIjLb1EEEEE10hipError_tT1_PNSt15iterator_traitsISG_E10value_typeET2_T3_PNSH_ISM_E10value_typeET4_T5_PSR_SS_PNS1_23onesweep_lookback_stateEbbT6_jjT7_P12ihipStream_tbENKUlT_T0_SG_SL_E_clIS7_S7_PlSB_EEDaSZ_S10_SG_SL_EUlSZ_E_NS1_11comp_targetILNS1_3genE6ELNS1_11target_archE950ELNS1_3gpuE13ELNS1_3repE0EEENS1_47radix_sort_onesweep_sort_config_static_selectorELNS0_4arch9wavefront6targetE1EEEvSG_.has_recursion, 0
	.set _ZN7rocprim17ROCPRIM_400000_NS6detail17trampoline_kernelINS0_14default_configENS1_35radix_sort_onesweep_config_selectorIslEEZZNS1_29radix_sort_onesweep_iterationIS3_Lb0EPsS7_N6thrust23THRUST_200600_302600_NS10device_ptrIlEESB_jNS0_19identity_decomposerENS1_16block_id_wrapperIjLb1EEEEE10hipError_tT1_PNSt15iterator_traitsISG_E10value_typeET2_T3_PNSH_ISM_E10value_typeET4_T5_PSR_SS_PNS1_23onesweep_lookback_stateEbbT6_jjT7_P12ihipStream_tbENKUlT_T0_SG_SL_E_clIS7_S7_PlSB_EEDaSZ_S10_SG_SL_EUlSZ_E_NS1_11comp_targetILNS1_3genE6ELNS1_11target_archE950ELNS1_3gpuE13ELNS1_3repE0EEENS1_47radix_sort_onesweep_sort_config_static_selectorELNS0_4arch9wavefront6targetE1EEEvSG_.has_indirect_call, 0
	.section	.AMDGPU.csdata,"",@progbits
; Kernel info:
; codeLenInByte = 0
; TotalNumSgprs: 4
; NumVgprs: 0
; ScratchSize: 0
; MemoryBound: 0
; FloatMode: 240
; IeeeMode: 1
; LDSByteSize: 0 bytes/workgroup (compile time only)
; SGPRBlocks: 0
; VGPRBlocks: 0
; NumSGPRsForWavesPerEU: 4
; NumVGPRsForWavesPerEU: 1
; Occupancy: 10
; WaveLimiterHint : 0
; COMPUTE_PGM_RSRC2:SCRATCH_EN: 0
; COMPUTE_PGM_RSRC2:USER_SGPR: 6
; COMPUTE_PGM_RSRC2:TRAP_HANDLER: 0
; COMPUTE_PGM_RSRC2:TGID_X_EN: 1
; COMPUTE_PGM_RSRC2:TGID_Y_EN: 0
; COMPUTE_PGM_RSRC2:TGID_Z_EN: 0
; COMPUTE_PGM_RSRC2:TIDIG_COMP_CNT: 0
	.section	.text._ZN7rocprim17ROCPRIM_400000_NS6detail17trampoline_kernelINS0_14default_configENS1_35radix_sort_onesweep_config_selectorIslEEZZNS1_29radix_sort_onesweep_iterationIS3_Lb0EPsS7_N6thrust23THRUST_200600_302600_NS10device_ptrIlEESB_jNS0_19identity_decomposerENS1_16block_id_wrapperIjLb1EEEEE10hipError_tT1_PNSt15iterator_traitsISG_E10value_typeET2_T3_PNSH_ISM_E10value_typeET4_T5_PSR_SS_PNS1_23onesweep_lookback_stateEbbT6_jjT7_P12ihipStream_tbENKUlT_T0_SG_SL_E_clIS7_S7_PlSB_EEDaSZ_S10_SG_SL_EUlSZ_E_NS1_11comp_targetILNS1_3genE5ELNS1_11target_archE942ELNS1_3gpuE9ELNS1_3repE0EEENS1_47radix_sort_onesweep_sort_config_static_selectorELNS0_4arch9wavefront6targetE1EEEvSG_,"axG",@progbits,_ZN7rocprim17ROCPRIM_400000_NS6detail17trampoline_kernelINS0_14default_configENS1_35radix_sort_onesweep_config_selectorIslEEZZNS1_29radix_sort_onesweep_iterationIS3_Lb0EPsS7_N6thrust23THRUST_200600_302600_NS10device_ptrIlEESB_jNS0_19identity_decomposerENS1_16block_id_wrapperIjLb1EEEEE10hipError_tT1_PNSt15iterator_traitsISG_E10value_typeET2_T3_PNSH_ISM_E10value_typeET4_T5_PSR_SS_PNS1_23onesweep_lookback_stateEbbT6_jjT7_P12ihipStream_tbENKUlT_T0_SG_SL_E_clIS7_S7_PlSB_EEDaSZ_S10_SG_SL_EUlSZ_E_NS1_11comp_targetILNS1_3genE5ELNS1_11target_archE942ELNS1_3gpuE9ELNS1_3repE0EEENS1_47radix_sort_onesweep_sort_config_static_selectorELNS0_4arch9wavefront6targetE1EEEvSG_,comdat
	.protected	_ZN7rocprim17ROCPRIM_400000_NS6detail17trampoline_kernelINS0_14default_configENS1_35radix_sort_onesweep_config_selectorIslEEZZNS1_29radix_sort_onesweep_iterationIS3_Lb0EPsS7_N6thrust23THRUST_200600_302600_NS10device_ptrIlEESB_jNS0_19identity_decomposerENS1_16block_id_wrapperIjLb1EEEEE10hipError_tT1_PNSt15iterator_traitsISG_E10value_typeET2_T3_PNSH_ISM_E10value_typeET4_T5_PSR_SS_PNS1_23onesweep_lookback_stateEbbT6_jjT7_P12ihipStream_tbENKUlT_T0_SG_SL_E_clIS7_S7_PlSB_EEDaSZ_S10_SG_SL_EUlSZ_E_NS1_11comp_targetILNS1_3genE5ELNS1_11target_archE942ELNS1_3gpuE9ELNS1_3repE0EEENS1_47radix_sort_onesweep_sort_config_static_selectorELNS0_4arch9wavefront6targetE1EEEvSG_ ; -- Begin function _ZN7rocprim17ROCPRIM_400000_NS6detail17trampoline_kernelINS0_14default_configENS1_35radix_sort_onesweep_config_selectorIslEEZZNS1_29radix_sort_onesweep_iterationIS3_Lb0EPsS7_N6thrust23THRUST_200600_302600_NS10device_ptrIlEESB_jNS0_19identity_decomposerENS1_16block_id_wrapperIjLb1EEEEE10hipError_tT1_PNSt15iterator_traitsISG_E10value_typeET2_T3_PNSH_ISM_E10value_typeET4_T5_PSR_SS_PNS1_23onesweep_lookback_stateEbbT6_jjT7_P12ihipStream_tbENKUlT_T0_SG_SL_E_clIS7_S7_PlSB_EEDaSZ_S10_SG_SL_EUlSZ_E_NS1_11comp_targetILNS1_3genE5ELNS1_11target_archE942ELNS1_3gpuE9ELNS1_3repE0EEENS1_47radix_sort_onesweep_sort_config_static_selectorELNS0_4arch9wavefront6targetE1EEEvSG_
	.globl	_ZN7rocprim17ROCPRIM_400000_NS6detail17trampoline_kernelINS0_14default_configENS1_35radix_sort_onesweep_config_selectorIslEEZZNS1_29radix_sort_onesweep_iterationIS3_Lb0EPsS7_N6thrust23THRUST_200600_302600_NS10device_ptrIlEESB_jNS0_19identity_decomposerENS1_16block_id_wrapperIjLb1EEEEE10hipError_tT1_PNSt15iterator_traitsISG_E10value_typeET2_T3_PNSH_ISM_E10value_typeET4_T5_PSR_SS_PNS1_23onesweep_lookback_stateEbbT6_jjT7_P12ihipStream_tbENKUlT_T0_SG_SL_E_clIS7_S7_PlSB_EEDaSZ_S10_SG_SL_EUlSZ_E_NS1_11comp_targetILNS1_3genE5ELNS1_11target_archE942ELNS1_3gpuE9ELNS1_3repE0EEENS1_47radix_sort_onesweep_sort_config_static_selectorELNS0_4arch9wavefront6targetE1EEEvSG_
	.p2align	8
	.type	_ZN7rocprim17ROCPRIM_400000_NS6detail17trampoline_kernelINS0_14default_configENS1_35radix_sort_onesweep_config_selectorIslEEZZNS1_29radix_sort_onesweep_iterationIS3_Lb0EPsS7_N6thrust23THRUST_200600_302600_NS10device_ptrIlEESB_jNS0_19identity_decomposerENS1_16block_id_wrapperIjLb1EEEEE10hipError_tT1_PNSt15iterator_traitsISG_E10value_typeET2_T3_PNSH_ISM_E10value_typeET4_T5_PSR_SS_PNS1_23onesweep_lookback_stateEbbT6_jjT7_P12ihipStream_tbENKUlT_T0_SG_SL_E_clIS7_S7_PlSB_EEDaSZ_S10_SG_SL_EUlSZ_E_NS1_11comp_targetILNS1_3genE5ELNS1_11target_archE942ELNS1_3gpuE9ELNS1_3repE0EEENS1_47radix_sort_onesweep_sort_config_static_selectorELNS0_4arch9wavefront6targetE1EEEvSG_,@function
_ZN7rocprim17ROCPRIM_400000_NS6detail17trampoline_kernelINS0_14default_configENS1_35radix_sort_onesweep_config_selectorIslEEZZNS1_29radix_sort_onesweep_iterationIS3_Lb0EPsS7_N6thrust23THRUST_200600_302600_NS10device_ptrIlEESB_jNS0_19identity_decomposerENS1_16block_id_wrapperIjLb1EEEEE10hipError_tT1_PNSt15iterator_traitsISG_E10value_typeET2_T3_PNSH_ISM_E10value_typeET4_T5_PSR_SS_PNS1_23onesweep_lookback_stateEbbT6_jjT7_P12ihipStream_tbENKUlT_T0_SG_SL_E_clIS7_S7_PlSB_EEDaSZ_S10_SG_SL_EUlSZ_E_NS1_11comp_targetILNS1_3genE5ELNS1_11target_archE942ELNS1_3gpuE9ELNS1_3repE0EEENS1_47radix_sort_onesweep_sort_config_static_selectorELNS0_4arch9wavefront6targetE1EEEvSG_: ; @_ZN7rocprim17ROCPRIM_400000_NS6detail17trampoline_kernelINS0_14default_configENS1_35radix_sort_onesweep_config_selectorIslEEZZNS1_29radix_sort_onesweep_iterationIS3_Lb0EPsS7_N6thrust23THRUST_200600_302600_NS10device_ptrIlEESB_jNS0_19identity_decomposerENS1_16block_id_wrapperIjLb1EEEEE10hipError_tT1_PNSt15iterator_traitsISG_E10value_typeET2_T3_PNSH_ISM_E10value_typeET4_T5_PSR_SS_PNS1_23onesweep_lookback_stateEbbT6_jjT7_P12ihipStream_tbENKUlT_T0_SG_SL_E_clIS7_S7_PlSB_EEDaSZ_S10_SG_SL_EUlSZ_E_NS1_11comp_targetILNS1_3genE5ELNS1_11target_archE942ELNS1_3gpuE9ELNS1_3repE0EEENS1_47radix_sort_onesweep_sort_config_static_selectorELNS0_4arch9wavefront6targetE1EEEvSG_
; %bb.0:
	.section	.rodata,"a",@progbits
	.p2align	6, 0x0
	.amdhsa_kernel _ZN7rocprim17ROCPRIM_400000_NS6detail17trampoline_kernelINS0_14default_configENS1_35radix_sort_onesweep_config_selectorIslEEZZNS1_29radix_sort_onesweep_iterationIS3_Lb0EPsS7_N6thrust23THRUST_200600_302600_NS10device_ptrIlEESB_jNS0_19identity_decomposerENS1_16block_id_wrapperIjLb1EEEEE10hipError_tT1_PNSt15iterator_traitsISG_E10value_typeET2_T3_PNSH_ISM_E10value_typeET4_T5_PSR_SS_PNS1_23onesweep_lookback_stateEbbT6_jjT7_P12ihipStream_tbENKUlT_T0_SG_SL_E_clIS7_S7_PlSB_EEDaSZ_S10_SG_SL_EUlSZ_E_NS1_11comp_targetILNS1_3genE5ELNS1_11target_archE942ELNS1_3gpuE9ELNS1_3repE0EEENS1_47radix_sort_onesweep_sort_config_static_selectorELNS0_4arch9wavefront6targetE1EEEvSG_
		.amdhsa_group_segment_fixed_size 0
		.amdhsa_private_segment_fixed_size 0
		.amdhsa_kernarg_size 88
		.amdhsa_user_sgpr_count 6
		.amdhsa_user_sgpr_private_segment_buffer 1
		.amdhsa_user_sgpr_dispatch_ptr 0
		.amdhsa_user_sgpr_queue_ptr 0
		.amdhsa_user_sgpr_kernarg_segment_ptr 1
		.amdhsa_user_sgpr_dispatch_id 0
		.amdhsa_user_sgpr_flat_scratch_init 0
		.amdhsa_user_sgpr_private_segment_size 0
		.amdhsa_uses_dynamic_stack 0
		.amdhsa_system_sgpr_private_segment_wavefront_offset 0
		.amdhsa_system_sgpr_workgroup_id_x 1
		.amdhsa_system_sgpr_workgroup_id_y 0
		.amdhsa_system_sgpr_workgroup_id_z 0
		.amdhsa_system_sgpr_workgroup_info 0
		.amdhsa_system_vgpr_workitem_id 0
		.amdhsa_next_free_vgpr 1
		.amdhsa_next_free_sgpr 0
		.amdhsa_reserve_vcc 0
		.amdhsa_reserve_flat_scratch 0
		.amdhsa_float_round_mode_32 0
		.amdhsa_float_round_mode_16_64 0
		.amdhsa_float_denorm_mode_32 3
		.amdhsa_float_denorm_mode_16_64 3
		.amdhsa_dx10_clamp 1
		.amdhsa_ieee_mode 1
		.amdhsa_fp16_overflow 0
		.amdhsa_exception_fp_ieee_invalid_op 0
		.amdhsa_exception_fp_denorm_src 0
		.amdhsa_exception_fp_ieee_div_zero 0
		.amdhsa_exception_fp_ieee_overflow 0
		.amdhsa_exception_fp_ieee_underflow 0
		.amdhsa_exception_fp_ieee_inexact 0
		.amdhsa_exception_int_div_zero 0
	.end_amdhsa_kernel
	.section	.text._ZN7rocprim17ROCPRIM_400000_NS6detail17trampoline_kernelINS0_14default_configENS1_35radix_sort_onesweep_config_selectorIslEEZZNS1_29radix_sort_onesweep_iterationIS3_Lb0EPsS7_N6thrust23THRUST_200600_302600_NS10device_ptrIlEESB_jNS0_19identity_decomposerENS1_16block_id_wrapperIjLb1EEEEE10hipError_tT1_PNSt15iterator_traitsISG_E10value_typeET2_T3_PNSH_ISM_E10value_typeET4_T5_PSR_SS_PNS1_23onesweep_lookback_stateEbbT6_jjT7_P12ihipStream_tbENKUlT_T0_SG_SL_E_clIS7_S7_PlSB_EEDaSZ_S10_SG_SL_EUlSZ_E_NS1_11comp_targetILNS1_3genE5ELNS1_11target_archE942ELNS1_3gpuE9ELNS1_3repE0EEENS1_47radix_sort_onesweep_sort_config_static_selectorELNS0_4arch9wavefront6targetE1EEEvSG_,"axG",@progbits,_ZN7rocprim17ROCPRIM_400000_NS6detail17trampoline_kernelINS0_14default_configENS1_35radix_sort_onesweep_config_selectorIslEEZZNS1_29radix_sort_onesweep_iterationIS3_Lb0EPsS7_N6thrust23THRUST_200600_302600_NS10device_ptrIlEESB_jNS0_19identity_decomposerENS1_16block_id_wrapperIjLb1EEEEE10hipError_tT1_PNSt15iterator_traitsISG_E10value_typeET2_T3_PNSH_ISM_E10value_typeET4_T5_PSR_SS_PNS1_23onesweep_lookback_stateEbbT6_jjT7_P12ihipStream_tbENKUlT_T0_SG_SL_E_clIS7_S7_PlSB_EEDaSZ_S10_SG_SL_EUlSZ_E_NS1_11comp_targetILNS1_3genE5ELNS1_11target_archE942ELNS1_3gpuE9ELNS1_3repE0EEENS1_47radix_sort_onesweep_sort_config_static_selectorELNS0_4arch9wavefront6targetE1EEEvSG_,comdat
.Lfunc_end1418:
	.size	_ZN7rocprim17ROCPRIM_400000_NS6detail17trampoline_kernelINS0_14default_configENS1_35radix_sort_onesweep_config_selectorIslEEZZNS1_29radix_sort_onesweep_iterationIS3_Lb0EPsS7_N6thrust23THRUST_200600_302600_NS10device_ptrIlEESB_jNS0_19identity_decomposerENS1_16block_id_wrapperIjLb1EEEEE10hipError_tT1_PNSt15iterator_traitsISG_E10value_typeET2_T3_PNSH_ISM_E10value_typeET4_T5_PSR_SS_PNS1_23onesweep_lookback_stateEbbT6_jjT7_P12ihipStream_tbENKUlT_T0_SG_SL_E_clIS7_S7_PlSB_EEDaSZ_S10_SG_SL_EUlSZ_E_NS1_11comp_targetILNS1_3genE5ELNS1_11target_archE942ELNS1_3gpuE9ELNS1_3repE0EEENS1_47radix_sort_onesweep_sort_config_static_selectorELNS0_4arch9wavefront6targetE1EEEvSG_, .Lfunc_end1418-_ZN7rocprim17ROCPRIM_400000_NS6detail17trampoline_kernelINS0_14default_configENS1_35radix_sort_onesweep_config_selectorIslEEZZNS1_29radix_sort_onesweep_iterationIS3_Lb0EPsS7_N6thrust23THRUST_200600_302600_NS10device_ptrIlEESB_jNS0_19identity_decomposerENS1_16block_id_wrapperIjLb1EEEEE10hipError_tT1_PNSt15iterator_traitsISG_E10value_typeET2_T3_PNSH_ISM_E10value_typeET4_T5_PSR_SS_PNS1_23onesweep_lookback_stateEbbT6_jjT7_P12ihipStream_tbENKUlT_T0_SG_SL_E_clIS7_S7_PlSB_EEDaSZ_S10_SG_SL_EUlSZ_E_NS1_11comp_targetILNS1_3genE5ELNS1_11target_archE942ELNS1_3gpuE9ELNS1_3repE0EEENS1_47radix_sort_onesweep_sort_config_static_selectorELNS0_4arch9wavefront6targetE1EEEvSG_
                                        ; -- End function
	.set _ZN7rocprim17ROCPRIM_400000_NS6detail17trampoline_kernelINS0_14default_configENS1_35radix_sort_onesweep_config_selectorIslEEZZNS1_29radix_sort_onesweep_iterationIS3_Lb0EPsS7_N6thrust23THRUST_200600_302600_NS10device_ptrIlEESB_jNS0_19identity_decomposerENS1_16block_id_wrapperIjLb1EEEEE10hipError_tT1_PNSt15iterator_traitsISG_E10value_typeET2_T3_PNSH_ISM_E10value_typeET4_T5_PSR_SS_PNS1_23onesweep_lookback_stateEbbT6_jjT7_P12ihipStream_tbENKUlT_T0_SG_SL_E_clIS7_S7_PlSB_EEDaSZ_S10_SG_SL_EUlSZ_E_NS1_11comp_targetILNS1_3genE5ELNS1_11target_archE942ELNS1_3gpuE9ELNS1_3repE0EEENS1_47radix_sort_onesweep_sort_config_static_selectorELNS0_4arch9wavefront6targetE1EEEvSG_.num_vgpr, 0
	.set _ZN7rocprim17ROCPRIM_400000_NS6detail17trampoline_kernelINS0_14default_configENS1_35radix_sort_onesweep_config_selectorIslEEZZNS1_29radix_sort_onesweep_iterationIS3_Lb0EPsS7_N6thrust23THRUST_200600_302600_NS10device_ptrIlEESB_jNS0_19identity_decomposerENS1_16block_id_wrapperIjLb1EEEEE10hipError_tT1_PNSt15iterator_traitsISG_E10value_typeET2_T3_PNSH_ISM_E10value_typeET4_T5_PSR_SS_PNS1_23onesweep_lookback_stateEbbT6_jjT7_P12ihipStream_tbENKUlT_T0_SG_SL_E_clIS7_S7_PlSB_EEDaSZ_S10_SG_SL_EUlSZ_E_NS1_11comp_targetILNS1_3genE5ELNS1_11target_archE942ELNS1_3gpuE9ELNS1_3repE0EEENS1_47radix_sort_onesweep_sort_config_static_selectorELNS0_4arch9wavefront6targetE1EEEvSG_.num_agpr, 0
	.set _ZN7rocprim17ROCPRIM_400000_NS6detail17trampoline_kernelINS0_14default_configENS1_35radix_sort_onesweep_config_selectorIslEEZZNS1_29radix_sort_onesweep_iterationIS3_Lb0EPsS7_N6thrust23THRUST_200600_302600_NS10device_ptrIlEESB_jNS0_19identity_decomposerENS1_16block_id_wrapperIjLb1EEEEE10hipError_tT1_PNSt15iterator_traitsISG_E10value_typeET2_T3_PNSH_ISM_E10value_typeET4_T5_PSR_SS_PNS1_23onesweep_lookback_stateEbbT6_jjT7_P12ihipStream_tbENKUlT_T0_SG_SL_E_clIS7_S7_PlSB_EEDaSZ_S10_SG_SL_EUlSZ_E_NS1_11comp_targetILNS1_3genE5ELNS1_11target_archE942ELNS1_3gpuE9ELNS1_3repE0EEENS1_47radix_sort_onesweep_sort_config_static_selectorELNS0_4arch9wavefront6targetE1EEEvSG_.numbered_sgpr, 0
	.set _ZN7rocprim17ROCPRIM_400000_NS6detail17trampoline_kernelINS0_14default_configENS1_35radix_sort_onesweep_config_selectorIslEEZZNS1_29radix_sort_onesweep_iterationIS3_Lb0EPsS7_N6thrust23THRUST_200600_302600_NS10device_ptrIlEESB_jNS0_19identity_decomposerENS1_16block_id_wrapperIjLb1EEEEE10hipError_tT1_PNSt15iterator_traitsISG_E10value_typeET2_T3_PNSH_ISM_E10value_typeET4_T5_PSR_SS_PNS1_23onesweep_lookback_stateEbbT6_jjT7_P12ihipStream_tbENKUlT_T0_SG_SL_E_clIS7_S7_PlSB_EEDaSZ_S10_SG_SL_EUlSZ_E_NS1_11comp_targetILNS1_3genE5ELNS1_11target_archE942ELNS1_3gpuE9ELNS1_3repE0EEENS1_47radix_sort_onesweep_sort_config_static_selectorELNS0_4arch9wavefront6targetE1EEEvSG_.num_named_barrier, 0
	.set _ZN7rocprim17ROCPRIM_400000_NS6detail17trampoline_kernelINS0_14default_configENS1_35radix_sort_onesweep_config_selectorIslEEZZNS1_29radix_sort_onesweep_iterationIS3_Lb0EPsS7_N6thrust23THRUST_200600_302600_NS10device_ptrIlEESB_jNS0_19identity_decomposerENS1_16block_id_wrapperIjLb1EEEEE10hipError_tT1_PNSt15iterator_traitsISG_E10value_typeET2_T3_PNSH_ISM_E10value_typeET4_T5_PSR_SS_PNS1_23onesweep_lookback_stateEbbT6_jjT7_P12ihipStream_tbENKUlT_T0_SG_SL_E_clIS7_S7_PlSB_EEDaSZ_S10_SG_SL_EUlSZ_E_NS1_11comp_targetILNS1_3genE5ELNS1_11target_archE942ELNS1_3gpuE9ELNS1_3repE0EEENS1_47radix_sort_onesweep_sort_config_static_selectorELNS0_4arch9wavefront6targetE1EEEvSG_.private_seg_size, 0
	.set _ZN7rocprim17ROCPRIM_400000_NS6detail17trampoline_kernelINS0_14default_configENS1_35radix_sort_onesweep_config_selectorIslEEZZNS1_29radix_sort_onesweep_iterationIS3_Lb0EPsS7_N6thrust23THRUST_200600_302600_NS10device_ptrIlEESB_jNS0_19identity_decomposerENS1_16block_id_wrapperIjLb1EEEEE10hipError_tT1_PNSt15iterator_traitsISG_E10value_typeET2_T3_PNSH_ISM_E10value_typeET4_T5_PSR_SS_PNS1_23onesweep_lookback_stateEbbT6_jjT7_P12ihipStream_tbENKUlT_T0_SG_SL_E_clIS7_S7_PlSB_EEDaSZ_S10_SG_SL_EUlSZ_E_NS1_11comp_targetILNS1_3genE5ELNS1_11target_archE942ELNS1_3gpuE9ELNS1_3repE0EEENS1_47radix_sort_onesweep_sort_config_static_selectorELNS0_4arch9wavefront6targetE1EEEvSG_.uses_vcc, 0
	.set _ZN7rocprim17ROCPRIM_400000_NS6detail17trampoline_kernelINS0_14default_configENS1_35radix_sort_onesweep_config_selectorIslEEZZNS1_29radix_sort_onesweep_iterationIS3_Lb0EPsS7_N6thrust23THRUST_200600_302600_NS10device_ptrIlEESB_jNS0_19identity_decomposerENS1_16block_id_wrapperIjLb1EEEEE10hipError_tT1_PNSt15iterator_traitsISG_E10value_typeET2_T3_PNSH_ISM_E10value_typeET4_T5_PSR_SS_PNS1_23onesweep_lookback_stateEbbT6_jjT7_P12ihipStream_tbENKUlT_T0_SG_SL_E_clIS7_S7_PlSB_EEDaSZ_S10_SG_SL_EUlSZ_E_NS1_11comp_targetILNS1_3genE5ELNS1_11target_archE942ELNS1_3gpuE9ELNS1_3repE0EEENS1_47radix_sort_onesweep_sort_config_static_selectorELNS0_4arch9wavefront6targetE1EEEvSG_.uses_flat_scratch, 0
	.set _ZN7rocprim17ROCPRIM_400000_NS6detail17trampoline_kernelINS0_14default_configENS1_35radix_sort_onesweep_config_selectorIslEEZZNS1_29radix_sort_onesweep_iterationIS3_Lb0EPsS7_N6thrust23THRUST_200600_302600_NS10device_ptrIlEESB_jNS0_19identity_decomposerENS1_16block_id_wrapperIjLb1EEEEE10hipError_tT1_PNSt15iterator_traitsISG_E10value_typeET2_T3_PNSH_ISM_E10value_typeET4_T5_PSR_SS_PNS1_23onesweep_lookback_stateEbbT6_jjT7_P12ihipStream_tbENKUlT_T0_SG_SL_E_clIS7_S7_PlSB_EEDaSZ_S10_SG_SL_EUlSZ_E_NS1_11comp_targetILNS1_3genE5ELNS1_11target_archE942ELNS1_3gpuE9ELNS1_3repE0EEENS1_47radix_sort_onesweep_sort_config_static_selectorELNS0_4arch9wavefront6targetE1EEEvSG_.has_dyn_sized_stack, 0
	.set _ZN7rocprim17ROCPRIM_400000_NS6detail17trampoline_kernelINS0_14default_configENS1_35radix_sort_onesweep_config_selectorIslEEZZNS1_29radix_sort_onesweep_iterationIS3_Lb0EPsS7_N6thrust23THRUST_200600_302600_NS10device_ptrIlEESB_jNS0_19identity_decomposerENS1_16block_id_wrapperIjLb1EEEEE10hipError_tT1_PNSt15iterator_traitsISG_E10value_typeET2_T3_PNSH_ISM_E10value_typeET4_T5_PSR_SS_PNS1_23onesweep_lookback_stateEbbT6_jjT7_P12ihipStream_tbENKUlT_T0_SG_SL_E_clIS7_S7_PlSB_EEDaSZ_S10_SG_SL_EUlSZ_E_NS1_11comp_targetILNS1_3genE5ELNS1_11target_archE942ELNS1_3gpuE9ELNS1_3repE0EEENS1_47radix_sort_onesweep_sort_config_static_selectorELNS0_4arch9wavefront6targetE1EEEvSG_.has_recursion, 0
	.set _ZN7rocprim17ROCPRIM_400000_NS6detail17trampoline_kernelINS0_14default_configENS1_35radix_sort_onesweep_config_selectorIslEEZZNS1_29radix_sort_onesweep_iterationIS3_Lb0EPsS7_N6thrust23THRUST_200600_302600_NS10device_ptrIlEESB_jNS0_19identity_decomposerENS1_16block_id_wrapperIjLb1EEEEE10hipError_tT1_PNSt15iterator_traitsISG_E10value_typeET2_T3_PNSH_ISM_E10value_typeET4_T5_PSR_SS_PNS1_23onesweep_lookback_stateEbbT6_jjT7_P12ihipStream_tbENKUlT_T0_SG_SL_E_clIS7_S7_PlSB_EEDaSZ_S10_SG_SL_EUlSZ_E_NS1_11comp_targetILNS1_3genE5ELNS1_11target_archE942ELNS1_3gpuE9ELNS1_3repE0EEENS1_47radix_sort_onesweep_sort_config_static_selectorELNS0_4arch9wavefront6targetE1EEEvSG_.has_indirect_call, 0
	.section	.AMDGPU.csdata,"",@progbits
; Kernel info:
; codeLenInByte = 0
; TotalNumSgprs: 4
; NumVgprs: 0
; ScratchSize: 0
; MemoryBound: 0
; FloatMode: 240
; IeeeMode: 1
; LDSByteSize: 0 bytes/workgroup (compile time only)
; SGPRBlocks: 0
; VGPRBlocks: 0
; NumSGPRsForWavesPerEU: 4
; NumVGPRsForWavesPerEU: 1
; Occupancy: 10
; WaveLimiterHint : 0
; COMPUTE_PGM_RSRC2:SCRATCH_EN: 0
; COMPUTE_PGM_RSRC2:USER_SGPR: 6
; COMPUTE_PGM_RSRC2:TRAP_HANDLER: 0
; COMPUTE_PGM_RSRC2:TGID_X_EN: 1
; COMPUTE_PGM_RSRC2:TGID_Y_EN: 0
; COMPUTE_PGM_RSRC2:TGID_Z_EN: 0
; COMPUTE_PGM_RSRC2:TIDIG_COMP_CNT: 0
	.section	.text._ZN7rocprim17ROCPRIM_400000_NS6detail17trampoline_kernelINS0_14default_configENS1_35radix_sort_onesweep_config_selectorIslEEZZNS1_29radix_sort_onesweep_iterationIS3_Lb0EPsS7_N6thrust23THRUST_200600_302600_NS10device_ptrIlEESB_jNS0_19identity_decomposerENS1_16block_id_wrapperIjLb1EEEEE10hipError_tT1_PNSt15iterator_traitsISG_E10value_typeET2_T3_PNSH_ISM_E10value_typeET4_T5_PSR_SS_PNS1_23onesweep_lookback_stateEbbT6_jjT7_P12ihipStream_tbENKUlT_T0_SG_SL_E_clIS7_S7_PlSB_EEDaSZ_S10_SG_SL_EUlSZ_E_NS1_11comp_targetILNS1_3genE2ELNS1_11target_archE906ELNS1_3gpuE6ELNS1_3repE0EEENS1_47radix_sort_onesweep_sort_config_static_selectorELNS0_4arch9wavefront6targetE1EEEvSG_,"axG",@progbits,_ZN7rocprim17ROCPRIM_400000_NS6detail17trampoline_kernelINS0_14default_configENS1_35radix_sort_onesweep_config_selectorIslEEZZNS1_29radix_sort_onesweep_iterationIS3_Lb0EPsS7_N6thrust23THRUST_200600_302600_NS10device_ptrIlEESB_jNS0_19identity_decomposerENS1_16block_id_wrapperIjLb1EEEEE10hipError_tT1_PNSt15iterator_traitsISG_E10value_typeET2_T3_PNSH_ISM_E10value_typeET4_T5_PSR_SS_PNS1_23onesweep_lookback_stateEbbT6_jjT7_P12ihipStream_tbENKUlT_T0_SG_SL_E_clIS7_S7_PlSB_EEDaSZ_S10_SG_SL_EUlSZ_E_NS1_11comp_targetILNS1_3genE2ELNS1_11target_archE906ELNS1_3gpuE6ELNS1_3repE0EEENS1_47radix_sort_onesweep_sort_config_static_selectorELNS0_4arch9wavefront6targetE1EEEvSG_,comdat
	.protected	_ZN7rocprim17ROCPRIM_400000_NS6detail17trampoline_kernelINS0_14default_configENS1_35radix_sort_onesweep_config_selectorIslEEZZNS1_29radix_sort_onesweep_iterationIS3_Lb0EPsS7_N6thrust23THRUST_200600_302600_NS10device_ptrIlEESB_jNS0_19identity_decomposerENS1_16block_id_wrapperIjLb1EEEEE10hipError_tT1_PNSt15iterator_traitsISG_E10value_typeET2_T3_PNSH_ISM_E10value_typeET4_T5_PSR_SS_PNS1_23onesweep_lookback_stateEbbT6_jjT7_P12ihipStream_tbENKUlT_T0_SG_SL_E_clIS7_S7_PlSB_EEDaSZ_S10_SG_SL_EUlSZ_E_NS1_11comp_targetILNS1_3genE2ELNS1_11target_archE906ELNS1_3gpuE6ELNS1_3repE0EEENS1_47radix_sort_onesweep_sort_config_static_selectorELNS0_4arch9wavefront6targetE1EEEvSG_ ; -- Begin function _ZN7rocprim17ROCPRIM_400000_NS6detail17trampoline_kernelINS0_14default_configENS1_35radix_sort_onesweep_config_selectorIslEEZZNS1_29radix_sort_onesweep_iterationIS3_Lb0EPsS7_N6thrust23THRUST_200600_302600_NS10device_ptrIlEESB_jNS0_19identity_decomposerENS1_16block_id_wrapperIjLb1EEEEE10hipError_tT1_PNSt15iterator_traitsISG_E10value_typeET2_T3_PNSH_ISM_E10value_typeET4_T5_PSR_SS_PNS1_23onesweep_lookback_stateEbbT6_jjT7_P12ihipStream_tbENKUlT_T0_SG_SL_E_clIS7_S7_PlSB_EEDaSZ_S10_SG_SL_EUlSZ_E_NS1_11comp_targetILNS1_3genE2ELNS1_11target_archE906ELNS1_3gpuE6ELNS1_3repE0EEENS1_47radix_sort_onesweep_sort_config_static_selectorELNS0_4arch9wavefront6targetE1EEEvSG_
	.globl	_ZN7rocprim17ROCPRIM_400000_NS6detail17trampoline_kernelINS0_14default_configENS1_35radix_sort_onesweep_config_selectorIslEEZZNS1_29radix_sort_onesweep_iterationIS3_Lb0EPsS7_N6thrust23THRUST_200600_302600_NS10device_ptrIlEESB_jNS0_19identity_decomposerENS1_16block_id_wrapperIjLb1EEEEE10hipError_tT1_PNSt15iterator_traitsISG_E10value_typeET2_T3_PNSH_ISM_E10value_typeET4_T5_PSR_SS_PNS1_23onesweep_lookback_stateEbbT6_jjT7_P12ihipStream_tbENKUlT_T0_SG_SL_E_clIS7_S7_PlSB_EEDaSZ_S10_SG_SL_EUlSZ_E_NS1_11comp_targetILNS1_3genE2ELNS1_11target_archE906ELNS1_3gpuE6ELNS1_3repE0EEENS1_47radix_sort_onesweep_sort_config_static_selectorELNS0_4arch9wavefront6targetE1EEEvSG_
	.p2align	8
	.type	_ZN7rocprim17ROCPRIM_400000_NS6detail17trampoline_kernelINS0_14default_configENS1_35radix_sort_onesweep_config_selectorIslEEZZNS1_29radix_sort_onesweep_iterationIS3_Lb0EPsS7_N6thrust23THRUST_200600_302600_NS10device_ptrIlEESB_jNS0_19identity_decomposerENS1_16block_id_wrapperIjLb1EEEEE10hipError_tT1_PNSt15iterator_traitsISG_E10value_typeET2_T3_PNSH_ISM_E10value_typeET4_T5_PSR_SS_PNS1_23onesweep_lookback_stateEbbT6_jjT7_P12ihipStream_tbENKUlT_T0_SG_SL_E_clIS7_S7_PlSB_EEDaSZ_S10_SG_SL_EUlSZ_E_NS1_11comp_targetILNS1_3genE2ELNS1_11target_archE906ELNS1_3gpuE6ELNS1_3repE0EEENS1_47radix_sort_onesweep_sort_config_static_selectorELNS0_4arch9wavefront6targetE1EEEvSG_,@function
_ZN7rocprim17ROCPRIM_400000_NS6detail17trampoline_kernelINS0_14default_configENS1_35radix_sort_onesweep_config_selectorIslEEZZNS1_29radix_sort_onesweep_iterationIS3_Lb0EPsS7_N6thrust23THRUST_200600_302600_NS10device_ptrIlEESB_jNS0_19identity_decomposerENS1_16block_id_wrapperIjLb1EEEEE10hipError_tT1_PNSt15iterator_traitsISG_E10value_typeET2_T3_PNSH_ISM_E10value_typeET4_T5_PSR_SS_PNS1_23onesweep_lookback_stateEbbT6_jjT7_P12ihipStream_tbENKUlT_T0_SG_SL_E_clIS7_S7_PlSB_EEDaSZ_S10_SG_SL_EUlSZ_E_NS1_11comp_targetILNS1_3genE2ELNS1_11target_archE906ELNS1_3gpuE6ELNS1_3repE0EEENS1_47radix_sort_onesweep_sort_config_static_selectorELNS0_4arch9wavefront6targetE1EEEvSG_: ; @_ZN7rocprim17ROCPRIM_400000_NS6detail17trampoline_kernelINS0_14default_configENS1_35radix_sort_onesweep_config_selectorIslEEZZNS1_29radix_sort_onesweep_iterationIS3_Lb0EPsS7_N6thrust23THRUST_200600_302600_NS10device_ptrIlEESB_jNS0_19identity_decomposerENS1_16block_id_wrapperIjLb1EEEEE10hipError_tT1_PNSt15iterator_traitsISG_E10value_typeET2_T3_PNSH_ISM_E10value_typeET4_T5_PSR_SS_PNS1_23onesweep_lookback_stateEbbT6_jjT7_P12ihipStream_tbENKUlT_T0_SG_SL_E_clIS7_S7_PlSB_EEDaSZ_S10_SG_SL_EUlSZ_E_NS1_11comp_targetILNS1_3genE2ELNS1_11target_archE906ELNS1_3gpuE6ELNS1_3repE0EEENS1_47radix_sort_onesweep_sort_config_static_selectorELNS0_4arch9wavefront6targetE1EEEvSG_
; %bb.0:
	s_load_dwordx4 s[28:31], s[4:5], 0x28
	s_load_dwordx2 s[34:35], s[4:5], 0x38
	s_load_dwordx4 s[44:47], s[4:5], 0x44
	s_add_u32 s0, s0, s7
	s_addc_u32 s1, s1, 0
	v_cmp_eq_u32_e64 s[22:23], 0, v0
	s_and_saveexec_b64 s[8:9], s[22:23]
	s_cbranch_execz .LBB1419_4
; %bb.1:
	s_mov_b64 s[12:13], exec
	v_mbcnt_lo_u32_b32 v3, s12, 0
	v_mbcnt_hi_u32_b32 v3, s13, v3
	v_cmp_eq_u32_e32 vcc, 0, v3
                                        ; implicit-def: $vgpr4
	s_and_saveexec_b64 s[10:11], vcc
	s_cbranch_execz .LBB1419_3
; %bb.2:
	s_load_dwordx2 s[14:15], s[4:5], 0x50
	s_bcnt1_i32_b64 s7, s[12:13]
	v_mov_b32_e32 v4, 0
	v_mov_b32_e32 v5, s7
	s_waitcnt lgkmcnt(0)
	global_atomic_add v4, v4, v5, s[14:15] glc
.LBB1419_3:
	s_or_b64 exec, exec, s[10:11]
	s_waitcnt vmcnt(0)
	v_readfirstlane_b32 s7, v4
	v_add_u32_e32 v3, s7, v3
	v_mov_b32_e32 v4, 0
	ds_write_b32 v4, v3 offset:10272
.LBB1419_4:
	s_or_b64 exec, exec, s[8:9]
	v_mov_b32_e32 v3, 0
	s_load_dwordx8 s[36:43], s[4:5], 0x0
	s_load_dword s7, s[4:5], 0x20
	s_waitcnt lgkmcnt(0)
	s_barrier
	ds_read_b32 v3, v3 offset:10272
	s_mov_b64 s[8:9], -1
	v_mbcnt_lo_u32_b32 v17, -1, 0
	s_waitcnt lgkmcnt(0)
	s_barrier
	v_readfirstlane_b32 s33, v3
	v_cmp_le_u32_e32 vcc, s46, v3
	s_mul_i32 s26, s33, 0xc00
	s_cbranch_vccz .LBB1419_82
; %bb.5:
	s_mul_i32 s8, s46, 0xfffff400
	s_mov_b32 s27, 0
	s_add_i32 s7, s8, s7
	s_lshl_b64 s[8:9], s[26:27], 1
	v_mbcnt_hi_u32_b32 v11, -1, v17
	s_add_u32 s8, s36, s8
	v_and_b32_e32 v10, 63, v11
	s_addc_u32 s9, s37, s9
	v_and_b32_e32 v12, 0x1c0, v0
	v_lshlrev_b32_e32 v3, 1, v10
	v_mul_u32_u24_e32 v9, 6, v12
	v_mov_b32_e32 v4, s9
	v_add_co_u32_e32 v3, vcc, s8, v3
	v_addc_co_u32_e32 v4, vcc, 0, v4, vcc
	v_lshlrev_b32_e32 v5, 1, v9
	v_add_co_u32_e32 v7, vcc, v3, v5
	v_addc_co_u32_e32 v8, vcc, 0, v4, vcc
	v_or_b32_e32 v13, v10, v9
	v_mov_b32_e32 v3, 0x7fff7fff
	v_cmp_gt_u32_e32 vcc, s7, v13
	v_mov_b32_e32 v4, v3
	v_mov_b32_e32 v5, v3
	s_and_saveexec_b64 s[8:9], vcc
	s_cbranch_execz .LBB1419_7
; %bb.6:
	global_load_ushort v4, v[7:8], off
	s_movk_i32 s10, 0x7fff
	v_mov_b32_e32 v6, 0x5040100
	v_mov_b32_e32 v5, v3
	s_waitcnt vmcnt(0)
	v_perm_b32 v4, s10, v4, v6
	v_mov_b32_e32 v6, v3
	v_mov_b32_e32 v3, v4
	;; [unrolled: 1-line block ×5, first 2 shown]
.LBB1419_7:
	s_or_b64 exec, exec, s[8:9]
	v_or_b32_e32 v6, 64, v13
	v_cmp_gt_u32_e64 s[8:9], s7, v6
	s_and_saveexec_b64 s[10:11], s[8:9]
	s_cbranch_execz .LBB1419_9
; %bb.8:
	global_load_ushort v6, v[7:8], off offset:128
	s_mov_b32 s12, 0x5040100
	s_waitcnt vmcnt(0)
	v_perm_b32 v3, v6, v3, s12
.LBB1419_9:
	s_or_b64 exec, exec, s[10:11]
	v_add_u32_e32 v6, 0x80, v13
	v_cmp_gt_u32_e64 s[10:11], s7, v6
	s_and_saveexec_b64 s[12:13], s[10:11]
	s_cbranch_execz .LBB1419_11
; %bb.10:
	global_load_ushort v6, v[7:8], off offset:256
	s_mov_b32 s14, 0xffff
	s_waitcnt vmcnt(0)
	v_bfi_b32 v4, s14, v6, v4
.LBB1419_11:
	s_or_b64 exec, exec, s[12:13]
	v_add_u32_e32 v6, 0xc0, v13
	v_cmp_gt_u32_e64 s[12:13], s7, v6
	s_and_saveexec_b64 s[14:15], s[12:13]
	s_cbranch_execz .LBB1419_13
; %bb.12:
	global_load_ushort v6, v[7:8], off offset:384
	s_mov_b32 s16, 0x5040100
	s_waitcnt vmcnt(0)
	v_perm_b32 v4, v6, v4, s16
.LBB1419_13:
	s_or_b64 exec, exec, s[14:15]
	v_add_u32_e32 v6, 0x100, v13
	v_cmp_gt_u32_e64 s[14:15], s7, v6
	s_and_saveexec_b64 s[16:17], s[14:15]
	s_cbranch_execz .LBB1419_15
; %bb.14:
	global_load_ushort v6, v[7:8], off offset:512
	s_mov_b32 s18, 0xffff
	s_waitcnt vmcnt(0)
	v_bfi_b32 v5, s18, v6, v5
.LBB1419_15:
	s_or_b64 exec, exec, s[16:17]
	v_add_u32_e32 v6, 0x140, v13
	v_cmp_gt_u32_e64 s[16:17], s7, v6
	s_and_saveexec_b64 s[18:19], s[16:17]
	s_cbranch_execz .LBB1419_17
; %bb.16:
	global_load_ushort v6, v[7:8], off offset:640
	s_mov_b32 s20, 0x5040100
	s_waitcnt vmcnt(0)
	v_perm_b32 v5, v6, v5, s20
.LBB1419_17:
	s_or_b64 exec, exec, s[18:19]
	s_load_dword s18, s[4:5], 0x64
	s_load_dword s52, s[4:5], 0x58
	s_add_u32 s19, s4, 0x58
	s_addc_u32 s20, s5, 0
	v_mov_b32_e32 v6, 0
	s_waitcnt lgkmcnt(0)
	s_lshr_b32 s21, s18, 16
	s_cmp_lt_u32 s6, s52
	s_cselect_b32 s18, 12, 18
	s_add_u32 s18, s19, s18
	s_addc_u32 s19, s20, 0
	global_load_ushort v8, v6, s[18:19]
	v_xor_b32_e32 v13, 0xffff8000, v3
	s_lshl_b32 s18, -1, s45
	v_lshrrev_b32_sdwa v7, s44, v13 dst_sel:DWORD dst_unused:UNUSED_PAD src0_sel:DWORD src1_sel:WORD_0
	s_not_b32 s53, s18
	v_and_b32_e32 v16, s53, v7
	v_and_b32_e32 v19, 1, v16
	v_add_co_u32_e64 v20, s[18:19], -1, v19
	v_lshlrev_b32_e32 v7, 30, v16
	v_addc_co_u32_e64 v21, s[18:19], 0, -1, s[18:19]
	v_mad_u32_u24 v15, v2, s21, v1
	v_cmp_ne_u32_e64 s[18:19], 0, v19
	v_cmp_gt_i64_e64 s[20:21], 0, v[6:7]
	v_not_b32_e32 v19, v7
	v_lshlrev_b32_e32 v7, 29, v16
	v_xor_b32_e32 v21, s19, v21
	v_xor_b32_e32 v20, s18, v20
	v_ashrrev_i32_e32 v19, 31, v19
	v_cmp_gt_i64_e64 s[18:19], 0, v[6:7]
	v_not_b32_e32 v22, v7
	v_lshlrev_b32_e32 v7, 28, v16
	v_and_b32_e32 v21, exec_hi, v21
	v_and_b32_e32 v20, exec_lo, v20
	v_xor_b32_e32 v23, s21, v19
	v_xor_b32_e32 v19, s20, v19
	v_ashrrev_i32_e32 v22, 31, v22
	v_cmp_gt_i64_e64 s[20:21], 0, v[6:7]
	v_not_b32_e32 v24, v7
	v_lshlrev_b32_e32 v7, 27, v16
	v_and_b32_e32 v21, v21, v23
	v_and_b32_e32 v19, v20, v19
	v_xor_b32_e32 v20, s19, v22
	v_xor_b32_e32 v22, s18, v22
	v_ashrrev_i32_e32 v23, 31, v24
	v_cmp_gt_i64_e64 s[18:19], 0, v[6:7]
	v_not_b32_e32 v24, v7
	v_lshlrev_b32_e32 v7, 26, v16
	v_and_b32_e32 v20, v21, v20
	v_and_b32_e32 v19, v19, v22
	;; [unrolled: 8-line block ×3, first 2 shown]
	v_xor_b32_e32 v21, s19, v23
	v_xor_b32_e32 v22, s18, v23
	v_ashrrev_i32_e32 v23, 31, v24
	v_cmp_gt_i64_e64 s[18:19], 0, v[6:7]
	v_not_b32_e32 v24, v7
	v_mul_u32_u24_e32 v18, 36, v16
	v_lshlrev_b32_e32 v7, 24, v16
	v_and_b32_e32 v16, v20, v21
	v_and_b32_e32 v19, v19, v22
	v_xor_b32_e32 v20, s21, v23
	v_ashrrev_i32_e32 v22, 31, v24
	v_xor_b32_e32 v21, s20, v23
	v_and_b32_e32 v16, v16, v20
	v_xor_b32_e32 v20, s19, v22
	v_and_b32_e32 v19, v19, v21
	;; [unrolled: 2-line block ×3, first 2 shown]
	v_cmp_gt_i64_e64 s[20:21], 0, v[6:7]
	v_not_b32_e32 v7, v7
	v_ashrrev_i32_e32 v7, 31, v7
	v_and_b32_e32 v19, v19, v21
	v_xor_b32_e32 v21, s21, v7
	v_xor_b32_e32 v7, s20, v7
	v_and_b32_e32 v7, v19, v7
	s_movk_i32 s24, 0x8000
	v_mul_u32_u24_e32 v14, 20, v0
	ds_write2_b32 v14, v6, v6 offset0:8 offset1:9
	ds_write2_b32 v14, v6, v6 offset0:10 offset1:11
	ds_write_b32 v14, v6 offset:48
	s_waitcnt vmcnt(0) lgkmcnt(0)
	s_barrier
	v_mad_u64_u32 v[15:16], s[18:19], v15, v8, v[0:1]
	v_and_b32_e32 v8, v20, v21
	v_cmp_ne_u64_e64 s[18:19], 0, v[7:8]
	v_lshrrev_b32_e32 v15, 4, v15
	v_and_b32_e32 v31, 0xffffffc, v15
	v_mbcnt_lo_u32_b32 v15, v7, 0
	v_mbcnt_hi_u32_b32 v15, v8, v15
	v_cmp_eq_u32_e64 s[20:21], 0, v15
	s_and_b64 s[20:21], s[18:19], s[20:21]
	v_add_u32_e32 v27, v31, v18
	; wave barrier
	s_and_saveexec_b64 s[18:19], s[20:21]
; %bb.18:
	v_bcnt_u32_b32 v7, v7, 0
	v_bcnt_u32_b32 v7, v8, v7
	ds_write_b32 v27, v7 offset:32
; %bb.19:
	s_or_b64 exec, exec, s[18:19]
	v_xor_b32_sdwa v16, v3, s24 dst_sel:DWORD dst_unused:UNUSED_PAD src0_sel:WORD_1 src1_sel:DWORD
	v_lshrrev_b32_sdwa v3, s44, v16 dst_sel:DWORD dst_unused:UNUSED_PAD src0_sel:DWORD src1_sel:WORD_0
	v_and_b32_e32 v3, s53, v3
	v_mad_u32_u24 v7, v3, 36, v31
	; wave barrier
	ds_read_b32 v18, v7 offset:32
	v_and_b32_e32 v7, 1, v3
	v_add_co_u32_e64 v19, s[18:19], -1, v7
	v_addc_co_u32_e64 v20, s[18:19], 0, -1, s[18:19]
	v_cmp_ne_u32_e64 s[18:19], 0, v7
	v_xor_b32_e32 v7, s19, v20
	v_and_b32_e32 v20, exec_hi, v7
	v_lshlrev_b32_e32 v7, 30, v3
	v_xor_b32_e32 v19, s18, v19
	v_cmp_gt_i64_e64 s[18:19], 0, v[6:7]
	v_not_b32_e32 v7, v7
	v_ashrrev_i32_e32 v7, 31, v7
	v_and_b32_e32 v19, exec_lo, v19
	v_xor_b32_e32 v21, s19, v7
	v_xor_b32_e32 v7, s18, v7
	v_and_b32_e32 v19, v19, v7
	v_lshlrev_b32_e32 v7, 29, v3
	v_cmp_gt_i64_e64 s[18:19], 0, v[6:7]
	v_not_b32_e32 v7, v7
	v_ashrrev_i32_e32 v7, 31, v7
	v_and_b32_e32 v20, v20, v21
	v_xor_b32_e32 v21, s19, v7
	v_xor_b32_e32 v7, s18, v7
	v_and_b32_e32 v19, v19, v7
	v_lshlrev_b32_e32 v7, 28, v3
	v_cmp_gt_i64_e64 s[18:19], 0, v[6:7]
	v_not_b32_e32 v7, v7
	v_ashrrev_i32_e32 v7, 31, v7
	v_and_b32_e32 v20, v20, v21
	v_xor_b32_e32 v21, s19, v7
	v_xor_b32_e32 v7, s18, v7
	v_and_b32_e32 v19, v19, v7
	v_lshlrev_b32_e32 v7, 27, v3
	v_cmp_gt_i64_e64 s[18:19], 0, v[6:7]
	v_not_b32_e32 v7, v7
	v_ashrrev_i32_e32 v7, 31, v7
	v_and_b32_e32 v20, v20, v21
	v_xor_b32_e32 v21, s19, v7
	v_xor_b32_e32 v7, s18, v7
	v_and_b32_e32 v19, v19, v7
	v_lshlrev_b32_e32 v7, 26, v3
	v_cmp_gt_i64_e64 s[18:19], 0, v[6:7]
	v_not_b32_e32 v7, v7
	v_ashrrev_i32_e32 v7, 31, v7
	v_and_b32_e32 v20, v20, v21
	v_xor_b32_e32 v21, s19, v7
	v_xor_b32_e32 v7, s18, v7
	v_and_b32_e32 v19, v19, v7
	v_lshlrev_b32_e32 v7, 25, v3
	v_cmp_gt_i64_e64 s[18:19], 0, v[6:7]
	v_not_b32_e32 v7, v7
	v_ashrrev_i32_e32 v7, 31, v7
	v_and_b32_e32 v20, v20, v21
	v_xor_b32_e32 v21, s19, v7
	v_xor_b32_e32 v7, s18, v7
	v_and_b32_e32 v19, v19, v7
	v_lshlrev_b32_e32 v7, 24, v3
	v_mul_u32_u24_e32 v8, 36, v3
	v_cmp_gt_i64_e64 s[18:19], 0, v[6:7]
	v_not_b32_e32 v3, v7
	v_ashrrev_i32_e32 v3, 31, v3
	v_and_b32_e32 v20, v20, v21
	v_xor_b32_e32 v6, s19, v3
	v_xor_b32_e32 v3, s18, v3
	v_and_b32_e32 v7, v20, v6
	v_and_b32_e32 v6, v19, v3
	v_mbcnt_lo_u32_b32 v3, v6, 0
	v_mbcnt_hi_u32_b32 v19, v7, v3
	v_cmp_ne_u64_e64 s[18:19], 0, v[6:7]
	v_cmp_eq_u32_e64 s[20:21], 0, v19
	s_and_b64 s[20:21], s[18:19], s[20:21]
	v_add_u32_e32 v30, v31, v8
	; wave barrier
	s_and_saveexec_b64 s[18:19], s[20:21]
	s_cbranch_execz .LBB1419_21
; %bb.20:
	v_bcnt_u32_b32 v3, v6, 0
	v_bcnt_u32_b32 v3, v7, v3
	s_waitcnt lgkmcnt(0)
	v_add_u32_e32 v3, v18, v3
	ds_write_b32 v30, v3 offset:32
.LBB1419_21:
	s_or_b64 exec, exec, s[18:19]
	v_xor_b32_e32 v28, 0xffff8000, v4
	v_lshrrev_b32_sdwa v3, s44, v28 dst_sel:DWORD dst_unused:UNUSED_PAD src0_sel:DWORD src1_sel:WORD_0
	v_and_b32_e32 v3, s53, v3
	v_and_b32_e32 v7, 1, v3
	v_add_co_u32_e64 v8, s[18:19], -1, v7
	v_addc_co_u32_e64 v21, s[18:19], 0, -1, s[18:19]
	v_cmp_ne_u32_e64 s[18:19], 0, v7
	v_mad_u32_u24 v6, v3, 36, v31
	v_xor_b32_e32 v7, s19, v21
	; wave barrier
	ds_read_b32 v20, v6 offset:32
	v_mov_b32_e32 v6, 0
	v_and_b32_e32 v21, exec_hi, v7
	v_lshlrev_b32_e32 v7, 30, v3
	v_xor_b32_e32 v8, s18, v8
	v_cmp_gt_i64_e64 s[18:19], 0, v[6:7]
	v_not_b32_e32 v7, v7
	v_ashrrev_i32_e32 v7, 31, v7
	v_and_b32_e32 v8, exec_lo, v8
	v_xor_b32_e32 v23, s19, v7
	v_xor_b32_e32 v7, s18, v7
	v_and_b32_e32 v8, v8, v7
	v_lshlrev_b32_e32 v7, 29, v3
	v_cmp_gt_i64_e64 s[18:19], 0, v[6:7]
	v_not_b32_e32 v7, v7
	v_ashrrev_i32_e32 v7, 31, v7
	v_and_b32_e32 v21, v21, v23
	v_xor_b32_e32 v23, s19, v7
	v_xor_b32_e32 v7, s18, v7
	v_and_b32_e32 v8, v8, v7
	v_lshlrev_b32_e32 v7, 28, v3
	v_cmp_gt_i64_e64 s[18:19], 0, v[6:7]
	v_not_b32_e32 v7, v7
	v_ashrrev_i32_e32 v7, 31, v7
	v_and_b32_e32 v21, v21, v23
	;; [unrolled: 8-line block ×5, first 2 shown]
	v_xor_b32_e32 v23, s19, v7
	v_xor_b32_e32 v7, s18, v7
	v_and_b32_e32 v21, v21, v23
	v_and_b32_e32 v23, v8, v7
	v_lshlrev_b32_e32 v7, 24, v3
	v_mul_u32_u24_e32 v22, 36, v3
	v_cmp_gt_i64_e64 s[18:19], 0, v[6:7]
	v_not_b32_e32 v3, v7
	v_ashrrev_i32_e32 v3, 31, v3
	v_xor_b32_e32 v7, s19, v3
	v_xor_b32_e32 v3, s18, v3
	v_and_b32_e32 v8, v21, v7
	v_and_b32_e32 v7, v23, v3
	v_mbcnt_lo_u32_b32 v3, v7, 0
	v_mbcnt_hi_u32_b32 v21, v8, v3
	v_cmp_ne_u64_e64 s[18:19], 0, v[7:8]
	v_cmp_eq_u32_e64 s[20:21], 0, v21
	s_and_b64 s[20:21], s[18:19], s[20:21]
	v_add_u32_e32 v33, v31, v22
	; wave barrier
	s_and_saveexec_b64 s[18:19], s[20:21]
	s_cbranch_execz .LBB1419_23
; %bb.22:
	v_bcnt_u32_b32 v3, v7, 0
	v_bcnt_u32_b32 v3, v8, v3
	s_waitcnt lgkmcnt(0)
	v_add_u32_e32 v3, v20, v3
	ds_write_b32 v33, v3 offset:32
.LBB1419_23:
	s_or_b64 exec, exec, s[18:19]
	v_xor_b32_sdwa v8, v4, s24 dst_sel:DWORD dst_unused:UNUSED_PAD src0_sel:WORD_1 src1_sel:DWORD
	v_lshrrev_b32_sdwa v3, s44, v8 dst_sel:DWORD dst_unused:UNUSED_PAD src0_sel:DWORD src1_sel:WORD_0
	v_and_b32_e32 v3, s53, v3
	v_mad_u32_u24 v4, v3, 36, v31
	; wave barrier
	ds_read_b32 v22, v4 offset:32
	v_and_b32_e32 v4, 1, v3
	v_add_co_u32_e64 v7, s[18:19], -1, v4
	v_addc_co_u32_e64 v23, s[18:19], 0, -1, s[18:19]
	v_cmp_ne_u32_e64 s[18:19], 0, v4
	v_xor_b32_e32 v7, s18, v7
	v_xor_b32_e32 v4, s19, v23
	v_and_b32_e32 v23, exec_lo, v7
	v_lshlrev_b32_e32 v7, 30, v3
	v_cmp_gt_i64_e64 s[18:19], 0, v[6:7]
	v_not_b32_e32 v7, v7
	v_ashrrev_i32_e32 v7, 31, v7
	v_xor_b32_e32 v25, s19, v7
	v_xor_b32_e32 v7, s18, v7
	v_and_b32_e32 v23, v23, v7
	v_lshlrev_b32_e32 v7, 29, v3
	v_cmp_gt_i64_e64 s[18:19], 0, v[6:7]
	v_not_b32_e32 v7, v7
	v_and_b32_e32 v4, exec_hi, v4
	v_ashrrev_i32_e32 v7, 31, v7
	v_and_b32_e32 v4, v4, v25
	v_xor_b32_e32 v25, s19, v7
	v_xor_b32_e32 v7, s18, v7
	v_and_b32_e32 v23, v23, v7
	v_lshlrev_b32_e32 v7, 28, v3
	v_cmp_gt_i64_e64 s[18:19], 0, v[6:7]
	v_not_b32_e32 v7, v7
	v_ashrrev_i32_e32 v7, 31, v7
	v_and_b32_e32 v4, v4, v25
	v_xor_b32_e32 v25, s19, v7
	v_xor_b32_e32 v7, s18, v7
	v_and_b32_e32 v23, v23, v7
	v_lshlrev_b32_e32 v7, 27, v3
	v_cmp_gt_i64_e64 s[18:19], 0, v[6:7]
	v_not_b32_e32 v7, v7
	;; [unrolled: 8-line block ×4, first 2 shown]
	v_ashrrev_i32_e32 v7, 31, v7
	v_and_b32_e32 v4, v4, v25
	v_xor_b32_e32 v25, s19, v7
	v_xor_b32_e32 v7, s18, v7
	v_and_b32_e32 v23, v23, v7
	v_lshlrev_b32_e32 v7, 24, v3
	v_mul_u32_u24_e32 v24, 36, v3
	v_cmp_gt_i64_e64 s[18:19], 0, v[6:7]
	v_not_b32_e32 v3, v7
	v_ashrrev_i32_e32 v3, 31, v3
	v_xor_b32_e32 v6, s19, v3
	v_xor_b32_e32 v3, s18, v3
	v_and_b32_e32 v4, v4, v25
	v_and_b32_e32 v3, v23, v3
	;; [unrolled: 1-line block ×3, first 2 shown]
	v_mbcnt_lo_u32_b32 v6, v3, 0
	v_mbcnt_hi_u32_b32 v23, v4, v6
	v_cmp_ne_u64_e64 s[18:19], 0, v[3:4]
	v_cmp_eq_u32_e64 s[20:21], 0, v23
	s_and_b64 s[20:21], s[18:19], s[20:21]
	v_add_u32_e32 v34, v31, v24
	; wave barrier
	s_and_saveexec_b64 s[18:19], s[20:21]
	s_cbranch_execz .LBB1419_25
; %bb.24:
	v_bcnt_u32_b32 v3, v3, 0
	v_bcnt_u32_b32 v3, v4, v3
	s_waitcnt lgkmcnt(0)
	v_add_u32_e32 v3, v22, v3
	ds_write_b32 v34, v3 offset:32
.LBB1419_25:
	s_or_b64 exec, exec, s[18:19]
	v_xor_b32_e32 v37, 0xffff8000, v5
	v_lshrrev_b32_sdwa v3, s44, v37 dst_sel:DWORD dst_unused:UNUSED_PAD src0_sel:DWORD src1_sel:WORD_0
	v_and_b32_e32 v6, s53, v3
	v_and_b32_e32 v4, 1, v6
	v_add_co_u32_e64 v7, s[18:19], -1, v4
	v_addc_co_u32_e64 v25, s[18:19], 0, -1, s[18:19]
	v_cmp_ne_u32_e64 s[18:19], 0, v4
	v_mad_u32_u24 v3, v6, 36, v31
	v_xor_b32_e32 v4, s19, v25
	; wave barrier
	ds_read_b32 v24, v3 offset:32
	v_mov_b32_e32 v3, 0
	v_and_b32_e32 v25, exec_hi, v4
	v_lshlrev_b32_e32 v4, 30, v6
	v_xor_b32_e32 v7, s18, v7
	v_cmp_gt_i64_e64 s[18:19], 0, v[3:4]
	v_not_b32_e32 v4, v4
	v_ashrrev_i32_e32 v4, 31, v4
	v_and_b32_e32 v7, exec_lo, v7
	v_xor_b32_e32 v29, s19, v4
	v_xor_b32_e32 v4, s18, v4
	v_and_b32_e32 v7, v7, v4
	v_lshlrev_b32_e32 v4, 29, v6
	v_cmp_gt_i64_e64 s[18:19], 0, v[3:4]
	v_not_b32_e32 v4, v4
	v_ashrrev_i32_e32 v4, 31, v4
	v_and_b32_e32 v25, v25, v29
	v_xor_b32_e32 v29, s19, v4
	v_xor_b32_e32 v4, s18, v4
	v_and_b32_e32 v7, v7, v4
	v_lshlrev_b32_e32 v4, 28, v6
	v_cmp_gt_i64_e64 s[18:19], 0, v[3:4]
	v_not_b32_e32 v4, v4
	v_ashrrev_i32_e32 v4, 31, v4
	v_and_b32_e32 v25, v25, v29
	;; [unrolled: 8-line block ×5, first 2 shown]
	v_xor_b32_e32 v29, s19, v4
	v_xor_b32_e32 v4, s18, v4
	v_and_b32_e32 v25, v25, v29
	v_and_b32_e32 v29, v7, v4
	v_lshlrev_b32_e32 v4, 24, v6
	v_cmp_gt_i64_e64 s[18:19], 0, v[3:4]
	v_not_b32_e32 v4, v4
	v_ashrrev_i32_e32 v4, 31, v4
	v_mul_u32_u24_e32 v26, 36, v6
	v_xor_b32_e32 v6, s19, v4
	v_xor_b32_e32 v4, s18, v4
	v_and_b32_e32 v7, v25, v6
	v_and_b32_e32 v6, v29, v4
	v_mbcnt_lo_u32_b32 v4, v6, 0
	v_mbcnt_hi_u32_b32 v25, v7, v4
	v_cmp_ne_u64_e64 s[18:19], 0, v[6:7]
	v_cmp_eq_u32_e64 s[20:21], 0, v25
	s_and_b64 s[20:21], s[18:19], s[20:21]
	v_add_u32_e32 v35, v31, v26
	; wave barrier
	s_and_saveexec_b64 s[18:19], s[20:21]
	s_cbranch_execz .LBB1419_27
; %bb.26:
	v_bcnt_u32_b32 v4, v6, 0
	v_bcnt_u32_b32 v4, v7, v4
	s_waitcnt lgkmcnt(0)
	v_add_u32_e32 v4, v24, v4
	ds_write_b32 v35, v4 offset:32
.LBB1419_27:
	s_or_b64 exec, exec, s[18:19]
	v_xor_b32_sdwa v7, v5, s24 dst_sel:DWORD dst_unused:UNUSED_PAD src0_sel:WORD_1 src1_sel:DWORD
	v_lshrrev_b32_sdwa v4, s44, v7 dst_sel:DWORD dst_unused:UNUSED_PAD src0_sel:DWORD src1_sel:WORD_0
	v_and_b32_e32 v5, s53, v4
	v_mad_u32_u24 v4, v5, 36, v31
	; wave barrier
	ds_read_b32 v26, v4 offset:32
	v_and_b32_e32 v4, 1, v5
	v_add_co_u32_e64 v29, s[18:19], -1, v4
	v_addc_co_u32_e64 v32, s[18:19], 0, -1, s[18:19]
	v_cmp_ne_u32_e64 s[18:19], 0, v4
	v_xor_b32_e32 v4, s19, v32
	v_and_b32_e32 v32, exec_hi, v4
	v_lshlrev_b32_e32 v4, 30, v5
	v_xor_b32_e32 v29, s18, v29
	v_cmp_gt_i64_e64 s[18:19], 0, v[3:4]
	v_not_b32_e32 v4, v4
	v_ashrrev_i32_e32 v4, 31, v4
	v_and_b32_e32 v29, exec_lo, v29
	v_xor_b32_e32 v36, s19, v4
	v_xor_b32_e32 v4, s18, v4
	v_and_b32_e32 v29, v29, v4
	v_lshlrev_b32_e32 v4, 29, v5
	v_cmp_gt_i64_e64 s[18:19], 0, v[3:4]
	v_not_b32_e32 v4, v4
	v_ashrrev_i32_e32 v4, 31, v4
	v_and_b32_e32 v32, v32, v36
	v_xor_b32_e32 v36, s19, v4
	v_xor_b32_e32 v4, s18, v4
	v_and_b32_e32 v29, v29, v4
	v_lshlrev_b32_e32 v4, 28, v5
	v_cmp_gt_i64_e64 s[18:19], 0, v[3:4]
	v_not_b32_e32 v4, v4
	v_ashrrev_i32_e32 v4, 31, v4
	v_and_b32_e32 v32, v32, v36
	;; [unrolled: 8-line block ×5, first 2 shown]
	v_xor_b32_e32 v36, s19, v4
	v_xor_b32_e32 v4, s18, v4
	v_and_b32_e32 v29, v29, v4
	v_lshlrev_b32_e32 v4, 24, v5
	v_cmp_gt_i64_e64 s[18:19], 0, v[3:4]
	v_not_b32_e32 v3, v4
	v_ashrrev_i32_e32 v3, 31, v3
	v_xor_b32_e32 v4, s19, v3
	v_xor_b32_e32 v3, s18, v3
	v_and_b32_e32 v32, v32, v36
	v_and_b32_e32 v3, v29, v3
	v_mul_u32_u24_e32 v6, 36, v5
	v_and_b32_e32 v4, v32, v4
	v_mbcnt_lo_u32_b32 v5, v3, 0
	v_mbcnt_hi_u32_b32 v29, v4, v5
	v_cmp_ne_u64_e64 s[18:19], 0, v[3:4]
	v_cmp_eq_u32_e64 s[20:21], 0, v29
	s_and_b64 s[20:21], s[18:19], s[20:21]
	v_add_u32_e32 v31, v31, v6
	; wave barrier
	s_and_saveexec_b64 s[18:19], s[20:21]
	s_cbranch_execz .LBB1419_29
; %bb.28:
	v_bcnt_u32_b32 v3, v3, 0
	v_bcnt_u32_b32 v3, v4, v3
	s_waitcnt lgkmcnt(0)
	v_add_u32_e32 v3, v26, v3
	ds_write_b32 v31, v3 offset:32
.LBB1419_29:
	s_or_b64 exec, exec, s[18:19]
	; wave barrier
	s_waitcnt lgkmcnt(0)
	s_barrier
	ds_read2_b32 v[5:6], v14 offset0:8 offset1:9
	ds_read2_b32 v[3:4], v14 offset0:10 offset1:11
	ds_read_b32 v32, v14 offset:48
	v_min_u32_e32 v12, 0x1c0, v12
	v_or_b32_e32 v12, 63, v12
	s_waitcnt lgkmcnt(1)
	v_add3_u32 v36, v6, v5, v3
	s_waitcnt lgkmcnt(0)
	v_add3_u32 v32, v36, v4, v32
	v_and_b32_e32 v36, 15, v11
	v_cmp_ne_u32_e64 s[18:19], 0, v36
	v_mov_b32_dpp v38, v32 row_shr:1 row_mask:0xf bank_mask:0xf
	v_cndmask_b32_e64 v38, 0, v38, s[18:19]
	v_add_u32_e32 v32, v38, v32
	v_cmp_lt_u32_e64 s[18:19], 1, v36
	s_nop 0
	v_mov_b32_dpp v38, v32 row_shr:2 row_mask:0xf bank_mask:0xf
	v_cndmask_b32_e64 v38, 0, v38, s[18:19]
	v_add_u32_e32 v32, v32, v38
	v_cmp_lt_u32_e64 s[18:19], 3, v36
	s_nop 0
	;; [unrolled: 5-line block ×3, first 2 shown]
	v_mov_b32_dpp v38, v32 row_shr:8 row_mask:0xf bank_mask:0xf
	v_cndmask_b32_e64 v36, 0, v38, s[18:19]
	v_add_u32_e32 v32, v32, v36
	v_bfe_i32 v38, v11, 4, 1
	v_cmp_lt_u32_e64 s[18:19], 31, v11
	v_mov_b32_dpp v36, v32 row_bcast:15 row_mask:0xf bank_mask:0xf
	v_and_b32_e32 v36, v38, v36
	v_add_u32_e32 v32, v32, v36
	s_nop 1
	v_mov_b32_dpp v36, v32 row_bcast:31 row_mask:0xf bank_mask:0xf
	v_cndmask_b32_e64 v36, 0, v36, s[18:19]
	v_add_u32_e32 v32, v32, v36
	v_lshrrev_b32_e32 v36, 6, v0
	v_cmp_eq_u32_e64 s[18:19], v0, v12
	s_and_saveexec_b64 s[20:21], s[18:19]
; %bb.30:
	v_lshlrev_b32_e32 v12, 2, v36
	ds_write_b32 v12, v32
; %bb.31:
	s_or_b64 exec, exec, s[20:21]
	v_cmp_gt_u32_e64 s[18:19], 8, v0
	s_waitcnt lgkmcnt(0)
	s_barrier
	s_and_saveexec_b64 s[24:25], s[18:19]
	s_cbranch_execz .LBB1419_33
; %bb.32:
	v_lshlrev_b32_e32 v12, 2, v0
	ds_read_b32 v38, v12
	v_and_b32_e32 v39, 7, v11
	v_cmp_ne_u32_e64 s[18:19], 0, v39
	v_cmp_lt_u32_e64 s[20:21], 1, v39
	s_waitcnt lgkmcnt(0)
	v_mov_b32_dpp v40, v38 row_shr:1 row_mask:0xf bank_mask:0xf
	v_cndmask_b32_e64 v40, 0, v40, s[18:19]
	v_add_u32_e32 v38, v40, v38
	v_cmp_lt_u32_e64 s[18:19], 3, v39
	s_nop 0
	v_mov_b32_dpp v40, v38 row_shr:2 row_mask:0xf bank_mask:0xf
	v_cndmask_b32_e64 v40, 0, v40, s[20:21]
	v_add_u32_e32 v38, v38, v40
	s_nop 1
	v_mov_b32_dpp v40, v38 row_shr:4 row_mask:0xf bank_mask:0xf
	v_cndmask_b32_e64 v39, 0, v40, s[18:19]
	v_add_u32_e32 v38, v38, v39
	ds_write_b32 v12, v38
.LBB1419_33:
	s_or_b64 exec, exec, s[24:25]
	v_cmp_lt_u32_e64 s[18:19], 63, v0
	v_mov_b32_e32 v12, 0
	s_waitcnt lgkmcnt(0)
	s_barrier
	s_and_saveexec_b64 s[20:21], s[18:19]
; %bb.34:
	v_lshl_add_u32 v12, v36, 2, -4
	ds_read_b32 v12, v12
; %bb.35:
	s_or_b64 exec, exec, s[20:21]
	v_subrev_co_u32_e64 v36, s[18:19], 1, v11
	v_and_b32_e32 v38, 64, v11
	v_cmp_lt_i32_e64 s[20:21], v36, v38
	v_cndmask_b32_e64 v11, v36, v11, s[20:21]
	s_waitcnt lgkmcnt(0)
	v_add_u32_e32 v32, v12, v32
	v_lshlrev_b32_e32 v11, 2, v11
	ds_bpermute_b32 v11, v11, v32
	s_movk_i32 s24, 0x100
	v_cmp_gt_u32_e64 s[20:21], s24, v0
	s_waitcnt lgkmcnt(0)
	v_cndmask_b32_e64 v11, v11, v12, s[18:19]
	v_cndmask_b32_e64 v11, v11, 0, s[22:23]
	v_add_u32_e32 v5, v11, v5
	v_add_u32_e32 v6, v5, v6
	;; [unrolled: 1-line block ×4, first 2 shown]
	ds_write2_b32 v14, v11, v5 offset0:8 offset1:9
	ds_write2_b32 v14, v6, v3 offset0:10 offset1:11
	ds_write_b32 v14, v4 offset:48
	s_waitcnt lgkmcnt(0)
	s_barrier
	ds_read_b32 v3, v27 offset:32
	ds_read_b32 v32, v30 offset:32
	;; [unrolled: 1-line block ×6, first 2 shown]
	s_movk_i32 s18, 0xff
	v_cmp_lt_u32_e64 s[18:19], s18, v0
                                        ; implicit-def: $vgpr27
                                        ; implicit-def: $vgpr30
	s_and_saveexec_b64 s[46:47], s[20:21]
	s_cbranch_execz .LBB1419_39
; %bb.36:
	v_mul_u32_u24_e32 v4, 36, v0
	ds_read_b32 v27, v4 offset:32
	v_add_u32_e32 v5, 1, v0
	v_cmp_ne_u32_e64 s[24:25], s24, v5
	v_mov_b32_e32 v4, 0xc00
	s_and_saveexec_b64 s[48:49], s[24:25]
; %bb.37:
	v_mul_u32_u24_e32 v4, 36, v5
	ds_read_b32 v4, v4 offset:32
; %bb.38:
	s_or_b64 exec, exec, s[48:49]
	s_waitcnt lgkmcnt(0)
	v_sub_u32_e32 v30, v4, v27
.LBB1419_39:
	s_or_b64 exec, exec, s[46:47]
	s_waitcnt lgkmcnt(5)
	v_add_u32_e32 v31, v3, v15
	v_add_u32_e32 v12, v19, v18
	v_lshlrev_b32_e32 v3, 1, v31
	v_add_u32_e32 v11, v21, v20
	s_waitcnt lgkmcnt(0)
	s_barrier
	ds_write_b16 v3, v13 offset:1024
	v_add_lshl_u32 v3, v12, v32, 1
	v_add_u32_e32 v6, v23, v22
	ds_write_b16 v3, v16 offset:1024
	v_add_lshl_u32 v3, v11, v33, 1
	v_add_u32_e32 v5, v25, v24
	;; [unrolled: 3-line block ×3, first 2 shown]
	ds_write_b16 v3, v8 offset:1024
	v_add_lshl_u32 v3, v5, v35, 1
	ds_write_b16 v3, v37 offset:1024
	v_add_lshl_u32 v3, v4, v36, 1
	v_mov_b32_e32 v4, 0
	v_lshlrev_b32_e32 v28, 2, v0
	ds_write_b16 v3, v7 offset:1024
	s_and_saveexec_b64 s[24:25], s[20:21]
	s_cbranch_execz .LBB1419_49
; %bb.40:
	v_lshl_add_u32 v3, s33, 8, v0
	v_lshlrev_b64 v[5:6], 2, v[3:4]
	v_mov_b32_e32 v11, s35
	v_add_co_u32_e64 v5, s[20:21], s34, v5
	v_addc_co_u32_e64 v6, s[20:21], v11, v6, s[20:21]
	v_or_b32_e32 v3, 2.0, v30
	s_mov_b64 s[46:47], 0
	s_brev_b32 s54, -4
	s_mov_b32 s55, s33
	v_mov_b32_e32 v12, 0
	global_store_dword v[5:6], v3, off
                                        ; implicit-def: $sgpr20_sgpr21
	s_branch .LBB1419_43
.LBB1419_41:                            ;   in Loop: Header=BB1419_43 Depth=1
	s_or_b64 exec, exec, s[50:51]
.LBB1419_42:                            ;   in Loop: Header=BB1419_43 Depth=1
	s_or_b64 exec, exec, s[48:49]
	v_and_b32_e32 v7, 0x3fffffff, v3
	v_add_u32_e32 v12, v7, v12
	v_cmp_gt_i32_e64 s[20:21], -2.0, v3
	s_and_b64 s[48:49], exec, s[20:21]
	s_or_b64 s[46:47], s[48:49], s[46:47]
	s_andn2_b64 exec, exec, s[46:47]
	s_cbranch_execz .LBB1419_48
.LBB1419_43:                            ; =>This Loop Header: Depth=1
                                        ;     Child Loop BB1419_46 Depth 2
	s_or_b64 s[20:21], s[20:21], exec
	s_cmp_eq_u32 s55, 0
	s_cbranch_scc1 .LBB1419_47
; %bb.44:                               ;   in Loop: Header=BB1419_43 Depth=1
	s_add_i32 s55, s55, -1
	v_lshl_or_b32 v3, s55, 8, v0
	v_lshlrev_b64 v[7:8], 2, v[3:4]
	v_add_co_u32_e64 v7, s[20:21], s34, v7
	v_addc_co_u32_e64 v8, s[20:21], v11, v8, s[20:21]
	global_load_dword v3, v[7:8], off glc
	s_waitcnt vmcnt(0)
	v_cmp_gt_u32_e64 s[20:21], 2.0, v3
	s_and_saveexec_b64 s[48:49], s[20:21]
	s_cbranch_execz .LBB1419_42
; %bb.45:                               ;   in Loop: Header=BB1419_43 Depth=1
	s_mov_b64 s[50:51], 0
.LBB1419_46:                            ;   Parent Loop BB1419_43 Depth=1
                                        ; =>  This Inner Loop Header: Depth=2
	global_load_dword v3, v[7:8], off glc
	s_waitcnt vmcnt(0)
	v_cmp_lt_u32_e64 s[20:21], s54, v3
	s_or_b64 s[50:51], s[20:21], s[50:51]
	s_andn2_b64 exec, exec, s[50:51]
	s_cbranch_execnz .LBB1419_46
	s_branch .LBB1419_41
.LBB1419_47:                            ;   in Loop: Header=BB1419_43 Depth=1
                                        ; implicit-def: $sgpr55
	s_and_b64 s[48:49], exec, s[20:21]
	s_or_b64 s[46:47], s[48:49], s[46:47]
	s_andn2_b64 exec, exec, s[46:47]
	s_cbranch_execnz .LBB1419_43
.LBB1419_48:
	s_or_b64 exec, exec, s[46:47]
	v_add_u32_e32 v3, v12, v30
	v_or_b32_e32 v3, 0x80000000, v3
	global_store_dword v[5:6], v3, off
	global_load_dword v3, v28, s[28:29]
	v_sub_u32_e32 v4, v12, v27
	s_waitcnt vmcnt(0)
	v_add_u32_e32 v3, v4, v3
	ds_write_b32 v28, v3
.LBB1419_49:
	s_or_b64 exec, exec, s[24:25]
	v_cmp_gt_u32_e64 s[20:21], s7, v0
	s_waitcnt lgkmcnt(0)
	s_barrier
	s_and_saveexec_b64 s[24:25], s[20:21]
	s_cbranch_execz .LBB1419_51
; %bb.50:
	v_lshlrev_b32_e32 v3, 1, v0
	v_sub_u32_e32 v3, v28, v3
	ds_read_u16 v3, v3 offset:1024
	v_mov_b32_e32 v7, s39
	s_waitcnt lgkmcnt(0)
	v_lshrrev_b32_sdwa v4, s44, v3 dst_sel:DWORD dst_unused:UNUSED_PAD src0_sel:DWORD src1_sel:WORD_0
	v_and_b32_e32 v5, s53, v4
	v_lshlrev_b32_e32 v4, 2, v5
	ds_read_b32 v6, v4
	v_mov_b32_e32 v4, 0
	v_xor_b32_e32 v8, 0xffff8000, v3
	buffer_store_dword v5, off, s[0:3], 0
	s_waitcnt lgkmcnt(0)
	v_add_u32_e32 v3, v6, v0
	v_lshlrev_b64 v[3:4], 1, v[3:4]
	v_add_co_u32_e64 v3, s[20:21], s38, v3
	v_addc_co_u32_e64 v4, s[20:21], v7, v4, s[20:21]
	global_store_short v[3:4], v8, off
.LBB1419_51:
	s_or_b64 exec, exec, s[24:25]
	v_or_b32_e32 v3, 0x200, v0
	v_cmp_gt_u32_e64 s[20:21], s7, v3
	s_and_saveexec_b64 s[24:25], s[20:21]
	s_cbranch_execz .LBB1419_53
; %bb.52:
	v_lshlrev_b32_e32 v4, 1, v0
	v_sub_u32_e32 v4, v28, v4
	ds_read_u16 v5, v4 offset:2048
	v_mov_b32_e32 v8, s39
	s_waitcnt lgkmcnt(0)
	v_lshrrev_b32_sdwa v4, s44, v5 dst_sel:DWORD dst_unused:UNUSED_PAD src0_sel:DWORD src1_sel:WORD_0
	v_and_b32_e32 v6, s53, v4
	v_lshlrev_b32_e32 v4, 2, v6
	ds_read_b32 v7, v4
	v_mov_b32_e32 v4, 0
	v_xor_b32_e32 v5, 0xffff8000, v5
	buffer_store_dword v6, off, s[0:3], 0 offset:4
	s_waitcnt lgkmcnt(0)
	v_add_u32_e32 v3, v7, v3
	v_lshlrev_b64 v[3:4], 1, v[3:4]
	v_add_co_u32_e64 v3, s[20:21], s38, v3
	v_addc_co_u32_e64 v4, s[20:21], v8, v4, s[20:21]
	global_store_short v[3:4], v5, off
.LBB1419_53:
	s_or_b64 exec, exec, s[24:25]
	v_or_b32_e32 v3, 0x400, v0
	v_cmp_gt_u32_e64 s[20:21], s7, v3
	s_and_saveexec_b64 s[24:25], s[20:21]
	s_cbranch_execz .LBB1419_55
; %bb.54:
	v_lshlrev_b32_e32 v4, 1, v0
	v_sub_u32_e32 v4, v28, v4
	ds_read_u16 v5, v4 offset:3072
	v_mov_b32_e32 v8, s39
	s_waitcnt lgkmcnt(0)
	v_lshrrev_b32_sdwa v4, s44, v5 dst_sel:DWORD dst_unused:UNUSED_PAD src0_sel:DWORD src1_sel:WORD_0
	v_and_b32_e32 v6, s53, v4
	v_lshlrev_b32_e32 v4, 2, v6
	ds_read_b32 v7, v4
	v_mov_b32_e32 v4, 0
	v_xor_b32_e32 v5, 0xffff8000, v5
	buffer_store_dword v6, off, s[0:3], 0 offset:8
	s_waitcnt lgkmcnt(0)
	v_add_u32_e32 v3, v7, v3
	v_lshlrev_b64 v[3:4], 1, v[3:4]
	v_add_co_u32_e64 v3, s[20:21], s38, v3
	v_addc_co_u32_e64 v4, s[20:21], v8, v4, s[20:21]
	global_store_short v[3:4], v5, off
.LBB1419_55:
	;; [unrolled: 25-line block ×5, first 2 shown]
	s_or_b64 exec, exec, s[24:25]
	s_lshl_b64 s[20:21], s[26:27], 3
	s_add_u32 s20, s40, s20
	s_addc_u32 s21, s41, s21
	v_lshlrev_b32_e32 v3, 3, v10
	v_mov_b32_e32 v4, s21
	v_add_co_u32_e64 v3, s[20:21], s20, v3
	v_addc_co_u32_e64 v4, s[20:21], 0, v4, s[20:21]
	v_lshlrev_b32_e32 v5, 3, v9
	v_add_co_u32_e64 v15, s[20:21], v3, v5
	v_addc_co_u32_e64 v16, s[20:21], 0, v4, s[20:21]
                                        ; implicit-def: $vgpr3_vgpr4
	s_and_saveexec_b64 s[20:21], vcc
	s_xor_b64 s[20:21], exec, s[20:21]
	s_cbranch_execz .LBB1419_67
; %bb.62:
	global_load_dwordx2 v[3:4], v[15:16], off
	s_or_b64 exec, exec, s[20:21]
                                        ; implicit-def: $vgpr5_vgpr6
	s_and_saveexec_b64 s[20:21], s[8:9]
	s_cbranch_execnz .LBB1419_68
.LBB1419_63:
	s_or_b64 exec, exec, s[20:21]
                                        ; implicit-def: $vgpr7_vgpr8
	s_and_saveexec_b64 s[8:9], s[10:11]
	s_cbranch_execz .LBB1419_69
.LBB1419_64:
	global_load_dwordx2 v[7:8], v[15:16], off offset:1024
	s_or_b64 exec, exec, s[8:9]
                                        ; implicit-def: $vgpr9_vgpr10
	s_and_saveexec_b64 s[8:9], s[12:13]
	s_cbranch_execnz .LBB1419_70
.LBB1419_65:
	s_or_b64 exec, exec, s[8:9]
                                        ; implicit-def: $vgpr11_vgpr12
	s_and_saveexec_b64 s[8:9], s[14:15]
	s_cbranch_execz .LBB1419_71
.LBB1419_66:
	global_load_dwordx2 v[11:12], v[15:16], off offset:2048
	s_or_b64 exec, exec, s[8:9]
                                        ; implicit-def: $vgpr13_vgpr14
	s_and_saveexec_b64 s[8:9], s[16:17]
	s_cbranch_execnz .LBB1419_72
	s_branch .LBB1419_73
.LBB1419_67:
	s_or_b64 exec, exec, s[20:21]
                                        ; implicit-def: $vgpr5_vgpr6
	s_and_saveexec_b64 s[20:21], s[8:9]
	s_cbranch_execz .LBB1419_63
.LBB1419_68:
	global_load_dwordx2 v[5:6], v[15:16], off offset:512
	s_or_b64 exec, exec, s[20:21]
                                        ; implicit-def: $vgpr7_vgpr8
	s_and_saveexec_b64 s[8:9], s[10:11]
	s_cbranch_execnz .LBB1419_64
.LBB1419_69:
	s_or_b64 exec, exec, s[8:9]
                                        ; implicit-def: $vgpr9_vgpr10
	s_and_saveexec_b64 s[8:9], s[12:13]
	s_cbranch_execz .LBB1419_65
.LBB1419_70:
	global_load_dwordx2 v[9:10], v[15:16], off offset:1536
	s_or_b64 exec, exec, s[8:9]
                                        ; implicit-def: $vgpr11_vgpr12
	s_and_saveexec_b64 s[8:9], s[14:15]
	s_cbranch_execnz .LBB1419_66
.LBB1419_71:
	s_or_b64 exec, exec, s[8:9]
                                        ; implicit-def: $vgpr13_vgpr14
	s_and_saveexec_b64 s[8:9], s[16:17]
	s_cbranch_execz .LBB1419_73
.LBB1419_72:
	global_load_dwordx2 v[13:14], v[15:16], off offset:2560
.LBB1419_73:
	s_or_b64 exec, exec, s[8:9]
	v_lshlrev_b32_e32 v37, 3, v0
	v_add3_u32 v26, v29, v36, v26
	v_add3_u32 v24, v25, v35, v24
	;; [unrolled: 1-line block ×5, first 2 shown]
	s_mov_b32 s10, 0
	s_mov_b32 s11, 0
	v_mov_b32_e32 v16, 0
	s_movk_i32 s12, 0x200
	v_mov_b32_e32 v19, v0
	s_waitcnt vmcnt(0)
	s_barrier
	s_branch .LBB1419_75
.LBB1419_74:                            ;   in Loop: Header=BB1419_75 Depth=1
	s_or_b64 exec, exec, s[8:9]
	s_addk_i32 s11, 0xfc00
	s_add_i32 s10, s10, 8
	s_cmpk_eq_i32 s11, 0xf400
	v_add_u32_e32 v19, 0x400, v19
	s_waitcnt vmcnt(0)
	s_barrier
	s_cbranch_scc1 .LBB1419_79
.LBB1419_75:                            ; =>This Inner Loop Header: Depth=1
	v_add_u32_e32 v15, s11, v31
	v_min_u32_e32 v15, 0x400, v15
	v_lshlrev_b32_e32 v15, 3, v15
	ds_write_b64 v15, v[3:4] offset:1024
	v_add_u32_e32 v15, s11, v18
	v_min_u32_e32 v15, 0x400, v15
	v_lshlrev_b32_e32 v15, 3, v15
	ds_write_b64 v15, v[5:6] offset:1024
	;; [unrolled: 4-line block ×5, first 2 shown]
	v_add_u32_e32 v15, s11, v26
	v_min_u32_e32 v15, 0x400, v15
	v_lshlrev_b32_e32 v15, 3, v15
	v_cmp_gt_u32_e32 vcc, s7, v19
	ds_write_b64 v15, v[13:14] offset:1024
	s_waitcnt lgkmcnt(0)
	s_barrier
	s_and_saveexec_b64 s[8:9], vcc
	s_cbranch_execz .LBB1419_77
; %bb.76:                               ;   in Loop: Header=BB1419_75 Depth=1
	v_mov_b32_e32 v15, s10
	buffer_load_dword v15, v15, s[0:3], 0 offen
	v_mov_b32_e32 v21, s43
	s_waitcnt vmcnt(0)
	v_lshlrev_b32_e32 v15, 2, v15
	ds_read_b32 v15, v15
	ds_read_b64 v[32:33], v37 offset:1024
	s_waitcnt lgkmcnt(1)
	v_add_u32_e32 v15, v19, v15
	v_lshlrev_b64 v[34:35], 3, v[15:16]
	v_add_co_u32_e32 v34, vcc, s42, v34
	v_addc_co_u32_e32 v35, vcc, v21, v35, vcc
	s_waitcnt lgkmcnt(0)
	global_store_dwordx2 v[34:35], v[32:33], off
.LBB1419_77:                            ;   in Loop: Header=BB1419_75 Depth=1
	s_or_b64 exec, exec, s[8:9]
	v_add_u32_e32 v15, 0x200, v19
	v_cmp_gt_u32_e32 vcc, s7, v15
	s_and_saveexec_b64 s[8:9], vcc
	s_cbranch_execz .LBB1419_74
; %bb.78:                               ;   in Loop: Header=BB1419_75 Depth=1
	v_mov_b32_e32 v15, s10
	buffer_load_dword v15, v15, s[0:3], 0 offen offset:4
	v_mov_b32_e32 v21, s43
	s_waitcnt vmcnt(0)
	v_lshlrev_b32_e32 v15, 2, v15
	ds_read_b32 v15, v15
	ds_read_b64 v[32:33], v37 offset:5120
	s_waitcnt lgkmcnt(1)
	v_add3_u32 v15, v19, v15, s12
	v_lshlrev_b64 v[34:35], 3, v[15:16]
	v_add_co_u32_e32 v34, vcc, s42, v34
	v_addc_co_u32_e32 v35, vcc, v21, v35, vcc
	s_waitcnt lgkmcnt(0)
	global_store_dwordx2 v[34:35], v[32:33], off
	s_branch .LBB1419_74
.LBB1419_79:
	s_add_i32 s52, s52, -1
	s_cmp_eq_u32 s33, s52
	s_cselect_b64 s[8:9], -1, 0
	s_xor_b64 s[10:11], s[18:19], -1
	s_and_b64 s[10:11], s[10:11], s[8:9]
	s_and_saveexec_b64 s[8:9], s[10:11]
	s_cbranch_execz .LBB1419_81
; %bb.80:
	ds_read_b32 v3, v28
	s_waitcnt lgkmcnt(0)
	v_add3_u32 v3, v27, v30, v3
	global_store_dword v28, v3, s[30:31]
.LBB1419_81:
	s_or_b64 exec, exec, s[8:9]
	s_mov_b64 s[8:9], 0
.LBB1419_82:
	s_and_b64 vcc, exec, s[8:9]
	s_cbranch_vccz .LBB1419_119
; %bb.83:
	s_mov_b32 s27, 0
	s_lshl_b64 s[8:9], s[26:27], 1
	v_mbcnt_hi_u32_b32 v6, -1, v17
	s_add_u32 s7, s36, s8
	v_and_b32_e32 v8, 63, v6
	s_addc_u32 s8, s37, s9
	v_and_b32_e32 v9, 0x1c0, v0
	v_lshlrev_b32_e32 v3, 1, v8
	v_mul_u32_u24_e32 v7, 6, v9
	v_mov_b32_e32 v4, s8
	v_add_co_u32_e32 v3, vcc, s7, v3
	v_addc_co_u32_e32 v5, vcc, 0, v4, vcc
	v_lshlrev_b32_e32 v4, 1, v7
	v_add_co_u32_e32 v4, vcc, v3, v4
	v_addc_co_u32_e32 v5, vcc, 0, v5, vcc
	global_load_ushort v10, v[4:5], off
	s_load_dword s7, s[4:5], 0x64
	s_load_dword s14, s[4:5], 0x58
	s_add_u32 s4, s4, 0x58
	s_addc_u32 s5, s5, 0
	v_mov_b32_e32 v3, 0
	s_waitcnt lgkmcnt(0)
	s_lshr_b32 s7, s7, 16
	s_cmp_lt_u32 s6, s14
	s_cselect_b32 s6, 12, 18
	s_add_u32 s4, s4, s6
	s_addc_u32 s5, s5, 0
	global_load_ushort v11, v3, s[4:5]
	global_load_ushort v14, v[4:5], off offset:128
	global_load_ushort v17, v[4:5], off offset:256
	;; [unrolled: 1-line block ×5, first 2 shown]
	s_lshl_b32 s4, -1, s45
	s_not_b32 s15, s4
	v_mad_u32_u24 v1, v2, s7, v1
	s_waitcnt vmcnt(6)
	v_xor_b32_e32 v10, 0xffff8000, v10
	v_lshrrev_b32_sdwa v4, s44, v10 dst_sel:DWORD dst_unused:UNUSED_PAD src0_sel:DWORD src1_sel:WORD_0
	v_and_b32_e32 v13, s15, v4
	v_and_b32_e32 v5, 1, v13
	v_add_co_u32_e32 v12, vcc, -1, v5
	v_lshlrev_b32_e32 v4, 30, v13
	v_addc_co_u32_e64 v15, s[4:5], 0, -1, vcc
	v_cmp_ne_u32_e32 vcc, 0, v5
	v_cmp_gt_i64_e64 s[4:5], 0, v[3:4]
	v_not_b32_e32 v5, v4
	v_lshlrev_b32_e32 v4, 29, v13
	v_xor_b32_e32 v15, vcc_hi, v15
	v_ashrrev_i32_e32 v5, 31, v5
	v_xor_b32_e32 v12, vcc_lo, v12
	v_cmp_gt_i64_e32 vcc, 0, v[3:4]
	v_not_b32_e32 v16, v4
	v_lshlrev_b32_e32 v4, 28, v13
	v_and_b32_e32 v15, exec_hi, v15
	v_xor_b32_e32 v18, s5, v5
	v_and_b32_e32 v12, exec_lo, v12
	v_xor_b32_e32 v5, s4, v5
	v_ashrrev_i32_e32 v16, 31, v16
	v_cmp_gt_i64_e64 s[4:5], 0, v[3:4]
	v_not_b32_e32 v20, v4
	v_lshlrev_b32_e32 v4, 27, v13
	v_and_b32_e32 v15, v15, v18
	v_and_b32_e32 v5, v12, v5
	v_xor_b32_e32 v12, vcc_hi, v16
	v_xor_b32_e32 v16, vcc_lo, v16
	v_ashrrev_i32_e32 v18, 31, v20
	v_cmp_gt_i64_e32 vcc, 0, v[3:4]
	v_not_b32_e32 v20, v4
	v_lshlrev_b32_e32 v4, 26, v13
	v_and_b32_e32 v12, v15, v12
	v_and_b32_e32 v5, v5, v16
	v_xor_b32_e32 v15, s5, v18
	v_xor_b32_e32 v16, s4, v18
	v_ashrrev_i32_e32 v18, 31, v20
	v_cmp_gt_i64_e64 s[4:5], 0, v[3:4]
	v_not_b32_e32 v20, v4
	v_lshlrev_b32_e32 v4, 25, v13
	v_and_b32_e32 v12, v12, v15
	v_and_b32_e32 v5, v5, v16
	v_xor_b32_e32 v15, vcc_hi, v18
	v_xor_b32_e32 v16, vcc_lo, v18
	v_ashrrev_i32_e32 v18, 31, v20
	v_cmp_gt_i64_e32 vcc, 0, v[3:4]
	v_not_b32_e32 v20, v4
	v_lshlrev_b32_e32 v4, 24, v13
	v_and_b32_e32 v12, v12, v15
	v_and_b32_e32 v5, v5, v16
	v_xor_b32_e32 v15, s5, v18
	v_xor_b32_e32 v16, s4, v18
	v_ashrrev_i32_e32 v18, 31, v20
	v_cmp_gt_i64_e64 s[4:5], 0, v[3:4]
	v_not_b32_e32 v4, v4
	v_and_b32_e32 v12, v12, v15
	v_and_b32_e32 v5, v5, v16
	v_xor_b32_e32 v15, vcc_hi, v18
	v_xor_b32_e32 v16, vcc_lo, v18
	v_ashrrev_i32_e32 v4, 31, v4
	v_and_b32_e32 v12, v12, v15
	v_and_b32_e32 v15, v5, v16
	v_xor_b32_e32 v5, s5, v4
	v_xor_b32_e32 v4, s4, v4
	s_waitcnt vmcnt(5)
	v_mad_u64_u32 v[1:2], s[4:5], v1, v11, v[0:1]
	v_and_b32_e32 v4, v15, v4
	v_and_b32_e32 v5, v12, v5
	v_lshrrev_b32_e32 v1, 6, v1
	v_lshlrev_b32_e32 v24, 2, v1
	v_mbcnt_lo_u32_b32 v1, v4, 0
	v_mbcnt_hi_u32_b32 v11, v5, v1
	v_cmp_ne_u64_e32 vcc, 0, v[4:5]
	v_cmp_eq_u32_e64 s[4:5], 0, v11
	v_mul_u32_u24_e32 v12, 20, v0
	v_mad_u32_u24 v13, v13, 36, v24
	s_and_b64 s[6:7], vcc, s[4:5]
	ds_write2_b32 v12, v3, v3 offset0:8 offset1:9
	ds_write2_b32 v12, v3, v3 offset0:10 offset1:11
	ds_write_b32 v12, v3 offset:48
	s_waitcnt vmcnt(0) lgkmcnt(0)
	s_barrier
	; wave barrier
	s_and_saveexec_b64 s[4:5], s[6:7]
; %bb.84:
	v_bcnt_u32_b32 v1, v4, 0
	v_bcnt_u32_b32 v1, v5, v1
	ds_write_b32 v13, v1 offset:32
; %bb.85:
	s_or_b64 exec, exec, s[4:5]
	v_xor_b32_e32 v5, 0xffff8000, v14
	v_lshrrev_b32_sdwa v1, s44, v5 dst_sel:DWORD dst_unused:UNUSED_PAD src0_sel:DWORD src1_sel:WORD_0
	v_and_b32_e32 v1, s15, v1
	v_and_b32_e32 v2, 1, v1
	v_add_co_u32_e32 v4, vcc, -1, v2
	v_addc_co_u32_e64 v16, s[4:5], 0, -1, vcc
	v_cmp_ne_u32_e32 vcc, 0, v2
	v_xor_b32_e32 v4, vcc_lo, v4
	v_xor_b32_e32 v2, vcc_hi, v16
	v_and_b32_e32 v16, exec_lo, v4
	v_lshlrev_b32_e32 v4, 30, v1
	v_cmp_gt_i64_e32 vcc, 0, v[3:4]
	v_not_b32_e32 v4, v4
	v_ashrrev_i32_e32 v4, 31, v4
	v_xor_b32_e32 v18, vcc_hi, v4
	v_xor_b32_e32 v4, vcc_lo, v4
	v_and_b32_e32 v16, v16, v4
	v_lshlrev_b32_e32 v4, 29, v1
	v_cmp_gt_i64_e32 vcc, 0, v[3:4]
	v_not_b32_e32 v4, v4
	v_and_b32_e32 v2, exec_hi, v2
	v_ashrrev_i32_e32 v4, 31, v4
	v_and_b32_e32 v2, v2, v18
	v_xor_b32_e32 v18, vcc_hi, v4
	v_xor_b32_e32 v4, vcc_lo, v4
	v_and_b32_e32 v16, v16, v4
	v_lshlrev_b32_e32 v4, 28, v1
	v_cmp_gt_i64_e32 vcc, 0, v[3:4]
	v_not_b32_e32 v4, v4
	v_ashrrev_i32_e32 v4, 31, v4
	v_and_b32_e32 v2, v2, v18
	v_xor_b32_e32 v18, vcc_hi, v4
	v_xor_b32_e32 v4, vcc_lo, v4
	v_and_b32_e32 v16, v16, v4
	v_lshlrev_b32_e32 v4, 27, v1
	v_cmp_gt_i64_e32 vcc, 0, v[3:4]
	v_not_b32_e32 v4, v4
	;; [unrolled: 8-line block ×4, first 2 shown]
	v_ashrrev_i32_e32 v4, 31, v4
	v_and_b32_e32 v2, v2, v18
	v_xor_b32_e32 v18, vcc_hi, v4
	v_xor_b32_e32 v4, vcc_lo, v4
	v_and_b32_e32 v16, v16, v4
	v_lshlrev_b32_e32 v4, 24, v1
	v_mad_u32_u24 v14, v1, 36, v24
	v_cmp_gt_i64_e32 vcc, 0, v[3:4]
	v_not_b32_e32 v1, v4
	v_ashrrev_i32_e32 v1, 31, v1
	v_xor_b32_e32 v3, vcc_hi, v1
	v_xor_b32_e32 v1, vcc_lo, v1
	; wave barrier
	ds_read_b32 v15, v14 offset:32
	v_and_b32_e32 v2, v2, v18
	v_and_b32_e32 v1, v16, v1
	;; [unrolled: 1-line block ×3, first 2 shown]
	v_mbcnt_lo_u32_b32 v3, v1, 0
	v_mbcnt_hi_u32_b32 v16, v2, v3
	v_cmp_ne_u64_e32 vcc, 0, v[1:2]
	v_cmp_eq_u32_e64 s[4:5], 0, v16
	s_and_b64 s[6:7], vcc, s[4:5]
	; wave barrier
	s_and_saveexec_b64 s[4:5], s[6:7]
	s_cbranch_execz .LBB1419_87
; %bb.86:
	v_bcnt_u32_b32 v1, v1, 0
	v_bcnt_u32_b32 v1, v2, v1
	s_waitcnt lgkmcnt(0)
	v_add_u32_e32 v1, v15, v1
	ds_write_b32 v14, v1 offset:32
.LBB1419_87:
	s_or_b64 exec, exec, s[4:5]
	v_xor_b32_e32 v25, 0xffff8000, v17
	v_lshrrev_b32_sdwa v1, s44, v25 dst_sel:DWORD dst_unused:UNUSED_PAD src0_sel:DWORD src1_sel:WORD_0
	v_and_b32_e32 v3, s15, v1
	v_and_b32_e32 v2, 1, v3
	v_add_co_u32_e32 v4, vcc, -1, v2
	v_addc_co_u32_e64 v18, s[4:5], 0, -1, vcc
	v_cmp_ne_u32_e32 vcc, 0, v2
	v_xor_b32_e32 v2, vcc_hi, v18
	v_mov_b32_e32 v1, 0
	v_and_b32_e32 v18, exec_hi, v2
	v_lshlrev_b32_e32 v2, 30, v3
	v_xor_b32_e32 v4, vcc_lo, v4
	v_cmp_gt_i64_e32 vcc, 0, v[1:2]
	v_not_b32_e32 v2, v2
	v_ashrrev_i32_e32 v2, 31, v2
	v_and_b32_e32 v4, exec_lo, v4
	v_xor_b32_e32 v20, vcc_hi, v2
	v_xor_b32_e32 v2, vcc_lo, v2
	v_and_b32_e32 v4, v4, v2
	v_lshlrev_b32_e32 v2, 29, v3
	v_cmp_gt_i64_e32 vcc, 0, v[1:2]
	v_not_b32_e32 v2, v2
	v_ashrrev_i32_e32 v2, 31, v2
	v_and_b32_e32 v18, v18, v20
	v_xor_b32_e32 v20, vcc_hi, v2
	v_xor_b32_e32 v2, vcc_lo, v2
	v_and_b32_e32 v4, v4, v2
	v_lshlrev_b32_e32 v2, 28, v3
	v_cmp_gt_i64_e32 vcc, 0, v[1:2]
	v_not_b32_e32 v2, v2
	v_ashrrev_i32_e32 v2, 31, v2
	v_and_b32_e32 v18, v18, v20
	;; [unrolled: 8-line block ×5, first 2 shown]
	v_xor_b32_e32 v20, vcc_hi, v2
	v_xor_b32_e32 v2, vcc_lo, v2
	v_and_b32_e32 v4, v4, v2
	v_lshlrev_b32_e32 v2, 24, v3
	v_cmp_gt_i64_e32 vcc, 0, v[1:2]
	v_not_b32_e32 v2, v2
	v_ashrrev_i32_e32 v2, 31, v2
	v_mad_u32_u24 v27, v3, 36, v24
	v_xor_b32_e32 v3, vcc_hi, v2
	v_xor_b32_e32 v2, vcc_lo, v2
	; wave barrier
	ds_read_b32 v17, v27 offset:32
	v_and_b32_e32 v18, v18, v20
	v_and_b32_e32 v2, v4, v2
	;; [unrolled: 1-line block ×3, first 2 shown]
	v_mbcnt_lo_u32_b32 v4, v2, 0
	v_mbcnt_hi_u32_b32 v18, v3, v4
	v_cmp_ne_u64_e32 vcc, 0, v[2:3]
	v_cmp_eq_u32_e64 s[4:5], 0, v18
	s_and_b64 s[6:7], vcc, s[4:5]
	; wave barrier
	s_and_saveexec_b64 s[4:5], s[6:7]
	s_cbranch_execz .LBB1419_89
; %bb.88:
	v_bcnt_u32_b32 v2, v2, 0
	v_bcnt_u32_b32 v2, v3, v2
	s_waitcnt lgkmcnt(0)
	v_add_u32_e32 v2, v17, v2
	ds_write_b32 v27, v2 offset:32
.LBB1419_89:
	s_or_b64 exec, exec, s[4:5]
	v_xor_b32_e32 v30, 0xffff8000, v19
	v_lshrrev_b32_sdwa v2, s44, v30 dst_sel:DWORD dst_unused:UNUSED_PAD src0_sel:DWORD src1_sel:WORD_0
	v_and_b32_e32 v3, s15, v2
	v_and_b32_e32 v2, 1, v3
	v_add_co_u32_e32 v4, vcc, -1, v2
	v_addc_co_u32_e64 v20, s[4:5], 0, -1, vcc
	v_cmp_ne_u32_e32 vcc, 0, v2
	v_xor_b32_e32 v2, vcc_hi, v20
	v_and_b32_e32 v20, exec_hi, v2
	v_lshlrev_b32_e32 v2, 30, v3
	v_xor_b32_e32 v4, vcc_lo, v4
	v_cmp_gt_i64_e32 vcc, 0, v[1:2]
	v_not_b32_e32 v2, v2
	v_ashrrev_i32_e32 v2, 31, v2
	v_and_b32_e32 v4, exec_lo, v4
	v_xor_b32_e32 v22, vcc_hi, v2
	v_xor_b32_e32 v2, vcc_lo, v2
	v_and_b32_e32 v4, v4, v2
	v_lshlrev_b32_e32 v2, 29, v3
	v_cmp_gt_i64_e32 vcc, 0, v[1:2]
	v_not_b32_e32 v2, v2
	v_ashrrev_i32_e32 v2, 31, v2
	v_and_b32_e32 v20, v20, v22
	v_xor_b32_e32 v22, vcc_hi, v2
	v_xor_b32_e32 v2, vcc_lo, v2
	v_and_b32_e32 v4, v4, v2
	v_lshlrev_b32_e32 v2, 28, v3
	v_cmp_gt_i64_e32 vcc, 0, v[1:2]
	v_not_b32_e32 v2, v2
	v_ashrrev_i32_e32 v2, 31, v2
	v_and_b32_e32 v20, v20, v22
	;; [unrolled: 8-line block ×5, first 2 shown]
	v_xor_b32_e32 v22, vcc_hi, v2
	v_xor_b32_e32 v2, vcc_lo, v2
	v_and_b32_e32 v4, v4, v2
	v_lshlrev_b32_e32 v2, 24, v3
	v_cmp_gt_i64_e32 vcc, 0, v[1:2]
	v_not_b32_e32 v1, v2
	v_ashrrev_i32_e32 v1, 31, v1
	v_mad_u32_u24 v28, v3, 36, v24
	v_xor_b32_e32 v2, vcc_hi, v1
	v_xor_b32_e32 v1, vcc_lo, v1
	; wave barrier
	ds_read_b32 v19, v28 offset:32
	v_and_b32_e32 v20, v20, v22
	v_and_b32_e32 v1, v4, v1
	;; [unrolled: 1-line block ×3, first 2 shown]
	v_mbcnt_lo_u32_b32 v3, v1, 0
	v_mbcnt_hi_u32_b32 v20, v2, v3
	v_cmp_ne_u64_e32 vcc, 0, v[1:2]
	v_cmp_eq_u32_e64 s[4:5], 0, v20
	s_and_b64 s[6:7], vcc, s[4:5]
	; wave barrier
	s_and_saveexec_b64 s[4:5], s[6:7]
	s_cbranch_execz .LBB1419_91
; %bb.90:
	v_bcnt_u32_b32 v1, v1, 0
	v_bcnt_u32_b32 v1, v2, v1
	s_waitcnt lgkmcnt(0)
	v_add_u32_e32 v1, v19, v1
	ds_write_b32 v28, v1 offset:32
.LBB1419_91:
	s_or_b64 exec, exec, s[4:5]
	v_xor_b32_e32 v36, 0xffff8000, v21
	v_lshrrev_b32_sdwa v1, s44, v36 dst_sel:DWORD dst_unused:UNUSED_PAD src0_sel:DWORD src1_sel:WORD_0
	v_and_b32_e32 v3, s15, v1
	v_and_b32_e32 v2, 1, v3
	v_add_co_u32_e32 v4, vcc, -1, v2
	v_addc_co_u32_e64 v22, s[4:5], 0, -1, vcc
	v_cmp_ne_u32_e32 vcc, 0, v2
	v_xor_b32_e32 v2, vcc_hi, v22
	v_mov_b32_e32 v1, 0
	v_and_b32_e32 v22, exec_hi, v2
	v_lshlrev_b32_e32 v2, 30, v3
	v_xor_b32_e32 v4, vcc_lo, v4
	v_cmp_gt_i64_e32 vcc, 0, v[1:2]
	v_not_b32_e32 v2, v2
	v_ashrrev_i32_e32 v2, 31, v2
	v_and_b32_e32 v4, exec_lo, v4
	v_xor_b32_e32 v26, vcc_hi, v2
	v_xor_b32_e32 v2, vcc_lo, v2
	v_and_b32_e32 v4, v4, v2
	v_lshlrev_b32_e32 v2, 29, v3
	v_cmp_gt_i64_e32 vcc, 0, v[1:2]
	v_not_b32_e32 v2, v2
	v_ashrrev_i32_e32 v2, 31, v2
	v_and_b32_e32 v22, v22, v26
	v_xor_b32_e32 v26, vcc_hi, v2
	v_xor_b32_e32 v2, vcc_lo, v2
	v_and_b32_e32 v4, v4, v2
	v_lshlrev_b32_e32 v2, 28, v3
	v_cmp_gt_i64_e32 vcc, 0, v[1:2]
	v_not_b32_e32 v2, v2
	v_ashrrev_i32_e32 v2, 31, v2
	v_and_b32_e32 v22, v22, v26
	;; [unrolled: 8-line block ×5, first 2 shown]
	v_xor_b32_e32 v26, vcc_hi, v2
	v_xor_b32_e32 v2, vcc_lo, v2
	v_and_b32_e32 v4, v4, v2
	v_lshlrev_b32_e32 v2, 24, v3
	v_cmp_gt_i64_e32 vcc, 0, v[1:2]
	v_not_b32_e32 v2, v2
	v_ashrrev_i32_e32 v2, 31, v2
	v_mad_u32_u24 v29, v3, 36, v24
	v_xor_b32_e32 v3, vcc_hi, v2
	v_xor_b32_e32 v2, vcc_lo, v2
	; wave barrier
	ds_read_b32 v21, v29 offset:32
	v_and_b32_e32 v22, v22, v26
	v_and_b32_e32 v2, v4, v2
	;; [unrolled: 1-line block ×3, first 2 shown]
	v_mbcnt_lo_u32_b32 v4, v2, 0
	v_mbcnt_hi_u32_b32 v22, v3, v4
	v_cmp_ne_u64_e32 vcc, 0, v[2:3]
	v_cmp_eq_u32_e64 s[4:5], 0, v22
	s_and_b64 s[6:7], vcc, s[4:5]
	; wave barrier
	s_and_saveexec_b64 s[4:5], s[6:7]
	s_cbranch_execz .LBB1419_93
; %bb.92:
	v_bcnt_u32_b32 v2, v2, 0
	v_bcnt_u32_b32 v2, v3, v2
	s_waitcnt lgkmcnt(0)
	v_add_u32_e32 v2, v21, v2
	ds_write_b32 v29, v2 offset:32
.LBB1419_93:
	s_or_b64 exec, exec, s[4:5]
	v_xor_b32_e32 v37, 0xffff8000, v23
	v_lshrrev_b32_sdwa v2, s44, v37 dst_sel:DWORD dst_unused:UNUSED_PAD src0_sel:DWORD src1_sel:WORD_0
	v_and_b32_e32 v3, s15, v2
	v_and_b32_e32 v2, 1, v3
	v_add_co_u32_e32 v4, vcc, -1, v2
	v_mad_u32_u24 v35, v3, 36, v24
	v_addc_co_u32_e64 v24, s[4:5], 0, -1, vcc
	v_cmp_ne_u32_e32 vcc, 0, v2
	v_xor_b32_e32 v2, vcc_hi, v24
	v_and_b32_e32 v24, exec_hi, v2
	v_lshlrev_b32_e32 v2, 30, v3
	v_xor_b32_e32 v4, vcc_lo, v4
	v_cmp_gt_i64_e32 vcc, 0, v[1:2]
	v_not_b32_e32 v2, v2
	v_ashrrev_i32_e32 v2, 31, v2
	v_and_b32_e32 v4, exec_lo, v4
	v_xor_b32_e32 v26, vcc_hi, v2
	v_xor_b32_e32 v2, vcc_lo, v2
	v_and_b32_e32 v4, v4, v2
	v_lshlrev_b32_e32 v2, 29, v3
	v_cmp_gt_i64_e32 vcc, 0, v[1:2]
	v_not_b32_e32 v2, v2
	v_ashrrev_i32_e32 v2, 31, v2
	v_and_b32_e32 v24, v24, v26
	v_xor_b32_e32 v26, vcc_hi, v2
	v_xor_b32_e32 v2, vcc_lo, v2
	v_and_b32_e32 v4, v4, v2
	v_lshlrev_b32_e32 v2, 28, v3
	v_cmp_gt_i64_e32 vcc, 0, v[1:2]
	v_not_b32_e32 v2, v2
	v_ashrrev_i32_e32 v2, 31, v2
	v_and_b32_e32 v24, v24, v26
	;; [unrolled: 8-line block ×5, first 2 shown]
	v_xor_b32_e32 v26, vcc_hi, v2
	v_xor_b32_e32 v2, vcc_lo, v2
	v_and_b32_e32 v4, v4, v2
	v_lshlrev_b32_e32 v2, 24, v3
	v_cmp_gt_i64_e32 vcc, 0, v[1:2]
	v_not_b32_e32 v1, v2
	v_ashrrev_i32_e32 v1, 31, v1
	v_xor_b32_e32 v2, vcc_hi, v1
	v_xor_b32_e32 v1, vcc_lo, v1
	; wave barrier
	ds_read_b32 v23, v35 offset:32
	v_and_b32_e32 v24, v24, v26
	v_and_b32_e32 v1, v4, v1
	;; [unrolled: 1-line block ×3, first 2 shown]
	v_mbcnt_lo_u32_b32 v3, v1, 0
	v_mbcnt_hi_u32_b32 v26, v2, v3
	v_cmp_ne_u64_e32 vcc, 0, v[1:2]
	v_cmp_eq_u32_e64 s[4:5], 0, v26
	s_and_b64 s[6:7], vcc, s[4:5]
	; wave barrier
	s_and_saveexec_b64 s[4:5], s[6:7]
	s_cbranch_execz .LBB1419_95
; %bb.94:
	v_bcnt_u32_b32 v1, v1, 0
	v_bcnt_u32_b32 v1, v2, v1
	s_waitcnt lgkmcnt(0)
	v_add_u32_e32 v1, v23, v1
	ds_write_b32 v35, v1 offset:32
.LBB1419_95:
	s_or_b64 exec, exec, s[4:5]
	; wave barrier
	s_waitcnt lgkmcnt(0)
	s_barrier
	ds_read2_b32 v[3:4], v12 offset0:8 offset1:9
	ds_read2_b32 v[1:2], v12 offset0:10 offset1:11
	ds_read_b32 v24, v12 offset:48
	v_min_u32_e32 v9, 0x1c0, v9
	v_or_b32_e32 v9, 63, v9
	s_waitcnt lgkmcnt(1)
	v_add3_u32 v31, v4, v3, v1
	s_waitcnt lgkmcnt(0)
	v_add3_u32 v24, v31, v2, v24
	v_and_b32_e32 v31, 15, v6
	v_cmp_ne_u32_e32 vcc, 0, v31
	v_mov_b32_dpp v32, v24 row_shr:1 row_mask:0xf bank_mask:0xf
	v_cndmask_b32_e32 v32, 0, v32, vcc
	v_add_u32_e32 v24, v32, v24
	v_cmp_lt_u32_e32 vcc, 1, v31
	s_nop 0
	v_mov_b32_dpp v32, v24 row_shr:2 row_mask:0xf bank_mask:0xf
	v_cndmask_b32_e32 v32, 0, v32, vcc
	v_add_u32_e32 v24, v24, v32
	v_cmp_lt_u32_e32 vcc, 3, v31
	s_nop 0
	;; [unrolled: 5-line block ×3, first 2 shown]
	v_mov_b32_dpp v32, v24 row_shr:8 row_mask:0xf bank_mask:0xf
	v_cndmask_b32_e32 v31, 0, v32, vcc
	v_add_u32_e32 v24, v24, v31
	v_bfe_i32 v32, v6, 4, 1
	v_cmp_lt_u32_e32 vcc, 31, v6
	v_mov_b32_dpp v31, v24 row_bcast:15 row_mask:0xf bank_mask:0xf
	v_and_b32_e32 v31, v32, v31
	v_add_u32_e32 v24, v24, v31
	v_lshrrev_b32_e32 v32, 6, v0
	s_nop 0
	v_mov_b32_dpp v31, v24 row_bcast:31 row_mask:0xf bank_mask:0xf
	v_cndmask_b32_e32 v31, 0, v31, vcc
	v_add_u32_e32 v31, v24, v31
	v_cmp_eq_u32_e32 vcc, v0, v9
	s_and_saveexec_b64 s[4:5], vcc
; %bb.96:
	v_lshlrev_b32_e32 v9, 2, v32
	ds_write_b32 v9, v31
; %bb.97:
	s_or_b64 exec, exec, s[4:5]
	v_cmp_gt_u32_e32 vcc, 8, v0
	v_lshlrev_b32_e32 v24, 2, v0
	s_waitcnt lgkmcnt(0)
	s_barrier
	s_and_saveexec_b64 s[4:5], vcc
	s_cbranch_execz .LBB1419_99
; %bb.98:
	ds_read_b32 v9, v24
	v_and_b32_e32 v33, 7, v6
	v_cmp_ne_u32_e32 vcc, 0, v33
	s_waitcnt lgkmcnt(0)
	v_mov_b32_dpp v34, v9 row_shr:1 row_mask:0xf bank_mask:0xf
	v_cndmask_b32_e32 v34, 0, v34, vcc
	v_add_u32_e32 v9, v34, v9
	v_cmp_lt_u32_e32 vcc, 1, v33
	s_nop 0
	v_mov_b32_dpp v34, v9 row_shr:2 row_mask:0xf bank_mask:0xf
	v_cndmask_b32_e32 v34, 0, v34, vcc
	v_add_u32_e32 v9, v9, v34
	v_cmp_lt_u32_e32 vcc, 3, v33
	s_nop 0
	v_mov_b32_dpp v34, v9 row_shr:4 row_mask:0xf bank_mask:0xf
	v_cndmask_b32_e32 v33, 0, v34, vcc
	v_add_u32_e32 v9, v9, v33
	ds_write_b32 v24, v9
.LBB1419_99:
	s_or_b64 exec, exec, s[4:5]
	v_cmp_lt_u32_e32 vcc, 63, v0
	v_mov_b32_e32 v9, 0
	s_waitcnt lgkmcnt(0)
	s_barrier
	s_and_saveexec_b64 s[4:5], vcc
; %bb.100:
	v_lshl_add_u32 v9, v32, 2, -4
	ds_read_b32 v9, v9
; %bb.101:
	s_or_b64 exec, exec, s[4:5]
	v_subrev_co_u32_e32 v32, vcc, 1, v6
	v_and_b32_e32 v33, 64, v6
	v_cmp_lt_i32_e64 s[4:5], v32, v33
	v_cndmask_b32_e64 v6, v32, v6, s[4:5]
	s_waitcnt lgkmcnt(0)
	v_add_u32_e32 v31, v9, v31
	v_lshlrev_b32_e32 v6, 2, v6
	ds_bpermute_b32 v6, v6, v31
	s_movk_i32 s4, 0xff
	s_movk_i32 s6, 0x100
	s_waitcnt lgkmcnt(0)
	v_cndmask_b32_e32 v6, v6, v9, vcc
	v_cndmask_b32_e64 v6, v6, 0, s[22:23]
	v_add_u32_e32 v3, v6, v3
	v_add_u32_e32 v4, v3, v4
	;; [unrolled: 1-line block ×4, first 2 shown]
	ds_write2_b32 v12, v6, v3 offset0:8 offset1:9
	ds_write2_b32 v12, v4, v1 offset0:10 offset1:11
	ds_write_b32 v12, v2 offset:48
	s_waitcnt lgkmcnt(0)
	s_barrier
	ds_read_b32 v1, v13 offset:32
	ds_read_b32 v31, v14 offset:32
	;; [unrolled: 1-line block ×6, first 2 shown]
	v_cmp_lt_u32_e32 vcc, s4, v0
	v_cmp_gt_u32_e64 s[4:5], s6, v0
                                        ; implicit-def: $vgpr27
                                        ; implicit-def: $vgpr28
	s_and_saveexec_b64 s[8:9], s[4:5]
	s_cbranch_execz .LBB1419_105
; %bb.102:
	v_mul_u32_u24_e32 v2, 36, v0
	ds_read_b32 v27, v2 offset:32
	v_add_u32_e32 v3, 1, v0
	v_cmp_ne_u32_e64 s[6:7], s6, v3
	v_mov_b32_e32 v2, 0xc00
	s_and_saveexec_b64 s[10:11], s[6:7]
; %bb.103:
	v_mul_u32_u24_e32 v2, 36, v3
	ds_read_b32 v2, v2 offset:32
; %bb.104:
	s_or_b64 exec, exec, s[10:11]
	s_waitcnt lgkmcnt(0)
	v_sub_u32_e32 v28, v2, v27
.LBB1419_105:
	s_or_b64 exec, exec, s[8:9]
	s_waitcnt lgkmcnt(5)
	v_add_u32_e32 v29, v1, v11
	v_add_u32_e32 v9, v16, v15
	v_lshlrev_b32_e32 v1, 1, v29
	v_add_u32_e32 v6, v18, v17
	s_waitcnt lgkmcnt(0)
	s_barrier
	ds_write_b16 v1, v10 offset:1024
	v_add_lshl_u32 v1, v9, v31, 1
	v_add_u32_e32 v4, v20, v19
	ds_write_b16 v1, v5 offset:1024
	v_add_lshl_u32 v1, v6, v32, 1
	v_add_u32_e32 v3, v22, v21
	;; [unrolled: 3-line block ×3, first 2 shown]
	ds_write_b16 v1, v30 offset:1024
	v_add_lshl_u32 v1, v3, v34, 1
	ds_write_b16 v1, v36 offset:1024
	v_add_lshl_u32 v1, v2, v35, 1
	v_mov_b32_e32 v2, 0
	ds_write_b16 v1, v37 offset:1024
	s_and_saveexec_b64 s[6:7], s[4:5]
	s_cbranch_execz .LBB1419_115
; %bb.106:
	v_lshl_add_u32 v1, s33, 8, v0
	v_lshlrev_b64 v[3:4], 2, v[1:2]
	v_mov_b32_e32 v9, s35
	v_add_co_u32_e64 v3, s[4:5], s34, v3
	v_addc_co_u32_e64 v4, s[4:5], v9, v4, s[4:5]
	v_or_b32_e32 v1, 2.0, v28
	s_mov_b64 s[8:9], 0
	s_brev_b32 s16, -4
	s_mov_b32 s17, s33
	v_mov_b32_e32 v10, 0
	global_store_dword v[3:4], v1, off
                                        ; implicit-def: $sgpr4_sgpr5
	s_branch .LBB1419_109
.LBB1419_107:                           ;   in Loop: Header=BB1419_109 Depth=1
	s_or_b64 exec, exec, s[12:13]
.LBB1419_108:                           ;   in Loop: Header=BB1419_109 Depth=1
	s_or_b64 exec, exec, s[10:11]
	v_and_b32_e32 v5, 0x3fffffff, v1
	v_add_u32_e32 v10, v5, v10
	v_cmp_gt_i32_e64 s[4:5], -2.0, v1
	s_and_b64 s[10:11], exec, s[4:5]
	s_or_b64 s[8:9], s[10:11], s[8:9]
	s_andn2_b64 exec, exec, s[8:9]
	s_cbranch_execz .LBB1419_114
.LBB1419_109:                           ; =>This Loop Header: Depth=1
                                        ;     Child Loop BB1419_112 Depth 2
	s_or_b64 s[4:5], s[4:5], exec
	s_cmp_eq_u32 s17, 0
	s_cbranch_scc1 .LBB1419_113
; %bb.110:                              ;   in Loop: Header=BB1419_109 Depth=1
	s_add_i32 s17, s17, -1
	v_lshl_or_b32 v1, s17, 8, v0
	v_lshlrev_b64 v[5:6], 2, v[1:2]
	v_add_co_u32_e64 v5, s[4:5], s34, v5
	v_addc_co_u32_e64 v6, s[4:5], v9, v6, s[4:5]
	global_load_dword v1, v[5:6], off glc
	s_waitcnt vmcnt(0)
	v_cmp_gt_u32_e64 s[4:5], 2.0, v1
	s_and_saveexec_b64 s[10:11], s[4:5]
	s_cbranch_execz .LBB1419_108
; %bb.111:                              ;   in Loop: Header=BB1419_109 Depth=1
	s_mov_b64 s[12:13], 0
.LBB1419_112:                           ;   Parent Loop BB1419_109 Depth=1
                                        ; =>  This Inner Loop Header: Depth=2
	global_load_dword v1, v[5:6], off glc
	s_waitcnt vmcnt(0)
	v_cmp_lt_u32_e64 s[4:5], s16, v1
	s_or_b64 s[12:13], s[4:5], s[12:13]
	s_andn2_b64 exec, exec, s[12:13]
	s_cbranch_execnz .LBB1419_112
	s_branch .LBB1419_107
.LBB1419_113:                           ;   in Loop: Header=BB1419_109 Depth=1
                                        ; implicit-def: $sgpr17
	s_and_b64 s[10:11], exec, s[4:5]
	s_or_b64 s[8:9], s[10:11], s[8:9]
	s_andn2_b64 exec, exec, s[8:9]
	s_cbranch_execnz .LBB1419_109
.LBB1419_114:
	s_or_b64 exec, exec, s[8:9]
	v_add_u32_e32 v1, v10, v28
	v_or_b32_e32 v1, 0x80000000, v1
	global_store_dword v[3:4], v1, off
	global_load_dword v1, v24, s[28:29]
	v_sub_u32_e32 v2, v10, v27
	s_waitcnt vmcnt(0)
	v_add_u32_e32 v1, v2, v1
	ds_write_b32 v24, v1
.LBB1419_115:
	s_or_b64 exec, exec, s[6:7]
	v_lshlrev_b32_e32 v1, 1, v0
	v_sub_u32_e32 v25, v24, v1
	s_waitcnt lgkmcnt(0)
	s_barrier
	ds_read_u16 v5, v25 offset:1024
	ds_read_u16 v6, v25 offset:2048
	;; [unrolled: 1-line block ×6, first 2 shown]
	s_waitcnt lgkmcnt(5)
	v_lshrrev_b32_sdwa v1, s44, v5 dst_sel:DWORD dst_unused:UNUSED_PAD src0_sel:DWORD src1_sel:WORD_0
	v_and_b32_e32 v30, s15, v1
	s_waitcnt lgkmcnt(4)
	v_lshrrev_b32_sdwa v2, s44, v6 dst_sel:DWORD dst_unused:UNUSED_PAD src0_sel:DWORD src1_sel:WORD_0
	s_waitcnt lgkmcnt(1)
	v_lshrrev_b32_sdwa v13, s44, v11 dst_sel:DWORD dst_unused:UNUSED_PAD src0_sel:DWORD src1_sel:WORD_0
	;; [unrolled: 2-line block ×3, first 2 shown]
	v_lshrrev_b32_sdwa v3, s44, v9 dst_sel:DWORD dst_unused:UNUSED_PAD src0_sel:DWORD src1_sel:WORD_0
	v_lshrrev_b32_sdwa v4, s44, v10 dst_sel:DWORD dst_unused:UNUSED_PAD src0_sel:DWORD src1_sel:WORD_0
	v_and_b32_e32 v41, s15, v13
	v_and_b32_e32 v42, s15, v14
	v_lshlrev_b32_e32 v1, 2, v30
	v_and_b32_e32 v38, s15, v2
	v_and_b32_e32 v39, s15, v3
	;; [unrolled: 1-line block ×3, first 2 shown]
	v_lshlrev_b32_e32 v13, 2, v41
	v_lshlrev_b32_e32 v14, 2, v42
	;; [unrolled: 1-line block ×5, first 2 shown]
	ds_read_b32 v1, v1
	ds_read_b32 v36, v2
	;; [unrolled: 1-line block ×6, first 2 shown]
	s_waitcnt lgkmcnt(5)
	v_add_u32_e32 v1, v1, v0
	v_mov_b32_e32 v2, 0
	v_lshlrev_b64 v[3:4], 1, v[1:2]
	v_mov_b32_e32 v44, s39
	v_add_co_u32_e64 v3, s[4:5], s38, v3
	v_addc_co_u32_e64 v4, s[4:5], v44, v4, s[4:5]
	v_xor_b32_e32 v1, 0xffff8000, v5
	s_movk_i32 s6, 0x200
	global_store_short v[3:4], v1, off
	s_waitcnt lgkmcnt(4)
	v_add3_u32 v1, v0, v36, s6
	v_lshlrev_b64 v[3:4], 1, v[1:2]
	v_mov_b32_e32 v5, s39
	v_add_co_u32_e64 v3, s[4:5], s38, v3
	v_addc_co_u32_e64 v4, s[4:5], v5, v4, s[4:5]
	v_xor_b32_e32 v1, 0xffff8000, v6
	s_movk_i32 s4, 0x400
	global_store_short v[3:4], v1, off
	s_waitcnt lgkmcnt(3)
	v_add3_u32 v1, v37, v0, s4
	v_lshlrev_b64 v[3:4], 1, v[1:2]
	v_xor_b32_e32 v1, 0xffff8000, v9
	v_add_co_u32_e64 v3, s[4:5], s38, v3
	v_addc_co_u32_e64 v4, s[4:5], v5, v4, s[4:5]
	s_movk_i32 s4, 0x600
	global_store_short v[3:4], v1, off
	s_waitcnt lgkmcnt(2)
	v_add3_u32 v1, v0, v43, s4
	v_lshlrev_b64 v[3:4], 1, v[1:2]
	v_mov_b32_e32 v1, s39
	v_add_co_u32_e64 v3, s[4:5], s38, v3
	v_addc_co_u32_e64 v4, s[4:5], v1, v4, s[4:5]
	s_movk_i32 s4, 0x800
	v_xor_b32_e32 v5, 0xffff8000, v10
	s_waitcnt lgkmcnt(1)
	v_add3_u32 v1, v13, v0, s4
	global_store_short v[3:4], v5, off
	v_lshlrev_b64 v[3:4], 1, v[1:2]
	v_mov_b32_e32 v1, s39
	v_add_co_u32_e64 v3, s[4:5], s38, v3
	v_addc_co_u32_e64 v4, s[4:5], v1, v4, s[4:5]
	s_movk_i32 s4, 0xa00
	v_xor_b32_e32 v5, 0xffff8000, v11
	s_waitcnt lgkmcnt(0)
	v_add3_u32 v1, v0, v14, s4
	global_store_short v[3:4], v5, off
	v_lshlrev_b64 v[3:4], 1, v[1:2]
	v_mov_b32_e32 v1, s39
	v_add_co_u32_e64 v3, s[4:5], s38, v3
	v_addc_co_u32_e64 v4, s[4:5], v1, v4, s[4:5]
	s_lshl_b64 s[4:5], s[26:27], 3
	s_add_u32 s4, s40, s4
	v_xor_b32_e32 v5, 0xffff8000, v12
	s_addc_u32 s5, s41, s5
	v_lshlrev_b32_e32 v1, 3, v8
	global_store_short v[3:4], v5, off
	v_mov_b32_e32 v3, s5
	v_add_co_u32_e64 v1, s[4:5], s4, v1
	v_addc_co_u32_e64 v3, s[4:5], 0, v3, s[4:5]
	v_lshlrev_b32_e32 v4, 3, v7
	v_add_co_u32_e64 v36, s[4:5], v1, v4
	v_addc_co_u32_e64 v37, s[4:5], 0, v3, s[4:5]
	global_load_dwordx2 v[3:4], v[36:37], off
	global_load_dwordx2 v[5:6], v[36:37], off offset:512
	global_load_dwordx2 v[7:8], v[36:37], off offset:1024
	;; [unrolled: 1-line block ×5, first 2 shown]
	v_mul_u32_u24_e32 v1, 6, v0
	v_add3_u32 v23, v26, v35, v23
	v_add3_u32 v21, v22, v34, v21
	;; [unrolled: 1-line block ×5, first 2 shown]
	s_mov_b32 s7, 0
	s_mov_b32 s8, 0
	v_add_u32_e32 v16, v25, v1
	v_mov_b32_e32 v18, s43
	buffer_store_dword v30, off, s[0:3], 0
	buffer_store_dword v38, off, s[0:3], 0 offset:4
	buffer_store_dword v39, off, s[0:3], 0 offset:8
	;; [unrolled: 1-line block ×5, first 2 shown]
	s_waitcnt vmcnt(0)
	s_barrier
.LBB1419_116:                           ; =>This Inner Loop Header: Depth=1
	v_add_u32_e32 v1, s8, v29
	v_add_u32_e32 v20, s8, v15
	;; [unrolled: 1-line block ×6, first 2 shown]
	v_min_u32_e32 v1, 0x400, v1
	v_min_u32_e32 v20, 0x400, v20
	v_mov_b32_e32 v31, s7
	v_min_u32_e32 v22, 0x400, v22
	v_min_u32_e32 v25, 0x400, v25
	;; [unrolled: 1-line block ×4, first 2 shown]
	v_lshlrev_b32_e32 v1, 3, v1
	v_lshlrev_b32_e32 v20, 3, v20
	;; [unrolled: 1-line block ×6, first 2 shown]
	ds_write_b64 v1, v[3:4] offset:1024
	ds_write_b64 v20, v[5:6] offset:1024
	ds_write_b64 v22, v[7:8] offset:1024
	ds_write_b64 v25, v[9:10] offset:1024
	ds_write_b64 v26, v[11:12] offset:1024
	ds_write_b64 v30, v[13:14] offset:1024
	s_waitcnt lgkmcnt(0)
	s_barrier
	buffer_load_dword v1, v31, s[0:3], 0 offen
	buffer_load_dword v20, v31, s[0:3], 0 offen offset:4
	ds_read2st64_b64 v[30:33], v16 offset0:2 offset1:10
	s_addk_i32 s8, 0xfc00
	s_add_i32 s7, s7, 8
	s_cmpk_lg_i32 s8, 0xf400
	s_waitcnt vmcnt(1)
	v_lshlrev_b32_e32 v1, 2, v1
	s_waitcnt vmcnt(0)
	v_lshlrev_b32_e32 v20, 2, v20
	ds_read_b32 v1, v1
	ds_read_b32 v20, v20
	s_waitcnt lgkmcnt(1)
	v_add_u32_e32 v1, v0, v1
	v_lshlrev_b64 v[25:26], 3, v[1:2]
	s_waitcnt lgkmcnt(0)
	v_add3_u32 v1, v0, v20, s6
	v_lshlrev_b64 v[34:35], 3, v[1:2]
	v_add_co_u32_e64 v25, s[4:5], s42, v25
	v_addc_co_u32_e64 v26, s[4:5], v18, v26, s[4:5]
	global_store_dwordx2 v[25:26], v[30:31], off
	v_add_co_u32_e64 v25, s[4:5], s42, v34
	v_add_u32_e32 v0, 0x400, v0
	v_addc_co_u32_e64 v26, s[4:5], v18, v35, s[4:5]
	global_store_dwordx2 v[25:26], v[32:33], off
	s_waitcnt vmcnt(0)
	s_barrier
	s_cbranch_scc1 .LBB1419_116
; %bb.117:
	s_add_i32 s14, s14, -1
	s_cmp_eq_u32 s33, s14
	s_cselect_b64 s[4:5], -1, 0
	s_xor_b64 s[6:7], vcc, -1
	s_and_b64 s[4:5], s[6:7], s[4:5]
	s_and_saveexec_b64 s[6:7], s[4:5]
	s_cbranch_execz .LBB1419_119
; %bb.118:
	ds_read_b32 v0, v24
	s_waitcnt lgkmcnt(0)
	v_add3_u32 v0, v27, v28, v0
	global_store_dword v24, v0, s[30:31]
.LBB1419_119:
	s_endpgm
	.section	.rodata,"a",@progbits
	.p2align	6, 0x0
	.amdhsa_kernel _ZN7rocprim17ROCPRIM_400000_NS6detail17trampoline_kernelINS0_14default_configENS1_35radix_sort_onesweep_config_selectorIslEEZZNS1_29radix_sort_onesweep_iterationIS3_Lb0EPsS7_N6thrust23THRUST_200600_302600_NS10device_ptrIlEESB_jNS0_19identity_decomposerENS1_16block_id_wrapperIjLb1EEEEE10hipError_tT1_PNSt15iterator_traitsISG_E10value_typeET2_T3_PNSH_ISM_E10value_typeET4_T5_PSR_SS_PNS1_23onesweep_lookback_stateEbbT6_jjT7_P12ihipStream_tbENKUlT_T0_SG_SL_E_clIS7_S7_PlSB_EEDaSZ_S10_SG_SL_EUlSZ_E_NS1_11comp_targetILNS1_3genE2ELNS1_11target_archE906ELNS1_3gpuE6ELNS1_3repE0EEENS1_47radix_sort_onesweep_sort_config_static_selectorELNS0_4arch9wavefront6targetE1EEEvSG_
		.amdhsa_group_segment_fixed_size 10280
		.amdhsa_private_segment_fixed_size 32
		.amdhsa_kernarg_size 344
		.amdhsa_user_sgpr_count 6
		.amdhsa_user_sgpr_private_segment_buffer 1
		.amdhsa_user_sgpr_dispatch_ptr 0
		.amdhsa_user_sgpr_queue_ptr 0
		.amdhsa_user_sgpr_kernarg_segment_ptr 1
		.amdhsa_user_sgpr_dispatch_id 0
		.amdhsa_user_sgpr_flat_scratch_init 0
		.amdhsa_user_sgpr_private_segment_size 0
		.amdhsa_uses_dynamic_stack 0
		.amdhsa_system_sgpr_private_segment_wavefront_offset 1
		.amdhsa_system_sgpr_workgroup_id_x 1
		.amdhsa_system_sgpr_workgroup_id_y 0
		.amdhsa_system_sgpr_workgroup_id_z 0
		.amdhsa_system_sgpr_workgroup_info 0
		.amdhsa_system_vgpr_workitem_id 2
		.amdhsa_next_free_vgpr 45
		.amdhsa_next_free_sgpr 56
		.amdhsa_reserve_vcc 1
		.amdhsa_reserve_flat_scratch 0
		.amdhsa_float_round_mode_32 0
		.amdhsa_float_round_mode_16_64 0
		.amdhsa_float_denorm_mode_32 3
		.amdhsa_float_denorm_mode_16_64 3
		.amdhsa_dx10_clamp 1
		.amdhsa_ieee_mode 1
		.amdhsa_fp16_overflow 0
		.amdhsa_exception_fp_ieee_invalid_op 0
		.amdhsa_exception_fp_denorm_src 0
		.amdhsa_exception_fp_ieee_div_zero 0
		.amdhsa_exception_fp_ieee_overflow 0
		.amdhsa_exception_fp_ieee_underflow 0
		.amdhsa_exception_fp_ieee_inexact 0
		.amdhsa_exception_int_div_zero 0
	.end_amdhsa_kernel
	.section	.text._ZN7rocprim17ROCPRIM_400000_NS6detail17trampoline_kernelINS0_14default_configENS1_35radix_sort_onesweep_config_selectorIslEEZZNS1_29radix_sort_onesweep_iterationIS3_Lb0EPsS7_N6thrust23THRUST_200600_302600_NS10device_ptrIlEESB_jNS0_19identity_decomposerENS1_16block_id_wrapperIjLb1EEEEE10hipError_tT1_PNSt15iterator_traitsISG_E10value_typeET2_T3_PNSH_ISM_E10value_typeET4_T5_PSR_SS_PNS1_23onesweep_lookback_stateEbbT6_jjT7_P12ihipStream_tbENKUlT_T0_SG_SL_E_clIS7_S7_PlSB_EEDaSZ_S10_SG_SL_EUlSZ_E_NS1_11comp_targetILNS1_3genE2ELNS1_11target_archE906ELNS1_3gpuE6ELNS1_3repE0EEENS1_47radix_sort_onesweep_sort_config_static_selectorELNS0_4arch9wavefront6targetE1EEEvSG_,"axG",@progbits,_ZN7rocprim17ROCPRIM_400000_NS6detail17trampoline_kernelINS0_14default_configENS1_35radix_sort_onesweep_config_selectorIslEEZZNS1_29radix_sort_onesweep_iterationIS3_Lb0EPsS7_N6thrust23THRUST_200600_302600_NS10device_ptrIlEESB_jNS0_19identity_decomposerENS1_16block_id_wrapperIjLb1EEEEE10hipError_tT1_PNSt15iterator_traitsISG_E10value_typeET2_T3_PNSH_ISM_E10value_typeET4_T5_PSR_SS_PNS1_23onesweep_lookback_stateEbbT6_jjT7_P12ihipStream_tbENKUlT_T0_SG_SL_E_clIS7_S7_PlSB_EEDaSZ_S10_SG_SL_EUlSZ_E_NS1_11comp_targetILNS1_3genE2ELNS1_11target_archE906ELNS1_3gpuE6ELNS1_3repE0EEENS1_47radix_sort_onesweep_sort_config_static_selectorELNS0_4arch9wavefront6targetE1EEEvSG_,comdat
.Lfunc_end1419:
	.size	_ZN7rocprim17ROCPRIM_400000_NS6detail17trampoline_kernelINS0_14default_configENS1_35radix_sort_onesweep_config_selectorIslEEZZNS1_29radix_sort_onesweep_iterationIS3_Lb0EPsS7_N6thrust23THRUST_200600_302600_NS10device_ptrIlEESB_jNS0_19identity_decomposerENS1_16block_id_wrapperIjLb1EEEEE10hipError_tT1_PNSt15iterator_traitsISG_E10value_typeET2_T3_PNSH_ISM_E10value_typeET4_T5_PSR_SS_PNS1_23onesweep_lookback_stateEbbT6_jjT7_P12ihipStream_tbENKUlT_T0_SG_SL_E_clIS7_S7_PlSB_EEDaSZ_S10_SG_SL_EUlSZ_E_NS1_11comp_targetILNS1_3genE2ELNS1_11target_archE906ELNS1_3gpuE6ELNS1_3repE0EEENS1_47radix_sort_onesweep_sort_config_static_selectorELNS0_4arch9wavefront6targetE1EEEvSG_, .Lfunc_end1419-_ZN7rocprim17ROCPRIM_400000_NS6detail17trampoline_kernelINS0_14default_configENS1_35radix_sort_onesweep_config_selectorIslEEZZNS1_29radix_sort_onesweep_iterationIS3_Lb0EPsS7_N6thrust23THRUST_200600_302600_NS10device_ptrIlEESB_jNS0_19identity_decomposerENS1_16block_id_wrapperIjLb1EEEEE10hipError_tT1_PNSt15iterator_traitsISG_E10value_typeET2_T3_PNSH_ISM_E10value_typeET4_T5_PSR_SS_PNS1_23onesweep_lookback_stateEbbT6_jjT7_P12ihipStream_tbENKUlT_T0_SG_SL_E_clIS7_S7_PlSB_EEDaSZ_S10_SG_SL_EUlSZ_E_NS1_11comp_targetILNS1_3genE2ELNS1_11target_archE906ELNS1_3gpuE6ELNS1_3repE0EEENS1_47radix_sort_onesweep_sort_config_static_selectorELNS0_4arch9wavefront6targetE1EEEvSG_
                                        ; -- End function
	.set _ZN7rocprim17ROCPRIM_400000_NS6detail17trampoline_kernelINS0_14default_configENS1_35radix_sort_onesweep_config_selectorIslEEZZNS1_29radix_sort_onesweep_iterationIS3_Lb0EPsS7_N6thrust23THRUST_200600_302600_NS10device_ptrIlEESB_jNS0_19identity_decomposerENS1_16block_id_wrapperIjLb1EEEEE10hipError_tT1_PNSt15iterator_traitsISG_E10value_typeET2_T3_PNSH_ISM_E10value_typeET4_T5_PSR_SS_PNS1_23onesweep_lookback_stateEbbT6_jjT7_P12ihipStream_tbENKUlT_T0_SG_SL_E_clIS7_S7_PlSB_EEDaSZ_S10_SG_SL_EUlSZ_E_NS1_11comp_targetILNS1_3genE2ELNS1_11target_archE906ELNS1_3gpuE6ELNS1_3repE0EEENS1_47radix_sort_onesweep_sort_config_static_selectorELNS0_4arch9wavefront6targetE1EEEvSG_.num_vgpr, 45
	.set _ZN7rocprim17ROCPRIM_400000_NS6detail17trampoline_kernelINS0_14default_configENS1_35radix_sort_onesweep_config_selectorIslEEZZNS1_29radix_sort_onesweep_iterationIS3_Lb0EPsS7_N6thrust23THRUST_200600_302600_NS10device_ptrIlEESB_jNS0_19identity_decomposerENS1_16block_id_wrapperIjLb1EEEEE10hipError_tT1_PNSt15iterator_traitsISG_E10value_typeET2_T3_PNSH_ISM_E10value_typeET4_T5_PSR_SS_PNS1_23onesweep_lookback_stateEbbT6_jjT7_P12ihipStream_tbENKUlT_T0_SG_SL_E_clIS7_S7_PlSB_EEDaSZ_S10_SG_SL_EUlSZ_E_NS1_11comp_targetILNS1_3genE2ELNS1_11target_archE906ELNS1_3gpuE6ELNS1_3repE0EEENS1_47radix_sort_onesweep_sort_config_static_selectorELNS0_4arch9wavefront6targetE1EEEvSG_.num_agpr, 0
	.set _ZN7rocprim17ROCPRIM_400000_NS6detail17trampoline_kernelINS0_14default_configENS1_35radix_sort_onesweep_config_selectorIslEEZZNS1_29radix_sort_onesweep_iterationIS3_Lb0EPsS7_N6thrust23THRUST_200600_302600_NS10device_ptrIlEESB_jNS0_19identity_decomposerENS1_16block_id_wrapperIjLb1EEEEE10hipError_tT1_PNSt15iterator_traitsISG_E10value_typeET2_T3_PNSH_ISM_E10value_typeET4_T5_PSR_SS_PNS1_23onesweep_lookback_stateEbbT6_jjT7_P12ihipStream_tbENKUlT_T0_SG_SL_E_clIS7_S7_PlSB_EEDaSZ_S10_SG_SL_EUlSZ_E_NS1_11comp_targetILNS1_3genE2ELNS1_11target_archE906ELNS1_3gpuE6ELNS1_3repE0EEENS1_47radix_sort_onesweep_sort_config_static_selectorELNS0_4arch9wavefront6targetE1EEEvSG_.numbered_sgpr, 56
	.set _ZN7rocprim17ROCPRIM_400000_NS6detail17trampoline_kernelINS0_14default_configENS1_35radix_sort_onesweep_config_selectorIslEEZZNS1_29radix_sort_onesweep_iterationIS3_Lb0EPsS7_N6thrust23THRUST_200600_302600_NS10device_ptrIlEESB_jNS0_19identity_decomposerENS1_16block_id_wrapperIjLb1EEEEE10hipError_tT1_PNSt15iterator_traitsISG_E10value_typeET2_T3_PNSH_ISM_E10value_typeET4_T5_PSR_SS_PNS1_23onesweep_lookback_stateEbbT6_jjT7_P12ihipStream_tbENKUlT_T0_SG_SL_E_clIS7_S7_PlSB_EEDaSZ_S10_SG_SL_EUlSZ_E_NS1_11comp_targetILNS1_3genE2ELNS1_11target_archE906ELNS1_3gpuE6ELNS1_3repE0EEENS1_47radix_sort_onesweep_sort_config_static_selectorELNS0_4arch9wavefront6targetE1EEEvSG_.num_named_barrier, 0
	.set _ZN7rocprim17ROCPRIM_400000_NS6detail17trampoline_kernelINS0_14default_configENS1_35radix_sort_onesweep_config_selectorIslEEZZNS1_29radix_sort_onesweep_iterationIS3_Lb0EPsS7_N6thrust23THRUST_200600_302600_NS10device_ptrIlEESB_jNS0_19identity_decomposerENS1_16block_id_wrapperIjLb1EEEEE10hipError_tT1_PNSt15iterator_traitsISG_E10value_typeET2_T3_PNSH_ISM_E10value_typeET4_T5_PSR_SS_PNS1_23onesweep_lookback_stateEbbT6_jjT7_P12ihipStream_tbENKUlT_T0_SG_SL_E_clIS7_S7_PlSB_EEDaSZ_S10_SG_SL_EUlSZ_E_NS1_11comp_targetILNS1_3genE2ELNS1_11target_archE906ELNS1_3gpuE6ELNS1_3repE0EEENS1_47radix_sort_onesweep_sort_config_static_selectorELNS0_4arch9wavefront6targetE1EEEvSG_.private_seg_size, 32
	.set _ZN7rocprim17ROCPRIM_400000_NS6detail17trampoline_kernelINS0_14default_configENS1_35radix_sort_onesweep_config_selectorIslEEZZNS1_29radix_sort_onesweep_iterationIS3_Lb0EPsS7_N6thrust23THRUST_200600_302600_NS10device_ptrIlEESB_jNS0_19identity_decomposerENS1_16block_id_wrapperIjLb1EEEEE10hipError_tT1_PNSt15iterator_traitsISG_E10value_typeET2_T3_PNSH_ISM_E10value_typeET4_T5_PSR_SS_PNS1_23onesweep_lookback_stateEbbT6_jjT7_P12ihipStream_tbENKUlT_T0_SG_SL_E_clIS7_S7_PlSB_EEDaSZ_S10_SG_SL_EUlSZ_E_NS1_11comp_targetILNS1_3genE2ELNS1_11target_archE906ELNS1_3gpuE6ELNS1_3repE0EEENS1_47radix_sort_onesweep_sort_config_static_selectorELNS0_4arch9wavefront6targetE1EEEvSG_.uses_vcc, 1
	.set _ZN7rocprim17ROCPRIM_400000_NS6detail17trampoline_kernelINS0_14default_configENS1_35radix_sort_onesweep_config_selectorIslEEZZNS1_29radix_sort_onesweep_iterationIS3_Lb0EPsS7_N6thrust23THRUST_200600_302600_NS10device_ptrIlEESB_jNS0_19identity_decomposerENS1_16block_id_wrapperIjLb1EEEEE10hipError_tT1_PNSt15iterator_traitsISG_E10value_typeET2_T3_PNSH_ISM_E10value_typeET4_T5_PSR_SS_PNS1_23onesweep_lookback_stateEbbT6_jjT7_P12ihipStream_tbENKUlT_T0_SG_SL_E_clIS7_S7_PlSB_EEDaSZ_S10_SG_SL_EUlSZ_E_NS1_11comp_targetILNS1_3genE2ELNS1_11target_archE906ELNS1_3gpuE6ELNS1_3repE0EEENS1_47radix_sort_onesweep_sort_config_static_selectorELNS0_4arch9wavefront6targetE1EEEvSG_.uses_flat_scratch, 0
	.set _ZN7rocprim17ROCPRIM_400000_NS6detail17trampoline_kernelINS0_14default_configENS1_35radix_sort_onesweep_config_selectorIslEEZZNS1_29radix_sort_onesweep_iterationIS3_Lb0EPsS7_N6thrust23THRUST_200600_302600_NS10device_ptrIlEESB_jNS0_19identity_decomposerENS1_16block_id_wrapperIjLb1EEEEE10hipError_tT1_PNSt15iterator_traitsISG_E10value_typeET2_T3_PNSH_ISM_E10value_typeET4_T5_PSR_SS_PNS1_23onesweep_lookback_stateEbbT6_jjT7_P12ihipStream_tbENKUlT_T0_SG_SL_E_clIS7_S7_PlSB_EEDaSZ_S10_SG_SL_EUlSZ_E_NS1_11comp_targetILNS1_3genE2ELNS1_11target_archE906ELNS1_3gpuE6ELNS1_3repE0EEENS1_47radix_sort_onesweep_sort_config_static_selectorELNS0_4arch9wavefront6targetE1EEEvSG_.has_dyn_sized_stack, 0
	.set _ZN7rocprim17ROCPRIM_400000_NS6detail17trampoline_kernelINS0_14default_configENS1_35radix_sort_onesweep_config_selectorIslEEZZNS1_29radix_sort_onesweep_iterationIS3_Lb0EPsS7_N6thrust23THRUST_200600_302600_NS10device_ptrIlEESB_jNS0_19identity_decomposerENS1_16block_id_wrapperIjLb1EEEEE10hipError_tT1_PNSt15iterator_traitsISG_E10value_typeET2_T3_PNSH_ISM_E10value_typeET4_T5_PSR_SS_PNS1_23onesweep_lookback_stateEbbT6_jjT7_P12ihipStream_tbENKUlT_T0_SG_SL_E_clIS7_S7_PlSB_EEDaSZ_S10_SG_SL_EUlSZ_E_NS1_11comp_targetILNS1_3genE2ELNS1_11target_archE906ELNS1_3gpuE6ELNS1_3repE0EEENS1_47radix_sort_onesweep_sort_config_static_selectorELNS0_4arch9wavefront6targetE1EEEvSG_.has_recursion, 0
	.set _ZN7rocprim17ROCPRIM_400000_NS6detail17trampoline_kernelINS0_14default_configENS1_35radix_sort_onesweep_config_selectorIslEEZZNS1_29radix_sort_onesweep_iterationIS3_Lb0EPsS7_N6thrust23THRUST_200600_302600_NS10device_ptrIlEESB_jNS0_19identity_decomposerENS1_16block_id_wrapperIjLb1EEEEE10hipError_tT1_PNSt15iterator_traitsISG_E10value_typeET2_T3_PNSH_ISM_E10value_typeET4_T5_PSR_SS_PNS1_23onesweep_lookback_stateEbbT6_jjT7_P12ihipStream_tbENKUlT_T0_SG_SL_E_clIS7_S7_PlSB_EEDaSZ_S10_SG_SL_EUlSZ_E_NS1_11comp_targetILNS1_3genE2ELNS1_11target_archE906ELNS1_3gpuE6ELNS1_3repE0EEENS1_47radix_sort_onesweep_sort_config_static_selectorELNS0_4arch9wavefront6targetE1EEEvSG_.has_indirect_call, 0
	.section	.AMDGPU.csdata,"",@progbits
; Kernel info:
; codeLenInByte = 10844
; TotalNumSgprs: 60
; NumVgprs: 45
; ScratchSize: 32
; MemoryBound: 0
; FloatMode: 240
; IeeeMode: 1
; LDSByteSize: 10280 bytes/workgroup (compile time only)
; SGPRBlocks: 7
; VGPRBlocks: 11
; NumSGPRsForWavesPerEU: 60
; NumVGPRsForWavesPerEU: 45
; Occupancy: 5
; WaveLimiterHint : 1
; COMPUTE_PGM_RSRC2:SCRATCH_EN: 1
; COMPUTE_PGM_RSRC2:USER_SGPR: 6
; COMPUTE_PGM_RSRC2:TRAP_HANDLER: 0
; COMPUTE_PGM_RSRC2:TGID_X_EN: 1
; COMPUTE_PGM_RSRC2:TGID_Y_EN: 0
; COMPUTE_PGM_RSRC2:TGID_Z_EN: 0
; COMPUTE_PGM_RSRC2:TIDIG_COMP_CNT: 2
	.section	.text._ZN7rocprim17ROCPRIM_400000_NS6detail17trampoline_kernelINS0_14default_configENS1_35radix_sort_onesweep_config_selectorIslEEZZNS1_29radix_sort_onesweep_iterationIS3_Lb0EPsS7_N6thrust23THRUST_200600_302600_NS10device_ptrIlEESB_jNS0_19identity_decomposerENS1_16block_id_wrapperIjLb1EEEEE10hipError_tT1_PNSt15iterator_traitsISG_E10value_typeET2_T3_PNSH_ISM_E10value_typeET4_T5_PSR_SS_PNS1_23onesweep_lookback_stateEbbT6_jjT7_P12ihipStream_tbENKUlT_T0_SG_SL_E_clIS7_S7_PlSB_EEDaSZ_S10_SG_SL_EUlSZ_E_NS1_11comp_targetILNS1_3genE4ELNS1_11target_archE910ELNS1_3gpuE8ELNS1_3repE0EEENS1_47radix_sort_onesweep_sort_config_static_selectorELNS0_4arch9wavefront6targetE1EEEvSG_,"axG",@progbits,_ZN7rocprim17ROCPRIM_400000_NS6detail17trampoline_kernelINS0_14default_configENS1_35radix_sort_onesweep_config_selectorIslEEZZNS1_29radix_sort_onesweep_iterationIS3_Lb0EPsS7_N6thrust23THRUST_200600_302600_NS10device_ptrIlEESB_jNS0_19identity_decomposerENS1_16block_id_wrapperIjLb1EEEEE10hipError_tT1_PNSt15iterator_traitsISG_E10value_typeET2_T3_PNSH_ISM_E10value_typeET4_T5_PSR_SS_PNS1_23onesweep_lookback_stateEbbT6_jjT7_P12ihipStream_tbENKUlT_T0_SG_SL_E_clIS7_S7_PlSB_EEDaSZ_S10_SG_SL_EUlSZ_E_NS1_11comp_targetILNS1_3genE4ELNS1_11target_archE910ELNS1_3gpuE8ELNS1_3repE0EEENS1_47radix_sort_onesweep_sort_config_static_selectorELNS0_4arch9wavefront6targetE1EEEvSG_,comdat
	.protected	_ZN7rocprim17ROCPRIM_400000_NS6detail17trampoline_kernelINS0_14default_configENS1_35radix_sort_onesweep_config_selectorIslEEZZNS1_29radix_sort_onesweep_iterationIS3_Lb0EPsS7_N6thrust23THRUST_200600_302600_NS10device_ptrIlEESB_jNS0_19identity_decomposerENS1_16block_id_wrapperIjLb1EEEEE10hipError_tT1_PNSt15iterator_traitsISG_E10value_typeET2_T3_PNSH_ISM_E10value_typeET4_T5_PSR_SS_PNS1_23onesweep_lookback_stateEbbT6_jjT7_P12ihipStream_tbENKUlT_T0_SG_SL_E_clIS7_S7_PlSB_EEDaSZ_S10_SG_SL_EUlSZ_E_NS1_11comp_targetILNS1_3genE4ELNS1_11target_archE910ELNS1_3gpuE8ELNS1_3repE0EEENS1_47radix_sort_onesweep_sort_config_static_selectorELNS0_4arch9wavefront6targetE1EEEvSG_ ; -- Begin function _ZN7rocprim17ROCPRIM_400000_NS6detail17trampoline_kernelINS0_14default_configENS1_35radix_sort_onesweep_config_selectorIslEEZZNS1_29radix_sort_onesweep_iterationIS3_Lb0EPsS7_N6thrust23THRUST_200600_302600_NS10device_ptrIlEESB_jNS0_19identity_decomposerENS1_16block_id_wrapperIjLb1EEEEE10hipError_tT1_PNSt15iterator_traitsISG_E10value_typeET2_T3_PNSH_ISM_E10value_typeET4_T5_PSR_SS_PNS1_23onesweep_lookback_stateEbbT6_jjT7_P12ihipStream_tbENKUlT_T0_SG_SL_E_clIS7_S7_PlSB_EEDaSZ_S10_SG_SL_EUlSZ_E_NS1_11comp_targetILNS1_3genE4ELNS1_11target_archE910ELNS1_3gpuE8ELNS1_3repE0EEENS1_47radix_sort_onesweep_sort_config_static_selectorELNS0_4arch9wavefront6targetE1EEEvSG_
	.globl	_ZN7rocprim17ROCPRIM_400000_NS6detail17trampoline_kernelINS0_14default_configENS1_35radix_sort_onesweep_config_selectorIslEEZZNS1_29radix_sort_onesweep_iterationIS3_Lb0EPsS7_N6thrust23THRUST_200600_302600_NS10device_ptrIlEESB_jNS0_19identity_decomposerENS1_16block_id_wrapperIjLb1EEEEE10hipError_tT1_PNSt15iterator_traitsISG_E10value_typeET2_T3_PNSH_ISM_E10value_typeET4_T5_PSR_SS_PNS1_23onesweep_lookback_stateEbbT6_jjT7_P12ihipStream_tbENKUlT_T0_SG_SL_E_clIS7_S7_PlSB_EEDaSZ_S10_SG_SL_EUlSZ_E_NS1_11comp_targetILNS1_3genE4ELNS1_11target_archE910ELNS1_3gpuE8ELNS1_3repE0EEENS1_47radix_sort_onesweep_sort_config_static_selectorELNS0_4arch9wavefront6targetE1EEEvSG_
	.p2align	8
	.type	_ZN7rocprim17ROCPRIM_400000_NS6detail17trampoline_kernelINS0_14default_configENS1_35radix_sort_onesweep_config_selectorIslEEZZNS1_29radix_sort_onesweep_iterationIS3_Lb0EPsS7_N6thrust23THRUST_200600_302600_NS10device_ptrIlEESB_jNS0_19identity_decomposerENS1_16block_id_wrapperIjLb1EEEEE10hipError_tT1_PNSt15iterator_traitsISG_E10value_typeET2_T3_PNSH_ISM_E10value_typeET4_T5_PSR_SS_PNS1_23onesweep_lookback_stateEbbT6_jjT7_P12ihipStream_tbENKUlT_T0_SG_SL_E_clIS7_S7_PlSB_EEDaSZ_S10_SG_SL_EUlSZ_E_NS1_11comp_targetILNS1_3genE4ELNS1_11target_archE910ELNS1_3gpuE8ELNS1_3repE0EEENS1_47radix_sort_onesweep_sort_config_static_selectorELNS0_4arch9wavefront6targetE1EEEvSG_,@function
_ZN7rocprim17ROCPRIM_400000_NS6detail17trampoline_kernelINS0_14default_configENS1_35radix_sort_onesweep_config_selectorIslEEZZNS1_29radix_sort_onesweep_iterationIS3_Lb0EPsS7_N6thrust23THRUST_200600_302600_NS10device_ptrIlEESB_jNS0_19identity_decomposerENS1_16block_id_wrapperIjLb1EEEEE10hipError_tT1_PNSt15iterator_traitsISG_E10value_typeET2_T3_PNSH_ISM_E10value_typeET4_T5_PSR_SS_PNS1_23onesweep_lookback_stateEbbT6_jjT7_P12ihipStream_tbENKUlT_T0_SG_SL_E_clIS7_S7_PlSB_EEDaSZ_S10_SG_SL_EUlSZ_E_NS1_11comp_targetILNS1_3genE4ELNS1_11target_archE910ELNS1_3gpuE8ELNS1_3repE0EEENS1_47radix_sort_onesweep_sort_config_static_selectorELNS0_4arch9wavefront6targetE1EEEvSG_: ; @_ZN7rocprim17ROCPRIM_400000_NS6detail17trampoline_kernelINS0_14default_configENS1_35radix_sort_onesweep_config_selectorIslEEZZNS1_29radix_sort_onesweep_iterationIS3_Lb0EPsS7_N6thrust23THRUST_200600_302600_NS10device_ptrIlEESB_jNS0_19identity_decomposerENS1_16block_id_wrapperIjLb1EEEEE10hipError_tT1_PNSt15iterator_traitsISG_E10value_typeET2_T3_PNSH_ISM_E10value_typeET4_T5_PSR_SS_PNS1_23onesweep_lookback_stateEbbT6_jjT7_P12ihipStream_tbENKUlT_T0_SG_SL_E_clIS7_S7_PlSB_EEDaSZ_S10_SG_SL_EUlSZ_E_NS1_11comp_targetILNS1_3genE4ELNS1_11target_archE910ELNS1_3gpuE8ELNS1_3repE0EEENS1_47radix_sort_onesweep_sort_config_static_selectorELNS0_4arch9wavefront6targetE1EEEvSG_
; %bb.0:
	.section	.rodata,"a",@progbits
	.p2align	6, 0x0
	.amdhsa_kernel _ZN7rocprim17ROCPRIM_400000_NS6detail17trampoline_kernelINS0_14default_configENS1_35radix_sort_onesweep_config_selectorIslEEZZNS1_29radix_sort_onesweep_iterationIS3_Lb0EPsS7_N6thrust23THRUST_200600_302600_NS10device_ptrIlEESB_jNS0_19identity_decomposerENS1_16block_id_wrapperIjLb1EEEEE10hipError_tT1_PNSt15iterator_traitsISG_E10value_typeET2_T3_PNSH_ISM_E10value_typeET4_T5_PSR_SS_PNS1_23onesweep_lookback_stateEbbT6_jjT7_P12ihipStream_tbENKUlT_T0_SG_SL_E_clIS7_S7_PlSB_EEDaSZ_S10_SG_SL_EUlSZ_E_NS1_11comp_targetILNS1_3genE4ELNS1_11target_archE910ELNS1_3gpuE8ELNS1_3repE0EEENS1_47radix_sort_onesweep_sort_config_static_selectorELNS0_4arch9wavefront6targetE1EEEvSG_
		.amdhsa_group_segment_fixed_size 0
		.amdhsa_private_segment_fixed_size 0
		.amdhsa_kernarg_size 88
		.amdhsa_user_sgpr_count 6
		.amdhsa_user_sgpr_private_segment_buffer 1
		.amdhsa_user_sgpr_dispatch_ptr 0
		.amdhsa_user_sgpr_queue_ptr 0
		.amdhsa_user_sgpr_kernarg_segment_ptr 1
		.amdhsa_user_sgpr_dispatch_id 0
		.amdhsa_user_sgpr_flat_scratch_init 0
		.amdhsa_user_sgpr_private_segment_size 0
		.amdhsa_uses_dynamic_stack 0
		.amdhsa_system_sgpr_private_segment_wavefront_offset 0
		.amdhsa_system_sgpr_workgroup_id_x 1
		.amdhsa_system_sgpr_workgroup_id_y 0
		.amdhsa_system_sgpr_workgroup_id_z 0
		.amdhsa_system_sgpr_workgroup_info 0
		.amdhsa_system_vgpr_workitem_id 0
		.amdhsa_next_free_vgpr 1
		.amdhsa_next_free_sgpr 0
		.amdhsa_reserve_vcc 0
		.amdhsa_reserve_flat_scratch 0
		.amdhsa_float_round_mode_32 0
		.amdhsa_float_round_mode_16_64 0
		.amdhsa_float_denorm_mode_32 3
		.amdhsa_float_denorm_mode_16_64 3
		.amdhsa_dx10_clamp 1
		.amdhsa_ieee_mode 1
		.amdhsa_fp16_overflow 0
		.amdhsa_exception_fp_ieee_invalid_op 0
		.amdhsa_exception_fp_denorm_src 0
		.amdhsa_exception_fp_ieee_div_zero 0
		.amdhsa_exception_fp_ieee_overflow 0
		.amdhsa_exception_fp_ieee_underflow 0
		.amdhsa_exception_fp_ieee_inexact 0
		.amdhsa_exception_int_div_zero 0
	.end_amdhsa_kernel
	.section	.text._ZN7rocprim17ROCPRIM_400000_NS6detail17trampoline_kernelINS0_14default_configENS1_35radix_sort_onesweep_config_selectorIslEEZZNS1_29radix_sort_onesweep_iterationIS3_Lb0EPsS7_N6thrust23THRUST_200600_302600_NS10device_ptrIlEESB_jNS0_19identity_decomposerENS1_16block_id_wrapperIjLb1EEEEE10hipError_tT1_PNSt15iterator_traitsISG_E10value_typeET2_T3_PNSH_ISM_E10value_typeET4_T5_PSR_SS_PNS1_23onesweep_lookback_stateEbbT6_jjT7_P12ihipStream_tbENKUlT_T0_SG_SL_E_clIS7_S7_PlSB_EEDaSZ_S10_SG_SL_EUlSZ_E_NS1_11comp_targetILNS1_3genE4ELNS1_11target_archE910ELNS1_3gpuE8ELNS1_3repE0EEENS1_47radix_sort_onesweep_sort_config_static_selectorELNS0_4arch9wavefront6targetE1EEEvSG_,"axG",@progbits,_ZN7rocprim17ROCPRIM_400000_NS6detail17trampoline_kernelINS0_14default_configENS1_35radix_sort_onesweep_config_selectorIslEEZZNS1_29radix_sort_onesweep_iterationIS3_Lb0EPsS7_N6thrust23THRUST_200600_302600_NS10device_ptrIlEESB_jNS0_19identity_decomposerENS1_16block_id_wrapperIjLb1EEEEE10hipError_tT1_PNSt15iterator_traitsISG_E10value_typeET2_T3_PNSH_ISM_E10value_typeET4_T5_PSR_SS_PNS1_23onesweep_lookback_stateEbbT6_jjT7_P12ihipStream_tbENKUlT_T0_SG_SL_E_clIS7_S7_PlSB_EEDaSZ_S10_SG_SL_EUlSZ_E_NS1_11comp_targetILNS1_3genE4ELNS1_11target_archE910ELNS1_3gpuE8ELNS1_3repE0EEENS1_47radix_sort_onesweep_sort_config_static_selectorELNS0_4arch9wavefront6targetE1EEEvSG_,comdat
.Lfunc_end1420:
	.size	_ZN7rocprim17ROCPRIM_400000_NS6detail17trampoline_kernelINS0_14default_configENS1_35radix_sort_onesweep_config_selectorIslEEZZNS1_29radix_sort_onesweep_iterationIS3_Lb0EPsS7_N6thrust23THRUST_200600_302600_NS10device_ptrIlEESB_jNS0_19identity_decomposerENS1_16block_id_wrapperIjLb1EEEEE10hipError_tT1_PNSt15iterator_traitsISG_E10value_typeET2_T3_PNSH_ISM_E10value_typeET4_T5_PSR_SS_PNS1_23onesweep_lookback_stateEbbT6_jjT7_P12ihipStream_tbENKUlT_T0_SG_SL_E_clIS7_S7_PlSB_EEDaSZ_S10_SG_SL_EUlSZ_E_NS1_11comp_targetILNS1_3genE4ELNS1_11target_archE910ELNS1_3gpuE8ELNS1_3repE0EEENS1_47radix_sort_onesweep_sort_config_static_selectorELNS0_4arch9wavefront6targetE1EEEvSG_, .Lfunc_end1420-_ZN7rocprim17ROCPRIM_400000_NS6detail17trampoline_kernelINS0_14default_configENS1_35radix_sort_onesweep_config_selectorIslEEZZNS1_29radix_sort_onesweep_iterationIS3_Lb0EPsS7_N6thrust23THRUST_200600_302600_NS10device_ptrIlEESB_jNS0_19identity_decomposerENS1_16block_id_wrapperIjLb1EEEEE10hipError_tT1_PNSt15iterator_traitsISG_E10value_typeET2_T3_PNSH_ISM_E10value_typeET4_T5_PSR_SS_PNS1_23onesweep_lookback_stateEbbT6_jjT7_P12ihipStream_tbENKUlT_T0_SG_SL_E_clIS7_S7_PlSB_EEDaSZ_S10_SG_SL_EUlSZ_E_NS1_11comp_targetILNS1_3genE4ELNS1_11target_archE910ELNS1_3gpuE8ELNS1_3repE0EEENS1_47radix_sort_onesweep_sort_config_static_selectorELNS0_4arch9wavefront6targetE1EEEvSG_
                                        ; -- End function
	.set _ZN7rocprim17ROCPRIM_400000_NS6detail17trampoline_kernelINS0_14default_configENS1_35radix_sort_onesweep_config_selectorIslEEZZNS1_29radix_sort_onesweep_iterationIS3_Lb0EPsS7_N6thrust23THRUST_200600_302600_NS10device_ptrIlEESB_jNS0_19identity_decomposerENS1_16block_id_wrapperIjLb1EEEEE10hipError_tT1_PNSt15iterator_traitsISG_E10value_typeET2_T3_PNSH_ISM_E10value_typeET4_T5_PSR_SS_PNS1_23onesweep_lookback_stateEbbT6_jjT7_P12ihipStream_tbENKUlT_T0_SG_SL_E_clIS7_S7_PlSB_EEDaSZ_S10_SG_SL_EUlSZ_E_NS1_11comp_targetILNS1_3genE4ELNS1_11target_archE910ELNS1_3gpuE8ELNS1_3repE0EEENS1_47radix_sort_onesweep_sort_config_static_selectorELNS0_4arch9wavefront6targetE1EEEvSG_.num_vgpr, 0
	.set _ZN7rocprim17ROCPRIM_400000_NS6detail17trampoline_kernelINS0_14default_configENS1_35radix_sort_onesweep_config_selectorIslEEZZNS1_29radix_sort_onesweep_iterationIS3_Lb0EPsS7_N6thrust23THRUST_200600_302600_NS10device_ptrIlEESB_jNS0_19identity_decomposerENS1_16block_id_wrapperIjLb1EEEEE10hipError_tT1_PNSt15iterator_traitsISG_E10value_typeET2_T3_PNSH_ISM_E10value_typeET4_T5_PSR_SS_PNS1_23onesweep_lookback_stateEbbT6_jjT7_P12ihipStream_tbENKUlT_T0_SG_SL_E_clIS7_S7_PlSB_EEDaSZ_S10_SG_SL_EUlSZ_E_NS1_11comp_targetILNS1_3genE4ELNS1_11target_archE910ELNS1_3gpuE8ELNS1_3repE0EEENS1_47radix_sort_onesweep_sort_config_static_selectorELNS0_4arch9wavefront6targetE1EEEvSG_.num_agpr, 0
	.set _ZN7rocprim17ROCPRIM_400000_NS6detail17trampoline_kernelINS0_14default_configENS1_35radix_sort_onesweep_config_selectorIslEEZZNS1_29radix_sort_onesweep_iterationIS3_Lb0EPsS7_N6thrust23THRUST_200600_302600_NS10device_ptrIlEESB_jNS0_19identity_decomposerENS1_16block_id_wrapperIjLb1EEEEE10hipError_tT1_PNSt15iterator_traitsISG_E10value_typeET2_T3_PNSH_ISM_E10value_typeET4_T5_PSR_SS_PNS1_23onesweep_lookback_stateEbbT6_jjT7_P12ihipStream_tbENKUlT_T0_SG_SL_E_clIS7_S7_PlSB_EEDaSZ_S10_SG_SL_EUlSZ_E_NS1_11comp_targetILNS1_3genE4ELNS1_11target_archE910ELNS1_3gpuE8ELNS1_3repE0EEENS1_47radix_sort_onesweep_sort_config_static_selectorELNS0_4arch9wavefront6targetE1EEEvSG_.numbered_sgpr, 0
	.set _ZN7rocprim17ROCPRIM_400000_NS6detail17trampoline_kernelINS0_14default_configENS1_35radix_sort_onesweep_config_selectorIslEEZZNS1_29radix_sort_onesweep_iterationIS3_Lb0EPsS7_N6thrust23THRUST_200600_302600_NS10device_ptrIlEESB_jNS0_19identity_decomposerENS1_16block_id_wrapperIjLb1EEEEE10hipError_tT1_PNSt15iterator_traitsISG_E10value_typeET2_T3_PNSH_ISM_E10value_typeET4_T5_PSR_SS_PNS1_23onesweep_lookback_stateEbbT6_jjT7_P12ihipStream_tbENKUlT_T0_SG_SL_E_clIS7_S7_PlSB_EEDaSZ_S10_SG_SL_EUlSZ_E_NS1_11comp_targetILNS1_3genE4ELNS1_11target_archE910ELNS1_3gpuE8ELNS1_3repE0EEENS1_47radix_sort_onesweep_sort_config_static_selectorELNS0_4arch9wavefront6targetE1EEEvSG_.num_named_barrier, 0
	.set _ZN7rocprim17ROCPRIM_400000_NS6detail17trampoline_kernelINS0_14default_configENS1_35radix_sort_onesweep_config_selectorIslEEZZNS1_29radix_sort_onesweep_iterationIS3_Lb0EPsS7_N6thrust23THRUST_200600_302600_NS10device_ptrIlEESB_jNS0_19identity_decomposerENS1_16block_id_wrapperIjLb1EEEEE10hipError_tT1_PNSt15iterator_traitsISG_E10value_typeET2_T3_PNSH_ISM_E10value_typeET4_T5_PSR_SS_PNS1_23onesweep_lookback_stateEbbT6_jjT7_P12ihipStream_tbENKUlT_T0_SG_SL_E_clIS7_S7_PlSB_EEDaSZ_S10_SG_SL_EUlSZ_E_NS1_11comp_targetILNS1_3genE4ELNS1_11target_archE910ELNS1_3gpuE8ELNS1_3repE0EEENS1_47radix_sort_onesweep_sort_config_static_selectorELNS0_4arch9wavefront6targetE1EEEvSG_.private_seg_size, 0
	.set _ZN7rocprim17ROCPRIM_400000_NS6detail17trampoline_kernelINS0_14default_configENS1_35radix_sort_onesweep_config_selectorIslEEZZNS1_29radix_sort_onesweep_iterationIS3_Lb0EPsS7_N6thrust23THRUST_200600_302600_NS10device_ptrIlEESB_jNS0_19identity_decomposerENS1_16block_id_wrapperIjLb1EEEEE10hipError_tT1_PNSt15iterator_traitsISG_E10value_typeET2_T3_PNSH_ISM_E10value_typeET4_T5_PSR_SS_PNS1_23onesweep_lookback_stateEbbT6_jjT7_P12ihipStream_tbENKUlT_T0_SG_SL_E_clIS7_S7_PlSB_EEDaSZ_S10_SG_SL_EUlSZ_E_NS1_11comp_targetILNS1_3genE4ELNS1_11target_archE910ELNS1_3gpuE8ELNS1_3repE0EEENS1_47radix_sort_onesweep_sort_config_static_selectorELNS0_4arch9wavefront6targetE1EEEvSG_.uses_vcc, 0
	.set _ZN7rocprim17ROCPRIM_400000_NS6detail17trampoline_kernelINS0_14default_configENS1_35radix_sort_onesweep_config_selectorIslEEZZNS1_29radix_sort_onesweep_iterationIS3_Lb0EPsS7_N6thrust23THRUST_200600_302600_NS10device_ptrIlEESB_jNS0_19identity_decomposerENS1_16block_id_wrapperIjLb1EEEEE10hipError_tT1_PNSt15iterator_traitsISG_E10value_typeET2_T3_PNSH_ISM_E10value_typeET4_T5_PSR_SS_PNS1_23onesweep_lookback_stateEbbT6_jjT7_P12ihipStream_tbENKUlT_T0_SG_SL_E_clIS7_S7_PlSB_EEDaSZ_S10_SG_SL_EUlSZ_E_NS1_11comp_targetILNS1_3genE4ELNS1_11target_archE910ELNS1_3gpuE8ELNS1_3repE0EEENS1_47radix_sort_onesweep_sort_config_static_selectorELNS0_4arch9wavefront6targetE1EEEvSG_.uses_flat_scratch, 0
	.set _ZN7rocprim17ROCPRIM_400000_NS6detail17trampoline_kernelINS0_14default_configENS1_35radix_sort_onesweep_config_selectorIslEEZZNS1_29radix_sort_onesweep_iterationIS3_Lb0EPsS7_N6thrust23THRUST_200600_302600_NS10device_ptrIlEESB_jNS0_19identity_decomposerENS1_16block_id_wrapperIjLb1EEEEE10hipError_tT1_PNSt15iterator_traitsISG_E10value_typeET2_T3_PNSH_ISM_E10value_typeET4_T5_PSR_SS_PNS1_23onesweep_lookback_stateEbbT6_jjT7_P12ihipStream_tbENKUlT_T0_SG_SL_E_clIS7_S7_PlSB_EEDaSZ_S10_SG_SL_EUlSZ_E_NS1_11comp_targetILNS1_3genE4ELNS1_11target_archE910ELNS1_3gpuE8ELNS1_3repE0EEENS1_47radix_sort_onesweep_sort_config_static_selectorELNS0_4arch9wavefront6targetE1EEEvSG_.has_dyn_sized_stack, 0
	.set _ZN7rocprim17ROCPRIM_400000_NS6detail17trampoline_kernelINS0_14default_configENS1_35radix_sort_onesweep_config_selectorIslEEZZNS1_29radix_sort_onesweep_iterationIS3_Lb0EPsS7_N6thrust23THRUST_200600_302600_NS10device_ptrIlEESB_jNS0_19identity_decomposerENS1_16block_id_wrapperIjLb1EEEEE10hipError_tT1_PNSt15iterator_traitsISG_E10value_typeET2_T3_PNSH_ISM_E10value_typeET4_T5_PSR_SS_PNS1_23onesweep_lookback_stateEbbT6_jjT7_P12ihipStream_tbENKUlT_T0_SG_SL_E_clIS7_S7_PlSB_EEDaSZ_S10_SG_SL_EUlSZ_E_NS1_11comp_targetILNS1_3genE4ELNS1_11target_archE910ELNS1_3gpuE8ELNS1_3repE0EEENS1_47radix_sort_onesweep_sort_config_static_selectorELNS0_4arch9wavefront6targetE1EEEvSG_.has_recursion, 0
	.set _ZN7rocprim17ROCPRIM_400000_NS6detail17trampoline_kernelINS0_14default_configENS1_35radix_sort_onesweep_config_selectorIslEEZZNS1_29radix_sort_onesweep_iterationIS3_Lb0EPsS7_N6thrust23THRUST_200600_302600_NS10device_ptrIlEESB_jNS0_19identity_decomposerENS1_16block_id_wrapperIjLb1EEEEE10hipError_tT1_PNSt15iterator_traitsISG_E10value_typeET2_T3_PNSH_ISM_E10value_typeET4_T5_PSR_SS_PNS1_23onesweep_lookback_stateEbbT6_jjT7_P12ihipStream_tbENKUlT_T0_SG_SL_E_clIS7_S7_PlSB_EEDaSZ_S10_SG_SL_EUlSZ_E_NS1_11comp_targetILNS1_3genE4ELNS1_11target_archE910ELNS1_3gpuE8ELNS1_3repE0EEENS1_47radix_sort_onesweep_sort_config_static_selectorELNS0_4arch9wavefront6targetE1EEEvSG_.has_indirect_call, 0
	.section	.AMDGPU.csdata,"",@progbits
; Kernel info:
; codeLenInByte = 0
; TotalNumSgprs: 4
; NumVgprs: 0
; ScratchSize: 0
; MemoryBound: 0
; FloatMode: 240
; IeeeMode: 1
; LDSByteSize: 0 bytes/workgroup (compile time only)
; SGPRBlocks: 0
; VGPRBlocks: 0
; NumSGPRsForWavesPerEU: 4
; NumVGPRsForWavesPerEU: 1
; Occupancy: 10
; WaveLimiterHint : 0
; COMPUTE_PGM_RSRC2:SCRATCH_EN: 0
; COMPUTE_PGM_RSRC2:USER_SGPR: 6
; COMPUTE_PGM_RSRC2:TRAP_HANDLER: 0
; COMPUTE_PGM_RSRC2:TGID_X_EN: 1
; COMPUTE_PGM_RSRC2:TGID_Y_EN: 0
; COMPUTE_PGM_RSRC2:TGID_Z_EN: 0
; COMPUTE_PGM_RSRC2:TIDIG_COMP_CNT: 0
	.section	.text._ZN7rocprim17ROCPRIM_400000_NS6detail17trampoline_kernelINS0_14default_configENS1_35radix_sort_onesweep_config_selectorIslEEZZNS1_29radix_sort_onesweep_iterationIS3_Lb0EPsS7_N6thrust23THRUST_200600_302600_NS10device_ptrIlEESB_jNS0_19identity_decomposerENS1_16block_id_wrapperIjLb1EEEEE10hipError_tT1_PNSt15iterator_traitsISG_E10value_typeET2_T3_PNSH_ISM_E10value_typeET4_T5_PSR_SS_PNS1_23onesweep_lookback_stateEbbT6_jjT7_P12ihipStream_tbENKUlT_T0_SG_SL_E_clIS7_S7_PlSB_EEDaSZ_S10_SG_SL_EUlSZ_E_NS1_11comp_targetILNS1_3genE3ELNS1_11target_archE908ELNS1_3gpuE7ELNS1_3repE0EEENS1_47radix_sort_onesweep_sort_config_static_selectorELNS0_4arch9wavefront6targetE1EEEvSG_,"axG",@progbits,_ZN7rocprim17ROCPRIM_400000_NS6detail17trampoline_kernelINS0_14default_configENS1_35radix_sort_onesweep_config_selectorIslEEZZNS1_29radix_sort_onesweep_iterationIS3_Lb0EPsS7_N6thrust23THRUST_200600_302600_NS10device_ptrIlEESB_jNS0_19identity_decomposerENS1_16block_id_wrapperIjLb1EEEEE10hipError_tT1_PNSt15iterator_traitsISG_E10value_typeET2_T3_PNSH_ISM_E10value_typeET4_T5_PSR_SS_PNS1_23onesweep_lookback_stateEbbT6_jjT7_P12ihipStream_tbENKUlT_T0_SG_SL_E_clIS7_S7_PlSB_EEDaSZ_S10_SG_SL_EUlSZ_E_NS1_11comp_targetILNS1_3genE3ELNS1_11target_archE908ELNS1_3gpuE7ELNS1_3repE0EEENS1_47radix_sort_onesweep_sort_config_static_selectorELNS0_4arch9wavefront6targetE1EEEvSG_,comdat
	.protected	_ZN7rocprim17ROCPRIM_400000_NS6detail17trampoline_kernelINS0_14default_configENS1_35radix_sort_onesweep_config_selectorIslEEZZNS1_29radix_sort_onesweep_iterationIS3_Lb0EPsS7_N6thrust23THRUST_200600_302600_NS10device_ptrIlEESB_jNS0_19identity_decomposerENS1_16block_id_wrapperIjLb1EEEEE10hipError_tT1_PNSt15iterator_traitsISG_E10value_typeET2_T3_PNSH_ISM_E10value_typeET4_T5_PSR_SS_PNS1_23onesweep_lookback_stateEbbT6_jjT7_P12ihipStream_tbENKUlT_T0_SG_SL_E_clIS7_S7_PlSB_EEDaSZ_S10_SG_SL_EUlSZ_E_NS1_11comp_targetILNS1_3genE3ELNS1_11target_archE908ELNS1_3gpuE7ELNS1_3repE0EEENS1_47radix_sort_onesweep_sort_config_static_selectorELNS0_4arch9wavefront6targetE1EEEvSG_ ; -- Begin function _ZN7rocprim17ROCPRIM_400000_NS6detail17trampoline_kernelINS0_14default_configENS1_35radix_sort_onesweep_config_selectorIslEEZZNS1_29radix_sort_onesweep_iterationIS3_Lb0EPsS7_N6thrust23THRUST_200600_302600_NS10device_ptrIlEESB_jNS0_19identity_decomposerENS1_16block_id_wrapperIjLb1EEEEE10hipError_tT1_PNSt15iterator_traitsISG_E10value_typeET2_T3_PNSH_ISM_E10value_typeET4_T5_PSR_SS_PNS1_23onesweep_lookback_stateEbbT6_jjT7_P12ihipStream_tbENKUlT_T0_SG_SL_E_clIS7_S7_PlSB_EEDaSZ_S10_SG_SL_EUlSZ_E_NS1_11comp_targetILNS1_3genE3ELNS1_11target_archE908ELNS1_3gpuE7ELNS1_3repE0EEENS1_47radix_sort_onesweep_sort_config_static_selectorELNS0_4arch9wavefront6targetE1EEEvSG_
	.globl	_ZN7rocprim17ROCPRIM_400000_NS6detail17trampoline_kernelINS0_14default_configENS1_35radix_sort_onesweep_config_selectorIslEEZZNS1_29radix_sort_onesweep_iterationIS3_Lb0EPsS7_N6thrust23THRUST_200600_302600_NS10device_ptrIlEESB_jNS0_19identity_decomposerENS1_16block_id_wrapperIjLb1EEEEE10hipError_tT1_PNSt15iterator_traitsISG_E10value_typeET2_T3_PNSH_ISM_E10value_typeET4_T5_PSR_SS_PNS1_23onesweep_lookback_stateEbbT6_jjT7_P12ihipStream_tbENKUlT_T0_SG_SL_E_clIS7_S7_PlSB_EEDaSZ_S10_SG_SL_EUlSZ_E_NS1_11comp_targetILNS1_3genE3ELNS1_11target_archE908ELNS1_3gpuE7ELNS1_3repE0EEENS1_47radix_sort_onesweep_sort_config_static_selectorELNS0_4arch9wavefront6targetE1EEEvSG_
	.p2align	8
	.type	_ZN7rocprim17ROCPRIM_400000_NS6detail17trampoline_kernelINS0_14default_configENS1_35radix_sort_onesweep_config_selectorIslEEZZNS1_29radix_sort_onesweep_iterationIS3_Lb0EPsS7_N6thrust23THRUST_200600_302600_NS10device_ptrIlEESB_jNS0_19identity_decomposerENS1_16block_id_wrapperIjLb1EEEEE10hipError_tT1_PNSt15iterator_traitsISG_E10value_typeET2_T3_PNSH_ISM_E10value_typeET4_T5_PSR_SS_PNS1_23onesweep_lookback_stateEbbT6_jjT7_P12ihipStream_tbENKUlT_T0_SG_SL_E_clIS7_S7_PlSB_EEDaSZ_S10_SG_SL_EUlSZ_E_NS1_11comp_targetILNS1_3genE3ELNS1_11target_archE908ELNS1_3gpuE7ELNS1_3repE0EEENS1_47radix_sort_onesweep_sort_config_static_selectorELNS0_4arch9wavefront6targetE1EEEvSG_,@function
_ZN7rocprim17ROCPRIM_400000_NS6detail17trampoline_kernelINS0_14default_configENS1_35radix_sort_onesweep_config_selectorIslEEZZNS1_29radix_sort_onesweep_iterationIS3_Lb0EPsS7_N6thrust23THRUST_200600_302600_NS10device_ptrIlEESB_jNS0_19identity_decomposerENS1_16block_id_wrapperIjLb1EEEEE10hipError_tT1_PNSt15iterator_traitsISG_E10value_typeET2_T3_PNSH_ISM_E10value_typeET4_T5_PSR_SS_PNS1_23onesweep_lookback_stateEbbT6_jjT7_P12ihipStream_tbENKUlT_T0_SG_SL_E_clIS7_S7_PlSB_EEDaSZ_S10_SG_SL_EUlSZ_E_NS1_11comp_targetILNS1_3genE3ELNS1_11target_archE908ELNS1_3gpuE7ELNS1_3repE0EEENS1_47radix_sort_onesweep_sort_config_static_selectorELNS0_4arch9wavefront6targetE1EEEvSG_: ; @_ZN7rocprim17ROCPRIM_400000_NS6detail17trampoline_kernelINS0_14default_configENS1_35radix_sort_onesweep_config_selectorIslEEZZNS1_29radix_sort_onesweep_iterationIS3_Lb0EPsS7_N6thrust23THRUST_200600_302600_NS10device_ptrIlEESB_jNS0_19identity_decomposerENS1_16block_id_wrapperIjLb1EEEEE10hipError_tT1_PNSt15iterator_traitsISG_E10value_typeET2_T3_PNSH_ISM_E10value_typeET4_T5_PSR_SS_PNS1_23onesweep_lookback_stateEbbT6_jjT7_P12ihipStream_tbENKUlT_T0_SG_SL_E_clIS7_S7_PlSB_EEDaSZ_S10_SG_SL_EUlSZ_E_NS1_11comp_targetILNS1_3genE3ELNS1_11target_archE908ELNS1_3gpuE7ELNS1_3repE0EEENS1_47radix_sort_onesweep_sort_config_static_selectorELNS0_4arch9wavefront6targetE1EEEvSG_
; %bb.0:
	.section	.rodata,"a",@progbits
	.p2align	6, 0x0
	.amdhsa_kernel _ZN7rocprim17ROCPRIM_400000_NS6detail17trampoline_kernelINS0_14default_configENS1_35radix_sort_onesweep_config_selectorIslEEZZNS1_29radix_sort_onesweep_iterationIS3_Lb0EPsS7_N6thrust23THRUST_200600_302600_NS10device_ptrIlEESB_jNS0_19identity_decomposerENS1_16block_id_wrapperIjLb1EEEEE10hipError_tT1_PNSt15iterator_traitsISG_E10value_typeET2_T3_PNSH_ISM_E10value_typeET4_T5_PSR_SS_PNS1_23onesweep_lookback_stateEbbT6_jjT7_P12ihipStream_tbENKUlT_T0_SG_SL_E_clIS7_S7_PlSB_EEDaSZ_S10_SG_SL_EUlSZ_E_NS1_11comp_targetILNS1_3genE3ELNS1_11target_archE908ELNS1_3gpuE7ELNS1_3repE0EEENS1_47radix_sort_onesweep_sort_config_static_selectorELNS0_4arch9wavefront6targetE1EEEvSG_
		.amdhsa_group_segment_fixed_size 0
		.amdhsa_private_segment_fixed_size 0
		.amdhsa_kernarg_size 88
		.amdhsa_user_sgpr_count 6
		.amdhsa_user_sgpr_private_segment_buffer 1
		.amdhsa_user_sgpr_dispatch_ptr 0
		.amdhsa_user_sgpr_queue_ptr 0
		.amdhsa_user_sgpr_kernarg_segment_ptr 1
		.amdhsa_user_sgpr_dispatch_id 0
		.amdhsa_user_sgpr_flat_scratch_init 0
		.amdhsa_user_sgpr_private_segment_size 0
		.amdhsa_uses_dynamic_stack 0
		.amdhsa_system_sgpr_private_segment_wavefront_offset 0
		.amdhsa_system_sgpr_workgroup_id_x 1
		.amdhsa_system_sgpr_workgroup_id_y 0
		.amdhsa_system_sgpr_workgroup_id_z 0
		.amdhsa_system_sgpr_workgroup_info 0
		.amdhsa_system_vgpr_workitem_id 0
		.amdhsa_next_free_vgpr 1
		.amdhsa_next_free_sgpr 0
		.amdhsa_reserve_vcc 0
		.amdhsa_reserve_flat_scratch 0
		.amdhsa_float_round_mode_32 0
		.amdhsa_float_round_mode_16_64 0
		.amdhsa_float_denorm_mode_32 3
		.amdhsa_float_denorm_mode_16_64 3
		.amdhsa_dx10_clamp 1
		.amdhsa_ieee_mode 1
		.amdhsa_fp16_overflow 0
		.amdhsa_exception_fp_ieee_invalid_op 0
		.amdhsa_exception_fp_denorm_src 0
		.amdhsa_exception_fp_ieee_div_zero 0
		.amdhsa_exception_fp_ieee_overflow 0
		.amdhsa_exception_fp_ieee_underflow 0
		.amdhsa_exception_fp_ieee_inexact 0
		.amdhsa_exception_int_div_zero 0
	.end_amdhsa_kernel
	.section	.text._ZN7rocprim17ROCPRIM_400000_NS6detail17trampoline_kernelINS0_14default_configENS1_35radix_sort_onesweep_config_selectorIslEEZZNS1_29radix_sort_onesweep_iterationIS3_Lb0EPsS7_N6thrust23THRUST_200600_302600_NS10device_ptrIlEESB_jNS0_19identity_decomposerENS1_16block_id_wrapperIjLb1EEEEE10hipError_tT1_PNSt15iterator_traitsISG_E10value_typeET2_T3_PNSH_ISM_E10value_typeET4_T5_PSR_SS_PNS1_23onesweep_lookback_stateEbbT6_jjT7_P12ihipStream_tbENKUlT_T0_SG_SL_E_clIS7_S7_PlSB_EEDaSZ_S10_SG_SL_EUlSZ_E_NS1_11comp_targetILNS1_3genE3ELNS1_11target_archE908ELNS1_3gpuE7ELNS1_3repE0EEENS1_47radix_sort_onesweep_sort_config_static_selectorELNS0_4arch9wavefront6targetE1EEEvSG_,"axG",@progbits,_ZN7rocprim17ROCPRIM_400000_NS6detail17trampoline_kernelINS0_14default_configENS1_35radix_sort_onesweep_config_selectorIslEEZZNS1_29radix_sort_onesweep_iterationIS3_Lb0EPsS7_N6thrust23THRUST_200600_302600_NS10device_ptrIlEESB_jNS0_19identity_decomposerENS1_16block_id_wrapperIjLb1EEEEE10hipError_tT1_PNSt15iterator_traitsISG_E10value_typeET2_T3_PNSH_ISM_E10value_typeET4_T5_PSR_SS_PNS1_23onesweep_lookback_stateEbbT6_jjT7_P12ihipStream_tbENKUlT_T0_SG_SL_E_clIS7_S7_PlSB_EEDaSZ_S10_SG_SL_EUlSZ_E_NS1_11comp_targetILNS1_3genE3ELNS1_11target_archE908ELNS1_3gpuE7ELNS1_3repE0EEENS1_47radix_sort_onesweep_sort_config_static_selectorELNS0_4arch9wavefront6targetE1EEEvSG_,comdat
.Lfunc_end1421:
	.size	_ZN7rocprim17ROCPRIM_400000_NS6detail17trampoline_kernelINS0_14default_configENS1_35radix_sort_onesweep_config_selectorIslEEZZNS1_29radix_sort_onesweep_iterationIS3_Lb0EPsS7_N6thrust23THRUST_200600_302600_NS10device_ptrIlEESB_jNS0_19identity_decomposerENS1_16block_id_wrapperIjLb1EEEEE10hipError_tT1_PNSt15iterator_traitsISG_E10value_typeET2_T3_PNSH_ISM_E10value_typeET4_T5_PSR_SS_PNS1_23onesweep_lookback_stateEbbT6_jjT7_P12ihipStream_tbENKUlT_T0_SG_SL_E_clIS7_S7_PlSB_EEDaSZ_S10_SG_SL_EUlSZ_E_NS1_11comp_targetILNS1_3genE3ELNS1_11target_archE908ELNS1_3gpuE7ELNS1_3repE0EEENS1_47radix_sort_onesweep_sort_config_static_selectorELNS0_4arch9wavefront6targetE1EEEvSG_, .Lfunc_end1421-_ZN7rocprim17ROCPRIM_400000_NS6detail17trampoline_kernelINS0_14default_configENS1_35radix_sort_onesweep_config_selectorIslEEZZNS1_29radix_sort_onesweep_iterationIS3_Lb0EPsS7_N6thrust23THRUST_200600_302600_NS10device_ptrIlEESB_jNS0_19identity_decomposerENS1_16block_id_wrapperIjLb1EEEEE10hipError_tT1_PNSt15iterator_traitsISG_E10value_typeET2_T3_PNSH_ISM_E10value_typeET4_T5_PSR_SS_PNS1_23onesweep_lookback_stateEbbT6_jjT7_P12ihipStream_tbENKUlT_T0_SG_SL_E_clIS7_S7_PlSB_EEDaSZ_S10_SG_SL_EUlSZ_E_NS1_11comp_targetILNS1_3genE3ELNS1_11target_archE908ELNS1_3gpuE7ELNS1_3repE0EEENS1_47radix_sort_onesweep_sort_config_static_selectorELNS0_4arch9wavefront6targetE1EEEvSG_
                                        ; -- End function
	.set _ZN7rocprim17ROCPRIM_400000_NS6detail17trampoline_kernelINS0_14default_configENS1_35radix_sort_onesweep_config_selectorIslEEZZNS1_29radix_sort_onesweep_iterationIS3_Lb0EPsS7_N6thrust23THRUST_200600_302600_NS10device_ptrIlEESB_jNS0_19identity_decomposerENS1_16block_id_wrapperIjLb1EEEEE10hipError_tT1_PNSt15iterator_traitsISG_E10value_typeET2_T3_PNSH_ISM_E10value_typeET4_T5_PSR_SS_PNS1_23onesweep_lookback_stateEbbT6_jjT7_P12ihipStream_tbENKUlT_T0_SG_SL_E_clIS7_S7_PlSB_EEDaSZ_S10_SG_SL_EUlSZ_E_NS1_11comp_targetILNS1_3genE3ELNS1_11target_archE908ELNS1_3gpuE7ELNS1_3repE0EEENS1_47radix_sort_onesweep_sort_config_static_selectorELNS0_4arch9wavefront6targetE1EEEvSG_.num_vgpr, 0
	.set _ZN7rocprim17ROCPRIM_400000_NS6detail17trampoline_kernelINS0_14default_configENS1_35radix_sort_onesweep_config_selectorIslEEZZNS1_29radix_sort_onesweep_iterationIS3_Lb0EPsS7_N6thrust23THRUST_200600_302600_NS10device_ptrIlEESB_jNS0_19identity_decomposerENS1_16block_id_wrapperIjLb1EEEEE10hipError_tT1_PNSt15iterator_traitsISG_E10value_typeET2_T3_PNSH_ISM_E10value_typeET4_T5_PSR_SS_PNS1_23onesweep_lookback_stateEbbT6_jjT7_P12ihipStream_tbENKUlT_T0_SG_SL_E_clIS7_S7_PlSB_EEDaSZ_S10_SG_SL_EUlSZ_E_NS1_11comp_targetILNS1_3genE3ELNS1_11target_archE908ELNS1_3gpuE7ELNS1_3repE0EEENS1_47radix_sort_onesweep_sort_config_static_selectorELNS0_4arch9wavefront6targetE1EEEvSG_.num_agpr, 0
	.set _ZN7rocprim17ROCPRIM_400000_NS6detail17trampoline_kernelINS0_14default_configENS1_35radix_sort_onesweep_config_selectorIslEEZZNS1_29radix_sort_onesweep_iterationIS3_Lb0EPsS7_N6thrust23THRUST_200600_302600_NS10device_ptrIlEESB_jNS0_19identity_decomposerENS1_16block_id_wrapperIjLb1EEEEE10hipError_tT1_PNSt15iterator_traitsISG_E10value_typeET2_T3_PNSH_ISM_E10value_typeET4_T5_PSR_SS_PNS1_23onesweep_lookback_stateEbbT6_jjT7_P12ihipStream_tbENKUlT_T0_SG_SL_E_clIS7_S7_PlSB_EEDaSZ_S10_SG_SL_EUlSZ_E_NS1_11comp_targetILNS1_3genE3ELNS1_11target_archE908ELNS1_3gpuE7ELNS1_3repE0EEENS1_47radix_sort_onesweep_sort_config_static_selectorELNS0_4arch9wavefront6targetE1EEEvSG_.numbered_sgpr, 0
	.set _ZN7rocprim17ROCPRIM_400000_NS6detail17trampoline_kernelINS0_14default_configENS1_35radix_sort_onesweep_config_selectorIslEEZZNS1_29radix_sort_onesweep_iterationIS3_Lb0EPsS7_N6thrust23THRUST_200600_302600_NS10device_ptrIlEESB_jNS0_19identity_decomposerENS1_16block_id_wrapperIjLb1EEEEE10hipError_tT1_PNSt15iterator_traitsISG_E10value_typeET2_T3_PNSH_ISM_E10value_typeET4_T5_PSR_SS_PNS1_23onesweep_lookback_stateEbbT6_jjT7_P12ihipStream_tbENKUlT_T0_SG_SL_E_clIS7_S7_PlSB_EEDaSZ_S10_SG_SL_EUlSZ_E_NS1_11comp_targetILNS1_3genE3ELNS1_11target_archE908ELNS1_3gpuE7ELNS1_3repE0EEENS1_47radix_sort_onesweep_sort_config_static_selectorELNS0_4arch9wavefront6targetE1EEEvSG_.num_named_barrier, 0
	.set _ZN7rocprim17ROCPRIM_400000_NS6detail17trampoline_kernelINS0_14default_configENS1_35radix_sort_onesweep_config_selectorIslEEZZNS1_29radix_sort_onesweep_iterationIS3_Lb0EPsS7_N6thrust23THRUST_200600_302600_NS10device_ptrIlEESB_jNS0_19identity_decomposerENS1_16block_id_wrapperIjLb1EEEEE10hipError_tT1_PNSt15iterator_traitsISG_E10value_typeET2_T3_PNSH_ISM_E10value_typeET4_T5_PSR_SS_PNS1_23onesweep_lookback_stateEbbT6_jjT7_P12ihipStream_tbENKUlT_T0_SG_SL_E_clIS7_S7_PlSB_EEDaSZ_S10_SG_SL_EUlSZ_E_NS1_11comp_targetILNS1_3genE3ELNS1_11target_archE908ELNS1_3gpuE7ELNS1_3repE0EEENS1_47radix_sort_onesweep_sort_config_static_selectorELNS0_4arch9wavefront6targetE1EEEvSG_.private_seg_size, 0
	.set _ZN7rocprim17ROCPRIM_400000_NS6detail17trampoline_kernelINS0_14default_configENS1_35radix_sort_onesweep_config_selectorIslEEZZNS1_29radix_sort_onesweep_iterationIS3_Lb0EPsS7_N6thrust23THRUST_200600_302600_NS10device_ptrIlEESB_jNS0_19identity_decomposerENS1_16block_id_wrapperIjLb1EEEEE10hipError_tT1_PNSt15iterator_traitsISG_E10value_typeET2_T3_PNSH_ISM_E10value_typeET4_T5_PSR_SS_PNS1_23onesweep_lookback_stateEbbT6_jjT7_P12ihipStream_tbENKUlT_T0_SG_SL_E_clIS7_S7_PlSB_EEDaSZ_S10_SG_SL_EUlSZ_E_NS1_11comp_targetILNS1_3genE3ELNS1_11target_archE908ELNS1_3gpuE7ELNS1_3repE0EEENS1_47radix_sort_onesweep_sort_config_static_selectorELNS0_4arch9wavefront6targetE1EEEvSG_.uses_vcc, 0
	.set _ZN7rocprim17ROCPRIM_400000_NS6detail17trampoline_kernelINS0_14default_configENS1_35radix_sort_onesweep_config_selectorIslEEZZNS1_29radix_sort_onesweep_iterationIS3_Lb0EPsS7_N6thrust23THRUST_200600_302600_NS10device_ptrIlEESB_jNS0_19identity_decomposerENS1_16block_id_wrapperIjLb1EEEEE10hipError_tT1_PNSt15iterator_traitsISG_E10value_typeET2_T3_PNSH_ISM_E10value_typeET4_T5_PSR_SS_PNS1_23onesweep_lookback_stateEbbT6_jjT7_P12ihipStream_tbENKUlT_T0_SG_SL_E_clIS7_S7_PlSB_EEDaSZ_S10_SG_SL_EUlSZ_E_NS1_11comp_targetILNS1_3genE3ELNS1_11target_archE908ELNS1_3gpuE7ELNS1_3repE0EEENS1_47radix_sort_onesweep_sort_config_static_selectorELNS0_4arch9wavefront6targetE1EEEvSG_.uses_flat_scratch, 0
	.set _ZN7rocprim17ROCPRIM_400000_NS6detail17trampoline_kernelINS0_14default_configENS1_35radix_sort_onesweep_config_selectorIslEEZZNS1_29radix_sort_onesweep_iterationIS3_Lb0EPsS7_N6thrust23THRUST_200600_302600_NS10device_ptrIlEESB_jNS0_19identity_decomposerENS1_16block_id_wrapperIjLb1EEEEE10hipError_tT1_PNSt15iterator_traitsISG_E10value_typeET2_T3_PNSH_ISM_E10value_typeET4_T5_PSR_SS_PNS1_23onesweep_lookback_stateEbbT6_jjT7_P12ihipStream_tbENKUlT_T0_SG_SL_E_clIS7_S7_PlSB_EEDaSZ_S10_SG_SL_EUlSZ_E_NS1_11comp_targetILNS1_3genE3ELNS1_11target_archE908ELNS1_3gpuE7ELNS1_3repE0EEENS1_47radix_sort_onesweep_sort_config_static_selectorELNS0_4arch9wavefront6targetE1EEEvSG_.has_dyn_sized_stack, 0
	.set _ZN7rocprim17ROCPRIM_400000_NS6detail17trampoline_kernelINS0_14default_configENS1_35radix_sort_onesweep_config_selectorIslEEZZNS1_29radix_sort_onesweep_iterationIS3_Lb0EPsS7_N6thrust23THRUST_200600_302600_NS10device_ptrIlEESB_jNS0_19identity_decomposerENS1_16block_id_wrapperIjLb1EEEEE10hipError_tT1_PNSt15iterator_traitsISG_E10value_typeET2_T3_PNSH_ISM_E10value_typeET4_T5_PSR_SS_PNS1_23onesweep_lookback_stateEbbT6_jjT7_P12ihipStream_tbENKUlT_T0_SG_SL_E_clIS7_S7_PlSB_EEDaSZ_S10_SG_SL_EUlSZ_E_NS1_11comp_targetILNS1_3genE3ELNS1_11target_archE908ELNS1_3gpuE7ELNS1_3repE0EEENS1_47radix_sort_onesweep_sort_config_static_selectorELNS0_4arch9wavefront6targetE1EEEvSG_.has_recursion, 0
	.set _ZN7rocprim17ROCPRIM_400000_NS6detail17trampoline_kernelINS0_14default_configENS1_35radix_sort_onesweep_config_selectorIslEEZZNS1_29radix_sort_onesweep_iterationIS3_Lb0EPsS7_N6thrust23THRUST_200600_302600_NS10device_ptrIlEESB_jNS0_19identity_decomposerENS1_16block_id_wrapperIjLb1EEEEE10hipError_tT1_PNSt15iterator_traitsISG_E10value_typeET2_T3_PNSH_ISM_E10value_typeET4_T5_PSR_SS_PNS1_23onesweep_lookback_stateEbbT6_jjT7_P12ihipStream_tbENKUlT_T0_SG_SL_E_clIS7_S7_PlSB_EEDaSZ_S10_SG_SL_EUlSZ_E_NS1_11comp_targetILNS1_3genE3ELNS1_11target_archE908ELNS1_3gpuE7ELNS1_3repE0EEENS1_47radix_sort_onesweep_sort_config_static_selectorELNS0_4arch9wavefront6targetE1EEEvSG_.has_indirect_call, 0
	.section	.AMDGPU.csdata,"",@progbits
; Kernel info:
; codeLenInByte = 0
; TotalNumSgprs: 4
; NumVgprs: 0
; ScratchSize: 0
; MemoryBound: 0
; FloatMode: 240
; IeeeMode: 1
; LDSByteSize: 0 bytes/workgroup (compile time only)
; SGPRBlocks: 0
; VGPRBlocks: 0
; NumSGPRsForWavesPerEU: 4
; NumVGPRsForWavesPerEU: 1
; Occupancy: 10
; WaveLimiterHint : 0
; COMPUTE_PGM_RSRC2:SCRATCH_EN: 0
; COMPUTE_PGM_RSRC2:USER_SGPR: 6
; COMPUTE_PGM_RSRC2:TRAP_HANDLER: 0
; COMPUTE_PGM_RSRC2:TGID_X_EN: 1
; COMPUTE_PGM_RSRC2:TGID_Y_EN: 0
; COMPUTE_PGM_RSRC2:TGID_Z_EN: 0
; COMPUTE_PGM_RSRC2:TIDIG_COMP_CNT: 0
	.section	.text._ZN7rocprim17ROCPRIM_400000_NS6detail17trampoline_kernelINS0_14default_configENS1_35radix_sort_onesweep_config_selectorIslEEZZNS1_29radix_sort_onesweep_iterationIS3_Lb0EPsS7_N6thrust23THRUST_200600_302600_NS10device_ptrIlEESB_jNS0_19identity_decomposerENS1_16block_id_wrapperIjLb1EEEEE10hipError_tT1_PNSt15iterator_traitsISG_E10value_typeET2_T3_PNSH_ISM_E10value_typeET4_T5_PSR_SS_PNS1_23onesweep_lookback_stateEbbT6_jjT7_P12ihipStream_tbENKUlT_T0_SG_SL_E_clIS7_S7_PlSB_EEDaSZ_S10_SG_SL_EUlSZ_E_NS1_11comp_targetILNS1_3genE10ELNS1_11target_archE1201ELNS1_3gpuE5ELNS1_3repE0EEENS1_47radix_sort_onesweep_sort_config_static_selectorELNS0_4arch9wavefront6targetE1EEEvSG_,"axG",@progbits,_ZN7rocprim17ROCPRIM_400000_NS6detail17trampoline_kernelINS0_14default_configENS1_35radix_sort_onesweep_config_selectorIslEEZZNS1_29radix_sort_onesweep_iterationIS3_Lb0EPsS7_N6thrust23THRUST_200600_302600_NS10device_ptrIlEESB_jNS0_19identity_decomposerENS1_16block_id_wrapperIjLb1EEEEE10hipError_tT1_PNSt15iterator_traitsISG_E10value_typeET2_T3_PNSH_ISM_E10value_typeET4_T5_PSR_SS_PNS1_23onesweep_lookback_stateEbbT6_jjT7_P12ihipStream_tbENKUlT_T0_SG_SL_E_clIS7_S7_PlSB_EEDaSZ_S10_SG_SL_EUlSZ_E_NS1_11comp_targetILNS1_3genE10ELNS1_11target_archE1201ELNS1_3gpuE5ELNS1_3repE0EEENS1_47radix_sort_onesweep_sort_config_static_selectorELNS0_4arch9wavefront6targetE1EEEvSG_,comdat
	.protected	_ZN7rocprim17ROCPRIM_400000_NS6detail17trampoline_kernelINS0_14default_configENS1_35radix_sort_onesweep_config_selectorIslEEZZNS1_29radix_sort_onesweep_iterationIS3_Lb0EPsS7_N6thrust23THRUST_200600_302600_NS10device_ptrIlEESB_jNS0_19identity_decomposerENS1_16block_id_wrapperIjLb1EEEEE10hipError_tT1_PNSt15iterator_traitsISG_E10value_typeET2_T3_PNSH_ISM_E10value_typeET4_T5_PSR_SS_PNS1_23onesweep_lookback_stateEbbT6_jjT7_P12ihipStream_tbENKUlT_T0_SG_SL_E_clIS7_S7_PlSB_EEDaSZ_S10_SG_SL_EUlSZ_E_NS1_11comp_targetILNS1_3genE10ELNS1_11target_archE1201ELNS1_3gpuE5ELNS1_3repE0EEENS1_47radix_sort_onesweep_sort_config_static_selectorELNS0_4arch9wavefront6targetE1EEEvSG_ ; -- Begin function _ZN7rocprim17ROCPRIM_400000_NS6detail17trampoline_kernelINS0_14default_configENS1_35radix_sort_onesweep_config_selectorIslEEZZNS1_29radix_sort_onesweep_iterationIS3_Lb0EPsS7_N6thrust23THRUST_200600_302600_NS10device_ptrIlEESB_jNS0_19identity_decomposerENS1_16block_id_wrapperIjLb1EEEEE10hipError_tT1_PNSt15iterator_traitsISG_E10value_typeET2_T3_PNSH_ISM_E10value_typeET4_T5_PSR_SS_PNS1_23onesweep_lookback_stateEbbT6_jjT7_P12ihipStream_tbENKUlT_T0_SG_SL_E_clIS7_S7_PlSB_EEDaSZ_S10_SG_SL_EUlSZ_E_NS1_11comp_targetILNS1_3genE10ELNS1_11target_archE1201ELNS1_3gpuE5ELNS1_3repE0EEENS1_47radix_sort_onesweep_sort_config_static_selectorELNS0_4arch9wavefront6targetE1EEEvSG_
	.globl	_ZN7rocprim17ROCPRIM_400000_NS6detail17trampoline_kernelINS0_14default_configENS1_35radix_sort_onesweep_config_selectorIslEEZZNS1_29radix_sort_onesweep_iterationIS3_Lb0EPsS7_N6thrust23THRUST_200600_302600_NS10device_ptrIlEESB_jNS0_19identity_decomposerENS1_16block_id_wrapperIjLb1EEEEE10hipError_tT1_PNSt15iterator_traitsISG_E10value_typeET2_T3_PNSH_ISM_E10value_typeET4_T5_PSR_SS_PNS1_23onesweep_lookback_stateEbbT6_jjT7_P12ihipStream_tbENKUlT_T0_SG_SL_E_clIS7_S7_PlSB_EEDaSZ_S10_SG_SL_EUlSZ_E_NS1_11comp_targetILNS1_3genE10ELNS1_11target_archE1201ELNS1_3gpuE5ELNS1_3repE0EEENS1_47radix_sort_onesweep_sort_config_static_selectorELNS0_4arch9wavefront6targetE1EEEvSG_
	.p2align	8
	.type	_ZN7rocprim17ROCPRIM_400000_NS6detail17trampoline_kernelINS0_14default_configENS1_35radix_sort_onesweep_config_selectorIslEEZZNS1_29radix_sort_onesweep_iterationIS3_Lb0EPsS7_N6thrust23THRUST_200600_302600_NS10device_ptrIlEESB_jNS0_19identity_decomposerENS1_16block_id_wrapperIjLb1EEEEE10hipError_tT1_PNSt15iterator_traitsISG_E10value_typeET2_T3_PNSH_ISM_E10value_typeET4_T5_PSR_SS_PNS1_23onesweep_lookback_stateEbbT6_jjT7_P12ihipStream_tbENKUlT_T0_SG_SL_E_clIS7_S7_PlSB_EEDaSZ_S10_SG_SL_EUlSZ_E_NS1_11comp_targetILNS1_3genE10ELNS1_11target_archE1201ELNS1_3gpuE5ELNS1_3repE0EEENS1_47radix_sort_onesweep_sort_config_static_selectorELNS0_4arch9wavefront6targetE1EEEvSG_,@function
_ZN7rocprim17ROCPRIM_400000_NS6detail17trampoline_kernelINS0_14default_configENS1_35radix_sort_onesweep_config_selectorIslEEZZNS1_29radix_sort_onesweep_iterationIS3_Lb0EPsS7_N6thrust23THRUST_200600_302600_NS10device_ptrIlEESB_jNS0_19identity_decomposerENS1_16block_id_wrapperIjLb1EEEEE10hipError_tT1_PNSt15iterator_traitsISG_E10value_typeET2_T3_PNSH_ISM_E10value_typeET4_T5_PSR_SS_PNS1_23onesweep_lookback_stateEbbT6_jjT7_P12ihipStream_tbENKUlT_T0_SG_SL_E_clIS7_S7_PlSB_EEDaSZ_S10_SG_SL_EUlSZ_E_NS1_11comp_targetILNS1_3genE10ELNS1_11target_archE1201ELNS1_3gpuE5ELNS1_3repE0EEENS1_47radix_sort_onesweep_sort_config_static_selectorELNS0_4arch9wavefront6targetE1EEEvSG_: ; @_ZN7rocprim17ROCPRIM_400000_NS6detail17trampoline_kernelINS0_14default_configENS1_35radix_sort_onesweep_config_selectorIslEEZZNS1_29radix_sort_onesweep_iterationIS3_Lb0EPsS7_N6thrust23THRUST_200600_302600_NS10device_ptrIlEESB_jNS0_19identity_decomposerENS1_16block_id_wrapperIjLb1EEEEE10hipError_tT1_PNSt15iterator_traitsISG_E10value_typeET2_T3_PNSH_ISM_E10value_typeET4_T5_PSR_SS_PNS1_23onesweep_lookback_stateEbbT6_jjT7_P12ihipStream_tbENKUlT_T0_SG_SL_E_clIS7_S7_PlSB_EEDaSZ_S10_SG_SL_EUlSZ_E_NS1_11comp_targetILNS1_3genE10ELNS1_11target_archE1201ELNS1_3gpuE5ELNS1_3repE0EEENS1_47radix_sort_onesweep_sort_config_static_selectorELNS0_4arch9wavefront6targetE1EEEvSG_
; %bb.0:
	.section	.rodata,"a",@progbits
	.p2align	6, 0x0
	.amdhsa_kernel _ZN7rocprim17ROCPRIM_400000_NS6detail17trampoline_kernelINS0_14default_configENS1_35radix_sort_onesweep_config_selectorIslEEZZNS1_29radix_sort_onesweep_iterationIS3_Lb0EPsS7_N6thrust23THRUST_200600_302600_NS10device_ptrIlEESB_jNS0_19identity_decomposerENS1_16block_id_wrapperIjLb1EEEEE10hipError_tT1_PNSt15iterator_traitsISG_E10value_typeET2_T3_PNSH_ISM_E10value_typeET4_T5_PSR_SS_PNS1_23onesweep_lookback_stateEbbT6_jjT7_P12ihipStream_tbENKUlT_T0_SG_SL_E_clIS7_S7_PlSB_EEDaSZ_S10_SG_SL_EUlSZ_E_NS1_11comp_targetILNS1_3genE10ELNS1_11target_archE1201ELNS1_3gpuE5ELNS1_3repE0EEENS1_47radix_sort_onesweep_sort_config_static_selectorELNS0_4arch9wavefront6targetE1EEEvSG_
		.amdhsa_group_segment_fixed_size 0
		.amdhsa_private_segment_fixed_size 0
		.amdhsa_kernarg_size 88
		.amdhsa_user_sgpr_count 6
		.amdhsa_user_sgpr_private_segment_buffer 1
		.amdhsa_user_sgpr_dispatch_ptr 0
		.amdhsa_user_sgpr_queue_ptr 0
		.amdhsa_user_sgpr_kernarg_segment_ptr 1
		.amdhsa_user_sgpr_dispatch_id 0
		.amdhsa_user_sgpr_flat_scratch_init 0
		.amdhsa_user_sgpr_private_segment_size 0
		.amdhsa_uses_dynamic_stack 0
		.amdhsa_system_sgpr_private_segment_wavefront_offset 0
		.amdhsa_system_sgpr_workgroup_id_x 1
		.amdhsa_system_sgpr_workgroup_id_y 0
		.amdhsa_system_sgpr_workgroup_id_z 0
		.amdhsa_system_sgpr_workgroup_info 0
		.amdhsa_system_vgpr_workitem_id 0
		.amdhsa_next_free_vgpr 1
		.amdhsa_next_free_sgpr 0
		.amdhsa_reserve_vcc 0
		.amdhsa_reserve_flat_scratch 0
		.amdhsa_float_round_mode_32 0
		.amdhsa_float_round_mode_16_64 0
		.amdhsa_float_denorm_mode_32 3
		.amdhsa_float_denorm_mode_16_64 3
		.amdhsa_dx10_clamp 1
		.amdhsa_ieee_mode 1
		.amdhsa_fp16_overflow 0
		.amdhsa_exception_fp_ieee_invalid_op 0
		.amdhsa_exception_fp_denorm_src 0
		.amdhsa_exception_fp_ieee_div_zero 0
		.amdhsa_exception_fp_ieee_overflow 0
		.amdhsa_exception_fp_ieee_underflow 0
		.amdhsa_exception_fp_ieee_inexact 0
		.amdhsa_exception_int_div_zero 0
	.end_amdhsa_kernel
	.section	.text._ZN7rocprim17ROCPRIM_400000_NS6detail17trampoline_kernelINS0_14default_configENS1_35radix_sort_onesweep_config_selectorIslEEZZNS1_29radix_sort_onesweep_iterationIS3_Lb0EPsS7_N6thrust23THRUST_200600_302600_NS10device_ptrIlEESB_jNS0_19identity_decomposerENS1_16block_id_wrapperIjLb1EEEEE10hipError_tT1_PNSt15iterator_traitsISG_E10value_typeET2_T3_PNSH_ISM_E10value_typeET4_T5_PSR_SS_PNS1_23onesweep_lookback_stateEbbT6_jjT7_P12ihipStream_tbENKUlT_T0_SG_SL_E_clIS7_S7_PlSB_EEDaSZ_S10_SG_SL_EUlSZ_E_NS1_11comp_targetILNS1_3genE10ELNS1_11target_archE1201ELNS1_3gpuE5ELNS1_3repE0EEENS1_47radix_sort_onesweep_sort_config_static_selectorELNS0_4arch9wavefront6targetE1EEEvSG_,"axG",@progbits,_ZN7rocprim17ROCPRIM_400000_NS6detail17trampoline_kernelINS0_14default_configENS1_35radix_sort_onesweep_config_selectorIslEEZZNS1_29radix_sort_onesweep_iterationIS3_Lb0EPsS7_N6thrust23THRUST_200600_302600_NS10device_ptrIlEESB_jNS0_19identity_decomposerENS1_16block_id_wrapperIjLb1EEEEE10hipError_tT1_PNSt15iterator_traitsISG_E10value_typeET2_T3_PNSH_ISM_E10value_typeET4_T5_PSR_SS_PNS1_23onesweep_lookback_stateEbbT6_jjT7_P12ihipStream_tbENKUlT_T0_SG_SL_E_clIS7_S7_PlSB_EEDaSZ_S10_SG_SL_EUlSZ_E_NS1_11comp_targetILNS1_3genE10ELNS1_11target_archE1201ELNS1_3gpuE5ELNS1_3repE0EEENS1_47radix_sort_onesweep_sort_config_static_selectorELNS0_4arch9wavefront6targetE1EEEvSG_,comdat
.Lfunc_end1422:
	.size	_ZN7rocprim17ROCPRIM_400000_NS6detail17trampoline_kernelINS0_14default_configENS1_35radix_sort_onesweep_config_selectorIslEEZZNS1_29radix_sort_onesweep_iterationIS3_Lb0EPsS7_N6thrust23THRUST_200600_302600_NS10device_ptrIlEESB_jNS0_19identity_decomposerENS1_16block_id_wrapperIjLb1EEEEE10hipError_tT1_PNSt15iterator_traitsISG_E10value_typeET2_T3_PNSH_ISM_E10value_typeET4_T5_PSR_SS_PNS1_23onesweep_lookback_stateEbbT6_jjT7_P12ihipStream_tbENKUlT_T0_SG_SL_E_clIS7_S7_PlSB_EEDaSZ_S10_SG_SL_EUlSZ_E_NS1_11comp_targetILNS1_3genE10ELNS1_11target_archE1201ELNS1_3gpuE5ELNS1_3repE0EEENS1_47radix_sort_onesweep_sort_config_static_selectorELNS0_4arch9wavefront6targetE1EEEvSG_, .Lfunc_end1422-_ZN7rocprim17ROCPRIM_400000_NS6detail17trampoline_kernelINS0_14default_configENS1_35radix_sort_onesweep_config_selectorIslEEZZNS1_29radix_sort_onesweep_iterationIS3_Lb0EPsS7_N6thrust23THRUST_200600_302600_NS10device_ptrIlEESB_jNS0_19identity_decomposerENS1_16block_id_wrapperIjLb1EEEEE10hipError_tT1_PNSt15iterator_traitsISG_E10value_typeET2_T3_PNSH_ISM_E10value_typeET4_T5_PSR_SS_PNS1_23onesweep_lookback_stateEbbT6_jjT7_P12ihipStream_tbENKUlT_T0_SG_SL_E_clIS7_S7_PlSB_EEDaSZ_S10_SG_SL_EUlSZ_E_NS1_11comp_targetILNS1_3genE10ELNS1_11target_archE1201ELNS1_3gpuE5ELNS1_3repE0EEENS1_47radix_sort_onesweep_sort_config_static_selectorELNS0_4arch9wavefront6targetE1EEEvSG_
                                        ; -- End function
	.set _ZN7rocprim17ROCPRIM_400000_NS6detail17trampoline_kernelINS0_14default_configENS1_35radix_sort_onesweep_config_selectorIslEEZZNS1_29radix_sort_onesweep_iterationIS3_Lb0EPsS7_N6thrust23THRUST_200600_302600_NS10device_ptrIlEESB_jNS0_19identity_decomposerENS1_16block_id_wrapperIjLb1EEEEE10hipError_tT1_PNSt15iterator_traitsISG_E10value_typeET2_T3_PNSH_ISM_E10value_typeET4_T5_PSR_SS_PNS1_23onesweep_lookback_stateEbbT6_jjT7_P12ihipStream_tbENKUlT_T0_SG_SL_E_clIS7_S7_PlSB_EEDaSZ_S10_SG_SL_EUlSZ_E_NS1_11comp_targetILNS1_3genE10ELNS1_11target_archE1201ELNS1_3gpuE5ELNS1_3repE0EEENS1_47radix_sort_onesweep_sort_config_static_selectorELNS0_4arch9wavefront6targetE1EEEvSG_.num_vgpr, 0
	.set _ZN7rocprim17ROCPRIM_400000_NS6detail17trampoline_kernelINS0_14default_configENS1_35radix_sort_onesweep_config_selectorIslEEZZNS1_29radix_sort_onesweep_iterationIS3_Lb0EPsS7_N6thrust23THRUST_200600_302600_NS10device_ptrIlEESB_jNS0_19identity_decomposerENS1_16block_id_wrapperIjLb1EEEEE10hipError_tT1_PNSt15iterator_traitsISG_E10value_typeET2_T3_PNSH_ISM_E10value_typeET4_T5_PSR_SS_PNS1_23onesweep_lookback_stateEbbT6_jjT7_P12ihipStream_tbENKUlT_T0_SG_SL_E_clIS7_S7_PlSB_EEDaSZ_S10_SG_SL_EUlSZ_E_NS1_11comp_targetILNS1_3genE10ELNS1_11target_archE1201ELNS1_3gpuE5ELNS1_3repE0EEENS1_47radix_sort_onesweep_sort_config_static_selectorELNS0_4arch9wavefront6targetE1EEEvSG_.num_agpr, 0
	.set _ZN7rocprim17ROCPRIM_400000_NS6detail17trampoline_kernelINS0_14default_configENS1_35radix_sort_onesweep_config_selectorIslEEZZNS1_29radix_sort_onesweep_iterationIS3_Lb0EPsS7_N6thrust23THRUST_200600_302600_NS10device_ptrIlEESB_jNS0_19identity_decomposerENS1_16block_id_wrapperIjLb1EEEEE10hipError_tT1_PNSt15iterator_traitsISG_E10value_typeET2_T3_PNSH_ISM_E10value_typeET4_T5_PSR_SS_PNS1_23onesweep_lookback_stateEbbT6_jjT7_P12ihipStream_tbENKUlT_T0_SG_SL_E_clIS7_S7_PlSB_EEDaSZ_S10_SG_SL_EUlSZ_E_NS1_11comp_targetILNS1_3genE10ELNS1_11target_archE1201ELNS1_3gpuE5ELNS1_3repE0EEENS1_47radix_sort_onesweep_sort_config_static_selectorELNS0_4arch9wavefront6targetE1EEEvSG_.numbered_sgpr, 0
	.set _ZN7rocprim17ROCPRIM_400000_NS6detail17trampoline_kernelINS0_14default_configENS1_35radix_sort_onesweep_config_selectorIslEEZZNS1_29radix_sort_onesweep_iterationIS3_Lb0EPsS7_N6thrust23THRUST_200600_302600_NS10device_ptrIlEESB_jNS0_19identity_decomposerENS1_16block_id_wrapperIjLb1EEEEE10hipError_tT1_PNSt15iterator_traitsISG_E10value_typeET2_T3_PNSH_ISM_E10value_typeET4_T5_PSR_SS_PNS1_23onesweep_lookback_stateEbbT6_jjT7_P12ihipStream_tbENKUlT_T0_SG_SL_E_clIS7_S7_PlSB_EEDaSZ_S10_SG_SL_EUlSZ_E_NS1_11comp_targetILNS1_3genE10ELNS1_11target_archE1201ELNS1_3gpuE5ELNS1_3repE0EEENS1_47radix_sort_onesweep_sort_config_static_selectorELNS0_4arch9wavefront6targetE1EEEvSG_.num_named_barrier, 0
	.set _ZN7rocprim17ROCPRIM_400000_NS6detail17trampoline_kernelINS0_14default_configENS1_35radix_sort_onesweep_config_selectorIslEEZZNS1_29radix_sort_onesweep_iterationIS3_Lb0EPsS7_N6thrust23THRUST_200600_302600_NS10device_ptrIlEESB_jNS0_19identity_decomposerENS1_16block_id_wrapperIjLb1EEEEE10hipError_tT1_PNSt15iterator_traitsISG_E10value_typeET2_T3_PNSH_ISM_E10value_typeET4_T5_PSR_SS_PNS1_23onesweep_lookback_stateEbbT6_jjT7_P12ihipStream_tbENKUlT_T0_SG_SL_E_clIS7_S7_PlSB_EEDaSZ_S10_SG_SL_EUlSZ_E_NS1_11comp_targetILNS1_3genE10ELNS1_11target_archE1201ELNS1_3gpuE5ELNS1_3repE0EEENS1_47radix_sort_onesweep_sort_config_static_selectorELNS0_4arch9wavefront6targetE1EEEvSG_.private_seg_size, 0
	.set _ZN7rocprim17ROCPRIM_400000_NS6detail17trampoline_kernelINS0_14default_configENS1_35radix_sort_onesweep_config_selectorIslEEZZNS1_29radix_sort_onesweep_iterationIS3_Lb0EPsS7_N6thrust23THRUST_200600_302600_NS10device_ptrIlEESB_jNS0_19identity_decomposerENS1_16block_id_wrapperIjLb1EEEEE10hipError_tT1_PNSt15iterator_traitsISG_E10value_typeET2_T3_PNSH_ISM_E10value_typeET4_T5_PSR_SS_PNS1_23onesweep_lookback_stateEbbT6_jjT7_P12ihipStream_tbENKUlT_T0_SG_SL_E_clIS7_S7_PlSB_EEDaSZ_S10_SG_SL_EUlSZ_E_NS1_11comp_targetILNS1_3genE10ELNS1_11target_archE1201ELNS1_3gpuE5ELNS1_3repE0EEENS1_47radix_sort_onesweep_sort_config_static_selectorELNS0_4arch9wavefront6targetE1EEEvSG_.uses_vcc, 0
	.set _ZN7rocprim17ROCPRIM_400000_NS6detail17trampoline_kernelINS0_14default_configENS1_35radix_sort_onesweep_config_selectorIslEEZZNS1_29radix_sort_onesweep_iterationIS3_Lb0EPsS7_N6thrust23THRUST_200600_302600_NS10device_ptrIlEESB_jNS0_19identity_decomposerENS1_16block_id_wrapperIjLb1EEEEE10hipError_tT1_PNSt15iterator_traitsISG_E10value_typeET2_T3_PNSH_ISM_E10value_typeET4_T5_PSR_SS_PNS1_23onesweep_lookback_stateEbbT6_jjT7_P12ihipStream_tbENKUlT_T0_SG_SL_E_clIS7_S7_PlSB_EEDaSZ_S10_SG_SL_EUlSZ_E_NS1_11comp_targetILNS1_3genE10ELNS1_11target_archE1201ELNS1_3gpuE5ELNS1_3repE0EEENS1_47radix_sort_onesweep_sort_config_static_selectorELNS0_4arch9wavefront6targetE1EEEvSG_.uses_flat_scratch, 0
	.set _ZN7rocprim17ROCPRIM_400000_NS6detail17trampoline_kernelINS0_14default_configENS1_35radix_sort_onesweep_config_selectorIslEEZZNS1_29radix_sort_onesweep_iterationIS3_Lb0EPsS7_N6thrust23THRUST_200600_302600_NS10device_ptrIlEESB_jNS0_19identity_decomposerENS1_16block_id_wrapperIjLb1EEEEE10hipError_tT1_PNSt15iterator_traitsISG_E10value_typeET2_T3_PNSH_ISM_E10value_typeET4_T5_PSR_SS_PNS1_23onesweep_lookback_stateEbbT6_jjT7_P12ihipStream_tbENKUlT_T0_SG_SL_E_clIS7_S7_PlSB_EEDaSZ_S10_SG_SL_EUlSZ_E_NS1_11comp_targetILNS1_3genE10ELNS1_11target_archE1201ELNS1_3gpuE5ELNS1_3repE0EEENS1_47radix_sort_onesweep_sort_config_static_selectorELNS0_4arch9wavefront6targetE1EEEvSG_.has_dyn_sized_stack, 0
	.set _ZN7rocprim17ROCPRIM_400000_NS6detail17trampoline_kernelINS0_14default_configENS1_35radix_sort_onesweep_config_selectorIslEEZZNS1_29radix_sort_onesweep_iterationIS3_Lb0EPsS7_N6thrust23THRUST_200600_302600_NS10device_ptrIlEESB_jNS0_19identity_decomposerENS1_16block_id_wrapperIjLb1EEEEE10hipError_tT1_PNSt15iterator_traitsISG_E10value_typeET2_T3_PNSH_ISM_E10value_typeET4_T5_PSR_SS_PNS1_23onesweep_lookback_stateEbbT6_jjT7_P12ihipStream_tbENKUlT_T0_SG_SL_E_clIS7_S7_PlSB_EEDaSZ_S10_SG_SL_EUlSZ_E_NS1_11comp_targetILNS1_3genE10ELNS1_11target_archE1201ELNS1_3gpuE5ELNS1_3repE0EEENS1_47radix_sort_onesweep_sort_config_static_selectorELNS0_4arch9wavefront6targetE1EEEvSG_.has_recursion, 0
	.set _ZN7rocprim17ROCPRIM_400000_NS6detail17trampoline_kernelINS0_14default_configENS1_35radix_sort_onesweep_config_selectorIslEEZZNS1_29radix_sort_onesweep_iterationIS3_Lb0EPsS7_N6thrust23THRUST_200600_302600_NS10device_ptrIlEESB_jNS0_19identity_decomposerENS1_16block_id_wrapperIjLb1EEEEE10hipError_tT1_PNSt15iterator_traitsISG_E10value_typeET2_T3_PNSH_ISM_E10value_typeET4_T5_PSR_SS_PNS1_23onesweep_lookback_stateEbbT6_jjT7_P12ihipStream_tbENKUlT_T0_SG_SL_E_clIS7_S7_PlSB_EEDaSZ_S10_SG_SL_EUlSZ_E_NS1_11comp_targetILNS1_3genE10ELNS1_11target_archE1201ELNS1_3gpuE5ELNS1_3repE0EEENS1_47radix_sort_onesweep_sort_config_static_selectorELNS0_4arch9wavefront6targetE1EEEvSG_.has_indirect_call, 0
	.section	.AMDGPU.csdata,"",@progbits
; Kernel info:
; codeLenInByte = 0
; TotalNumSgprs: 4
; NumVgprs: 0
; ScratchSize: 0
; MemoryBound: 0
; FloatMode: 240
; IeeeMode: 1
; LDSByteSize: 0 bytes/workgroup (compile time only)
; SGPRBlocks: 0
; VGPRBlocks: 0
; NumSGPRsForWavesPerEU: 4
; NumVGPRsForWavesPerEU: 1
; Occupancy: 10
; WaveLimiterHint : 0
; COMPUTE_PGM_RSRC2:SCRATCH_EN: 0
; COMPUTE_PGM_RSRC2:USER_SGPR: 6
; COMPUTE_PGM_RSRC2:TRAP_HANDLER: 0
; COMPUTE_PGM_RSRC2:TGID_X_EN: 1
; COMPUTE_PGM_RSRC2:TGID_Y_EN: 0
; COMPUTE_PGM_RSRC2:TGID_Z_EN: 0
; COMPUTE_PGM_RSRC2:TIDIG_COMP_CNT: 0
	.section	.text._ZN7rocprim17ROCPRIM_400000_NS6detail17trampoline_kernelINS0_14default_configENS1_35radix_sort_onesweep_config_selectorIslEEZZNS1_29radix_sort_onesweep_iterationIS3_Lb0EPsS7_N6thrust23THRUST_200600_302600_NS10device_ptrIlEESB_jNS0_19identity_decomposerENS1_16block_id_wrapperIjLb1EEEEE10hipError_tT1_PNSt15iterator_traitsISG_E10value_typeET2_T3_PNSH_ISM_E10value_typeET4_T5_PSR_SS_PNS1_23onesweep_lookback_stateEbbT6_jjT7_P12ihipStream_tbENKUlT_T0_SG_SL_E_clIS7_S7_PlSB_EEDaSZ_S10_SG_SL_EUlSZ_E_NS1_11comp_targetILNS1_3genE9ELNS1_11target_archE1100ELNS1_3gpuE3ELNS1_3repE0EEENS1_47radix_sort_onesweep_sort_config_static_selectorELNS0_4arch9wavefront6targetE1EEEvSG_,"axG",@progbits,_ZN7rocprim17ROCPRIM_400000_NS6detail17trampoline_kernelINS0_14default_configENS1_35radix_sort_onesweep_config_selectorIslEEZZNS1_29radix_sort_onesweep_iterationIS3_Lb0EPsS7_N6thrust23THRUST_200600_302600_NS10device_ptrIlEESB_jNS0_19identity_decomposerENS1_16block_id_wrapperIjLb1EEEEE10hipError_tT1_PNSt15iterator_traitsISG_E10value_typeET2_T3_PNSH_ISM_E10value_typeET4_T5_PSR_SS_PNS1_23onesweep_lookback_stateEbbT6_jjT7_P12ihipStream_tbENKUlT_T0_SG_SL_E_clIS7_S7_PlSB_EEDaSZ_S10_SG_SL_EUlSZ_E_NS1_11comp_targetILNS1_3genE9ELNS1_11target_archE1100ELNS1_3gpuE3ELNS1_3repE0EEENS1_47radix_sort_onesweep_sort_config_static_selectorELNS0_4arch9wavefront6targetE1EEEvSG_,comdat
	.protected	_ZN7rocprim17ROCPRIM_400000_NS6detail17trampoline_kernelINS0_14default_configENS1_35radix_sort_onesweep_config_selectorIslEEZZNS1_29radix_sort_onesweep_iterationIS3_Lb0EPsS7_N6thrust23THRUST_200600_302600_NS10device_ptrIlEESB_jNS0_19identity_decomposerENS1_16block_id_wrapperIjLb1EEEEE10hipError_tT1_PNSt15iterator_traitsISG_E10value_typeET2_T3_PNSH_ISM_E10value_typeET4_T5_PSR_SS_PNS1_23onesweep_lookback_stateEbbT6_jjT7_P12ihipStream_tbENKUlT_T0_SG_SL_E_clIS7_S7_PlSB_EEDaSZ_S10_SG_SL_EUlSZ_E_NS1_11comp_targetILNS1_3genE9ELNS1_11target_archE1100ELNS1_3gpuE3ELNS1_3repE0EEENS1_47radix_sort_onesweep_sort_config_static_selectorELNS0_4arch9wavefront6targetE1EEEvSG_ ; -- Begin function _ZN7rocprim17ROCPRIM_400000_NS6detail17trampoline_kernelINS0_14default_configENS1_35radix_sort_onesweep_config_selectorIslEEZZNS1_29radix_sort_onesweep_iterationIS3_Lb0EPsS7_N6thrust23THRUST_200600_302600_NS10device_ptrIlEESB_jNS0_19identity_decomposerENS1_16block_id_wrapperIjLb1EEEEE10hipError_tT1_PNSt15iterator_traitsISG_E10value_typeET2_T3_PNSH_ISM_E10value_typeET4_T5_PSR_SS_PNS1_23onesweep_lookback_stateEbbT6_jjT7_P12ihipStream_tbENKUlT_T0_SG_SL_E_clIS7_S7_PlSB_EEDaSZ_S10_SG_SL_EUlSZ_E_NS1_11comp_targetILNS1_3genE9ELNS1_11target_archE1100ELNS1_3gpuE3ELNS1_3repE0EEENS1_47radix_sort_onesweep_sort_config_static_selectorELNS0_4arch9wavefront6targetE1EEEvSG_
	.globl	_ZN7rocprim17ROCPRIM_400000_NS6detail17trampoline_kernelINS0_14default_configENS1_35radix_sort_onesweep_config_selectorIslEEZZNS1_29radix_sort_onesweep_iterationIS3_Lb0EPsS7_N6thrust23THRUST_200600_302600_NS10device_ptrIlEESB_jNS0_19identity_decomposerENS1_16block_id_wrapperIjLb1EEEEE10hipError_tT1_PNSt15iterator_traitsISG_E10value_typeET2_T3_PNSH_ISM_E10value_typeET4_T5_PSR_SS_PNS1_23onesweep_lookback_stateEbbT6_jjT7_P12ihipStream_tbENKUlT_T0_SG_SL_E_clIS7_S7_PlSB_EEDaSZ_S10_SG_SL_EUlSZ_E_NS1_11comp_targetILNS1_3genE9ELNS1_11target_archE1100ELNS1_3gpuE3ELNS1_3repE0EEENS1_47radix_sort_onesweep_sort_config_static_selectorELNS0_4arch9wavefront6targetE1EEEvSG_
	.p2align	8
	.type	_ZN7rocprim17ROCPRIM_400000_NS6detail17trampoline_kernelINS0_14default_configENS1_35radix_sort_onesweep_config_selectorIslEEZZNS1_29radix_sort_onesweep_iterationIS3_Lb0EPsS7_N6thrust23THRUST_200600_302600_NS10device_ptrIlEESB_jNS0_19identity_decomposerENS1_16block_id_wrapperIjLb1EEEEE10hipError_tT1_PNSt15iterator_traitsISG_E10value_typeET2_T3_PNSH_ISM_E10value_typeET4_T5_PSR_SS_PNS1_23onesweep_lookback_stateEbbT6_jjT7_P12ihipStream_tbENKUlT_T0_SG_SL_E_clIS7_S7_PlSB_EEDaSZ_S10_SG_SL_EUlSZ_E_NS1_11comp_targetILNS1_3genE9ELNS1_11target_archE1100ELNS1_3gpuE3ELNS1_3repE0EEENS1_47radix_sort_onesweep_sort_config_static_selectorELNS0_4arch9wavefront6targetE1EEEvSG_,@function
_ZN7rocprim17ROCPRIM_400000_NS6detail17trampoline_kernelINS0_14default_configENS1_35radix_sort_onesweep_config_selectorIslEEZZNS1_29radix_sort_onesweep_iterationIS3_Lb0EPsS7_N6thrust23THRUST_200600_302600_NS10device_ptrIlEESB_jNS0_19identity_decomposerENS1_16block_id_wrapperIjLb1EEEEE10hipError_tT1_PNSt15iterator_traitsISG_E10value_typeET2_T3_PNSH_ISM_E10value_typeET4_T5_PSR_SS_PNS1_23onesweep_lookback_stateEbbT6_jjT7_P12ihipStream_tbENKUlT_T0_SG_SL_E_clIS7_S7_PlSB_EEDaSZ_S10_SG_SL_EUlSZ_E_NS1_11comp_targetILNS1_3genE9ELNS1_11target_archE1100ELNS1_3gpuE3ELNS1_3repE0EEENS1_47radix_sort_onesweep_sort_config_static_selectorELNS0_4arch9wavefront6targetE1EEEvSG_: ; @_ZN7rocprim17ROCPRIM_400000_NS6detail17trampoline_kernelINS0_14default_configENS1_35radix_sort_onesweep_config_selectorIslEEZZNS1_29radix_sort_onesweep_iterationIS3_Lb0EPsS7_N6thrust23THRUST_200600_302600_NS10device_ptrIlEESB_jNS0_19identity_decomposerENS1_16block_id_wrapperIjLb1EEEEE10hipError_tT1_PNSt15iterator_traitsISG_E10value_typeET2_T3_PNSH_ISM_E10value_typeET4_T5_PSR_SS_PNS1_23onesweep_lookback_stateEbbT6_jjT7_P12ihipStream_tbENKUlT_T0_SG_SL_E_clIS7_S7_PlSB_EEDaSZ_S10_SG_SL_EUlSZ_E_NS1_11comp_targetILNS1_3genE9ELNS1_11target_archE1100ELNS1_3gpuE3ELNS1_3repE0EEENS1_47radix_sort_onesweep_sort_config_static_selectorELNS0_4arch9wavefront6targetE1EEEvSG_
; %bb.0:
	.section	.rodata,"a",@progbits
	.p2align	6, 0x0
	.amdhsa_kernel _ZN7rocprim17ROCPRIM_400000_NS6detail17trampoline_kernelINS0_14default_configENS1_35radix_sort_onesweep_config_selectorIslEEZZNS1_29radix_sort_onesweep_iterationIS3_Lb0EPsS7_N6thrust23THRUST_200600_302600_NS10device_ptrIlEESB_jNS0_19identity_decomposerENS1_16block_id_wrapperIjLb1EEEEE10hipError_tT1_PNSt15iterator_traitsISG_E10value_typeET2_T3_PNSH_ISM_E10value_typeET4_T5_PSR_SS_PNS1_23onesweep_lookback_stateEbbT6_jjT7_P12ihipStream_tbENKUlT_T0_SG_SL_E_clIS7_S7_PlSB_EEDaSZ_S10_SG_SL_EUlSZ_E_NS1_11comp_targetILNS1_3genE9ELNS1_11target_archE1100ELNS1_3gpuE3ELNS1_3repE0EEENS1_47radix_sort_onesweep_sort_config_static_selectorELNS0_4arch9wavefront6targetE1EEEvSG_
		.amdhsa_group_segment_fixed_size 0
		.amdhsa_private_segment_fixed_size 0
		.amdhsa_kernarg_size 88
		.amdhsa_user_sgpr_count 6
		.amdhsa_user_sgpr_private_segment_buffer 1
		.amdhsa_user_sgpr_dispatch_ptr 0
		.amdhsa_user_sgpr_queue_ptr 0
		.amdhsa_user_sgpr_kernarg_segment_ptr 1
		.amdhsa_user_sgpr_dispatch_id 0
		.amdhsa_user_sgpr_flat_scratch_init 0
		.amdhsa_user_sgpr_private_segment_size 0
		.amdhsa_uses_dynamic_stack 0
		.amdhsa_system_sgpr_private_segment_wavefront_offset 0
		.amdhsa_system_sgpr_workgroup_id_x 1
		.amdhsa_system_sgpr_workgroup_id_y 0
		.amdhsa_system_sgpr_workgroup_id_z 0
		.amdhsa_system_sgpr_workgroup_info 0
		.amdhsa_system_vgpr_workitem_id 0
		.amdhsa_next_free_vgpr 1
		.amdhsa_next_free_sgpr 0
		.amdhsa_reserve_vcc 0
		.amdhsa_reserve_flat_scratch 0
		.amdhsa_float_round_mode_32 0
		.amdhsa_float_round_mode_16_64 0
		.amdhsa_float_denorm_mode_32 3
		.amdhsa_float_denorm_mode_16_64 3
		.amdhsa_dx10_clamp 1
		.amdhsa_ieee_mode 1
		.amdhsa_fp16_overflow 0
		.amdhsa_exception_fp_ieee_invalid_op 0
		.amdhsa_exception_fp_denorm_src 0
		.amdhsa_exception_fp_ieee_div_zero 0
		.amdhsa_exception_fp_ieee_overflow 0
		.amdhsa_exception_fp_ieee_underflow 0
		.amdhsa_exception_fp_ieee_inexact 0
		.amdhsa_exception_int_div_zero 0
	.end_amdhsa_kernel
	.section	.text._ZN7rocprim17ROCPRIM_400000_NS6detail17trampoline_kernelINS0_14default_configENS1_35radix_sort_onesweep_config_selectorIslEEZZNS1_29radix_sort_onesweep_iterationIS3_Lb0EPsS7_N6thrust23THRUST_200600_302600_NS10device_ptrIlEESB_jNS0_19identity_decomposerENS1_16block_id_wrapperIjLb1EEEEE10hipError_tT1_PNSt15iterator_traitsISG_E10value_typeET2_T3_PNSH_ISM_E10value_typeET4_T5_PSR_SS_PNS1_23onesweep_lookback_stateEbbT6_jjT7_P12ihipStream_tbENKUlT_T0_SG_SL_E_clIS7_S7_PlSB_EEDaSZ_S10_SG_SL_EUlSZ_E_NS1_11comp_targetILNS1_3genE9ELNS1_11target_archE1100ELNS1_3gpuE3ELNS1_3repE0EEENS1_47radix_sort_onesweep_sort_config_static_selectorELNS0_4arch9wavefront6targetE1EEEvSG_,"axG",@progbits,_ZN7rocprim17ROCPRIM_400000_NS6detail17trampoline_kernelINS0_14default_configENS1_35radix_sort_onesweep_config_selectorIslEEZZNS1_29radix_sort_onesweep_iterationIS3_Lb0EPsS7_N6thrust23THRUST_200600_302600_NS10device_ptrIlEESB_jNS0_19identity_decomposerENS1_16block_id_wrapperIjLb1EEEEE10hipError_tT1_PNSt15iterator_traitsISG_E10value_typeET2_T3_PNSH_ISM_E10value_typeET4_T5_PSR_SS_PNS1_23onesweep_lookback_stateEbbT6_jjT7_P12ihipStream_tbENKUlT_T0_SG_SL_E_clIS7_S7_PlSB_EEDaSZ_S10_SG_SL_EUlSZ_E_NS1_11comp_targetILNS1_3genE9ELNS1_11target_archE1100ELNS1_3gpuE3ELNS1_3repE0EEENS1_47radix_sort_onesweep_sort_config_static_selectorELNS0_4arch9wavefront6targetE1EEEvSG_,comdat
.Lfunc_end1423:
	.size	_ZN7rocprim17ROCPRIM_400000_NS6detail17trampoline_kernelINS0_14default_configENS1_35radix_sort_onesweep_config_selectorIslEEZZNS1_29radix_sort_onesweep_iterationIS3_Lb0EPsS7_N6thrust23THRUST_200600_302600_NS10device_ptrIlEESB_jNS0_19identity_decomposerENS1_16block_id_wrapperIjLb1EEEEE10hipError_tT1_PNSt15iterator_traitsISG_E10value_typeET2_T3_PNSH_ISM_E10value_typeET4_T5_PSR_SS_PNS1_23onesweep_lookback_stateEbbT6_jjT7_P12ihipStream_tbENKUlT_T0_SG_SL_E_clIS7_S7_PlSB_EEDaSZ_S10_SG_SL_EUlSZ_E_NS1_11comp_targetILNS1_3genE9ELNS1_11target_archE1100ELNS1_3gpuE3ELNS1_3repE0EEENS1_47radix_sort_onesweep_sort_config_static_selectorELNS0_4arch9wavefront6targetE1EEEvSG_, .Lfunc_end1423-_ZN7rocprim17ROCPRIM_400000_NS6detail17trampoline_kernelINS0_14default_configENS1_35radix_sort_onesweep_config_selectorIslEEZZNS1_29radix_sort_onesweep_iterationIS3_Lb0EPsS7_N6thrust23THRUST_200600_302600_NS10device_ptrIlEESB_jNS0_19identity_decomposerENS1_16block_id_wrapperIjLb1EEEEE10hipError_tT1_PNSt15iterator_traitsISG_E10value_typeET2_T3_PNSH_ISM_E10value_typeET4_T5_PSR_SS_PNS1_23onesweep_lookback_stateEbbT6_jjT7_P12ihipStream_tbENKUlT_T0_SG_SL_E_clIS7_S7_PlSB_EEDaSZ_S10_SG_SL_EUlSZ_E_NS1_11comp_targetILNS1_3genE9ELNS1_11target_archE1100ELNS1_3gpuE3ELNS1_3repE0EEENS1_47radix_sort_onesweep_sort_config_static_selectorELNS0_4arch9wavefront6targetE1EEEvSG_
                                        ; -- End function
	.set _ZN7rocprim17ROCPRIM_400000_NS6detail17trampoline_kernelINS0_14default_configENS1_35radix_sort_onesweep_config_selectorIslEEZZNS1_29radix_sort_onesweep_iterationIS3_Lb0EPsS7_N6thrust23THRUST_200600_302600_NS10device_ptrIlEESB_jNS0_19identity_decomposerENS1_16block_id_wrapperIjLb1EEEEE10hipError_tT1_PNSt15iterator_traitsISG_E10value_typeET2_T3_PNSH_ISM_E10value_typeET4_T5_PSR_SS_PNS1_23onesweep_lookback_stateEbbT6_jjT7_P12ihipStream_tbENKUlT_T0_SG_SL_E_clIS7_S7_PlSB_EEDaSZ_S10_SG_SL_EUlSZ_E_NS1_11comp_targetILNS1_3genE9ELNS1_11target_archE1100ELNS1_3gpuE3ELNS1_3repE0EEENS1_47radix_sort_onesweep_sort_config_static_selectorELNS0_4arch9wavefront6targetE1EEEvSG_.num_vgpr, 0
	.set _ZN7rocprim17ROCPRIM_400000_NS6detail17trampoline_kernelINS0_14default_configENS1_35radix_sort_onesweep_config_selectorIslEEZZNS1_29radix_sort_onesweep_iterationIS3_Lb0EPsS7_N6thrust23THRUST_200600_302600_NS10device_ptrIlEESB_jNS0_19identity_decomposerENS1_16block_id_wrapperIjLb1EEEEE10hipError_tT1_PNSt15iterator_traitsISG_E10value_typeET2_T3_PNSH_ISM_E10value_typeET4_T5_PSR_SS_PNS1_23onesweep_lookback_stateEbbT6_jjT7_P12ihipStream_tbENKUlT_T0_SG_SL_E_clIS7_S7_PlSB_EEDaSZ_S10_SG_SL_EUlSZ_E_NS1_11comp_targetILNS1_3genE9ELNS1_11target_archE1100ELNS1_3gpuE3ELNS1_3repE0EEENS1_47radix_sort_onesweep_sort_config_static_selectorELNS0_4arch9wavefront6targetE1EEEvSG_.num_agpr, 0
	.set _ZN7rocprim17ROCPRIM_400000_NS6detail17trampoline_kernelINS0_14default_configENS1_35radix_sort_onesweep_config_selectorIslEEZZNS1_29radix_sort_onesweep_iterationIS3_Lb0EPsS7_N6thrust23THRUST_200600_302600_NS10device_ptrIlEESB_jNS0_19identity_decomposerENS1_16block_id_wrapperIjLb1EEEEE10hipError_tT1_PNSt15iterator_traitsISG_E10value_typeET2_T3_PNSH_ISM_E10value_typeET4_T5_PSR_SS_PNS1_23onesweep_lookback_stateEbbT6_jjT7_P12ihipStream_tbENKUlT_T0_SG_SL_E_clIS7_S7_PlSB_EEDaSZ_S10_SG_SL_EUlSZ_E_NS1_11comp_targetILNS1_3genE9ELNS1_11target_archE1100ELNS1_3gpuE3ELNS1_3repE0EEENS1_47radix_sort_onesweep_sort_config_static_selectorELNS0_4arch9wavefront6targetE1EEEvSG_.numbered_sgpr, 0
	.set _ZN7rocprim17ROCPRIM_400000_NS6detail17trampoline_kernelINS0_14default_configENS1_35radix_sort_onesweep_config_selectorIslEEZZNS1_29radix_sort_onesweep_iterationIS3_Lb0EPsS7_N6thrust23THRUST_200600_302600_NS10device_ptrIlEESB_jNS0_19identity_decomposerENS1_16block_id_wrapperIjLb1EEEEE10hipError_tT1_PNSt15iterator_traitsISG_E10value_typeET2_T3_PNSH_ISM_E10value_typeET4_T5_PSR_SS_PNS1_23onesweep_lookback_stateEbbT6_jjT7_P12ihipStream_tbENKUlT_T0_SG_SL_E_clIS7_S7_PlSB_EEDaSZ_S10_SG_SL_EUlSZ_E_NS1_11comp_targetILNS1_3genE9ELNS1_11target_archE1100ELNS1_3gpuE3ELNS1_3repE0EEENS1_47radix_sort_onesweep_sort_config_static_selectorELNS0_4arch9wavefront6targetE1EEEvSG_.num_named_barrier, 0
	.set _ZN7rocprim17ROCPRIM_400000_NS6detail17trampoline_kernelINS0_14default_configENS1_35radix_sort_onesweep_config_selectorIslEEZZNS1_29radix_sort_onesweep_iterationIS3_Lb0EPsS7_N6thrust23THRUST_200600_302600_NS10device_ptrIlEESB_jNS0_19identity_decomposerENS1_16block_id_wrapperIjLb1EEEEE10hipError_tT1_PNSt15iterator_traitsISG_E10value_typeET2_T3_PNSH_ISM_E10value_typeET4_T5_PSR_SS_PNS1_23onesweep_lookback_stateEbbT6_jjT7_P12ihipStream_tbENKUlT_T0_SG_SL_E_clIS7_S7_PlSB_EEDaSZ_S10_SG_SL_EUlSZ_E_NS1_11comp_targetILNS1_3genE9ELNS1_11target_archE1100ELNS1_3gpuE3ELNS1_3repE0EEENS1_47radix_sort_onesweep_sort_config_static_selectorELNS0_4arch9wavefront6targetE1EEEvSG_.private_seg_size, 0
	.set _ZN7rocprim17ROCPRIM_400000_NS6detail17trampoline_kernelINS0_14default_configENS1_35radix_sort_onesweep_config_selectorIslEEZZNS1_29radix_sort_onesweep_iterationIS3_Lb0EPsS7_N6thrust23THRUST_200600_302600_NS10device_ptrIlEESB_jNS0_19identity_decomposerENS1_16block_id_wrapperIjLb1EEEEE10hipError_tT1_PNSt15iterator_traitsISG_E10value_typeET2_T3_PNSH_ISM_E10value_typeET4_T5_PSR_SS_PNS1_23onesweep_lookback_stateEbbT6_jjT7_P12ihipStream_tbENKUlT_T0_SG_SL_E_clIS7_S7_PlSB_EEDaSZ_S10_SG_SL_EUlSZ_E_NS1_11comp_targetILNS1_3genE9ELNS1_11target_archE1100ELNS1_3gpuE3ELNS1_3repE0EEENS1_47radix_sort_onesweep_sort_config_static_selectorELNS0_4arch9wavefront6targetE1EEEvSG_.uses_vcc, 0
	.set _ZN7rocprim17ROCPRIM_400000_NS6detail17trampoline_kernelINS0_14default_configENS1_35radix_sort_onesweep_config_selectorIslEEZZNS1_29radix_sort_onesweep_iterationIS3_Lb0EPsS7_N6thrust23THRUST_200600_302600_NS10device_ptrIlEESB_jNS0_19identity_decomposerENS1_16block_id_wrapperIjLb1EEEEE10hipError_tT1_PNSt15iterator_traitsISG_E10value_typeET2_T3_PNSH_ISM_E10value_typeET4_T5_PSR_SS_PNS1_23onesweep_lookback_stateEbbT6_jjT7_P12ihipStream_tbENKUlT_T0_SG_SL_E_clIS7_S7_PlSB_EEDaSZ_S10_SG_SL_EUlSZ_E_NS1_11comp_targetILNS1_3genE9ELNS1_11target_archE1100ELNS1_3gpuE3ELNS1_3repE0EEENS1_47radix_sort_onesweep_sort_config_static_selectorELNS0_4arch9wavefront6targetE1EEEvSG_.uses_flat_scratch, 0
	.set _ZN7rocprim17ROCPRIM_400000_NS6detail17trampoline_kernelINS0_14default_configENS1_35radix_sort_onesweep_config_selectorIslEEZZNS1_29radix_sort_onesweep_iterationIS3_Lb0EPsS7_N6thrust23THRUST_200600_302600_NS10device_ptrIlEESB_jNS0_19identity_decomposerENS1_16block_id_wrapperIjLb1EEEEE10hipError_tT1_PNSt15iterator_traitsISG_E10value_typeET2_T3_PNSH_ISM_E10value_typeET4_T5_PSR_SS_PNS1_23onesweep_lookback_stateEbbT6_jjT7_P12ihipStream_tbENKUlT_T0_SG_SL_E_clIS7_S7_PlSB_EEDaSZ_S10_SG_SL_EUlSZ_E_NS1_11comp_targetILNS1_3genE9ELNS1_11target_archE1100ELNS1_3gpuE3ELNS1_3repE0EEENS1_47radix_sort_onesweep_sort_config_static_selectorELNS0_4arch9wavefront6targetE1EEEvSG_.has_dyn_sized_stack, 0
	.set _ZN7rocprim17ROCPRIM_400000_NS6detail17trampoline_kernelINS0_14default_configENS1_35radix_sort_onesweep_config_selectorIslEEZZNS1_29radix_sort_onesweep_iterationIS3_Lb0EPsS7_N6thrust23THRUST_200600_302600_NS10device_ptrIlEESB_jNS0_19identity_decomposerENS1_16block_id_wrapperIjLb1EEEEE10hipError_tT1_PNSt15iterator_traitsISG_E10value_typeET2_T3_PNSH_ISM_E10value_typeET4_T5_PSR_SS_PNS1_23onesweep_lookback_stateEbbT6_jjT7_P12ihipStream_tbENKUlT_T0_SG_SL_E_clIS7_S7_PlSB_EEDaSZ_S10_SG_SL_EUlSZ_E_NS1_11comp_targetILNS1_3genE9ELNS1_11target_archE1100ELNS1_3gpuE3ELNS1_3repE0EEENS1_47radix_sort_onesweep_sort_config_static_selectorELNS0_4arch9wavefront6targetE1EEEvSG_.has_recursion, 0
	.set _ZN7rocprim17ROCPRIM_400000_NS6detail17trampoline_kernelINS0_14default_configENS1_35radix_sort_onesweep_config_selectorIslEEZZNS1_29radix_sort_onesweep_iterationIS3_Lb0EPsS7_N6thrust23THRUST_200600_302600_NS10device_ptrIlEESB_jNS0_19identity_decomposerENS1_16block_id_wrapperIjLb1EEEEE10hipError_tT1_PNSt15iterator_traitsISG_E10value_typeET2_T3_PNSH_ISM_E10value_typeET4_T5_PSR_SS_PNS1_23onesweep_lookback_stateEbbT6_jjT7_P12ihipStream_tbENKUlT_T0_SG_SL_E_clIS7_S7_PlSB_EEDaSZ_S10_SG_SL_EUlSZ_E_NS1_11comp_targetILNS1_3genE9ELNS1_11target_archE1100ELNS1_3gpuE3ELNS1_3repE0EEENS1_47radix_sort_onesweep_sort_config_static_selectorELNS0_4arch9wavefront6targetE1EEEvSG_.has_indirect_call, 0
	.section	.AMDGPU.csdata,"",@progbits
; Kernel info:
; codeLenInByte = 0
; TotalNumSgprs: 4
; NumVgprs: 0
; ScratchSize: 0
; MemoryBound: 0
; FloatMode: 240
; IeeeMode: 1
; LDSByteSize: 0 bytes/workgroup (compile time only)
; SGPRBlocks: 0
; VGPRBlocks: 0
; NumSGPRsForWavesPerEU: 4
; NumVGPRsForWavesPerEU: 1
; Occupancy: 10
; WaveLimiterHint : 0
; COMPUTE_PGM_RSRC2:SCRATCH_EN: 0
; COMPUTE_PGM_RSRC2:USER_SGPR: 6
; COMPUTE_PGM_RSRC2:TRAP_HANDLER: 0
; COMPUTE_PGM_RSRC2:TGID_X_EN: 1
; COMPUTE_PGM_RSRC2:TGID_Y_EN: 0
; COMPUTE_PGM_RSRC2:TGID_Z_EN: 0
; COMPUTE_PGM_RSRC2:TIDIG_COMP_CNT: 0
	.section	.text._ZN7rocprim17ROCPRIM_400000_NS6detail17trampoline_kernelINS0_14default_configENS1_35radix_sort_onesweep_config_selectorIslEEZZNS1_29radix_sort_onesweep_iterationIS3_Lb0EPsS7_N6thrust23THRUST_200600_302600_NS10device_ptrIlEESB_jNS0_19identity_decomposerENS1_16block_id_wrapperIjLb1EEEEE10hipError_tT1_PNSt15iterator_traitsISG_E10value_typeET2_T3_PNSH_ISM_E10value_typeET4_T5_PSR_SS_PNS1_23onesweep_lookback_stateEbbT6_jjT7_P12ihipStream_tbENKUlT_T0_SG_SL_E_clIS7_S7_PlSB_EEDaSZ_S10_SG_SL_EUlSZ_E_NS1_11comp_targetILNS1_3genE8ELNS1_11target_archE1030ELNS1_3gpuE2ELNS1_3repE0EEENS1_47radix_sort_onesweep_sort_config_static_selectorELNS0_4arch9wavefront6targetE1EEEvSG_,"axG",@progbits,_ZN7rocprim17ROCPRIM_400000_NS6detail17trampoline_kernelINS0_14default_configENS1_35radix_sort_onesweep_config_selectorIslEEZZNS1_29radix_sort_onesweep_iterationIS3_Lb0EPsS7_N6thrust23THRUST_200600_302600_NS10device_ptrIlEESB_jNS0_19identity_decomposerENS1_16block_id_wrapperIjLb1EEEEE10hipError_tT1_PNSt15iterator_traitsISG_E10value_typeET2_T3_PNSH_ISM_E10value_typeET4_T5_PSR_SS_PNS1_23onesweep_lookback_stateEbbT6_jjT7_P12ihipStream_tbENKUlT_T0_SG_SL_E_clIS7_S7_PlSB_EEDaSZ_S10_SG_SL_EUlSZ_E_NS1_11comp_targetILNS1_3genE8ELNS1_11target_archE1030ELNS1_3gpuE2ELNS1_3repE0EEENS1_47radix_sort_onesweep_sort_config_static_selectorELNS0_4arch9wavefront6targetE1EEEvSG_,comdat
	.protected	_ZN7rocprim17ROCPRIM_400000_NS6detail17trampoline_kernelINS0_14default_configENS1_35radix_sort_onesweep_config_selectorIslEEZZNS1_29radix_sort_onesweep_iterationIS3_Lb0EPsS7_N6thrust23THRUST_200600_302600_NS10device_ptrIlEESB_jNS0_19identity_decomposerENS1_16block_id_wrapperIjLb1EEEEE10hipError_tT1_PNSt15iterator_traitsISG_E10value_typeET2_T3_PNSH_ISM_E10value_typeET4_T5_PSR_SS_PNS1_23onesweep_lookback_stateEbbT6_jjT7_P12ihipStream_tbENKUlT_T0_SG_SL_E_clIS7_S7_PlSB_EEDaSZ_S10_SG_SL_EUlSZ_E_NS1_11comp_targetILNS1_3genE8ELNS1_11target_archE1030ELNS1_3gpuE2ELNS1_3repE0EEENS1_47radix_sort_onesweep_sort_config_static_selectorELNS0_4arch9wavefront6targetE1EEEvSG_ ; -- Begin function _ZN7rocprim17ROCPRIM_400000_NS6detail17trampoline_kernelINS0_14default_configENS1_35radix_sort_onesweep_config_selectorIslEEZZNS1_29radix_sort_onesweep_iterationIS3_Lb0EPsS7_N6thrust23THRUST_200600_302600_NS10device_ptrIlEESB_jNS0_19identity_decomposerENS1_16block_id_wrapperIjLb1EEEEE10hipError_tT1_PNSt15iterator_traitsISG_E10value_typeET2_T3_PNSH_ISM_E10value_typeET4_T5_PSR_SS_PNS1_23onesweep_lookback_stateEbbT6_jjT7_P12ihipStream_tbENKUlT_T0_SG_SL_E_clIS7_S7_PlSB_EEDaSZ_S10_SG_SL_EUlSZ_E_NS1_11comp_targetILNS1_3genE8ELNS1_11target_archE1030ELNS1_3gpuE2ELNS1_3repE0EEENS1_47radix_sort_onesweep_sort_config_static_selectorELNS0_4arch9wavefront6targetE1EEEvSG_
	.globl	_ZN7rocprim17ROCPRIM_400000_NS6detail17trampoline_kernelINS0_14default_configENS1_35radix_sort_onesweep_config_selectorIslEEZZNS1_29radix_sort_onesweep_iterationIS3_Lb0EPsS7_N6thrust23THRUST_200600_302600_NS10device_ptrIlEESB_jNS0_19identity_decomposerENS1_16block_id_wrapperIjLb1EEEEE10hipError_tT1_PNSt15iterator_traitsISG_E10value_typeET2_T3_PNSH_ISM_E10value_typeET4_T5_PSR_SS_PNS1_23onesweep_lookback_stateEbbT6_jjT7_P12ihipStream_tbENKUlT_T0_SG_SL_E_clIS7_S7_PlSB_EEDaSZ_S10_SG_SL_EUlSZ_E_NS1_11comp_targetILNS1_3genE8ELNS1_11target_archE1030ELNS1_3gpuE2ELNS1_3repE0EEENS1_47radix_sort_onesweep_sort_config_static_selectorELNS0_4arch9wavefront6targetE1EEEvSG_
	.p2align	8
	.type	_ZN7rocprim17ROCPRIM_400000_NS6detail17trampoline_kernelINS0_14default_configENS1_35radix_sort_onesweep_config_selectorIslEEZZNS1_29radix_sort_onesweep_iterationIS3_Lb0EPsS7_N6thrust23THRUST_200600_302600_NS10device_ptrIlEESB_jNS0_19identity_decomposerENS1_16block_id_wrapperIjLb1EEEEE10hipError_tT1_PNSt15iterator_traitsISG_E10value_typeET2_T3_PNSH_ISM_E10value_typeET4_T5_PSR_SS_PNS1_23onesweep_lookback_stateEbbT6_jjT7_P12ihipStream_tbENKUlT_T0_SG_SL_E_clIS7_S7_PlSB_EEDaSZ_S10_SG_SL_EUlSZ_E_NS1_11comp_targetILNS1_3genE8ELNS1_11target_archE1030ELNS1_3gpuE2ELNS1_3repE0EEENS1_47radix_sort_onesweep_sort_config_static_selectorELNS0_4arch9wavefront6targetE1EEEvSG_,@function
_ZN7rocprim17ROCPRIM_400000_NS6detail17trampoline_kernelINS0_14default_configENS1_35radix_sort_onesweep_config_selectorIslEEZZNS1_29radix_sort_onesweep_iterationIS3_Lb0EPsS7_N6thrust23THRUST_200600_302600_NS10device_ptrIlEESB_jNS0_19identity_decomposerENS1_16block_id_wrapperIjLb1EEEEE10hipError_tT1_PNSt15iterator_traitsISG_E10value_typeET2_T3_PNSH_ISM_E10value_typeET4_T5_PSR_SS_PNS1_23onesweep_lookback_stateEbbT6_jjT7_P12ihipStream_tbENKUlT_T0_SG_SL_E_clIS7_S7_PlSB_EEDaSZ_S10_SG_SL_EUlSZ_E_NS1_11comp_targetILNS1_3genE8ELNS1_11target_archE1030ELNS1_3gpuE2ELNS1_3repE0EEENS1_47radix_sort_onesweep_sort_config_static_selectorELNS0_4arch9wavefront6targetE1EEEvSG_: ; @_ZN7rocprim17ROCPRIM_400000_NS6detail17trampoline_kernelINS0_14default_configENS1_35radix_sort_onesweep_config_selectorIslEEZZNS1_29radix_sort_onesweep_iterationIS3_Lb0EPsS7_N6thrust23THRUST_200600_302600_NS10device_ptrIlEESB_jNS0_19identity_decomposerENS1_16block_id_wrapperIjLb1EEEEE10hipError_tT1_PNSt15iterator_traitsISG_E10value_typeET2_T3_PNSH_ISM_E10value_typeET4_T5_PSR_SS_PNS1_23onesweep_lookback_stateEbbT6_jjT7_P12ihipStream_tbENKUlT_T0_SG_SL_E_clIS7_S7_PlSB_EEDaSZ_S10_SG_SL_EUlSZ_E_NS1_11comp_targetILNS1_3genE8ELNS1_11target_archE1030ELNS1_3gpuE2ELNS1_3repE0EEENS1_47radix_sort_onesweep_sort_config_static_selectorELNS0_4arch9wavefront6targetE1EEEvSG_
; %bb.0:
	.section	.rodata,"a",@progbits
	.p2align	6, 0x0
	.amdhsa_kernel _ZN7rocprim17ROCPRIM_400000_NS6detail17trampoline_kernelINS0_14default_configENS1_35radix_sort_onesweep_config_selectorIslEEZZNS1_29radix_sort_onesweep_iterationIS3_Lb0EPsS7_N6thrust23THRUST_200600_302600_NS10device_ptrIlEESB_jNS0_19identity_decomposerENS1_16block_id_wrapperIjLb1EEEEE10hipError_tT1_PNSt15iterator_traitsISG_E10value_typeET2_T3_PNSH_ISM_E10value_typeET4_T5_PSR_SS_PNS1_23onesweep_lookback_stateEbbT6_jjT7_P12ihipStream_tbENKUlT_T0_SG_SL_E_clIS7_S7_PlSB_EEDaSZ_S10_SG_SL_EUlSZ_E_NS1_11comp_targetILNS1_3genE8ELNS1_11target_archE1030ELNS1_3gpuE2ELNS1_3repE0EEENS1_47radix_sort_onesweep_sort_config_static_selectorELNS0_4arch9wavefront6targetE1EEEvSG_
		.amdhsa_group_segment_fixed_size 0
		.amdhsa_private_segment_fixed_size 0
		.amdhsa_kernarg_size 88
		.amdhsa_user_sgpr_count 6
		.amdhsa_user_sgpr_private_segment_buffer 1
		.amdhsa_user_sgpr_dispatch_ptr 0
		.amdhsa_user_sgpr_queue_ptr 0
		.amdhsa_user_sgpr_kernarg_segment_ptr 1
		.amdhsa_user_sgpr_dispatch_id 0
		.amdhsa_user_sgpr_flat_scratch_init 0
		.amdhsa_user_sgpr_private_segment_size 0
		.amdhsa_uses_dynamic_stack 0
		.amdhsa_system_sgpr_private_segment_wavefront_offset 0
		.amdhsa_system_sgpr_workgroup_id_x 1
		.amdhsa_system_sgpr_workgroup_id_y 0
		.amdhsa_system_sgpr_workgroup_id_z 0
		.amdhsa_system_sgpr_workgroup_info 0
		.amdhsa_system_vgpr_workitem_id 0
		.amdhsa_next_free_vgpr 1
		.amdhsa_next_free_sgpr 0
		.amdhsa_reserve_vcc 0
		.amdhsa_reserve_flat_scratch 0
		.amdhsa_float_round_mode_32 0
		.amdhsa_float_round_mode_16_64 0
		.amdhsa_float_denorm_mode_32 3
		.amdhsa_float_denorm_mode_16_64 3
		.amdhsa_dx10_clamp 1
		.amdhsa_ieee_mode 1
		.amdhsa_fp16_overflow 0
		.amdhsa_exception_fp_ieee_invalid_op 0
		.amdhsa_exception_fp_denorm_src 0
		.amdhsa_exception_fp_ieee_div_zero 0
		.amdhsa_exception_fp_ieee_overflow 0
		.amdhsa_exception_fp_ieee_underflow 0
		.amdhsa_exception_fp_ieee_inexact 0
		.amdhsa_exception_int_div_zero 0
	.end_amdhsa_kernel
	.section	.text._ZN7rocprim17ROCPRIM_400000_NS6detail17trampoline_kernelINS0_14default_configENS1_35radix_sort_onesweep_config_selectorIslEEZZNS1_29radix_sort_onesweep_iterationIS3_Lb0EPsS7_N6thrust23THRUST_200600_302600_NS10device_ptrIlEESB_jNS0_19identity_decomposerENS1_16block_id_wrapperIjLb1EEEEE10hipError_tT1_PNSt15iterator_traitsISG_E10value_typeET2_T3_PNSH_ISM_E10value_typeET4_T5_PSR_SS_PNS1_23onesweep_lookback_stateEbbT6_jjT7_P12ihipStream_tbENKUlT_T0_SG_SL_E_clIS7_S7_PlSB_EEDaSZ_S10_SG_SL_EUlSZ_E_NS1_11comp_targetILNS1_3genE8ELNS1_11target_archE1030ELNS1_3gpuE2ELNS1_3repE0EEENS1_47radix_sort_onesweep_sort_config_static_selectorELNS0_4arch9wavefront6targetE1EEEvSG_,"axG",@progbits,_ZN7rocprim17ROCPRIM_400000_NS6detail17trampoline_kernelINS0_14default_configENS1_35radix_sort_onesweep_config_selectorIslEEZZNS1_29radix_sort_onesweep_iterationIS3_Lb0EPsS7_N6thrust23THRUST_200600_302600_NS10device_ptrIlEESB_jNS0_19identity_decomposerENS1_16block_id_wrapperIjLb1EEEEE10hipError_tT1_PNSt15iterator_traitsISG_E10value_typeET2_T3_PNSH_ISM_E10value_typeET4_T5_PSR_SS_PNS1_23onesweep_lookback_stateEbbT6_jjT7_P12ihipStream_tbENKUlT_T0_SG_SL_E_clIS7_S7_PlSB_EEDaSZ_S10_SG_SL_EUlSZ_E_NS1_11comp_targetILNS1_3genE8ELNS1_11target_archE1030ELNS1_3gpuE2ELNS1_3repE0EEENS1_47radix_sort_onesweep_sort_config_static_selectorELNS0_4arch9wavefront6targetE1EEEvSG_,comdat
.Lfunc_end1424:
	.size	_ZN7rocprim17ROCPRIM_400000_NS6detail17trampoline_kernelINS0_14default_configENS1_35radix_sort_onesweep_config_selectorIslEEZZNS1_29radix_sort_onesweep_iterationIS3_Lb0EPsS7_N6thrust23THRUST_200600_302600_NS10device_ptrIlEESB_jNS0_19identity_decomposerENS1_16block_id_wrapperIjLb1EEEEE10hipError_tT1_PNSt15iterator_traitsISG_E10value_typeET2_T3_PNSH_ISM_E10value_typeET4_T5_PSR_SS_PNS1_23onesweep_lookback_stateEbbT6_jjT7_P12ihipStream_tbENKUlT_T0_SG_SL_E_clIS7_S7_PlSB_EEDaSZ_S10_SG_SL_EUlSZ_E_NS1_11comp_targetILNS1_3genE8ELNS1_11target_archE1030ELNS1_3gpuE2ELNS1_3repE0EEENS1_47radix_sort_onesweep_sort_config_static_selectorELNS0_4arch9wavefront6targetE1EEEvSG_, .Lfunc_end1424-_ZN7rocprim17ROCPRIM_400000_NS6detail17trampoline_kernelINS0_14default_configENS1_35radix_sort_onesweep_config_selectorIslEEZZNS1_29radix_sort_onesweep_iterationIS3_Lb0EPsS7_N6thrust23THRUST_200600_302600_NS10device_ptrIlEESB_jNS0_19identity_decomposerENS1_16block_id_wrapperIjLb1EEEEE10hipError_tT1_PNSt15iterator_traitsISG_E10value_typeET2_T3_PNSH_ISM_E10value_typeET4_T5_PSR_SS_PNS1_23onesweep_lookback_stateEbbT6_jjT7_P12ihipStream_tbENKUlT_T0_SG_SL_E_clIS7_S7_PlSB_EEDaSZ_S10_SG_SL_EUlSZ_E_NS1_11comp_targetILNS1_3genE8ELNS1_11target_archE1030ELNS1_3gpuE2ELNS1_3repE0EEENS1_47radix_sort_onesweep_sort_config_static_selectorELNS0_4arch9wavefront6targetE1EEEvSG_
                                        ; -- End function
	.set _ZN7rocprim17ROCPRIM_400000_NS6detail17trampoline_kernelINS0_14default_configENS1_35radix_sort_onesweep_config_selectorIslEEZZNS1_29radix_sort_onesweep_iterationIS3_Lb0EPsS7_N6thrust23THRUST_200600_302600_NS10device_ptrIlEESB_jNS0_19identity_decomposerENS1_16block_id_wrapperIjLb1EEEEE10hipError_tT1_PNSt15iterator_traitsISG_E10value_typeET2_T3_PNSH_ISM_E10value_typeET4_T5_PSR_SS_PNS1_23onesweep_lookback_stateEbbT6_jjT7_P12ihipStream_tbENKUlT_T0_SG_SL_E_clIS7_S7_PlSB_EEDaSZ_S10_SG_SL_EUlSZ_E_NS1_11comp_targetILNS1_3genE8ELNS1_11target_archE1030ELNS1_3gpuE2ELNS1_3repE0EEENS1_47radix_sort_onesweep_sort_config_static_selectorELNS0_4arch9wavefront6targetE1EEEvSG_.num_vgpr, 0
	.set _ZN7rocprim17ROCPRIM_400000_NS6detail17trampoline_kernelINS0_14default_configENS1_35radix_sort_onesweep_config_selectorIslEEZZNS1_29radix_sort_onesweep_iterationIS3_Lb0EPsS7_N6thrust23THRUST_200600_302600_NS10device_ptrIlEESB_jNS0_19identity_decomposerENS1_16block_id_wrapperIjLb1EEEEE10hipError_tT1_PNSt15iterator_traitsISG_E10value_typeET2_T3_PNSH_ISM_E10value_typeET4_T5_PSR_SS_PNS1_23onesweep_lookback_stateEbbT6_jjT7_P12ihipStream_tbENKUlT_T0_SG_SL_E_clIS7_S7_PlSB_EEDaSZ_S10_SG_SL_EUlSZ_E_NS1_11comp_targetILNS1_3genE8ELNS1_11target_archE1030ELNS1_3gpuE2ELNS1_3repE0EEENS1_47radix_sort_onesweep_sort_config_static_selectorELNS0_4arch9wavefront6targetE1EEEvSG_.num_agpr, 0
	.set _ZN7rocprim17ROCPRIM_400000_NS6detail17trampoline_kernelINS0_14default_configENS1_35radix_sort_onesweep_config_selectorIslEEZZNS1_29radix_sort_onesweep_iterationIS3_Lb0EPsS7_N6thrust23THRUST_200600_302600_NS10device_ptrIlEESB_jNS0_19identity_decomposerENS1_16block_id_wrapperIjLb1EEEEE10hipError_tT1_PNSt15iterator_traitsISG_E10value_typeET2_T3_PNSH_ISM_E10value_typeET4_T5_PSR_SS_PNS1_23onesweep_lookback_stateEbbT6_jjT7_P12ihipStream_tbENKUlT_T0_SG_SL_E_clIS7_S7_PlSB_EEDaSZ_S10_SG_SL_EUlSZ_E_NS1_11comp_targetILNS1_3genE8ELNS1_11target_archE1030ELNS1_3gpuE2ELNS1_3repE0EEENS1_47radix_sort_onesweep_sort_config_static_selectorELNS0_4arch9wavefront6targetE1EEEvSG_.numbered_sgpr, 0
	.set _ZN7rocprim17ROCPRIM_400000_NS6detail17trampoline_kernelINS0_14default_configENS1_35radix_sort_onesweep_config_selectorIslEEZZNS1_29radix_sort_onesweep_iterationIS3_Lb0EPsS7_N6thrust23THRUST_200600_302600_NS10device_ptrIlEESB_jNS0_19identity_decomposerENS1_16block_id_wrapperIjLb1EEEEE10hipError_tT1_PNSt15iterator_traitsISG_E10value_typeET2_T3_PNSH_ISM_E10value_typeET4_T5_PSR_SS_PNS1_23onesweep_lookback_stateEbbT6_jjT7_P12ihipStream_tbENKUlT_T0_SG_SL_E_clIS7_S7_PlSB_EEDaSZ_S10_SG_SL_EUlSZ_E_NS1_11comp_targetILNS1_3genE8ELNS1_11target_archE1030ELNS1_3gpuE2ELNS1_3repE0EEENS1_47radix_sort_onesweep_sort_config_static_selectorELNS0_4arch9wavefront6targetE1EEEvSG_.num_named_barrier, 0
	.set _ZN7rocprim17ROCPRIM_400000_NS6detail17trampoline_kernelINS0_14default_configENS1_35radix_sort_onesweep_config_selectorIslEEZZNS1_29radix_sort_onesweep_iterationIS3_Lb0EPsS7_N6thrust23THRUST_200600_302600_NS10device_ptrIlEESB_jNS0_19identity_decomposerENS1_16block_id_wrapperIjLb1EEEEE10hipError_tT1_PNSt15iterator_traitsISG_E10value_typeET2_T3_PNSH_ISM_E10value_typeET4_T5_PSR_SS_PNS1_23onesweep_lookback_stateEbbT6_jjT7_P12ihipStream_tbENKUlT_T0_SG_SL_E_clIS7_S7_PlSB_EEDaSZ_S10_SG_SL_EUlSZ_E_NS1_11comp_targetILNS1_3genE8ELNS1_11target_archE1030ELNS1_3gpuE2ELNS1_3repE0EEENS1_47radix_sort_onesweep_sort_config_static_selectorELNS0_4arch9wavefront6targetE1EEEvSG_.private_seg_size, 0
	.set _ZN7rocprim17ROCPRIM_400000_NS6detail17trampoline_kernelINS0_14default_configENS1_35radix_sort_onesweep_config_selectorIslEEZZNS1_29radix_sort_onesweep_iterationIS3_Lb0EPsS7_N6thrust23THRUST_200600_302600_NS10device_ptrIlEESB_jNS0_19identity_decomposerENS1_16block_id_wrapperIjLb1EEEEE10hipError_tT1_PNSt15iterator_traitsISG_E10value_typeET2_T3_PNSH_ISM_E10value_typeET4_T5_PSR_SS_PNS1_23onesweep_lookback_stateEbbT6_jjT7_P12ihipStream_tbENKUlT_T0_SG_SL_E_clIS7_S7_PlSB_EEDaSZ_S10_SG_SL_EUlSZ_E_NS1_11comp_targetILNS1_3genE8ELNS1_11target_archE1030ELNS1_3gpuE2ELNS1_3repE0EEENS1_47radix_sort_onesweep_sort_config_static_selectorELNS0_4arch9wavefront6targetE1EEEvSG_.uses_vcc, 0
	.set _ZN7rocprim17ROCPRIM_400000_NS6detail17trampoline_kernelINS0_14default_configENS1_35radix_sort_onesweep_config_selectorIslEEZZNS1_29radix_sort_onesweep_iterationIS3_Lb0EPsS7_N6thrust23THRUST_200600_302600_NS10device_ptrIlEESB_jNS0_19identity_decomposerENS1_16block_id_wrapperIjLb1EEEEE10hipError_tT1_PNSt15iterator_traitsISG_E10value_typeET2_T3_PNSH_ISM_E10value_typeET4_T5_PSR_SS_PNS1_23onesweep_lookback_stateEbbT6_jjT7_P12ihipStream_tbENKUlT_T0_SG_SL_E_clIS7_S7_PlSB_EEDaSZ_S10_SG_SL_EUlSZ_E_NS1_11comp_targetILNS1_3genE8ELNS1_11target_archE1030ELNS1_3gpuE2ELNS1_3repE0EEENS1_47radix_sort_onesweep_sort_config_static_selectorELNS0_4arch9wavefront6targetE1EEEvSG_.uses_flat_scratch, 0
	.set _ZN7rocprim17ROCPRIM_400000_NS6detail17trampoline_kernelINS0_14default_configENS1_35radix_sort_onesweep_config_selectorIslEEZZNS1_29radix_sort_onesweep_iterationIS3_Lb0EPsS7_N6thrust23THRUST_200600_302600_NS10device_ptrIlEESB_jNS0_19identity_decomposerENS1_16block_id_wrapperIjLb1EEEEE10hipError_tT1_PNSt15iterator_traitsISG_E10value_typeET2_T3_PNSH_ISM_E10value_typeET4_T5_PSR_SS_PNS1_23onesweep_lookback_stateEbbT6_jjT7_P12ihipStream_tbENKUlT_T0_SG_SL_E_clIS7_S7_PlSB_EEDaSZ_S10_SG_SL_EUlSZ_E_NS1_11comp_targetILNS1_3genE8ELNS1_11target_archE1030ELNS1_3gpuE2ELNS1_3repE0EEENS1_47radix_sort_onesweep_sort_config_static_selectorELNS0_4arch9wavefront6targetE1EEEvSG_.has_dyn_sized_stack, 0
	.set _ZN7rocprim17ROCPRIM_400000_NS6detail17trampoline_kernelINS0_14default_configENS1_35radix_sort_onesweep_config_selectorIslEEZZNS1_29radix_sort_onesweep_iterationIS3_Lb0EPsS7_N6thrust23THRUST_200600_302600_NS10device_ptrIlEESB_jNS0_19identity_decomposerENS1_16block_id_wrapperIjLb1EEEEE10hipError_tT1_PNSt15iterator_traitsISG_E10value_typeET2_T3_PNSH_ISM_E10value_typeET4_T5_PSR_SS_PNS1_23onesweep_lookback_stateEbbT6_jjT7_P12ihipStream_tbENKUlT_T0_SG_SL_E_clIS7_S7_PlSB_EEDaSZ_S10_SG_SL_EUlSZ_E_NS1_11comp_targetILNS1_3genE8ELNS1_11target_archE1030ELNS1_3gpuE2ELNS1_3repE0EEENS1_47radix_sort_onesweep_sort_config_static_selectorELNS0_4arch9wavefront6targetE1EEEvSG_.has_recursion, 0
	.set _ZN7rocprim17ROCPRIM_400000_NS6detail17trampoline_kernelINS0_14default_configENS1_35radix_sort_onesweep_config_selectorIslEEZZNS1_29radix_sort_onesweep_iterationIS3_Lb0EPsS7_N6thrust23THRUST_200600_302600_NS10device_ptrIlEESB_jNS0_19identity_decomposerENS1_16block_id_wrapperIjLb1EEEEE10hipError_tT1_PNSt15iterator_traitsISG_E10value_typeET2_T3_PNSH_ISM_E10value_typeET4_T5_PSR_SS_PNS1_23onesweep_lookback_stateEbbT6_jjT7_P12ihipStream_tbENKUlT_T0_SG_SL_E_clIS7_S7_PlSB_EEDaSZ_S10_SG_SL_EUlSZ_E_NS1_11comp_targetILNS1_3genE8ELNS1_11target_archE1030ELNS1_3gpuE2ELNS1_3repE0EEENS1_47radix_sort_onesweep_sort_config_static_selectorELNS0_4arch9wavefront6targetE1EEEvSG_.has_indirect_call, 0
	.section	.AMDGPU.csdata,"",@progbits
; Kernel info:
; codeLenInByte = 0
; TotalNumSgprs: 4
; NumVgprs: 0
; ScratchSize: 0
; MemoryBound: 0
; FloatMode: 240
; IeeeMode: 1
; LDSByteSize: 0 bytes/workgroup (compile time only)
; SGPRBlocks: 0
; VGPRBlocks: 0
; NumSGPRsForWavesPerEU: 4
; NumVGPRsForWavesPerEU: 1
; Occupancy: 10
; WaveLimiterHint : 0
; COMPUTE_PGM_RSRC2:SCRATCH_EN: 0
; COMPUTE_PGM_RSRC2:USER_SGPR: 6
; COMPUTE_PGM_RSRC2:TRAP_HANDLER: 0
; COMPUTE_PGM_RSRC2:TGID_X_EN: 1
; COMPUTE_PGM_RSRC2:TGID_Y_EN: 0
; COMPUTE_PGM_RSRC2:TGID_Z_EN: 0
; COMPUTE_PGM_RSRC2:TIDIG_COMP_CNT: 0
	.section	.text._ZN7rocprim17ROCPRIM_400000_NS6detail17trampoline_kernelINS0_14default_configENS1_35radix_sort_onesweep_config_selectorIslEEZZNS1_29radix_sort_onesweep_iterationIS3_Lb0EPsS7_N6thrust23THRUST_200600_302600_NS10device_ptrIlEESB_jNS0_19identity_decomposerENS1_16block_id_wrapperIjLb0EEEEE10hipError_tT1_PNSt15iterator_traitsISG_E10value_typeET2_T3_PNSH_ISM_E10value_typeET4_T5_PSR_SS_PNS1_23onesweep_lookback_stateEbbT6_jjT7_P12ihipStream_tbENKUlT_T0_SG_SL_E_clIS7_S7_SB_SB_EEDaSZ_S10_SG_SL_EUlSZ_E_NS1_11comp_targetILNS1_3genE0ELNS1_11target_archE4294967295ELNS1_3gpuE0ELNS1_3repE0EEENS1_47radix_sort_onesweep_sort_config_static_selectorELNS0_4arch9wavefront6targetE1EEEvSG_,"axG",@progbits,_ZN7rocprim17ROCPRIM_400000_NS6detail17trampoline_kernelINS0_14default_configENS1_35radix_sort_onesweep_config_selectorIslEEZZNS1_29radix_sort_onesweep_iterationIS3_Lb0EPsS7_N6thrust23THRUST_200600_302600_NS10device_ptrIlEESB_jNS0_19identity_decomposerENS1_16block_id_wrapperIjLb0EEEEE10hipError_tT1_PNSt15iterator_traitsISG_E10value_typeET2_T3_PNSH_ISM_E10value_typeET4_T5_PSR_SS_PNS1_23onesweep_lookback_stateEbbT6_jjT7_P12ihipStream_tbENKUlT_T0_SG_SL_E_clIS7_S7_SB_SB_EEDaSZ_S10_SG_SL_EUlSZ_E_NS1_11comp_targetILNS1_3genE0ELNS1_11target_archE4294967295ELNS1_3gpuE0ELNS1_3repE0EEENS1_47radix_sort_onesweep_sort_config_static_selectorELNS0_4arch9wavefront6targetE1EEEvSG_,comdat
	.protected	_ZN7rocprim17ROCPRIM_400000_NS6detail17trampoline_kernelINS0_14default_configENS1_35radix_sort_onesweep_config_selectorIslEEZZNS1_29radix_sort_onesweep_iterationIS3_Lb0EPsS7_N6thrust23THRUST_200600_302600_NS10device_ptrIlEESB_jNS0_19identity_decomposerENS1_16block_id_wrapperIjLb0EEEEE10hipError_tT1_PNSt15iterator_traitsISG_E10value_typeET2_T3_PNSH_ISM_E10value_typeET4_T5_PSR_SS_PNS1_23onesweep_lookback_stateEbbT6_jjT7_P12ihipStream_tbENKUlT_T0_SG_SL_E_clIS7_S7_SB_SB_EEDaSZ_S10_SG_SL_EUlSZ_E_NS1_11comp_targetILNS1_3genE0ELNS1_11target_archE4294967295ELNS1_3gpuE0ELNS1_3repE0EEENS1_47radix_sort_onesweep_sort_config_static_selectorELNS0_4arch9wavefront6targetE1EEEvSG_ ; -- Begin function _ZN7rocprim17ROCPRIM_400000_NS6detail17trampoline_kernelINS0_14default_configENS1_35radix_sort_onesweep_config_selectorIslEEZZNS1_29radix_sort_onesweep_iterationIS3_Lb0EPsS7_N6thrust23THRUST_200600_302600_NS10device_ptrIlEESB_jNS0_19identity_decomposerENS1_16block_id_wrapperIjLb0EEEEE10hipError_tT1_PNSt15iterator_traitsISG_E10value_typeET2_T3_PNSH_ISM_E10value_typeET4_T5_PSR_SS_PNS1_23onesweep_lookback_stateEbbT6_jjT7_P12ihipStream_tbENKUlT_T0_SG_SL_E_clIS7_S7_SB_SB_EEDaSZ_S10_SG_SL_EUlSZ_E_NS1_11comp_targetILNS1_3genE0ELNS1_11target_archE4294967295ELNS1_3gpuE0ELNS1_3repE0EEENS1_47radix_sort_onesweep_sort_config_static_selectorELNS0_4arch9wavefront6targetE1EEEvSG_
	.globl	_ZN7rocprim17ROCPRIM_400000_NS6detail17trampoline_kernelINS0_14default_configENS1_35radix_sort_onesweep_config_selectorIslEEZZNS1_29radix_sort_onesweep_iterationIS3_Lb0EPsS7_N6thrust23THRUST_200600_302600_NS10device_ptrIlEESB_jNS0_19identity_decomposerENS1_16block_id_wrapperIjLb0EEEEE10hipError_tT1_PNSt15iterator_traitsISG_E10value_typeET2_T3_PNSH_ISM_E10value_typeET4_T5_PSR_SS_PNS1_23onesweep_lookback_stateEbbT6_jjT7_P12ihipStream_tbENKUlT_T0_SG_SL_E_clIS7_S7_SB_SB_EEDaSZ_S10_SG_SL_EUlSZ_E_NS1_11comp_targetILNS1_3genE0ELNS1_11target_archE4294967295ELNS1_3gpuE0ELNS1_3repE0EEENS1_47radix_sort_onesweep_sort_config_static_selectorELNS0_4arch9wavefront6targetE1EEEvSG_
	.p2align	8
	.type	_ZN7rocprim17ROCPRIM_400000_NS6detail17trampoline_kernelINS0_14default_configENS1_35radix_sort_onesweep_config_selectorIslEEZZNS1_29radix_sort_onesweep_iterationIS3_Lb0EPsS7_N6thrust23THRUST_200600_302600_NS10device_ptrIlEESB_jNS0_19identity_decomposerENS1_16block_id_wrapperIjLb0EEEEE10hipError_tT1_PNSt15iterator_traitsISG_E10value_typeET2_T3_PNSH_ISM_E10value_typeET4_T5_PSR_SS_PNS1_23onesweep_lookback_stateEbbT6_jjT7_P12ihipStream_tbENKUlT_T0_SG_SL_E_clIS7_S7_SB_SB_EEDaSZ_S10_SG_SL_EUlSZ_E_NS1_11comp_targetILNS1_3genE0ELNS1_11target_archE4294967295ELNS1_3gpuE0ELNS1_3repE0EEENS1_47radix_sort_onesweep_sort_config_static_selectorELNS0_4arch9wavefront6targetE1EEEvSG_,@function
_ZN7rocprim17ROCPRIM_400000_NS6detail17trampoline_kernelINS0_14default_configENS1_35radix_sort_onesweep_config_selectorIslEEZZNS1_29radix_sort_onesweep_iterationIS3_Lb0EPsS7_N6thrust23THRUST_200600_302600_NS10device_ptrIlEESB_jNS0_19identity_decomposerENS1_16block_id_wrapperIjLb0EEEEE10hipError_tT1_PNSt15iterator_traitsISG_E10value_typeET2_T3_PNSH_ISM_E10value_typeET4_T5_PSR_SS_PNS1_23onesweep_lookback_stateEbbT6_jjT7_P12ihipStream_tbENKUlT_T0_SG_SL_E_clIS7_S7_SB_SB_EEDaSZ_S10_SG_SL_EUlSZ_E_NS1_11comp_targetILNS1_3genE0ELNS1_11target_archE4294967295ELNS1_3gpuE0ELNS1_3repE0EEENS1_47radix_sort_onesweep_sort_config_static_selectorELNS0_4arch9wavefront6targetE1EEEvSG_: ; @_ZN7rocprim17ROCPRIM_400000_NS6detail17trampoline_kernelINS0_14default_configENS1_35radix_sort_onesweep_config_selectorIslEEZZNS1_29radix_sort_onesweep_iterationIS3_Lb0EPsS7_N6thrust23THRUST_200600_302600_NS10device_ptrIlEESB_jNS0_19identity_decomposerENS1_16block_id_wrapperIjLb0EEEEE10hipError_tT1_PNSt15iterator_traitsISG_E10value_typeET2_T3_PNSH_ISM_E10value_typeET4_T5_PSR_SS_PNS1_23onesweep_lookback_stateEbbT6_jjT7_P12ihipStream_tbENKUlT_T0_SG_SL_E_clIS7_S7_SB_SB_EEDaSZ_S10_SG_SL_EUlSZ_E_NS1_11comp_targetILNS1_3genE0ELNS1_11target_archE4294967295ELNS1_3gpuE0ELNS1_3repE0EEENS1_47radix_sort_onesweep_sort_config_static_selectorELNS0_4arch9wavefront6targetE1EEEvSG_
; %bb.0:
	.section	.rodata,"a",@progbits
	.p2align	6, 0x0
	.amdhsa_kernel _ZN7rocprim17ROCPRIM_400000_NS6detail17trampoline_kernelINS0_14default_configENS1_35radix_sort_onesweep_config_selectorIslEEZZNS1_29radix_sort_onesweep_iterationIS3_Lb0EPsS7_N6thrust23THRUST_200600_302600_NS10device_ptrIlEESB_jNS0_19identity_decomposerENS1_16block_id_wrapperIjLb0EEEEE10hipError_tT1_PNSt15iterator_traitsISG_E10value_typeET2_T3_PNSH_ISM_E10value_typeET4_T5_PSR_SS_PNS1_23onesweep_lookback_stateEbbT6_jjT7_P12ihipStream_tbENKUlT_T0_SG_SL_E_clIS7_S7_SB_SB_EEDaSZ_S10_SG_SL_EUlSZ_E_NS1_11comp_targetILNS1_3genE0ELNS1_11target_archE4294967295ELNS1_3gpuE0ELNS1_3repE0EEENS1_47radix_sort_onesweep_sort_config_static_selectorELNS0_4arch9wavefront6targetE1EEEvSG_
		.amdhsa_group_segment_fixed_size 0
		.amdhsa_private_segment_fixed_size 0
		.amdhsa_kernarg_size 88
		.amdhsa_user_sgpr_count 6
		.amdhsa_user_sgpr_private_segment_buffer 1
		.amdhsa_user_sgpr_dispatch_ptr 0
		.amdhsa_user_sgpr_queue_ptr 0
		.amdhsa_user_sgpr_kernarg_segment_ptr 1
		.amdhsa_user_sgpr_dispatch_id 0
		.amdhsa_user_sgpr_flat_scratch_init 0
		.amdhsa_user_sgpr_private_segment_size 0
		.amdhsa_uses_dynamic_stack 0
		.amdhsa_system_sgpr_private_segment_wavefront_offset 0
		.amdhsa_system_sgpr_workgroup_id_x 1
		.amdhsa_system_sgpr_workgroup_id_y 0
		.amdhsa_system_sgpr_workgroup_id_z 0
		.amdhsa_system_sgpr_workgroup_info 0
		.amdhsa_system_vgpr_workitem_id 0
		.amdhsa_next_free_vgpr 1
		.amdhsa_next_free_sgpr 0
		.amdhsa_reserve_vcc 0
		.amdhsa_reserve_flat_scratch 0
		.amdhsa_float_round_mode_32 0
		.amdhsa_float_round_mode_16_64 0
		.amdhsa_float_denorm_mode_32 3
		.amdhsa_float_denorm_mode_16_64 3
		.amdhsa_dx10_clamp 1
		.amdhsa_ieee_mode 1
		.amdhsa_fp16_overflow 0
		.amdhsa_exception_fp_ieee_invalid_op 0
		.amdhsa_exception_fp_denorm_src 0
		.amdhsa_exception_fp_ieee_div_zero 0
		.amdhsa_exception_fp_ieee_overflow 0
		.amdhsa_exception_fp_ieee_underflow 0
		.amdhsa_exception_fp_ieee_inexact 0
		.amdhsa_exception_int_div_zero 0
	.end_amdhsa_kernel
	.section	.text._ZN7rocprim17ROCPRIM_400000_NS6detail17trampoline_kernelINS0_14default_configENS1_35radix_sort_onesweep_config_selectorIslEEZZNS1_29radix_sort_onesweep_iterationIS3_Lb0EPsS7_N6thrust23THRUST_200600_302600_NS10device_ptrIlEESB_jNS0_19identity_decomposerENS1_16block_id_wrapperIjLb0EEEEE10hipError_tT1_PNSt15iterator_traitsISG_E10value_typeET2_T3_PNSH_ISM_E10value_typeET4_T5_PSR_SS_PNS1_23onesweep_lookback_stateEbbT6_jjT7_P12ihipStream_tbENKUlT_T0_SG_SL_E_clIS7_S7_SB_SB_EEDaSZ_S10_SG_SL_EUlSZ_E_NS1_11comp_targetILNS1_3genE0ELNS1_11target_archE4294967295ELNS1_3gpuE0ELNS1_3repE0EEENS1_47radix_sort_onesweep_sort_config_static_selectorELNS0_4arch9wavefront6targetE1EEEvSG_,"axG",@progbits,_ZN7rocprim17ROCPRIM_400000_NS6detail17trampoline_kernelINS0_14default_configENS1_35radix_sort_onesweep_config_selectorIslEEZZNS1_29radix_sort_onesweep_iterationIS3_Lb0EPsS7_N6thrust23THRUST_200600_302600_NS10device_ptrIlEESB_jNS0_19identity_decomposerENS1_16block_id_wrapperIjLb0EEEEE10hipError_tT1_PNSt15iterator_traitsISG_E10value_typeET2_T3_PNSH_ISM_E10value_typeET4_T5_PSR_SS_PNS1_23onesweep_lookback_stateEbbT6_jjT7_P12ihipStream_tbENKUlT_T0_SG_SL_E_clIS7_S7_SB_SB_EEDaSZ_S10_SG_SL_EUlSZ_E_NS1_11comp_targetILNS1_3genE0ELNS1_11target_archE4294967295ELNS1_3gpuE0ELNS1_3repE0EEENS1_47radix_sort_onesweep_sort_config_static_selectorELNS0_4arch9wavefront6targetE1EEEvSG_,comdat
.Lfunc_end1425:
	.size	_ZN7rocprim17ROCPRIM_400000_NS6detail17trampoline_kernelINS0_14default_configENS1_35radix_sort_onesweep_config_selectorIslEEZZNS1_29radix_sort_onesweep_iterationIS3_Lb0EPsS7_N6thrust23THRUST_200600_302600_NS10device_ptrIlEESB_jNS0_19identity_decomposerENS1_16block_id_wrapperIjLb0EEEEE10hipError_tT1_PNSt15iterator_traitsISG_E10value_typeET2_T3_PNSH_ISM_E10value_typeET4_T5_PSR_SS_PNS1_23onesweep_lookback_stateEbbT6_jjT7_P12ihipStream_tbENKUlT_T0_SG_SL_E_clIS7_S7_SB_SB_EEDaSZ_S10_SG_SL_EUlSZ_E_NS1_11comp_targetILNS1_3genE0ELNS1_11target_archE4294967295ELNS1_3gpuE0ELNS1_3repE0EEENS1_47radix_sort_onesweep_sort_config_static_selectorELNS0_4arch9wavefront6targetE1EEEvSG_, .Lfunc_end1425-_ZN7rocprim17ROCPRIM_400000_NS6detail17trampoline_kernelINS0_14default_configENS1_35radix_sort_onesweep_config_selectorIslEEZZNS1_29radix_sort_onesweep_iterationIS3_Lb0EPsS7_N6thrust23THRUST_200600_302600_NS10device_ptrIlEESB_jNS0_19identity_decomposerENS1_16block_id_wrapperIjLb0EEEEE10hipError_tT1_PNSt15iterator_traitsISG_E10value_typeET2_T3_PNSH_ISM_E10value_typeET4_T5_PSR_SS_PNS1_23onesweep_lookback_stateEbbT6_jjT7_P12ihipStream_tbENKUlT_T0_SG_SL_E_clIS7_S7_SB_SB_EEDaSZ_S10_SG_SL_EUlSZ_E_NS1_11comp_targetILNS1_3genE0ELNS1_11target_archE4294967295ELNS1_3gpuE0ELNS1_3repE0EEENS1_47radix_sort_onesweep_sort_config_static_selectorELNS0_4arch9wavefront6targetE1EEEvSG_
                                        ; -- End function
	.set _ZN7rocprim17ROCPRIM_400000_NS6detail17trampoline_kernelINS0_14default_configENS1_35radix_sort_onesweep_config_selectorIslEEZZNS1_29radix_sort_onesweep_iterationIS3_Lb0EPsS7_N6thrust23THRUST_200600_302600_NS10device_ptrIlEESB_jNS0_19identity_decomposerENS1_16block_id_wrapperIjLb0EEEEE10hipError_tT1_PNSt15iterator_traitsISG_E10value_typeET2_T3_PNSH_ISM_E10value_typeET4_T5_PSR_SS_PNS1_23onesweep_lookback_stateEbbT6_jjT7_P12ihipStream_tbENKUlT_T0_SG_SL_E_clIS7_S7_SB_SB_EEDaSZ_S10_SG_SL_EUlSZ_E_NS1_11comp_targetILNS1_3genE0ELNS1_11target_archE4294967295ELNS1_3gpuE0ELNS1_3repE0EEENS1_47radix_sort_onesweep_sort_config_static_selectorELNS0_4arch9wavefront6targetE1EEEvSG_.num_vgpr, 0
	.set _ZN7rocprim17ROCPRIM_400000_NS6detail17trampoline_kernelINS0_14default_configENS1_35radix_sort_onesweep_config_selectorIslEEZZNS1_29radix_sort_onesweep_iterationIS3_Lb0EPsS7_N6thrust23THRUST_200600_302600_NS10device_ptrIlEESB_jNS0_19identity_decomposerENS1_16block_id_wrapperIjLb0EEEEE10hipError_tT1_PNSt15iterator_traitsISG_E10value_typeET2_T3_PNSH_ISM_E10value_typeET4_T5_PSR_SS_PNS1_23onesweep_lookback_stateEbbT6_jjT7_P12ihipStream_tbENKUlT_T0_SG_SL_E_clIS7_S7_SB_SB_EEDaSZ_S10_SG_SL_EUlSZ_E_NS1_11comp_targetILNS1_3genE0ELNS1_11target_archE4294967295ELNS1_3gpuE0ELNS1_3repE0EEENS1_47radix_sort_onesweep_sort_config_static_selectorELNS0_4arch9wavefront6targetE1EEEvSG_.num_agpr, 0
	.set _ZN7rocprim17ROCPRIM_400000_NS6detail17trampoline_kernelINS0_14default_configENS1_35radix_sort_onesweep_config_selectorIslEEZZNS1_29radix_sort_onesweep_iterationIS3_Lb0EPsS7_N6thrust23THRUST_200600_302600_NS10device_ptrIlEESB_jNS0_19identity_decomposerENS1_16block_id_wrapperIjLb0EEEEE10hipError_tT1_PNSt15iterator_traitsISG_E10value_typeET2_T3_PNSH_ISM_E10value_typeET4_T5_PSR_SS_PNS1_23onesweep_lookback_stateEbbT6_jjT7_P12ihipStream_tbENKUlT_T0_SG_SL_E_clIS7_S7_SB_SB_EEDaSZ_S10_SG_SL_EUlSZ_E_NS1_11comp_targetILNS1_3genE0ELNS1_11target_archE4294967295ELNS1_3gpuE0ELNS1_3repE0EEENS1_47radix_sort_onesweep_sort_config_static_selectorELNS0_4arch9wavefront6targetE1EEEvSG_.numbered_sgpr, 0
	.set _ZN7rocprim17ROCPRIM_400000_NS6detail17trampoline_kernelINS0_14default_configENS1_35radix_sort_onesweep_config_selectorIslEEZZNS1_29radix_sort_onesweep_iterationIS3_Lb0EPsS7_N6thrust23THRUST_200600_302600_NS10device_ptrIlEESB_jNS0_19identity_decomposerENS1_16block_id_wrapperIjLb0EEEEE10hipError_tT1_PNSt15iterator_traitsISG_E10value_typeET2_T3_PNSH_ISM_E10value_typeET4_T5_PSR_SS_PNS1_23onesweep_lookback_stateEbbT6_jjT7_P12ihipStream_tbENKUlT_T0_SG_SL_E_clIS7_S7_SB_SB_EEDaSZ_S10_SG_SL_EUlSZ_E_NS1_11comp_targetILNS1_3genE0ELNS1_11target_archE4294967295ELNS1_3gpuE0ELNS1_3repE0EEENS1_47radix_sort_onesweep_sort_config_static_selectorELNS0_4arch9wavefront6targetE1EEEvSG_.num_named_barrier, 0
	.set _ZN7rocprim17ROCPRIM_400000_NS6detail17trampoline_kernelINS0_14default_configENS1_35radix_sort_onesweep_config_selectorIslEEZZNS1_29radix_sort_onesweep_iterationIS3_Lb0EPsS7_N6thrust23THRUST_200600_302600_NS10device_ptrIlEESB_jNS0_19identity_decomposerENS1_16block_id_wrapperIjLb0EEEEE10hipError_tT1_PNSt15iterator_traitsISG_E10value_typeET2_T3_PNSH_ISM_E10value_typeET4_T5_PSR_SS_PNS1_23onesweep_lookback_stateEbbT6_jjT7_P12ihipStream_tbENKUlT_T0_SG_SL_E_clIS7_S7_SB_SB_EEDaSZ_S10_SG_SL_EUlSZ_E_NS1_11comp_targetILNS1_3genE0ELNS1_11target_archE4294967295ELNS1_3gpuE0ELNS1_3repE0EEENS1_47radix_sort_onesweep_sort_config_static_selectorELNS0_4arch9wavefront6targetE1EEEvSG_.private_seg_size, 0
	.set _ZN7rocprim17ROCPRIM_400000_NS6detail17trampoline_kernelINS0_14default_configENS1_35radix_sort_onesweep_config_selectorIslEEZZNS1_29radix_sort_onesweep_iterationIS3_Lb0EPsS7_N6thrust23THRUST_200600_302600_NS10device_ptrIlEESB_jNS0_19identity_decomposerENS1_16block_id_wrapperIjLb0EEEEE10hipError_tT1_PNSt15iterator_traitsISG_E10value_typeET2_T3_PNSH_ISM_E10value_typeET4_T5_PSR_SS_PNS1_23onesweep_lookback_stateEbbT6_jjT7_P12ihipStream_tbENKUlT_T0_SG_SL_E_clIS7_S7_SB_SB_EEDaSZ_S10_SG_SL_EUlSZ_E_NS1_11comp_targetILNS1_3genE0ELNS1_11target_archE4294967295ELNS1_3gpuE0ELNS1_3repE0EEENS1_47radix_sort_onesweep_sort_config_static_selectorELNS0_4arch9wavefront6targetE1EEEvSG_.uses_vcc, 0
	.set _ZN7rocprim17ROCPRIM_400000_NS6detail17trampoline_kernelINS0_14default_configENS1_35radix_sort_onesweep_config_selectorIslEEZZNS1_29radix_sort_onesweep_iterationIS3_Lb0EPsS7_N6thrust23THRUST_200600_302600_NS10device_ptrIlEESB_jNS0_19identity_decomposerENS1_16block_id_wrapperIjLb0EEEEE10hipError_tT1_PNSt15iterator_traitsISG_E10value_typeET2_T3_PNSH_ISM_E10value_typeET4_T5_PSR_SS_PNS1_23onesweep_lookback_stateEbbT6_jjT7_P12ihipStream_tbENKUlT_T0_SG_SL_E_clIS7_S7_SB_SB_EEDaSZ_S10_SG_SL_EUlSZ_E_NS1_11comp_targetILNS1_3genE0ELNS1_11target_archE4294967295ELNS1_3gpuE0ELNS1_3repE0EEENS1_47radix_sort_onesweep_sort_config_static_selectorELNS0_4arch9wavefront6targetE1EEEvSG_.uses_flat_scratch, 0
	.set _ZN7rocprim17ROCPRIM_400000_NS6detail17trampoline_kernelINS0_14default_configENS1_35radix_sort_onesweep_config_selectorIslEEZZNS1_29radix_sort_onesweep_iterationIS3_Lb0EPsS7_N6thrust23THRUST_200600_302600_NS10device_ptrIlEESB_jNS0_19identity_decomposerENS1_16block_id_wrapperIjLb0EEEEE10hipError_tT1_PNSt15iterator_traitsISG_E10value_typeET2_T3_PNSH_ISM_E10value_typeET4_T5_PSR_SS_PNS1_23onesweep_lookback_stateEbbT6_jjT7_P12ihipStream_tbENKUlT_T0_SG_SL_E_clIS7_S7_SB_SB_EEDaSZ_S10_SG_SL_EUlSZ_E_NS1_11comp_targetILNS1_3genE0ELNS1_11target_archE4294967295ELNS1_3gpuE0ELNS1_3repE0EEENS1_47radix_sort_onesweep_sort_config_static_selectorELNS0_4arch9wavefront6targetE1EEEvSG_.has_dyn_sized_stack, 0
	.set _ZN7rocprim17ROCPRIM_400000_NS6detail17trampoline_kernelINS0_14default_configENS1_35radix_sort_onesweep_config_selectorIslEEZZNS1_29radix_sort_onesweep_iterationIS3_Lb0EPsS7_N6thrust23THRUST_200600_302600_NS10device_ptrIlEESB_jNS0_19identity_decomposerENS1_16block_id_wrapperIjLb0EEEEE10hipError_tT1_PNSt15iterator_traitsISG_E10value_typeET2_T3_PNSH_ISM_E10value_typeET4_T5_PSR_SS_PNS1_23onesweep_lookback_stateEbbT6_jjT7_P12ihipStream_tbENKUlT_T0_SG_SL_E_clIS7_S7_SB_SB_EEDaSZ_S10_SG_SL_EUlSZ_E_NS1_11comp_targetILNS1_3genE0ELNS1_11target_archE4294967295ELNS1_3gpuE0ELNS1_3repE0EEENS1_47radix_sort_onesweep_sort_config_static_selectorELNS0_4arch9wavefront6targetE1EEEvSG_.has_recursion, 0
	.set _ZN7rocprim17ROCPRIM_400000_NS6detail17trampoline_kernelINS0_14default_configENS1_35radix_sort_onesweep_config_selectorIslEEZZNS1_29radix_sort_onesweep_iterationIS3_Lb0EPsS7_N6thrust23THRUST_200600_302600_NS10device_ptrIlEESB_jNS0_19identity_decomposerENS1_16block_id_wrapperIjLb0EEEEE10hipError_tT1_PNSt15iterator_traitsISG_E10value_typeET2_T3_PNSH_ISM_E10value_typeET4_T5_PSR_SS_PNS1_23onesweep_lookback_stateEbbT6_jjT7_P12ihipStream_tbENKUlT_T0_SG_SL_E_clIS7_S7_SB_SB_EEDaSZ_S10_SG_SL_EUlSZ_E_NS1_11comp_targetILNS1_3genE0ELNS1_11target_archE4294967295ELNS1_3gpuE0ELNS1_3repE0EEENS1_47radix_sort_onesweep_sort_config_static_selectorELNS0_4arch9wavefront6targetE1EEEvSG_.has_indirect_call, 0
	.section	.AMDGPU.csdata,"",@progbits
; Kernel info:
; codeLenInByte = 0
; TotalNumSgprs: 4
; NumVgprs: 0
; ScratchSize: 0
; MemoryBound: 0
; FloatMode: 240
; IeeeMode: 1
; LDSByteSize: 0 bytes/workgroup (compile time only)
; SGPRBlocks: 0
; VGPRBlocks: 0
; NumSGPRsForWavesPerEU: 4
; NumVGPRsForWavesPerEU: 1
; Occupancy: 10
; WaveLimiterHint : 0
; COMPUTE_PGM_RSRC2:SCRATCH_EN: 0
; COMPUTE_PGM_RSRC2:USER_SGPR: 6
; COMPUTE_PGM_RSRC2:TRAP_HANDLER: 0
; COMPUTE_PGM_RSRC2:TGID_X_EN: 1
; COMPUTE_PGM_RSRC2:TGID_Y_EN: 0
; COMPUTE_PGM_RSRC2:TGID_Z_EN: 0
; COMPUTE_PGM_RSRC2:TIDIG_COMP_CNT: 0
	.section	.text._ZN7rocprim17ROCPRIM_400000_NS6detail17trampoline_kernelINS0_14default_configENS1_35radix_sort_onesweep_config_selectorIslEEZZNS1_29radix_sort_onesweep_iterationIS3_Lb0EPsS7_N6thrust23THRUST_200600_302600_NS10device_ptrIlEESB_jNS0_19identity_decomposerENS1_16block_id_wrapperIjLb0EEEEE10hipError_tT1_PNSt15iterator_traitsISG_E10value_typeET2_T3_PNSH_ISM_E10value_typeET4_T5_PSR_SS_PNS1_23onesweep_lookback_stateEbbT6_jjT7_P12ihipStream_tbENKUlT_T0_SG_SL_E_clIS7_S7_SB_SB_EEDaSZ_S10_SG_SL_EUlSZ_E_NS1_11comp_targetILNS1_3genE6ELNS1_11target_archE950ELNS1_3gpuE13ELNS1_3repE0EEENS1_47radix_sort_onesweep_sort_config_static_selectorELNS0_4arch9wavefront6targetE1EEEvSG_,"axG",@progbits,_ZN7rocprim17ROCPRIM_400000_NS6detail17trampoline_kernelINS0_14default_configENS1_35radix_sort_onesweep_config_selectorIslEEZZNS1_29radix_sort_onesweep_iterationIS3_Lb0EPsS7_N6thrust23THRUST_200600_302600_NS10device_ptrIlEESB_jNS0_19identity_decomposerENS1_16block_id_wrapperIjLb0EEEEE10hipError_tT1_PNSt15iterator_traitsISG_E10value_typeET2_T3_PNSH_ISM_E10value_typeET4_T5_PSR_SS_PNS1_23onesweep_lookback_stateEbbT6_jjT7_P12ihipStream_tbENKUlT_T0_SG_SL_E_clIS7_S7_SB_SB_EEDaSZ_S10_SG_SL_EUlSZ_E_NS1_11comp_targetILNS1_3genE6ELNS1_11target_archE950ELNS1_3gpuE13ELNS1_3repE0EEENS1_47radix_sort_onesweep_sort_config_static_selectorELNS0_4arch9wavefront6targetE1EEEvSG_,comdat
	.protected	_ZN7rocprim17ROCPRIM_400000_NS6detail17trampoline_kernelINS0_14default_configENS1_35radix_sort_onesweep_config_selectorIslEEZZNS1_29radix_sort_onesweep_iterationIS3_Lb0EPsS7_N6thrust23THRUST_200600_302600_NS10device_ptrIlEESB_jNS0_19identity_decomposerENS1_16block_id_wrapperIjLb0EEEEE10hipError_tT1_PNSt15iterator_traitsISG_E10value_typeET2_T3_PNSH_ISM_E10value_typeET4_T5_PSR_SS_PNS1_23onesweep_lookback_stateEbbT6_jjT7_P12ihipStream_tbENKUlT_T0_SG_SL_E_clIS7_S7_SB_SB_EEDaSZ_S10_SG_SL_EUlSZ_E_NS1_11comp_targetILNS1_3genE6ELNS1_11target_archE950ELNS1_3gpuE13ELNS1_3repE0EEENS1_47radix_sort_onesweep_sort_config_static_selectorELNS0_4arch9wavefront6targetE1EEEvSG_ ; -- Begin function _ZN7rocprim17ROCPRIM_400000_NS6detail17trampoline_kernelINS0_14default_configENS1_35radix_sort_onesweep_config_selectorIslEEZZNS1_29radix_sort_onesweep_iterationIS3_Lb0EPsS7_N6thrust23THRUST_200600_302600_NS10device_ptrIlEESB_jNS0_19identity_decomposerENS1_16block_id_wrapperIjLb0EEEEE10hipError_tT1_PNSt15iterator_traitsISG_E10value_typeET2_T3_PNSH_ISM_E10value_typeET4_T5_PSR_SS_PNS1_23onesweep_lookback_stateEbbT6_jjT7_P12ihipStream_tbENKUlT_T0_SG_SL_E_clIS7_S7_SB_SB_EEDaSZ_S10_SG_SL_EUlSZ_E_NS1_11comp_targetILNS1_3genE6ELNS1_11target_archE950ELNS1_3gpuE13ELNS1_3repE0EEENS1_47radix_sort_onesweep_sort_config_static_selectorELNS0_4arch9wavefront6targetE1EEEvSG_
	.globl	_ZN7rocprim17ROCPRIM_400000_NS6detail17trampoline_kernelINS0_14default_configENS1_35radix_sort_onesweep_config_selectorIslEEZZNS1_29radix_sort_onesweep_iterationIS3_Lb0EPsS7_N6thrust23THRUST_200600_302600_NS10device_ptrIlEESB_jNS0_19identity_decomposerENS1_16block_id_wrapperIjLb0EEEEE10hipError_tT1_PNSt15iterator_traitsISG_E10value_typeET2_T3_PNSH_ISM_E10value_typeET4_T5_PSR_SS_PNS1_23onesweep_lookback_stateEbbT6_jjT7_P12ihipStream_tbENKUlT_T0_SG_SL_E_clIS7_S7_SB_SB_EEDaSZ_S10_SG_SL_EUlSZ_E_NS1_11comp_targetILNS1_3genE6ELNS1_11target_archE950ELNS1_3gpuE13ELNS1_3repE0EEENS1_47radix_sort_onesweep_sort_config_static_selectorELNS0_4arch9wavefront6targetE1EEEvSG_
	.p2align	8
	.type	_ZN7rocprim17ROCPRIM_400000_NS6detail17trampoline_kernelINS0_14default_configENS1_35radix_sort_onesweep_config_selectorIslEEZZNS1_29radix_sort_onesweep_iterationIS3_Lb0EPsS7_N6thrust23THRUST_200600_302600_NS10device_ptrIlEESB_jNS0_19identity_decomposerENS1_16block_id_wrapperIjLb0EEEEE10hipError_tT1_PNSt15iterator_traitsISG_E10value_typeET2_T3_PNSH_ISM_E10value_typeET4_T5_PSR_SS_PNS1_23onesweep_lookback_stateEbbT6_jjT7_P12ihipStream_tbENKUlT_T0_SG_SL_E_clIS7_S7_SB_SB_EEDaSZ_S10_SG_SL_EUlSZ_E_NS1_11comp_targetILNS1_3genE6ELNS1_11target_archE950ELNS1_3gpuE13ELNS1_3repE0EEENS1_47radix_sort_onesweep_sort_config_static_selectorELNS0_4arch9wavefront6targetE1EEEvSG_,@function
_ZN7rocprim17ROCPRIM_400000_NS6detail17trampoline_kernelINS0_14default_configENS1_35radix_sort_onesweep_config_selectorIslEEZZNS1_29radix_sort_onesweep_iterationIS3_Lb0EPsS7_N6thrust23THRUST_200600_302600_NS10device_ptrIlEESB_jNS0_19identity_decomposerENS1_16block_id_wrapperIjLb0EEEEE10hipError_tT1_PNSt15iterator_traitsISG_E10value_typeET2_T3_PNSH_ISM_E10value_typeET4_T5_PSR_SS_PNS1_23onesweep_lookback_stateEbbT6_jjT7_P12ihipStream_tbENKUlT_T0_SG_SL_E_clIS7_S7_SB_SB_EEDaSZ_S10_SG_SL_EUlSZ_E_NS1_11comp_targetILNS1_3genE6ELNS1_11target_archE950ELNS1_3gpuE13ELNS1_3repE0EEENS1_47radix_sort_onesweep_sort_config_static_selectorELNS0_4arch9wavefront6targetE1EEEvSG_: ; @_ZN7rocprim17ROCPRIM_400000_NS6detail17trampoline_kernelINS0_14default_configENS1_35radix_sort_onesweep_config_selectorIslEEZZNS1_29radix_sort_onesweep_iterationIS3_Lb0EPsS7_N6thrust23THRUST_200600_302600_NS10device_ptrIlEESB_jNS0_19identity_decomposerENS1_16block_id_wrapperIjLb0EEEEE10hipError_tT1_PNSt15iterator_traitsISG_E10value_typeET2_T3_PNSH_ISM_E10value_typeET4_T5_PSR_SS_PNS1_23onesweep_lookback_stateEbbT6_jjT7_P12ihipStream_tbENKUlT_T0_SG_SL_E_clIS7_S7_SB_SB_EEDaSZ_S10_SG_SL_EUlSZ_E_NS1_11comp_targetILNS1_3genE6ELNS1_11target_archE950ELNS1_3gpuE13ELNS1_3repE0EEENS1_47radix_sort_onesweep_sort_config_static_selectorELNS0_4arch9wavefront6targetE1EEEvSG_
; %bb.0:
	.section	.rodata,"a",@progbits
	.p2align	6, 0x0
	.amdhsa_kernel _ZN7rocprim17ROCPRIM_400000_NS6detail17trampoline_kernelINS0_14default_configENS1_35radix_sort_onesweep_config_selectorIslEEZZNS1_29radix_sort_onesweep_iterationIS3_Lb0EPsS7_N6thrust23THRUST_200600_302600_NS10device_ptrIlEESB_jNS0_19identity_decomposerENS1_16block_id_wrapperIjLb0EEEEE10hipError_tT1_PNSt15iterator_traitsISG_E10value_typeET2_T3_PNSH_ISM_E10value_typeET4_T5_PSR_SS_PNS1_23onesweep_lookback_stateEbbT6_jjT7_P12ihipStream_tbENKUlT_T0_SG_SL_E_clIS7_S7_SB_SB_EEDaSZ_S10_SG_SL_EUlSZ_E_NS1_11comp_targetILNS1_3genE6ELNS1_11target_archE950ELNS1_3gpuE13ELNS1_3repE0EEENS1_47radix_sort_onesweep_sort_config_static_selectorELNS0_4arch9wavefront6targetE1EEEvSG_
		.amdhsa_group_segment_fixed_size 0
		.amdhsa_private_segment_fixed_size 0
		.amdhsa_kernarg_size 88
		.amdhsa_user_sgpr_count 6
		.amdhsa_user_sgpr_private_segment_buffer 1
		.amdhsa_user_sgpr_dispatch_ptr 0
		.amdhsa_user_sgpr_queue_ptr 0
		.amdhsa_user_sgpr_kernarg_segment_ptr 1
		.amdhsa_user_sgpr_dispatch_id 0
		.amdhsa_user_sgpr_flat_scratch_init 0
		.amdhsa_user_sgpr_private_segment_size 0
		.amdhsa_uses_dynamic_stack 0
		.amdhsa_system_sgpr_private_segment_wavefront_offset 0
		.amdhsa_system_sgpr_workgroup_id_x 1
		.amdhsa_system_sgpr_workgroup_id_y 0
		.amdhsa_system_sgpr_workgroup_id_z 0
		.amdhsa_system_sgpr_workgroup_info 0
		.amdhsa_system_vgpr_workitem_id 0
		.amdhsa_next_free_vgpr 1
		.amdhsa_next_free_sgpr 0
		.amdhsa_reserve_vcc 0
		.amdhsa_reserve_flat_scratch 0
		.amdhsa_float_round_mode_32 0
		.amdhsa_float_round_mode_16_64 0
		.amdhsa_float_denorm_mode_32 3
		.amdhsa_float_denorm_mode_16_64 3
		.amdhsa_dx10_clamp 1
		.amdhsa_ieee_mode 1
		.amdhsa_fp16_overflow 0
		.amdhsa_exception_fp_ieee_invalid_op 0
		.amdhsa_exception_fp_denorm_src 0
		.amdhsa_exception_fp_ieee_div_zero 0
		.amdhsa_exception_fp_ieee_overflow 0
		.amdhsa_exception_fp_ieee_underflow 0
		.amdhsa_exception_fp_ieee_inexact 0
		.amdhsa_exception_int_div_zero 0
	.end_amdhsa_kernel
	.section	.text._ZN7rocprim17ROCPRIM_400000_NS6detail17trampoline_kernelINS0_14default_configENS1_35radix_sort_onesweep_config_selectorIslEEZZNS1_29radix_sort_onesweep_iterationIS3_Lb0EPsS7_N6thrust23THRUST_200600_302600_NS10device_ptrIlEESB_jNS0_19identity_decomposerENS1_16block_id_wrapperIjLb0EEEEE10hipError_tT1_PNSt15iterator_traitsISG_E10value_typeET2_T3_PNSH_ISM_E10value_typeET4_T5_PSR_SS_PNS1_23onesweep_lookback_stateEbbT6_jjT7_P12ihipStream_tbENKUlT_T0_SG_SL_E_clIS7_S7_SB_SB_EEDaSZ_S10_SG_SL_EUlSZ_E_NS1_11comp_targetILNS1_3genE6ELNS1_11target_archE950ELNS1_3gpuE13ELNS1_3repE0EEENS1_47radix_sort_onesweep_sort_config_static_selectorELNS0_4arch9wavefront6targetE1EEEvSG_,"axG",@progbits,_ZN7rocprim17ROCPRIM_400000_NS6detail17trampoline_kernelINS0_14default_configENS1_35radix_sort_onesweep_config_selectorIslEEZZNS1_29radix_sort_onesweep_iterationIS3_Lb0EPsS7_N6thrust23THRUST_200600_302600_NS10device_ptrIlEESB_jNS0_19identity_decomposerENS1_16block_id_wrapperIjLb0EEEEE10hipError_tT1_PNSt15iterator_traitsISG_E10value_typeET2_T3_PNSH_ISM_E10value_typeET4_T5_PSR_SS_PNS1_23onesweep_lookback_stateEbbT6_jjT7_P12ihipStream_tbENKUlT_T0_SG_SL_E_clIS7_S7_SB_SB_EEDaSZ_S10_SG_SL_EUlSZ_E_NS1_11comp_targetILNS1_3genE6ELNS1_11target_archE950ELNS1_3gpuE13ELNS1_3repE0EEENS1_47radix_sort_onesweep_sort_config_static_selectorELNS0_4arch9wavefront6targetE1EEEvSG_,comdat
.Lfunc_end1426:
	.size	_ZN7rocprim17ROCPRIM_400000_NS6detail17trampoline_kernelINS0_14default_configENS1_35radix_sort_onesweep_config_selectorIslEEZZNS1_29radix_sort_onesweep_iterationIS3_Lb0EPsS7_N6thrust23THRUST_200600_302600_NS10device_ptrIlEESB_jNS0_19identity_decomposerENS1_16block_id_wrapperIjLb0EEEEE10hipError_tT1_PNSt15iterator_traitsISG_E10value_typeET2_T3_PNSH_ISM_E10value_typeET4_T5_PSR_SS_PNS1_23onesweep_lookback_stateEbbT6_jjT7_P12ihipStream_tbENKUlT_T0_SG_SL_E_clIS7_S7_SB_SB_EEDaSZ_S10_SG_SL_EUlSZ_E_NS1_11comp_targetILNS1_3genE6ELNS1_11target_archE950ELNS1_3gpuE13ELNS1_3repE0EEENS1_47radix_sort_onesweep_sort_config_static_selectorELNS0_4arch9wavefront6targetE1EEEvSG_, .Lfunc_end1426-_ZN7rocprim17ROCPRIM_400000_NS6detail17trampoline_kernelINS0_14default_configENS1_35radix_sort_onesweep_config_selectorIslEEZZNS1_29radix_sort_onesweep_iterationIS3_Lb0EPsS7_N6thrust23THRUST_200600_302600_NS10device_ptrIlEESB_jNS0_19identity_decomposerENS1_16block_id_wrapperIjLb0EEEEE10hipError_tT1_PNSt15iterator_traitsISG_E10value_typeET2_T3_PNSH_ISM_E10value_typeET4_T5_PSR_SS_PNS1_23onesweep_lookback_stateEbbT6_jjT7_P12ihipStream_tbENKUlT_T0_SG_SL_E_clIS7_S7_SB_SB_EEDaSZ_S10_SG_SL_EUlSZ_E_NS1_11comp_targetILNS1_3genE6ELNS1_11target_archE950ELNS1_3gpuE13ELNS1_3repE0EEENS1_47radix_sort_onesweep_sort_config_static_selectorELNS0_4arch9wavefront6targetE1EEEvSG_
                                        ; -- End function
	.set _ZN7rocprim17ROCPRIM_400000_NS6detail17trampoline_kernelINS0_14default_configENS1_35radix_sort_onesweep_config_selectorIslEEZZNS1_29radix_sort_onesweep_iterationIS3_Lb0EPsS7_N6thrust23THRUST_200600_302600_NS10device_ptrIlEESB_jNS0_19identity_decomposerENS1_16block_id_wrapperIjLb0EEEEE10hipError_tT1_PNSt15iterator_traitsISG_E10value_typeET2_T3_PNSH_ISM_E10value_typeET4_T5_PSR_SS_PNS1_23onesweep_lookback_stateEbbT6_jjT7_P12ihipStream_tbENKUlT_T0_SG_SL_E_clIS7_S7_SB_SB_EEDaSZ_S10_SG_SL_EUlSZ_E_NS1_11comp_targetILNS1_3genE6ELNS1_11target_archE950ELNS1_3gpuE13ELNS1_3repE0EEENS1_47radix_sort_onesweep_sort_config_static_selectorELNS0_4arch9wavefront6targetE1EEEvSG_.num_vgpr, 0
	.set _ZN7rocprim17ROCPRIM_400000_NS6detail17trampoline_kernelINS0_14default_configENS1_35radix_sort_onesweep_config_selectorIslEEZZNS1_29radix_sort_onesweep_iterationIS3_Lb0EPsS7_N6thrust23THRUST_200600_302600_NS10device_ptrIlEESB_jNS0_19identity_decomposerENS1_16block_id_wrapperIjLb0EEEEE10hipError_tT1_PNSt15iterator_traitsISG_E10value_typeET2_T3_PNSH_ISM_E10value_typeET4_T5_PSR_SS_PNS1_23onesweep_lookback_stateEbbT6_jjT7_P12ihipStream_tbENKUlT_T0_SG_SL_E_clIS7_S7_SB_SB_EEDaSZ_S10_SG_SL_EUlSZ_E_NS1_11comp_targetILNS1_3genE6ELNS1_11target_archE950ELNS1_3gpuE13ELNS1_3repE0EEENS1_47radix_sort_onesweep_sort_config_static_selectorELNS0_4arch9wavefront6targetE1EEEvSG_.num_agpr, 0
	.set _ZN7rocprim17ROCPRIM_400000_NS6detail17trampoline_kernelINS0_14default_configENS1_35radix_sort_onesweep_config_selectorIslEEZZNS1_29radix_sort_onesweep_iterationIS3_Lb0EPsS7_N6thrust23THRUST_200600_302600_NS10device_ptrIlEESB_jNS0_19identity_decomposerENS1_16block_id_wrapperIjLb0EEEEE10hipError_tT1_PNSt15iterator_traitsISG_E10value_typeET2_T3_PNSH_ISM_E10value_typeET4_T5_PSR_SS_PNS1_23onesweep_lookback_stateEbbT6_jjT7_P12ihipStream_tbENKUlT_T0_SG_SL_E_clIS7_S7_SB_SB_EEDaSZ_S10_SG_SL_EUlSZ_E_NS1_11comp_targetILNS1_3genE6ELNS1_11target_archE950ELNS1_3gpuE13ELNS1_3repE0EEENS1_47radix_sort_onesweep_sort_config_static_selectorELNS0_4arch9wavefront6targetE1EEEvSG_.numbered_sgpr, 0
	.set _ZN7rocprim17ROCPRIM_400000_NS6detail17trampoline_kernelINS0_14default_configENS1_35radix_sort_onesweep_config_selectorIslEEZZNS1_29radix_sort_onesweep_iterationIS3_Lb0EPsS7_N6thrust23THRUST_200600_302600_NS10device_ptrIlEESB_jNS0_19identity_decomposerENS1_16block_id_wrapperIjLb0EEEEE10hipError_tT1_PNSt15iterator_traitsISG_E10value_typeET2_T3_PNSH_ISM_E10value_typeET4_T5_PSR_SS_PNS1_23onesweep_lookback_stateEbbT6_jjT7_P12ihipStream_tbENKUlT_T0_SG_SL_E_clIS7_S7_SB_SB_EEDaSZ_S10_SG_SL_EUlSZ_E_NS1_11comp_targetILNS1_3genE6ELNS1_11target_archE950ELNS1_3gpuE13ELNS1_3repE0EEENS1_47radix_sort_onesweep_sort_config_static_selectorELNS0_4arch9wavefront6targetE1EEEvSG_.num_named_barrier, 0
	.set _ZN7rocprim17ROCPRIM_400000_NS6detail17trampoline_kernelINS0_14default_configENS1_35radix_sort_onesweep_config_selectorIslEEZZNS1_29radix_sort_onesweep_iterationIS3_Lb0EPsS7_N6thrust23THRUST_200600_302600_NS10device_ptrIlEESB_jNS0_19identity_decomposerENS1_16block_id_wrapperIjLb0EEEEE10hipError_tT1_PNSt15iterator_traitsISG_E10value_typeET2_T3_PNSH_ISM_E10value_typeET4_T5_PSR_SS_PNS1_23onesweep_lookback_stateEbbT6_jjT7_P12ihipStream_tbENKUlT_T0_SG_SL_E_clIS7_S7_SB_SB_EEDaSZ_S10_SG_SL_EUlSZ_E_NS1_11comp_targetILNS1_3genE6ELNS1_11target_archE950ELNS1_3gpuE13ELNS1_3repE0EEENS1_47radix_sort_onesweep_sort_config_static_selectorELNS0_4arch9wavefront6targetE1EEEvSG_.private_seg_size, 0
	.set _ZN7rocprim17ROCPRIM_400000_NS6detail17trampoline_kernelINS0_14default_configENS1_35radix_sort_onesweep_config_selectorIslEEZZNS1_29radix_sort_onesweep_iterationIS3_Lb0EPsS7_N6thrust23THRUST_200600_302600_NS10device_ptrIlEESB_jNS0_19identity_decomposerENS1_16block_id_wrapperIjLb0EEEEE10hipError_tT1_PNSt15iterator_traitsISG_E10value_typeET2_T3_PNSH_ISM_E10value_typeET4_T5_PSR_SS_PNS1_23onesweep_lookback_stateEbbT6_jjT7_P12ihipStream_tbENKUlT_T0_SG_SL_E_clIS7_S7_SB_SB_EEDaSZ_S10_SG_SL_EUlSZ_E_NS1_11comp_targetILNS1_3genE6ELNS1_11target_archE950ELNS1_3gpuE13ELNS1_3repE0EEENS1_47radix_sort_onesweep_sort_config_static_selectorELNS0_4arch9wavefront6targetE1EEEvSG_.uses_vcc, 0
	.set _ZN7rocprim17ROCPRIM_400000_NS6detail17trampoline_kernelINS0_14default_configENS1_35radix_sort_onesweep_config_selectorIslEEZZNS1_29radix_sort_onesweep_iterationIS3_Lb0EPsS7_N6thrust23THRUST_200600_302600_NS10device_ptrIlEESB_jNS0_19identity_decomposerENS1_16block_id_wrapperIjLb0EEEEE10hipError_tT1_PNSt15iterator_traitsISG_E10value_typeET2_T3_PNSH_ISM_E10value_typeET4_T5_PSR_SS_PNS1_23onesweep_lookback_stateEbbT6_jjT7_P12ihipStream_tbENKUlT_T0_SG_SL_E_clIS7_S7_SB_SB_EEDaSZ_S10_SG_SL_EUlSZ_E_NS1_11comp_targetILNS1_3genE6ELNS1_11target_archE950ELNS1_3gpuE13ELNS1_3repE0EEENS1_47radix_sort_onesweep_sort_config_static_selectorELNS0_4arch9wavefront6targetE1EEEvSG_.uses_flat_scratch, 0
	.set _ZN7rocprim17ROCPRIM_400000_NS6detail17trampoline_kernelINS0_14default_configENS1_35radix_sort_onesweep_config_selectorIslEEZZNS1_29radix_sort_onesweep_iterationIS3_Lb0EPsS7_N6thrust23THRUST_200600_302600_NS10device_ptrIlEESB_jNS0_19identity_decomposerENS1_16block_id_wrapperIjLb0EEEEE10hipError_tT1_PNSt15iterator_traitsISG_E10value_typeET2_T3_PNSH_ISM_E10value_typeET4_T5_PSR_SS_PNS1_23onesweep_lookback_stateEbbT6_jjT7_P12ihipStream_tbENKUlT_T0_SG_SL_E_clIS7_S7_SB_SB_EEDaSZ_S10_SG_SL_EUlSZ_E_NS1_11comp_targetILNS1_3genE6ELNS1_11target_archE950ELNS1_3gpuE13ELNS1_3repE0EEENS1_47radix_sort_onesweep_sort_config_static_selectorELNS0_4arch9wavefront6targetE1EEEvSG_.has_dyn_sized_stack, 0
	.set _ZN7rocprim17ROCPRIM_400000_NS6detail17trampoline_kernelINS0_14default_configENS1_35radix_sort_onesweep_config_selectorIslEEZZNS1_29radix_sort_onesweep_iterationIS3_Lb0EPsS7_N6thrust23THRUST_200600_302600_NS10device_ptrIlEESB_jNS0_19identity_decomposerENS1_16block_id_wrapperIjLb0EEEEE10hipError_tT1_PNSt15iterator_traitsISG_E10value_typeET2_T3_PNSH_ISM_E10value_typeET4_T5_PSR_SS_PNS1_23onesweep_lookback_stateEbbT6_jjT7_P12ihipStream_tbENKUlT_T0_SG_SL_E_clIS7_S7_SB_SB_EEDaSZ_S10_SG_SL_EUlSZ_E_NS1_11comp_targetILNS1_3genE6ELNS1_11target_archE950ELNS1_3gpuE13ELNS1_3repE0EEENS1_47radix_sort_onesweep_sort_config_static_selectorELNS0_4arch9wavefront6targetE1EEEvSG_.has_recursion, 0
	.set _ZN7rocprim17ROCPRIM_400000_NS6detail17trampoline_kernelINS0_14default_configENS1_35radix_sort_onesweep_config_selectorIslEEZZNS1_29radix_sort_onesweep_iterationIS3_Lb0EPsS7_N6thrust23THRUST_200600_302600_NS10device_ptrIlEESB_jNS0_19identity_decomposerENS1_16block_id_wrapperIjLb0EEEEE10hipError_tT1_PNSt15iterator_traitsISG_E10value_typeET2_T3_PNSH_ISM_E10value_typeET4_T5_PSR_SS_PNS1_23onesweep_lookback_stateEbbT6_jjT7_P12ihipStream_tbENKUlT_T0_SG_SL_E_clIS7_S7_SB_SB_EEDaSZ_S10_SG_SL_EUlSZ_E_NS1_11comp_targetILNS1_3genE6ELNS1_11target_archE950ELNS1_3gpuE13ELNS1_3repE0EEENS1_47radix_sort_onesweep_sort_config_static_selectorELNS0_4arch9wavefront6targetE1EEEvSG_.has_indirect_call, 0
	.section	.AMDGPU.csdata,"",@progbits
; Kernel info:
; codeLenInByte = 0
; TotalNumSgprs: 4
; NumVgprs: 0
; ScratchSize: 0
; MemoryBound: 0
; FloatMode: 240
; IeeeMode: 1
; LDSByteSize: 0 bytes/workgroup (compile time only)
; SGPRBlocks: 0
; VGPRBlocks: 0
; NumSGPRsForWavesPerEU: 4
; NumVGPRsForWavesPerEU: 1
; Occupancy: 10
; WaveLimiterHint : 0
; COMPUTE_PGM_RSRC2:SCRATCH_EN: 0
; COMPUTE_PGM_RSRC2:USER_SGPR: 6
; COMPUTE_PGM_RSRC2:TRAP_HANDLER: 0
; COMPUTE_PGM_RSRC2:TGID_X_EN: 1
; COMPUTE_PGM_RSRC2:TGID_Y_EN: 0
; COMPUTE_PGM_RSRC2:TGID_Z_EN: 0
; COMPUTE_PGM_RSRC2:TIDIG_COMP_CNT: 0
	.section	.text._ZN7rocprim17ROCPRIM_400000_NS6detail17trampoline_kernelINS0_14default_configENS1_35radix_sort_onesweep_config_selectorIslEEZZNS1_29radix_sort_onesweep_iterationIS3_Lb0EPsS7_N6thrust23THRUST_200600_302600_NS10device_ptrIlEESB_jNS0_19identity_decomposerENS1_16block_id_wrapperIjLb0EEEEE10hipError_tT1_PNSt15iterator_traitsISG_E10value_typeET2_T3_PNSH_ISM_E10value_typeET4_T5_PSR_SS_PNS1_23onesweep_lookback_stateEbbT6_jjT7_P12ihipStream_tbENKUlT_T0_SG_SL_E_clIS7_S7_SB_SB_EEDaSZ_S10_SG_SL_EUlSZ_E_NS1_11comp_targetILNS1_3genE5ELNS1_11target_archE942ELNS1_3gpuE9ELNS1_3repE0EEENS1_47radix_sort_onesweep_sort_config_static_selectorELNS0_4arch9wavefront6targetE1EEEvSG_,"axG",@progbits,_ZN7rocprim17ROCPRIM_400000_NS6detail17trampoline_kernelINS0_14default_configENS1_35radix_sort_onesweep_config_selectorIslEEZZNS1_29radix_sort_onesweep_iterationIS3_Lb0EPsS7_N6thrust23THRUST_200600_302600_NS10device_ptrIlEESB_jNS0_19identity_decomposerENS1_16block_id_wrapperIjLb0EEEEE10hipError_tT1_PNSt15iterator_traitsISG_E10value_typeET2_T3_PNSH_ISM_E10value_typeET4_T5_PSR_SS_PNS1_23onesweep_lookback_stateEbbT6_jjT7_P12ihipStream_tbENKUlT_T0_SG_SL_E_clIS7_S7_SB_SB_EEDaSZ_S10_SG_SL_EUlSZ_E_NS1_11comp_targetILNS1_3genE5ELNS1_11target_archE942ELNS1_3gpuE9ELNS1_3repE0EEENS1_47radix_sort_onesweep_sort_config_static_selectorELNS0_4arch9wavefront6targetE1EEEvSG_,comdat
	.protected	_ZN7rocprim17ROCPRIM_400000_NS6detail17trampoline_kernelINS0_14default_configENS1_35radix_sort_onesweep_config_selectorIslEEZZNS1_29radix_sort_onesweep_iterationIS3_Lb0EPsS7_N6thrust23THRUST_200600_302600_NS10device_ptrIlEESB_jNS0_19identity_decomposerENS1_16block_id_wrapperIjLb0EEEEE10hipError_tT1_PNSt15iterator_traitsISG_E10value_typeET2_T3_PNSH_ISM_E10value_typeET4_T5_PSR_SS_PNS1_23onesweep_lookback_stateEbbT6_jjT7_P12ihipStream_tbENKUlT_T0_SG_SL_E_clIS7_S7_SB_SB_EEDaSZ_S10_SG_SL_EUlSZ_E_NS1_11comp_targetILNS1_3genE5ELNS1_11target_archE942ELNS1_3gpuE9ELNS1_3repE0EEENS1_47radix_sort_onesweep_sort_config_static_selectorELNS0_4arch9wavefront6targetE1EEEvSG_ ; -- Begin function _ZN7rocprim17ROCPRIM_400000_NS6detail17trampoline_kernelINS0_14default_configENS1_35radix_sort_onesweep_config_selectorIslEEZZNS1_29radix_sort_onesweep_iterationIS3_Lb0EPsS7_N6thrust23THRUST_200600_302600_NS10device_ptrIlEESB_jNS0_19identity_decomposerENS1_16block_id_wrapperIjLb0EEEEE10hipError_tT1_PNSt15iterator_traitsISG_E10value_typeET2_T3_PNSH_ISM_E10value_typeET4_T5_PSR_SS_PNS1_23onesweep_lookback_stateEbbT6_jjT7_P12ihipStream_tbENKUlT_T0_SG_SL_E_clIS7_S7_SB_SB_EEDaSZ_S10_SG_SL_EUlSZ_E_NS1_11comp_targetILNS1_3genE5ELNS1_11target_archE942ELNS1_3gpuE9ELNS1_3repE0EEENS1_47radix_sort_onesweep_sort_config_static_selectorELNS0_4arch9wavefront6targetE1EEEvSG_
	.globl	_ZN7rocprim17ROCPRIM_400000_NS6detail17trampoline_kernelINS0_14default_configENS1_35radix_sort_onesweep_config_selectorIslEEZZNS1_29radix_sort_onesweep_iterationIS3_Lb0EPsS7_N6thrust23THRUST_200600_302600_NS10device_ptrIlEESB_jNS0_19identity_decomposerENS1_16block_id_wrapperIjLb0EEEEE10hipError_tT1_PNSt15iterator_traitsISG_E10value_typeET2_T3_PNSH_ISM_E10value_typeET4_T5_PSR_SS_PNS1_23onesweep_lookback_stateEbbT6_jjT7_P12ihipStream_tbENKUlT_T0_SG_SL_E_clIS7_S7_SB_SB_EEDaSZ_S10_SG_SL_EUlSZ_E_NS1_11comp_targetILNS1_3genE5ELNS1_11target_archE942ELNS1_3gpuE9ELNS1_3repE0EEENS1_47radix_sort_onesweep_sort_config_static_selectorELNS0_4arch9wavefront6targetE1EEEvSG_
	.p2align	8
	.type	_ZN7rocprim17ROCPRIM_400000_NS6detail17trampoline_kernelINS0_14default_configENS1_35radix_sort_onesweep_config_selectorIslEEZZNS1_29radix_sort_onesweep_iterationIS3_Lb0EPsS7_N6thrust23THRUST_200600_302600_NS10device_ptrIlEESB_jNS0_19identity_decomposerENS1_16block_id_wrapperIjLb0EEEEE10hipError_tT1_PNSt15iterator_traitsISG_E10value_typeET2_T3_PNSH_ISM_E10value_typeET4_T5_PSR_SS_PNS1_23onesweep_lookback_stateEbbT6_jjT7_P12ihipStream_tbENKUlT_T0_SG_SL_E_clIS7_S7_SB_SB_EEDaSZ_S10_SG_SL_EUlSZ_E_NS1_11comp_targetILNS1_3genE5ELNS1_11target_archE942ELNS1_3gpuE9ELNS1_3repE0EEENS1_47radix_sort_onesweep_sort_config_static_selectorELNS0_4arch9wavefront6targetE1EEEvSG_,@function
_ZN7rocprim17ROCPRIM_400000_NS6detail17trampoline_kernelINS0_14default_configENS1_35radix_sort_onesweep_config_selectorIslEEZZNS1_29radix_sort_onesweep_iterationIS3_Lb0EPsS7_N6thrust23THRUST_200600_302600_NS10device_ptrIlEESB_jNS0_19identity_decomposerENS1_16block_id_wrapperIjLb0EEEEE10hipError_tT1_PNSt15iterator_traitsISG_E10value_typeET2_T3_PNSH_ISM_E10value_typeET4_T5_PSR_SS_PNS1_23onesweep_lookback_stateEbbT6_jjT7_P12ihipStream_tbENKUlT_T0_SG_SL_E_clIS7_S7_SB_SB_EEDaSZ_S10_SG_SL_EUlSZ_E_NS1_11comp_targetILNS1_3genE5ELNS1_11target_archE942ELNS1_3gpuE9ELNS1_3repE0EEENS1_47radix_sort_onesweep_sort_config_static_selectorELNS0_4arch9wavefront6targetE1EEEvSG_: ; @_ZN7rocprim17ROCPRIM_400000_NS6detail17trampoline_kernelINS0_14default_configENS1_35radix_sort_onesweep_config_selectorIslEEZZNS1_29radix_sort_onesweep_iterationIS3_Lb0EPsS7_N6thrust23THRUST_200600_302600_NS10device_ptrIlEESB_jNS0_19identity_decomposerENS1_16block_id_wrapperIjLb0EEEEE10hipError_tT1_PNSt15iterator_traitsISG_E10value_typeET2_T3_PNSH_ISM_E10value_typeET4_T5_PSR_SS_PNS1_23onesweep_lookback_stateEbbT6_jjT7_P12ihipStream_tbENKUlT_T0_SG_SL_E_clIS7_S7_SB_SB_EEDaSZ_S10_SG_SL_EUlSZ_E_NS1_11comp_targetILNS1_3genE5ELNS1_11target_archE942ELNS1_3gpuE9ELNS1_3repE0EEENS1_47radix_sort_onesweep_sort_config_static_selectorELNS0_4arch9wavefront6targetE1EEEvSG_
; %bb.0:
	.section	.rodata,"a",@progbits
	.p2align	6, 0x0
	.amdhsa_kernel _ZN7rocprim17ROCPRIM_400000_NS6detail17trampoline_kernelINS0_14default_configENS1_35radix_sort_onesweep_config_selectorIslEEZZNS1_29radix_sort_onesweep_iterationIS3_Lb0EPsS7_N6thrust23THRUST_200600_302600_NS10device_ptrIlEESB_jNS0_19identity_decomposerENS1_16block_id_wrapperIjLb0EEEEE10hipError_tT1_PNSt15iterator_traitsISG_E10value_typeET2_T3_PNSH_ISM_E10value_typeET4_T5_PSR_SS_PNS1_23onesweep_lookback_stateEbbT6_jjT7_P12ihipStream_tbENKUlT_T0_SG_SL_E_clIS7_S7_SB_SB_EEDaSZ_S10_SG_SL_EUlSZ_E_NS1_11comp_targetILNS1_3genE5ELNS1_11target_archE942ELNS1_3gpuE9ELNS1_3repE0EEENS1_47radix_sort_onesweep_sort_config_static_selectorELNS0_4arch9wavefront6targetE1EEEvSG_
		.amdhsa_group_segment_fixed_size 0
		.amdhsa_private_segment_fixed_size 0
		.amdhsa_kernarg_size 88
		.amdhsa_user_sgpr_count 6
		.amdhsa_user_sgpr_private_segment_buffer 1
		.amdhsa_user_sgpr_dispatch_ptr 0
		.amdhsa_user_sgpr_queue_ptr 0
		.amdhsa_user_sgpr_kernarg_segment_ptr 1
		.amdhsa_user_sgpr_dispatch_id 0
		.amdhsa_user_sgpr_flat_scratch_init 0
		.amdhsa_user_sgpr_private_segment_size 0
		.amdhsa_uses_dynamic_stack 0
		.amdhsa_system_sgpr_private_segment_wavefront_offset 0
		.amdhsa_system_sgpr_workgroup_id_x 1
		.amdhsa_system_sgpr_workgroup_id_y 0
		.amdhsa_system_sgpr_workgroup_id_z 0
		.amdhsa_system_sgpr_workgroup_info 0
		.amdhsa_system_vgpr_workitem_id 0
		.amdhsa_next_free_vgpr 1
		.amdhsa_next_free_sgpr 0
		.amdhsa_reserve_vcc 0
		.amdhsa_reserve_flat_scratch 0
		.amdhsa_float_round_mode_32 0
		.amdhsa_float_round_mode_16_64 0
		.amdhsa_float_denorm_mode_32 3
		.amdhsa_float_denorm_mode_16_64 3
		.amdhsa_dx10_clamp 1
		.amdhsa_ieee_mode 1
		.amdhsa_fp16_overflow 0
		.amdhsa_exception_fp_ieee_invalid_op 0
		.amdhsa_exception_fp_denorm_src 0
		.amdhsa_exception_fp_ieee_div_zero 0
		.amdhsa_exception_fp_ieee_overflow 0
		.amdhsa_exception_fp_ieee_underflow 0
		.amdhsa_exception_fp_ieee_inexact 0
		.amdhsa_exception_int_div_zero 0
	.end_amdhsa_kernel
	.section	.text._ZN7rocprim17ROCPRIM_400000_NS6detail17trampoline_kernelINS0_14default_configENS1_35radix_sort_onesweep_config_selectorIslEEZZNS1_29radix_sort_onesweep_iterationIS3_Lb0EPsS7_N6thrust23THRUST_200600_302600_NS10device_ptrIlEESB_jNS0_19identity_decomposerENS1_16block_id_wrapperIjLb0EEEEE10hipError_tT1_PNSt15iterator_traitsISG_E10value_typeET2_T3_PNSH_ISM_E10value_typeET4_T5_PSR_SS_PNS1_23onesweep_lookback_stateEbbT6_jjT7_P12ihipStream_tbENKUlT_T0_SG_SL_E_clIS7_S7_SB_SB_EEDaSZ_S10_SG_SL_EUlSZ_E_NS1_11comp_targetILNS1_3genE5ELNS1_11target_archE942ELNS1_3gpuE9ELNS1_3repE0EEENS1_47radix_sort_onesweep_sort_config_static_selectorELNS0_4arch9wavefront6targetE1EEEvSG_,"axG",@progbits,_ZN7rocprim17ROCPRIM_400000_NS6detail17trampoline_kernelINS0_14default_configENS1_35radix_sort_onesweep_config_selectorIslEEZZNS1_29radix_sort_onesweep_iterationIS3_Lb0EPsS7_N6thrust23THRUST_200600_302600_NS10device_ptrIlEESB_jNS0_19identity_decomposerENS1_16block_id_wrapperIjLb0EEEEE10hipError_tT1_PNSt15iterator_traitsISG_E10value_typeET2_T3_PNSH_ISM_E10value_typeET4_T5_PSR_SS_PNS1_23onesweep_lookback_stateEbbT6_jjT7_P12ihipStream_tbENKUlT_T0_SG_SL_E_clIS7_S7_SB_SB_EEDaSZ_S10_SG_SL_EUlSZ_E_NS1_11comp_targetILNS1_3genE5ELNS1_11target_archE942ELNS1_3gpuE9ELNS1_3repE0EEENS1_47radix_sort_onesweep_sort_config_static_selectorELNS0_4arch9wavefront6targetE1EEEvSG_,comdat
.Lfunc_end1427:
	.size	_ZN7rocprim17ROCPRIM_400000_NS6detail17trampoline_kernelINS0_14default_configENS1_35radix_sort_onesweep_config_selectorIslEEZZNS1_29radix_sort_onesweep_iterationIS3_Lb0EPsS7_N6thrust23THRUST_200600_302600_NS10device_ptrIlEESB_jNS0_19identity_decomposerENS1_16block_id_wrapperIjLb0EEEEE10hipError_tT1_PNSt15iterator_traitsISG_E10value_typeET2_T3_PNSH_ISM_E10value_typeET4_T5_PSR_SS_PNS1_23onesweep_lookback_stateEbbT6_jjT7_P12ihipStream_tbENKUlT_T0_SG_SL_E_clIS7_S7_SB_SB_EEDaSZ_S10_SG_SL_EUlSZ_E_NS1_11comp_targetILNS1_3genE5ELNS1_11target_archE942ELNS1_3gpuE9ELNS1_3repE0EEENS1_47radix_sort_onesweep_sort_config_static_selectorELNS0_4arch9wavefront6targetE1EEEvSG_, .Lfunc_end1427-_ZN7rocprim17ROCPRIM_400000_NS6detail17trampoline_kernelINS0_14default_configENS1_35radix_sort_onesweep_config_selectorIslEEZZNS1_29radix_sort_onesweep_iterationIS3_Lb0EPsS7_N6thrust23THRUST_200600_302600_NS10device_ptrIlEESB_jNS0_19identity_decomposerENS1_16block_id_wrapperIjLb0EEEEE10hipError_tT1_PNSt15iterator_traitsISG_E10value_typeET2_T3_PNSH_ISM_E10value_typeET4_T5_PSR_SS_PNS1_23onesweep_lookback_stateEbbT6_jjT7_P12ihipStream_tbENKUlT_T0_SG_SL_E_clIS7_S7_SB_SB_EEDaSZ_S10_SG_SL_EUlSZ_E_NS1_11comp_targetILNS1_3genE5ELNS1_11target_archE942ELNS1_3gpuE9ELNS1_3repE0EEENS1_47radix_sort_onesweep_sort_config_static_selectorELNS0_4arch9wavefront6targetE1EEEvSG_
                                        ; -- End function
	.set _ZN7rocprim17ROCPRIM_400000_NS6detail17trampoline_kernelINS0_14default_configENS1_35radix_sort_onesweep_config_selectorIslEEZZNS1_29radix_sort_onesweep_iterationIS3_Lb0EPsS7_N6thrust23THRUST_200600_302600_NS10device_ptrIlEESB_jNS0_19identity_decomposerENS1_16block_id_wrapperIjLb0EEEEE10hipError_tT1_PNSt15iterator_traitsISG_E10value_typeET2_T3_PNSH_ISM_E10value_typeET4_T5_PSR_SS_PNS1_23onesweep_lookback_stateEbbT6_jjT7_P12ihipStream_tbENKUlT_T0_SG_SL_E_clIS7_S7_SB_SB_EEDaSZ_S10_SG_SL_EUlSZ_E_NS1_11comp_targetILNS1_3genE5ELNS1_11target_archE942ELNS1_3gpuE9ELNS1_3repE0EEENS1_47radix_sort_onesweep_sort_config_static_selectorELNS0_4arch9wavefront6targetE1EEEvSG_.num_vgpr, 0
	.set _ZN7rocprim17ROCPRIM_400000_NS6detail17trampoline_kernelINS0_14default_configENS1_35radix_sort_onesweep_config_selectorIslEEZZNS1_29radix_sort_onesweep_iterationIS3_Lb0EPsS7_N6thrust23THRUST_200600_302600_NS10device_ptrIlEESB_jNS0_19identity_decomposerENS1_16block_id_wrapperIjLb0EEEEE10hipError_tT1_PNSt15iterator_traitsISG_E10value_typeET2_T3_PNSH_ISM_E10value_typeET4_T5_PSR_SS_PNS1_23onesweep_lookback_stateEbbT6_jjT7_P12ihipStream_tbENKUlT_T0_SG_SL_E_clIS7_S7_SB_SB_EEDaSZ_S10_SG_SL_EUlSZ_E_NS1_11comp_targetILNS1_3genE5ELNS1_11target_archE942ELNS1_3gpuE9ELNS1_3repE0EEENS1_47radix_sort_onesweep_sort_config_static_selectorELNS0_4arch9wavefront6targetE1EEEvSG_.num_agpr, 0
	.set _ZN7rocprim17ROCPRIM_400000_NS6detail17trampoline_kernelINS0_14default_configENS1_35radix_sort_onesweep_config_selectorIslEEZZNS1_29radix_sort_onesweep_iterationIS3_Lb0EPsS7_N6thrust23THRUST_200600_302600_NS10device_ptrIlEESB_jNS0_19identity_decomposerENS1_16block_id_wrapperIjLb0EEEEE10hipError_tT1_PNSt15iterator_traitsISG_E10value_typeET2_T3_PNSH_ISM_E10value_typeET4_T5_PSR_SS_PNS1_23onesweep_lookback_stateEbbT6_jjT7_P12ihipStream_tbENKUlT_T0_SG_SL_E_clIS7_S7_SB_SB_EEDaSZ_S10_SG_SL_EUlSZ_E_NS1_11comp_targetILNS1_3genE5ELNS1_11target_archE942ELNS1_3gpuE9ELNS1_3repE0EEENS1_47radix_sort_onesweep_sort_config_static_selectorELNS0_4arch9wavefront6targetE1EEEvSG_.numbered_sgpr, 0
	.set _ZN7rocprim17ROCPRIM_400000_NS6detail17trampoline_kernelINS0_14default_configENS1_35radix_sort_onesweep_config_selectorIslEEZZNS1_29radix_sort_onesweep_iterationIS3_Lb0EPsS7_N6thrust23THRUST_200600_302600_NS10device_ptrIlEESB_jNS0_19identity_decomposerENS1_16block_id_wrapperIjLb0EEEEE10hipError_tT1_PNSt15iterator_traitsISG_E10value_typeET2_T3_PNSH_ISM_E10value_typeET4_T5_PSR_SS_PNS1_23onesweep_lookback_stateEbbT6_jjT7_P12ihipStream_tbENKUlT_T0_SG_SL_E_clIS7_S7_SB_SB_EEDaSZ_S10_SG_SL_EUlSZ_E_NS1_11comp_targetILNS1_3genE5ELNS1_11target_archE942ELNS1_3gpuE9ELNS1_3repE0EEENS1_47radix_sort_onesweep_sort_config_static_selectorELNS0_4arch9wavefront6targetE1EEEvSG_.num_named_barrier, 0
	.set _ZN7rocprim17ROCPRIM_400000_NS6detail17trampoline_kernelINS0_14default_configENS1_35radix_sort_onesweep_config_selectorIslEEZZNS1_29radix_sort_onesweep_iterationIS3_Lb0EPsS7_N6thrust23THRUST_200600_302600_NS10device_ptrIlEESB_jNS0_19identity_decomposerENS1_16block_id_wrapperIjLb0EEEEE10hipError_tT1_PNSt15iterator_traitsISG_E10value_typeET2_T3_PNSH_ISM_E10value_typeET4_T5_PSR_SS_PNS1_23onesweep_lookback_stateEbbT6_jjT7_P12ihipStream_tbENKUlT_T0_SG_SL_E_clIS7_S7_SB_SB_EEDaSZ_S10_SG_SL_EUlSZ_E_NS1_11comp_targetILNS1_3genE5ELNS1_11target_archE942ELNS1_3gpuE9ELNS1_3repE0EEENS1_47radix_sort_onesweep_sort_config_static_selectorELNS0_4arch9wavefront6targetE1EEEvSG_.private_seg_size, 0
	.set _ZN7rocprim17ROCPRIM_400000_NS6detail17trampoline_kernelINS0_14default_configENS1_35radix_sort_onesweep_config_selectorIslEEZZNS1_29radix_sort_onesweep_iterationIS3_Lb0EPsS7_N6thrust23THRUST_200600_302600_NS10device_ptrIlEESB_jNS0_19identity_decomposerENS1_16block_id_wrapperIjLb0EEEEE10hipError_tT1_PNSt15iterator_traitsISG_E10value_typeET2_T3_PNSH_ISM_E10value_typeET4_T5_PSR_SS_PNS1_23onesweep_lookback_stateEbbT6_jjT7_P12ihipStream_tbENKUlT_T0_SG_SL_E_clIS7_S7_SB_SB_EEDaSZ_S10_SG_SL_EUlSZ_E_NS1_11comp_targetILNS1_3genE5ELNS1_11target_archE942ELNS1_3gpuE9ELNS1_3repE0EEENS1_47radix_sort_onesweep_sort_config_static_selectorELNS0_4arch9wavefront6targetE1EEEvSG_.uses_vcc, 0
	.set _ZN7rocprim17ROCPRIM_400000_NS6detail17trampoline_kernelINS0_14default_configENS1_35radix_sort_onesweep_config_selectorIslEEZZNS1_29radix_sort_onesweep_iterationIS3_Lb0EPsS7_N6thrust23THRUST_200600_302600_NS10device_ptrIlEESB_jNS0_19identity_decomposerENS1_16block_id_wrapperIjLb0EEEEE10hipError_tT1_PNSt15iterator_traitsISG_E10value_typeET2_T3_PNSH_ISM_E10value_typeET4_T5_PSR_SS_PNS1_23onesweep_lookback_stateEbbT6_jjT7_P12ihipStream_tbENKUlT_T0_SG_SL_E_clIS7_S7_SB_SB_EEDaSZ_S10_SG_SL_EUlSZ_E_NS1_11comp_targetILNS1_3genE5ELNS1_11target_archE942ELNS1_3gpuE9ELNS1_3repE0EEENS1_47radix_sort_onesweep_sort_config_static_selectorELNS0_4arch9wavefront6targetE1EEEvSG_.uses_flat_scratch, 0
	.set _ZN7rocprim17ROCPRIM_400000_NS6detail17trampoline_kernelINS0_14default_configENS1_35radix_sort_onesweep_config_selectorIslEEZZNS1_29radix_sort_onesweep_iterationIS3_Lb0EPsS7_N6thrust23THRUST_200600_302600_NS10device_ptrIlEESB_jNS0_19identity_decomposerENS1_16block_id_wrapperIjLb0EEEEE10hipError_tT1_PNSt15iterator_traitsISG_E10value_typeET2_T3_PNSH_ISM_E10value_typeET4_T5_PSR_SS_PNS1_23onesweep_lookback_stateEbbT6_jjT7_P12ihipStream_tbENKUlT_T0_SG_SL_E_clIS7_S7_SB_SB_EEDaSZ_S10_SG_SL_EUlSZ_E_NS1_11comp_targetILNS1_3genE5ELNS1_11target_archE942ELNS1_3gpuE9ELNS1_3repE0EEENS1_47radix_sort_onesweep_sort_config_static_selectorELNS0_4arch9wavefront6targetE1EEEvSG_.has_dyn_sized_stack, 0
	.set _ZN7rocprim17ROCPRIM_400000_NS6detail17trampoline_kernelINS0_14default_configENS1_35radix_sort_onesweep_config_selectorIslEEZZNS1_29radix_sort_onesweep_iterationIS3_Lb0EPsS7_N6thrust23THRUST_200600_302600_NS10device_ptrIlEESB_jNS0_19identity_decomposerENS1_16block_id_wrapperIjLb0EEEEE10hipError_tT1_PNSt15iterator_traitsISG_E10value_typeET2_T3_PNSH_ISM_E10value_typeET4_T5_PSR_SS_PNS1_23onesweep_lookback_stateEbbT6_jjT7_P12ihipStream_tbENKUlT_T0_SG_SL_E_clIS7_S7_SB_SB_EEDaSZ_S10_SG_SL_EUlSZ_E_NS1_11comp_targetILNS1_3genE5ELNS1_11target_archE942ELNS1_3gpuE9ELNS1_3repE0EEENS1_47radix_sort_onesweep_sort_config_static_selectorELNS0_4arch9wavefront6targetE1EEEvSG_.has_recursion, 0
	.set _ZN7rocprim17ROCPRIM_400000_NS6detail17trampoline_kernelINS0_14default_configENS1_35radix_sort_onesweep_config_selectorIslEEZZNS1_29radix_sort_onesweep_iterationIS3_Lb0EPsS7_N6thrust23THRUST_200600_302600_NS10device_ptrIlEESB_jNS0_19identity_decomposerENS1_16block_id_wrapperIjLb0EEEEE10hipError_tT1_PNSt15iterator_traitsISG_E10value_typeET2_T3_PNSH_ISM_E10value_typeET4_T5_PSR_SS_PNS1_23onesweep_lookback_stateEbbT6_jjT7_P12ihipStream_tbENKUlT_T0_SG_SL_E_clIS7_S7_SB_SB_EEDaSZ_S10_SG_SL_EUlSZ_E_NS1_11comp_targetILNS1_3genE5ELNS1_11target_archE942ELNS1_3gpuE9ELNS1_3repE0EEENS1_47radix_sort_onesweep_sort_config_static_selectorELNS0_4arch9wavefront6targetE1EEEvSG_.has_indirect_call, 0
	.section	.AMDGPU.csdata,"",@progbits
; Kernel info:
; codeLenInByte = 0
; TotalNumSgprs: 4
; NumVgprs: 0
; ScratchSize: 0
; MemoryBound: 0
; FloatMode: 240
; IeeeMode: 1
; LDSByteSize: 0 bytes/workgroup (compile time only)
; SGPRBlocks: 0
; VGPRBlocks: 0
; NumSGPRsForWavesPerEU: 4
; NumVGPRsForWavesPerEU: 1
; Occupancy: 10
; WaveLimiterHint : 0
; COMPUTE_PGM_RSRC2:SCRATCH_EN: 0
; COMPUTE_PGM_RSRC2:USER_SGPR: 6
; COMPUTE_PGM_RSRC2:TRAP_HANDLER: 0
; COMPUTE_PGM_RSRC2:TGID_X_EN: 1
; COMPUTE_PGM_RSRC2:TGID_Y_EN: 0
; COMPUTE_PGM_RSRC2:TGID_Z_EN: 0
; COMPUTE_PGM_RSRC2:TIDIG_COMP_CNT: 0
	.section	.text._ZN7rocprim17ROCPRIM_400000_NS6detail17trampoline_kernelINS0_14default_configENS1_35radix_sort_onesweep_config_selectorIslEEZZNS1_29radix_sort_onesweep_iterationIS3_Lb0EPsS7_N6thrust23THRUST_200600_302600_NS10device_ptrIlEESB_jNS0_19identity_decomposerENS1_16block_id_wrapperIjLb0EEEEE10hipError_tT1_PNSt15iterator_traitsISG_E10value_typeET2_T3_PNSH_ISM_E10value_typeET4_T5_PSR_SS_PNS1_23onesweep_lookback_stateEbbT6_jjT7_P12ihipStream_tbENKUlT_T0_SG_SL_E_clIS7_S7_SB_SB_EEDaSZ_S10_SG_SL_EUlSZ_E_NS1_11comp_targetILNS1_3genE2ELNS1_11target_archE906ELNS1_3gpuE6ELNS1_3repE0EEENS1_47radix_sort_onesweep_sort_config_static_selectorELNS0_4arch9wavefront6targetE1EEEvSG_,"axG",@progbits,_ZN7rocprim17ROCPRIM_400000_NS6detail17trampoline_kernelINS0_14default_configENS1_35radix_sort_onesweep_config_selectorIslEEZZNS1_29radix_sort_onesweep_iterationIS3_Lb0EPsS7_N6thrust23THRUST_200600_302600_NS10device_ptrIlEESB_jNS0_19identity_decomposerENS1_16block_id_wrapperIjLb0EEEEE10hipError_tT1_PNSt15iterator_traitsISG_E10value_typeET2_T3_PNSH_ISM_E10value_typeET4_T5_PSR_SS_PNS1_23onesweep_lookback_stateEbbT6_jjT7_P12ihipStream_tbENKUlT_T0_SG_SL_E_clIS7_S7_SB_SB_EEDaSZ_S10_SG_SL_EUlSZ_E_NS1_11comp_targetILNS1_3genE2ELNS1_11target_archE906ELNS1_3gpuE6ELNS1_3repE0EEENS1_47radix_sort_onesweep_sort_config_static_selectorELNS0_4arch9wavefront6targetE1EEEvSG_,comdat
	.protected	_ZN7rocprim17ROCPRIM_400000_NS6detail17trampoline_kernelINS0_14default_configENS1_35radix_sort_onesweep_config_selectorIslEEZZNS1_29radix_sort_onesweep_iterationIS3_Lb0EPsS7_N6thrust23THRUST_200600_302600_NS10device_ptrIlEESB_jNS0_19identity_decomposerENS1_16block_id_wrapperIjLb0EEEEE10hipError_tT1_PNSt15iterator_traitsISG_E10value_typeET2_T3_PNSH_ISM_E10value_typeET4_T5_PSR_SS_PNS1_23onesweep_lookback_stateEbbT6_jjT7_P12ihipStream_tbENKUlT_T0_SG_SL_E_clIS7_S7_SB_SB_EEDaSZ_S10_SG_SL_EUlSZ_E_NS1_11comp_targetILNS1_3genE2ELNS1_11target_archE906ELNS1_3gpuE6ELNS1_3repE0EEENS1_47radix_sort_onesweep_sort_config_static_selectorELNS0_4arch9wavefront6targetE1EEEvSG_ ; -- Begin function _ZN7rocprim17ROCPRIM_400000_NS6detail17trampoline_kernelINS0_14default_configENS1_35radix_sort_onesweep_config_selectorIslEEZZNS1_29radix_sort_onesweep_iterationIS3_Lb0EPsS7_N6thrust23THRUST_200600_302600_NS10device_ptrIlEESB_jNS0_19identity_decomposerENS1_16block_id_wrapperIjLb0EEEEE10hipError_tT1_PNSt15iterator_traitsISG_E10value_typeET2_T3_PNSH_ISM_E10value_typeET4_T5_PSR_SS_PNS1_23onesweep_lookback_stateEbbT6_jjT7_P12ihipStream_tbENKUlT_T0_SG_SL_E_clIS7_S7_SB_SB_EEDaSZ_S10_SG_SL_EUlSZ_E_NS1_11comp_targetILNS1_3genE2ELNS1_11target_archE906ELNS1_3gpuE6ELNS1_3repE0EEENS1_47radix_sort_onesweep_sort_config_static_selectorELNS0_4arch9wavefront6targetE1EEEvSG_
	.globl	_ZN7rocprim17ROCPRIM_400000_NS6detail17trampoline_kernelINS0_14default_configENS1_35radix_sort_onesweep_config_selectorIslEEZZNS1_29radix_sort_onesweep_iterationIS3_Lb0EPsS7_N6thrust23THRUST_200600_302600_NS10device_ptrIlEESB_jNS0_19identity_decomposerENS1_16block_id_wrapperIjLb0EEEEE10hipError_tT1_PNSt15iterator_traitsISG_E10value_typeET2_T3_PNSH_ISM_E10value_typeET4_T5_PSR_SS_PNS1_23onesweep_lookback_stateEbbT6_jjT7_P12ihipStream_tbENKUlT_T0_SG_SL_E_clIS7_S7_SB_SB_EEDaSZ_S10_SG_SL_EUlSZ_E_NS1_11comp_targetILNS1_3genE2ELNS1_11target_archE906ELNS1_3gpuE6ELNS1_3repE0EEENS1_47radix_sort_onesweep_sort_config_static_selectorELNS0_4arch9wavefront6targetE1EEEvSG_
	.p2align	8
	.type	_ZN7rocprim17ROCPRIM_400000_NS6detail17trampoline_kernelINS0_14default_configENS1_35radix_sort_onesweep_config_selectorIslEEZZNS1_29radix_sort_onesweep_iterationIS3_Lb0EPsS7_N6thrust23THRUST_200600_302600_NS10device_ptrIlEESB_jNS0_19identity_decomposerENS1_16block_id_wrapperIjLb0EEEEE10hipError_tT1_PNSt15iterator_traitsISG_E10value_typeET2_T3_PNSH_ISM_E10value_typeET4_T5_PSR_SS_PNS1_23onesweep_lookback_stateEbbT6_jjT7_P12ihipStream_tbENKUlT_T0_SG_SL_E_clIS7_S7_SB_SB_EEDaSZ_S10_SG_SL_EUlSZ_E_NS1_11comp_targetILNS1_3genE2ELNS1_11target_archE906ELNS1_3gpuE6ELNS1_3repE0EEENS1_47radix_sort_onesweep_sort_config_static_selectorELNS0_4arch9wavefront6targetE1EEEvSG_,@function
_ZN7rocprim17ROCPRIM_400000_NS6detail17trampoline_kernelINS0_14default_configENS1_35radix_sort_onesweep_config_selectorIslEEZZNS1_29radix_sort_onesweep_iterationIS3_Lb0EPsS7_N6thrust23THRUST_200600_302600_NS10device_ptrIlEESB_jNS0_19identity_decomposerENS1_16block_id_wrapperIjLb0EEEEE10hipError_tT1_PNSt15iterator_traitsISG_E10value_typeET2_T3_PNSH_ISM_E10value_typeET4_T5_PSR_SS_PNS1_23onesweep_lookback_stateEbbT6_jjT7_P12ihipStream_tbENKUlT_T0_SG_SL_E_clIS7_S7_SB_SB_EEDaSZ_S10_SG_SL_EUlSZ_E_NS1_11comp_targetILNS1_3genE2ELNS1_11target_archE906ELNS1_3gpuE6ELNS1_3repE0EEENS1_47radix_sort_onesweep_sort_config_static_selectorELNS0_4arch9wavefront6targetE1EEEvSG_: ; @_ZN7rocprim17ROCPRIM_400000_NS6detail17trampoline_kernelINS0_14default_configENS1_35radix_sort_onesweep_config_selectorIslEEZZNS1_29radix_sort_onesweep_iterationIS3_Lb0EPsS7_N6thrust23THRUST_200600_302600_NS10device_ptrIlEESB_jNS0_19identity_decomposerENS1_16block_id_wrapperIjLb0EEEEE10hipError_tT1_PNSt15iterator_traitsISG_E10value_typeET2_T3_PNSH_ISM_E10value_typeET4_T5_PSR_SS_PNS1_23onesweep_lookback_stateEbbT6_jjT7_P12ihipStream_tbENKUlT_T0_SG_SL_E_clIS7_S7_SB_SB_EEDaSZ_S10_SG_SL_EUlSZ_E_NS1_11comp_targetILNS1_3genE2ELNS1_11target_archE906ELNS1_3gpuE6ELNS1_3repE0EEENS1_47radix_sort_onesweep_sort_config_static_selectorELNS0_4arch9wavefront6targetE1EEEvSG_
; %bb.0:
	s_add_u32 s0, s0, s7
	s_load_dwordx4 s[40:43], s[4:5], 0x44
	s_load_dwordx8 s[24:31], s[4:5], 0x0
	s_load_dwordx4 s[36:39], s[4:5], 0x28
	s_load_dwordx2 s[44:45], s[4:5], 0x38
	s_addc_u32 s1, s1, 0
	s_mov_b64 s[8:9], -1
	s_waitcnt lgkmcnt(0)
	s_cmp_ge_u32 s6, s42
	s_mul_i32 s34, s6, 0xc00
	v_mbcnt_lo_u32_b32 v17, -1, 0
	s_cbranch_scc0 .LBB1428_78
; %bb.1:
	s_load_dword s7, s[4:5], 0x20
	s_mul_i32 s10, s42, 0xfffff400
	s_mov_b32 s35, 0
	v_mbcnt_hi_u32_b32 v11, -1, v17
	s_lshl_b64 s[8:9], s[34:35], 1
	s_waitcnt lgkmcnt(0)
	s_add_i32 s7, s7, s10
	s_add_u32 s8, s24, s8
	v_and_b32_e32 v10, 63, v11
	s_addc_u32 s9, s25, s9
	v_and_b32_e32 v12, 0x1c0, v0
	v_lshlrev_b32_e32 v3, 1, v10
	v_mul_u32_u24_e32 v9, 6, v12
	v_mov_b32_e32 v4, s9
	v_add_co_u32_e32 v3, vcc, s8, v3
	v_addc_co_u32_e32 v4, vcc, 0, v4, vcc
	v_lshlrev_b32_e32 v5, 1, v9
	v_add_co_u32_e32 v7, vcc, v3, v5
	v_addc_co_u32_e32 v8, vcc, 0, v4, vcc
	v_or_b32_e32 v13, v10, v9
	v_mov_b32_e32 v3, 0x7fff7fff
	v_cmp_gt_u32_e32 vcc, s7, v13
	v_mov_b32_e32 v4, v3
	v_mov_b32_e32 v5, v3
	s_and_saveexec_b64 s[8:9], vcc
	s_cbranch_execz .LBB1428_3
; %bb.2:
	global_load_ushort v4, v[7:8], off
	s_movk_i32 s10, 0x7fff
	v_mov_b32_e32 v6, 0x5040100
	v_mov_b32_e32 v5, v3
	s_waitcnt vmcnt(0)
	v_perm_b32 v4, s10, v4, v6
	v_mov_b32_e32 v6, v3
	v_mov_b32_e32 v3, v4
	;; [unrolled: 1-line block ×5, first 2 shown]
.LBB1428_3:
	s_or_b64 exec, exec, s[8:9]
	v_or_b32_e32 v6, 64, v13
	v_cmp_gt_u32_e64 s[20:21], s7, v6
	s_and_saveexec_b64 s[8:9], s[20:21]
	s_cbranch_execz .LBB1428_5
; %bb.4:
	global_load_ushort v6, v[7:8], off offset:128
	s_mov_b32 s10, 0x5040100
	s_waitcnt vmcnt(0)
	v_perm_b32 v3, v6, v3, s10
.LBB1428_5:
	s_or_b64 exec, exec, s[8:9]
	v_add_u32_e32 v6, 0x80, v13
	v_cmp_gt_u32_e64 s[8:9], s7, v6
	s_and_saveexec_b64 s[10:11], s[8:9]
	s_cbranch_execz .LBB1428_7
; %bb.6:
	global_load_ushort v6, v[7:8], off offset:256
	s_mov_b32 s12, 0xffff
	s_waitcnt vmcnt(0)
	v_bfi_b32 v4, s12, v6, v4
.LBB1428_7:
	s_or_b64 exec, exec, s[10:11]
	v_add_u32_e32 v6, 0xc0, v13
	v_cmp_gt_u32_e64 s[10:11], s7, v6
	s_and_saveexec_b64 s[12:13], s[10:11]
	s_cbranch_execz .LBB1428_9
; %bb.8:
	global_load_ushort v6, v[7:8], off offset:384
	s_mov_b32 s14, 0x5040100
	s_waitcnt vmcnt(0)
	v_perm_b32 v4, v6, v4, s14
.LBB1428_9:
	s_or_b64 exec, exec, s[12:13]
	v_add_u32_e32 v6, 0x100, v13
	v_cmp_gt_u32_e64 s[12:13], s7, v6
	s_and_saveexec_b64 s[14:15], s[12:13]
	s_cbranch_execz .LBB1428_11
; %bb.10:
	global_load_ushort v6, v[7:8], off offset:512
	s_mov_b32 s16, 0xffff
	s_waitcnt vmcnt(0)
	v_bfi_b32 v5, s16, v6, v5
.LBB1428_11:
	s_or_b64 exec, exec, s[14:15]
	v_add_u32_e32 v6, 0x140, v13
	v_cmp_gt_u32_e64 s[14:15], s7, v6
	s_and_saveexec_b64 s[16:17], s[14:15]
	s_cbranch_execz .LBB1428_13
; %bb.12:
	global_load_ushort v6, v[7:8], off offset:640
	s_mov_b32 s18, 0x5040100
	s_waitcnt vmcnt(0)
	v_perm_b32 v5, v6, v5, s18
.LBB1428_13:
	s_or_b64 exec, exec, s[16:17]
	s_load_dword s16, s[4:5], 0x64
	s_load_dword s33, s[4:5], 0x58
	s_add_u32 s17, s4, 0x58
	s_addc_u32 s18, s5, 0
	v_mov_b32_e32 v6, 0
	s_waitcnt lgkmcnt(0)
	s_lshr_b32 s19, s16, 16
	s_cmp_lt_u32 s6, s33
	s_cselect_b32 s16, 12, 18
	s_add_u32 s16, s17, s16
	s_addc_u32 s17, s18, 0
	global_load_ushort v8, v6, s[16:17]
	v_xor_b32_e32 v13, 0xffff8000, v3
	s_lshl_b32 s16, -1, s41
	v_lshrrev_b32_sdwa v7, s40, v13 dst_sel:DWORD dst_unused:UNUSED_PAD src0_sel:DWORD src1_sel:WORD_0
	s_not_b32 s50, s16
	v_and_b32_e32 v16, s50, v7
	v_and_b32_e32 v19, 1, v16
	v_add_co_u32_e64 v20, s[16:17], -1, v19
	v_lshlrev_b32_e32 v7, 30, v16
	v_addc_co_u32_e64 v21, s[16:17], 0, -1, s[16:17]
	v_mad_u32_u24 v15, v2, s19, v1
	v_cmp_ne_u32_e64 s[16:17], 0, v19
	v_cmp_gt_i64_e64 s[18:19], 0, v[6:7]
	v_not_b32_e32 v19, v7
	v_lshlrev_b32_e32 v7, 29, v16
	v_xor_b32_e32 v21, s17, v21
	v_xor_b32_e32 v20, s16, v20
	v_ashrrev_i32_e32 v19, 31, v19
	v_cmp_gt_i64_e64 s[16:17], 0, v[6:7]
	v_not_b32_e32 v22, v7
	v_lshlrev_b32_e32 v7, 28, v16
	v_and_b32_e32 v21, exec_hi, v21
	v_and_b32_e32 v20, exec_lo, v20
	v_xor_b32_e32 v23, s19, v19
	v_xor_b32_e32 v19, s18, v19
	v_ashrrev_i32_e32 v22, 31, v22
	v_cmp_gt_i64_e64 s[18:19], 0, v[6:7]
	v_not_b32_e32 v24, v7
	v_lshlrev_b32_e32 v7, 27, v16
	v_and_b32_e32 v21, v21, v23
	v_and_b32_e32 v19, v20, v19
	v_xor_b32_e32 v20, s17, v22
	v_xor_b32_e32 v22, s16, v22
	v_ashrrev_i32_e32 v23, 31, v24
	v_cmp_gt_i64_e64 s[16:17], 0, v[6:7]
	v_not_b32_e32 v24, v7
	v_lshlrev_b32_e32 v7, 26, v16
	v_and_b32_e32 v20, v21, v20
	v_and_b32_e32 v19, v19, v22
	;; [unrolled: 8-line block ×3, first 2 shown]
	v_xor_b32_e32 v21, s17, v23
	v_xor_b32_e32 v22, s16, v23
	v_ashrrev_i32_e32 v23, 31, v24
	v_cmp_gt_i64_e64 s[16:17], 0, v[6:7]
	v_not_b32_e32 v24, v7
	v_mul_u32_u24_e32 v18, 36, v16
	v_lshlrev_b32_e32 v7, 24, v16
	v_and_b32_e32 v16, v20, v21
	v_and_b32_e32 v19, v19, v22
	v_xor_b32_e32 v20, s19, v23
	v_ashrrev_i32_e32 v22, 31, v24
	v_xor_b32_e32 v21, s18, v23
	v_and_b32_e32 v16, v16, v20
	v_xor_b32_e32 v20, s17, v22
	v_and_b32_e32 v19, v19, v21
	;; [unrolled: 2-line block ×3, first 2 shown]
	v_cmp_gt_i64_e64 s[18:19], 0, v[6:7]
	v_not_b32_e32 v7, v7
	v_ashrrev_i32_e32 v7, 31, v7
	v_and_b32_e32 v19, v19, v21
	v_xor_b32_e32 v21, s19, v7
	v_xor_b32_e32 v7, s18, v7
	v_and_b32_e32 v7, v19, v7
	s_movk_i32 s22, 0x8000
	v_mul_u32_u24_e32 v14, 20, v0
	ds_write2_b32 v14, v6, v6 offset0:8 offset1:9
	ds_write2_b32 v14, v6, v6 offset0:10 offset1:11
	ds_write_b32 v14, v6 offset:48
	s_waitcnt vmcnt(0) lgkmcnt(0)
	s_barrier
	v_mad_u64_u32 v[15:16], s[16:17], v15, v8, v[0:1]
	v_and_b32_e32 v8, v20, v21
	v_cmp_ne_u64_e64 s[16:17], 0, v[7:8]
	v_lshrrev_b32_e32 v15, 4, v15
	v_and_b32_e32 v31, 0xffffffc, v15
	v_mbcnt_lo_u32_b32 v15, v7, 0
	v_mbcnt_hi_u32_b32 v15, v8, v15
	v_cmp_eq_u32_e64 s[18:19], 0, v15
	s_and_b64 s[18:19], s[16:17], s[18:19]
	v_add_u32_e32 v27, v31, v18
	; wave barrier
	s_and_saveexec_b64 s[16:17], s[18:19]
; %bb.14:
	v_bcnt_u32_b32 v7, v7, 0
	v_bcnt_u32_b32 v7, v8, v7
	ds_write_b32 v27, v7 offset:32
; %bb.15:
	s_or_b64 exec, exec, s[16:17]
	v_xor_b32_sdwa v16, v3, s22 dst_sel:DWORD dst_unused:UNUSED_PAD src0_sel:WORD_1 src1_sel:DWORD
	v_lshrrev_b32_sdwa v3, s40, v16 dst_sel:DWORD dst_unused:UNUSED_PAD src0_sel:DWORD src1_sel:WORD_0
	v_and_b32_e32 v3, s50, v3
	v_mad_u32_u24 v7, v3, 36, v31
	; wave barrier
	ds_read_b32 v18, v7 offset:32
	v_and_b32_e32 v7, 1, v3
	v_add_co_u32_e64 v19, s[16:17], -1, v7
	v_addc_co_u32_e64 v20, s[16:17], 0, -1, s[16:17]
	v_cmp_ne_u32_e64 s[16:17], 0, v7
	v_xor_b32_e32 v7, s17, v20
	v_and_b32_e32 v20, exec_hi, v7
	v_lshlrev_b32_e32 v7, 30, v3
	v_xor_b32_e32 v19, s16, v19
	v_cmp_gt_i64_e64 s[16:17], 0, v[6:7]
	v_not_b32_e32 v7, v7
	v_ashrrev_i32_e32 v7, 31, v7
	v_and_b32_e32 v19, exec_lo, v19
	v_xor_b32_e32 v21, s17, v7
	v_xor_b32_e32 v7, s16, v7
	v_and_b32_e32 v19, v19, v7
	v_lshlrev_b32_e32 v7, 29, v3
	v_cmp_gt_i64_e64 s[16:17], 0, v[6:7]
	v_not_b32_e32 v7, v7
	v_ashrrev_i32_e32 v7, 31, v7
	v_and_b32_e32 v20, v20, v21
	v_xor_b32_e32 v21, s17, v7
	v_xor_b32_e32 v7, s16, v7
	v_and_b32_e32 v19, v19, v7
	v_lshlrev_b32_e32 v7, 28, v3
	v_cmp_gt_i64_e64 s[16:17], 0, v[6:7]
	v_not_b32_e32 v7, v7
	v_ashrrev_i32_e32 v7, 31, v7
	v_and_b32_e32 v20, v20, v21
	;; [unrolled: 8-line block ×5, first 2 shown]
	v_xor_b32_e32 v21, s17, v7
	v_xor_b32_e32 v7, s16, v7
	v_and_b32_e32 v19, v19, v7
	v_lshlrev_b32_e32 v7, 24, v3
	v_mul_u32_u24_e32 v8, 36, v3
	v_cmp_gt_i64_e64 s[16:17], 0, v[6:7]
	v_not_b32_e32 v3, v7
	v_ashrrev_i32_e32 v3, 31, v3
	v_and_b32_e32 v20, v20, v21
	v_xor_b32_e32 v6, s17, v3
	v_xor_b32_e32 v3, s16, v3
	v_and_b32_e32 v7, v20, v6
	v_and_b32_e32 v6, v19, v3
	v_mbcnt_lo_u32_b32 v3, v6, 0
	v_mbcnt_hi_u32_b32 v19, v7, v3
	v_cmp_ne_u64_e64 s[16:17], 0, v[6:7]
	v_cmp_eq_u32_e64 s[18:19], 0, v19
	s_and_b64 s[18:19], s[16:17], s[18:19]
	v_add_u32_e32 v30, v31, v8
	; wave barrier
	s_and_saveexec_b64 s[16:17], s[18:19]
	s_cbranch_execz .LBB1428_17
; %bb.16:
	v_bcnt_u32_b32 v3, v6, 0
	v_bcnt_u32_b32 v3, v7, v3
	s_waitcnt lgkmcnt(0)
	v_add_u32_e32 v3, v18, v3
	ds_write_b32 v30, v3 offset:32
.LBB1428_17:
	s_or_b64 exec, exec, s[16:17]
	v_xor_b32_e32 v28, 0xffff8000, v4
	v_lshrrev_b32_sdwa v3, s40, v28 dst_sel:DWORD dst_unused:UNUSED_PAD src0_sel:DWORD src1_sel:WORD_0
	v_and_b32_e32 v3, s50, v3
	v_and_b32_e32 v7, 1, v3
	v_add_co_u32_e64 v8, s[16:17], -1, v7
	v_addc_co_u32_e64 v21, s[16:17], 0, -1, s[16:17]
	v_cmp_ne_u32_e64 s[16:17], 0, v7
	v_mad_u32_u24 v6, v3, 36, v31
	v_xor_b32_e32 v7, s17, v21
	; wave barrier
	ds_read_b32 v20, v6 offset:32
	v_mov_b32_e32 v6, 0
	v_and_b32_e32 v21, exec_hi, v7
	v_lshlrev_b32_e32 v7, 30, v3
	v_xor_b32_e32 v8, s16, v8
	v_cmp_gt_i64_e64 s[16:17], 0, v[6:7]
	v_not_b32_e32 v7, v7
	v_ashrrev_i32_e32 v7, 31, v7
	v_and_b32_e32 v8, exec_lo, v8
	v_xor_b32_e32 v23, s17, v7
	v_xor_b32_e32 v7, s16, v7
	v_and_b32_e32 v8, v8, v7
	v_lshlrev_b32_e32 v7, 29, v3
	v_cmp_gt_i64_e64 s[16:17], 0, v[6:7]
	v_not_b32_e32 v7, v7
	v_ashrrev_i32_e32 v7, 31, v7
	v_and_b32_e32 v21, v21, v23
	v_xor_b32_e32 v23, s17, v7
	v_xor_b32_e32 v7, s16, v7
	v_and_b32_e32 v8, v8, v7
	v_lshlrev_b32_e32 v7, 28, v3
	v_cmp_gt_i64_e64 s[16:17], 0, v[6:7]
	v_not_b32_e32 v7, v7
	v_ashrrev_i32_e32 v7, 31, v7
	v_and_b32_e32 v21, v21, v23
	;; [unrolled: 8-line block ×5, first 2 shown]
	v_xor_b32_e32 v23, s17, v7
	v_xor_b32_e32 v7, s16, v7
	v_and_b32_e32 v21, v21, v23
	v_and_b32_e32 v23, v8, v7
	v_lshlrev_b32_e32 v7, 24, v3
	v_mul_u32_u24_e32 v22, 36, v3
	v_cmp_gt_i64_e64 s[16:17], 0, v[6:7]
	v_not_b32_e32 v3, v7
	v_ashrrev_i32_e32 v3, 31, v3
	v_xor_b32_e32 v7, s17, v3
	v_xor_b32_e32 v3, s16, v3
	v_and_b32_e32 v8, v21, v7
	v_and_b32_e32 v7, v23, v3
	v_mbcnt_lo_u32_b32 v3, v7, 0
	v_mbcnt_hi_u32_b32 v21, v8, v3
	v_cmp_ne_u64_e64 s[16:17], 0, v[7:8]
	v_cmp_eq_u32_e64 s[18:19], 0, v21
	s_and_b64 s[18:19], s[16:17], s[18:19]
	v_add_u32_e32 v33, v31, v22
	; wave barrier
	s_and_saveexec_b64 s[16:17], s[18:19]
	s_cbranch_execz .LBB1428_19
; %bb.18:
	v_bcnt_u32_b32 v3, v7, 0
	v_bcnt_u32_b32 v3, v8, v3
	s_waitcnt lgkmcnt(0)
	v_add_u32_e32 v3, v20, v3
	ds_write_b32 v33, v3 offset:32
.LBB1428_19:
	s_or_b64 exec, exec, s[16:17]
	v_xor_b32_sdwa v8, v4, s22 dst_sel:DWORD dst_unused:UNUSED_PAD src0_sel:WORD_1 src1_sel:DWORD
	v_lshrrev_b32_sdwa v3, s40, v8 dst_sel:DWORD dst_unused:UNUSED_PAD src0_sel:DWORD src1_sel:WORD_0
	v_and_b32_e32 v3, s50, v3
	v_mad_u32_u24 v4, v3, 36, v31
	; wave barrier
	ds_read_b32 v22, v4 offset:32
	v_and_b32_e32 v4, 1, v3
	v_add_co_u32_e64 v7, s[16:17], -1, v4
	v_addc_co_u32_e64 v23, s[16:17], 0, -1, s[16:17]
	v_cmp_ne_u32_e64 s[16:17], 0, v4
	v_xor_b32_e32 v7, s16, v7
	v_xor_b32_e32 v4, s17, v23
	v_and_b32_e32 v23, exec_lo, v7
	v_lshlrev_b32_e32 v7, 30, v3
	v_cmp_gt_i64_e64 s[16:17], 0, v[6:7]
	v_not_b32_e32 v7, v7
	v_ashrrev_i32_e32 v7, 31, v7
	v_xor_b32_e32 v25, s17, v7
	v_xor_b32_e32 v7, s16, v7
	v_and_b32_e32 v23, v23, v7
	v_lshlrev_b32_e32 v7, 29, v3
	v_cmp_gt_i64_e64 s[16:17], 0, v[6:7]
	v_not_b32_e32 v7, v7
	v_and_b32_e32 v4, exec_hi, v4
	v_ashrrev_i32_e32 v7, 31, v7
	v_and_b32_e32 v4, v4, v25
	v_xor_b32_e32 v25, s17, v7
	v_xor_b32_e32 v7, s16, v7
	v_and_b32_e32 v23, v23, v7
	v_lshlrev_b32_e32 v7, 28, v3
	v_cmp_gt_i64_e64 s[16:17], 0, v[6:7]
	v_not_b32_e32 v7, v7
	v_ashrrev_i32_e32 v7, 31, v7
	v_and_b32_e32 v4, v4, v25
	v_xor_b32_e32 v25, s17, v7
	v_xor_b32_e32 v7, s16, v7
	v_and_b32_e32 v23, v23, v7
	v_lshlrev_b32_e32 v7, 27, v3
	v_cmp_gt_i64_e64 s[16:17], 0, v[6:7]
	v_not_b32_e32 v7, v7
	;; [unrolled: 8-line block ×4, first 2 shown]
	v_ashrrev_i32_e32 v7, 31, v7
	v_and_b32_e32 v4, v4, v25
	v_xor_b32_e32 v25, s17, v7
	v_xor_b32_e32 v7, s16, v7
	v_and_b32_e32 v23, v23, v7
	v_lshlrev_b32_e32 v7, 24, v3
	v_mul_u32_u24_e32 v24, 36, v3
	v_cmp_gt_i64_e64 s[16:17], 0, v[6:7]
	v_not_b32_e32 v3, v7
	v_ashrrev_i32_e32 v3, 31, v3
	v_xor_b32_e32 v6, s17, v3
	v_xor_b32_e32 v3, s16, v3
	v_and_b32_e32 v4, v4, v25
	v_and_b32_e32 v3, v23, v3
	;; [unrolled: 1-line block ×3, first 2 shown]
	v_mbcnt_lo_u32_b32 v6, v3, 0
	v_mbcnt_hi_u32_b32 v23, v4, v6
	v_cmp_ne_u64_e64 s[16:17], 0, v[3:4]
	v_cmp_eq_u32_e64 s[18:19], 0, v23
	s_and_b64 s[18:19], s[16:17], s[18:19]
	v_add_u32_e32 v34, v31, v24
	; wave barrier
	s_and_saveexec_b64 s[16:17], s[18:19]
	s_cbranch_execz .LBB1428_21
; %bb.20:
	v_bcnt_u32_b32 v3, v3, 0
	v_bcnt_u32_b32 v3, v4, v3
	s_waitcnt lgkmcnt(0)
	v_add_u32_e32 v3, v22, v3
	ds_write_b32 v34, v3 offset:32
.LBB1428_21:
	s_or_b64 exec, exec, s[16:17]
	v_xor_b32_e32 v37, 0xffff8000, v5
	v_lshrrev_b32_sdwa v3, s40, v37 dst_sel:DWORD dst_unused:UNUSED_PAD src0_sel:DWORD src1_sel:WORD_0
	v_and_b32_e32 v6, s50, v3
	v_and_b32_e32 v4, 1, v6
	v_add_co_u32_e64 v7, s[16:17], -1, v4
	v_addc_co_u32_e64 v25, s[16:17], 0, -1, s[16:17]
	v_cmp_ne_u32_e64 s[16:17], 0, v4
	v_mad_u32_u24 v3, v6, 36, v31
	v_xor_b32_e32 v4, s17, v25
	; wave barrier
	ds_read_b32 v24, v3 offset:32
	v_mov_b32_e32 v3, 0
	v_and_b32_e32 v25, exec_hi, v4
	v_lshlrev_b32_e32 v4, 30, v6
	v_xor_b32_e32 v7, s16, v7
	v_cmp_gt_i64_e64 s[16:17], 0, v[3:4]
	v_not_b32_e32 v4, v4
	v_ashrrev_i32_e32 v4, 31, v4
	v_and_b32_e32 v7, exec_lo, v7
	v_xor_b32_e32 v29, s17, v4
	v_xor_b32_e32 v4, s16, v4
	v_and_b32_e32 v7, v7, v4
	v_lshlrev_b32_e32 v4, 29, v6
	v_cmp_gt_i64_e64 s[16:17], 0, v[3:4]
	v_not_b32_e32 v4, v4
	v_ashrrev_i32_e32 v4, 31, v4
	v_and_b32_e32 v25, v25, v29
	v_xor_b32_e32 v29, s17, v4
	v_xor_b32_e32 v4, s16, v4
	v_and_b32_e32 v7, v7, v4
	v_lshlrev_b32_e32 v4, 28, v6
	v_cmp_gt_i64_e64 s[16:17], 0, v[3:4]
	v_not_b32_e32 v4, v4
	v_ashrrev_i32_e32 v4, 31, v4
	v_and_b32_e32 v25, v25, v29
	;; [unrolled: 8-line block ×5, first 2 shown]
	v_xor_b32_e32 v29, s17, v4
	v_xor_b32_e32 v4, s16, v4
	v_and_b32_e32 v25, v25, v29
	v_and_b32_e32 v29, v7, v4
	v_lshlrev_b32_e32 v4, 24, v6
	v_cmp_gt_i64_e64 s[16:17], 0, v[3:4]
	v_not_b32_e32 v4, v4
	v_ashrrev_i32_e32 v4, 31, v4
	v_mul_u32_u24_e32 v26, 36, v6
	v_xor_b32_e32 v6, s17, v4
	v_xor_b32_e32 v4, s16, v4
	v_and_b32_e32 v7, v25, v6
	v_and_b32_e32 v6, v29, v4
	v_mbcnt_lo_u32_b32 v4, v6, 0
	v_mbcnt_hi_u32_b32 v25, v7, v4
	v_cmp_ne_u64_e64 s[16:17], 0, v[6:7]
	v_cmp_eq_u32_e64 s[18:19], 0, v25
	s_and_b64 s[18:19], s[16:17], s[18:19]
	v_add_u32_e32 v35, v31, v26
	; wave barrier
	s_and_saveexec_b64 s[16:17], s[18:19]
	s_cbranch_execz .LBB1428_23
; %bb.22:
	v_bcnt_u32_b32 v4, v6, 0
	v_bcnt_u32_b32 v4, v7, v4
	s_waitcnt lgkmcnt(0)
	v_add_u32_e32 v4, v24, v4
	ds_write_b32 v35, v4 offset:32
.LBB1428_23:
	s_or_b64 exec, exec, s[16:17]
	v_xor_b32_sdwa v7, v5, s22 dst_sel:DWORD dst_unused:UNUSED_PAD src0_sel:WORD_1 src1_sel:DWORD
	v_lshrrev_b32_sdwa v4, s40, v7 dst_sel:DWORD dst_unused:UNUSED_PAD src0_sel:DWORD src1_sel:WORD_0
	v_and_b32_e32 v5, s50, v4
	v_mad_u32_u24 v4, v5, 36, v31
	; wave barrier
	ds_read_b32 v26, v4 offset:32
	v_and_b32_e32 v4, 1, v5
	v_add_co_u32_e64 v29, s[16:17], -1, v4
	v_addc_co_u32_e64 v32, s[16:17], 0, -1, s[16:17]
	v_cmp_ne_u32_e64 s[16:17], 0, v4
	v_xor_b32_e32 v4, s17, v32
	v_and_b32_e32 v32, exec_hi, v4
	v_lshlrev_b32_e32 v4, 30, v5
	v_xor_b32_e32 v29, s16, v29
	v_cmp_gt_i64_e64 s[16:17], 0, v[3:4]
	v_not_b32_e32 v4, v4
	v_ashrrev_i32_e32 v4, 31, v4
	v_and_b32_e32 v29, exec_lo, v29
	v_xor_b32_e32 v36, s17, v4
	v_xor_b32_e32 v4, s16, v4
	v_and_b32_e32 v29, v29, v4
	v_lshlrev_b32_e32 v4, 29, v5
	v_cmp_gt_i64_e64 s[16:17], 0, v[3:4]
	v_not_b32_e32 v4, v4
	v_ashrrev_i32_e32 v4, 31, v4
	v_and_b32_e32 v32, v32, v36
	v_xor_b32_e32 v36, s17, v4
	v_xor_b32_e32 v4, s16, v4
	v_and_b32_e32 v29, v29, v4
	v_lshlrev_b32_e32 v4, 28, v5
	v_cmp_gt_i64_e64 s[16:17], 0, v[3:4]
	v_not_b32_e32 v4, v4
	v_ashrrev_i32_e32 v4, 31, v4
	v_and_b32_e32 v32, v32, v36
	;; [unrolled: 8-line block ×5, first 2 shown]
	v_xor_b32_e32 v36, s17, v4
	v_xor_b32_e32 v4, s16, v4
	v_and_b32_e32 v29, v29, v4
	v_lshlrev_b32_e32 v4, 24, v5
	v_cmp_gt_i64_e64 s[16:17], 0, v[3:4]
	v_not_b32_e32 v3, v4
	v_ashrrev_i32_e32 v3, 31, v3
	v_xor_b32_e32 v4, s17, v3
	v_xor_b32_e32 v3, s16, v3
	v_and_b32_e32 v32, v32, v36
	v_and_b32_e32 v3, v29, v3
	v_mul_u32_u24_e32 v6, 36, v5
	v_and_b32_e32 v4, v32, v4
	v_mbcnt_lo_u32_b32 v5, v3, 0
	v_mbcnt_hi_u32_b32 v29, v4, v5
	v_cmp_ne_u64_e64 s[16:17], 0, v[3:4]
	v_cmp_eq_u32_e64 s[18:19], 0, v29
	s_and_b64 s[18:19], s[16:17], s[18:19]
	v_add_u32_e32 v31, v31, v6
	; wave barrier
	s_and_saveexec_b64 s[16:17], s[18:19]
	s_cbranch_execz .LBB1428_25
; %bb.24:
	v_bcnt_u32_b32 v3, v3, 0
	v_bcnt_u32_b32 v3, v4, v3
	s_waitcnt lgkmcnt(0)
	v_add_u32_e32 v3, v26, v3
	ds_write_b32 v31, v3 offset:32
.LBB1428_25:
	s_or_b64 exec, exec, s[16:17]
	; wave barrier
	s_waitcnt lgkmcnt(0)
	s_barrier
	ds_read2_b32 v[5:6], v14 offset0:8 offset1:9
	ds_read2_b32 v[3:4], v14 offset0:10 offset1:11
	ds_read_b32 v32, v14 offset:48
	v_min_u32_e32 v12, 0x1c0, v12
	v_or_b32_e32 v12, 63, v12
	s_waitcnt lgkmcnt(1)
	v_add3_u32 v36, v6, v5, v3
	s_waitcnt lgkmcnt(0)
	v_add3_u32 v32, v36, v4, v32
	v_and_b32_e32 v36, 15, v11
	v_cmp_ne_u32_e64 s[16:17], 0, v36
	v_mov_b32_dpp v38, v32 row_shr:1 row_mask:0xf bank_mask:0xf
	v_cndmask_b32_e64 v38, 0, v38, s[16:17]
	v_add_u32_e32 v32, v38, v32
	v_cmp_lt_u32_e64 s[16:17], 1, v36
	s_nop 0
	v_mov_b32_dpp v38, v32 row_shr:2 row_mask:0xf bank_mask:0xf
	v_cndmask_b32_e64 v38, 0, v38, s[16:17]
	v_add_u32_e32 v32, v32, v38
	v_cmp_lt_u32_e64 s[16:17], 3, v36
	s_nop 0
	;; [unrolled: 5-line block ×3, first 2 shown]
	v_mov_b32_dpp v38, v32 row_shr:8 row_mask:0xf bank_mask:0xf
	v_cndmask_b32_e64 v36, 0, v38, s[16:17]
	v_add_u32_e32 v32, v32, v36
	v_bfe_i32 v38, v11, 4, 1
	v_cmp_lt_u32_e64 s[16:17], 31, v11
	v_mov_b32_dpp v36, v32 row_bcast:15 row_mask:0xf bank_mask:0xf
	v_and_b32_e32 v36, v38, v36
	v_add_u32_e32 v32, v32, v36
	s_nop 1
	v_mov_b32_dpp v36, v32 row_bcast:31 row_mask:0xf bank_mask:0xf
	v_cndmask_b32_e64 v36, 0, v36, s[16:17]
	v_add_u32_e32 v32, v32, v36
	v_lshrrev_b32_e32 v36, 6, v0
	v_cmp_eq_u32_e64 s[16:17], v0, v12
	s_and_saveexec_b64 s[18:19], s[16:17]
; %bb.26:
	v_lshlrev_b32_e32 v12, 2, v36
	ds_write_b32 v12, v32
; %bb.27:
	s_or_b64 exec, exec, s[18:19]
	v_cmp_gt_u32_e64 s[16:17], 8, v0
	s_waitcnt lgkmcnt(0)
	s_barrier
	s_and_saveexec_b64 s[22:23], s[16:17]
	s_cbranch_execz .LBB1428_29
; %bb.28:
	v_lshlrev_b32_e32 v12, 2, v0
	ds_read_b32 v38, v12
	v_and_b32_e32 v39, 7, v11
	v_cmp_ne_u32_e64 s[16:17], 0, v39
	v_cmp_lt_u32_e64 s[18:19], 1, v39
	s_waitcnt lgkmcnt(0)
	v_mov_b32_dpp v40, v38 row_shr:1 row_mask:0xf bank_mask:0xf
	v_cndmask_b32_e64 v40, 0, v40, s[16:17]
	v_add_u32_e32 v38, v40, v38
	v_cmp_lt_u32_e64 s[16:17], 3, v39
	s_nop 0
	v_mov_b32_dpp v40, v38 row_shr:2 row_mask:0xf bank_mask:0xf
	v_cndmask_b32_e64 v40, 0, v40, s[18:19]
	v_add_u32_e32 v38, v38, v40
	s_nop 1
	v_mov_b32_dpp v40, v38 row_shr:4 row_mask:0xf bank_mask:0xf
	v_cndmask_b32_e64 v39, 0, v40, s[16:17]
	v_add_u32_e32 v38, v38, v39
	ds_write_b32 v12, v38
.LBB1428_29:
	s_or_b64 exec, exec, s[22:23]
	v_cmp_lt_u32_e64 s[16:17], 63, v0
	v_mov_b32_e32 v12, 0
	s_waitcnt lgkmcnt(0)
	s_barrier
	s_and_saveexec_b64 s[18:19], s[16:17]
; %bb.30:
	v_lshl_add_u32 v12, v36, 2, -4
	ds_read_b32 v12, v12
; %bb.31:
	s_or_b64 exec, exec, s[18:19]
	v_subrev_co_u32_e64 v36, s[16:17], 1, v11
	v_and_b32_e32 v38, 64, v11
	v_cmp_lt_i32_e64 s[18:19], v36, v38
	v_cndmask_b32_e64 v11, v36, v11, s[18:19]
	s_waitcnt lgkmcnt(0)
	v_add_u32_e32 v32, v12, v32
	v_lshlrev_b32_e32 v11, 2, v11
	ds_bpermute_b32 v11, v11, v32
	s_movk_i32 s22, 0x100
	v_cmp_gt_u32_e64 s[18:19], s22, v0
	s_waitcnt lgkmcnt(0)
	v_cndmask_b32_e64 v11, v11, v12, s[16:17]
	v_cmp_ne_u32_e64 s[16:17], 0, v0
	v_cndmask_b32_e64 v11, 0, v11, s[16:17]
	v_add_u32_e32 v5, v11, v5
	v_add_u32_e32 v6, v5, v6
	;; [unrolled: 1-line block ×4, first 2 shown]
	ds_write2_b32 v14, v11, v5 offset0:8 offset1:9
	ds_write2_b32 v14, v6, v3 offset0:10 offset1:11
	ds_write_b32 v14, v4 offset:48
	s_waitcnt lgkmcnt(0)
	s_barrier
	ds_read_b32 v3, v27 offset:32
	ds_read_b32 v32, v30 offset:32
	;; [unrolled: 1-line block ×6, first 2 shown]
	s_movk_i32 s16, 0xff
	v_cmp_lt_u32_e64 s[16:17], s16, v0
                                        ; implicit-def: $vgpr27
                                        ; implicit-def: $vgpr30
	s_and_saveexec_b64 s[42:43], s[18:19]
	s_cbranch_execz .LBB1428_35
; %bb.32:
	v_mul_u32_u24_e32 v4, 36, v0
	ds_read_b32 v27, v4 offset:32
	v_add_u32_e32 v5, 1, v0
	v_cmp_ne_u32_e64 s[22:23], s22, v5
	v_mov_b32_e32 v4, 0xc00
	s_and_saveexec_b64 s[46:47], s[22:23]
; %bb.33:
	v_mul_u32_u24_e32 v4, 36, v5
	ds_read_b32 v4, v4 offset:32
; %bb.34:
	s_or_b64 exec, exec, s[46:47]
	s_waitcnt lgkmcnt(0)
	v_sub_u32_e32 v30, v4, v27
.LBB1428_35:
	s_or_b64 exec, exec, s[42:43]
	s_waitcnt lgkmcnt(5)
	v_add_u32_e32 v31, v3, v15
	v_add_u32_e32 v12, v19, v18
	v_lshlrev_b32_e32 v3, 1, v31
	v_add_u32_e32 v11, v21, v20
	s_waitcnt lgkmcnt(0)
	s_barrier
	ds_write_b16 v3, v13 offset:1024
	v_add_lshl_u32 v3, v12, v32, 1
	v_add_u32_e32 v6, v23, v22
	ds_write_b16 v3, v16 offset:1024
	v_add_lshl_u32 v3, v11, v33, 1
	v_add_u32_e32 v5, v25, v24
	;; [unrolled: 3-line block ×3, first 2 shown]
	ds_write_b16 v3, v8 offset:1024
	v_add_lshl_u32 v3, v5, v35, 1
	ds_write_b16 v3, v37 offset:1024
	v_add_lshl_u32 v3, v4, v36, 1
	v_mov_b32_e32 v4, 0
	v_lshlrev_b32_e32 v28, 2, v0
	ds_write_b16 v3, v7 offset:1024
	s_and_saveexec_b64 s[22:23], s[18:19]
	s_cbranch_execz .LBB1428_45
; %bb.36:
	v_lshl_add_u32 v3, s6, 8, v0
	v_lshlrev_b64 v[5:6], 2, v[3:4]
	v_mov_b32_e32 v11, s45
	v_add_co_u32_e64 v5, s[18:19], s44, v5
	v_addc_co_u32_e64 v6, s[18:19], v11, v6, s[18:19]
	v_or_b32_e32 v3, 2.0, v30
	s_mov_b64 s[42:43], 0
	s_brev_b32 s51, -4
	s_mov_b32 s52, s6
	v_mov_b32_e32 v12, 0
	global_store_dword v[5:6], v3, off
                                        ; implicit-def: $sgpr18_sgpr19
	s_branch .LBB1428_39
.LBB1428_37:                            ;   in Loop: Header=BB1428_39 Depth=1
	s_or_b64 exec, exec, s[48:49]
.LBB1428_38:                            ;   in Loop: Header=BB1428_39 Depth=1
	s_or_b64 exec, exec, s[46:47]
	v_and_b32_e32 v7, 0x3fffffff, v3
	v_add_u32_e32 v12, v7, v12
	v_cmp_gt_i32_e64 s[18:19], -2.0, v3
	s_and_b64 s[46:47], exec, s[18:19]
	s_or_b64 s[42:43], s[46:47], s[42:43]
	s_andn2_b64 exec, exec, s[42:43]
	s_cbranch_execz .LBB1428_44
.LBB1428_39:                            ; =>This Loop Header: Depth=1
                                        ;     Child Loop BB1428_42 Depth 2
	s_or_b64 s[18:19], s[18:19], exec
	s_cmp_eq_u32 s52, 0
	s_cbranch_scc1 .LBB1428_43
; %bb.40:                               ;   in Loop: Header=BB1428_39 Depth=1
	s_add_i32 s52, s52, -1
	v_lshl_or_b32 v3, s52, 8, v0
	v_lshlrev_b64 v[7:8], 2, v[3:4]
	v_add_co_u32_e64 v7, s[18:19], s44, v7
	v_addc_co_u32_e64 v8, s[18:19], v11, v8, s[18:19]
	global_load_dword v3, v[7:8], off glc
	s_waitcnt vmcnt(0)
	v_cmp_gt_u32_e64 s[18:19], 2.0, v3
	s_and_saveexec_b64 s[46:47], s[18:19]
	s_cbranch_execz .LBB1428_38
; %bb.41:                               ;   in Loop: Header=BB1428_39 Depth=1
	s_mov_b64 s[48:49], 0
.LBB1428_42:                            ;   Parent Loop BB1428_39 Depth=1
                                        ; =>  This Inner Loop Header: Depth=2
	global_load_dword v3, v[7:8], off glc
	s_waitcnt vmcnt(0)
	v_cmp_lt_u32_e64 s[18:19], s51, v3
	s_or_b64 s[48:49], s[18:19], s[48:49]
	s_andn2_b64 exec, exec, s[48:49]
	s_cbranch_execnz .LBB1428_42
	s_branch .LBB1428_37
.LBB1428_43:                            ;   in Loop: Header=BB1428_39 Depth=1
                                        ; implicit-def: $sgpr52
	s_and_b64 s[46:47], exec, s[18:19]
	s_or_b64 s[42:43], s[46:47], s[42:43]
	s_andn2_b64 exec, exec, s[42:43]
	s_cbranch_execnz .LBB1428_39
.LBB1428_44:
	s_or_b64 exec, exec, s[42:43]
	v_add_u32_e32 v3, v12, v30
	v_or_b32_e32 v3, 0x80000000, v3
	global_store_dword v[5:6], v3, off
	global_load_dword v3, v28, s[36:37]
	v_sub_u32_e32 v4, v12, v27
	s_waitcnt vmcnt(0)
	v_add_u32_e32 v3, v4, v3
	ds_write_b32 v28, v3
.LBB1428_45:
	s_or_b64 exec, exec, s[22:23]
	v_cmp_gt_u32_e64 s[18:19], s7, v0
	s_waitcnt lgkmcnt(0)
	s_barrier
	s_and_saveexec_b64 s[22:23], s[18:19]
	s_cbranch_execz .LBB1428_47
; %bb.46:
	v_lshlrev_b32_e32 v3, 1, v0
	v_sub_u32_e32 v3, v28, v3
	ds_read_u16 v3, v3 offset:1024
	v_mov_b32_e32 v7, s27
	s_waitcnt lgkmcnt(0)
	v_lshrrev_b32_sdwa v4, s40, v3 dst_sel:DWORD dst_unused:UNUSED_PAD src0_sel:DWORD src1_sel:WORD_0
	v_and_b32_e32 v5, s50, v4
	v_lshlrev_b32_e32 v4, 2, v5
	ds_read_b32 v6, v4
	v_mov_b32_e32 v4, 0
	v_xor_b32_e32 v8, 0xffff8000, v3
	buffer_store_dword v5, off, s[0:3], 0
	s_waitcnt lgkmcnt(0)
	v_add_u32_e32 v3, v6, v0
	v_lshlrev_b64 v[3:4], 1, v[3:4]
	v_add_co_u32_e64 v3, s[18:19], s26, v3
	v_addc_co_u32_e64 v4, s[18:19], v7, v4, s[18:19]
	global_store_short v[3:4], v8, off
.LBB1428_47:
	s_or_b64 exec, exec, s[22:23]
	v_or_b32_e32 v3, 0x200, v0
	v_cmp_gt_u32_e64 s[18:19], s7, v3
	s_and_saveexec_b64 s[22:23], s[18:19]
	s_cbranch_execz .LBB1428_49
; %bb.48:
	v_lshlrev_b32_e32 v4, 1, v0
	v_sub_u32_e32 v4, v28, v4
	ds_read_u16 v5, v4 offset:2048
	v_mov_b32_e32 v8, s27
	s_waitcnt lgkmcnt(0)
	v_lshrrev_b32_sdwa v4, s40, v5 dst_sel:DWORD dst_unused:UNUSED_PAD src0_sel:DWORD src1_sel:WORD_0
	v_and_b32_e32 v6, s50, v4
	v_lshlrev_b32_e32 v4, 2, v6
	ds_read_b32 v7, v4
	v_mov_b32_e32 v4, 0
	v_xor_b32_e32 v5, 0xffff8000, v5
	buffer_store_dword v6, off, s[0:3], 0 offset:4
	s_waitcnt lgkmcnt(0)
	v_add_u32_e32 v3, v7, v3
	v_lshlrev_b64 v[3:4], 1, v[3:4]
	v_add_co_u32_e64 v3, s[18:19], s26, v3
	v_addc_co_u32_e64 v4, s[18:19], v8, v4, s[18:19]
	global_store_short v[3:4], v5, off
.LBB1428_49:
	s_or_b64 exec, exec, s[22:23]
	v_or_b32_e32 v3, 0x400, v0
	v_cmp_gt_u32_e64 s[18:19], s7, v3
	s_and_saveexec_b64 s[22:23], s[18:19]
	s_cbranch_execz .LBB1428_51
; %bb.50:
	v_lshlrev_b32_e32 v4, 1, v0
	v_sub_u32_e32 v4, v28, v4
	ds_read_u16 v5, v4 offset:3072
	v_mov_b32_e32 v8, s27
	s_waitcnt lgkmcnt(0)
	v_lshrrev_b32_sdwa v4, s40, v5 dst_sel:DWORD dst_unused:UNUSED_PAD src0_sel:DWORD src1_sel:WORD_0
	v_and_b32_e32 v6, s50, v4
	v_lshlrev_b32_e32 v4, 2, v6
	ds_read_b32 v7, v4
	v_mov_b32_e32 v4, 0
	v_xor_b32_e32 v5, 0xffff8000, v5
	buffer_store_dword v6, off, s[0:3], 0 offset:8
	s_waitcnt lgkmcnt(0)
	v_add_u32_e32 v3, v7, v3
	v_lshlrev_b64 v[3:4], 1, v[3:4]
	v_add_co_u32_e64 v3, s[18:19], s26, v3
	v_addc_co_u32_e64 v4, s[18:19], v8, v4, s[18:19]
	global_store_short v[3:4], v5, off
.LBB1428_51:
	;; [unrolled: 25-line block ×5, first 2 shown]
	s_or_b64 exec, exec, s[22:23]
	s_lshl_b64 s[18:19], s[34:35], 3
	s_add_u32 s18, s28, s18
	s_addc_u32 s19, s29, s19
	v_lshlrev_b32_e32 v3, 3, v10
	v_mov_b32_e32 v4, s19
	v_add_co_u32_e64 v3, s[18:19], s18, v3
	v_addc_co_u32_e64 v4, s[18:19], 0, v4, s[18:19]
	v_lshlrev_b32_e32 v5, 3, v9
	v_add_co_u32_e64 v15, s[18:19], v3, v5
	v_addc_co_u32_e64 v16, s[18:19], 0, v4, s[18:19]
                                        ; implicit-def: $vgpr3_vgpr4
	s_and_saveexec_b64 s[18:19], vcc
	s_xor_b64 s[18:19], exec, s[18:19]
	s_cbranch_execz .LBB1428_63
; %bb.58:
	global_load_dwordx2 v[3:4], v[15:16], off
	s_or_b64 exec, exec, s[18:19]
                                        ; implicit-def: $vgpr5_vgpr6
	s_and_saveexec_b64 s[18:19], s[20:21]
	s_cbranch_execnz .LBB1428_64
.LBB1428_59:
	s_or_b64 exec, exec, s[18:19]
                                        ; implicit-def: $vgpr7_vgpr8
	s_and_saveexec_b64 s[18:19], s[8:9]
	s_cbranch_execz .LBB1428_65
.LBB1428_60:
	global_load_dwordx2 v[7:8], v[15:16], off offset:1024
	s_or_b64 exec, exec, s[18:19]
                                        ; implicit-def: $vgpr9_vgpr10
	s_and_saveexec_b64 s[8:9], s[10:11]
	s_cbranch_execnz .LBB1428_66
.LBB1428_61:
	s_or_b64 exec, exec, s[8:9]
                                        ; implicit-def: $vgpr11_vgpr12
	s_and_saveexec_b64 s[8:9], s[12:13]
	s_cbranch_execz .LBB1428_67
.LBB1428_62:
	global_load_dwordx2 v[11:12], v[15:16], off offset:2048
	s_or_b64 exec, exec, s[8:9]
                                        ; implicit-def: $vgpr13_vgpr14
	s_and_saveexec_b64 s[8:9], s[14:15]
	s_cbranch_execnz .LBB1428_68
	s_branch .LBB1428_69
.LBB1428_63:
	s_or_b64 exec, exec, s[18:19]
                                        ; implicit-def: $vgpr5_vgpr6
	s_and_saveexec_b64 s[18:19], s[20:21]
	s_cbranch_execz .LBB1428_59
.LBB1428_64:
	global_load_dwordx2 v[5:6], v[15:16], off offset:512
	s_or_b64 exec, exec, s[18:19]
                                        ; implicit-def: $vgpr7_vgpr8
	s_and_saveexec_b64 s[18:19], s[8:9]
	s_cbranch_execnz .LBB1428_60
.LBB1428_65:
	s_or_b64 exec, exec, s[18:19]
                                        ; implicit-def: $vgpr9_vgpr10
	s_and_saveexec_b64 s[8:9], s[10:11]
	s_cbranch_execz .LBB1428_61
.LBB1428_66:
	global_load_dwordx2 v[9:10], v[15:16], off offset:1536
	s_or_b64 exec, exec, s[8:9]
                                        ; implicit-def: $vgpr11_vgpr12
	s_and_saveexec_b64 s[8:9], s[12:13]
	s_cbranch_execnz .LBB1428_62
.LBB1428_67:
	s_or_b64 exec, exec, s[8:9]
                                        ; implicit-def: $vgpr13_vgpr14
	s_and_saveexec_b64 s[8:9], s[14:15]
	s_cbranch_execz .LBB1428_69
.LBB1428_68:
	global_load_dwordx2 v[13:14], v[15:16], off offset:2560
.LBB1428_69:
	s_or_b64 exec, exec, s[8:9]
	v_lshlrev_b32_e32 v37, 3, v0
	v_add3_u32 v26, v29, v36, v26
	v_add3_u32 v24, v25, v35, v24
	;; [unrolled: 1-line block ×5, first 2 shown]
	s_mov_b32 s10, 0
	s_mov_b32 s11, 0
	v_mov_b32_e32 v16, 0
	s_movk_i32 s12, 0x200
	v_mov_b32_e32 v19, v0
	s_waitcnt vmcnt(0)
	s_barrier
	s_branch .LBB1428_71
.LBB1428_70:                            ;   in Loop: Header=BB1428_71 Depth=1
	s_or_b64 exec, exec, s[8:9]
	s_addk_i32 s11, 0xfc00
	s_add_i32 s10, s10, 8
	s_cmpk_eq_i32 s11, 0xf400
	v_add_u32_e32 v19, 0x400, v19
	s_waitcnt vmcnt(0)
	s_barrier
	s_cbranch_scc1 .LBB1428_75
.LBB1428_71:                            ; =>This Inner Loop Header: Depth=1
	v_add_u32_e32 v15, s11, v31
	v_min_u32_e32 v15, 0x400, v15
	v_lshlrev_b32_e32 v15, 3, v15
	ds_write_b64 v15, v[3:4] offset:1024
	v_add_u32_e32 v15, s11, v18
	v_min_u32_e32 v15, 0x400, v15
	v_lshlrev_b32_e32 v15, 3, v15
	ds_write_b64 v15, v[5:6] offset:1024
	;; [unrolled: 4-line block ×5, first 2 shown]
	v_add_u32_e32 v15, s11, v26
	v_min_u32_e32 v15, 0x400, v15
	v_lshlrev_b32_e32 v15, 3, v15
	v_cmp_gt_u32_e32 vcc, s7, v19
	ds_write_b64 v15, v[13:14] offset:1024
	s_waitcnt lgkmcnt(0)
	s_barrier
	s_and_saveexec_b64 s[8:9], vcc
	s_cbranch_execz .LBB1428_73
; %bb.72:                               ;   in Loop: Header=BB1428_71 Depth=1
	v_mov_b32_e32 v15, s10
	buffer_load_dword v15, v15, s[0:3], 0 offen
	v_mov_b32_e32 v21, s31
	s_waitcnt vmcnt(0)
	v_lshlrev_b32_e32 v15, 2, v15
	ds_read_b32 v15, v15
	ds_read_b64 v[32:33], v37 offset:1024
	s_waitcnt lgkmcnt(1)
	v_add_u32_e32 v15, v19, v15
	v_lshlrev_b64 v[34:35], 3, v[15:16]
	v_add_co_u32_e32 v34, vcc, s30, v34
	v_addc_co_u32_e32 v35, vcc, v21, v35, vcc
	s_waitcnt lgkmcnt(0)
	global_store_dwordx2 v[34:35], v[32:33], off
.LBB1428_73:                            ;   in Loop: Header=BB1428_71 Depth=1
	s_or_b64 exec, exec, s[8:9]
	v_add_u32_e32 v15, 0x200, v19
	v_cmp_gt_u32_e32 vcc, s7, v15
	s_and_saveexec_b64 s[8:9], vcc
	s_cbranch_execz .LBB1428_70
; %bb.74:                               ;   in Loop: Header=BB1428_71 Depth=1
	v_mov_b32_e32 v15, s10
	buffer_load_dword v15, v15, s[0:3], 0 offen offset:4
	v_mov_b32_e32 v21, s31
	s_waitcnt vmcnt(0)
	v_lshlrev_b32_e32 v15, 2, v15
	ds_read_b32 v15, v15
	ds_read_b64 v[32:33], v37 offset:5120
	s_waitcnt lgkmcnt(1)
	v_add3_u32 v15, v19, v15, s12
	v_lshlrev_b64 v[34:35], 3, v[15:16]
	v_add_co_u32_e32 v34, vcc, s30, v34
	v_addc_co_u32_e32 v35, vcc, v21, v35, vcc
	s_waitcnt lgkmcnt(0)
	global_store_dwordx2 v[34:35], v[32:33], off
	s_branch .LBB1428_70
.LBB1428_75:
	s_add_i32 s33, s33, -1
	s_cmp_eq_u32 s6, s33
	s_cselect_b64 s[8:9], -1, 0
	s_xor_b64 s[10:11], s[16:17], -1
	s_and_b64 s[10:11], s[10:11], s[8:9]
	s_and_saveexec_b64 s[8:9], s[10:11]
	s_cbranch_execz .LBB1428_77
; %bb.76:
	ds_read_b32 v3, v28
	s_waitcnt lgkmcnt(0)
	v_add3_u32 v3, v27, v30, v3
	global_store_dword v28, v3, s[38:39]
.LBB1428_77:
	s_or_b64 exec, exec, s[8:9]
	s_mov_b64 s[8:9], 0
.LBB1428_78:
	s_and_b64 vcc, exec, s[8:9]
	s_cbranch_vccz .LBB1428_115
; %bb.79:
	s_mov_b32 s35, 0
	s_lshl_b64 s[8:9], s[34:35], 1
	v_mbcnt_hi_u32_b32 v6, -1, v17
	s_add_u32 s7, s24, s8
	v_and_b32_e32 v8, 63, v6
	s_addc_u32 s8, s25, s9
	v_and_b32_e32 v9, 0x1c0, v0
	v_lshlrev_b32_e32 v3, 1, v8
	v_mul_u32_u24_e32 v7, 6, v9
	v_mov_b32_e32 v4, s8
	v_add_co_u32_e32 v3, vcc, s7, v3
	v_addc_co_u32_e32 v5, vcc, 0, v4, vcc
	v_lshlrev_b32_e32 v4, 1, v7
	v_add_co_u32_e32 v4, vcc, v3, v4
	v_addc_co_u32_e32 v5, vcc, 0, v5, vcc
	global_load_ushort v10, v[4:5], off
	s_load_dword s8, s[4:5], 0x64
	s_load_dword s7, s[4:5], 0x58
	s_add_u32 s4, s4, 0x58
	s_addc_u32 s5, s5, 0
	v_mov_b32_e32 v3, 0
	s_waitcnt lgkmcnt(0)
	s_lshr_b32 s8, s8, 16
	s_cmp_lt_u32 s6, s7
	s_cselect_b32 s9, 12, 18
	s_add_u32 s4, s4, s9
	s_addc_u32 s5, s5, 0
	global_load_ushort v11, v3, s[4:5]
	global_load_ushort v14, v[4:5], off offset:128
	global_load_ushort v17, v[4:5], off offset:256
	;; [unrolled: 1-line block ×5, first 2 shown]
	s_lshl_b32 s4, -1, s41
	s_not_b32 s16, s4
	v_mad_u32_u24 v1, v2, s8, v1
	s_waitcnt vmcnt(6)
	v_xor_b32_e32 v10, 0xffff8000, v10
	v_lshrrev_b32_sdwa v4, s40, v10 dst_sel:DWORD dst_unused:UNUSED_PAD src0_sel:DWORD src1_sel:WORD_0
	v_and_b32_e32 v13, s16, v4
	v_and_b32_e32 v5, 1, v13
	v_add_co_u32_e32 v12, vcc, -1, v5
	v_lshlrev_b32_e32 v4, 30, v13
	v_addc_co_u32_e64 v15, s[4:5], 0, -1, vcc
	v_cmp_ne_u32_e32 vcc, 0, v5
	v_cmp_gt_i64_e64 s[4:5], 0, v[3:4]
	v_not_b32_e32 v5, v4
	v_lshlrev_b32_e32 v4, 29, v13
	v_xor_b32_e32 v15, vcc_hi, v15
	v_ashrrev_i32_e32 v5, 31, v5
	v_xor_b32_e32 v12, vcc_lo, v12
	v_cmp_gt_i64_e32 vcc, 0, v[3:4]
	v_not_b32_e32 v16, v4
	v_lshlrev_b32_e32 v4, 28, v13
	v_and_b32_e32 v15, exec_hi, v15
	v_xor_b32_e32 v18, s5, v5
	v_and_b32_e32 v12, exec_lo, v12
	v_xor_b32_e32 v5, s4, v5
	v_ashrrev_i32_e32 v16, 31, v16
	v_cmp_gt_i64_e64 s[4:5], 0, v[3:4]
	v_not_b32_e32 v20, v4
	v_lshlrev_b32_e32 v4, 27, v13
	v_and_b32_e32 v15, v15, v18
	v_and_b32_e32 v5, v12, v5
	v_xor_b32_e32 v12, vcc_hi, v16
	v_xor_b32_e32 v16, vcc_lo, v16
	v_ashrrev_i32_e32 v18, 31, v20
	v_cmp_gt_i64_e32 vcc, 0, v[3:4]
	v_not_b32_e32 v20, v4
	v_lshlrev_b32_e32 v4, 26, v13
	v_and_b32_e32 v12, v15, v12
	v_and_b32_e32 v5, v5, v16
	v_xor_b32_e32 v15, s5, v18
	v_xor_b32_e32 v16, s4, v18
	v_ashrrev_i32_e32 v18, 31, v20
	v_cmp_gt_i64_e64 s[4:5], 0, v[3:4]
	v_not_b32_e32 v20, v4
	v_lshlrev_b32_e32 v4, 25, v13
	v_and_b32_e32 v12, v12, v15
	v_and_b32_e32 v5, v5, v16
	v_xor_b32_e32 v15, vcc_hi, v18
	v_xor_b32_e32 v16, vcc_lo, v18
	v_ashrrev_i32_e32 v18, 31, v20
	v_cmp_gt_i64_e32 vcc, 0, v[3:4]
	v_not_b32_e32 v20, v4
	v_lshlrev_b32_e32 v4, 24, v13
	v_and_b32_e32 v12, v12, v15
	v_and_b32_e32 v5, v5, v16
	v_xor_b32_e32 v15, s5, v18
	v_xor_b32_e32 v16, s4, v18
	v_ashrrev_i32_e32 v18, 31, v20
	v_cmp_gt_i64_e64 s[4:5], 0, v[3:4]
	v_not_b32_e32 v4, v4
	v_and_b32_e32 v12, v12, v15
	v_and_b32_e32 v5, v5, v16
	v_xor_b32_e32 v15, vcc_hi, v18
	v_xor_b32_e32 v16, vcc_lo, v18
	v_ashrrev_i32_e32 v4, 31, v4
	v_and_b32_e32 v12, v12, v15
	v_and_b32_e32 v15, v5, v16
	v_xor_b32_e32 v5, s5, v4
	v_xor_b32_e32 v4, s4, v4
	s_waitcnt vmcnt(5)
	v_mad_u64_u32 v[1:2], s[4:5], v1, v11, v[0:1]
	v_and_b32_e32 v4, v15, v4
	v_and_b32_e32 v5, v12, v5
	v_lshrrev_b32_e32 v1, 6, v1
	v_lshlrev_b32_e32 v24, 2, v1
	v_mbcnt_lo_u32_b32 v1, v4, 0
	v_mbcnt_hi_u32_b32 v11, v5, v1
	v_cmp_ne_u64_e32 vcc, 0, v[4:5]
	v_cmp_eq_u32_e64 s[4:5], 0, v11
	v_mul_u32_u24_e32 v12, 20, v0
	v_mad_u32_u24 v13, v13, 36, v24
	s_and_b64 s[8:9], vcc, s[4:5]
	ds_write2_b32 v12, v3, v3 offset0:8 offset1:9
	ds_write2_b32 v12, v3, v3 offset0:10 offset1:11
	ds_write_b32 v12, v3 offset:48
	s_waitcnt vmcnt(0) lgkmcnt(0)
	s_barrier
	; wave barrier
	s_and_saveexec_b64 s[4:5], s[8:9]
; %bb.80:
	v_bcnt_u32_b32 v1, v4, 0
	v_bcnt_u32_b32 v1, v5, v1
	ds_write_b32 v13, v1 offset:32
; %bb.81:
	s_or_b64 exec, exec, s[4:5]
	v_xor_b32_e32 v5, 0xffff8000, v14
	v_lshrrev_b32_sdwa v1, s40, v5 dst_sel:DWORD dst_unused:UNUSED_PAD src0_sel:DWORD src1_sel:WORD_0
	v_and_b32_e32 v1, s16, v1
	v_and_b32_e32 v2, 1, v1
	v_add_co_u32_e32 v4, vcc, -1, v2
	v_addc_co_u32_e64 v16, s[4:5], 0, -1, vcc
	v_cmp_ne_u32_e32 vcc, 0, v2
	v_xor_b32_e32 v4, vcc_lo, v4
	v_xor_b32_e32 v2, vcc_hi, v16
	v_and_b32_e32 v16, exec_lo, v4
	v_lshlrev_b32_e32 v4, 30, v1
	v_cmp_gt_i64_e32 vcc, 0, v[3:4]
	v_not_b32_e32 v4, v4
	v_ashrrev_i32_e32 v4, 31, v4
	v_xor_b32_e32 v18, vcc_hi, v4
	v_xor_b32_e32 v4, vcc_lo, v4
	v_and_b32_e32 v16, v16, v4
	v_lshlrev_b32_e32 v4, 29, v1
	v_cmp_gt_i64_e32 vcc, 0, v[3:4]
	v_not_b32_e32 v4, v4
	v_and_b32_e32 v2, exec_hi, v2
	v_ashrrev_i32_e32 v4, 31, v4
	v_and_b32_e32 v2, v2, v18
	v_xor_b32_e32 v18, vcc_hi, v4
	v_xor_b32_e32 v4, vcc_lo, v4
	v_and_b32_e32 v16, v16, v4
	v_lshlrev_b32_e32 v4, 28, v1
	v_cmp_gt_i64_e32 vcc, 0, v[3:4]
	v_not_b32_e32 v4, v4
	v_ashrrev_i32_e32 v4, 31, v4
	v_and_b32_e32 v2, v2, v18
	v_xor_b32_e32 v18, vcc_hi, v4
	v_xor_b32_e32 v4, vcc_lo, v4
	v_and_b32_e32 v16, v16, v4
	v_lshlrev_b32_e32 v4, 27, v1
	v_cmp_gt_i64_e32 vcc, 0, v[3:4]
	v_not_b32_e32 v4, v4
	;; [unrolled: 8-line block ×4, first 2 shown]
	v_ashrrev_i32_e32 v4, 31, v4
	v_and_b32_e32 v2, v2, v18
	v_xor_b32_e32 v18, vcc_hi, v4
	v_xor_b32_e32 v4, vcc_lo, v4
	v_and_b32_e32 v16, v16, v4
	v_lshlrev_b32_e32 v4, 24, v1
	v_mad_u32_u24 v14, v1, 36, v24
	v_cmp_gt_i64_e32 vcc, 0, v[3:4]
	v_not_b32_e32 v1, v4
	v_ashrrev_i32_e32 v1, 31, v1
	v_xor_b32_e32 v3, vcc_hi, v1
	v_xor_b32_e32 v1, vcc_lo, v1
	; wave barrier
	ds_read_b32 v15, v14 offset:32
	v_and_b32_e32 v2, v2, v18
	v_and_b32_e32 v1, v16, v1
	;; [unrolled: 1-line block ×3, first 2 shown]
	v_mbcnt_lo_u32_b32 v3, v1, 0
	v_mbcnt_hi_u32_b32 v16, v2, v3
	v_cmp_ne_u64_e32 vcc, 0, v[1:2]
	v_cmp_eq_u32_e64 s[4:5], 0, v16
	s_and_b64 s[8:9], vcc, s[4:5]
	; wave barrier
	s_and_saveexec_b64 s[4:5], s[8:9]
	s_cbranch_execz .LBB1428_83
; %bb.82:
	v_bcnt_u32_b32 v1, v1, 0
	v_bcnt_u32_b32 v1, v2, v1
	s_waitcnt lgkmcnt(0)
	v_add_u32_e32 v1, v15, v1
	ds_write_b32 v14, v1 offset:32
.LBB1428_83:
	s_or_b64 exec, exec, s[4:5]
	v_xor_b32_e32 v25, 0xffff8000, v17
	v_lshrrev_b32_sdwa v1, s40, v25 dst_sel:DWORD dst_unused:UNUSED_PAD src0_sel:DWORD src1_sel:WORD_0
	v_and_b32_e32 v3, s16, v1
	v_and_b32_e32 v2, 1, v3
	v_add_co_u32_e32 v4, vcc, -1, v2
	v_addc_co_u32_e64 v18, s[4:5], 0, -1, vcc
	v_cmp_ne_u32_e32 vcc, 0, v2
	v_xor_b32_e32 v2, vcc_hi, v18
	v_mov_b32_e32 v1, 0
	v_and_b32_e32 v18, exec_hi, v2
	v_lshlrev_b32_e32 v2, 30, v3
	v_xor_b32_e32 v4, vcc_lo, v4
	v_cmp_gt_i64_e32 vcc, 0, v[1:2]
	v_not_b32_e32 v2, v2
	v_ashrrev_i32_e32 v2, 31, v2
	v_and_b32_e32 v4, exec_lo, v4
	v_xor_b32_e32 v20, vcc_hi, v2
	v_xor_b32_e32 v2, vcc_lo, v2
	v_and_b32_e32 v4, v4, v2
	v_lshlrev_b32_e32 v2, 29, v3
	v_cmp_gt_i64_e32 vcc, 0, v[1:2]
	v_not_b32_e32 v2, v2
	v_ashrrev_i32_e32 v2, 31, v2
	v_and_b32_e32 v18, v18, v20
	v_xor_b32_e32 v20, vcc_hi, v2
	v_xor_b32_e32 v2, vcc_lo, v2
	v_and_b32_e32 v4, v4, v2
	v_lshlrev_b32_e32 v2, 28, v3
	v_cmp_gt_i64_e32 vcc, 0, v[1:2]
	v_not_b32_e32 v2, v2
	v_ashrrev_i32_e32 v2, 31, v2
	v_and_b32_e32 v18, v18, v20
	;; [unrolled: 8-line block ×5, first 2 shown]
	v_xor_b32_e32 v20, vcc_hi, v2
	v_xor_b32_e32 v2, vcc_lo, v2
	v_and_b32_e32 v4, v4, v2
	v_lshlrev_b32_e32 v2, 24, v3
	v_cmp_gt_i64_e32 vcc, 0, v[1:2]
	v_not_b32_e32 v2, v2
	v_ashrrev_i32_e32 v2, 31, v2
	v_mad_u32_u24 v27, v3, 36, v24
	v_xor_b32_e32 v3, vcc_hi, v2
	v_xor_b32_e32 v2, vcc_lo, v2
	; wave barrier
	ds_read_b32 v17, v27 offset:32
	v_and_b32_e32 v18, v18, v20
	v_and_b32_e32 v2, v4, v2
	;; [unrolled: 1-line block ×3, first 2 shown]
	v_mbcnt_lo_u32_b32 v4, v2, 0
	v_mbcnt_hi_u32_b32 v18, v3, v4
	v_cmp_ne_u64_e32 vcc, 0, v[2:3]
	v_cmp_eq_u32_e64 s[4:5], 0, v18
	s_and_b64 s[8:9], vcc, s[4:5]
	; wave barrier
	s_and_saveexec_b64 s[4:5], s[8:9]
	s_cbranch_execz .LBB1428_85
; %bb.84:
	v_bcnt_u32_b32 v2, v2, 0
	v_bcnt_u32_b32 v2, v3, v2
	s_waitcnt lgkmcnt(0)
	v_add_u32_e32 v2, v17, v2
	ds_write_b32 v27, v2 offset:32
.LBB1428_85:
	s_or_b64 exec, exec, s[4:5]
	v_xor_b32_e32 v30, 0xffff8000, v19
	v_lshrrev_b32_sdwa v2, s40, v30 dst_sel:DWORD dst_unused:UNUSED_PAD src0_sel:DWORD src1_sel:WORD_0
	v_and_b32_e32 v3, s16, v2
	v_and_b32_e32 v2, 1, v3
	v_add_co_u32_e32 v4, vcc, -1, v2
	v_addc_co_u32_e64 v20, s[4:5], 0, -1, vcc
	v_cmp_ne_u32_e32 vcc, 0, v2
	v_xor_b32_e32 v2, vcc_hi, v20
	v_and_b32_e32 v20, exec_hi, v2
	v_lshlrev_b32_e32 v2, 30, v3
	v_xor_b32_e32 v4, vcc_lo, v4
	v_cmp_gt_i64_e32 vcc, 0, v[1:2]
	v_not_b32_e32 v2, v2
	v_ashrrev_i32_e32 v2, 31, v2
	v_and_b32_e32 v4, exec_lo, v4
	v_xor_b32_e32 v22, vcc_hi, v2
	v_xor_b32_e32 v2, vcc_lo, v2
	v_and_b32_e32 v4, v4, v2
	v_lshlrev_b32_e32 v2, 29, v3
	v_cmp_gt_i64_e32 vcc, 0, v[1:2]
	v_not_b32_e32 v2, v2
	v_ashrrev_i32_e32 v2, 31, v2
	v_and_b32_e32 v20, v20, v22
	v_xor_b32_e32 v22, vcc_hi, v2
	v_xor_b32_e32 v2, vcc_lo, v2
	v_and_b32_e32 v4, v4, v2
	v_lshlrev_b32_e32 v2, 28, v3
	v_cmp_gt_i64_e32 vcc, 0, v[1:2]
	v_not_b32_e32 v2, v2
	v_ashrrev_i32_e32 v2, 31, v2
	v_and_b32_e32 v20, v20, v22
	;; [unrolled: 8-line block ×5, first 2 shown]
	v_xor_b32_e32 v22, vcc_hi, v2
	v_xor_b32_e32 v2, vcc_lo, v2
	v_and_b32_e32 v4, v4, v2
	v_lshlrev_b32_e32 v2, 24, v3
	v_cmp_gt_i64_e32 vcc, 0, v[1:2]
	v_not_b32_e32 v1, v2
	v_ashrrev_i32_e32 v1, 31, v1
	v_mad_u32_u24 v28, v3, 36, v24
	v_xor_b32_e32 v2, vcc_hi, v1
	v_xor_b32_e32 v1, vcc_lo, v1
	; wave barrier
	ds_read_b32 v19, v28 offset:32
	v_and_b32_e32 v20, v20, v22
	v_and_b32_e32 v1, v4, v1
	;; [unrolled: 1-line block ×3, first 2 shown]
	v_mbcnt_lo_u32_b32 v3, v1, 0
	v_mbcnt_hi_u32_b32 v20, v2, v3
	v_cmp_ne_u64_e32 vcc, 0, v[1:2]
	v_cmp_eq_u32_e64 s[4:5], 0, v20
	s_and_b64 s[8:9], vcc, s[4:5]
	; wave barrier
	s_and_saveexec_b64 s[4:5], s[8:9]
	s_cbranch_execz .LBB1428_87
; %bb.86:
	v_bcnt_u32_b32 v1, v1, 0
	v_bcnt_u32_b32 v1, v2, v1
	s_waitcnt lgkmcnt(0)
	v_add_u32_e32 v1, v19, v1
	ds_write_b32 v28, v1 offset:32
.LBB1428_87:
	s_or_b64 exec, exec, s[4:5]
	v_xor_b32_e32 v36, 0xffff8000, v21
	v_lshrrev_b32_sdwa v1, s40, v36 dst_sel:DWORD dst_unused:UNUSED_PAD src0_sel:DWORD src1_sel:WORD_0
	v_and_b32_e32 v3, s16, v1
	v_and_b32_e32 v2, 1, v3
	v_add_co_u32_e32 v4, vcc, -1, v2
	v_addc_co_u32_e64 v22, s[4:5], 0, -1, vcc
	v_cmp_ne_u32_e32 vcc, 0, v2
	v_xor_b32_e32 v2, vcc_hi, v22
	v_mov_b32_e32 v1, 0
	v_and_b32_e32 v22, exec_hi, v2
	v_lshlrev_b32_e32 v2, 30, v3
	v_xor_b32_e32 v4, vcc_lo, v4
	v_cmp_gt_i64_e32 vcc, 0, v[1:2]
	v_not_b32_e32 v2, v2
	v_ashrrev_i32_e32 v2, 31, v2
	v_and_b32_e32 v4, exec_lo, v4
	v_xor_b32_e32 v26, vcc_hi, v2
	v_xor_b32_e32 v2, vcc_lo, v2
	v_and_b32_e32 v4, v4, v2
	v_lshlrev_b32_e32 v2, 29, v3
	v_cmp_gt_i64_e32 vcc, 0, v[1:2]
	v_not_b32_e32 v2, v2
	v_ashrrev_i32_e32 v2, 31, v2
	v_and_b32_e32 v22, v22, v26
	v_xor_b32_e32 v26, vcc_hi, v2
	v_xor_b32_e32 v2, vcc_lo, v2
	v_and_b32_e32 v4, v4, v2
	v_lshlrev_b32_e32 v2, 28, v3
	v_cmp_gt_i64_e32 vcc, 0, v[1:2]
	v_not_b32_e32 v2, v2
	v_ashrrev_i32_e32 v2, 31, v2
	v_and_b32_e32 v22, v22, v26
	;; [unrolled: 8-line block ×5, first 2 shown]
	v_xor_b32_e32 v26, vcc_hi, v2
	v_xor_b32_e32 v2, vcc_lo, v2
	v_and_b32_e32 v4, v4, v2
	v_lshlrev_b32_e32 v2, 24, v3
	v_cmp_gt_i64_e32 vcc, 0, v[1:2]
	v_not_b32_e32 v2, v2
	v_ashrrev_i32_e32 v2, 31, v2
	v_mad_u32_u24 v29, v3, 36, v24
	v_xor_b32_e32 v3, vcc_hi, v2
	v_xor_b32_e32 v2, vcc_lo, v2
	; wave barrier
	ds_read_b32 v21, v29 offset:32
	v_and_b32_e32 v22, v22, v26
	v_and_b32_e32 v2, v4, v2
	;; [unrolled: 1-line block ×3, first 2 shown]
	v_mbcnt_lo_u32_b32 v4, v2, 0
	v_mbcnt_hi_u32_b32 v22, v3, v4
	v_cmp_ne_u64_e32 vcc, 0, v[2:3]
	v_cmp_eq_u32_e64 s[4:5], 0, v22
	s_and_b64 s[8:9], vcc, s[4:5]
	; wave barrier
	s_and_saveexec_b64 s[4:5], s[8:9]
	s_cbranch_execz .LBB1428_89
; %bb.88:
	v_bcnt_u32_b32 v2, v2, 0
	v_bcnt_u32_b32 v2, v3, v2
	s_waitcnt lgkmcnt(0)
	v_add_u32_e32 v2, v21, v2
	ds_write_b32 v29, v2 offset:32
.LBB1428_89:
	s_or_b64 exec, exec, s[4:5]
	v_xor_b32_e32 v37, 0xffff8000, v23
	v_lshrrev_b32_sdwa v2, s40, v37 dst_sel:DWORD dst_unused:UNUSED_PAD src0_sel:DWORD src1_sel:WORD_0
	v_and_b32_e32 v3, s16, v2
	v_and_b32_e32 v2, 1, v3
	v_add_co_u32_e32 v4, vcc, -1, v2
	v_mad_u32_u24 v35, v3, 36, v24
	v_addc_co_u32_e64 v24, s[4:5], 0, -1, vcc
	v_cmp_ne_u32_e32 vcc, 0, v2
	v_xor_b32_e32 v2, vcc_hi, v24
	v_and_b32_e32 v24, exec_hi, v2
	v_lshlrev_b32_e32 v2, 30, v3
	v_xor_b32_e32 v4, vcc_lo, v4
	v_cmp_gt_i64_e32 vcc, 0, v[1:2]
	v_not_b32_e32 v2, v2
	v_ashrrev_i32_e32 v2, 31, v2
	v_and_b32_e32 v4, exec_lo, v4
	v_xor_b32_e32 v26, vcc_hi, v2
	v_xor_b32_e32 v2, vcc_lo, v2
	v_and_b32_e32 v4, v4, v2
	v_lshlrev_b32_e32 v2, 29, v3
	v_cmp_gt_i64_e32 vcc, 0, v[1:2]
	v_not_b32_e32 v2, v2
	v_ashrrev_i32_e32 v2, 31, v2
	v_and_b32_e32 v24, v24, v26
	v_xor_b32_e32 v26, vcc_hi, v2
	v_xor_b32_e32 v2, vcc_lo, v2
	v_and_b32_e32 v4, v4, v2
	v_lshlrev_b32_e32 v2, 28, v3
	v_cmp_gt_i64_e32 vcc, 0, v[1:2]
	v_not_b32_e32 v2, v2
	v_ashrrev_i32_e32 v2, 31, v2
	v_and_b32_e32 v24, v24, v26
	;; [unrolled: 8-line block ×5, first 2 shown]
	v_xor_b32_e32 v26, vcc_hi, v2
	v_xor_b32_e32 v2, vcc_lo, v2
	v_and_b32_e32 v4, v4, v2
	v_lshlrev_b32_e32 v2, 24, v3
	v_cmp_gt_i64_e32 vcc, 0, v[1:2]
	v_not_b32_e32 v1, v2
	v_ashrrev_i32_e32 v1, 31, v1
	v_xor_b32_e32 v2, vcc_hi, v1
	v_xor_b32_e32 v1, vcc_lo, v1
	; wave barrier
	ds_read_b32 v23, v35 offset:32
	v_and_b32_e32 v24, v24, v26
	v_and_b32_e32 v1, v4, v1
	;; [unrolled: 1-line block ×3, first 2 shown]
	v_mbcnt_lo_u32_b32 v3, v1, 0
	v_mbcnt_hi_u32_b32 v26, v2, v3
	v_cmp_ne_u64_e32 vcc, 0, v[1:2]
	v_cmp_eq_u32_e64 s[4:5], 0, v26
	s_and_b64 s[8:9], vcc, s[4:5]
	; wave barrier
	s_and_saveexec_b64 s[4:5], s[8:9]
	s_cbranch_execz .LBB1428_91
; %bb.90:
	v_bcnt_u32_b32 v1, v1, 0
	v_bcnt_u32_b32 v1, v2, v1
	s_waitcnt lgkmcnt(0)
	v_add_u32_e32 v1, v23, v1
	ds_write_b32 v35, v1 offset:32
.LBB1428_91:
	s_or_b64 exec, exec, s[4:5]
	; wave barrier
	s_waitcnt lgkmcnt(0)
	s_barrier
	ds_read2_b32 v[3:4], v12 offset0:8 offset1:9
	ds_read2_b32 v[1:2], v12 offset0:10 offset1:11
	ds_read_b32 v24, v12 offset:48
	v_min_u32_e32 v9, 0x1c0, v9
	v_or_b32_e32 v9, 63, v9
	s_waitcnt lgkmcnt(1)
	v_add3_u32 v31, v4, v3, v1
	s_waitcnt lgkmcnt(0)
	v_add3_u32 v24, v31, v2, v24
	v_and_b32_e32 v31, 15, v6
	v_cmp_ne_u32_e32 vcc, 0, v31
	v_mov_b32_dpp v32, v24 row_shr:1 row_mask:0xf bank_mask:0xf
	v_cndmask_b32_e32 v32, 0, v32, vcc
	v_add_u32_e32 v24, v32, v24
	v_cmp_lt_u32_e32 vcc, 1, v31
	s_nop 0
	v_mov_b32_dpp v32, v24 row_shr:2 row_mask:0xf bank_mask:0xf
	v_cndmask_b32_e32 v32, 0, v32, vcc
	v_add_u32_e32 v24, v24, v32
	v_cmp_lt_u32_e32 vcc, 3, v31
	s_nop 0
	;; [unrolled: 5-line block ×3, first 2 shown]
	v_mov_b32_dpp v32, v24 row_shr:8 row_mask:0xf bank_mask:0xf
	v_cndmask_b32_e32 v31, 0, v32, vcc
	v_add_u32_e32 v24, v24, v31
	v_bfe_i32 v32, v6, 4, 1
	v_cmp_lt_u32_e32 vcc, 31, v6
	v_mov_b32_dpp v31, v24 row_bcast:15 row_mask:0xf bank_mask:0xf
	v_and_b32_e32 v31, v32, v31
	v_add_u32_e32 v24, v24, v31
	v_lshrrev_b32_e32 v32, 6, v0
	s_nop 0
	v_mov_b32_dpp v31, v24 row_bcast:31 row_mask:0xf bank_mask:0xf
	v_cndmask_b32_e32 v31, 0, v31, vcc
	v_add_u32_e32 v31, v24, v31
	v_cmp_eq_u32_e32 vcc, v0, v9
	s_and_saveexec_b64 s[4:5], vcc
; %bb.92:
	v_lshlrev_b32_e32 v9, 2, v32
	ds_write_b32 v9, v31
; %bb.93:
	s_or_b64 exec, exec, s[4:5]
	v_cmp_gt_u32_e32 vcc, 8, v0
	v_lshlrev_b32_e32 v24, 2, v0
	s_waitcnt lgkmcnt(0)
	s_barrier
	s_and_saveexec_b64 s[4:5], vcc
	s_cbranch_execz .LBB1428_95
; %bb.94:
	ds_read_b32 v9, v24
	v_and_b32_e32 v33, 7, v6
	v_cmp_ne_u32_e32 vcc, 0, v33
	s_waitcnt lgkmcnt(0)
	v_mov_b32_dpp v34, v9 row_shr:1 row_mask:0xf bank_mask:0xf
	v_cndmask_b32_e32 v34, 0, v34, vcc
	v_add_u32_e32 v9, v34, v9
	v_cmp_lt_u32_e32 vcc, 1, v33
	s_nop 0
	v_mov_b32_dpp v34, v9 row_shr:2 row_mask:0xf bank_mask:0xf
	v_cndmask_b32_e32 v34, 0, v34, vcc
	v_add_u32_e32 v9, v9, v34
	v_cmp_lt_u32_e32 vcc, 3, v33
	s_nop 0
	v_mov_b32_dpp v34, v9 row_shr:4 row_mask:0xf bank_mask:0xf
	v_cndmask_b32_e32 v33, 0, v34, vcc
	v_add_u32_e32 v9, v9, v33
	ds_write_b32 v24, v9
.LBB1428_95:
	s_or_b64 exec, exec, s[4:5]
	v_cmp_lt_u32_e32 vcc, 63, v0
	v_mov_b32_e32 v9, 0
	s_waitcnt lgkmcnt(0)
	s_barrier
	s_and_saveexec_b64 s[4:5], vcc
; %bb.96:
	v_lshl_add_u32 v9, v32, 2, -4
	ds_read_b32 v9, v9
; %bb.97:
	s_or_b64 exec, exec, s[4:5]
	v_subrev_co_u32_e32 v32, vcc, 1, v6
	v_and_b32_e32 v33, 64, v6
	v_cmp_lt_i32_e64 s[4:5], v32, v33
	v_cndmask_b32_e64 v6, v32, v6, s[4:5]
	s_waitcnt lgkmcnt(0)
	v_add_u32_e32 v31, v9, v31
	v_lshlrev_b32_e32 v6, 2, v6
	ds_bpermute_b32 v6, v6, v31
	s_movk_i32 s4, 0xff
	s_movk_i32 s8, 0x100
	s_waitcnt lgkmcnt(0)
	v_cndmask_b32_e32 v6, v6, v9, vcc
	v_cmp_ne_u32_e32 vcc, 0, v0
	v_cndmask_b32_e32 v6, 0, v6, vcc
	v_add_u32_e32 v3, v6, v3
	v_add_u32_e32 v4, v3, v4
	;; [unrolled: 1-line block ×4, first 2 shown]
	ds_write2_b32 v12, v6, v3 offset0:8 offset1:9
	ds_write2_b32 v12, v4, v1 offset0:10 offset1:11
	ds_write_b32 v12, v2 offset:48
	s_waitcnt lgkmcnt(0)
	s_barrier
	ds_read_b32 v1, v13 offset:32
	ds_read_b32 v31, v14 offset:32
	;; [unrolled: 1-line block ×6, first 2 shown]
	v_cmp_lt_u32_e32 vcc, s4, v0
	v_cmp_gt_u32_e64 s[4:5], s8, v0
                                        ; implicit-def: $vgpr27
                                        ; implicit-def: $vgpr28
	s_and_saveexec_b64 s[10:11], s[4:5]
	s_cbranch_execz .LBB1428_101
; %bb.98:
	v_mul_u32_u24_e32 v2, 36, v0
	ds_read_b32 v27, v2 offset:32
	v_add_u32_e32 v3, 1, v0
	v_cmp_ne_u32_e64 s[8:9], s8, v3
	v_mov_b32_e32 v2, 0xc00
	s_and_saveexec_b64 s[12:13], s[8:9]
; %bb.99:
	v_mul_u32_u24_e32 v2, 36, v3
	ds_read_b32 v2, v2 offset:32
; %bb.100:
	s_or_b64 exec, exec, s[12:13]
	s_waitcnt lgkmcnt(0)
	v_sub_u32_e32 v28, v2, v27
.LBB1428_101:
	s_or_b64 exec, exec, s[10:11]
	s_waitcnt lgkmcnt(5)
	v_add_u32_e32 v29, v1, v11
	v_add_u32_e32 v9, v16, v15
	v_lshlrev_b32_e32 v1, 1, v29
	v_add_u32_e32 v6, v18, v17
	s_waitcnt lgkmcnt(0)
	s_barrier
	ds_write_b16 v1, v10 offset:1024
	v_add_lshl_u32 v1, v9, v31, 1
	v_add_u32_e32 v4, v20, v19
	ds_write_b16 v1, v5 offset:1024
	v_add_lshl_u32 v1, v6, v32, 1
	v_add_u32_e32 v3, v22, v21
	;; [unrolled: 3-line block ×3, first 2 shown]
	ds_write_b16 v1, v30 offset:1024
	v_add_lshl_u32 v1, v3, v34, 1
	ds_write_b16 v1, v36 offset:1024
	v_add_lshl_u32 v1, v2, v35, 1
	v_mov_b32_e32 v2, 0
	ds_write_b16 v1, v37 offset:1024
	s_and_saveexec_b64 s[8:9], s[4:5]
	s_cbranch_execz .LBB1428_111
; %bb.102:
	v_lshl_add_u32 v1, s6, 8, v0
	v_lshlrev_b64 v[3:4], 2, v[1:2]
	v_mov_b32_e32 v9, s45
	v_add_co_u32_e64 v3, s[4:5], s44, v3
	v_addc_co_u32_e64 v4, s[4:5], v9, v4, s[4:5]
	v_or_b32_e32 v1, 2.0, v28
	s_mov_b64 s[10:11], 0
	s_brev_b32 s17, -4
	s_mov_b32 s18, s6
	v_mov_b32_e32 v10, 0
	global_store_dword v[3:4], v1, off
                                        ; implicit-def: $sgpr4_sgpr5
	s_branch .LBB1428_105
.LBB1428_103:                           ;   in Loop: Header=BB1428_105 Depth=1
	s_or_b64 exec, exec, s[14:15]
.LBB1428_104:                           ;   in Loop: Header=BB1428_105 Depth=1
	s_or_b64 exec, exec, s[12:13]
	v_and_b32_e32 v5, 0x3fffffff, v1
	v_add_u32_e32 v10, v5, v10
	v_cmp_gt_i32_e64 s[4:5], -2.0, v1
	s_and_b64 s[12:13], exec, s[4:5]
	s_or_b64 s[10:11], s[12:13], s[10:11]
	s_andn2_b64 exec, exec, s[10:11]
	s_cbranch_execz .LBB1428_110
.LBB1428_105:                           ; =>This Loop Header: Depth=1
                                        ;     Child Loop BB1428_108 Depth 2
	s_or_b64 s[4:5], s[4:5], exec
	s_cmp_eq_u32 s18, 0
	s_cbranch_scc1 .LBB1428_109
; %bb.106:                              ;   in Loop: Header=BB1428_105 Depth=1
	s_add_i32 s18, s18, -1
	v_lshl_or_b32 v1, s18, 8, v0
	v_lshlrev_b64 v[5:6], 2, v[1:2]
	v_add_co_u32_e64 v5, s[4:5], s44, v5
	v_addc_co_u32_e64 v6, s[4:5], v9, v6, s[4:5]
	global_load_dword v1, v[5:6], off glc
	s_waitcnt vmcnt(0)
	v_cmp_gt_u32_e64 s[4:5], 2.0, v1
	s_and_saveexec_b64 s[12:13], s[4:5]
	s_cbranch_execz .LBB1428_104
; %bb.107:                              ;   in Loop: Header=BB1428_105 Depth=1
	s_mov_b64 s[14:15], 0
.LBB1428_108:                           ;   Parent Loop BB1428_105 Depth=1
                                        ; =>  This Inner Loop Header: Depth=2
	global_load_dword v1, v[5:6], off glc
	s_waitcnt vmcnt(0)
	v_cmp_lt_u32_e64 s[4:5], s17, v1
	s_or_b64 s[14:15], s[4:5], s[14:15]
	s_andn2_b64 exec, exec, s[14:15]
	s_cbranch_execnz .LBB1428_108
	s_branch .LBB1428_103
.LBB1428_109:                           ;   in Loop: Header=BB1428_105 Depth=1
                                        ; implicit-def: $sgpr18
	s_and_b64 s[12:13], exec, s[4:5]
	s_or_b64 s[10:11], s[12:13], s[10:11]
	s_andn2_b64 exec, exec, s[10:11]
	s_cbranch_execnz .LBB1428_105
.LBB1428_110:
	s_or_b64 exec, exec, s[10:11]
	v_add_u32_e32 v1, v10, v28
	v_or_b32_e32 v1, 0x80000000, v1
	global_store_dword v[3:4], v1, off
	global_load_dword v1, v24, s[36:37]
	v_sub_u32_e32 v2, v10, v27
	s_waitcnt vmcnt(0)
	v_add_u32_e32 v1, v2, v1
	ds_write_b32 v24, v1
.LBB1428_111:
	s_or_b64 exec, exec, s[8:9]
	v_lshlrev_b32_e32 v1, 1, v0
	v_sub_u32_e32 v25, v24, v1
	s_waitcnt lgkmcnt(0)
	s_barrier
	ds_read_u16 v5, v25 offset:1024
	ds_read_u16 v6, v25 offset:2048
	;; [unrolled: 1-line block ×6, first 2 shown]
	s_waitcnt lgkmcnt(5)
	v_lshrrev_b32_sdwa v1, s40, v5 dst_sel:DWORD dst_unused:UNUSED_PAD src0_sel:DWORD src1_sel:WORD_0
	v_and_b32_e32 v30, s16, v1
	s_waitcnt lgkmcnt(4)
	v_lshrrev_b32_sdwa v2, s40, v6 dst_sel:DWORD dst_unused:UNUSED_PAD src0_sel:DWORD src1_sel:WORD_0
	s_waitcnt lgkmcnt(1)
	v_lshrrev_b32_sdwa v13, s40, v11 dst_sel:DWORD dst_unused:UNUSED_PAD src0_sel:DWORD src1_sel:WORD_0
	;; [unrolled: 2-line block ×3, first 2 shown]
	v_lshrrev_b32_sdwa v3, s40, v9 dst_sel:DWORD dst_unused:UNUSED_PAD src0_sel:DWORD src1_sel:WORD_0
	v_lshrrev_b32_sdwa v4, s40, v10 dst_sel:DWORD dst_unused:UNUSED_PAD src0_sel:DWORD src1_sel:WORD_0
	v_and_b32_e32 v41, s16, v13
	v_and_b32_e32 v42, s16, v14
	v_lshlrev_b32_e32 v1, 2, v30
	v_and_b32_e32 v38, s16, v2
	v_and_b32_e32 v39, s16, v3
	;; [unrolled: 1-line block ×3, first 2 shown]
	v_lshlrev_b32_e32 v13, 2, v41
	v_lshlrev_b32_e32 v14, 2, v42
	;; [unrolled: 1-line block ×5, first 2 shown]
	ds_read_b32 v1, v1
	ds_read_b32 v36, v2
	;; [unrolled: 1-line block ×6, first 2 shown]
	s_waitcnt lgkmcnt(5)
	v_add_u32_e32 v1, v1, v0
	v_mov_b32_e32 v2, 0
	v_lshlrev_b64 v[3:4], 1, v[1:2]
	v_mov_b32_e32 v44, s27
	v_add_co_u32_e64 v3, s[4:5], s26, v3
	v_addc_co_u32_e64 v4, s[4:5], v44, v4, s[4:5]
	v_xor_b32_e32 v1, 0xffff8000, v5
	s_movk_i32 s8, 0x200
	global_store_short v[3:4], v1, off
	s_waitcnt lgkmcnt(4)
	v_add3_u32 v1, v0, v36, s8
	v_lshlrev_b64 v[3:4], 1, v[1:2]
	v_mov_b32_e32 v5, s27
	v_add_co_u32_e64 v3, s[4:5], s26, v3
	v_addc_co_u32_e64 v4, s[4:5], v5, v4, s[4:5]
	v_xor_b32_e32 v1, 0xffff8000, v6
	s_movk_i32 s4, 0x400
	global_store_short v[3:4], v1, off
	s_waitcnt lgkmcnt(3)
	v_add3_u32 v1, v37, v0, s4
	v_lshlrev_b64 v[3:4], 1, v[1:2]
	v_xor_b32_e32 v1, 0xffff8000, v9
	v_add_co_u32_e64 v3, s[4:5], s26, v3
	v_addc_co_u32_e64 v4, s[4:5], v5, v4, s[4:5]
	s_movk_i32 s4, 0x600
	global_store_short v[3:4], v1, off
	s_waitcnt lgkmcnt(2)
	v_add3_u32 v1, v0, v43, s4
	v_lshlrev_b64 v[3:4], 1, v[1:2]
	v_mov_b32_e32 v1, s27
	v_add_co_u32_e64 v3, s[4:5], s26, v3
	v_addc_co_u32_e64 v4, s[4:5], v1, v4, s[4:5]
	s_movk_i32 s4, 0x800
	v_xor_b32_e32 v5, 0xffff8000, v10
	s_waitcnt lgkmcnt(1)
	v_add3_u32 v1, v13, v0, s4
	global_store_short v[3:4], v5, off
	v_lshlrev_b64 v[3:4], 1, v[1:2]
	v_mov_b32_e32 v1, s27
	v_add_co_u32_e64 v3, s[4:5], s26, v3
	v_addc_co_u32_e64 v4, s[4:5], v1, v4, s[4:5]
	s_movk_i32 s4, 0xa00
	v_xor_b32_e32 v5, 0xffff8000, v11
	s_waitcnt lgkmcnt(0)
	v_add3_u32 v1, v0, v14, s4
	global_store_short v[3:4], v5, off
	v_lshlrev_b64 v[3:4], 1, v[1:2]
	v_mov_b32_e32 v1, s27
	v_add_co_u32_e64 v3, s[4:5], s26, v3
	v_addc_co_u32_e64 v4, s[4:5], v1, v4, s[4:5]
	s_lshl_b64 s[4:5], s[34:35], 3
	s_add_u32 s4, s28, s4
	v_xor_b32_e32 v5, 0xffff8000, v12
	s_addc_u32 s5, s29, s5
	v_lshlrev_b32_e32 v1, 3, v8
	global_store_short v[3:4], v5, off
	v_mov_b32_e32 v3, s5
	v_add_co_u32_e64 v1, s[4:5], s4, v1
	v_addc_co_u32_e64 v3, s[4:5], 0, v3, s[4:5]
	v_lshlrev_b32_e32 v4, 3, v7
	v_add_co_u32_e64 v36, s[4:5], v1, v4
	v_addc_co_u32_e64 v37, s[4:5], 0, v3, s[4:5]
	global_load_dwordx2 v[3:4], v[36:37], off
	global_load_dwordx2 v[5:6], v[36:37], off offset:512
	global_load_dwordx2 v[7:8], v[36:37], off offset:1024
	global_load_dwordx2 v[9:10], v[36:37], off offset:1536
	global_load_dwordx2 v[11:12], v[36:37], off offset:2048
	global_load_dwordx2 v[13:14], v[36:37], off offset:2560
	v_mul_u32_u24_e32 v1, 6, v0
	v_add3_u32 v23, v26, v35, v23
	v_add3_u32 v21, v22, v34, v21
	;; [unrolled: 1-line block ×5, first 2 shown]
	s_mov_b32 s9, 0
	s_mov_b32 s10, 0
	v_add_u32_e32 v16, v25, v1
	v_mov_b32_e32 v18, s31
	buffer_store_dword v30, off, s[0:3], 0
	buffer_store_dword v38, off, s[0:3], 0 offset:4
	buffer_store_dword v39, off, s[0:3], 0 offset:8
	buffer_store_dword v40, off, s[0:3], 0 offset:12
	buffer_store_dword v41, off, s[0:3], 0 offset:16
	buffer_store_dword v42, off, s[0:3], 0 offset:20
	s_waitcnt vmcnt(0)
	s_barrier
.LBB1428_112:                           ; =>This Inner Loop Header: Depth=1
	v_add_u32_e32 v1, s10, v29
	v_add_u32_e32 v20, s10, v15
	;; [unrolled: 1-line block ×6, first 2 shown]
	v_min_u32_e32 v1, 0x400, v1
	v_min_u32_e32 v20, 0x400, v20
	v_mov_b32_e32 v31, s9
	v_min_u32_e32 v22, 0x400, v22
	v_min_u32_e32 v25, 0x400, v25
	v_min_u32_e32 v26, 0x400, v26
	v_min_u32_e32 v30, 0x400, v30
	v_lshlrev_b32_e32 v1, 3, v1
	v_lshlrev_b32_e32 v20, 3, v20
	;; [unrolled: 1-line block ×6, first 2 shown]
	ds_write_b64 v1, v[3:4] offset:1024
	ds_write_b64 v20, v[5:6] offset:1024
	;; [unrolled: 1-line block ×6, first 2 shown]
	s_waitcnt lgkmcnt(0)
	s_barrier
	buffer_load_dword v1, v31, s[0:3], 0 offen
	buffer_load_dword v20, v31, s[0:3], 0 offen offset:4
	ds_read2st64_b64 v[30:33], v16 offset0:2 offset1:10
	s_addk_i32 s10, 0xfc00
	s_add_i32 s9, s9, 8
	s_cmpk_lg_i32 s10, 0xf400
	s_waitcnt vmcnt(1)
	v_lshlrev_b32_e32 v1, 2, v1
	s_waitcnt vmcnt(0)
	v_lshlrev_b32_e32 v20, 2, v20
	ds_read_b32 v1, v1
	ds_read_b32 v20, v20
	s_waitcnt lgkmcnt(1)
	v_add_u32_e32 v1, v0, v1
	v_lshlrev_b64 v[25:26], 3, v[1:2]
	s_waitcnt lgkmcnt(0)
	v_add3_u32 v1, v0, v20, s8
	v_lshlrev_b64 v[34:35], 3, v[1:2]
	v_add_co_u32_e64 v25, s[4:5], s30, v25
	v_addc_co_u32_e64 v26, s[4:5], v18, v26, s[4:5]
	global_store_dwordx2 v[25:26], v[30:31], off
	v_add_co_u32_e64 v25, s[4:5], s30, v34
	v_add_u32_e32 v0, 0x400, v0
	v_addc_co_u32_e64 v26, s[4:5], v18, v35, s[4:5]
	global_store_dwordx2 v[25:26], v[32:33], off
	s_waitcnt vmcnt(0)
	s_barrier
	s_cbranch_scc1 .LBB1428_112
; %bb.113:
	s_add_i32 s7, s7, -1
	s_cmp_eq_u32 s6, s7
	s_cselect_b64 s[4:5], -1, 0
	s_xor_b64 s[6:7], vcc, -1
	s_and_b64 s[4:5], s[6:7], s[4:5]
	s_and_saveexec_b64 s[6:7], s[4:5]
	s_cbranch_execz .LBB1428_115
; %bb.114:
	ds_read_b32 v0, v24
	s_waitcnt lgkmcnt(0)
	v_add3_u32 v0, v27, v28, v0
	global_store_dword v24, v0, s[38:39]
.LBB1428_115:
	s_endpgm
	.section	.rodata,"a",@progbits
	.p2align	6, 0x0
	.amdhsa_kernel _ZN7rocprim17ROCPRIM_400000_NS6detail17trampoline_kernelINS0_14default_configENS1_35radix_sort_onesweep_config_selectorIslEEZZNS1_29radix_sort_onesweep_iterationIS3_Lb0EPsS7_N6thrust23THRUST_200600_302600_NS10device_ptrIlEESB_jNS0_19identity_decomposerENS1_16block_id_wrapperIjLb0EEEEE10hipError_tT1_PNSt15iterator_traitsISG_E10value_typeET2_T3_PNSH_ISM_E10value_typeET4_T5_PSR_SS_PNS1_23onesweep_lookback_stateEbbT6_jjT7_P12ihipStream_tbENKUlT_T0_SG_SL_E_clIS7_S7_SB_SB_EEDaSZ_S10_SG_SL_EUlSZ_E_NS1_11comp_targetILNS1_3genE2ELNS1_11target_archE906ELNS1_3gpuE6ELNS1_3repE0EEENS1_47radix_sort_onesweep_sort_config_static_selectorELNS0_4arch9wavefront6targetE1EEEvSG_
		.amdhsa_group_segment_fixed_size 10280
		.amdhsa_private_segment_fixed_size 32
		.amdhsa_kernarg_size 344
		.amdhsa_user_sgpr_count 6
		.amdhsa_user_sgpr_private_segment_buffer 1
		.amdhsa_user_sgpr_dispatch_ptr 0
		.amdhsa_user_sgpr_queue_ptr 0
		.amdhsa_user_sgpr_kernarg_segment_ptr 1
		.amdhsa_user_sgpr_dispatch_id 0
		.amdhsa_user_sgpr_flat_scratch_init 0
		.amdhsa_user_sgpr_private_segment_size 0
		.amdhsa_uses_dynamic_stack 0
		.amdhsa_system_sgpr_private_segment_wavefront_offset 1
		.amdhsa_system_sgpr_workgroup_id_x 1
		.amdhsa_system_sgpr_workgroup_id_y 0
		.amdhsa_system_sgpr_workgroup_id_z 0
		.amdhsa_system_sgpr_workgroup_info 0
		.amdhsa_system_vgpr_workitem_id 2
		.amdhsa_next_free_vgpr 45
		.amdhsa_next_free_sgpr 53
		.amdhsa_reserve_vcc 1
		.amdhsa_reserve_flat_scratch 0
		.amdhsa_float_round_mode_32 0
		.amdhsa_float_round_mode_16_64 0
		.amdhsa_float_denorm_mode_32 3
		.amdhsa_float_denorm_mode_16_64 3
		.amdhsa_dx10_clamp 1
		.amdhsa_ieee_mode 1
		.amdhsa_fp16_overflow 0
		.amdhsa_exception_fp_ieee_invalid_op 0
		.amdhsa_exception_fp_denorm_src 0
		.amdhsa_exception_fp_ieee_div_zero 0
		.amdhsa_exception_fp_ieee_overflow 0
		.amdhsa_exception_fp_ieee_underflow 0
		.amdhsa_exception_fp_ieee_inexact 0
		.amdhsa_exception_int_div_zero 0
	.end_amdhsa_kernel
	.section	.text._ZN7rocprim17ROCPRIM_400000_NS6detail17trampoline_kernelINS0_14default_configENS1_35radix_sort_onesweep_config_selectorIslEEZZNS1_29radix_sort_onesweep_iterationIS3_Lb0EPsS7_N6thrust23THRUST_200600_302600_NS10device_ptrIlEESB_jNS0_19identity_decomposerENS1_16block_id_wrapperIjLb0EEEEE10hipError_tT1_PNSt15iterator_traitsISG_E10value_typeET2_T3_PNSH_ISM_E10value_typeET4_T5_PSR_SS_PNS1_23onesweep_lookback_stateEbbT6_jjT7_P12ihipStream_tbENKUlT_T0_SG_SL_E_clIS7_S7_SB_SB_EEDaSZ_S10_SG_SL_EUlSZ_E_NS1_11comp_targetILNS1_3genE2ELNS1_11target_archE906ELNS1_3gpuE6ELNS1_3repE0EEENS1_47radix_sort_onesweep_sort_config_static_selectorELNS0_4arch9wavefront6targetE1EEEvSG_,"axG",@progbits,_ZN7rocprim17ROCPRIM_400000_NS6detail17trampoline_kernelINS0_14default_configENS1_35radix_sort_onesweep_config_selectorIslEEZZNS1_29radix_sort_onesweep_iterationIS3_Lb0EPsS7_N6thrust23THRUST_200600_302600_NS10device_ptrIlEESB_jNS0_19identity_decomposerENS1_16block_id_wrapperIjLb0EEEEE10hipError_tT1_PNSt15iterator_traitsISG_E10value_typeET2_T3_PNSH_ISM_E10value_typeET4_T5_PSR_SS_PNS1_23onesweep_lookback_stateEbbT6_jjT7_P12ihipStream_tbENKUlT_T0_SG_SL_E_clIS7_S7_SB_SB_EEDaSZ_S10_SG_SL_EUlSZ_E_NS1_11comp_targetILNS1_3genE2ELNS1_11target_archE906ELNS1_3gpuE6ELNS1_3repE0EEENS1_47radix_sort_onesweep_sort_config_static_selectorELNS0_4arch9wavefront6targetE1EEEvSG_,comdat
.Lfunc_end1428:
	.size	_ZN7rocprim17ROCPRIM_400000_NS6detail17trampoline_kernelINS0_14default_configENS1_35radix_sort_onesweep_config_selectorIslEEZZNS1_29radix_sort_onesweep_iterationIS3_Lb0EPsS7_N6thrust23THRUST_200600_302600_NS10device_ptrIlEESB_jNS0_19identity_decomposerENS1_16block_id_wrapperIjLb0EEEEE10hipError_tT1_PNSt15iterator_traitsISG_E10value_typeET2_T3_PNSH_ISM_E10value_typeET4_T5_PSR_SS_PNS1_23onesweep_lookback_stateEbbT6_jjT7_P12ihipStream_tbENKUlT_T0_SG_SL_E_clIS7_S7_SB_SB_EEDaSZ_S10_SG_SL_EUlSZ_E_NS1_11comp_targetILNS1_3genE2ELNS1_11target_archE906ELNS1_3gpuE6ELNS1_3repE0EEENS1_47radix_sort_onesweep_sort_config_static_selectorELNS0_4arch9wavefront6targetE1EEEvSG_, .Lfunc_end1428-_ZN7rocprim17ROCPRIM_400000_NS6detail17trampoline_kernelINS0_14default_configENS1_35radix_sort_onesweep_config_selectorIslEEZZNS1_29radix_sort_onesweep_iterationIS3_Lb0EPsS7_N6thrust23THRUST_200600_302600_NS10device_ptrIlEESB_jNS0_19identity_decomposerENS1_16block_id_wrapperIjLb0EEEEE10hipError_tT1_PNSt15iterator_traitsISG_E10value_typeET2_T3_PNSH_ISM_E10value_typeET4_T5_PSR_SS_PNS1_23onesweep_lookback_stateEbbT6_jjT7_P12ihipStream_tbENKUlT_T0_SG_SL_E_clIS7_S7_SB_SB_EEDaSZ_S10_SG_SL_EUlSZ_E_NS1_11comp_targetILNS1_3genE2ELNS1_11target_archE906ELNS1_3gpuE6ELNS1_3repE0EEENS1_47radix_sort_onesweep_sort_config_static_selectorELNS0_4arch9wavefront6targetE1EEEvSG_
                                        ; -- End function
	.set _ZN7rocprim17ROCPRIM_400000_NS6detail17trampoline_kernelINS0_14default_configENS1_35radix_sort_onesweep_config_selectorIslEEZZNS1_29radix_sort_onesweep_iterationIS3_Lb0EPsS7_N6thrust23THRUST_200600_302600_NS10device_ptrIlEESB_jNS0_19identity_decomposerENS1_16block_id_wrapperIjLb0EEEEE10hipError_tT1_PNSt15iterator_traitsISG_E10value_typeET2_T3_PNSH_ISM_E10value_typeET4_T5_PSR_SS_PNS1_23onesweep_lookback_stateEbbT6_jjT7_P12ihipStream_tbENKUlT_T0_SG_SL_E_clIS7_S7_SB_SB_EEDaSZ_S10_SG_SL_EUlSZ_E_NS1_11comp_targetILNS1_3genE2ELNS1_11target_archE906ELNS1_3gpuE6ELNS1_3repE0EEENS1_47radix_sort_onesweep_sort_config_static_selectorELNS0_4arch9wavefront6targetE1EEEvSG_.num_vgpr, 45
	.set _ZN7rocprim17ROCPRIM_400000_NS6detail17trampoline_kernelINS0_14default_configENS1_35radix_sort_onesweep_config_selectorIslEEZZNS1_29radix_sort_onesweep_iterationIS3_Lb0EPsS7_N6thrust23THRUST_200600_302600_NS10device_ptrIlEESB_jNS0_19identity_decomposerENS1_16block_id_wrapperIjLb0EEEEE10hipError_tT1_PNSt15iterator_traitsISG_E10value_typeET2_T3_PNSH_ISM_E10value_typeET4_T5_PSR_SS_PNS1_23onesweep_lookback_stateEbbT6_jjT7_P12ihipStream_tbENKUlT_T0_SG_SL_E_clIS7_S7_SB_SB_EEDaSZ_S10_SG_SL_EUlSZ_E_NS1_11comp_targetILNS1_3genE2ELNS1_11target_archE906ELNS1_3gpuE6ELNS1_3repE0EEENS1_47radix_sort_onesweep_sort_config_static_selectorELNS0_4arch9wavefront6targetE1EEEvSG_.num_agpr, 0
	.set _ZN7rocprim17ROCPRIM_400000_NS6detail17trampoline_kernelINS0_14default_configENS1_35radix_sort_onesweep_config_selectorIslEEZZNS1_29radix_sort_onesweep_iterationIS3_Lb0EPsS7_N6thrust23THRUST_200600_302600_NS10device_ptrIlEESB_jNS0_19identity_decomposerENS1_16block_id_wrapperIjLb0EEEEE10hipError_tT1_PNSt15iterator_traitsISG_E10value_typeET2_T3_PNSH_ISM_E10value_typeET4_T5_PSR_SS_PNS1_23onesweep_lookback_stateEbbT6_jjT7_P12ihipStream_tbENKUlT_T0_SG_SL_E_clIS7_S7_SB_SB_EEDaSZ_S10_SG_SL_EUlSZ_E_NS1_11comp_targetILNS1_3genE2ELNS1_11target_archE906ELNS1_3gpuE6ELNS1_3repE0EEENS1_47radix_sort_onesweep_sort_config_static_selectorELNS0_4arch9wavefront6targetE1EEEvSG_.numbered_sgpr, 53
	.set _ZN7rocprim17ROCPRIM_400000_NS6detail17trampoline_kernelINS0_14default_configENS1_35radix_sort_onesweep_config_selectorIslEEZZNS1_29radix_sort_onesweep_iterationIS3_Lb0EPsS7_N6thrust23THRUST_200600_302600_NS10device_ptrIlEESB_jNS0_19identity_decomposerENS1_16block_id_wrapperIjLb0EEEEE10hipError_tT1_PNSt15iterator_traitsISG_E10value_typeET2_T3_PNSH_ISM_E10value_typeET4_T5_PSR_SS_PNS1_23onesweep_lookback_stateEbbT6_jjT7_P12ihipStream_tbENKUlT_T0_SG_SL_E_clIS7_S7_SB_SB_EEDaSZ_S10_SG_SL_EUlSZ_E_NS1_11comp_targetILNS1_3genE2ELNS1_11target_archE906ELNS1_3gpuE6ELNS1_3repE0EEENS1_47radix_sort_onesweep_sort_config_static_selectorELNS0_4arch9wavefront6targetE1EEEvSG_.num_named_barrier, 0
	.set _ZN7rocprim17ROCPRIM_400000_NS6detail17trampoline_kernelINS0_14default_configENS1_35radix_sort_onesweep_config_selectorIslEEZZNS1_29radix_sort_onesweep_iterationIS3_Lb0EPsS7_N6thrust23THRUST_200600_302600_NS10device_ptrIlEESB_jNS0_19identity_decomposerENS1_16block_id_wrapperIjLb0EEEEE10hipError_tT1_PNSt15iterator_traitsISG_E10value_typeET2_T3_PNSH_ISM_E10value_typeET4_T5_PSR_SS_PNS1_23onesweep_lookback_stateEbbT6_jjT7_P12ihipStream_tbENKUlT_T0_SG_SL_E_clIS7_S7_SB_SB_EEDaSZ_S10_SG_SL_EUlSZ_E_NS1_11comp_targetILNS1_3genE2ELNS1_11target_archE906ELNS1_3gpuE6ELNS1_3repE0EEENS1_47radix_sort_onesweep_sort_config_static_selectorELNS0_4arch9wavefront6targetE1EEEvSG_.private_seg_size, 32
	.set _ZN7rocprim17ROCPRIM_400000_NS6detail17trampoline_kernelINS0_14default_configENS1_35radix_sort_onesweep_config_selectorIslEEZZNS1_29radix_sort_onesweep_iterationIS3_Lb0EPsS7_N6thrust23THRUST_200600_302600_NS10device_ptrIlEESB_jNS0_19identity_decomposerENS1_16block_id_wrapperIjLb0EEEEE10hipError_tT1_PNSt15iterator_traitsISG_E10value_typeET2_T3_PNSH_ISM_E10value_typeET4_T5_PSR_SS_PNS1_23onesweep_lookback_stateEbbT6_jjT7_P12ihipStream_tbENKUlT_T0_SG_SL_E_clIS7_S7_SB_SB_EEDaSZ_S10_SG_SL_EUlSZ_E_NS1_11comp_targetILNS1_3genE2ELNS1_11target_archE906ELNS1_3gpuE6ELNS1_3repE0EEENS1_47radix_sort_onesweep_sort_config_static_selectorELNS0_4arch9wavefront6targetE1EEEvSG_.uses_vcc, 1
	.set _ZN7rocprim17ROCPRIM_400000_NS6detail17trampoline_kernelINS0_14default_configENS1_35radix_sort_onesweep_config_selectorIslEEZZNS1_29radix_sort_onesweep_iterationIS3_Lb0EPsS7_N6thrust23THRUST_200600_302600_NS10device_ptrIlEESB_jNS0_19identity_decomposerENS1_16block_id_wrapperIjLb0EEEEE10hipError_tT1_PNSt15iterator_traitsISG_E10value_typeET2_T3_PNSH_ISM_E10value_typeET4_T5_PSR_SS_PNS1_23onesweep_lookback_stateEbbT6_jjT7_P12ihipStream_tbENKUlT_T0_SG_SL_E_clIS7_S7_SB_SB_EEDaSZ_S10_SG_SL_EUlSZ_E_NS1_11comp_targetILNS1_3genE2ELNS1_11target_archE906ELNS1_3gpuE6ELNS1_3repE0EEENS1_47radix_sort_onesweep_sort_config_static_selectorELNS0_4arch9wavefront6targetE1EEEvSG_.uses_flat_scratch, 0
	.set _ZN7rocprim17ROCPRIM_400000_NS6detail17trampoline_kernelINS0_14default_configENS1_35radix_sort_onesweep_config_selectorIslEEZZNS1_29radix_sort_onesweep_iterationIS3_Lb0EPsS7_N6thrust23THRUST_200600_302600_NS10device_ptrIlEESB_jNS0_19identity_decomposerENS1_16block_id_wrapperIjLb0EEEEE10hipError_tT1_PNSt15iterator_traitsISG_E10value_typeET2_T3_PNSH_ISM_E10value_typeET4_T5_PSR_SS_PNS1_23onesweep_lookback_stateEbbT6_jjT7_P12ihipStream_tbENKUlT_T0_SG_SL_E_clIS7_S7_SB_SB_EEDaSZ_S10_SG_SL_EUlSZ_E_NS1_11comp_targetILNS1_3genE2ELNS1_11target_archE906ELNS1_3gpuE6ELNS1_3repE0EEENS1_47radix_sort_onesweep_sort_config_static_selectorELNS0_4arch9wavefront6targetE1EEEvSG_.has_dyn_sized_stack, 0
	.set _ZN7rocprim17ROCPRIM_400000_NS6detail17trampoline_kernelINS0_14default_configENS1_35radix_sort_onesweep_config_selectorIslEEZZNS1_29radix_sort_onesweep_iterationIS3_Lb0EPsS7_N6thrust23THRUST_200600_302600_NS10device_ptrIlEESB_jNS0_19identity_decomposerENS1_16block_id_wrapperIjLb0EEEEE10hipError_tT1_PNSt15iterator_traitsISG_E10value_typeET2_T3_PNSH_ISM_E10value_typeET4_T5_PSR_SS_PNS1_23onesweep_lookback_stateEbbT6_jjT7_P12ihipStream_tbENKUlT_T0_SG_SL_E_clIS7_S7_SB_SB_EEDaSZ_S10_SG_SL_EUlSZ_E_NS1_11comp_targetILNS1_3genE2ELNS1_11target_archE906ELNS1_3gpuE6ELNS1_3repE0EEENS1_47radix_sort_onesweep_sort_config_static_selectorELNS0_4arch9wavefront6targetE1EEEvSG_.has_recursion, 0
	.set _ZN7rocprim17ROCPRIM_400000_NS6detail17trampoline_kernelINS0_14default_configENS1_35radix_sort_onesweep_config_selectorIslEEZZNS1_29radix_sort_onesweep_iterationIS3_Lb0EPsS7_N6thrust23THRUST_200600_302600_NS10device_ptrIlEESB_jNS0_19identity_decomposerENS1_16block_id_wrapperIjLb0EEEEE10hipError_tT1_PNSt15iterator_traitsISG_E10value_typeET2_T3_PNSH_ISM_E10value_typeET4_T5_PSR_SS_PNS1_23onesweep_lookback_stateEbbT6_jjT7_P12ihipStream_tbENKUlT_T0_SG_SL_E_clIS7_S7_SB_SB_EEDaSZ_S10_SG_SL_EUlSZ_E_NS1_11comp_targetILNS1_3genE2ELNS1_11target_archE906ELNS1_3gpuE6ELNS1_3repE0EEENS1_47radix_sort_onesweep_sort_config_static_selectorELNS0_4arch9wavefront6targetE1EEEvSG_.has_indirect_call, 0
	.section	.AMDGPU.csdata,"",@progbits
; Kernel info:
; codeLenInByte = 10716
; TotalNumSgprs: 57
; NumVgprs: 45
; ScratchSize: 32
; MemoryBound: 0
; FloatMode: 240
; IeeeMode: 1
; LDSByteSize: 10280 bytes/workgroup (compile time only)
; SGPRBlocks: 7
; VGPRBlocks: 11
; NumSGPRsForWavesPerEU: 57
; NumVGPRsForWavesPerEU: 45
; Occupancy: 5
; WaveLimiterHint : 1
; COMPUTE_PGM_RSRC2:SCRATCH_EN: 1
; COMPUTE_PGM_RSRC2:USER_SGPR: 6
; COMPUTE_PGM_RSRC2:TRAP_HANDLER: 0
; COMPUTE_PGM_RSRC2:TGID_X_EN: 1
; COMPUTE_PGM_RSRC2:TGID_Y_EN: 0
; COMPUTE_PGM_RSRC2:TGID_Z_EN: 0
; COMPUTE_PGM_RSRC2:TIDIG_COMP_CNT: 2
	.section	.text._ZN7rocprim17ROCPRIM_400000_NS6detail17trampoline_kernelINS0_14default_configENS1_35radix_sort_onesweep_config_selectorIslEEZZNS1_29radix_sort_onesweep_iterationIS3_Lb0EPsS7_N6thrust23THRUST_200600_302600_NS10device_ptrIlEESB_jNS0_19identity_decomposerENS1_16block_id_wrapperIjLb0EEEEE10hipError_tT1_PNSt15iterator_traitsISG_E10value_typeET2_T3_PNSH_ISM_E10value_typeET4_T5_PSR_SS_PNS1_23onesweep_lookback_stateEbbT6_jjT7_P12ihipStream_tbENKUlT_T0_SG_SL_E_clIS7_S7_SB_SB_EEDaSZ_S10_SG_SL_EUlSZ_E_NS1_11comp_targetILNS1_3genE4ELNS1_11target_archE910ELNS1_3gpuE8ELNS1_3repE0EEENS1_47radix_sort_onesweep_sort_config_static_selectorELNS0_4arch9wavefront6targetE1EEEvSG_,"axG",@progbits,_ZN7rocprim17ROCPRIM_400000_NS6detail17trampoline_kernelINS0_14default_configENS1_35radix_sort_onesweep_config_selectorIslEEZZNS1_29radix_sort_onesweep_iterationIS3_Lb0EPsS7_N6thrust23THRUST_200600_302600_NS10device_ptrIlEESB_jNS0_19identity_decomposerENS1_16block_id_wrapperIjLb0EEEEE10hipError_tT1_PNSt15iterator_traitsISG_E10value_typeET2_T3_PNSH_ISM_E10value_typeET4_T5_PSR_SS_PNS1_23onesweep_lookback_stateEbbT6_jjT7_P12ihipStream_tbENKUlT_T0_SG_SL_E_clIS7_S7_SB_SB_EEDaSZ_S10_SG_SL_EUlSZ_E_NS1_11comp_targetILNS1_3genE4ELNS1_11target_archE910ELNS1_3gpuE8ELNS1_3repE0EEENS1_47radix_sort_onesweep_sort_config_static_selectorELNS0_4arch9wavefront6targetE1EEEvSG_,comdat
	.protected	_ZN7rocprim17ROCPRIM_400000_NS6detail17trampoline_kernelINS0_14default_configENS1_35radix_sort_onesweep_config_selectorIslEEZZNS1_29radix_sort_onesweep_iterationIS3_Lb0EPsS7_N6thrust23THRUST_200600_302600_NS10device_ptrIlEESB_jNS0_19identity_decomposerENS1_16block_id_wrapperIjLb0EEEEE10hipError_tT1_PNSt15iterator_traitsISG_E10value_typeET2_T3_PNSH_ISM_E10value_typeET4_T5_PSR_SS_PNS1_23onesweep_lookback_stateEbbT6_jjT7_P12ihipStream_tbENKUlT_T0_SG_SL_E_clIS7_S7_SB_SB_EEDaSZ_S10_SG_SL_EUlSZ_E_NS1_11comp_targetILNS1_3genE4ELNS1_11target_archE910ELNS1_3gpuE8ELNS1_3repE0EEENS1_47radix_sort_onesweep_sort_config_static_selectorELNS0_4arch9wavefront6targetE1EEEvSG_ ; -- Begin function _ZN7rocprim17ROCPRIM_400000_NS6detail17trampoline_kernelINS0_14default_configENS1_35radix_sort_onesweep_config_selectorIslEEZZNS1_29radix_sort_onesweep_iterationIS3_Lb0EPsS7_N6thrust23THRUST_200600_302600_NS10device_ptrIlEESB_jNS0_19identity_decomposerENS1_16block_id_wrapperIjLb0EEEEE10hipError_tT1_PNSt15iterator_traitsISG_E10value_typeET2_T3_PNSH_ISM_E10value_typeET4_T5_PSR_SS_PNS1_23onesweep_lookback_stateEbbT6_jjT7_P12ihipStream_tbENKUlT_T0_SG_SL_E_clIS7_S7_SB_SB_EEDaSZ_S10_SG_SL_EUlSZ_E_NS1_11comp_targetILNS1_3genE4ELNS1_11target_archE910ELNS1_3gpuE8ELNS1_3repE0EEENS1_47radix_sort_onesweep_sort_config_static_selectorELNS0_4arch9wavefront6targetE1EEEvSG_
	.globl	_ZN7rocprim17ROCPRIM_400000_NS6detail17trampoline_kernelINS0_14default_configENS1_35radix_sort_onesweep_config_selectorIslEEZZNS1_29radix_sort_onesweep_iterationIS3_Lb0EPsS7_N6thrust23THRUST_200600_302600_NS10device_ptrIlEESB_jNS0_19identity_decomposerENS1_16block_id_wrapperIjLb0EEEEE10hipError_tT1_PNSt15iterator_traitsISG_E10value_typeET2_T3_PNSH_ISM_E10value_typeET4_T5_PSR_SS_PNS1_23onesweep_lookback_stateEbbT6_jjT7_P12ihipStream_tbENKUlT_T0_SG_SL_E_clIS7_S7_SB_SB_EEDaSZ_S10_SG_SL_EUlSZ_E_NS1_11comp_targetILNS1_3genE4ELNS1_11target_archE910ELNS1_3gpuE8ELNS1_3repE0EEENS1_47radix_sort_onesweep_sort_config_static_selectorELNS0_4arch9wavefront6targetE1EEEvSG_
	.p2align	8
	.type	_ZN7rocprim17ROCPRIM_400000_NS6detail17trampoline_kernelINS0_14default_configENS1_35radix_sort_onesweep_config_selectorIslEEZZNS1_29radix_sort_onesweep_iterationIS3_Lb0EPsS7_N6thrust23THRUST_200600_302600_NS10device_ptrIlEESB_jNS0_19identity_decomposerENS1_16block_id_wrapperIjLb0EEEEE10hipError_tT1_PNSt15iterator_traitsISG_E10value_typeET2_T3_PNSH_ISM_E10value_typeET4_T5_PSR_SS_PNS1_23onesweep_lookback_stateEbbT6_jjT7_P12ihipStream_tbENKUlT_T0_SG_SL_E_clIS7_S7_SB_SB_EEDaSZ_S10_SG_SL_EUlSZ_E_NS1_11comp_targetILNS1_3genE4ELNS1_11target_archE910ELNS1_3gpuE8ELNS1_3repE0EEENS1_47radix_sort_onesweep_sort_config_static_selectorELNS0_4arch9wavefront6targetE1EEEvSG_,@function
_ZN7rocprim17ROCPRIM_400000_NS6detail17trampoline_kernelINS0_14default_configENS1_35radix_sort_onesweep_config_selectorIslEEZZNS1_29radix_sort_onesweep_iterationIS3_Lb0EPsS7_N6thrust23THRUST_200600_302600_NS10device_ptrIlEESB_jNS0_19identity_decomposerENS1_16block_id_wrapperIjLb0EEEEE10hipError_tT1_PNSt15iterator_traitsISG_E10value_typeET2_T3_PNSH_ISM_E10value_typeET4_T5_PSR_SS_PNS1_23onesweep_lookback_stateEbbT6_jjT7_P12ihipStream_tbENKUlT_T0_SG_SL_E_clIS7_S7_SB_SB_EEDaSZ_S10_SG_SL_EUlSZ_E_NS1_11comp_targetILNS1_3genE4ELNS1_11target_archE910ELNS1_3gpuE8ELNS1_3repE0EEENS1_47radix_sort_onesweep_sort_config_static_selectorELNS0_4arch9wavefront6targetE1EEEvSG_: ; @_ZN7rocprim17ROCPRIM_400000_NS6detail17trampoline_kernelINS0_14default_configENS1_35radix_sort_onesweep_config_selectorIslEEZZNS1_29radix_sort_onesweep_iterationIS3_Lb0EPsS7_N6thrust23THRUST_200600_302600_NS10device_ptrIlEESB_jNS0_19identity_decomposerENS1_16block_id_wrapperIjLb0EEEEE10hipError_tT1_PNSt15iterator_traitsISG_E10value_typeET2_T3_PNSH_ISM_E10value_typeET4_T5_PSR_SS_PNS1_23onesweep_lookback_stateEbbT6_jjT7_P12ihipStream_tbENKUlT_T0_SG_SL_E_clIS7_S7_SB_SB_EEDaSZ_S10_SG_SL_EUlSZ_E_NS1_11comp_targetILNS1_3genE4ELNS1_11target_archE910ELNS1_3gpuE8ELNS1_3repE0EEENS1_47radix_sort_onesweep_sort_config_static_selectorELNS0_4arch9wavefront6targetE1EEEvSG_
; %bb.0:
	.section	.rodata,"a",@progbits
	.p2align	6, 0x0
	.amdhsa_kernel _ZN7rocprim17ROCPRIM_400000_NS6detail17trampoline_kernelINS0_14default_configENS1_35radix_sort_onesweep_config_selectorIslEEZZNS1_29radix_sort_onesweep_iterationIS3_Lb0EPsS7_N6thrust23THRUST_200600_302600_NS10device_ptrIlEESB_jNS0_19identity_decomposerENS1_16block_id_wrapperIjLb0EEEEE10hipError_tT1_PNSt15iterator_traitsISG_E10value_typeET2_T3_PNSH_ISM_E10value_typeET4_T5_PSR_SS_PNS1_23onesweep_lookback_stateEbbT6_jjT7_P12ihipStream_tbENKUlT_T0_SG_SL_E_clIS7_S7_SB_SB_EEDaSZ_S10_SG_SL_EUlSZ_E_NS1_11comp_targetILNS1_3genE4ELNS1_11target_archE910ELNS1_3gpuE8ELNS1_3repE0EEENS1_47radix_sort_onesweep_sort_config_static_selectorELNS0_4arch9wavefront6targetE1EEEvSG_
		.amdhsa_group_segment_fixed_size 0
		.amdhsa_private_segment_fixed_size 0
		.amdhsa_kernarg_size 88
		.amdhsa_user_sgpr_count 6
		.amdhsa_user_sgpr_private_segment_buffer 1
		.amdhsa_user_sgpr_dispatch_ptr 0
		.amdhsa_user_sgpr_queue_ptr 0
		.amdhsa_user_sgpr_kernarg_segment_ptr 1
		.amdhsa_user_sgpr_dispatch_id 0
		.amdhsa_user_sgpr_flat_scratch_init 0
		.amdhsa_user_sgpr_private_segment_size 0
		.amdhsa_uses_dynamic_stack 0
		.amdhsa_system_sgpr_private_segment_wavefront_offset 0
		.amdhsa_system_sgpr_workgroup_id_x 1
		.amdhsa_system_sgpr_workgroup_id_y 0
		.amdhsa_system_sgpr_workgroup_id_z 0
		.amdhsa_system_sgpr_workgroup_info 0
		.amdhsa_system_vgpr_workitem_id 0
		.amdhsa_next_free_vgpr 1
		.amdhsa_next_free_sgpr 0
		.amdhsa_reserve_vcc 0
		.amdhsa_reserve_flat_scratch 0
		.amdhsa_float_round_mode_32 0
		.amdhsa_float_round_mode_16_64 0
		.amdhsa_float_denorm_mode_32 3
		.amdhsa_float_denorm_mode_16_64 3
		.amdhsa_dx10_clamp 1
		.amdhsa_ieee_mode 1
		.amdhsa_fp16_overflow 0
		.amdhsa_exception_fp_ieee_invalid_op 0
		.amdhsa_exception_fp_denorm_src 0
		.amdhsa_exception_fp_ieee_div_zero 0
		.amdhsa_exception_fp_ieee_overflow 0
		.amdhsa_exception_fp_ieee_underflow 0
		.amdhsa_exception_fp_ieee_inexact 0
		.amdhsa_exception_int_div_zero 0
	.end_amdhsa_kernel
	.section	.text._ZN7rocprim17ROCPRIM_400000_NS6detail17trampoline_kernelINS0_14default_configENS1_35radix_sort_onesweep_config_selectorIslEEZZNS1_29radix_sort_onesweep_iterationIS3_Lb0EPsS7_N6thrust23THRUST_200600_302600_NS10device_ptrIlEESB_jNS0_19identity_decomposerENS1_16block_id_wrapperIjLb0EEEEE10hipError_tT1_PNSt15iterator_traitsISG_E10value_typeET2_T3_PNSH_ISM_E10value_typeET4_T5_PSR_SS_PNS1_23onesweep_lookback_stateEbbT6_jjT7_P12ihipStream_tbENKUlT_T0_SG_SL_E_clIS7_S7_SB_SB_EEDaSZ_S10_SG_SL_EUlSZ_E_NS1_11comp_targetILNS1_3genE4ELNS1_11target_archE910ELNS1_3gpuE8ELNS1_3repE0EEENS1_47radix_sort_onesweep_sort_config_static_selectorELNS0_4arch9wavefront6targetE1EEEvSG_,"axG",@progbits,_ZN7rocprim17ROCPRIM_400000_NS6detail17trampoline_kernelINS0_14default_configENS1_35radix_sort_onesweep_config_selectorIslEEZZNS1_29radix_sort_onesweep_iterationIS3_Lb0EPsS7_N6thrust23THRUST_200600_302600_NS10device_ptrIlEESB_jNS0_19identity_decomposerENS1_16block_id_wrapperIjLb0EEEEE10hipError_tT1_PNSt15iterator_traitsISG_E10value_typeET2_T3_PNSH_ISM_E10value_typeET4_T5_PSR_SS_PNS1_23onesweep_lookback_stateEbbT6_jjT7_P12ihipStream_tbENKUlT_T0_SG_SL_E_clIS7_S7_SB_SB_EEDaSZ_S10_SG_SL_EUlSZ_E_NS1_11comp_targetILNS1_3genE4ELNS1_11target_archE910ELNS1_3gpuE8ELNS1_3repE0EEENS1_47radix_sort_onesweep_sort_config_static_selectorELNS0_4arch9wavefront6targetE1EEEvSG_,comdat
.Lfunc_end1429:
	.size	_ZN7rocprim17ROCPRIM_400000_NS6detail17trampoline_kernelINS0_14default_configENS1_35radix_sort_onesweep_config_selectorIslEEZZNS1_29radix_sort_onesweep_iterationIS3_Lb0EPsS7_N6thrust23THRUST_200600_302600_NS10device_ptrIlEESB_jNS0_19identity_decomposerENS1_16block_id_wrapperIjLb0EEEEE10hipError_tT1_PNSt15iterator_traitsISG_E10value_typeET2_T3_PNSH_ISM_E10value_typeET4_T5_PSR_SS_PNS1_23onesweep_lookback_stateEbbT6_jjT7_P12ihipStream_tbENKUlT_T0_SG_SL_E_clIS7_S7_SB_SB_EEDaSZ_S10_SG_SL_EUlSZ_E_NS1_11comp_targetILNS1_3genE4ELNS1_11target_archE910ELNS1_3gpuE8ELNS1_3repE0EEENS1_47radix_sort_onesweep_sort_config_static_selectorELNS0_4arch9wavefront6targetE1EEEvSG_, .Lfunc_end1429-_ZN7rocprim17ROCPRIM_400000_NS6detail17trampoline_kernelINS0_14default_configENS1_35radix_sort_onesweep_config_selectorIslEEZZNS1_29radix_sort_onesweep_iterationIS3_Lb0EPsS7_N6thrust23THRUST_200600_302600_NS10device_ptrIlEESB_jNS0_19identity_decomposerENS1_16block_id_wrapperIjLb0EEEEE10hipError_tT1_PNSt15iterator_traitsISG_E10value_typeET2_T3_PNSH_ISM_E10value_typeET4_T5_PSR_SS_PNS1_23onesweep_lookback_stateEbbT6_jjT7_P12ihipStream_tbENKUlT_T0_SG_SL_E_clIS7_S7_SB_SB_EEDaSZ_S10_SG_SL_EUlSZ_E_NS1_11comp_targetILNS1_3genE4ELNS1_11target_archE910ELNS1_3gpuE8ELNS1_3repE0EEENS1_47radix_sort_onesweep_sort_config_static_selectorELNS0_4arch9wavefront6targetE1EEEvSG_
                                        ; -- End function
	.set _ZN7rocprim17ROCPRIM_400000_NS6detail17trampoline_kernelINS0_14default_configENS1_35radix_sort_onesweep_config_selectorIslEEZZNS1_29radix_sort_onesweep_iterationIS3_Lb0EPsS7_N6thrust23THRUST_200600_302600_NS10device_ptrIlEESB_jNS0_19identity_decomposerENS1_16block_id_wrapperIjLb0EEEEE10hipError_tT1_PNSt15iterator_traitsISG_E10value_typeET2_T3_PNSH_ISM_E10value_typeET4_T5_PSR_SS_PNS1_23onesweep_lookback_stateEbbT6_jjT7_P12ihipStream_tbENKUlT_T0_SG_SL_E_clIS7_S7_SB_SB_EEDaSZ_S10_SG_SL_EUlSZ_E_NS1_11comp_targetILNS1_3genE4ELNS1_11target_archE910ELNS1_3gpuE8ELNS1_3repE0EEENS1_47radix_sort_onesweep_sort_config_static_selectorELNS0_4arch9wavefront6targetE1EEEvSG_.num_vgpr, 0
	.set _ZN7rocprim17ROCPRIM_400000_NS6detail17trampoline_kernelINS0_14default_configENS1_35radix_sort_onesweep_config_selectorIslEEZZNS1_29radix_sort_onesweep_iterationIS3_Lb0EPsS7_N6thrust23THRUST_200600_302600_NS10device_ptrIlEESB_jNS0_19identity_decomposerENS1_16block_id_wrapperIjLb0EEEEE10hipError_tT1_PNSt15iterator_traitsISG_E10value_typeET2_T3_PNSH_ISM_E10value_typeET4_T5_PSR_SS_PNS1_23onesweep_lookback_stateEbbT6_jjT7_P12ihipStream_tbENKUlT_T0_SG_SL_E_clIS7_S7_SB_SB_EEDaSZ_S10_SG_SL_EUlSZ_E_NS1_11comp_targetILNS1_3genE4ELNS1_11target_archE910ELNS1_3gpuE8ELNS1_3repE0EEENS1_47radix_sort_onesweep_sort_config_static_selectorELNS0_4arch9wavefront6targetE1EEEvSG_.num_agpr, 0
	.set _ZN7rocprim17ROCPRIM_400000_NS6detail17trampoline_kernelINS0_14default_configENS1_35radix_sort_onesweep_config_selectorIslEEZZNS1_29radix_sort_onesweep_iterationIS3_Lb0EPsS7_N6thrust23THRUST_200600_302600_NS10device_ptrIlEESB_jNS0_19identity_decomposerENS1_16block_id_wrapperIjLb0EEEEE10hipError_tT1_PNSt15iterator_traitsISG_E10value_typeET2_T3_PNSH_ISM_E10value_typeET4_T5_PSR_SS_PNS1_23onesweep_lookback_stateEbbT6_jjT7_P12ihipStream_tbENKUlT_T0_SG_SL_E_clIS7_S7_SB_SB_EEDaSZ_S10_SG_SL_EUlSZ_E_NS1_11comp_targetILNS1_3genE4ELNS1_11target_archE910ELNS1_3gpuE8ELNS1_3repE0EEENS1_47radix_sort_onesweep_sort_config_static_selectorELNS0_4arch9wavefront6targetE1EEEvSG_.numbered_sgpr, 0
	.set _ZN7rocprim17ROCPRIM_400000_NS6detail17trampoline_kernelINS0_14default_configENS1_35radix_sort_onesweep_config_selectorIslEEZZNS1_29radix_sort_onesweep_iterationIS3_Lb0EPsS7_N6thrust23THRUST_200600_302600_NS10device_ptrIlEESB_jNS0_19identity_decomposerENS1_16block_id_wrapperIjLb0EEEEE10hipError_tT1_PNSt15iterator_traitsISG_E10value_typeET2_T3_PNSH_ISM_E10value_typeET4_T5_PSR_SS_PNS1_23onesweep_lookback_stateEbbT6_jjT7_P12ihipStream_tbENKUlT_T0_SG_SL_E_clIS7_S7_SB_SB_EEDaSZ_S10_SG_SL_EUlSZ_E_NS1_11comp_targetILNS1_3genE4ELNS1_11target_archE910ELNS1_3gpuE8ELNS1_3repE0EEENS1_47radix_sort_onesweep_sort_config_static_selectorELNS0_4arch9wavefront6targetE1EEEvSG_.num_named_barrier, 0
	.set _ZN7rocprim17ROCPRIM_400000_NS6detail17trampoline_kernelINS0_14default_configENS1_35radix_sort_onesweep_config_selectorIslEEZZNS1_29radix_sort_onesweep_iterationIS3_Lb0EPsS7_N6thrust23THRUST_200600_302600_NS10device_ptrIlEESB_jNS0_19identity_decomposerENS1_16block_id_wrapperIjLb0EEEEE10hipError_tT1_PNSt15iterator_traitsISG_E10value_typeET2_T3_PNSH_ISM_E10value_typeET4_T5_PSR_SS_PNS1_23onesweep_lookback_stateEbbT6_jjT7_P12ihipStream_tbENKUlT_T0_SG_SL_E_clIS7_S7_SB_SB_EEDaSZ_S10_SG_SL_EUlSZ_E_NS1_11comp_targetILNS1_3genE4ELNS1_11target_archE910ELNS1_3gpuE8ELNS1_3repE0EEENS1_47radix_sort_onesweep_sort_config_static_selectorELNS0_4arch9wavefront6targetE1EEEvSG_.private_seg_size, 0
	.set _ZN7rocprim17ROCPRIM_400000_NS6detail17trampoline_kernelINS0_14default_configENS1_35radix_sort_onesweep_config_selectorIslEEZZNS1_29radix_sort_onesweep_iterationIS3_Lb0EPsS7_N6thrust23THRUST_200600_302600_NS10device_ptrIlEESB_jNS0_19identity_decomposerENS1_16block_id_wrapperIjLb0EEEEE10hipError_tT1_PNSt15iterator_traitsISG_E10value_typeET2_T3_PNSH_ISM_E10value_typeET4_T5_PSR_SS_PNS1_23onesweep_lookback_stateEbbT6_jjT7_P12ihipStream_tbENKUlT_T0_SG_SL_E_clIS7_S7_SB_SB_EEDaSZ_S10_SG_SL_EUlSZ_E_NS1_11comp_targetILNS1_3genE4ELNS1_11target_archE910ELNS1_3gpuE8ELNS1_3repE0EEENS1_47radix_sort_onesweep_sort_config_static_selectorELNS0_4arch9wavefront6targetE1EEEvSG_.uses_vcc, 0
	.set _ZN7rocprim17ROCPRIM_400000_NS6detail17trampoline_kernelINS0_14default_configENS1_35radix_sort_onesweep_config_selectorIslEEZZNS1_29radix_sort_onesweep_iterationIS3_Lb0EPsS7_N6thrust23THRUST_200600_302600_NS10device_ptrIlEESB_jNS0_19identity_decomposerENS1_16block_id_wrapperIjLb0EEEEE10hipError_tT1_PNSt15iterator_traitsISG_E10value_typeET2_T3_PNSH_ISM_E10value_typeET4_T5_PSR_SS_PNS1_23onesweep_lookback_stateEbbT6_jjT7_P12ihipStream_tbENKUlT_T0_SG_SL_E_clIS7_S7_SB_SB_EEDaSZ_S10_SG_SL_EUlSZ_E_NS1_11comp_targetILNS1_3genE4ELNS1_11target_archE910ELNS1_3gpuE8ELNS1_3repE0EEENS1_47radix_sort_onesweep_sort_config_static_selectorELNS0_4arch9wavefront6targetE1EEEvSG_.uses_flat_scratch, 0
	.set _ZN7rocprim17ROCPRIM_400000_NS6detail17trampoline_kernelINS0_14default_configENS1_35radix_sort_onesweep_config_selectorIslEEZZNS1_29radix_sort_onesweep_iterationIS3_Lb0EPsS7_N6thrust23THRUST_200600_302600_NS10device_ptrIlEESB_jNS0_19identity_decomposerENS1_16block_id_wrapperIjLb0EEEEE10hipError_tT1_PNSt15iterator_traitsISG_E10value_typeET2_T3_PNSH_ISM_E10value_typeET4_T5_PSR_SS_PNS1_23onesweep_lookback_stateEbbT6_jjT7_P12ihipStream_tbENKUlT_T0_SG_SL_E_clIS7_S7_SB_SB_EEDaSZ_S10_SG_SL_EUlSZ_E_NS1_11comp_targetILNS1_3genE4ELNS1_11target_archE910ELNS1_3gpuE8ELNS1_3repE0EEENS1_47radix_sort_onesweep_sort_config_static_selectorELNS0_4arch9wavefront6targetE1EEEvSG_.has_dyn_sized_stack, 0
	.set _ZN7rocprim17ROCPRIM_400000_NS6detail17trampoline_kernelINS0_14default_configENS1_35radix_sort_onesweep_config_selectorIslEEZZNS1_29radix_sort_onesweep_iterationIS3_Lb0EPsS7_N6thrust23THRUST_200600_302600_NS10device_ptrIlEESB_jNS0_19identity_decomposerENS1_16block_id_wrapperIjLb0EEEEE10hipError_tT1_PNSt15iterator_traitsISG_E10value_typeET2_T3_PNSH_ISM_E10value_typeET4_T5_PSR_SS_PNS1_23onesweep_lookback_stateEbbT6_jjT7_P12ihipStream_tbENKUlT_T0_SG_SL_E_clIS7_S7_SB_SB_EEDaSZ_S10_SG_SL_EUlSZ_E_NS1_11comp_targetILNS1_3genE4ELNS1_11target_archE910ELNS1_3gpuE8ELNS1_3repE0EEENS1_47radix_sort_onesweep_sort_config_static_selectorELNS0_4arch9wavefront6targetE1EEEvSG_.has_recursion, 0
	.set _ZN7rocprim17ROCPRIM_400000_NS6detail17trampoline_kernelINS0_14default_configENS1_35radix_sort_onesweep_config_selectorIslEEZZNS1_29radix_sort_onesweep_iterationIS3_Lb0EPsS7_N6thrust23THRUST_200600_302600_NS10device_ptrIlEESB_jNS0_19identity_decomposerENS1_16block_id_wrapperIjLb0EEEEE10hipError_tT1_PNSt15iterator_traitsISG_E10value_typeET2_T3_PNSH_ISM_E10value_typeET4_T5_PSR_SS_PNS1_23onesweep_lookback_stateEbbT6_jjT7_P12ihipStream_tbENKUlT_T0_SG_SL_E_clIS7_S7_SB_SB_EEDaSZ_S10_SG_SL_EUlSZ_E_NS1_11comp_targetILNS1_3genE4ELNS1_11target_archE910ELNS1_3gpuE8ELNS1_3repE0EEENS1_47radix_sort_onesweep_sort_config_static_selectorELNS0_4arch9wavefront6targetE1EEEvSG_.has_indirect_call, 0
	.section	.AMDGPU.csdata,"",@progbits
; Kernel info:
; codeLenInByte = 0
; TotalNumSgprs: 4
; NumVgprs: 0
; ScratchSize: 0
; MemoryBound: 0
; FloatMode: 240
; IeeeMode: 1
; LDSByteSize: 0 bytes/workgroup (compile time only)
; SGPRBlocks: 0
; VGPRBlocks: 0
; NumSGPRsForWavesPerEU: 4
; NumVGPRsForWavesPerEU: 1
; Occupancy: 10
; WaveLimiterHint : 0
; COMPUTE_PGM_RSRC2:SCRATCH_EN: 0
; COMPUTE_PGM_RSRC2:USER_SGPR: 6
; COMPUTE_PGM_RSRC2:TRAP_HANDLER: 0
; COMPUTE_PGM_RSRC2:TGID_X_EN: 1
; COMPUTE_PGM_RSRC2:TGID_Y_EN: 0
; COMPUTE_PGM_RSRC2:TGID_Z_EN: 0
; COMPUTE_PGM_RSRC2:TIDIG_COMP_CNT: 0
	.section	.text._ZN7rocprim17ROCPRIM_400000_NS6detail17trampoline_kernelINS0_14default_configENS1_35radix_sort_onesweep_config_selectorIslEEZZNS1_29radix_sort_onesweep_iterationIS3_Lb0EPsS7_N6thrust23THRUST_200600_302600_NS10device_ptrIlEESB_jNS0_19identity_decomposerENS1_16block_id_wrapperIjLb0EEEEE10hipError_tT1_PNSt15iterator_traitsISG_E10value_typeET2_T3_PNSH_ISM_E10value_typeET4_T5_PSR_SS_PNS1_23onesweep_lookback_stateEbbT6_jjT7_P12ihipStream_tbENKUlT_T0_SG_SL_E_clIS7_S7_SB_SB_EEDaSZ_S10_SG_SL_EUlSZ_E_NS1_11comp_targetILNS1_3genE3ELNS1_11target_archE908ELNS1_3gpuE7ELNS1_3repE0EEENS1_47radix_sort_onesweep_sort_config_static_selectorELNS0_4arch9wavefront6targetE1EEEvSG_,"axG",@progbits,_ZN7rocprim17ROCPRIM_400000_NS6detail17trampoline_kernelINS0_14default_configENS1_35radix_sort_onesweep_config_selectorIslEEZZNS1_29radix_sort_onesweep_iterationIS3_Lb0EPsS7_N6thrust23THRUST_200600_302600_NS10device_ptrIlEESB_jNS0_19identity_decomposerENS1_16block_id_wrapperIjLb0EEEEE10hipError_tT1_PNSt15iterator_traitsISG_E10value_typeET2_T3_PNSH_ISM_E10value_typeET4_T5_PSR_SS_PNS1_23onesweep_lookback_stateEbbT6_jjT7_P12ihipStream_tbENKUlT_T0_SG_SL_E_clIS7_S7_SB_SB_EEDaSZ_S10_SG_SL_EUlSZ_E_NS1_11comp_targetILNS1_3genE3ELNS1_11target_archE908ELNS1_3gpuE7ELNS1_3repE0EEENS1_47radix_sort_onesweep_sort_config_static_selectorELNS0_4arch9wavefront6targetE1EEEvSG_,comdat
	.protected	_ZN7rocprim17ROCPRIM_400000_NS6detail17trampoline_kernelINS0_14default_configENS1_35radix_sort_onesweep_config_selectorIslEEZZNS1_29radix_sort_onesweep_iterationIS3_Lb0EPsS7_N6thrust23THRUST_200600_302600_NS10device_ptrIlEESB_jNS0_19identity_decomposerENS1_16block_id_wrapperIjLb0EEEEE10hipError_tT1_PNSt15iterator_traitsISG_E10value_typeET2_T3_PNSH_ISM_E10value_typeET4_T5_PSR_SS_PNS1_23onesweep_lookback_stateEbbT6_jjT7_P12ihipStream_tbENKUlT_T0_SG_SL_E_clIS7_S7_SB_SB_EEDaSZ_S10_SG_SL_EUlSZ_E_NS1_11comp_targetILNS1_3genE3ELNS1_11target_archE908ELNS1_3gpuE7ELNS1_3repE0EEENS1_47radix_sort_onesweep_sort_config_static_selectorELNS0_4arch9wavefront6targetE1EEEvSG_ ; -- Begin function _ZN7rocprim17ROCPRIM_400000_NS6detail17trampoline_kernelINS0_14default_configENS1_35radix_sort_onesweep_config_selectorIslEEZZNS1_29radix_sort_onesweep_iterationIS3_Lb0EPsS7_N6thrust23THRUST_200600_302600_NS10device_ptrIlEESB_jNS0_19identity_decomposerENS1_16block_id_wrapperIjLb0EEEEE10hipError_tT1_PNSt15iterator_traitsISG_E10value_typeET2_T3_PNSH_ISM_E10value_typeET4_T5_PSR_SS_PNS1_23onesweep_lookback_stateEbbT6_jjT7_P12ihipStream_tbENKUlT_T0_SG_SL_E_clIS7_S7_SB_SB_EEDaSZ_S10_SG_SL_EUlSZ_E_NS1_11comp_targetILNS1_3genE3ELNS1_11target_archE908ELNS1_3gpuE7ELNS1_3repE0EEENS1_47radix_sort_onesweep_sort_config_static_selectorELNS0_4arch9wavefront6targetE1EEEvSG_
	.globl	_ZN7rocprim17ROCPRIM_400000_NS6detail17trampoline_kernelINS0_14default_configENS1_35radix_sort_onesweep_config_selectorIslEEZZNS1_29radix_sort_onesweep_iterationIS3_Lb0EPsS7_N6thrust23THRUST_200600_302600_NS10device_ptrIlEESB_jNS0_19identity_decomposerENS1_16block_id_wrapperIjLb0EEEEE10hipError_tT1_PNSt15iterator_traitsISG_E10value_typeET2_T3_PNSH_ISM_E10value_typeET4_T5_PSR_SS_PNS1_23onesweep_lookback_stateEbbT6_jjT7_P12ihipStream_tbENKUlT_T0_SG_SL_E_clIS7_S7_SB_SB_EEDaSZ_S10_SG_SL_EUlSZ_E_NS1_11comp_targetILNS1_3genE3ELNS1_11target_archE908ELNS1_3gpuE7ELNS1_3repE0EEENS1_47radix_sort_onesweep_sort_config_static_selectorELNS0_4arch9wavefront6targetE1EEEvSG_
	.p2align	8
	.type	_ZN7rocprim17ROCPRIM_400000_NS6detail17trampoline_kernelINS0_14default_configENS1_35radix_sort_onesweep_config_selectorIslEEZZNS1_29radix_sort_onesweep_iterationIS3_Lb0EPsS7_N6thrust23THRUST_200600_302600_NS10device_ptrIlEESB_jNS0_19identity_decomposerENS1_16block_id_wrapperIjLb0EEEEE10hipError_tT1_PNSt15iterator_traitsISG_E10value_typeET2_T3_PNSH_ISM_E10value_typeET4_T5_PSR_SS_PNS1_23onesweep_lookback_stateEbbT6_jjT7_P12ihipStream_tbENKUlT_T0_SG_SL_E_clIS7_S7_SB_SB_EEDaSZ_S10_SG_SL_EUlSZ_E_NS1_11comp_targetILNS1_3genE3ELNS1_11target_archE908ELNS1_3gpuE7ELNS1_3repE0EEENS1_47radix_sort_onesweep_sort_config_static_selectorELNS0_4arch9wavefront6targetE1EEEvSG_,@function
_ZN7rocprim17ROCPRIM_400000_NS6detail17trampoline_kernelINS0_14default_configENS1_35radix_sort_onesweep_config_selectorIslEEZZNS1_29radix_sort_onesweep_iterationIS3_Lb0EPsS7_N6thrust23THRUST_200600_302600_NS10device_ptrIlEESB_jNS0_19identity_decomposerENS1_16block_id_wrapperIjLb0EEEEE10hipError_tT1_PNSt15iterator_traitsISG_E10value_typeET2_T3_PNSH_ISM_E10value_typeET4_T5_PSR_SS_PNS1_23onesweep_lookback_stateEbbT6_jjT7_P12ihipStream_tbENKUlT_T0_SG_SL_E_clIS7_S7_SB_SB_EEDaSZ_S10_SG_SL_EUlSZ_E_NS1_11comp_targetILNS1_3genE3ELNS1_11target_archE908ELNS1_3gpuE7ELNS1_3repE0EEENS1_47radix_sort_onesweep_sort_config_static_selectorELNS0_4arch9wavefront6targetE1EEEvSG_: ; @_ZN7rocprim17ROCPRIM_400000_NS6detail17trampoline_kernelINS0_14default_configENS1_35radix_sort_onesweep_config_selectorIslEEZZNS1_29radix_sort_onesweep_iterationIS3_Lb0EPsS7_N6thrust23THRUST_200600_302600_NS10device_ptrIlEESB_jNS0_19identity_decomposerENS1_16block_id_wrapperIjLb0EEEEE10hipError_tT1_PNSt15iterator_traitsISG_E10value_typeET2_T3_PNSH_ISM_E10value_typeET4_T5_PSR_SS_PNS1_23onesweep_lookback_stateEbbT6_jjT7_P12ihipStream_tbENKUlT_T0_SG_SL_E_clIS7_S7_SB_SB_EEDaSZ_S10_SG_SL_EUlSZ_E_NS1_11comp_targetILNS1_3genE3ELNS1_11target_archE908ELNS1_3gpuE7ELNS1_3repE0EEENS1_47radix_sort_onesweep_sort_config_static_selectorELNS0_4arch9wavefront6targetE1EEEvSG_
; %bb.0:
	.section	.rodata,"a",@progbits
	.p2align	6, 0x0
	.amdhsa_kernel _ZN7rocprim17ROCPRIM_400000_NS6detail17trampoline_kernelINS0_14default_configENS1_35radix_sort_onesweep_config_selectorIslEEZZNS1_29radix_sort_onesweep_iterationIS3_Lb0EPsS7_N6thrust23THRUST_200600_302600_NS10device_ptrIlEESB_jNS0_19identity_decomposerENS1_16block_id_wrapperIjLb0EEEEE10hipError_tT1_PNSt15iterator_traitsISG_E10value_typeET2_T3_PNSH_ISM_E10value_typeET4_T5_PSR_SS_PNS1_23onesweep_lookback_stateEbbT6_jjT7_P12ihipStream_tbENKUlT_T0_SG_SL_E_clIS7_S7_SB_SB_EEDaSZ_S10_SG_SL_EUlSZ_E_NS1_11comp_targetILNS1_3genE3ELNS1_11target_archE908ELNS1_3gpuE7ELNS1_3repE0EEENS1_47radix_sort_onesweep_sort_config_static_selectorELNS0_4arch9wavefront6targetE1EEEvSG_
		.amdhsa_group_segment_fixed_size 0
		.amdhsa_private_segment_fixed_size 0
		.amdhsa_kernarg_size 88
		.amdhsa_user_sgpr_count 6
		.amdhsa_user_sgpr_private_segment_buffer 1
		.amdhsa_user_sgpr_dispatch_ptr 0
		.amdhsa_user_sgpr_queue_ptr 0
		.amdhsa_user_sgpr_kernarg_segment_ptr 1
		.amdhsa_user_sgpr_dispatch_id 0
		.amdhsa_user_sgpr_flat_scratch_init 0
		.amdhsa_user_sgpr_private_segment_size 0
		.amdhsa_uses_dynamic_stack 0
		.amdhsa_system_sgpr_private_segment_wavefront_offset 0
		.amdhsa_system_sgpr_workgroup_id_x 1
		.amdhsa_system_sgpr_workgroup_id_y 0
		.amdhsa_system_sgpr_workgroup_id_z 0
		.amdhsa_system_sgpr_workgroup_info 0
		.amdhsa_system_vgpr_workitem_id 0
		.amdhsa_next_free_vgpr 1
		.amdhsa_next_free_sgpr 0
		.amdhsa_reserve_vcc 0
		.amdhsa_reserve_flat_scratch 0
		.amdhsa_float_round_mode_32 0
		.amdhsa_float_round_mode_16_64 0
		.amdhsa_float_denorm_mode_32 3
		.amdhsa_float_denorm_mode_16_64 3
		.amdhsa_dx10_clamp 1
		.amdhsa_ieee_mode 1
		.amdhsa_fp16_overflow 0
		.amdhsa_exception_fp_ieee_invalid_op 0
		.amdhsa_exception_fp_denorm_src 0
		.amdhsa_exception_fp_ieee_div_zero 0
		.amdhsa_exception_fp_ieee_overflow 0
		.amdhsa_exception_fp_ieee_underflow 0
		.amdhsa_exception_fp_ieee_inexact 0
		.amdhsa_exception_int_div_zero 0
	.end_amdhsa_kernel
	.section	.text._ZN7rocprim17ROCPRIM_400000_NS6detail17trampoline_kernelINS0_14default_configENS1_35radix_sort_onesweep_config_selectorIslEEZZNS1_29radix_sort_onesweep_iterationIS3_Lb0EPsS7_N6thrust23THRUST_200600_302600_NS10device_ptrIlEESB_jNS0_19identity_decomposerENS1_16block_id_wrapperIjLb0EEEEE10hipError_tT1_PNSt15iterator_traitsISG_E10value_typeET2_T3_PNSH_ISM_E10value_typeET4_T5_PSR_SS_PNS1_23onesweep_lookback_stateEbbT6_jjT7_P12ihipStream_tbENKUlT_T0_SG_SL_E_clIS7_S7_SB_SB_EEDaSZ_S10_SG_SL_EUlSZ_E_NS1_11comp_targetILNS1_3genE3ELNS1_11target_archE908ELNS1_3gpuE7ELNS1_3repE0EEENS1_47radix_sort_onesweep_sort_config_static_selectorELNS0_4arch9wavefront6targetE1EEEvSG_,"axG",@progbits,_ZN7rocprim17ROCPRIM_400000_NS6detail17trampoline_kernelINS0_14default_configENS1_35radix_sort_onesweep_config_selectorIslEEZZNS1_29radix_sort_onesweep_iterationIS3_Lb0EPsS7_N6thrust23THRUST_200600_302600_NS10device_ptrIlEESB_jNS0_19identity_decomposerENS1_16block_id_wrapperIjLb0EEEEE10hipError_tT1_PNSt15iterator_traitsISG_E10value_typeET2_T3_PNSH_ISM_E10value_typeET4_T5_PSR_SS_PNS1_23onesweep_lookback_stateEbbT6_jjT7_P12ihipStream_tbENKUlT_T0_SG_SL_E_clIS7_S7_SB_SB_EEDaSZ_S10_SG_SL_EUlSZ_E_NS1_11comp_targetILNS1_3genE3ELNS1_11target_archE908ELNS1_3gpuE7ELNS1_3repE0EEENS1_47radix_sort_onesweep_sort_config_static_selectorELNS0_4arch9wavefront6targetE1EEEvSG_,comdat
.Lfunc_end1430:
	.size	_ZN7rocprim17ROCPRIM_400000_NS6detail17trampoline_kernelINS0_14default_configENS1_35radix_sort_onesweep_config_selectorIslEEZZNS1_29radix_sort_onesweep_iterationIS3_Lb0EPsS7_N6thrust23THRUST_200600_302600_NS10device_ptrIlEESB_jNS0_19identity_decomposerENS1_16block_id_wrapperIjLb0EEEEE10hipError_tT1_PNSt15iterator_traitsISG_E10value_typeET2_T3_PNSH_ISM_E10value_typeET4_T5_PSR_SS_PNS1_23onesweep_lookback_stateEbbT6_jjT7_P12ihipStream_tbENKUlT_T0_SG_SL_E_clIS7_S7_SB_SB_EEDaSZ_S10_SG_SL_EUlSZ_E_NS1_11comp_targetILNS1_3genE3ELNS1_11target_archE908ELNS1_3gpuE7ELNS1_3repE0EEENS1_47radix_sort_onesweep_sort_config_static_selectorELNS0_4arch9wavefront6targetE1EEEvSG_, .Lfunc_end1430-_ZN7rocprim17ROCPRIM_400000_NS6detail17trampoline_kernelINS0_14default_configENS1_35radix_sort_onesweep_config_selectorIslEEZZNS1_29radix_sort_onesweep_iterationIS3_Lb0EPsS7_N6thrust23THRUST_200600_302600_NS10device_ptrIlEESB_jNS0_19identity_decomposerENS1_16block_id_wrapperIjLb0EEEEE10hipError_tT1_PNSt15iterator_traitsISG_E10value_typeET2_T3_PNSH_ISM_E10value_typeET4_T5_PSR_SS_PNS1_23onesweep_lookback_stateEbbT6_jjT7_P12ihipStream_tbENKUlT_T0_SG_SL_E_clIS7_S7_SB_SB_EEDaSZ_S10_SG_SL_EUlSZ_E_NS1_11comp_targetILNS1_3genE3ELNS1_11target_archE908ELNS1_3gpuE7ELNS1_3repE0EEENS1_47radix_sort_onesweep_sort_config_static_selectorELNS0_4arch9wavefront6targetE1EEEvSG_
                                        ; -- End function
	.set _ZN7rocprim17ROCPRIM_400000_NS6detail17trampoline_kernelINS0_14default_configENS1_35radix_sort_onesweep_config_selectorIslEEZZNS1_29radix_sort_onesweep_iterationIS3_Lb0EPsS7_N6thrust23THRUST_200600_302600_NS10device_ptrIlEESB_jNS0_19identity_decomposerENS1_16block_id_wrapperIjLb0EEEEE10hipError_tT1_PNSt15iterator_traitsISG_E10value_typeET2_T3_PNSH_ISM_E10value_typeET4_T5_PSR_SS_PNS1_23onesweep_lookback_stateEbbT6_jjT7_P12ihipStream_tbENKUlT_T0_SG_SL_E_clIS7_S7_SB_SB_EEDaSZ_S10_SG_SL_EUlSZ_E_NS1_11comp_targetILNS1_3genE3ELNS1_11target_archE908ELNS1_3gpuE7ELNS1_3repE0EEENS1_47radix_sort_onesweep_sort_config_static_selectorELNS0_4arch9wavefront6targetE1EEEvSG_.num_vgpr, 0
	.set _ZN7rocprim17ROCPRIM_400000_NS6detail17trampoline_kernelINS0_14default_configENS1_35radix_sort_onesweep_config_selectorIslEEZZNS1_29radix_sort_onesweep_iterationIS3_Lb0EPsS7_N6thrust23THRUST_200600_302600_NS10device_ptrIlEESB_jNS0_19identity_decomposerENS1_16block_id_wrapperIjLb0EEEEE10hipError_tT1_PNSt15iterator_traitsISG_E10value_typeET2_T3_PNSH_ISM_E10value_typeET4_T5_PSR_SS_PNS1_23onesweep_lookback_stateEbbT6_jjT7_P12ihipStream_tbENKUlT_T0_SG_SL_E_clIS7_S7_SB_SB_EEDaSZ_S10_SG_SL_EUlSZ_E_NS1_11comp_targetILNS1_3genE3ELNS1_11target_archE908ELNS1_3gpuE7ELNS1_3repE0EEENS1_47radix_sort_onesweep_sort_config_static_selectorELNS0_4arch9wavefront6targetE1EEEvSG_.num_agpr, 0
	.set _ZN7rocprim17ROCPRIM_400000_NS6detail17trampoline_kernelINS0_14default_configENS1_35radix_sort_onesweep_config_selectorIslEEZZNS1_29radix_sort_onesweep_iterationIS3_Lb0EPsS7_N6thrust23THRUST_200600_302600_NS10device_ptrIlEESB_jNS0_19identity_decomposerENS1_16block_id_wrapperIjLb0EEEEE10hipError_tT1_PNSt15iterator_traitsISG_E10value_typeET2_T3_PNSH_ISM_E10value_typeET4_T5_PSR_SS_PNS1_23onesweep_lookback_stateEbbT6_jjT7_P12ihipStream_tbENKUlT_T0_SG_SL_E_clIS7_S7_SB_SB_EEDaSZ_S10_SG_SL_EUlSZ_E_NS1_11comp_targetILNS1_3genE3ELNS1_11target_archE908ELNS1_3gpuE7ELNS1_3repE0EEENS1_47radix_sort_onesweep_sort_config_static_selectorELNS0_4arch9wavefront6targetE1EEEvSG_.numbered_sgpr, 0
	.set _ZN7rocprim17ROCPRIM_400000_NS6detail17trampoline_kernelINS0_14default_configENS1_35radix_sort_onesweep_config_selectorIslEEZZNS1_29radix_sort_onesweep_iterationIS3_Lb0EPsS7_N6thrust23THRUST_200600_302600_NS10device_ptrIlEESB_jNS0_19identity_decomposerENS1_16block_id_wrapperIjLb0EEEEE10hipError_tT1_PNSt15iterator_traitsISG_E10value_typeET2_T3_PNSH_ISM_E10value_typeET4_T5_PSR_SS_PNS1_23onesweep_lookback_stateEbbT6_jjT7_P12ihipStream_tbENKUlT_T0_SG_SL_E_clIS7_S7_SB_SB_EEDaSZ_S10_SG_SL_EUlSZ_E_NS1_11comp_targetILNS1_3genE3ELNS1_11target_archE908ELNS1_3gpuE7ELNS1_3repE0EEENS1_47radix_sort_onesweep_sort_config_static_selectorELNS0_4arch9wavefront6targetE1EEEvSG_.num_named_barrier, 0
	.set _ZN7rocprim17ROCPRIM_400000_NS6detail17trampoline_kernelINS0_14default_configENS1_35radix_sort_onesweep_config_selectorIslEEZZNS1_29radix_sort_onesweep_iterationIS3_Lb0EPsS7_N6thrust23THRUST_200600_302600_NS10device_ptrIlEESB_jNS0_19identity_decomposerENS1_16block_id_wrapperIjLb0EEEEE10hipError_tT1_PNSt15iterator_traitsISG_E10value_typeET2_T3_PNSH_ISM_E10value_typeET4_T5_PSR_SS_PNS1_23onesweep_lookback_stateEbbT6_jjT7_P12ihipStream_tbENKUlT_T0_SG_SL_E_clIS7_S7_SB_SB_EEDaSZ_S10_SG_SL_EUlSZ_E_NS1_11comp_targetILNS1_3genE3ELNS1_11target_archE908ELNS1_3gpuE7ELNS1_3repE0EEENS1_47radix_sort_onesweep_sort_config_static_selectorELNS0_4arch9wavefront6targetE1EEEvSG_.private_seg_size, 0
	.set _ZN7rocprim17ROCPRIM_400000_NS6detail17trampoline_kernelINS0_14default_configENS1_35radix_sort_onesweep_config_selectorIslEEZZNS1_29radix_sort_onesweep_iterationIS3_Lb0EPsS7_N6thrust23THRUST_200600_302600_NS10device_ptrIlEESB_jNS0_19identity_decomposerENS1_16block_id_wrapperIjLb0EEEEE10hipError_tT1_PNSt15iterator_traitsISG_E10value_typeET2_T3_PNSH_ISM_E10value_typeET4_T5_PSR_SS_PNS1_23onesweep_lookback_stateEbbT6_jjT7_P12ihipStream_tbENKUlT_T0_SG_SL_E_clIS7_S7_SB_SB_EEDaSZ_S10_SG_SL_EUlSZ_E_NS1_11comp_targetILNS1_3genE3ELNS1_11target_archE908ELNS1_3gpuE7ELNS1_3repE0EEENS1_47radix_sort_onesweep_sort_config_static_selectorELNS0_4arch9wavefront6targetE1EEEvSG_.uses_vcc, 0
	.set _ZN7rocprim17ROCPRIM_400000_NS6detail17trampoline_kernelINS0_14default_configENS1_35radix_sort_onesweep_config_selectorIslEEZZNS1_29radix_sort_onesweep_iterationIS3_Lb0EPsS7_N6thrust23THRUST_200600_302600_NS10device_ptrIlEESB_jNS0_19identity_decomposerENS1_16block_id_wrapperIjLb0EEEEE10hipError_tT1_PNSt15iterator_traitsISG_E10value_typeET2_T3_PNSH_ISM_E10value_typeET4_T5_PSR_SS_PNS1_23onesweep_lookback_stateEbbT6_jjT7_P12ihipStream_tbENKUlT_T0_SG_SL_E_clIS7_S7_SB_SB_EEDaSZ_S10_SG_SL_EUlSZ_E_NS1_11comp_targetILNS1_3genE3ELNS1_11target_archE908ELNS1_3gpuE7ELNS1_3repE0EEENS1_47radix_sort_onesweep_sort_config_static_selectorELNS0_4arch9wavefront6targetE1EEEvSG_.uses_flat_scratch, 0
	.set _ZN7rocprim17ROCPRIM_400000_NS6detail17trampoline_kernelINS0_14default_configENS1_35radix_sort_onesweep_config_selectorIslEEZZNS1_29radix_sort_onesweep_iterationIS3_Lb0EPsS7_N6thrust23THRUST_200600_302600_NS10device_ptrIlEESB_jNS0_19identity_decomposerENS1_16block_id_wrapperIjLb0EEEEE10hipError_tT1_PNSt15iterator_traitsISG_E10value_typeET2_T3_PNSH_ISM_E10value_typeET4_T5_PSR_SS_PNS1_23onesweep_lookback_stateEbbT6_jjT7_P12ihipStream_tbENKUlT_T0_SG_SL_E_clIS7_S7_SB_SB_EEDaSZ_S10_SG_SL_EUlSZ_E_NS1_11comp_targetILNS1_3genE3ELNS1_11target_archE908ELNS1_3gpuE7ELNS1_3repE0EEENS1_47radix_sort_onesweep_sort_config_static_selectorELNS0_4arch9wavefront6targetE1EEEvSG_.has_dyn_sized_stack, 0
	.set _ZN7rocprim17ROCPRIM_400000_NS6detail17trampoline_kernelINS0_14default_configENS1_35radix_sort_onesweep_config_selectorIslEEZZNS1_29radix_sort_onesweep_iterationIS3_Lb0EPsS7_N6thrust23THRUST_200600_302600_NS10device_ptrIlEESB_jNS0_19identity_decomposerENS1_16block_id_wrapperIjLb0EEEEE10hipError_tT1_PNSt15iterator_traitsISG_E10value_typeET2_T3_PNSH_ISM_E10value_typeET4_T5_PSR_SS_PNS1_23onesweep_lookback_stateEbbT6_jjT7_P12ihipStream_tbENKUlT_T0_SG_SL_E_clIS7_S7_SB_SB_EEDaSZ_S10_SG_SL_EUlSZ_E_NS1_11comp_targetILNS1_3genE3ELNS1_11target_archE908ELNS1_3gpuE7ELNS1_3repE0EEENS1_47radix_sort_onesweep_sort_config_static_selectorELNS0_4arch9wavefront6targetE1EEEvSG_.has_recursion, 0
	.set _ZN7rocprim17ROCPRIM_400000_NS6detail17trampoline_kernelINS0_14default_configENS1_35radix_sort_onesweep_config_selectorIslEEZZNS1_29radix_sort_onesweep_iterationIS3_Lb0EPsS7_N6thrust23THRUST_200600_302600_NS10device_ptrIlEESB_jNS0_19identity_decomposerENS1_16block_id_wrapperIjLb0EEEEE10hipError_tT1_PNSt15iterator_traitsISG_E10value_typeET2_T3_PNSH_ISM_E10value_typeET4_T5_PSR_SS_PNS1_23onesweep_lookback_stateEbbT6_jjT7_P12ihipStream_tbENKUlT_T0_SG_SL_E_clIS7_S7_SB_SB_EEDaSZ_S10_SG_SL_EUlSZ_E_NS1_11comp_targetILNS1_3genE3ELNS1_11target_archE908ELNS1_3gpuE7ELNS1_3repE0EEENS1_47radix_sort_onesweep_sort_config_static_selectorELNS0_4arch9wavefront6targetE1EEEvSG_.has_indirect_call, 0
	.section	.AMDGPU.csdata,"",@progbits
; Kernel info:
; codeLenInByte = 0
; TotalNumSgprs: 4
; NumVgprs: 0
; ScratchSize: 0
; MemoryBound: 0
; FloatMode: 240
; IeeeMode: 1
; LDSByteSize: 0 bytes/workgroup (compile time only)
; SGPRBlocks: 0
; VGPRBlocks: 0
; NumSGPRsForWavesPerEU: 4
; NumVGPRsForWavesPerEU: 1
; Occupancy: 10
; WaveLimiterHint : 0
; COMPUTE_PGM_RSRC2:SCRATCH_EN: 0
; COMPUTE_PGM_RSRC2:USER_SGPR: 6
; COMPUTE_PGM_RSRC2:TRAP_HANDLER: 0
; COMPUTE_PGM_RSRC2:TGID_X_EN: 1
; COMPUTE_PGM_RSRC2:TGID_Y_EN: 0
; COMPUTE_PGM_RSRC2:TGID_Z_EN: 0
; COMPUTE_PGM_RSRC2:TIDIG_COMP_CNT: 0
	.section	.text._ZN7rocprim17ROCPRIM_400000_NS6detail17trampoline_kernelINS0_14default_configENS1_35radix_sort_onesweep_config_selectorIslEEZZNS1_29radix_sort_onesweep_iterationIS3_Lb0EPsS7_N6thrust23THRUST_200600_302600_NS10device_ptrIlEESB_jNS0_19identity_decomposerENS1_16block_id_wrapperIjLb0EEEEE10hipError_tT1_PNSt15iterator_traitsISG_E10value_typeET2_T3_PNSH_ISM_E10value_typeET4_T5_PSR_SS_PNS1_23onesweep_lookback_stateEbbT6_jjT7_P12ihipStream_tbENKUlT_T0_SG_SL_E_clIS7_S7_SB_SB_EEDaSZ_S10_SG_SL_EUlSZ_E_NS1_11comp_targetILNS1_3genE10ELNS1_11target_archE1201ELNS1_3gpuE5ELNS1_3repE0EEENS1_47radix_sort_onesweep_sort_config_static_selectorELNS0_4arch9wavefront6targetE1EEEvSG_,"axG",@progbits,_ZN7rocprim17ROCPRIM_400000_NS6detail17trampoline_kernelINS0_14default_configENS1_35radix_sort_onesweep_config_selectorIslEEZZNS1_29radix_sort_onesweep_iterationIS3_Lb0EPsS7_N6thrust23THRUST_200600_302600_NS10device_ptrIlEESB_jNS0_19identity_decomposerENS1_16block_id_wrapperIjLb0EEEEE10hipError_tT1_PNSt15iterator_traitsISG_E10value_typeET2_T3_PNSH_ISM_E10value_typeET4_T5_PSR_SS_PNS1_23onesweep_lookback_stateEbbT6_jjT7_P12ihipStream_tbENKUlT_T0_SG_SL_E_clIS7_S7_SB_SB_EEDaSZ_S10_SG_SL_EUlSZ_E_NS1_11comp_targetILNS1_3genE10ELNS1_11target_archE1201ELNS1_3gpuE5ELNS1_3repE0EEENS1_47radix_sort_onesweep_sort_config_static_selectorELNS0_4arch9wavefront6targetE1EEEvSG_,comdat
	.protected	_ZN7rocprim17ROCPRIM_400000_NS6detail17trampoline_kernelINS0_14default_configENS1_35radix_sort_onesweep_config_selectorIslEEZZNS1_29radix_sort_onesweep_iterationIS3_Lb0EPsS7_N6thrust23THRUST_200600_302600_NS10device_ptrIlEESB_jNS0_19identity_decomposerENS1_16block_id_wrapperIjLb0EEEEE10hipError_tT1_PNSt15iterator_traitsISG_E10value_typeET2_T3_PNSH_ISM_E10value_typeET4_T5_PSR_SS_PNS1_23onesweep_lookback_stateEbbT6_jjT7_P12ihipStream_tbENKUlT_T0_SG_SL_E_clIS7_S7_SB_SB_EEDaSZ_S10_SG_SL_EUlSZ_E_NS1_11comp_targetILNS1_3genE10ELNS1_11target_archE1201ELNS1_3gpuE5ELNS1_3repE0EEENS1_47radix_sort_onesweep_sort_config_static_selectorELNS0_4arch9wavefront6targetE1EEEvSG_ ; -- Begin function _ZN7rocprim17ROCPRIM_400000_NS6detail17trampoline_kernelINS0_14default_configENS1_35radix_sort_onesweep_config_selectorIslEEZZNS1_29radix_sort_onesweep_iterationIS3_Lb0EPsS7_N6thrust23THRUST_200600_302600_NS10device_ptrIlEESB_jNS0_19identity_decomposerENS1_16block_id_wrapperIjLb0EEEEE10hipError_tT1_PNSt15iterator_traitsISG_E10value_typeET2_T3_PNSH_ISM_E10value_typeET4_T5_PSR_SS_PNS1_23onesweep_lookback_stateEbbT6_jjT7_P12ihipStream_tbENKUlT_T0_SG_SL_E_clIS7_S7_SB_SB_EEDaSZ_S10_SG_SL_EUlSZ_E_NS1_11comp_targetILNS1_3genE10ELNS1_11target_archE1201ELNS1_3gpuE5ELNS1_3repE0EEENS1_47radix_sort_onesweep_sort_config_static_selectorELNS0_4arch9wavefront6targetE1EEEvSG_
	.globl	_ZN7rocprim17ROCPRIM_400000_NS6detail17trampoline_kernelINS0_14default_configENS1_35radix_sort_onesweep_config_selectorIslEEZZNS1_29radix_sort_onesweep_iterationIS3_Lb0EPsS7_N6thrust23THRUST_200600_302600_NS10device_ptrIlEESB_jNS0_19identity_decomposerENS1_16block_id_wrapperIjLb0EEEEE10hipError_tT1_PNSt15iterator_traitsISG_E10value_typeET2_T3_PNSH_ISM_E10value_typeET4_T5_PSR_SS_PNS1_23onesweep_lookback_stateEbbT6_jjT7_P12ihipStream_tbENKUlT_T0_SG_SL_E_clIS7_S7_SB_SB_EEDaSZ_S10_SG_SL_EUlSZ_E_NS1_11comp_targetILNS1_3genE10ELNS1_11target_archE1201ELNS1_3gpuE5ELNS1_3repE0EEENS1_47radix_sort_onesweep_sort_config_static_selectorELNS0_4arch9wavefront6targetE1EEEvSG_
	.p2align	8
	.type	_ZN7rocprim17ROCPRIM_400000_NS6detail17trampoline_kernelINS0_14default_configENS1_35radix_sort_onesweep_config_selectorIslEEZZNS1_29radix_sort_onesweep_iterationIS3_Lb0EPsS7_N6thrust23THRUST_200600_302600_NS10device_ptrIlEESB_jNS0_19identity_decomposerENS1_16block_id_wrapperIjLb0EEEEE10hipError_tT1_PNSt15iterator_traitsISG_E10value_typeET2_T3_PNSH_ISM_E10value_typeET4_T5_PSR_SS_PNS1_23onesweep_lookback_stateEbbT6_jjT7_P12ihipStream_tbENKUlT_T0_SG_SL_E_clIS7_S7_SB_SB_EEDaSZ_S10_SG_SL_EUlSZ_E_NS1_11comp_targetILNS1_3genE10ELNS1_11target_archE1201ELNS1_3gpuE5ELNS1_3repE0EEENS1_47radix_sort_onesweep_sort_config_static_selectorELNS0_4arch9wavefront6targetE1EEEvSG_,@function
_ZN7rocprim17ROCPRIM_400000_NS6detail17trampoline_kernelINS0_14default_configENS1_35radix_sort_onesweep_config_selectorIslEEZZNS1_29radix_sort_onesweep_iterationIS3_Lb0EPsS7_N6thrust23THRUST_200600_302600_NS10device_ptrIlEESB_jNS0_19identity_decomposerENS1_16block_id_wrapperIjLb0EEEEE10hipError_tT1_PNSt15iterator_traitsISG_E10value_typeET2_T3_PNSH_ISM_E10value_typeET4_T5_PSR_SS_PNS1_23onesweep_lookback_stateEbbT6_jjT7_P12ihipStream_tbENKUlT_T0_SG_SL_E_clIS7_S7_SB_SB_EEDaSZ_S10_SG_SL_EUlSZ_E_NS1_11comp_targetILNS1_3genE10ELNS1_11target_archE1201ELNS1_3gpuE5ELNS1_3repE0EEENS1_47radix_sort_onesweep_sort_config_static_selectorELNS0_4arch9wavefront6targetE1EEEvSG_: ; @_ZN7rocprim17ROCPRIM_400000_NS6detail17trampoline_kernelINS0_14default_configENS1_35radix_sort_onesweep_config_selectorIslEEZZNS1_29radix_sort_onesweep_iterationIS3_Lb0EPsS7_N6thrust23THRUST_200600_302600_NS10device_ptrIlEESB_jNS0_19identity_decomposerENS1_16block_id_wrapperIjLb0EEEEE10hipError_tT1_PNSt15iterator_traitsISG_E10value_typeET2_T3_PNSH_ISM_E10value_typeET4_T5_PSR_SS_PNS1_23onesweep_lookback_stateEbbT6_jjT7_P12ihipStream_tbENKUlT_T0_SG_SL_E_clIS7_S7_SB_SB_EEDaSZ_S10_SG_SL_EUlSZ_E_NS1_11comp_targetILNS1_3genE10ELNS1_11target_archE1201ELNS1_3gpuE5ELNS1_3repE0EEENS1_47radix_sort_onesweep_sort_config_static_selectorELNS0_4arch9wavefront6targetE1EEEvSG_
; %bb.0:
	.section	.rodata,"a",@progbits
	.p2align	6, 0x0
	.amdhsa_kernel _ZN7rocprim17ROCPRIM_400000_NS6detail17trampoline_kernelINS0_14default_configENS1_35radix_sort_onesweep_config_selectorIslEEZZNS1_29radix_sort_onesweep_iterationIS3_Lb0EPsS7_N6thrust23THRUST_200600_302600_NS10device_ptrIlEESB_jNS0_19identity_decomposerENS1_16block_id_wrapperIjLb0EEEEE10hipError_tT1_PNSt15iterator_traitsISG_E10value_typeET2_T3_PNSH_ISM_E10value_typeET4_T5_PSR_SS_PNS1_23onesweep_lookback_stateEbbT6_jjT7_P12ihipStream_tbENKUlT_T0_SG_SL_E_clIS7_S7_SB_SB_EEDaSZ_S10_SG_SL_EUlSZ_E_NS1_11comp_targetILNS1_3genE10ELNS1_11target_archE1201ELNS1_3gpuE5ELNS1_3repE0EEENS1_47radix_sort_onesweep_sort_config_static_selectorELNS0_4arch9wavefront6targetE1EEEvSG_
		.amdhsa_group_segment_fixed_size 0
		.amdhsa_private_segment_fixed_size 0
		.amdhsa_kernarg_size 88
		.amdhsa_user_sgpr_count 6
		.amdhsa_user_sgpr_private_segment_buffer 1
		.amdhsa_user_sgpr_dispatch_ptr 0
		.amdhsa_user_sgpr_queue_ptr 0
		.amdhsa_user_sgpr_kernarg_segment_ptr 1
		.amdhsa_user_sgpr_dispatch_id 0
		.amdhsa_user_sgpr_flat_scratch_init 0
		.amdhsa_user_sgpr_private_segment_size 0
		.amdhsa_uses_dynamic_stack 0
		.amdhsa_system_sgpr_private_segment_wavefront_offset 0
		.amdhsa_system_sgpr_workgroup_id_x 1
		.amdhsa_system_sgpr_workgroup_id_y 0
		.amdhsa_system_sgpr_workgroup_id_z 0
		.amdhsa_system_sgpr_workgroup_info 0
		.amdhsa_system_vgpr_workitem_id 0
		.amdhsa_next_free_vgpr 1
		.amdhsa_next_free_sgpr 0
		.amdhsa_reserve_vcc 0
		.amdhsa_reserve_flat_scratch 0
		.amdhsa_float_round_mode_32 0
		.amdhsa_float_round_mode_16_64 0
		.amdhsa_float_denorm_mode_32 3
		.amdhsa_float_denorm_mode_16_64 3
		.amdhsa_dx10_clamp 1
		.amdhsa_ieee_mode 1
		.amdhsa_fp16_overflow 0
		.amdhsa_exception_fp_ieee_invalid_op 0
		.amdhsa_exception_fp_denorm_src 0
		.amdhsa_exception_fp_ieee_div_zero 0
		.amdhsa_exception_fp_ieee_overflow 0
		.amdhsa_exception_fp_ieee_underflow 0
		.amdhsa_exception_fp_ieee_inexact 0
		.amdhsa_exception_int_div_zero 0
	.end_amdhsa_kernel
	.section	.text._ZN7rocprim17ROCPRIM_400000_NS6detail17trampoline_kernelINS0_14default_configENS1_35radix_sort_onesweep_config_selectorIslEEZZNS1_29radix_sort_onesweep_iterationIS3_Lb0EPsS7_N6thrust23THRUST_200600_302600_NS10device_ptrIlEESB_jNS0_19identity_decomposerENS1_16block_id_wrapperIjLb0EEEEE10hipError_tT1_PNSt15iterator_traitsISG_E10value_typeET2_T3_PNSH_ISM_E10value_typeET4_T5_PSR_SS_PNS1_23onesweep_lookback_stateEbbT6_jjT7_P12ihipStream_tbENKUlT_T0_SG_SL_E_clIS7_S7_SB_SB_EEDaSZ_S10_SG_SL_EUlSZ_E_NS1_11comp_targetILNS1_3genE10ELNS1_11target_archE1201ELNS1_3gpuE5ELNS1_3repE0EEENS1_47radix_sort_onesweep_sort_config_static_selectorELNS0_4arch9wavefront6targetE1EEEvSG_,"axG",@progbits,_ZN7rocprim17ROCPRIM_400000_NS6detail17trampoline_kernelINS0_14default_configENS1_35radix_sort_onesweep_config_selectorIslEEZZNS1_29radix_sort_onesweep_iterationIS3_Lb0EPsS7_N6thrust23THRUST_200600_302600_NS10device_ptrIlEESB_jNS0_19identity_decomposerENS1_16block_id_wrapperIjLb0EEEEE10hipError_tT1_PNSt15iterator_traitsISG_E10value_typeET2_T3_PNSH_ISM_E10value_typeET4_T5_PSR_SS_PNS1_23onesweep_lookback_stateEbbT6_jjT7_P12ihipStream_tbENKUlT_T0_SG_SL_E_clIS7_S7_SB_SB_EEDaSZ_S10_SG_SL_EUlSZ_E_NS1_11comp_targetILNS1_3genE10ELNS1_11target_archE1201ELNS1_3gpuE5ELNS1_3repE0EEENS1_47radix_sort_onesweep_sort_config_static_selectorELNS0_4arch9wavefront6targetE1EEEvSG_,comdat
.Lfunc_end1431:
	.size	_ZN7rocprim17ROCPRIM_400000_NS6detail17trampoline_kernelINS0_14default_configENS1_35radix_sort_onesweep_config_selectorIslEEZZNS1_29radix_sort_onesweep_iterationIS3_Lb0EPsS7_N6thrust23THRUST_200600_302600_NS10device_ptrIlEESB_jNS0_19identity_decomposerENS1_16block_id_wrapperIjLb0EEEEE10hipError_tT1_PNSt15iterator_traitsISG_E10value_typeET2_T3_PNSH_ISM_E10value_typeET4_T5_PSR_SS_PNS1_23onesweep_lookback_stateEbbT6_jjT7_P12ihipStream_tbENKUlT_T0_SG_SL_E_clIS7_S7_SB_SB_EEDaSZ_S10_SG_SL_EUlSZ_E_NS1_11comp_targetILNS1_3genE10ELNS1_11target_archE1201ELNS1_3gpuE5ELNS1_3repE0EEENS1_47radix_sort_onesweep_sort_config_static_selectorELNS0_4arch9wavefront6targetE1EEEvSG_, .Lfunc_end1431-_ZN7rocprim17ROCPRIM_400000_NS6detail17trampoline_kernelINS0_14default_configENS1_35radix_sort_onesweep_config_selectorIslEEZZNS1_29radix_sort_onesweep_iterationIS3_Lb0EPsS7_N6thrust23THRUST_200600_302600_NS10device_ptrIlEESB_jNS0_19identity_decomposerENS1_16block_id_wrapperIjLb0EEEEE10hipError_tT1_PNSt15iterator_traitsISG_E10value_typeET2_T3_PNSH_ISM_E10value_typeET4_T5_PSR_SS_PNS1_23onesweep_lookback_stateEbbT6_jjT7_P12ihipStream_tbENKUlT_T0_SG_SL_E_clIS7_S7_SB_SB_EEDaSZ_S10_SG_SL_EUlSZ_E_NS1_11comp_targetILNS1_3genE10ELNS1_11target_archE1201ELNS1_3gpuE5ELNS1_3repE0EEENS1_47radix_sort_onesweep_sort_config_static_selectorELNS0_4arch9wavefront6targetE1EEEvSG_
                                        ; -- End function
	.set _ZN7rocprim17ROCPRIM_400000_NS6detail17trampoline_kernelINS0_14default_configENS1_35radix_sort_onesweep_config_selectorIslEEZZNS1_29radix_sort_onesweep_iterationIS3_Lb0EPsS7_N6thrust23THRUST_200600_302600_NS10device_ptrIlEESB_jNS0_19identity_decomposerENS1_16block_id_wrapperIjLb0EEEEE10hipError_tT1_PNSt15iterator_traitsISG_E10value_typeET2_T3_PNSH_ISM_E10value_typeET4_T5_PSR_SS_PNS1_23onesweep_lookback_stateEbbT6_jjT7_P12ihipStream_tbENKUlT_T0_SG_SL_E_clIS7_S7_SB_SB_EEDaSZ_S10_SG_SL_EUlSZ_E_NS1_11comp_targetILNS1_3genE10ELNS1_11target_archE1201ELNS1_3gpuE5ELNS1_3repE0EEENS1_47radix_sort_onesweep_sort_config_static_selectorELNS0_4arch9wavefront6targetE1EEEvSG_.num_vgpr, 0
	.set _ZN7rocprim17ROCPRIM_400000_NS6detail17trampoline_kernelINS0_14default_configENS1_35radix_sort_onesweep_config_selectorIslEEZZNS1_29radix_sort_onesweep_iterationIS3_Lb0EPsS7_N6thrust23THRUST_200600_302600_NS10device_ptrIlEESB_jNS0_19identity_decomposerENS1_16block_id_wrapperIjLb0EEEEE10hipError_tT1_PNSt15iterator_traitsISG_E10value_typeET2_T3_PNSH_ISM_E10value_typeET4_T5_PSR_SS_PNS1_23onesweep_lookback_stateEbbT6_jjT7_P12ihipStream_tbENKUlT_T0_SG_SL_E_clIS7_S7_SB_SB_EEDaSZ_S10_SG_SL_EUlSZ_E_NS1_11comp_targetILNS1_3genE10ELNS1_11target_archE1201ELNS1_3gpuE5ELNS1_3repE0EEENS1_47radix_sort_onesweep_sort_config_static_selectorELNS0_4arch9wavefront6targetE1EEEvSG_.num_agpr, 0
	.set _ZN7rocprim17ROCPRIM_400000_NS6detail17trampoline_kernelINS0_14default_configENS1_35radix_sort_onesweep_config_selectorIslEEZZNS1_29radix_sort_onesweep_iterationIS3_Lb0EPsS7_N6thrust23THRUST_200600_302600_NS10device_ptrIlEESB_jNS0_19identity_decomposerENS1_16block_id_wrapperIjLb0EEEEE10hipError_tT1_PNSt15iterator_traitsISG_E10value_typeET2_T3_PNSH_ISM_E10value_typeET4_T5_PSR_SS_PNS1_23onesweep_lookback_stateEbbT6_jjT7_P12ihipStream_tbENKUlT_T0_SG_SL_E_clIS7_S7_SB_SB_EEDaSZ_S10_SG_SL_EUlSZ_E_NS1_11comp_targetILNS1_3genE10ELNS1_11target_archE1201ELNS1_3gpuE5ELNS1_3repE0EEENS1_47radix_sort_onesweep_sort_config_static_selectorELNS0_4arch9wavefront6targetE1EEEvSG_.numbered_sgpr, 0
	.set _ZN7rocprim17ROCPRIM_400000_NS6detail17trampoline_kernelINS0_14default_configENS1_35radix_sort_onesweep_config_selectorIslEEZZNS1_29radix_sort_onesweep_iterationIS3_Lb0EPsS7_N6thrust23THRUST_200600_302600_NS10device_ptrIlEESB_jNS0_19identity_decomposerENS1_16block_id_wrapperIjLb0EEEEE10hipError_tT1_PNSt15iterator_traitsISG_E10value_typeET2_T3_PNSH_ISM_E10value_typeET4_T5_PSR_SS_PNS1_23onesweep_lookback_stateEbbT6_jjT7_P12ihipStream_tbENKUlT_T0_SG_SL_E_clIS7_S7_SB_SB_EEDaSZ_S10_SG_SL_EUlSZ_E_NS1_11comp_targetILNS1_3genE10ELNS1_11target_archE1201ELNS1_3gpuE5ELNS1_3repE0EEENS1_47radix_sort_onesweep_sort_config_static_selectorELNS0_4arch9wavefront6targetE1EEEvSG_.num_named_barrier, 0
	.set _ZN7rocprim17ROCPRIM_400000_NS6detail17trampoline_kernelINS0_14default_configENS1_35radix_sort_onesweep_config_selectorIslEEZZNS1_29radix_sort_onesweep_iterationIS3_Lb0EPsS7_N6thrust23THRUST_200600_302600_NS10device_ptrIlEESB_jNS0_19identity_decomposerENS1_16block_id_wrapperIjLb0EEEEE10hipError_tT1_PNSt15iterator_traitsISG_E10value_typeET2_T3_PNSH_ISM_E10value_typeET4_T5_PSR_SS_PNS1_23onesweep_lookback_stateEbbT6_jjT7_P12ihipStream_tbENKUlT_T0_SG_SL_E_clIS7_S7_SB_SB_EEDaSZ_S10_SG_SL_EUlSZ_E_NS1_11comp_targetILNS1_3genE10ELNS1_11target_archE1201ELNS1_3gpuE5ELNS1_3repE0EEENS1_47radix_sort_onesweep_sort_config_static_selectorELNS0_4arch9wavefront6targetE1EEEvSG_.private_seg_size, 0
	.set _ZN7rocprim17ROCPRIM_400000_NS6detail17trampoline_kernelINS0_14default_configENS1_35radix_sort_onesweep_config_selectorIslEEZZNS1_29radix_sort_onesweep_iterationIS3_Lb0EPsS7_N6thrust23THRUST_200600_302600_NS10device_ptrIlEESB_jNS0_19identity_decomposerENS1_16block_id_wrapperIjLb0EEEEE10hipError_tT1_PNSt15iterator_traitsISG_E10value_typeET2_T3_PNSH_ISM_E10value_typeET4_T5_PSR_SS_PNS1_23onesweep_lookback_stateEbbT6_jjT7_P12ihipStream_tbENKUlT_T0_SG_SL_E_clIS7_S7_SB_SB_EEDaSZ_S10_SG_SL_EUlSZ_E_NS1_11comp_targetILNS1_3genE10ELNS1_11target_archE1201ELNS1_3gpuE5ELNS1_3repE0EEENS1_47radix_sort_onesweep_sort_config_static_selectorELNS0_4arch9wavefront6targetE1EEEvSG_.uses_vcc, 0
	.set _ZN7rocprim17ROCPRIM_400000_NS6detail17trampoline_kernelINS0_14default_configENS1_35radix_sort_onesweep_config_selectorIslEEZZNS1_29radix_sort_onesweep_iterationIS3_Lb0EPsS7_N6thrust23THRUST_200600_302600_NS10device_ptrIlEESB_jNS0_19identity_decomposerENS1_16block_id_wrapperIjLb0EEEEE10hipError_tT1_PNSt15iterator_traitsISG_E10value_typeET2_T3_PNSH_ISM_E10value_typeET4_T5_PSR_SS_PNS1_23onesweep_lookback_stateEbbT6_jjT7_P12ihipStream_tbENKUlT_T0_SG_SL_E_clIS7_S7_SB_SB_EEDaSZ_S10_SG_SL_EUlSZ_E_NS1_11comp_targetILNS1_3genE10ELNS1_11target_archE1201ELNS1_3gpuE5ELNS1_3repE0EEENS1_47radix_sort_onesweep_sort_config_static_selectorELNS0_4arch9wavefront6targetE1EEEvSG_.uses_flat_scratch, 0
	.set _ZN7rocprim17ROCPRIM_400000_NS6detail17trampoline_kernelINS0_14default_configENS1_35radix_sort_onesweep_config_selectorIslEEZZNS1_29radix_sort_onesweep_iterationIS3_Lb0EPsS7_N6thrust23THRUST_200600_302600_NS10device_ptrIlEESB_jNS0_19identity_decomposerENS1_16block_id_wrapperIjLb0EEEEE10hipError_tT1_PNSt15iterator_traitsISG_E10value_typeET2_T3_PNSH_ISM_E10value_typeET4_T5_PSR_SS_PNS1_23onesweep_lookback_stateEbbT6_jjT7_P12ihipStream_tbENKUlT_T0_SG_SL_E_clIS7_S7_SB_SB_EEDaSZ_S10_SG_SL_EUlSZ_E_NS1_11comp_targetILNS1_3genE10ELNS1_11target_archE1201ELNS1_3gpuE5ELNS1_3repE0EEENS1_47radix_sort_onesweep_sort_config_static_selectorELNS0_4arch9wavefront6targetE1EEEvSG_.has_dyn_sized_stack, 0
	.set _ZN7rocprim17ROCPRIM_400000_NS6detail17trampoline_kernelINS0_14default_configENS1_35radix_sort_onesweep_config_selectorIslEEZZNS1_29radix_sort_onesweep_iterationIS3_Lb0EPsS7_N6thrust23THRUST_200600_302600_NS10device_ptrIlEESB_jNS0_19identity_decomposerENS1_16block_id_wrapperIjLb0EEEEE10hipError_tT1_PNSt15iterator_traitsISG_E10value_typeET2_T3_PNSH_ISM_E10value_typeET4_T5_PSR_SS_PNS1_23onesweep_lookback_stateEbbT6_jjT7_P12ihipStream_tbENKUlT_T0_SG_SL_E_clIS7_S7_SB_SB_EEDaSZ_S10_SG_SL_EUlSZ_E_NS1_11comp_targetILNS1_3genE10ELNS1_11target_archE1201ELNS1_3gpuE5ELNS1_3repE0EEENS1_47radix_sort_onesweep_sort_config_static_selectorELNS0_4arch9wavefront6targetE1EEEvSG_.has_recursion, 0
	.set _ZN7rocprim17ROCPRIM_400000_NS6detail17trampoline_kernelINS0_14default_configENS1_35radix_sort_onesweep_config_selectorIslEEZZNS1_29radix_sort_onesweep_iterationIS3_Lb0EPsS7_N6thrust23THRUST_200600_302600_NS10device_ptrIlEESB_jNS0_19identity_decomposerENS1_16block_id_wrapperIjLb0EEEEE10hipError_tT1_PNSt15iterator_traitsISG_E10value_typeET2_T3_PNSH_ISM_E10value_typeET4_T5_PSR_SS_PNS1_23onesweep_lookback_stateEbbT6_jjT7_P12ihipStream_tbENKUlT_T0_SG_SL_E_clIS7_S7_SB_SB_EEDaSZ_S10_SG_SL_EUlSZ_E_NS1_11comp_targetILNS1_3genE10ELNS1_11target_archE1201ELNS1_3gpuE5ELNS1_3repE0EEENS1_47radix_sort_onesweep_sort_config_static_selectorELNS0_4arch9wavefront6targetE1EEEvSG_.has_indirect_call, 0
	.section	.AMDGPU.csdata,"",@progbits
; Kernel info:
; codeLenInByte = 0
; TotalNumSgprs: 4
; NumVgprs: 0
; ScratchSize: 0
; MemoryBound: 0
; FloatMode: 240
; IeeeMode: 1
; LDSByteSize: 0 bytes/workgroup (compile time only)
; SGPRBlocks: 0
; VGPRBlocks: 0
; NumSGPRsForWavesPerEU: 4
; NumVGPRsForWavesPerEU: 1
; Occupancy: 10
; WaveLimiterHint : 0
; COMPUTE_PGM_RSRC2:SCRATCH_EN: 0
; COMPUTE_PGM_RSRC2:USER_SGPR: 6
; COMPUTE_PGM_RSRC2:TRAP_HANDLER: 0
; COMPUTE_PGM_RSRC2:TGID_X_EN: 1
; COMPUTE_PGM_RSRC2:TGID_Y_EN: 0
; COMPUTE_PGM_RSRC2:TGID_Z_EN: 0
; COMPUTE_PGM_RSRC2:TIDIG_COMP_CNT: 0
	.section	.text._ZN7rocprim17ROCPRIM_400000_NS6detail17trampoline_kernelINS0_14default_configENS1_35radix_sort_onesweep_config_selectorIslEEZZNS1_29radix_sort_onesweep_iterationIS3_Lb0EPsS7_N6thrust23THRUST_200600_302600_NS10device_ptrIlEESB_jNS0_19identity_decomposerENS1_16block_id_wrapperIjLb0EEEEE10hipError_tT1_PNSt15iterator_traitsISG_E10value_typeET2_T3_PNSH_ISM_E10value_typeET4_T5_PSR_SS_PNS1_23onesweep_lookback_stateEbbT6_jjT7_P12ihipStream_tbENKUlT_T0_SG_SL_E_clIS7_S7_SB_SB_EEDaSZ_S10_SG_SL_EUlSZ_E_NS1_11comp_targetILNS1_3genE9ELNS1_11target_archE1100ELNS1_3gpuE3ELNS1_3repE0EEENS1_47radix_sort_onesweep_sort_config_static_selectorELNS0_4arch9wavefront6targetE1EEEvSG_,"axG",@progbits,_ZN7rocprim17ROCPRIM_400000_NS6detail17trampoline_kernelINS0_14default_configENS1_35radix_sort_onesweep_config_selectorIslEEZZNS1_29radix_sort_onesweep_iterationIS3_Lb0EPsS7_N6thrust23THRUST_200600_302600_NS10device_ptrIlEESB_jNS0_19identity_decomposerENS1_16block_id_wrapperIjLb0EEEEE10hipError_tT1_PNSt15iterator_traitsISG_E10value_typeET2_T3_PNSH_ISM_E10value_typeET4_T5_PSR_SS_PNS1_23onesweep_lookback_stateEbbT6_jjT7_P12ihipStream_tbENKUlT_T0_SG_SL_E_clIS7_S7_SB_SB_EEDaSZ_S10_SG_SL_EUlSZ_E_NS1_11comp_targetILNS1_3genE9ELNS1_11target_archE1100ELNS1_3gpuE3ELNS1_3repE0EEENS1_47radix_sort_onesweep_sort_config_static_selectorELNS0_4arch9wavefront6targetE1EEEvSG_,comdat
	.protected	_ZN7rocprim17ROCPRIM_400000_NS6detail17trampoline_kernelINS0_14default_configENS1_35radix_sort_onesweep_config_selectorIslEEZZNS1_29radix_sort_onesweep_iterationIS3_Lb0EPsS7_N6thrust23THRUST_200600_302600_NS10device_ptrIlEESB_jNS0_19identity_decomposerENS1_16block_id_wrapperIjLb0EEEEE10hipError_tT1_PNSt15iterator_traitsISG_E10value_typeET2_T3_PNSH_ISM_E10value_typeET4_T5_PSR_SS_PNS1_23onesweep_lookback_stateEbbT6_jjT7_P12ihipStream_tbENKUlT_T0_SG_SL_E_clIS7_S7_SB_SB_EEDaSZ_S10_SG_SL_EUlSZ_E_NS1_11comp_targetILNS1_3genE9ELNS1_11target_archE1100ELNS1_3gpuE3ELNS1_3repE0EEENS1_47radix_sort_onesweep_sort_config_static_selectorELNS0_4arch9wavefront6targetE1EEEvSG_ ; -- Begin function _ZN7rocprim17ROCPRIM_400000_NS6detail17trampoline_kernelINS0_14default_configENS1_35radix_sort_onesweep_config_selectorIslEEZZNS1_29radix_sort_onesweep_iterationIS3_Lb0EPsS7_N6thrust23THRUST_200600_302600_NS10device_ptrIlEESB_jNS0_19identity_decomposerENS1_16block_id_wrapperIjLb0EEEEE10hipError_tT1_PNSt15iterator_traitsISG_E10value_typeET2_T3_PNSH_ISM_E10value_typeET4_T5_PSR_SS_PNS1_23onesweep_lookback_stateEbbT6_jjT7_P12ihipStream_tbENKUlT_T0_SG_SL_E_clIS7_S7_SB_SB_EEDaSZ_S10_SG_SL_EUlSZ_E_NS1_11comp_targetILNS1_3genE9ELNS1_11target_archE1100ELNS1_3gpuE3ELNS1_3repE0EEENS1_47radix_sort_onesweep_sort_config_static_selectorELNS0_4arch9wavefront6targetE1EEEvSG_
	.globl	_ZN7rocprim17ROCPRIM_400000_NS6detail17trampoline_kernelINS0_14default_configENS1_35radix_sort_onesweep_config_selectorIslEEZZNS1_29radix_sort_onesweep_iterationIS3_Lb0EPsS7_N6thrust23THRUST_200600_302600_NS10device_ptrIlEESB_jNS0_19identity_decomposerENS1_16block_id_wrapperIjLb0EEEEE10hipError_tT1_PNSt15iterator_traitsISG_E10value_typeET2_T3_PNSH_ISM_E10value_typeET4_T5_PSR_SS_PNS1_23onesweep_lookback_stateEbbT6_jjT7_P12ihipStream_tbENKUlT_T0_SG_SL_E_clIS7_S7_SB_SB_EEDaSZ_S10_SG_SL_EUlSZ_E_NS1_11comp_targetILNS1_3genE9ELNS1_11target_archE1100ELNS1_3gpuE3ELNS1_3repE0EEENS1_47radix_sort_onesweep_sort_config_static_selectorELNS0_4arch9wavefront6targetE1EEEvSG_
	.p2align	8
	.type	_ZN7rocprim17ROCPRIM_400000_NS6detail17trampoline_kernelINS0_14default_configENS1_35radix_sort_onesweep_config_selectorIslEEZZNS1_29radix_sort_onesweep_iterationIS3_Lb0EPsS7_N6thrust23THRUST_200600_302600_NS10device_ptrIlEESB_jNS0_19identity_decomposerENS1_16block_id_wrapperIjLb0EEEEE10hipError_tT1_PNSt15iterator_traitsISG_E10value_typeET2_T3_PNSH_ISM_E10value_typeET4_T5_PSR_SS_PNS1_23onesweep_lookback_stateEbbT6_jjT7_P12ihipStream_tbENKUlT_T0_SG_SL_E_clIS7_S7_SB_SB_EEDaSZ_S10_SG_SL_EUlSZ_E_NS1_11comp_targetILNS1_3genE9ELNS1_11target_archE1100ELNS1_3gpuE3ELNS1_3repE0EEENS1_47radix_sort_onesweep_sort_config_static_selectorELNS0_4arch9wavefront6targetE1EEEvSG_,@function
_ZN7rocprim17ROCPRIM_400000_NS6detail17trampoline_kernelINS0_14default_configENS1_35radix_sort_onesweep_config_selectorIslEEZZNS1_29radix_sort_onesweep_iterationIS3_Lb0EPsS7_N6thrust23THRUST_200600_302600_NS10device_ptrIlEESB_jNS0_19identity_decomposerENS1_16block_id_wrapperIjLb0EEEEE10hipError_tT1_PNSt15iterator_traitsISG_E10value_typeET2_T3_PNSH_ISM_E10value_typeET4_T5_PSR_SS_PNS1_23onesweep_lookback_stateEbbT6_jjT7_P12ihipStream_tbENKUlT_T0_SG_SL_E_clIS7_S7_SB_SB_EEDaSZ_S10_SG_SL_EUlSZ_E_NS1_11comp_targetILNS1_3genE9ELNS1_11target_archE1100ELNS1_3gpuE3ELNS1_3repE0EEENS1_47radix_sort_onesweep_sort_config_static_selectorELNS0_4arch9wavefront6targetE1EEEvSG_: ; @_ZN7rocprim17ROCPRIM_400000_NS6detail17trampoline_kernelINS0_14default_configENS1_35radix_sort_onesweep_config_selectorIslEEZZNS1_29radix_sort_onesweep_iterationIS3_Lb0EPsS7_N6thrust23THRUST_200600_302600_NS10device_ptrIlEESB_jNS0_19identity_decomposerENS1_16block_id_wrapperIjLb0EEEEE10hipError_tT1_PNSt15iterator_traitsISG_E10value_typeET2_T3_PNSH_ISM_E10value_typeET4_T5_PSR_SS_PNS1_23onesweep_lookback_stateEbbT6_jjT7_P12ihipStream_tbENKUlT_T0_SG_SL_E_clIS7_S7_SB_SB_EEDaSZ_S10_SG_SL_EUlSZ_E_NS1_11comp_targetILNS1_3genE9ELNS1_11target_archE1100ELNS1_3gpuE3ELNS1_3repE0EEENS1_47radix_sort_onesweep_sort_config_static_selectorELNS0_4arch9wavefront6targetE1EEEvSG_
; %bb.0:
	.section	.rodata,"a",@progbits
	.p2align	6, 0x0
	.amdhsa_kernel _ZN7rocprim17ROCPRIM_400000_NS6detail17trampoline_kernelINS0_14default_configENS1_35radix_sort_onesweep_config_selectorIslEEZZNS1_29radix_sort_onesweep_iterationIS3_Lb0EPsS7_N6thrust23THRUST_200600_302600_NS10device_ptrIlEESB_jNS0_19identity_decomposerENS1_16block_id_wrapperIjLb0EEEEE10hipError_tT1_PNSt15iterator_traitsISG_E10value_typeET2_T3_PNSH_ISM_E10value_typeET4_T5_PSR_SS_PNS1_23onesweep_lookback_stateEbbT6_jjT7_P12ihipStream_tbENKUlT_T0_SG_SL_E_clIS7_S7_SB_SB_EEDaSZ_S10_SG_SL_EUlSZ_E_NS1_11comp_targetILNS1_3genE9ELNS1_11target_archE1100ELNS1_3gpuE3ELNS1_3repE0EEENS1_47radix_sort_onesweep_sort_config_static_selectorELNS0_4arch9wavefront6targetE1EEEvSG_
		.amdhsa_group_segment_fixed_size 0
		.amdhsa_private_segment_fixed_size 0
		.amdhsa_kernarg_size 88
		.amdhsa_user_sgpr_count 6
		.amdhsa_user_sgpr_private_segment_buffer 1
		.amdhsa_user_sgpr_dispatch_ptr 0
		.amdhsa_user_sgpr_queue_ptr 0
		.amdhsa_user_sgpr_kernarg_segment_ptr 1
		.amdhsa_user_sgpr_dispatch_id 0
		.amdhsa_user_sgpr_flat_scratch_init 0
		.amdhsa_user_sgpr_private_segment_size 0
		.amdhsa_uses_dynamic_stack 0
		.amdhsa_system_sgpr_private_segment_wavefront_offset 0
		.amdhsa_system_sgpr_workgroup_id_x 1
		.amdhsa_system_sgpr_workgroup_id_y 0
		.amdhsa_system_sgpr_workgroup_id_z 0
		.amdhsa_system_sgpr_workgroup_info 0
		.amdhsa_system_vgpr_workitem_id 0
		.amdhsa_next_free_vgpr 1
		.amdhsa_next_free_sgpr 0
		.amdhsa_reserve_vcc 0
		.amdhsa_reserve_flat_scratch 0
		.amdhsa_float_round_mode_32 0
		.amdhsa_float_round_mode_16_64 0
		.amdhsa_float_denorm_mode_32 3
		.amdhsa_float_denorm_mode_16_64 3
		.amdhsa_dx10_clamp 1
		.amdhsa_ieee_mode 1
		.amdhsa_fp16_overflow 0
		.amdhsa_exception_fp_ieee_invalid_op 0
		.amdhsa_exception_fp_denorm_src 0
		.amdhsa_exception_fp_ieee_div_zero 0
		.amdhsa_exception_fp_ieee_overflow 0
		.amdhsa_exception_fp_ieee_underflow 0
		.amdhsa_exception_fp_ieee_inexact 0
		.amdhsa_exception_int_div_zero 0
	.end_amdhsa_kernel
	.section	.text._ZN7rocprim17ROCPRIM_400000_NS6detail17trampoline_kernelINS0_14default_configENS1_35radix_sort_onesweep_config_selectorIslEEZZNS1_29radix_sort_onesweep_iterationIS3_Lb0EPsS7_N6thrust23THRUST_200600_302600_NS10device_ptrIlEESB_jNS0_19identity_decomposerENS1_16block_id_wrapperIjLb0EEEEE10hipError_tT1_PNSt15iterator_traitsISG_E10value_typeET2_T3_PNSH_ISM_E10value_typeET4_T5_PSR_SS_PNS1_23onesweep_lookback_stateEbbT6_jjT7_P12ihipStream_tbENKUlT_T0_SG_SL_E_clIS7_S7_SB_SB_EEDaSZ_S10_SG_SL_EUlSZ_E_NS1_11comp_targetILNS1_3genE9ELNS1_11target_archE1100ELNS1_3gpuE3ELNS1_3repE0EEENS1_47radix_sort_onesweep_sort_config_static_selectorELNS0_4arch9wavefront6targetE1EEEvSG_,"axG",@progbits,_ZN7rocprim17ROCPRIM_400000_NS6detail17trampoline_kernelINS0_14default_configENS1_35radix_sort_onesweep_config_selectorIslEEZZNS1_29radix_sort_onesweep_iterationIS3_Lb0EPsS7_N6thrust23THRUST_200600_302600_NS10device_ptrIlEESB_jNS0_19identity_decomposerENS1_16block_id_wrapperIjLb0EEEEE10hipError_tT1_PNSt15iterator_traitsISG_E10value_typeET2_T3_PNSH_ISM_E10value_typeET4_T5_PSR_SS_PNS1_23onesweep_lookback_stateEbbT6_jjT7_P12ihipStream_tbENKUlT_T0_SG_SL_E_clIS7_S7_SB_SB_EEDaSZ_S10_SG_SL_EUlSZ_E_NS1_11comp_targetILNS1_3genE9ELNS1_11target_archE1100ELNS1_3gpuE3ELNS1_3repE0EEENS1_47radix_sort_onesweep_sort_config_static_selectorELNS0_4arch9wavefront6targetE1EEEvSG_,comdat
.Lfunc_end1432:
	.size	_ZN7rocprim17ROCPRIM_400000_NS6detail17trampoline_kernelINS0_14default_configENS1_35radix_sort_onesweep_config_selectorIslEEZZNS1_29radix_sort_onesweep_iterationIS3_Lb0EPsS7_N6thrust23THRUST_200600_302600_NS10device_ptrIlEESB_jNS0_19identity_decomposerENS1_16block_id_wrapperIjLb0EEEEE10hipError_tT1_PNSt15iterator_traitsISG_E10value_typeET2_T3_PNSH_ISM_E10value_typeET4_T5_PSR_SS_PNS1_23onesweep_lookback_stateEbbT6_jjT7_P12ihipStream_tbENKUlT_T0_SG_SL_E_clIS7_S7_SB_SB_EEDaSZ_S10_SG_SL_EUlSZ_E_NS1_11comp_targetILNS1_3genE9ELNS1_11target_archE1100ELNS1_3gpuE3ELNS1_3repE0EEENS1_47radix_sort_onesweep_sort_config_static_selectorELNS0_4arch9wavefront6targetE1EEEvSG_, .Lfunc_end1432-_ZN7rocprim17ROCPRIM_400000_NS6detail17trampoline_kernelINS0_14default_configENS1_35radix_sort_onesweep_config_selectorIslEEZZNS1_29radix_sort_onesweep_iterationIS3_Lb0EPsS7_N6thrust23THRUST_200600_302600_NS10device_ptrIlEESB_jNS0_19identity_decomposerENS1_16block_id_wrapperIjLb0EEEEE10hipError_tT1_PNSt15iterator_traitsISG_E10value_typeET2_T3_PNSH_ISM_E10value_typeET4_T5_PSR_SS_PNS1_23onesweep_lookback_stateEbbT6_jjT7_P12ihipStream_tbENKUlT_T0_SG_SL_E_clIS7_S7_SB_SB_EEDaSZ_S10_SG_SL_EUlSZ_E_NS1_11comp_targetILNS1_3genE9ELNS1_11target_archE1100ELNS1_3gpuE3ELNS1_3repE0EEENS1_47radix_sort_onesweep_sort_config_static_selectorELNS0_4arch9wavefront6targetE1EEEvSG_
                                        ; -- End function
	.set _ZN7rocprim17ROCPRIM_400000_NS6detail17trampoline_kernelINS0_14default_configENS1_35radix_sort_onesweep_config_selectorIslEEZZNS1_29radix_sort_onesweep_iterationIS3_Lb0EPsS7_N6thrust23THRUST_200600_302600_NS10device_ptrIlEESB_jNS0_19identity_decomposerENS1_16block_id_wrapperIjLb0EEEEE10hipError_tT1_PNSt15iterator_traitsISG_E10value_typeET2_T3_PNSH_ISM_E10value_typeET4_T5_PSR_SS_PNS1_23onesweep_lookback_stateEbbT6_jjT7_P12ihipStream_tbENKUlT_T0_SG_SL_E_clIS7_S7_SB_SB_EEDaSZ_S10_SG_SL_EUlSZ_E_NS1_11comp_targetILNS1_3genE9ELNS1_11target_archE1100ELNS1_3gpuE3ELNS1_3repE0EEENS1_47radix_sort_onesweep_sort_config_static_selectorELNS0_4arch9wavefront6targetE1EEEvSG_.num_vgpr, 0
	.set _ZN7rocprim17ROCPRIM_400000_NS6detail17trampoline_kernelINS0_14default_configENS1_35radix_sort_onesweep_config_selectorIslEEZZNS1_29radix_sort_onesweep_iterationIS3_Lb0EPsS7_N6thrust23THRUST_200600_302600_NS10device_ptrIlEESB_jNS0_19identity_decomposerENS1_16block_id_wrapperIjLb0EEEEE10hipError_tT1_PNSt15iterator_traitsISG_E10value_typeET2_T3_PNSH_ISM_E10value_typeET4_T5_PSR_SS_PNS1_23onesweep_lookback_stateEbbT6_jjT7_P12ihipStream_tbENKUlT_T0_SG_SL_E_clIS7_S7_SB_SB_EEDaSZ_S10_SG_SL_EUlSZ_E_NS1_11comp_targetILNS1_3genE9ELNS1_11target_archE1100ELNS1_3gpuE3ELNS1_3repE0EEENS1_47radix_sort_onesweep_sort_config_static_selectorELNS0_4arch9wavefront6targetE1EEEvSG_.num_agpr, 0
	.set _ZN7rocprim17ROCPRIM_400000_NS6detail17trampoline_kernelINS0_14default_configENS1_35radix_sort_onesweep_config_selectorIslEEZZNS1_29radix_sort_onesweep_iterationIS3_Lb0EPsS7_N6thrust23THRUST_200600_302600_NS10device_ptrIlEESB_jNS0_19identity_decomposerENS1_16block_id_wrapperIjLb0EEEEE10hipError_tT1_PNSt15iterator_traitsISG_E10value_typeET2_T3_PNSH_ISM_E10value_typeET4_T5_PSR_SS_PNS1_23onesweep_lookback_stateEbbT6_jjT7_P12ihipStream_tbENKUlT_T0_SG_SL_E_clIS7_S7_SB_SB_EEDaSZ_S10_SG_SL_EUlSZ_E_NS1_11comp_targetILNS1_3genE9ELNS1_11target_archE1100ELNS1_3gpuE3ELNS1_3repE0EEENS1_47radix_sort_onesweep_sort_config_static_selectorELNS0_4arch9wavefront6targetE1EEEvSG_.numbered_sgpr, 0
	.set _ZN7rocprim17ROCPRIM_400000_NS6detail17trampoline_kernelINS0_14default_configENS1_35radix_sort_onesweep_config_selectorIslEEZZNS1_29radix_sort_onesweep_iterationIS3_Lb0EPsS7_N6thrust23THRUST_200600_302600_NS10device_ptrIlEESB_jNS0_19identity_decomposerENS1_16block_id_wrapperIjLb0EEEEE10hipError_tT1_PNSt15iterator_traitsISG_E10value_typeET2_T3_PNSH_ISM_E10value_typeET4_T5_PSR_SS_PNS1_23onesweep_lookback_stateEbbT6_jjT7_P12ihipStream_tbENKUlT_T0_SG_SL_E_clIS7_S7_SB_SB_EEDaSZ_S10_SG_SL_EUlSZ_E_NS1_11comp_targetILNS1_3genE9ELNS1_11target_archE1100ELNS1_3gpuE3ELNS1_3repE0EEENS1_47radix_sort_onesweep_sort_config_static_selectorELNS0_4arch9wavefront6targetE1EEEvSG_.num_named_barrier, 0
	.set _ZN7rocprim17ROCPRIM_400000_NS6detail17trampoline_kernelINS0_14default_configENS1_35radix_sort_onesweep_config_selectorIslEEZZNS1_29radix_sort_onesweep_iterationIS3_Lb0EPsS7_N6thrust23THRUST_200600_302600_NS10device_ptrIlEESB_jNS0_19identity_decomposerENS1_16block_id_wrapperIjLb0EEEEE10hipError_tT1_PNSt15iterator_traitsISG_E10value_typeET2_T3_PNSH_ISM_E10value_typeET4_T5_PSR_SS_PNS1_23onesweep_lookback_stateEbbT6_jjT7_P12ihipStream_tbENKUlT_T0_SG_SL_E_clIS7_S7_SB_SB_EEDaSZ_S10_SG_SL_EUlSZ_E_NS1_11comp_targetILNS1_3genE9ELNS1_11target_archE1100ELNS1_3gpuE3ELNS1_3repE0EEENS1_47radix_sort_onesweep_sort_config_static_selectorELNS0_4arch9wavefront6targetE1EEEvSG_.private_seg_size, 0
	.set _ZN7rocprim17ROCPRIM_400000_NS6detail17trampoline_kernelINS0_14default_configENS1_35radix_sort_onesweep_config_selectorIslEEZZNS1_29radix_sort_onesweep_iterationIS3_Lb0EPsS7_N6thrust23THRUST_200600_302600_NS10device_ptrIlEESB_jNS0_19identity_decomposerENS1_16block_id_wrapperIjLb0EEEEE10hipError_tT1_PNSt15iterator_traitsISG_E10value_typeET2_T3_PNSH_ISM_E10value_typeET4_T5_PSR_SS_PNS1_23onesweep_lookback_stateEbbT6_jjT7_P12ihipStream_tbENKUlT_T0_SG_SL_E_clIS7_S7_SB_SB_EEDaSZ_S10_SG_SL_EUlSZ_E_NS1_11comp_targetILNS1_3genE9ELNS1_11target_archE1100ELNS1_3gpuE3ELNS1_3repE0EEENS1_47radix_sort_onesweep_sort_config_static_selectorELNS0_4arch9wavefront6targetE1EEEvSG_.uses_vcc, 0
	.set _ZN7rocprim17ROCPRIM_400000_NS6detail17trampoline_kernelINS0_14default_configENS1_35radix_sort_onesweep_config_selectorIslEEZZNS1_29radix_sort_onesweep_iterationIS3_Lb0EPsS7_N6thrust23THRUST_200600_302600_NS10device_ptrIlEESB_jNS0_19identity_decomposerENS1_16block_id_wrapperIjLb0EEEEE10hipError_tT1_PNSt15iterator_traitsISG_E10value_typeET2_T3_PNSH_ISM_E10value_typeET4_T5_PSR_SS_PNS1_23onesweep_lookback_stateEbbT6_jjT7_P12ihipStream_tbENKUlT_T0_SG_SL_E_clIS7_S7_SB_SB_EEDaSZ_S10_SG_SL_EUlSZ_E_NS1_11comp_targetILNS1_3genE9ELNS1_11target_archE1100ELNS1_3gpuE3ELNS1_3repE0EEENS1_47radix_sort_onesweep_sort_config_static_selectorELNS0_4arch9wavefront6targetE1EEEvSG_.uses_flat_scratch, 0
	.set _ZN7rocprim17ROCPRIM_400000_NS6detail17trampoline_kernelINS0_14default_configENS1_35radix_sort_onesweep_config_selectorIslEEZZNS1_29radix_sort_onesweep_iterationIS3_Lb0EPsS7_N6thrust23THRUST_200600_302600_NS10device_ptrIlEESB_jNS0_19identity_decomposerENS1_16block_id_wrapperIjLb0EEEEE10hipError_tT1_PNSt15iterator_traitsISG_E10value_typeET2_T3_PNSH_ISM_E10value_typeET4_T5_PSR_SS_PNS1_23onesweep_lookback_stateEbbT6_jjT7_P12ihipStream_tbENKUlT_T0_SG_SL_E_clIS7_S7_SB_SB_EEDaSZ_S10_SG_SL_EUlSZ_E_NS1_11comp_targetILNS1_3genE9ELNS1_11target_archE1100ELNS1_3gpuE3ELNS1_3repE0EEENS1_47radix_sort_onesweep_sort_config_static_selectorELNS0_4arch9wavefront6targetE1EEEvSG_.has_dyn_sized_stack, 0
	.set _ZN7rocprim17ROCPRIM_400000_NS6detail17trampoline_kernelINS0_14default_configENS1_35radix_sort_onesweep_config_selectorIslEEZZNS1_29radix_sort_onesweep_iterationIS3_Lb0EPsS7_N6thrust23THRUST_200600_302600_NS10device_ptrIlEESB_jNS0_19identity_decomposerENS1_16block_id_wrapperIjLb0EEEEE10hipError_tT1_PNSt15iterator_traitsISG_E10value_typeET2_T3_PNSH_ISM_E10value_typeET4_T5_PSR_SS_PNS1_23onesweep_lookback_stateEbbT6_jjT7_P12ihipStream_tbENKUlT_T0_SG_SL_E_clIS7_S7_SB_SB_EEDaSZ_S10_SG_SL_EUlSZ_E_NS1_11comp_targetILNS1_3genE9ELNS1_11target_archE1100ELNS1_3gpuE3ELNS1_3repE0EEENS1_47radix_sort_onesweep_sort_config_static_selectorELNS0_4arch9wavefront6targetE1EEEvSG_.has_recursion, 0
	.set _ZN7rocprim17ROCPRIM_400000_NS6detail17trampoline_kernelINS0_14default_configENS1_35radix_sort_onesweep_config_selectorIslEEZZNS1_29radix_sort_onesweep_iterationIS3_Lb0EPsS7_N6thrust23THRUST_200600_302600_NS10device_ptrIlEESB_jNS0_19identity_decomposerENS1_16block_id_wrapperIjLb0EEEEE10hipError_tT1_PNSt15iterator_traitsISG_E10value_typeET2_T3_PNSH_ISM_E10value_typeET4_T5_PSR_SS_PNS1_23onesweep_lookback_stateEbbT6_jjT7_P12ihipStream_tbENKUlT_T0_SG_SL_E_clIS7_S7_SB_SB_EEDaSZ_S10_SG_SL_EUlSZ_E_NS1_11comp_targetILNS1_3genE9ELNS1_11target_archE1100ELNS1_3gpuE3ELNS1_3repE0EEENS1_47radix_sort_onesweep_sort_config_static_selectorELNS0_4arch9wavefront6targetE1EEEvSG_.has_indirect_call, 0
	.section	.AMDGPU.csdata,"",@progbits
; Kernel info:
; codeLenInByte = 0
; TotalNumSgprs: 4
; NumVgprs: 0
; ScratchSize: 0
; MemoryBound: 0
; FloatMode: 240
; IeeeMode: 1
; LDSByteSize: 0 bytes/workgroup (compile time only)
; SGPRBlocks: 0
; VGPRBlocks: 0
; NumSGPRsForWavesPerEU: 4
; NumVGPRsForWavesPerEU: 1
; Occupancy: 10
; WaveLimiterHint : 0
; COMPUTE_PGM_RSRC2:SCRATCH_EN: 0
; COMPUTE_PGM_RSRC2:USER_SGPR: 6
; COMPUTE_PGM_RSRC2:TRAP_HANDLER: 0
; COMPUTE_PGM_RSRC2:TGID_X_EN: 1
; COMPUTE_PGM_RSRC2:TGID_Y_EN: 0
; COMPUTE_PGM_RSRC2:TGID_Z_EN: 0
; COMPUTE_PGM_RSRC2:TIDIG_COMP_CNT: 0
	.section	.text._ZN7rocprim17ROCPRIM_400000_NS6detail17trampoline_kernelINS0_14default_configENS1_35radix_sort_onesweep_config_selectorIslEEZZNS1_29radix_sort_onesweep_iterationIS3_Lb0EPsS7_N6thrust23THRUST_200600_302600_NS10device_ptrIlEESB_jNS0_19identity_decomposerENS1_16block_id_wrapperIjLb0EEEEE10hipError_tT1_PNSt15iterator_traitsISG_E10value_typeET2_T3_PNSH_ISM_E10value_typeET4_T5_PSR_SS_PNS1_23onesweep_lookback_stateEbbT6_jjT7_P12ihipStream_tbENKUlT_T0_SG_SL_E_clIS7_S7_SB_SB_EEDaSZ_S10_SG_SL_EUlSZ_E_NS1_11comp_targetILNS1_3genE8ELNS1_11target_archE1030ELNS1_3gpuE2ELNS1_3repE0EEENS1_47radix_sort_onesweep_sort_config_static_selectorELNS0_4arch9wavefront6targetE1EEEvSG_,"axG",@progbits,_ZN7rocprim17ROCPRIM_400000_NS6detail17trampoline_kernelINS0_14default_configENS1_35radix_sort_onesweep_config_selectorIslEEZZNS1_29radix_sort_onesweep_iterationIS3_Lb0EPsS7_N6thrust23THRUST_200600_302600_NS10device_ptrIlEESB_jNS0_19identity_decomposerENS1_16block_id_wrapperIjLb0EEEEE10hipError_tT1_PNSt15iterator_traitsISG_E10value_typeET2_T3_PNSH_ISM_E10value_typeET4_T5_PSR_SS_PNS1_23onesweep_lookback_stateEbbT6_jjT7_P12ihipStream_tbENKUlT_T0_SG_SL_E_clIS7_S7_SB_SB_EEDaSZ_S10_SG_SL_EUlSZ_E_NS1_11comp_targetILNS1_3genE8ELNS1_11target_archE1030ELNS1_3gpuE2ELNS1_3repE0EEENS1_47radix_sort_onesweep_sort_config_static_selectorELNS0_4arch9wavefront6targetE1EEEvSG_,comdat
	.protected	_ZN7rocprim17ROCPRIM_400000_NS6detail17trampoline_kernelINS0_14default_configENS1_35radix_sort_onesweep_config_selectorIslEEZZNS1_29radix_sort_onesweep_iterationIS3_Lb0EPsS7_N6thrust23THRUST_200600_302600_NS10device_ptrIlEESB_jNS0_19identity_decomposerENS1_16block_id_wrapperIjLb0EEEEE10hipError_tT1_PNSt15iterator_traitsISG_E10value_typeET2_T3_PNSH_ISM_E10value_typeET4_T5_PSR_SS_PNS1_23onesweep_lookback_stateEbbT6_jjT7_P12ihipStream_tbENKUlT_T0_SG_SL_E_clIS7_S7_SB_SB_EEDaSZ_S10_SG_SL_EUlSZ_E_NS1_11comp_targetILNS1_3genE8ELNS1_11target_archE1030ELNS1_3gpuE2ELNS1_3repE0EEENS1_47radix_sort_onesweep_sort_config_static_selectorELNS0_4arch9wavefront6targetE1EEEvSG_ ; -- Begin function _ZN7rocprim17ROCPRIM_400000_NS6detail17trampoline_kernelINS0_14default_configENS1_35radix_sort_onesweep_config_selectorIslEEZZNS1_29radix_sort_onesweep_iterationIS3_Lb0EPsS7_N6thrust23THRUST_200600_302600_NS10device_ptrIlEESB_jNS0_19identity_decomposerENS1_16block_id_wrapperIjLb0EEEEE10hipError_tT1_PNSt15iterator_traitsISG_E10value_typeET2_T3_PNSH_ISM_E10value_typeET4_T5_PSR_SS_PNS1_23onesweep_lookback_stateEbbT6_jjT7_P12ihipStream_tbENKUlT_T0_SG_SL_E_clIS7_S7_SB_SB_EEDaSZ_S10_SG_SL_EUlSZ_E_NS1_11comp_targetILNS1_3genE8ELNS1_11target_archE1030ELNS1_3gpuE2ELNS1_3repE0EEENS1_47radix_sort_onesweep_sort_config_static_selectorELNS0_4arch9wavefront6targetE1EEEvSG_
	.globl	_ZN7rocprim17ROCPRIM_400000_NS6detail17trampoline_kernelINS0_14default_configENS1_35radix_sort_onesweep_config_selectorIslEEZZNS1_29radix_sort_onesweep_iterationIS3_Lb0EPsS7_N6thrust23THRUST_200600_302600_NS10device_ptrIlEESB_jNS0_19identity_decomposerENS1_16block_id_wrapperIjLb0EEEEE10hipError_tT1_PNSt15iterator_traitsISG_E10value_typeET2_T3_PNSH_ISM_E10value_typeET4_T5_PSR_SS_PNS1_23onesweep_lookback_stateEbbT6_jjT7_P12ihipStream_tbENKUlT_T0_SG_SL_E_clIS7_S7_SB_SB_EEDaSZ_S10_SG_SL_EUlSZ_E_NS1_11comp_targetILNS1_3genE8ELNS1_11target_archE1030ELNS1_3gpuE2ELNS1_3repE0EEENS1_47radix_sort_onesweep_sort_config_static_selectorELNS0_4arch9wavefront6targetE1EEEvSG_
	.p2align	8
	.type	_ZN7rocprim17ROCPRIM_400000_NS6detail17trampoline_kernelINS0_14default_configENS1_35radix_sort_onesweep_config_selectorIslEEZZNS1_29radix_sort_onesweep_iterationIS3_Lb0EPsS7_N6thrust23THRUST_200600_302600_NS10device_ptrIlEESB_jNS0_19identity_decomposerENS1_16block_id_wrapperIjLb0EEEEE10hipError_tT1_PNSt15iterator_traitsISG_E10value_typeET2_T3_PNSH_ISM_E10value_typeET4_T5_PSR_SS_PNS1_23onesweep_lookback_stateEbbT6_jjT7_P12ihipStream_tbENKUlT_T0_SG_SL_E_clIS7_S7_SB_SB_EEDaSZ_S10_SG_SL_EUlSZ_E_NS1_11comp_targetILNS1_3genE8ELNS1_11target_archE1030ELNS1_3gpuE2ELNS1_3repE0EEENS1_47radix_sort_onesweep_sort_config_static_selectorELNS0_4arch9wavefront6targetE1EEEvSG_,@function
_ZN7rocprim17ROCPRIM_400000_NS6detail17trampoline_kernelINS0_14default_configENS1_35radix_sort_onesweep_config_selectorIslEEZZNS1_29radix_sort_onesweep_iterationIS3_Lb0EPsS7_N6thrust23THRUST_200600_302600_NS10device_ptrIlEESB_jNS0_19identity_decomposerENS1_16block_id_wrapperIjLb0EEEEE10hipError_tT1_PNSt15iterator_traitsISG_E10value_typeET2_T3_PNSH_ISM_E10value_typeET4_T5_PSR_SS_PNS1_23onesweep_lookback_stateEbbT6_jjT7_P12ihipStream_tbENKUlT_T0_SG_SL_E_clIS7_S7_SB_SB_EEDaSZ_S10_SG_SL_EUlSZ_E_NS1_11comp_targetILNS1_3genE8ELNS1_11target_archE1030ELNS1_3gpuE2ELNS1_3repE0EEENS1_47radix_sort_onesweep_sort_config_static_selectorELNS0_4arch9wavefront6targetE1EEEvSG_: ; @_ZN7rocprim17ROCPRIM_400000_NS6detail17trampoline_kernelINS0_14default_configENS1_35radix_sort_onesweep_config_selectorIslEEZZNS1_29radix_sort_onesweep_iterationIS3_Lb0EPsS7_N6thrust23THRUST_200600_302600_NS10device_ptrIlEESB_jNS0_19identity_decomposerENS1_16block_id_wrapperIjLb0EEEEE10hipError_tT1_PNSt15iterator_traitsISG_E10value_typeET2_T3_PNSH_ISM_E10value_typeET4_T5_PSR_SS_PNS1_23onesweep_lookback_stateEbbT6_jjT7_P12ihipStream_tbENKUlT_T0_SG_SL_E_clIS7_S7_SB_SB_EEDaSZ_S10_SG_SL_EUlSZ_E_NS1_11comp_targetILNS1_3genE8ELNS1_11target_archE1030ELNS1_3gpuE2ELNS1_3repE0EEENS1_47radix_sort_onesweep_sort_config_static_selectorELNS0_4arch9wavefront6targetE1EEEvSG_
; %bb.0:
	.section	.rodata,"a",@progbits
	.p2align	6, 0x0
	.amdhsa_kernel _ZN7rocprim17ROCPRIM_400000_NS6detail17trampoline_kernelINS0_14default_configENS1_35radix_sort_onesweep_config_selectorIslEEZZNS1_29radix_sort_onesweep_iterationIS3_Lb0EPsS7_N6thrust23THRUST_200600_302600_NS10device_ptrIlEESB_jNS0_19identity_decomposerENS1_16block_id_wrapperIjLb0EEEEE10hipError_tT1_PNSt15iterator_traitsISG_E10value_typeET2_T3_PNSH_ISM_E10value_typeET4_T5_PSR_SS_PNS1_23onesweep_lookback_stateEbbT6_jjT7_P12ihipStream_tbENKUlT_T0_SG_SL_E_clIS7_S7_SB_SB_EEDaSZ_S10_SG_SL_EUlSZ_E_NS1_11comp_targetILNS1_3genE8ELNS1_11target_archE1030ELNS1_3gpuE2ELNS1_3repE0EEENS1_47radix_sort_onesweep_sort_config_static_selectorELNS0_4arch9wavefront6targetE1EEEvSG_
		.amdhsa_group_segment_fixed_size 0
		.amdhsa_private_segment_fixed_size 0
		.amdhsa_kernarg_size 88
		.amdhsa_user_sgpr_count 6
		.amdhsa_user_sgpr_private_segment_buffer 1
		.amdhsa_user_sgpr_dispatch_ptr 0
		.amdhsa_user_sgpr_queue_ptr 0
		.amdhsa_user_sgpr_kernarg_segment_ptr 1
		.amdhsa_user_sgpr_dispatch_id 0
		.amdhsa_user_sgpr_flat_scratch_init 0
		.amdhsa_user_sgpr_private_segment_size 0
		.amdhsa_uses_dynamic_stack 0
		.amdhsa_system_sgpr_private_segment_wavefront_offset 0
		.amdhsa_system_sgpr_workgroup_id_x 1
		.amdhsa_system_sgpr_workgroup_id_y 0
		.amdhsa_system_sgpr_workgroup_id_z 0
		.amdhsa_system_sgpr_workgroup_info 0
		.amdhsa_system_vgpr_workitem_id 0
		.amdhsa_next_free_vgpr 1
		.amdhsa_next_free_sgpr 0
		.amdhsa_reserve_vcc 0
		.amdhsa_reserve_flat_scratch 0
		.amdhsa_float_round_mode_32 0
		.amdhsa_float_round_mode_16_64 0
		.amdhsa_float_denorm_mode_32 3
		.amdhsa_float_denorm_mode_16_64 3
		.amdhsa_dx10_clamp 1
		.amdhsa_ieee_mode 1
		.amdhsa_fp16_overflow 0
		.amdhsa_exception_fp_ieee_invalid_op 0
		.amdhsa_exception_fp_denorm_src 0
		.amdhsa_exception_fp_ieee_div_zero 0
		.amdhsa_exception_fp_ieee_overflow 0
		.amdhsa_exception_fp_ieee_underflow 0
		.amdhsa_exception_fp_ieee_inexact 0
		.amdhsa_exception_int_div_zero 0
	.end_amdhsa_kernel
	.section	.text._ZN7rocprim17ROCPRIM_400000_NS6detail17trampoline_kernelINS0_14default_configENS1_35radix_sort_onesweep_config_selectorIslEEZZNS1_29radix_sort_onesweep_iterationIS3_Lb0EPsS7_N6thrust23THRUST_200600_302600_NS10device_ptrIlEESB_jNS0_19identity_decomposerENS1_16block_id_wrapperIjLb0EEEEE10hipError_tT1_PNSt15iterator_traitsISG_E10value_typeET2_T3_PNSH_ISM_E10value_typeET4_T5_PSR_SS_PNS1_23onesweep_lookback_stateEbbT6_jjT7_P12ihipStream_tbENKUlT_T0_SG_SL_E_clIS7_S7_SB_SB_EEDaSZ_S10_SG_SL_EUlSZ_E_NS1_11comp_targetILNS1_3genE8ELNS1_11target_archE1030ELNS1_3gpuE2ELNS1_3repE0EEENS1_47radix_sort_onesweep_sort_config_static_selectorELNS0_4arch9wavefront6targetE1EEEvSG_,"axG",@progbits,_ZN7rocprim17ROCPRIM_400000_NS6detail17trampoline_kernelINS0_14default_configENS1_35radix_sort_onesweep_config_selectorIslEEZZNS1_29radix_sort_onesweep_iterationIS3_Lb0EPsS7_N6thrust23THRUST_200600_302600_NS10device_ptrIlEESB_jNS0_19identity_decomposerENS1_16block_id_wrapperIjLb0EEEEE10hipError_tT1_PNSt15iterator_traitsISG_E10value_typeET2_T3_PNSH_ISM_E10value_typeET4_T5_PSR_SS_PNS1_23onesweep_lookback_stateEbbT6_jjT7_P12ihipStream_tbENKUlT_T0_SG_SL_E_clIS7_S7_SB_SB_EEDaSZ_S10_SG_SL_EUlSZ_E_NS1_11comp_targetILNS1_3genE8ELNS1_11target_archE1030ELNS1_3gpuE2ELNS1_3repE0EEENS1_47radix_sort_onesweep_sort_config_static_selectorELNS0_4arch9wavefront6targetE1EEEvSG_,comdat
.Lfunc_end1433:
	.size	_ZN7rocprim17ROCPRIM_400000_NS6detail17trampoline_kernelINS0_14default_configENS1_35radix_sort_onesweep_config_selectorIslEEZZNS1_29radix_sort_onesweep_iterationIS3_Lb0EPsS7_N6thrust23THRUST_200600_302600_NS10device_ptrIlEESB_jNS0_19identity_decomposerENS1_16block_id_wrapperIjLb0EEEEE10hipError_tT1_PNSt15iterator_traitsISG_E10value_typeET2_T3_PNSH_ISM_E10value_typeET4_T5_PSR_SS_PNS1_23onesweep_lookback_stateEbbT6_jjT7_P12ihipStream_tbENKUlT_T0_SG_SL_E_clIS7_S7_SB_SB_EEDaSZ_S10_SG_SL_EUlSZ_E_NS1_11comp_targetILNS1_3genE8ELNS1_11target_archE1030ELNS1_3gpuE2ELNS1_3repE0EEENS1_47radix_sort_onesweep_sort_config_static_selectorELNS0_4arch9wavefront6targetE1EEEvSG_, .Lfunc_end1433-_ZN7rocprim17ROCPRIM_400000_NS6detail17trampoline_kernelINS0_14default_configENS1_35radix_sort_onesweep_config_selectorIslEEZZNS1_29radix_sort_onesweep_iterationIS3_Lb0EPsS7_N6thrust23THRUST_200600_302600_NS10device_ptrIlEESB_jNS0_19identity_decomposerENS1_16block_id_wrapperIjLb0EEEEE10hipError_tT1_PNSt15iterator_traitsISG_E10value_typeET2_T3_PNSH_ISM_E10value_typeET4_T5_PSR_SS_PNS1_23onesweep_lookback_stateEbbT6_jjT7_P12ihipStream_tbENKUlT_T0_SG_SL_E_clIS7_S7_SB_SB_EEDaSZ_S10_SG_SL_EUlSZ_E_NS1_11comp_targetILNS1_3genE8ELNS1_11target_archE1030ELNS1_3gpuE2ELNS1_3repE0EEENS1_47radix_sort_onesweep_sort_config_static_selectorELNS0_4arch9wavefront6targetE1EEEvSG_
                                        ; -- End function
	.set _ZN7rocprim17ROCPRIM_400000_NS6detail17trampoline_kernelINS0_14default_configENS1_35radix_sort_onesweep_config_selectorIslEEZZNS1_29radix_sort_onesweep_iterationIS3_Lb0EPsS7_N6thrust23THRUST_200600_302600_NS10device_ptrIlEESB_jNS0_19identity_decomposerENS1_16block_id_wrapperIjLb0EEEEE10hipError_tT1_PNSt15iterator_traitsISG_E10value_typeET2_T3_PNSH_ISM_E10value_typeET4_T5_PSR_SS_PNS1_23onesweep_lookback_stateEbbT6_jjT7_P12ihipStream_tbENKUlT_T0_SG_SL_E_clIS7_S7_SB_SB_EEDaSZ_S10_SG_SL_EUlSZ_E_NS1_11comp_targetILNS1_3genE8ELNS1_11target_archE1030ELNS1_3gpuE2ELNS1_3repE0EEENS1_47radix_sort_onesweep_sort_config_static_selectorELNS0_4arch9wavefront6targetE1EEEvSG_.num_vgpr, 0
	.set _ZN7rocprim17ROCPRIM_400000_NS6detail17trampoline_kernelINS0_14default_configENS1_35radix_sort_onesweep_config_selectorIslEEZZNS1_29radix_sort_onesweep_iterationIS3_Lb0EPsS7_N6thrust23THRUST_200600_302600_NS10device_ptrIlEESB_jNS0_19identity_decomposerENS1_16block_id_wrapperIjLb0EEEEE10hipError_tT1_PNSt15iterator_traitsISG_E10value_typeET2_T3_PNSH_ISM_E10value_typeET4_T5_PSR_SS_PNS1_23onesweep_lookback_stateEbbT6_jjT7_P12ihipStream_tbENKUlT_T0_SG_SL_E_clIS7_S7_SB_SB_EEDaSZ_S10_SG_SL_EUlSZ_E_NS1_11comp_targetILNS1_3genE8ELNS1_11target_archE1030ELNS1_3gpuE2ELNS1_3repE0EEENS1_47radix_sort_onesweep_sort_config_static_selectorELNS0_4arch9wavefront6targetE1EEEvSG_.num_agpr, 0
	.set _ZN7rocprim17ROCPRIM_400000_NS6detail17trampoline_kernelINS0_14default_configENS1_35radix_sort_onesweep_config_selectorIslEEZZNS1_29radix_sort_onesweep_iterationIS3_Lb0EPsS7_N6thrust23THRUST_200600_302600_NS10device_ptrIlEESB_jNS0_19identity_decomposerENS1_16block_id_wrapperIjLb0EEEEE10hipError_tT1_PNSt15iterator_traitsISG_E10value_typeET2_T3_PNSH_ISM_E10value_typeET4_T5_PSR_SS_PNS1_23onesweep_lookback_stateEbbT6_jjT7_P12ihipStream_tbENKUlT_T0_SG_SL_E_clIS7_S7_SB_SB_EEDaSZ_S10_SG_SL_EUlSZ_E_NS1_11comp_targetILNS1_3genE8ELNS1_11target_archE1030ELNS1_3gpuE2ELNS1_3repE0EEENS1_47radix_sort_onesweep_sort_config_static_selectorELNS0_4arch9wavefront6targetE1EEEvSG_.numbered_sgpr, 0
	.set _ZN7rocprim17ROCPRIM_400000_NS6detail17trampoline_kernelINS0_14default_configENS1_35radix_sort_onesweep_config_selectorIslEEZZNS1_29radix_sort_onesweep_iterationIS3_Lb0EPsS7_N6thrust23THRUST_200600_302600_NS10device_ptrIlEESB_jNS0_19identity_decomposerENS1_16block_id_wrapperIjLb0EEEEE10hipError_tT1_PNSt15iterator_traitsISG_E10value_typeET2_T3_PNSH_ISM_E10value_typeET4_T5_PSR_SS_PNS1_23onesweep_lookback_stateEbbT6_jjT7_P12ihipStream_tbENKUlT_T0_SG_SL_E_clIS7_S7_SB_SB_EEDaSZ_S10_SG_SL_EUlSZ_E_NS1_11comp_targetILNS1_3genE8ELNS1_11target_archE1030ELNS1_3gpuE2ELNS1_3repE0EEENS1_47radix_sort_onesweep_sort_config_static_selectorELNS0_4arch9wavefront6targetE1EEEvSG_.num_named_barrier, 0
	.set _ZN7rocprim17ROCPRIM_400000_NS6detail17trampoline_kernelINS0_14default_configENS1_35radix_sort_onesweep_config_selectorIslEEZZNS1_29radix_sort_onesweep_iterationIS3_Lb0EPsS7_N6thrust23THRUST_200600_302600_NS10device_ptrIlEESB_jNS0_19identity_decomposerENS1_16block_id_wrapperIjLb0EEEEE10hipError_tT1_PNSt15iterator_traitsISG_E10value_typeET2_T3_PNSH_ISM_E10value_typeET4_T5_PSR_SS_PNS1_23onesweep_lookback_stateEbbT6_jjT7_P12ihipStream_tbENKUlT_T0_SG_SL_E_clIS7_S7_SB_SB_EEDaSZ_S10_SG_SL_EUlSZ_E_NS1_11comp_targetILNS1_3genE8ELNS1_11target_archE1030ELNS1_3gpuE2ELNS1_3repE0EEENS1_47radix_sort_onesweep_sort_config_static_selectorELNS0_4arch9wavefront6targetE1EEEvSG_.private_seg_size, 0
	.set _ZN7rocprim17ROCPRIM_400000_NS6detail17trampoline_kernelINS0_14default_configENS1_35radix_sort_onesweep_config_selectorIslEEZZNS1_29radix_sort_onesweep_iterationIS3_Lb0EPsS7_N6thrust23THRUST_200600_302600_NS10device_ptrIlEESB_jNS0_19identity_decomposerENS1_16block_id_wrapperIjLb0EEEEE10hipError_tT1_PNSt15iterator_traitsISG_E10value_typeET2_T3_PNSH_ISM_E10value_typeET4_T5_PSR_SS_PNS1_23onesweep_lookback_stateEbbT6_jjT7_P12ihipStream_tbENKUlT_T0_SG_SL_E_clIS7_S7_SB_SB_EEDaSZ_S10_SG_SL_EUlSZ_E_NS1_11comp_targetILNS1_3genE8ELNS1_11target_archE1030ELNS1_3gpuE2ELNS1_3repE0EEENS1_47radix_sort_onesweep_sort_config_static_selectorELNS0_4arch9wavefront6targetE1EEEvSG_.uses_vcc, 0
	.set _ZN7rocprim17ROCPRIM_400000_NS6detail17trampoline_kernelINS0_14default_configENS1_35radix_sort_onesweep_config_selectorIslEEZZNS1_29radix_sort_onesweep_iterationIS3_Lb0EPsS7_N6thrust23THRUST_200600_302600_NS10device_ptrIlEESB_jNS0_19identity_decomposerENS1_16block_id_wrapperIjLb0EEEEE10hipError_tT1_PNSt15iterator_traitsISG_E10value_typeET2_T3_PNSH_ISM_E10value_typeET4_T5_PSR_SS_PNS1_23onesweep_lookback_stateEbbT6_jjT7_P12ihipStream_tbENKUlT_T0_SG_SL_E_clIS7_S7_SB_SB_EEDaSZ_S10_SG_SL_EUlSZ_E_NS1_11comp_targetILNS1_3genE8ELNS1_11target_archE1030ELNS1_3gpuE2ELNS1_3repE0EEENS1_47radix_sort_onesweep_sort_config_static_selectorELNS0_4arch9wavefront6targetE1EEEvSG_.uses_flat_scratch, 0
	.set _ZN7rocprim17ROCPRIM_400000_NS6detail17trampoline_kernelINS0_14default_configENS1_35radix_sort_onesweep_config_selectorIslEEZZNS1_29radix_sort_onesweep_iterationIS3_Lb0EPsS7_N6thrust23THRUST_200600_302600_NS10device_ptrIlEESB_jNS0_19identity_decomposerENS1_16block_id_wrapperIjLb0EEEEE10hipError_tT1_PNSt15iterator_traitsISG_E10value_typeET2_T3_PNSH_ISM_E10value_typeET4_T5_PSR_SS_PNS1_23onesweep_lookback_stateEbbT6_jjT7_P12ihipStream_tbENKUlT_T0_SG_SL_E_clIS7_S7_SB_SB_EEDaSZ_S10_SG_SL_EUlSZ_E_NS1_11comp_targetILNS1_3genE8ELNS1_11target_archE1030ELNS1_3gpuE2ELNS1_3repE0EEENS1_47radix_sort_onesweep_sort_config_static_selectorELNS0_4arch9wavefront6targetE1EEEvSG_.has_dyn_sized_stack, 0
	.set _ZN7rocprim17ROCPRIM_400000_NS6detail17trampoline_kernelINS0_14default_configENS1_35radix_sort_onesweep_config_selectorIslEEZZNS1_29radix_sort_onesweep_iterationIS3_Lb0EPsS7_N6thrust23THRUST_200600_302600_NS10device_ptrIlEESB_jNS0_19identity_decomposerENS1_16block_id_wrapperIjLb0EEEEE10hipError_tT1_PNSt15iterator_traitsISG_E10value_typeET2_T3_PNSH_ISM_E10value_typeET4_T5_PSR_SS_PNS1_23onesweep_lookback_stateEbbT6_jjT7_P12ihipStream_tbENKUlT_T0_SG_SL_E_clIS7_S7_SB_SB_EEDaSZ_S10_SG_SL_EUlSZ_E_NS1_11comp_targetILNS1_3genE8ELNS1_11target_archE1030ELNS1_3gpuE2ELNS1_3repE0EEENS1_47radix_sort_onesweep_sort_config_static_selectorELNS0_4arch9wavefront6targetE1EEEvSG_.has_recursion, 0
	.set _ZN7rocprim17ROCPRIM_400000_NS6detail17trampoline_kernelINS0_14default_configENS1_35radix_sort_onesweep_config_selectorIslEEZZNS1_29radix_sort_onesweep_iterationIS3_Lb0EPsS7_N6thrust23THRUST_200600_302600_NS10device_ptrIlEESB_jNS0_19identity_decomposerENS1_16block_id_wrapperIjLb0EEEEE10hipError_tT1_PNSt15iterator_traitsISG_E10value_typeET2_T3_PNSH_ISM_E10value_typeET4_T5_PSR_SS_PNS1_23onesweep_lookback_stateEbbT6_jjT7_P12ihipStream_tbENKUlT_T0_SG_SL_E_clIS7_S7_SB_SB_EEDaSZ_S10_SG_SL_EUlSZ_E_NS1_11comp_targetILNS1_3genE8ELNS1_11target_archE1030ELNS1_3gpuE2ELNS1_3repE0EEENS1_47radix_sort_onesweep_sort_config_static_selectorELNS0_4arch9wavefront6targetE1EEEvSG_.has_indirect_call, 0
	.section	.AMDGPU.csdata,"",@progbits
; Kernel info:
; codeLenInByte = 0
; TotalNumSgprs: 4
; NumVgprs: 0
; ScratchSize: 0
; MemoryBound: 0
; FloatMode: 240
; IeeeMode: 1
; LDSByteSize: 0 bytes/workgroup (compile time only)
; SGPRBlocks: 0
; VGPRBlocks: 0
; NumSGPRsForWavesPerEU: 4
; NumVGPRsForWavesPerEU: 1
; Occupancy: 10
; WaveLimiterHint : 0
; COMPUTE_PGM_RSRC2:SCRATCH_EN: 0
; COMPUTE_PGM_RSRC2:USER_SGPR: 6
; COMPUTE_PGM_RSRC2:TRAP_HANDLER: 0
; COMPUTE_PGM_RSRC2:TGID_X_EN: 1
; COMPUTE_PGM_RSRC2:TGID_Y_EN: 0
; COMPUTE_PGM_RSRC2:TGID_Z_EN: 0
; COMPUTE_PGM_RSRC2:TIDIG_COMP_CNT: 0
	.section	.text._ZN7rocprim17ROCPRIM_400000_NS6detail17trampoline_kernelINS0_14default_configENS1_35radix_sort_onesweep_config_selectorIslEEZZNS1_29radix_sort_onesweep_iterationIS3_Lb0EPsS7_N6thrust23THRUST_200600_302600_NS10device_ptrIlEESB_jNS0_19identity_decomposerENS1_16block_id_wrapperIjLb0EEEEE10hipError_tT1_PNSt15iterator_traitsISG_E10value_typeET2_T3_PNSH_ISM_E10value_typeET4_T5_PSR_SS_PNS1_23onesweep_lookback_stateEbbT6_jjT7_P12ihipStream_tbENKUlT_T0_SG_SL_E_clIS7_S7_SB_PlEEDaSZ_S10_SG_SL_EUlSZ_E_NS1_11comp_targetILNS1_3genE0ELNS1_11target_archE4294967295ELNS1_3gpuE0ELNS1_3repE0EEENS1_47radix_sort_onesweep_sort_config_static_selectorELNS0_4arch9wavefront6targetE1EEEvSG_,"axG",@progbits,_ZN7rocprim17ROCPRIM_400000_NS6detail17trampoline_kernelINS0_14default_configENS1_35radix_sort_onesweep_config_selectorIslEEZZNS1_29radix_sort_onesweep_iterationIS3_Lb0EPsS7_N6thrust23THRUST_200600_302600_NS10device_ptrIlEESB_jNS0_19identity_decomposerENS1_16block_id_wrapperIjLb0EEEEE10hipError_tT1_PNSt15iterator_traitsISG_E10value_typeET2_T3_PNSH_ISM_E10value_typeET4_T5_PSR_SS_PNS1_23onesweep_lookback_stateEbbT6_jjT7_P12ihipStream_tbENKUlT_T0_SG_SL_E_clIS7_S7_SB_PlEEDaSZ_S10_SG_SL_EUlSZ_E_NS1_11comp_targetILNS1_3genE0ELNS1_11target_archE4294967295ELNS1_3gpuE0ELNS1_3repE0EEENS1_47radix_sort_onesweep_sort_config_static_selectorELNS0_4arch9wavefront6targetE1EEEvSG_,comdat
	.protected	_ZN7rocprim17ROCPRIM_400000_NS6detail17trampoline_kernelINS0_14default_configENS1_35radix_sort_onesweep_config_selectorIslEEZZNS1_29radix_sort_onesweep_iterationIS3_Lb0EPsS7_N6thrust23THRUST_200600_302600_NS10device_ptrIlEESB_jNS0_19identity_decomposerENS1_16block_id_wrapperIjLb0EEEEE10hipError_tT1_PNSt15iterator_traitsISG_E10value_typeET2_T3_PNSH_ISM_E10value_typeET4_T5_PSR_SS_PNS1_23onesweep_lookback_stateEbbT6_jjT7_P12ihipStream_tbENKUlT_T0_SG_SL_E_clIS7_S7_SB_PlEEDaSZ_S10_SG_SL_EUlSZ_E_NS1_11comp_targetILNS1_3genE0ELNS1_11target_archE4294967295ELNS1_3gpuE0ELNS1_3repE0EEENS1_47radix_sort_onesweep_sort_config_static_selectorELNS0_4arch9wavefront6targetE1EEEvSG_ ; -- Begin function _ZN7rocprim17ROCPRIM_400000_NS6detail17trampoline_kernelINS0_14default_configENS1_35radix_sort_onesweep_config_selectorIslEEZZNS1_29radix_sort_onesweep_iterationIS3_Lb0EPsS7_N6thrust23THRUST_200600_302600_NS10device_ptrIlEESB_jNS0_19identity_decomposerENS1_16block_id_wrapperIjLb0EEEEE10hipError_tT1_PNSt15iterator_traitsISG_E10value_typeET2_T3_PNSH_ISM_E10value_typeET4_T5_PSR_SS_PNS1_23onesweep_lookback_stateEbbT6_jjT7_P12ihipStream_tbENKUlT_T0_SG_SL_E_clIS7_S7_SB_PlEEDaSZ_S10_SG_SL_EUlSZ_E_NS1_11comp_targetILNS1_3genE0ELNS1_11target_archE4294967295ELNS1_3gpuE0ELNS1_3repE0EEENS1_47radix_sort_onesweep_sort_config_static_selectorELNS0_4arch9wavefront6targetE1EEEvSG_
	.globl	_ZN7rocprim17ROCPRIM_400000_NS6detail17trampoline_kernelINS0_14default_configENS1_35radix_sort_onesweep_config_selectorIslEEZZNS1_29radix_sort_onesweep_iterationIS3_Lb0EPsS7_N6thrust23THRUST_200600_302600_NS10device_ptrIlEESB_jNS0_19identity_decomposerENS1_16block_id_wrapperIjLb0EEEEE10hipError_tT1_PNSt15iterator_traitsISG_E10value_typeET2_T3_PNSH_ISM_E10value_typeET4_T5_PSR_SS_PNS1_23onesweep_lookback_stateEbbT6_jjT7_P12ihipStream_tbENKUlT_T0_SG_SL_E_clIS7_S7_SB_PlEEDaSZ_S10_SG_SL_EUlSZ_E_NS1_11comp_targetILNS1_3genE0ELNS1_11target_archE4294967295ELNS1_3gpuE0ELNS1_3repE0EEENS1_47radix_sort_onesweep_sort_config_static_selectorELNS0_4arch9wavefront6targetE1EEEvSG_
	.p2align	8
	.type	_ZN7rocprim17ROCPRIM_400000_NS6detail17trampoline_kernelINS0_14default_configENS1_35radix_sort_onesweep_config_selectorIslEEZZNS1_29radix_sort_onesweep_iterationIS3_Lb0EPsS7_N6thrust23THRUST_200600_302600_NS10device_ptrIlEESB_jNS0_19identity_decomposerENS1_16block_id_wrapperIjLb0EEEEE10hipError_tT1_PNSt15iterator_traitsISG_E10value_typeET2_T3_PNSH_ISM_E10value_typeET4_T5_PSR_SS_PNS1_23onesweep_lookback_stateEbbT6_jjT7_P12ihipStream_tbENKUlT_T0_SG_SL_E_clIS7_S7_SB_PlEEDaSZ_S10_SG_SL_EUlSZ_E_NS1_11comp_targetILNS1_3genE0ELNS1_11target_archE4294967295ELNS1_3gpuE0ELNS1_3repE0EEENS1_47radix_sort_onesweep_sort_config_static_selectorELNS0_4arch9wavefront6targetE1EEEvSG_,@function
_ZN7rocprim17ROCPRIM_400000_NS6detail17trampoline_kernelINS0_14default_configENS1_35radix_sort_onesweep_config_selectorIslEEZZNS1_29radix_sort_onesweep_iterationIS3_Lb0EPsS7_N6thrust23THRUST_200600_302600_NS10device_ptrIlEESB_jNS0_19identity_decomposerENS1_16block_id_wrapperIjLb0EEEEE10hipError_tT1_PNSt15iterator_traitsISG_E10value_typeET2_T3_PNSH_ISM_E10value_typeET4_T5_PSR_SS_PNS1_23onesweep_lookback_stateEbbT6_jjT7_P12ihipStream_tbENKUlT_T0_SG_SL_E_clIS7_S7_SB_PlEEDaSZ_S10_SG_SL_EUlSZ_E_NS1_11comp_targetILNS1_3genE0ELNS1_11target_archE4294967295ELNS1_3gpuE0ELNS1_3repE0EEENS1_47radix_sort_onesweep_sort_config_static_selectorELNS0_4arch9wavefront6targetE1EEEvSG_: ; @_ZN7rocprim17ROCPRIM_400000_NS6detail17trampoline_kernelINS0_14default_configENS1_35radix_sort_onesweep_config_selectorIslEEZZNS1_29radix_sort_onesweep_iterationIS3_Lb0EPsS7_N6thrust23THRUST_200600_302600_NS10device_ptrIlEESB_jNS0_19identity_decomposerENS1_16block_id_wrapperIjLb0EEEEE10hipError_tT1_PNSt15iterator_traitsISG_E10value_typeET2_T3_PNSH_ISM_E10value_typeET4_T5_PSR_SS_PNS1_23onesweep_lookback_stateEbbT6_jjT7_P12ihipStream_tbENKUlT_T0_SG_SL_E_clIS7_S7_SB_PlEEDaSZ_S10_SG_SL_EUlSZ_E_NS1_11comp_targetILNS1_3genE0ELNS1_11target_archE4294967295ELNS1_3gpuE0ELNS1_3repE0EEENS1_47radix_sort_onesweep_sort_config_static_selectorELNS0_4arch9wavefront6targetE1EEEvSG_
; %bb.0:
	.section	.rodata,"a",@progbits
	.p2align	6, 0x0
	.amdhsa_kernel _ZN7rocprim17ROCPRIM_400000_NS6detail17trampoline_kernelINS0_14default_configENS1_35radix_sort_onesweep_config_selectorIslEEZZNS1_29radix_sort_onesweep_iterationIS3_Lb0EPsS7_N6thrust23THRUST_200600_302600_NS10device_ptrIlEESB_jNS0_19identity_decomposerENS1_16block_id_wrapperIjLb0EEEEE10hipError_tT1_PNSt15iterator_traitsISG_E10value_typeET2_T3_PNSH_ISM_E10value_typeET4_T5_PSR_SS_PNS1_23onesweep_lookback_stateEbbT6_jjT7_P12ihipStream_tbENKUlT_T0_SG_SL_E_clIS7_S7_SB_PlEEDaSZ_S10_SG_SL_EUlSZ_E_NS1_11comp_targetILNS1_3genE0ELNS1_11target_archE4294967295ELNS1_3gpuE0ELNS1_3repE0EEENS1_47radix_sort_onesweep_sort_config_static_selectorELNS0_4arch9wavefront6targetE1EEEvSG_
		.amdhsa_group_segment_fixed_size 0
		.amdhsa_private_segment_fixed_size 0
		.amdhsa_kernarg_size 88
		.amdhsa_user_sgpr_count 6
		.amdhsa_user_sgpr_private_segment_buffer 1
		.amdhsa_user_sgpr_dispatch_ptr 0
		.amdhsa_user_sgpr_queue_ptr 0
		.amdhsa_user_sgpr_kernarg_segment_ptr 1
		.amdhsa_user_sgpr_dispatch_id 0
		.amdhsa_user_sgpr_flat_scratch_init 0
		.amdhsa_user_sgpr_private_segment_size 0
		.amdhsa_uses_dynamic_stack 0
		.amdhsa_system_sgpr_private_segment_wavefront_offset 0
		.amdhsa_system_sgpr_workgroup_id_x 1
		.amdhsa_system_sgpr_workgroup_id_y 0
		.amdhsa_system_sgpr_workgroup_id_z 0
		.amdhsa_system_sgpr_workgroup_info 0
		.amdhsa_system_vgpr_workitem_id 0
		.amdhsa_next_free_vgpr 1
		.amdhsa_next_free_sgpr 0
		.amdhsa_reserve_vcc 0
		.amdhsa_reserve_flat_scratch 0
		.amdhsa_float_round_mode_32 0
		.amdhsa_float_round_mode_16_64 0
		.amdhsa_float_denorm_mode_32 3
		.amdhsa_float_denorm_mode_16_64 3
		.amdhsa_dx10_clamp 1
		.amdhsa_ieee_mode 1
		.amdhsa_fp16_overflow 0
		.amdhsa_exception_fp_ieee_invalid_op 0
		.amdhsa_exception_fp_denorm_src 0
		.amdhsa_exception_fp_ieee_div_zero 0
		.amdhsa_exception_fp_ieee_overflow 0
		.amdhsa_exception_fp_ieee_underflow 0
		.amdhsa_exception_fp_ieee_inexact 0
		.amdhsa_exception_int_div_zero 0
	.end_amdhsa_kernel
	.section	.text._ZN7rocprim17ROCPRIM_400000_NS6detail17trampoline_kernelINS0_14default_configENS1_35radix_sort_onesweep_config_selectorIslEEZZNS1_29radix_sort_onesweep_iterationIS3_Lb0EPsS7_N6thrust23THRUST_200600_302600_NS10device_ptrIlEESB_jNS0_19identity_decomposerENS1_16block_id_wrapperIjLb0EEEEE10hipError_tT1_PNSt15iterator_traitsISG_E10value_typeET2_T3_PNSH_ISM_E10value_typeET4_T5_PSR_SS_PNS1_23onesweep_lookback_stateEbbT6_jjT7_P12ihipStream_tbENKUlT_T0_SG_SL_E_clIS7_S7_SB_PlEEDaSZ_S10_SG_SL_EUlSZ_E_NS1_11comp_targetILNS1_3genE0ELNS1_11target_archE4294967295ELNS1_3gpuE0ELNS1_3repE0EEENS1_47radix_sort_onesweep_sort_config_static_selectorELNS0_4arch9wavefront6targetE1EEEvSG_,"axG",@progbits,_ZN7rocprim17ROCPRIM_400000_NS6detail17trampoline_kernelINS0_14default_configENS1_35radix_sort_onesweep_config_selectorIslEEZZNS1_29radix_sort_onesweep_iterationIS3_Lb0EPsS7_N6thrust23THRUST_200600_302600_NS10device_ptrIlEESB_jNS0_19identity_decomposerENS1_16block_id_wrapperIjLb0EEEEE10hipError_tT1_PNSt15iterator_traitsISG_E10value_typeET2_T3_PNSH_ISM_E10value_typeET4_T5_PSR_SS_PNS1_23onesweep_lookback_stateEbbT6_jjT7_P12ihipStream_tbENKUlT_T0_SG_SL_E_clIS7_S7_SB_PlEEDaSZ_S10_SG_SL_EUlSZ_E_NS1_11comp_targetILNS1_3genE0ELNS1_11target_archE4294967295ELNS1_3gpuE0ELNS1_3repE0EEENS1_47radix_sort_onesweep_sort_config_static_selectorELNS0_4arch9wavefront6targetE1EEEvSG_,comdat
.Lfunc_end1434:
	.size	_ZN7rocprim17ROCPRIM_400000_NS6detail17trampoline_kernelINS0_14default_configENS1_35radix_sort_onesweep_config_selectorIslEEZZNS1_29radix_sort_onesweep_iterationIS3_Lb0EPsS7_N6thrust23THRUST_200600_302600_NS10device_ptrIlEESB_jNS0_19identity_decomposerENS1_16block_id_wrapperIjLb0EEEEE10hipError_tT1_PNSt15iterator_traitsISG_E10value_typeET2_T3_PNSH_ISM_E10value_typeET4_T5_PSR_SS_PNS1_23onesweep_lookback_stateEbbT6_jjT7_P12ihipStream_tbENKUlT_T0_SG_SL_E_clIS7_S7_SB_PlEEDaSZ_S10_SG_SL_EUlSZ_E_NS1_11comp_targetILNS1_3genE0ELNS1_11target_archE4294967295ELNS1_3gpuE0ELNS1_3repE0EEENS1_47radix_sort_onesweep_sort_config_static_selectorELNS0_4arch9wavefront6targetE1EEEvSG_, .Lfunc_end1434-_ZN7rocprim17ROCPRIM_400000_NS6detail17trampoline_kernelINS0_14default_configENS1_35radix_sort_onesweep_config_selectorIslEEZZNS1_29radix_sort_onesweep_iterationIS3_Lb0EPsS7_N6thrust23THRUST_200600_302600_NS10device_ptrIlEESB_jNS0_19identity_decomposerENS1_16block_id_wrapperIjLb0EEEEE10hipError_tT1_PNSt15iterator_traitsISG_E10value_typeET2_T3_PNSH_ISM_E10value_typeET4_T5_PSR_SS_PNS1_23onesweep_lookback_stateEbbT6_jjT7_P12ihipStream_tbENKUlT_T0_SG_SL_E_clIS7_S7_SB_PlEEDaSZ_S10_SG_SL_EUlSZ_E_NS1_11comp_targetILNS1_3genE0ELNS1_11target_archE4294967295ELNS1_3gpuE0ELNS1_3repE0EEENS1_47radix_sort_onesweep_sort_config_static_selectorELNS0_4arch9wavefront6targetE1EEEvSG_
                                        ; -- End function
	.set _ZN7rocprim17ROCPRIM_400000_NS6detail17trampoline_kernelINS0_14default_configENS1_35radix_sort_onesweep_config_selectorIslEEZZNS1_29radix_sort_onesweep_iterationIS3_Lb0EPsS7_N6thrust23THRUST_200600_302600_NS10device_ptrIlEESB_jNS0_19identity_decomposerENS1_16block_id_wrapperIjLb0EEEEE10hipError_tT1_PNSt15iterator_traitsISG_E10value_typeET2_T3_PNSH_ISM_E10value_typeET4_T5_PSR_SS_PNS1_23onesweep_lookback_stateEbbT6_jjT7_P12ihipStream_tbENKUlT_T0_SG_SL_E_clIS7_S7_SB_PlEEDaSZ_S10_SG_SL_EUlSZ_E_NS1_11comp_targetILNS1_3genE0ELNS1_11target_archE4294967295ELNS1_3gpuE0ELNS1_3repE0EEENS1_47radix_sort_onesweep_sort_config_static_selectorELNS0_4arch9wavefront6targetE1EEEvSG_.num_vgpr, 0
	.set _ZN7rocprim17ROCPRIM_400000_NS6detail17trampoline_kernelINS0_14default_configENS1_35radix_sort_onesweep_config_selectorIslEEZZNS1_29radix_sort_onesweep_iterationIS3_Lb0EPsS7_N6thrust23THRUST_200600_302600_NS10device_ptrIlEESB_jNS0_19identity_decomposerENS1_16block_id_wrapperIjLb0EEEEE10hipError_tT1_PNSt15iterator_traitsISG_E10value_typeET2_T3_PNSH_ISM_E10value_typeET4_T5_PSR_SS_PNS1_23onesweep_lookback_stateEbbT6_jjT7_P12ihipStream_tbENKUlT_T0_SG_SL_E_clIS7_S7_SB_PlEEDaSZ_S10_SG_SL_EUlSZ_E_NS1_11comp_targetILNS1_3genE0ELNS1_11target_archE4294967295ELNS1_3gpuE0ELNS1_3repE0EEENS1_47radix_sort_onesweep_sort_config_static_selectorELNS0_4arch9wavefront6targetE1EEEvSG_.num_agpr, 0
	.set _ZN7rocprim17ROCPRIM_400000_NS6detail17trampoline_kernelINS0_14default_configENS1_35radix_sort_onesweep_config_selectorIslEEZZNS1_29radix_sort_onesweep_iterationIS3_Lb0EPsS7_N6thrust23THRUST_200600_302600_NS10device_ptrIlEESB_jNS0_19identity_decomposerENS1_16block_id_wrapperIjLb0EEEEE10hipError_tT1_PNSt15iterator_traitsISG_E10value_typeET2_T3_PNSH_ISM_E10value_typeET4_T5_PSR_SS_PNS1_23onesweep_lookback_stateEbbT6_jjT7_P12ihipStream_tbENKUlT_T0_SG_SL_E_clIS7_S7_SB_PlEEDaSZ_S10_SG_SL_EUlSZ_E_NS1_11comp_targetILNS1_3genE0ELNS1_11target_archE4294967295ELNS1_3gpuE0ELNS1_3repE0EEENS1_47radix_sort_onesweep_sort_config_static_selectorELNS0_4arch9wavefront6targetE1EEEvSG_.numbered_sgpr, 0
	.set _ZN7rocprim17ROCPRIM_400000_NS6detail17trampoline_kernelINS0_14default_configENS1_35radix_sort_onesweep_config_selectorIslEEZZNS1_29radix_sort_onesweep_iterationIS3_Lb0EPsS7_N6thrust23THRUST_200600_302600_NS10device_ptrIlEESB_jNS0_19identity_decomposerENS1_16block_id_wrapperIjLb0EEEEE10hipError_tT1_PNSt15iterator_traitsISG_E10value_typeET2_T3_PNSH_ISM_E10value_typeET4_T5_PSR_SS_PNS1_23onesweep_lookback_stateEbbT6_jjT7_P12ihipStream_tbENKUlT_T0_SG_SL_E_clIS7_S7_SB_PlEEDaSZ_S10_SG_SL_EUlSZ_E_NS1_11comp_targetILNS1_3genE0ELNS1_11target_archE4294967295ELNS1_3gpuE0ELNS1_3repE0EEENS1_47radix_sort_onesweep_sort_config_static_selectorELNS0_4arch9wavefront6targetE1EEEvSG_.num_named_barrier, 0
	.set _ZN7rocprim17ROCPRIM_400000_NS6detail17trampoline_kernelINS0_14default_configENS1_35radix_sort_onesweep_config_selectorIslEEZZNS1_29radix_sort_onesweep_iterationIS3_Lb0EPsS7_N6thrust23THRUST_200600_302600_NS10device_ptrIlEESB_jNS0_19identity_decomposerENS1_16block_id_wrapperIjLb0EEEEE10hipError_tT1_PNSt15iterator_traitsISG_E10value_typeET2_T3_PNSH_ISM_E10value_typeET4_T5_PSR_SS_PNS1_23onesweep_lookback_stateEbbT6_jjT7_P12ihipStream_tbENKUlT_T0_SG_SL_E_clIS7_S7_SB_PlEEDaSZ_S10_SG_SL_EUlSZ_E_NS1_11comp_targetILNS1_3genE0ELNS1_11target_archE4294967295ELNS1_3gpuE0ELNS1_3repE0EEENS1_47radix_sort_onesweep_sort_config_static_selectorELNS0_4arch9wavefront6targetE1EEEvSG_.private_seg_size, 0
	.set _ZN7rocprim17ROCPRIM_400000_NS6detail17trampoline_kernelINS0_14default_configENS1_35radix_sort_onesweep_config_selectorIslEEZZNS1_29radix_sort_onesweep_iterationIS3_Lb0EPsS7_N6thrust23THRUST_200600_302600_NS10device_ptrIlEESB_jNS0_19identity_decomposerENS1_16block_id_wrapperIjLb0EEEEE10hipError_tT1_PNSt15iterator_traitsISG_E10value_typeET2_T3_PNSH_ISM_E10value_typeET4_T5_PSR_SS_PNS1_23onesweep_lookback_stateEbbT6_jjT7_P12ihipStream_tbENKUlT_T0_SG_SL_E_clIS7_S7_SB_PlEEDaSZ_S10_SG_SL_EUlSZ_E_NS1_11comp_targetILNS1_3genE0ELNS1_11target_archE4294967295ELNS1_3gpuE0ELNS1_3repE0EEENS1_47radix_sort_onesweep_sort_config_static_selectorELNS0_4arch9wavefront6targetE1EEEvSG_.uses_vcc, 0
	.set _ZN7rocprim17ROCPRIM_400000_NS6detail17trampoline_kernelINS0_14default_configENS1_35radix_sort_onesweep_config_selectorIslEEZZNS1_29radix_sort_onesweep_iterationIS3_Lb0EPsS7_N6thrust23THRUST_200600_302600_NS10device_ptrIlEESB_jNS0_19identity_decomposerENS1_16block_id_wrapperIjLb0EEEEE10hipError_tT1_PNSt15iterator_traitsISG_E10value_typeET2_T3_PNSH_ISM_E10value_typeET4_T5_PSR_SS_PNS1_23onesweep_lookback_stateEbbT6_jjT7_P12ihipStream_tbENKUlT_T0_SG_SL_E_clIS7_S7_SB_PlEEDaSZ_S10_SG_SL_EUlSZ_E_NS1_11comp_targetILNS1_3genE0ELNS1_11target_archE4294967295ELNS1_3gpuE0ELNS1_3repE0EEENS1_47radix_sort_onesweep_sort_config_static_selectorELNS0_4arch9wavefront6targetE1EEEvSG_.uses_flat_scratch, 0
	.set _ZN7rocprim17ROCPRIM_400000_NS6detail17trampoline_kernelINS0_14default_configENS1_35radix_sort_onesweep_config_selectorIslEEZZNS1_29radix_sort_onesweep_iterationIS3_Lb0EPsS7_N6thrust23THRUST_200600_302600_NS10device_ptrIlEESB_jNS0_19identity_decomposerENS1_16block_id_wrapperIjLb0EEEEE10hipError_tT1_PNSt15iterator_traitsISG_E10value_typeET2_T3_PNSH_ISM_E10value_typeET4_T5_PSR_SS_PNS1_23onesweep_lookback_stateEbbT6_jjT7_P12ihipStream_tbENKUlT_T0_SG_SL_E_clIS7_S7_SB_PlEEDaSZ_S10_SG_SL_EUlSZ_E_NS1_11comp_targetILNS1_3genE0ELNS1_11target_archE4294967295ELNS1_3gpuE0ELNS1_3repE0EEENS1_47radix_sort_onesweep_sort_config_static_selectorELNS0_4arch9wavefront6targetE1EEEvSG_.has_dyn_sized_stack, 0
	.set _ZN7rocprim17ROCPRIM_400000_NS6detail17trampoline_kernelINS0_14default_configENS1_35radix_sort_onesweep_config_selectorIslEEZZNS1_29radix_sort_onesweep_iterationIS3_Lb0EPsS7_N6thrust23THRUST_200600_302600_NS10device_ptrIlEESB_jNS0_19identity_decomposerENS1_16block_id_wrapperIjLb0EEEEE10hipError_tT1_PNSt15iterator_traitsISG_E10value_typeET2_T3_PNSH_ISM_E10value_typeET4_T5_PSR_SS_PNS1_23onesweep_lookback_stateEbbT6_jjT7_P12ihipStream_tbENKUlT_T0_SG_SL_E_clIS7_S7_SB_PlEEDaSZ_S10_SG_SL_EUlSZ_E_NS1_11comp_targetILNS1_3genE0ELNS1_11target_archE4294967295ELNS1_3gpuE0ELNS1_3repE0EEENS1_47radix_sort_onesweep_sort_config_static_selectorELNS0_4arch9wavefront6targetE1EEEvSG_.has_recursion, 0
	.set _ZN7rocprim17ROCPRIM_400000_NS6detail17trampoline_kernelINS0_14default_configENS1_35radix_sort_onesweep_config_selectorIslEEZZNS1_29radix_sort_onesweep_iterationIS3_Lb0EPsS7_N6thrust23THRUST_200600_302600_NS10device_ptrIlEESB_jNS0_19identity_decomposerENS1_16block_id_wrapperIjLb0EEEEE10hipError_tT1_PNSt15iterator_traitsISG_E10value_typeET2_T3_PNSH_ISM_E10value_typeET4_T5_PSR_SS_PNS1_23onesweep_lookback_stateEbbT6_jjT7_P12ihipStream_tbENKUlT_T0_SG_SL_E_clIS7_S7_SB_PlEEDaSZ_S10_SG_SL_EUlSZ_E_NS1_11comp_targetILNS1_3genE0ELNS1_11target_archE4294967295ELNS1_3gpuE0ELNS1_3repE0EEENS1_47radix_sort_onesweep_sort_config_static_selectorELNS0_4arch9wavefront6targetE1EEEvSG_.has_indirect_call, 0
	.section	.AMDGPU.csdata,"",@progbits
; Kernel info:
; codeLenInByte = 0
; TotalNumSgprs: 4
; NumVgprs: 0
; ScratchSize: 0
; MemoryBound: 0
; FloatMode: 240
; IeeeMode: 1
; LDSByteSize: 0 bytes/workgroup (compile time only)
; SGPRBlocks: 0
; VGPRBlocks: 0
; NumSGPRsForWavesPerEU: 4
; NumVGPRsForWavesPerEU: 1
; Occupancy: 10
; WaveLimiterHint : 0
; COMPUTE_PGM_RSRC2:SCRATCH_EN: 0
; COMPUTE_PGM_RSRC2:USER_SGPR: 6
; COMPUTE_PGM_RSRC2:TRAP_HANDLER: 0
; COMPUTE_PGM_RSRC2:TGID_X_EN: 1
; COMPUTE_PGM_RSRC2:TGID_Y_EN: 0
; COMPUTE_PGM_RSRC2:TGID_Z_EN: 0
; COMPUTE_PGM_RSRC2:TIDIG_COMP_CNT: 0
	.section	.text._ZN7rocprim17ROCPRIM_400000_NS6detail17trampoline_kernelINS0_14default_configENS1_35radix_sort_onesweep_config_selectorIslEEZZNS1_29radix_sort_onesweep_iterationIS3_Lb0EPsS7_N6thrust23THRUST_200600_302600_NS10device_ptrIlEESB_jNS0_19identity_decomposerENS1_16block_id_wrapperIjLb0EEEEE10hipError_tT1_PNSt15iterator_traitsISG_E10value_typeET2_T3_PNSH_ISM_E10value_typeET4_T5_PSR_SS_PNS1_23onesweep_lookback_stateEbbT6_jjT7_P12ihipStream_tbENKUlT_T0_SG_SL_E_clIS7_S7_SB_PlEEDaSZ_S10_SG_SL_EUlSZ_E_NS1_11comp_targetILNS1_3genE6ELNS1_11target_archE950ELNS1_3gpuE13ELNS1_3repE0EEENS1_47radix_sort_onesweep_sort_config_static_selectorELNS0_4arch9wavefront6targetE1EEEvSG_,"axG",@progbits,_ZN7rocprim17ROCPRIM_400000_NS6detail17trampoline_kernelINS0_14default_configENS1_35radix_sort_onesweep_config_selectorIslEEZZNS1_29radix_sort_onesweep_iterationIS3_Lb0EPsS7_N6thrust23THRUST_200600_302600_NS10device_ptrIlEESB_jNS0_19identity_decomposerENS1_16block_id_wrapperIjLb0EEEEE10hipError_tT1_PNSt15iterator_traitsISG_E10value_typeET2_T3_PNSH_ISM_E10value_typeET4_T5_PSR_SS_PNS1_23onesweep_lookback_stateEbbT6_jjT7_P12ihipStream_tbENKUlT_T0_SG_SL_E_clIS7_S7_SB_PlEEDaSZ_S10_SG_SL_EUlSZ_E_NS1_11comp_targetILNS1_3genE6ELNS1_11target_archE950ELNS1_3gpuE13ELNS1_3repE0EEENS1_47radix_sort_onesweep_sort_config_static_selectorELNS0_4arch9wavefront6targetE1EEEvSG_,comdat
	.protected	_ZN7rocprim17ROCPRIM_400000_NS6detail17trampoline_kernelINS0_14default_configENS1_35radix_sort_onesweep_config_selectorIslEEZZNS1_29radix_sort_onesweep_iterationIS3_Lb0EPsS7_N6thrust23THRUST_200600_302600_NS10device_ptrIlEESB_jNS0_19identity_decomposerENS1_16block_id_wrapperIjLb0EEEEE10hipError_tT1_PNSt15iterator_traitsISG_E10value_typeET2_T3_PNSH_ISM_E10value_typeET4_T5_PSR_SS_PNS1_23onesweep_lookback_stateEbbT6_jjT7_P12ihipStream_tbENKUlT_T0_SG_SL_E_clIS7_S7_SB_PlEEDaSZ_S10_SG_SL_EUlSZ_E_NS1_11comp_targetILNS1_3genE6ELNS1_11target_archE950ELNS1_3gpuE13ELNS1_3repE0EEENS1_47radix_sort_onesweep_sort_config_static_selectorELNS0_4arch9wavefront6targetE1EEEvSG_ ; -- Begin function _ZN7rocprim17ROCPRIM_400000_NS6detail17trampoline_kernelINS0_14default_configENS1_35radix_sort_onesweep_config_selectorIslEEZZNS1_29radix_sort_onesweep_iterationIS3_Lb0EPsS7_N6thrust23THRUST_200600_302600_NS10device_ptrIlEESB_jNS0_19identity_decomposerENS1_16block_id_wrapperIjLb0EEEEE10hipError_tT1_PNSt15iterator_traitsISG_E10value_typeET2_T3_PNSH_ISM_E10value_typeET4_T5_PSR_SS_PNS1_23onesweep_lookback_stateEbbT6_jjT7_P12ihipStream_tbENKUlT_T0_SG_SL_E_clIS7_S7_SB_PlEEDaSZ_S10_SG_SL_EUlSZ_E_NS1_11comp_targetILNS1_3genE6ELNS1_11target_archE950ELNS1_3gpuE13ELNS1_3repE0EEENS1_47radix_sort_onesweep_sort_config_static_selectorELNS0_4arch9wavefront6targetE1EEEvSG_
	.globl	_ZN7rocprim17ROCPRIM_400000_NS6detail17trampoline_kernelINS0_14default_configENS1_35radix_sort_onesweep_config_selectorIslEEZZNS1_29radix_sort_onesweep_iterationIS3_Lb0EPsS7_N6thrust23THRUST_200600_302600_NS10device_ptrIlEESB_jNS0_19identity_decomposerENS1_16block_id_wrapperIjLb0EEEEE10hipError_tT1_PNSt15iterator_traitsISG_E10value_typeET2_T3_PNSH_ISM_E10value_typeET4_T5_PSR_SS_PNS1_23onesweep_lookback_stateEbbT6_jjT7_P12ihipStream_tbENKUlT_T0_SG_SL_E_clIS7_S7_SB_PlEEDaSZ_S10_SG_SL_EUlSZ_E_NS1_11comp_targetILNS1_3genE6ELNS1_11target_archE950ELNS1_3gpuE13ELNS1_3repE0EEENS1_47radix_sort_onesweep_sort_config_static_selectorELNS0_4arch9wavefront6targetE1EEEvSG_
	.p2align	8
	.type	_ZN7rocprim17ROCPRIM_400000_NS6detail17trampoline_kernelINS0_14default_configENS1_35radix_sort_onesweep_config_selectorIslEEZZNS1_29radix_sort_onesweep_iterationIS3_Lb0EPsS7_N6thrust23THRUST_200600_302600_NS10device_ptrIlEESB_jNS0_19identity_decomposerENS1_16block_id_wrapperIjLb0EEEEE10hipError_tT1_PNSt15iterator_traitsISG_E10value_typeET2_T3_PNSH_ISM_E10value_typeET4_T5_PSR_SS_PNS1_23onesweep_lookback_stateEbbT6_jjT7_P12ihipStream_tbENKUlT_T0_SG_SL_E_clIS7_S7_SB_PlEEDaSZ_S10_SG_SL_EUlSZ_E_NS1_11comp_targetILNS1_3genE6ELNS1_11target_archE950ELNS1_3gpuE13ELNS1_3repE0EEENS1_47radix_sort_onesweep_sort_config_static_selectorELNS0_4arch9wavefront6targetE1EEEvSG_,@function
_ZN7rocprim17ROCPRIM_400000_NS6detail17trampoline_kernelINS0_14default_configENS1_35radix_sort_onesweep_config_selectorIslEEZZNS1_29radix_sort_onesweep_iterationIS3_Lb0EPsS7_N6thrust23THRUST_200600_302600_NS10device_ptrIlEESB_jNS0_19identity_decomposerENS1_16block_id_wrapperIjLb0EEEEE10hipError_tT1_PNSt15iterator_traitsISG_E10value_typeET2_T3_PNSH_ISM_E10value_typeET4_T5_PSR_SS_PNS1_23onesweep_lookback_stateEbbT6_jjT7_P12ihipStream_tbENKUlT_T0_SG_SL_E_clIS7_S7_SB_PlEEDaSZ_S10_SG_SL_EUlSZ_E_NS1_11comp_targetILNS1_3genE6ELNS1_11target_archE950ELNS1_3gpuE13ELNS1_3repE0EEENS1_47radix_sort_onesweep_sort_config_static_selectorELNS0_4arch9wavefront6targetE1EEEvSG_: ; @_ZN7rocprim17ROCPRIM_400000_NS6detail17trampoline_kernelINS0_14default_configENS1_35radix_sort_onesweep_config_selectorIslEEZZNS1_29radix_sort_onesweep_iterationIS3_Lb0EPsS7_N6thrust23THRUST_200600_302600_NS10device_ptrIlEESB_jNS0_19identity_decomposerENS1_16block_id_wrapperIjLb0EEEEE10hipError_tT1_PNSt15iterator_traitsISG_E10value_typeET2_T3_PNSH_ISM_E10value_typeET4_T5_PSR_SS_PNS1_23onesweep_lookback_stateEbbT6_jjT7_P12ihipStream_tbENKUlT_T0_SG_SL_E_clIS7_S7_SB_PlEEDaSZ_S10_SG_SL_EUlSZ_E_NS1_11comp_targetILNS1_3genE6ELNS1_11target_archE950ELNS1_3gpuE13ELNS1_3repE0EEENS1_47radix_sort_onesweep_sort_config_static_selectorELNS0_4arch9wavefront6targetE1EEEvSG_
; %bb.0:
	.section	.rodata,"a",@progbits
	.p2align	6, 0x0
	.amdhsa_kernel _ZN7rocprim17ROCPRIM_400000_NS6detail17trampoline_kernelINS0_14default_configENS1_35radix_sort_onesweep_config_selectorIslEEZZNS1_29radix_sort_onesweep_iterationIS3_Lb0EPsS7_N6thrust23THRUST_200600_302600_NS10device_ptrIlEESB_jNS0_19identity_decomposerENS1_16block_id_wrapperIjLb0EEEEE10hipError_tT1_PNSt15iterator_traitsISG_E10value_typeET2_T3_PNSH_ISM_E10value_typeET4_T5_PSR_SS_PNS1_23onesweep_lookback_stateEbbT6_jjT7_P12ihipStream_tbENKUlT_T0_SG_SL_E_clIS7_S7_SB_PlEEDaSZ_S10_SG_SL_EUlSZ_E_NS1_11comp_targetILNS1_3genE6ELNS1_11target_archE950ELNS1_3gpuE13ELNS1_3repE0EEENS1_47radix_sort_onesweep_sort_config_static_selectorELNS0_4arch9wavefront6targetE1EEEvSG_
		.amdhsa_group_segment_fixed_size 0
		.amdhsa_private_segment_fixed_size 0
		.amdhsa_kernarg_size 88
		.amdhsa_user_sgpr_count 6
		.amdhsa_user_sgpr_private_segment_buffer 1
		.amdhsa_user_sgpr_dispatch_ptr 0
		.amdhsa_user_sgpr_queue_ptr 0
		.amdhsa_user_sgpr_kernarg_segment_ptr 1
		.amdhsa_user_sgpr_dispatch_id 0
		.amdhsa_user_sgpr_flat_scratch_init 0
		.amdhsa_user_sgpr_private_segment_size 0
		.amdhsa_uses_dynamic_stack 0
		.amdhsa_system_sgpr_private_segment_wavefront_offset 0
		.amdhsa_system_sgpr_workgroup_id_x 1
		.amdhsa_system_sgpr_workgroup_id_y 0
		.amdhsa_system_sgpr_workgroup_id_z 0
		.amdhsa_system_sgpr_workgroup_info 0
		.amdhsa_system_vgpr_workitem_id 0
		.amdhsa_next_free_vgpr 1
		.amdhsa_next_free_sgpr 0
		.amdhsa_reserve_vcc 0
		.amdhsa_reserve_flat_scratch 0
		.amdhsa_float_round_mode_32 0
		.amdhsa_float_round_mode_16_64 0
		.amdhsa_float_denorm_mode_32 3
		.amdhsa_float_denorm_mode_16_64 3
		.amdhsa_dx10_clamp 1
		.amdhsa_ieee_mode 1
		.amdhsa_fp16_overflow 0
		.amdhsa_exception_fp_ieee_invalid_op 0
		.amdhsa_exception_fp_denorm_src 0
		.amdhsa_exception_fp_ieee_div_zero 0
		.amdhsa_exception_fp_ieee_overflow 0
		.amdhsa_exception_fp_ieee_underflow 0
		.amdhsa_exception_fp_ieee_inexact 0
		.amdhsa_exception_int_div_zero 0
	.end_amdhsa_kernel
	.section	.text._ZN7rocprim17ROCPRIM_400000_NS6detail17trampoline_kernelINS0_14default_configENS1_35radix_sort_onesweep_config_selectorIslEEZZNS1_29radix_sort_onesweep_iterationIS3_Lb0EPsS7_N6thrust23THRUST_200600_302600_NS10device_ptrIlEESB_jNS0_19identity_decomposerENS1_16block_id_wrapperIjLb0EEEEE10hipError_tT1_PNSt15iterator_traitsISG_E10value_typeET2_T3_PNSH_ISM_E10value_typeET4_T5_PSR_SS_PNS1_23onesweep_lookback_stateEbbT6_jjT7_P12ihipStream_tbENKUlT_T0_SG_SL_E_clIS7_S7_SB_PlEEDaSZ_S10_SG_SL_EUlSZ_E_NS1_11comp_targetILNS1_3genE6ELNS1_11target_archE950ELNS1_3gpuE13ELNS1_3repE0EEENS1_47radix_sort_onesweep_sort_config_static_selectorELNS0_4arch9wavefront6targetE1EEEvSG_,"axG",@progbits,_ZN7rocprim17ROCPRIM_400000_NS6detail17trampoline_kernelINS0_14default_configENS1_35radix_sort_onesweep_config_selectorIslEEZZNS1_29radix_sort_onesweep_iterationIS3_Lb0EPsS7_N6thrust23THRUST_200600_302600_NS10device_ptrIlEESB_jNS0_19identity_decomposerENS1_16block_id_wrapperIjLb0EEEEE10hipError_tT1_PNSt15iterator_traitsISG_E10value_typeET2_T3_PNSH_ISM_E10value_typeET4_T5_PSR_SS_PNS1_23onesweep_lookback_stateEbbT6_jjT7_P12ihipStream_tbENKUlT_T0_SG_SL_E_clIS7_S7_SB_PlEEDaSZ_S10_SG_SL_EUlSZ_E_NS1_11comp_targetILNS1_3genE6ELNS1_11target_archE950ELNS1_3gpuE13ELNS1_3repE0EEENS1_47radix_sort_onesweep_sort_config_static_selectorELNS0_4arch9wavefront6targetE1EEEvSG_,comdat
.Lfunc_end1435:
	.size	_ZN7rocprim17ROCPRIM_400000_NS6detail17trampoline_kernelINS0_14default_configENS1_35radix_sort_onesweep_config_selectorIslEEZZNS1_29radix_sort_onesweep_iterationIS3_Lb0EPsS7_N6thrust23THRUST_200600_302600_NS10device_ptrIlEESB_jNS0_19identity_decomposerENS1_16block_id_wrapperIjLb0EEEEE10hipError_tT1_PNSt15iterator_traitsISG_E10value_typeET2_T3_PNSH_ISM_E10value_typeET4_T5_PSR_SS_PNS1_23onesweep_lookback_stateEbbT6_jjT7_P12ihipStream_tbENKUlT_T0_SG_SL_E_clIS7_S7_SB_PlEEDaSZ_S10_SG_SL_EUlSZ_E_NS1_11comp_targetILNS1_3genE6ELNS1_11target_archE950ELNS1_3gpuE13ELNS1_3repE0EEENS1_47radix_sort_onesweep_sort_config_static_selectorELNS0_4arch9wavefront6targetE1EEEvSG_, .Lfunc_end1435-_ZN7rocprim17ROCPRIM_400000_NS6detail17trampoline_kernelINS0_14default_configENS1_35radix_sort_onesweep_config_selectorIslEEZZNS1_29radix_sort_onesweep_iterationIS3_Lb0EPsS7_N6thrust23THRUST_200600_302600_NS10device_ptrIlEESB_jNS0_19identity_decomposerENS1_16block_id_wrapperIjLb0EEEEE10hipError_tT1_PNSt15iterator_traitsISG_E10value_typeET2_T3_PNSH_ISM_E10value_typeET4_T5_PSR_SS_PNS1_23onesweep_lookback_stateEbbT6_jjT7_P12ihipStream_tbENKUlT_T0_SG_SL_E_clIS7_S7_SB_PlEEDaSZ_S10_SG_SL_EUlSZ_E_NS1_11comp_targetILNS1_3genE6ELNS1_11target_archE950ELNS1_3gpuE13ELNS1_3repE0EEENS1_47radix_sort_onesweep_sort_config_static_selectorELNS0_4arch9wavefront6targetE1EEEvSG_
                                        ; -- End function
	.set _ZN7rocprim17ROCPRIM_400000_NS6detail17trampoline_kernelINS0_14default_configENS1_35radix_sort_onesweep_config_selectorIslEEZZNS1_29radix_sort_onesweep_iterationIS3_Lb0EPsS7_N6thrust23THRUST_200600_302600_NS10device_ptrIlEESB_jNS0_19identity_decomposerENS1_16block_id_wrapperIjLb0EEEEE10hipError_tT1_PNSt15iterator_traitsISG_E10value_typeET2_T3_PNSH_ISM_E10value_typeET4_T5_PSR_SS_PNS1_23onesweep_lookback_stateEbbT6_jjT7_P12ihipStream_tbENKUlT_T0_SG_SL_E_clIS7_S7_SB_PlEEDaSZ_S10_SG_SL_EUlSZ_E_NS1_11comp_targetILNS1_3genE6ELNS1_11target_archE950ELNS1_3gpuE13ELNS1_3repE0EEENS1_47radix_sort_onesweep_sort_config_static_selectorELNS0_4arch9wavefront6targetE1EEEvSG_.num_vgpr, 0
	.set _ZN7rocprim17ROCPRIM_400000_NS6detail17trampoline_kernelINS0_14default_configENS1_35radix_sort_onesweep_config_selectorIslEEZZNS1_29radix_sort_onesweep_iterationIS3_Lb0EPsS7_N6thrust23THRUST_200600_302600_NS10device_ptrIlEESB_jNS0_19identity_decomposerENS1_16block_id_wrapperIjLb0EEEEE10hipError_tT1_PNSt15iterator_traitsISG_E10value_typeET2_T3_PNSH_ISM_E10value_typeET4_T5_PSR_SS_PNS1_23onesweep_lookback_stateEbbT6_jjT7_P12ihipStream_tbENKUlT_T0_SG_SL_E_clIS7_S7_SB_PlEEDaSZ_S10_SG_SL_EUlSZ_E_NS1_11comp_targetILNS1_3genE6ELNS1_11target_archE950ELNS1_3gpuE13ELNS1_3repE0EEENS1_47radix_sort_onesweep_sort_config_static_selectorELNS0_4arch9wavefront6targetE1EEEvSG_.num_agpr, 0
	.set _ZN7rocprim17ROCPRIM_400000_NS6detail17trampoline_kernelINS0_14default_configENS1_35radix_sort_onesweep_config_selectorIslEEZZNS1_29radix_sort_onesweep_iterationIS3_Lb0EPsS7_N6thrust23THRUST_200600_302600_NS10device_ptrIlEESB_jNS0_19identity_decomposerENS1_16block_id_wrapperIjLb0EEEEE10hipError_tT1_PNSt15iterator_traitsISG_E10value_typeET2_T3_PNSH_ISM_E10value_typeET4_T5_PSR_SS_PNS1_23onesweep_lookback_stateEbbT6_jjT7_P12ihipStream_tbENKUlT_T0_SG_SL_E_clIS7_S7_SB_PlEEDaSZ_S10_SG_SL_EUlSZ_E_NS1_11comp_targetILNS1_3genE6ELNS1_11target_archE950ELNS1_3gpuE13ELNS1_3repE0EEENS1_47radix_sort_onesweep_sort_config_static_selectorELNS0_4arch9wavefront6targetE1EEEvSG_.numbered_sgpr, 0
	.set _ZN7rocprim17ROCPRIM_400000_NS6detail17trampoline_kernelINS0_14default_configENS1_35radix_sort_onesweep_config_selectorIslEEZZNS1_29radix_sort_onesweep_iterationIS3_Lb0EPsS7_N6thrust23THRUST_200600_302600_NS10device_ptrIlEESB_jNS0_19identity_decomposerENS1_16block_id_wrapperIjLb0EEEEE10hipError_tT1_PNSt15iterator_traitsISG_E10value_typeET2_T3_PNSH_ISM_E10value_typeET4_T5_PSR_SS_PNS1_23onesweep_lookback_stateEbbT6_jjT7_P12ihipStream_tbENKUlT_T0_SG_SL_E_clIS7_S7_SB_PlEEDaSZ_S10_SG_SL_EUlSZ_E_NS1_11comp_targetILNS1_3genE6ELNS1_11target_archE950ELNS1_3gpuE13ELNS1_3repE0EEENS1_47radix_sort_onesweep_sort_config_static_selectorELNS0_4arch9wavefront6targetE1EEEvSG_.num_named_barrier, 0
	.set _ZN7rocprim17ROCPRIM_400000_NS6detail17trampoline_kernelINS0_14default_configENS1_35radix_sort_onesweep_config_selectorIslEEZZNS1_29radix_sort_onesweep_iterationIS3_Lb0EPsS7_N6thrust23THRUST_200600_302600_NS10device_ptrIlEESB_jNS0_19identity_decomposerENS1_16block_id_wrapperIjLb0EEEEE10hipError_tT1_PNSt15iterator_traitsISG_E10value_typeET2_T3_PNSH_ISM_E10value_typeET4_T5_PSR_SS_PNS1_23onesweep_lookback_stateEbbT6_jjT7_P12ihipStream_tbENKUlT_T0_SG_SL_E_clIS7_S7_SB_PlEEDaSZ_S10_SG_SL_EUlSZ_E_NS1_11comp_targetILNS1_3genE6ELNS1_11target_archE950ELNS1_3gpuE13ELNS1_3repE0EEENS1_47radix_sort_onesweep_sort_config_static_selectorELNS0_4arch9wavefront6targetE1EEEvSG_.private_seg_size, 0
	.set _ZN7rocprim17ROCPRIM_400000_NS6detail17trampoline_kernelINS0_14default_configENS1_35radix_sort_onesweep_config_selectorIslEEZZNS1_29radix_sort_onesweep_iterationIS3_Lb0EPsS7_N6thrust23THRUST_200600_302600_NS10device_ptrIlEESB_jNS0_19identity_decomposerENS1_16block_id_wrapperIjLb0EEEEE10hipError_tT1_PNSt15iterator_traitsISG_E10value_typeET2_T3_PNSH_ISM_E10value_typeET4_T5_PSR_SS_PNS1_23onesweep_lookback_stateEbbT6_jjT7_P12ihipStream_tbENKUlT_T0_SG_SL_E_clIS7_S7_SB_PlEEDaSZ_S10_SG_SL_EUlSZ_E_NS1_11comp_targetILNS1_3genE6ELNS1_11target_archE950ELNS1_3gpuE13ELNS1_3repE0EEENS1_47radix_sort_onesweep_sort_config_static_selectorELNS0_4arch9wavefront6targetE1EEEvSG_.uses_vcc, 0
	.set _ZN7rocprim17ROCPRIM_400000_NS6detail17trampoline_kernelINS0_14default_configENS1_35radix_sort_onesweep_config_selectorIslEEZZNS1_29radix_sort_onesweep_iterationIS3_Lb0EPsS7_N6thrust23THRUST_200600_302600_NS10device_ptrIlEESB_jNS0_19identity_decomposerENS1_16block_id_wrapperIjLb0EEEEE10hipError_tT1_PNSt15iterator_traitsISG_E10value_typeET2_T3_PNSH_ISM_E10value_typeET4_T5_PSR_SS_PNS1_23onesweep_lookback_stateEbbT6_jjT7_P12ihipStream_tbENKUlT_T0_SG_SL_E_clIS7_S7_SB_PlEEDaSZ_S10_SG_SL_EUlSZ_E_NS1_11comp_targetILNS1_3genE6ELNS1_11target_archE950ELNS1_3gpuE13ELNS1_3repE0EEENS1_47radix_sort_onesweep_sort_config_static_selectorELNS0_4arch9wavefront6targetE1EEEvSG_.uses_flat_scratch, 0
	.set _ZN7rocprim17ROCPRIM_400000_NS6detail17trampoline_kernelINS0_14default_configENS1_35radix_sort_onesweep_config_selectorIslEEZZNS1_29radix_sort_onesweep_iterationIS3_Lb0EPsS7_N6thrust23THRUST_200600_302600_NS10device_ptrIlEESB_jNS0_19identity_decomposerENS1_16block_id_wrapperIjLb0EEEEE10hipError_tT1_PNSt15iterator_traitsISG_E10value_typeET2_T3_PNSH_ISM_E10value_typeET4_T5_PSR_SS_PNS1_23onesweep_lookback_stateEbbT6_jjT7_P12ihipStream_tbENKUlT_T0_SG_SL_E_clIS7_S7_SB_PlEEDaSZ_S10_SG_SL_EUlSZ_E_NS1_11comp_targetILNS1_3genE6ELNS1_11target_archE950ELNS1_3gpuE13ELNS1_3repE0EEENS1_47radix_sort_onesweep_sort_config_static_selectorELNS0_4arch9wavefront6targetE1EEEvSG_.has_dyn_sized_stack, 0
	.set _ZN7rocprim17ROCPRIM_400000_NS6detail17trampoline_kernelINS0_14default_configENS1_35radix_sort_onesweep_config_selectorIslEEZZNS1_29radix_sort_onesweep_iterationIS3_Lb0EPsS7_N6thrust23THRUST_200600_302600_NS10device_ptrIlEESB_jNS0_19identity_decomposerENS1_16block_id_wrapperIjLb0EEEEE10hipError_tT1_PNSt15iterator_traitsISG_E10value_typeET2_T3_PNSH_ISM_E10value_typeET4_T5_PSR_SS_PNS1_23onesweep_lookback_stateEbbT6_jjT7_P12ihipStream_tbENKUlT_T0_SG_SL_E_clIS7_S7_SB_PlEEDaSZ_S10_SG_SL_EUlSZ_E_NS1_11comp_targetILNS1_3genE6ELNS1_11target_archE950ELNS1_3gpuE13ELNS1_3repE0EEENS1_47radix_sort_onesweep_sort_config_static_selectorELNS0_4arch9wavefront6targetE1EEEvSG_.has_recursion, 0
	.set _ZN7rocprim17ROCPRIM_400000_NS6detail17trampoline_kernelINS0_14default_configENS1_35radix_sort_onesweep_config_selectorIslEEZZNS1_29radix_sort_onesweep_iterationIS3_Lb0EPsS7_N6thrust23THRUST_200600_302600_NS10device_ptrIlEESB_jNS0_19identity_decomposerENS1_16block_id_wrapperIjLb0EEEEE10hipError_tT1_PNSt15iterator_traitsISG_E10value_typeET2_T3_PNSH_ISM_E10value_typeET4_T5_PSR_SS_PNS1_23onesweep_lookback_stateEbbT6_jjT7_P12ihipStream_tbENKUlT_T0_SG_SL_E_clIS7_S7_SB_PlEEDaSZ_S10_SG_SL_EUlSZ_E_NS1_11comp_targetILNS1_3genE6ELNS1_11target_archE950ELNS1_3gpuE13ELNS1_3repE0EEENS1_47radix_sort_onesweep_sort_config_static_selectorELNS0_4arch9wavefront6targetE1EEEvSG_.has_indirect_call, 0
	.section	.AMDGPU.csdata,"",@progbits
; Kernel info:
; codeLenInByte = 0
; TotalNumSgprs: 4
; NumVgprs: 0
; ScratchSize: 0
; MemoryBound: 0
; FloatMode: 240
; IeeeMode: 1
; LDSByteSize: 0 bytes/workgroup (compile time only)
; SGPRBlocks: 0
; VGPRBlocks: 0
; NumSGPRsForWavesPerEU: 4
; NumVGPRsForWavesPerEU: 1
; Occupancy: 10
; WaveLimiterHint : 0
; COMPUTE_PGM_RSRC2:SCRATCH_EN: 0
; COMPUTE_PGM_RSRC2:USER_SGPR: 6
; COMPUTE_PGM_RSRC2:TRAP_HANDLER: 0
; COMPUTE_PGM_RSRC2:TGID_X_EN: 1
; COMPUTE_PGM_RSRC2:TGID_Y_EN: 0
; COMPUTE_PGM_RSRC2:TGID_Z_EN: 0
; COMPUTE_PGM_RSRC2:TIDIG_COMP_CNT: 0
	.section	.text._ZN7rocprim17ROCPRIM_400000_NS6detail17trampoline_kernelINS0_14default_configENS1_35radix_sort_onesweep_config_selectorIslEEZZNS1_29radix_sort_onesweep_iterationIS3_Lb0EPsS7_N6thrust23THRUST_200600_302600_NS10device_ptrIlEESB_jNS0_19identity_decomposerENS1_16block_id_wrapperIjLb0EEEEE10hipError_tT1_PNSt15iterator_traitsISG_E10value_typeET2_T3_PNSH_ISM_E10value_typeET4_T5_PSR_SS_PNS1_23onesweep_lookback_stateEbbT6_jjT7_P12ihipStream_tbENKUlT_T0_SG_SL_E_clIS7_S7_SB_PlEEDaSZ_S10_SG_SL_EUlSZ_E_NS1_11comp_targetILNS1_3genE5ELNS1_11target_archE942ELNS1_3gpuE9ELNS1_3repE0EEENS1_47radix_sort_onesweep_sort_config_static_selectorELNS0_4arch9wavefront6targetE1EEEvSG_,"axG",@progbits,_ZN7rocprim17ROCPRIM_400000_NS6detail17trampoline_kernelINS0_14default_configENS1_35radix_sort_onesweep_config_selectorIslEEZZNS1_29radix_sort_onesweep_iterationIS3_Lb0EPsS7_N6thrust23THRUST_200600_302600_NS10device_ptrIlEESB_jNS0_19identity_decomposerENS1_16block_id_wrapperIjLb0EEEEE10hipError_tT1_PNSt15iterator_traitsISG_E10value_typeET2_T3_PNSH_ISM_E10value_typeET4_T5_PSR_SS_PNS1_23onesweep_lookback_stateEbbT6_jjT7_P12ihipStream_tbENKUlT_T0_SG_SL_E_clIS7_S7_SB_PlEEDaSZ_S10_SG_SL_EUlSZ_E_NS1_11comp_targetILNS1_3genE5ELNS1_11target_archE942ELNS1_3gpuE9ELNS1_3repE0EEENS1_47radix_sort_onesweep_sort_config_static_selectorELNS0_4arch9wavefront6targetE1EEEvSG_,comdat
	.protected	_ZN7rocprim17ROCPRIM_400000_NS6detail17trampoline_kernelINS0_14default_configENS1_35radix_sort_onesweep_config_selectorIslEEZZNS1_29radix_sort_onesweep_iterationIS3_Lb0EPsS7_N6thrust23THRUST_200600_302600_NS10device_ptrIlEESB_jNS0_19identity_decomposerENS1_16block_id_wrapperIjLb0EEEEE10hipError_tT1_PNSt15iterator_traitsISG_E10value_typeET2_T3_PNSH_ISM_E10value_typeET4_T5_PSR_SS_PNS1_23onesweep_lookback_stateEbbT6_jjT7_P12ihipStream_tbENKUlT_T0_SG_SL_E_clIS7_S7_SB_PlEEDaSZ_S10_SG_SL_EUlSZ_E_NS1_11comp_targetILNS1_3genE5ELNS1_11target_archE942ELNS1_3gpuE9ELNS1_3repE0EEENS1_47radix_sort_onesweep_sort_config_static_selectorELNS0_4arch9wavefront6targetE1EEEvSG_ ; -- Begin function _ZN7rocprim17ROCPRIM_400000_NS6detail17trampoline_kernelINS0_14default_configENS1_35radix_sort_onesweep_config_selectorIslEEZZNS1_29radix_sort_onesweep_iterationIS3_Lb0EPsS7_N6thrust23THRUST_200600_302600_NS10device_ptrIlEESB_jNS0_19identity_decomposerENS1_16block_id_wrapperIjLb0EEEEE10hipError_tT1_PNSt15iterator_traitsISG_E10value_typeET2_T3_PNSH_ISM_E10value_typeET4_T5_PSR_SS_PNS1_23onesweep_lookback_stateEbbT6_jjT7_P12ihipStream_tbENKUlT_T0_SG_SL_E_clIS7_S7_SB_PlEEDaSZ_S10_SG_SL_EUlSZ_E_NS1_11comp_targetILNS1_3genE5ELNS1_11target_archE942ELNS1_3gpuE9ELNS1_3repE0EEENS1_47radix_sort_onesweep_sort_config_static_selectorELNS0_4arch9wavefront6targetE1EEEvSG_
	.globl	_ZN7rocprim17ROCPRIM_400000_NS6detail17trampoline_kernelINS0_14default_configENS1_35radix_sort_onesweep_config_selectorIslEEZZNS1_29radix_sort_onesweep_iterationIS3_Lb0EPsS7_N6thrust23THRUST_200600_302600_NS10device_ptrIlEESB_jNS0_19identity_decomposerENS1_16block_id_wrapperIjLb0EEEEE10hipError_tT1_PNSt15iterator_traitsISG_E10value_typeET2_T3_PNSH_ISM_E10value_typeET4_T5_PSR_SS_PNS1_23onesweep_lookback_stateEbbT6_jjT7_P12ihipStream_tbENKUlT_T0_SG_SL_E_clIS7_S7_SB_PlEEDaSZ_S10_SG_SL_EUlSZ_E_NS1_11comp_targetILNS1_3genE5ELNS1_11target_archE942ELNS1_3gpuE9ELNS1_3repE0EEENS1_47radix_sort_onesweep_sort_config_static_selectorELNS0_4arch9wavefront6targetE1EEEvSG_
	.p2align	8
	.type	_ZN7rocprim17ROCPRIM_400000_NS6detail17trampoline_kernelINS0_14default_configENS1_35radix_sort_onesweep_config_selectorIslEEZZNS1_29radix_sort_onesweep_iterationIS3_Lb0EPsS7_N6thrust23THRUST_200600_302600_NS10device_ptrIlEESB_jNS0_19identity_decomposerENS1_16block_id_wrapperIjLb0EEEEE10hipError_tT1_PNSt15iterator_traitsISG_E10value_typeET2_T3_PNSH_ISM_E10value_typeET4_T5_PSR_SS_PNS1_23onesweep_lookback_stateEbbT6_jjT7_P12ihipStream_tbENKUlT_T0_SG_SL_E_clIS7_S7_SB_PlEEDaSZ_S10_SG_SL_EUlSZ_E_NS1_11comp_targetILNS1_3genE5ELNS1_11target_archE942ELNS1_3gpuE9ELNS1_3repE0EEENS1_47radix_sort_onesweep_sort_config_static_selectorELNS0_4arch9wavefront6targetE1EEEvSG_,@function
_ZN7rocprim17ROCPRIM_400000_NS6detail17trampoline_kernelINS0_14default_configENS1_35radix_sort_onesweep_config_selectorIslEEZZNS1_29radix_sort_onesweep_iterationIS3_Lb0EPsS7_N6thrust23THRUST_200600_302600_NS10device_ptrIlEESB_jNS0_19identity_decomposerENS1_16block_id_wrapperIjLb0EEEEE10hipError_tT1_PNSt15iterator_traitsISG_E10value_typeET2_T3_PNSH_ISM_E10value_typeET4_T5_PSR_SS_PNS1_23onesweep_lookback_stateEbbT6_jjT7_P12ihipStream_tbENKUlT_T0_SG_SL_E_clIS7_S7_SB_PlEEDaSZ_S10_SG_SL_EUlSZ_E_NS1_11comp_targetILNS1_3genE5ELNS1_11target_archE942ELNS1_3gpuE9ELNS1_3repE0EEENS1_47radix_sort_onesweep_sort_config_static_selectorELNS0_4arch9wavefront6targetE1EEEvSG_: ; @_ZN7rocprim17ROCPRIM_400000_NS6detail17trampoline_kernelINS0_14default_configENS1_35radix_sort_onesweep_config_selectorIslEEZZNS1_29radix_sort_onesweep_iterationIS3_Lb0EPsS7_N6thrust23THRUST_200600_302600_NS10device_ptrIlEESB_jNS0_19identity_decomposerENS1_16block_id_wrapperIjLb0EEEEE10hipError_tT1_PNSt15iterator_traitsISG_E10value_typeET2_T3_PNSH_ISM_E10value_typeET4_T5_PSR_SS_PNS1_23onesweep_lookback_stateEbbT6_jjT7_P12ihipStream_tbENKUlT_T0_SG_SL_E_clIS7_S7_SB_PlEEDaSZ_S10_SG_SL_EUlSZ_E_NS1_11comp_targetILNS1_3genE5ELNS1_11target_archE942ELNS1_3gpuE9ELNS1_3repE0EEENS1_47radix_sort_onesweep_sort_config_static_selectorELNS0_4arch9wavefront6targetE1EEEvSG_
; %bb.0:
	.section	.rodata,"a",@progbits
	.p2align	6, 0x0
	.amdhsa_kernel _ZN7rocprim17ROCPRIM_400000_NS6detail17trampoline_kernelINS0_14default_configENS1_35radix_sort_onesweep_config_selectorIslEEZZNS1_29radix_sort_onesweep_iterationIS3_Lb0EPsS7_N6thrust23THRUST_200600_302600_NS10device_ptrIlEESB_jNS0_19identity_decomposerENS1_16block_id_wrapperIjLb0EEEEE10hipError_tT1_PNSt15iterator_traitsISG_E10value_typeET2_T3_PNSH_ISM_E10value_typeET4_T5_PSR_SS_PNS1_23onesweep_lookback_stateEbbT6_jjT7_P12ihipStream_tbENKUlT_T0_SG_SL_E_clIS7_S7_SB_PlEEDaSZ_S10_SG_SL_EUlSZ_E_NS1_11comp_targetILNS1_3genE5ELNS1_11target_archE942ELNS1_3gpuE9ELNS1_3repE0EEENS1_47radix_sort_onesweep_sort_config_static_selectorELNS0_4arch9wavefront6targetE1EEEvSG_
		.amdhsa_group_segment_fixed_size 0
		.amdhsa_private_segment_fixed_size 0
		.amdhsa_kernarg_size 88
		.amdhsa_user_sgpr_count 6
		.amdhsa_user_sgpr_private_segment_buffer 1
		.amdhsa_user_sgpr_dispatch_ptr 0
		.amdhsa_user_sgpr_queue_ptr 0
		.amdhsa_user_sgpr_kernarg_segment_ptr 1
		.amdhsa_user_sgpr_dispatch_id 0
		.amdhsa_user_sgpr_flat_scratch_init 0
		.amdhsa_user_sgpr_private_segment_size 0
		.amdhsa_uses_dynamic_stack 0
		.amdhsa_system_sgpr_private_segment_wavefront_offset 0
		.amdhsa_system_sgpr_workgroup_id_x 1
		.amdhsa_system_sgpr_workgroup_id_y 0
		.amdhsa_system_sgpr_workgroup_id_z 0
		.amdhsa_system_sgpr_workgroup_info 0
		.amdhsa_system_vgpr_workitem_id 0
		.amdhsa_next_free_vgpr 1
		.amdhsa_next_free_sgpr 0
		.amdhsa_reserve_vcc 0
		.amdhsa_reserve_flat_scratch 0
		.amdhsa_float_round_mode_32 0
		.amdhsa_float_round_mode_16_64 0
		.amdhsa_float_denorm_mode_32 3
		.amdhsa_float_denorm_mode_16_64 3
		.amdhsa_dx10_clamp 1
		.amdhsa_ieee_mode 1
		.amdhsa_fp16_overflow 0
		.amdhsa_exception_fp_ieee_invalid_op 0
		.amdhsa_exception_fp_denorm_src 0
		.amdhsa_exception_fp_ieee_div_zero 0
		.amdhsa_exception_fp_ieee_overflow 0
		.amdhsa_exception_fp_ieee_underflow 0
		.amdhsa_exception_fp_ieee_inexact 0
		.amdhsa_exception_int_div_zero 0
	.end_amdhsa_kernel
	.section	.text._ZN7rocprim17ROCPRIM_400000_NS6detail17trampoline_kernelINS0_14default_configENS1_35radix_sort_onesweep_config_selectorIslEEZZNS1_29radix_sort_onesweep_iterationIS3_Lb0EPsS7_N6thrust23THRUST_200600_302600_NS10device_ptrIlEESB_jNS0_19identity_decomposerENS1_16block_id_wrapperIjLb0EEEEE10hipError_tT1_PNSt15iterator_traitsISG_E10value_typeET2_T3_PNSH_ISM_E10value_typeET4_T5_PSR_SS_PNS1_23onesweep_lookback_stateEbbT6_jjT7_P12ihipStream_tbENKUlT_T0_SG_SL_E_clIS7_S7_SB_PlEEDaSZ_S10_SG_SL_EUlSZ_E_NS1_11comp_targetILNS1_3genE5ELNS1_11target_archE942ELNS1_3gpuE9ELNS1_3repE0EEENS1_47radix_sort_onesweep_sort_config_static_selectorELNS0_4arch9wavefront6targetE1EEEvSG_,"axG",@progbits,_ZN7rocprim17ROCPRIM_400000_NS6detail17trampoline_kernelINS0_14default_configENS1_35radix_sort_onesweep_config_selectorIslEEZZNS1_29radix_sort_onesweep_iterationIS3_Lb0EPsS7_N6thrust23THRUST_200600_302600_NS10device_ptrIlEESB_jNS0_19identity_decomposerENS1_16block_id_wrapperIjLb0EEEEE10hipError_tT1_PNSt15iterator_traitsISG_E10value_typeET2_T3_PNSH_ISM_E10value_typeET4_T5_PSR_SS_PNS1_23onesweep_lookback_stateEbbT6_jjT7_P12ihipStream_tbENKUlT_T0_SG_SL_E_clIS7_S7_SB_PlEEDaSZ_S10_SG_SL_EUlSZ_E_NS1_11comp_targetILNS1_3genE5ELNS1_11target_archE942ELNS1_3gpuE9ELNS1_3repE0EEENS1_47radix_sort_onesweep_sort_config_static_selectorELNS0_4arch9wavefront6targetE1EEEvSG_,comdat
.Lfunc_end1436:
	.size	_ZN7rocprim17ROCPRIM_400000_NS6detail17trampoline_kernelINS0_14default_configENS1_35radix_sort_onesweep_config_selectorIslEEZZNS1_29radix_sort_onesweep_iterationIS3_Lb0EPsS7_N6thrust23THRUST_200600_302600_NS10device_ptrIlEESB_jNS0_19identity_decomposerENS1_16block_id_wrapperIjLb0EEEEE10hipError_tT1_PNSt15iterator_traitsISG_E10value_typeET2_T3_PNSH_ISM_E10value_typeET4_T5_PSR_SS_PNS1_23onesweep_lookback_stateEbbT6_jjT7_P12ihipStream_tbENKUlT_T0_SG_SL_E_clIS7_S7_SB_PlEEDaSZ_S10_SG_SL_EUlSZ_E_NS1_11comp_targetILNS1_3genE5ELNS1_11target_archE942ELNS1_3gpuE9ELNS1_3repE0EEENS1_47radix_sort_onesweep_sort_config_static_selectorELNS0_4arch9wavefront6targetE1EEEvSG_, .Lfunc_end1436-_ZN7rocprim17ROCPRIM_400000_NS6detail17trampoline_kernelINS0_14default_configENS1_35radix_sort_onesweep_config_selectorIslEEZZNS1_29radix_sort_onesweep_iterationIS3_Lb0EPsS7_N6thrust23THRUST_200600_302600_NS10device_ptrIlEESB_jNS0_19identity_decomposerENS1_16block_id_wrapperIjLb0EEEEE10hipError_tT1_PNSt15iterator_traitsISG_E10value_typeET2_T3_PNSH_ISM_E10value_typeET4_T5_PSR_SS_PNS1_23onesweep_lookback_stateEbbT6_jjT7_P12ihipStream_tbENKUlT_T0_SG_SL_E_clIS7_S7_SB_PlEEDaSZ_S10_SG_SL_EUlSZ_E_NS1_11comp_targetILNS1_3genE5ELNS1_11target_archE942ELNS1_3gpuE9ELNS1_3repE0EEENS1_47radix_sort_onesweep_sort_config_static_selectorELNS0_4arch9wavefront6targetE1EEEvSG_
                                        ; -- End function
	.set _ZN7rocprim17ROCPRIM_400000_NS6detail17trampoline_kernelINS0_14default_configENS1_35radix_sort_onesweep_config_selectorIslEEZZNS1_29radix_sort_onesweep_iterationIS3_Lb0EPsS7_N6thrust23THRUST_200600_302600_NS10device_ptrIlEESB_jNS0_19identity_decomposerENS1_16block_id_wrapperIjLb0EEEEE10hipError_tT1_PNSt15iterator_traitsISG_E10value_typeET2_T3_PNSH_ISM_E10value_typeET4_T5_PSR_SS_PNS1_23onesweep_lookback_stateEbbT6_jjT7_P12ihipStream_tbENKUlT_T0_SG_SL_E_clIS7_S7_SB_PlEEDaSZ_S10_SG_SL_EUlSZ_E_NS1_11comp_targetILNS1_3genE5ELNS1_11target_archE942ELNS1_3gpuE9ELNS1_3repE0EEENS1_47radix_sort_onesweep_sort_config_static_selectorELNS0_4arch9wavefront6targetE1EEEvSG_.num_vgpr, 0
	.set _ZN7rocprim17ROCPRIM_400000_NS6detail17trampoline_kernelINS0_14default_configENS1_35radix_sort_onesweep_config_selectorIslEEZZNS1_29radix_sort_onesweep_iterationIS3_Lb0EPsS7_N6thrust23THRUST_200600_302600_NS10device_ptrIlEESB_jNS0_19identity_decomposerENS1_16block_id_wrapperIjLb0EEEEE10hipError_tT1_PNSt15iterator_traitsISG_E10value_typeET2_T3_PNSH_ISM_E10value_typeET4_T5_PSR_SS_PNS1_23onesweep_lookback_stateEbbT6_jjT7_P12ihipStream_tbENKUlT_T0_SG_SL_E_clIS7_S7_SB_PlEEDaSZ_S10_SG_SL_EUlSZ_E_NS1_11comp_targetILNS1_3genE5ELNS1_11target_archE942ELNS1_3gpuE9ELNS1_3repE0EEENS1_47radix_sort_onesweep_sort_config_static_selectorELNS0_4arch9wavefront6targetE1EEEvSG_.num_agpr, 0
	.set _ZN7rocprim17ROCPRIM_400000_NS6detail17trampoline_kernelINS0_14default_configENS1_35radix_sort_onesweep_config_selectorIslEEZZNS1_29radix_sort_onesweep_iterationIS3_Lb0EPsS7_N6thrust23THRUST_200600_302600_NS10device_ptrIlEESB_jNS0_19identity_decomposerENS1_16block_id_wrapperIjLb0EEEEE10hipError_tT1_PNSt15iterator_traitsISG_E10value_typeET2_T3_PNSH_ISM_E10value_typeET4_T5_PSR_SS_PNS1_23onesweep_lookback_stateEbbT6_jjT7_P12ihipStream_tbENKUlT_T0_SG_SL_E_clIS7_S7_SB_PlEEDaSZ_S10_SG_SL_EUlSZ_E_NS1_11comp_targetILNS1_3genE5ELNS1_11target_archE942ELNS1_3gpuE9ELNS1_3repE0EEENS1_47radix_sort_onesweep_sort_config_static_selectorELNS0_4arch9wavefront6targetE1EEEvSG_.numbered_sgpr, 0
	.set _ZN7rocprim17ROCPRIM_400000_NS6detail17trampoline_kernelINS0_14default_configENS1_35radix_sort_onesweep_config_selectorIslEEZZNS1_29radix_sort_onesweep_iterationIS3_Lb0EPsS7_N6thrust23THRUST_200600_302600_NS10device_ptrIlEESB_jNS0_19identity_decomposerENS1_16block_id_wrapperIjLb0EEEEE10hipError_tT1_PNSt15iterator_traitsISG_E10value_typeET2_T3_PNSH_ISM_E10value_typeET4_T5_PSR_SS_PNS1_23onesweep_lookback_stateEbbT6_jjT7_P12ihipStream_tbENKUlT_T0_SG_SL_E_clIS7_S7_SB_PlEEDaSZ_S10_SG_SL_EUlSZ_E_NS1_11comp_targetILNS1_3genE5ELNS1_11target_archE942ELNS1_3gpuE9ELNS1_3repE0EEENS1_47radix_sort_onesweep_sort_config_static_selectorELNS0_4arch9wavefront6targetE1EEEvSG_.num_named_barrier, 0
	.set _ZN7rocprim17ROCPRIM_400000_NS6detail17trampoline_kernelINS0_14default_configENS1_35radix_sort_onesweep_config_selectorIslEEZZNS1_29radix_sort_onesweep_iterationIS3_Lb0EPsS7_N6thrust23THRUST_200600_302600_NS10device_ptrIlEESB_jNS0_19identity_decomposerENS1_16block_id_wrapperIjLb0EEEEE10hipError_tT1_PNSt15iterator_traitsISG_E10value_typeET2_T3_PNSH_ISM_E10value_typeET4_T5_PSR_SS_PNS1_23onesweep_lookback_stateEbbT6_jjT7_P12ihipStream_tbENKUlT_T0_SG_SL_E_clIS7_S7_SB_PlEEDaSZ_S10_SG_SL_EUlSZ_E_NS1_11comp_targetILNS1_3genE5ELNS1_11target_archE942ELNS1_3gpuE9ELNS1_3repE0EEENS1_47radix_sort_onesweep_sort_config_static_selectorELNS0_4arch9wavefront6targetE1EEEvSG_.private_seg_size, 0
	.set _ZN7rocprim17ROCPRIM_400000_NS6detail17trampoline_kernelINS0_14default_configENS1_35radix_sort_onesweep_config_selectorIslEEZZNS1_29radix_sort_onesweep_iterationIS3_Lb0EPsS7_N6thrust23THRUST_200600_302600_NS10device_ptrIlEESB_jNS0_19identity_decomposerENS1_16block_id_wrapperIjLb0EEEEE10hipError_tT1_PNSt15iterator_traitsISG_E10value_typeET2_T3_PNSH_ISM_E10value_typeET4_T5_PSR_SS_PNS1_23onesweep_lookback_stateEbbT6_jjT7_P12ihipStream_tbENKUlT_T0_SG_SL_E_clIS7_S7_SB_PlEEDaSZ_S10_SG_SL_EUlSZ_E_NS1_11comp_targetILNS1_3genE5ELNS1_11target_archE942ELNS1_3gpuE9ELNS1_3repE0EEENS1_47radix_sort_onesweep_sort_config_static_selectorELNS0_4arch9wavefront6targetE1EEEvSG_.uses_vcc, 0
	.set _ZN7rocprim17ROCPRIM_400000_NS6detail17trampoline_kernelINS0_14default_configENS1_35radix_sort_onesweep_config_selectorIslEEZZNS1_29radix_sort_onesweep_iterationIS3_Lb0EPsS7_N6thrust23THRUST_200600_302600_NS10device_ptrIlEESB_jNS0_19identity_decomposerENS1_16block_id_wrapperIjLb0EEEEE10hipError_tT1_PNSt15iterator_traitsISG_E10value_typeET2_T3_PNSH_ISM_E10value_typeET4_T5_PSR_SS_PNS1_23onesweep_lookback_stateEbbT6_jjT7_P12ihipStream_tbENKUlT_T0_SG_SL_E_clIS7_S7_SB_PlEEDaSZ_S10_SG_SL_EUlSZ_E_NS1_11comp_targetILNS1_3genE5ELNS1_11target_archE942ELNS1_3gpuE9ELNS1_3repE0EEENS1_47radix_sort_onesweep_sort_config_static_selectorELNS0_4arch9wavefront6targetE1EEEvSG_.uses_flat_scratch, 0
	.set _ZN7rocprim17ROCPRIM_400000_NS6detail17trampoline_kernelINS0_14default_configENS1_35radix_sort_onesweep_config_selectorIslEEZZNS1_29radix_sort_onesweep_iterationIS3_Lb0EPsS7_N6thrust23THRUST_200600_302600_NS10device_ptrIlEESB_jNS0_19identity_decomposerENS1_16block_id_wrapperIjLb0EEEEE10hipError_tT1_PNSt15iterator_traitsISG_E10value_typeET2_T3_PNSH_ISM_E10value_typeET4_T5_PSR_SS_PNS1_23onesweep_lookback_stateEbbT6_jjT7_P12ihipStream_tbENKUlT_T0_SG_SL_E_clIS7_S7_SB_PlEEDaSZ_S10_SG_SL_EUlSZ_E_NS1_11comp_targetILNS1_3genE5ELNS1_11target_archE942ELNS1_3gpuE9ELNS1_3repE0EEENS1_47radix_sort_onesweep_sort_config_static_selectorELNS0_4arch9wavefront6targetE1EEEvSG_.has_dyn_sized_stack, 0
	.set _ZN7rocprim17ROCPRIM_400000_NS6detail17trampoline_kernelINS0_14default_configENS1_35radix_sort_onesweep_config_selectorIslEEZZNS1_29radix_sort_onesweep_iterationIS3_Lb0EPsS7_N6thrust23THRUST_200600_302600_NS10device_ptrIlEESB_jNS0_19identity_decomposerENS1_16block_id_wrapperIjLb0EEEEE10hipError_tT1_PNSt15iterator_traitsISG_E10value_typeET2_T3_PNSH_ISM_E10value_typeET4_T5_PSR_SS_PNS1_23onesweep_lookback_stateEbbT6_jjT7_P12ihipStream_tbENKUlT_T0_SG_SL_E_clIS7_S7_SB_PlEEDaSZ_S10_SG_SL_EUlSZ_E_NS1_11comp_targetILNS1_3genE5ELNS1_11target_archE942ELNS1_3gpuE9ELNS1_3repE0EEENS1_47radix_sort_onesweep_sort_config_static_selectorELNS0_4arch9wavefront6targetE1EEEvSG_.has_recursion, 0
	.set _ZN7rocprim17ROCPRIM_400000_NS6detail17trampoline_kernelINS0_14default_configENS1_35radix_sort_onesweep_config_selectorIslEEZZNS1_29radix_sort_onesweep_iterationIS3_Lb0EPsS7_N6thrust23THRUST_200600_302600_NS10device_ptrIlEESB_jNS0_19identity_decomposerENS1_16block_id_wrapperIjLb0EEEEE10hipError_tT1_PNSt15iterator_traitsISG_E10value_typeET2_T3_PNSH_ISM_E10value_typeET4_T5_PSR_SS_PNS1_23onesweep_lookback_stateEbbT6_jjT7_P12ihipStream_tbENKUlT_T0_SG_SL_E_clIS7_S7_SB_PlEEDaSZ_S10_SG_SL_EUlSZ_E_NS1_11comp_targetILNS1_3genE5ELNS1_11target_archE942ELNS1_3gpuE9ELNS1_3repE0EEENS1_47radix_sort_onesweep_sort_config_static_selectorELNS0_4arch9wavefront6targetE1EEEvSG_.has_indirect_call, 0
	.section	.AMDGPU.csdata,"",@progbits
; Kernel info:
; codeLenInByte = 0
; TotalNumSgprs: 4
; NumVgprs: 0
; ScratchSize: 0
; MemoryBound: 0
; FloatMode: 240
; IeeeMode: 1
; LDSByteSize: 0 bytes/workgroup (compile time only)
; SGPRBlocks: 0
; VGPRBlocks: 0
; NumSGPRsForWavesPerEU: 4
; NumVGPRsForWavesPerEU: 1
; Occupancy: 10
; WaveLimiterHint : 0
; COMPUTE_PGM_RSRC2:SCRATCH_EN: 0
; COMPUTE_PGM_RSRC2:USER_SGPR: 6
; COMPUTE_PGM_RSRC2:TRAP_HANDLER: 0
; COMPUTE_PGM_RSRC2:TGID_X_EN: 1
; COMPUTE_PGM_RSRC2:TGID_Y_EN: 0
; COMPUTE_PGM_RSRC2:TGID_Z_EN: 0
; COMPUTE_PGM_RSRC2:TIDIG_COMP_CNT: 0
	.section	.text._ZN7rocprim17ROCPRIM_400000_NS6detail17trampoline_kernelINS0_14default_configENS1_35radix_sort_onesweep_config_selectorIslEEZZNS1_29radix_sort_onesweep_iterationIS3_Lb0EPsS7_N6thrust23THRUST_200600_302600_NS10device_ptrIlEESB_jNS0_19identity_decomposerENS1_16block_id_wrapperIjLb0EEEEE10hipError_tT1_PNSt15iterator_traitsISG_E10value_typeET2_T3_PNSH_ISM_E10value_typeET4_T5_PSR_SS_PNS1_23onesweep_lookback_stateEbbT6_jjT7_P12ihipStream_tbENKUlT_T0_SG_SL_E_clIS7_S7_SB_PlEEDaSZ_S10_SG_SL_EUlSZ_E_NS1_11comp_targetILNS1_3genE2ELNS1_11target_archE906ELNS1_3gpuE6ELNS1_3repE0EEENS1_47radix_sort_onesweep_sort_config_static_selectorELNS0_4arch9wavefront6targetE1EEEvSG_,"axG",@progbits,_ZN7rocprim17ROCPRIM_400000_NS6detail17trampoline_kernelINS0_14default_configENS1_35radix_sort_onesweep_config_selectorIslEEZZNS1_29radix_sort_onesweep_iterationIS3_Lb0EPsS7_N6thrust23THRUST_200600_302600_NS10device_ptrIlEESB_jNS0_19identity_decomposerENS1_16block_id_wrapperIjLb0EEEEE10hipError_tT1_PNSt15iterator_traitsISG_E10value_typeET2_T3_PNSH_ISM_E10value_typeET4_T5_PSR_SS_PNS1_23onesweep_lookback_stateEbbT6_jjT7_P12ihipStream_tbENKUlT_T0_SG_SL_E_clIS7_S7_SB_PlEEDaSZ_S10_SG_SL_EUlSZ_E_NS1_11comp_targetILNS1_3genE2ELNS1_11target_archE906ELNS1_3gpuE6ELNS1_3repE0EEENS1_47radix_sort_onesweep_sort_config_static_selectorELNS0_4arch9wavefront6targetE1EEEvSG_,comdat
	.protected	_ZN7rocprim17ROCPRIM_400000_NS6detail17trampoline_kernelINS0_14default_configENS1_35radix_sort_onesweep_config_selectorIslEEZZNS1_29radix_sort_onesweep_iterationIS3_Lb0EPsS7_N6thrust23THRUST_200600_302600_NS10device_ptrIlEESB_jNS0_19identity_decomposerENS1_16block_id_wrapperIjLb0EEEEE10hipError_tT1_PNSt15iterator_traitsISG_E10value_typeET2_T3_PNSH_ISM_E10value_typeET4_T5_PSR_SS_PNS1_23onesweep_lookback_stateEbbT6_jjT7_P12ihipStream_tbENKUlT_T0_SG_SL_E_clIS7_S7_SB_PlEEDaSZ_S10_SG_SL_EUlSZ_E_NS1_11comp_targetILNS1_3genE2ELNS1_11target_archE906ELNS1_3gpuE6ELNS1_3repE0EEENS1_47radix_sort_onesweep_sort_config_static_selectorELNS0_4arch9wavefront6targetE1EEEvSG_ ; -- Begin function _ZN7rocprim17ROCPRIM_400000_NS6detail17trampoline_kernelINS0_14default_configENS1_35radix_sort_onesweep_config_selectorIslEEZZNS1_29radix_sort_onesweep_iterationIS3_Lb0EPsS7_N6thrust23THRUST_200600_302600_NS10device_ptrIlEESB_jNS0_19identity_decomposerENS1_16block_id_wrapperIjLb0EEEEE10hipError_tT1_PNSt15iterator_traitsISG_E10value_typeET2_T3_PNSH_ISM_E10value_typeET4_T5_PSR_SS_PNS1_23onesweep_lookback_stateEbbT6_jjT7_P12ihipStream_tbENKUlT_T0_SG_SL_E_clIS7_S7_SB_PlEEDaSZ_S10_SG_SL_EUlSZ_E_NS1_11comp_targetILNS1_3genE2ELNS1_11target_archE906ELNS1_3gpuE6ELNS1_3repE0EEENS1_47radix_sort_onesweep_sort_config_static_selectorELNS0_4arch9wavefront6targetE1EEEvSG_
	.globl	_ZN7rocprim17ROCPRIM_400000_NS6detail17trampoline_kernelINS0_14default_configENS1_35radix_sort_onesweep_config_selectorIslEEZZNS1_29radix_sort_onesweep_iterationIS3_Lb0EPsS7_N6thrust23THRUST_200600_302600_NS10device_ptrIlEESB_jNS0_19identity_decomposerENS1_16block_id_wrapperIjLb0EEEEE10hipError_tT1_PNSt15iterator_traitsISG_E10value_typeET2_T3_PNSH_ISM_E10value_typeET4_T5_PSR_SS_PNS1_23onesweep_lookback_stateEbbT6_jjT7_P12ihipStream_tbENKUlT_T0_SG_SL_E_clIS7_S7_SB_PlEEDaSZ_S10_SG_SL_EUlSZ_E_NS1_11comp_targetILNS1_3genE2ELNS1_11target_archE906ELNS1_3gpuE6ELNS1_3repE0EEENS1_47radix_sort_onesweep_sort_config_static_selectorELNS0_4arch9wavefront6targetE1EEEvSG_
	.p2align	8
	.type	_ZN7rocprim17ROCPRIM_400000_NS6detail17trampoline_kernelINS0_14default_configENS1_35radix_sort_onesweep_config_selectorIslEEZZNS1_29radix_sort_onesweep_iterationIS3_Lb0EPsS7_N6thrust23THRUST_200600_302600_NS10device_ptrIlEESB_jNS0_19identity_decomposerENS1_16block_id_wrapperIjLb0EEEEE10hipError_tT1_PNSt15iterator_traitsISG_E10value_typeET2_T3_PNSH_ISM_E10value_typeET4_T5_PSR_SS_PNS1_23onesweep_lookback_stateEbbT6_jjT7_P12ihipStream_tbENKUlT_T0_SG_SL_E_clIS7_S7_SB_PlEEDaSZ_S10_SG_SL_EUlSZ_E_NS1_11comp_targetILNS1_3genE2ELNS1_11target_archE906ELNS1_3gpuE6ELNS1_3repE0EEENS1_47radix_sort_onesweep_sort_config_static_selectorELNS0_4arch9wavefront6targetE1EEEvSG_,@function
_ZN7rocprim17ROCPRIM_400000_NS6detail17trampoline_kernelINS0_14default_configENS1_35radix_sort_onesweep_config_selectorIslEEZZNS1_29radix_sort_onesweep_iterationIS3_Lb0EPsS7_N6thrust23THRUST_200600_302600_NS10device_ptrIlEESB_jNS0_19identity_decomposerENS1_16block_id_wrapperIjLb0EEEEE10hipError_tT1_PNSt15iterator_traitsISG_E10value_typeET2_T3_PNSH_ISM_E10value_typeET4_T5_PSR_SS_PNS1_23onesweep_lookback_stateEbbT6_jjT7_P12ihipStream_tbENKUlT_T0_SG_SL_E_clIS7_S7_SB_PlEEDaSZ_S10_SG_SL_EUlSZ_E_NS1_11comp_targetILNS1_3genE2ELNS1_11target_archE906ELNS1_3gpuE6ELNS1_3repE0EEENS1_47radix_sort_onesweep_sort_config_static_selectorELNS0_4arch9wavefront6targetE1EEEvSG_: ; @_ZN7rocprim17ROCPRIM_400000_NS6detail17trampoline_kernelINS0_14default_configENS1_35radix_sort_onesweep_config_selectorIslEEZZNS1_29radix_sort_onesweep_iterationIS3_Lb0EPsS7_N6thrust23THRUST_200600_302600_NS10device_ptrIlEESB_jNS0_19identity_decomposerENS1_16block_id_wrapperIjLb0EEEEE10hipError_tT1_PNSt15iterator_traitsISG_E10value_typeET2_T3_PNSH_ISM_E10value_typeET4_T5_PSR_SS_PNS1_23onesweep_lookback_stateEbbT6_jjT7_P12ihipStream_tbENKUlT_T0_SG_SL_E_clIS7_S7_SB_PlEEDaSZ_S10_SG_SL_EUlSZ_E_NS1_11comp_targetILNS1_3genE2ELNS1_11target_archE906ELNS1_3gpuE6ELNS1_3repE0EEENS1_47radix_sort_onesweep_sort_config_static_selectorELNS0_4arch9wavefront6targetE1EEEvSG_
; %bb.0:
	s_add_u32 s0, s0, s7
	s_load_dwordx4 s[40:43], s[4:5], 0x44
	s_load_dwordx8 s[24:31], s[4:5], 0x0
	s_load_dwordx4 s[36:39], s[4:5], 0x28
	s_load_dwordx2 s[44:45], s[4:5], 0x38
	s_addc_u32 s1, s1, 0
	s_mov_b64 s[8:9], -1
	s_waitcnt lgkmcnt(0)
	s_cmp_ge_u32 s6, s42
	s_mul_i32 s34, s6, 0xc00
	v_mbcnt_lo_u32_b32 v17, -1, 0
	s_cbranch_scc0 .LBB1437_78
; %bb.1:
	s_load_dword s7, s[4:5], 0x20
	s_mul_i32 s10, s42, 0xfffff400
	s_mov_b32 s35, 0
	v_mbcnt_hi_u32_b32 v11, -1, v17
	s_lshl_b64 s[8:9], s[34:35], 1
	s_waitcnt lgkmcnt(0)
	s_add_i32 s7, s7, s10
	s_add_u32 s8, s24, s8
	v_and_b32_e32 v10, 63, v11
	s_addc_u32 s9, s25, s9
	v_and_b32_e32 v12, 0x1c0, v0
	v_lshlrev_b32_e32 v3, 1, v10
	v_mul_u32_u24_e32 v9, 6, v12
	v_mov_b32_e32 v4, s9
	v_add_co_u32_e32 v3, vcc, s8, v3
	v_addc_co_u32_e32 v4, vcc, 0, v4, vcc
	v_lshlrev_b32_e32 v5, 1, v9
	v_add_co_u32_e32 v7, vcc, v3, v5
	v_addc_co_u32_e32 v8, vcc, 0, v4, vcc
	v_or_b32_e32 v13, v10, v9
	v_mov_b32_e32 v3, 0x7fff7fff
	v_cmp_gt_u32_e32 vcc, s7, v13
	v_mov_b32_e32 v4, v3
	v_mov_b32_e32 v5, v3
	s_and_saveexec_b64 s[8:9], vcc
	s_cbranch_execz .LBB1437_3
; %bb.2:
	global_load_ushort v4, v[7:8], off
	s_movk_i32 s10, 0x7fff
	v_mov_b32_e32 v6, 0x5040100
	v_mov_b32_e32 v5, v3
	s_waitcnt vmcnt(0)
	v_perm_b32 v4, s10, v4, v6
	v_mov_b32_e32 v6, v3
	v_mov_b32_e32 v3, v4
	;; [unrolled: 1-line block ×5, first 2 shown]
.LBB1437_3:
	s_or_b64 exec, exec, s[8:9]
	v_or_b32_e32 v6, 64, v13
	v_cmp_gt_u32_e64 s[20:21], s7, v6
	s_and_saveexec_b64 s[8:9], s[20:21]
	s_cbranch_execz .LBB1437_5
; %bb.4:
	global_load_ushort v6, v[7:8], off offset:128
	s_mov_b32 s10, 0x5040100
	s_waitcnt vmcnt(0)
	v_perm_b32 v3, v6, v3, s10
.LBB1437_5:
	s_or_b64 exec, exec, s[8:9]
	v_add_u32_e32 v6, 0x80, v13
	v_cmp_gt_u32_e64 s[8:9], s7, v6
	s_and_saveexec_b64 s[10:11], s[8:9]
	s_cbranch_execz .LBB1437_7
; %bb.6:
	global_load_ushort v6, v[7:8], off offset:256
	s_mov_b32 s12, 0xffff
	s_waitcnt vmcnt(0)
	v_bfi_b32 v4, s12, v6, v4
.LBB1437_7:
	s_or_b64 exec, exec, s[10:11]
	v_add_u32_e32 v6, 0xc0, v13
	v_cmp_gt_u32_e64 s[10:11], s7, v6
	s_and_saveexec_b64 s[12:13], s[10:11]
	s_cbranch_execz .LBB1437_9
; %bb.8:
	global_load_ushort v6, v[7:8], off offset:384
	s_mov_b32 s14, 0x5040100
	s_waitcnt vmcnt(0)
	v_perm_b32 v4, v6, v4, s14
.LBB1437_9:
	s_or_b64 exec, exec, s[12:13]
	v_add_u32_e32 v6, 0x100, v13
	v_cmp_gt_u32_e64 s[12:13], s7, v6
	s_and_saveexec_b64 s[14:15], s[12:13]
	s_cbranch_execz .LBB1437_11
; %bb.10:
	global_load_ushort v6, v[7:8], off offset:512
	s_mov_b32 s16, 0xffff
	s_waitcnt vmcnt(0)
	v_bfi_b32 v5, s16, v6, v5
.LBB1437_11:
	s_or_b64 exec, exec, s[14:15]
	v_add_u32_e32 v6, 0x140, v13
	v_cmp_gt_u32_e64 s[14:15], s7, v6
	s_and_saveexec_b64 s[16:17], s[14:15]
	s_cbranch_execz .LBB1437_13
; %bb.12:
	global_load_ushort v6, v[7:8], off offset:640
	s_mov_b32 s18, 0x5040100
	s_waitcnt vmcnt(0)
	v_perm_b32 v5, v6, v5, s18
.LBB1437_13:
	s_or_b64 exec, exec, s[16:17]
	s_load_dword s16, s[4:5], 0x64
	s_load_dword s33, s[4:5], 0x58
	s_add_u32 s17, s4, 0x58
	s_addc_u32 s18, s5, 0
	v_mov_b32_e32 v6, 0
	s_waitcnt lgkmcnt(0)
	s_lshr_b32 s19, s16, 16
	s_cmp_lt_u32 s6, s33
	s_cselect_b32 s16, 12, 18
	s_add_u32 s16, s17, s16
	s_addc_u32 s17, s18, 0
	global_load_ushort v8, v6, s[16:17]
	v_xor_b32_e32 v13, 0xffff8000, v3
	s_lshl_b32 s16, -1, s41
	v_lshrrev_b32_sdwa v7, s40, v13 dst_sel:DWORD dst_unused:UNUSED_PAD src0_sel:DWORD src1_sel:WORD_0
	s_not_b32 s50, s16
	v_and_b32_e32 v16, s50, v7
	v_and_b32_e32 v19, 1, v16
	v_add_co_u32_e64 v20, s[16:17], -1, v19
	v_lshlrev_b32_e32 v7, 30, v16
	v_addc_co_u32_e64 v21, s[16:17], 0, -1, s[16:17]
	v_mad_u32_u24 v15, v2, s19, v1
	v_cmp_ne_u32_e64 s[16:17], 0, v19
	v_cmp_gt_i64_e64 s[18:19], 0, v[6:7]
	v_not_b32_e32 v19, v7
	v_lshlrev_b32_e32 v7, 29, v16
	v_xor_b32_e32 v21, s17, v21
	v_xor_b32_e32 v20, s16, v20
	v_ashrrev_i32_e32 v19, 31, v19
	v_cmp_gt_i64_e64 s[16:17], 0, v[6:7]
	v_not_b32_e32 v22, v7
	v_lshlrev_b32_e32 v7, 28, v16
	v_and_b32_e32 v21, exec_hi, v21
	v_and_b32_e32 v20, exec_lo, v20
	v_xor_b32_e32 v23, s19, v19
	v_xor_b32_e32 v19, s18, v19
	v_ashrrev_i32_e32 v22, 31, v22
	v_cmp_gt_i64_e64 s[18:19], 0, v[6:7]
	v_not_b32_e32 v24, v7
	v_lshlrev_b32_e32 v7, 27, v16
	v_and_b32_e32 v21, v21, v23
	v_and_b32_e32 v19, v20, v19
	v_xor_b32_e32 v20, s17, v22
	v_xor_b32_e32 v22, s16, v22
	v_ashrrev_i32_e32 v23, 31, v24
	v_cmp_gt_i64_e64 s[16:17], 0, v[6:7]
	v_not_b32_e32 v24, v7
	v_lshlrev_b32_e32 v7, 26, v16
	v_and_b32_e32 v20, v21, v20
	v_and_b32_e32 v19, v19, v22
	;; [unrolled: 8-line block ×3, first 2 shown]
	v_xor_b32_e32 v21, s17, v23
	v_xor_b32_e32 v22, s16, v23
	v_ashrrev_i32_e32 v23, 31, v24
	v_cmp_gt_i64_e64 s[16:17], 0, v[6:7]
	v_not_b32_e32 v24, v7
	v_mul_u32_u24_e32 v18, 36, v16
	v_lshlrev_b32_e32 v7, 24, v16
	v_and_b32_e32 v16, v20, v21
	v_and_b32_e32 v19, v19, v22
	v_xor_b32_e32 v20, s19, v23
	v_ashrrev_i32_e32 v22, 31, v24
	v_xor_b32_e32 v21, s18, v23
	v_and_b32_e32 v16, v16, v20
	v_xor_b32_e32 v20, s17, v22
	v_and_b32_e32 v19, v19, v21
	v_xor_b32_e32 v21, s16, v22
	v_and_b32_e32 v20, v16, v20
	v_cmp_gt_i64_e64 s[18:19], 0, v[6:7]
	v_not_b32_e32 v7, v7
	v_ashrrev_i32_e32 v7, 31, v7
	v_and_b32_e32 v19, v19, v21
	v_xor_b32_e32 v21, s19, v7
	v_xor_b32_e32 v7, s18, v7
	v_and_b32_e32 v7, v19, v7
	s_movk_i32 s22, 0x8000
	v_mul_u32_u24_e32 v14, 20, v0
	ds_write2_b32 v14, v6, v6 offset0:8 offset1:9
	ds_write2_b32 v14, v6, v6 offset0:10 offset1:11
	ds_write_b32 v14, v6 offset:48
	s_waitcnt vmcnt(0) lgkmcnt(0)
	s_barrier
	v_mad_u64_u32 v[15:16], s[16:17], v15, v8, v[0:1]
	v_and_b32_e32 v8, v20, v21
	v_cmp_ne_u64_e64 s[16:17], 0, v[7:8]
	v_lshrrev_b32_e32 v15, 4, v15
	v_and_b32_e32 v31, 0xffffffc, v15
	v_mbcnt_lo_u32_b32 v15, v7, 0
	v_mbcnt_hi_u32_b32 v15, v8, v15
	v_cmp_eq_u32_e64 s[18:19], 0, v15
	s_and_b64 s[18:19], s[16:17], s[18:19]
	v_add_u32_e32 v27, v31, v18
	; wave barrier
	s_and_saveexec_b64 s[16:17], s[18:19]
; %bb.14:
	v_bcnt_u32_b32 v7, v7, 0
	v_bcnt_u32_b32 v7, v8, v7
	ds_write_b32 v27, v7 offset:32
; %bb.15:
	s_or_b64 exec, exec, s[16:17]
	v_xor_b32_sdwa v16, v3, s22 dst_sel:DWORD dst_unused:UNUSED_PAD src0_sel:WORD_1 src1_sel:DWORD
	v_lshrrev_b32_sdwa v3, s40, v16 dst_sel:DWORD dst_unused:UNUSED_PAD src0_sel:DWORD src1_sel:WORD_0
	v_and_b32_e32 v3, s50, v3
	v_mad_u32_u24 v7, v3, 36, v31
	; wave barrier
	ds_read_b32 v18, v7 offset:32
	v_and_b32_e32 v7, 1, v3
	v_add_co_u32_e64 v19, s[16:17], -1, v7
	v_addc_co_u32_e64 v20, s[16:17], 0, -1, s[16:17]
	v_cmp_ne_u32_e64 s[16:17], 0, v7
	v_xor_b32_e32 v7, s17, v20
	v_and_b32_e32 v20, exec_hi, v7
	v_lshlrev_b32_e32 v7, 30, v3
	v_xor_b32_e32 v19, s16, v19
	v_cmp_gt_i64_e64 s[16:17], 0, v[6:7]
	v_not_b32_e32 v7, v7
	v_ashrrev_i32_e32 v7, 31, v7
	v_and_b32_e32 v19, exec_lo, v19
	v_xor_b32_e32 v21, s17, v7
	v_xor_b32_e32 v7, s16, v7
	v_and_b32_e32 v19, v19, v7
	v_lshlrev_b32_e32 v7, 29, v3
	v_cmp_gt_i64_e64 s[16:17], 0, v[6:7]
	v_not_b32_e32 v7, v7
	v_ashrrev_i32_e32 v7, 31, v7
	v_and_b32_e32 v20, v20, v21
	v_xor_b32_e32 v21, s17, v7
	v_xor_b32_e32 v7, s16, v7
	v_and_b32_e32 v19, v19, v7
	v_lshlrev_b32_e32 v7, 28, v3
	v_cmp_gt_i64_e64 s[16:17], 0, v[6:7]
	v_not_b32_e32 v7, v7
	v_ashrrev_i32_e32 v7, 31, v7
	v_and_b32_e32 v20, v20, v21
	;; [unrolled: 8-line block ×5, first 2 shown]
	v_xor_b32_e32 v21, s17, v7
	v_xor_b32_e32 v7, s16, v7
	v_and_b32_e32 v19, v19, v7
	v_lshlrev_b32_e32 v7, 24, v3
	v_mul_u32_u24_e32 v8, 36, v3
	v_cmp_gt_i64_e64 s[16:17], 0, v[6:7]
	v_not_b32_e32 v3, v7
	v_ashrrev_i32_e32 v3, 31, v3
	v_and_b32_e32 v20, v20, v21
	v_xor_b32_e32 v6, s17, v3
	v_xor_b32_e32 v3, s16, v3
	v_and_b32_e32 v7, v20, v6
	v_and_b32_e32 v6, v19, v3
	v_mbcnt_lo_u32_b32 v3, v6, 0
	v_mbcnt_hi_u32_b32 v19, v7, v3
	v_cmp_ne_u64_e64 s[16:17], 0, v[6:7]
	v_cmp_eq_u32_e64 s[18:19], 0, v19
	s_and_b64 s[18:19], s[16:17], s[18:19]
	v_add_u32_e32 v30, v31, v8
	; wave barrier
	s_and_saveexec_b64 s[16:17], s[18:19]
	s_cbranch_execz .LBB1437_17
; %bb.16:
	v_bcnt_u32_b32 v3, v6, 0
	v_bcnt_u32_b32 v3, v7, v3
	s_waitcnt lgkmcnt(0)
	v_add_u32_e32 v3, v18, v3
	ds_write_b32 v30, v3 offset:32
.LBB1437_17:
	s_or_b64 exec, exec, s[16:17]
	v_xor_b32_e32 v28, 0xffff8000, v4
	v_lshrrev_b32_sdwa v3, s40, v28 dst_sel:DWORD dst_unused:UNUSED_PAD src0_sel:DWORD src1_sel:WORD_0
	v_and_b32_e32 v3, s50, v3
	v_and_b32_e32 v7, 1, v3
	v_add_co_u32_e64 v8, s[16:17], -1, v7
	v_addc_co_u32_e64 v21, s[16:17], 0, -1, s[16:17]
	v_cmp_ne_u32_e64 s[16:17], 0, v7
	v_mad_u32_u24 v6, v3, 36, v31
	v_xor_b32_e32 v7, s17, v21
	; wave barrier
	ds_read_b32 v20, v6 offset:32
	v_mov_b32_e32 v6, 0
	v_and_b32_e32 v21, exec_hi, v7
	v_lshlrev_b32_e32 v7, 30, v3
	v_xor_b32_e32 v8, s16, v8
	v_cmp_gt_i64_e64 s[16:17], 0, v[6:7]
	v_not_b32_e32 v7, v7
	v_ashrrev_i32_e32 v7, 31, v7
	v_and_b32_e32 v8, exec_lo, v8
	v_xor_b32_e32 v23, s17, v7
	v_xor_b32_e32 v7, s16, v7
	v_and_b32_e32 v8, v8, v7
	v_lshlrev_b32_e32 v7, 29, v3
	v_cmp_gt_i64_e64 s[16:17], 0, v[6:7]
	v_not_b32_e32 v7, v7
	v_ashrrev_i32_e32 v7, 31, v7
	v_and_b32_e32 v21, v21, v23
	v_xor_b32_e32 v23, s17, v7
	v_xor_b32_e32 v7, s16, v7
	v_and_b32_e32 v8, v8, v7
	v_lshlrev_b32_e32 v7, 28, v3
	v_cmp_gt_i64_e64 s[16:17], 0, v[6:7]
	v_not_b32_e32 v7, v7
	v_ashrrev_i32_e32 v7, 31, v7
	v_and_b32_e32 v21, v21, v23
	;; [unrolled: 8-line block ×5, first 2 shown]
	v_xor_b32_e32 v23, s17, v7
	v_xor_b32_e32 v7, s16, v7
	v_and_b32_e32 v21, v21, v23
	v_and_b32_e32 v23, v8, v7
	v_lshlrev_b32_e32 v7, 24, v3
	v_mul_u32_u24_e32 v22, 36, v3
	v_cmp_gt_i64_e64 s[16:17], 0, v[6:7]
	v_not_b32_e32 v3, v7
	v_ashrrev_i32_e32 v3, 31, v3
	v_xor_b32_e32 v7, s17, v3
	v_xor_b32_e32 v3, s16, v3
	v_and_b32_e32 v8, v21, v7
	v_and_b32_e32 v7, v23, v3
	v_mbcnt_lo_u32_b32 v3, v7, 0
	v_mbcnt_hi_u32_b32 v21, v8, v3
	v_cmp_ne_u64_e64 s[16:17], 0, v[7:8]
	v_cmp_eq_u32_e64 s[18:19], 0, v21
	s_and_b64 s[18:19], s[16:17], s[18:19]
	v_add_u32_e32 v33, v31, v22
	; wave barrier
	s_and_saveexec_b64 s[16:17], s[18:19]
	s_cbranch_execz .LBB1437_19
; %bb.18:
	v_bcnt_u32_b32 v3, v7, 0
	v_bcnt_u32_b32 v3, v8, v3
	s_waitcnt lgkmcnt(0)
	v_add_u32_e32 v3, v20, v3
	ds_write_b32 v33, v3 offset:32
.LBB1437_19:
	s_or_b64 exec, exec, s[16:17]
	v_xor_b32_sdwa v8, v4, s22 dst_sel:DWORD dst_unused:UNUSED_PAD src0_sel:WORD_1 src1_sel:DWORD
	v_lshrrev_b32_sdwa v3, s40, v8 dst_sel:DWORD dst_unused:UNUSED_PAD src0_sel:DWORD src1_sel:WORD_0
	v_and_b32_e32 v3, s50, v3
	v_mad_u32_u24 v4, v3, 36, v31
	; wave barrier
	ds_read_b32 v22, v4 offset:32
	v_and_b32_e32 v4, 1, v3
	v_add_co_u32_e64 v7, s[16:17], -1, v4
	v_addc_co_u32_e64 v23, s[16:17], 0, -1, s[16:17]
	v_cmp_ne_u32_e64 s[16:17], 0, v4
	v_xor_b32_e32 v7, s16, v7
	v_xor_b32_e32 v4, s17, v23
	v_and_b32_e32 v23, exec_lo, v7
	v_lshlrev_b32_e32 v7, 30, v3
	v_cmp_gt_i64_e64 s[16:17], 0, v[6:7]
	v_not_b32_e32 v7, v7
	v_ashrrev_i32_e32 v7, 31, v7
	v_xor_b32_e32 v25, s17, v7
	v_xor_b32_e32 v7, s16, v7
	v_and_b32_e32 v23, v23, v7
	v_lshlrev_b32_e32 v7, 29, v3
	v_cmp_gt_i64_e64 s[16:17], 0, v[6:7]
	v_not_b32_e32 v7, v7
	v_and_b32_e32 v4, exec_hi, v4
	v_ashrrev_i32_e32 v7, 31, v7
	v_and_b32_e32 v4, v4, v25
	v_xor_b32_e32 v25, s17, v7
	v_xor_b32_e32 v7, s16, v7
	v_and_b32_e32 v23, v23, v7
	v_lshlrev_b32_e32 v7, 28, v3
	v_cmp_gt_i64_e64 s[16:17], 0, v[6:7]
	v_not_b32_e32 v7, v7
	v_ashrrev_i32_e32 v7, 31, v7
	v_and_b32_e32 v4, v4, v25
	v_xor_b32_e32 v25, s17, v7
	v_xor_b32_e32 v7, s16, v7
	v_and_b32_e32 v23, v23, v7
	v_lshlrev_b32_e32 v7, 27, v3
	v_cmp_gt_i64_e64 s[16:17], 0, v[6:7]
	v_not_b32_e32 v7, v7
	;; [unrolled: 8-line block ×4, first 2 shown]
	v_ashrrev_i32_e32 v7, 31, v7
	v_and_b32_e32 v4, v4, v25
	v_xor_b32_e32 v25, s17, v7
	v_xor_b32_e32 v7, s16, v7
	v_and_b32_e32 v23, v23, v7
	v_lshlrev_b32_e32 v7, 24, v3
	v_mul_u32_u24_e32 v24, 36, v3
	v_cmp_gt_i64_e64 s[16:17], 0, v[6:7]
	v_not_b32_e32 v3, v7
	v_ashrrev_i32_e32 v3, 31, v3
	v_xor_b32_e32 v6, s17, v3
	v_xor_b32_e32 v3, s16, v3
	v_and_b32_e32 v4, v4, v25
	v_and_b32_e32 v3, v23, v3
	;; [unrolled: 1-line block ×3, first 2 shown]
	v_mbcnt_lo_u32_b32 v6, v3, 0
	v_mbcnt_hi_u32_b32 v23, v4, v6
	v_cmp_ne_u64_e64 s[16:17], 0, v[3:4]
	v_cmp_eq_u32_e64 s[18:19], 0, v23
	s_and_b64 s[18:19], s[16:17], s[18:19]
	v_add_u32_e32 v34, v31, v24
	; wave barrier
	s_and_saveexec_b64 s[16:17], s[18:19]
	s_cbranch_execz .LBB1437_21
; %bb.20:
	v_bcnt_u32_b32 v3, v3, 0
	v_bcnt_u32_b32 v3, v4, v3
	s_waitcnt lgkmcnt(0)
	v_add_u32_e32 v3, v22, v3
	ds_write_b32 v34, v3 offset:32
.LBB1437_21:
	s_or_b64 exec, exec, s[16:17]
	v_xor_b32_e32 v37, 0xffff8000, v5
	v_lshrrev_b32_sdwa v3, s40, v37 dst_sel:DWORD dst_unused:UNUSED_PAD src0_sel:DWORD src1_sel:WORD_0
	v_and_b32_e32 v6, s50, v3
	v_and_b32_e32 v4, 1, v6
	v_add_co_u32_e64 v7, s[16:17], -1, v4
	v_addc_co_u32_e64 v25, s[16:17], 0, -1, s[16:17]
	v_cmp_ne_u32_e64 s[16:17], 0, v4
	v_mad_u32_u24 v3, v6, 36, v31
	v_xor_b32_e32 v4, s17, v25
	; wave barrier
	ds_read_b32 v24, v3 offset:32
	v_mov_b32_e32 v3, 0
	v_and_b32_e32 v25, exec_hi, v4
	v_lshlrev_b32_e32 v4, 30, v6
	v_xor_b32_e32 v7, s16, v7
	v_cmp_gt_i64_e64 s[16:17], 0, v[3:4]
	v_not_b32_e32 v4, v4
	v_ashrrev_i32_e32 v4, 31, v4
	v_and_b32_e32 v7, exec_lo, v7
	v_xor_b32_e32 v29, s17, v4
	v_xor_b32_e32 v4, s16, v4
	v_and_b32_e32 v7, v7, v4
	v_lshlrev_b32_e32 v4, 29, v6
	v_cmp_gt_i64_e64 s[16:17], 0, v[3:4]
	v_not_b32_e32 v4, v4
	v_ashrrev_i32_e32 v4, 31, v4
	v_and_b32_e32 v25, v25, v29
	v_xor_b32_e32 v29, s17, v4
	v_xor_b32_e32 v4, s16, v4
	v_and_b32_e32 v7, v7, v4
	v_lshlrev_b32_e32 v4, 28, v6
	v_cmp_gt_i64_e64 s[16:17], 0, v[3:4]
	v_not_b32_e32 v4, v4
	v_ashrrev_i32_e32 v4, 31, v4
	v_and_b32_e32 v25, v25, v29
	;; [unrolled: 8-line block ×5, first 2 shown]
	v_xor_b32_e32 v29, s17, v4
	v_xor_b32_e32 v4, s16, v4
	v_and_b32_e32 v25, v25, v29
	v_and_b32_e32 v29, v7, v4
	v_lshlrev_b32_e32 v4, 24, v6
	v_cmp_gt_i64_e64 s[16:17], 0, v[3:4]
	v_not_b32_e32 v4, v4
	v_ashrrev_i32_e32 v4, 31, v4
	v_mul_u32_u24_e32 v26, 36, v6
	v_xor_b32_e32 v6, s17, v4
	v_xor_b32_e32 v4, s16, v4
	v_and_b32_e32 v7, v25, v6
	v_and_b32_e32 v6, v29, v4
	v_mbcnt_lo_u32_b32 v4, v6, 0
	v_mbcnt_hi_u32_b32 v25, v7, v4
	v_cmp_ne_u64_e64 s[16:17], 0, v[6:7]
	v_cmp_eq_u32_e64 s[18:19], 0, v25
	s_and_b64 s[18:19], s[16:17], s[18:19]
	v_add_u32_e32 v35, v31, v26
	; wave barrier
	s_and_saveexec_b64 s[16:17], s[18:19]
	s_cbranch_execz .LBB1437_23
; %bb.22:
	v_bcnt_u32_b32 v4, v6, 0
	v_bcnt_u32_b32 v4, v7, v4
	s_waitcnt lgkmcnt(0)
	v_add_u32_e32 v4, v24, v4
	ds_write_b32 v35, v4 offset:32
.LBB1437_23:
	s_or_b64 exec, exec, s[16:17]
	v_xor_b32_sdwa v7, v5, s22 dst_sel:DWORD dst_unused:UNUSED_PAD src0_sel:WORD_1 src1_sel:DWORD
	v_lshrrev_b32_sdwa v4, s40, v7 dst_sel:DWORD dst_unused:UNUSED_PAD src0_sel:DWORD src1_sel:WORD_0
	v_and_b32_e32 v5, s50, v4
	v_mad_u32_u24 v4, v5, 36, v31
	; wave barrier
	ds_read_b32 v26, v4 offset:32
	v_and_b32_e32 v4, 1, v5
	v_add_co_u32_e64 v29, s[16:17], -1, v4
	v_addc_co_u32_e64 v32, s[16:17], 0, -1, s[16:17]
	v_cmp_ne_u32_e64 s[16:17], 0, v4
	v_xor_b32_e32 v4, s17, v32
	v_and_b32_e32 v32, exec_hi, v4
	v_lshlrev_b32_e32 v4, 30, v5
	v_xor_b32_e32 v29, s16, v29
	v_cmp_gt_i64_e64 s[16:17], 0, v[3:4]
	v_not_b32_e32 v4, v4
	v_ashrrev_i32_e32 v4, 31, v4
	v_and_b32_e32 v29, exec_lo, v29
	v_xor_b32_e32 v36, s17, v4
	v_xor_b32_e32 v4, s16, v4
	v_and_b32_e32 v29, v29, v4
	v_lshlrev_b32_e32 v4, 29, v5
	v_cmp_gt_i64_e64 s[16:17], 0, v[3:4]
	v_not_b32_e32 v4, v4
	v_ashrrev_i32_e32 v4, 31, v4
	v_and_b32_e32 v32, v32, v36
	v_xor_b32_e32 v36, s17, v4
	v_xor_b32_e32 v4, s16, v4
	v_and_b32_e32 v29, v29, v4
	v_lshlrev_b32_e32 v4, 28, v5
	v_cmp_gt_i64_e64 s[16:17], 0, v[3:4]
	v_not_b32_e32 v4, v4
	v_ashrrev_i32_e32 v4, 31, v4
	v_and_b32_e32 v32, v32, v36
	;; [unrolled: 8-line block ×5, first 2 shown]
	v_xor_b32_e32 v36, s17, v4
	v_xor_b32_e32 v4, s16, v4
	v_and_b32_e32 v29, v29, v4
	v_lshlrev_b32_e32 v4, 24, v5
	v_cmp_gt_i64_e64 s[16:17], 0, v[3:4]
	v_not_b32_e32 v3, v4
	v_ashrrev_i32_e32 v3, 31, v3
	v_xor_b32_e32 v4, s17, v3
	v_xor_b32_e32 v3, s16, v3
	v_and_b32_e32 v32, v32, v36
	v_and_b32_e32 v3, v29, v3
	v_mul_u32_u24_e32 v6, 36, v5
	v_and_b32_e32 v4, v32, v4
	v_mbcnt_lo_u32_b32 v5, v3, 0
	v_mbcnt_hi_u32_b32 v29, v4, v5
	v_cmp_ne_u64_e64 s[16:17], 0, v[3:4]
	v_cmp_eq_u32_e64 s[18:19], 0, v29
	s_and_b64 s[18:19], s[16:17], s[18:19]
	v_add_u32_e32 v31, v31, v6
	; wave barrier
	s_and_saveexec_b64 s[16:17], s[18:19]
	s_cbranch_execz .LBB1437_25
; %bb.24:
	v_bcnt_u32_b32 v3, v3, 0
	v_bcnt_u32_b32 v3, v4, v3
	s_waitcnt lgkmcnt(0)
	v_add_u32_e32 v3, v26, v3
	ds_write_b32 v31, v3 offset:32
.LBB1437_25:
	s_or_b64 exec, exec, s[16:17]
	; wave barrier
	s_waitcnt lgkmcnt(0)
	s_barrier
	ds_read2_b32 v[5:6], v14 offset0:8 offset1:9
	ds_read2_b32 v[3:4], v14 offset0:10 offset1:11
	ds_read_b32 v32, v14 offset:48
	v_min_u32_e32 v12, 0x1c0, v12
	v_or_b32_e32 v12, 63, v12
	s_waitcnt lgkmcnt(1)
	v_add3_u32 v36, v6, v5, v3
	s_waitcnt lgkmcnt(0)
	v_add3_u32 v32, v36, v4, v32
	v_and_b32_e32 v36, 15, v11
	v_cmp_ne_u32_e64 s[16:17], 0, v36
	v_mov_b32_dpp v38, v32 row_shr:1 row_mask:0xf bank_mask:0xf
	v_cndmask_b32_e64 v38, 0, v38, s[16:17]
	v_add_u32_e32 v32, v38, v32
	v_cmp_lt_u32_e64 s[16:17], 1, v36
	s_nop 0
	v_mov_b32_dpp v38, v32 row_shr:2 row_mask:0xf bank_mask:0xf
	v_cndmask_b32_e64 v38, 0, v38, s[16:17]
	v_add_u32_e32 v32, v32, v38
	v_cmp_lt_u32_e64 s[16:17], 3, v36
	s_nop 0
	v_mov_b32_dpp v38, v32 row_shr:4 row_mask:0xf bank_mask:0xf
	v_cndmask_b32_e64 v38, 0, v38, s[16:17]
	v_add_u32_e32 v32, v32, v38
	v_cmp_lt_u32_e64 s[16:17], 7, v36
	s_nop 0
	v_mov_b32_dpp v38, v32 row_shr:8 row_mask:0xf bank_mask:0xf
	v_cndmask_b32_e64 v36, 0, v38, s[16:17]
	v_add_u32_e32 v32, v32, v36
	v_bfe_i32 v38, v11, 4, 1
	v_cmp_lt_u32_e64 s[16:17], 31, v11
	v_mov_b32_dpp v36, v32 row_bcast:15 row_mask:0xf bank_mask:0xf
	v_and_b32_e32 v36, v38, v36
	v_add_u32_e32 v32, v32, v36
	s_nop 1
	v_mov_b32_dpp v36, v32 row_bcast:31 row_mask:0xf bank_mask:0xf
	v_cndmask_b32_e64 v36, 0, v36, s[16:17]
	v_add_u32_e32 v32, v32, v36
	v_lshrrev_b32_e32 v36, 6, v0
	v_cmp_eq_u32_e64 s[16:17], v0, v12
	s_and_saveexec_b64 s[18:19], s[16:17]
; %bb.26:
	v_lshlrev_b32_e32 v12, 2, v36
	ds_write_b32 v12, v32
; %bb.27:
	s_or_b64 exec, exec, s[18:19]
	v_cmp_gt_u32_e64 s[16:17], 8, v0
	s_waitcnt lgkmcnt(0)
	s_barrier
	s_and_saveexec_b64 s[22:23], s[16:17]
	s_cbranch_execz .LBB1437_29
; %bb.28:
	v_lshlrev_b32_e32 v12, 2, v0
	ds_read_b32 v38, v12
	v_and_b32_e32 v39, 7, v11
	v_cmp_ne_u32_e64 s[16:17], 0, v39
	v_cmp_lt_u32_e64 s[18:19], 1, v39
	s_waitcnt lgkmcnt(0)
	v_mov_b32_dpp v40, v38 row_shr:1 row_mask:0xf bank_mask:0xf
	v_cndmask_b32_e64 v40, 0, v40, s[16:17]
	v_add_u32_e32 v38, v40, v38
	v_cmp_lt_u32_e64 s[16:17], 3, v39
	s_nop 0
	v_mov_b32_dpp v40, v38 row_shr:2 row_mask:0xf bank_mask:0xf
	v_cndmask_b32_e64 v40, 0, v40, s[18:19]
	v_add_u32_e32 v38, v38, v40
	s_nop 1
	v_mov_b32_dpp v40, v38 row_shr:4 row_mask:0xf bank_mask:0xf
	v_cndmask_b32_e64 v39, 0, v40, s[16:17]
	v_add_u32_e32 v38, v38, v39
	ds_write_b32 v12, v38
.LBB1437_29:
	s_or_b64 exec, exec, s[22:23]
	v_cmp_lt_u32_e64 s[16:17], 63, v0
	v_mov_b32_e32 v12, 0
	s_waitcnt lgkmcnt(0)
	s_barrier
	s_and_saveexec_b64 s[18:19], s[16:17]
; %bb.30:
	v_lshl_add_u32 v12, v36, 2, -4
	ds_read_b32 v12, v12
; %bb.31:
	s_or_b64 exec, exec, s[18:19]
	v_subrev_co_u32_e64 v36, s[16:17], 1, v11
	v_and_b32_e32 v38, 64, v11
	v_cmp_lt_i32_e64 s[18:19], v36, v38
	v_cndmask_b32_e64 v11, v36, v11, s[18:19]
	s_waitcnt lgkmcnt(0)
	v_add_u32_e32 v32, v12, v32
	v_lshlrev_b32_e32 v11, 2, v11
	ds_bpermute_b32 v11, v11, v32
	s_movk_i32 s22, 0x100
	v_cmp_gt_u32_e64 s[18:19], s22, v0
	s_waitcnt lgkmcnt(0)
	v_cndmask_b32_e64 v11, v11, v12, s[16:17]
	v_cmp_ne_u32_e64 s[16:17], 0, v0
	v_cndmask_b32_e64 v11, 0, v11, s[16:17]
	v_add_u32_e32 v5, v11, v5
	v_add_u32_e32 v6, v5, v6
	;; [unrolled: 1-line block ×4, first 2 shown]
	ds_write2_b32 v14, v11, v5 offset0:8 offset1:9
	ds_write2_b32 v14, v6, v3 offset0:10 offset1:11
	ds_write_b32 v14, v4 offset:48
	s_waitcnt lgkmcnt(0)
	s_barrier
	ds_read_b32 v3, v27 offset:32
	ds_read_b32 v32, v30 offset:32
	;; [unrolled: 1-line block ×6, first 2 shown]
	s_movk_i32 s16, 0xff
	v_cmp_lt_u32_e64 s[16:17], s16, v0
                                        ; implicit-def: $vgpr27
                                        ; implicit-def: $vgpr30
	s_and_saveexec_b64 s[42:43], s[18:19]
	s_cbranch_execz .LBB1437_35
; %bb.32:
	v_mul_u32_u24_e32 v4, 36, v0
	ds_read_b32 v27, v4 offset:32
	v_add_u32_e32 v5, 1, v0
	v_cmp_ne_u32_e64 s[22:23], s22, v5
	v_mov_b32_e32 v4, 0xc00
	s_and_saveexec_b64 s[46:47], s[22:23]
; %bb.33:
	v_mul_u32_u24_e32 v4, 36, v5
	ds_read_b32 v4, v4 offset:32
; %bb.34:
	s_or_b64 exec, exec, s[46:47]
	s_waitcnt lgkmcnt(0)
	v_sub_u32_e32 v30, v4, v27
.LBB1437_35:
	s_or_b64 exec, exec, s[42:43]
	s_waitcnt lgkmcnt(5)
	v_add_u32_e32 v31, v3, v15
	v_add_u32_e32 v12, v19, v18
	v_lshlrev_b32_e32 v3, 1, v31
	v_add_u32_e32 v11, v21, v20
	s_waitcnt lgkmcnt(0)
	s_barrier
	ds_write_b16 v3, v13 offset:1024
	v_add_lshl_u32 v3, v12, v32, 1
	v_add_u32_e32 v6, v23, v22
	ds_write_b16 v3, v16 offset:1024
	v_add_lshl_u32 v3, v11, v33, 1
	v_add_u32_e32 v5, v25, v24
	;; [unrolled: 3-line block ×3, first 2 shown]
	ds_write_b16 v3, v8 offset:1024
	v_add_lshl_u32 v3, v5, v35, 1
	ds_write_b16 v3, v37 offset:1024
	v_add_lshl_u32 v3, v4, v36, 1
	v_mov_b32_e32 v4, 0
	v_lshlrev_b32_e32 v28, 2, v0
	ds_write_b16 v3, v7 offset:1024
	s_and_saveexec_b64 s[22:23], s[18:19]
	s_cbranch_execz .LBB1437_45
; %bb.36:
	v_lshl_add_u32 v3, s6, 8, v0
	v_lshlrev_b64 v[5:6], 2, v[3:4]
	v_mov_b32_e32 v11, s45
	v_add_co_u32_e64 v5, s[18:19], s44, v5
	v_addc_co_u32_e64 v6, s[18:19], v11, v6, s[18:19]
	v_or_b32_e32 v3, 2.0, v30
	s_mov_b64 s[42:43], 0
	s_brev_b32 s51, -4
	s_mov_b32 s52, s6
	v_mov_b32_e32 v12, 0
	global_store_dword v[5:6], v3, off
                                        ; implicit-def: $sgpr18_sgpr19
	s_branch .LBB1437_39
.LBB1437_37:                            ;   in Loop: Header=BB1437_39 Depth=1
	s_or_b64 exec, exec, s[48:49]
.LBB1437_38:                            ;   in Loop: Header=BB1437_39 Depth=1
	s_or_b64 exec, exec, s[46:47]
	v_and_b32_e32 v7, 0x3fffffff, v3
	v_add_u32_e32 v12, v7, v12
	v_cmp_gt_i32_e64 s[18:19], -2.0, v3
	s_and_b64 s[46:47], exec, s[18:19]
	s_or_b64 s[42:43], s[46:47], s[42:43]
	s_andn2_b64 exec, exec, s[42:43]
	s_cbranch_execz .LBB1437_44
.LBB1437_39:                            ; =>This Loop Header: Depth=1
                                        ;     Child Loop BB1437_42 Depth 2
	s_or_b64 s[18:19], s[18:19], exec
	s_cmp_eq_u32 s52, 0
	s_cbranch_scc1 .LBB1437_43
; %bb.40:                               ;   in Loop: Header=BB1437_39 Depth=1
	s_add_i32 s52, s52, -1
	v_lshl_or_b32 v3, s52, 8, v0
	v_lshlrev_b64 v[7:8], 2, v[3:4]
	v_add_co_u32_e64 v7, s[18:19], s44, v7
	v_addc_co_u32_e64 v8, s[18:19], v11, v8, s[18:19]
	global_load_dword v3, v[7:8], off glc
	s_waitcnt vmcnt(0)
	v_cmp_gt_u32_e64 s[18:19], 2.0, v3
	s_and_saveexec_b64 s[46:47], s[18:19]
	s_cbranch_execz .LBB1437_38
; %bb.41:                               ;   in Loop: Header=BB1437_39 Depth=1
	s_mov_b64 s[48:49], 0
.LBB1437_42:                            ;   Parent Loop BB1437_39 Depth=1
                                        ; =>  This Inner Loop Header: Depth=2
	global_load_dword v3, v[7:8], off glc
	s_waitcnt vmcnt(0)
	v_cmp_lt_u32_e64 s[18:19], s51, v3
	s_or_b64 s[48:49], s[18:19], s[48:49]
	s_andn2_b64 exec, exec, s[48:49]
	s_cbranch_execnz .LBB1437_42
	s_branch .LBB1437_37
.LBB1437_43:                            ;   in Loop: Header=BB1437_39 Depth=1
                                        ; implicit-def: $sgpr52
	s_and_b64 s[46:47], exec, s[18:19]
	s_or_b64 s[42:43], s[46:47], s[42:43]
	s_andn2_b64 exec, exec, s[42:43]
	s_cbranch_execnz .LBB1437_39
.LBB1437_44:
	s_or_b64 exec, exec, s[42:43]
	v_add_u32_e32 v3, v12, v30
	v_or_b32_e32 v3, 0x80000000, v3
	global_store_dword v[5:6], v3, off
	global_load_dword v3, v28, s[36:37]
	v_sub_u32_e32 v4, v12, v27
	s_waitcnt vmcnt(0)
	v_add_u32_e32 v3, v4, v3
	ds_write_b32 v28, v3
.LBB1437_45:
	s_or_b64 exec, exec, s[22:23]
	v_cmp_gt_u32_e64 s[18:19], s7, v0
	s_waitcnt lgkmcnt(0)
	s_barrier
	s_and_saveexec_b64 s[22:23], s[18:19]
	s_cbranch_execz .LBB1437_47
; %bb.46:
	v_lshlrev_b32_e32 v3, 1, v0
	v_sub_u32_e32 v3, v28, v3
	ds_read_u16 v3, v3 offset:1024
	v_mov_b32_e32 v7, s27
	s_waitcnt lgkmcnt(0)
	v_lshrrev_b32_sdwa v4, s40, v3 dst_sel:DWORD dst_unused:UNUSED_PAD src0_sel:DWORD src1_sel:WORD_0
	v_and_b32_e32 v5, s50, v4
	v_lshlrev_b32_e32 v4, 2, v5
	ds_read_b32 v6, v4
	v_mov_b32_e32 v4, 0
	v_xor_b32_e32 v8, 0xffff8000, v3
	buffer_store_dword v5, off, s[0:3], 0
	s_waitcnt lgkmcnt(0)
	v_add_u32_e32 v3, v6, v0
	v_lshlrev_b64 v[3:4], 1, v[3:4]
	v_add_co_u32_e64 v3, s[18:19], s26, v3
	v_addc_co_u32_e64 v4, s[18:19], v7, v4, s[18:19]
	global_store_short v[3:4], v8, off
.LBB1437_47:
	s_or_b64 exec, exec, s[22:23]
	v_or_b32_e32 v3, 0x200, v0
	v_cmp_gt_u32_e64 s[18:19], s7, v3
	s_and_saveexec_b64 s[22:23], s[18:19]
	s_cbranch_execz .LBB1437_49
; %bb.48:
	v_lshlrev_b32_e32 v4, 1, v0
	v_sub_u32_e32 v4, v28, v4
	ds_read_u16 v5, v4 offset:2048
	v_mov_b32_e32 v8, s27
	s_waitcnt lgkmcnt(0)
	v_lshrrev_b32_sdwa v4, s40, v5 dst_sel:DWORD dst_unused:UNUSED_PAD src0_sel:DWORD src1_sel:WORD_0
	v_and_b32_e32 v6, s50, v4
	v_lshlrev_b32_e32 v4, 2, v6
	ds_read_b32 v7, v4
	v_mov_b32_e32 v4, 0
	v_xor_b32_e32 v5, 0xffff8000, v5
	buffer_store_dword v6, off, s[0:3], 0 offset:4
	s_waitcnt lgkmcnt(0)
	v_add_u32_e32 v3, v7, v3
	v_lshlrev_b64 v[3:4], 1, v[3:4]
	v_add_co_u32_e64 v3, s[18:19], s26, v3
	v_addc_co_u32_e64 v4, s[18:19], v8, v4, s[18:19]
	global_store_short v[3:4], v5, off
.LBB1437_49:
	s_or_b64 exec, exec, s[22:23]
	v_or_b32_e32 v3, 0x400, v0
	v_cmp_gt_u32_e64 s[18:19], s7, v3
	s_and_saveexec_b64 s[22:23], s[18:19]
	s_cbranch_execz .LBB1437_51
; %bb.50:
	v_lshlrev_b32_e32 v4, 1, v0
	v_sub_u32_e32 v4, v28, v4
	ds_read_u16 v5, v4 offset:3072
	v_mov_b32_e32 v8, s27
	s_waitcnt lgkmcnt(0)
	v_lshrrev_b32_sdwa v4, s40, v5 dst_sel:DWORD dst_unused:UNUSED_PAD src0_sel:DWORD src1_sel:WORD_0
	v_and_b32_e32 v6, s50, v4
	v_lshlrev_b32_e32 v4, 2, v6
	ds_read_b32 v7, v4
	v_mov_b32_e32 v4, 0
	v_xor_b32_e32 v5, 0xffff8000, v5
	buffer_store_dword v6, off, s[0:3], 0 offset:8
	s_waitcnt lgkmcnt(0)
	v_add_u32_e32 v3, v7, v3
	v_lshlrev_b64 v[3:4], 1, v[3:4]
	v_add_co_u32_e64 v3, s[18:19], s26, v3
	v_addc_co_u32_e64 v4, s[18:19], v8, v4, s[18:19]
	global_store_short v[3:4], v5, off
.LBB1437_51:
	;; [unrolled: 25-line block ×5, first 2 shown]
	s_or_b64 exec, exec, s[22:23]
	s_lshl_b64 s[18:19], s[34:35], 3
	s_add_u32 s18, s28, s18
	s_addc_u32 s19, s29, s19
	v_lshlrev_b32_e32 v3, 3, v10
	v_mov_b32_e32 v4, s19
	v_add_co_u32_e64 v3, s[18:19], s18, v3
	v_addc_co_u32_e64 v4, s[18:19], 0, v4, s[18:19]
	v_lshlrev_b32_e32 v5, 3, v9
	v_add_co_u32_e64 v15, s[18:19], v3, v5
	v_addc_co_u32_e64 v16, s[18:19], 0, v4, s[18:19]
                                        ; implicit-def: $vgpr3_vgpr4
	s_and_saveexec_b64 s[18:19], vcc
	s_xor_b64 s[18:19], exec, s[18:19]
	s_cbranch_execz .LBB1437_63
; %bb.58:
	global_load_dwordx2 v[3:4], v[15:16], off
	s_or_b64 exec, exec, s[18:19]
                                        ; implicit-def: $vgpr5_vgpr6
	s_and_saveexec_b64 s[18:19], s[20:21]
	s_cbranch_execnz .LBB1437_64
.LBB1437_59:
	s_or_b64 exec, exec, s[18:19]
                                        ; implicit-def: $vgpr7_vgpr8
	s_and_saveexec_b64 s[18:19], s[8:9]
	s_cbranch_execz .LBB1437_65
.LBB1437_60:
	global_load_dwordx2 v[7:8], v[15:16], off offset:1024
	s_or_b64 exec, exec, s[18:19]
                                        ; implicit-def: $vgpr9_vgpr10
	s_and_saveexec_b64 s[8:9], s[10:11]
	s_cbranch_execnz .LBB1437_66
.LBB1437_61:
	s_or_b64 exec, exec, s[8:9]
                                        ; implicit-def: $vgpr11_vgpr12
	s_and_saveexec_b64 s[8:9], s[12:13]
	s_cbranch_execz .LBB1437_67
.LBB1437_62:
	global_load_dwordx2 v[11:12], v[15:16], off offset:2048
	s_or_b64 exec, exec, s[8:9]
                                        ; implicit-def: $vgpr13_vgpr14
	s_and_saveexec_b64 s[8:9], s[14:15]
	s_cbranch_execnz .LBB1437_68
	s_branch .LBB1437_69
.LBB1437_63:
	s_or_b64 exec, exec, s[18:19]
                                        ; implicit-def: $vgpr5_vgpr6
	s_and_saveexec_b64 s[18:19], s[20:21]
	s_cbranch_execz .LBB1437_59
.LBB1437_64:
	global_load_dwordx2 v[5:6], v[15:16], off offset:512
	s_or_b64 exec, exec, s[18:19]
                                        ; implicit-def: $vgpr7_vgpr8
	s_and_saveexec_b64 s[18:19], s[8:9]
	s_cbranch_execnz .LBB1437_60
.LBB1437_65:
	s_or_b64 exec, exec, s[18:19]
                                        ; implicit-def: $vgpr9_vgpr10
	s_and_saveexec_b64 s[8:9], s[10:11]
	s_cbranch_execz .LBB1437_61
.LBB1437_66:
	global_load_dwordx2 v[9:10], v[15:16], off offset:1536
	s_or_b64 exec, exec, s[8:9]
                                        ; implicit-def: $vgpr11_vgpr12
	s_and_saveexec_b64 s[8:9], s[12:13]
	s_cbranch_execnz .LBB1437_62
.LBB1437_67:
	s_or_b64 exec, exec, s[8:9]
                                        ; implicit-def: $vgpr13_vgpr14
	s_and_saveexec_b64 s[8:9], s[14:15]
	s_cbranch_execz .LBB1437_69
.LBB1437_68:
	global_load_dwordx2 v[13:14], v[15:16], off offset:2560
.LBB1437_69:
	s_or_b64 exec, exec, s[8:9]
	v_lshlrev_b32_e32 v37, 3, v0
	v_add3_u32 v26, v29, v36, v26
	v_add3_u32 v24, v25, v35, v24
	;; [unrolled: 1-line block ×5, first 2 shown]
	s_mov_b32 s10, 0
	s_mov_b32 s11, 0
	v_mov_b32_e32 v16, 0
	s_movk_i32 s12, 0x200
	v_mov_b32_e32 v19, v0
	s_waitcnt vmcnt(0)
	s_barrier
	s_branch .LBB1437_71
.LBB1437_70:                            ;   in Loop: Header=BB1437_71 Depth=1
	s_or_b64 exec, exec, s[8:9]
	s_addk_i32 s11, 0xfc00
	s_add_i32 s10, s10, 8
	s_cmpk_eq_i32 s11, 0xf400
	v_add_u32_e32 v19, 0x400, v19
	s_waitcnt vmcnt(0)
	s_barrier
	s_cbranch_scc1 .LBB1437_75
.LBB1437_71:                            ; =>This Inner Loop Header: Depth=1
	v_add_u32_e32 v15, s11, v31
	v_min_u32_e32 v15, 0x400, v15
	v_lshlrev_b32_e32 v15, 3, v15
	ds_write_b64 v15, v[3:4] offset:1024
	v_add_u32_e32 v15, s11, v18
	v_min_u32_e32 v15, 0x400, v15
	v_lshlrev_b32_e32 v15, 3, v15
	ds_write_b64 v15, v[5:6] offset:1024
	;; [unrolled: 4-line block ×5, first 2 shown]
	v_add_u32_e32 v15, s11, v26
	v_min_u32_e32 v15, 0x400, v15
	v_lshlrev_b32_e32 v15, 3, v15
	v_cmp_gt_u32_e32 vcc, s7, v19
	ds_write_b64 v15, v[13:14] offset:1024
	s_waitcnt lgkmcnt(0)
	s_barrier
	s_and_saveexec_b64 s[8:9], vcc
	s_cbranch_execz .LBB1437_73
; %bb.72:                               ;   in Loop: Header=BB1437_71 Depth=1
	v_mov_b32_e32 v15, s10
	buffer_load_dword v15, v15, s[0:3], 0 offen
	v_mov_b32_e32 v21, s31
	s_waitcnt vmcnt(0)
	v_lshlrev_b32_e32 v15, 2, v15
	ds_read_b32 v15, v15
	ds_read_b64 v[32:33], v37 offset:1024
	s_waitcnt lgkmcnt(1)
	v_add_u32_e32 v15, v19, v15
	v_lshlrev_b64 v[34:35], 3, v[15:16]
	v_add_co_u32_e32 v34, vcc, s30, v34
	v_addc_co_u32_e32 v35, vcc, v21, v35, vcc
	s_waitcnt lgkmcnt(0)
	global_store_dwordx2 v[34:35], v[32:33], off
.LBB1437_73:                            ;   in Loop: Header=BB1437_71 Depth=1
	s_or_b64 exec, exec, s[8:9]
	v_add_u32_e32 v15, 0x200, v19
	v_cmp_gt_u32_e32 vcc, s7, v15
	s_and_saveexec_b64 s[8:9], vcc
	s_cbranch_execz .LBB1437_70
; %bb.74:                               ;   in Loop: Header=BB1437_71 Depth=1
	v_mov_b32_e32 v15, s10
	buffer_load_dword v15, v15, s[0:3], 0 offen offset:4
	v_mov_b32_e32 v21, s31
	s_waitcnt vmcnt(0)
	v_lshlrev_b32_e32 v15, 2, v15
	ds_read_b32 v15, v15
	ds_read_b64 v[32:33], v37 offset:5120
	s_waitcnt lgkmcnt(1)
	v_add3_u32 v15, v19, v15, s12
	v_lshlrev_b64 v[34:35], 3, v[15:16]
	v_add_co_u32_e32 v34, vcc, s30, v34
	v_addc_co_u32_e32 v35, vcc, v21, v35, vcc
	s_waitcnt lgkmcnt(0)
	global_store_dwordx2 v[34:35], v[32:33], off
	s_branch .LBB1437_70
.LBB1437_75:
	s_add_i32 s33, s33, -1
	s_cmp_eq_u32 s6, s33
	s_cselect_b64 s[8:9], -1, 0
	s_xor_b64 s[10:11], s[16:17], -1
	s_and_b64 s[10:11], s[10:11], s[8:9]
	s_and_saveexec_b64 s[8:9], s[10:11]
	s_cbranch_execz .LBB1437_77
; %bb.76:
	ds_read_b32 v3, v28
	s_waitcnt lgkmcnt(0)
	v_add3_u32 v3, v27, v30, v3
	global_store_dword v28, v3, s[38:39]
.LBB1437_77:
	s_or_b64 exec, exec, s[8:9]
	s_mov_b64 s[8:9], 0
.LBB1437_78:
	s_and_b64 vcc, exec, s[8:9]
	s_cbranch_vccz .LBB1437_115
; %bb.79:
	s_mov_b32 s35, 0
	s_lshl_b64 s[8:9], s[34:35], 1
	v_mbcnt_hi_u32_b32 v6, -1, v17
	s_add_u32 s7, s24, s8
	v_and_b32_e32 v8, 63, v6
	s_addc_u32 s8, s25, s9
	v_and_b32_e32 v9, 0x1c0, v0
	v_lshlrev_b32_e32 v3, 1, v8
	v_mul_u32_u24_e32 v7, 6, v9
	v_mov_b32_e32 v4, s8
	v_add_co_u32_e32 v3, vcc, s7, v3
	v_addc_co_u32_e32 v5, vcc, 0, v4, vcc
	v_lshlrev_b32_e32 v4, 1, v7
	v_add_co_u32_e32 v4, vcc, v3, v4
	v_addc_co_u32_e32 v5, vcc, 0, v5, vcc
	global_load_ushort v10, v[4:5], off
	s_load_dword s8, s[4:5], 0x64
	s_load_dword s7, s[4:5], 0x58
	s_add_u32 s4, s4, 0x58
	s_addc_u32 s5, s5, 0
	v_mov_b32_e32 v3, 0
	s_waitcnt lgkmcnt(0)
	s_lshr_b32 s8, s8, 16
	s_cmp_lt_u32 s6, s7
	s_cselect_b32 s9, 12, 18
	s_add_u32 s4, s4, s9
	s_addc_u32 s5, s5, 0
	global_load_ushort v11, v3, s[4:5]
	global_load_ushort v14, v[4:5], off offset:128
	global_load_ushort v17, v[4:5], off offset:256
	;; [unrolled: 1-line block ×5, first 2 shown]
	s_lshl_b32 s4, -1, s41
	s_not_b32 s16, s4
	v_mad_u32_u24 v1, v2, s8, v1
	s_waitcnt vmcnt(6)
	v_xor_b32_e32 v10, 0xffff8000, v10
	v_lshrrev_b32_sdwa v4, s40, v10 dst_sel:DWORD dst_unused:UNUSED_PAD src0_sel:DWORD src1_sel:WORD_0
	v_and_b32_e32 v13, s16, v4
	v_and_b32_e32 v5, 1, v13
	v_add_co_u32_e32 v12, vcc, -1, v5
	v_lshlrev_b32_e32 v4, 30, v13
	v_addc_co_u32_e64 v15, s[4:5], 0, -1, vcc
	v_cmp_ne_u32_e32 vcc, 0, v5
	v_cmp_gt_i64_e64 s[4:5], 0, v[3:4]
	v_not_b32_e32 v5, v4
	v_lshlrev_b32_e32 v4, 29, v13
	v_xor_b32_e32 v15, vcc_hi, v15
	v_ashrrev_i32_e32 v5, 31, v5
	v_xor_b32_e32 v12, vcc_lo, v12
	v_cmp_gt_i64_e32 vcc, 0, v[3:4]
	v_not_b32_e32 v16, v4
	v_lshlrev_b32_e32 v4, 28, v13
	v_and_b32_e32 v15, exec_hi, v15
	v_xor_b32_e32 v18, s5, v5
	v_and_b32_e32 v12, exec_lo, v12
	v_xor_b32_e32 v5, s4, v5
	v_ashrrev_i32_e32 v16, 31, v16
	v_cmp_gt_i64_e64 s[4:5], 0, v[3:4]
	v_not_b32_e32 v20, v4
	v_lshlrev_b32_e32 v4, 27, v13
	v_and_b32_e32 v15, v15, v18
	v_and_b32_e32 v5, v12, v5
	v_xor_b32_e32 v12, vcc_hi, v16
	v_xor_b32_e32 v16, vcc_lo, v16
	v_ashrrev_i32_e32 v18, 31, v20
	v_cmp_gt_i64_e32 vcc, 0, v[3:4]
	v_not_b32_e32 v20, v4
	v_lshlrev_b32_e32 v4, 26, v13
	v_and_b32_e32 v12, v15, v12
	v_and_b32_e32 v5, v5, v16
	v_xor_b32_e32 v15, s5, v18
	v_xor_b32_e32 v16, s4, v18
	v_ashrrev_i32_e32 v18, 31, v20
	v_cmp_gt_i64_e64 s[4:5], 0, v[3:4]
	v_not_b32_e32 v20, v4
	v_lshlrev_b32_e32 v4, 25, v13
	v_and_b32_e32 v12, v12, v15
	v_and_b32_e32 v5, v5, v16
	v_xor_b32_e32 v15, vcc_hi, v18
	v_xor_b32_e32 v16, vcc_lo, v18
	v_ashrrev_i32_e32 v18, 31, v20
	v_cmp_gt_i64_e32 vcc, 0, v[3:4]
	v_not_b32_e32 v20, v4
	v_lshlrev_b32_e32 v4, 24, v13
	v_and_b32_e32 v12, v12, v15
	v_and_b32_e32 v5, v5, v16
	v_xor_b32_e32 v15, s5, v18
	v_xor_b32_e32 v16, s4, v18
	v_ashrrev_i32_e32 v18, 31, v20
	v_cmp_gt_i64_e64 s[4:5], 0, v[3:4]
	v_not_b32_e32 v4, v4
	v_and_b32_e32 v12, v12, v15
	v_and_b32_e32 v5, v5, v16
	v_xor_b32_e32 v15, vcc_hi, v18
	v_xor_b32_e32 v16, vcc_lo, v18
	v_ashrrev_i32_e32 v4, 31, v4
	v_and_b32_e32 v12, v12, v15
	v_and_b32_e32 v15, v5, v16
	v_xor_b32_e32 v5, s5, v4
	v_xor_b32_e32 v4, s4, v4
	s_waitcnt vmcnt(5)
	v_mad_u64_u32 v[1:2], s[4:5], v1, v11, v[0:1]
	v_and_b32_e32 v4, v15, v4
	v_and_b32_e32 v5, v12, v5
	v_lshrrev_b32_e32 v1, 6, v1
	v_lshlrev_b32_e32 v24, 2, v1
	v_mbcnt_lo_u32_b32 v1, v4, 0
	v_mbcnt_hi_u32_b32 v11, v5, v1
	v_cmp_ne_u64_e32 vcc, 0, v[4:5]
	v_cmp_eq_u32_e64 s[4:5], 0, v11
	v_mul_u32_u24_e32 v12, 20, v0
	v_mad_u32_u24 v13, v13, 36, v24
	s_and_b64 s[8:9], vcc, s[4:5]
	ds_write2_b32 v12, v3, v3 offset0:8 offset1:9
	ds_write2_b32 v12, v3, v3 offset0:10 offset1:11
	ds_write_b32 v12, v3 offset:48
	s_waitcnt vmcnt(0) lgkmcnt(0)
	s_barrier
	; wave barrier
	s_and_saveexec_b64 s[4:5], s[8:9]
; %bb.80:
	v_bcnt_u32_b32 v1, v4, 0
	v_bcnt_u32_b32 v1, v5, v1
	ds_write_b32 v13, v1 offset:32
; %bb.81:
	s_or_b64 exec, exec, s[4:5]
	v_xor_b32_e32 v5, 0xffff8000, v14
	v_lshrrev_b32_sdwa v1, s40, v5 dst_sel:DWORD dst_unused:UNUSED_PAD src0_sel:DWORD src1_sel:WORD_0
	v_and_b32_e32 v1, s16, v1
	v_and_b32_e32 v2, 1, v1
	v_add_co_u32_e32 v4, vcc, -1, v2
	v_addc_co_u32_e64 v16, s[4:5], 0, -1, vcc
	v_cmp_ne_u32_e32 vcc, 0, v2
	v_xor_b32_e32 v4, vcc_lo, v4
	v_xor_b32_e32 v2, vcc_hi, v16
	v_and_b32_e32 v16, exec_lo, v4
	v_lshlrev_b32_e32 v4, 30, v1
	v_cmp_gt_i64_e32 vcc, 0, v[3:4]
	v_not_b32_e32 v4, v4
	v_ashrrev_i32_e32 v4, 31, v4
	v_xor_b32_e32 v18, vcc_hi, v4
	v_xor_b32_e32 v4, vcc_lo, v4
	v_and_b32_e32 v16, v16, v4
	v_lshlrev_b32_e32 v4, 29, v1
	v_cmp_gt_i64_e32 vcc, 0, v[3:4]
	v_not_b32_e32 v4, v4
	v_and_b32_e32 v2, exec_hi, v2
	v_ashrrev_i32_e32 v4, 31, v4
	v_and_b32_e32 v2, v2, v18
	v_xor_b32_e32 v18, vcc_hi, v4
	v_xor_b32_e32 v4, vcc_lo, v4
	v_and_b32_e32 v16, v16, v4
	v_lshlrev_b32_e32 v4, 28, v1
	v_cmp_gt_i64_e32 vcc, 0, v[3:4]
	v_not_b32_e32 v4, v4
	v_ashrrev_i32_e32 v4, 31, v4
	v_and_b32_e32 v2, v2, v18
	v_xor_b32_e32 v18, vcc_hi, v4
	v_xor_b32_e32 v4, vcc_lo, v4
	v_and_b32_e32 v16, v16, v4
	v_lshlrev_b32_e32 v4, 27, v1
	v_cmp_gt_i64_e32 vcc, 0, v[3:4]
	v_not_b32_e32 v4, v4
	;; [unrolled: 8-line block ×4, first 2 shown]
	v_ashrrev_i32_e32 v4, 31, v4
	v_and_b32_e32 v2, v2, v18
	v_xor_b32_e32 v18, vcc_hi, v4
	v_xor_b32_e32 v4, vcc_lo, v4
	v_and_b32_e32 v16, v16, v4
	v_lshlrev_b32_e32 v4, 24, v1
	v_mad_u32_u24 v14, v1, 36, v24
	v_cmp_gt_i64_e32 vcc, 0, v[3:4]
	v_not_b32_e32 v1, v4
	v_ashrrev_i32_e32 v1, 31, v1
	v_xor_b32_e32 v3, vcc_hi, v1
	v_xor_b32_e32 v1, vcc_lo, v1
	; wave barrier
	ds_read_b32 v15, v14 offset:32
	v_and_b32_e32 v2, v2, v18
	v_and_b32_e32 v1, v16, v1
	;; [unrolled: 1-line block ×3, first 2 shown]
	v_mbcnt_lo_u32_b32 v3, v1, 0
	v_mbcnt_hi_u32_b32 v16, v2, v3
	v_cmp_ne_u64_e32 vcc, 0, v[1:2]
	v_cmp_eq_u32_e64 s[4:5], 0, v16
	s_and_b64 s[8:9], vcc, s[4:5]
	; wave barrier
	s_and_saveexec_b64 s[4:5], s[8:9]
	s_cbranch_execz .LBB1437_83
; %bb.82:
	v_bcnt_u32_b32 v1, v1, 0
	v_bcnt_u32_b32 v1, v2, v1
	s_waitcnt lgkmcnt(0)
	v_add_u32_e32 v1, v15, v1
	ds_write_b32 v14, v1 offset:32
.LBB1437_83:
	s_or_b64 exec, exec, s[4:5]
	v_xor_b32_e32 v25, 0xffff8000, v17
	v_lshrrev_b32_sdwa v1, s40, v25 dst_sel:DWORD dst_unused:UNUSED_PAD src0_sel:DWORD src1_sel:WORD_0
	v_and_b32_e32 v3, s16, v1
	v_and_b32_e32 v2, 1, v3
	v_add_co_u32_e32 v4, vcc, -1, v2
	v_addc_co_u32_e64 v18, s[4:5], 0, -1, vcc
	v_cmp_ne_u32_e32 vcc, 0, v2
	v_xor_b32_e32 v2, vcc_hi, v18
	v_mov_b32_e32 v1, 0
	v_and_b32_e32 v18, exec_hi, v2
	v_lshlrev_b32_e32 v2, 30, v3
	v_xor_b32_e32 v4, vcc_lo, v4
	v_cmp_gt_i64_e32 vcc, 0, v[1:2]
	v_not_b32_e32 v2, v2
	v_ashrrev_i32_e32 v2, 31, v2
	v_and_b32_e32 v4, exec_lo, v4
	v_xor_b32_e32 v20, vcc_hi, v2
	v_xor_b32_e32 v2, vcc_lo, v2
	v_and_b32_e32 v4, v4, v2
	v_lshlrev_b32_e32 v2, 29, v3
	v_cmp_gt_i64_e32 vcc, 0, v[1:2]
	v_not_b32_e32 v2, v2
	v_ashrrev_i32_e32 v2, 31, v2
	v_and_b32_e32 v18, v18, v20
	v_xor_b32_e32 v20, vcc_hi, v2
	v_xor_b32_e32 v2, vcc_lo, v2
	v_and_b32_e32 v4, v4, v2
	v_lshlrev_b32_e32 v2, 28, v3
	v_cmp_gt_i64_e32 vcc, 0, v[1:2]
	v_not_b32_e32 v2, v2
	v_ashrrev_i32_e32 v2, 31, v2
	v_and_b32_e32 v18, v18, v20
	;; [unrolled: 8-line block ×5, first 2 shown]
	v_xor_b32_e32 v20, vcc_hi, v2
	v_xor_b32_e32 v2, vcc_lo, v2
	v_and_b32_e32 v4, v4, v2
	v_lshlrev_b32_e32 v2, 24, v3
	v_cmp_gt_i64_e32 vcc, 0, v[1:2]
	v_not_b32_e32 v2, v2
	v_ashrrev_i32_e32 v2, 31, v2
	v_mad_u32_u24 v27, v3, 36, v24
	v_xor_b32_e32 v3, vcc_hi, v2
	v_xor_b32_e32 v2, vcc_lo, v2
	; wave barrier
	ds_read_b32 v17, v27 offset:32
	v_and_b32_e32 v18, v18, v20
	v_and_b32_e32 v2, v4, v2
	;; [unrolled: 1-line block ×3, first 2 shown]
	v_mbcnt_lo_u32_b32 v4, v2, 0
	v_mbcnt_hi_u32_b32 v18, v3, v4
	v_cmp_ne_u64_e32 vcc, 0, v[2:3]
	v_cmp_eq_u32_e64 s[4:5], 0, v18
	s_and_b64 s[8:9], vcc, s[4:5]
	; wave barrier
	s_and_saveexec_b64 s[4:5], s[8:9]
	s_cbranch_execz .LBB1437_85
; %bb.84:
	v_bcnt_u32_b32 v2, v2, 0
	v_bcnt_u32_b32 v2, v3, v2
	s_waitcnt lgkmcnt(0)
	v_add_u32_e32 v2, v17, v2
	ds_write_b32 v27, v2 offset:32
.LBB1437_85:
	s_or_b64 exec, exec, s[4:5]
	v_xor_b32_e32 v30, 0xffff8000, v19
	v_lshrrev_b32_sdwa v2, s40, v30 dst_sel:DWORD dst_unused:UNUSED_PAD src0_sel:DWORD src1_sel:WORD_0
	v_and_b32_e32 v3, s16, v2
	v_and_b32_e32 v2, 1, v3
	v_add_co_u32_e32 v4, vcc, -1, v2
	v_addc_co_u32_e64 v20, s[4:5], 0, -1, vcc
	v_cmp_ne_u32_e32 vcc, 0, v2
	v_xor_b32_e32 v2, vcc_hi, v20
	v_and_b32_e32 v20, exec_hi, v2
	v_lshlrev_b32_e32 v2, 30, v3
	v_xor_b32_e32 v4, vcc_lo, v4
	v_cmp_gt_i64_e32 vcc, 0, v[1:2]
	v_not_b32_e32 v2, v2
	v_ashrrev_i32_e32 v2, 31, v2
	v_and_b32_e32 v4, exec_lo, v4
	v_xor_b32_e32 v22, vcc_hi, v2
	v_xor_b32_e32 v2, vcc_lo, v2
	v_and_b32_e32 v4, v4, v2
	v_lshlrev_b32_e32 v2, 29, v3
	v_cmp_gt_i64_e32 vcc, 0, v[1:2]
	v_not_b32_e32 v2, v2
	v_ashrrev_i32_e32 v2, 31, v2
	v_and_b32_e32 v20, v20, v22
	v_xor_b32_e32 v22, vcc_hi, v2
	v_xor_b32_e32 v2, vcc_lo, v2
	v_and_b32_e32 v4, v4, v2
	v_lshlrev_b32_e32 v2, 28, v3
	v_cmp_gt_i64_e32 vcc, 0, v[1:2]
	v_not_b32_e32 v2, v2
	v_ashrrev_i32_e32 v2, 31, v2
	v_and_b32_e32 v20, v20, v22
	;; [unrolled: 8-line block ×5, first 2 shown]
	v_xor_b32_e32 v22, vcc_hi, v2
	v_xor_b32_e32 v2, vcc_lo, v2
	v_and_b32_e32 v4, v4, v2
	v_lshlrev_b32_e32 v2, 24, v3
	v_cmp_gt_i64_e32 vcc, 0, v[1:2]
	v_not_b32_e32 v1, v2
	v_ashrrev_i32_e32 v1, 31, v1
	v_mad_u32_u24 v28, v3, 36, v24
	v_xor_b32_e32 v2, vcc_hi, v1
	v_xor_b32_e32 v1, vcc_lo, v1
	; wave barrier
	ds_read_b32 v19, v28 offset:32
	v_and_b32_e32 v20, v20, v22
	v_and_b32_e32 v1, v4, v1
	;; [unrolled: 1-line block ×3, first 2 shown]
	v_mbcnt_lo_u32_b32 v3, v1, 0
	v_mbcnt_hi_u32_b32 v20, v2, v3
	v_cmp_ne_u64_e32 vcc, 0, v[1:2]
	v_cmp_eq_u32_e64 s[4:5], 0, v20
	s_and_b64 s[8:9], vcc, s[4:5]
	; wave barrier
	s_and_saveexec_b64 s[4:5], s[8:9]
	s_cbranch_execz .LBB1437_87
; %bb.86:
	v_bcnt_u32_b32 v1, v1, 0
	v_bcnt_u32_b32 v1, v2, v1
	s_waitcnt lgkmcnt(0)
	v_add_u32_e32 v1, v19, v1
	ds_write_b32 v28, v1 offset:32
.LBB1437_87:
	s_or_b64 exec, exec, s[4:5]
	v_xor_b32_e32 v36, 0xffff8000, v21
	v_lshrrev_b32_sdwa v1, s40, v36 dst_sel:DWORD dst_unused:UNUSED_PAD src0_sel:DWORD src1_sel:WORD_0
	v_and_b32_e32 v3, s16, v1
	v_and_b32_e32 v2, 1, v3
	v_add_co_u32_e32 v4, vcc, -1, v2
	v_addc_co_u32_e64 v22, s[4:5], 0, -1, vcc
	v_cmp_ne_u32_e32 vcc, 0, v2
	v_xor_b32_e32 v2, vcc_hi, v22
	v_mov_b32_e32 v1, 0
	v_and_b32_e32 v22, exec_hi, v2
	v_lshlrev_b32_e32 v2, 30, v3
	v_xor_b32_e32 v4, vcc_lo, v4
	v_cmp_gt_i64_e32 vcc, 0, v[1:2]
	v_not_b32_e32 v2, v2
	v_ashrrev_i32_e32 v2, 31, v2
	v_and_b32_e32 v4, exec_lo, v4
	v_xor_b32_e32 v26, vcc_hi, v2
	v_xor_b32_e32 v2, vcc_lo, v2
	v_and_b32_e32 v4, v4, v2
	v_lshlrev_b32_e32 v2, 29, v3
	v_cmp_gt_i64_e32 vcc, 0, v[1:2]
	v_not_b32_e32 v2, v2
	v_ashrrev_i32_e32 v2, 31, v2
	v_and_b32_e32 v22, v22, v26
	v_xor_b32_e32 v26, vcc_hi, v2
	v_xor_b32_e32 v2, vcc_lo, v2
	v_and_b32_e32 v4, v4, v2
	v_lshlrev_b32_e32 v2, 28, v3
	v_cmp_gt_i64_e32 vcc, 0, v[1:2]
	v_not_b32_e32 v2, v2
	v_ashrrev_i32_e32 v2, 31, v2
	v_and_b32_e32 v22, v22, v26
	;; [unrolled: 8-line block ×5, first 2 shown]
	v_xor_b32_e32 v26, vcc_hi, v2
	v_xor_b32_e32 v2, vcc_lo, v2
	v_and_b32_e32 v4, v4, v2
	v_lshlrev_b32_e32 v2, 24, v3
	v_cmp_gt_i64_e32 vcc, 0, v[1:2]
	v_not_b32_e32 v2, v2
	v_ashrrev_i32_e32 v2, 31, v2
	v_mad_u32_u24 v29, v3, 36, v24
	v_xor_b32_e32 v3, vcc_hi, v2
	v_xor_b32_e32 v2, vcc_lo, v2
	; wave barrier
	ds_read_b32 v21, v29 offset:32
	v_and_b32_e32 v22, v22, v26
	v_and_b32_e32 v2, v4, v2
	;; [unrolled: 1-line block ×3, first 2 shown]
	v_mbcnt_lo_u32_b32 v4, v2, 0
	v_mbcnt_hi_u32_b32 v22, v3, v4
	v_cmp_ne_u64_e32 vcc, 0, v[2:3]
	v_cmp_eq_u32_e64 s[4:5], 0, v22
	s_and_b64 s[8:9], vcc, s[4:5]
	; wave barrier
	s_and_saveexec_b64 s[4:5], s[8:9]
	s_cbranch_execz .LBB1437_89
; %bb.88:
	v_bcnt_u32_b32 v2, v2, 0
	v_bcnt_u32_b32 v2, v3, v2
	s_waitcnt lgkmcnt(0)
	v_add_u32_e32 v2, v21, v2
	ds_write_b32 v29, v2 offset:32
.LBB1437_89:
	s_or_b64 exec, exec, s[4:5]
	v_xor_b32_e32 v37, 0xffff8000, v23
	v_lshrrev_b32_sdwa v2, s40, v37 dst_sel:DWORD dst_unused:UNUSED_PAD src0_sel:DWORD src1_sel:WORD_0
	v_and_b32_e32 v3, s16, v2
	v_and_b32_e32 v2, 1, v3
	v_add_co_u32_e32 v4, vcc, -1, v2
	v_mad_u32_u24 v35, v3, 36, v24
	v_addc_co_u32_e64 v24, s[4:5], 0, -1, vcc
	v_cmp_ne_u32_e32 vcc, 0, v2
	v_xor_b32_e32 v2, vcc_hi, v24
	v_and_b32_e32 v24, exec_hi, v2
	v_lshlrev_b32_e32 v2, 30, v3
	v_xor_b32_e32 v4, vcc_lo, v4
	v_cmp_gt_i64_e32 vcc, 0, v[1:2]
	v_not_b32_e32 v2, v2
	v_ashrrev_i32_e32 v2, 31, v2
	v_and_b32_e32 v4, exec_lo, v4
	v_xor_b32_e32 v26, vcc_hi, v2
	v_xor_b32_e32 v2, vcc_lo, v2
	v_and_b32_e32 v4, v4, v2
	v_lshlrev_b32_e32 v2, 29, v3
	v_cmp_gt_i64_e32 vcc, 0, v[1:2]
	v_not_b32_e32 v2, v2
	v_ashrrev_i32_e32 v2, 31, v2
	v_and_b32_e32 v24, v24, v26
	v_xor_b32_e32 v26, vcc_hi, v2
	v_xor_b32_e32 v2, vcc_lo, v2
	v_and_b32_e32 v4, v4, v2
	v_lshlrev_b32_e32 v2, 28, v3
	v_cmp_gt_i64_e32 vcc, 0, v[1:2]
	v_not_b32_e32 v2, v2
	v_ashrrev_i32_e32 v2, 31, v2
	v_and_b32_e32 v24, v24, v26
	;; [unrolled: 8-line block ×5, first 2 shown]
	v_xor_b32_e32 v26, vcc_hi, v2
	v_xor_b32_e32 v2, vcc_lo, v2
	v_and_b32_e32 v4, v4, v2
	v_lshlrev_b32_e32 v2, 24, v3
	v_cmp_gt_i64_e32 vcc, 0, v[1:2]
	v_not_b32_e32 v1, v2
	v_ashrrev_i32_e32 v1, 31, v1
	v_xor_b32_e32 v2, vcc_hi, v1
	v_xor_b32_e32 v1, vcc_lo, v1
	; wave barrier
	ds_read_b32 v23, v35 offset:32
	v_and_b32_e32 v24, v24, v26
	v_and_b32_e32 v1, v4, v1
	;; [unrolled: 1-line block ×3, first 2 shown]
	v_mbcnt_lo_u32_b32 v3, v1, 0
	v_mbcnt_hi_u32_b32 v26, v2, v3
	v_cmp_ne_u64_e32 vcc, 0, v[1:2]
	v_cmp_eq_u32_e64 s[4:5], 0, v26
	s_and_b64 s[8:9], vcc, s[4:5]
	; wave barrier
	s_and_saveexec_b64 s[4:5], s[8:9]
	s_cbranch_execz .LBB1437_91
; %bb.90:
	v_bcnt_u32_b32 v1, v1, 0
	v_bcnt_u32_b32 v1, v2, v1
	s_waitcnt lgkmcnt(0)
	v_add_u32_e32 v1, v23, v1
	ds_write_b32 v35, v1 offset:32
.LBB1437_91:
	s_or_b64 exec, exec, s[4:5]
	; wave barrier
	s_waitcnt lgkmcnt(0)
	s_barrier
	ds_read2_b32 v[3:4], v12 offset0:8 offset1:9
	ds_read2_b32 v[1:2], v12 offset0:10 offset1:11
	ds_read_b32 v24, v12 offset:48
	v_min_u32_e32 v9, 0x1c0, v9
	v_or_b32_e32 v9, 63, v9
	s_waitcnt lgkmcnt(1)
	v_add3_u32 v31, v4, v3, v1
	s_waitcnt lgkmcnt(0)
	v_add3_u32 v24, v31, v2, v24
	v_and_b32_e32 v31, 15, v6
	v_cmp_ne_u32_e32 vcc, 0, v31
	v_mov_b32_dpp v32, v24 row_shr:1 row_mask:0xf bank_mask:0xf
	v_cndmask_b32_e32 v32, 0, v32, vcc
	v_add_u32_e32 v24, v32, v24
	v_cmp_lt_u32_e32 vcc, 1, v31
	s_nop 0
	v_mov_b32_dpp v32, v24 row_shr:2 row_mask:0xf bank_mask:0xf
	v_cndmask_b32_e32 v32, 0, v32, vcc
	v_add_u32_e32 v24, v24, v32
	v_cmp_lt_u32_e32 vcc, 3, v31
	s_nop 0
	;; [unrolled: 5-line block ×3, first 2 shown]
	v_mov_b32_dpp v32, v24 row_shr:8 row_mask:0xf bank_mask:0xf
	v_cndmask_b32_e32 v31, 0, v32, vcc
	v_add_u32_e32 v24, v24, v31
	v_bfe_i32 v32, v6, 4, 1
	v_cmp_lt_u32_e32 vcc, 31, v6
	v_mov_b32_dpp v31, v24 row_bcast:15 row_mask:0xf bank_mask:0xf
	v_and_b32_e32 v31, v32, v31
	v_add_u32_e32 v24, v24, v31
	v_lshrrev_b32_e32 v32, 6, v0
	s_nop 0
	v_mov_b32_dpp v31, v24 row_bcast:31 row_mask:0xf bank_mask:0xf
	v_cndmask_b32_e32 v31, 0, v31, vcc
	v_add_u32_e32 v31, v24, v31
	v_cmp_eq_u32_e32 vcc, v0, v9
	s_and_saveexec_b64 s[4:5], vcc
; %bb.92:
	v_lshlrev_b32_e32 v9, 2, v32
	ds_write_b32 v9, v31
; %bb.93:
	s_or_b64 exec, exec, s[4:5]
	v_cmp_gt_u32_e32 vcc, 8, v0
	v_lshlrev_b32_e32 v24, 2, v0
	s_waitcnt lgkmcnt(0)
	s_barrier
	s_and_saveexec_b64 s[4:5], vcc
	s_cbranch_execz .LBB1437_95
; %bb.94:
	ds_read_b32 v9, v24
	v_and_b32_e32 v33, 7, v6
	v_cmp_ne_u32_e32 vcc, 0, v33
	s_waitcnt lgkmcnt(0)
	v_mov_b32_dpp v34, v9 row_shr:1 row_mask:0xf bank_mask:0xf
	v_cndmask_b32_e32 v34, 0, v34, vcc
	v_add_u32_e32 v9, v34, v9
	v_cmp_lt_u32_e32 vcc, 1, v33
	s_nop 0
	v_mov_b32_dpp v34, v9 row_shr:2 row_mask:0xf bank_mask:0xf
	v_cndmask_b32_e32 v34, 0, v34, vcc
	v_add_u32_e32 v9, v9, v34
	v_cmp_lt_u32_e32 vcc, 3, v33
	s_nop 0
	v_mov_b32_dpp v34, v9 row_shr:4 row_mask:0xf bank_mask:0xf
	v_cndmask_b32_e32 v33, 0, v34, vcc
	v_add_u32_e32 v9, v9, v33
	ds_write_b32 v24, v9
.LBB1437_95:
	s_or_b64 exec, exec, s[4:5]
	v_cmp_lt_u32_e32 vcc, 63, v0
	v_mov_b32_e32 v9, 0
	s_waitcnt lgkmcnt(0)
	s_barrier
	s_and_saveexec_b64 s[4:5], vcc
; %bb.96:
	v_lshl_add_u32 v9, v32, 2, -4
	ds_read_b32 v9, v9
; %bb.97:
	s_or_b64 exec, exec, s[4:5]
	v_subrev_co_u32_e32 v32, vcc, 1, v6
	v_and_b32_e32 v33, 64, v6
	v_cmp_lt_i32_e64 s[4:5], v32, v33
	v_cndmask_b32_e64 v6, v32, v6, s[4:5]
	s_waitcnt lgkmcnt(0)
	v_add_u32_e32 v31, v9, v31
	v_lshlrev_b32_e32 v6, 2, v6
	ds_bpermute_b32 v6, v6, v31
	s_movk_i32 s4, 0xff
	s_movk_i32 s8, 0x100
	s_waitcnt lgkmcnt(0)
	v_cndmask_b32_e32 v6, v6, v9, vcc
	v_cmp_ne_u32_e32 vcc, 0, v0
	v_cndmask_b32_e32 v6, 0, v6, vcc
	v_add_u32_e32 v3, v6, v3
	v_add_u32_e32 v4, v3, v4
	;; [unrolled: 1-line block ×4, first 2 shown]
	ds_write2_b32 v12, v6, v3 offset0:8 offset1:9
	ds_write2_b32 v12, v4, v1 offset0:10 offset1:11
	ds_write_b32 v12, v2 offset:48
	s_waitcnt lgkmcnt(0)
	s_barrier
	ds_read_b32 v1, v13 offset:32
	ds_read_b32 v31, v14 offset:32
	;; [unrolled: 1-line block ×6, first 2 shown]
	v_cmp_lt_u32_e32 vcc, s4, v0
	v_cmp_gt_u32_e64 s[4:5], s8, v0
                                        ; implicit-def: $vgpr27
                                        ; implicit-def: $vgpr28
	s_and_saveexec_b64 s[10:11], s[4:5]
	s_cbranch_execz .LBB1437_101
; %bb.98:
	v_mul_u32_u24_e32 v2, 36, v0
	ds_read_b32 v27, v2 offset:32
	v_add_u32_e32 v3, 1, v0
	v_cmp_ne_u32_e64 s[8:9], s8, v3
	v_mov_b32_e32 v2, 0xc00
	s_and_saveexec_b64 s[12:13], s[8:9]
; %bb.99:
	v_mul_u32_u24_e32 v2, 36, v3
	ds_read_b32 v2, v2 offset:32
; %bb.100:
	s_or_b64 exec, exec, s[12:13]
	s_waitcnt lgkmcnt(0)
	v_sub_u32_e32 v28, v2, v27
.LBB1437_101:
	s_or_b64 exec, exec, s[10:11]
	s_waitcnt lgkmcnt(5)
	v_add_u32_e32 v29, v1, v11
	v_add_u32_e32 v9, v16, v15
	v_lshlrev_b32_e32 v1, 1, v29
	v_add_u32_e32 v6, v18, v17
	s_waitcnt lgkmcnt(0)
	s_barrier
	ds_write_b16 v1, v10 offset:1024
	v_add_lshl_u32 v1, v9, v31, 1
	v_add_u32_e32 v4, v20, v19
	ds_write_b16 v1, v5 offset:1024
	v_add_lshl_u32 v1, v6, v32, 1
	v_add_u32_e32 v3, v22, v21
	;; [unrolled: 3-line block ×3, first 2 shown]
	ds_write_b16 v1, v30 offset:1024
	v_add_lshl_u32 v1, v3, v34, 1
	ds_write_b16 v1, v36 offset:1024
	v_add_lshl_u32 v1, v2, v35, 1
	v_mov_b32_e32 v2, 0
	ds_write_b16 v1, v37 offset:1024
	s_and_saveexec_b64 s[8:9], s[4:5]
	s_cbranch_execz .LBB1437_111
; %bb.102:
	v_lshl_add_u32 v1, s6, 8, v0
	v_lshlrev_b64 v[3:4], 2, v[1:2]
	v_mov_b32_e32 v9, s45
	v_add_co_u32_e64 v3, s[4:5], s44, v3
	v_addc_co_u32_e64 v4, s[4:5], v9, v4, s[4:5]
	v_or_b32_e32 v1, 2.0, v28
	s_mov_b64 s[10:11], 0
	s_brev_b32 s17, -4
	s_mov_b32 s18, s6
	v_mov_b32_e32 v10, 0
	global_store_dword v[3:4], v1, off
                                        ; implicit-def: $sgpr4_sgpr5
	s_branch .LBB1437_105
.LBB1437_103:                           ;   in Loop: Header=BB1437_105 Depth=1
	s_or_b64 exec, exec, s[14:15]
.LBB1437_104:                           ;   in Loop: Header=BB1437_105 Depth=1
	s_or_b64 exec, exec, s[12:13]
	v_and_b32_e32 v5, 0x3fffffff, v1
	v_add_u32_e32 v10, v5, v10
	v_cmp_gt_i32_e64 s[4:5], -2.0, v1
	s_and_b64 s[12:13], exec, s[4:5]
	s_or_b64 s[10:11], s[12:13], s[10:11]
	s_andn2_b64 exec, exec, s[10:11]
	s_cbranch_execz .LBB1437_110
.LBB1437_105:                           ; =>This Loop Header: Depth=1
                                        ;     Child Loop BB1437_108 Depth 2
	s_or_b64 s[4:5], s[4:5], exec
	s_cmp_eq_u32 s18, 0
	s_cbranch_scc1 .LBB1437_109
; %bb.106:                              ;   in Loop: Header=BB1437_105 Depth=1
	s_add_i32 s18, s18, -1
	v_lshl_or_b32 v1, s18, 8, v0
	v_lshlrev_b64 v[5:6], 2, v[1:2]
	v_add_co_u32_e64 v5, s[4:5], s44, v5
	v_addc_co_u32_e64 v6, s[4:5], v9, v6, s[4:5]
	global_load_dword v1, v[5:6], off glc
	s_waitcnt vmcnt(0)
	v_cmp_gt_u32_e64 s[4:5], 2.0, v1
	s_and_saveexec_b64 s[12:13], s[4:5]
	s_cbranch_execz .LBB1437_104
; %bb.107:                              ;   in Loop: Header=BB1437_105 Depth=1
	s_mov_b64 s[14:15], 0
.LBB1437_108:                           ;   Parent Loop BB1437_105 Depth=1
                                        ; =>  This Inner Loop Header: Depth=2
	global_load_dword v1, v[5:6], off glc
	s_waitcnt vmcnt(0)
	v_cmp_lt_u32_e64 s[4:5], s17, v1
	s_or_b64 s[14:15], s[4:5], s[14:15]
	s_andn2_b64 exec, exec, s[14:15]
	s_cbranch_execnz .LBB1437_108
	s_branch .LBB1437_103
.LBB1437_109:                           ;   in Loop: Header=BB1437_105 Depth=1
                                        ; implicit-def: $sgpr18
	s_and_b64 s[12:13], exec, s[4:5]
	s_or_b64 s[10:11], s[12:13], s[10:11]
	s_andn2_b64 exec, exec, s[10:11]
	s_cbranch_execnz .LBB1437_105
.LBB1437_110:
	s_or_b64 exec, exec, s[10:11]
	v_add_u32_e32 v1, v10, v28
	v_or_b32_e32 v1, 0x80000000, v1
	global_store_dword v[3:4], v1, off
	global_load_dword v1, v24, s[36:37]
	v_sub_u32_e32 v2, v10, v27
	s_waitcnt vmcnt(0)
	v_add_u32_e32 v1, v2, v1
	ds_write_b32 v24, v1
.LBB1437_111:
	s_or_b64 exec, exec, s[8:9]
	v_lshlrev_b32_e32 v1, 1, v0
	v_sub_u32_e32 v25, v24, v1
	s_waitcnt lgkmcnt(0)
	s_barrier
	ds_read_u16 v5, v25 offset:1024
	ds_read_u16 v6, v25 offset:2048
	;; [unrolled: 1-line block ×6, first 2 shown]
	s_waitcnt lgkmcnt(5)
	v_lshrrev_b32_sdwa v1, s40, v5 dst_sel:DWORD dst_unused:UNUSED_PAD src0_sel:DWORD src1_sel:WORD_0
	v_and_b32_e32 v30, s16, v1
	s_waitcnt lgkmcnt(4)
	v_lshrrev_b32_sdwa v2, s40, v6 dst_sel:DWORD dst_unused:UNUSED_PAD src0_sel:DWORD src1_sel:WORD_0
	s_waitcnt lgkmcnt(1)
	v_lshrrev_b32_sdwa v13, s40, v11 dst_sel:DWORD dst_unused:UNUSED_PAD src0_sel:DWORD src1_sel:WORD_0
	;; [unrolled: 2-line block ×3, first 2 shown]
	v_lshrrev_b32_sdwa v3, s40, v9 dst_sel:DWORD dst_unused:UNUSED_PAD src0_sel:DWORD src1_sel:WORD_0
	v_lshrrev_b32_sdwa v4, s40, v10 dst_sel:DWORD dst_unused:UNUSED_PAD src0_sel:DWORD src1_sel:WORD_0
	v_and_b32_e32 v41, s16, v13
	v_and_b32_e32 v42, s16, v14
	v_lshlrev_b32_e32 v1, 2, v30
	v_and_b32_e32 v38, s16, v2
	v_and_b32_e32 v39, s16, v3
	;; [unrolled: 1-line block ×3, first 2 shown]
	v_lshlrev_b32_e32 v13, 2, v41
	v_lshlrev_b32_e32 v14, 2, v42
	;; [unrolled: 1-line block ×5, first 2 shown]
	ds_read_b32 v1, v1
	ds_read_b32 v36, v2
	;; [unrolled: 1-line block ×6, first 2 shown]
	s_waitcnt lgkmcnt(5)
	v_add_u32_e32 v1, v1, v0
	v_mov_b32_e32 v2, 0
	v_lshlrev_b64 v[3:4], 1, v[1:2]
	v_mov_b32_e32 v44, s27
	v_add_co_u32_e64 v3, s[4:5], s26, v3
	v_addc_co_u32_e64 v4, s[4:5], v44, v4, s[4:5]
	v_xor_b32_e32 v1, 0xffff8000, v5
	s_movk_i32 s8, 0x200
	global_store_short v[3:4], v1, off
	s_waitcnt lgkmcnt(4)
	v_add3_u32 v1, v0, v36, s8
	v_lshlrev_b64 v[3:4], 1, v[1:2]
	v_mov_b32_e32 v5, s27
	v_add_co_u32_e64 v3, s[4:5], s26, v3
	v_addc_co_u32_e64 v4, s[4:5], v5, v4, s[4:5]
	v_xor_b32_e32 v1, 0xffff8000, v6
	s_movk_i32 s4, 0x400
	global_store_short v[3:4], v1, off
	s_waitcnt lgkmcnt(3)
	v_add3_u32 v1, v37, v0, s4
	v_lshlrev_b64 v[3:4], 1, v[1:2]
	v_xor_b32_e32 v1, 0xffff8000, v9
	v_add_co_u32_e64 v3, s[4:5], s26, v3
	v_addc_co_u32_e64 v4, s[4:5], v5, v4, s[4:5]
	s_movk_i32 s4, 0x600
	global_store_short v[3:4], v1, off
	s_waitcnt lgkmcnt(2)
	v_add3_u32 v1, v0, v43, s4
	v_lshlrev_b64 v[3:4], 1, v[1:2]
	v_mov_b32_e32 v1, s27
	v_add_co_u32_e64 v3, s[4:5], s26, v3
	v_addc_co_u32_e64 v4, s[4:5], v1, v4, s[4:5]
	s_movk_i32 s4, 0x800
	v_xor_b32_e32 v5, 0xffff8000, v10
	s_waitcnt lgkmcnt(1)
	v_add3_u32 v1, v13, v0, s4
	global_store_short v[3:4], v5, off
	v_lshlrev_b64 v[3:4], 1, v[1:2]
	v_mov_b32_e32 v1, s27
	v_add_co_u32_e64 v3, s[4:5], s26, v3
	v_addc_co_u32_e64 v4, s[4:5], v1, v4, s[4:5]
	s_movk_i32 s4, 0xa00
	v_xor_b32_e32 v5, 0xffff8000, v11
	s_waitcnt lgkmcnt(0)
	v_add3_u32 v1, v0, v14, s4
	global_store_short v[3:4], v5, off
	v_lshlrev_b64 v[3:4], 1, v[1:2]
	v_mov_b32_e32 v1, s27
	v_add_co_u32_e64 v3, s[4:5], s26, v3
	v_addc_co_u32_e64 v4, s[4:5], v1, v4, s[4:5]
	s_lshl_b64 s[4:5], s[34:35], 3
	s_add_u32 s4, s28, s4
	v_xor_b32_e32 v5, 0xffff8000, v12
	s_addc_u32 s5, s29, s5
	v_lshlrev_b32_e32 v1, 3, v8
	global_store_short v[3:4], v5, off
	v_mov_b32_e32 v3, s5
	v_add_co_u32_e64 v1, s[4:5], s4, v1
	v_addc_co_u32_e64 v3, s[4:5], 0, v3, s[4:5]
	v_lshlrev_b32_e32 v4, 3, v7
	v_add_co_u32_e64 v36, s[4:5], v1, v4
	v_addc_co_u32_e64 v37, s[4:5], 0, v3, s[4:5]
	global_load_dwordx2 v[3:4], v[36:37], off
	global_load_dwordx2 v[5:6], v[36:37], off offset:512
	global_load_dwordx2 v[7:8], v[36:37], off offset:1024
	global_load_dwordx2 v[9:10], v[36:37], off offset:1536
	global_load_dwordx2 v[11:12], v[36:37], off offset:2048
	global_load_dwordx2 v[13:14], v[36:37], off offset:2560
	v_mul_u32_u24_e32 v1, 6, v0
	v_add3_u32 v23, v26, v35, v23
	v_add3_u32 v21, v22, v34, v21
	;; [unrolled: 1-line block ×5, first 2 shown]
	s_mov_b32 s9, 0
	s_mov_b32 s10, 0
	v_add_u32_e32 v16, v25, v1
	v_mov_b32_e32 v18, s31
	buffer_store_dword v30, off, s[0:3], 0
	buffer_store_dword v38, off, s[0:3], 0 offset:4
	buffer_store_dword v39, off, s[0:3], 0 offset:8
	;; [unrolled: 1-line block ×5, first 2 shown]
	s_waitcnt vmcnt(0)
	s_barrier
.LBB1437_112:                           ; =>This Inner Loop Header: Depth=1
	v_add_u32_e32 v1, s10, v29
	v_add_u32_e32 v20, s10, v15
	;; [unrolled: 1-line block ×6, first 2 shown]
	v_min_u32_e32 v1, 0x400, v1
	v_min_u32_e32 v20, 0x400, v20
	v_mov_b32_e32 v31, s9
	v_min_u32_e32 v22, 0x400, v22
	v_min_u32_e32 v25, 0x400, v25
	;; [unrolled: 1-line block ×4, first 2 shown]
	v_lshlrev_b32_e32 v1, 3, v1
	v_lshlrev_b32_e32 v20, 3, v20
	;; [unrolled: 1-line block ×6, first 2 shown]
	ds_write_b64 v1, v[3:4] offset:1024
	ds_write_b64 v20, v[5:6] offset:1024
	;; [unrolled: 1-line block ×6, first 2 shown]
	s_waitcnt lgkmcnt(0)
	s_barrier
	buffer_load_dword v1, v31, s[0:3], 0 offen
	buffer_load_dword v20, v31, s[0:3], 0 offen offset:4
	ds_read2st64_b64 v[30:33], v16 offset0:2 offset1:10
	s_addk_i32 s10, 0xfc00
	s_add_i32 s9, s9, 8
	s_cmpk_lg_i32 s10, 0xf400
	s_waitcnt vmcnt(1)
	v_lshlrev_b32_e32 v1, 2, v1
	s_waitcnt vmcnt(0)
	v_lshlrev_b32_e32 v20, 2, v20
	ds_read_b32 v1, v1
	ds_read_b32 v20, v20
	s_waitcnt lgkmcnt(1)
	v_add_u32_e32 v1, v0, v1
	v_lshlrev_b64 v[25:26], 3, v[1:2]
	s_waitcnt lgkmcnt(0)
	v_add3_u32 v1, v0, v20, s8
	v_lshlrev_b64 v[34:35], 3, v[1:2]
	v_add_co_u32_e64 v25, s[4:5], s30, v25
	v_addc_co_u32_e64 v26, s[4:5], v18, v26, s[4:5]
	global_store_dwordx2 v[25:26], v[30:31], off
	v_add_co_u32_e64 v25, s[4:5], s30, v34
	v_add_u32_e32 v0, 0x400, v0
	v_addc_co_u32_e64 v26, s[4:5], v18, v35, s[4:5]
	global_store_dwordx2 v[25:26], v[32:33], off
	s_waitcnt vmcnt(0)
	s_barrier
	s_cbranch_scc1 .LBB1437_112
; %bb.113:
	s_add_i32 s7, s7, -1
	s_cmp_eq_u32 s6, s7
	s_cselect_b64 s[4:5], -1, 0
	s_xor_b64 s[6:7], vcc, -1
	s_and_b64 s[4:5], s[6:7], s[4:5]
	s_and_saveexec_b64 s[6:7], s[4:5]
	s_cbranch_execz .LBB1437_115
; %bb.114:
	ds_read_b32 v0, v24
	s_waitcnt lgkmcnt(0)
	v_add3_u32 v0, v27, v28, v0
	global_store_dword v24, v0, s[38:39]
.LBB1437_115:
	s_endpgm
	.section	.rodata,"a",@progbits
	.p2align	6, 0x0
	.amdhsa_kernel _ZN7rocprim17ROCPRIM_400000_NS6detail17trampoline_kernelINS0_14default_configENS1_35radix_sort_onesweep_config_selectorIslEEZZNS1_29radix_sort_onesweep_iterationIS3_Lb0EPsS7_N6thrust23THRUST_200600_302600_NS10device_ptrIlEESB_jNS0_19identity_decomposerENS1_16block_id_wrapperIjLb0EEEEE10hipError_tT1_PNSt15iterator_traitsISG_E10value_typeET2_T3_PNSH_ISM_E10value_typeET4_T5_PSR_SS_PNS1_23onesweep_lookback_stateEbbT6_jjT7_P12ihipStream_tbENKUlT_T0_SG_SL_E_clIS7_S7_SB_PlEEDaSZ_S10_SG_SL_EUlSZ_E_NS1_11comp_targetILNS1_3genE2ELNS1_11target_archE906ELNS1_3gpuE6ELNS1_3repE0EEENS1_47radix_sort_onesweep_sort_config_static_selectorELNS0_4arch9wavefront6targetE1EEEvSG_
		.amdhsa_group_segment_fixed_size 10280
		.amdhsa_private_segment_fixed_size 32
		.amdhsa_kernarg_size 344
		.amdhsa_user_sgpr_count 6
		.amdhsa_user_sgpr_private_segment_buffer 1
		.amdhsa_user_sgpr_dispatch_ptr 0
		.amdhsa_user_sgpr_queue_ptr 0
		.amdhsa_user_sgpr_kernarg_segment_ptr 1
		.amdhsa_user_sgpr_dispatch_id 0
		.amdhsa_user_sgpr_flat_scratch_init 0
		.amdhsa_user_sgpr_private_segment_size 0
		.amdhsa_uses_dynamic_stack 0
		.amdhsa_system_sgpr_private_segment_wavefront_offset 1
		.amdhsa_system_sgpr_workgroup_id_x 1
		.amdhsa_system_sgpr_workgroup_id_y 0
		.amdhsa_system_sgpr_workgroup_id_z 0
		.amdhsa_system_sgpr_workgroup_info 0
		.amdhsa_system_vgpr_workitem_id 2
		.amdhsa_next_free_vgpr 45
		.amdhsa_next_free_sgpr 53
		.amdhsa_reserve_vcc 1
		.amdhsa_reserve_flat_scratch 0
		.amdhsa_float_round_mode_32 0
		.amdhsa_float_round_mode_16_64 0
		.amdhsa_float_denorm_mode_32 3
		.amdhsa_float_denorm_mode_16_64 3
		.amdhsa_dx10_clamp 1
		.amdhsa_ieee_mode 1
		.amdhsa_fp16_overflow 0
		.amdhsa_exception_fp_ieee_invalid_op 0
		.amdhsa_exception_fp_denorm_src 0
		.amdhsa_exception_fp_ieee_div_zero 0
		.amdhsa_exception_fp_ieee_overflow 0
		.amdhsa_exception_fp_ieee_underflow 0
		.amdhsa_exception_fp_ieee_inexact 0
		.amdhsa_exception_int_div_zero 0
	.end_amdhsa_kernel
	.section	.text._ZN7rocprim17ROCPRIM_400000_NS6detail17trampoline_kernelINS0_14default_configENS1_35radix_sort_onesweep_config_selectorIslEEZZNS1_29radix_sort_onesweep_iterationIS3_Lb0EPsS7_N6thrust23THRUST_200600_302600_NS10device_ptrIlEESB_jNS0_19identity_decomposerENS1_16block_id_wrapperIjLb0EEEEE10hipError_tT1_PNSt15iterator_traitsISG_E10value_typeET2_T3_PNSH_ISM_E10value_typeET4_T5_PSR_SS_PNS1_23onesweep_lookback_stateEbbT6_jjT7_P12ihipStream_tbENKUlT_T0_SG_SL_E_clIS7_S7_SB_PlEEDaSZ_S10_SG_SL_EUlSZ_E_NS1_11comp_targetILNS1_3genE2ELNS1_11target_archE906ELNS1_3gpuE6ELNS1_3repE0EEENS1_47radix_sort_onesweep_sort_config_static_selectorELNS0_4arch9wavefront6targetE1EEEvSG_,"axG",@progbits,_ZN7rocprim17ROCPRIM_400000_NS6detail17trampoline_kernelINS0_14default_configENS1_35radix_sort_onesweep_config_selectorIslEEZZNS1_29radix_sort_onesweep_iterationIS3_Lb0EPsS7_N6thrust23THRUST_200600_302600_NS10device_ptrIlEESB_jNS0_19identity_decomposerENS1_16block_id_wrapperIjLb0EEEEE10hipError_tT1_PNSt15iterator_traitsISG_E10value_typeET2_T3_PNSH_ISM_E10value_typeET4_T5_PSR_SS_PNS1_23onesweep_lookback_stateEbbT6_jjT7_P12ihipStream_tbENKUlT_T0_SG_SL_E_clIS7_S7_SB_PlEEDaSZ_S10_SG_SL_EUlSZ_E_NS1_11comp_targetILNS1_3genE2ELNS1_11target_archE906ELNS1_3gpuE6ELNS1_3repE0EEENS1_47radix_sort_onesweep_sort_config_static_selectorELNS0_4arch9wavefront6targetE1EEEvSG_,comdat
.Lfunc_end1437:
	.size	_ZN7rocprim17ROCPRIM_400000_NS6detail17trampoline_kernelINS0_14default_configENS1_35radix_sort_onesweep_config_selectorIslEEZZNS1_29radix_sort_onesweep_iterationIS3_Lb0EPsS7_N6thrust23THRUST_200600_302600_NS10device_ptrIlEESB_jNS0_19identity_decomposerENS1_16block_id_wrapperIjLb0EEEEE10hipError_tT1_PNSt15iterator_traitsISG_E10value_typeET2_T3_PNSH_ISM_E10value_typeET4_T5_PSR_SS_PNS1_23onesweep_lookback_stateEbbT6_jjT7_P12ihipStream_tbENKUlT_T0_SG_SL_E_clIS7_S7_SB_PlEEDaSZ_S10_SG_SL_EUlSZ_E_NS1_11comp_targetILNS1_3genE2ELNS1_11target_archE906ELNS1_3gpuE6ELNS1_3repE0EEENS1_47radix_sort_onesweep_sort_config_static_selectorELNS0_4arch9wavefront6targetE1EEEvSG_, .Lfunc_end1437-_ZN7rocprim17ROCPRIM_400000_NS6detail17trampoline_kernelINS0_14default_configENS1_35radix_sort_onesweep_config_selectorIslEEZZNS1_29radix_sort_onesweep_iterationIS3_Lb0EPsS7_N6thrust23THRUST_200600_302600_NS10device_ptrIlEESB_jNS0_19identity_decomposerENS1_16block_id_wrapperIjLb0EEEEE10hipError_tT1_PNSt15iterator_traitsISG_E10value_typeET2_T3_PNSH_ISM_E10value_typeET4_T5_PSR_SS_PNS1_23onesweep_lookback_stateEbbT6_jjT7_P12ihipStream_tbENKUlT_T0_SG_SL_E_clIS7_S7_SB_PlEEDaSZ_S10_SG_SL_EUlSZ_E_NS1_11comp_targetILNS1_3genE2ELNS1_11target_archE906ELNS1_3gpuE6ELNS1_3repE0EEENS1_47radix_sort_onesweep_sort_config_static_selectorELNS0_4arch9wavefront6targetE1EEEvSG_
                                        ; -- End function
	.set _ZN7rocprim17ROCPRIM_400000_NS6detail17trampoline_kernelINS0_14default_configENS1_35radix_sort_onesweep_config_selectorIslEEZZNS1_29radix_sort_onesweep_iterationIS3_Lb0EPsS7_N6thrust23THRUST_200600_302600_NS10device_ptrIlEESB_jNS0_19identity_decomposerENS1_16block_id_wrapperIjLb0EEEEE10hipError_tT1_PNSt15iterator_traitsISG_E10value_typeET2_T3_PNSH_ISM_E10value_typeET4_T5_PSR_SS_PNS1_23onesweep_lookback_stateEbbT6_jjT7_P12ihipStream_tbENKUlT_T0_SG_SL_E_clIS7_S7_SB_PlEEDaSZ_S10_SG_SL_EUlSZ_E_NS1_11comp_targetILNS1_3genE2ELNS1_11target_archE906ELNS1_3gpuE6ELNS1_3repE0EEENS1_47radix_sort_onesweep_sort_config_static_selectorELNS0_4arch9wavefront6targetE1EEEvSG_.num_vgpr, 45
	.set _ZN7rocprim17ROCPRIM_400000_NS6detail17trampoline_kernelINS0_14default_configENS1_35radix_sort_onesweep_config_selectorIslEEZZNS1_29radix_sort_onesweep_iterationIS3_Lb0EPsS7_N6thrust23THRUST_200600_302600_NS10device_ptrIlEESB_jNS0_19identity_decomposerENS1_16block_id_wrapperIjLb0EEEEE10hipError_tT1_PNSt15iterator_traitsISG_E10value_typeET2_T3_PNSH_ISM_E10value_typeET4_T5_PSR_SS_PNS1_23onesweep_lookback_stateEbbT6_jjT7_P12ihipStream_tbENKUlT_T0_SG_SL_E_clIS7_S7_SB_PlEEDaSZ_S10_SG_SL_EUlSZ_E_NS1_11comp_targetILNS1_3genE2ELNS1_11target_archE906ELNS1_3gpuE6ELNS1_3repE0EEENS1_47radix_sort_onesweep_sort_config_static_selectorELNS0_4arch9wavefront6targetE1EEEvSG_.num_agpr, 0
	.set _ZN7rocprim17ROCPRIM_400000_NS6detail17trampoline_kernelINS0_14default_configENS1_35radix_sort_onesweep_config_selectorIslEEZZNS1_29radix_sort_onesweep_iterationIS3_Lb0EPsS7_N6thrust23THRUST_200600_302600_NS10device_ptrIlEESB_jNS0_19identity_decomposerENS1_16block_id_wrapperIjLb0EEEEE10hipError_tT1_PNSt15iterator_traitsISG_E10value_typeET2_T3_PNSH_ISM_E10value_typeET4_T5_PSR_SS_PNS1_23onesweep_lookback_stateEbbT6_jjT7_P12ihipStream_tbENKUlT_T0_SG_SL_E_clIS7_S7_SB_PlEEDaSZ_S10_SG_SL_EUlSZ_E_NS1_11comp_targetILNS1_3genE2ELNS1_11target_archE906ELNS1_3gpuE6ELNS1_3repE0EEENS1_47radix_sort_onesweep_sort_config_static_selectorELNS0_4arch9wavefront6targetE1EEEvSG_.numbered_sgpr, 53
	.set _ZN7rocprim17ROCPRIM_400000_NS6detail17trampoline_kernelINS0_14default_configENS1_35radix_sort_onesweep_config_selectorIslEEZZNS1_29radix_sort_onesweep_iterationIS3_Lb0EPsS7_N6thrust23THRUST_200600_302600_NS10device_ptrIlEESB_jNS0_19identity_decomposerENS1_16block_id_wrapperIjLb0EEEEE10hipError_tT1_PNSt15iterator_traitsISG_E10value_typeET2_T3_PNSH_ISM_E10value_typeET4_T5_PSR_SS_PNS1_23onesweep_lookback_stateEbbT6_jjT7_P12ihipStream_tbENKUlT_T0_SG_SL_E_clIS7_S7_SB_PlEEDaSZ_S10_SG_SL_EUlSZ_E_NS1_11comp_targetILNS1_3genE2ELNS1_11target_archE906ELNS1_3gpuE6ELNS1_3repE0EEENS1_47radix_sort_onesweep_sort_config_static_selectorELNS0_4arch9wavefront6targetE1EEEvSG_.num_named_barrier, 0
	.set _ZN7rocprim17ROCPRIM_400000_NS6detail17trampoline_kernelINS0_14default_configENS1_35radix_sort_onesweep_config_selectorIslEEZZNS1_29radix_sort_onesweep_iterationIS3_Lb0EPsS7_N6thrust23THRUST_200600_302600_NS10device_ptrIlEESB_jNS0_19identity_decomposerENS1_16block_id_wrapperIjLb0EEEEE10hipError_tT1_PNSt15iterator_traitsISG_E10value_typeET2_T3_PNSH_ISM_E10value_typeET4_T5_PSR_SS_PNS1_23onesweep_lookback_stateEbbT6_jjT7_P12ihipStream_tbENKUlT_T0_SG_SL_E_clIS7_S7_SB_PlEEDaSZ_S10_SG_SL_EUlSZ_E_NS1_11comp_targetILNS1_3genE2ELNS1_11target_archE906ELNS1_3gpuE6ELNS1_3repE0EEENS1_47radix_sort_onesweep_sort_config_static_selectorELNS0_4arch9wavefront6targetE1EEEvSG_.private_seg_size, 32
	.set _ZN7rocprim17ROCPRIM_400000_NS6detail17trampoline_kernelINS0_14default_configENS1_35radix_sort_onesweep_config_selectorIslEEZZNS1_29radix_sort_onesweep_iterationIS3_Lb0EPsS7_N6thrust23THRUST_200600_302600_NS10device_ptrIlEESB_jNS0_19identity_decomposerENS1_16block_id_wrapperIjLb0EEEEE10hipError_tT1_PNSt15iterator_traitsISG_E10value_typeET2_T3_PNSH_ISM_E10value_typeET4_T5_PSR_SS_PNS1_23onesweep_lookback_stateEbbT6_jjT7_P12ihipStream_tbENKUlT_T0_SG_SL_E_clIS7_S7_SB_PlEEDaSZ_S10_SG_SL_EUlSZ_E_NS1_11comp_targetILNS1_3genE2ELNS1_11target_archE906ELNS1_3gpuE6ELNS1_3repE0EEENS1_47radix_sort_onesweep_sort_config_static_selectorELNS0_4arch9wavefront6targetE1EEEvSG_.uses_vcc, 1
	.set _ZN7rocprim17ROCPRIM_400000_NS6detail17trampoline_kernelINS0_14default_configENS1_35radix_sort_onesweep_config_selectorIslEEZZNS1_29radix_sort_onesweep_iterationIS3_Lb0EPsS7_N6thrust23THRUST_200600_302600_NS10device_ptrIlEESB_jNS0_19identity_decomposerENS1_16block_id_wrapperIjLb0EEEEE10hipError_tT1_PNSt15iterator_traitsISG_E10value_typeET2_T3_PNSH_ISM_E10value_typeET4_T5_PSR_SS_PNS1_23onesweep_lookback_stateEbbT6_jjT7_P12ihipStream_tbENKUlT_T0_SG_SL_E_clIS7_S7_SB_PlEEDaSZ_S10_SG_SL_EUlSZ_E_NS1_11comp_targetILNS1_3genE2ELNS1_11target_archE906ELNS1_3gpuE6ELNS1_3repE0EEENS1_47radix_sort_onesweep_sort_config_static_selectorELNS0_4arch9wavefront6targetE1EEEvSG_.uses_flat_scratch, 0
	.set _ZN7rocprim17ROCPRIM_400000_NS6detail17trampoline_kernelINS0_14default_configENS1_35radix_sort_onesweep_config_selectorIslEEZZNS1_29radix_sort_onesweep_iterationIS3_Lb0EPsS7_N6thrust23THRUST_200600_302600_NS10device_ptrIlEESB_jNS0_19identity_decomposerENS1_16block_id_wrapperIjLb0EEEEE10hipError_tT1_PNSt15iterator_traitsISG_E10value_typeET2_T3_PNSH_ISM_E10value_typeET4_T5_PSR_SS_PNS1_23onesweep_lookback_stateEbbT6_jjT7_P12ihipStream_tbENKUlT_T0_SG_SL_E_clIS7_S7_SB_PlEEDaSZ_S10_SG_SL_EUlSZ_E_NS1_11comp_targetILNS1_3genE2ELNS1_11target_archE906ELNS1_3gpuE6ELNS1_3repE0EEENS1_47radix_sort_onesweep_sort_config_static_selectorELNS0_4arch9wavefront6targetE1EEEvSG_.has_dyn_sized_stack, 0
	.set _ZN7rocprim17ROCPRIM_400000_NS6detail17trampoline_kernelINS0_14default_configENS1_35radix_sort_onesweep_config_selectorIslEEZZNS1_29radix_sort_onesweep_iterationIS3_Lb0EPsS7_N6thrust23THRUST_200600_302600_NS10device_ptrIlEESB_jNS0_19identity_decomposerENS1_16block_id_wrapperIjLb0EEEEE10hipError_tT1_PNSt15iterator_traitsISG_E10value_typeET2_T3_PNSH_ISM_E10value_typeET4_T5_PSR_SS_PNS1_23onesweep_lookback_stateEbbT6_jjT7_P12ihipStream_tbENKUlT_T0_SG_SL_E_clIS7_S7_SB_PlEEDaSZ_S10_SG_SL_EUlSZ_E_NS1_11comp_targetILNS1_3genE2ELNS1_11target_archE906ELNS1_3gpuE6ELNS1_3repE0EEENS1_47radix_sort_onesweep_sort_config_static_selectorELNS0_4arch9wavefront6targetE1EEEvSG_.has_recursion, 0
	.set _ZN7rocprim17ROCPRIM_400000_NS6detail17trampoline_kernelINS0_14default_configENS1_35radix_sort_onesweep_config_selectorIslEEZZNS1_29radix_sort_onesweep_iterationIS3_Lb0EPsS7_N6thrust23THRUST_200600_302600_NS10device_ptrIlEESB_jNS0_19identity_decomposerENS1_16block_id_wrapperIjLb0EEEEE10hipError_tT1_PNSt15iterator_traitsISG_E10value_typeET2_T3_PNSH_ISM_E10value_typeET4_T5_PSR_SS_PNS1_23onesweep_lookback_stateEbbT6_jjT7_P12ihipStream_tbENKUlT_T0_SG_SL_E_clIS7_S7_SB_PlEEDaSZ_S10_SG_SL_EUlSZ_E_NS1_11comp_targetILNS1_3genE2ELNS1_11target_archE906ELNS1_3gpuE6ELNS1_3repE0EEENS1_47radix_sort_onesweep_sort_config_static_selectorELNS0_4arch9wavefront6targetE1EEEvSG_.has_indirect_call, 0
	.section	.AMDGPU.csdata,"",@progbits
; Kernel info:
; codeLenInByte = 10716
; TotalNumSgprs: 57
; NumVgprs: 45
; ScratchSize: 32
; MemoryBound: 0
; FloatMode: 240
; IeeeMode: 1
; LDSByteSize: 10280 bytes/workgroup (compile time only)
; SGPRBlocks: 7
; VGPRBlocks: 11
; NumSGPRsForWavesPerEU: 57
; NumVGPRsForWavesPerEU: 45
; Occupancy: 5
; WaveLimiterHint : 1
; COMPUTE_PGM_RSRC2:SCRATCH_EN: 1
; COMPUTE_PGM_RSRC2:USER_SGPR: 6
; COMPUTE_PGM_RSRC2:TRAP_HANDLER: 0
; COMPUTE_PGM_RSRC2:TGID_X_EN: 1
; COMPUTE_PGM_RSRC2:TGID_Y_EN: 0
; COMPUTE_PGM_RSRC2:TGID_Z_EN: 0
; COMPUTE_PGM_RSRC2:TIDIG_COMP_CNT: 2
	.section	.text._ZN7rocprim17ROCPRIM_400000_NS6detail17trampoline_kernelINS0_14default_configENS1_35radix_sort_onesweep_config_selectorIslEEZZNS1_29radix_sort_onesweep_iterationIS3_Lb0EPsS7_N6thrust23THRUST_200600_302600_NS10device_ptrIlEESB_jNS0_19identity_decomposerENS1_16block_id_wrapperIjLb0EEEEE10hipError_tT1_PNSt15iterator_traitsISG_E10value_typeET2_T3_PNSH_ISM_E10value_typeET4_T5_PSR_SS_PNS1_23onesweep_lookback_stateEbbT6_jjT7_P12ihipStream_tbENKUlT_T0_SG_SL_E_clIS7_S7_SB_PlEEDaSZ_S10_SG_SL_EUlSZ_E_NS1_11comp_targetILNS1_3genE4ELNS1_11target_archE910ELNS1_3gpuE8ELNS1_3repE0EEENS1_47radix_sort_onesweep_sort_config_static_selectorELNS0_4arch9wavefront6targetE1EEEvSG_,"axG",@progbits,_ZN7rocprim17ROCPRIM_400000_NS6detail17trampoline_kernelINS0_14default_configENS1_35radix_sort_onesweep_config_selectorIslEEZZNS1_29radix_sort_onesweep_iterationIS3_Lb0EPsS7_N6thrust23THRUST_200600_302600_NS10device_ptrIlEESB_jNS0_19identity_decomposerENS1_16block_id_wrapperIjLb0EEEEE10hipError_tT1_PNSt15iterator_traitsISG_E10value_typeET2_T3_PNSH_ISM_E10value_typeET4_T5_PSR_SS_PNS1_23onesweep_lookback_stateEbbT6_jjT7_P12ihipStream_tbENKUlT_T0_SG_SL_E_clIS7_S7_SB_PlEEDaSZ_S10_SG_SL_EUlSZ_E_NS1_11comp_targetILNS1_3genE4ELNS1_11target_archE910ELNS1_3gpuE8ELNS1_3repE0EEENS1_47radix_sort_onesweep_sort_config_static_selectorELNS0_4arch9wavefront6targetE1EEEvSG_,comdat
	.protected	_ZN7rocprim17ROCPRIM_400000_NS6detail17trampoline_kernelINS0_14default_configENS1_35radix_sort_onesweep_config_selectorIslEEZZNS1_29radix_sort_onesweep_iterationIS3_Lb0EPsS7_N6thrust23THRUST_200600_302600_NS10device_ptrIlEESB_jNS0_19identity_decomposerENS1_16block_id_wrapperIjLb0EEEEE10hipError_tT1_PNSt15iterator_traitsISG_E10value_typeET2_T3_PNSH_ISM_E10value_typeET4_T5_PSR_SS_PNS1_23onesweep_lookback_stateEbbT6_jjT7_P12ihipStream_tbENKUlT_T0_SG_SL_E_clIS7_S7_SB_PlEEDaSZ_S10_SG_SL_EUlSZ_E_NS1_11comp_targetILNS1_3genE4ELNS1_11target_archE910ELNS1_3gpuE8ELNS1_3repE0EEENS1_47radix_sort_onesweep_sort_config_static_selectorELNS0_4arch9wavefront6targetE1EEEvSG_ ; -- Begin function _ZN7rocprim17ROCPRIM_400000_NS6detail17trampoline_kernelINS0_14default_configENS1_35radix_sort_onesweep_config_selectorIslEEZZNS1_29radix_sort_onesweep_iterationIS3_Lb0EPsS7_N6thrust23THRUST_200600_302600_NS10device_ptrIlEESB_jNS0_19identity_decomposerENS1_16block_id_wrapperIjLb0EEEEE10hipError_tT1_PNSt15iterator_traitsISG_E10value_typeET2_T3_PNSH_ISM_E10value_typeET4_T5_PSR_SS_PNS1_23onesweep_lookback_stateEbbT6_jjT7_P12ihipStream_tbENKUlT_T0_SG_SL_E_clIS7_S7_SB_PlEEDaSZ_S10_SG_SL_EUlSZ_E_NS1_11comp_targetILNS1_3genE4ELNS1_11target_archE910ELNS1_3gpuE8ELNS1_3repE0EEENS1_47radix_sort_onesweep_sort_config_static_selectorELNS0_4arch9wavefront6targetE1EEEvSG_
	.globl	_ZN7rocprim17ROCPRIM_400000_NS6detail17trampoline_kernelINS0_14default_configENS1_35radix_sort_onesweep_config_selectorIslEEZZNS1_29radix_sort_onesweep_iterationIS3_Lb0EPsS7_N6thrust23THRUST_200600_302600_NS10device_ptrIlEESB_jNS0_19identity_decomposerENS1_16block_id_wrapperIjLb0EEEEE10hipError_tT1_PNSt15iterator_traitsISG_E10value_typeET2_T3_PNSH_ISM_E10value_typeET4_T5_PSR_SS_PNS1_23onesweep_lookback_stateEbbT6_jjT7_P12ihipStream_tbENKUlT_T0_SG_SL_E_clIS7_S7_SB_PlEEDaSZ_S10_SG_SL_EUlSZ_E_NS1_11comp_targetILNS1_3genE4ELNS1_11target_archE910ELNS1_3gpuE8ELNS1_3repE0EEENS1_47radix_sort_onesweep_sort_config_static_selectorELNS0_4arch9wavefront6targetE1EEEvSG_
	.p2align	8
	.type	_ZN7rocprim17ROCPRIM_400000_NS6detail17trampoline_kernelINS0_14default_configENS1_35radix_sort_onesweep_config_selectorIslEEZZNS1_29radix_sort_onesweep_iterationIS3_Lb0EPsS7_N6thrust23THRUST_200600_302600_NS10device_ptrIlEESB_jNS0_19identity_decomposerENS1_16block_id_wrapperIjLb0EEEEE10hipError_tT1_PNSt15iterator_traitsISG_E10value_typeET2_T3_PNSH_ISM_E10value_typeET4_T5_PSR_SS_PNS1_23onesweep_lookback_stateEbbT6_jjT7_P12ihipStream_tbENKUlT_T0_SG_SL_E_clIS7_S7_SB_PlEEDaSZ_S10_SG_SL_EUlSZ_E_NS1_11comp_targetILNS1_3genE4ELNS1_11target_archE910ELNS1_3gpuE8ELNS1_3repE0EEENS1_47radix_sort_onesweep_sort_config_static_selectorELNS0_4arch9wavefront6targetE1EEEvSG_,@function
_ZN7rocprim17ROCPRIM_400000_NS6detail17trampoline_kernelINS0_14default_configENS1_35radix_sort_onesweep_config_selectorIslEEZZNS1_29radix_sort_onesweep_iterationIS3_Lb0EPsS7_N6thrust23THRUST_200600_302600_NS10device_ptrIlEESB_jNS0_19identity_decomposerENS1_16block_id_wrapperIjLb0EEEEE10hipError_tT1_PNSt15iterator_traitsISG_E10value_typeET2_T3_PNSH_ISM_E10value_typeET4_T5_PSR_SS_PNS1_23onesweep_lookback_stateEbbT6_jjT7_P12ihipStream_tbENKUlT_T0_SG_SL_E_clIS7_S7_SB_PlEEDaSZ_S10_SG_SL_EUlSZ_E_NS1_11comp_targetILNS1_3genE4ELNS1_11target_archE910ELNS1_3gpuE8ELNS1_3repE0EEENS1_47radix_sort_onesweep_sort_config_static_selectorELNS0_4arch9wavefront6targetE1EEEvSG_: ; @_ZN7rocprim17ROCPRIM_400000_NS6detail17trampoline_kernelINS0_14default_configENS1_35radix_sort_onesweep_config_selectorIslEEZZNS1_29radix_sort_onesweep_iterationIS3_Lb0EPsS7_N6thrust23THRUST_200600_302600_NS10device_ptrIlEESB_jNS0_19identity_decomposerENS1_16block_id_wrapperIjLb0EEEEE10hipError_tT1_PNSt15iterator_traitsISG_E10value_typeET2_T3_PNSH_ISM_E10value_typeET4_T5_PSR_SS_PNS1_23onesweep_lookback_stateEbbT6_jjT7_P12ihipStream_tbENKUlT_T0_SG_SL_E_clIS7_S7_SB_PlEEDaSZ_S10_SG_SL_EUlSZ_E_NS1_11comp_targetILNS1_3genE4ELNS1_11target_archE910ELNS1_3gpuE8ELNS1_3repE0EEENS1_47radix_sort_onesweep_sort_config_static_selectorELNS0_4arch9wavefront6targetE1EEEvSG_
; %bb.0:
	.section	.rodata,"a",@progbits
	.p2align	6, 0x0
	.amdhsa_kernel _ZN7rocprim17ROCPRIM_400000_NS6detail17trampoline_kernelINS0_14default_configENS1_35radix_sort_onesweep_config_selectorIslEEZZNS1_29radix_sort_onesweep_iterationIS3_Lb0EPsS7_N6thrust23THRUST_200600_302600_NS10device_ptrIlEESB_jNS0_19identity_decomposerENS1_16block_id_wrapperIjLb0EEEEE10hipError_tT1_PNSt15iterator_traitsISG_E10value_typeET2_T3_PNSH_ISM_E10value_typeET4_T5_PSR_SS_PNS1_23onesweep_lookback_stateEbbT6_jjT7_P12ihipStream_tbENKUlT_T0_SG_SL_E_clIS7_S7_SB_PlEEDaSZ_S10_SG_SL_EUlSZ_E_NS1_11comp_targetILNS1_3genE4ELNS1_11target_archE910ELNS1_3gpuE8ELNS1_3repE0EEENS1_47radix_sort_onesweep_sort_config_static_selectorELNS0_4arch9wavefront6targetE1EEEvSG_
		.amdhsa_group_segment_fixed_size 0
		.amdhsa_private_segment_fixed_size 0
		.amdhsa_kernarg_size 88
		.amdhsa_user_sgpr_count 6
		.amdhsa_user_sgpr_private_segment_buffer 1
		.amdhsa_user_sgpr_dispatch_ptr 0
		.amdhsa_user_sgpr_queue_ptr 0
		.amdhsa_user_sgpr_kernarg_segment_ptr 1
		.amdhsa_user_sgpr_dispatch_id 0
		.amdhsa_user_sgpr_flat_scratch_init 0
		.amdhsa_user_sgpr_private_segment_size 0
		.amdhsa_uses_dynamic_stack 0
		.amdhsa_system_sgpr_private_segment_wavefront_offset 0
		.amdhsa_system_sgpr_workgroup_id_x 1
		.amdhsa_system_sgpr_workgroup_id_y 0
		.amdhsa_system_sgpr_workgroup_id_z 0
		.amdhsa_system_sgpr_workgroup_info 0
		.amdhsa_system_vgpr_workitem_id 0
		.amdhsa_next_free_vgpr 1
		.amdhsa_next_free_sgpr 0
		.amdhsa_reserve_vcc 0
		.amdhsa_reserve_flat_scratch 0
		.amdhsa_float_round_mode_32 0
		.amdhsa_float_round_mode_16_64 0
		.amdhsa_float_denorm_mode_32 3
		.amdhsa_float_denorm_mode_16_64 3
		.amdhsa_dx10_clamp 1
		.amdhsa_ieee_mode 1
		.amdhsa_fp16_overflow 0
		.amdhsa_exception_fp_ieee_invalid_op 0
		.amdhsa_exception_fp_denorm_src 0
		.amdhsa_exception_fp_ieee_div_zero 0
		.amdhsa_exception_fp_ieee_overflow 0
		.amdhsa_exception_fp_ieee_underflow 0
		.amdhsa_exception_fp_ieee_inexact 0
		.amdhsa_exception_int_div_zero 0
	.end_amdhsa_kernel
	.section	.text._ZN7rocprim17ROCPRIM_400000_NS6detail17trampoline_kernelINS0_14default_configENS1_35radix_sort_onesweep_config_selectorIslEEZZNS1_29radix_sort_onesweep_iterationIS3_Lb0EPsS7_N6thrust23THRUST_200600_302600_NS10device_ptrIlEESB_jNS0_19identity_decomposerENS1_16block_id_wrapperIjLb0EEEEE10hipError_tT1_PNSt15iterator_traitsISG_E10value_typeET2_T3_PNSH_ISM_E10value_typeET4_T5_PSR_SS_PNS1_23onesweep_lookback_stateEbbT6_jjT7_P12ihipStream_tbENKUlT_T0_SG_SL_E_clIS7_S7_SB_PlEEDaSZ_S10_SG_SL_EUlSZ_E_NS1_11comp_targetILNS1_3genE4ELNS1_11target_archE910ELNS1_3gpuE8ELNS1_3repE0EEENS1_47radix_sort_onesweep_sort_config_static_selectorELNS0_4arch9wavefront6targetE1EEEvSG_,"axG",@progbits,_ZN7rocprim17ROCPRIM_400000_NS6detail17trampoline_kernelINS0_14default_configENS1_35radix_sort_onesweep_config_selectorIslEEZZNS1_29radix_sort_onesweep_iterationIS3_Lb0EPsS7_N6thrust23THRUST_200600_302600_NS10device_ptrIlEESB_jNS0_19identity_decomposerENS1_16block_id_wrapperIjLb0EEEEE10hipError_tT1_PNSt15iterator_traitsISG_E10value_typeET2_T3_PNSH_ISM_E10value_typeET4_T5_PSR_SS_PNS1_23onesweep_lookback_stateEbbT6_jjT7_P12ihipStream_tbENKUlT_T0_SG_SL_E_clIS7_S7_SB_PlEEDaSZ_S10_SG_SL_EUlSZ_E_NS1_11comp_targetILNS1_3genE4ELNS1_11target_archE910ELNS1_3gpuE8ELNS1_3repE0EEENS1_47radix_sort_onesweep_sort_config_static_selectorELNS0_4arch9wavefront6targetE1EEEvSG_,comdat
.Lfunc_end1438:
	.size	_ZN7rocprim17ROCPRIM_400000_NS6detail17trampoline_kernelINS0_14default_configENS1_35radix_sort_onesweep_config_selectorIslEEZZNS1_29radix_sort_onesweep_iterationIS3_Lb0EPsS7_N6thrust23THRUST_200600_302600_NS10device_ptrIlEESB_jNS0_19identity_decomposerENS1_16block_id_wrapperIjLb0EEEEE10hipError_tT1_PNSt15iterator_traitsISG_E10value_typeET2_T3_PNSH_ISM_E10value_typeET4_T5_PSR_SS_PNS1_23onesweep_lookback_stateEbbT6_jjT7_P12ihipStream_tbENKUlT_T0_SG_SL_E_clIS7_S7_SB_PlEEDaSZ_S10_SG_SL_EUlSZ_E_NS1_11comp_targetILNS1_3genE4ELNS1_11target_archE910ELNS1_3gpuE8ELNS1_3repE0EEENS1_47radix_sort_onesweep_sort_config_static_selectorELNS0_4arch9wavefront6targetE1EEEvSG_, .Lfunc_end1438-_ZN7rocprim17ROCPRIM_400000_NS6detail17trampoline_kernelINS0_14default_configENS1_35radix_sort_onesweep_config_selectorIslEEZZNS1_29radix_sort_onesweep_iterationIS3_Lb0EPsS7_N6thrust23THRUST_200600_302600_NS10device_ptrIlEESB_jNS0_19identity_decomposerENS1_16block_id_wrapperIjLb0EEEEE10hipError_tT1_PNSt15iterator_traitsISG_E10value_typeET2_T3_PNSH_ISM_E10value_typeET4_T5_PSR_SS_PNS1_23onesweep_lookback_stateEbbT6_jjT7_P12ihipStream_tbENKUlT_T0_SG_SL_E_clIS7_S7_SB_PlEEDaSZ_S10_SG_SL_EUlSZ_E_NS1_11comp_targetILNS1_3genE4ELNS1_11target_archE910ELNS1_3gpuE8ELNS1_3repE0EEENS1_47radix_sort_onesweep_sort_config_static_selectorELNS0_4arch9wavefront6targetE1EEEvSG_
                                        ; -- End function
	.set _ZN7rocprim17ROCPRIM_400000_NS6detail17trampoline_kernelINS0_14default_configENS1_35radix_sort_onesweep_config_selectorIslEEZZNS1_29radix_sort_onesweep_iterationIS3_Lb0EPsS7_N6thrust23THRUST_200600_302600_NS10device_ptrIlEESB_jNS0_19identity_decomposerENS1_16block_id_wrapperIjLb0EEEEE10hipError_tT1_PNSt15iterator_traitsISG_E10value_typeET2_T3_PNSH_ISM_E10value_typeET4_T5_PSR_SS_PNS1_23onesweep_lookback_stateEbbT6_jjT7_P12ihipStream_tbENKUlT_T0_SG_SL_E_clIS7_S7_SB_PlEEDaSZ_S10_SG_SL_EUlSZ_E_NS1_11comp_targetILNS1_3genE4ELNS1_11target_archE910ELNS1_3gpuE8ELNS1_3repE0EEENS1_47radix_sort_onesweep_sort_config_static_selectorELNS0_4arch9wavefront6targetE1EEEvSG_.num_vgpr, 0
	.set _ZN7rocprim17ROCPRIM_400000_NS6detail17trampoline_kernelINS0_14default_configENS1_35radix_sort_onesweep_config_selectorIslEEZZNS1_29radix_sort_onesweep_iterationIS3_Lb0EPsS7_N6thrust23THRUST_200600_302600_NS10device_ptrIlEESB_jNS0_19identity_decomposerENS1_16block_id_wrapperIjLb0EEEEE10hipError_tT1_PNSt15iterator_traitsISG_E10value_typeET2_T3_PNSH_ISM_E10value_typeET4_T5_PSR_SS_PNS1_23onesweep_lookback_stateEbbT6_jjT7_P12ihipStream_tbENKUlT_T0_SG_SL_E_clIS7_S7_SB_PlEEDaSZ_S10_SG_SL_EUlSZ_E_NS1_11comp_targetILNS1_3genE4ELNS1_11target_archE910ELNS1_3gpuE8ELNS1_3repE0EEENS1_47radix_sort_onesweep_sort_config_static_selectorELNS0_4arch9wavefront6targetE1EEEvSG_.num_agpr, 0
	.set _ZN7rocprim17ROCPRIM_400000_NS6detail17trampoline_kernelINS0_14default_configENS1_35radix_sort_onesweep_config_selectorIslEEZZNS1_29radix_sort_onesweep_iterationIS3_Lb0EPsS7_N6thrust23THRUST_200600_302600_NS10device_ptrIlEESB_jNS0_19identity_decomposerENS1_16block_id_wrapperIjLb0EEEEE10hipError_tT1_PNSt15iterator_traitsISG_E10value_typeET2_T3_PNSH_ISM_E10value_typeET4_T5_PSR_SS_PNS1_23onesweep_lookback_stateEbbT6_jjT7_P12ihipStream_tbENKUlT_T0_SG_SL_E_clIS7_S7_SB_PlEEDaSZ_S10_SG_SL_EUlSZ_E_NS1_11comp_targetILNS1_3genE4ELNS1_11target_archE910ELNS1_3gpuE8ELNS1_3repE0EEENS1_47radix_sort_onesweep_sort_config_static_selectorELNS0_4arch9wavefront6targetE1EEEvSG_.numbered_sgpr, 0
	.set _ZN7rocprim17ROCPRIM_400000_NS6detail17trampoline_kernelINS0_14default_configENS1_35radix_sort_onesweep_config_selectorIslEEZZNS1_29radix_sort_onesweep_iterationIS3_Lb0EPsS7_N6thrust23THRUST_200600_302600_NS10device_ptrIlEESB_jNS0_19identity_decomposerENS1_16block_id_wrapperIjLb0EEEEE10hipError_tT1_PNSt15iterator_traitsISG_E10value_typeET2_T3_PNSH_ISM_E10value_typeET4_T5_PSR_SS_PNS1_23onesweep_lookback_stateEbbT6_jjT7_P12ihipStream_tbENKUlT_T0_SG_SL_E_clIS7_S7_SB_PlEEDaSZ_S10_SG_SL_EUlSZ_E_NS1_11comp_targetILNS1_3genE4ELNS1_11target_archE910ELNS1_3gpuE8ELNS1_3repE0EEENS1_47radix_sort_onesweep_sort_config_static_selectorELNS0_4arch9wavefront6targetE1EEEvSG_.num_named_barrier, 0
	.set _ZN7rocprim17ROCPRIM_400000_NS6detail17trampoline_kernelINS0_14default_configENS1_35radix_sort_onesweep_config_selectorIslEEZZNS1_29radix_sort_onesweep_iterationIS3_Lb0EPsS7_N6thrust23THRUST_200600_302600_NS10device_ptrIlEESB_jNS0_19identity_decomposerENS1_16block_id_wrapperIjLb0EEEEE10hipError_tT1_PNSt15iterator_traitsISG_E10value_typeET2_T3_PNSH_ISM_E10value_typeET4_T5_PSR_SS_PNS1_23onesweep_lookback_stateEbbT6_jjT7_P12ihipStream_tbENKUlT_T0_SG_SL_E_clIS7_S7_SB_PlEEDaSZ_S10_SG_SL_EUlSZ_E_NS1_11comp_targetILNS1_3genE4ELNS1_11target_archE910ELNS1_3gpuE8ELNS1_3repE0EEENS1_47radix_sort_onesweep_sort_config_static_selectorELNS0_4arch9wavefront6targetE1EEEvSG_.private_seg_size, 0
	.set _ZN7rocprim17ROCPRIM_400000_NS6detail17trampoline_kernelINS0_14default_configENS1_35radix_sort_onesweep_config_selectorIslEEZZNS1_29radix_sort_onesweep_iterationIS3_Lb0EPsS7_N6thrust23THRUST_200600_302600_NS10device_ptrIlEESB_jNS0_19identity_decomposerENS1_16block_id_wrapperIjLb0EEEEE10hipError_tT1_PNSt15iterator_traitsISG_E10value_typeET2_T3_PNSH_ISM_E10value_typeET4_T5_PSR_SS_PNS1_23onesweep_lookback_stateEbbT6_jjT7_P12ihipStream_tbENKUlT_T0_SG_SL_E_clIS7_S7_SB_PlEEDaSZ_S10_SG_SL_EUlSZ_E_NS1_11comp_targetILNS1_3genE4ELNS1_11target_archE910ELNS1_3gpuE8ELNS1_3repE0EEENS1_47radix_sort_onesweep_sort_config_static_selectorELNS0_4arch9wavefront6targetE1EEEvSG_.uses_vcc, 0
	.set _ZN7rocprim17ROCPRIM_400000_NS6detail17trampoline_kernelINS0_14default_configENS1_35radix_sort_onesweep_config_selectorIslEEZZNS1_29radix_sort_onesweep_iterationIS3_Lb0EPsS7_N6thrust23THRUST_200600_302600_NS10device_ptrIlEESB_jNS0_19identity_decomposerENS1_16block_id_wrapperIjLb0EEEEE10hipError_tT1_PNSt15iterator_traitsISG_E10value_typeET2_T3_PNSH_ISM_E10value_typeET4_T5_PSR_SS_PNS1_23onesweep_lookback_stateEbbT6_jjT7_P12ihipStream_tbENKUlT_T0_SG_SL_E_clIS7_S7_SB_PlEEDaSZ_S10_SG_SL_EUlSZ_E_NS1_11comp_targetILNS1_3genE4ELNS1_11target_archE910ELNS1_3gpuE8ELNS1_3repE0EEENS1_47radix_sort_onesweep_sort_config_static_selectorELNS0_4arch9wavefront6targetE1EEEvSG_.uses_flat_scratch, 0
	.set _ZN7rocprim17ROCPRIM_400000_NS6detail17trampoline_kernelINS0_14default_configENS1_35radix_sort_onesweep_config_selectorIslEEZZNS1_29radix_sort_onesweep_iterationIS3_Lb0EPsS7_N6thrust23THRUST_200600_302600_NS10device_ptrIlEESB_jNS0_19identity_decomposerENS1_16block_id_wrapperIjLb0EEEEE10hipError_tT1_PNSt15iterator_traitsISG_E10value_typeET2_T3_PNSH_ISM_E10value_typeET4_T5_PSR_SS_PNS1_23onesweep_lookback_stateEbbT6_jjT7_P12ihipStream_tbENKUlT_T0_SG_SL_E_clIS7_S7_SB_PlEEDaSZ_S10_SG_SL_EUlSZ_E_NS1_11comp_targetILNS1_3genE4ELNS1_11target_archE910ELNS1_3gpuE8ELNS1_3repE0EEENS1_47radix_sort_onesweep_sort_config_static_selectorELNS0_4arch9wavefront6targetE1EEEvSG_.has_dyn_sized_stack, 0
	.set _ZN7rocprim17ROCPRIM_400000_NS6detail17trampoline_kernelINS0_14default_configENS1_35radix_sort_onesweep_config_selectorIslEEZZNS1_29radix_sort_onesweep_iterationIS3_Lb0EPsS7_N6thrust23THRUST_200600_302600_NS10device_ptrIlEESB_jNS0_19identity_decomposerENS1_16block_id_wrapperIjLb0EEEEE10hipError_tT1_PNSt15iterator_traitsISG_E10value_typeET2_T3_PNSH_ISM_E10value_typeET4_T5_PSR_SS_PNS1_23onesweep_lookback_stateEbbT6_jjT7_P12ihipStream_tbENKUlT_T0_SG_SL_E_clIS7_S7_SB_PlEEDaSZ_S10_SG_SL_EUlSZ_E_NS1_11comp_targetILNS1_3genE4ELNS1_11target_archE910ELNS1_3gpuE8ELNS1_3repE0EEENS1_47radix_sort_onesweep_sort_config_static_selectorELNS0_4arch9wavefront6targetE1EEEvSG_.has_recursion, 0
	.set _ZN7rocprim17ROCPRIM_400000_NS6detail17trampoline_kernelINS0_14default_configENS1_35radix_sort_onesweep_config_selectorIslEEZZNS1_29radix_sort_onesweep_iterationIS3_Lb0EPsS7_N6thrust23THRUST_200600_302600_NS10device_ptrIlEESB_jNS0_19identity_decomposerENS1_16block_id_wrapperIjLb0EEEEE10hipError_tT1_PNSt15iterator_traitsISG_E10value_typeET2_T3_PNSH_ISM_E10value_typeET4_T5_PSR_SS_PNS1_23onesweep_lookback_stateEbbT6_jjT7_P12ihipStream_tbENKUlT_T0_SG_SL_E_clIS7_S7_SB_PlEEDaSZ_S10_SG_SL_EUlSZ_E_NS1_11comp_targetILNS1_3genE4ELNS1_11target_archE910ELNS1_3gpuE8ELNS1_3repE0EEENS1_47radix_sort_onesweep_sort_config_static_selectorELNS0_4arch9wavefront6targetE1EEEvSG_.has_indirect_call, 0
	.section	.AMDGPU.csdata,"",@progbits
; Kernel info:
; codeLenInByte = 0
; TotalNumSgprs: 4
; NumVgprs: 0
; ScratchSize: 0
; MemoryBound: 0
; FloatMode: 240
; IeeeMode: 1
; LDSByteSize: 0 bytes/workgroup (compile time only)
; SGPRBlocks: 0
; VGPRBlocks: 0
; NumSGPRsForWavesPerEU: 4
; NumVGPRsForWavesPerEU: 1
; Occupancy: 10
; WaveLimiterHint : 0
; COMPUTE_PGM_RSRC2:SCRATCH_EN: 0
; COMPUTE_PGM_RSRC2:USER_SGPR: 6
; COMPUTE_PGM_RSRC2:TRAP_HANDLER: 0
; COMPUTE_PGM_RSRC2:TGID_X_EN: 1
; COMPUTE_PGM_RSRC2:TGID_Y_EN: 0
; COMPUTE_PGM_RSRC2:TGID_Z_EN: 0
; COMPUTE_PGM_RSRC2:TIDIG_COMP_CNT: 0
	.section	.text._ZN7rocprim17ROCPRIM_400000_NS6detail17trampoline_kernelINS0_14default_configENS1_35radix_sort_onesweep_config_selectorIslEEZZNS1_29radix_sort_onesweep_iterationIS3_Lb0EPsS7_N6thrust23THRUST_200600_302600_NS10device_ptrIlEESB_jNS0_19identity_decomposerENS1_16block_id_wrapperIjLb0EEEEE10hipError_tT1_PNSt15iterator_traitsISG_E10value_typeET2_T3_PNSH_ISM_E10value_typeET4_T5_PSR_SS_PNS1_23onesweep_lookback_stateEbbT6_jjT7_P12ihipStream_tbENKUlT_T0_SG_SL_E_clIS7_S7_SB_PlEEDaSZ_S10_SG_SL_EUlSZ_E_NS1_11comp_targetILNS1_3genE3ELNS1_11target_archE908ELNS1_3gpuE7ELNS1_3repE0EEENS1_47radix_sort_onesweep_sort_config_static_selectorELNS0_4arch9wavefront6targetE1EEEvSG_,"axG",@progbits,_ZN7rocprim17ROCPRIM_400000_NS6detail17trampoline_kernelINS0_14default_configENS1_35radix_sort_onesweep_config_selectorIslEEZZNS1_29radix_sort_onesweep_iterationIS3_Lb0EPsS7_N6thrust23THRUST_200600_302600_NS10device_ptrIlEESB_jNS0_19identity_decomposerENS1_16block_id_wrapperIjLb0EEEEE10hipError_tT1_PNSt15iterator_traitsISG_E10value_typeET2_T3_PNSH_ISM_E10value_typeET4_T5_PSR_SS_PNS1_23onesweep_lookback_stateEbbT6_jjT7_P12ihipStream_tbENKUlT_T0_SG_SL_E_clIS7_S7_SB_PlEEDaSZ_S10_SG_SL_EUlSZ_E_NS1_11comp_targetILNS1_3genE3ELNS1_11target_archE908ELNS1_3gpuE7ELNS1_3repE0EEENS1_47radix_sort_onesweep_sort_config_static_selectorELNS0_4arch9wavefront6targetE1EEEvSG_,comdat
	.protected	_ZN7rocprim17ROCPRIM_400000_NS6detail17trampoline_kernelINS0_14default_configENS1_35radix_sort_onesweep_config_selectorIslEEZZNS1_29radix_sort_onesweep_iterationIS3_Lb0EPsS7_N6thrust23THRUST_200600_302600_NS10device_ptrIlEESB_jNS0_19identity_decomposerENS1_16block_id_wrapperIjLb0EEEEE10hipError_tT1_PNSt15iterator_traitsISG_E10value_typeET2_T3_PNSH_ISM_E10value_typeET4_T5_PSR_SS_PNS1_23onesweep_lookback_stateEbbT6_jjT7_P12ihipStream_tbENKUlT_T0_SG_SL_E_clIS7_S7_SB_PlEEDaSZ_S10_SG_SL_EUlSZ_E_NS1_11comp_targetILNS1_3genE3ELNS1_11target_archE908ELNS1_3gpuE7ELNS1_3repE0EEENS1_47radix_sort_onesweep_sort_config_static_selectorELNS0_4arch9wavefront6targetE1EEEvSG_ ; -- Begin function _ZN7rocprim17ROCPRIM_400000_NS6detail17trampoline_kernelINS0_14default_configENS1_35radix_sort_onesweep_config_selectorIslEEZZNS1_29radix_sort_onesweep_iterationIS3_Lb0EPsS7_N6thrust23THRUST_200600_302600_NS10device_ptrIlEESB_jNS0_19identity_decomposerENS1_16block_id_wrapperIjLb0EEEEE10hipError_tT1_PNSt15iterator_traitsISG_E10value_typeET2_T3_PNSH_ISM_E10value_typeET4_T5_PSR_SS_PNS1_23onesweep_lookback_stateEbbT6_jjT7_P12ihipStream_tbENKUlT_T0_SG_SL_E_clIS7_S7_SB_PlEEDaSZ_S10_SG_SL_EUlSZ_E_NS1_11comp_targetILNS1_3genE3ELNS1_11target_archE908ELNS1_3gpuE7ELNS1_3repE0EEENS1_47radix_sort_onesweep_sort_config_static_selectorELNS0_4arch9wavefront6targetE1EEEvSG_
	.globl	_ZN7rocprim17ROCPRIM_400000_NS6detail17trampoline_kernelINS0_14default_configENS1_35radix_sort_onesweep_config_selectorIslEEZZNS1_29radix_sort_onesweep_iterationIS3_Lb0EPsS7_N6thrust23THRUST_200600_302600_NS10device_ptrIlEESB_jNS0_19identity_decomposerENS1_16block_id_wrapperIjLb0EEEEE10hipError_tT1_PNSt15iterator_traitsISG_E10value_typeET2_T3_PNSH_ISM_E10value_typeET4_T5_PSR_SS_PNS1_23onesweep_lookback_stateEbbT6_jjT7_P12ihipStream_tbENKUlT_T0_SG_SL_E_clIS7_S7_SB_PlEEDaSZ_S10_SG_SL_EUlSZ_E_NS1_11comp_targetILNS1_3genE3ELNS1_11target_archE908ELNS1_3gpuE7ELNS1_3repE0EEENS1_47radix_sort_onesweep_sort_config_static_selectorELNS0_4arch9wavefront6targetE1EEEvSG_
	.p2align	8
	.type	_ZN7rocprim17ROCPRIM_400000_NS6detail17trampoline_kernelINS0_14default_configENS1_35radix_sort_onesweep_config_selectorIslEEZZNS1_29radix_sort_onesweep_iterationIS3_Lb0EPsS7_N6thrust23THRUST_200600_302600_NS10device_ptrIlEESB_jNS0_19identity_decomposerENS1_16block_id_wrapperIjLb0EEEEE10hipError_tT1_PNSt15iterator_traitsISG_E10value_typeET2_T3_PNSH_ISM_E10value_typeET4_T5_PSR_SS_PNS1_23onesweep_lookback_stateEbbT6_jjT7_P12ihipStream_tbENKUlT_T0_SG_SL_E_clIS7_S7_SB_PlEEDaSZ_S10_SG_SL_EUlSZ_E_NS1_11comp_targetILNS1_3genE3ELNS1_11target_archE908ELNS1_3gpuE7ELNS1_3repE0EEENS1_47radix_sort_onesweep_sort_config_static_selectorELNS0_4arch9wavefront6targetE1EEEvSG_,@function
_ZN7rocprim17ROCPRIM_400000_NS6detail17trampoline_kernelINS0_14default_configENS1_35radix_sort_onesweep_config_selectorIslEEZZNS1_29radix_sort_onesweep_iterationIS3_Lb0EPsS7_N6thrust23THRUST_200600_302600_NS10device_ptrIlEESB_jNS0_19identity_decomposerENS1_16block_id_wrapperIjLb0EEEEE10hipError_tT1_PNSt15iterator_traitsISG_E10value_typeET2_T3_PNSH_ISM_E10value_typeET4_T5_PSR_SS_PNS1_23onesweep_lookback_stateEbbT6_jjT7_P12ihipStream_tbENKUlT_T0_SG_SL_E_clIS7_S7_SB_PlEEDaSZ_S10_SG_SL_EUlSZ_E_NS1_11comp_targetILNS1_3genE3ELNS1_11target_archE908ELNS1_3gpuE7ELNS1_3repE0EEENS1_47radix_sort_onesweep_sort_config_static_selectorELNS0_4arch9wavefront6targetE1EEEvSG_: ; @_ZN7rocprim17ROCPRIM_400000_NS6detail17trampoline_kernelINS0_14default_configENS1_35radix_sort_onesweep_config_selectorIslEEZZNS1_29radix_sort_onesweep_iterationIS3_Lb0EPsS7_N6thrust23THRUST_200600_302600_NS10device_ptrIlEESB_jNS0_19identity_decomposerENS1_16block_id_wrapperIjLb0EEEEE10hipError_tT1_PNSt15iterator_traitsISG_E10value_typeET2_T3_PNSH_ISM_E10value_typeET4_T5_PSR_SS_PNS1_23onesweep_lookback_stateEbbT6_jjT7_P12ihipStream_tbENKUlT_T0_SG_SL_E_clIS7_S7_SB_PlEEDaSZ_S10_SG_SL_EUlSZ_E_NS1_11comp_targetILNS1_3genE3ELNS1_11target_archE908ELNS1_3gpuE7ELNS1_3repE0EEENS1_47radix_sort_onesweep_sort_config_static_selectorELNS0_4arch9wavefront6targetE1EEEvSG_
; %bb.0:
	.section	.rodata,"a",@progbits
	.p2align	6, 0x0
	.amdhsa_kernel _ZN7rocprim17ROCPRIM_400000_NS6detail17trampoline_kernelINS0_14default_configENS1_35radix_sort_onesweep_config_selectorIslEEZZNS1_29radix_sort_onesweep_iterationIS3_Lb0EPsS7_N6thrust23THRUST_200600_302600_NS10device_ptrIlEESB_jNS0_19identity_decomposerENS1_16block_id_wrapperIjLb0EEEEE10hipError_tT1_PNSt15iterator_traitsISG_E10value_typeET2_T3_PNSH_ISM_E10value_typeET4_T5_PSR_SS_PNS1_23onesweep_lookback_stateEbbT6_jjT7_P12ihipStream_tbENKUlT_T0_SG_SL_E_clIS7_S7_SB_PlEEDaSZ_S10_SG_SL_EUlSZ_E_NS1_11comp_targetILNS1_3genE3ELNS1_11target_archE908ELNS1_3gpuE7ELNS1_3repE0EEENS1_47radix_sort_onesweep_sort_config_static_selectorELNS0_4arch9wavefront6targetE1EEEvSG_
		.amdhsa_group_segment_fixed_size 0
		.amdhsa_private_segment_fixed_size 0
		.amdhsa_kernarg_size 88
		.amdhsa_user_sgpr_count 6
		.amdhsa_user_sgpr_private_segment_buffer 1
		.amdhsa_user_sgpr_dispatch_ptr 0
		.amdhsa_user_sgpr_queue_ptr 0
		.amdhsa_user_sgpr_kernarg_segment_ptr 1
		.amdhsa_user_sgpr_dispatch_id 0
		.amdhsa_user_sgpr_flat_scratch_init 0
		.amdhsa_user_sgpr_private_segment_size 0
		.amdhsa_uses_dynamic_stack 0
		.amdhsa_system_sgpr_private_segment_wavefront_offset 0
		.amdhsa_system_sgpr_workgroup_id_x 1
		.amdhsa_system_sgpr_workgroup_id_y 0
		.amdhsa_system_sgpr_workgroup_id_z 0
		.amdhsa_system_sgpr_workgroup_info 0
		.amdhsa_system_vgpr_workitem_id 0
		.amdhsa_next_free_vgpr 1
		.amdhsa_next_free_sgpr 0
		.amdhsa_reserve_vcc 0
		.amdhsa_reserve_flat_scratch 0
		.amdhsa_float_round_mode_32 0
		.amdhsa_float_round_mode_16_64 0
		.amdhsa_float_denorm_mode_32 3
		.amdhsa_float_denorm_mode_16_64 3
		.amdhsa_dx10_clamp 1
		.amdhsa_ieee_mode 1
		.amdhsa_fp16_overflow 0
		.amdhsa_exception_fp_ieee_invalid_op 0
		.amdhsa_exception_fp_denorm_src 0
		.amdhsa_exception_fp_ieee_div_zero 0
		.amdhsa_exception_fp_ieee_overflow 0
		.amdhsa_exception_fp_ieee_underflow 0
		.amdhsa_exception_fp_ieee_inexact 0
		.amdhsa_exception_int_div_zero 0
	.end_amdhsa_kernel
	.section	.text._ZN7rocprim17ROCPRIM_400000_NS6detail17trampoline_kernelINS0_14default_configENS1_35radix_sort_onesweep_config_selectorIslEEZZNS1_29radix_sort_onesweep_iterationIS3_Lb0EPsS7_N6thrust23THRUST_200600_302600_NS10device_ptrIlEESB_jNS0_19identity_decomposerENS1_16block_id_wrapperIjLb0EEEEE10hipError_tT1_PNSt15iterator_traitsISG_E10value_typeET2_T3_PNSH_ISM_E10value_typeET4_T5_PSR_SS_PNS1_23onesweep_lookback_stateEbbT6_jjT7_P12ihipStream_tbENKUlT_T0_SG_SL_E_clIS7_S7_SB_PlEEDaSZ_S10_SG_SL_EUlSZ_E_NS1_11comp_targetILNS1_3genE3ELNS1_11target_archE908ELNS1_3gpuE7ELNS1_3repE0EEENS1_47radix_sort_onesweep_sort_config_static_selectorELNS0_4arch9wavefront6targetE1EEEvSG_,"axG",@progbits,_ZN7rocprim17ROCPRIM_400000_NS6detail17trampoline_kernelINS0_14default_configENS1_35radix_sort_onesweep_config_selectorIslEEZZNS1_29radix_sort_onesweep_iterationIS3_Lb0EPsS7_N6thrust23THRUST_200600_302600_NS10device_ptrIlEESB_jNS0_19identity_decomposerENS1_16block_id_wrapperIjLb0EEEEE10hipError_tT1_PNSt15iterator_traitsISG_E10value_typeET2_T3_PNSH_ISM_E10value_typeET4_T5_PSR_SS_PNS1_23onesweep_lookback_stateEbbT6_jjT7_P12ihipStream_tbENKUlT_T0_SG_SL_E_clIS7_S7_SB_PlEEDaSZ_S10_SG_SL_EUlSZ_E_NS1_11comp_targetILNS1_3genE3ELNS1_11target_archE908ELNS1_3gpuE7ELNS1_3repE0EEENS1_47radix_sort_onesweep_sort_config_static_selectorELNS0_4arch9wavefront6targetE1EEEvSG_,comdat
.Lfunc_end1439:
	.size	_ZN7rocprim17ROCPRIM_400000_NS6detail17trampoline_kernelINS0_14default_configENS1_35radix_sort_onesweep_config_selectorIslEEZZNS1_29radix_sort_onesweep_iterationIS3_Lb0EPsS7_N6thrust23THRUST_200600_302600_NS10device_ptrIlEESB_jNS0_19identity_decomposerENS1_16block_id_wrapperIjLb0EEEEE10hipError_tT1_PNSt15iterator_traitsISG_E10value_typeET2_T3_PNSH_ISM_E10value_typeET4_T5_PSR_SS_PNS1_23onesweep_lookback_stateEbbT6_jjT7_P12ihipStream_tbENKUlT_T0_SG_SL_E_clIS7_S7_SB_PlEEDaSZ_S10_SG_SL_EUlSZ_E_NS1_11comp_targetILNS1_3genE3ELNS1_11target_archE908ELNS1_3gpuE7ELNS1_3repE0EEENS1_47radix_sort_onesweep_sort_config_static_selectorELNS0_4arch9wavefront6targetE1EEEvSG_, .Lfunc_end1439-_ZN7rocprim17ROCPRIM_400000_NS6detail17trampoline_kernelINS0_14default_configENS1_35radix_sort_onesweep_config_selectorIslEEZZNS1_29radix_sort_onesweep_iterationIS3_Lb0EPsS7_N6thrust23THRUST_200600_302600_NS10device_ptrIlEESB_jNS0_19identity_decomposerENS1_16block_id_wrapperIjLb0EEEEE10hipError_tT1_PNSt15iterator_traitsISG_E10value_typeET2_T3_PNSH_ISM_E10value_typeET4_T5_PSR_SS_PNS1_23onesweep_lookback_stateEbbT6_jjT7_P12ihipStream_tbENKUlT_T0_SG_SL_E_clIS7_S7_SB_PlEEDaSZ_S10_SG_SL_EUlSZ_E_NS1_11comp_targetILNS1_3genE3ELNS1_11target_archE908ELNS1_3gpuE7ELNS1_3repE0EEENS1_47radix_sort_onesweep_sort_config_static_selectorELNS0_4arch9wavefront6targetE1EEEvSG_
                                        ; -- End function
	.set _ZN7rocprim17ROCPRIM_400000_NS6detail17trampoline_kernelINS0_14default_configENS1_35radix_sort_onesweep_config_selectorIslEEZZNS1_29radix_sort_onesweep_iterationIS3_Lb0EPsS7_N6thrust23THRUST_200600_302600_NS10device_ptrIlEESB_jNS0_19identity_decomposerENS1_16block_id_wrapperIjLb0EEEEE10hipError_tT1_PNSt15iterator_traitsISG_E10value_typeET2_T3_PNSH_ISM_E10value_typeET4_T5_PSR_SS_PNS1_23onesweep_lookback_stateEbbT6_jjT7_P12ihipStream_tbENKUlT_T0_SG_SL_E_clIS7_S7_SB_PlEEDaSZ_S10_SG_SL_EUlSZ_E_NS1_11comp_targetILNS1_3genE3ELNS1_11target_archE908ELNS1_3gpuE7ELNS1_3repE0EEENS1_47radix_sort_onesweep_sort_config_static_selectorELNS0_4arch9wavefront6targetE1EEEvSG_.num_vgpr, 0
	.set _ZN7rocprim17ROCPRIM_400000_NS6detail17trampoline_kernelINS0_14default_configENS1_35radix_sort_onesweep_config_selectorIslEEZZNS1_29radix_sort_onesweep_iterationIS3_Lb0EPsS7_N6thrust23THRUST_200600_302600_NS10device_ptrIlEESB_jNS0_19identity_decomposerENS1_16block_id_wrapperIjLb0EEEEE10hipError_tT1_PNSt15iterator_traitsISG_E10value_typeET2_T3_PNSH_ISM_E10value_typeET4_T5_PSR_SS_PNS1_23onesweep_lookback_stateEbbT6_jjT7_P12ihipStream_tbENKUlT_T0_SG_SL_E_clIS7_S7_SB_PlEEDaSZ_S10_SG_SL_EUlSZ_E_NS1_11comp_targetILNS1_3genE3ELNS1_11target_archE908ELNS1_3gpuE7ELNS1_3repE0EEENS1_47radix_sort_onesweep_sort_config_static_selectorELNS0_4arch9wavefront6targetE1EEEvSG_.num_agpr, 0
	.set _ZN7rocprim17ROCPRIM_400000_NS6detail17trampoline_kernelINS0_14default_configENS1_35radix_sort_onesweep_config_selectorIslEEZZNS1_29radix_sort_onesweep_iterationIS3_Lb0EPsS7_N6thrust23THRUST_200600_302600_NS10device_ptrIlEESB_jNS0_19identity_decomposerENS1_16block_id_wrapperIjLb0EEEEE10hipError_tT1_PNSt15iterator_traitsISG_E10value_typeET2_T3_PNSH_ISM_E10value_typeET4_T5_PSR_SS_PNS1_23onesweep_lookback_stateEbbT6_jjT7_P12ihipStream_tbENKUlT_T0_SG_SL_E_clIS7_S7_SB_PlEEDaSZ_S10_SG_SL_EUlSZ_E_NS1_11comp_targetILNS1_3genE3ELNS1_11target_archE908ELNS1_3gpuE7ELNS1_3repE0EEENS1_47radix_sort_onesweep_sort_config_static_selectorELNS0_4arch9wavefront6targetE1EEEvSG_.numbered_sgpr, 0
	.set _ZN7rocprim17ROCPRIM_400000_NS6detail17trampoline_kernelINS0_14default_configENS1_35radix_sort_onesweep_config_selectorIslEEZZNS1_29radix_sort_onesweep_iterationIS3_Lb0EPsS7_N6thrust23THRUST_200600_302600_NS10device_ptrIlEESB_jNS0_19identity_decomposerENS1_16block_id_wrapperIjLb0EEEEE10hipError_tT1_PNSt15iterator_traitsISG_E10value_typeET2_T3_PNSH_ISM_E10value_typeET4_T5_PSR_SS_PNS1_23onesweep_lookback_stateEbbT6_jjT7_P12ihipStream_tbENKUlT_T0_SG_SL_E_clIS7_S7_SB_PlEEDaSZ_S10_SG_SL_EUlSZ_E_NS1_11comp_targetILNS1_3genE3ELNS1_11target_archE908ELNS1_3gpuE7ELNS1_3repE0EEENS1_47radix_sort_onesweep_sort_config_static_selectorELNS0_4arch9wavefront6targetE1EEEvSG_.num_named_barrier, 0
	.set _ZN7rocprim17ROCPRIM_400000_NS6detail17trampoline_kernelINS0_14default_configENS1_35radix_sort_onesweep_config_selectorIslEEZZNS1_29radix_sort_onesweep_iterationIS3_Lb0EPsS7_N6thrust23THRUST_200600_302600_NS10device_ptrIlEESB_jNS0_19identity_decomposerENS1_16block_id_wrapperIjLb0EEEEE10hipError_tT1_PNSt15iterator_traitsISG_E10value_typeET2_T3_PNSH_ISM_E10value_typeET4_T5_PSR_SS_PNS1_23onesweep_lookback_stateEbbT6_jjT7_P12ihipStream_tbENKUlT_T0_SG_SL_E_clIS7_S7_SB_PlEEDaSZ_S10_SG_SL_EUlSZ_E_NS1_11comp_targetILNS1_3genE3ELNS1_11target_archE908ELNS1_3gpuE7ELNS1_3repE0EEENS1_47radix_sort_onesweep_sort_config_static_selectorELNS0_4arch9wavefront6targetE1EEEvSG_.private_seg_size, 0
	.set _ZN7rocprim17ROCPRIM_400000_NS6detail17trampoline_kernelINS0_14default_configENS1_35radix_sort_onesweep_config_selectorIslEEZZNS1_29radix_sort_onesweep_iterationIS3_Lb0EPsS7_N6thrust23THRUST_200600_302600_NS10device_ptrIlEESB_jNS0_19identity_decomposerENS1_16block_id_wrapperIjLb0EEEEE10hipError_tT1_PNSt15iterator_traitsISG_E10value_typeET2_T3_PNSH_ISM_E10value_typeET4_T5_PSR_SS_PNS1_23onesweep_lookback_stateEbbT6_jjT7_P12ihipStream_tbENKUlT_T0_SG_SL_E_clIS7_S7_SB_PlEEDaSZ_S10_SG_SL_EUlSZ_E_NS1_11comp_targetILNS1_3genE3ELNS1_11target_archE908ELNS1_3gpuE7ELNS1_3repE0EEENS1_47radix_sort_onesweep_sort_config_static_selectorELNS0_4arch9wavefront6targetE1EEEvSG_.uses_vcc, 0
	.set _ZN7rocprim17ROCPRIM_400000_NS6detail17trampoline_kernelINS0_14default_configENS1_35radix_sort_onesweep_config_selectorIslEEZZNS1_29radix_sort_onesweep_iterationIS3_Lb0EPsS7_N6thrust23THRUST_200600_302600_NS10device_ptrIlEESB_jNS0_19identity_decomposerENS1_16block_id_wrapperIjLb0EEEEE10hipError_tT1_PNSt15iterator_traitsISG_E10value_typeET2_T3_PNSH_ISM_E10value_typeET4_T5_PSR_SS_PNS1_23onesweep_lookback_stateEbbT6_jjT7_P12ihipStream_tbENKUlT_T0_SG_SL_E_clIS7_S7_SB_PlEEDaSZ_S10_SG_SL_EUlSZ_E_NS1_11comp_targetILNS1_3genE3ELNS1_11target_archE908ELNS1_3gpuE7ELNS1_3repE0EEENS1_47radix_sort_onesweep_sort_config_static_selectorELNS0_4arch9wavefront6targetE1EEEvSG_.uses_flat_scratch, 0
	.set _ZN7rocprim17ROCPRIM_400000_NS6detail17trampoline_kernelINS0_14default_configENS1_35radix_sort_onesweep_config_selectorIslEEZZNS1_29radix_sort_onesweep_iterationIS3_Lb0EPsS7_N6thrust23THRUST_200600_302600_NS10device_ptrIlEESB_jNS0_19identity_decomposerENS1_16block_id_wrapperIjLb0EEEEE10hipError_tT1_PNSt15iterator_traitsISG_E10value_typeET2_T3_PNSH_ISM_E10value_typeET4_T5_PSR_SS_PNS1_23onesweep_lookback_stateEbbT6_jjT7_P12ihipStream_tbENKUlT_T0_SG_SL_E_clIS7_S7_SB_PlEEDaSZ_S10_SG_SL_EUlSZ_E_NS1_11comp_targetILNS1_3genE3ELNS1_11target_archE908ELNS1_3gpuE7ELNS1_3repE0EEENS1_47radix_sort_onesweep_sort_config_static_selectorELNS0_4arch9wavefront6targetE1EEEvSG_.has_dyn_sized_stack, 0
	.set _ZN7rocprim17ROCPRIM_400000_NS6detail17trampoline_kernelINS0_14default_configENS1_35radix_sort_onesweep_config_selectorIslEEZZNS1_29radix_sort_onesweep_iterationIS3_Lb0EPsS7_N6thrust23THRUST_200600_302600_NS10device_ptrIlEESB_jNS0_19identity_decomposerENS1_16block_id_wrapperIjLb0EEEEE10hipError_tT1_PNSt15iterator_traitsISG_E10value_typeET2_T3_PNSH_ISM_E10value_typeET4_T5_PSR_SS_PNS1_23onesweep_lookback_stateEbbT6_jjT7_P12ihipStream_tbENKUlT_T0_SG_SL_E_clIS7_S7_SB_PlEEDaSZ_S10_SG_SL_EUlSZ_E_NS1_11comp_targetILNS1_3genE3ELNS1_11target_archE908ELNS1_3gpuE7ELNS1_3repE0EEENS1_47radix_sort_onesweep_sort_config_static_selectorELNS0_4arch9wavefront6targetE1EEEvSG_.has_recursion, 0
	.set _ZN7rocprim17ROCPRIM_400000_NS6detail17trampoline_kernelINS0_14default_configENS1_35radix_sort_onesweep_config_selectorIslEEZZNS1_29radix_sort_onesweep_iterationIS3_Lb0EPsS7_N6thrust23THRUST_200600_302600_NS10device_ptrIlEESB_jNS0_19identity_decomposerENS1_16block_id_wrapperIjLb0EEEEE10hipError_tT1_PNSt15iterator_traitsISG_E10value_typeET2_T3_PNSH_ISM_E10value_typeET4_T5_PSR_SS_PNS1_23onesweep_lookback_stateEbbT6_jjT7_P12ihipStream_tbENKUlT_T0_SG_SL_E_clIS7_S7_SB_PlEEDaSZ_S10_SG_SL_EUlSZ_E_NS1_11comp_targetILNS1_3genE3ELNS1_11target_archE908ELNS1_3gpuE7ELNS1_3repE0EEENS1_47radix_sort_onesweep_sort_config_static_selectorELNS0_4arch9wavefront6targetE1EEEvSG_.has_indirect_call, 0
	.section	.AMDGPU.csdata,"",@progbits
; Kernel info:
; codeLenInByte = 0
; TotalNumSgprs: 4
; NumVgprs: 0
; ScratchSize: 0
; MemoryBound: 0
; FloatMode: 240
; IeeeMode: 1
; LDSByteSize: 0 bytes/workgroup (compile time only)
; SGPRBlocks: 0
; VGPRBlocks: 0
; NumSGPRsForWavesPerEU: 4
; NumVGPRsForWavesPerEU: 1
; Occupancy: 10
; WaveLimiterHint : 0
; COMPUTE_PGM_RSRC2:SCRATCH_EN: 0
; COMPUTE_PGM_RSRC2:USER_SGPR: 6
; COMPUTE_PGM_RSRC2:TRAP_HANDLER: 0
; COMPUTE_PGM_RSRC2:TGID_X_EN: 1
; COMPUTE_PGM_RSRC2:TGID_Y_EN: 0
; COMPUTE_PGM_RSRC2:TGID_Z_EN: 0
; COMPUTE_PGM_RSRC2:TIDIG_COMP_CNT: 0
	.section	.text._ZN7rocprim17ROCPRIM_400000_NS6detail17trampoline_kernelINS0_14default_configENS1_35radix_sort_onesweep_config_selectorIslEEZZNS1_29radix_sort_onesweep_iterationIS3_Lb0EPsS7_N6thrust23THRUST_200600_302600_NS10device_ptrIlEESB_jNS0_19identity_decomposerENS1_16block_id_wrapperIjLb0EEEEE10hipError_tT1_PNSt15iterator_traitsISG_E10value_typeET2_T3_PNSH_ISM_E10value_typeET4_T5_PSR_SS_PNS1_23onesweep_lookback_stateEbbT6_jjT7_P12ihipStream_tbENKUlT_T0_SG_SL_E_clIS7_S7_SB_PlEEDaSZ_S10_SG_SL_EUlSZ_E_NS1_11comp_targetILNS1_3genE10ELNS1_11target_archE1201ELNS1_3gpuE5ELNS1_3repE0EEENS1_47radix_sort_onesweep_sort_config_static_selectorELNS0_4arch9wavefront6targetE1EEEvSG_,"axG",@progbits,_ZN7rocprim17ROCPRIM_400000_NS6detail17trampoline_kernelINS0_14default_configENS1_35radix_sort_onesweep_config_selectorIslEEZZNS1_29radix_sort_onesweep_iterationIS3_Lb0EPsS7_N6thrust23THRUST_200600_302600_NS10device_ptrIlEESB_jNS0_19identity_decomposerENS1_16block_id_wrapperIjLb0EEEEE10hipError_tT1_PNSt15iterator_traitsISG_E10value_typeET2_T3_PNSH_ISM_E10value_typeET4_T5_PSR_SS_PNS1_23onesweep_lookback_stateEbbT6_jjT7_P12ihipStream_tbENKUlT_T0_SG_SL_E_clIS7_S7_SB_PlEEDaSZ_S10_SG_SL_EUlSZ_E_NS1_11comp_targetILNS1_3genE10ELNS1_11target_archE1201ELNS1_3gpuE5ELNS1_3repE0EEENS1_47radix_sort_onesweep_sort_config_static_selectorELNS0_4arch9wavefront6targetE1EEEvSG_,comdat
	.protected	_ZN7rocprim17ROCPRIM_400000_NS6detail17trampoline_kernelINS0_14default_configENS1_35radix_sort_onesweep_config_selectorIslEEZZNS1_29radix_sort_onesweep_iterationIS3_Lb0EPsS7_N6thrust23THRUST_200600_302600_NS10device_ptrIlEESB_jNS0_19identity_decomposerENS1_16block_id_wrapperIjLb0EEEEE10hipError_tT1_PNSt15iterator_traitsISG_E10value_typeET2_T3_PNSH_ISM_E10value_typeET4_T5_PSR_SS_PNS1_23onesweep_lookback_stateEbbT6_jjT7_P12ihipStream_tbENKUlT_T0_SG_SL_E_clIS7_S7_SB_PlEEDaSZ_S10_SG_SL_EUlSZ_E_NS1_11comp_targetILNS1_3genE10ELNS1_11target_archE1201ELNS1_3gpuE5ELNS1_3repE0EEENS1_47radix_sort_onesweep_sort_config_static_selectorELNS0_4arch9wavefront6targetE1EEEvSG_ ; -- Begin function _ZN7rocprim17ROCPRIM_400000_NS6detail17trampoline_kernelINS0_14default_configENS1_35radix_sort_onesweep_config_selectorIslEEZZNS1_29radix_sort_onesweep_iterationIS3_Lb0EPsS7_N6thrust23THRUST_200600_302600_NS10device_ptrIlEESB_jNS0_19identity_decomposerENS1_16block_id_wrapperIjLb0EEEEE10hipError_tT1_PNSt15iterator_traitsISG_E10value_typeET2_T3_PNSH_ISM_E10value_typeET4_T5_PSR_SS_PNS1_23onesweep_lookback_stateEbbT6_jjT7_P12ihipStream_tbENKUlT_T0_SG_SL_E_clIS7_S7_SB_PlEEDaSZ_S10_SG_SL_EUlSZ_E_NS1_11comp_targetILNS1_3genE10ELNS1_11target_archE1201ELNS1_3gpuE5ELNS1_3repE0EEENS1_47radix_sort_onesweep_sort_config_static_selectorELNS0_4arch9wavefront6targetE1EEEvSG_
	.globl	_ZN7rocprim17ROCPRIM_400000_NS6detail17trampoline_kernelINS0_14default_configENS1_35radix_sort_onesweep_config_selectorIslEEZZNS1_29radix_sort_onesweep_iterationIS3_Lb0EPsS7_N6thrust23THRUST_200600_302600_NS10device_ptrIlEESB_jNS0_19identity_decomposerENS1_16block_id_wrapperIjLb0EEEEE10hipError_tT1_PNSt15iterator_traitsISG_E10value_typeET2_T3_PNSH_ISM_E10value_typeET4_T5_PSR_SS_PNS1_23onesweep_lookback_stateEbbT6_jjT7_P12ihipStream_tbENKUlT_T0_SG_SL_E_clIS7_S7_SB_PlEEDaSZ_S10_SG_SL_EUlSZ_E_NS1_11comp_targetILNS1_3genE10ELNS1_11target_archE1201ELNS1_3gpuE5ELNS1_3repE0EEENS1_47radix_sort_onesweep_sort_config_static_selectorELNS0_4arch9wavefront6targetE1EEEvSG_
	.p2align	8
	.type	_ZN7rocprim17ROCPRIM_400000_NS6detail17trampoline_kernelINS0_14default_configENS1_35radix_sort_onesweep_config_selectorIslEEZZNS1_29radix_sort_onesweep_iterationIS3_Lb0EPsS7_N6thrust23THRUST_200600_302600_NS10device_ptrIlEESB_jNS0_19identity_decomposerENS1_16block_id_wrapperIjLb0EEEEE10hipError_tT1_PNSt15iterator_traitsISG_E10value_typeET2_T3_PNSH_ISM_E10value_typeET4_T5_PSR_SS_PNS1_23onesweep_lookback_stateEbbT6_jjT7_P12ihipStream_tbENKUlT_T0_SG_SL_E_clIS7_S7_SB_PlEEDaSZ_S10_SG_SL_EUlSZ_E_NS1_11comp_targetILNS1_3genE10ELNS1_11target_archE1201ELNS1_3gpuE5ELNS1_3repE0EEENS1_47radix_sort_onesweep_sort_config_static_selectorELNS0_4arch9wavefront6targetE1EEEvSG_,@function
_ZN7rocprim17ROCPRIM_400000_NS6detail17trampoline_kernelINS0_14default_configENS1_35radix_sort_onesweep_config_selectorIslEEZZNS1_29radix_sort_onesweep_iterationIS3_Lb0EPsS7_N6thrust23THRUST_200600_302600_NS10device_ptrIlEESB_jNS0_19identity_decomposerENS1_16block_id_wrapperIjLb0EEEEE10hipError_tT1_PNSt15iterator_traitsISG_E10value_typeET2_T3_PNSH_ISM_E10value_typeET4_T5_PSR_SS_PNS1_23onesweep_lookback_stateEbbT6_jjT7_P12ihipStream_tbENKUlT_T0_SG_SL_E_clIS7_S7_SB_PlEEDaSZ_S10_SG_SL_EUlSZ_E_NS1_11comp_targetILNS1_3genE10ELNS1_11target_archE1201ELNS1_3gpuE5ELNS1_3repE0EEENS1_47radix_sort_onesweep_sort_config_static_selectorELNS0_4arch9wavefront6targetE1EEEvSG_: ; @_ZN7rocprim17ROCPRIM_400000_NS6detail17trampoline_kernelINS0_14default_configENS1_35radix_sort_onesweep_config_selectorIslEEZZNS1_29radix_sort_onesweep_iterationIS3_Lb0EPsS7_N6thrust23THRUST_200600_302600_NS10device_ptrIlEESB_jNS0_19identity_decomposerENS1_16block_id_wrapperIjLb0EEEEE10hipError_tT1_PNSt15iterator_traitsISG_E10value_typeET2_T3_PNSH_ISM_E10value_typeET4_T5_PSR_SS_PNS1_23onesweep_lookback_stateEbbT6_jjT7_P12ihipStream_tbENKUlT_T0_SG_SL_E_clIS7_S7_SB_PlEEDaSZ_S10_SG_SL_EUlSZ_E_NS1_11comp_targetILNS1_3genE10ELNS1_11target_archE1201ELNS1_3gpuE5ELNS1_3repE0EEENS1_47radix_sort_onesweep_sort_config_static_selectorELNS0_4arch9wavefront6targetE1EEEvSG_
; %bb.0:
	.section	.rodata,"a",@progbits
	.p2align	6, 0x0
	.amdhsa_kernel _ZN7rocprim17ROCPRIM_400000_NS6detail17trampoline_kernelINS0_14default_configENS1_35radix_sort_onesweep_config_selectorIslEEZZNS1_29radix_sort_onesweep_iterationIS3_Lb0EPsS7_N6thrust23THRUST_200600_302600_NS10device_ptrIlEESB_jNS0_19identity_decomposerENS1_16block_id_wrapperIjLb0EEEEE10hipError_tT1_PNSt15iterator_traitsISG_E10value_typeET2_T3_PNSH_ISM_E10value_typeET4_T5_PSR_SS_PNS1_23onesweep_lookback_stateEbbT6_jjT7_P12ihipStream_tbENKUlT_T0_SG_SL_E_clIS7_S7_SB_PlEEDaSZ_S10_SG_SL_EUlSZ_E_NS1_11comp_targetILNS1_3genE10ELNS1_11target_archE1201ELNS1_3gpuE5ELNS1_3repE0EEENS1_47radix_sort_onesweep_sort_config_static_selectorELNS0_4arch9wavefront6targetE1EEEvSG_
		.amdhsa_group_segment_fixed_size 0
		.amdhsa_private_segment_fixed_size 0
		.amdhsa_kernarg_size 88
		.amdhsa_user_sgpr_count 6
		.amdhsa_user_sgpr_private_segment_buffer 1
		.amdhsa_user_sgpr_dispatch_ptr 0
		.amdhsa_user_sgpr_queue_ptr 0
		.amdhsa_user_sgpr_kernarg_segment_ptr 1
		.amdhsa_user_sgpr_dispatch_id 0
		.amdhsa_user_sgpr_flat_scratch_init 0
		.amdhsa_user_sgpr_private_segment_size 0
		.amdhsa_uses_dynamic_stack 0
		.amdhsa_system_sgpr_private_segment_wavefront_offset 0
		.amdhsa_system_sgpr_workgroup_id_x 1
		.amdhsa_system_sgpr_workgroup_id_y 0
		.amdhsa_system_sgpr_workgroup_id_z 0
		.amdhsa_system_sgpr_workgroup_info 0
		.amdhsa_system_vgpr_workitem_id 0
		.amdhsa_next_free_vgpr 1
		.amdhsa_next_free_sgpr 0
		.amdhsa_reserve_vcc 0
		.amdhsa_reserve_flat_scratch 0
		.amdhsa_float_round_mode_32 0
		.amdhsa_float_round_mode_16_64 0
		.amdhsa_float_denorm_mode_32 3
		.amdhsa_float_denorm_mode_16_64 3
		.amdhsa_dx10_clamp 1
		.amdhsa_ieee_mode 1
		.amdhsa_fp16_overflow 0
		.amdhsa_exception_fp_ieee_invalid_op 0
		.amdhsa_exception_fp_denorm_src 0
		.amdhsa_exception_fp_ieee_div_zero 0
		.amdhsa_exception_fp_ieee_overflow 0
		.amdhsa_exception_fp_ieee_underflow 0
		.amdhsa_exception_fp_ieee_inexact 0
		.amdhsa_exception_int_div_zero 0
	.end_amdhsa_kernel
	.section	.text._ZN7rocprim17ROCPRIM_400000_NS6detail17trampoline_kernelINS0_14default_configENS1_35radix_sort_onesweep_config_selectorIslEEZZNS1_29radix_sort_onesweep_iterationIS3_Lb0EPsS7_N6thrust23THRUST_200600_302600_NS10device_ptrIlEESB_jNS0_19identity_decomposerENS1_16block_id_wrapperIjLb0EEEEE10hipError_tT1_PNSt15iterator_traitsISG_E10value_typeET2_T3_PNSH_ISM_E10value_typeET4_T5_PSR_SS_PNS1_23onesweep_lookback_stateEbbT6_jjT7_P12ihipStream_tbENKUlT_T0_SG_SL_E_clIS7_S7_SB_PlEEDaSZ_S10_SG_SL_EUlSZ_E_NS1_11comp_targetILNS1_3genE10ELNS1_11target_archE1201ELNS1_3gpuE5ELNS1_3repE0EEENS1_47radix_sort_onesweep_sort_config_static_selectorELNS0_4arch9wavefront6targetE1EEEvSG_,"axG",@progbits,_ZN7rocprim17ROCPRIM_400000_NS6detail17trampoline_kernelINS0_14default_configENS1_35radix_sort_onesweep_config_selectorIslEEZZNS1_29radix_sort_onesweep_iterationIS3_Lb0EPsS7_N6thrust23THRUST_200600_302600_NS10device_ptrIlEESB_jNS0_19identity_decomposerENS1_16block_id_wrapperIjLb0EEEEE10hipError_tT1_PNSt15iterator_traitsISG_E10value_typeET2_T3_PNSH_ISM_E10value_typeET4_T5_PSR_SS_PNS1_23onesweep_lookback_stateEbbT6_jjT7_P12ihipStream_tbENKUlT_T0_SG_SL_E_clIS7_S7_SB_PlEEDaSZ_S10_SG_SL_EUlSZ_E_NS1_11comp_targetILNS1_3genE10ELNS1_11target_archE1201ELNS1_3gpuE5ELNS1_3repE0EEENS1_47radix_sort_onesweep_sort_config_static_selectorELNS0_4arch9wavefront6targetE1EEEvSG_,comdat
.Lfunc_end1440:
	.size	_ZN7rocprim17ROCPRIM_400000_NS6detail17trampoline_kernelINS0_14default_configENS1_35radix_sort_onesweep_config_selectorIslEEZZNS1_29radix_sort_onesweep_iterationIS3_Lb0EPsS7_N6thrust23THRUST_200600_302600_NS10device_ptrIlEESB_jNS0_19identity_decomposerENS1_16block_id_wrapperIjLb0EEEEE10hipError_tT1_PNSt15iterator_traitsISG_E10value_typeET2_T3_PNSH_ISM_E10value_typeET4_T5_PSR_SS_PNS1_23onesweep_lookback_stateEbbT6_jjT7_P12ihipStream_tbENKUlT_T0_SG_SL_E_clIS7_S7_SB_PlEEDaSZ_S10_SG_SL_EUlSZ_E_NS1_11comp_targetILNS1_3genE10ELNS1_11target_archE1201ELNS1_3gpuE5ELNS1_3repE0EEENS1_47radix_sort_onesweep_sort_config_static_selectorELNS0_4arch9wavefront6targetE1EEEvSG_, .Lfunc_end1440-_ZN7rocprim17ROCPRIM_400000_NS6detail17trampoline_kernelINS0_14default_configENS1_35radix_sort_onesweep_config_selectorIslEEZZNS1_29radix_sort_onesweep_iterationIS3_Lb0EPsS7_N6thrust23THRUST_200600_302600_NS10device_ptrIlEESB_jNS0_19identity_decomposerENS1_16block_id_wrapperIjLb0EEEEE10hipError_tT1_PNSt15iterator_traitsISG_E10value_typeET2_T3_PNSH_ISM_E10value_typeET4_T5_PSR_SS_PNS1_23onesweep_lookback_stateEbbT6_jjT7_P12ihipStream_tbENKUlT_T0_SG_SL_E_clIS7_S7_SB_PlEEDaSZ_S10_SG_SL_EUlSZ_E_NS1_11comp_targetILNS1_3genE10ELNS1_11target_archE1201ELNS1_3gpuE5ELNS1_3repE0EEENS1_47radix_sort_onesweep_sort_config_static_selectorELNS0_4arch9wavefront6targetE1EEEvSG_
                                        ; -- End function
	.set _ZN7rocprim17ROCPRIM_400000_NS6detail17trampoline_kernelINS0_14default_configENS1_35radix_sort_onesweep_config_selectorIslEEZZNS1_29radix_sort_onesweep_iterationIS3_Lb0EPsS7_N6thrust23THRUST_200600_302600_NS10device_ptrIlEESB_jNS0_19identity_decomposerENS1_16block_id_wrapperIjLb0EEEEE10hipError_tT1_PNSt15iterator_traitsISG_E10value_typeET2_T3_PNSH_ISM_E10value_typeET4_T5_PSR_SS_PNS1_23onesweep_lookback_stateEbbT6_jjT7_P12ihipStream_tbENKUlT_T0_SG_SL_E_clIS7_S7_SB_PlEEDaSZ_S10_SG_SL_EUlSZ_E_NS1_11comp_targetILNS1_3genE10ELNS1_11target_archE1201ELNS1_3gpuE5ELNS1_3repE0EEENS1_47radix_sort_onesweep_sort_config_static_selectorELNS0_4arch9wavefront6targetE1EEEvSG_.num_vgpr, 0
	.set _ZN7rocprim17ROCPRIM_400000_NS6detail17trampoline_kernelINS0_14default_configENS1_35radix_sort_onesweep_config_selectorIslEEZZNS1_29radix_sort_onesweep_iterationIS3_Lb0EPsS7_N6thrust23THRUST_200600_302600_NS10device_ptrIlEESB_jNS0_19identity_decomposerENS1_16block_id_wrapperIjLb0EEEEE10hipError_tT1_PNSt15iterator_traitsISG_E10value_typeET2_T3_PNSH_ISM_E10value_typeET4_T5_PSR_SS_PNS1_23onesweep_lookback_stateEbbT6_jjT7_P12ihipStream_tbENKUlT_T0_SG_SL_E_clIS7_S7_SB_PlEEDaSZ_S10_SG_SL_EUlSZ_E_NS1_11comp_targetILNS1_3genE10ELNS1_11target_archE1201ELNS1_3gpuE5ELNS1_3repE0EEENS1_47radix_sort_onesweep_sort_config_static_selectorELNS0_4arch9wavefront6targetE1EEEvSG_.num_agpr, 0
	.set _ZN7rocprim17ROCPRIM_400000_NS6detail17trampoline_kernelINS0_14default_configENS1_35radix_sort_onesweep_config_selectorIslEEZZNS1_29radix_sort_onesweep_iterationIS3_Lb0EPsS7_N6thrust23THRUST_200600_302600_NS10device_ptrIlEESB_jNS0_19identity_decomposerENS1_16block_id_wrapperIjLb0EEEEE10hipError_tT1_PNSt15iterator_traitsISG_E10value_typeET2_T3_PNSH_ISM_E10value_typeET4_T5_PSR_SS_PNS1_23onesweep_lookback_stateEbbT6_jjT7_P12ihipStream_tbENKUlT_T0_SG_SL_E_clIS7_S7_SB_PlEEDaSZ_S10_SG_SL_EUlSZ_E_NS1_11comp_targetILNS1_3genE10ELNS1_11target_archE1201ELNS1_3gpuE5ELNS1_3repE0EEENS1_47radix_sort_onesweep_sort_config_static_selectorELNS0_4arch9wavefront6targetE1EEEvSG_.numbered_sgpr, 0
	.set _ZN7rocprim17ROCPRIM_400000_NS6detail17trampoline_kernelINS0_14default_configENS1_35radix_sort_onesweep_config_selectorIslEEZZNS1_29radix_sort_onesweep_iterationIS3_Lb0EPsS7_N6thrust23THRUST_200600_302600_NS10device_ptrIlEESB_jNS0_19identity_decomposerENS1_16block_id_wrapperIjLb0EEEEE10hipError_tT1_PNSt15iterator_traitsISG_E10value_typeET2_T3_PNSH_ISM_E10value_typeET4_T5_PSR_SS_PNS1_23onesweep_lookback_stateEbbT6_jjT7_P12ihipStream_tbENKUlT_T0_SG_SL_E_clIS7_S7_SB_PlEEDaSZ_S10_SG_SL_EUlSZ_E_NS1_11comp_targetILNS1_3genE10ELNS1_11target_archE1201ELNS1_3gpuE5ELNS1_3repE0EEENS1_47radix_sort_onesweep_sort_config_static_selectorELNS0_4arch9wavefront6targetE1EEEvSG_.num_named_barrier, 0
	.set _ZN7rocprim17ROCPRIM_400000_NS6detail17trampoline_kernelINS0_14default_configENS1_35radix_sort_onesweep_config_selectorIslEEZZNS1_29radix_sort_onesweep_iterationIS3_Lb0EPsS7_N6thrust23THRUST_200600_302600_NS10device_ptrIlEESB_jNS0_19identity_decomposerENS1_16block_id_wrapperIjLb0EEEEE10hipError_tT1_PNSt15iterator_traitsISG_E10value_typeET2_T3_PNSH_ISM_E10value_typeET4_T5_PSR_SS_PNS1_23onesweep_lookback_stateEbbT6_jjT7_P12ihipStream_tbENKUlT_T0_SG_SL_E_clIS7_S7_SB_PlEEDaSZ_S10_SG_SL_EUlSZ_E_NS1_11comp_targetILNS1_3genE10ELNS1_11target_archE1201ELNS1_3gpuE5ELNS1_3repE0EEENS1_47radix_sort_onesweep_sort_config_static_selectorELNS0_4arch9wavefront6targetE1EEEvSG_.private_seg_size, 0
	.set _ZN7rocprim17ROCPRIM_400000_NS6detail17trampoline_kernelINS0_14default_configENS1_35radix_sort_onesweep_config_selectorIslEEZZNS1_29radix_sort_onesweep_iterationIS3_Lb0EPsS7_N6thrust23THRUST_200600_302600_NS10device_ptrIlEESB_jNS0_19identity_decomposerENS1_16block_id_wrapperIjLb0EEEEE10hipError_tT1_PNSt15iterator_traitsISG_E10value_typeET2_T3_PNSH_ISM_E10value_typeET4_T5_PSR_SS_PNS1_23onesweep_lookback_stateEbbT6_jjT7_P12ihipStream_tbENKUlT_T0_SG_SL_E_clIS7_S7_SB_PlEEDaSZ_S10_SG_SL_EUlSZ_E_NS1_11comp_targetILNS1_3genE10ELNS1_11target_archE1201ELNS1_3gpuE5ELNS1_3repE0EEENS1_47radix_sort_onesweep_sort_config_static_selectorELNS0_4arch9wavefront6targetE1EEEvSG_.uses_vcc, 0
	.set _ZN7rocprim17ROCPRIM_400000_NS6detail17trampoline_kernelINS0_14default_configENS1_35radix_sort_onesweep_config_selectorIslEEZZNS1_29radix_sort_onesweep_iterationIS3_Lb0EPsS7_N6thrust23THRUST_200600_302600_NS10device_ptrIlEESB_jNS0_19identity_decomposerENS1_16block_id_wrapperIjLb0EEEEE10hipError_tT1_PNSt15iterator_traitsISG_E10value_typeET2_T3_PNSH_ISM_E10value_typeET4_T5_PSR_SS_PNS1_23onesweep_lookback_stateEbbT6_jjT7_P12ihipStream_tbENKUlT_T0_SG_SL_E_clIS7_S7_SB_PlEEDaSZ_S10_SG_SL_EUlSZ_E_NS1_11comp_targetILNS1_3genE10ELNS1_11target_archE1201ELNS1_3gpuE5ELNS1_3repE0EEENS1_47radix_sort_onesweep_sort_config_static_selectorELNS0_4arch9wavefront6targetE1EEEvSG_.uses_flat_scratch, 0
	.set _ZN7rocprim17ROCPRIM_400000_NS6detail17trampoline_kernelINS0_14default_configENS1_35radix_sort_onesweep_config_selectorIslEEZZNS1_29radix_sort_onesweep_iterationIS3_Lb0EPsS7_N6thrust23THRUST_200600_302600_NS10device_ptrIlEESB_jNS0_19identity_decomposerENS1_16block_id_wrapperIjLb0EEEEE10hipError_tT1_PNSt15iterator_traitsISG_E10value_typeET2_T3_PNSH_ISM_E10value_typeET4_T5_PSR_SS_PNS1_23onesweep_lookback_stateEbbT6_jjT7_P12ihipStream_tbENKUlT_T0_SG_SL_E_clIS7_S7_SB_PlEEDaSZ_S10_SG_SL_EUlSZ_E_NS1_11comp_targetILNS1_3genE10ELNS1_11target_archE1201ELNS1_3gpuE5ELNS1_3repE0EEENS1_47radix_sort_onesweep_sort_config_static_selectorELNS0_4arch9wavefront6targetE1EEEvSG_.has_dyn_sized_stack, 0
	.set _ZN7rocprim17ROCPRIM_400000_NS6detail17trampoline_kernelINS0_14default_configENS1_35radix_sort_onesweep_config_selectorIslEEZZNS1_29radix_sort_onesweep_iterationIS3_Lb0EPsS7_N6thrust23THRUST_200600_302600_NS10device_ptrIlEESB_jNS0_19identity_decomposerENS1_16block_id_wrapperIjLb0EEEEE10hipError_tT1_PNSt15iterator_traitsISG_E10value_typeET2_T3_PNSH_ISM_E10value_typeET4_T5_PSR_SS_PNS1_23onesweep_lookback_stateEbbT6_jjT7_P12ihipStream_tbENKUlT_T0_SG_SL_E_clIS7_S7_SB_PlEEDaSZ_S10_SG_SL_EUlSZ_E_NS1_11comp_targetILNS1_3genE10ELNS1_11target_archE1201ELNS1_3gpuE5ELNS1_3repE0EEENS1_47radix_sort_onesweep_sort_config_static_selectorELNS0_4arch9wavefront6targetE1EEEvSG_.has_recursion, 0
	.set _ZN7rocprim17ROCPRIM_400000_NS6detail17trampoline_kernelINS0_14default_configENS1_35radix_sort_onesweep_config_selectorIslEEZZNS1_29radix_sort_onesweep_iterationIS3_Lb0EPsS7_N6thrust23THRUST_200600_302600_NS10device_ptrIlEESB_jNS0_19identity_decomposerENS1_16block_id_wrapperIjLb0EEEEE10hipError_tT1_PNSt15iterator_traitsISG_E10value_typeET2_T3_PNSH_ISM_E10value_typeET4_T5_PSR_SS_PNS1_23onesweep_lookback_stateEbbT6_jjT7_P12ihipStream_tbENKUlT_T0_SG_SL_E_clIS7_S7_SB_PlEEDaSZ_S10_SG_SL_EUlSZ_E_NS1_11comp_targetILNS1_3genE10ELNS1_11target_archE1201ELNS1_3gpuE5ELNS1_3repE0EEENS1_47radix_sort_onesweep_sort_config_static_selectorELNS0_4arch9wavefront6targetE1EEEvSG_.has_indirect_call, 0
	.section	.AMDGPU.csdata,"",@progbits
; Kernel info:
; codeLenInByte = 0
; TotalNumSgprs: 4
; NumVgprs: 0
; ScratchSize: 0
; MemoryBound: 0
; FloatMode: 240
; IeeeMode: 1
; LDSByteSize: 0 bytes/workgroup (compile time only)
; SGPRBlocks: 0
; VGPRBlocks: 0
; NumSGPRsForWavesPerEU: 4
; NumVGPRsForWavesPerEU: 1
; Occupancy: 10
; WaveLimiterHint : 0
; COMPUTE_PGM_RSRC2:SCRATCH_EN: 0
; COMPUTE_PGM_RSRC2:USER_SGPR: 6
; COMPUTE_PGM_RSRC2:TRAP_HANDLER: 0
; COMPUTE_PGM_RSRC2:TGID_X_EN: 1
; COMPUTE_PGM_RSRC2:TGID_Y_EN: 0
; COMPUTE_PGM_RSRC2:TGID_Z_EN: 0
; COMPUTE_PGM_RSRC2:TIDIG_COMP_CNT: 0
	.section	.text._ZN7rocprim17ROCPRIM_400000_NS6detail17trampoline_kernelINS0_14default_configENS1_35radix_sort_onesweep_config_selectorIslEEZZNS1_29radix_sort_onesweep_iterationIS3_Lb0EPsS7_N6thrust23THRUST_200600_302600_NS10device_ptrIlEESB_jNS0_19identity_decomposerENS1_16block_id_wrapperIjLb0EEEEE10hipError_tT1_PNSt15iterator_traitsISG_E10value_typeET2_T3_PNSH_ISM_E10value_typeET4_T5_PSR_SS_PNS1_23onesweep_lookback_stateEbbT6_jjT7_P12ihipStream_tbENKUlT_T0_SG_SL_E_clIS7_S7_SB_PlEEDaSZ_S10_SG_SL_EUlSZ_E_NS1_11comp_targetILNS1_3genE9ELNS1_11target_archE1100ELNS1_3gpuE3ELNS1_3repE0EEENS1_47radix_sort_onesweep_sort_config_static_selectorELNS0_4arch9wavefront6targetE1EEEvSG_,"axG",@progbits,_ZN7rocprim17ROCPRIM_400000_NS6detail17trampoline_kernelINS0_14default_configENS1_35radix_sort_onesweep_config_selectorIslEEZZNS1_29radix_sort_onesweep_iterationIS3_Lb0EPsS7_N6thrust23THRUST_200600_302600_NS10device_ptrIlEESB_jNS0_19identity_decomposerENS1_16block_id_wrapperIjLb0EEEEE10hipError_tT1_PNSt15iterator_traitsISG_E10value_typeET2_T3_PNSH_ISM_E10value_typeET4_T5_PSR_SS_PNS1_23onesweep_lookback_stateEbbT6_jjT7_P12ihipStream_tbENKUlT_T0_SG_SL_E_clIS7_S7_SB_PlEEDaSZ_S10_SG_SL_EUlSZ_E_NS1_11comp_targetILNS1_3genE9ELNS1_11target_archE1100ELNS1_3gpuE3ELNS1_3repE0EEENS1_47radix_sort_onesweep_sort_config_static_selectorELNS0_4arch9wavefront6targetE1EEEvSG_,comdat
	.protected	_ZN7rocprim17ROCPRIM_400000_NS6detail17trampoline_kernelINS0_14default_configENS1_35radix_sort_onesweep_config_selectorIslEEZZNS1_29radix_sort_onesweep_iterationIS3_Lb0EPsS7_N6thrust23THRUST_200600_302600_NS10device_ptrIlEESB_jNS0_19identity_decomposerENS1_16block_id_wrapperIjLb0EEEEE10hipError_tT1_PNSt15iterator_traitsISG_E10value_typeET2_T3_PNSH_ISM_E10value_typeET4_T5_PSR_SS_PNS1_23onesweep_lookback_stateEbbT6_jjT7_P12ihipStream_tbENKUlT_T0_SG_SL_E_clIS7_S7_SB_PlEEDaSZ_S10_SG_SL_EUlSZ_E_NS1_11comp_targetILNS1_3genE9ELNS1_11target_archE1100ELNS1_3gpuE3ELNS1_3repE0EEENS1_47radix_sort_onesweep_sort_config_static_selectorELNS0_4arch9wavefront6targetE1EEEvSG_ ; -- Begin function _ZN7rocprim17ROCPRIM_400000_NS6detail17trampoline_kernelINS0_14default_configENS1_35radix_sort_onesweep_config_selectorIslEEZZNS1_29radix_sort_onesweep_iterationIS3_Lb0EPsS7_N6thrust23THRUST_200600_302600_NS10device_ptrIlEESB_jNS0_19identity_decomposerENS1_16block_id_wrapperIjLb0EEEEE10hipError_tT1_PNSt15iterator_traitsISG_E10value_typeET2_T3_PNSH_ISM_E10value_typeET4_T5_PSR_SS_PNS1_23onesweep_lookback_stateEbbT6_jjT7_P12ihipStream_tbENKUlT_T0_SG_SL_E_clIS7_S7_SB_PlEEDaSZ_S10_SG_SL_EUlSZ_E_NS1_11comp_targetILNS1_3genE9ELNS1_11target_archE1100ELNS1_3gpuE3ELNS1_3repE0EEENS1_47radix_sort_onesweep_sort_config_static_selectorELNS0_4arch9wavefront6targetE1EEEvSG_
	.globl	_ZN7rocprim17ROCPRIM_400000_NS6detail17trampoline_kernelINS0_14default_configENS1_35radix_sort_onesweep_config_selectorIslEEZZNS1_29radix_sort_onesweep_iterationIS3_Lb0EPsS7_N6thrust23THRUST_200600_302600_NS10device_ptrIlEESB_jNS0_19identity_decomposerENS1_16block_id_wrapperIjLb0EEEEE10hipError_tT1_PNSt15iterator_traitsISG_E10value_typeET2_T3_PNSH_ISM_E10value_typeET4_T5_PSR_SS_PNS1_23onesweep_lookback_stateEbbT6_jjT7_P12ihipStream_tbENKUlT_T0_SG_SL_E_clIS7_S7_SB_PlEEDaSZ_S10_SG_SL_EUlSZ_E_NS1_11comp_targetILNS1_3genE9ELNS1_11target_archE1100ELNS1_3gpuE3ELNS1_3repE0EEENS1_47radix_sort_onesweep_sort_config_static_selectorELNS0_4arch9wavefront6targetE1EEEvSG_
	.p2align	8
	.type	_ZN7rocprim17ROCPRIM_400000_NS6detail17trampoline_kernelINS0_14default_configENS1_35radix_sort_onesweep_config_selectorIslEEZZNS1_29radix_sort_onesweep_iterationIS3_Lb0EPsS7_N6thrust23THRUST_200600_302600_NS10device_ptrIlEESB_jNS0_19identity_decomposerENS1_16block_id_wrapperIjLb0EEEEE10hipError_tT1_PNSt15iterator_traitsISG_E10value_typeET2_T3_PNSH_ISM_E10value_typeET4_T5_PSR_SS_PNS1_23onesweep_lookback_stateEbbT6_jjT7_P12ihipStream_tbENKUlT_T0_SG_SL_E_clIS7_S7_SB_PlEEDaSZ_S10_SG_SL_EUlSZ_E_NS1_11comp_targetILNS1_3genE9ELNS1_11target_archE1100ELNS1_3gpuE3ELNS1_3repE0EEENS1_47radix_sort_onesweep_sort_config_static_selectorELNS0_4arch9wavefront6targetE1EEEvSG_,@function
_ZN7rocprim17ROCPRIM_400000_NS6detail17trampoline_kernelINS0_14default_configENS1_35radix_sort_onesweep_config_selectorIslEEZZNS1_29radix_sort_onesweep_iterationIS3_Lb0EPsS7_N6thrust23THRUST_200600_302600_NS10device_ptrIlEESB_jNS0_19identity_decomposerENS1_16block_id_wrapperIjLb0EEEEE10hipError_tT1_PNSt15iterator_traitsISG_E10value_typeET2_T3_PNSH_ISM_E10value_typeET4_T5_PSR_SS_PNS1_23onesweep_lookback_stateEbbT6_jjT7_P12ihipStream_tbENKUlT_T0_SG_SL_E_clIS7_S7_SB_PlEEDaSZ_S10_SG_SL_EUlSZ_E_NS1_11comp_targetILNS1_3genE9ELNS1_11target_archE1100ELNS1_3gpuE3ELNS1_3repE0EEENS1_47radix_sort_onesweep_sort_config_static_selectorELNS0_4arch9wavefront6targetE1EEEvSG_: ; @_ZN7rocprim17ROCPRIM_400000_NS6detail17trampoline_kernelINS0_14default_configENS1_35radix_sort_onesweep_config_selectorIslEEZZNS1_29radix_sort_onesweep_iterationIS3_Lb0EPsS7_N6thrust23THRUST_200600_302600_NS10device_ptrIlEESB_jNS0_19identity_decomposerENS1_16block_id_wrapperIjLb0EEEEE10hipError_tT1_PNSt15iterator_traitsISG_E10value_typeET2_T3_PNSH_ISM_E10value_typeET4_T5_PSR_SS_PNS1_23onesweep_lookback_stateEbbT6_jjT7_P12ihipStream_tbENKUlT_T0_SG_SL_E_clIS7_S7_SB_PlEEDaSZ_S10_SG_SL_EUlSZ_E_NS1_11comp_targetILNS1_3genE9ELNS1_11target_archE1100ELNS1_3gpuE3ELNS1_3repE0EEENS1_47radix_sort_onesweep_sort_config_static_selectorELNS0_4arch9wavefront6targetE1EEEvSG_
; %bb.0:
	.section	.rodata,"a",@progbits
	.p2align	6, 0x0
	.amdhsa_kernel _ZN7rocprim17ROCPRIM_400000_NS6detail17trampoline_kernelINS0_14default_configENS1_35radix_sort_onesweep_config_selectorIslEEZZNS1_29radix_sort_onesweep_iterationIS3_Lb0EPsS7_N6thrust23THRUST_200600_302600_NS10device_ptrIlEESB_jNS0_19identity_decomposerENS1_16block_id_wrapperIjLb0EEEEE10hipError_tT1_PNSt15iterator_traitsISG_E10value_typeET2_T3_PNSH_ISM_E10value_typeET4_T5_PSR_SS_PNS1_23onesweep_lookback_stateEbbT6_jjT7_P12ihipStream_tbENKUlT_T0_SG_SL_E_clIS7_S7_SB_PlEEDaSZ_S10_SG_SL_EUlSZ_E_NS1_11comp_targetILNS1_3genE9ELNS1_11target_archE1100ELNS1_3gpuE3ELNS1_3repE0EEENS1_47radix_sort_onesweep_sort_config_static_selectorELNS0_4arch9wavefront6targetE1EEEvSG_
		.amdhsa_group_segment_fixed_size 0
		.amdhsa_private_segment_fixed_size 0
		.amdhsa_kernarg_size 88
		.amdhsa_user_sgpr_count 6
		.amdhsa_user_sgpr_private_segment_buffer 1
		.amdhsa_user_sgpr_dispatch_ptr 0
		.amdhsa_user_sgpr_queue_ptr 0
		.amdhsa_user_sgpr_kernarg_segment_ptr 1
		.amdhsa_user_sgpr_dispatch_id 0
		.amdhsa_user_sgpr_flat_scratch_init 0
		.amdhsa_user_sgpr_private_segment_size 0
		.amdhsa_uses_dynamic_stack 0
		.amdhsa_system_sgpr_private_segment_wavefront_offset 0
		.amdhsa_system_sgpr_workgroup_id_x 1
		.amdhsa_system_sgpr_workgroup_id_y 0
		.amdhsa_system_sgpr_workgroup_id_z 0
		.amdhsa_system_sgpr_workgroup_info 0
		.amdhsa_system_vgpr_workitem_id 0
		.amdhsa_next_free_vgpr 1
		.amdhsa_next_free_sgpr 0
		.amdhsa_reserve_vcc 0
		.amdhsa_reserve_flat_scratch 0
		.amdhsa_float_round_mode_32 0
		.amdhsa_float_round_mode_16_64 0
		.amdhsa_float_denorm_mode_32 3
		.amdhsa_float_denorm_mode_16_64 3
		.amdhsa_dx10_clamp 1
		.amdhsa_ieee_mode 1
		.amdhsa_fp16_overflow 0
		.amdhsa_exception_fp_ieee_invalid_op 0
		.amdhsa_exception_fp_denorm_src 0
		.amdhsa_exception_fp_ieee_div_zero 0
		.amdhsa_exception_fp_ieee_overflow 0
		.amdhsa_exception_fp_ieee_underflow 0
		.amdhsa_exception_fp_ieee_inexact 0
		.amdhsa_exception_int_div_zero 0
	.end_amdhsa_kernel
	.section	.text._ZN7rocprim17ROCPRIM_400000_NS6detail17trampoline_kernelINS0_14default_configENS1_35radix_sort_onesweep_config_selectorIslEEZZNS1_29radix_sort_onesweep_iterationIS3_Lb0EPsS7_N6thrust23THRUST_200600_302600_NS10device_ptrIlEESB_jNS0_19identity_decomposerENS1_16block_id_wrapperIjLb0EEEEE10hipError_tT1_PNSt15iterator_traitsISG_E10value_typeET2_T3_PNSH_ISM_E10value_typeET4_T5_PSR_SS_PNS1_23onesweep_lookback_stateEbbT6_jjT7_P12ihipStream_tbENKUlT_T0_SG_SL_E_clIS7_S7_SB_PlEEDaSZ_S10_SG_SL_EUlSZ_E_NS1_11comp_targetILNS1_3genE9ELNS1_11target_archE1100ELNS1_3gpuE3ELNS1_3repE0EEENS1_47radix_sort_onesweep_sort_config_static_selectorELNS0_4arch9wavefront6targetE1EEEvSG_,"axG",@progbits,_ZN7rocprim17ROCPRIM_400000_NS6detail17trampoline_kernelINS0_14default_configENS1_35radix_sort_onesweep_config_selectorIslEEZZNS1_29radix_sort_onesweep_iterationIS3_Lb0EPsS7_N6thrust23THRUST_200600_302600_NS10device_ptrIlEESB_jNS0_19identity_decomposerENS1_16block_id_wrapperIjLb0EEEEE10hipError_tT1_PNSt15iterator_traitsISG_E10value_typeET2_T3_PNSH_ISM_E10value_typeET4_T5_PSR_SS_PNS1_23onesweep_lookback_stateEbbT6_jjT7_P12ihipStream_tbENKUlT_T0_SG_SL_E_clIS7_S7_SB_PlEEDaSZ_S10_SG_SL_EUlSZ_E_NS1_11comp_targetILNS1_3genE9ELNS1_11target_archE1100ELNS1_3gpuE3ELNS1_3repE0EEENS1_47radix_sort_onesweep_sort_config_static_selectorELNS0_4arch9wavefront6targetE1EEEvSG_,comdat
.Lfunc_end1441:
	.size	_ZN7rocprim17ROCPRIM_400000_NS6detail17trampoline_kernelINS0_14default_configENS1_35radix_sort_onesweep_config_selectorIslEEZZNS1_29radix_sort_onesweep_iterationIS3_Lb0EPsS7_N6thrust23THRUST_200600_302600_NS10device_ptrIlEESB_jNS0_19identity_decomposerENS1_16block_id_wrapperIjLb0EEEEE10hipError_tT1_PNSt15iterator_traitsISG_E10value_typeET2_T3_PNSH_ISM_E10value_typeET4_T5_PSR_SS_PNS1_23onesweep_lookback_stateEbbT6_jjT7_P12ihipStream_tbENKUlT_T0_SG_SL_E_clIS7_S7_SB_PlEEDaSZ_S10_SG_SL_EUlSZ_E_NS1_11comp_targetILNS1_3genE9ELNS1_11target_archE1100ELNS1_3gpuE3ELNS1_3repE0EEENS1_47radix_sort_onesweep_sort_config_static_selectorELNS0_4arch9wavefront6targetE1EEEvSG_, .Lfunc_end1441-_ZN7rocprim17ROCPRIM_400000_NS6detail17trampoline_kernelINS0_14default_configENS1_35radix_sort_onesweep_config_selectorIslEEZZNS1_29radix_sort_onesweep_iterationIS3_Lb0EPsS7_N6thrust23THRUST_200600_302600_NS10device_ptrIlEESB_jNS0_19identity_decomposerENS1_16block_id_wrapperIjLb0EEEEE10hipError_tT1_PNSt15iterator_traitsISG_E10value_typeET2_T3_PNSH_ISM_E10value_typeET4_T5_PSR_SS_PNS1_23onesweep_lookback_stateEbbT6_jjT7_P12ihipStream_tbENKUlT_T0_SG_SL_E_clIS7_S7_SB_PlEEDaSZ_S10_SG_SL_EUlSZ_E_NS1_11comp_targetILNS1_3genE9ELNS1_11target_archE1100ELNS1_3gpuE3ELNS1_3repE0EEENS1_47radix_sort_onesweep_sort_config_static_selectorELNS0_4arch9wavefront6targetE1EEEvSG_
                                        ; -- End function
	.set _ZN7rocprim17ROCPRIM_400000_NS6detail17trampoline_kernelINS0_14default_configENS1_35radix_sort_onesweep_config_selectorIslEEZZNS1_29radix_sort_onesweep_iterationIS3_Lb0EPsS7_N6thrust23THRUST_200600_302600_NS10device_ptrIlEESB_jNS0_19identity_decomposerENS1_16block_id_wrapperIjLb0EEEEE10hipError_tT1_PNSt15iterator_traitsISG_E10value_typeET2_T3_PNSH_ISM_E10value_typeET4_T5_PSR_SS_PNS1_23onesweep_lookback_stateEbbT6_jjT7_P12ihipStream_tbENKUlT_T0_SG_SL_E_clIS7_S7_SB_PlEEDaSZ_S10_SG_SL_EUlSZ_E_NS1_11comp_targetILNS1_3genE9ELNS1_11target_archE1100ELNS1_3gpuE3ELNS1_3repE0EEENS1_47radix_sort_onesweep_sort_config_static_selectorELNS0_4arch9wavefront6targetE1EEEvSG_.num_vgpr, 0
	.set _ZN7rocprim17ROCPRIM_400000_NS6detail17trampoline_kernelINS0_14default_configENS1_35radix_sort_onesweep_config_selectorIslEEZZNS1_29radix_sort_onesweep_iterationIS3_Lb0EPsS7_N6thrust23THRUST_200600_302600_NS10device_ptrIlEESB_jNS0_19identity_decomposerENS1_16block_id_wrapperIjLb0EEEEE10hipError_tT1_PNSt15iterator_traitsISG_E10value_typeET2_T3_PNSH_ISM_E10value_typeET4_T5_PSR_SS_PNS1_23onesweep_lookback_stateEbbT6_jjT7_P12ihipStream_tbENKUlT_T0_SG_SL_E_clIS7_S7_SB_PlEEDaSZ_S10_SG_SL_EUlSZ_E_NS1_11comp_targetILNS1_3genE9ELNS1_11target_archE1100ELNS1_3gpuE3ELNS1_3repE0EEENS1_47radix_sort_onesweep_sort_config_static_selectorELNS0_4arch9wavefront6targetE1EEEvSG_.num_agpr, 0
	.set _ZN7rocprim17ROCPRIM_400000_NS6detail17trampoline_kernelINS0_14default_configENS1_35radix_sort_onesweep_config_selectorIslEEZZNS1_29radix_sort_onesweep_iterationIS3_Lb0EPsS7_N6thrust23THRUST_200600_302600_NS10device_ptrIlEESB_jNS0_19identity_decomposerENS1_16block_id_wrapperIjLb0EEEEE10hipError_tT1_PNSt15iterator_traitsISG_E10value_typeET2_T3_PNSH_ISM_E10value_typeET4_T5_PSR_SS_PNS1_23onesweep_lookback_stateEbbT6_jjT7_P12ihipStream_tbENKUlT_T0_SG_SL_E_clIS7_S7_SB_PlEEDaSZ_S10_SG_SL_EUlSZ_E_NS1_11comp_targetILNS1_3genE9ELNS1_11target_archE1100ELNS1_3gpuE3ELNS1_3repE0EEENS1_47radix_sort_onesweep_sort_config_static_selectorELNS0_4arch9wavefront6targetE1EEEvSG_.numbered_sgpr, 0
	.set _ZN7rocprim17ROCPRIM_400000_NS6detail17trampoline_kernelINS0_14default_configENS1_35radix_sort_onesweep_config_selectorIslEEZZNS1_29radix_sort_onesweep_iterationIS3_Lb0EPsS7_N6thrust23THRUST_200600_302600_NS10device_ptrIlEESB_jNS0_19identity_decomposerENS1_16block_id_wrapperIjLb0EEEEE10hipError_tT1_PNSt15iterator_traitsISG_E10value_typeET2_T3_PNSH_ISM_E10value_typeET4_T5_PSR_SS_PNS1_23onesweep_lookback_stateEbbT6_jjT7_P12ihipStream_tbENKUlT_T0_SG_SL_E_clIS7_S7_SB_PlEEDaSZ_S10_SG_SL_EUlSZ_E_NS1_11comp_targetILNS1_3genE9ELNS1_11target_archE1100ELNS1_3gpuE3ELNS1_3repE0EEENS1_47radix_sort_onesweep_sort_config_static_selectorELNS0_4arch9wavefront6targetE1EEEvSG_.num_named_barrier, 0
	.set _ZN7rocprim17ROCPRIM_400000_NS6detail17trampoline_kernelINS0_14default_configENS1_35radix_sort_onesweep_config_selectorIslEEZZNS1_29radix_sort_onesweep_iterationIS3_Lb0EPsS7_N6thrust23THRUST_200600_302600_NS10device_ptrIlEESB_jNS0_19identity_decomposerENS1_16block_id_wrapperIjLb0EEEEE10hipError_tT1_PNSt15iterator_traitsISG_E10value_typeET2_T3_PNSH_ISM_E10value_typeET4_T5_PSR_SS_PNS1_23onesweep_lookback_stateEbbT6_jjT7_P12ihipStream_tbENKUlT_T0_SG_SL_E_clIS7_S7_SB_PlEEDaSZ_S10_SG_SL_EUlSZ_E_NS1_11comp_targetILNS1_3genE9ELNS1_11target_archE1100ELNS1_3gpuE3ELNS1_3repE0EEENS1_47radix_sort_onesweep_sort_config_static_selectorELNS0_4arch9wavefront6targetE1EEEvSG_.private_seg_size, 0
	.set _ZN7rocprim17ROCPRIM_400000_NS6detail17trampoline_kernelINS0_14default_configENS1_35radix_sort_onesweep_config_selectorIslEEZZNS1_29radix_sort_onesweep_iterationIS3_Lb0EPsS7_N6thrust23THRUST_200600_302600_NS10device_ptrIlEESB_jNS0_19identity_decomposerENS1_16block_id_wrapperIjLb0EEEEE10hipError_tT1_PNSt15iterator_traitsISG_E10value_typeET2_T3_PNSH_ISM_E10value_typeET4_T5_PSR_SS_PNS1_23onesweep_lookback_stateEbbT6_jjT7_P12ihipStream_tbENKUlT_T0_SG_SL_E_clIS7_S7_SB_PlEEDaSZ_S10_SG_SL_EUlSZ_E_NS1_11comp_targetILNS1_3genE9ELNS1_11target_archE1100ELNS1_3gpuE3ELNS1_3repE0EEENS1_47radix_sort_onesweep_sort_config_static_selectorELNS0_4arch9wavefront6targetE1EEEvSG_.uses_vcc, 0
	.set _ZN7rocprim17ROCPRIM_400000_NS6detail17trampoline_kernelINS0_14default_configENS1_35radix_sort_onesweep_config_selectorIslEEZZNS1_29radix_sort_onesweep_iterationIS3_Lb0EPsS7_N6thrust23THRUST_200600_302600_NS10device_ptrIlEESB_jNS0_19identity_decomposerENS1_16block_id_wrapperIjLb0EEEEE10hipError_tT1_PNSt15iterator_traitsISG_E10value_typeET2_T3_PNSH_ISM_E10value_typeET4_T5_PSR_SS_PNS1_23onesweep_lookback_stateEbbT6_jjT7_P12ihipStream_tbENKUlT_T0_SG_SL_E_clIS7_S7_SB_PlEEDaSZ_S10_SG_SL_EUlSZ_E_NS1_11comp_targetILNS1_3genE9ELNS1_11target_archE1100ELNS1_3gpuE3ELNS1_3repE0EEENS1_47radix_sort_onesweep_sort_config_static_selectorELNS0_4arch9wavefront6targetE1EEEvSG_.uses_flat_scratch, 0
	.set _ZN7rocprim17ROCPRIM_400000_NS6detail17trampoline_kernelINS0_14default_configENS1_35radix_sort_onesweep_config_selectorIslEEZZNS1_29radix_sort_onesweep_iterationIS3_Lb0EPsS7_N6thrust23THRUST_200600_302600_NS10device_ptrIlEESB_jNS0_19identity_decomposerENS1_16block_id_wrapperIjLb0EEEEE10hipError_tT1_PNSt15iterator_traitsISG_E10value_typeET2_T3_PNSH_ISM_E10value_typeET4_T5_PSR_SS_PNS1_23onesweep_lookback_stateEbbT6_jjT7_P12ihipStream_tbENKUlT_T0_SG_SL_E_clIS7_S7_SB_PlEEDaSZ_S10_SG_SL_EUlSZ_E_NS1_11comp_targetILNS1_3genE9ELNS1_11target_archE1100ELNS1_3gpuE3ELNS1_3repE0EEENS1_47radix_sort_onesweep_sort_config_static_selectorELNS0_4arch9wavefront6targetE1EEEvSG_.has_dyn_sized_stack, 0
	.set _ZN7rocprim17ROCPRIM_400000_NS6detail17trampoline_kernelINS0_14default_configENS1_35radix_sort_onesweep_config_selectorIslEEZZNS1_29radix_sort_onesweep_iterationIS3_Lb0EPsS7_N6thrust23THRUST_200600_302600_NS10device_ptrIlEESB_jNS0_19identity_decomposerENS1_16block_id_wrapperIjLb0EEEEE10hipError_tT1_PNSt15iterator_traitsISG_E10value_typeET2_T3_PNSH_ISM_E10value_typeET4_T5_PSR_SS_PNS1_23onesweep_lookback_stateEbbT6_jjT7_P12ihipStream_tbENKUlT_T0_SG_SL_E_clIS7_S7_SB_PlEEDaSZ_S10_SG_SL_EUlSZ_E_NS1_11comp_targetILNS1_3genE9ELNS1_11target_archE1100ELNS1_3gpuE3ELNS1_3repE0EEENS1_47radix_sort_onesweep_sort_config_static_selectorELNS0_4arch9wavefront6targetE1EEEvSG_.has_recursion, 0
	.set _ZN7rocprim17ROCPRIM_400000_NS6detail17trampoline_kernelINS0_14default_configENS1_35radix_sort_onesweep_config_selectorIslEEZZNS1_29radix_sort_onesweep_iterationIS3_Lb0EPsS7_N6thrust23THRUST_200600_302600_NS10device_ptrIlEESB_jNS0_19identity_decomposerENS1_16block_id_wrapperIjLb0EEEEE10hipError_tT1_PNSt15iterator_traitsISG_E10value_typeET2_T3_PNSH_ISM_E10value_typeET4_T5_PSR_SS_PNS1_23onesweep_lookback_stateEbbT6_jjT7_P12ihipStream_tbENKUlT_T0_SG_SL_E_clIS7_S7_SB_PlEEDaSZ_S10_SG_SL_EUlSZ_E_NS1_11comp_targetILNS1_3genE9ELNS1_11target_archE1100ELNS1_3gpuE3ELNS1_3repE0EEENS1_47radix_sort_onesweep_sort_config_static_selectorELNS0_4arch9wavefront6targetE1EEEvSG_.has_indirect_call, 0
	.section	.AMDGPU.csdata,"",@progbits
; Kernel info:
; codeLenInByte = 0
; TotalNumSgprs: 4
; NumVgprs: 0
; ScratchSize: 0
; MemoryBound: 0
; FloatMode: 240
; IeeeMode: 1
; LDSByteSize: 0 bytes/workgroup (compile time only)
; SGPRBlocks: 0
; VGPRBlocks: 0
; NumSGPRsForWavesPerEU: 4
; NumVGPRsForWavesPerEU: 1
; Occupancy: 10
; WaveLimiterHint : 0
; COMPUTE_PGM_RSRC2:SCRATCH_EN: 0
; COMPUTE_PGM_RSRC2:USER_SGPR: 6
; COMPUTE_PGM_RSRC2:TRAP_HANDLER: 0
; COMPUTE_PGM_RSRC2:TGID_X_EN: 1
; COMPUTE_PGM_RSRC2:TGID_Y_EN: 0
; COMPUTE_PGM_RSRC2:TGID_Z_EN: 0
; COMPUTE_PGM_RSRC2:TIDIG_COMP_CNT: 0
	.section	.text._ZN7rocprim17ROCPRIM_400000_NS6detail17trampoline_kernelINS0_14default_configENS1_35radix_sort_onesweep_config_selectorIslEEZZNS1_29radix_sort_onesweep_iterationIS3_Lb0EPsS7_N6thrust23THRUST_200600_302600_NS10device_ptrIlEESB_jNS0_19identity_decomposerENS1_16block_id_wrapperIjLb0EEEEE10hipError_tT1_PNSt15iterator_traitsISG_E10value_typeET2_T3_PNSH_ISM_E10value_typeET4_T5_PSR_SS_PNS1_23onesweep_lookback_stateEbbT6_jjT7_P12ihipStream_tbENKUlT_T0_SG_SL_E_clIS7_S7_SB_PlEEDaSZ_S10_SG_SL_EUlSZ_E_NS1_11comp_targetILNS1_3genE8ELNS1_11target_archE1030ELNS1_3gpuE2ELNS1_3repE0EEENS1_47radix_sort_onesweep_sort_config_static_selectorELNS0_4arch9wavefront6targetE1EEEvSG_,"axG",@progbits,_ZN7rocprim17ROCPRIM_400000_NS6detail17trampoline_kernelINS0_14default_configENS1_35radix_sort_onesweep_config_selectorIslEEZZNS1_29radix_sort_onesweep_iterationIS3_Lb0EPsS7_N6thrust23THRUST_200600_302600_NS10device_ptrIlEESB_jNS0_19identity_decomposerENS1_16block_id_wrapperIjLb0EEEEE10hipError_tT1_PNSt15iterator_traitsISG_E10value_typeET2_T3_PNSH_ISM_E10value_typeET4_T5_PSR_SS_PNS1_23onesweep_lookback_stateEbbT6_jjT7_P12ihipStream_tbENKUlT_T0_SG_SL_E_clIS7_S7_SB_PlEEDaSZ_S10_SG_SL_EUlSZ_E_NS1_11comp_targetILNS1_3genE8ELNS1_11target_archE1030ELNS1_3gpuE2ELNS1_3repE0EEENS1_47radix_sort_onesweep_sort_config_static_selectorELNS0_4arch9wavefront6targetE1EEEvSG_,comdat
	.protected	_ZN7rocprim17ROCPRIM_400000_NS6detail17trampoline_kernelINS0_14default_configENS1_35radix_sort_onesweep_config_selectorIslEEZZNS1_29radix_sort_onesweep_iterationIS3_Lb0EPsS7_N6thrust23THRUST_200600_302600_NS10device_ptrIlEESB_jNS0_19identity_decomposerENS1_16block_id_wrapperIjLb0EEEEE10hipError_tT1_PNSt15iterator_traitsISG_E10value_typeET2_T3_PNSH_ISM_E10value_typeET4_T5_PSR_SS_PNS1_23onesweep_lookback_stateEbbT6_jjT7_P12ihipStream_tbENKUlT_T0_SG_SL_E_clIS7_S7_SB_PlEEDaSZ_S10_SG_SL_EUlSZ_E_NS1_11comp_targetILNS1_3genE8ELNS1_11target_archE1030ELNS1_3gpuE2ELNS1_3repE0EEENS1_47radix_sort_onesweep_sort_config_static_selectorELNS0_4arch9wavefront6targetE1EEEvSG_ ; -- Begin function _ZN7rocprim17ROCPRIM_400000_NS6detail17trampoline_kernelINS0_14default_configENS1_35radix_sort_onesweep_config_selectorIslEEZZNS1_29radix_sort_onesweep_iterationIS3_Lb0EPsS7_N6thrust23THRUST_200600_302600_NS10device_ptrIlEESB_jNS0_19identity_decomposerENS1_16block_id_wrapperIjLb0EEEEE10hipError_tT1_PNSt15iterator_traitsISG_E10value_typeET2_T3_PNSH_ISM_E10value_typeET4_T5_PSR_SS_PNS1_23onesweep_lookback_stateEbbT6_jjT7_P12ihipStream_tbENKUlT_T0_SG_SL_E_clIS7_S7_SB_PlEEDaSZ_S10_SG_SL_EUlSZ_E_NS1_11comp_targetILNS1_3genE8ELNS1_11target_archE1030ELNS1_3gpuE2ELNS1_3repE0EEENS1_47radix_sort_onesweep_sort_config_static_selectorELNS0_4arch9wavefront6targetE1EEEvSG_
	.globl	_ZN7rocprim17ROCPRIM_400000_NS6detail17trampoline_kernelINS0_14default_configENS1_35radix_sort_onesweep_config_selectorIslEEZZNS1_29radix_sort_onesweep_iterationIS3_Lb0EPsS7_N6thrust23THRUST_200600_302600_NS10device_ptrIlEESB_jNS0_19identity_decomposerENS1_16block_id_wrapperIjLb0EEEEE10hipError_tT1_PNSt15iterator_traitsISG_E10value_typeET2_T3_PNSH_ISM_E10value_typeET4_T5_PSR_SS_PNS1_23onesweep_lookback_stateEbbT6_jjT7_P12ihipStream_tbENKUlT_T0_SG_SL_E_clIS7_S7_SB_PlEEDaSZ_S10_SG_SL_EUlSZ_E_NS1_11comp_targetILNS1_3genE8ELNS1_11target_archE1030ELNS1_3gpuE2ELNS1_3repE0EEENS1_47radix_sort_onesweep_sort_config_static_selectorELNS0_4arch9wavefront6targetE1EEEvSG_
	.p2align	8
	.type	_ZN7rocprim17ROCPRIM_400000_NS6detail17trampoline_kernelINS0_14default_configENS1_35radix_sort_onesweep_config_selectorIslEEZZNS1_29radix_sort_onesweep_iterationIS3_Lb0EPsS7_N6thrust23THRUST_200600_302600_NS10device_ptrIlEESB_jNS0_19identity_decomposerENS1_16block_id_wrapperIjLb0EEEEE10hipError_tT1_PNSt15iterator_traitsISG_E10value_typeET2_T3_PNSH_ISM_E10value_typeET4_T5_PSR_SS_PNS1_23onesweep_lookback_stateEbbT6_jjT7_P12ihipStream_tbENKUlT_T0_SG_SL_E_clIS7_S7_SB_PlEEDaSZ_S10_SG_SL_EUlSZ_E_NS1_11comp_targetILNS1_3genE8ELNS1_11target_archE1030ELNS1_3gpuE2ELNS1_3repE0EEENS1_47radix_sort_onesweep_sort_config_static_selectorELNS0_4arch9wavefront6targetE1EEEvSG_,@function
_ZN7rocprim17ROCPRIM_400000_NS6detail17trampoline_kernelINS0_14default_configENS1_35radix_sort_onesweep_config_selectorIslEEZZNS1_29radix_sort_onesweep_iterationIS3_Lb0EPsS7_N6thrust23THRUST_200600_302600_NS10device_ptrIlEESB_jNS0_19identity_decomposerENS1_16block_id_wrapperIjLb0EEEEE10hipError_tT1_PNSt15iterator_traitsISG_E10value_typeET2_T3_PNSH_ISM_E10value_typeET4_T5_PSR_SS_PNS1_23onesweep_lookback_stateEbbT6_jjT7_P12ihipStream_tbENKUlT_T0_SG_SL_E_clIS7_S7_SB_PlEEDaSZ_S10_SG_SL_EUlSZ_E_NS1_11comp_targetILNS1_3genE8ELNS1_11target_archE1030ELNS1_3gpuE2ELNS1_3repE0EEENS1_47radix_sort_onesweep_sort_config_static_selectorELNS0_4arch9wavefront6targetE1EEEvSG_: ; @_ZN7rocprim17ROCPRIM_400000_NS6detail17trampoline_kernelINS0_14default_configENS1_35radix_sort_onesweep_config_selectorIslEEZZNS1_29radix_sort_onesweep_iterationIS3_Lb0EPsS7_N6thrust23THRUST_200600_302600_NS10device_ptrIlEESB_jNS0_19identity_decomposerENS1_16block_id_wrapperIjLb0EEEEE10hipError_tT1_PNSt15iterator_traitsISG_E10value_typeET2_T3_PNSH_ISM_E10value_typeET4_T5_PSR_SS_PNS1_23onesweep_lookback_stateEbbT6_jjT7_P12ihipStream_tbENKUlT_T0_SG_SL_E_clIS7_S7_SB_PlEEDaSZ_S10_SG_SL_EUlSZ_E_NS1_11comp_targetILNS1_3genE8ELNS1_11target_archE1030ELNS1_3gpuE2ELNS1_3repE0EEENS1_47radix_sort_onesweep_sort_config_static_selectorELNS0_4arch9wavefront6targetE1EEEvSG_
; %bb.0:
	.section	.rodata,"a",@progbits
	.p2align	6, 0x0
	.amdhsa_kernel _ZN7rocprim17ROCPRIM_400000_NS6detail17trampoline_kernelINS0_14default_configENS1_35radix_sort_onesweep_config_selectorIslEEZZNS1_29radix_sort_onesweep_iterationIS3_Lb0EPsS7_N6thrust23THRUST_200600_302600_NS10device_ptrIlEESB_jNS0_19identity_decomposerENS1_16block_id_wrapperIjLb0EEEEE10hipError_tT1_PNSt15iterator_traitsISG_E10value_typeET2_T3_PNSH_ISM_E10value_typeET4_T5_PSR_SS_PNS1_23onesweep_lookback_stateEbbT6_jjT7_P12ihipStream_tbENKUlT_T0_SG_SL_E_clIS7_S7_SB_PlEEDaSZ_S10_SG_SL_EUlSZ_E_NS1_11comp_targetILNS1_3genE8ELNS1_11target_archE1030ELNS1_3gpuE2ELNS1_3repE0EEENS1_47radix_sort_onesweep_sort_config_static_selectorELNS0_4arch9wavefront6targetE1EEEvSG_
		.amdhsa_group_segment_fixed_size 0
		.amdhsa_private_segment_fixed_size 0
		.amdhsa_kernarg_size 88
		.amdhsa_user_sgpr_count 6
		.amdhsa_user_sgpr_private_segment_buffer 1
		.amdhsa_user_sgpr_dispatch_ptr 0
		.amdhsa_user_sgpr_queue_ptr 0
		.amdhsa_user_sgpr_kernarg_segment_ptr 1
		.amdhsa_user_sgpr_dispatch_id 0
		.amdhsa_user_sgpr_flat_scratch_init 0
		.amdhsa_user_sgpr_private_segment_size 0
		.amdhsa_uses_dynamic_stack 0
		.amdhsa_system_sgpr_private_segment_wavefront_offset 0
		.amdhsa_system_sgpr_workgroup_id_x 1
		.amdhsa_system_sgpr_workgroup_id_y 0
		.amdhsa_system_sgpr_workgroup_id_z 0
		.amdhsa_system_sgpr_workgroup_info 0
		.amdhsa_system_vgpr_workitem_id 0
		.amdhsa_next_free_vgpr 1
		.amdhsa_next_free_sgpr 0
		.amdhsa_reserve_vcc 0
		.amdhsa_reserve_flat_scratch 0
		.amdhsa_float_round_mode_32 0
		.amdhsa_float_round_mode_16_64 0
		.amdhsa_float_denorm_mode_32 3
		.amdhsa_float_denorm_mode_16_64 3
		.amdhsa_dx10_clamp 1
		.amdhsa_ieee_mode 1
		.amdhsa_fp16_overflow 0
		.amdhsa_exception_fp_ieee_invalid_op 0
		.amdhsa_exception_fp_denorm_src 0
		.amdhsa_exception_fp_ieee_div_zero 0
		.amdhsa_exception_fp_ieee_overflow 0
		.amdhsa_exception_fp_ieee_underflow 0
		.amdhsa_exception_fp_ieee_inexact 0
		.amdhsa_exception_int_div_zero 0
	.end_amdhsa_kernel
	.section	.text._ZN7rocprim17ROCPRIM_400000_NS6detail17trampoline_kernelINS0_14default_configENS1_35radix_sort_onesweep_config_selectorIslEEZZNS1_29radix_sort_onesweep_iterationIS3_Lb0EPsS7_N6thrust23THRUST_200600_302600_NS10device_ptrIlEESB_jNS0_19identity_decomposerENS1_16block_id_wrapperIjLb0EEEEE10hipError_tT1_PNSt15iterator_traitsISG_E10value_typeET2_T3_PNSH_ISM_E10value_typeET4_T5_PSR_SS_PNS1_23onesweep_lookback_stateEbbT6_jjT7_P12ihipStream_tbENKUlT_T0_SG_SL_E_clIS7_S7_SB_PlEEDaSZ_S10_SG_SL_EUlSZ_E_NS1_11comp_targetILNS1_3genE8ELNS1_11target_archE1030ELNS1_3gpuE2ELNS1_3repE0EEENS1_47radix_sort_onesweep_sort_config_static_selectorELNS0_4arch9wavefront6targetE1EEEvSG_,"axG",@progbits,_ZN7rocprim17ROCPRIM_400000_NS6detail17trampoline_kernelINS0_14default_configENS1_35radix_sort_onesweep_config_selectorIslEEZZNS1_29radix_sort_onesweep_iterationIS3_Lb0EPsS7_N6thrust23THRUST_200600_302600_NS10device_ptrIlEESB_jNS0_19identity_decomposerENS1_16block_id_wrapperIjLb0EEEEE10hipError_tT1_PNSt15iterator_traitsISG_E10value_typeET2_T3_PNSH_ISM_E10value_typeET4_T5_PSR_SS_PNS1_23onesweep_lookback_stateEbbT6_jjT7_P12ihipStream_tbENKUlT_T0_SG_SL_E_clIS7_S7_SB_PlEEDaSZ_S10_SG_SL_EUlSZ_E_NS1_11comp_targetILNS1_3genE8ELNS1_11target_archE1030ELNS1_3gpuE2ELNS1_3repE0EEENS1_47radix_sort_onesweep_sort_config_static_selectorELNS0_4arch9wavefront6targetE1EEEvSG_,comdat
.Lfunc_end1442:
	.size	_ZN7rocprim17ROCPRIM_400000_NS6detail17trampoline_kernelINS0_14default_configENS1_35radix_sort_onesweep_config_selectorIslEEZZNS1_29radix_sort_onesweep_iterationIS3_Lb0EPsS7_N6thrust23THRUST_200600_302600_NS10device_ptrIlEESB_jNS0_19identity_decomposerENS1_16block_id_wrapperIjLb0EEEEE10hipError_tT1_PNSt15iterator_traitsISG_E10value_typeET2_T3_PNSH_ISM_E10value_typeET4_T5_PSR_SS_PNS1_23onesweep_lookback_stateEbbT6_jjT7_P12ihipStream_tbENKUlT_T0_SG_SL_E_clIS7_S7_SB_PlEEDaSZ_S10_SG_SL_EUlSZ_E_NS1_11comp_targetILNS1_3genE8ELNS1_11target_archE1030ELNS1_3gpuE2ELNS1_3repE0EEENS1_47radix_sort_onesweep_sort_config_static_selectorELNS0_4arch9wavefront6targetE1EEEvSG_, .Lfunc_end1442-_ZN7rocprim17ROCPRIM_400000_NS6detail17trampoline_kernelINS0_14default_configENS1_35radix_sort_onesweep_config_selectorIslEEZZNS1_29radix_sort_onesweep_iterationIS3_Lb0EPsS7_N6thrust23THRUST_200600_302600_NS10device_ptrIlEESB_jNS0_19identity_decomposerENS1_16block_id_wrapperIjLb0EEEEE10hipError_tT1_PNSt15iterator_traitsISG_E10value_typeET2_T3_PNSH_ISM_E10value_typeET4_T5_PSR_SS_PNS1_23onesweep_lookback_stateEbbT6_jjT7_P12ihipStream_tbENKUlT_T0_SG_SL_E_clIS7_S7_SB_PlEEDaSZ_S10_SG_SL_EUlSZ_E_NS1_11comp_targetILNS1_3genE8ELNS1_11target_archE1030ELNS1_3gpuE2ELNS1_3repE0EEENS1_47radix_sort_onesweep_sort_config_static_selectorELNS0_4arch9wavefront6targetE1EEEvSG_
                                        ; -- End function
	.set _ZN7rocprim17ROCPRIM_400000_NS6detail17trampoline_kernelINS0_14default_configENS1_35radix_sort_onesweep_config_selectorIslEEZZNS1_29radix_sort_onesweep_iterationIS3_Lb0EPsS7_N6thrust23THRUST_200600_302600_NS10device_ptrIlEESB_jNS0_19identity_decomposerENS1_16block_id_wrapperIjLb0EEEEE10hipError_tT1_PNSt15iterator_traitsISG_E10value_typeET2_T3_PNSH_ISM_E10value_typeET4_T5_PSR_SS_PNS1_23onesweep_lookback_stateEbbT6_jjT7_P12ihipStream_tbENKUlT_T0_SG_SL_E_clIS7_S7_SB_PlEEDaSZ_S10_SG_SL_EUlSZ_E_NS1_11comp_targetILNS1_3genE8ELNS1_11target_archE1030ELNS1_3gpuE2ELNS1_3repE0EEENS1_47radix_sort_onesweep_sort_config_static_selectorELNS0_4arch9wavefront6targetE1EEEvSG_.num_vgpr, 0
	.set _ZN7rocprim17ROCPRIM_400000_NS6detail17trampoline_kernelINS0_14default_configENS1_35radix_sort_onesweep_config_selectorIslEEZZNS1_29radix_sort_onesweep_iterationIS3_Lb0EPsS7_N6thrust23THRUST_200600_302600_NS10device_ptrIlEESB_jNS0_19identity_decomposerENS1_16block_id_wrapperIjLb0EEEEE10hipError_tT1_PNSt15iterator_traitsISG_E10value_typeET2_T3_PNSH_ISM_E10value_typeET4_T5_PSR_SS_PNS1_23onesweep_lookback_stateEbbT6_jjT7_P12ihipStream_tbENKUlT_T0_SG_SL_E_clIS7_S7_SB_PlEEDaSZ_S10_SG_SL_EUlSZ_E_NS1_11comp_targetILNS1_3genE8ELNS1_11target_archE1030ELNS1_3gpuE2ELNS1_3repE0EEENS1_47radix_sort_onesweep_sort_config_static_selectorELNS0_4arch9wavefront6targetE1EEEvSG_.num_agpr, 0
	.set _ZN7rocprim17ROCPRIM_400000_NS6detail17trampoline_kernelINS0_14default_configENS1_35radix_sort_onesweep_config_selectorIslEEZZNS1_29radix_sort_onesweep_iterationIS3_Lb0EPsS7_N6thrust23THRUST_200600_302600_NS10device_ptrIlEESB_jNS0_19identity_decomposerENS1_16block_id_wrapperIjLb0EEEEE10hipError_tT1_PNSt15iterator_traitsISG_E10value_typeET2_T3_PNSH_ISM_E10value_typeET4_T5_PSR_SS_PNS1_23onesweep_lookback_stateEbbT6_jjT7_P12ihipStream_tbENKUlT_T0_SG_SL_E_clIS7_S7_SB_PlEEDaSZ_S10_SG_SL_EUlSZ_E_NS1_11comp_targetILNS1_3genE8ELNS1_11target_archE1030ELNS1_3gpuE2ELNS1_3repE0EEENS1_47radix_sort_onesweep_sort_config_static_selectorELNS0_4arch9wavefront6targetE1EEEvSG_.numbered_sgpr, 0
	.set _ZN7rocprim17ROCPRIM_400000_NS6detail17trampoline_kernelINS0_14default_configENS1_35radix_sort_onesweep_config_selectorIslEEZZNS1_29radix_sort_onesweep_iterationIS3_Lb0EPsS7_N6thrust23THRUST_200600_302600_NS10device_ptrIlEESB_jNS0_19identity_decomposerENS1_16block_id_wrapperIjLb0EEEEE10hipError_tT1_PNSt15iterator_traitsISG_E10value_typeET2_T3_PNSH_ISM_E10value_typeET4_T5_PSR_SS_PNS1_23onesweep_lookback_stateEbbT6_jjT7_P12ihipStream_tbENKUlT_T0_SG_SL_E_clIS7_S7_SB_PlEEDaSZ_S10_SG_SL_EUlSZ_E_NS1_11comp_targetILNS1_3genE8ELNS1_11target_archE1030ELNS1_3gpuE2ELNS1_3repE0EEENS1_47radix_sort_onesweep_sort_config_static_selectorELNS0_4arch9wavefront6targetE1EEEvSG_.num_named_barrier, 0
	.set _ZN7rocprim17ROCPRIM_400000_NS6detail17trampoline_kernelINS0_14default_configENS1_35radix_sort_onesweep_config_selectorIslEEZZNS1_29radix_sort_onesweep_iterationIS3_Lb0EPsS7_N6thrust23THRUST_200600_302600_NS10device_ptrIlEESB_jNS0_19identity_decomposerENS1_16block_id_wrapperIjLb0EEEEE10hipError_tT1_PNSt15iterator_traitsISG_E10value_typeET2_T3_PNSH_ISM_E10value_typeET4_T5_PSR_SS_PNS1_23onesweep_lookback_stateEbbT6_jjT7_P12ihipStream_tbENKUlT_T0_SG_SL_E_clIS7_S7_SB_PlEEDaSZ_S10_SG_SL_EUlSZ_E_NS1_11comp_targetILNS1_3genE8ELNS1_11target_archE1030ELNS1_3gpuE2ELNS1_3repE0EEENS1_47radix_sort_onesweep_sort_config_static_selectorELNS0_4arch9wavefront6targetE1EEEvSG_.private_seg_size, 0
	.set _ZN7rocprim17ROCPRIM_400000_NS6detail17trampoline_kernelINS0_14default_configENS1_35radix_sort_onesweep_config_selectorIslEEZZNS1_29radix_sort_onesweep_iterationIS3_Lb0EPsS7_N6thrust23THRUST_200600_302600_NS10device_ptrIlEESB_jNS0_19identity_decomposerENS1_16block_id_wrapperIjLb0EEEEE10hipError_tT1_PNSt15iterator_traitsISG_E10value_typeET2_T3_PNSH_ISM_E10value_typeET4_T5_PSR_SS_PNS1_23onesweep_lookback_stateEbbT6_jjT7_P12ihipStream_tbENKUlT_T0_SG_SL_E_clIS7_S7_SB_PlEEDaSZ_S10_SG_SL_EUlSZ_E_NS1_11comp_targetILNS1_3genE8ELNS1_11target_archE1030ELNS1_3gpuE2ELNS1_3repE0EEENS1_47radix_sort_onesweep_sort_config_static_selectorELNS0_4arch9wavefront6targetE1EEEvSG_.uses_vcc, 0
	.set _ZN7rocprim17ROCPRIM_400000_NS6detail17trampoline_kernelINS0_14default_configENS1_35radix_sort_onesweep_config_selectorIslEEZZNS1_29radix_sort_onesweep_iterationIS3_Lb0EPsS7_N6thrust23THRUST_200600_302600_NS10device_ptrIlEESB_jNS0_19identity_decomposerENS1_16block_id_wrapperIjLb0EEEEE10hipError_tT1_PNSt15iterator_traitsISG_E10value_typeET2_T3_PNSH_ISM_E10value_typeET4_T5_PSR_SS_PNS1_23onesweep_lookback_stateEbbT6_jjT7_P12ihipStream_tbENKUlT_T0_SG_SL_E_clIS7_S7_SB_PlEEDaSZ_S10_SG_SL_EUlSZ_E_NS1_11comp_targetILNS1_3genE8ELNS1_11target_archE1030ELNS1_3gpuE2ELNS1_3repE0EEENS1_47radix_sort_onesweep_sort_config_static_selectorELNS0_4arch9wavefront6targetE1EEEvSG_.uses_flat_scratch, 0
	.set _ZN7rocprim17ROCPRIM_400000_NS6detail17trampoline_kernelINS0_14default_configENS1_35radix_sort_onesweep_config_selectorIslEEZZNS1_29radix_sort_onesweep_iterationIS3_Lb0EPsS7_N6thrust23THRUST_200600_302600_NS10device_ptrIlEESB_jNS0_19identity_decomposerENS1_16block_id_wrapperIjLb0EEEEE10hipError_tT1_PNSt15iterator_traitsISG_E10value_typeET2_T3_PNSH_ISM_E10value_typeET4_T5_PSR_SS_PNS1_23onesweep_lookback_stateEbbT6_jjT7_P12ihipStream_tbENKUlT_T0_SG_SL_E_clIS7_S7_SB_PlEEDaSZ_S10_SG_SL_EUlSZ_E_NS1_11comp_targetILNS1_3genE8ELNS1_11target_archE1030ELNS1_3gpuE2ELNS1_3repE0EEENS1_47radix_sort_onesweep_sort_config_static_selectorELNS0_4arch9wavefront6targetE1EEEvSG_.has_dyn_sized_stack, 0
	.set _ZN7rocprim17ROCPRIM_400000_NS6detail17trampoline_kernelINS0_14default_configENS1_35radix_sort_onesweep_config_selectorIslEEZZNS1_29radix_sort_onesweep_iterationIS3_Lb0EPsS7_N6thrust23THRUST_200600_302600_NS10device_ptrIlEESB_jNS0_19identity_decomposerENS1_16block_id_wrapperIjLb0EEEEE10hipError_tT1_PNSt15iterator_traitsISG_E10value_typeET2_T3_PNSH_ISM_E10value_typeET4_T5_PSR_SS_PNS1_23onesweep_lookback_stateEbbT6_jjT7_P12ihipStream_tbENKUlT_T0_SG_SL_E_clIS7_S7_SB_PlEEDaSZ_S10_SG_SL_EUlSZ_E_NS1_11comp_targetILNS1_3genE8ELNS1_11target_archE1030ELNS1_3gpuE2ELNS1_3repE0EEENS1_47radix_sort_onesweep_sort_config_static_selectorELNS0_4arch9wavefront6targetE1EEEvSG_.has_recursion, 0
	.set _ZN7rocprim17ROCPRIM_400000_NS6detail17trampoline_kernelINS0_14default_configENS1_35radix_sort_onesweep_config_selectorIslEEZZNS1_29radix_sort_onesweep_iterationIS3_Lb0EPsS7_N6thrust23THRUST_200600_302600_NS10device_ptrIlEESB_jNS0_19identity_decomposerENS1_16block_id_wrapperIjLb0EEEEE10hipError_tT1_PNSt15iterator_traitsISG_E10value_typeET2_T3_PNSH_ISM_E10value_typeET4_T5_PSR_SS_PNS1_23onesweep_lookback_stateEbbT6_jjT7_P12ihipStream_tbENKUlT_T0_SG_SL_E_clIS7_S7_SB_PlEEDaSZ_S10_SG_SL_EUlSZ_E_NS1_11comp_targetILNS1_3genE8ELNS1_11target_archE1030ELNS1_3gpuE2ELNS1_3repE0EEENS1_47radix_sort_onesweep_sort_config_static_selectorELNS0_4arch9wavefront6targetE1EEEvSG_.has_indirect_call, 0
	.section	.AMDGPU.csdata,"",@progbits
; Kernel info:
; codeLenInByte = 0
; TotalNumSgprs: 4
; NumVgprs: 0
; ScratchSize: 0
; MemoryBound: 0
; FloatMode: 240
; IeeeMode: 1
; LDSByteSize: 0 bytes/workgroup (compile time only)
; SGPRBlocks: 0
; VGPRBlocks: 0
; NumSGPRsForWavesPerEU: 4
; NumVGPRsForWavesPerEU: 1
; Occupancy: 10
; WaveLimiterHint : 0
; COMPUTE_PGM_RSRC2:SCRATCH_EN: 0
; COMPUTE_PGM_RSRC2:USER_SGPR: 6
; COMPUTE_PGM_RSRC2:TRAP_HANDLER: 0
; COMPUTE_PGM_RSRC2:TGID_X_EN: 1
; COMPUTE_PGM_RSRC2:TGID_Y_EN: 0
; COMPUTE_PGM_RSRC2:TGID_Z_EN: 0
; COMPUTE_PGM_RSRC2:TIDIG_COMP_CNT: 0
	.section	.text._ZN7rocprim17ROCPRIM_400000_NS6detail17trampoline_kernelINS0_14default_configENS1_35radix_sort_onesweep_config_selectorIslEEZZNS1_29radix_sort_onesweep_iterationIS3_Lb0EPsS7_N6thrust23THRUST_200600_302600_NS10device_ptrIlEESB_jNS0_19identity_decomposerENS1_16block_id_wrapperIjLb0EEEEE10hipError_tT1_PNSt15iterator_traitsISG_E10value_typeET2_T3_PNSH_ISM_E10value_typeET4_T5_PSR_SS_PNS1_23onesweep_lookback_stateEbbT6_jjT7_P12ihipStream_tbENKUlT_T0_SG_SL_E_clIS7_S7_PlSB_EEDaSZ_S10_SG_SL_EUlSZ_E_NS1_11comp_targetILNS1_3genE0ELNS1_11target_archE4294967295ELNS1_3gpuE0ELNS1_3repE0EEENS1_47radix_sort_onesweep_sort_config_static_selectorELNS0_4arch9wavefront6targetE1EEEvSG_,"axG",@progbits,_ZN7rocprim17ROCPRIM_400000_NS6detail17trampoline_kernelINS0_14default_configENS1_35radix_sort_onesweep_config_selectorIslEEZZNS1_29radix_sort_onesweep_iterationIS3_Lb0EPsS7_N6thrust23THRUST_200600_302600_NS10device_ptrIlEESB_jNS0_19identity_decomposerENS1_16block_id_wrapperIjLb0EEEEE10hipError_tT1_PNSt15iterator_traitsISG_E10value_typeET2_T3_PNSH_ISM_E10value_typeET4_T5_PSR_SS_PNS1_23onesweep_lookback_stateEbbT6_jjT7_P12ihipStream_tbENKUlT_T0_SG_SL_E_clIS7_S7_PlSB_EEDaSZ_S10_SG_SL_EUlSZ_E_NS1_11comp_targetILNS1_3genE0ELNS1_11target_archE4294967295ELNS1_3gpuE0ELNS1_3repE0EEENS1_47radix_sort_onesweep_sort_config_static_selectorELNS0_4arch9wavefront6targetE1EEEvSG_,comdat
	.protected	_ZN7rocprim17ROCPRIM_400000_NS6detail17trampoline_kernelINS0_14default_configENS1_35radix_sort_onesweep_config_selectorIslEEZZNS1_29radix_sort_onesweep_iterationIS3_Lb0EPsS7_N6thrust23THRUST_200600_302600_NS10device_ptrIlEESB_jNS0_19identity_decomposerENS1_16block_id_wrapperIjLb0EEEEE10hipError_tT1_PNSt15iterator_traitsISG_E10value_typeET2_T3_PNSH_ISM_E10value_typeET4_T5_PSR_SS_PNS1_23onesweep_lookback_stateEbbT6_jjT7_P12ihipStream_tbENKUlT_T0_SG_SL_E_clIS7_S7_PlSB_EEDaSZ_S10_SG_SL_EUlSZ_E_NS1_11comp_targetILNS1_3genE0ELNS1_11target_archE4294967295ELNS1_3gpuE0ELNS1_3repE0EEENS1_47radix_sort_onesweep_sort_config_static_selectorELNS0_4arch9wavefront6targetE1EEEvSG_ ; -- Begin function _ZN7rocprim17ROCPRIM_400000_NS6detail17trampoline_kernelINS0_14default_configENS1_35radix_sort_onesweep_config_selectorIslEEZZNS1_29radix_sort_onesweep_iterationIS3_Lb0EPsS7_N6thrust23THRUST_200600_302600_NS10device_ptrIlEESB_jNS0_19identity_decomposerENS1_16block_id_wrapperIjLb0EEEEE10hipError_tT1_PNSt15iterator_traitsISG_E10value_typeET2_T3_PNSH_ISM_E10value_typeET4_T5_PSR_SS_PNS1_23onesweep_lookback_stateEbbT6_jjT7_P12ihipStream_tbENKUlT_T0_SG_SL_E_clIS7_S7_PlSB_EEDaSZ_S10_SG_SL_EUlSZ_E_NS1_11comp_targetILNS1_3genE0ELNS1_11target_archE4294967295ELNS1_3gpuE0ELNS1_3repE0EEENS1_47radix_sort_onesweep_sort_config_static_selectorELNS0_4arch9wavefront6targetE1EEEvSG_
	.globl	_ZN7rocprim17ROCPRIM_400000_NS6detail17trampoline_kernelINS0_14default_configENS1_35radix_sort_onesweep_config_selectorIslEEZZNS1_29radix_sort_onesweep_iterationIS3_Lb0EPsS7_N6thrust23THRUST_200600_302600_NS10device_ptrIlEESB_jNS0_19identity_decomposerENS1_16block_id_wrapperIjLb0EEEEE10hipError_tT1_PNSt15iterator_traitsISG_E10value_typeET2_T3_PNSH_ISM_E10value_typeET4_T5_PSR_SS_PNS1_23onesweep_lookback_stateEbbT6_jjT7_P12ihipStream_tbENKUlT_T0_SG_SL_E_clIS7_S7_PlSB_EEDaSZ_S10_SG_SL_EUlSZ_E_NS1_11comp_targetILNS1_3genE0ELNS1_11target_archE4294967295ELNS1_3gpuE0ELNS1_3repE0EEENS1_47radix_sort_onesweep_sort_config_static_selectorELNS0_4arch9wavefront6targetE1EEEvSG_
	.p2align	8
	.type	_ZN7rocprim17ROCPRIM_400000_NS6detail17trampoline_kernelINS0_14default_configENS1_35radix_sort_onesweep_config_selectorIslEEZZNS1_29radix_sort_onesweep_iterationIS3_Lb0EPsS7_N6thrust23THRUST_200600_302600_NS10device_ptrIlEESB_jNS0_19identity_decomposerENS1_16block_id_wrapperIjLb0EEEEE10hipError_tT1_PNSt15iterator_traitsISG_E10value_typeET2_T3_PNSH_ISM_E10value_typeET4_T5_PSR_SS_PNS1_23onesweep_lookback_stateEbbT6_jjT7_P12ihipStream_tbENKUlT_T0_SG_SL_E_clIS7_S7_PlSB_EEDaSZ_S10_SG_SL_EUlSZ_E_NS1_11comp_targetILNS1_3genE0ELNS1_11target_archE4294967295ELNS1_3gpuE0ELNS1_3repE0EEENS1_47radix_sort_onesweep_sort_config_static_selectorELNS0_4arch9wavefront6targetE1EEEvSG_,@function
_ZN7rocprim17ROCPRIM_400000_NS6detail17trampoline_kernelINS0_14default_configENS1_35radix_sort_onesweep_config_selectorIslEEZZNS1_29radix_sort_onesweep_iterationIS3_Lb0EPsS7_N6thrust23THRUST_200600_302600_NS10device_ptrIlEESB_jNS0_19identity_decomposerENS1_16block_id_wrapperIjLb0EEEEE10hipError_tT1_PNSt15iterator_traitsISG_E10value_typeET2_T3_PNSH_ISM_E10value_typeET4_T5_PSR_SS_PNS1_23onesweep_lookback_stateEbbT6_jjT7_P12ihipStream_tbENKUlT_T0_SG_SL_E_clIS7_S7_PlSB_EEDaSZ_S10_SG_SL_EUlSZ_E_NS1_11comp_targetILNS1_3genE0ELNS1_11target_archE4294967295ELNS1_3gpuE0ELNS1_3repE0EEENS1_47radix_sort_onesweep_sort_config_static_selectorELNS0_4arch9wavefront6targetE1EEEvSG_: ; @_ZN7rocprim17ROCPRIM_400000_NS6detail17trampoline_kernelINS0_14default_configENS1_35radix_sort_onesweep_config_selectorIslEEZZNS1_29radix_sort_onesweep_iterationIS3_Lb0EPsS7_N6thrust23THRUST_200600_302600_NS10device_ptrIlEESB_jNS0_19identity_decomposerENS1_16block_id_wrapperIjLb0EEEEE10hipError_tT1_PNSt15iterator_traitsISG_E10value_typeET2_T3_PNSH_ISM_E10value_typeET4_T5_PSR_SS_PNS1_23onesweep_lookback_stateEbbT6_jjT7_P12ihipStream_tbENKUlT_T0_SG_SL_E_clIS7_S7_PlSB_EEDaSZ_S10_SG_SL_EUlSZ_E_NS1_11comp_targetILNS1_3genE0ELNS1_11target_archE4294967295ELNS1_3gpuE0ELNS1_3repE0EEENS1_47radix_sort_onesweep_sort_config_static_selectorELNS0_4arch9wavefront6targetE1EEEvSG_
; %bb.0:
	.section	.rodata,"a",@progbits
	.p2align	6, 0x0
	.amdhsa_kernel _ZN7rocprim17ROCPRIM_400000_NS6detail17trampoline_kernelINS0_14default_configENS1_35radix_sort_onesweep_config_selectorIslEEZZNS1_29radix_sort_onesweep_iterationIS3_Lb0EPsS7_N6thrust23THRUST_200600_302600_NS10device_ptrIlEESB_jNS0_19identity_decomposerENS1_16block_id_wrapperIjLb0EEEEE10hipError_tT1_PNSt15iterator_traitsISG_E10value_typeET2_T3_PNSH_ISM_E10value_typeET4_T5_PSR_SS_PNS1_23onesweep_lookback_stateEbbT6_jjT7_P12ihipStream_tbENKUlT_T0_SG_SL_E_clIS7_S7_PlSB_EEDaSZ_S10_SG_SL_EUlSZ_E_NS1_11comp_targetILNS1_3genE0ELNS1_11target_archE4294967295ELNS1_3gpuE0ELNS1_3repE0EEENS1_47radix_sort_onesweep_sort_config_static_selectorELNS0_4arch9wavefront6targetE1EEEvSG_
		.amdhsa_group_segment_fixed_size 0
		.amdhsa_private_segment_fixed_size 0
		.amdhsa_kernarg_size 88
		.amdhsa_user_sgpr_count 6
		.amdhsa_user_sgpr_private_segment_buffer 1
		.amdhsa_user_sgpr_dispatch_ptr 0
		.amdhsa_user_sgpr_queue_ptr 0
		.amdhsa_user_sgpr_kernarg_segment_ptr 1
		.amdhsa_user_sgpr_dispatch_id 0
		.amdhsa_user_sgpr_flat_scratch_init 0
		.amdhsa_user_sgpr_private_segment_size 0
		.amdhsa_uses_dynamic_stack 0
		.amdhsa_system_sgpr_private_segment_wavefront_offset 0
		.amdhsa_system_sgpr_workgroup_id_x 1
		.amdhsa_system_sgpr_workgroup_id_y 0
		.amdhsa_system_sgpr_workgroup_id_z 0
		.amdhsa_system_sgpr_workgroup_info 0
		.amdhsa_system_vgpr_workitem_id 0
		.amdhsa_next_free_vgpr 1
		.amdhsa_next_free_sgpr 0
		.amdhsa_reserve_vcc 0
		.amdhsa_reserve_flat_scratch 0
		.amdhsa_float_round_mode_32 0
		.amdhsa_float_round_mode_16_64 0
		.amdhsa_float_denorm_mode_32 3
		.amdhsa_float_denorm_mode_16_64 3
		.amdhsa_dx10_clamp 1
		.amdhsa_ieee_mode 1
		.amdhsa_fp16_overflow 0
		.amdhsa_exception_fp_ieee_invalid_op 0
		.amdhsa_exception_fp_denorm_src 0
		.amdhsa_exception_fp_ieee_div_zero 0
		.amdhsa_exception_fp_ieee_overflow 0
		.amdhsa_exception_fp_ieee_underflow 0
		.amdhsa_exception_fp_ieee_inexact 0
		.amdhsa_exception_int_div_zero 0
	.end_amdhsa_kernel
	.section	.text._ZN7rocprim17ROCPRIM_400000_NS6detail17trampoline_kernelINS0_14default_configENS1_35radix_sort_onesweep_config_selectorIslEEZZNS1_29radix_sort_onesweep_iterationIS3_Lb0EPsS7_N6thrust23THRUST_200600_302600_NS10device_ptrIlEESB_jNS0_19identity_decomposerENS1_16block_id_wrapperIjLb0EEEEE10hipError_tT1_PNSt15iterator_traitsISG_E10value_typeET2_T3_PNSH_ISM_E10value_typeET4_T5_PSR_SS_PNS1_23onesweep_lookback_stateEbbT6_jjT7_P12ihipStream_tbENKUlT_T0_SG_SL_E_clIS7_S7_PlSB_EEDaSZ_S10_SG_SL_EUlSZ_E_NS1_11comp_targetILNS1_3genE0ELNS1_11target_archE4294967295ELNS1_3gpuE0ELNS1_3repE0EEENS1_47radix_sort_onesweep_sort_config_static_selectorELNS0_4arch9wavefront6targetE1EEEvSG_,"axG",@progbits,_ZN7rocprim17ROCPRIM_400000_NS6detail17trampoline_kernelINS0_14default_configENS1_35radix_sort_onesweep_config_selectorIslEEZZNS1_29radix_sort_onesweep_iterationIS3_Lb0EPsS7_N6thrust23THRUST_200600_302600_NS10device_ptrIlEESB_jNS0_19identity_decomposerENS1_16block_id_wrapperIjLb0EEEEE10hipError_tT1_PNSt15iterator_traitsISG_E10value_typeET2_T3_PNSH_ISM_E10value_typeET4_T5_PSR_SS_PNS1_23onesweep_lookback_stateEbbT6_jjT7_P12ihipStream_tbENKUlT_T0_SG_SL_E_clIS7_S7_PlSB_EEDaSZ_S10_SG_SL_EUlSZ_E_NS1_11comp_targetILNS1_3genE0ELNS1_11target_archE4294967295ELNS1_3gpuE0ELNS1_3repE0EEENS1_47radix_sort_onesweep_sort_config_static_selectorELNS0_4arch9wavefront6targetE1EEEvSG_,comdat
.Lfunc_end1443:
	.size	_ZN7rocprim17ROCPRIM_400000_NS6detail17trampoline_kernelINS0_14default_configENS1_35radix_sort_onesweep_config_selectorIslEEZZNS1_29radix_sort_onesweep_iterationIS3_Lb0EPsS7_N6thrust23THRUST_200600_302600_NS10device_ptrIlEESB_jNS0_19identity_decomposerENS1_16block_id_wrapperIjLb0EEEEE10hipError_tT1_PNSt15iterator_traitsISG_E10value_typeET2_T3_PNSH_ISM_E10value_typeET4_T5_PSR_SS_PNS1_23onesweep_lookback_stateEbbT6_jjT7_P12ihipStream_tbENKUlT_T0_SG_SL_E_clIS7_S7_PlSB_EEDaSZ_S10_SG_SL_EUlSZ_E_NS1_11comp_targetILNS1_3genE0ELNS1_11target_archE4294967295ELNS1_3gpuE0ELNS1_3repE0EEENS1_47radix_sort_onesweep_sort_config_static_selectorELNS0_4arch9wavefront6targetE1EEEvSG_, .Lfunc_end1443-_ZN7rocprim17ROCPRIM_400000_NS6detail17trampoline_kernelINS0_14default_configENS1_35radix_sort_onesweep_config_selectorIslEEZZNS1_29radix_sort_onesweep_iterationIS3_Lb0EPsS7_N6thrust23THRUST_200600_302600_NS10device_ptrIlEESB_jNS0_19identity_decomposerENS1_16block_id_wrapperIjLb0EEEEE10hipError_tT1_PNSt15iterator_traitsISG_E10value_typeET2_T3_PNSH_ISM_E10value_typeET4_T5_PSR_SS_PNS1_23onesweep_lookback_stateEbbT6_jjT7_P12ihipStream_tbENKUlT_T0_SG_SL_E_clIS7_S7_PlSB_EEDaSZ_S10_SG_SL_EUlSZ_E_NS1_11comp_targetILNS1_3genE0ELNS1_11target_archE4294967295ELNS1_3gpuE0ELNS1_3repE0EEENS1_47radix_sort_onesweep_sort_config_static_selectorELNS0_4arch9wavefront6targetE1EEEvSG_
                                        ; -- End function
	.set _ZN7rocprim17ROCPRIM_400000_NS6detail17trampoline_kernelINS0_14default_configENS1_35radix_sort_onesweep_config_selectorIslEEZZNS1_29radix_sort_onesweep_iterationIS3_Lb0EPsS7_N6thrust23THRUST_200600_302600_NS10device_ptrIlEESB_jNS0_19identity_decomposerENS1_16block_id_wrapperIjLb0EEEEE10hipError_tT1_PNSt15iterator_traitsISG_E10value_typeET2_T3_PNSH_ISM_E10value_typeET4_T5_PSR_SS_PNS1_23onesweep_lookback_stateEbbT6_jjT7_P12ihipStream_tbENKUlT_T0_SG_SL_E_clIS7_S7_PlSB_EEDaSZ_S10_SG_SL_EUlSZ_E_NS1_11comp_targetILNS1_3genE0ELNS1_11target_archE4294967295ELNS1_3gpuE0ELNS1_3repE0EEENS1_47radix_sort_onesweep_sort_config_static_selectorELNS0_4arch9wavefront6targetE1EEEvSG_.num_vgpr, 0
	.set _ZN7rocprim17ROCPRIM_400000_NS6detail17trampoline_kernelINS0_14default_configENS1_35radix_sort_onesweep_config_selectorIslEEZZNS1_29radix_sort_onesweep_iterationIS3_Lb0EPsS7_N6thrust23THRUST_200600_302600_NS10device_ptrIlEESB_jNS0_19identity_decomposerENS1_16block_id_wrapperIjLb0EEEEE10hipError_tT1_PNSt15iterator_traitsISG_E10value_typeET2_T3_PNSH_ISM_E10value_typeET4_T5_PSR_SS_PNS1_23onesweep_lookback_stateEbbT6_jjT7_P12ihipStream_tbENKUlT_T0_SG_SL_E_clIS7_S7_PlSB_EEDaSZ_S10_SG_SL_EUlSZ_E_NS1_11comp_targetILNS1_3genE0ELNS1_11target_archE4294967295ELNS1_3gpuE0ELNS1_3repE0EEENS1_47radix_sort_onesweep_sort_config_static_selectorELNS0_4arch9wavefront6targetE1EEEvSG_.num_agpr, 0
	.set _ZN7rocprim17ROCPRIM_400000_NS6detail17trampoline_kernelINS0_14default_configENS1_35radix_sort_onesweep_config_selectorIslEEZZNS1_29radix_sort_onesweep_iterationIS3_Lb0EPsS7_N6thrust23THRUST_200600_302600_NS10device_ptrIlEESB_jNS0_19identity_decomposerENS1_16block_id_wrapperIjLb0EEEEE10hipError_tT1_PNSt15iterator_traitsISG_E10value_typeET2_T3_PNSH_ISM_E10value_typeET4_T5_PSR_SS_PNS1_23onesweep_lookback_stateEbbT6_jjT7_P12ihipStream_tbENKUlT_T0_SG_SL_E_clIS7_S7_PlSB_EEDaSZ_S10_SG_SL_EUlSZ_E_NS1_11comp_targetILNS1_3genE0ELNS1_11target_archE4294967295ELNS1_3gpuE0ELNS1_3repE0EEENS1_47radix_sort_onesweep_sort_config_static_selectorELNS0_4arch9wavefront6targetE1EEEvSG_.numbered_sgpr, 0
	.set _ZN7rocprim17ROCPRIM_400000_NS6detail17trampoline_kernelINS0_14default_configENS1_35radix_sort_onesweep_config_selectorIslEEZZNS1_29radix_sort_onesweep_iterationIS3_Lb0EPsS7_N6thrust23THRUST_200600_302600_NS10device_ptrIlEESB_jNS0_19identity_decomposerENS1_16block_id_wrapperIjLb0EEEEE10hipError_tT1_PNSt15iterator_traitsISG_E10value_typeET2_T3_PNSH_ISM_E10value_typeET4_T5_PSR_SS_PNS1_23onesweep_lookback_stateEbbT6_jjT7_P12ihipStream_tbENKUlT_T0_SG_SL_E_clIS7_S7_PlSB_EEDaSZ_S10_SG_SL_EUlSZ_E_NS1_11comp_targetILNS1_3genE0ELNS1_11target_archE4294967295ELNS1_3gpuE0ELNS1_3repE0EEENS1_47radix_sort_onesweep_sort_config_static_selectorELNS0_4arch9wavefront6targetE1EEEvSG_.num_named_barrier, 0
	.set _ZN7rocprim17ROCPRIM_400000_NS6detail17trampoline_kernelINS0_14default_configENS1_35radix_sort_onesweep_config_selectorIslEEZZNS1_29radix_sort_onesweep_iterationIS3_Lb0EPsS7_N6thrust23THRUST_200600_302600_NS10device_ptrIlEESB_jNS0_19identity_decomposerENS1_16block_id_wrapperIjLb0EEEEE10hipError_tT1_PNSt15iterator_traitsISG_E10value_typeET2_T3_PNSH_ISM_E10value_typeET4_T5_PSR_SS_PNS1_23onesweep_lookback_stateEbbT6_jjT7_P12ihipStream_tbENKUlT_T0_SG_SL_E_clIS7_S7_PlSB_EEDaSZ_S10_SG_SL_EUlSZ_E_NS1_11comp_targetILNS1_3genE0ELNS1_11target_archE4294967295ELNS1_3gpuE0ELNS1_3repE0EEENS1_47radix_sort_onesweep_sort_config_static_selectorELNS0_4arch9wavefront6targetE1EEEvSG_.private_seg_size, 0
	.set _ZN7rocprim17ROCPRIM_400000_NS6detail17trampoline_kernelINS0_14default_configENS1_35radix_sort_onesweep_config_selectorIslEEZZNS1_29radix_sort_onesweep_iterationIS3_Lb0EPsS7_N6thrust23THRUST_200600_302600_NS10device_ptrIlEESB_jNS0_19identity_decomposerENS1_16block_id_wrapperIjLb0EEEEE10hipError_tT1_PNSt15iterator_traitsISG_E10value_typeET2_T3_PNSH_ISM_E10value_typeET4_T5_PSR_SS_PNS1_23onesweep_lookback_stateEbbT6_jjT7_P12ihipStream_tbENKUlT_T0_SG_SL_E_clIS7_S7_PlSB_EEDaSZ_S10_SG_SL_EUlSZ_E_NS1_11comp_targetILNS1_3genE0ELNS1_11target_archE4294967295ELNS1_3gpuE0ELNS1_3repE0EEENS1_47radix_sort_onesweep_sort_config_static_selectorELNS0_4arch9wavefront6targetE1EEEvSG_.uses_vcc, 0
	.set _ZN7rocprim17ROCPRIM_400000_NS6detail17trampoline_kernelINS0_14default_configENS1_35radix_sort_onesweep_config_selectorIslEEZZNS1_29radix_sort_onesweep_iterationIS3_Lb0EPsS7_N6thrust23THRUST_200600_302600_NS10device_ptrIlEESB_jNS0_19identity_decomposerENS1_16block_id_wrapperIjLb0EEEEE10hipError_tT1_PNSt15iterator_traitsISG_E10value_typeET2_T3_PNSH_ISM_E10value_typeET4_T5_PSR_SS_PNS1_23onesweep_lookback_stateEbbT6_jjT7_P12ihipStream_tbENKUlT_T0_SG_SL_E_clIS7_S7_PlSB_EEDaSZ_S10_SG_SL_EUlSZ_E_NS1_11comp_targetILNS1_3genE0ELNS1_11target_archE4294967295ELNS1_3gpuE0ELNS1_3repE0EEENS1_47radix_sort_onesweep_sort_config_static_selectorELNS0_4arch9wavefront6targetE1EEEvSG_.uses_flat_scratch, 0
	.set _ZN7rocprim17ROCPRIM_400000_NS6detail17trampoline_kernelINS0_14default_configENS1_35radix_sort_onesweep_config_selectorIslEEZZNS1_29radix_sort_onesweep_iterationIS3_Lb0EPsS7_N6thrust23THRUST_200600_302600_NS10device_ptrIlEESB_jNS0_19identity_decomposerENS1_16block_id_wrapperIjLb0EEEEE10hipError_tT1_PNSt15iterator_traitsISG_E10value_typeET2_T3_PNSH_ISM_E10value_typeET4_T5_PSR_SS_PNS1_23onesweep_lookback_stateEbbT6_jjT7_P12ihipStream_tbENKUlT_T0_SG_SL_E_clIS7_S7_PlSB_EEDaSZ_S10_SG_SL_EUlSZ_E_NS1_11comp_targetILNS1_3genE0ELNS1_11target_archE4294967295ELNS1_3gpuE0ELNS1_3repE0EEENS1_47radix_sort_onesweep_sort_config_static_selectorELNS0_4arch9wavefront6targetE1EEEvSG_.has_dyn_sized_stack, 0
	.set _ZN7rocprim17ROCPRIM_400000_NS6detail17trampoline_kernelINS0_14default_configENS1_35radix_sort_onesweep_config_selectorIslEEZZNS1_29radix_sort_onesweep_iterationIS3_Lb0EPsS7_N6thrust23THRUST_200600_302600_NS10device_ptrIlEESB_jNS0_19identity_decomposerENS1_16block_id_wrapperIjLb0EEEEE10hipError_tT1_PNSt15iterator_traitsISG_E10value_typeET2_T3_PNSH_ISM_E10value_typeET4_T5_PSR_SS_PNS1_23onesweep_lookback_stateEbbT6_jjT7_P12ihipStream_tbENKUlT_T0_SG_SL_E_clIS7_S7_PlSB_EEDaSZ_S10_SG_SL_EUlSZ_E_NS1_11comp_targetILNS1_3genE0ELNS1_11target_archE4294967295ELNS1_3gpuE0ELNS1_3repE0EEENS1_47radix_sort_onesweep_sort_config_static_selectorELNS0_4arch9wavefront6targetE1EEEvSG_.has_recursion, 0
	.set _ZN7rocprim17ROCPRIM_400000_NS6detail17trampoline_kernelINS0_14default_configENS1_35radix_sort_onesweep_config_selectorIslEEZZNS1_29radix_sort_onesweep_iterationIS3_Lb0EPsS7_N6thrust23THRUST_200600_302600_NS10device_ptrIlEESB_jNS0_19identity_decomposerENS1_16block_id_wrapperIjLb0EEEEE10hipError_tT1_PNSt15iterator_traitsISG_E10value_typeET2_T3_PNSH_ISM_E10value_typeET4_T5_PSR_SS_PNS1_23onesweep_lookback_stateEbbT6_jjT7_P12ihipStream_tbENKUlT_T0_SG_SL_E_clIS7_S7_PlSB_EEDaSZ_S10_SG_SL_EUlSZ_E_NS1_11comp_targetILNS1_3genE0ELNS1_11target_archE4294967295ELNS1_3gpuE0ELNS1_3repE0EEENS1_47radix_sort_onesweep_sort_config_static_selectorELNS0_4arch9wavefront6targetE1EEEvSG_.has_indirect_call, 0
	.section	.AMDGPU.csdata,"",@progbits
; Kernel info:
; codeLenInByte = 0
; TotalNumSgprs: 4
; NumVgprs: 0
; ScratchSize: 0
; MemoryBound: 0
; FloatMode: 240
; IeeeMode: 1
; LDSByteSize: 0 bytes/workgroup (compile time only)
; SGPRBlocks: 0
; VGPRBlocks: 0
; NumSGPRsForWavesPerEU: 4
; NumVGPRsForWavesPerEU: 1
; Occupancy: 10
; WaveLimiterHint : 0
; COMPUTE_PGM_RSRC2:SCRATCH_EN: 0
; COMPUTE_PGM_RSRC2:USER_SGPR: 6
; COMPUTE_PGM_RSRC2:TRAP_HANDLER: 0
; COMPUTE_PGM_RSRC2:TGID_X_EN: 1
; COMPUTE_PGM_RSRC2:TGID_Y_EN: 0
; COMPUTE_PGM_RSRC2:TGID_Z_EN: 0
; COMPUTE_PGM_RSRC2:TIDIG_COMP_CNT: 0
	.section	.text._ZN7rocprim17ROCPRIM_400000_NS6detail17trampoline_kernelINS0_14default_configENS1_35radix_sort_onesweep_config_selectorIslEEZZNS1_29radix_sort_onesweep_iterationIS3_Lb0EPsS7_N6thrust23THRUST_200600_302600_NS10device_ptrIlEESB_jNS0_19identity_decomposerENS1_16block_id_wrapperIjLb0EEEEE10hipError_tT1_PNSt15iterator_traitsISG_E10value_typeET2_T3_PNSH_ISM_E10value_typeET4_T5_PSR_SS_PNS1_23onesweep_lookback_stateEbbT6_jjT7_P12ihipStream_tbENKUlT_T0_SG_SL_E_clIS7_S7_PlSB_EEDaSZ_S10_SG_SL_EUlSZ_E_NS1_11comp_targetILNS1_3genE6ELNS1_11target_archE950ELNS1_3gpuE13ELNS1_3repE0EEENS1_47radix_sort_onesweep_sort_config_static_selectorELNS0_4arch9wavefront6targetE1EEEvSG_,"axG",@progbits,_ZN7rocprim17ROCPRIM_400000_NS6detail17trampoline_kernelINS0_14default_configENS1_35radix_sort_onesweep_config_selectorIslEEZZNS1_29radix_sort_onesweep_iterationIS3_Lb0EPsS7_N6thrust23THRUST_200600_302600_NS10device_ptrIlEESB_jNS0_19identity_decomposerENS1_16block_id_wrapperIjLb0EEEEE10hipError_tT1_PNSt15iterator_traitsISG_E10value_typeET2_T3_PNSH_ISM_E10value_typeET4_T5_PSR_SS_PNS1_23onesweep_lookback_stateEbbT6_jjT7_P12ihipStream_tbENKUlT_T0_SG_SL_E_clIS7_S7_PlSB_EEDaSZ_S10_SG_SL_EUlSZ_E_NS1_11comp_targetILNS1_3genE6ELNS1_11target_archE950ELNS1_3gpuE13ELNS1_3repE0EEENS1_47radix_sort_onesweep_sort_config_static_selectorELNS0_4arch9wavefront6targetE1EEEvSG_,comdat
	.protected	_ZN7rocprim17ROCPRIM_400000_NS6detail17trampoline_kernelINS0_14default_configENS1_35radix_sort_onesweep_config_selectorIslEEZZNS1_29radix_sort_onesweep_iterationIS3_Lb0EPsS7_N6thrust23THRUST_200600_302600_NS10device_ptrIlEESB_jNS0_19identity_decomposerENS1_16block_id_wrapperIjLb0EEEEE10hipError_tT1_PNSt15iterator_traitsISG_E10value_typeET2_T3_PNSH_ISM_E10value_typeET4_T5_PSR_SS_PNS1_23onesweep_lookback_stateEbbT6_jjT7_P12ihipStream_tbENKUlT_T0_SG_SL_E_clIS7_S7_PlSB_EEDaSZ_S10_SG_SL_EUlSZ_E_NS1_11comp_targetILNS1_3genE6ELNS1_11target_archE950ELNS1_3gpuE13ELNS1_3repE0EEENS1_47radix_sort_onesweep_sort_config_static_selectorELNS0_4arch9wavefront6targetE1EEEvSG_ ; -- Begin function _ZN7rocprim17ROCPRIM_400000_NS6detail17trampoline_kernelINS0_14default_configENS1_35radix_sort_onesweep_config_selectorIslEEZZNS1_29radix_sort_onesweep_iterationIS3_Lb0EPsS7_N6thrust23THRUST_200600_302600_NS10device_ptrIlEESB_jNS0_19identity_decomposerENS1_16block_id_wrapperIjLb0EEEEE10hipError_tT1_PNSt15iterator_traitsISG_E10value_typeET2_T3_PNSH_ISM_E10value_typeET4_T5_PSR_SS_PNS1_23onesweep_lookback_stateEbbT6_jjT7_P12ihipStream_tbENKUlT_T0_SG_SL_E_clIS7_S7_PlSB_EEDaSZ_S10_SG_SL_EUlSZ_E_NS1_11comp_targetILNS1_3genE6ELNS1_11target_archE950ELNS1_3gpuE13ELNS1_3repE0EEENS1_47radix_sort_onesweep_sort_config_static_selectorELNS0_4arch9wavefront6targetE1EEEvSG_
	.globl	_ZN7rocprim17ROCPRIM_400000_NS6detail17trampoline_kernelINS0_14default_configENS1_35radix_sort_onesweep_config_selectorIslEEZZNS1_29radix_sort_onesweep_iterationIS3_Lb0EPsS7_N6thrust23THRUST_200600_302600_NS10device_ptrIlEESB_jNS0_19identity_decomposerENS1_16block_id_wrapperIjLb0EEEEE10hipError_tT1_PNSt15iterator_traitsISG_E10value_typeET2_T3_PNSH_ISM_E10value_typeET4_T5_PSR_SS_PNS1_23onesweep_lookback_stateEbbT6_jjT7_P12ihipStream_tbENKUlT_T0_SG_SL_E_clIS7_S7_PlSB_EEDaSZ_S10_SG_SL_EUlSZ_E_NS1_11comp_targetILNS1_3genE6ELNS1_11target_archE950ELNS1_3gpuE13ELNS1_3repE0EEENS1_47radix_sort_onesweep_sort_config_static_selectorELNS0_4arch9wavefront6targetE1EEEvSG_
	.p2align	8
	.type	_ZN7rocprim17ROCPRIM_400000_NS6detail17trampoline_kernelINS0_14default_configENS1_35radix_sort_onesweep_config_selectorIslEEZZNS1_29radix_sort_onesweep_iterationIS3_Lb0EPsS7_N6thrust23THRUST_200600_302600_NS10device_ptrIlEESB_jNS0_19identity_decomposerENS1_16block_id_wrapperIjLb0EEEEE10hipError_tT1_PNSt15iterator_traitsISG_E10value_typeET2_T3_PNSH_ISM_E10value_typeET4_T5_PSR_SS_PNS1_23onesweep_lookback_stateEbbT6_jjT7_P12ihipStream_tbENKUlT_T0_SG_SL_E_clIS7_S7_PlSB_EEDaSZ_S10_SG_SL_EUlSZ_E_NS1_11comp_targetILNS1_3genE6ELNS1_11target_archE950ELNS1_3gpuE13ELNS1_3repE0EEENS1_47radix_sort_onesweep_sort_config_static_selectorELNS0_4arch9wavefront6targetE1EEEvSG_,@function
_ZN7rocprim17ROCPRIM_400000_NS6detail17trampoline_kernelINS0_14default_configENS1_35radix_sort_onesweep_config_selectorIslEEZZNS1_29radix_sort_onesweep_iterationIS3_Lb0EPsS7_N6thrust23THRUST_200600_302600_NS10device_ptrIlEESB_jNS0_19identity_decomposerENS1_16block_id_wrapperIjLb0EEEEE10hipError_tT1_PNSt15iterator_traitsISG_E10value_typeET2_T3_PNSH_ISM_E10value_typeET4_T5_PSR_SS_PNS1_23onesweep_lookback_stateEbbT6_jjT7_P12ihipStream_tbENKUlT_T0_SG_SL_E_clIS7_S7_PlSB_EEDaSZ_S10_SG_SL_EUlSZ_E_NS1_11comp_targetILNS1_3genE6ELNS1_11target_archE950ELNS1_3gpuE13ELNS1_3repE0EEENS1_47radix_sort_onesweep_sort_config_static_selectorELNS0_4arch9wavefront6targetE1EEEvSG_: ; @_ZN7rocprim17ROCPRIM_400000_NS6detail17trampoline_kernelINS0_14default_configENS1_35radix_sort_onesweep_config_selectorIslEEZZNS1_29radix_sort_onesweep_iterationIS3_Lb0EPsS7_N6thrust23THRUST_200600_302600_NS10device_ptrIlEESB_jNS0_19identity_decomposerENS1_16block_id_wrapperIjLb0EEEEE10hipError_tT1_PNSt15iterator_traitsISG_E10value_typeET2_T3_PNSH_ISM_E10value_typeET4_T5_PSR_SS_PNS1_23onesweep_lookback_stateEbbT6_jjT7_P12ihipStream_tbENKUlT_T0_SG_SL_E_clIS7_S7_PlSB_EEDaSZ_S10_SG_SL_EUlSZ_E_NS1_11comp_targetILNS1_3genE6ELNS1_11target_archE950ELNS1_3gpuE13ELNS1_3repE0EEENS1_47radix_sort_onesweep_sort_config_static_selectorELNS0_4arch9wavefront6targetE1EEEvSG_
; %bb.0:
	.section	.rodata,"a",@progbits
	.p2align	6, 0x0
	.amdhsa_kernel _ZN7rocprim17ROCPRIM_400000_NS6detail17trampoline_kernelINS0_14default_configENS1_35radix_sort_onesweep_config_selectorIslEEZZNS1_29radix_sort_onesweep_iterationIS3_Lb0EPsS7_N6thrust23THRUST_200600_302600_NS10device_ptrIlEESB_jNS0_19identity_decomposerENS1_16block_id_wrapperIjLb0EEEEE10hipError_tT1_PNSt15iterator_traitsISG_E10value_typeET2_T3_PNSH_ISM_E10value_typeET4_T5_PSR_SS_PNS1_23onesweep_lookback_stateEbbT6_jjT7_P12ihipStream_tbENKUlT_T0_SG_SL_E_clIS7_S7_PlSB_EEDaSZ_S10_SG_SL_EUlSZ_E_NS1_11comp_targetILNS1_3genE6ELNS1_11target_archE950ELNS1_3gpuE13ELNS1_3repE0EEENS1_47radix_sort_onesweep_sort_config_static_selectorELNS0_4arch9wavefront6targetE1EEEvSG_
		.amdhsa_group_segment_fixed_size 0
		.amdhsa_private_segment_fixed_size 0
		.amdhsa_kernarg_size 88
		.amdhsa_user_sgpr_count 6
		.amdhsa_user_sgpr_private_segment_buffer 1
		.amdhsa_user_sgpr_dispatch_ptr 0
		.amdhsa_user_sgpr_queue_ptr 0
		.amdhsa_user_sgpr_kernarg_segment_ptr 1
		.amdhsa_user_sgpr_dispatch_id 0
		.amdhsa_user_sgpr_flat_scratch_init 0
		.amdhsa_user_sgpr_private_segment_size 0
		.amdhsa_uses_dynamic_stack 0
		.amdhsa_system_sgpr_private_segment_wavefront_offset 0
		.amdhsa_system_sgpr_workgroup_id_x 1
		.amdhsa_system_sgpr_workgroup_id_y 0
		.amdhsa_system_sgpr_workgroup_id_z 0
		.amdhsa_system_sgpr_workgroup_info 0
		.amdhsa_system_vgpr_workitem_id 0
		.amdhsa_next_free_vgpr 1
		.amdhsa_next_free_sgpr 0
		.amdhsa_reserve_vcc 0
		.amdhsa_reserve_flat_scratch 0
		.amdhsa_float_round_mode_32 0
		.amdhsa_float_round_mode_16_64 0
		.amdhsa_float_denorm_mode_32 3
		.amdhsa_float_denorm_mode_16_64 3
		.amdhsa_dx10_clamp 1
		.amdhsa_ieee_mode 1
		.amdhsa_fp16_overflow 0
		.amdhsa_exception_fp_ieee_invalid_op 0
		.amdhsa_exception_fp_denorm_src 0
		.amdhsa_exception_fp_ieee_div_zero 0
		.amdhsa_exception_fp_ieee_overflow 0
		.amdhsa_exception_fp_ieee_underflow 0
		.amdhsa_exception_fp_ieee_inexact 0
		.amdhsa_exception_int_div_zero 0
	.end_amdhsa_kernel
	.section	.text._ZN7rocprim17ROCPRIM_400000_NS6detail17trampoline_kernelINS0_14default_configENS1_35radix_sort_onesweep_config_selectorIslEEZZNS1_29radix_sort_onesweep_iterationIS3_Lb0EPsS7_N6thrust23THRUST_200600_302600_NS10device_ptrIlEESB_jNS0_19identity_decomposerENS1_16block_id_wrapperIjLb0EEEEE10hipError_tT1_PNSt15iterator_traitsISG_E10value_typeET2_T3_PNSH_ISM_E10value_typeET4_T5_PSR_SS_PNS1_23onesweep_lookback_stateEbbT6_jjT7_P12ihipStream_tbENKUlT_T0_SG_SL_E_clIS7_S7_PlSB_EEDaSZ_S10_SG_SL_EUlSZ_E_NS1_11comp_targetILNS1_3genE6ELNS1_11target_archE950ELNS1_3gpuE13ELNS1_3repE0EEENS1_47radix_sort_onesweep_sort_config_static_selectorELNS0_4arch9wavefront6targetE1EEEvSG_,"axG",@progbits,_ZN7rocprim17ROCPRIM_400000_NS6detail17trampoline_kernelINS0_14default_configENS1_35radix_sort_onesweep_config_selectorIslEEZZNS1_29radix_sort_onesweep_iterationIS3_Lb0EPsS7_N6thrust23THRUST_200600_302600_NS10device_ptrIlEESB_jNS0_19identity_decomposerENS1_16block_id_wrapperIjLb0EEEEE10hipError_tT1_PNSt15iterator_traitsISG_E10value_typeET2_T3_PNSH_ISM_E10value_typeET4_T5_PSR_SS_PNS1_23onesweep_lookback_stateEbbT6_jjT7_P12ihipStream_tbENKUlT_T0_SG_SL_E_clIS7_S7_PlSB_EEDaSZ_S10_SG_SL_EUlSZ_E_NS1_11comp_targetILNS1_3genE6ELNS1_11target_archE950ELNS1_3gpuE13ELNS1_3repE0EEENS1_47radix_sort_onesweep_sort_config_static_selectorELNS0_4arch9wavefront6targetE1EEEvSG_,comdat
.Lfunc_end1444:
	.size	_ZN7rocprim17ROCPRIM_400000_NS6detail17trampoline_kernelINS0_14default_configENS1_35radix_sort_onesweep_config_selectorIslEEZZNS1_29radix_sort_onesweep_iterationIS3_Lb0EPsS7_N6thrust23THRUST_200600_302600_NS10device_ptrIlEESB_jNS0_19identity_decomposerENS1_16block_id_wrapperIjLb0EEEEE10hipError_tT1_PNSt15iterator_traitsISG_E10value_typeET2_T3_PNSH_ISM_E10value_typeET4_T5_PSR_SS_PNS1_23onesweep_lookback_stateEbbT6_jjT7_P12ihipStream_tbENKUlT_T0_SG_SL_E_clIS7_S7_PlSB_EEDaSZ_S10_SG_SL_EUlSZ_E_NS1_11comp_targetILNS1_3genE6ELNS1_11target_archE950ELNS1_3gpuE13ELNS1_3repE0EEENS1_47radix_sort_onesweep_sort_config_static_selectorELNS0_4arch9wavefront6targetE1EEEvSG_, .Lfunc_end1444-_ZN7rocprim17ROCPRIM_400000_NS6detail17trampoline_kernelINS0_14default_configENS1_35radix_sort_onesweep_config_selectorIslEEZZNS1_29radix_sort_onesweep_iterationIS3_Lb0EPsS7_N6thrust23THRUST_200600_302600_NS10device_ptrIlEESB_jNS0_19identity_decomposerENS1_16block_id_wrapperIjLb0EEEEE10hipError_tT1_PNSt15iterator_traitsISG_E10value_typeET2_T3_PNSH_ISM_E10value_typeET4_T5_PSR_SS_PNS1_23onesweep_lookback_stateEbbT6_jjT7_P12ihipStream_tbENKUlT_T0_SG_SL_E_clIS7_S7_PlSB_EEDaSZ_S10_SG_SL_EUlSZ_E_NS1_11comp_targetILNS1_3genE6ELNS1_11target_archE950ELNS1_3gpuE13ELNS1_3repE0EEENS1_47radix_sort_onesweep_sort_config_static_selectorELNS0_4arch9wavefront6targetE1EEEvSG_
                                        ; -- End function
	.set _ZN7rocprim17ROCPRIM_400000_NS6detail17trampoline_kernelINS0_14default_configENS1_35radix_sort_onesweep_config_selectorIslEEZZNS1_29radix_sort_onesweep_iterationIS3_Lb0EPsS7_N6thrust23THRUST_200600_302600_NS10device_ptrIlEESB_jNS0_19identity_decomposerENS1_16block_id_wrapperIjLb0EEEEE10hipError_tT1_PNSt15iterator_traitsISG_E10value_typeET2_T3_PNSH_ISM_E10value_typeET4_T5_PSR_SS_PNS1_23onesweep_lookback_stateEbbT6_jjT7_P12ihipStream_tbENKUlT_T0_SG_SL_E_clIS7_S7_PlSB_EEDaSZ_S10_SG_SL_EUlSZ_E_NS1_11comp_targetILNS1_3genE6ELNS1_11target_archE950ELNS1_3gpuE13ELNS1_3repE0EEENS1_47radix_sort_onesweep_sort_config_static_selectorELNS0_4arch9wavefront6targetE1EEEvSG_.num_vgpr, 0
	.set _ZN7rocprim17ROCPRIM_400000_NS6detail17trampoline_kernelINS0_14default_configENS1_35radix_sort_onesweep_config_selectorIslEEZZNS1_29radix_sort_onesweep_iterationIS3_Lb0EPsS7_N6thrust23THRUST_200600_302600_NS10device_ptrIlEESB_jNS0_19identity_decomposerENS1_16block_id_wrapperIjLb0EEEEE10hipError_tT1_PNSt15iterator_traitsISG_E10value_typeET2_T3_PNSH_ISM_E10value_typeET4_T5_PSR_SS_PNS1_23onesweep_lookback_stateEbbT6_jjT7_P12ihipStream_tbENKUlT_T0_SG_SL_E_clIS7_S7_PlSB_EEDaSZ_S10_SG_SL_EUlSZ_E_NS1_11comp_targetILNS1_3genE6ELNS1_11target_archE950ELNS1_3gpuE13ELNS1_3repE0EEENS1_47radix_sort_onesweep_sort_config_static_selectorELNS0_4arch9wavefront6targetE1EEEvSG_.num_agpr, 0
	.set _ZN7rocprim17ROCPRIM_400000_NS6detail17trampoline_kernelINS0_14default_configENS1_35radix_sort_onesweep_config_selectorIslEEZZNS1_29radix_sort_onesweep_iterationIS3_Lb0EPsS7_N6thrust23THRUST_200600_302600_NS10device_ptrIlEESB_jNS0_19identity_decomposerENS1_16block_id_wrapperIjLb0EEEEE10hipError_tT1_PNSt15iterator_traitsISG_E10value_typeET2_T3_PNSH_ISM_E10value_typeET4_T5_PSR_SS_PNS1_23onesweep_lookback_stateEbbT6_jjT7_P12ihipStream_tbENKUlT_T0_SG_SL_E_clIS7_S7_PlSB_EEDaSZ_S10_SG_SL_EUlSZ_E_NS1_11comp_targetILNS1_3genE6ELNS1_11target_archE950ELNS1_3gpuE13ELNS1_3repE0EEENS1_47radix_sort_onesweep_sort_config_static_selectorELNS0_4arch9wavefront6targetE1EEEvSG_.numbered_sgpr, 0
	.set _ZN7rocprim17ROCPRIM_400000_NS6detail17trampoline_kernelINS0_14default_configENS1_35radix_sort_onesweep_config_selectorIslEEZZNS1_29radix_sort_onesweep_iterationIS3_Lb0EPsS7_N6thrust23THRUST_200600_302600_NS10device_ptrIlEESB_jNS0_19identity_decomposerENS1_16block_id_wrapperIjLb0EEEEE10hipError_tT1_PNSt15iterator_traitsISG_E10value_typeET2_T3_PNSH_ISM_E10value_typeET4_T5_PSR_SS_PNS1_23onesweep_lookback_stateEbbT6_jjT7_P12ihipStream_tbENKUlT_T0_SG_SL_E_clIS7_S7_PlSB_EEDaSZ_S10_SG_SL_EUlSZ_E_NS1_11comp_targetILNS1_3genE6ELNS1_11target_archE950ELNS1_3gpuE13ELNS1_3repE0EEENS1_47radix_sort_onesweep_sort_config_static_selectorELNS0_4arch9wavefront6targetE1EEEvSG_.num_named_barrier, 0
	.set _ZN7rocprim17ROCPRIM_400000_NS6detail17trampoline_kernelINS0_14default_configENS1_35radix_sort_onesweep_config_selectorIslEEZZNS1_29radix_sort_onesweep_iterationIS3_Lb0EPsS7_N6thrust23THRUST_200600_302600_NS10device_ptrIlEESB_jNS0_19identity_decomposerENS1_16block_id_wrapperIjLb0EEEEE10hipError_tT1_PNSt15iterator_traitsISG_E10value_typeET2_T3_PNSH_ISM_E10value_typeET4_T5_PSR_SS_PNS1_23onesweep_lookback_stateEbbT6_jjT7_P12ihipStream_tbENKUlT_T0_SG_SL_E_clIS7_S7_PlSB_EEDaSZ_S10_SG_SL_EUlSZ_E_NS1_11comp_targetILNS1_3genE6ELNS1_11target_archE950ELNS1_3gpuE13ELNS1_3repE0EEENS1_47radix_sort_onesweep_sort_config_static_selectorELNS0_4arch9wavefront6targetE1EEEvSG_.private_seg_size, 0
	.set _ZN7rocprim17ROCPRIM_400000_NS6detail17trampoline_kernelINS0_14default_configENS1_35radix_sort_onesweep_config_selectorIslEEZZNS1_29radix_sort_onesweep_iterationIS3_Lb0EPsS7_N6thrust23THRUST_200600_302600_NS10device_ptrIlEESB_jNS0_19identity_decomposerENS1_16block_id_wrapperIjLb0EEEEE10hipError_tT1_PNSt15iterator_traitsISG_E10value_typeET2_T3_PNSH_ISM_E10value_typeET4_T5_PSR_SS_PNS1_23onesweep_lookback_stateEbbT6_jjT7_P12ihipStream_tbENKUlT_T0_SG_SL_E_clIS7_S7_PlSB_EEDaSZ_S10_SG_SL_EUlSZ_E_NS1_11comp_targetILNS1_3genE6ELNS1_11target_archE950ELNS1_3gpuE13ELNS1_3repE0EEENS1_47radix_sort_onesweep_sort_config_static_selectorELNS0_4arch9wavefront6targetE1EEEvSG_.uses_vcc, 0
	.set _ZN7rocprim17ROCPRIM_400000_NS6detail17trampoline_kernelINS0_14default_configENS1_35radix_sort_onesweep_config_selectorIslEEZZNS1_29radix_sort_onesweep_iterationIS3_Lb0EPsS7_N6thrust23THRUST_200600_302600_NS10device_ptrIlEESB_jNS0_19identity_decomposerENS1_16block_id_wrapperIjLb0EEEEE10hipError_tT1_PNSt15iterator_traitsISG_E10value_typeET2_T3_PNSH_ISM_E10value_typeET4_T5_PSR_SS_PNS1_23onesweep_lookback_stateEbbT6_jjT7_P12ihipStream_tbENKUlT_T0_SG_SL_E_clIS7_S7_PlSB_EEDaSZ_S10_SG_SL_EUlSZ_E_NS1_11comp_targetILNS1_3genE6ELNS1_11target_archE950ELNS1_3gpuE13ELNS1_3repE0EEENS1_47radix_sort_onesweep_sort_config_static_selectorELNS0_4arch9wavefront6targetE1EEEvSG_.uses_flat_scratch, 0
	.set _ZN7rocprim17ROCPRIM_400000_NS6detail17trampoline_kernelINS0_14default_configENS1_35radix_sort_onesweep_config_selectorIslEEZZNS1_29radix_sort_onesweep_iterationIS3_Lb0EPsS7_N6thrust23THRUST_200600_302600_NS10device_ptrIlEESB_jNS0_19identity_decomposerENS1_16block_id_wrapperIjLb0EEEEE10hipError_tT1_PNSt15iterator_traitsISG_E10value_typeET2_T3_PNSH_ISM_E10value_typeET4_T5_PSR_SS_PNS1_23onesweep_lookback_stateEbbT6_jjT7_P12ihipStream_tbENKUlT_T0_SG_SL_E_clIS7_S7_PlSB_EEDaSZ_S10_SG_SL_EUlSZ_E_NS1_11comp_targetILNS1_3genE6ELNS1_11target_archE950ELNS1_3gpuE13ELNS1_3repE0EEENS1_47radix_sort_onesweep_sort_config_static_selectorELNS0_4arch9wavefront6targetE1EEEvSG_.has_dyn_sized_stack, 0
	.set _ZN7rocprim17ROCPRIM_400000_NS6detail17trampoline_kernelINS0_14default_configENS1_35radix_sort_onesweep_config_selectorIslEEZZNS1_29radix_sort_onesweep_iterationIS3_Lb0EPsS7_N6thrust23THRUST_200600_302600_NS10device_ptrIlEESB_jNS0_19identity_decomposerENS1_16block_id_wrapperIjLb0EEEEE10hipError_tT1_PNSt15iterator_traitsISG_E10value_typeET2_T3_PNSH_ISM_E10value_typeET4_T5_PSR_SS_PNS1_23onesweep_lookback_stateEbbT6_jjT7_P12ihipStream_tbENKUlT_T0_SG_SL_E_clIS7_S7_PlSB_EEDaSZ_S10_SG_SL_EUlSZ_E_NS1_11comp_targetILNS1_3genE6ELNS1_11target_archE950ELNS1_3gpuE13ELNS1_3repE0EEENS1_47radix_sort_onesweep_sort_config_static_selectorELNS0_4arch9wavefront6targetE1EEEvSG_.has_recursion, 0
	.set _ZN7rocprim17ROCPRIM_400000_NS6detail17trampoline_kernelINS0_14default_configENS1_35radix_sort_onesweep_config_selectorIslEEZZNS1_29radix_sort_onesweep_iterationIS3_Lb0EPsS7_N6thrust23THRUST_200600_302600_NS10device_ptrIlEESB_jNS0_19identity_decomposerENS1_16block_id_wrapperIjLb0EEEEE10hipError_tT1_PNSt15iterator_traitsISG_E10value_typeET2_T3_PNSH_ISM_E10value_typeET4_T5_PSR_SS_PNS1_23onesweep_lookback_stateEbbT6_jjT7_P12ihipStream_tbENKUlT_T0_SG_SL_E_clIS7_S7_PlSB_EEDaSZ_S10_SG_SL_EUlSZ_E_NS1_11comp_targetILNS1_3genE6ELNS1_11target_archE950ELNS1_3gpuE13ELNS1_3repE0EEENS1_47radix_sort_onesweep_sort_config_static_selectorELNS0_4arch9wavefront6targetE1EEEvSG_.has_indirect_call, 0
	.section	.AMDGPU.csdata,"",@progbits
; Kernel info:
; codeLenInByte = 0
; TotalNumSgprs: 4
; NumVgprs: 0
; ScratchSize: 0
; MemoryBound: 0
; FloatMode: 240
; IeeeMode: 1
; LDSByteSize: 0 bytes/workgroup (compile time only)
; SGPRBlocks: 0
; VGPRBlocks: 0
; NumSGPRsForWavesPerEU: 4
; NumVGPRsForWavesPerEU: 1
; Occupancy: 10
; WaveLimiterHint : 0
; COMPUTE_PGM_RSRC2:SCRATCH_EN: 0
; COMPUTE_PGM_RSRC2:USER_SGPR: 6
; COMPUTE_PGM_RSRC2:TRAP_HANDLER: 0
; COMPUTE_PGM_RSRC2:TGID_X_EN: 1
; COMPUTE_PGM_RSRC2:TGID_Y_EN: 0
; COMPUTE_PGM_RSRC2:TGID_Z_EN: 0
; COMPUTE_PGM_RSRC2:TIDIG_COMP_CNT: 0
	.section	.text._ZN7rocprim17ROCPRIM_400000_NS6detail17trampoline_kernelINS0_14default_configENS1_35radix_sort_onesweep_config_selectorIslEEZZNS1_29radix_sort_onesweep_iterationIS3_Lb0EPsS7_N6thrust23THRUST_200600_302600_NS10device_ptrIlEESB_jNS0_19identity_decomposerENS1_16block_id_wrapperIjLb0EEEEE10hipError_tT1_PNSt15iterator_traitsISG_E10value_typeET2_T3_PNSH_ISM_E10value_typeET4_T5_PSR_SS_PNS1_23onesweep_lookback_stateEbbT6_jjT7_P12ihipStream_tbENKUlT_T0_SG_SL_E_clIS7_S7_PlSB_EEDaSZ_S10_SG_SL_EUlSZ_E_NS1_11comp_targetILNS1_3genE5ELNS1_11target_archE942ELNS1_3gpuE9ELNS1_3repE0EEENS1_47radix_sort_onesweep_sort_config_static_selectorELNS0_4arch9wavefront6targetE1EEEvSG_,"axG",@progbits,_ZN7rocprim17ROCPRIM_400000_NS6detail17trampoline_kernelINS0_14default_configENS1_35radix_sort_onesweep_config_selectorIslEEZZNS1_29radix_sort_onesweep_iterationIS3_Lb0EPsS7_N6thrust23THRUST_200600_302600_NS10device_ptrIlEESB_jNS0_19identity_decomposerENS1_16block_id_wrapperIjLb0EEEEE10hipError_tT1_PNSt15iterator_traitsISG_E10value_typeET2_T3_PNSH_ISM_E10value_typeET4_T5_PSR_SS_PNS1_23onesweep_lookback_stateEbbT6_jjT7_P12ihipStream_tbENKUlT_T0_SG_SL_E_clIS7_S7_PlSB_EEDaSZ_S10_SG_SL_EUlSZ_E_NS1_11comp_targetILNS1_3genE5ELNS1_11target_archE942ELNS1_3gpuE9ELNS1_3repE0EEENS1_47radix_sort_onesweep_sort_config_static_selectorELNS0_4arch9wavefront6targetE1EEEvSG_,comdat
	.protected	_ZN7rocprim17ROCPRIM_400000_NS6detail17trampoline_kernelINS0_14default_configENS1_35radix_sort_onesweep_config_selectorIslEEZZNS1_29radix_sort_onesweep_iterationIS3_Lb0EPsS7_N6thrust23THRUST_200600_302600_NS10device_ptrIlEESB_jNS0_19identity_decomposerENS1_16block_id_wrapperIjLb0EEEEE10hipError_tT1_PNSt15iterator_traitsISG_E10value_typeET2_T3_PNSH_ISM_E10value_typeET4_T5_PSR_SS_PNS1_23onesweep_lookback_stateEbbT6_jjT7_P12ihipStream_tbENKUlT_T0_SG_SL_E_clIS7_S7_PlSB_EEDaSZ_S10_SG_SL_EUlSZ_E_NS1_11comp_targetILNS1_3genE5ELNS1_11target_archE942ELNS1_3gpuE9ELNS1_3repE0EEENS1_47radix_sort_onesweep_sort_config_static_selectorELNS0_4arch9wavefront6targetE1EEEvSG_ ; -- Begin function _ZN7rocprim17ROCPRIM_400000_NS6detail17trampoline_kernelINS0_14default_configENS1_35radix_sort_onesweep_config_selectorIslEEZZNS1_29radix_sort_onesweep_iterationIS3_Lb0EPsS7_N6thrust23THRUST_200600_302600_NS10device_ptrIlEESB_jNS0_19identity_decomposerENS1_16block_id_wrapperIjLb0EEEEE10hipError_tT1_PNSt15iterator_traitsISG_E10value_typeET2_T3_PNSH_ISM_E10value_typeET4_T5_PSR_SS_PNS1_23onesweep_lookback_stateEbbT6_jjT7_P12ihipStream_tbENKUlT_T0_SG_SL_E_clIS7_S7_PlSB_EEDaSZ_S10_SG_SL_EUlSZ_E_NS1_11comp_targetILNS1_3genE5ELNS1_11target_archE942ELNS1_3gpuE9ELNS1_3repE0EEENS1_47radix_sort_onesweep_sort_config_static_selectorELNS0_4arch9wavefront6targetE1EEEvSG_
	.globl	_ZN7rocprim17ROCPRIM_400000_NS6detail17trampoline_kernelINS0_14default_configENS1_35radix_sort_onesweep_config_selectorIslEEZZNS1_29radix_sort_onesweep_iterationIS3_Lb0EPsS7_N6thrust23THRUST_200600_302600_NS10device_ptrIlEESB_jNS0_19identity_decomposerENS1_16block_id_wrapperIjLb0EEEEE10hipError_tT1_PNSt15iterator_traitsISG_E10value_typeET2_T3_PNSH_ISM_E10value_typeET4_T5_PSR_SS_PNS1_23onesweep_lookback_stateEbbT6_jjT7_P12ihipStream_tbENKUlT_T0_SG_SL_E_clIS7_S7_PlSB_EEDaSZ_S10_SG_SL_EUlSZ_E_NS1_11comp_targetILNS1_3genE5ELNS1_11target_archE942ELNS1_3gpuE9ELNS1_3repE0EEENS1_47radix_sort_onesweep_sort_config_static_selectorELNS0_4arch9wavefront6targetE1EEEvSG_
	.p2align	8
	.type	_ZN7rocprim17ROCPRIM_400000_NS6detail17trampoline_kernelINS0_14default_configENS1_35radix_sort_onesweep_config_selectorIslEEZZNS1_29radix_sort_onesweep_iterationIS3_Lb0EPsS7_N6thrust23THRUST_200600_302600_NS10device_ptrIlEESB_jNS0_19identity_decomposerENS1_16block_id_wrapperIjLb0EEEEE10hipError_tT1_PNSt15iterator_traitsISG_E10value_typeET2_T3_PNSH_ISM_E10value_typeET4_T5_PSR_SS_PNS1_23onesweep_lookback_stateEbbT6_jjT7_P12ihipStream_tbENKUlT_T0_SG_SL_E_clIS7_S7_PlSB_EEDaSZ_S10_SG_SL_EUlSZ_E_NS1_11comp_targetILNS1_3genE5ELNS1_11target_archE942ELNS1_3gpuE9ELNS1_3repE0EEENS1_47radix_sort_onesweep_sort_config_static_selectorELNS0_4arch9wavefront6targetE1EEEvSG_,@function
_ZN7rocprim17ROCPRIM_400000_NS6detail17trampoline_kernelINS0_14default_configENS1_35radix_sort_onesweep_config_selectorIslEEZZNS1_29radix_sort_onesweep_iterationIS3_Lb0EPsS7_N6thrust23THRUST_200600_302600_NS10device_ptrIlEESB_jNS0_19identity_decomposerENS1_16block_id_wrapperIjLb0EEEEE10hipError_tT1_PNSt15iterator_traitsISG_E10value_typeET2_T3_PNSH_ISM_E10value_typeET4_T5_PSR_SS_PNS1_23onesweep_lookback_stateEbbT6_jjT7_P12ihipStream_tbENKUlT_T0_SG_SL_E_clIS7_S7_PlSB_EEDaSZ_S10_SG_SL_EUlSZ_E_NS1_11comp_targetILNS1_3genE5ELNS1_11target_archE942ELNS1_3gpuE9ELNS1_3repE0EEENS1_47radix_sort_onesweep_sort_config_static_selectorELNS0_4arch9wavefront6targetE1EEEvSG_: ; @_ZN7rocprim17ROCPRIM_400000_NS6detail17trampoline_kernelINS0_14default_configENS1_35radix_sort_onesweep_config_selectorIslEEZZNS1_29radix_sort_onesweep_iterationIS3_Lb0EPsS7_N6thrust23THRUST_200600_302600_NS10device_ptrIlEESB_jNS0_19identity_decomposerENS1_16block_id_wrapperIjLb0EEEEE10hipError_tT1_PNSt15iterator_traitsISG_E10value_typeET2_T3_PNSH_ISM_E10value_typeET4_T5_PSR_SS_PNS1_23onesweep_lookback_stateEbbT6_jjT7_P12ihipStream_tbENKUlT_T0_SG_SL_E_clIS7_S7_PlSB_EEDaSZ_S10_SG_SL_EUlSZ_E_NS1_11comp_targetILNS1_3genE5ELNS1_11target_archE942ELNS1_3gpuE9ELNS1_3repE0EEENS1_47radix_sort_onesweep_sort_config_static_selectorELNS0_4arch9wavefront6targetE1EEEvSG_
; %bb.0:
	.section	.rodata,"a",@progbits
	.p2align	6, 0x0
	.amdhsa_kernel _ZN7rocprim17ROCPRIM_400000_NS6detail17trampoline_kernelINS0_14default_configENS1_35radix_sort_onesweep_config_selectorIslEEZZNS1_29radix_sort_onesweep_iterationIS3_Lb0EPsS7_N6thrust23THRUST_200600_302600_NS10device_ptrIlEESB_jNS0_19identity_decomposerENS1_16block_id_wrapperIjLb0EEEEE10hipError_tT1_PNSt15iterator_traitsISG_E10value_typeET2_T3_PNSH_ISM_E10value_typeET4_T5_PSR_SS_PNS1_23onesweep_lookback_stateEbbT6_jjT7_P12ihipStream_tbENKUlT_T0_SG_SL_E_clIS7_S7_PlSB_EEDaSZ_S10_SG_SL_EUlSZ_E_NS1_11comp_targetILNS1_3genE5ELNS1_11target_archE942ELNS1_3gpuE9ELNS1_3repE0EEENS1_47radix_sort_onesweep_sort_config_static_selectorELNS0_4arch9wavefront6targetE1EEEvSG_
		.amdhsa_group_segment_fixed_size 0
		.amdhsa_private_segment_fixed_size 0
		.amdhsa_kernarg_size 88
		.amdhsa_user_sgpr_count 6
		.amdhsa_user_sgpr_private_segment_buffer 1
		.amdhsa_user_sgpr_dispatch_ptr 0
		.amdhsa_user_sgpr_queue_ptr 0
		.amdhsa_user_sgpr_kernarg_segment_ptr 1
		.amdhsa_user_sgpr_dispatch_id 0
		.amdhsa_user_sgpr_flat_scratch_init 0
		.amdhsa_user_sgpr_private_segment_size 0
		.amdhsa_uses_dynamic_stack 0
		.amdhsa_system_sgpr_private_segment_wavefront_offset 0
		.amdhsa_system_sgpr_workgroup_id_x 1
		.amdhsa_system_sgpr_workgroup_id_y 0
		.amdhsa_system_sgpr_workgroup_id_z 0
		.amdhsa_system_sgpr_workgroup_info 0
		.amdhsa_system_vgpr_workitem_id 0
		.amdhsa_next_free_vgpr 1
		.amdhsa_next_free_sgpr 0
		.amdhsa_reserve_vcc 0
		.amdhsa_reserve_flat_scratch 0
		.amdhsa_float_round_mode_32 0
		.amdhsa_float_round_mode_16_64 0
		.amdhsa_float_denorm_mode_32 3
		.amdhsa_float_denorm_mode_16_64 3
		.amdhsa_dx10_clamp 1
		.amdhsa_ieee_mode 1
		.amdhsa_fp16_overflow 0
		.amdhsa_exception_fp_ieee_invalid_op 0
		.amdhsa_exception_fp_denorm_src 0
		.amdhsa_exception_fp_ieee_div_zero 0
		.amdhsa_exception_fp_ieee_overflow 0
		.amdhsa_exception_fp_ieee_underflow 0
		.amdhsa_exception_fp_ieee_inexact 0
		.amdhsa_exception_int_div_zero 0
	.end_amdhsa_kernel
	.section	.text._ZN7rocprim17ROCPRIM_400000_NS6detail17trampoline_kernelINS0_14default_configENS1_35radix_sort_onesweep_config_selectorIslEEZZNS1_29radix_sort_onesweep_iterationIS3_Lb0EPsS7_N6thrust23THRUST_200600_302600_NS10device_ptrIlEESB_jNS0_19identity_decomposerENS1_16block_id_wrapperIjLb0EEEEE10hipError_tT1_PNSt15iterator_traitsISG_E10value_typeET2_T3_PNSH_ISM_E10value_typeET4_T5_PSR_SS_PNS1_23onesweep_lookback_stateEbbT6_jjT7_P12ihipStream_tbENKUlT_T0_SG_SL_E_clIS7_S7_PlSB_EEDaSZ_S10_SG_SL_EUlSZ_E_NS1_11comp_targetILNS1_3genE5ELNS1_11target_archE942ELNS1_3gpuE9ELNS1_3repE0EEENS1_47radix_sort_onesweep_sort_config_static_selectorELNS0_4arch9wavefront6targetE1EEEvSG_,"axG",@progbits,_ZN7rocprim17ROCPRIM_400000_NS6detail17trampoline_kernelINS0_14default_configENS1_35radix_sort_onesweep_config_selectorIslEEZZNS1_29radix_sort_onesweep_iterationIS3_Lb0EPsS7_N6thrust23THRUST_200600_302600_NS10device_ptrIlEESB_jNS0_19identity_decomposerENS1_16block_id_wrapperIjLb0EEEEE10hipError_tT1_PNSt15iterator_traitsISG_E10value_typeET2_T3_PNSH_ISM_E10value_typeET4_T5_PSR_SS_PNS1_23onesweep_lookback_stateEbbT6_jjT7_P12ihipStream_tbENKUlT_T0_SG_SL_E_clIS7_S7_PlSB_EEDaSZ_S10_SG_SL_EUlSZ_E_NS1_11comp_targetILNS1_3genE5ELNS1_11target_archE942ELNS1_3gpuE9ELNS1_3repE0EEENS1_47radix_sort_onesweep_sort_config_static_selectorELNS0_4arch9wavefront6targetE1EEEvSG_,comdat
.Lfunc_end1445:
	.size	_ZN7rocprim17ROCPRIM_400000_NS6detail17trampoline_kernelINS0_14default_configENS1_35radix_sort_onesweep_config_selectorIslEEZZNS1_29radix_sort_onesweep_iterationIS3_Lb0EPsS7_N6thrust23THRUST_200600_302600_NS10device_ptrIlEESB_jNS0_19identity_decomposerENS1_16block_id_wrapperIjLb0EEEEE10hipError_tT1_PNSt15iterator_traitsISG_E10value_typeET2_T3_PNSH_ISM_E10value_typeET4_T5_PSR_SS_PNS1_23onesweep_lookback_stateEbbT6_jjT7_P12ihipStream_tbENKUlT_T0_SG_SL_E_clIS7_S7_PlSB_EEDaSZ_S10_SG_SL_EUlSZ_E_NS1_11comp_targetILNS1_3genE5ELNS1_11target_archE942ELNS1_3gpuE9ELNS1_3repE0EEENS1_47radix_sort_onesweep_sort_config_static_selectorELNS0_4arch9wavefront6targetE1EEEvSG_, .Lfunc_end1445-_ZN7rocprim17ROCPRIM_400000_NS6detail17trampoline_kernelINS0_14default_configENS1_35radix_sort_onesweep_config_selectorIslEEZZNS1_29radix_sort_onesweep_iterationIS3_Lb0EPsS7_N6thrust23THRUST_200600_302600_NS10device_ptrIlEESB_jNS0_19identity_decomposerENS1_16block_id_wrapperIjLb0EEEEE10hipError_tT1_PNSt15iterator_traitsISG_E10value_typeET2_T3_PNSH_ISM_E10value_typeET4_T5_PSR_SS_PNS1_23onesweep_lookback_stateEbbT6_jjT7_P12ihipStream_tbENKUlT_T0_SG_SL_E_clIS7_S7_PlSB_EEDaSZ_S10_SG_SL_EUlSZ_E_NS1_11comp_targetILNS1_3genE5ELNS1_11target_archE942ELNS1_3gpuE9ELNS1_3repE0EEENS1_47radix_sort_onesweep_sort_config_static_selectorELNS0_4arch9wavefront6targetE1EEEvSG_
                                        ; -- End function
	.set _ZN7rocprim17ROCPRIM_400000_NS6detail17trampoline_kernelINS0_14default_configENS1_35radix_sort_onesweep_config_selectorIslEEZZNS1_29radix_sort_onesweep_iterationIS3_Lb0EPsS7_N6thrust23THRUST_200600_302600_NS10device_ptrIlEESB_jNS0_19identity_decomposerENS1_16block_id_wrapperIjLb0EEEEE10hipError_tT1_PNSt15iterator_traitsISG_E10value_typeET2_T3_PNSH_ISM_E10value_typeET4_T5_PSR_SS_PNS1_23onesweep_lookback_stateEbbT6_jjT7_P12ihipStream_tbENKUlT_T0_SG_SL_E_clIS7_S7_PlSB_EEDaSZ_S10_SG_SL_EUlSZ_E_NS1_11comp_targetILNS1_3genE5ELNS1_11target_archE942ELNS1_3gpuE9ELNS1_3repE0EEENS1_47radix_sort_onesweep_sort_config_static_selectorELNS0_4arch9wavefront6targetE1EEEvSG_.num_vgpr, 0
	.set _ZN7rocprim17ROCPRIM_400000_NS6detail17trampoline_kernelINS0_14default_configENS1_35radix_sort_onesweep_config_selectorIslEEZZNS1_29radix_sort_onesweep_iterationIS3_Lb0EPsS7_N6thrust23THRUST_200600_302600_NS10device_ptrIlEESB_jNS0_19identity_decomposerENS1_16block_id_wrapperIjLb0EEEEE10hipError_tT1_PNSt15iterator_traitsISG_E10value_typeET2_T3_PNSH_ISM_E10value_typeET4_T5_PSR_SS_PNS1_23onesweep_lookback_stateEbbT6_jjT7_P12ihipStream_tbENKUlT_T0_SG_SL_E_clIS7_S7_PlSB_EEDaSZ_S10_SG_SL_EUlSZ_E_NS1_11comp_targetILNS1_3genE5ELNS1_11target_archE942ELNS1_3gpuE9ELNS1_3repE0EEENS1_47radix_sort_onesweep_sort_config_static_selectorELNS0_4arch9wavefront6targetE1EEEvSG_.num_agpr, 0
	.set _ZN7rocprim17ROCPRIM_400000_NS6detail17trampoline_kernelINS0_14default_configENS1_35radix_sort_onesweep_config_selectorIslEEZZNS1_29radix_sort_onesweep_iterationIS3_Lb0EPsS7_N6thrust23THRUST_200600_302600_NS10device_ptrIlEESB_jNS0_19identity_decomposerENS1_16block_id_wrapperIjLb0EEEEE10hipError_tT1_PNSt15iterator_traitsISG_E10value_typeET2_T3_PNSH_ISM_E10value_typeET4_T5_PSR_SS_PNS1_23onesweep_lookback_stateEbbT6_jjT7_P12ihipStream_tbENKUlT_T0_SG_SL_E_clIS7_S7_PlSB_EEDaSZ_S10_SG_SL_EUlSZ_E_NS1_11comp_targetILNS1_3genE5ELNS1_11target_archE942ELNS1_3gpuE9ELNS1_3repE0EEENS1_47radix_sort_onesweep_sort_config_static_selectorELNS0_4arch9wavefront6targetE1EEEvSG_.numbered_sgpr, 0
	.set _ZN7rocprim17ROCPRIM_400000_NS6detail17trampoline_kernelINS0_14default_configENS1_35radix_sort_onesweep_config_selectorIslEEZZNS1_29radix_sort_onesweep_iterationIS3_Lb0EPsS7_N6thrust23THRUST_200600_302600_NS10device_ptrIlEESB_jNS0_19identity_decomposerENS1_16block_id_wrapperIjLb0EEEEE10hipError_tT1_PNSt15iterator_traitsISG_E10value_typeET2_T3_PNSH_ISM_E10value_typeET4_T5_PSR_SS_PNS1_23onesweep_lookback_stateEbbT6_jjT7_P12ihipStream_tbENKUlT_T0_SG_SL_E_clIS7_S7_PlSB_EEDaSZ_S10_SG_SL_EUlSZ_E_NS1_11comp_targetILNS1_3genE5ELNS1_11target_archE942ELNS1_3gpuE9ELNS1_3repE0EEENS1_47radix_sort_onesweep_sort_config_static_selectorELNS0_4arch9wavefront6targetE1EEEvSG_.num_named_barrier, 0
	.set _ZN7rocprim17ROCPRIM_400000_NS6detail17trampoline_kernelINS0_14default_configENS1_35radix_sort_onesweep_config_selectorIslEEZZNS1_29radix_sort_onesweep_iterationIS3_Lb0EPsS7_N6thrust23THRUST_200600_302600_NS10device_ptrIlEESB_jNS0_19identity_decomposerENS1_16block_id_wrapperIjLb0EEEEE10hipError_tT1_PNSt15iterator_traitsISG_E10value_typeET2_T3_PNSH_ISM_E10value_typeET4_T5_PSR_SS_PNS1_23onesweep_lookback_stateEbbT6_jjT7_P12ihipStream_tbENKUlT_T0_SG_SL_E_clIS7_S7_PlSB_EEDaSZ_S10_SG_SL_EUlSZ_E_NS1_11comp_targetILNS1_3genE5ELNS1_11target_archE942ELNS1_3gpuE9ELNS1_3repE0EEENS1_47radix_sort_onesweep_sort_config_static_selectorELNS0_4arch9wavefront6targetE1EEEvSG_.private_seg_size, 0
	.set _ZN7rocprim17ROCPRIM_400000_NS6detail17trampoline_kernelINS0_14default_configENS1_35radix_sort_onesweep_config_selectorIslEEZZNS1_29radix_sort_onesweep_iterationIS3_Lb0EPsS7_N6thrust23THRUST_200600_302600_NS10device_ptrIlEESB_jNS0_19identity_decomposerENS1_16block_id_wrapperIjLb0EEEEE10hipError_tT1_PNSt15iterator_traitsISG_E10value_typeET2_T3_PNSH_ISM_E10value_typeET4_T5_PSR_SS_PNS1_23onesweep_lookback_stateEbbT6_jjT7_P12ihipStream_tbENKUlT_T0_SG_SL_E_clIS7_S7_PlSB_EEDaSZ_S10_SG_SL_EUlSZ_E_NS1_11comp_targetILNS1_3genE5ELNS1_11target_archE942ELNS1_3gpuE9ELNS1_3repE0EEENS1_47radix_sort_onesweep_sort_config_static_selectorELNS0_4arch9wavefront6targetE1EEEvSG_.uses_vcc, 0
	.set _ZN7rocprim17ROCPRIM_400000_NS6detail17trampoline_kernelINS0_14default_configENS1_35radix_sort_onesweep_config_selectorIslEEZZNS1_29radix_sort_onesweep_iterationIS3_Lb0EPsS7_N6thrust23THRUST_200600_302600_NS10device_ptrIlEESB_jNS0_19identity_decomposerENS1_16block_id_wrapperIjLb0EEEEE10hipError_tT1_PNSt15iterator_traitsISG_E10value_typeET2_T3_PNSH_ISM_E10value_typeET4_T5_PSR_SS_PNS1_23onesweep_lookback_stateEbbT6_jjT7_P12ihipStream_tbENKUlT_T0_SG_SL_E_clIS7_S7_PlSB_EEDaSZ_S10_SG_SL_EUlSZ_E_NS1_11comp_targetILNS1_3genE5ELNS1_11target_archE942ELNS1_3gpuE9ELNS1_3repE0EEENS1_47radix_sort_onesweep_sort_config_static_selectorELNS0_4arch9wavefront6targetE1EEEvSG_.uses_flat_scratch, 0
	.set _ZN7rocprim17ROCPRIM_400000_NS6detail17trampoline_kernelINS0_14default_configENS1_35radix_sort_onesweep_config_selectorIslEEZZNS1_29radix_sort_onesweep_iterationIS3_Lb0EPsS7_N6thrust23THRUST_200600_302600_NS10device_ptrIlEESB_jNS0_19identity_decomposerENS1_16block_id_wrapperIjLb0EEEEE10hipError_tT1_PNSt15iterator_traitsISG_E10value_typeET2_T3_PNSH_ISM_E10value_typeET4_T5_PSR_SS_PNS1_23onesweep_lookback_stateEbbT6_jjT7_P12ihipStream_tbENKUlT_T0_SG_SL_E_clIS7_S7_PlSB_EEDaSZ_S10_SG_SL_EUlSZ_E_NS1_11comp_targetILNS1_3genE5ELNS1_11target_archE942ELNS1_3gpuE9ELNS1_3repE0EEENS1_47radix_sort_onesweep_sort_config_static_selectorELNS0_4arch9wavefront6targetE1EEEvSG_.has_dyn_sized_stack, 0
	.set _ZN7rocprim17ROCPRIM_400000_NS6detail17trampoline_kernelINS0_14default_configENS1_35radix_sort_onesweep_config_selectorIslEEZZNS1_29radix_sort_onesweep_iterationIS3_Lb0EPsS7_N6thrust23THRUST_200600_302600_NS10device_ptrIlEESB_jNS0_19identity_decomposerENS1_16block_id_wrapperIjLb0EEEEE10hipError_tT1_PNSt15iterator_traitsISG_E10value_typeET2_T3_PNSH_ISM_E10value_typeET4_T5_PSR_SS_PNS1_23onesweep_lookback_stateEbbT6_jjT7_P12ihipStream_tbENKUlT_T0_SG_SL_E_clIS7_S7_PlSB_EEDaSZ_S10_SG_SL_EUlSZ_E_NS1_11comp_targetILNS1_3genE5ELNS1_11target_archE942ELNS1_3gpuE9ELNS1_3repE0EEENS1_47radix_sort_onesweep_sort_config_static_selectorELNS0_4arch9wavefront6targetE1EEEvSG_.has_recursion, 0
	.set _ZN7rocprim17ROCPRIM_400000_NS6detail17trampoline_kernelINS0_14default_configENS1_35radix_sort_onesweep_config_selectorIslEEZZNS1_29radix_sort_onesweep_iterationIS3_Lb0EPsS7_N6thrust23THRUST_200600_302600_NS10device_ptrIlEESB_jNS0_19identity_decomposerENS1_16block_id_wrapperIjLb0EEEEE10hipError_tT1_PNSt15iterator_traitsISG_E10value_typeET2_T3_PNSH_ISM_E10value_typeET4_T5_PSR_SS_PNS1_23onesweep_lookback_stateEbbT6_jjT7_P12ihipStream_tbENKUlT_T0_SG_SL_E_clIS7_S7_PlSB_EEDaSZ_S10_SG_SL_EUlSZ_E_NS1_11comp_targetILNS1_3genE5ELNS1_11target_archE942ELNS1_3gpuE9ELNS1_3repE0EEENS1_47radix_sort_onesweep_sort_config_static_selectorELNS0_4arch9wavefront6targetE1EEEvSG_.has_indirect_call, 0
	.section	.AMDGPU.csdata,"",@progbits
; Kernel info:
; codeLenInByte = 0
; TotalNumSgprs: 4
; NumVgprs: 0
; ScratchSize: 0
; MemoryBound: 0
; FloatMode: 240
; IeeeMode: 1
; LDSByteSize: 0 bytes/workgroup (compile time only)
; SGPRBlocks: 0
; VGPRBlocks: 0
; NumSGPRsForWavesPerEU: 4
; NumVGPRsForWavesPerEU: 1
; Occupancy: 10
; WaveLimiterHint : 0
; COMPUTE_PGM_RSRC2:SCRATCH_EN: 0
; COMPUTE_PGM_RSRC2:USER_SGPR: 6
; COMPUTE_PGM_RSRC2:TRAP_HANDLER: 0
; COMPUTE_PGM_RSRC2:TGID_X_EN: 1
; COMPUTE_PGM_RSRC2:TGID_Y_EN: 0
; COMPUTE_PGM_RSRC2:TGID_Z_EN: 0
; COMPUTE_PGM_RSRC2:TIDIG_COMP_CNT: 0
	.section	.text._ZN7rocprim17ROCPRIM_400000_NS6detail17trampoline_kernelINS0_14default_configENS1_35radix_sort_onesweep_config_selectorIslEEZZNS1_29radix_sort_onesweep_iterationIS3_Lb0EPsS7_N6thrust23THRUST_200600_302600_NS10device_ptrIlEESB_jNS0_19identity_decomposerENS1_16block_id_wrapperIjLb0EEEEE10hipError_tT1_PNSt15iterator_traitsISG_E10value_typeET2_T3_PNSH_ISM_E10value_typeET4_T5_PSR_SS_PNS1_23onesweep_lookback_stateEbbT6_jjT7_P12ihipStream_tbENKUlT_T0_SG_SL_E_clIS7_S7_PlSB_EEDaSZ_S10_SG_SL_EUlSZ_E_NS1_11comp_targetILNS1_3genE2ELNS1_11target_archE906ELNS1_3gpuE6ELNS1_3repE0EEENS1_47radix_sort_onesweep_sort_config_static_selectorELNS0_4arch9wavefront6targetE1EEEvSG_,"axG",@progbits,_ZN7rocprim17ROCPRIM_400000_NS6detail17trampoline_kernelINS0_14default_configENS1_35radix_sort_onesweep_config_selectorIslEEZZNS1_29radix_sort_onesweep_iterationIS3_Lb0EPsS7_N6thrust23THRUST_200600_302600_NS10device_ptrIlEESB_jNS0_19identity_decomposerENS1_16block_id_wrapperIjLb0EEEEE10hipError_tT1_PNSt15iterator_traitsISG_E10value_typeET2_T3_PNSH_ISM_E10value_typeET4_T5_PSR_SS_PNS1_23onesweep_lookback_stateEbbT6_jjT7_P12ihipStream_tbENKUlT_T0_SG_SL_E_clIS7_S7_PlSB_EEDaSZ_S10_SG_SL_EUlSZ_E_NS1_11comp_targetILNS1_3genE2ELNS1_11target_archE906ELNS1_3gpuE6ELNS1_3repE0EEENS1_47radix_sort_onesweep_sort_config_static_selectorELNS0_4arch9wavefront6targetE1EEEvSG_,comdat
	.protected	_ZN7rocprim17ROCPRIM_400000_NS6detail17trampoline_kernelINS0_14default_configENS1_35radix_sort_onesweep_config_selectorIslEEZZNS1_29radix_sort_onesweep_iterationIS3_Lb0EPsS7_N6thrust23THRUST_200600_302600_NS10device_ptrIlEESB_jNS0_19identity_decomposerENS1_16block_id_wrapperIjLb0EEEEE10hipError_tT1_PNSt15iterator_traitsISG_E10value_typeET2_T3_PNSH_ISM_E10value_typeET4_T5_PSR_SS_PNS1_23onesweep_lookback_stateEbbT6_jjT7_P12ihipStream_tbENKUlT_T0_SG_SL_E_clIS7_S7_PlSB_EEDaSZ_S10_SG_SL_EUlSZ_E_NS1_11comp_targetILNS1_3genE2ELNS1_11target_archE906ELNS1_3gpuE6ELNS1_3repE0EEENS1_47radix_sort_onesweep_sort_config_static_selectorELNS0_4arch9wavefront6targetE1EEEvSG_ ; -- Begin function _ZN7rocprim17ROCPRIM_400000_NS6detail17trampoline_kernelINS0_14default_configENS1_35radix_sort_onesweep_config_selectorIslEEZZNS1_29radix_sort_onesweep_iterationIS3_Lb0EPsS7_N6thrust23THRUST_200600_302600_NS10device_ptrIlEESB_jNS0_19identity_decomposerENS1_16block_id_wrapperIjLb0EEEEE10hipError_tT1_PNSt15iterator_traitsISG_E10value_typeET2_T3_PNSH_ISM_E10value_typeET4_T5_PSR_SS_PNS1_23onesweep_lookback_stateEbbT6_jjT7_P12ihipStream_tbENKUlT_T0_SG_SL_E_clIS7_S7_PlSB_EEDaSZ_S10_SG_SL_EUlSZ_E_NS1_11comp_targetILNS1_3genE2ELNS1_11target_archE906ELNS1_3gpuE6ELNS1_3repE0EEENS1_47radix_sort_onesweep_sort_config_static_selectorELNS0_4arch9wavefront6targetE1EEEvSG_
	.globl	_ZN7rocprim17ROCPRIM_400000_NS6detail17trampoline_kernelINS0_14default_configENS1_35radix_sort_onesweep_config_selectorIslEEZZNS1_29radix_sort_onesweep_iterationIS3_Lb0EPsS7_N6thrust23THRUST_200600_302600_NS10device_ptrIlEESB_jNS0_19identity_decomposerENS1_16block_id_wrapperIjLb0EEEEE10hipError_tT1_PNSt15iterator_traitsISG_E10value_typeET2_T3_PNSH_ISM_E10value_typeET4_T5_PSR_SS_PNS1_23onesweep_lookback_stateEbbT6_jjT7_P12ihipStream_tbENKUlT_T0_SG_SL_E_clIS7_S7_PlSB_EEDaSZ_S10_SG_SL_EUlSZ_E_NS1_11comp_targetILNS1_3genE2ELNS1_11target_archE906ELNS1_3gpuE6ELNS1_3repE0EEENS1_47radix_sort_onesweep_sort_config_static_selectorELNS0_4arch9wavefront6targetE1EEEvSG_
	.p2align	8
	.type	_ZN7rocprim17ROCPRIM_400000_NS6detail17trampoline_kernelINS0_14default_configENS1_35radix_sort_onesweep_config_selectorIslEEZZNS1_29radix_sort_onesweep_iterationIS3_Lb0EPsS7_N6thrust23THRUST_200600_302600_NS10device_ptrIlEESB_jNS0_19identity_decomposerENS1_16block_id_wrapperIjLb0EEEEE10hipError_tT1_PNSt15iterator_traitsISG_E10value_typeET2_T3_PNSH_ISM_E10value_typeET4_T5_PSR_SS_PNS1_23onesweep_lookback_stateEbbT6_jjT7_P12ihipStream_tbENKUlT_T0_SG_SL_E_clIS7_S7_PlSB_EEDaSZ_S10_SG_SL_EUlSZ_E_NS1_11comp_targetILNS1_3genE2ELNS1_11target_archE906ELNS1_3gpuE6ELNS1_3repE0EEENS1_47radix_sort_onesweep_sort_config_static_selectorELNS0_4arch9wavefront6targetE1EEEvSG_,@function
_ZN7rocprim17ROCPRIM_400000_NS6detail17trampoline_kernelINS0_14default_configENS1_35radix_sort_onesweep_config_selectorIslEEZZNS1_29radix_sort_onesweep_iterationIS3_Lb0EPsS7_N6thrust23THRUST_200600_302600_NS10device_ptrIlEESB_jNS0_19identity_decomposerENS1_16block_id_wrapperIjLb0EEEEE10hipError_tT1_PNSt15iterator_traitsISG_E10value_typeET2_T3_PNSH_ISM_E10value_typeET4_T5_PSR_SS_PNS1_23onesweep_lookback_stateEbbT6_jjT7_P12ihipStream_tbENKUlT_T0_SG_SL_E_clIS7_S7_PlSB_EEDaSZ_S10_SG_SL_EUlSZ_E_NS1_11comp_targetILNS1_3genE2ELNS1_11target_archE906ELNS1_3gpuE6ELNS1_3repE0EEENS1_47radix_sort_onesweep_sort_config_static_selectorELNS0_4arch9wavefront6targetE1EEEvSG_: ; @_ZN7rocprim17ROCPRIM_400000_NS6detail17trampoline_kernelINS0_14default_configENS1_35radix_sort_onesweep_config_selectorIslEEZZNS1_29radix_sort_onesweep_iterationIS3_Lb0EPsS7_N6thrust23THRUST_200600_302600_NS10device_ptrIlEESB_jNS0_19identity_decomposerENS1_16block_id_wrapperIjLb0EEEEE10hipError_tT1_PNSt15iterator_traitsISG_E10value_typeET2_T3_PNSH_ISM_E10value_typeET4_T5_PSR_SS_PNS1_23onesweep_lookback_stateEbbT6_jjT7_P12ihipStream_tbENKUlT_T0_SG_SL_E_clIS7_S7_PlSB_EEDaSZ_S10_SG_SL_EUlSZ_E_NS1_11comp_targetILNS1_3genE2ELNS1_11target_archE906ELNS1_3gpuE6ELNS1_3repE0EEENS1_47radix_sort_onesweep_sort_config_static_selectorELNS0_4arch9wavefront6targetE1EEEvSG_
; %bb.0:
	s_add_u32 s0, s0, s7
	s_load_dwordx4 s[40:43], s[4:5], 0x44
	s_load_dwordx8 s[24:31], s[4:5], 0x0
	s_load_dwordx4 s[36:39], s[4:5], 0x28
	s_load_dwordx2 s[44:45], s[4:5], 0x38
	s_addc_u32 s1, s1, 0
	s_mov_b64 s[8:9], -1
	s_waitcnt lgkmcnt(0)
	s_cmp_ge_u32 s6, s42
	s_mul_i32 s34, s6, 0xc00
	v_mbcnt_lo_u32_b32 v17, -1, 0
	s_cbranch_scc0 .LBB1446_78
; %bb.1:
	s_load_dword s7, s[4:5], 0x20
	s_mul_i32 s10, s42, 0xfffff400
	s_mov_b32 s35, 0
	v_mbcnt_hi_u32_b32 v11, -1, v17
	s_lshl_b64 s[8:9], s[34:35], 1
	s_waitcnt lgkmcnt(0)
	s_add_i32 s7, s7, s10
	s_add_u32 s8, s24, s8
	v_and_b32_e32 v10, 63, v11
	s_addc_u32 s9, s25, s9
	v_and_b32_e32 v12, 0x1c0, v0
	v_lshlrev_b32_e32 v3, 1, v10
	v_mul_u32_u24_e32 v9, 6, v12
	v_mov_b32_e32 v4, s9
	v_add_co_u32_e32 v3, vcc, s8, v3
	v_addc_co_u32_e32 v4, vcc, 0, v4, vcc
	v_lshlrev_b32_e32 v5, 1, v9
	v_add_co_u32_e32 v7, vcc, v3, v5
	v_addc_co_u32_e32 v8, vcc, 0, v4, vcc
	v_or_b32_e32 v13, v10, v9
	v_mov_b32_e32 v3, 0x7fff7fff
	v_cmp_gt_u32_e32 vcc, s7, v13
	v_mov_b32_e32 v4, v3
	v_mov_b32_e32 v5, v3
	s_and_saveexec_b64 s[8:9], vcc
	s_cbranch_execz .LBB1446_3
; %bb.2:
	global_load_ushort v4, v[7:8], off
	s_movk_i32 s10, 0x7fff
	v_mov_b32_e32 v6, 0x5040100
	v_mov_b32_e32 v5, v3
	s_waitcnt vmcnt(0)
	v_perm_b32 v4, s10, v4, v6
	v_mov_b32_e32 v6, v3
	v_mov_b32_e32 v3, v4
	;; [unrolled: 1-line block ×5, first 2 shown]
.LBB1446_3:
	s_or_b64 exec, exec, s[8:9]
	v_or_b32_e32 v6, 64, v13
	v_cmp_gt_u32_e64 s[20:21], s7, v6
	s_and_saveexec_b64 s[8:9], s[20:21]
	s_cbranch_execz .LBB1446_5
; %bb.4:
	global_load_ushort v6, v[7:8], off offset:128
	s_mov_b32 s10, 0x5040100
	s_waitcnt vmcnt(0)
	v_perm_b32 v3, v6, v3, s10
.LBB1446_5:
	s_or_b64 exec, exec, s[8:9]
	v_add_u32_e32 v6, 0x80, v13
	v_cmp_gt_u32_e64 s[8:9], s7, v6
	s_and_saveexec_b64 s[10:11], s[8:9]
	s_cbranch_execz .LBB1446_7
; %bb.6:
	global_load_ushort v6, v[7:8], off offset:256
	s_mov_b32 s12, 0xffff
	s_waitcnt vmcnt(0)
	v_bfi_b32 v4, s12, v6, v4
.LBB1446_7:
	s_or_b64 exec, exec, s[10:11]
	v_add_u32_e32 v6, 0xc0, v13
	v_cmp_gt_u32_e64 s[10:11], s7, v6
	s_and_saveexec_b64 s[12:13], s[10:11]
	s_cbranch_execz .LBB1446_9
; %bb.8:
	global_load_ushort v6, v[7:8], off offset:384
	s_mov_b32 s14, 0x5040100
	s_waitcnt vmcnt(0)
	v_perm_b32 v4, v6, v4, s14
.LBB1446_9:
	s_or_b64 exec, exec, s[12:13]
	v_add_u32_e32 v6, 0x100, v13
	v_cmp_gt_u32_e64 s[12:13], s7, v6
	s_and_saveexec_b64 s[14:15], s[12:13]
	s_cbranch_execz .LBB1446_11
; %bb.10:
	global_load_ushort v6, v[7:8], off offset:512
	s_mov_b32 s16, 0xffff
	s_waitcnt vmcnt(0)
	v_bfi_b32 v5, s16, v6, v5
.LBB1446_11:
	s_or_b64 exec, exec, s[14:15]
	v_add_u32_e32 v6, 0x140, v13
	v_cmp_gt_u32_e64 s[14:15], s7, v6
	s_and_saveexec_b64 s[16:17], s[14:15]
	s_cbranch_execz .LBB1446_13
; %bb.12:
	global_load_ushort v6, v[7:8], off offset:640
	s_mov_b32 s18, 0x5040100
	s_waitcnt vmcnt(0)
	v_perm_b32 v5, v6, v5, s18
.LBB1446_13:
	s_or_b64 exec, exec, s[16:17]
	s_load_dword s16, s[4:5], 0x64
	s_load_dword s33, s[4:5], 0x58
	s_add_u32 s17, s4, 0x58
	s_addc_u32 s18, s5, 0
	v_mov_b32_e32 v6, 0
	s_waitcnt lgkmcnt(0)
	s_lshr_b32 s19, s16, 16
	s_cmp_lt_u32 s6, s33
	s_cselect_b32 s16, 12, 18
	s_add_u32 s16, s17, s16
	s_addc_u32 s17, s18, 0
	global_load_ushort v8, v6, s[16:17]
	v_xor_b32_e32 v13, 0xffff8000, v3
	s_lshl_b32 s16, -1, s41
	v_lshrrev_b32_sdwa v7, s40, v13 dst_sel:DWORD dst_unused:UNUSED_PAD src0_sel:DWORD src1_sel:WORD_0
	s_not_b32 s50, s16
	v_and_b32_e32 v16, s50, v7
	v_and_b32_e32 v19, 1, v16
	v_add_co_u32_e64 v20, s[16:17], -1, v19
	v_lshlrev_b32_e32 v7, 30, v16
	v_addc_co_u32_e64 v21, s[16:17], 0, -1, s[16:17]
	v_mad_u32_u24 v15, v2, s19, v1
	v_cmp_ne_u32_e64 s[16:17], 0, v19
	v_cmp_gt_i64_e64 s[18:19], 0, v[6:7]
	v_not_b32_e32 v19, v7
	v_lshlrev_b32_e32 v7, 29, v16
	v_xor_b32_e32 v21, s17, v21
	v_xor_b32_e32 v20, s16, v20
	v_ashrrev_i32_e32 v19, 31, v19
	v_cmp_gt_i64_e64 s[16:17], 0, v[6:7]
	v_not_b32_e32 v22, v7
	v_lshlrev_b32_e32 v7, 28, v16
	v_and_b32_e32 v21, exec_hi, v21
	v_and_b32_e32 v20, exec_lo, v20
	v_xor_b32_e32 v23, s19, v19
	v_xor_b32_e32 v19, s18, v19
	v_ashrrev_i32_e32 v22, 31, v22
	v_cmp_gt_i64_e64 s[18:19], 0, v[6:7]
	v_not_b32_e32 v24, v7
	v_lshlrev_b32_e32 v7, 27, v16
	v_and_b32_e32 v21, v21, v23
	v_and_b32_e32 v19, v20, v19
	v_xor_b32_e32 v20, s17, v22
	v_xor_b32_e32 v22, s16, v22
	v_ashrrev_i32_e32 v23, 31, v24
	v_cmp_gt_i64_e64 s[16:17], 0, v[6:7]
	v_not_b32_e32 v24, v7
	v_lshlrev_b32_e32 v7, 26, v16
	v_and_b32_e32 v20, v21, v20
	v_and_b32_e32 v19, v19, v22
	;; [unrolled: 8-line block ×3, first 2 shown]
	v_xor_b32_e32 v21, s17, v23
	v_xor_b32_e32 v22, s16, v23
	v_ashrrev_i32_e32 v23, 31, v24
	v_cmp_gt_i64_e64 s[16:17], 0, v[6:7]
	v_not_b32_e32 v24, v7
	v_mul_u32_u24_e32 v18, 36, v16
	v_lshlrev_b32_e32 v7, 24, v16
	v_and_b32_e32 v16, v20, v21
	v_and_b32_e32 v19, v19, v22
	v_xor_b32_e32 v20, s19, v23
	v_ashrrev_i32_e32 v22, 31, v24
	v_xor_b32_e32 v21, s18, v23
	v_and_b32_e32 v16, v16, v20
	v_xor_b32_e32 v20, s17, v22
	v_and_b32_e32 v19, v19, v21
	;; [unrolled: 2-line block ×3, first 2 shown]
	v_cmp_gt_i64_e64 s[18:19], 0, v[6:7]
	v_not_b32_e32 v7, v7
	v_ashrrev_i32_e32 v7, 31, v7
	v_and_b32_e32 v19, v19, v21
	v_xor_b32_e32 v21, s19, v7
	v_xor_b32_e32 v7, s18, v7
	v_and_b32_e32 v7, v19, v7
	s_movk_i32 s22, 0x8000
	v_mul_u32_u24_e32 v14, 20, v0
	ds_write2_b32 v14, v6, v6 offset0:8 offset1:9
	ds_write2_b32 v14, v6, v6 offset0:10 offset1:11
	ds_write_b32 v14, v6 offset:48
	s_waitcnt vmcnt(0) lgkmcnt(0)
	s_barrier
	v_mad_u64_u32 v[15:16], s[16:17], v15, v8, v[0:1]
	v_and_b32_e32 v8, v20, v21
	v_cmp_ne_u64_e64 s[16:17], 0, v[7:8]
	v_lshrrev_b32_e32 v15, 4, v15
	v_and_b32_e32 v31, 0xffffffc, v15
	v_mbcnt_lo_u32_b32 v15, v7, 0
	v_mbcnt_hi_u32_b32 v15, v8, v15
	v_cmp_eq_u32_e64 s[18:19], 0, v15
	s_and_b64 s[18:19], s[16:17], s[18:19]
	v_add_u32_e32 v27, v31, v18
	; wave barrier
	s_and_saveexec_b64 s[16:17], s[18:19]
; %bb.14:
	v_bcnt_u32_b32 v7, v7, 0
	v_bcnt_u32_b32 v7, v8, v7
	ds_write_b32 v27, v7 offset:32
; %bb.15:
	s_or_b64 exec, exec, s[16:17]
	v_xor_b32_sdwa v16, v3, s22 dst_sel:DWORD dst_unused:UNUSED_PAD src0_sel:WORD_1 src1_sel:DWORD
	v_lshrrev_b32_sdwa v3, s40, v16 dst_sel:DWORD dst_unused:UNUSED_PAD src0_sel:DWORD src1_sel:WORD_0
	v_and_b32_e32 v3, s50, v3
	v_mad_u32_u24 v7, v3, 36, v31
	; wave barrier
	ds_read_b32 v18, v7 offset:32
	v_and_b32_e32 v7, 1, v3
	v_add_co_u32_e64 v19, s[16:17], -1, v7
	v_addc_co_u32_e64 v20, s[16:17], 0, -1, s[16:17]
	v_cmp_ne_u32_e64 s[16:17], 0, v7
	v_xor_b32_e32 v7, s17, v20
	v_and_b32_e32 v20, exec_hi, v7
	v_lshlrev_b32_e32 v7, 30, v3
	v_xor_b32_e32 v19, s16, v19
	v_cmp_gt_i64_e64 s[16:17], 0, v[6:7]
	v_not_b32_e32 v7, v7
	v_ashrrev_i32_e32 v7, 31, v7
	v_and_b32_e32 v19, exec_lo, v19
	v_xor_b32_e32 v21, s17, v7
	v_xor_b32_e32 v7, s16, v7
	v_and_b32_e32 v19, v19, v7
	v_lshlrev_b32_e32 v7, 29, v3
	v_cmp_gt_i64_e64 s[16:17], 0, v[6:7]
	v_not_b32_e32 v7, v7
	v_ashrrev_i32_e32 v7, 31, v7
	v_and_b32_e32 v20, v20, v21
	v_xor_b32_e32 v21, s17, v7
	v_xor_b32_e32 v7, s16, v7
	v_and_b32_e32 v19, v19, v7
	v_lshlrev_b32_e32 v7, 28, v3
	v_cmp_gt_i64_e64 s[16:17], 0, v[6:7]
	v_not_b32_e32 v7, v7
	v_ashrrev_i32_e32 v7, 31, v7
	v_and_b32_e32 v20, v20, v21
	;; [unrolled: 8-line block ×5, first 2 shown]
	v_xor_b32_e32 v21, s17, v7
	v_xor_b32_e32 v7, s16, v7
	v_and_b32_e32 v19, v19, v7
	v_lshlrev_b32_e32 v7, 24, v3
	v_mul_u32_u24_e32 v8, 36, v3
	v_cmp_gt_i64_e64 s[16:17], 0, v[6:7]
	v_not_b32_e32 v3, v7
	v_ashrrev_i32_e32 v3, 31, v3
	v_and_b32_e32 v20, v20, v21
	v_xor_b32_e32 v6, s17, v3
	v_xor_b32_e32 v3, s16, v3
	v_and_b32_e32 v7, v20, v6
	v_and_b32_e32 v6, v19, v3
	v_mbcnt_lo_u32_b32 v3, v6, 0
	v_mbcnt_hi_u32_b32 v19, v7, v3
	v_cmp_ne_u64_e64 s[16:17], 0, v[6:7]
	v_cmp_eq_u32_e64 s[18:19], 0, v19
	s_and_b64 s[18:19], s[16:17], s[18:19]
	v_add_u32_e32 v30, v31, v8
	; wave barrier
	s_and_saveexec_b64 s[16:17], s[18:19]
	s_cbranch_execz .LBB1446_17
; %bb.16:
	v_bcnt_u32_b32 v3, v6, 0
	v_bcnt_u32_b32 v3, v7, v3
	s_waitcnt lgkmcnt(0)
	v_add_u32_e32 v3, v18, v3
	ds_write_b32 v30, v3 offset:32
.LBB1446_17:
	s_or_b64 exec, exec, s[16:17]
	v_xor_b32_e32 v28, 0xffff8000, v4
	v_lshrrev_b32_sdwa v3, s40, v28 dst_sel:DWORD dst_unused:UNUSED_PAD src0_sel:DWORD src1_sel:WORD_0
	v_and_b32_e32 v3, s50, v3
	v_and_b32_e32 v7, 1, v3
	v_add_co_u32_e64 v8, s[16:17], -1, v7
	v_addc_co_u32_e64 v21, s[16:17], 0, -1, s[16:17]
	v_cmp_ne_u32_e64 s[16:17], 0, v7
	v_mad_u32_u24 v6, v3, 36, v31
	v_xor_b32_e32 v7, s17, v21
	; wave barrier
	ds_read_b32 v20, v6 offset:32
	v_mov_b32_e32 v6, 0
	v_and_b32_e32 v21, exec_hi, v7
	v_lshlrev_b32_e32 v7, 30, v3
	v_xor_b32_e32 v8, s16, v8
	v_cmp_gt_i64_e64 s[16:17], 0, v[6:7]
	v_not_b32_e32 v7, v7
	v_ashrrev_i32_e32 v7, 31, v7
	v_and_b32_e32 v8, exec_lo, v8
	v_xor_b32_e32 v23, s17, v7
	v_xor_b32_e32 v7, s16, v7
	v_and_b32_e32 v8, v8, v7
	v_lshlrev_b32_e32 v7, 29, v3
	v_cmp_gt_i64_e64 s[16:17], 0, v[6:7]
	v_not_b32_e32 v7, v7
	v_ashrrev_i32_e32 v7, 31, v7
	v_and_b32_e32 v21, v21, v23
	v_xor_b32_e32 v23, s17, v7
	v_xor_b32_e32 v7, s16, v7
	v_and_b32_e32 v8, v8, v7
	v_lshlrev_b32_e32 v7, 28, v3
	v_cmp_gt_i64_e64 s[16:17], 0, v[6:7]
	v_not_b32_e32 v7, v7
	v_ashrrev_i32_e32 v7, 31, v7
	v_and_b32_e32 v21, v21, v23
	;; [unrolled: 8-line block ×5, first 2 shown]
	v_xor_b32_e32 v23, s17, v7
	v_xor_b32_e32 v7, s16, v7
	v_and_b32_e32 v21, v21, v23
	v_and_b32_e32 v23, v8, v7
	v_lshlrev_b32_e32 v7, 24, v3
	v_mul_u32_u24_e32 v22, 36, v3
	v_cmp_gt_i64_e64 s[16:17], 0, v[6:7]
	v_not_b32_e32 v3, v7
	v_ashrrev_i32_e32 v3, 31, v3
	v_xor_b32_e32 v7, s17, v3
	v_xor_b32_e32 v3, s16, v3
	v_and_b32_e32 v8, v21, v7
	v_and_b32_e32 v7, v23, v3
	v_mbcnt_lo_u32_b32 v3, v7, 0
	v_mbcnt_hi_u32_b32 v21, v8, v3
	v_cmp_ne_u64_e64 s[16:17], 0, v[7:8]
	v_cmp_eq_u32_e64 s[18:19], 0, v21
	s_and_b64 s[18:19], s[16:17], s[18:19]
	v_add_u32_e32 v33, v31, v22
	; wave barrier
	s_and_saveexec_b64 s[16:17], s[18:19]
	s_cbranch_execz .LBB1446_19
; %bb.18:
	v_bcnt_u32_b32 v3, v7, 0
	v_bcnt_u32_b32 v3, v8, v3
	s_waitcnt lgkmcnt(0)
	v_add_u32_e32 v3, v20, v3
	ds_write_b32 v33, v3 offset:32
.LBB1446_19:
	s_or_b64 exec, exec, s[16:17]
	v_xor_b32_sdwa v8, v4, s22 dst_sel:DWORD dst_unused:UNUSED_PAD src0_sel:WORD_1 src1_sel:DWORD
	v_lshrrev_b32_sdwa v3, s40, v8 dst_sel:DWORD dst_unused:UNUSED_PAD src0_sel:DWORD src1_sel:WORD_0
	v_and_b32_e32 v3, s50, v3
	v_mad_u32_u24 v4, v3, 36, v31
	; wave barrier
	ds_read_b32 v22, v4 offset:32
	v_and_b32_e32 v4, 1, v3
	v_add_co_u32_e64 v7, s[16:17], -1, v4
	v_addc_co_u32_e64 v23, s[16:17], 0, -1, s[16:17]
	v_cmp_ne_u32_e64 s[16:17], 0, v4
	v_xor_b32_e32 v7, s16, v7
	v_xor_b32_e32 v4, s17, v23
	v_and_b32_e32 v23, exec_lo, v7
	v_lshlrev_b32_e32 v7, 30, v3
	v_cmp_gt_i64_e64 s[16:17], 0, v[6:7]
	v_not_b32_e32 v7, v7
	v_ashrrev_i32_e32 v7, 31, v7
	v_xor_b32_e32 v25, s17, v7
	v_xor_b32_e32 v7, s16, v7
	v_and_b32_e32 v23, v23, v7
	v_lshlrev_b32_e32 v7, 29, v3
	v_cmp_gt_i64_e64 s[16:17], 0, v[6:7]
	v_not_b32_e32 v7, v7
	v_and_b32_e32 v4, exec_hi, v4
	v_ashrrev_i32_e32 v7, 31, v7
	v_and_b32_e32 v4, v4, v25
	v_xor_b32_e32 v25, s17, v7
	v_xor_b32_e32 v7, s16, v7
	v_and_b32_e32 v23, v23, v7
	v_lshlrev_b32_e32 v7, 28, v3
	v_cmp_gt_i64_e64 s[16:17], 0, v[6:7]
	v_not_b32_e32 v7, v7
	v_ashrrev_i32_e32 v7, 31, v7
	v_and_b32_e32 v4, v4, v25
	v_xor_b32_e32 v25, s17, v7
	v_xor_b32_e32 v7, s16, v7
	v_and_b32_e32 v23, v23, v7
	v_lshlrev_b32_e32 v7, 27, v3
	v_cmp_gt_i64_e64 s[16:17], 0, v[6:7]
	v_not_b32_e32 v7, v7
	;; [unrolled: 8-line block ×4, first 2 shown]
	v_ashrrev_i32_e32 v7, 31, v7
	v_and_b32_e32 v4, v4, v25
	v_xor_b32_e32 v25, s17, v7
	v_xor_b32_e32 v7, s16, v7
	v_and_b32_e32 v23, v23, v7
	v_lshlrev_b32_e32 v7, 24, v3
	v_mul_u32_u24_e32 v24, 36, v3
	v_cmp_gt_i64_e64 s[16:17], 0, v[6:7]
	v_not_b32_e32 v3, v7
	v_ashrrev_i32_e32 v3, 31, v3
	v_xor_b32_e32 v6, s17, v3
	v_xor_b32_e32 v3, s16, v3
	v_and_b32_e32 v4, v4, v25
	v_and_b32_e32 v3, v23, v3
	;; [unrolled: 1-line block ×3, first 2 shown]
	v_mbcnt_lo_u32_b32 v6, v3, 0
	v_mbcnt_hi_u32_b32 v23, v4, v6
	v_cmp_ne_u64_e64 s[16:17], 0, v[3:4]
	v_cmp_eq_u32_e64 s[18:19], 0, v23
	s_and_b64 s[18:19], s[16:17], s[18:19]
	v_add_u32_e32 v34, v31, v24
	; wave barrier
	s_and_saveexec_b64 s[16:17], s[18:19]
	s_cbranch_execz .LBB1446_21
; %bb.20:
	v_bcnt_u32_b32 v3, v3, 0
	v_bcnt_u32_b32 v3, v4, v3
	s_waitcnt lgkmcnt(0)
	v_add_u32_e32 v3, v22, v3
	ds_write_b32 v34, v3 offset:32
.LBB1446_21:
	s_or_b64 exec, exec, s[16:17]
	v_xor_b32_e32 v37, 0xffff8000, v5
	v_lshrrev_b32_sdwa v3, s40, v37 dst_sel:DWORD dst_unused:UNUSED_PAD src0_sel:DWORD src1_sel:WORD_0
	v_and_b32_e32 v6, s50, v3
	v_and_b32_e32 v4, 1, v6
	v_add_co_u32_e64 v7, s[16:17], -1, v4
	v_addc_co_u32_e64 v25, s[16:17], 0, -1, s[16:17]
	v_cmp_ne_u32_e64 s[16:17], 0, v4
	v_mad_u32_u24 v3, v6, 36, v31
	v_xor_b32_e32 v4, s17, v25
	; wave barrier
	ds_read_b32 v24, v3 offset:32
	v_mov_b32_e32 v3, 0
	v_and_b32_e32 v25, exec_hi, v4
	v_lshlrev_b32_e32 v4, 30, v6
	v_xor_b32_e32 v7, s16, v7
	v_cmp_gt_i64_e64 s[16:17], 0, v[3:4]
	v_not_b32_e32 v4, v4
	v_ashrrev_i32_e32 v4, 31, v4
	v_and_b32_e32 v7, exec_lo, v7
	v_xor_b32_e32 v29, s17, v4
	v_xor_b32_e32 v4, s16, v4
	v_and_b32_e32 v7, v7, v4
	v_lshlrev_b32_e32 v4, 29, v6
	v_cmp_gt_i64_e64 s[16:17], 0, v[3:4]
	v_not_b32_e32 v4, v4
	v_ashrrev_i32_e32 v4, 31, v4
	v_and_b32_e32 v25, v25, v29
	v_xor_b32_e32 v29, s17, v4
	v_xor_b32_e32 v4, s16, v4
	v_and_b32_e32 v7, v7, v4
	v_lshlrev_b32_e32 v4, 28, v6
	v_cmp_gt_i64_e64 s[16:17], 0, v[3:4]
	v_not_b32_e32 v4, v4
	v_ashrrev_i32_e32 v4, 31, v4
	v_and_b32_e32 v25, v25, v29
	v_xor_b32_e32 v29, s17, v4
	v_xor_b32_e32 v4, s16, v4
	v_and_b32_e32 v7, v7, v4
	v_lshlrev_b32_e32 v4, 27, v6
	v_cmp_gt_i64_e64 s[16:17], 0, v[3:4]
	v_not_b32_e32 v4, v4
	v_ashrrev_i32_e32 v4, 31, v4
	v_and_b32_e32 v25, v25, v29
	v_xor_b32_e32 v29, s17, v4
	v_xor_b32_e32 v4, s16, v4
	v_and_b32_e32 v7, v7, v4
	v_lshlrev_b32_e32 v4, 26, v6
	v_cmp_gt_i64_e64 s[16:17], 0, v[3:4]
	v_not_b32_e32 v4, v4
	v_ashrrev_i32_e32 v4, 31, v4
	v_and_b32_e32 v25, v25, v29
	v_xor_b32_e32 v29, s17, v4
	v_xor_b32_e32 v4, s16, v4
	v_and_b32_e32 v7, v7, v4
	v_lshlrev_b32_e32 v4, 25, v6
	v_cmp_gt_i64_e64 s[16:17], 0, v[3:4]
	v_not_b32_e32 v4, v4
	v_ashrrev_i32_e32 v4, 31, v4
	v_and_b32_e32 v25, v25, v29
	v_xor_b32_e32 v29, s17, v4
	v_xor_b32_e32 v4, s16, v4
	v_and_b32_e32 v25, v25, v29
	v_and_b32_e32 v29, v7, v4
	v_lshlrev_b32_e32 v4, 24, v6
	v_cmp_gt_i64_e64 s[16:17], 0, v[3:4]
	v_not_b32_e32 v4, v4
	v_ashrrev_i32_e32 v4, 31, v4
	v_mul_u32_u24_e32 v26, 36, v6
	v_xor_b32_e32 v6, s17, v4
	v_xor_b32_e32 v4, s16, v4
	v_and_b32_e32 v7, v25, v6
	v_and_b32_e32 v6, v29, v4
	v_mbcnt_lo_u32_b32 v4, v6, 0
	v_mbcnt_hi_u32_b32 v25, v7, v4
	v_cmp_ne_u64_e64 s[16:17], 0, v[6:7]
	v_cmp_eq_u32_e64 s[18:19], 0, v25
	s_and_b64 s[18:19], s[16:17], s[18:19]
	v_add_u32_e32 v35, v31, v26
	; wave barrier
	s_and_saveexec_b64 s[16:17], s[18:19]
	s_cbranch_execz .LBB1446_23
; %bb.22:
	v_bcnt_u32_b32 v4, v6, 0
	v_bcnt_u32_b32 v4, v7, v4
	s_waitcnt lgkmcnt(0)
	v_add_u32_e32 v4, v24, v4
	ds_write_b32 v35, v4 offset:32
.LBB1446_23:
	s_or_b64 exec, exec, s[16:17]
	v_xor_b32_sdwa v7, v5, s22 dst_sel:DWORD dst_unused:UNUSED_PAD src0_sel:WORD_1 src1_sel:DWORD
	v_lshrrev_b32_sdwa v4, s40, v7 dst_sel:DWORD dst_unused:UNUSED_PAD src0_sel:DWORD src1_sel:WORD_0
	v_and_b32_e32 v5, s50, v4
	v_mad_u32_u24 v4, v5, 36, v31
	; wave barrier
	ds_read_b32 v26, v4 offset:32
	v_and_b32_e32 v4, 1, v5
	v_add_co_u32_e64 v29, s[16:17], -1, v4
	v_addc_co_u32_e64 v32, s[16:17], 0, -1, s[16:17]
	v_cmp_ne_u32_e64 s[16:17], 0, v4
	v_xor_b32_e32 v4, s17, v32
	v_and_b32_e32 v32, exec_hi, v4
	v_lshlrev_b32_e32 v4, 30, v5
	v_xor_b32_e32 v29, s16, v29
	v_cmp_gt_i64_e64 s[16:17], 0, v[3:4]
	v_not_b32_e32 v4, v4
	v_ashrrev_i32_e32 v4, 31, v4
	v_and_b32_e32 v29, exec_lo, v29
	v_xor_b32_e32 v36, s17, v4
	v_xor_b32_e32 v4, s16, v4
	v_and_b32_e32 v29, v29, v4
	v_lshlrev_b32_e32 v4, 29, v5
	v_cmp_gt_i64_e64 s[16:17], 0, v[3:4]
	v_not_b32_e32 v4, v4
	v_ashrrev_i32_e32 v4, 31, v4
	v_and_b32_e32 v32, v32, v36
	v_xor_b32_e32 v36, s17, v4
	v_xor_b32_e32 v4, s16, v4
	v_and_b32_e32 v29, v29, v4
	v_lshlrev_b32_e32 v4, 28, v5
	v_cmp_gt_i64_e64 s[16:17], 0, v[3:4]
	v_not_b32_e32 v4, v4
	v_ashrrev_i32_e32 v4, 31, v4
	v_and_b32_e32 v32, v32, v36
	;; [unrolled: 8-line block ×5, first 2 shown]
	v_xor_b32_e32 v36, s17, v4
	v_xor_b32_e32 v4, s16, v4
	v_and_b32_e32 v29, v29, v4
	v_lshlrev_b32_e32 v4, 24, v5
	v_cmp_gt_i64_e64 s[16:17], 0, v[3:4]
	v_not_b32_e32 v3, v4
	v_ashrrev_i32_e32 v3, 31, v3
	v_xor_b32_e32 v4, s17, v3
	v_xor_b32_e32 v3, s16, v3
	v_and_b32_e32 v32, v32, v36
	v_and_b32_e32 v3, v29, v3
	v_mul_u32_u24_e32 v6, 36, v5
	v_and_b32_e32 v4, v32, v4
	v_mbcnt_lo_u32_b32 v5, v3, 0
	v_mbcnt_hi_u32_b32 v29, v4, v5
	v_cmp_ne_u64_e64 s[16:17], 0, v[3:4]
	v_cmp_eq_u32_e64 s[18:19], 0, v29
	s_and_b64 s[18:19], s[16:17], s[18:19]
	v_add_u32_e32 v31, v31, v6
	; wave barrier
	s_and_saveexec_b64 s[16:17], s[18:19]
	s_cbranch_execz .LBB1446_25
; %bb.24:
	v_bcnt_u32_b32 v3, v3, 0
	v_bcnt_u32_b32 v3, v4, v3
	s_waitcnt lgkmcnt(0)
	v_add_u32_e32 v3, v26, v3
	ds_write_b32 v31, v3 offset:32
.LBB1446_25:
	s_or_b64 exec, exec, s[16:17]
	; wave barrier
	s_waitcnt lgkmcnt(0)
	s_barrier
	ds_read2_b32 v[5:6], v14 offset0:8 offset1:9
	ds_read2_b32 v[3:4], v14 offset0:10 offset1:11
	ds_read_b32 v32, v14 offset:48
	v_min_u32_e32 v12, 0x1c0, v12
	v_or_b32_e32 v12, 63, v12
	s_waitcnt lgkmcnt(1)
	v_add3_u32 v36, v6, v5, v3
	s_waitcnt lgkmcnt(0)
	v_add3_u32 v32, v36, v4, v32
	v_and_b32_e32 v36, 15, v11
	v_cmp_ne_u32_e64 s[16:17], 0, v36
	v_mov_b32_dpp v38, v32 row_shr:1 row_mask:0xf bank_mask:0xf
	v_cndmask_b32_e64 v38, 0, v38, s[16:17]
	v_add_u32_e32 v32, v38, v32
	v_cmp_lt_u32_e64 s[16:17], 1, v36
	s_nop 0
	v_mov_b32_dpp v38, v32 row_shr:2 row_mask:0xf bank_mask:0xf
	v_cndmask_b32_e64 v38, 0, v38, s[16:17]
	v_add_u32_e32 v32, v32, v38
	v_cmp_lt_u32_e64 s[16:17], 3, v36
	s_nop 0
	;; [unrolled: 5-line block ×3, first 2 shown]
	v_mov_b32_dpp v38, v32 row_shr:8 row_mask:0xf bank_mask:0xf
	v_cndmask_b32_e64 v36, 0, v38, s[16:17]
	v_add_u32_e32 v32, v32, v36
	v_bfe_i32 v38, v11, 4, 1
	v_cmp_lt_u32_e64 s[16:17], 31, v11
	v_mov_b32_dpp v36, v32 row_bcast:15 row_mask:0xf bank_mask:0xf
	v_and_b32_e32 v36, v38, v36
	v_add_u32_e32 v32, v32, v36
	s_nop 1
	v_mov_b32_dpp v36, v32 row_bcast:31 row_mask:0xf bank_mask:0xf
	v_cndmask_b32_e64 v36, 0, v36, s[16:17]
	v_add_u32_e32 v32, v32, v36
	v_lshrrev_b32_e32 v36, 6, v0
	v_cmp_eq_u32_e64 s[16:17], v0, v12
	s_and_saveexec_b64 s[18:19], s[16:17]
; %bb.26:
	v_lshlrev_b32_e32 v12, 2, v36
	ds_write_b32 v12, v32
; %bb.27:
	s_or_b64 exec, exec, s[18:19]
	v_cmp_gt_u32_e64 s[16:17], 8, v0
	s_waitcnt lgkmcnt(0)
	s_barrier
	s_and_saveexec_b64 s[22:23], s[16:17]
	s_cbranch_execz .LBB1446_29
; %bb.28:
	v_lshlrev_b32_e32 v12, 2, v0
	ds_read_b32 v38, v12
	v_and_b32_e32 v39, 7, v11
	v_cmp_ne_u32_e64 s[16:17], 0, v39
	v_cmp_lt_u32_e64 s[18:19], 1, v39
	s_waitcnt lgkmcnt(0)
	v_mov_b32_dpp v40, v38 row_shr:1 row_mask:0xf bank_mask:0xf
	v_cndmask_b32_e64 v40, 0, v40, s[16:17]
	v_add_u32_e32 v38, v40, v38
	v_cmp_lt_u32_e64 s[16:17], 3, v39
	s_nop 0
	v_mov_b32_dpp v40, v38 row_shr:2 row_mask:0xf bank_mask:0xf
	v_cndmask_b32_e64 v40, 0, v40, s[18:19]
	v_add_u32_e32 v38, v38, v40
	s_nop 1
	v_mov_b32_dpp v40, v38 row_shr:4 row_mask:0xf bank_mask:0xf
	v_cndmask_b32_e64 v39, 0, v40, s[16:17]
	v_add_u32_e32 v38, v38, v39
	ds_write_b32 v12, v38
.LBB1446_29:
	s_or_b64 exec, exec, s[22:23]
	v_cmp_lt_u32_e64 s[16:17], 63, v0
	v_mov_b32_e32 v12, 0
	s_waitcnt lgkmcnt(0)
	s_barrier
	s_and_saveexec_b64 s[18:19], s[16:17]
; %bb.30:
	v_lshl_add_u32 v12, v36, 2, -4
	ds_read_b32 v12, v12
; %bb.31:
	s_or_b64 exec, exec, s[18:19]
	v_subrev_co_u32_e64 v36, s[16:17], 1, v11
	v_and_b32_e32 v38, 64, v11
	v_cmp_lt_i32_e64 s[18:19], v36, v38
	v_cndmask_b32_e64 v11, v36, v11, s[18:19]
	s_waitcnt lgkmcnt(0)
	v_add_u32_e32 v32, v12, v32
	v_lshlrev_b32_e32 v11, 2, v11
	ds_bpermute_b32 v11, v11, v32
	s_movk_i32 s22, 0x100
	v_cmp_gt_u32_e64 s[18:19], s22, v0
	s_waitcnt lgkmcnt(0)
	v_cndmask_b32_e64 v11, v11, v12, s[16:17]
	v_cmp_ne_u32_e64 s[16:17], 0, v0
	v_cndmask_b32_e64 v11, 0, v11, s[16:17]
	v_add_u32_e32 v5, v11, v5
	v_add_u32_e32 v6, v5, v6
	;; [unrolled: 1-line block ×4, first 2 shown]
	ds_write2_b32 v14, v11, v5 offset0:8 offset1:9
	ds_write2_b32 v14, v6, v3 offset0:10 offset1:11
	ds_write_b32 v14, v4 offset:48
	s_waitcnt lgkmcnt(0)
	s_barrier
	ds_read_b32 v3, v27 offset:32
	ds_read_b32 v32, v30 offset:32
	;; [unrolled: 1-line block ×6, first 2 shown]
	s_movk_i32 s16, 0xff
	v_cmp_lt_u32_e64 s[16:17], s16, v0
                                        ; implicit-def: $vgpr27
                                        ; implicit-def: $vgpr30
	s_and_saveexec_b64 s[42:43], s[18:19]
	s_cbranch_execz .LBB1446_35
; %bb.32:
	v_mul_u32_u24_e32 v4, 36, v0
	ds_read_b32 v27, v4 offset:32
	v_add_u32_e32 v5, 1, v0
	v_cmp_ne_u32_e64 s[22:23], s22, v5
	v_mov_b32_e32 v4, 0xc00
	s_and_saveexec_b64 s[46:47], s[22:23]
; %bb.33:
	v_mul_u32_u24_e32 v4, 36, v5
	ds_read_b32 v4, v4 offset:32
; %bb.34:
	s_or_b64 exec, exec, s[46:47]
	s_waitcnt lgkmcnt(0)
	v_sub_u32_e32 v30, v4, v27
.LBB1446_35:
	s_or_b64 exec, exec, s[42:43]
	s_waitcnt lgkmcnt(5)
	v_add_u32_e32 v31, v3, v15
	v_add_u32_e32 v12, v19, v18
	v_lshlrev_b32_e32 v3, 1, v31
	v_add_u32_e32 v11, v21, v20
	s_waitcnt lgkmcnt(0)
	s_barrier
	ds_write_b16 v3, v13 offset:1024
	v_add_lshl_u32 v3, v12, v32, 1
	v_add_u32_e32 v6, v23, v22
	ds_write_b16 v3, v16 offset:1024
	v_add_lshl_u32 v3, v11, v33, 1
	v_add_u32_e32 v5, v25, v24
	;; [unrolled: 3-line block ×3, first 2 shown]
	ds_write_b16 v3, v8 offset:1024
	v_add_lshl_u32 v3, v5, v35, 1
	ds_write_b16 v3, v37 offset:1024
	v_add_lshl_u32 v3, v4, v36, 1
	v_mov_b32_e32 v4, 0
	v_lshlrev_b32_e32 v28, 2, v0
	ds_write_b16 v3, v7 offset:1024
	s_and_saveexec_b64 s[22:23], s[18:19]
	s_cbranch_execz .LBB1446_45
; %bb.36:
	v_lshl_add_u32 v3, s6, 8, v0
	v_lshlrev_b64 v[5:6], 2, v[3:4]
	v_mov_b32_e32 v11, s45
	v_add_co_u32_e64 v5, s[18:19], s44, v5
	v_addc_co_u32_e64 v6, s[18:19], v11, v6, s[18:19]
	v_or_b32_e32 v3, 2.0, v30
	s_mov_b64 s[42:43], 0
	s_brev_b32 s51, -4
	s_mov_b32 s52, s6
	v_mov_b32_e32 v12, 0
	global_store_dword v[5:6], v3, off
                                        ; implicit-def: $sgpr18_sgpr19
	s_branch .LBB1446_39
.LBB1446_37:                            ;   in Loop: Header=BB1446_39 Depth=1
	s_or_b64 exec, exec, s[48:49]
.LBB1446_38:                            ;   in Loop: Header=BB1446_39 Depth=1
	s_or_b64 exec, exec, s[46:47]
	v_and_b32_e32 v7, 0x3fffffff, v3
	v_add_u32_e32 v12, v7, v12
	v_cmp_gt_i32_e64 s[18:19], -2.0, v3
	s_and_b64 s[46:47], exec, s[18:19]
	s_or_b64 s[42:43], s[46:47], s[42:43]
	s_andn2_b64 exec, exec, s[42:43]
	s_cbranch_execz .LBB1446_44
.LBB1446_39:                            ; =>This Loop Header: Depth=1
                                        ;     Child Loop BB1446_42 Depth 2
	s_or_b64 s[18:19], s[18:19], exec
	s_cmp_eq_u32 s52, 0
	s_cbranch_scc1 .LBB1446_43
; %bb.40:                               ;   in Loop: Header=BB1446_39 Depth=1
	s_add_i32 s52, s52, -1
	v_lshl_or_b32 v3, s52, 8, v0
	v_lshlrev_b64 v[7:8], 2, v[3:4]
	v_add_co_u32_e64 v7, s[18:19], s44, v7
	v_addc_co_u32_e64 v8, s[18:19], v11, v8, s[18:19]
	global_load_dword v3, v[7:8], off glc
	s_waitcnt vmcnt(0)
	v_cmp_gt_u32_e64 s[18:19], 2.0, v3
	s_and_saveexec_b64 s[46:47], s[18:19]
	s_cbranch_execz .LBB1446_38
; %bb.41:                               ;   in Loop: Header=BB1446_39 Depth=1
	s_mov_b64 s[48:49], 0
.LBB1446_42:                            ;   Parent Loop BB1446_39 Depth=1
                                        ; =>  This Inner Loop Header: Depth=2
	global_load_dword v3, v[7:8], off glc
	s_waitcnt vmcnt(0)
	v_cmp_lt_u32_e64 s[18:19], s51, v3
	s_or_b64 s[48:49], s[18:19], s[48:49]
	s_andn2_b64 exec, exec, s[48:49]
	s_cbranch_execnz .LBB1446_42
	s_branch .LBB1446_37
.LBB1446_43:                            ;   in Loop: Header=BB1446_39 Depth=1
                                        ; implicit-def: $sgpr52
	s_and_b64 s[46:47], exec, s[18:19]
	s_or_b64 s[42:43], s[46:47], s[42:43]
	s_andn2_b64 exec, exec, s[42:43]
	s_cbranch_execnz .LBB1446_39
.LBB1446_44:
	s_or_b64 exec, exec, s[42:43]
	v_add_u32_e32 v3, v12, v30
	v_or_b32_e32 v3, 0x80000000, v3
	global_store_dword v[5:6], v3, off
	global_load_dword v3, v28, s[36:37]
	v_sub_u32_e32 v4, v12, v27
	s_waitcnt vmcnt(0)
	v_add_u32_e32 v3, v4, v3
	ds_write_b32 v28, v3
.LBB1446_45:
	s_or_b64 exec, exec, s[22:23]
	v_cmp_gt_u32_e64 s[18:19], s7, v0
	s_waitcnt lgkmcnt(0)
	s_barrier
	s_and_saveexec_b64 s[22:23], s[18:19]
	s_cbranch_execz .LBB1446_47
; %bb.46:
	v_lshlrev_b32_e32 v3, 1, v0
	v_sub_u32_e32 v3, v28, v3
	ds_read_u16 v3, v3 offset:1024
	v_mov_b32_e32 v7, s27
	s_waitcnt lgkmcnt(0)
	v_lshrrev_b32_sdwa v4, s40, v3 dst_sel:DWORD dst_unused:UNUSED_PAD src0_sel:DWORD src1_sel:WORD_0
	v_and_b32_e32 v5, s50, v4
	v_lshlrev_b32_e32 v4, 2, v5
	ds_read_b32 v6, v4
	v_mov_b32_e32 v4, 0
	v_xor_b32_e32 v8, 0xffff8000, v3
	buffer_store_dword v5, off, s[0:3], 0
	s_waitcnt lgkmcnt(0)
	v_add_u32_e32 v3, v6, v0
	v_lshlrev_b64 v[3:4], 1, v[3:4]
	v_add_co_u32_e64 v3, s[18:19], s26, v3
	v_addc_co_u32_e64 v4, s[18:19], v7, v4, s[18:19]
	global_store_short v[3:4], v8, off
.LBB1446_47:
	s_or_b64 exec, exec, s[22:23]
	v_or_b32_e32 v3, 0x200, v0
	v_cmp_gt_u32_e64 s[18:19], s7, v3
	s_and_saveexec_b64 s[22:23], s[18:19]
	s_cbranch_execz .LBB1446_49
; %bb.48:
	v_lshlrev_b32_e32 v4, 1, v0
	v_sub_u32_e32 v4, v28, v4
	ds_read_u16 v5, v4 offset:2048
	v_mov_b32_e32 v8, s27
	s_waitcnt lgkmcnt(0)
	v_lshrrev_b32_sdwa v4, s40, v5 dst_sel:DWORD dst_unused:UNUSED_PAD src0_sel:DWORD src1_sel:WORD_0
	v_and_b32_e32 v6, s50, v4
	v_lshlrev_b32_e32 v4, 2, v6
	ds_read_b32 v7, v4
	v_mov_b32_e32 v4, 0
	v_xor_b32_e32 v5, 0xffff8000, v5
	buffer_store_dword v6, off, s[0:3], 0 offset:4
	s_waitcnt lgkmcnt(0)
	v_add_u32_e32 v3, v7, v3
	v_lshlrev_b64 v[3:4], 1, v[3:4]
	v_add_co_u32_e64 v3, s[18:19], s26, v3
	v_addc_co_u32_e64 v4, s[18:19], v8, v4, s[18:19]
	global_store_short v[3:4], v5, off
.LBB1446_49:
	s_or_b64 exec, exec, s[22:23]
	v_or_b32_e32 v3, 0x400, v0
	v_cmp_gt_u32_e64 s[18:19], s7, v3
	s_and_saveexec_b64 s[22:23], s[18:19]
	s_cbranch_execz .LBB1446_51
; %bb.50:
	v_lshlrev_b32_e32 v4, 1, v0
	v_sub_u32_e32 v4, v28, v4
	ds_read_u16 v5, v4 offset:3072
	v_mov_b32_e32 v8, s27
	s_waitcnt lgkmcnt(0)
	v_lshrrev_b32_sdwa v4, s40, v5 dst_sel:DWORD dst_unused:UNUSED_PAD src0_sel:DWORD src1_sel:WORD_0
	v_and_b32_e32 v6, s50, v4
	v_lshlrev_b32_e32 v4, 2, v6
	ds_read_b32 v7, v4
	v_mov_b32_e32 v4, 0
	v_xor_b32_e32 v5, 0xffff8000, v5
	buffer_store_dword v6, off, s[0:3], 0 offset:8
	s_waitcnt lgkmcnt(0)
	v_add_u32_e32 v3, v7, v3
	v_lshlrev_b64 v[3:4], 1, v[3:4]
	v_add_co_u32_e64 v3, s[18:19], s26, v3
	v_addc_co_u32_e64 v4, s[18:19], v8, v4, s[18:19]
	global_store_short v[3:4], v5, off
.LBB1446_51:
	s_or_b64 exec, exec, s[22:23]
	v_or_b32_e32 v3, 0x600, v0
	v_cmp_gt_u32_e64 s[18:19], s7, v3
	s_and_saveexec_b64 s[22:23], s[18:19]
	s_cbranch_execz .LBB1446_53
; %bb.52:
	v_lshlrev_b32_e32 v4, 1, v0
	v_sub_u32_e32 v4, v28, v4
	ds_read_u16 v5, v4 offset:4096
	v_mov_b32_e32 v8, s27
	s_waitcnt lgkmcnt(0)
	v_lshrrev_b32_sdwa v4, s40, v5 dst_sel:DWORD dst_unused:UNUSED_PAD src0_sel:DWORD src1_sel:WORD_0
	v_and_b32_e32 v6, s50, v4
	v_lshlrev_b32_e32 v4, 2, v6
	ds_read_b32 v7, v4
	v_mov_b32_e32 v4, 0
	v_xor_b32_e32 v5, 0xffff8000, v5
	buffer_store_dword v6, off, s[0:3], 0 offset:12
	s_waitcnt lgkmcnt(0)
	v_add_u32_e32 v3, v7, v3
	v_lshlrev_b64 v[3:4], 1, v[3:4]
	v_add_co_u32_e64 v3, s[18:19], s26, v3
	v_addc_co_u32_e64 v4, s[18:19], v8, v4, s[18:19]
	global_store_short v[3:4], v5, off
.LBB1446_53:
	s_or_b64 exec, exec, s[22:23]
	v_or_b32_e32 v3, 0x800, v0
	v_cmp_gt_u32_e64 s[18:19], s7, v3
	s_and_saveexec_b64 s[22:23], s[18:19]
	s_cbranch_execz .LBB1446_55
; %bb.54:
	v_lshlrev_b32_e32 v4, 1, v0
	v_sub_u32_e32 v4, v28, v4
	ds_read_u16 v5, v4 offset:5120
	v_mov_b32_e32 v8, s27
	s_waitcnt lgkmcnt(0)
	v_lshrrev_b32_sdwa v4, s40, v5 dst_sel:DWORD dst_unused:UNUSED_PAD src0_sel:DWORD src1_sel:WORD_0
	v_and_b32_e32 v6, s50, v4
	v_lshlrev_b32_e32 v4, 2, v6
	ds_read_b32 v7, v4
	v_mov_b32_e32 v4, 0
	v_xor_b32_e32 v5, 0xffff8000, v5
	buffer_store_dword v6, off, s[0:3], 0 offset:16
	s_waitcnt lgkmcnt(0)
	v_add_u32_e32 v3, v7, v3
	v_lshlrev_b64 v[3:4], 1, v[3:4]
	v_add_co_u32_e64 v3, s[18:19], s26, v3
	v_addc_co_u32_e64 v4, s[18:19], v8, v4, s[18:19]
	global_store_short v[3:4], v5, off
.LBB1446_55:
	s_or_b64 exec, exec, s[22:23]
	v_or_b32_e32 v3, 0xa00, v0
	v_cmp_gt_u32_e64 s[18:19], s7, v3
	s_and_saveexec_b64 s[22:23], s[18:19]
	s_cbranch_execz .LBB1446_57
; %bb.56:
	v_lshlrev_b32_e32 v4, 1, v0
	v_sub_u32_e32 v4, v28, v4
	ds_read_u16 v5, v4 offset:6144
	v_mov_b32_e32 v8, s27
	s_waitcnt lgkmcnt(0)
	v_lshrrev_b32_sdwa v4, s40, v5 dst_sel:DWORD dst_unused:UNUSED_PAD src0_sel:DWORD src1_sel:WORD_0
	v_and_b32_e32 v6, s50, v4
	v_lshlrev_b32_e32 v4, 2, v6
	ds_read_b32 v7, v4
	v_mov_b32_e32 v4, 0
	v_xor_b32_e32 v5, 0xffff8000, v5
	buffer_store_dword v6, off, s[0:3], 0 offset:20
	s_waitcnt lgkmcnt(0)
	v_add_u32_e32 v3, v7, v3
	v_lshlrev_b64 v[3:4], 1, v[3:4]
	v_add_co_u32_e64 v3, s[18:19], s26, v3
	v_addc_co_u32_e64 v4, s[18:19], v8, v4, s[18:19]
	global_store_short v[3:4], v5, off
.LBB1446_57:
	s_or_b64 exec, exec, s[22:23]
	s_lshl_b64 s[18:19], s[34:35], 3
	s_add_u32 s18, s28, s18
	s_addc_u32 s19, s29, s19
	v_lshlrev_b32_e32 v3, 3, v10
	v_mov_b32_e32 v4, s19
	v_add_co_u32_e64 v3, s[18:19], s18, v3
	v_addc_co_u32_e64 v4, s[18:19], 0, v4, s[18:19]
	v_lshlrev_b32_e32 v5, 3, v9
	v_add_co_u32_e64 v15, s[18:19], v3, v5
	v_addc_co_u32_e64 v16, s[18:19], 0, v4, s[18:19]
                                        ; implicit-def: $vgpr3_vgpr4
	s_and_saveexec_b64 s[18:19], vcc
	s_xor_b64 s[18:19], exec, s[18:19]
	s_cbranch_execz .LBB1446_63
; %bb.58:
	global_load_dwordx2 v[3:4], v[15:16], off
	s_or_b64 exec, exec, s[18:19]
                                        ; implicit-def: $vgpr5_vgpr6
	s_and_saveexec_b64 s[18:19], s[20:21]
	s_cbranch_execnz .LBB1446_64
.LBB1446_59:
	s_or_b64 exec, exec, s[18:19]
                                        ; implicit-def: $vgpr7_vgpr8
	s_and_saveexec_b64 s[18:19], s[8:9]
	s_cbranch_execz .LBB1446_65
.LBB1446_60:
	global_load_dwordx2 v[7:8], v[15:16], off offset:1024
	s_or_b64 exec, exec, s[18:19]
                                        ; implicit-def: $vgpr9_vgpr10
	s_and_saveexec_b64 s[8:9], s[10:11]
	s_cbranch_execnz .LBB1446_66
.LBB1446_61:
	s_or_b64 exec, exec, s[8:9]
                                        ; implicit-def: $vgpr11_vgpr12
	s_and_saveexec_b64 s[8:9], s[12:13]
	s_cbranch_execz .LBB1446_67
.LBB1446_62:
	global_load_dwordx2 v[11:12], v[15:16], off offset:2048
	s_or_b64 exec, exec, s[8:9]
                                        ; implicit-def: $vgpr13_vgpr14
	s_and_saveexec_b64 s[8:9], s[14:15]
	s_cbranch_execnz .LBB1446_68
	s_branch .LBB1446_69
.LBB1446_63:
	s_or_b64 exec, exec, s[18:19]
                                        ; implicit-def: $vgpr5_vgpr6
	s_and_saveexec_b64 s[18:19], s[20:21]
	s_cbranch_execz .LBB1446_59
.LBB1446_64:
	global_load_dwordx2 v[5:6], v[15:16], off offset:512
	s_or_b64 exec, exec, s[18:19]
                                        ; implicit-def: $vgpr7_vgpr8
	s_and_saveexec_b64 s[18:19], s[8:9]
	s_cbranch_execnz .LBB1446_60
.LBB1446_65:
	s_or_b64 exec, exec, s[18:19]
                                        ; implicit-def: $vgpr9_vgpr10
	s_and_saveexec_b64 s[8:9], s[10:11]
	s_cbranch_execz .LBB1446_61
.LBB1446_66:
	global_load_dwordx2 v[9:10], v[15:16], off offset:1536
	s_or_b64 exec, exec, s[8:9]
                                        ; implicit-def: $vgpr11_vgpr12
	s_and_saveexec_b64 s[8:9], s[12:13]
	s_cbranch_execnz .LBB1446_62
.LBB1446_67:
	s_or_b64 exec, exec, s[8:9]
                                        ; implicit-def: $vgpr13_vgpr14
	s_and_saveexec_b64 s[8:9], s[14:15]
	s_cbranch_execz .LBB1446_69
.LBB1446_68:
	global_load_dwordx2 v[13:14], v[15:16], off offset:2560
.LBB1446_69:
	s_or_b64 exec, exec, s[8:9]
	v_lshlrev_b32_e32 v37, 3, v0
	v_add3_u32 v26, v29, v36, v26
	v_add3_u32 v24, v25, v35, v24
	;; [unrolled: 1-line block ×5, first 2 shown]
	s_mov_b32 s10, 0
	s_mov_b32 s11, 0
	v_mov_b32_e32 v16, 0
	s_movk_i32 s12, 0x200
	v_mov_b32_e32 v19, v0
	s_waitcnt vmcnt(0)
	s_barrier
	s_branch .LBB1446_71
.LBB1446_70:                            ;   in Loop: Header=BB1446_71 Depth=1
	s_or_b64 exec, exec, s[8:9]
	s_addk_i32 s11, 0xfc00
	s_add_i32 s10, s10, 8
	s_cmpk_eq_i32 s11, 0xf400
	v_add_u32_e32 v19, 0x400, v19
	s_waitcnt vmcnt(0)
	s_barrier
	s_cbranch_scc1 .LBB1446_75
.LBB1446_71:                            ; =>This Inner Loop Header: Depth=1
	v_add_u32_e32 v15, s11, v31
	v_min_u32_e32 v15, 0x400, v15
	v_lshlrev_b32_e32 v15, 3, v15
	ds_write_b64 v15, v[3:4] offset:1024
	v_add_u32_e32 v15, s11, v18
	v_min_u32_e32 v15, 0x400, v15
	v_lshlrev_b32_e32 v15, 3, v15
	ds_write_b64 v15, v[5:6] offset:1024
	;; [unrolled: 4-line block ×5, first 2 shown]
	v_add_u32_e32 v15, s11, v26
	v_min_u32_e32 v15, 0x400, v15
	v_lshlrev_b32_e32 v15, 3, v15
	v_cmp_gt_u32_e32 vcc, s7, v19
	ds_write_b64 v15, v[13:14] offset:1024
	s_waitcnt lgkmcnt(0)
	s_barrier
	s_and_saveexec_b64 s[8:9], vcc
	s_cbranch_execz .LBB1446_73
; %bb.72:                               ;   in Loop: Header=BB1446_71 Depth=1
	v_mov_b32_e32 v15, s10
	buffer_load_dword v15, v15, s[0:3], 0 offen
	v_mov_b32_e32 v21, s31
	s_waitcnt vmcnt(0)
	v_lshlrev_b32_e32 v15, 2, v15
	ds_read_b32 v15, v15
	ds_read_b64 v[32:33], v37 offset:1024
	s_waitcnt lgkmcnt(1)
	v_add_u32_e32 v15, v19, v15
	v_lshlrev_b64 v[34:35], 3, v[15:16]
	v_add_co_u32_e32 v34, vcc, s30, v34
	v_addc_co_u32_e32 v35, vcc, v21, v35, vcc
	s_waitcnt lgkmcnt(0)
	global_store_dwordx2 v[34:35], v[32:33], off
.LBB1446_73:                            ;   in Loop: Header=BB1446_71 Depth=1
	s_or_b64 exec, exec, s[8:9]
	v_add_u32_e32 v15, 0x200, v19
	v_cmp_gt_u32_e32 vcc, s7, v15
	s_and_saveexec_b64 s[8:9], vcc
	s_cbranch_execz .LBB1446_70
; %bb.74:                               ;   in Loop: Header=BB1446_71 Depth=1
	v_mov_b32_e32 v15, s10
	buffer_load_dword v15, v15, s[0:3], 0 offen offset:4
	v_mov_b32_e32 v21, s31
	s_waitcnt vmcnt(0)
	v_lshlrev_b32_e32 v15, 2, v15
	ds_read_b32 v15, v15
	ds_read_b64 v[32:33], v37 offset:5120
	s_waitcnt lgkmcnt(1)
	v_add3_u32 v15, v19, v15, s12
	v_lshlrev_b64 v[34:35], 3, v[15:16]
	v_add_co_u32_e32 v34, vcc, s30, v34
	v_addc_co_u32_e32 v35, vcc, v21, v35, vcc
	s_waitcnt lgkmcnt(0)
	global_store_dwordx2 v[34:35], v[32:33], off
	s_branch .LBB1446_70
.LBB1446_75:
	s_add_i32 s33, s33, -1
	s_cmp_eq_u32 s6, s33
	s_cselect_b64 s[8:9], -1, 0
	s_xor_b64 s[10:11], s[16:17], -1
	s_and_b64 s[10:11], s[10:11], s[8:9]
	s_and_saveexec_b64 s[8:9], s[10:11]
	s_cbranch_execz .LBB1446_77
; %bb.76:
	ds_read_b32 v3, v28
	s_waitcnt lgkmcnt(0)
	v_add3_u32 v3, v27, v30, v3
	global_store_dword v28, v3, s[38:39]
.LBB1446_77:
	s_or_b64 exec, exec, s[8:9]
	s_mov_b64 s[8:9], 0
.LBB1446_78:
	s_and_b64 vcc, exec, s[8:9]
	s_cbranch_vccz .LBB1446_115
; %bb.79:
	s_mov_b32 s35, 0
	s_lshl_b64 s[8:9], s[34:35], 1
	v_mbcnt_hi_u32_b32 v6, -1, v17
	s_add_u32 s7, s24, s8
	v_and_b32_e32 v8, 63, v6
	s_addc_u32 s8, s25, s9
	v_and_b32_e32 v9, 0x1c0, v0
	v_lshlrev_b32_e32 v3, 1, v8
	v_mul_u32_u24_e32 v7, 6, v9
	v_mov_b32_e32 v4, s8
	v_add_co_u32_e32 v3, vcc, s7, v3
	v_addc_co_u32_e32 v5, vcc, 0, v4, vcc
	v_lshlrev_b32_e32 v4, 1, v7
	v_add_co_u32_e32 v4, vcc, v3, v4
	v_addc_co_u32_e32 v5, vcc, 0, v5, vcc
	global_load_ushort v10, v[4:5], off
	s_load_dword s8, s[4:5], 0x64
	s_load_dword s7, s[4:5], 0x58
	s_add_u32 s4, s4, 0x58
	s_addc_u32 s5, s5, 0
	v_mov_b32_e32 v3, 0
	s_waitcnt lgkmcnt(0)
	s_lshr_b32 s8, s8, 16
	s_cmp_lt_u32 s6, s7
	s_cselect_b32 s9, 12, 18
	s_add_u32 s4, s4, s9
	s_addc_u32 s5, s5, 0
	global_load_ushort v11, v3, s[4:5]
	global_load_ushort v14, v[4:5], off offset:128
	global_load_ushort v17, v[4:5], off offset:256
	;; [unrolled: 1-line block ×5, first 2 shown]
	s_lshl_b32 s4, -1, s41
	s_not_b32 s16, s4
	v_mad_u32_u24 v1, v2, s8, v1
	s_waitcnt vmcnt(6)
	v_xor_b32_e32 v10, 0xffff8000, v10
	v_lshrrev_b32_sdwa v4, s40, v10 dst_sel:DWORD dst_unused:UNUSED_PAD src0_sel:DWORD src1_sel:WORD_0
	v_and_b32_e32 v13, s16, v4
	v_and_b32_e32 v5, 1, v13
	v_add_co_u32_e32 v12, vcc, -1, v5
	v_lshlrev_b32_e32 v4, 30, v13
	v_addc_co_u32_e64 v15, s[4:5], 0, -1, vcc
	v_cmp_ne_u32_e32 vcc, 0, v5
	v_cmp_gt_i64_e64 s[4:5], 0, v[3:4]
	v_not_b32_e32 v5, v4
	v_lshlrev_b32_e32 v4, 29, v13
	v_xor_b32_e32 v15, vcc_hi, v15
	v_ashrrev_i32_e32 v5, 31, v5
	v_xor_b32_e32 v12, vcc_lo, v12
	v_cmp_gt_i64_e32 vcc, 0, v[3:4]
	v_not_b32_e32 v16, v4
	v_lshlrev_b32_e32 v4, 28, v13
	v_and_b32_e32 v15, exec_hi, v15
	v_xor_b32_e32 v18, s5, v5
	v_and_b32_e32 v12, exec_lo, v12
	v_xor_b32_e32 v5, s4, v5
	v_ashrrev_i32_e32 v16, 31, v16
	v_cmp_gt_i64_e64 s[4:5], 0, v[3:4]
	v_not_b32_e32 v20, v4
	v_lshlrev_b32_e32 v4, 27, v13
	v_and_b32_e32 v15, v15, v18
	v_and_b32_e32 v5, v12, v5
	v_xor_b32_e32 v12, vcc_hi, v16
	v_xor_b32_e32 v16, vcc_lo, v16
	v_ashrrev_i32_e32 v18, 31, v20
	v_cmp_gt_i64_e32 vcc, 0, v[3:4]
	v_not_b32_e32 v20, v4
	v_lshlrev_b32_e32 v4, 26, v13
	v_and_b32_e32 v12, v15, v12
	v_and_b32_e32 v5, v5, v16
	v_xor_b32_e32 v15, s5, v18
	v_xor_b32_e32 v16, s4, v18
	v_ashrrev_i32_e32 v18, 31, v20
	v_cmp_gt_i64_e64 s[4:5], 0, v[3:4]
	v_not_b32_e32 v20, v4
	v_lshlrev_b32_e32 v4, 25, v13
	v_and_b32_e32 v12, v12, v15
	v_and_b32_e32 v5, v5, v16
	v_xor_b32_e32 v15, vcc_hi, v18
	v_xor_b32_e32 v16, vcc_lo, v18
	v_ashrrev_i32_e32 v18, 31, v20
	v_cmp_gt_i64_e32 vcc, 0, v[3:4]
	v_not_b32_e32 v20, v4
	v_lshlrev_b32_e32 v4, 24, v13
	v_and_b32_e32 v12, v12, v15
	v_and_b32_e32 v5, v5, v16
	v_xor_b32_e32 v15, s5, v18
	v_xor_b32_e32 v16, s4, v18
	v_ashrrev_i32_e32 v18, 31, v20
	v_cmp_gt_i64_e64 s[4:5], 0, v[3:4]
	v_not_b32_e32 v4, v4
	v_and_b32_e32 v12, v12, v15
	v_and_b32_e32 v5, v5, v16
	v_xor_b32_e32 v15, vcc_hi, v18
	v_xor_b32_e32 v16, vcc_lo, v18
	v_ashrrev_i32_e32 v4, 31, v4
	v_and_b32_e32 v12, v12, v15
	v_and_b32_e32 v15, v5, v16
	v_xor_b32_e32 v5, s5, v4
	v_xor_b32_e32 v4, s4, v4
	s_waitcnt vmcnt(5)
	v_mad_u64_u32 v[1:2], s[4:5], v1, v11, v[0:1]
	v_and_b32_e32 v4, v15, v4
	v_and_b32_e32 v5, v12, v5
	v_lshrrev_b32_e32 v1, 6, v1
	v_lshlrev_b32_e32 v24, 2, v1
	v_mbcnt_lo_u32_b32 v1, v4, 0
	v_mbcnt_hi_u32_b32 v11, v5, v1
	v_cmp_ne_u64_e32 vcc, 0, v[4:5]
	v_cmp_eq_u32_e64 s[4:5], 0, v11
	v_mul_u32_u24_e32 v12, 20, v0
	v_mad_u32_u24 v13, v13, 36, v24
	s_and_b64 s[8:9], vcc, s[4:5]
	ds_write2_b32 v12, v3, v3 offset0:8 offset1:9
	ds_write2_b32 v12, v3, v3 offset0:10 offset1:11
	ds_write_b32 v12, v3 offset:48
	s_waitcnt vmcnt(0) lgkmcnt(0)
	s_barrier
	; wave barrier
	s_and_saveexec_b64 s[4:5], s[8:9]
; %bb.80:
	v_bcnt_u32_b32 v1, v4, 0
	v_bcnt_u32_b32 v1, v5, v1
	ds_write_b32 v13, v1 offset:32
; %bb.81:
	s_or_b64 exec, exec, s[4:5]
	v_xor_b32_e32 v5, 0xffff8000, v14
	v_lshrrev_b32_sdwa v1, s40, v5 dst_sel:DWORD dst_unused:UNUSED_PAD src0_sel:DWORD src1_sel:WORD_0
	v_and_b32_e32 v1, s16, v1
	v_and_b32_e32 v2, 1, v1
	v_add_co_u32_e32 v4, vcc, -1, v2
	v_addc_co_u32_e64 v16, s[4:5], 0, -1, vcc
	v_cmp_ne_u32_e32 vcc, 0, v2
	v_xor_b32_e32 v4, vcc_lo, v4
	v_xor_b32_e32 v2, vcc_hi, v16
	v_and_b32_e32 v16, exec_lo, v4
	v_lshlrev_b32_e32 v4, 30, v1
	v_cmp_gt_i64_e32 vcc, 0, v[3:4]
	v_not_b32_e32 v4, v4
	v_ashrrev_i32_e32 v4, 31, v4
	v_xor_b32_e32 v18, vcc_hi, v4
	v_xor_b32_e32 v4, vcc_lo, v4
	v_and_b32_e32 v16, v16, v4
	v_lshlrev_b32_e32 v4, 29, v1
	v_cmp_gt_i64_e32 vcc, 0, v[3:4]
	v_not_b32_e32 v4, v4
	v_and_b32_e32 v2, exec_hi, v2
	v_ashrrev_i32_e32 v4, 31, v4
	v_and_b32_e32 v2, v2, v18
	v_xor_b32_e32 v18, vcc_hi, v4
	v_xor_b32_e32 v4, vcc_lo, v4
	v_and_b32_e32 v16, v16, v4
	v_lshlrev_b32_e32 v4, 28, v1
	v_cmp_gt_i64_e32 vcc, 0, v[3:4]
	v_not_b32_e32 v4, v4
	v_ashrrev_i32_e32 v4, 31, v4
	v_and_b32_e32 v2, v2, v18
	v_xor_b32_e32 v18, vcc_hi, v4
	v_xor_b32_e32 v4, vcc_lo, v4
	v_and_b32_e32 v16, v16, v4
	v_lshlrev_b32_e32 v4, 27, v1
	v_cmp_gt_i64_e32 vcc, 0, v[3:4]
	v_not_b32_e32 v4, v4
	;; [unrolled: 8-line block ×4, first 2 shown]
	v_ashrrev_i32_e32 v4, 31, v4
	v_and_b32_e32 v2, v2, v18
	v_xor_b32_e32 v18, vcc_hi, v4
	v_xor_b32_e32 v4, vcc_lo, v4
	v_and_b32_e32 v16, v16, v4
	v_lshlrev_b32_e32 v4, 24, v1
	v_mad_u32_u24 v14, v1, 36, v24
	v_cmp_gt_i64_e32 vcc, 0, v[3:4]
	v_not_b32_e32 v1, v4
	v_ashrrev_i32_e32 v1, 31, v1
	v_xor_b32_e32 v3, vcc_hi, v1
	v_xor_b32_e32 v1, vcc_lo, v1
	; wave barrier
	ds_read_b32 v15, v14 offset:32
	v_and_b32_e32 v2, v2, v18
	v_and_b32_e32 v1, v16, v1
	v_and_b32_e32 v2, v2, v3
	v_mbcnt_lo_u32_b32 v3, v1, 0
	v_mbcnt_hi_u32_b32 v16, v2, v3
	v_cmp_ne_u64_e32 vcc, 0, v[1:2]
	v_cmp_eq_u32_e64 s[4:5], 0, v16
	s_and_b64 s[8:9], vcc, s[4:5]
	; wave barrier
	s_and_saveexec_b64 s[4:5], s[8:9]
	s_cbranch_execz .LBB1446_83
; %bb.82:
	v_bcnt_u32_b32 v1, v1, 0
	v_bcnt_u32_b32 v1, v2, v1
	s_waitcnt lgkmcnt(0)
	v_add_u32_e32 v1, v15, v1
	ds_write_b32 v14, v1 offset:32
.LBB1446_83:
	s_or_b64 exec, exec, s[4:5]
	v_xor_b32_e32 v25, 0xffff8000, v17
	v_lshrrev_b32_sdwa v1, s40, v25 dst_sel:DWORD dst_unused:UNUSED_PAD src0_sel:DWORD src1_sel:WORD_0
	v_and_b32_e32 v3, s16, v1
	v_and_b32_e32 v2, 1, v3
	v_add_co_u32_e32 v4, vcc, -1, v2
	v_addc_co_u32_e64 v18, s[4:5], 0, -1, vcc
	v_cmp_ne_u32_e32 vcc, 0, v2
	v_xor_b32_e32 v2, vcc_hi, v18
	v_mov_b32_e32 v1, 0
	v_and_b32_e32 v18, exec_hi, v2
	v_lshlrev_b32_e32 v2, 30, v3
	v_xor_b32_e32 v4, vcc_lo, v4
	v_cmp_gt_i64_e32 vcc, 0, v[1:2]
	v_not_b32_e32 v2, v2
	v_ashrrev_i32_e32 v2, 31, v2
	v_and_b32_e32 v4, exec_lo, v4
	v_xor_b32_e32 v20, vcc_hi, v2
	v_xor_b32_e32 v2, vcc_lo, v2
	v_and_b32_e32 v4, v4, v2
	v_lshlrev_b32_e32 v2, 29, v3
	v_cmp_gt_i64_e32 vcc, 0, v[1:2]
	v_not_b32_e32 v2, v2
	v_ashrrev_i32_e32 v2, 31, v2
	v_and_b32_e32 v18, v18, v20
	v_xor_b32_e32 v20, vcc_hi, v2
	v_xor_b32_e32 v2, vcc_lo, v2
	v_and_b32_e32 v4, v4, v2
	v_lshlrev_b32_e32 v2, 28, v3
	v_cmp_gt_i64_e32 vcc, 0, v[1:2]
	v_not_b32_e32 v2, v2
	v_ashrrev_i32_e32 v2, 31, v2
	v_and_b32_e32 v18, v18, v20
	;; [unrolled: 8-line block ×5, first 2 shown]
	v_xor_b32_e32 v20, vcc_hi, v2
	v_xor_b32_e32 v2, vcc_lo, v2
	v_and_b32_e32 v4, v4, v2
	v_lshlrev_b32_e32 v2, 24, v3
	v_cmp_gt_i64_e32 vcc, 0, v[1:2]
	v_not_b32_e32 v2, v2
	v_ashrrev_i32_e32 v2, 31, v2
	v_mad_u32_u24 v27, v3, 36, v24
	v_xor_b32_e32 v3, vcc_hi, v2
	v_xor_b32_e32 v2, vcc_lo, v2
	; wave barrier
	ds_read_b32 v17, v27 offset:32
	v_and_b32_e32 v18, v18, v20
	v_and_b32_e32 v2, v4, v2
	;; [unrolled: 1-line block ×3, first 2 shown]
	v_mbcnt_lo_u32_b32 v4, v2, 0
	v_mbcnt_hi_u32_b32 v18, v3, v4
	v_cmp_ne_u64_e32 vcc, 0, v[2:3]
	v_cmp_eq_u32_e64 s[4:5], 0, v18
	s_and_b64 s[8:9], vcc, s[4:5]
	; wave barrier
	s_and_saveexec_b64 s[4:5], s[8:9]
	s_cbranch_execz .LBB1446_85
; %bb.84:
	v_bcnt_u32_b32 v2, v2, 0
	v_bcnt_u32_b32 v2, v3, v2
	s_waitcnt lgkmcnt(0)
	v_add_u32_e32 v2, v17, v2
	ds_write_b32 v27, v2 offset:32
.LBB1446_85:
	s_or_b64 exec, exec, s[4:5]
	v_xor_b32_e32 v30, 0xffff8000, v19
	v_lshrrev_b32_sdwa v2, s40, v30 dst_sel:DWORD dst_unused:UNUSED_PAD src0_sel:DWORD src1_sel:WORD_0
	v_and_b32_e32 v3, s16, v2
	v_and_b32_e32 v2, 1, v3
	v_add_co_u32_e32 v4, vcc, -1, v2
	v_addc_co_u32_e64 v20, s[4:5], 0, -1, vcc
	v_cmp_ne_u32_e32 vcc, 0, v2
	v_xor_b32_e32 v2, vcc_hi, v20
	v_and_b32_e32 v20, exec_hi, v2
	v_lshlrev_b32_e32 v2, 30, v3
	v_xor_b32_e32 v4, vcc_lo, v4
	v_cmp_gt_i64_e32 vcc, 0, v[1:2]
	v_not_b32_e32 v2, v2
	v_ashrrev_i32_e32 v2, 31, v2
	v_and_b32_e32 v4, exec_lo, v4
	v_xor_b32_e32 v22, vcc_hi, v2
	v_xor_b32_e32 v2, vcc_lo, v2
	v_and_b32_e32 v4, v4, v2
	v_lshlrev_b32_e32 v2, 29, v3
	v_cmp_gt_i64_e32 vcc, 0, v[1:2]
	v_not_b32_e32 v2, v2
	v_ashrrev_i32_e32 v2, 31, v2
	v_and_b32_e32 v20, v20, v22
	v_xor_b32_e32 v22, vcc_hi, v2
	v_xor_b32_e32 v2, vcc_lo, v2
	v_and_b32_e32 v4, v4, v2
	v_lshlrev_b32_e32 v2, 28, v3
	v_cmp_gt_i64_e32 vcc, 0, v[1:2]
	v_not_b32_e32 v2, v2
	v_ashrrev_i32_e32 v2, 31, v2
	v_and_b32_e32 v20, v20, v22
	v_xor_b32_e32 v22, vcc_hi, v2
	v_xor_b32_e32 v2, vcc_lo, v2
	v_and_b32_e32 v4, v4, v2
	v_lshlrev_b32_e32 v2, 27, v3
	v_cmp_gt_i64_e32 vcc, 0, v[1:2]
	v_not_b32_e32 v2, v2
	v_ashrrev_i32_e32 v2, 31, v2
	v_and_b32_e32 v20, v20, v22
	v_xor_b32_e32 v22, vcc_hi, v2
	v_xor_b32_e32 v2, vcc_lo, v2
	v_and_b32_e32 v4, v4, v2
	v_lshlrev_b32_e32 v2, 26, v3
	v_cmp_gt_i64_e32 vcc, 0, v[1:2]
	v_not_b32_e32 v2, v2
	v_ashrrev_i32_e32 v2, 31, v2
	v_and_b32_e32 v20, v20, v22
	v_xor_b32_e32 v22, vcc_hi, v2
	v_xor_b32_e32 v2, vcc_lo, v2
	v_and_b32_e32 v4, v4, v2
	v_lshlrev_b32_e32 v2, 25, v3
	v_cmp_gt_i64_e32 vcc, 0, v[1:2]
	v_not_b32_e32 v2, v2
	v_ashrrev_i32_e32 v2, 31, v2
	v_and_b32_e32 v20, v20, v22
	v_xor_b32_e32 v22, vcc_hi, v2
	v_xor_b32_e32 v2, vcc_lo, v2
	v_and_b32_e32 v4, v4, v2
	v_lshlrev_b32_e32 v2, 24, v3
	v_cmp_gt_i64_e32 vcc, 0, v[1:2]
	v_not_b32_e32 v1, v2
	v_ashrrev_i32_e32 v1, 31, v1
	v_mad_u32_u24 v28, v3, 36, v24
	v_xor_b32_e32 v2, vcc_hi, v1
	v_xor_b32_e32 v1, vcc_lo, v1
	; wave barrier
	ds_read_b32 v19, v28 offset:32
	v_and_b32_e32 v20, v20, v22
	v_and_b32_e32 v1, v4, v1
	;; [unrolled: 1-line block ×3, first 2 shown]
	v_mbcnt_lo_u32_b32 v3, v1, 0
	v_mbcnt_hi_u32_b32 v20, v2, v3
	v_cmp_ne_u64_e32 vcc, 0, v[1:2]
	v_cmp_eq_u32_e64 s[4:5], 0, v20
	s_and_b64 s[8:9], vcc, s[4:5]
	; wave barrier
	s_and_saveexec_b64 s[4:5], s[8:9]
	s_cbranch_execz .LBB1446_87
; %bb.86:
	v_bcnt_u32_b32 v1, v1, 0
	v_bcnt_u32_b32 v1, v2, v1
	s_waitcnt lgkmcnt(0)
	v_add_u32_e32 v1, v19, v1
	ds_write_b32 v28, v1 offset:32
.LBB1446_87:
	s_or_b64 exec, exec, s[4:5]
	v_xor_b32_e32 v36, 0xffff8000, v21
	v_lshrrev_b32_sdwa v1, s40, v36 dst_sel:DWORD dst_unused:UNUSED_PAD src0_sel:DWORD src1_sel:WORD_0
	v_and_b32_e32 v3, s16, v1
	v_and_b32_e32 v2, 1, v3
	v_add_co_u32_e32 v4, vcc, -1, v2
	v_addc_co_u32_e64 v22, s[4:5], 0, -1, vcc
	v_cmp_ne_u32_e32 vcc, 0, v2
	v_xor_b32_e32 v2, vcc_hi, v22
	v_mov_b32_e32 v1, 0
	v_and_b32_e32 v22, exec_hi, v2
	v_lshlrev_b32_e32 v2, 30, v3
	v_xor_b32_e32 v4, vcc_lo, v4
	v_cmp_gt_i64_e32 vcc, 0, v[1:2]
	v_not_b32_e32 v2, v2
	v_ashrrev_i32_e32 v2, 31, v2
	v_and_b32_e32 v4, exec_lo, v4
	v_xor_b32_e32 v26, vcc_hi, v2
	v_xor_b32_e32 v2, vcc_lo, v2
	v_and_b32_e32 v4, v4, v2
	v_lshlrev_b32_e32 v2, 29, v3
	v_cmp_gt_i64_e32 vcc, 0, v[1:2]
	v_not_b32_e32 v2, v2
	v_ashrrev_i32_e32 v2, 31, v2
	v_and_b32_e32 v22, v22, v26
	v_xor_b32_e32 v26, vcc_hi, v2
	v_xor_b32_e32 v2, vcc_lo, v2
	v_and_b32_e32 v4, v4, v2
	v_lshlrev_b32_e32 v2, 28, v3
	v_cmp_gt_i64_e32 vcc, 0, v[1:2]
	v_not_b32_e32 v2, v2
	v_ashrrev_i32_e32 v2, 31, v2
	v_and_b32_e32 v22, v22, v26
	;; [unrolled: 8-line block ×5, first 2 shown]
	v_xor_b32_e32 v26, vcc_hi, v2
	v_xor_b32_e32 v2, vcc_lo, v2
	v_and_b32_e32 v4, v4, v2
	v_lshlrev_b32_e32 v2, 24, v3
	v_cmp_gt_i64_e32 vcc, 0, v[1:2]
	v_not_b32_e32 v2, v2
	v_ashrrev_i32_e32 v2, 31, v2
	v_mad_u32_u24 v29, v3, 36, v24
	v_xor_b32_e32 v3, vcc_hi, v2
	v_xor_b32_e32 v2, vcc_lo, v2
	; wave barrier
	ds_read_b32 v21, v29 offset:32
	v_and_b32_e32 v22, v22, v26
	v_and_b32_e32 v2, v4, v2
	;; [unrolled: 1-line block ×3, first 2 shown]
	v_mbcnt_lo_u32_b32 v4, v2, 0
	v_mbcnt_hi_u32_b32 v22, v3, v4
	v_cmp_ne_u64_e32 vcc, 0, v[2:3]
	v_cmp_eq_u32_e64 s[4:5], 0, v22
	s_and_b64 s[8:9], vcc, s[4:5]
	; wave barrier
	s_and_saveexec_b64 s[4:5], s[8:9]
	s_cbranch_execz .LBB1446_89
; %bb.88:
	v_bcnt_u32_b32 v2, v2, 0
	v_bcnt_u32_b32 v2, v3, v2
	s_waitcnt lgkmcnt(0)
	v_add_u32_e32 v2, v21, v2
	ds_write_b32 v29, v2 offset:32
.LBB1446_89:
	s_or_b64 exec, exec, s[4:5]
	v_xor_b32_e32 v37, 0xffff8000, v23
	v_lshrrev_b32_sdwa v2, s40, v37 dst_sel:DWORD dst_unused:UNUSED_PAD src0_sel:DWORD src1_sel:WORD_0
	v_and_b32_e32 v3, s16, v2
	v_and_b32_e32 v2, 1, v3
	v_add_co_u32_e32 v4, vcc, -1, v2
	v_mad_u32_u24 v35, v3, 36, v24
	v_addc_co_u32_e64 v24, s[4:5], 0, -1, vcc
	v_cmp_ne_u32_e32 vcc, 0, v2
	v_xor_b32_e32 v2, vcc_hi, v24
	v_and_b32_e32 v24, exec_hi, v2
	v_lshlrev_b32_e32 v2, 30, v3
	v_xor_b32_e32 v4, vcc_lo, v4
	v_cmp_gt_i64_e32 vcc, 0, v[1:2]
	v_not_b32_e32 v2, v2
	v_ashrrev_i32_e32 v2, 31, v2
	v_and_b32_e32 v4, exec_lo, v4
	v_xor_b32_e32 v26, vcc_hi, v2
	v_xor_b32_e32 v2, vcc_lo, v2
	v_and_b32_e32 v4, v4, v2
	v_lshlrev_b32_e32 v2, 29, v3
	v_cmp_gt_i64_e32 vcc, 0, v[1:2]
	v_not_b32_e32 v2, v2
	v_ashrrev_i32_e32 v2, 31, v2
	v_and_b32_e32 v24, v24, v26
	v_xor_b32_e32 v26, vcc_hi, v2
	v_xor_b32_e32 v2, vcc_lo, v2
	v_and_b32_e32 v4, v4, v2
	v_lshlrev_b32_e32 v2, 28, v3
	v_cmp_gt_i64_e32 vcc, 0, v[1:2]
	v_not_b32_e32 v2, v2
	v_ashrrev_i32_e32 v2, 31, v2
	v_and_b32_e32 v24, v24, v26
	;; [unrolled: 8-line block ×5, first 2 shown]
	v_xor_b32_e32 v26, vcc_hi, v2
	v_xor_b32_e32 v2, vcc_lo, v2
	v_and_b32_e32 v4, v4, v2
	v_lshlrev_b32_e32 v2, 24, v3
	v_cmp_gt_i64_e32 vcc, 0, v[1:2]
	v_not_b32_e32 v1, v2
	v_ashrrev_i32_e32 v1, 31, v1
	v_xor_b32_e32 v2, vcc_hi, v1
	v_xor_b32_e32 v1, vcc_lo, v1
	; wave barrier
	ds_read_b32 v23, v35 offset:32
	v_and_b32_e32 v24, v24, v26
	v_and_b32_e32 v1, v4, v1
	;; [unrolled: 1-line block ×3, first 2 shown]
	v_mbcnt_lo_u32_b32 v3, v1, 0
	v_mbcnt_hi_u32_b32 v26, v2, v3
	v_cmp_ne_u64_e32 vcc, 0, v[1:2]
	v_cmp_eq_u32_e64 s[4:5], 0, v26
	s_and_b64 s[8:9], vcc, s[4:5]
	; wave barrier
	s_and_saveexec_b64 s[4:5], s[8:9]
	s_cbranch_execz .LBB1446_91
; %bb.90:
	v_bcnt_u32_b32 v1, v1, 0
	v_bcnt_u32_b32 v1, v2, v1
	s_waitcnt lgkmcnt(0)
	v_add_u32_e32 v1, v23, v1
	ds_write_b32 v35, v1 offset:32
.LBB1446_91:
	s_or_b64 exec, exec, s[4:5]
	; wave barrier
	s_waitcnt lgkmcnt(0)
	s_barrier
	ds_read2_b32 v[3:4], v12 offset0:8 offset1:9
	ds_read2_b32 v[1:2], v12 offset0:10 offset1:11
	ds_read_b32 v24, v12 offset:48
	v_min_u32_e32 v9, 0x1c0, v9
	v_or_b32_e32 v9, 63, v9
	s_waitcnt lgkmcnt(1)
	v_add3_u32 v31, v4, v3, v1
	s_waitcnt lgkmcnt(0)
	v_add3_u32 v24, v31, v2, v24
	v_and_b32_e32 v31, 15, v6
	v_cmp_ne_u32_e32 vcc, 0, v31
	v_mov_b32_dpp v32, v24 row_shr:1 row_mask:0xf bank_mask:0xf
	v_cndmask_b32_e32 v32, 0, v32, vcc
	v_add_u32_e32 v24, v32, v24
	v_cmp_lt_u32_e32 vcc, 1, v31
	s_nop 0
	v_mov_b32_dpp v32, v24 row_shr:2 row_mask:0xf bank_mask:0xf
	v_cndmask_b32_e32 v32, 0, v32, vcc
	v_add_u32_e32 v24, v24, v32
	v_cmp_lt_u32_e32 vcc, 3, v31
	s_nop 0
	;; [unrolled: 5-line block ×3, first 2 shown]
	v_mov_b32_dpp v32, v24 row_shr:8 row_mask:0xf bank_mask:0xf
	v_cndmask_b32_e32 v31, 0, v32, vcc
	v_add_u32_e32 v24, v24, v31
	v_bfe_i32 v32, v6, 4, 1
	v_cmp_lt_u32_e32 vcc, 31, v6
	v_mov_b32_dpp v31, v24 row_bcast:15 row_mask:0xf bank_mask:0xf
	v_and_b32_e32 v31, v32, v31
	v_add_u32_e32 v24, v24, v31
	v_lshrrev_b32_e32 v32, 6, v0
	s_nop 0
	v_mov_b32_dpp v31, v24 row_bcast:31 row_mask:0xf bank_mask:0xf
	v_cndmask_b32_e32 v31, 0, v31, vcc
	v_add_u32_e32 v31, v24, v31
	v_cmp_eq_u32_e32 vcc, v0, v9
	s_and_saveexec_b64 s[4:5], vcc
; %bb.92:
	v_lshlrev_b32_e32 v9, 2, v32
	ds_write_b32 v9, v31
; %bb.93:
	s_or_b64 exec, exec, s[4:5]
	v_cmp_gt_u32_e32 vcc, 8, v0
	v_lshlrev_b32_e32 v24, 2, v0
	s_waitcnt lgkmcnt(0)
	s_barrier
	s_and_saveexec_b64 s[4:5], vcc
	s_cbranch_execz .LBB1446_95
; %bb.94:
	ds_read_b32 v9, v24
	v_and_b32_e32 v33, 7, v6
	v_cmp_ne_u32_e32 vcc, 0, v33
	s_waitcnt lgkmcnt(0)
	v_mov_b32_dpp v34, v9 row_shr:1 row_mask:0xf bank_mask:0xf
	v_cndmask_b32_e32 v34, 0, v34, vcc
	v_add_u32_e32 v9, v34, v9
	v_cmp_lt_u32_e32 vcc, 1, v33
	s_nop 0
	v_mov_b32_dpp v34, v9 row_shr:2 row_mask:0xf bank_mask:0xf
	v_cndmask_b32_e32 v34, 0, v34, vcc
	v_add_u32_e32 v9, v9, v34
	v_cmp_lt_u32_e32 vcc, 3, v33
	s_nop 0
	v_mov_b32_dpp v34, v9 row_shr:4 row_mask:0xf bank_mask:0xf
	v_cndmask_b32_e32 v33, 0, v34, vcc
	v_add_u32_e32 v9, v9, v33
	ds_write_b32 v24, v9
.LBB1446_95:
	s_or_b64 exec, exec, s[4:5]
	v_cmp_lt_u32_e32 vcc, 63, v0
	v_mov_b32_e32 v9, 0
	s_waitcnt lgkmcnt(0)
	s_barrier
	s_and_saveexec_b64 s[4:5], vcc
; %bb.96:
	v_lshl_add_u32 v9, v32, 2, -4
	ds_read_b32 v9, v9
; %bb.97:
	s_or_b64 exec, exec, s[4:5]
	v_subrev_co_u32_e32 v32, vcc, 1, v6
	v_and_b32_e32 v33, 64, v6
	v_cmp_lt_i32_e64 s[4:5], v32, v33
	v_cndmask_b32_e64 v6, v32, v6, s[4:5]
	s_waitcnt lgkmcnt(0)
	v_add_u32_e32 v31, v9, v31
	v_lshlrev_b32_e32 v6, 2, v6
	ds_bpermute_b32 v6, v6, v31
	s_movk_i32 s4, 0xff
	s_movk_i32 s8, 0x100
	s_waitcnt lgkmcnt(0)
	v_cndmask_b32_e32 v6, v6, v9, vcc
	v_cmp_ne_u32_e32 vcc, 0, v0
	v_cndmask_b32_e32 v6, 0, v6, vcc
	v_add_u32_e32 v3, v6, v3
	v_add_u32_e32 v4, v3, v4
	;; [unrolled: 1-line block ×4, first 2 shown]
	ds_write2_b32 v12, v6, v3 offset0:8 offset1:9
	ds_write2_b32 v12, v4, v1 offset0:10 offset1:11
	ds_write_b32 v12, v2 offset:48
	s_waitcnt lgkmcnt(0)
	s_barrier
	ds_read_b32 v1, v13 offset:32
	ds_read_b32 v31, v14 offset:32
	;; [unrolled: 1-line block ×6, first 2 shown]
	v_cmp_lt_u32_e32 vcc, s4, v0
	v_cmp_gt_u32_e64 s[4:5], s8, v0
                                        ; implicit-def: $vgpr27
                                        ; implicit-def: $vgpr28
	s_and_saveexec_b64 s[10:11], s[4:5]
	s_cbranch_execz .LBB1446_101
; %bb.98:
	v_mul_u32_u24_e32 v2, 36, v0
	ds_read_b32 v27, v2 offset:32
	v_add_u32_e32 v3, 1, v0
	v_cmp_ne_u32_e64 s[8:9], s8, v3
	v_mov_b32_e32 v2, 0xc00
	s_and_saveexec_b64 s[12:13], s[8:9]
; %bb.99:
	v_mul_u32_u24_e32 v2, 36, v3
	ds_read_b32 v2, v2 offset:32
; %bb.100:
	s_or_b64 exec, exec, s[12:13]
	s_waitcnt lgkmcnt(0)
	v_sub_u32_e32 v28, v2, v27
.LBB1446_101:
	s_or_b64 exec, exec, s[10:11]
	s_waitcnt lgkmcnt(5)
	v_add_u32_e32 v29, v1, v11
	v_add_u32_e32 v9, v16, v15
	v_lshlrev_b32_e32 v1, 1, v29
	v_add_u32_e32 v6, v18, v17
	s_waitcnt lgkmcnt(0)
	s_barrier
	ds_write_b16 v1, v10 offset:1024
	v_add_lshl_u32 v1, v9, v31, 1
	v_add_u32_e32 v4, v20, v19
	ds_write_b16 v1, v5 offset:1024
	v_add_lshl_u32 v1, v6, v32, 1
	v_add_u32_e32 v3, v22, v21
	;; [unrolled: 3-line block ×3, first 2 shown]
	ds_write_b16 v1, v30 offset:1024
	v_add_lshl_u32 v1, v3, v34, 1
	ds_write_b16 v1, v36 offset:1024
	v_add_lshl_u32 v1, v2, v35, 1
	v_mov_b32_e32 v2, 0
	ds_write_b16 v1, v37 offset:1024
	s_and_saveexec_b64 s[8:9], s[4:5]
	s_cbranch_execz .LBB1446_111
; %bb.102:
	v_lshl_add_u32 v1, s6, 8, v0
	v_lshlrev_b64 v[3:4], 2, v[1:2]
	v_mov_b32_e32 v9, s45
	v_add_co_u32_e64 v3, s[4:5], s44, v3
	v_addc_co_u32_e64 v4, s[4:5], v9, v4, s[4:5]
	v_or_b32_e32 v1, 2.0, v28
	s_mov_b64 s[10:11], 0
	s_brev_b32 s17, -4
	s_mov_b32 s18, s6
	v_mov_b32_e32 v10, 0
	global_store_dword v[3:4], v1, off
                                        ; implicit-def: $sgpr4_sgpr5
	s_branch .LBB1446_105
.LBB1446_103:                           ;   in Loop: Header=BB1446_105 Depth=1
	s_or_b64 exec, exec, s[14:15]
.LBB1446_104:                           ;   in Loop: Header=BB1446_105 Depth=1
	s_or_b64 exec, exec, s[12:13]
	v_and_b32_e32 v5, 0x3fffffff, v1
	v_add_u32_e32 v10, v5, v10
	v_cmp_gt_i32_e64 s[4:5], -2.0, v1
	s_and_b64 s[12:13], exec, s[4:5]
	s_or_b64 s[10:11], s[12:13], s[10:11]
	s_andn2_b64 exec, exec, s[10:11]
	s_cbranch_execz .LBB1446_110
.LBB1446_105:                           ; =>This Loop Header: Depth=1
                                        ;     Child Loop BB1446_108 Depth 2
	s_or_b64 s[4:5], s[4:5], exec
	s_cmp_eq_u32 s18, 0
	s_cbranch_scc1 .LBB1446_109
; %bb.106:                              ;   in Loop: Header=BB1446_105 Depth=1
	s_add_i32 s18, s18, -1
	v_lshl_or_b32 v1, s18, 8, v0
	v_lshlrev_b64 v[5:6], 2, v[1:2]
	v_add_co_u32_e64 v5, s[4:5], s44, v5
	v_addc_co_u32_e64 v6, s[4:5], v9, v6, s[4:5]
	global_load_dword v1, v[5:6], off glc
	s_waitcnt vmcnt(0)
	v_cmp_gt_u32_e64 s[4:5], 2.0, v1
	s_and_saveexec_b64 s[12:13], s[4:5]
	s_cbranch_execz .LBB1446_104
; %bb.107:                              ;   in Loop: Header=BB1446_105 Depth=1
	s_mov_b64 s[14:15], 0
.LBB1446_108:                           ;   Parent Loop BB1446_105 Depth=1
                                        ; =>  This Inner Loop Header: Depth=2
	global_load_dword v1, v[5:6], off glc
	s_waitcnt vmcnt(0)
	v_cmp_lt_u32_e64 s[4:5], s17, v1
	s_or_b64 s[14:15], s[4:5], s[14:15]
	s_andn2_b64 exec, exec, s[14:15]
	s_cbranch_execnz .LBB1446_108
	s_branch .LBB1446_103
.LBB1446_109:                           ;   in Loop: Header=BB1446_105 Depth=1
                                        ; implicit-def: $sgpr18
	s_and_b64 s[12:13], exec, s[4:5]
	s_or_b64 s[10:11], s[12:13], s[10:11]
	s_andn2_b64 exec, exec, s[10:11]
	s_cbranch_execnz .LBB1446_105
.LBB1446_110:
	s_or_b64 exec, exec, s[10:11]
	v_add_u32_e32 v1, v10, v28
	v_or_b32_e32 v1, 0x80000000, v1
	global_store_dword v[3:4], v1, off
	global_load_dword v1, v24, s[36:37]
	v_sub_u32_e32 v2, v10, v27
	s_waitcnt vmcnt(0)
	v_add_u32_e32 v1, v2, v1
	ds_write_b32 v24, v1
.LBB1446_111:
	s_or_b64 exec, exec, s[8:9]
	v_lshlrev_b32_e32 v1, 1, v0
	v_sub_u32_e32 v25, v24, v1
	s_waitcnt lgkmcnt(0)
	s_barrier
	ds_read_u16 v5, v25 offset:1024
	ds_read_u16 v6, v25 offset:2048
	;; [unrolled: 1-line block ×6, first 2 shown]
	s_waitcnt lgkmcnt(5)
	v_lshrrev_b32_sdwa v1, s40, v5 dst_sel:DWORD dst_unused:UNUSED_PAD src0_sel:DWORD src1_sel:WORD_0
	v_and_b32_e32 v30, s16, v1
	s_waitcnt lgkmcnt(4)
	v_lshrrev_b32_sdwa v2, s40, v6 dst_sel:DWORD dst_unused:UNUSED_PAD src0_sel:DWORD src1_sel:WORD_0
	s_waitcnt lgkmcnt(1)
	v_lshrrev_b32_sdwa v13, s40, v11 dst_sel:DWORD dst_unused:UNUSED_PAD src0_sel:DWORD src1_sel:WORD_0
	;; [unrolled: 2-line block ×3, first 2 shown]
	v_lshrrev_b32_sdwa v3, s40, v9 dst_sel:DWORD dst_unused:UNUSED_PAD src0_sel:DWORD src1_sel:WORD_0
	v_lshrrev_b32_sdwa v4, s40, v10 dst_sel:DWORD dst_unused:UNUSED_PAD src0_sel:DWORD src1_sel:WORD_0
	v_and_b32_e32 v41, s16, v13
	v_and_b32_e32 v42, s16, v14
	v_lshlrev_b32_e32 v1, 2, v30
	v_and_b32_e32 v38, s16, v2
	v_and_b32_e32 v39, s16, v3
	;; [unrolled: 1-line block ×3, first 2 shown]
	v_lshlrev_b32_e32 v13, 2, v41
	v_lshlrev_b32_e32 v14, 2, v42
	;; [unrolled: 1-line block ×5, first 2 shown]
	ds_read_b32 v1, v1
	ds_read_b32 v36, v2
	;; [unrolled: 1-line block ×6, first 2 shown]
	s_waitcnt lgkmcnt(5)
	v_add_u32_e32 v1, v1, v0
	v_mov_b32_e32 v2, 0
	v_lshlrev_b64 v[3:4], 1, v[1:2]
	v_mov_b32_e32 v44, s27
	v_add_co_u32_e64 v3, s[4:5], s26, v3
	v_addc_co_u32_e64 v4, s[4:5], v44, v4, s[4:5]
	v_xor_b32_e32 v1, 0xffff8000, v5
	s_movk_i32 s8, 0x200
	global_store_short v[3:4], v1, off
	s_waitcnt lgkmcnt(4)
	v_add3_u32 v1, v0, v36, s8
	v_lshlrev_b64 v[3:4], 1, v[1:2]
	v_mov_b32_e32 v5, s27
	v_add_co_u32_e64 v3, s[4:5], s26, v3
	v_addc_co_u32_e64 v4, s[4:5], v5, v4, s[4:5]
	v_xor_b32_e32 v1, 0xffff8000, v6
	s_movk_i32 s4, 0x400
	global_store_short v[3:4], v1, off
	s_waitcnt lgkmcnt(3)
	v_add3_u32 v1, v37, v0, s4
	v_lshlrev_b64 v[3:4], 1, v[1:2]
	v_xor_b32_e32 v1, 0xffff8000, v9
	v_add_co_u32_e64 v3, s[4:5], s26, v3
	v_addc_co_u32_e64 v4, s[4:5], v5, v4, s[4:5]
	s_movk_i32 s4, 0x600
	global_store_short v[3:4], v1, off
	s_waitcnt lgkmcnt(2)
	v_add3_u32 v1, v0, v43, s4
	v_lshlrev_b64 v[3:4], 1, v[1:2]
	v_mov_b32_e32 v1, s27
	v_add_co_u32_e64 v3, s[4:5], s26, v3
	v_addc_co_u32_e64 v4, s[4:5], v1, v4, s[4:5]
	s_movk_i32 s4, 0x800
	v_xor_b32_e32 v5, 0xffff8000, v10
	s_waitcnt lgkmcnt(1)
	v_add3_u32 v1, v13, v0, s4
	global_store_short v[3:4], v5, off
	v_lshlrev_b64 v[3:4], 1, v[1:2]
	v_mov_b32_e32 v1, s27
	v_add_co_u32_e64 v3, s[4:5], s26, v3
	v_addc_co_u32_e64 v4, s[4:5], v1, v4, s[4:5]
	s_movk_i32 s4, 0xa00
	v_xor_b32_e32 v5, 0xffff8000, v11
	s_waitcnt lgkmcnt(0)
	v_add3_u32 v1, v0, v14, s4
	global_store_short v[3:4], v5, off
	v_lshlrev_b64 v[3:4], 1, v[1:2]
	v_mov_b32_e32 v1, s27
	v_add_co_u32_e64 v3, s[4:5], s26, v3
	v_addc_co_u32_e64 v4, s[4:5], v1, v4, s[4:5]
	s_lshl_b64 s[4:5], s[34:35], 3
	s_add_u32 s4, s28, s4
	v_xor_b32_e32 v5, 0xffff8000, v12
	s_addc_u32 s5, s29, s5
	v_lshlrev_b32_e32 v1, 3, v8
	global_store_short v[3:4], v5, off
	v_mov_b32_e32 v3, s5
	v_add_co_u32_e64 v1, s[4:5], s4, v1
	v_addc_co_u32_e64 v3, s[4:5], 0, v3, s[4:5]
	v_lshlrev_b32_e32 v4, 3, v7
	v_add_co_u32_e64 v36, s[4:5], v1, v4
	v_addc_co_u32_e64 v37, s[4:5], 0, v3, s[4:5]
	global_load_dwordx2 v[3:4], v[36:37], off
	global_load_dwordx2 v[5:6], v[36:37], off offset:512
	global_load_dwordx2 v[7:8], v[36:37], off offset:1024
	;; [unrolled: 1-line block ×5, first 2 shown]
	v_mul_u32_u24_e32 v1, 6, v0
	v_add3_u32 v23, v26, v35, v23
	v_add3_u32 v21, v22, v34, v21
	v_add3_u32 v19, v20, v33, v19
	v_add3_u32 v17, v18, v32, v17
	v_add3_u32 v15, v16, v31, v15
	s_mov_b32 s9, 0
	s_mov_b32 s10, 0
	v_add_u32_e32 v16, v25, v1
	v_mov_b32_e32 v18, s31
	buffer_store_dword v30, off, s[0:3], 0
	buffer_store_dword v38, off, s[0:3], 0 offset:4
	buffer_store_dword v39, off, s[0:3], 0 offset:8
	;; [unrolled: 1-line block ×5, first 2 shown]
	s_waitcnt vmcnt(0)
	s_barrier
.LBB1446_112:                           ; =>This Inner Loop Header: Depth=1
	v_add_u32_e32 v1, s10, v29
	v_add_u32_e32 v20, s10, v15
	;; [unrolled: 1-line block ×6, first 2 shown]
	v_min_u32_e32 v1, 0x400, v1
	v_min_u32_e32 v20, 0x400, v20
	v_mov_b32_e32 v31, s9
	v_min_u32_e32 v22, 0x400, v22
	v_min_u32_e32 v25, 0x400, v25
	;; [unrolled: 1-line block ×4, first 2 shown]
	v_lshlrev_b32_e32 v1, 3, v1
	v_lshlrev_b32_e32 v20, 3, v20
	;; [unrolled: 1-line block ×6, first 2 shown]
	ds_write_b64 v1, v[3:4] offset:1024
	ds_write_b64 v20, v[5:6] offset:1024
	ds_write_b64 v22, v[7:8] offset:1024
	ds_write_b64 v25, v[9:10] offset:1024
	ds_write_b64 v26, v[11:12] offset:1024
	ds_write_b64 v30, v[13:14] offset:1024
	s_waitcnt lgkmcnt(0)
	s_barrier
	buffer_load_dword v1, v31, s[0:3], 0 offen
	buffer_load_dword v20, v31, s[0:3], 0 offen offset:4
	ds_read2st64_b64 v[30:33], v16 offset0:2 offset1:10
	s_addk_i32 s10, 0xfc00
	s_add_i32 s9, s9, 8
	s_cmpk_lg_i32 s10, 0xf400
	s_waitcnt vmcnt(1)
	v_lshlrev_b32_e32 v1, 2, v1
	s_waitcnt vmcnt(0)
	v_lshlrev_b32_e32 v20, 2, v20
	ds_read_b32 v1, v1
	ds_read_b32 v20, v20
	s_waitcnt lgkmcnt(1)
	v_add_u32_e32 v1, v0, v1
	v_lshlrev_b64 v[25:26], 3, v[1:2]
	s_waitcnt lgkmcnt(0)
	v_add3_u32 v1, v0, v20, s8
	v_lshlrev_b64 v[34:35], 3, v[1:2]
	v_add_co_u32_e64 v25, s[4:5], s30, v25
	v_addc_co_u32_e64 v26, s[4:5], v18, v26, s[4:5]
	global_store_dwordx2 v[25:26], v[30:31], off
	v_add_co_u32_e64 v25, s[4:5], s30, v34
	v_add_u32_e32 v0, 0x400, v0
	v_addc_co_u32_e64 v26, s[4:5], v18, v35, s[4:5]
	global_store_dwordx2 v[25:26], v[32:33], off
	s_waitcnt vmcnt(0)
	s_barrier
	s_cbranch_scc1 .LBB1446_112
; %bb.113:
	s_add_i32 s7, s7, -1
	s_cmp_eq_u32 s6, s7
	s_cselect_b64 s[4:5], -1, 0
	s_xor_b64 s[6:7], vcc, -1
	s_and_b64 s[4:5], s[6:7], s[4:5]
	s_and_saveexec_b64 s[6:7], s[4:5]
	s_cbranch_execz .LBB1446_115
; %bb.114:
	ds_read_b32 v0, v24
	s_waitcnt lgkmcnt(0)
	v_add3_u32 v0, v27, v28, v0
	global_store_dword v24, v0, s[38:39]
.LBB1446_115:
	s_endpgm
	.section	.rodata,"a",@progbits
	.p2align	6, 0x0
	.amdhsa_kernel _ZN7rocprim17ROCPRIM_400000_NS6detail17trampoline_kernelINS0_14default_configENS1_35radix_sort_onesweep_config_selectorIslEEZZNS1_29radix_sort_onesweep_iterationIS3_Lb0EPsS7_N6thrust23THRUST_200600_302600_NS10device_ptrIlEESB_jNS0_19identity_decomposerENS1_16block_id_wrapperIjLb0EEEEE10hipError_tT1_PNSt15iterator_traitsISG_E10value_typeET2_T3_PNSH_ISM_E10value_typeET4_T5_PSR_SS_PNS1_23onesweep_lookback_stateEbbT6_jjT7_P12ihipStream_tbENKUlT_T0_SG_SL_E_clIS7_S7_PlSB_EEDaSZ_S10_SG_SL_EUlSZ_E_NS1_11comp_targetILNS1_3genE2ELNS1_11target_archE906ELNS1_3gpuE6ELNS1_3repE0EEENS1_47radix_sort_onesweep_sort_config_static_selectorELNS0_4arch9wavefront6targetE1EEEvSG_
		.amdhsa_group_segment_fixed_size 10280
		.amdhsa_private_segment_fixed_size 32
		.amdhsa_kernarg_size 344
		.amdhsa_user_sgpr_count 6
		.amdhsa_user_sgpr_private_segment_buffer 1
		.amdhsa_user_sgpr_dispatch_ptr 0
		.amdhsa_user_sgpr_queue_ptr 0
		.amdhsa_user_sgpr_kernarg_segment_ptr 1
		.amdhsa_user_sgpr_dispatch_id 0
		.amdhsa_user_sgpr_flat_scratch_init 0
		.amdhsa_user_sgpr_private_segment_size 0
		.amdhsa_uses_dynamic_stack 0
		.amdhsa_system_sgpr_private_segment_wavefront_offset 1
		.amdhsa_system_sgpr_workgroup_id_x 1
		.amdhsa_system_sgpr_workgroup_id_y 0
		.amdhsa_system_sgpr_workgroup_id_z 0
		.amdhsa_system_sgpr_workgroup_info 0
		.amdhsa_system_vgpr_workitem_id 2
		.amdhsa_next_free_vgpr 45
		.amdhsa_next_free_sgpr 53
		.amdhsa_reserve_vcc 1
		.amdhsa_reserve_flat_scratch 0
		.amdhsa_float_round_mode_32 0
		.amdhsa_float_round_mode_16_64 0
		.amdhsa_float_denorm_mode_32 3
		.amdhsa_float_denorm_mode_16_64 3
		.amdhsa_dx10_clamp 1
		.amdhsa_ieee_mode 1
		.amdhsa_fp16_overflow 0
		.amdhsa_exception_fp_ieee_invalid_op 0
		.amdhsa_exception_fp_denorm_src 0
		.amdhsa_exception_fp_ieee_div_zero 0
		.amdhsa_exception_fp_ieee_overflow 0
		.amdhsa_exception_fp_ieee_underflow 0
		.amdhsa_exception_fp_ieee_inexact 0
		.amdhsa_exception_int_div_zero 0
	.end_amdhsa_kernel
	.section	.text._ZN7rocprim17ROCPRIM_400000_NS6detail17trampoline_kernelINS0_14default_configENS1_35radix_sort_onesweep_config_selectorIslEEZZNS1_29radix_sort_onesweep_iterationIS3_Lb0EPsS7_N6thrust23THRUST_200600_302600_NS10device_ptrIlEESB_jNS0_19identity_decomposerENS1_16block_id_wrapperIjLb0EEEEE10hipError_tT1_PNSt15iterator_traitsISG_E10value_typeET2_T3_PNSH_ISM_E10value_typeET4_T5_PSR_SS_PNS1_23onesweep_lookback_stateEbbT6_jjT7_P12ihipStream_tbENKUlT_T0_SG_SL_E_clIS7_S7_PlSB_EEDaSZ_S10_SG_SL_EUlSZ_E_NS1_11comp_targetILNS1_3genE2ELNS1_11target_archE906ELNS1_3gpuE6ELNS1_3repE0EEENS1_47radix_sort_onesweep_sort_config_static_selectorELNS0_4arch9wavefront6targetE1EEEvSG_,"axG",@progbits,_ZN7rocprim17ROCPRIM_400000_NS6detail17trampoline_kernelINS0_14default_configENS1_35radix_sort_onesweep_config_selectorIslEEZZNS1_29radix_sort_onesweep_iterationIS3_Lb0EPsS7_N6thrust23THRUST_200600_302600_NS10device_ptrIlEESB_jNS0_19identity_decomposerENS1_16block_id_wrapperIjLb0EEEEE10hipError_tT1_PNSt15iterator_traitsISG_E10value_typeET2_T3_PNSH_ISM_E10value_typeET4_T5_PSR_SS_PNS1_23onesweep_lookback_stateEbbT6_jjT7_P12ihipStream_tbENKUlT_T0_SG_SL_E_clIS7_S7_PlSB_EEDaSZ_S10_SG_SL_EUlSZ_E_NS1_11comp_targetILNS1_3genE2ELNS1_11target_archE906ELNS1_3gpuE6ELNS1_3repE0EEENS1_47radix_sort_onesweep_sort_config_static_selectorELNS0_4arch9wavefront6targetE1EEEvSG_,comdat
.Lfunc_end1446:
	.size	_ZN7rocprim17ROCPRIM_400000_NS6detail17trampoline_kernelINS0_14default_configENS1_35radix_sort_onesweep_config_selectorIslEEZZNS1_29radix_sort_onesweep_iterationIS3_Lb0EPsS7_N6thrust23THRUST_200600_302600_NS10device_ptrIlEESB_jNS0_19identity_decomposerENS1_16block_id_wrapperIjLb0EEEEE10hipError_tT1_PNSt15iterator_traitsISG_E10value_typeET2_T3_PNSH_ISM_E10value_typeET4_T5_PSR_SS_PNS1_23onesweep_lookback_stateEbbT6_jjT7_P12ihipStream_tbENKUlT_T0_SG_SL_E_clIS7_S7_PlSB_EEDaSZ_S10_SG_SL_EUlSZ_E_NS1_11comp_targetILNS1_3genE2ELNS1_11target_archE906ELNS1_3gpuE6ELNS1_3repE0EEENS1_47radix_sort_onesweep_sort_config_static_selectorELNS0_4arch9wavefront6targetE1EEEvSG_, .Lfunc_end1446-_ZN7rocprim17ROCPRIM_400000_NS6detail17trampoline_kernelINS0_14default_configENS1_35radix_sort_onesweep_config_selectorIslEEZZNS1_29radix_sort_onesweep_iterationIS3_Lb0EPsS7_N6thrust23THRUST_200600_302600_NS10device_ptrIlEESB_jNS0_19identity_decomposerENS1_16block_id_wrapperIjLb0EEEEE10hipError_tT1_PNSt15iterator_traitsISG_E10value_typeET2_T3_PNSH_ISM_E10value_typeET4_T5_PSR_SS_PNS1_23onesweep_lookback_stateEbbT6_jjT7_P12ihipStream_tbENKUlT_T0_SG_SL_E_clIS7_S7_PlSB_EEDaSZ_S10_SG_SL_EUlSZ_E_NS1_11comp_targetILNS1_3genE2ELNS1_11target_archE906ELNS1_3gpuE6ELNS1_3repE0EEENS1_47radix_sort_onesweep_sort_config_static_selectorELNS0_4arch9wavefront6targetE1EEEvSG_
                                        ; -- End function
	.set _ZN7rocprim17ROCPRIM_400000_NS6detail17trampoline_kernelINS0_14default_configENS1_35radix_sort_onesweep_config_selectorIslEEZZNS1_29radix_sort_onesweep_iterationIS3_Lb0EPsS7_N6thrust23THRUST_200600_302600_NS10device_ptrIlEESB_jNS0_19identity_decomposerENS1_16block_id_wrapperIjLb0EEEEE10hipError_tT1_PNSt15iterator_traitsISG_E10value_typeET2_T3_PNSH_ISM_E10value_typeET4_T5_PSR_SS_PNS1_23onesweep_lookback_stateEbbT6_jjT7_P12ihipStream_tbENKUlT_T0_SG_SL_E_clIS7_S7_PlSB_EEDaSZ_S10_SG_SL_EUlSZ_E_NS1_11comp_targetILNS1_3genE2ELNS1_11target_archE906ELNS1_3gpuE6ELNS1_3repE0EEENS1_47radix_sort_onesweep_sort_config_static_selectorELNS0_4arch9wavefront6targetE1EEEvSG_.num_vgpr, 45
	.set _ZN7rocprim17ROCPRIM_400000_NS6detail17trampoline_kernelINS0_14default_configENS1_35radix_sort_onesweep_config_selectorIslEEZZNS1_29radix_sort_onesweep_iterationIS3_Lb0EPsS7_N6thrust23THRUST_200600_302600_NS10device_ptrIlEESB_jNS0_19identity_decomposerENS1_16block_id_wrapperIjLb0EEEEE10hipError_tT1_PNSt15iterator_traitsISG_E10value_typeET2_T3_PNSH_ISM_E10value_typeET4_T5_PSR_SS_PNS1_23onesweep_lookback_stateEbbT6_jjT7_P12ihipStream_tbENKUlT_T0_SG_SL_E_clIS7_S7_PlSB_EEDaSZ_S10_SG_SL_EUlSZ_E_NS1_11comp_targetILNS1_3genE2ELNS1_11target_archE906ELNS1_3gpuE6ELNS1_3repE0EEENS1_47radix_sort_onesweep_sort_config_static_selectorELNS0_4arch9wavefront6targetE1EEEvSG_.num_agpr, 0
	.set _ZN7rocprim17ROCPRIM_400000_NS6detail17trampoline_kernelINS0_14default_configENS1_35radix_sort_onesweep_config_selectorIslEEZZNS1_29radix_sort_onesweep_iterationIS3_Lb0EPsS7_N6thrust23THRUST_200600_302600_NS10device_ptrIlEESB_jNS0_19identity_decomposerENS1_16block_id_wrapperIjLb0EEEEE10hipError_tT1_PNSt15iterator_traitsISG_E10value_typeET2_T3_PNSH_ISM_E10value_typeET4_T5_PSR_SS_PNS1_23onesweep_lookback_stateEbbT6_jjT7_P12ihipStream_tbENKUlT_T0_SG_SL_E_clIS7_S7_PlSB_EEDaSZ_S10_SG_SL_EUlSZ_E_NS1_11comp_targetILNS1_3genE2ELNS1_11target_archE906ELNS1_3gpuE6ELNS1_3repE0EEENS1_47radix_sort_onesweep_sort_config_static_selectorELNS0_4arch9wavefront6targetE1EEEvSG_.numbered_sgpr, 53
	.set _ZN7rocprim17ROCPRIM_400000_NS6detail17trampoline_kernelINS0_14default_configENS1_35radix_sort_onesweep_config_selectorIslEEZZNS1_29radix_sort_onesweep_iterationIS3_Lb0EPsS7_N6thrust23THRUST_200600_302600_NS10device_ptrIlEESB_jNS0_19identity_decomposerENS1_16block_id_wrapperIjLb0EEEEE10hipError_tT1_PNSt15iterator_traitsISG_E10value_typeET2_T3_PNSH_ISM_E10value_typeET4_T5_PSR_SS_PNS1_23onesweep_lookback_stateEbbT6_jjT7_P12ihipStream_tbENKUlT_T0_SG_SL_E_clIS7_S7_PlSB_EEDaSZ_S10_SG_SL_EUlSZ_E_NS1_11comp_targetILNS1_3genE2ELNS1_11target_archE906ELNS1_3gpuE6ELNS1_3repE0EEENS1_47radix_sort_onesweep_sort_config_static_selectorELNS0_4arch9wavefront6targetE1EEEvSG_.num_named_barrier, 0
	.set _ZN7rocprim17ROCPRIM_400000_NS6detail17trampoline_kernelINS0_14default_configENS1_35radix_sort_onesweep_config_selectorIslEEZZNS1_29radix_sort_onesweep_iterationIS3_Lb0EPsS7_N6thrust23THRUST_200600_302600_NS10device_ptrIlEESB_jNS0_19identity_decomposerENS1_16block_id_wrapperIjLb0EEEEE10hipError_tT1_PNSt15iterator_traitsISG_E10value_typeET2_T3_PNSH_ISM_E10value_typeET4_T5_PSR_SS_PNS1_23onesweep_lookback_stateEbbT6_jjT7_P12ihipStream_tbENKUlT_T0_SG_SL_E_clIS7_S7_PlSB_EEDaSZ_S10_SG_SL_EUlSZ_E_NS1_11comp_targetILNS1_3genE2ELNS1_11target_archE906ELNS1_3gpuE6ELNS1_3repE0EEENS1_47radix_sort_onesweep_sort_config_static_selectorELNS0_4arch9wavefront6targetE1EEEvSG_.private_seg_size, 32
	.set _ZN7rocprim17ROCPRIM_400000_NS6detail17trampoline_kernelINS0_14default_configENS1_35radix_sort_onesweep_config_selectorIslEEZZNS1_29radix_sort_onesweep_iterationIS3_Lb0EPsS7_N6thrust23THRUST_200600_302600_NS10device_ptrIlEESB_jNS0_19identity_decomposerENS1_16block_id_wrapperIjLb0EEEEE10hipError_tT1_PNSt15iterator_traitsISG_E10value_typeET2_T3_PNSH_ISM_E10value_typeET4_T5_PSR_SS_PNS1_23onesweep_lookback_stateEbbT6_jjT7_P12ihipStream_tbENKUlT_T0_SG_SL_E_clIS7_S7_PlSB_EEDaSZ_S10_SG_SL_EUlSZ_E_NS1_11comp_targetILNS1_3genE2ELNS1_11target_archE906ELNS1_3gpuE6ELNS1_3repE0EEENS1_47radix_sort_onesweep_sort_config_static_selectorELNS0_4arch9wavefront6targetE1EEEvSG_.uses_vcc, 1
	.set _ZN7rocprim17ROCPRIM_400000_NS6detail17trampoline_kernelINS0_14default_configENS1_35radix_sort_onesweep_config_selectorIslEEZZNS1_29radix_sort_onesweep_iterationIS3_Lb0EPsS7_N6thrust23THRUST_200600_302600_NS10device_ptrIlEESB_jNS0_19identity_decomposerENS1_16block_id_wrapperIjLb0EEEEE10hipError_tT1_PNSt15iterator_traitsISG_E10value_typeET2_T3_PNSH_ISM_E10value_typeET4_T5_PSR_SS_PNS1_23onesweep_lookback_stateEbbT6_jjT7_P12ihipStream_tbENKUlT_T0_SG_SL_E_clIS7_S7_PlSB_EEDaSZ_S10_SG_SL_EUlSZ_E_NS1_11comp_targetILNS1_3genE2ELNS1_11target_archE906ELNS1_3gpuE6ELNS1_3repE0EEENS1_47radix_sort_onesweep_sort_config_static_selectorELNS0_4arch9wavefront6targetE1EEEvSG_.uses_flat_scratch, 0
	.set _ZN7rocprim17ROCPRIM_400000_NS6detail17trampoline_kernelINS0_14default_configENS1_35radix_sort_onesweep_config_selectorIslEEZZNS1_29radix_sort_onesweep_iterationIS3_Lb0EPsS7_N6thrust23THRUST_200600_302600_NS10device_ptrIlEESB_jNS0_19identity_decomposerENS1_16block_id_wrapperIjLb0EEEEE10hipError_tT1_PNSt15iterator_traitsISG_E10value_typeET2_T3_PNSH_ISM_E10value_typeET4_T5_PSR_SS_PNS1_23onesweep_lookback_stateEbbT6_jjT7_P12ihipStream_tbENKUlT_T0_SG_SL_E_clIS7_S7_PlSB_EEDaSZ_S10_SG_SL_EUlSZ_E_NS1_11comp_targetILNS1_3genE2ELNS1_11target_archE906ELNS1_3gpuE6ELNS1_3repE0EEENS1_47radix_sort_onesweep_sort_config_static_selectorELNS0_4arch9wavefront6targetE1EEEvSG_.has_dyn_sized_stack, 0
	.set _ZN7rocprim17ROCPRIM_400000_NS6detail17trampoline_kernelINS0_14default_configENS1_35radix_sort_onesweep_config_selectorIslEEZZNS1_29radix_sort_onesweep_iterationIS3_Lb0EPsS7_N6thrust23THRUST_200600_302600_NS10device_ptrIlEESB_jNS0_19identity_decomposerENS1_16block_id_wrapperIjLb0EEEEE10hipError_tT1_PNSt15iterator_traitsISG_E10value_typeET2_T3_PNSH_ISM_E10value_typeET4_T5_PSR_SS_PNS1_23onesweep_lookback_stateEbbT6_jjT7_P12ihipStream_tbENKUlT_T0_SG_SL_E_clIS7_S7_PlSB_EEDaSZ_S10_SG_SL_EUlSZ_E_NS1_11comp_targetILNS1_3genE2ELNS1_11target_archE906ELNS1_3gpuE6ELNS1_3repE0EEENS1_47radix_sort_onesweep_sort_config_static_selectorELNS0_4arch9wavefront6targetE1EEEvSG_.has_recursion, 0
	.set _ZN7rocprim17ROCPRIM_400000_NS6detail17trampoline_kernelINS0_14default_configENS1_35radix_sort_onesweep_config_selectorIslEEZZNS1_29radix_sort_onesweep_iterationIS3_Lb0EPsS7_N6thrust23THRUST_200600_302600_NS10device_ptrIlEESB_jNS0_19identity_decomposerENS1_16block_id_wrapperIjLb0EEEEE10hipError_tT1_PNSt15iterator_traitsISG_E10value_typeET2_T3_PNSH_ISM_E10value_typeET4_T5_PSR_SS_PNS1_23onesweep_lookback_stateEbbT6_jjT7_P12ihipStream_tbENKUlT_T0_SG_SL_E_clIS7_S7_PlSB_EEDaSZ_S10_SG_SL_EUlSZ_E_NS1_11comp_targetILNS1_3genE2ELNS1_11target_archE906ELNS1_3gpuE6ELNS1_3repE0EEENS1_47radix_sort_onesweep_sort_config_static_selectorELNS0_4arch9wavefront6targetE1EEEvSG_.has_indirect_call, 0
	.section	.AMDGPU.csdata,"",@progbits
; Kernel info:
; codeLenInByte = 10716
; TotalNumSgprs: 57
; NumVgprs: 45
; ScratchSize: 32
; MemoryBound: 0
; FloatMode: 240
; IeeeMode: 1
; LDSByteSize: 10280 bytes/workgroup (compile time only)
; SGPRBlocks: 7
; VGPRBlocks: 11
; NumSGPRsForWavesPerEU: 57
; NumVGPRsForWavesPerEU: 45
; Occupancy: 5
; WaveLimiterHint : 1
; COMPUTE_PGM_RSRC2:SCRATCH_EN: 1
; COMPUTE_PGM_RSRC2:USER_SGPR: 6
; COMPUTE_PGM_RSRC2:TRAP_HANDLER: 0
; COMPUTE_PGM_RSRC2:TGID_X_EN: 1
; COMPUTE_PGM_RSRC2:TGID_Y_EN: 0
; COMPUTE_PGM_RSRC2:TGID_Z_EN: 0
; COMPUTE_PGM_RSRC2:TIDIG_COMP_CNT: 2
	.section	.text._ZN7rocprim17ROCPRIM_400000_NS6detail17trampoline_kernelINS0_14default_configENS1_35radix_sort_onesweep_config_selectorIslEEZZNS1_29radix_sort_onesweep_iterationIS3_Lb0EPsS7_N6thrust23THRUST_200600_302600_NS10device_ptrIlEESB_jNS0_19identity_decomposerENS1_16block_id_wrapperIjLb0EEEEE10hipError_tT1_PNSt15iterator_traitsISG_E10value_typeET2_T3_PNSH_ISM_E10value_typeET4_T5_PSR_SS_PNS1_23onesweep_lookback_stateEbbT6_jjT7_P12ihipStream_tbENKUlT_T0_SG_SL_E_clIS7_S7_PlSB_EEDaSZ_S10_SG_SL_EUlSZ_E_NS1_11comp_targetILNS1_3genE4ELNS1_11target_archE910ELNS1_3gpuE8ELNS1_3repE0EEENS1_47radix_sort_onesweep_sort_config_static_selectorELNS0_4arch9wavefront6targetE1EEEvSG_,"axG",@progbits,_ZN7rocprim17ROCPRIM_400000_NS6detail17trampoline_kernelINS0_14default_configENS1_35radix_sort_onesweep_config_selectorIslEEZZNS1_29radix_sort_onesweep_iterationIS3_Lb0EPsS7_N6thrust23THRUST_200600_302600_NS10device_ptrIlEESB_jNS0_19identity_decomposerENS1_16block_id_wrapperIjLb0EEEEE10hipError_tT1_PNSt15iterator_traitsISG_E10value_typeET2_T3_PNSH_ISM_E10value_typeET4_T5_PSR_SS_PNS1_23onesweep_lookback_stateEbbT6_jjT7_P12ihipStream_tbENKUlT_T0_SG_SL_E_clIS7_S7_PlSB_EEDaSZ_S10_SG_SL_EUlSZ_E_NS1_11comp_targetILNS1_3genE4ELNS1_11target_archE910ELNS1_3gpuE8ELNS1_3repE0EEENS1_47radix_sort_onesweep_sort_config_static_selectorELNS0_4arch9wavefront6targetE1EEEvSG_,comdat
	.protected	_ZN7rocprim17ROCPRIM_400000_NS6detail17trampoline_kernelINS0_14default_configENS1_35radix_sort_onesweep_config_selectorIslEEZZNS1_29radix_sort_onesweep_iterationIS3_Lb0EPsS7_N6thrust23THRUST_200600_302600_NS10device_ptrIlEESB_jNS0_19identity_decomposerENS1_16block_id_wrapperIjLb0EEEEE10hipError_tT1_PNSt15iterator_traitsISG_E10value_typeET2_T3_PNSH_ISM_E10value_typeET4_T5_PSR_SS_PNS1_23onesweep_lookback_stateEbbT6_jjT7_P12ihipStream_tbENKUlT_T0_SG_SL_E_clIS7_S7_PlSB_EEDaSZ_S10_SG_SL_EUlSZ_E_NS1_11comp_targetILNS1_3genE4ELNS1_11target_archE910ELNS1_3gpuE8ELNS1_3repE0EEENS1_47radix_sort_onesweep_sort_config_static_selectorELNS0_4arch9wavefront6targetE1EEEvSG_ ; -- Begin function _ZN7rocprim17ROCPRIM_400000_NS6detail17trampoline_kernelINS0_14default_configENS1_35radix_sort_onesweep_config_selectorIslEEZZNS1_29radix_sort_onesweep_iterationIS3_Lb0EPsS7_N6thrust23THRUST_200600_302600_NS10device_ptrIlEESB_jNS0_19identity_decomposerENS1_16block_id_wrapperIjLb0EEEEE10hipError_tT1_PNSt15iterator_traitsISG_E10value_typeET2_T3_PNSH_ISM_E10value_typeET4_T5_PSR_SS_PNS1_23onesweep_lookback_stateEbbT6_jjT7_P12ihipStream_tbENKUlT_T0_SG_SL_E_clIS7_S7_PlSB_EEDaSZ_S10_SG_SL_EUlSZ_E_NS1_11comp_targetILNS1_3genE4ELNS1_11target_archE910ELNS1_3gpuE8ELNS1_3repE0EEENS1_47radix_sort_onesweep_sort_config_static_selectorELNS0_4arch9wavefront6targetE1EEEvSG_
	.globl	_ZN7rocprim17ROCPRIM_400000_NS6detail17trampoline_kernelINS0_14default_configENS1_35radix_sort_onesweep_config_selectorIslEEZZNS1_29radix_sort_onesweep_iterationIS3_Lb0EPsS7_N6thrust23THRUST_200600_302600_NS10device_ptrIlEESB_jNS0_19identity_decomposerENS1_16block_id_wrapperIjLb0EEEEE10hipError_tT1_PNSt15iterator_traitsISG_E10value_typeET2_T3_PNSH_ISM_E10value_typeET4_T5_PSR_SS_PNS1_23onesweep_lookback_stateEbbT6_jjT7_P12ihipStream_tbENKUlT_T0_SG_SL_E_clIS7_S7_PlSB_EEDaSZ_S10_SG_SL_EUlSZ_E_NS1_11comp_targetILNS1_3genE4ELNS1_11target_archE910ELNS1_3gpuE8ELNS1_3repE0EEENS1_47radix_sort_onesweep_sort_config_static_selectorELNS0_4arch9wavefront6targetE1EEEvSG_
	.p2align	8
	.type	_ZN7rocprim17ROCPRIM_400000_NS6detail17trampoline_kernelINS0_14default_configENS1_35radix_sort_onesweep_config_selectorIslEEZZNS1_29radix_sort_onesweep_iterationIS3_Lb0EPsS7_N6thrust23THRUST_200600_302600_NS10device_ptrIlEESB_jNS0_19identity_decomposerENS1_16block_id_wrapperIjLb0EEEEE10hipError_tT1_PNSt15iterator_traitsISG_E10value_typeET2_T3_PNSH_ISM_E10value_typeET4_T5_PSR_SS_PNS1_23onesweep_lookback_stateEbbT6_jjT7_P12ihipStream_tbENKUlT_T0_SG_SL_E_clIS7_S7_PlSB_EEDaSZ_S10_SG_SL_EUlSZ_E_NS1_11comp_targetILNS1_3genE4ELNS1_11target_archE910ELNS1_3gpuE8ELNS1_3repE0EEENS1_47radix_sort_onesweep_sort_config_static_selectorELNS0_4arch9wavefront6targetE1EEEvSG_,@function
_ZN7rocprim17ROCPRIM_400000_NS6detail17trampoline_kernelINS0_14default_configENS1_35radix_sort_onesweep_config_selectorIslEEZZNS1_29radix_sort_onesweep_iterationIS3_Lb0EPsS7_N6thrust23THRUST_200600_302600_NS10device_ptrIlEESB_jNS0_19identity_decomposerENS1_16block_id_wrapperIjLb0EEEEE10hipError_tT1_PNSt15iterator_traitsISG_E10value_typeET2_T3_PNSH_ISM_E10value_typeET4_T5_PSR_SS_PNS1_23onesweep_lookback_stateEbbT6_jjT7_P12ihipStream_tbENKUlT_T0_SG_SL_E_clIS7_S7_PlSB_EEDaSZ_S10_SG_SL_EUlSZ_E_NS1_11comp_targetILNS1_3genE4ELNS1_11target_archE910ELNS1_3gpuE8ELNS1_3repE0EEENS1_47radix_sort_onesweep_sort_config_static_selectorELNS0_4arch9wavefront6targetE1EEEvSG_: ; @_ZN7rocprim17ROCPRIM_400000_NS6detail17trampoline_kernelINS0_14default_configENS1_35radix_sort_onesweep_config_selectorIslEEZZNS1_29radix_sort_onesweep_iterationIS3_Lb0EPsS7_N6thrust23THRUST_200600_302600_NS10device_ptrIlEESB_jNS0_19identity_decomposerENS1_16block_id_wrapperIjLb0EEEEE10hipError_tT1_PNSt15iterator_traitsISG_E10value_typeET2_T3_PNSH_ISM_E10value_typeET4_T5_PSR_SS_PNS1_23onesweep_lookback_stateEbbT6_jjT7_P12ihipStream_tbENKUlT_T0_SG_SL_E_clIS7_S7_PlSB_EEDaSZ_S10_SG_SL_EUlSZ_E_NS1_11comp_targetILNS1_3genE4ELNS1_11target_archE910ELNS1_3gpuE8ELNS1_3repE0EEENS1_47radix_sort_onesweep_sort_config_static_selectorELNS0_4arch9wavefront6targetE1EEEvSG_
; %bb.0:
	.section	.rodata,"a",@progbits
	.p2align	6, 0x0
	.amdhsa_kernel _ZN7rocprim17ROCPRIM_400000_NS6detail17trampoline_kernelINS0_14default_configENS1_35radix_sort_onesweep_config_selectorIslEEZZNS1_29radix_sort_onesweep_iterationIS3_Lb0EPsS7_N6thrust23THRUST_200600_302600_NS10device_ptrIlEESB_jNS0_19identity_decomposerENS1_16block_id_wrapperIjLb0EEEEE10hipError_tT1_PNSt15iterator_traitsISG_E10value_typeET2_T3_PNSH_ISM_E10value_typeET4_T5_PSR_SS_PNS1_23onesweep_lookback_stateEbbT6_jjT7_P12ihipStream_tbENKUlT_T0_SG_SL_E_clIS7_S7_PlSB_EEDaSZ_S10_SG_SL_EUlSZ_E_NS1_11comp_targetILNS1_3genE4ELNS1_11target_archE910ELNS1_3gpuE8ELNS1_3repE0EEENS1_47radix_sort_onesweep_sort_config_static_selectorELNS0_4arch9wavefront6targetE1EEEvSG_
		.amdhsa_group_segment_fixed_size 0
		.amdhsa_private_segment_fixed_size 0
		.amdhsa_kernarg_size 88
		.amdhsa_user_sgpr_count 6
		.amdhsa_user_sgpr_private_segment_buffer 1
		.amdhsa_user_sgpr_dispatch_ptr 0
		.amdhsa_user_sgpr_queue_ptr 0
		.amdhsa_user_sgpr_kernarg_segment_ptr 1
		.amdhsa_user_sgpr_dispatch_id 0
		.amdhsa_user_sgpr_flat_scratch_init 0
		.amdhsa_user_sgpr_private_segment_size 0
		.amdhsa_uses_dynamic_stack 0
		.amdhsa_system_sgpr_private_segment_wavefront_offset 0
		.amdhsa_system_sgpr_workgroup_id_x 1
		.amdhsa_system_sgpr_workgroup_id_y 0
		.amdhsa_system_sgpr_workgroup_id_z 0
		.amdhsa_system_sgpr_workgroup_info 0
		.amdhsa_system_vgpr_workitem_id 0
		.amdhsa_next_free_vgpr 1
		.amdhsa_next_free_sgpr 0
		.amdhsa_reserve_vcc 0
		.amdhsa_reserve_flat_scratch 0
		.amdhsa_float_round_mode_32 0
		.amdhsa_float_round_mode_16_64 0
		.amdhsa_float_denorm_mode_32 3
		.amdhsa_float_denorm_mode_16_64 3
		.amdhsa_dx10_clamp 1
		.amdhsa_ieee_mode 1
		.amdhsa_fp16_overflow 0
		.amdhsa_exception_fp_ieee_invalid_op 0
		.amdhsa_exception_fp_denorm_src 0
		.amdhsa_exception_fp_ieee_div_zero 0
		.amdhsa_exception_fp_ieee_overflow 0
		.amdhsa_exception_fp_ieee_underflow 0
		.amdhsa_exception_fp_ieee_inexact 0
		.amdhsa_exception_int_div_zero 0
	.end_amdhsa_kernel
	.section	.text._ZN7rocprim17ROCPRIM_400000_NS6detail17trampoline_kernelINS0_14default_configENS1_35radix_sort_onesweep_config_selectorIslEEZZNS1_29radix_sort_onesweep_iterationIS3_Lb0EPsS7_N6thrust23THRUST_200600_302600_NS10device_ptrIlEESB_jNS0_19identity_decomposerENS1_16block_id_wrapperIjLb0EEEEE10hipError_tT1_PNSt15iterator_traitsISG_E10value_typeET2_T3_PNSH_ISM_E10value_typeET4_T5_PSR_SS_PNS1_23onesweep_lookback_stateEbbT6_jjT7_P12ihipStream_tbENKUlT_T0_SG_SL_E_clIS7_S7_PlSB_EEDaSZ_S10_SG_SL_EUlSZ_E_NS1_11comp_targetILNS1_3genE4ELNS1_11target_archE910ELNS1_3gpuE8ELNS1_3repE0EEENS1_47radix_sort_onesweep_sort_config_static_selectorELNS0_4arch9wavefront6targetE1EEEvSG_,"axG",@progbits,_ZN7rocprim17ROCPRIM_400000_NS6detail17trampoline_kernelINS0_14default_configENS1_35radix_sort_onesweep_config_selectorIslEEZZNS1_29radix_sort_onesweep_iterationIS3_Lb0EPsS7_N6thrust23THRUST_200600_302600_NS10device_ptrIlEESB_jNS0_19identity_decomposerENS1_16block_id_wrapperIjLb0EEEEE10hipError_tT1_PNSt15iterator_traitsISG_E10value_typeET2_T3_PNSH_ISM_E10value_typeET4_T5_PSR_SS_PNS1_23onesweep_lookback_stateEbbT6_jjT7_P12ihipStream_tbENKUlT_T0_SG_SL_E_clIS7_S7_PlSB_EEDaSZ_S10_SG_SL_EUlSZ_E_NS1_11comp_targetILNS1_3genE4ELNS1_11target_archE910ELNS1_3gpuE8ELNS1_3repE0EEENS1_47radix_sort_onesweep_sort_config_static_selectorELNS0_4arch9wavefront6targetE1EEEvSG_,comdat
.Lfunc_end1447:
	.size	_ZN7rocprim17ROCPRIM_400000_NS6detail17trampoline_kernelINS0_14default_configENS1_35radix_sort_onesweep_config_selectorIslEEZZNS1_29radix_sort_onesweep_iterationIS3_Lb0EPsS7_N6thrust23THRUST_200600_302600_NS10device_ptrIlEESB_jNS0_19identity_decomposerENS1_16block_id_wrapperIjLb0EEEEE10hipError_tT1_PNSt15iterator_traitsISG_E10value_typeET2_T3_PNSH_ISM_E10value_typeET4_T5_PSR_SS_PNS1_23onesweep_lookback_stateEbbT6_jjT7_P12ihipStream_tbENKUlT_T0_SG_SL_E_clIS7_S7_PlSB_EEDaSZ_S10_SG_SL_EUlSZ_E_NS1_11comp_targetILNS1_3genE4ELNS1_11target_archE910ELNS1_3gpuE8ELNS1_3repE0EEENS1_47radix_sort_onesweep_sort_config_static_selectorELNS0_4arch9wavefront6targetE1EEEvSG_, .Lfunc_end1447-_ZN7rocprim17ROCPRIM_400000_NS6detail17trampoline_kernelINS0_14default_configENS1_35radix_sort_onesweep_config_selectorIslEEZZNS1_29radix_sort_onesweep_iterationIS3_Lb0EPsS7_N6thrust23THRUST_200600_302600_NS10device_ptrIlEESB_jNS0_19identity_decomposerENS1_16block_id_wrapperIjLb0EEEEE10hipError_tT1_PNSt15iterator_traitsISG_E10value_typeET2_T3_PNSH_ISM_E10value_typeET4_T5_PSR_SS_PNS1_23onesweep_lookback_stateEbbT6_jjT7_P12ihipStream_tbENKUlT_T0_SG_SL_E_clIS7_S7_PlSB_EEDaSZ_S10_SG_SL_EUlSZ_E_NS1_11comp_targetILNS1_3genE4ELNS1_11target_archE910ELNS1_3gpuE8ELNS1_3repE0EEENS1_47radix_sort_onesweep_sort_config_static_selectorELNS0_4arch9wavefront6targetE1EEEvSG_
                                        ; -- End function
	.set _ZN7rocprim17ROCPRIM_400000_NS6detail17trampoline_kernelINS0_14default_configENS1_35radix_sort_onesweep_config_selectorIslEEZZNS1_29radix_sort_onesweep_iterationIS3_Lb0EPsS7_N6thrust23THRUST_200600_302600_NS10device_ptrIlEESB_jNS0_19identity_decomposerENS1_16block_id_wrapperIjLb0EEEEE10hipError_tT1_PNSt15iterator_traitsISG_E10value_typeET2_T3_PNSH_ISM_E10value_typeET4_T5_PSR_SS_PNS1_23onesweep_lookback_stateEbbT6_jjT7_P12ihipStream_tbENKUlT_T0_SG_SL_E_clIS7_S7_PlSB_EEDaSZ_S10_SG_SL_EUlSZ_E_NS1_11comp_targetILNS1_3genE4ELNS1_11target_archE910ELNS1_3gpuE8ELNS1_3repE0EEENS1_47radix_sort_onesweep_sort_config_static_selectorELNS0_4arch9wavefront6targetE1EEEvSG_.num_vgpr, 0
	.set _ZN7rocprim17ROCPRIM_400000_NS6detail17trampoline_kernelINS0_14default_configENS1_35radix_sort_onesweep_config_selectorIslEEZZNS1_29radix_sort_onesweep_iterationIS3_Lb0EPsS7_N6thrust23THRUST_200600_302600_NS10device_ptrIlEESB_jNS0_19identity_decomposerENS1_16block_id_wrapperIjLb0EEEEE10hipError_tT1_PNSt15iterator_traitsISG_E10value_typeET2_T3_PNSH_ISM_E10value_typeET4_T5_PSR_SS_PNS1_23onesweep_lookback_stateEbbT6_jjT7_P12ihipStream_tbENKUlT_T0_SG_SL_E_clIS7_S7_PlSB_EEDaSZ_S10_SG_SL_EUlSZ_E_NS1_11comp_targetILNS1_3genE4ELNS1_11target_archE910ELNS1_3gpuE8ELNS1_3repE0EEENS1_47radix_sort_onesweep_sort_config_static_selectorELNS0_4arch9wavefront6targetE1EEEvSG_.num_agpr, 0
	.set _ZN7rocprim17ROCPRIM_400000_NS6detail17trampoline_kernelINS0_14default_configENS1_35radix_sort_onesweep_config_selectorIslEEZZNS1_29radix_sort_onesweep_iterationIS3_Lb0EPsS7_N6thrust23THRUST_200600_302600_NS10device_ptrIlEESB_jNS0_19identity_decomposerENS1_16block_id_wrapperIjLb0EEEEE10hipError_tT1_PNSt15iterator_traitsISG_E10value_typeET2_T3_PNSH_ISM_E10value_typeET4_T5_PSR_SS_PNS1_23onesweep_lookback_stateEbbT6_jjT7_P12ihipStream_tbENKUlT_T0_SG_SL_E_clIS7_S7_PlSB_EEDaSZ_S10_SG_SL_EUlSZ_E_NS1_11comp_targetILNS1_3genE4ELNS1_11target_archE910ELNS1_3gpuE8ELNS1_3repE0EEENS1_47radix_sort_onesweep_sort_config_static_selectorELNS0_4arch9wavefront6targetE1EEEvSG_.numbered_sgpr, 0
	.set _ZN7rocprim17ROCPRIM_400000_NS6detail17trampoline_kernelINS0_14default_configENS1_35radix_sort_onesweep_config_selectorIslEEZZNS1_29radix_sort_onesweep_iterationIS3_Lb0EPsS7_N6thrust23THRUST_200600_302600_NS10device_ptrIlEESB_jNS0_19identity_decomposerENS1_16block_id_wrapperIjLb0EEEEE10hipError_tT1_PNSt15iterator_traitsISG_E10value_typeET2_T3_PNSH_ISM_E10value_typeET4_T5_PSR_SS_PNS1_23onesweep_lookback_stateEbbT6_jjT7_P12ihipStream_tbENKUlT_T0_SG_SL_E_clIS7_S7_PlSB_EEDaSZ_S10_SG_SL_EUlSZ_E_NS1_11comp_targetILNS1_3genE4ELNS1_11target_archE910ELNS1_3gpuE8ELNS1_3repE0EEENS1_47radix_sort_onesweep_sort_config_static_selectorELNS0_4arch9wavefront6targetE1EEEvSG_.num_named_barrier, 0
	.set _ZN7rocprim17ROCPRIM_400000_NS6detail17trampoline_kernelINS0_14default_configENS1_35radix_sort_onesweep_config_selectorIslEEZZNS1_29radix_sort_onesweep_iterationIS3_Lb0EPsS7_N6thrust23THRUST_200600_302600_NS10device_ptrIlEESB_jNS0_19identity_decomposerENS1_16block_id_wrapperIjLb0EEEEE10hipError_tT1_PNSt15iterator_traitsISG_E10value_typeET2_T3_PNSH_ISM_E10value_typeET4_T5_PSR_SS_PNS1_23onesweep_lookback_stateEbbT6_jjT7_P12ihipStream_tbENKUlT_T0_SG_SL_E_clIS7_S7_PlSB_EEDaSZ_S10_SG_SL_EUlSZ_E_NS1_11comp_targetILNS1_3genE4ELNS1_11target_archE910ELNS1_3gpuE8ELNS1_3repE0EEENS1_47radix_sort_onesweep_sort_config_static_selectorELNS0_4arch9wavefront6targetE1EEEvSG_.private_seg_size, 0
	.set _ZN7rocprim17ROCPRIM_400000_NS6detail17trampoline_kernelINS0_14default_configENS1_35radix_sort_onesweep_config_selectorIslEEZZNS1_29radix_sort_onesweep_iterationIS3_Lb0EPsS7_N6thrust23THRUST_200600_302600_NS10device_ptrIlEESB_jNS0_19identity_decomposerENS1_16block_id_wrapperIjLb0EEEEE10hipError_tT1_PNSt15iterator_traitsISG_E10value_typeET2_T3_PNSH_ISM_E10value_typeET4_T5_PSR_SS_PNS1_23onesweep_lookback_stateEbbT6_jjT7_P12ihipStream_tbENKUlT_T0_SG_SL_E_clIS7_S7_PlSB_EEDaSZ_S10_SG_SL_EUlSZ_E_NS1_11comp_targetILNS1_3genE4ELNS1_11target_archE910ELNS1_3gpuE8ELNS1_3repE0EEENS1_47radix_sort_onesweep_sort_config_static_selectorELNS0_4arch9wavefront6targetE1EEEvSG_.uses_vcc, 0
	.set _ZN7rocprim17ROCPRIM_400000_NS6detail17trampoline_kernelINS0_14default_configENS1_35radix_sort_onesweep_config_selectorIslEEZZNS1_29radix_sort_onesweep_iterationIS3_Lb0EPsS7_N6thrust23THRUST_200600_302600_NS10device_ptrIlEESB_jNS0_19identity_decomposerENS1_16block_id_wrapperIjLb0EEEEE10hipError_tT1_PNSt15iterator_traitsISG_E10value_typeET2_T3_PNSH_ISM_E10value_typeET4_T5_PSR_SS_PNS1_23onesweep_lookback_stateEbbT6_jjT7_P12ihipStream_tbENKUlT_T0_SG_SL_E_clIS7_S7_PlSB_EEDaSZ_S10_SG_SL_EUlSZ_E_NS1_11comp_targetILNS1_3genE4ELNS1_11target_archE910ELNS1_3gpuE8ELNS1_3repE0EEENS1_47radix_sort_onesweep_sort_config_static_selectorELNS0_4arch9wavefront6targetE1EEEvSG_.uses_flat_scratch, 0
	.set _ZN7rocprim17ROCPRIM_400000_NS6detail17trampoline_kernelINS0_14default_configENS1_35radix_sort_onesweep_config_selectorIslEEZZNS1_29radix_sort_onesweep_iterationIS3_Lb0EPsS7_N6thrust23THRUST_200600_302600_NS10device_ptrIlEESB_jNS0_19identity_decomposerENS1_16block_id_wrapperIjLb0EEEEE10hipError_tT1_PNSt15iterator_traitsISG_E10value_typeET2_T3_PNSH_ISM_E10value_typeET4_T5_PSR_SS_PNS1_23onesweep_lookback_stateEbbT6_jjT7_P12ihipStream_tbENKUlT_T0_SG_SL_E_clIS7_S7_PlSB_EEDaSZ_S10_SG_SL_EUlSZ_E_NS1_11comp_targetILNS1_3genE4ELNS1_11target_archE910ELNS1_3gpuE8ELNS1_3repE0EEENS1_47radix_sort_onesweep_sort_config_static_selectorELNS0_4arch9wavefront6targetE1EEEvSG_.has_dyn_sized_stack, 0
	.set _ZN7rocprim17ROCPRIM_400000_NS6detail17trampoline_kernelINS0_14default_configENS1_35radix_sort_onesweep_config_selectorIslEEZZNS1_29radix_sort_onesweep_iterationIS3_Lb0EPsS7_N6thrust23THRUST_200600_302600_NS10device_ptrIlEESB_jNS0_19identity_decomposerENS1_16block_id_wrapperIjLb0EEEEE10hipError_tT1_PNSt15iterator_traitsISG_E10value_typeET2_T3_PNSH_ISM_E10value_typeET4_T5_PSR_SS_PNS1_23onesweep_lookback_stateEbbT6_jjT7_P12ihipStream_tbENKUlT_T0_SG_SL_E_clIS7_S7_PlSB_EEDaSZ_S10_SG_SL_EUlSZ_E_NS1_11comp_targetILNS1_3genE4ELNS1_11target_archE910ELNS1_3gpuE8ELNS1_3repE0EEENS1_47radix_sort_onesweep_sort_config_static_selectorELNS0_4arch9wavefront6targetE1EEEvSG_.has_recursion, 0
	.set _ZN7rocprim17ROCPRIM_400000_NS6detail17trampoline_kernelINS0_14default_configENS1_35radix_sort_onesweep_config_selectorIslEEZZNS1_29radix_sort_onesweep_iterationIS3_Lb0EPsS7_N6thrust23THRUST_200600_302600_NS10device_ptrIlEESB_jNS0_19identity_decomposerENS1_16block_id_wrapperIjLb0EEEEE10hipError_tT1_PNSt15iterator_traitsISG_E10value_typeET2_T3_PNSH_ISM_E10value_typeET4_T5_PSR_SS_PNS1_23onesweep_lookback_stateEbbT6_jjT7_P12ihipStream_tbENKUlT_T0_SG_SL_E_clIS7_S7_PlSB_EEDaSZ_S10_SG_SL_EUlSZ_E_NS1_11comp_targetILNS1_3genE4ELNS1_11target_archE910ELNS1_3gpuE8ELNS1_3repE0EEENS1_47radix_sort_onesweep_sort_config_static_selectorELNS0_4arch9wavefront6targetE1EEEvSG_.has_indirect_call, 0
	.section	.AMDGPU.csdata,"",@progbits
; Kernel info:
; codeLenInByte = 0
; TotalNumSgprs: 4
; NumVgprs: 0
; ScratchSize: 0
; MemoryBound: 0
; FloatMode: 240
; IeeeMode: 1
; LDSByteSize: 0 bytes/workgroup (compile time only)
; SGPRBlocks: 0
; VGPRBlocks: 0
; NumSGPRsForWavesPerEU: 4
; NumVGPRsForWavesPerEU: 1
; Occupancy: 10
; WaveLimiterHint : 0
; COMPUTE_PGM_RSRC2:SCRATCH_EN: 0
; COMPUTE_PGM_RSRC2:USER_SGPR: 6
; COMPUTE_PGM_RSRC2:TRAP_HANDLER: 0
; COMPUTE_PGM_RSRC2:TGID_X_EN: 1
; COMPUTE_PGM_RSRC2:TGID_Y_EN: 0
; COMPUTE_PGM_RSRC2:TGID_Z_EN: 0
; COMPUTE_PGM_RSRC2:TIDIG_COMP_CNT: 0
	.section	.text._ZN7rocprim17ROCPRIM_400000_NS6detail17trampoline_kernelINS0_14default_configENS1_35radix_sort_onesweep_config_selectorIslEEZZNS1_29radix_sort_onesweep_iterationIS3_Lb0EPsS7_N6thrust23THRUST_200600_302600_NS10device_ptrIlEESB_jNS0_19identity_decomposerENS1_16block_id_wrapperIjLb0EEEEE10hipError_tT1_PNSt15iterator_traitsISG_E10value_typeET2_T3_PNSH_ISM_E10value_typeET4_T5_PSR_SS_PNS1_23onesweep_lookback_stateEbbT6_jjT7_P12ihipStream_tbENKUlT_T0_SG_SL_E_clIS7_S7_PlSB_EEDaSZ_S10_SG_SL_EUlSZ_E_NS1_11comp_targetILNS1_3genE3ELNS1_11target_archE908ELNS1_3gpuE7ELNS1_3repE0EEENS1_47radix_sort_onesweep_sort_config_static_selectorELNS0_4arch9wavefront6targetE1EEEvSG_,"axG",@progbits,_ZN7rocprim17ROCPRIM_400000_NS6detail17trampoline_kernelINS0_14default_configENS1_35radix_sort_onesweep_config_selectorIslEEZZNS1_29radix_sort_onesweep_iterationIS3_Lb0EPsS7_N6thrust23THRUST_200600_302600_NS10device_ptrIlEESB_jNS0_19identity_decomposerENS1_16block_id_wrapperIjLb0EEEEE10hipError_tT1_PNSt15iterator_traitsISG_E10value_typeET2_T3_PNSH_ISM_E10value_typeET4_T5_PSR_SS_PNS1_23onesweep_lookback_stateEbbT6_jjT7_P12ihipStream_tbENKUlT_T0_SG_SL_E_clIS7_S7_PlSB_EEDaSZ_S10_SG_SL_EUlSZ_E_NS1_11comp_targetILNS1_3genE3ELNS1_11target_archE908ELNS1_3gpuE7ELNS1_3repE0EEENS1_47radix_sort_onesweep_sort_config_static_selectorELNS0_4arch9wavefront6targetE1EEEvSG_,comdat
	.protected	_ZN7rocprim17ROCPRIM_400000_NS6detail17trampoline_kernelINS0_14default_configENS1_35radix_sort_onesweep_config_selectorIslEEZZNS1_29radix_sort_onesweep_iterationIS3_Lb0EPsS7_N6thrust23THRUST_200600_302600_NS10device_ptrIlEESB_jNS0_19identity_decomposerENS1_16block_id_wrapperIjLb0EEEEE10hipError_tT1_PNSt15iterator_traitsISG_E10value_typeET2_T3_PNSH_ISM_E10value_typeET4_T5_PSR_SS_PNS1_23onesweep_lookback_stateEbbT6_jjT7_P12ihipStream_tbENKUlT_T0_SG_SL_E_clIS7_S7_PlSB_EEDaSZ_S10_SG_SL_EUlSZ_E_NS1_11comp_targetILNS1_3genE3ELNS1_11target_archE908ELNS1_3gpuE7ELNS1_3repE0EEENS1_47radix_sort_onesweep_sort_config_static_selectorELNS0_4arch9wavefront6targetE1EEEvSG_ ; -- Begin function _ZN7rocprim17ROCPRIM_400000_NS6detail17trampoline_kernelINS0_14default_configENS1_35radix_sort_onesweep_config_selectorIslEEZZNS1_29radix_sort_onesweep_iterationIS3_Lb0EPsS7_N6thrust23THRUST_200600_302600_NS10device_ptrIlEESB_jNS0_19identity_decomposerENS1_16block_id_wrapperIjLb0EEEEE10hipError_tT1_PNSt15iterator_traitsISG_E10value_typeET2_T3_PNSH_ISM_E10value_typeET4_T5_PSR_SS_PNS1_23onesweep_lookback_stateEbbT6_jjT7_P12ihipStream_tbENKUlT_T0_SG_SL_E_clIS7_S7_PlSB_EEDaSZ_S10_SG_SL_EUlSZ_E_NS1_11comp_targetILNS1_3genE3ELNS1_11target_archE908ELNS1_3gpuE7ELNS1_3repE0EEENS1_47radix_sort_onesweep_sort_config_static_selectorELNS0_4arch9wavefront6targetE1EEEvSG_
	.globl	_ZN7rocprim17ROCPRIM_400000_NS6detail17trampoline_kernelINS0_14default_configENS1_35radix_sort_onesweep_config_selectorIslEEZZNS1_29radix_sort_onesweep_iterationIS3_Lb0EPsS7_N6thrust23THRUST_200600_302600_NS10device_ptrIlEESB_jNS0_19identity_decomposerENS1_16block_id_wrapperIjLb0EEEEE10hipError_tT1_PNSt15iterator_traitsISG_E10value_typeET2_T3_PNSH_ISM_E10value_typeET4_T5_PSR_SS_PNS1_23onesweep_lookback_stateEbbT6_jjT7_P12ihipStream_tbENKUlT_T0_SG_SL_E_clIS7_S7_PlSB_EEDaSZ_S10_SG_SL_EUlSZ_E_NS1_11comp_targetILNS1_3genE3ELNS1_11target_archE908ELNS1_3gpuE7ELNS1_3repE0EEENS1_47radix_sort_onesweep_sort_config_static_selectorELNS0_4arch9wavefront6targetE1EEEvSG_
	.p2align	8
	.type	_ZN7rocprim17ROCPRIM_400000_NS6detail17trampoline_kernelINS0_14default_configENS1_35radix_sort_onesweep_config_selectorIslEEZZNS1_29radix_sort_onesweep_iterationIS3_Lb0EPsS7_N6thrust23THRUST_200600_302600_NS10device_ptrIlEESB_jNS0_19identity_decomposerENS1_16block_id_wrapperIjLb0EEEEE10hipError_tT1_PNSt15iterator_traitsISG_E10value_typeET2_T3_PNSH_ISM_E10value_typeET4_T5_PSR_SS_PNS1_23onesweep_lookback_stateEbbT6_jjT7_P12ihipStream_tbENKUlT_T0_SG_SL_E_clIS7_S7_PlSB_EEDaSZ_S10_SG_SL_EUlSZ_E_NS1_11comp_targetILNS1_3genE3ELNS1_11target_archE908ELNS1_3gpuE7ELNS1_3repE0EEENS1_47radix_sort_onesweep_sort_config_static_selectorELNS0_4arch9wavefront6targetE1EEEvSG_,@function
_ZN7rocprim17ROCPRIM_400000_NS6detail17trampoline_kernelINS0_14default_configENS1_35radix_sort_onesweep_config_selectorIslEEZZNS1_29radix_sort_onesweep_iterationIS3_Lb0EPsS7_N6thrust23THRUST_200600_302600_NS10device_ptrIlEESB_jNS0_19identity_decomposerENS1_16block_id_wrapperIjLb0EEEEE10hipError_tT1_PNSt15iterator_traitsISG_E10value_typeET2_T3_PNSH_ISM_E10value_typeET4_T5_PSR_SS_PNS1_23onesweep_lookback_stateEbbT6_jjT7_P12ihipStream_tbENKUlT_T0_SG_SL_E_clIS7_S7_PlSB_EEDaSZ_S10_SG_SL_EUlSZ_E_NS1_11comp_targetILNS1_3genE3ELNS1_11target_archE908ELNS1_3gpuE7ELNS1_3repE0EEENS1_47radix_sort_onesweep_sort_config_static_selectorELNS0_4arch9wavefront6targetE1EEEvSG_: ; @_ZN7rocprim17ROCPRIM_400000_NS6detail17trampoline_kernelINS0_14default_configENS1_35radix_sort_onesweep_config_selectorIslEEZZNS1_29radix_sort_onesweep_iterationIS3_Lb0EPsS7_N6thrust23THRUST_200600_302600_NS10device_ptrIlEESB_jNS0_19identity_decomposerENS1_16block_id_wrapperIjLb0EEEEE10hipError_tT1_PNSt15iterator_traitsISG_E10value_typeET2_T3_PNSH_ISM_E10value_typeET4_T5_PSR_SS_PNS1_23onesweep_lookback_stateEbbT6_jjT7_P12ihipStream_tbENKUlT_T0_SG_SL_E_clIS7_S7_PlSB_EEDaSZ_S10_SG_SL_EUlSZ_E_NS1_11comp_targetILNS1_3genE3ELNS1_11target_archE908ELNS1_3gpuE7ELNS1_3repE0EEENS1_47radix_sort_onesweep_sort_config_static_selectorELNS0_4arch9wavefront6targetE1EEEvSG_
; %bb.0:
	.section	.rodata,"a",@progbits
	.p2align	6, 0x0
	.amdhsa_kernel _ZN7rocprim17ROCPRIM_400000_NS6detail17trampoline_kernelINS0_14default_configENS1_35radix_sort_onesweep_config_selectorIslEEZZNS1_29radix_sort_onesweep_iterationIS3_Lb0EPsS7_N6thrust23THRUST_200600_302600_NS10device_ptrIlEESB_jNS0_19identity_decomposerENS1_16block_id_wrapperIjLb0EEEEE10hipError_tT1_PNSt15iterator_traitsISG_E10value_typeET2_T3_PNSH_ISM_E10value_typeET4_T5_PSR_SS_PNS1_23onesweep_lookback_stateEbbT6_jjT7_P12ihipStream_tbENKUlT_T0_SG_SL_E_clIS7_S7_PlSB_EEDaSZ_S10_SG_SL_EUlSZ_E_NS1_11comp_targetILNS1_3genE3ELNS1_11target_archE908ELNS1_3gpuE7ELNS1_3repE0EEENS1_47radix_sort_onesweep_sort_config_static_selectorELNS0_4arch9wavefront6targetE1EEEvSG_
		.amdhsa_group_segment_fixed_size 0
		.amdhsa_private_segment_fixed_size 0
		.amdhsa_kernarg_size 88
		.amdhsa_user_sgpr_count 6
		.amdhsa_user_sgpr_private_segment_buffer 1
		.amdhsa_user_sgpr_dispatch_ptr 0
		.amdhsa_user_sgpr_queue_ptr 0
		.amdhsa_user_sgpr_kernarg_segment_ptr 1
		.amdhsa_user_sgpr_dispatch_id 0
		.amdhsa_user_sgpr_flat_scratch_init 0
		.amdhsa_user_sgpr_private_segment_size 0
		.amdhsa_uses_dynamic_stack 0
		.amdhsa_system_sgpr_private_segment_wavefront_offset 0
		.amdhsa_system_sgpr_workgroup_id_x 1
		.amdhsa_system_sgpr_workgroup_id_y 0
		.amdhsa_system_sgpr_workgroup_id_z 0
		.amdhsa_system_sgpr_workgroup_info 0
		.amdhsa_system_vgpr_workitem_id 0
		.amdhsa_next_free_vgpr 1
		.amdhsa_next_free_sgpr 0
		.amdhsa_reserve_vcc 0
		.amdhsa_reserve_flat_scratch 0
		.amdhsa_float_round_mode_32 0
		.amdhsa_float_round_mode_16_64 0
		.amdhsa_float_denorm_mode_32 3
		.amdhsa_float_denorm_mode_16_64 3
		.amdhsa_dx10_clamp 1
		.amdhsa_ieee_mode 1
		.amdhsa_fp16_overflow 0
		.amdhsa_exception_fp_ieee_invalid_op 0
		.amdhsa_exception_fp_denorm_src 0
		.amdhsa_exception_fp_ieee_div_zero 0
		.amdhsa_exception_fp_ieee_overflow 0
		.amdhsa_exception_fp_ieee_underflow 0
		.amdhsa_exception_fp_ieee_inexact 0
		.amdhsa_exception_int_div_zero 0
	.end_amdhsa_kernel
	.section	.text._ZN7rocprim17ROCPRIM_400000_NS6detail17trampoline_kernelINS0_14default_configENS1_35radix_sort_onesweep_config_selectorIslEEZZNS1_29radix_sort_onesweep_iterationIS3_Lb0EPsS7_N6thrust23THRUST_200600_302600_NS10device_ptrIlEESB_jNS0_19identity_decomposerENS1_16block_id_wrapperIjLb0EEEEE10hipError_tT1_PNSt15iterator_traitsISG_E10value_typeET2_T3_PNSH_ISM_E10value_typeET4_T5_PSR_SS_PNS1_23onesweep_lookback_stateEbbT6_jjT7_P12ihipStream_tbENKUlT_T0_SG_SL_E_clIS7_S7_PlSB_EEDaSZ_S10_SG_SL_EUlSZ_E_NS1_11comp_targetILNS1_3genE3ELNS1_11target_archE908ELNS1_3gpuE7ELNS1_3repE0EEENS1_47radix_sort_onesweep_sort_config_static_selectorELNS0_4arch9wavefront6targetE1EEEvSG_,"axG",@progbits,_ZN7rocprim17ROCPRIM_400000_NS6detail17trampoline_kernelINS0_14default_configENS1_35radix_sort_onesweep_config_selectorIslEEZZNS1_29radix_sort_onesweep_iterationIS3_Lb0EPsS7_N6thrust23THRUST_200600_302600_NS10device_ptrIlEESB_jNS0_19identity_decomposerENS1_16block_id_wrapperIjLb0EEEEE10hipError_tT1_PNSt15iterator_traitsISG_E10value_typeET2_T3_PNSH_ISM_E10value_typeET4_T5_PSR_SS_PNS1_23onesweep_lookback_stateEbbT6_jjT7_P12ihipStream_tbENKUlT_T0_SG_SL_E_clIS7_S7_PlSB_EEDaSZ_S10_SG_SL_EUlSZ_E_NS1_11comp_targetILNS1_3genE3ELNS1_11target_archE908ELNS1_3gpuE7ELNS1_3repE0EEENS1_47radix_sort_onesweep_sort_config_static_selectorELNS0_4arch9wavefront6targetE1EEEvSG_,comdat
.Lfunc_end1448:
	.size	_ZN7rocprim17ROCPRIM_400000_NS6detail17trampoline_kernelINS0_14default_configENS1_35radix_sort_onesweep_config_selectorIslEEZZNS1_29radix_sort_onesweep_iterationIS3_Lb0EPsS7_N6thrust23THRUST_200600_302600_NS10device_ptrIlEESB_jNS0_19identity_decomposerENS1_16block_id_wrapperIjLb0EEEEE10hipError_tT1_PNSt15iterator_traitsISG_E10value_typeET2_T3_PNSH_ISM_E10value_typeET4_T5_PSR_SS_PNS1_23onesweep_lookback_stateEbbT6_jjT7_P12ihipStream_tbENKUlT_T0_SG_SL_E_clIS7_S7_PlSB_EEDaSZ_S10_SG_SL_EUlSZ_E_NS1_11comp_targetILNS1_3genE3ELNS1_11target_archE908ELNS1_3gpuE7ELNS1_3repE0EEENS1_47radix_sort_onesweep_sort_config_static_selectorELNS0_4arch9wavefront6targetE1EEEvSG_, .Lfunc_end1448-_ZN7rocprim17ROCPRIM_400000_NS6detail17trampoline_kernelINS0_14default_configENS1_35radix_sort_onesweep_config_selectorIslEEZZNS1_29radix_sort_onesweep_iterationIS3_Lb0EPsS7_N6thrust23THRUST_200600_302600_NS10device_ptrIlEESB_jNS0_19identity_decomposerENS1_16block_id_wrapperIjLb0EEEEE10hipError_tT1_PNSt15iterator_traitsISG_E10value_typeET2_T3_PNSH_ISM_E10value_typeET4_T5_PSR_SS_PNS1_23onesweep_lookback_stateEbbT6_jjT7_P12ihipStream_tbENKUlT_T0_SG_SL_E_clIS7_S7_PlSB_EEDaSZ_S10_SG_SL_EUlSZ_E_NS1_11comp_targetILNS1_3genE3ELNS1_11target_archE908ELNS1_3gpuE7ELNS1_3repE0EEENS1_47radix_sort_onesweep_sort_config_static_selectorELNS0_4arch9wavefront6targetE1EEEvSG_
                                        ; -- End function
	.set _ZN7rocprim17ROCPRIM_400000_NS6detail17trampoline_kernelINS0_14default_configENS1_35radix_sort_onesweep_config_selectorIslEEZZNS1_29radix_sort_onesweep_iterationIS3_Lb0EPsS7_N6thrust23THRUST_200600_302600_NS10device_ptrIlEESB_jNS0_19identity_decomposerENS1_16block_id_wrapperIjLb0EEEEE10hipError_tT1_PNSt15iterator_traitsISG_E10value_typeET2_T3_PNSH_ISM_E10value_typeET4_T5_PSR_SS_PNS1_23onesweep_lookback_stateEbbT6_jjT7_P12ihipStream_tbENKUlT_T0_SG_SL_E_clIS7_S7_PlSB_EEDaSZ_S10_SG_SL_EUlSZ_E_NS1_11comp_targetILNS1_3genE3ELNS1_11target_archE908ELNS1_3gpuE7ELNS1_3repE0EEENS1_47radix_sort_onesweep_sort_config_static_selectorELNS0_4arch9wavefront6targetE1EEEvSG_.num_vgpr, 0
	.set _ZN7rocprim17ROCPRIM_400000_NS6detail17trampoline_kernelINS0_14default_configENS1_35radix_sort_onesweep_config_selectorIslEEZZNS1_29radix_sort_onesweep_iterationIS3_Lb0EPsS7_N6thrust23THRUST_200600_302600_NS10device_ptrIlEESB_jNS0_19identity_decomposerENS1_16block_id_wrapperIjLb0EEEEE10hipError_tT1_PNSt15iterator_traitsISG_E10value_typeET2_T3_PNSH_ISM_E10value_typeET4_T5_PSR_SS_PNS1_23onesweep_lookback_stateEbbT6_jjT7_P12ihipStream_tbENKUlT_T0_SG_SL_E_clIS7_S7_PlSB_EEDaSZ_S10_SG_SL_EUlSZ_E_NS1_11comp_targetILNS1_3genE3ELNS1_11target_archE908ELNS1_3gpuE7ELNS1_3repE0EEENS1_47radix_sort_onesweep_sort_config_static_selectorELNS0_4arch9wavefront6targetE1EEEvSG_.num_agpr, 0
	.set _ZN7rocprim17ROCPRIM_400000_NS6detail17trampoline_kernelINS0_14default_configENS1_35radix_sort_onesweep_config_selectorIslEEZZNS1_29radix_sort_onesweep_iterationIS3_Lb0EPsS7_N6thrust23THRUST_200600_302600_NS10device_ptrIlEESB_jNS0_19identity_decomposerENS1_16block_id_wrapperIjLb0EEEEE10hipError_tT1_PNSt15iterator_traitsISG_E10value_typeET2_T3_PNSH_ISM_E10value_typeET4_T5_PSR_SS_PNS1_23onesweep_lookback_stateEbbT6_jjT7_P12ihipStream_tbENKUlT_T0_SG_SL_E_clIS7_S7_PlSB_EEDaSZ_S10_SG_SL_EUlSZ_E_NS1_11comp_targetILNS1_3genE3ELNS1_11target_archE908ELNS1_3gpuE7ELNS1_3repE0EEENS1_47radix_sort_onesweep_sort_config_static_selectorELNS0_4arch9wavefront6targetE1EEEvSG_.numbered_sgpr, 0
	.set _ZN7rocprim17ROCPRIM_400000_NS6detail17trampoline_kernelINS0_14default_configENS1_35radix_sort_onesweep_config_selectorIslEEZZNS1_29radix_sort_onesweep_iterationIS3_Lb0EPsS7_N6thrust23THRUST_200600_302600_NS10device_ptrIlEESB_jNS0_19identity_decomposerENS1_16block_id_wrapperIjLb0EEEEE10hipError_tT1_PNSt15iterator_traitsISG_E10value_typeET2_T3_PNSH_ISM_E10value_typeET4_T5_PSR_SS_PNS1_23onesweep_lookback_stateEbbT6_jjT7_P12ihipStream_tbENKUlT_T0_SG_SL_E_clIS7_S7_PlSB_EEDaSZ_S10_SG_SL_EUlSZ_E_NS1_11comp_targetILNS1_3genE3ELNS1_11target_archE908ELNS1_3gpuE7ELNS1_3repE0EEENS1_47radix_sort_onesweep_sort_config_static_selectorELNS0_4arch9wavefront6targetE1EEEvSG_.num_named_barrier, 0
	.set _ZN7rocprim17ROCPRIM_400000_NS6detail17trampoline_kernelINS0_14default_configENS1_35radix_sort_onesweep_config_selectorIslEEZZNS1_29radix_sort_onesweep_iterationIS3_Lb0EPsS7_N6thrust23THRUST_200600_302600_NS10device_ptrIlEESB_jNS0_19identity_decomposerENS1_16block_id_wrapperIjLb0EEEEE10hipError_tT1_PNSt15iterator_traitsISG_E10value_typeET2_T3_PNSH_ISM_E10value_typeET4_T5_PSR_SS_PNS1_23onesweep_lookback_stateEbbT6_jjT7_P12ihipStream_tbENKUlT_T0_SG_SL_E_clIS7_S7_PlSB_EEDaSZ_S10_SG_SL_EUlSZ_E_NS1_11comp_targetILNS1_3genE3ELNS1_11target_archE908ELNS1_3gpuE7ELNS1_3repE0EEENS1_47radix_sort_onesweep_sort_config_static_selectorELNS0_4arch9wavefront6targetE1EEEvSG_.private_seg_size, 0
	.set _ZN7rocprim17ROCPRIM_400000_NS6detail17trampoline_kernelINS0_14default_configENS1_35radix_sort_onesweep_config_selectorIslEEZZNS1_29radix_sort_onesweep_iterationIS3_Lb0EPsS7_N6thrust23THRUST_200600_302600_NS10device_ptrIlEESB_jNS0_19identity_decomposerENS1_16block_id_wrapperIjLb0EEEEE10hipError_tT1_PNSt15iterator_traitsISG_E10value_typeET2_T3_PNSH_ISM_E10value_typeET4_T5_PSR_SS_PNS1_23onesweep_lookback_stateEbbT6_jjT7_P12ihipStream_tbENKUlT_T0_SG_SL_E_clIS7_S7_PlSB_EEDaSZ_S10_SG_SL_EUlSZ_E_NS1_11comp_targetILNS1_3genE3ELNS1_11target_archE908ELNS1_3gpuE7ELNS1_3repE0EEENS1_47radix_sort_onesweep_sort_config_static_selectorELNS0_4arch9wavefront6targetE1EEEvSG_.uses_vcc, 0
	.set _ZN7rocprim17ROCPRIM_400000_NS6detail17trampoline_kernelINS0_14default_configENS1_35radix_sort_onesweep_config_selectorIslEEZZNS1_29radix_sort_onesweep_iterationIS3_Lb0EPsS7_N6thrust23THRUST_200600_302600_NS10device_ptrIlEESB_jNS0_19identity_decomposerENS1_16block_id_wrapperIjLb0EEEEE10hipError_tT1_PNSt15iterator_traitsISG_E10value_typeET2_T3_PNSH_ISM_E10value_typeET4_T5_PSR_SS_PNS1_23onesweep_lookback_stateEbbT6_jjT7_P12ihipStream_tbENKUlT_T0_SG_SL_E_clIS7_S7_PlSB_EEDaSZ_S10_SG_SL_EUlSZ_E_NS1_11comp_targetILNS1_3genE3ELNS1_11target_archE908ELNS1_3gpuE7ELNS1_3repE0EEENS1_47radix_sort_onesweep_sort_config_static_selectorELNS0_4arch9wavefront6targetE1EEEvSG_.uses_flat_scratch, 0
	.set _ZN7rocprim17ROCPRIM_400000_NS6detail17trampoline_kernelINS0_14default_configENS1_35radix_sort_onesweep_config_selectorIslEEZZNS1_29radix_sort_onesweep_iterationIS3_Lb0EPsS7_N6thrust23THRUST_200600_302600_NS10device_ptrIlEESB_jNS0_19identity_decomposerENS1_16block_id_wrapperIjLb0EEEEE10hipError_tT1_PNSt15iterator_traitsISG_E10value_typeET2_T3_PNSH_ISM_E10value_typeET4_T5_PSR_SS_PNS1_23onesweep_lookback_stateEbbT6_jjT7_P12ihipStream_tbENKUlT_T0_SG_SL_E_clIS7_S7_PlSB_EEDaSZ_S10_SG_SL_EUlSZ_E_NS1_11comp_targetILNS1_3genE3ELNS1_11target_archE908ELNS1_3gpuE7ELNS1_3repE0EEENS1_47radix_sort_onesweep_sort_config_static_selectorELNS0_4arch9wavefront6targetE1EEEvSG_.has_dyn_sized_stack, 0
	.set _ZN7rocprim17ROCPRIM_400000_NS6detail17trampoline_kernelINS0_14default_configENS1_35radix_sort_onesweep_config_selectorIslEEZZNS1_29radix_sort_onesweep_iterationIS3_Lb0EPsS7_N6thrust23THRUST_200600_302600_NS10device_ptrIlEESB_jNS0_19identity_decomposerENS1_16block_id_wrapperIjLb0EEEEE10hipError_tT1_PNSt15iterator_traitsISG_E10value_typeET2_T3_PNSH_ISM_E10value_typeET4_T5_PSR_SS_PNS1_23onesweep_lookback_stateEbbT6_jjT7_P12ihipStream_tbENKUlT_T0_SG_SL_E_clIS7_S7_PlSB_EEDaSZ_S10_SG_SL_EUlSZ_E_NS1_11comp_targetILNS1_3genE3ELNS1_11target_archE908ELNS1_3gpuE7ELNS1_3repE0EEENS1_47radix_sort_onesweep_sort_config_static_selectorELNS0_4arch9wavefront6targetE1EEEvSG_.has_recursion, 0
	.set _ZN7rocprim17ROCPRIM_400000_NS6detail17trampoline_kernelINS0_14default_configENS1_35radix_sort_onesweep_config_selectorIslEEZZNS1_29radix_sort_onesweep_iterationIS3_Lb0EPsS7_N6thrust23THRUST_200600_302600_NS10device_ptrIlEESB_jNS0_19identity_decomposerENS1_16block_id_wrapperIjLb0EEEEE10hipError_tT1_PNSt15iterator_traitsISG_E10value_typeET2_T3_PNSH_ISM_E10value_typeET4_T5_PSR_SS_PNS1_23onesweep_lookback_stateEbbT6_jjT7_P12ihipStream_tbENKUlT_T0_SG_SL_E_clIS7_S7_PlSB_EEDaSZ_S10_SG_SL_EUlSZ_E_NS1_11comp_targetILNS1_3genE3ELNS1_11target_archE908ELNS1_3gpuE7ELNS1_3repE0EEENS1_47radix_sort_onesweep_sort_config_static_selectorELNS0_4arch9wavefront6targetE1EEEvSG_.has_indirect_call, 0
	.section	.AMDGPU.csdata,"",@progbits
; Kernel info:
; codeLenInByte = 0
; TotalNumSgprs: 4
; NumVgprs: 0
; ScratchSize: 0
; MemoryBound: 0
; FloatMode: 240
; IeeeMode: 1
; LDSByteSize: 0 bytes/workgroup (compile time only)
; SGPRBlocks: 0
; VGPRBlocks: 0
; NumSGPRsForWavesPerEU: 4
; NumVGPRsForWavesPerEU: 1
; Occupancy: 10
; WaveLimiterHint : 0
; COMPUTE_PGM_RSRC2:SCRATCH_EN: 0
; COMPUTE_PGM_RSRC2:USER_SGPR: 6
; COMPUTE_PGM_RSRC2:TRAP_HANDLER: 0
; COMPUTE_PGM_RSRC2:TGID_X_EN: 1
; COMPUTE_PGM_RSRC2:TGID_Y_EN: 0
; COMPUTE_PGM_RSRC2:TGID_Z_EN: 0
; COMPUTE_PGM_RSRC2:TIDIG_COMP_CNT: 0
	.section	.text._ZN7rocprim17ROCPRIM_400000_NS6detail17trampoline_kernelINS0_14default_configENS1_35radix_sort_onesweep_config_selectorIslEEZZNS1_29radix_sort_onesweep_iterationIS3_Lb0EPsS7_N6thrust23THRUST_200600_302600_NS10device_ptrIlEESB_jNS0_19identity_decomposerENS1_16block_id_wrapperIjLb0EEEEE10hipError_tT1_PNSt15iterator_traitsISG_E10value_typeET2_T3_PNSH_ISM_E10value_typeET4_T5_PSR_SS_PNS1_23onesweep_lookback_stateEbbT6_jjT7_P12ihipStream_tbENKUlT_T0_SG_SL_E_clIS7_S7_PlSB_EEDaSZ_S10_SG_SL_EUlSZ_E_NS1_11comp_targetILNS1_3genE10ELNS1_11target_archE1201ELNS1_3gpuE5ELNS1_3repE0EEENS1_47radix_sort_onesweep_sort_config_static_selectorELNS0_4arch9wavefront6targetE1EEEvSG_,"axG",@progbits,_ZN7rocprim17ROCPRIM_400000_NS6detail17trampoline_kernelINS0_14default_configENS1_35radix_sort_onesweep_config_selectorIslEEZZNS1_29radix_sort_onesweep_iterationIS3_Lb0EPsS7_N6thrust23THRUST_200600_302600_NS10device_ptrIlEESB_jNS0_19identity_decomposerENS1_16block_id_wrapperIjLb0EEEEE10hipError_tT1_PNSt15iterator_traitsISG_E10value_typeET2_T3_PNSH_ISM_E10value_typeET4_T5_PSR_SS_PNS1_23onesweep_lookback_stateEbbT6_jjT7_P12ihipStream_tbENKUlT_T0_SG_SL_E_clIS7_S7_PlSB_EEDaSZ_S10_SG_SL_EUlSZ_E_NS1_11comp_targetILNS1_3genE10ELNS1_11target_archE1201ELNS1_3gpuE5ELNS1_3repE0EEENS1_47radix_sort_onesweep_sort_config_static_selectorELNS0_4arch9wavefront6targetE1EEEvSG_,comdat
	.protected	_ZN7rocprim17ROCPRIM_400000_NS6detail17trampoline_kernelINS0_14default_configENS1_35radix_sort_onesweep_config_selectorIslEEZZNS1_29radix_sort_onesweep_iterationIS3_Lb0EPsS7_N6thrust23THRUST_200600_302600_NS10device_ptrIlEESB_jNS0_19identity_decomposerENS1_16block_id_wrapperIjLb0EEEEE10hipError_tT1_PNSt15iterator_traitsISG_E10value_typeET2_T3_PNSH_ISM_E10value_typeET4_T5_PSR_SS_PNS1_23onesweep_lookback_stateEbbT6_jjT7_P12ihipStream_tbENKUlT_T0_SG_SL_E_clIS7_S7_PlSB_EEDaSZ_S10_SG_SL_EUlSZ_E_NS1_11comp_targetILNS1_3genE10ELNS1_11target_archE1201ELNS1_3gpuE5ELNS1_3repE0EEENS1_47radix_sort_onesweep_sort_config_static_selectorELNS0_4arch9wavefront6targetE1EEEvSG_ ; -- Begin function _ZN7rocprim17ROCPRIM_400000_NS6detail17trampoline_kernelINS0_14default_configENS1_35radix_sort_onesweep_config_selectorIslEEZZNS1_29radix_sort_onesweep_iterationIS3_Lb0EPsS7_N6thrust23THRUST_200600_302600_NS10device_ptrIlEESB_jNS0_19identity_decomposerENS1_16block_id_wrapperIjLb0EEEEE10hipError_tT1_PNSt15iterator_traitsISG_E10value_typeET2_T3_PNSH_ISM_E10value_typeET4_T5_PSR_SS_PNS1_23onesweep_lookback_stateEbbT6_jjT7_P12ihipStream_tbENKUlT_T0_SG_SL_E_clIS7_S7_PlSB_EEDaSZ_S10_SG_SL_EUlSZ_E_NS1_11comp_targetILNS1_3genE10ELNS1_11target_archE1201ELNS1_3gpuE5ELNS1_3repE0EEENS1_47radix_sort_onesweep_sort_config_static_selectorELNS0_4arch9wavefront6targetE1EEEvSG_
	.globl	_ZN7rocprim17ROCPRIM_400000_NS6detail17trampoline_kernelINS0_14default_configENS1_35radix_sort_onesweep_config_selectorIslEEZZNS1_29radix_sort_onesweep_iterationIS3_Lb0EPsS7_N6thrust23THRUST_200600_302600_NS10device_ptrIlEESB_jNS0_19identity_decomposerENS1_16block_id_wrapperIjLb0EEEEE10hipError_tT1_PNSt15iterator_traitsISG_E10value_typeET2_T3_PNSH_ISM_E10value_typeET4_T5_PSR_SS_PNS1_23onesweep_lookback_stateEbbT6_jjT7_P12ihipStream_tbENKUlT_T0_SG_SL_E_clIS7_S7_PlSB_EEDaSZ_S10_SG_SL_EUlSZ_E_NS1_11comp_targetILNS1_3genE10ELNS1_11target_archE1201ELNS1_3gpuE5ELNS1_3repE0EEENS1_47radix_sort_onesweep_sort_config_static_selectorELNS0_4arch9wavefront6targetE1EEEvSG_
	.p2align	8
	.type	_ZN7rocprim17ROCPRIM_400000_NS6detail17trampoline_kernelINS0_14default_configENS1_35radix_sort_onesweep_config_selectorIslEEZZNS1_29radix_sort_onesweep_iterationIS3_Lb0EPsS7_N6thrust23THRUST_200600_302600_NS10device_ptrIlEESB_jNS0_19identity_decomposerENS1_16block_id_wrapperIjLb0EEEEE10hipError_tT1_PNSt15iterator_traitsISG_E10value_typeET2_T3_PNSH_ISM_E10value_typeET4_T5_PSR_SS_PNS1_23onesweep_lookback_stateEbbT6_jjT7_P12ihipStream_tbENKUlT_T0_SG_SL_E_clIS7_S7_PlSB_EEDaSZ_S10_SG_SL_EUlSZ_E_NS1_11comp_targetILNS1_3genE10ELNS1_11target_archE1201ELNS1_3gpuE5ELNS1_3repE0EEENS1_47radix_sort_onesweep_sort_config_static_selectorELNS0_4arch9wavefront6targetE1EEEvSG_,@function
_ZN7rocprim17ROCPRIM_400000_NS6detail17trampoline_kernelINS0_14default_configENS1_35radix_sort_onesweep_config_selectorIslEEZZNS1_29radix_sort_onesweep_iterationIS3_Lb0EPsS7_N6thrust23THRUST_200600_302600_NS10device_ptrIlEESB_jNS0_19identity_decomposerENS1_16block_id_wrapperIjLb0EEEEE10hipError_tT1_PNSt15iterator_traitsISG_E10value_typeET2_T3_PNSH_ISM_E10value_typeET4_T5_PSR_SS_PNS1_23onesweep_lookback_stateEbbT6_jjT7_P12ihipStream_tbENKUlT_T0_SG_SL_E_clIS7_S7_PlSB_EEDaSZ_S10_SG_SL_EUlSZ_E_NS1_11comp_targetILNS1_3genE10ELNS1_11target_archE1201ELNS1_3gpuE5ELNS1_3repE0EEENS1_47radix_sort_onesweep_sort_config_static_selectorELNS0_4arch9wavefront6targetE1EEEvSG_: ; @_ZN7rocprim17ROCPRIM_400000_NS6detail17trampoline_kernelINS0_14default_configENS1_35radix_sort_onesweep_config_selectorIslEEZZNS1_29radix_sort_onesweep_iterationIS3_Lb0EPsS7_N6thrust23THRUST_200600_302600_NS10device_ptrIlEESB_jNS0_19identity_decomposerENS1_16block_id_wrapperIjLb0EEEEE10hipError_tT1_PNSt15iterator_traitsISG_E10value_typeET2_T3_PNSH_ISM_E10value_typeET4_T5_PSR_SS_PNS1_23onesweep_lookback_stateEbbT6_jjT7_P12ihipStream_tbENKUlT_T0_SG_SL_E_clIS7_S7_PlSB_EEDaSZ_S10_SG_SL_EUlSZ_E_NS1_11comp_targetILNS1_3genE10ELNS1_11target_archE1201ELNS1_3gpuE5ELNS1_3repE0EEENS1_47radix_sort_onesweep_sort_config_static_selectorELNS0_4arch9wavefront6targetE1EEEvSG_
; %bb.0:
	.section	.rodata,"a",@progbits
	.p2align	6, 0x0
	.amdhsa_kernel _ZN7rocprim17ROCPRIM_400000_NS6detail17trampoline_kernelINS0_14default_configENS1_35radix_sort_onesweep_config_selectorIslEEZZNS1_29radix_sort_onesweep_iterationIS3_Lb0EPsS7_N6thrust23THRUST_200600_302600_NS10device_ptrIlEESB_jNS0_19identity_decomposerENS1_16block_id_wrapperIjLb0EEEEE10hipError_tT1_PNSt15iterator_traitsISG_E10value_typeET2_T3_PNSH_ISM_E10value_typeET4_T5_PSR_SS_PNS1_23onesweep_lookback_stateEbbT6_jjT7_P12ihipStream_tbENKUlT_T0_SG_SL_E_clIS7_S7_PlSB_EEDaSZ_S10_SG_SL_EUlSZ_E_NS1_11comp_targetILNS1_3genE10ELNS1_11target_archE1201ELNS1_3gpuE5ELNS1_3repE0EEENS1_47radix_sort_onesweep_sort_config_static_selectorELNS0_4arch9wavefront6targetE1EEEvSG_
		.amdhsa_group_segment_fixed_size 0
		.amdhsa_private_segment_fixed_size 0
		.amdhsa_kernarg_size 88
		.amdhsa_user_sgpr_count 6
		.amdhsa_user_sgpr_private_segment_buffer 1
		.amdhsa_user_sgpr_dispatch_ptr 0
		.amdhsa_user_sgpr_queue_ptr 0
		.amdhsa_user_sgpr_kernarg_segment_ptr 1
		.amdhsa_user_sgpr_dispatch_id 0
		.amdhsa_user_sgpr_flat_scratch_init 0
		.amdhsa_user_sgpr_private_segment_size 0
		.amdhsa_uses_dynamic_stack 0
		.amdhsa_system_sgpr_private_segment_wavefront_offset 0
		.amdhsa_system_sgpr_workgroup_id_x 1
		.amdhsa_system_sgpr_workgroup_id_y 0
		.amdhsa_system_sgpr_workgroup_id_z 0
		.amdhsa_system_sgpr_workgroup_info 0
		.amdhsa_system_vgpr_workitem_id 0
		.amdhsa_next_free_vgpr 1
		.amdhsa_next_free_sgpr 0
		.amdhsa_reserve_vcc 0
		.amdhsa_reserve_flat_scratch 0
		.amdhsa_float_round_mode_32 0
		.amdhsa_float_round_mode_16_64 0
		.amdhsa_float_denorm_mode_32 3
		.amdhsa_float_denorm_mode_16_64 3
		.amdhsa_dx10_clamp 1
		.amdhsa_ieee_mode 1
		.amdhsa_fp16_overflow 0
		.amdhsa_exception_fp_ieee_invalid_op 0
		.amdhsa_exception_fp_denorm_src 0
		.amdhsa_exception_fp_ieee_div_zero 0
		.amdhsa_exception_fp_ieee_overflow 0
		.amdhsa_exception_fp_ieee_underflow 0
		.amdhsa_exception_fp_ieee_inexact 0
		.amdhsa_exception_int_div_zero 0
	.end_amdhsa_kernel
	.section	.text._ZN7rocprim17ROCPRIM_400000_NS6detail17trampoline_kernelINS0_14default_configENS1_35radix_sort_onesweep_config_selectorIslEEZZNS1_29radix_sort_onesweep_iterationIS3_Lb0EPsS7_N6thrust23THRUST_200600_302600_NS10device_ptrIlEESB_jNS0_19identity_decomposerENS1_16block_id_wrapperIjLb0EEEEE10hipError_tT1_PNSt15iterator_traitsISG_E10value_typeET2_T3_PNSH_ISM_E10value_typeET4_T5_PSR_SS_PNS1_23onesweep_lookback_stateEbbT6_jjT7_P12ihipStream_tbENKUlT_T0_SG_SL_E_clIS7_S7_PlSB_EEDaSZ_S10_SG_SL_EUlSZ_E_NS1_11comp_targetILNS1_3genE10ELNS1_11target_archE1201ELNS1_3gpuE5ELNS1_3repE0EEENS1_47radix_sort_onesweep_sort_config_static_selectorELNS0_4arch9wavefront6targetE1EEEvSG_,"axG",@progbits,_ZN7rocprim17ROCPRIM_400000_NS6detail17trampoline_kernelINS0_14default_configENS1_35radix_sort_onesweep_config_selectorIslEEZZNS1_29radix_sort_onesweep_iterationIS3_Lb0EPsS7_N6thrust23THRUST_200600_302600_NS10device_ptrIlEESB_jNS0_19identity_decomposerENS1_16block_id_wrapperIjLb0EEEEE10hipError_tT1_PNSt15iterator_traitsISG_E10value_typeET2_T3_PNSH_ISM_E10value_typeET4_T5_PSR_SS_PNS1_23onesweep_lookback_stateEbbT6_jjT7_P12ihipStream_tbENKUlT_T0_SG_SL_E_clIS7_S7_PlSB_EEDaSZ_S10_SG_SL_EUlSZ_E_NS1_11comp_targetILNS1_3genE10ELNS1_11target_archE1201ELNS1_3gpuE5ELNS1_3repE0EEENS1_47radix_sort_onesweep_sort_config_static_selectorELNS0_4arch9wavefront6targetE1EEEvSG_,comdat
.Lfunc_end1449:
	.size	_ZN7rocprim17ROCPRIM_400000_NS6detail17trampoline_kernelINS0_14default_configENS1_35radix_sort_onesweep_config_selectorIslEEZZNS1_29radix_sort_onesweep_iterationIS3_Lb0EPsS7_N6thrust23THRUST_200600_302600_NS10device_ptrIlEESB_jNS0_19identity_decomposerENS1_16block_id_wrapperIjLb0EEEEE10hipError_tT1_PNSt15iterator_traitsISG_E10value_typeET2_T3_PNSH_ISM_E10value_typeET4_T5_PSR_SS_PNS1_23onesweep_lookback_stateEbbT6_jjT7_P12ihipStream_tbENKUlT_T0_SG_SL_E_clIS7_S7_PlSB_EEDaSZ_S10_SG_SL_EUlSZ_E_NS1_11comp_targetILNS1_3genE10ELNS1_11target_archE1201ELNS1_3gpuE5ELNS1_3repE0EEENS1_47radix_sort_onesweep_sort_config_static_selectorELNS0_4arch9wavefront6targetE1EEEvSG_, .Lfunc_end1449-_ZN7rocprim17ROCPRIM_400000_NS6detail17trampoline_kernelINS0_14default_configENS1_35radix_sort_onesweep_config_selectorIslEEZZNS1_29radix_sort_onesweep_iterationIS3_Lb0EPsS7_N6thrust23THRUST_200600_302600_NS10device_ptrIlEESB_jNS0_19identity_decomposerENS1_16block_id_wrapperIjLb0EEEEE10hipError_tT1_PNSt15iterator_traitsISG_E10value_typeET2_T3_PNSH_ISM_E10value_typeET4_T5_PSR_SS_PNS1_23onesweep_lookback_stateEbbT6_jjT7_P12ihipStream_tbENKUlT_T0_SG_SL_E_clIS7_S7_PlSB_EEDaSZ_S10_SG_SL_EUlSZ_E_NS1_11comp_targetILNS1_3genE10ELNS1_11target_archE1201ELNS1_3gpuE5ELNS1_3repE0EEENS1_47radix_sort_onesweep_sort_config_static_selectorELNS0_4arch9wavefront6targetE1EEEvSG_
                                        ; -- End function
	.set _ZN7rocprim17ROCPRIM_400000_NS6detail17trampoline_kernelINS0_14default_configENS1_35radix_sort_onesweep_config_selectorIslEEZZNS1_29radix_sort_onesweep_iterationIS3_Lb0EPsS7_N6thrust23THRUST_200600_302600_NS10device_ptrIlEESB_jNS0_19identity_decomposerENS1_16block_id_wrapperIjLb0EEEEE10hipError_tT1_PNSt15iterator_traitsISG_E10value_typeET2_T3_PNSH_ISM_E10value_typeET4_T5_PSR_SS_PNS1_23onesweep_lookback_stateEbbT6_jjT7_P12ihipStream_tbENKUlT_T0_SG_SL_E_clIS7_S7_PlSB_EEDaSZ_S10_SG_SL_EUlSZ_E_NS1_11comp_targetILNS1_3genE10ELNS1_11target_archE1201ELNS1_3gpuE5ELNS1_3repE0EEENS1_47radix_sort_onesweep_sort_config_static_selectorELNS0_4arch9wavefront6targetE1EEEvSG_.num_vgpr, 0
	.set _ZN7rocprim17ROCPRIM_400000_NS6detail17trampoline_kernelINS0_14default_configENS1_35radix_sort_onesweep_config_selectorIslEEZZNS1_29radix_sort_onesweep_iterationIS3_Lb0EPsS7_N6thrust23THRUST_200600_302600_NS10device_ptrIlEESB_jNS0_19identity_decomposerENS1_16block_id_wrapperIjLb0EEEEE10hipError_tT1_PNSt15iterator_traitsISG_E10value_typeET2_T3_PNSH_ISM_E10value_typeET4_T5_PSR_SS_PNS1_23onesweep_lookback_stateEbbT6_jjT7_P12ihipStream_tbENKUlT_T0_SG_SL_E_clIS7_S7_PlSB_EEDaSZ_S10_SG_SL_EUlSZ_E_NS1_11comp_targetILNS1_3genE10ELNS1_11target_archE1201ELNS1_3gpuE5ELNS1_3repE0EEENS1_47radix_sort_onesweep_sort_config_static_selectorELNS0_4arch9wavefront6targetE1EEEvSG_.num_agpr, 0
	.set _ZN7rocprim17ROCPRIM_400000_NS6detail17trampoline_kernelINS0_14default_configENS1_35radix_sort_onesweep_config_selectorIslEEZZNS1_29radix_sort_onesweep_iterationIS3_Lb0EPsS7_N6thrust23THRUST_200600_302600_NS10device_ptrIlEESB_jNS0_19identity_decomposerENS1_16block_id_wrapperIjLb0EEEEE10hipError_tT1_PNSt15iterator_traitsISG_E10value_typeET2_T3_PNSH_ISM_E10value_typeET4_T5_PSR_SS_PNS1_23onesweep_lookback_stateEbbT6_jjT7_P12ihipStream_tbENKUlT_T0_SG_SL_E_clIS7_S7_PlSB_EEDaSZ_S10_SG_SL_EUlSZ_E_NS1_11comp_targetILNS1_3genE10ELNS1_11target_archE1201ELNS1_3gpuE5ELNS1_3repE0EEENS1_47radix_sort_onesweep_sort_config_static_selectorELNS0_4arch9wavefront6targetE1EEEvSG_.numbered_sgpr, 0
	.set _ZN7rocprim17ROCPRIM_400000_NS6detail17trampoline_kernelINS0_14default_configENS1_35radix_sort_onesweep_config_selectorIslEEZZNS1_29radix_sort_onesweep_iterationIS3_Lb0EPsS7_N6thrust23THRUST_200600_302600_NS10device_ptrIlEESB_jNS0_19identity_decomposerENS1_16block_id_wrapperIjLb0EEEEE10hipError_tT1_PNSt15iterator_traitsISG_E10value_typeET2_T3_PNSH_ISM_E10value_typeET4_T5_PSR_SS_PNS1_23onesweep_lookback_stateEbbT6_jjT7_P12ihipStream_tbENKUlT_T0_SG_SL_E_clIS7_S7_PlSB_EEDaSZ_S10_SG_SL_EUlSZ_E_NS1_11comp_targetILNS1_3genE10ELNS1_11target_archE1201ELNS1_3gpuE5ELNS1_3repE0EEENS1_47radix_sort_onesweep_sort_config_static_selectorELNS0_4arch9wavefront6targetE1EEEvSG_.num_named_barrier, 0
	.set _ZN7rocprim17ROCPRIM_400000_NS6detail17trampoline_kernelINS0_14default_configENS1_35radix_sort_onesweep_config_selectorIslEEZZNS1_29radix_sort_onesweep_iterationIS3_Lb0EPsS7_N6thrust23THRUST_200600_302600_NS10device_ptrIlEESB_jNS0_19identity_decomposerENS1_16block_id_wrapperIjLb0EEEEE10hipError_tT1_PNSt15iterator_traitsISG_E10value_typeET2_T3_PNSH_ISM_E10value_typeET4_T5_PSR_SS_PNS1_23onesweep_lookback_stateEbbT6_jjT7_P12ihipStream_tbENKUlT_T0_SG_SL_E_clIS7_S7_PlSB_EEDaSZ_S10_SG_SL_EUlSZ_E_NS1_11comp_targetILNS1_3genE10ELNS1_11target_archE1201ELNS1_3gpuE5ELNS1_3repE0EEENS1_47radix_sort_onesweep_sort_config_static_selectorELNS0_4arch9wavefront6targetE1EEEvSG_.private_seg_size, 0
	.set _ZN7rocprim17ROCPRIM_400000_NS6detail17trampoline_kernelINS0_14default_configENS1_35radix_sort_onesweep_config_selectorIslEEZZNS1_29radix_sort_onesweep_iterationIS3_Lb0EPsS7_N6thrust23THRUST_200600_302600_NS10device_ptrIlEESB_jNS0_19identity_decomposerENS1_16block_id_wrapperIjLb0EEEEE10hipError_tT1_PNSt15iterator_traitsISG_E10value_typeET2_T3_PNSH_ISM_E10value_typeET4_T5_PSR_SS_PNS1_23onesweep_lookback_stateEbbT6_jjT7_P12ihipStream_tbENKUlT_T0_SG_SL_E_clIS7_S7_PlSB_EEDaSZ_S10_SG_SL_EUlSZ_E_NS1_11comp_targetILNS1_3genE10ELNS1_11target_archE1201ELNS1_3gpuE5ELNS1_3repE0EEENS1_47radix_sort_onesweep_sort_config_static_selectorELNS0_4arch9wavefront6targetE1EEEvSG_.uses_vcc, 0
	.set _ZN7rocprim17ROCPRIM_400000_NS6detail17trampoline_kernelINS0_14default_configENS1_35radix_sort_onesweep_config_selectorIslEEZZNS1_29radix_sort_onesweep_iterationIS3_Lb0EPsS7_N6thrust23THRUST_200600_302600_NS10device_ptrIlEESB_jNS0_19identity_decomposerENS1_16block_id_wrapperIjLb0EEEEE10hipError_tT1_PNSt15iterator_traitsISG_E10value_typeET2_T3_PNSH_ISM_E10value_typeET4_T5_PSR_SS_PNS1_23onesweep_lookback_stateEbbT6_jjT7_P12ihipStream_tbENKUlT_T0_SG_SL_E_clIS7_S7_PlSB_EEDaSZ_S10_SG_SL_EUlSZ_E_NS1_11comp_targetILNS1_3genE10ELNS1_11target_archE1201ELNS1_3gpuE5ELNS1_3repE0EEENS1_47radix_sort_onesweep_sort_config_static_selectorELNS0_4arch9wavefront6targetE1EEEvSG_.uses_flat_scratch, 0
	.set _ZN7rocprim17ROCPRIM_400000_NS6detail17trampoline_kernelINS0_14default_configENS1_35radix_sort_onesweep_config_selectorIslEEZZNS1_29radix_sort_onesweep_iterationIS3_Lb0EPsS7_N6thrust23THRUST_200600_302600_NS10device_ptrIlEESB_jNS0_19identity_decomposerENS1_16block_id_wrapperIjLb0EEEEE10hipError_tT1_PNSt15iterator_traitsISG_E10value_typeET2_T3_PNSH_ISM_E10value_typeET4_T5_PSR_SS_PNS1_23onesweep_lookback_stateEbbT6_jjT7_P12ihipStream_tbENKUlT_T0_SG_SL_E_clIS7_S7_PlSB_EEDaSZ_S10_SG_SL_EUlSZ_E_NS1_11comp_targetILNS1_3genE10ELNS1_11target_archE1201ELNS1_3gpuE5ELNS1_3repE0EEENS1_47radix_sort_onesweep_sort_config_static_selectorELNS0_4arch9wavefront6targetE1EEEvSG_.has_dyn_sized_stack, 0
	.set _ZN7rocprim17ROCPRIM_400000_NS6detail17trampoline_kernelINS0_14default_configENS1_35radix_sort_onesweep_config_selectorIslEEZZNS1_29radix_sort_onesweep_iterationIS3_Lb0EPsS7_N6thrust23THRUST_200600_302600_NS10device_ptrIlEESB_jNS0_19identity_decomposerENS1_16block_id_wrapperIjLb0EEEEE10hipError_tT1_PNSt15iterator_traitsISG_E10value_typeET2_T3_PNSH_ISM_E10value_typeET4_T5_PSR_SS_PNS1_23onesweep_lookback_stateEbbT6_jjT7_P12ihipStream_tbENKUlT_T0_SG_SL_E_clIS7_S7_PlSB_EEDaSZ_S10_SG_SL_EUlSZ_E_NS1_11comp_targetILNS1_3genE10ELNS1_11target_archE1201ELNS1_3gpuE5ELNS1_3repE0EEENS1_47radix_sort_onesweep_sort_config_static_selectorELNS0_4arch9wavefront6targetE1EEEvSG_.has_recursion, 0
	.set _ZN7rocprim17ROCPRIM_400000_NS6detail17trampoline_kernelINS0_14default_configENS1_35radix_sort_onesweep_config_selectorIslEEZZNS1_29radix_sort_onesweep_iterationIS3_Lb0EPsS7_N6thrust23THRUST_200600_302600_NS10device_ptrIlEESB_jNS0_19identity_decomposerENS1_16block_id_wrapperIjLb0EEEEE10hipError_tT1_PNSt15iterator_traitsISG_E10value_typeET2_T3_PNSH_ISM_E10value_typeET4_T5_PSR_SS_PNS1_23onesweep_lookback_stateEbbT6_jjT7_P12ihipStream_tbENKUlT_T0_SG_SL_E_clIS7_S7_PlSB_EEDaSZ_S10_SG_SL_EUlSZ_E_NS1_11comp_targetILNS1_3genE10ELNS1_11target_archE1201ELNS1_3gpuE5ELNS1_3repE0EEENS1_47radix_sort_onesweep_sort_config_static_selectorELNS0_4arch9wavefront6targetE1EEEvSG_.has_indirect_call, 0
	.section	.AMDGPU.csdata,"",@progbits
; Kernel info:
; codeLenInByte = 0
; TotalNumSgprs: 4
; NumVgprs: 0
; ScratchSize: 0
; MemoryBound: 0
; FloatMode: 240
; IeeeMode: 1
; LDSByteSize: 0 bytes/workgroup (compile time only)
; SGPRBlocks: 0
; VGPRBlocks: 0
; NumSGPRsForWavesPerEU: 4
; NumVGPRsForWavesPerEU: 1
; Occupancy: 10
; WaveLimiterHint : 0
; COMPUTE_PGM_RSRC2:SCRATCH_EN: 0
; COMPUTE_PGM_RSRC2:USER_SGPR: 6
; COMPUTE_PGM_RSRC2:TRAP_HANDLER: 0
; COMPUTE_PGM_RSRC2:TGID_X_EN: 1
; COMPUTE_PGM_RSRC2:TGID_Y_EN: 0
; COMPUTE_PGM_RSRC2:TGID_Z_EN: 0
; COMPUTE_PGM_RSRC2:TIDIG_COMP_CNT: 0
	.section	.text._ZN7rocprim17ROCPRIM_400000_NS6detail17trampoline_kernelINS0_14default_configENS1_35radix_sort_onesweep_config_selectorIslEEZZNS1_29radix_sort_onesweep_iterationIS3_Lb0EPsS7_N6thrust23THRUST_200600_302600_NS10device_ptrIlEESB_jNS0_19identity_decomposerENS1_16block_id_wrapperIjLb0EEEEE10hipError_tT1_PNSt15iterator_traitsISG_E10value_typeET2_T3_PNSH_ISM_E10value_typeET4_T5_PSR_SS_PNS1_23onesweep_lookback_stateEbbT6_jjT7_P12ihipStream_tbENKUlT_T0_SG_SL_E_clIS7_S7_PlSB_EEDaSZ_S10_SG_SL_EUlSZ_E_NS1_11comp_targetILNS1_3genE9ELNS1_11target_archE1100ELNS1_3gpuE3ELNS1_3repE0EEENS1_47radix_sort_onesweep_sort_config_static_selectorELNS0_4arch9wavefront6targetE1EEEvSG_,"axG",@progbits,_ZN7rocprim17ROCPRIM_400000_NS6detail17trampoline_kernelINS0_14default_configENS1_35radix_sort_onesweep_config_selectorIslEEZZNS1_29radix_sort_onesweep_iterationIS3_Lb0EPsS7_N6thrust23THRUST_200600_302600_NS10device_ptrIlEESB_jNS0_19identity_decomposerENS1_16block_id_wrapperIjLb0EEEEE10hipError_tT1_PNSt15iterator_traitsISG_E10value_typeET2_T3_PNSH_ISM_E10value_typeET4_T5_PSR_SS_PNS1_23onesweep_lookback_stateEbbT6_jjT7_P12ihipStream_tbENKUlT_T0_SG_SL_E_clIS7_S7_PlSB_EEDaSZ_S10_SG_SL_EUlSZ_E_NS1_11comp_targetILNS1_3genE9ELNS1_11target_archE1100ELNS1_3gpuE3ELNS1_3repE0EEENS1_47radix_sort_onesweep_sort_config_static_selectorELNS0_4arch9wavefront6targetE1EEEvSG_,comdat
	.protected	_ZN7rocprim17ROCPRIM_400000_NS6detail17trampoline_kernelINS0_14default_configENS1_35radix_sort_onesweep_config_selectorIslEEZZNS1_29radix_sort_onesweep_iterationIS3_Lb0EPsS7_N6thrust23THRUST_200600_302600_NS10device_ptrIlEESB_jNS0_19identity_decomposerENS1_16block_id_wrapperIjLb0EEEEE10hipError_tT1_PNSt15iterator_traitsISG_E10value_typeET2_T3_PNSH_ISM_E10value_typeET4_T5_PSR_SS_PNS1_23onesweep_lookback_stateEbbT6_jjT7_P12ihipStream_tbENKUlT_T0_SG_SL_E_clIS7_S7_PlSB_EEDaSZ_S10_SG_SL_EUlSZ_E_NS1_11comp_targetILNS1_3genE9ELNS1_11target_archE1100ELNS1_3gpuE3ELNS1_3repE0EEENS1_47radix_sort_onesweep_sort_config_static_selectorELNS0_4arch9wavefront6targetE1EEEvSG_ ; -- Begin function _ZN7rocprim17ROCPRIM_400000_NS6detail17trampoline_kernelINS0_14default_configENS1_35radix_sort_onesweep_config_selectorIslEEZZNS1_29radix_sort_onesweep_iterationIS3_Lb0EPsS7_N6thrust23THRUST_200600_302600_NS10device_ptrIlEESB_jNS0_19identity_decomposerENS1_16block_id_wrapperIjLb0EEEEE10hipError_tT1_PNSt15iterator_traitsISG_E10value_typeET2_T3_PNSH_ISM_E10value_typeET4_T5_PSR_SS_PNS1_23onesweep_lookback_stateEbbT6_jjT7_P12ihipStream_tbENKUlT_T0_SG_SL_E_clIS7_S7_PlSB_EEDaSZ_S10_SG_SL_EUlSZ_E_NS1_11comp_targetILNS1_3genE9ELNS1_11target_archE1100ELNS1_3gpuE3ELNS1_3repE0EEENS1_47radix_sort_onesweep_sort_config_static_selectorELNS0_4arch9wavefront6targetE1EEEvSG_
	.globl	_ZN7rocprim17ROCPRIM_400000_NS6detail17trampoline_kernelINS0_14default_configENS1_35radix_sort_onesweep_config_selectorIslEEZZNS1_29radix_sort_onesweep_iterationIS3_Lb0EPsS7_N6thrust23THRUST_200600_302600_NS10device_ptrIlEESB_jNS0_19identity_decomposerENS1_16block_id_wrapperIjLb0EEEEE10hipError_tT1_PNSt15iterator_traitsISG_E10value_typeET2_T3_PNSH_ISM_E10value_typeET4_T5_PSR_SS_PNS1_23onesweep_lookback_stateEbbT6_jjT7_P12ihipStream_tbENKUlT_T0_SG_SL_E_clIS7_S7_PlSB_EEDaSZ_S10_SG_SL_EUlSZ_E_NS1_11comp_targetILNS1_3genE9ELNS1_11target_archE1100ELNS1_3gpuE3ELNS1_3repE0EEENS1_47radix_sort_onesweep_sort_config_static_selectorELNS0_4arch9wavefront6targetE1EEEvSG_
	.p2align	8
	.type	_ZN7rocprim17ROCPRIM_400000_NS6detail17trampoline_kernelINS0_14default_configENS1_35radix_sort_onesweep_config_selectorIslEEZZNS1_29radix_sort_onesweep_iterationIS3_Lb0EPsS7_N6thrust23THRUST_200600_302600_NS10device_ptrIlEESB_jNS0_19identity_decomposerENS1_16block_id_wrapperIjLb0EEEEE10hipError_tT1_PNSt15iterator_traitsISG_E10value_typeET2_T3_PNSH_ISM_E10value_typeET4_T5_PSR_SS_PNS1_23onesweep_lookback_stateEbbT6_jjT7_P12ihipStream_tbENKUlT_T0_SG_SL_E_clIS7_S7_PlSB_EEDaSZ_S10_SG_SL_EUlSZ_E_NS1_11comp_targetILNS1_3genE9ELNS1_11target_archE1100ELNS1_3gpuE3ELNS1_3repE0EEENS1_47radix_sort_onesweep_sort_config_static_selectorELNS0_4arch9wavefront6targetE1EEEvSG_,@function
_ZN7rocprim17ROCPRIM_400000_NS6detail17trampoline_kernelINS0_14default_configENS1_35radix_sort_onesweep_config_selectorIslEEZZNS1_29radix_sort_onesweep_iterationIS3_Lb0EPsS7_N6thrust23THRUST_200600_302600_NS10device_ptrIlEESB_jNS0_19identity_decomposerENS1_16block_id_wrapperIjLb0EEEEE10hipError_tT1_PNSt15iterator_traitsISG_E10value_typeET2_T3_PNSH_ISM_E10value_typeET4_T5_PSR_SS_PNS1_23onesweep_lookback_stateEbbT6_jjT7_P12ihipStream_tbENKUlT_T0_SG_SL_E_clIS7_S7_PlSB_EEDaSZ_S10_SG_SL_EUlSZ_E_NS1_11comp_targetILNS1_3genE9ELNS1_11target_archE1100ELNS1_3gpuE3ELNS1_3repE0EEENS1_47radix_sort_onesweep_sort_config_static_selectorELNS0_4arch9wavefront6targetE1EEEvSG_: ; @_ZN7rocprim17ROCPRIM_400000_NS6detail17trampoline_kernelINS0_14default_configENS1_35radix_sort_onesweep_config_selectorIslEEZZNS1_29radix_sort_onesweep_iterationIS3_Lb0EPsS7_N6thrust23THRUST_200600_302600_NS10device_ptrIlEESB_jNS0_19identity_decomposerENS1_16block_id_wrapperIjLb0EEEEE10hipError_tT1_PNSt15iterator_traitsISG_E10value_typeET2_T3_PNSH_ISM_E10value_typeET4_T5_PSR_SS_PNS1_23onesweep_lookback_stateEbbT6_jjT7_P12ihipStream_tbENKUlT_T0_SG_SL_E_clIS7_S7_PlSB_EEDaSZ_S10_SG_SL_EUlSZ_E_NS1_11comp_targetILNS1_3genE9ELNS1_11target_archE1100ELNS1_3gpuE3ELNS1_3repE0EEENS1_47radix_sort_onesweep_sort_config_static_selectorELNS0_4arch9wavefront6targetE1EEEvSG_
; %bb.0:
	.section	.rodata,"a",@progbits
	.p2align	6, 0x0
	.amdhsa_kernel _ZN7rocprim17ROCPRIM_400000_NS6detail17trampoline_kernelINS0_14default_configENS1_35radix_sort_onesweep_config_selectorIslEEZZNS1_29radix_sort_onesweep_iterationIS3_Lb0EPsS7_N6thrust23THRUST_200600_302600_NS10device_ptrIlEESB_jNS0_19identity_decomposerENS1_16block_id_wrapperIjLb0EEEEE10hipError_tT1_PNSt15iterator_traitsISG_E10value_typeET2_T3_PNSH_ISM_E10value_typeET4_T5_PSR_SS_PNS1_23onesweep_lookback_stateEbbT6_jjT7_P12ihipStream_tbENKUlT_T0_SG_SL_E_clIS7_S7_PlSB_EEDaSZ_S10_SG_SL_EUlSZ_E_NS1_11comp_targetILNS1_3genE9ELNS1_11target_archE1100ELNS1_3gpuE3ELNS1_3repE0EEENS1_47radix_sort_onesweep_sort_config_static_selectorELNS0_4arch9wavefront6targetE1EEEvSG_
		.amdhsa_group_segment_fixed_size 0
		.amdhsa_private_segment_fixed_size 0
		.amdhsa_kernarg_size 88
		.amdhsa_user_sgpr_count 6
		.amdhsa_user_sgpr_private_segment_buffer 1
		.amdhsa_user_sgpr_dispatch_ptr 0
		.amdhsa_user_sgpr_queue_ptr 0
		.amdhsa_user_sgpr_kernarg_segment_ptr 1
		.amdhsa_user_sgpr_dispatch_id 0
		.amdhsa_user_sgpr_flat_scratch_init 0
		.amdhsa_user_sgpr_private_segment_size 0
		.amdhsa_uses_dynamic_stack 0
		.amdhsa_system_sgpr_private_segment_wavefront_offset 0
		.amdhsa_system_sgpr_workgroup_id_x 1
		.amdhsa_system_sgpr_workgroup_id_y 0
		.amdhsa_system_sgpr_workgroup_id_z 0
		.amdhsa_system_sgpr_workgroup_info 0
		.amdhsa_system_vgpr_workitem_id 0
		.amdhsa_next_free_vgpr 1
		.amdhsa_next_free_sgpr 0
		.amdhsa_reserve_vcc 0
		.amdhsa_reserve_flat_scratch 0
		.amdhsa_float_round_mode_32 0
		.amdhsa_float_round_mode_16_64 0
		.amdhsa_float_denorm_mode_32 3
		.amdhsa_float_denorm_mode_16_64 3
		.amdhsa_dx10_clamp 1
		.amdhsa_ieee_mode 1
		.amdhsa_fp16_overflow 0
		.amdhsa_exception_fp_ieee_invalid_op 0
		.amdhsa_exception_fp_denorm_src 0
		.amdhsa_exception_fp_ieee_div_zero 0
		.amdhsa_exception_fp_ieee_overflow 0
		.amdhsa_exception_fp_ieee_underflow 0
		.amdhsa_exception_fp_ieee_inexact 0
		.amdhsa_exception_int_div_zero 0
	.end_amdhsa_kernel
	.section	.text._ZN7rocprim17ROCPRIM_400000_NS6detail17trampoline_kernelINS0_14default_configENS1_35radix_sort_onesweep_config_selectorIslEEZZNS1_29radix_sort_onesweep_iterationIS3_Lb0EPsS7_N6thrust23THRUST_200600_302600_NS10device_ptrIlEESB_jNS0_19identity_decomposerENS1_16block_id_wrapperIjLb0EEEEE10hipError_tT1_PNSt15iterator_traitsISG_E10value_typeET2_T3_PNSH_ISM_E10value_typeET4_T5_PSR_SS_PNS1_23onesweep_lookback_stateEbbT6_jjT7_P12ihipStream_tbENKUlT_T0_SG_SL_E_clIS7_S7_PlSB_EEDaSZ_S10_SG_SL_EUlSZ_E_NS1_11comp_targetILNS1_3genE9ELNS1_11target_archE1100ELNS1_3gpuE3ELNS1_3repE0EEENS1_47radix_sort_onesweep_sort_config_static_selectorELNS0_4arch9wavefront6targetE1EEEvSG_,"axG",@progbits,_ZN7rocprim17ROCPRIM_400000_NS6detail17trampoline_kernelINS0_14default_configENS1_35radix_sort_onesweep_config_selectorIslEEZZNS1_29radix_sort_onesweep_iterationIS3_Lb0EPsS7_N6thrust23THRUST_200600_302600_NS10device_ptrIlEESB_jNS0_19identity_decomposerENS1_16block_id_wrapperIjLb0EEEEE10hipError_tT1_PNSt15iterator_traitsISG_E10value_typeET2_T3_PNSH_ISM_E10value_typeET4_T5_PSR_SS_PNS1_23onesweep_lookback_stateEbbT6_jjT7_P12ihipStream_tbENKUlT_T0_SG_SL_E_clIS7_S7_PlSB_EEDaSZ_S10_SG_SL_EUlSZ_E_NS1_11comp_targetILNS1_3genE9ELNS1_11target_archE1100ELNS1_3gpuE3ELNS1_3repE0EEENS1_47radix_sort_onesweep_sort_config_static_selectorELNS0_4arch9wavefront6targetE1EEEvSG_,comdat
.Lfunc_end1450:
	.size	_ZN7rocprim17ROCPRIM_400000_NS6detail17trampoline_kernelINS0_14default_configENS1_35radix_sort_onesweep_config_selectorIslEEZZNS1_29radix_sort_onesweep_iterationIS3_Lb0EPsS7_N6thrust23THRUST_200600_302600_NS10device_ptrIlEESB_jNS0_19identity_decomposerENS1_16block_id_wrapperIjLb0EEEEE10hipError_tT1_PNSt15iterator_traitsISG_E10value_typeET2_T3_PNSH_ISM_E10value_typeET4_T5_PSR_SS_PNS1_23onesweep_lookback_stateEbbT6_jjT7_P12ihipStream_tbENKUlT_T0_SG_SL_E_clIS7_S7_PlSB_EEDaSZ_S10_SG_SL_EUlSZ_E_NS1_11comp_targetILNS1_3genE9ELNS1_11target_archE1100ELNS1_3gpuE3ELNS1_3repE0EEENS1_47radix_sort_onesweep_sort_config_static_selectorELNS0_4arch9wavefront6targetE1EEEvSG_, .Lfunc_end1450-_ZN7rocprim17ROCPRIM_400000_NS6detail17trampoline_kernelINS0_14default_configENS1_35radix_sort_onesweep_config_selectorIslEEZZNS1_29radix_sort_onesweep_iterationIS3_Lb0EPsS7_N6thrust23THRUST_200600_302600_NS10device_ptrIlEESB_jNS0_19identity_decomposerENS1_16block_id_wrapperIjLb0EEEEE10hipError_tT1_PNSt15iterator_traitsISG_E10value_typeET2_T3_PNSH_ISM_E10value_typeET4_T5_PSR_SS_PNS1_23onesweep_lookback_stateEbbT6_jjT7_P12ihipStream_tbENKUlT_T0_SG_SL_E_clIS7_S7_PlSB_EEDaSZ_S10_SG_SL_EUlSZ_E_NS1_11comp_targetILNS1_3genE9ELNS1_11target_archE1100ELNS1_3gpuE3ELNS1_3repE0EEENS1_47radix_sort_onesweep_sort_config_static_selectorELNS0_4arch9wavefront6targetE1EEEvSG_
                                        ; -- End function
	.set _ZN7rocprim17ROCPRIM_400000_NS6detail17trampoline_kernelINS0_14default_configENS1_35radix_sort_onesweep_config_selectorIslEEZZNS1_29radix_sort_onesweep_iterationIS3_Lb0EPsS7_N6thrust23THRUST_200600_302600_NS10device_ptrIlEESB_jNS0_19identity_decomposerENS1_16block_id_wrapperIjLb0EEEEE10hipError_tT1_PNSt15iterator_traitsISG_E10value_typeET2_T3_PNSH_ISM_E10value_typeET4_T5_PSR_SS_PNS1_23onesweep_lookback_stateEbbT6_jjT7_P12ihipStream_tbENKUlT_T0_SG_SL_E_clIS7_S7_PlSB_EEDaSZ_S10_SG_SL_EUlSZ_E_NS1_11comp_targetILNS1_3genE9ELNS1_11target_archE1100ELNS1_3gpuE3ELNS1_3repE0EEENS1_47radix_sort_onesweep_sort_config_static_selectorELNS0_4arch9wavefront6targetE1EEEvSG_.num_vgpr, 0
	.set _ZN7rocprim17ROCPRIM_400000_NS6detail17trampoline_kernelINS0_14default_configENS1_35radix_sort_onesweep_config_selectorIslEEZZNS1_29radix_sort_onesweep_iterationIS3_Lb0EPsS7_N6thrust23THRUST_200600_302600_NS10device_ptrIlEESB_jNS0_19identity_decomposerENS1_16block_id_wrapperIjLb0EEEEE10hipError_tT1_PNSt15iterator_traitsISG_E10value_typeET2_T3_PNSH_ISM_E10value_typeET4_T5_PSR_SS_PNS1_23onesweep_lookback_stateEbbT6_jjT7_P12ihipStream_tbENKUlT_T0_SG_SL_E_clIS7_S7_PlSB_EEDaSZ_S10_SG_SL_EUlSZ_E_NS1_11comp_targetILNS1_3genE9ELNS1_11target_archE1100ELNS1_3gpuE3ELNS1_3repE0EEENS1_47radix_sort_onesweep_sort_config_static_selectorELNS0_4arch9wavefront6targetE1EEEvSG_.num_agpr, 0
	.set _ZN7rocprim17ROCPRIM_400000_NS6detail17trampoline_kernelINS0_14default_configENS1_35radix_sort_onesweep_config_selectorIslEEZZNS1_29radix_sort_onesweep_iterationIS3_Lb0EPsS7_N6thrust23THRUST_200600_302600_NS10device_ptrIlEESB_jNS0_19identity_decomposerENS1_16block_id_wrapperIjLb0EEEEE10hipError_tT1_PNSt15iterator_traitsISG_E10value_typeET2_T3_PNSH_ISM_E10value_typeET4_T5_PSR_SS_PNS1_23onesweep_lookback_stateEbbT6_jjT7_P12ihipStream_tbENKUlT_T0_SG_SL_E_clIS7_S7_PlSB_EEDaSZ_S10_SG_SL_EUlSZ_E_NS1_11comp_targetILNS1_3genE9ELNS1_11target_archE1100ELNS1_3gpuE3ELNS1_3repE0EEENS1_47radix_sort_onesweep_sort_config_static_selectorELNS0_4arch9wavefront6targetE1EEEvSG_.numbered_sgpr, 0
	.set _ZN7rocprim17ROCPRIM_400000_NS6detail17trampoline_kernelINS0_14default_configENS1_35radix_sort_onesweep_config_selectorIslEEZZNS1_29radix_sort_onesweep_iterationIS3_Lb0EPsS7_N6thrust23THRUST_200600_302600_NS10device_ptrIlEESB_jNS0_19identity_decomposerENS1_16block_id_wrapperIjLb0EEEEE10hipError_tT1_PNSt15iterator_traitsISG_E10value_typeET2_T3_PNSH_ISM_E10value_typeET4_T5_PSR_SS_PNS1_23onesweep_lookback_stateEbbT6_jjT7_P12ihipStream_tbENKUlT_T0_SG_SL_E_clIS7_S7_PlSB_EEDaSZ_S10_SG_SL_EUlSZ_E_NS1_11comp_targetILNS1_3genE9ELNS1_11target_archE1100ELNS1_3gpuE3ELNS1_3repE0EEENS1_47radix_sort_onesweep_sort_config_static_selectorELNS0_4arch9wavefront6targetE1EEEvSG_.num_named_barrier, 0
	.set _ZN7rocprim17ROCPRIM_400000_NS6detail17trampoline_kernelINS0_14default_configENS1_35radix_sort_onesweep_config_selectorIslEEZZNS1_29radix_sort_onesweep_iterationIS3_Lb0EPsS7_N6thrust23THRUST_200600_302600_NS10device_ptrIlEESB_jNS0_19identity_decomposerENS1_16block_id_wrapperIjLb0EEEEE10hipError_tT1_PNSt15iterator_traitsISG_E10value_typeET2_T3_PNSH_ISM_E10value_typeET4_T5_PSR_SS_PNS1_23onesweep_lookback_stateEbbT6_jjT7_P12ihipStream_tbENKUlT_T0_SG_SL_E_clIS7_S7_PlSB_EEDaSZ_S10_SG_SL_EUlSZ_E_NS1_11comp_targetILNS1_3genE9ELNS1_11target_archE1100ELNS1_3gpuE3ELNS1_3repE0EEENS1_47radix_sort_onesweep_sort_config_static_selectorELNS0_4arch9wavefront6targetE1EEEvSG_.private_seg_size, 0
	.set _ZN7rocprim17ROCPRIM_400000_NS6detail17trampoline_kernelINS0_14default_configENS1_35radix_sort_onesweep_config_selectorIslEEZZNS1_29radix_sort_onesweep_iterationIS3_Lb0EPsS7_N6thrust23THRUST_200600_302600_NS10device_ptrIlEESB_jNS0_19identity_decomposerENS1_16block_id_wrapperIjLb0EEEEE10hipError_tT1_PNSt15iterator_traitsISG_E10value_typeET2_T3_PNSH_ISM_E10value_typeET4_T5_PSR_SS_PNS1_23onesweep_lookback_stateEbbT6_jjT7_P12ihipStream_tbENKUlT_T0_SG_SL_E_clIS7_S7_PlSB_EEDaSZ_S10_SG_SL_EUlSZ_E_NS1_11comp_targetILNS1_3genE9ELNS1_11target_archE1100ELNS1_3gpuE3ELNS1_3repE0EEENS1_47radix_sort_onesweep_sort_config_static_selectorELNS0_4arch9wavefront6targetE1EEEvSG_.uses_vcc, 0
	.set _ZN7rocprim17ROCPRIM_400000_NS6detail17trampoline_kernelINS0_14default_configENS1_35radix_sort_onesweep_config_selectorIslEEZZNS1_29radix_sort_onesweep_iterationIS3_Lb0EPsS7_N6thrust23THRUST_200600_302600_NS10device_ptrIlEESB_jNS0_19identity_decomposerENS1_16block_id_wrapperIjLb0EEEEE10hipError_tT1_PNSt15iterator_traitsISG_E10value_typeET2_T3_PNSH_ISM_E10value_typeET4_T5_PSR_SS_PNS1_23onesweep_lookback_stateEbbT6_jjT7_P12ihipStream_tbENKUlT_T0_SG_SL_E_clIS7_S7_PlSB_EEDaSZ_S10_SG_SL_EUlSZ_E_NS1_11comp_targetILNS1_3genE9ELNS1_11target_archE1100ELNS1_3gpuE3ELNS1_3repE0EEENS1_47radix_sort_onesweep_sort_config_static_selectorELNS0_4arch9wavefront6targetE1EEEvSG_.uses_flat_scratch, 0
	.set _ZN7rocprim17ROCPRIM_400000_NS6detail17trampoline_kernelINS0_14default_configENS1_35radix_sort_onesweep_config_selectorIslEEZZNS1_29radix_sort_onesweep_iterationIS3_Lb0EPsS7_N6thrust23THRUST_200600_302600_NS10device_ptrIlEESB_jNS0_19identity_decomposerENS1_16block_id_wrapperIjLb0EEEEE10hipError_tT1_PNSt15iterator_traitsISG_E10value_typeET2_T3_PNSH_ISM_E10value_typeET4_T5_PSR_SS_PNS1_23onesweep_lookback_stateEbbT6_jjT7_P12ihipStream_tbENKUlT_T0_SG_SL_E_clIS7_S7_PlSB_EEDaSZ_S10_SG_SL_EUlSZ_E_NS1_11comp_targetILNS1_3genE9ELNS1_11target_archE1100ELNS1_3gpuE3ELNS1_3repE0EEENS1_47radix_sort_onesweep_sort_config_static_selectorELNS0_4arch9wavefront6targetE1EEEvSG_.has_dyn_sized_stack, 0
	.set _ZN7rocprim17ROCPRIM_400000_NS6detail17trampoline_kernelINS0_14default_configENS1_35radix_sort_onesweep_config_selectorIslEEZZNS1_29radix_sort_onesweep_iterationIS3_Lb0EPsS7_N6thrust23THRUST_200600_302600_NS10device_ptrIlEESB_jNS0_19identity_decomposerENS1_16block_id_wrapperIjLb0EEEEE10hipError_tT1_PNSt15iterator_traitsISG_E10value_typeET2_T3_PNSH_ISM_E10value_typeET4_T5_PSR_SS_PNS1_23onesweep_lookback_stateEbbT6_jjT7_P12ihipStream_tbENKUlT_T0_SG_SL_E_clIS7_S7_PlSB_EEDaSZ_S10_SG_SL_EUlSZ_E_NS1_11comp_targetILNS1_3genE9ELNS1_11target_archE1100ELNS1_3gpuE3ELNS1_3repE0EEENS1_47radix_sort_onesweep_sort_config_static_selectorELNS0_4arch9wavefront6targetE1EEEvSG_.has_recursion, 0
	.set _ZN7rocprim17ROCPRIM_400000_NS6detail17trampoline_kernelINS0_14default_configENS1_35radix_sort_onesweep_config_selectorIslEEZZNS1_29radix_sort_onesweep_iterationIS3_Lb0EPsS7_N6thrust23THRUST_200600_302600_NS10device_ptrIlEESB_jNS0_19identity_decomposerENS1_16block_id_wrapperIjLb0EEEEE10hipError_tT1_PNSt15iterator_traitsISG_E10value_typeET2_T3_PNSH_ISM_E10value_typeET4_T5_PSR_SS_PNS1_23onesweep_lookback_stateEbbT6_jjT7_P12ihipStream_tbENKUlT_T0_SG_SL_E_clIS7_S7_PlSB_EEDaSZ_S10_SG_SL_EUlSZ_E_NS1_11comp_targetILNS1_3genE9ELNS1_11target_archE1100ELNS1_3gpuE3ELNS1_3repE0EEENS1_47radix_sort_onesweep_sort_config_static_selectorELNS0_4arch9wavefront6targetE1EEEvSG_.has_indirect_call, 0
	.section	.AMDGPU.csdata,"",@progbits
; Kernel info:
; codeLenInByte = 0
; TotalNumSgprs: 4
; NumVgprs: 0
; ScratchSize: 0
; MemoryBound: 0
; FloatMode: 240
; IeeeMode: 1
; LDSByteSize: 0 bytes/workgroup (compile time only)
; SGPRBlocks: 0
; VGPRBlocks: 0
; NumSGPRsForWavesPerEU: 4
; NumVGPRsForWavesPerEU: 1
; Occupancy: 10
; WaveLimiterHint : 0
; COMPUTE_PGM_RSRC2:SCRATCH_EN: 0
; COMPUTE_PGM_RSRC2:USER_SGPR: 6
; COMPUTE_PGM_RSRC2:TRAP_HANDLER: 0
; COMPUTE_PGM_RSRC2:TGID_X_EN: 1
; COMPUTE_PGM_RSRC2:TGID_Y_EN: 0
; COMPUTE_PGM_RSRC2:TGID_Z_EN: 0
; COMPUTE_PGM_RSRC2:TIDIG_COMP_CNT: 0
	.section	.text._ZN7rocprim17ROCPRIM_400000_NS6detail17trampoline_kernelINS0_14default_configENS1_35radix_sort_onesweep_config_selectorIslEEZZNS1_29radix_sort_onesweep_iterationIS3_Lb0EPsS7_N6thrust23THRUST_200600_302600_NS10device_ptrIlEESB_jNS0_19identity_decomposerENS1_16block_id_wrapperIjLb0EEEEE10hipError_tT1_PNSt15iterator_traitsISG_E10value_typeET2_T3_PNSH_ISM_E10value_typeET4_T5_PSR_SS_PNS1_23onesweep_lookback_stateEbbT6_jjT7_P12ihipStream_tbENKUlT_T0_SG_SL_E_clIS7_S7_PlSB_EEDaSZ_S10_SG_SL_EUlSZ_E_NS1_11comp_targetILNS1_3genE8ELNS1_11target_archE1030ELNS1_3gpuE2ELNS1_3repE0EEENS1_47radix_sort_onesweep_sort_config_static_selectorELNS0_4arch9wavefront6targetE1EEEvSG_,"axG",@progbits,_ZN7rocprim17ROCPRIM_400000_NS6detail17trampoline_kernelINS0_14default_configENS1_35radix_sort_onesweep_config_selectorIslEEZZNS1_29radix_sort_onesweep_iterationIS3_Lb0EPsS7_N6thrust23THRUST_200600_302600_NS10device_ptrIlEESB_jNS0_19identity_decomposerENS1_16block_id_wrapperIjLb0EEEEE10hipError_tT1_PNSt15iterator_traitsISG_E10value_typeET2_T3_PNSH_ISM_E10value_typeET4_T5_PSR_SS_PNS1_23onesweep_lookback_stateEbbT6_jjT7_P12ihipStream_tbENKUlT_T0_SG_SL_E_clIS7_S7_PlSB_EEDaSZ_S10_SG_SL_EUlSZ_E_NS1_11comp_targetILNS1_3genE8ELNS1_11target_archE1030ELNS1_3gpuE2ELNS1_3repE0EEENS1_47radix_sort_onesweep_sort_config_static_selectorELNS0_4arch9wavefront6targetE1EEEvSG_,comdat
	.protected	_ZN7rocprim17ROCPRIM_400000_NS6detail17trampoline_kernelINS0_14default_configENS1_35radix_sort_onesweep_config_selectorIslEEZZNS1_29radix_sort_onesweep_iterationIS3_Lb0EPsS7_N6thrust23THRUST_200600_302600_NS10device_ptrIlEESB_jNS0_19identity_decomposerENS1_16block_id_wrapperIjLb0EEEEE10hipError_tT1_PNSt15iterator_traitsISG_E10value_typeET2_T3_PNSH_ISM_E10value_typeET4_T5_PSR_SS_PNS1_23onesweep_lookback_stateEbbT6_jjT7_P12ihipStream_tbENKUlT_T0_SG_SL_E_clIS7_S7_PlSB_EEDaSZ_S10_SG_SL_EUlSZ_E_NS1_11comp_targetILNS1_3genE8ELNS1_11target_archE1030ELNS1_3gpuE2ELNS1_3repE0EEENS1_47radix_sort_onesweep_sort_config_static_selectorELNS0_4arch9wavefront6targetE1EEEvSG_ ; -- Begin function _ZN7rocprim17ROCPRIM_400000_NS6detail17trampoline_kernelINS0_14default_configENS1_35radix_sort_onesweep_config_selectorIslEEZZNS1_29radix_sort_onesweep_iterationIS3_Lb0EPsS7_N6thrust23THRUST_200600_302600_NS10device_ptrIlEESB_jNS0_19identity_decomposerENS1_16block_id_wrapperIjLb0EEEEE10hipError_tT1_PNSt15iterator_traitsISG_E10value_typeET2_T3_PNSH_ISM_E10value_typeET4_T5_PSR_SS_PNS1_23onesweep_lookback_stateEbbT6_jjT7_P12ihipStream_tbENKUlT_T0_SG_SL_E_clIS7_S7_PlSB_EEDaSZ_S10_SG_SL_EUlSZ_E_NS1_11comp_targetILNS1_3genE8ELNS1_11target_archE1030ELNS1_3gpuE2ELNS1_3repE0EEENS1_47radix_sort_onesweep_sort_config_static_selectorELNS0_4arch9wavefront6targetE1EEEvSG_
	.globl	_ZN7rocprim17ROCPRIM_400000_NS6detail17trampoline_kernelINS0_14default_configENS1_35radix_sort_onesweep_config_selectorIslEEZZNS1_29radix_sort_onesweep_iterationIS3_Lb0EPsS7_N6thrust23THRUST_200600_302600_NS10device_ptrIlEESB_jNS0_19identity_decomposerENS1_16block_id_wrapperIjLb0EEEEE10hipError_tT1_PNSt15iterator_traitsISG_E10value_typeET2_T3_PNSH_ISM_E10value_typeET4_T5_PSR_SS_PNS1_23onesweep_lookback_stateEbbT6_jjT7_P12ihipStream_tbENKUlT_T0_SG_SL_E_clIS7_S7_PlSB_EEDaSZ_S10_SG_SL_EUlSZ_E_NS1_11comp_targetILNS1_3genE8ELNS1_11target_archE1030ELNS1_3gpuE2ELNS1_3repE0EEENS1_47radix_sort_onesweep_sort_config_static_selectorELNS0_4arch9wavefront6targetE1EEEvSG_
	.p2align	8
	.type	_ZN7rocprim17ROCPRIM_400000_NS6detail17trampoline_kernelINS0_14default_configENS1_35radix_sort_onesweep_config_selectorIslEEZZNS1_29radix_sort_onesweep_iterationIS3_Lb0EPsS7_N6thrust23THRUST_200600_302600_NS10device_ptrIlEESB_jNS0_19identity_decomposerENS1_16block_id_wrapperIjLb0EEEEE10hipError_tT1_PNSt15iterator_traitsISG_E10value_typeET2_T3_PNSH_ISM_E10value_typeET4_T5_PSR_SS_PNS1_23onesweep_lookback_stateEbbT6_jjT7_P12ihipStream_tbENKUlT_T0_SG_SL_E_clIS7_S7_PlSB_EEDaSZ_S10_SG_SL_EUlSZ_E_NS1_11comp_targetILNS1_3genE8ELNS1_11target_archE1030ELNS1_3gpuE2ELNS1_3repE0EEENS1_47radix_sort_onesweep_sort_config_static_selectorELNS0_4arch9wavefront6targetE1EEEvSG_,@function
_ZN7rocprim17ROCPRIM_400000_NS6detail17trampoline_kernelINS0_14default_configENS1_35radix_sort_onesweep_config_selectorIslEEZZNS1_29radix_sort_onesweep_iterationIS3_Lb0EPsS7_N6thrust23THRUST_200600_302600_NS10device_ptrIlEESB_jNS0_19identity_decomposerENS1_16block_id_wrapperIjLb0EEEEE10hipError_tT1_PNSt15iterator_traitsISG_E10value_typeET2_T3_PNSH_ISM_E10value_typeET4_T5_PSR_SS_PNS1_23onesweep_lookback_stateEbbT6_jjT7_P12ihipStream_tbENKUlT_T0_SG_SL_E_clIS7_S7_PlSB_EEDaSZ_S10_SG_SL_EUlSZ_E_NS1_11comp_targetILNS1_3genE8ELNS1_11target_archE1030ELNS1_3gpuE2ELNS1_3repE0EEENS1_47radix_sort_onesweep_sort_config_static_selectorELNS0_4arch9wavefront6targetE1EEEvSG_: ; @_ZN7rocprim17ROCPRIM_400000_NS6detail17trampoline_kernelINS0_14default_configENS1_35radix_sort_onesweep_config_selectorIslEEZZNS1_29radix_sort_onesweep_iterationIS3_Lb0EPsS7_N6thrust23THRUST_200600_302600_NS10device_ptrIlEESB_jNS0_19identity_decomposerENS1_16block_id_wrapperIjLb0EEEEE10hipError_tT1_PNSt15iterator_traitsISG_E10value_typeET2_T3_PNSH_ISM_E10value_typeET4_T5_PSR_SS_PNS1_23onesweep_lookback_stateEbbT6_jjT7_P12ihipStream_tbENKUlT_T0_SG_SL_E_clIS7_S7_PlSB_EEDaSZ_S10_SG_SL_EUlSZ_E_NS1_11comp_targetILNS1_3genE8ELNS1_11target_archE1030ELNS1_3gpuE2ELNS1_3repE0EEENS1_47radix_sort_onesweep_sort_config_static_selectorELNS0_4arch9wavefront6targetE1EEEvSG_
; %bb.0:
	.section	.rodata,"a",@progbits
	.p2align	6, 0x0
	.amdhsa_kernel _ZN7rocprim17ROCPRIM_400000_NS6detail17trampoline_kernelINS0_14default_configENS1_35radix_sort_onesweep_config_selectorIslEEZZNS1_29radix_sort_onesweep_iterationIS3_Lb0EPsS7_N6thrust23THRUST_200600_302600_NS10device_ptrIlEESB_jNS0_19identity_decomposerENS1_16block_id_wrapperIjLb0EEEEE10hipError_tT1_PNSt15iterator_traitsISG_E10value_typeET2_T3_PNSH_ISM_E10value_typeET4_T5_PSR_SS_PNS1_23onesweep_lookback_stateEbbT6_jjT7_P12ihipStream_tbENKUlT_T0_SG_SL_E_clIS7_S7_PlSB_EEDaSZ_S10_SG_SL_EUlSZ_E_NS1_11comp_targetILNS1_3genE8ELNS1_11target_archE1030ELNS1_3gpuE2ELNS1_3repE0EEENS1_47radix_sort_onesweep_sort_config_static_selectorELNS0_4arch9wavefront6targetE1EEEvSG_
		.amdhsa_group_segment_fixed_size 0
		.amdhsa_private_segment_fixed_size 0
		.amdhsa_kernarg_size 88
		.amdhsa_user_sgpr_count 6
		.amdhsa_user_sgpr_private_segment_buffer 1
		.amdhsa_user_sgpr_dispatch_ptr 0
		.amdhsa_user_sgpr_queue_ptr 0
		.amdhsa_user_sgpr_kernarg_segment_ptr 1
		.amdhsa_user_sgpr_dispatch_id 0
		.amdhsa_user_sgpr_flat_scratch_init 0
		.amdhsa_user_sgpr_private_segment_size 0
		.amdhsa_uses_dynamic_stack 0
		.amdhsa_system_sgpr_private_segment_wavefront_offset 0
		.amdhsa_system_sgpr_workgroup_id_x 1
		.amdhsa_system_sgpr_workgroup_id_y 0
		.amdhsa_system_sgpr_workgroup_id_z 0
		.amdhsa_system_sgpr_workgroup_info 0
		.amdhsa_system_vgpr_workitem_id 0
		.amdhsa_next_free_vgpr 1
		.amdhsa_next_free_sgpr 0
		.amdhsa_reserve_vcc 0
		.amdhsa_reserve_flat_scratch 0
		.amdhsa_float_round_mode_32 0
		.amdhsa_float_round_mode_16_64 0
		.amdhsa_float_denorm_mode_32 3
		.amdhsa_float_denorm_mode_16_64 3
		.amdhsa_dx10_clamp 1
		.amdhsa_ieee_mode 1
		.amdhsa_fp16_overflow 0
		.amdhsa_exception_fp_ieee_invalid_op 0
		.amdhsa_exception_fp_denorm_src 0
		.amdhsa_exception_fp_ieee_div_zero 0
		.amdhsa_exception_fp_ieee_overflow 0
		.amdhsa_exception_fp_ieee_underflow 0
		.amdhsa_exception_fp_ieee_inexact 0
		.amdhsa_exception_int_div_zero 0
	.end_amdhsa_kernel
	.section	.text._ZN7rocprim17ROCPRIM_400000_NS6detail17trampoline_kernelINS0_14default_configENS1_35radix_sort_onesweep_config_selectorIslEEZZNS1_29radix_sort_onesweep_iterationIS3_Lb0EPsS7_N6thrust23THRUST_200600_302600_NS10device_ptrIlEESB_jNS0_19identity_decomposerENS1_16block_id_wrapperIjLb0EEEEE10hipError_tT1_PNSt15iterator_traitsISG_E10value_typeET2_T3_PNSH_ISM_E10value_typeET4_T5_PSR_SS_PNS1_23onesweep_lookback_stateEbbT6_jjT7_P12ihipStream_tbENKUlT_T0_SG_SL_E_clIS7_S7_PlSB_EEDaSZ_S10_SG_SL_EUlSZ_E_NS1_11comp_targetILNS1_3genE8ELNS1_11target_archE1030ELNS1_3gpuE2ELNS1_3repE0EEENS1_47radix_sort_onesweep_sort_config_static_selectorELNS0_4arch9wavefront6targetE1EEEvSG_,"axG",@progbits,_ZN7rocprim17ROCPRIM_400000_NS6detail17trampoline_kernelINS0_14default_configENS1_35radix_sort_onesweep_config_selectorIslEEZZNS1_29radix_sort_onesweep_iterationIS3_Lb0EPsS7_N6thrust23THRUST_200600_302600_NS10device_ptrIlEESB_jNS0_19identity_decomposerENS1_16block_id_wrapperIjLb0EEEEE10hipError_tT1_PNSt15iterator_traitsISG_E10value_typeET2_T3_PNSH_ISM_E10value_typeET4_T5_PSR_SS_PNS1_23onesweep_lookback_stateEbbT6_jjT7_P12ihipStream_tbENKUlT_T0_SG_SL_E_clIS7_S7_PlSB_EEDaSZ_S10_SG_SL_EUlSZ_E_NS1_11comp_targetILNS1_3genE8ELNS1_11target_archE1030ELNS1_3gpuE2ELNS1_3repE0EEENS1_47radix_sort_onesweep_sort_config_static_selectorELNS0_4arch9wavefront6targetE1EEEvSG_,comdat
.Lfunc_end1451:
	.size	_ZN7rocprim17ROCPRIM_400000_NS6detail17trampoline_kernelINS0_14default_configENS1_35radix_sort_onesweep_config_selectorIslEEZZNS1_29radix_sort_onesweep_iterationIS3_Lb0EPsS7_N6thrust23THRUST_200600_302600_NS10device_ptrIlEESB_jNS0_19identity_decomposerENS1_16block_id_wrapperIjLb0EEEEE10hipError_tT1_PNSt15iterator_traitsISG_E10value_typeET2_T3_PNSH_ISM_E10value_typeET4_T5_PSR_SS_PNS1_23onesweep_lookback_stateEbbT6_jjT7_P12ihipStream_tbENKUlT_T0_SG_SL_E_clIS7_S7_PlSB_EEDaSZ_S10_SG_SL_EUlSZ_E_NS1_11comp_targetILNS1_3genE8ELNS1_11target_archE1030ELNS1_3gpuE2ELNS1_3repE0EEENS1_47radix_sort_onesweep_sort_config_static_selectorELNS0_4arch9wavefront6targetE1EEEvSG_, .Lfunc_end1451-_ZN7rocprim17ROCPRIM_400000_NS6detail17trampoline_kernelINS0_14default_configENS1_35radix_sort_onesweep_config_selectorIslEEZZNS1_29radix_sort_onesweep_iterationIS3_Lb0EPsS7_N6thrust23THRUST_200600_302600_NS10device_ptrIlEESB_jNS0_19identity_decomposerENS1_16block_id_wrapperIjLb0EEEEE10hipError_tT1_PNSt15iterator_traitsISG_E10value_typeET2_T3_PNSH_ISM_E10value_typeET4_T5_PSR_SS_PNS1_23onesweep_lookback_stateEbbT6_jjT7_P12ihipStream_tbENKUlT_T0_SG_SL_E_clIS7_S7_PlSB_EEDaSZ_S10_SG_SL_EUlSZ_E_NS1_11comp_targetILNS1_3genE8ELNS1_11target_archE1030ELNS1_3gpuE2ELNS1_3repE0EEENS1_47radix_sort_onesweep_sort_config_static_selectorELNS0_4arch9wavefront6targetE1EEEvSG_
                                        ; -- End function
	.set _ZN7rocprim17ROCPRIM_400000_NS6detail17trampoline_kernelINS0_14default_configENS1_35radix_sort_onesweep_config_selectorIslEEZZNS1_29radix_sort_onesweep_iterationIS3_Lb0EPsS7_N6thrust23THRUST_200600_302600_NS10device_ptrIlEESB_jNS0_19identity_decomposerENS1_16block_id_wrapperIjLb0EEEEE10hipError_tT1_PNSt15iterator_traitsISG_E10value_typeET2_T3_PNSH_ISM_E10value_typeET4_T5_PSR_SS_PNS1_23onesweep_lookback_stateEbbT6_jjT7_P12ihipStream_tbENKUlT_T0_SG_SL_E_clIS7_S7_PlSB_EEDaSZ_S10_SG_SL_EUlSZ_E_NS1_11comp_targetILNS1_3genE8ELNS1_11target_archE1030ELNS1_3gpuE2ELNS1_3repE0EEENS1_47radix_sort_onesweep_sort_config_static_selectorELNS0_4arch9wavefront6targetE1EEEvSG_.num_vgpr, 0
	.set _ZN7rocprim17ROCPRIM_400000_NS6detail17trampoline_kernelINS0_14default_configENS1_35radix_sort_onesweep_config_selectorIslEEZZNS1_29radix_sort_onesweep_iterationIS3_Lb0EPsS7_N6thrust23THRUST_200600_302600_NS10device_ptrIlEESB_jNS0_19identity_decomposerENS1_16block_id_wrapperIjLb0EEEEE10hipError_tT1_PNSt15iterator_traitsISG_E10value_typeET2_T3_PNSH_ISM_E10value_typeET4_T5_PSR_SS_PNS1_23onesweep_lookback_stateEbbT6_jjT7_P12ihipStream_tbENKUlT_T0_SG_SL_E_clIS7_S7_PlSB_EEDaSZ_S10_SG_SL_EUlSZ_E_NS1_11comp_targetILNS1_3genE8ELNS1_11target_archE1030ELNS1_3gpuE2ELNS1_3repE0EEENS1_47radix_sort_onesweep_sort_config_static_selectorELNS0_4arch9wavefront6targetE1EEEvSG_.num_agpr, 0
	.set _ZN7rocprim17ROCPRIM_400000_NS6detail17trampoline_kernelINS0_14default_configENS1_35radix_sort_onesweep_config_selectorIslEEZZNS1_29radix_sort_onesweep_iterationIS3_Lb0EPsS7_N6thrust23THRUST_200600_302600_NS10device_ptrIlEESB_jNS0_19identity_decomposerENS1_16block_id_wrapperIjLb0EEEEE10hipError_tT1_PNSt15iterator_traitsISG_E10value_typeET2_T3_PNSH_ISM_E10value_typeET4_T5_PSR_SS_PNS1_23onesweep_lookback_stateEbbT6_jjT7_P12ihipStream_tbENKUlT_T0_SG_SL_E_clIS7_S7_PlSB_EEDaSZ_S10_SG_SL_EUlSZ_E_NS1_11comp_targetILNS1_3genE8ELNS1_11target_archE1030ELNS1_3gpuE2ELNS1_3repE0EEENS1_47radix_sort_onesweep_sort_config_static_selectorELNS0_4arch9wavefront6targetE1EEEvSG_.numbered_sgpr, 0
	.set _ZN7rocprim17ROCPRIM_400000_NS6detail17trampoline_kernelINS0_14default_configENS1_35radix_sort_onesweep_config_selectorIslEEZZNS1_29radix_sort_onesweep_iterationIS3_Lb0EPsS7_N6thrust23THRUST_200600_302600_NS10device_ptrIlEESB_jNS0_19identity_decomposerENS1_16block_id_wrapperIjLb0EEEEE10hipError_tT1_PNSt15iterator_traitsISG_E10value_typeET2_T3_PNSH_ISM_E10value_typeET4_T5_PSR_SS_PNS1_23onesweep_lookback_stateEbbT6_jjT7_P12ihipStream_tbENKUlT_T0_SG_SL_E_clIS7_S7_PlSB_EEDaSZ_S10_SG_SL_EUlSZ_E_NS1_11comp_targetILNS1_3genE8ELNS1_11target_archE1030ELNS1_3gpuE2ELNS1_3repE0EEENS1_47radix_sort_onesweep_sort_config_static_selectorELNS0_4arch9wavefront6targetE1EEEvSG_.num_named_barrier, 0
	.set _ZN7rocprim17ROCPRIM_400000_NS6detail17trampoline_kernelINS0_14default_configENS1_35radix_sort_onesweep_config_selectorIslEEZZNS1_29radix_sort_onesweep_iterationIS3_Lb0EPsS7_N6thrust23THRUST_200600_302600_NS10device_ptrIlEESB_jNS0_19identity_decomposerENS1_16block_id_wrapperIjLb0EEEEE10hipError_tT1_PNSt15iterator_traitsISG_E10value_typeET2_T3_PNSH_ISM_E10value_typeET4_T5_PSR_SS_PNS1_23onesweep_lookback_stateEbbT6_jjT7_P12ihipStream_tbENKUlT_T0_SG_SL_E_clIS7_S7_PlSB_EEDaSZ_S10_SG_SL_EUlSZ_E_NS1_11comp_targetILNS1_3genE8ELNS1_11target_archE1030ELNS1_3gpuE2ELNS1_3repE0EEENS1_47radix_sort_onesweep_sort_config_static_selectorELNS0_4arch9wavefront6targetE1EEEvSG_.private_seg_size, 0
	.set _ZN7rocprim17ROCPRIM_400000_NS6detail17trampoline_kernelINS0_14default_configENS1_35radix_sort_onesweep_config_selectorIslEEZZNS1_29radix_sort_onesweep_iterationIS3_Lb0EPsS7_N6thrust23THRUST_200600_302600_NS10device_ptrIlEESB_jNS0_19identity_decomposerENS1_16block_id_wrapperIjLb0EEEEE10hipError_tT1_PNSt15iterator_traitsISG_E10value_typeET2_T3_PNSH_ISM_E10value_typeET4_T5_PSR_SS_PNS1_23onesweep_lookback_stateEbbT6_jjT7_P12ihipStream_tbENKUlT_T0_SG_SL_E_clIS7_S7_PlSB_EEDaSZ_S10_SG_SL_EUlSZ_E_NS1_11comp_targetILNS1_3genE8ELNS1_11target_archE1030ELNS1_3gpuE2ELNS1_3repE0EEENS1_47radix_sort_onesweep_sort_config_static_selectorELNS0_4arch9wavefront6targetE1EEEvSG_.uses_vcc, 0
	.set _ZN7rocprim17ROCPRIM_400000_NS6detail17trampoline_kernelINS0_14default_configENS1_35radix_sort_onesweep_config_selectorIslEEZZNS1_29radix_sort_onesweep_iterationIS3_Lb0EPsS7_N6thrust23THRUST_200600_302600_NS10device_ptrIlEESB_jNS0_19identity_decomposerENS1_16block_id_wrapperIjLb0EEEEE10hipError_tT1_PNSt15iterator_traitsISG_E10value_typeET2_T3_PNSH_ISM_E10value_typeET4_T5_PSR_SS_PNS1_23onesweep_lookback_stateEbbT6_jjT7_P12ihipStream_tbENKUlT_T0_SG_SL_E_clIS7_S7_PlSB_EEDaSZ_S10_SG_SL_EUlSZ_E_NS1_11comp_targetILNS1_3genE8ELNS1_11target_archE1030ELNS1_3gpuE2ELNS1_3repE0EEENS1_47radix_sort_onesweep_sort_config_static_selectorELNS0_4arch9wavefront6targetE1EEEvSG_.uses_flat_scratch, 0
	.set _ZN7rocprim17ROCPRIM_400000_NS6detail17trampoline_kernelINS0_14default_configENS1_35radix_sort_onesweep_config_selectorIslEEZZNS1_29radix_sort_onesweep_iterationIS3_Lb0EPsS7_N6thrust23THRUST_200600_302600_NS10device_ptrIlEESB_jNS0_19identity_decomposerENS1_16block_id_wrapperIjLb0EEEEE10hipError_tT1_PNSt15iterator_traitsISG_E10value_typeET2_T3_PNSH_ISM_E10value_typeET4_T5_PSR_SS_PNS1_23onesweep_lookback_stateEbbT6_jjT7_P12ihipStream_tbENKUlT_T0_SG_SL_E_clIS7_S7_PlSB_EEDaSZ_S10_SG_SL_EUlSZ_E_NS1_11comp_targetILNS1_3genE8ELNS1_11target_archE1030ELNS1_3gpuE2ELNS1_3repE0EEENS1_47radix_sort_onesweep_sort_config_static_selectorELNS0_4arch9wavefront6targetE1EEEvSG_.has_dyn_sized_stack, 0
	.set _ZN7rocprim17ROCPRIM_400000_NS6detail17trampoline_kernelINS0_14default_configENS1_35radix_sort_onesweep_config_selectorIslEEZZNS1_29radix_sort_onesweep_iterationIS3_Lb0EPsS7_N6thrust23THRUST_200600_302600_NS10device_ptrIlEESB_jNS0_19identity_decomposerENS1_16block_id_wrapperIjLb0EEEEE10hipError_tT1_PNSt15iterator_traitsISG_E10value_typeET2_T3_PNSH_ISM_E10value_typeET4_T5_PSR_SS_PNS1_23onesweep_lookback_stateEbbT6_jjT7_P12ihipStream_tbENKUlT_T0_SG_SL_E_clIS7_S7_PlSB_EEDaSZ_S10_SG_SL_EUlSZ_E_NS1_11comp_targetILNS1_3genE8ELNS1_11target_archE1030ELNS1_3gpuE2ELNS1_3repE0EEENS1_47radix_sort_onesweep_sort_config_static_selectorELNS0_4arch9wavefront6targetE1EEEvSG_.has_recursion, 0
	.set _ZN7rocprim17ROCPRIM_400000_NS6detail17trampoline_kernelINS0_14default_configENS1_35radix_sort_onesweep_config_selectorIslEEZZNS1_29radix_sort_onesweep_iterationIS3_Lb0EPsS7_N6thrust23THRUST_200600_302600_NS10device_ptrIlEESB_jNS0_19identity_decomposerENS1_16block_id_wrapperIjLb0EEEEE10hipError_tT1_PNSt15iterator_traitsISG_E10value_typeET2_T3_PNSH_ISM_E10value_typeET4_T5_PSR_SS_PNS1_23onesweep_lookback_stateEbbT6_jjT7_P12ihipStream_tbENKUlT_T0_SG_SL_E_clIS7_S7_PlSB_EEDaSZ_S10_SG_SL_EUlSZ_E_NS1_11comp_targetILNS1_3genE8ELNS1_11target_archE1030ELNS1_3gpuE2ELNS1_3repE0EEENS1_47radix_sort_onesweep_sort_config_static_selectorELNS0_4arch9wavefront6targetE1EEEvSG_.has_indirect_call, 0
	.section	.AMDGPU.csdata,"",@progbits
; Kernel info:
; codeLenInByte = 0
; TotalNumSgprs: 4
; NumVgprs: 0
; ScratchSize: 0
; MemoryBound: 0
; FloatMode: 240
; IeeeMode: 1
; LDSByteSize: 0 bytes/workgroup (compile time only)
; SGPRBlocks: 0
; VGPRBlocks: 0
; NumSGPRsForWavesPerEU: 4
; NumVGPRsForWavesPerEU: 1
; Occupancy: 10
; WaveLimiterHint : 0
; COMPUTE_PGM_RSRC2:SCRATCH_EN: 0
; COMPUTE_PGM_RSRC2:USER_SGPR: 6
; COMPUTE_PGM_RSRC2:TRAP_HANDLER: 0
; COMPUTE_PGM_RSRC2:TGID_X_EN: 1
; COMPUTE_PGM_RSRC2:TGID_Y_EN: 0
; COMPUTE_PGM_RSRC2:TGID_Z_EN: 0
; COMPUTE_PGM_RSRC2:TIDIG_COMP_CNT: 0
	.section	.text._ZN7rocprim17ROCPRIM_400000_NS6detail17trampoline_kernelINS0_14default_configENS1_22reduce_config_selectorIiEEZNS1_11reduce_implILb1ES3_N6thrust23THRUST_200600_302600_NS11hip_rocprim35transform_pair_of_input_iterators_tIiPsSB_NS8_12not_equal_toIsEEEEPiiNS8_4plusIiEEEE10hipError_tPvRmT1_T2_T3_mT4_P12ihipStream_tbEUlT_E0_NS1_11comp_targetILNS1_3genE0ELNS1_11target_archE4294967295ELNS1_3gpuE0ELNS1_3repE0EEENS1_30default_config_static_selectorELNS0_4arch9wavefront6targetE1EEEvSL_,"axG",@progbits,_ZN7rocprim17ROCPRIM_400000_NS6detail17trampoline_kernelINS0_14default_configENS1_22reduce_config_selectorIiEEZNS1_11reduce_implILb1ES3_N6thrust23THRUST_200600_302600_NS11hip_rocprim35transform_pair_of_input_iterators_tIiPsSB_NS8_12not_equal_toIsEEEEPiiNS8_4plusIiEEEE10hipError_tPvRmT1_T2_T3_mT4_P12ihipStream_tbEUlT_E0_NS1_11comp_targetILNS1_3genE0ELNS1_11target_archE4294967295ELNS1_3gpuE0ELNS1_3repE0EEENS1_30default_config_static_selectorELNS0_4arch9wavefront6targetE1EEEvSL_,comdat
	.protected	_ZN7rocprim17ROCPRIM_400000_NS6detail17trampoline_kernelINS0_14default_configENS1_22reduce_config_selectorIiEEZNS1_11reduce_implILb1ES3_N6thrust23THRUST_200600_302600_NS11hip_rocprim35transform_pair_of_input_iterators_tIiPsSB_NS8_12not_equal_toIsEEEEPiiNS8_4plusIiEEEE10hipError_tPvRmT1_T2_T3_mT4_P12ihipStream_tbEUlT_E0_NS1_11comp_targetILNS1_3genE0ELNS1_11target_archE4294967295ELNS1_3gpuE0ELNS1_3repE0EEENS1_30default_config_static_selectorELNS0_4arch9wavefront6targetE1EEEvSL_ ; -- Begin function _ZN7rocprim17ROCPRIM_400000_NS6detail17trampoline_kernelINS0_14default_configENS1_22reduce_config_selectorIiEEZNS1_11reduce_implILb1ES3_N6thrust23THRUST_200600_302600_NS11hip_rocprim35transform_pair_of_input_iterators_tIiPsSB_NS8_12not_equal_toIsEEEEPiiNS8_4plusIiEEEE10hipError_tPvRmT1_T2_T3_mT4_P12ihipStream_tbEUlT_E0_NS1_11comp_targetILNS1_3genE0ELNS1_11target_archE4294967295ELNS1_3gpuE0ELNS1_3repE0EEENS1_30default_config_static_selectorELNS0_4arch9wavefront6targetE1EEEvSL_
	.globl	_ZN7rocprim17ROCPRIM_400000_NS6detail17trampoline_kernelINS0_14default_configENS1_22reduce_config_selectorIiEEZNS1_11reduce_implILb1ES3_N6thrust23THRUST_200600_302600_NS11hip_rocprim35transform_pair_of_input_iterators_tIiPsSB_NS8_12not_equal_toIsEEEEPiiNS8_4plusIiEEEE10hipError_tPvRmT1_T2_T3_mT4_P12ihipStream_tbEUlT_E0_NS1_11comp_targetILNS1_3genE0ELNS1_11target_archE4294967295ELNS1_3gpuE0ELNS1_3repE0EEENS1_30default_config_static_selectorELNS0_4arch9wavefront6targetE1EEEvSL_
	.p2align	8
	.type	_ZN7rocprim17ROCPRIM_400000_NS6detail17trampoline_kernelINS0_14default_configENS1_22reduce_config_selectorIiEEZNS1_11reduce_implILb1ES3_N6thrust23THRUST_200600_302600_NS11hip_rocprim35transform_pair_of_input_iterators_tIiPsSB_NS8_12not_equal_toIsEEEEPiiNS8_4plusIiEEEE10hipError_tPvRmT1_T2_T3_mT4_P12ihipStream_tbEUlT_E0_NS1_11comp_targetILNS1_3genE0ELNS1_11target_archE4294967295ELNS1_3gpuE0ELNS1_3repE0EEENS1_30default_config_static_selectorELNS0_4arch9wavefront6targetE1EEEvSL_,@function
_ZN7rocprim17ROCPRIM_400000_NS6detail17trampoline_kernelINS0_14default_configENS1_22reduce_config_selectorIiEEZNS1_11reduce_implILb1ES3_N6thrust23THRUST_200600_302600_NS11hip_rocprim35transform_pair_of_input_iterators_tIiPsSB_NS8_12not_equal_toIsEEEEPiiNS8_4plusIiEEEE10hipError_tPvRmT1_T2_T3_mT4_P12ihipStream_tbEUlT_E0_NS1_11comp_targetILNS1_3genE0ELNS1_11target_archE4294967295ELNS1_3gpuE0ELNS1_3repE0EEENS1_30default_config_static_selectorELNS0_4arch9wavefront6targetE1EEEvSL_: ; @_ZN7rocprim17ROCPRIM_400000_NS6detail17trampoline_kernelINS0_14default_configENS1_22reduce_config_selectorIiEEZNS1_11reduce_implILb1ES3_N6thrust23THRUST_200600_302600_NS11hip_rocprim35transform_pair_of_input_iterators_tIiPsSB_NS8_12not_equal_toIsEEEEPiiNS8_4plusIiEEEE10hipError_tPvRmT1_T2_T3_mT4_P12ihipStream_tbEUlT_E0_NS1_11comp_targetILNS1_3genE0ELNS1_11target_archE4294967295ELNS1_3gpuE0ELNS1_3repE0EEENS1_30default_config_static_selectorELNS0_4arch9wavefront6targetE1EEEvSL_
; %bb.0:
	.section	.rodata,"a",@progbits
	.p2align	6, 0x0
	.amdhsa_kernel _ZN7rocprim17ROCPRIM_400000_NS6detail17trampoline_kernelINS0_14default_configENS1_22reduce_config_selectorIiEEZNS1_11reduce_implILb1ES3_N6thrust23THRUST_200600_302600_NS11hip_rocprim35transform_pair_of_input_iterators_tIiPsSB_NS8_12not_equal_toIsEEEEPiiNS8_4plusIiEEEE10hipError_tPvRmT1_T2_T3_mT4_P12ihipStream_tbEUlT_E0_NS1_11comp_targetILNS1_3genE0ELNS1_11target_archE4294967295ELNS1_3gpuE0ELNS1_3repE0EEENS1_30default_config_static_selectorELNS0_4arch9wavefront6targetE1EEEvSL_
		.amdhsa_group_segment_fixed_size 0
		.amdhsa_private_segment_fixed_size 0
		.amdhsa_kernarg_size 72
		.amdhsa_user_sgpr_count 6
		.amdhsa_user_sgpr_private_segment_buffer 1
		.amdhsa_user_sgpr_dispatch_ptr 0
		.amdhsa_user_sgpr_queue_ptr 0
		.amdhsa_user_sgpr_kernarg_segment_ptr 1
		.amdhsa_user_sgpr_dispatch_id 0
		.amdhsa_user_sgpr_flat_scratch_init 0
		.amdhsa_user_sgpr_private_segment_size 0
		.amdhsa_uses_dynamic_stack 0
		.amdhsa_system_sgpr_private_segment_wavefront_offset 0
		.amdhsa_system_sgpr_workgroup_id_x 1
		.amdhsa_system_sgpr_workgroup_id_y 0
		.amdhsa_system_sgpr_workgroup_id_z 0
		.amdhsa_system_sgpr_workgroup_info 0
		.amdhsa_system_vgpr_workitem_id 0
		.amdhsa_next_free_vgpr 1
		.amdhsa_next_free_sgpr 0
		.amdhsa_reserve_vcc 0
		.amdhsa_reserve_flat_scratch 0
		.amdhsa_float_round_mode_32 0
		.amdhsa_float_round_mode_16_64 0
		.amdhsa_float_denorm_mode_32 3
		.amdhsa_float_denorm_mode_16_64 3
		.amdhsa_dx10_clamp 1
		.amdhsa_ieee_mode 1
		.amdhsa_fp16_overflow 0
		.amdhsa_exception_fp_ieee_invalid_op 0
		.amdhsa_exception_fp_denorm_src 0
		.amdhsa_exception_fp_ieee_div_zero 0
		.amdhsa_exception_fp_ieee_overflow 0
		.amdhsa_exception_fp_ieee_underflow 0
		.amdhsa_exception_fp_ieee_inexact 0
		.amdhsa_exception_int_div_zero 0
	.end_amdhsa_kernel
	.section	.text._ZN7rocprim17ROCPRIM_400000_NS6detail17trampoline_kernelINS0_14default_configENS1_22reduce_config_selectorIiEEZNS1_11reduce_implILb1ES3_N6thrust23THRUST_200600_302600_NS11hip_rocprim35transform_pair_of_input_iterators_tIiPsSB_NS8_12not_equal_toIsEEEEPiiNS8_4plusIiEEEE10hipError_tPvRmT1_T2_T3_mT4_P12ihipStream_tbEUlT_E0_NS1_11comp_targetILNS1_3genE0ELNS1_11target_archE4294967295ELNS1_3gpuE0ELNS1_3repE0EEENS1_30default_config_static_selectorELNS0_4arch9wavefront6targetE1EEEvSL_,"axG",@progbits,_ZN7rocprim17ROCPRIM_400000_NS6detail17trampoline_kernelINS0_14default_configENS1_22reduce_config_selectorIiEEZNS1_11reduce_implILb1ES3_N6thrust23THRUST_200600_302600_NS11hip_rocprim35transform_pair_of_input_iterators_tIiPsSB_NS8_12not_equal_toIsEEEEPiiNS8_4plusIiEEEE10hipError_tPvRmT1_T2_T3_mT4_P12ihipStream_tbEUlT_E0_NS1_11comp_targetILNS1_3genE0ELNS1_11target_archE4294967295ELNS1_3gpuE0ELNS1_3repE0EEENS1_30default_config_static_selectorELNS0_4arch9wavefront6targetE1EEEvSL_,comdat
.Lfunc_end1452:
	.size	_ZN7rocprim17ROCPRIM_400000_NS6detail17trampoline_kernelINS0_14default_configENS1_22reduce_config_selectorIiEEZNS1_11reduce_implILb1ES3_N6thrust23THRUST_200600_302600_NS11hip_rocprim35transform_pair_of_input_iterators_tIiPsSB_NS8_12not_equal_toIsEEEEPiiNS8_4plusIiEEEE10hipError_tPvRmT1_T2_T3_mT4_P12ihipStream_tbEUlT_E0_NS1_11comp_targetILNS1_3genE0ELNS1_11target_archE4294967295ELNS1_3gpuE0ELNS1_3repE0EEENS1_30default_config_static_selectorELNS0_4arch9wavefront6targetE1EEEvSL_, .Lfunc_end1452-_ZN7rocprim17ROCPRIM_400000_NS6detail17trampoline_kernelINS0_14default_configENS1_22reduce_config_selectorIiEEZNS1_11reduce_implILb1ES3_N6thrust23THRUST_200600_302600_NS11hip_rocprim35transform_pair_of_input_iterators_tIiPsSB_NS8_12not_equal_toIsEEEEPiiNS8_4plusIiEEEE10hipError_tPvRmT1_T2_T3_mT4_P12ihipStream_tbEUlT_E0_NS1_11comp_targetILNS1_3genE0ELNS1_11target_archE4294967295ELNS1_3gpuE0ELNS1_3repE0EEENS1_30default_config_static_selectorELNS0_4arch9wavefront6targetE1EEEvSL_
                                        ; -- End function
	.set _ZN7rocprim17ROCPRIM_400000_NS6detail17trampoline_kernelINS0_14default_configENS1_22reduce_config_selectorIiEEZNS1_11reduce_implILb1ES3_N6thrust23THRUST_200600_302600_NS11hip_rocprim35transform_pair_of_input_iterators_tIiPsSB_NS8_12not_equal_toIsEEEEPiiNS8_4plusIiEEEE10hipError_tPvRmT1_T2_T3_mT4_P12ihipStream_tbEUlT_E0_NS1_11comp_targetILNS1_3genE0ELNS1_11target_archE4294967295ELNS1_3gpuE0ELNS1_3repE0EEENS1_30default_config_static_selectorELNS0_4arch9wavefront6targetE1EEEvSL_.num_vgpr, 0
	.set _ZN7rocprim17ROCPRIM_400000_NS6detail17trampoline_kernelINS0_14default_configENS1_22reduce_config_selectorIiEEZNS1_11reduce_implILb1ES3_N6thrust23THRUST_200600_302600_NS11hip_rocprim35transform_pair_of_input_iterators_tIiPsSB_NS8_12not_equal_toIsEEEEPiiNS8_4plusIiEEEE10hipError_tPvRmT1_T2_T3_mT4_P12ihipStream_tbEUlT_E0_NS1_11comp_targetILNS1_3genE0ELNS1_11target_archE4294967295ELNS1_3gpuE0ELNS1_3repE0EEENS1_30default_config_static_selectorELNS0_4arch9wavefront6targetE1EEEvSL_.num_agpr, 0
	.set _ZN7rocprim17ROCPRIM_400000_NS6detail17trampoline_kernelINS0_14default_configENS1_22reduce_config_selectorIiEEZNS1_11reduce_implILb1ES3_N6thrust23THRUST_200600_302600_NS11hip_rocprim35transform_pair_of_input_iterators_tIiPsSB_NS8_12not_equal_toIsEEEEPiiNS8_4plusIiEEEE10hipError_tPvRmT1_T2_T3_mT4_P12ihipStream_tbEUlT_E0_NS1_11comp_targetILNS1_3genE0ELNS1_11target_archE4294967295ELNS1_3gpuE0ELNS1_3repE0EEENS1_30default_config_static_selectorELNS0_4arch9wavefront6targetE1EEEvSL_.numbered_sgpr, 0
	.set _ZN7rocprim17ROCPRIM_400000_NS6detail17trampoline_kernelINS0_14default_configENS1_22reduce_config_selectorIiEEZNS1_11reduce_implILb1ES3_N6thrust23THRUST_200600_302600_NS11hip_rocprim35transform_pair_of_input_iterators_tIiPsSB_NS8_12not_equal_toIsEEEEPiiNS8_4plusIiEEEE10hipError_tPvRmT1_T2_T3_mT4_P12ihipStream_tbEUlT_E0_NS1_11comp_targetILNS1_3genE0ELNS1_11target_archE4294967295ELNS1_3gpuE0ELNS1_3repE0EEENS1_30default_config_static_selectorELNS0_4arch9wavefront6targetE1EEEvSL_.num_named_barrier, 0
	.set _ZN7rocprim17ROCPRIM_400000_NS6detail17trampoline_kernelINS0_14default_configENS1_22reduce_config_selectorIiEEZNS1_11reduce_implILb1ES3_N6thrust23THRUST_200600_302600_NS11hip_rocprim35transform_pair_of_input_iterators_tIiPsSB_NS8_12not_equal_toIsEEEEPiiNS8_4plusIiEEEE10hipError_tPvRmT1_T2_T3_mT4_P12ihipStream_tbEUlT_E0_NS1_11comp_targetILNS1_3genE0ELNS1_11target_archE4294967295ELNS1_3gpuE0ELNS1_3repE0EEENS1_30default_config_static_selectorELNS0_4arch9wavefront6targetE1EEEvSL_.private_seg_size, 0
	.set _ZN7rocprim17ROCPRIM_400000_NS6detail17trampoline_kernelINS0_14default_configENS1_22reduce_config_selectorIiEEZNS1_11reduce_implILb1ES3_N6thrust23THRUST_200600_302600_NS11hip_rocprim35transform_pair_of_input_iterators_tIiPsSB_NS8_12not_equal_toIsEEEEPiiNS8_4plusIiEEEE10hipError_tPvRmT1_T2_T3_mT4_P12ihipStream_tbEUlT_E0_NS1_11comp_targetILNS1_3genE0ELNS1_11target_archE4294967295ELNS1_3gpuE0ELNS1_3repE0EEENS1_30default_config_static_selectorELNS0_4arch9wavefront6targetE1EEEvSL_.uses_vcc, 0
	.set _ZN7rocprim17ROCPRIM_400000_NS6detail17trampoline_kernelINS0_14default_configENS1_22reduce_config_selectorIiEEZNS1_11reduce_implILb1ES3_N6thrust23THRUST_200600_302600_NS11hip_rocprim35transform_pair_of_input_iterators_tIiPsSB_NS8_12not_equal_toIsEEEEPiiNS8_4plusIiEEEE10hipError_tPvRmT1_T2_T3_mT4_P12ihipStream_tbEUlT_E0_NS1_11comp_targetILNS1_3genE0ELNS1_11target_archE4294967295ELNS1_3gpuE0ELNS1_3repE0EEENS1_30default_config_static_selectorELNS0_4arch9wavefront6targetE1EEEvSL_.uses_flat_scratch, 0
	.set _ZN7rocprim17ROCPRIM_400000_NS6detail17trampoline_kernelINS0_14default_configENS1_22reduce_config_selectorIiEEZNS1_11reduce_implILb1ES3_N6thrust23THRUST_200600_302600_NS11hip_rocprim35transform_pair_of_input_iterators_tIiPsSB_NS8_12not_equal_toIsEEEEPiiNS8_4plusIiEEEE10hipError_tPvRmT1_T2_T3_mT4_P12ihipStream_tbEUlT_E0_NS1_11comp_targetILNS1_3genE0ELNS1_11target_archE4294967295ELNS1_3gpuE0ELNS1_3repE0EEENS1_30default_config_static_selectorELNS0_4arch9wavefront6targetE1EEEvSL_.has_dyn_sized_stack, 0
	.set _ZN7rocprim17ROCPRIM_400000_NS6detail17trampoline_kernelINS0_14default_configENS1_22reduce_config_selectorIiEEZNS1_11reduce_implILb1ES3_N6thrust23THRUST_200600_302600_NS11hip_rocprim35transform_pair_of_input_iterators_tIiPsSB_NS8_12not_equal_toIsEEEEPiiNS8_4plusIiEEEE10hipError_tPvRmT1_T2_T3_mT4_P12ihipStream_tbEUlT_E0_NS1_11comp_targetILNS1_3genE0ELNS1_11target_archE4294967295ELNS1_3gpuE0ELNS1_3repE0EEENS1_30default_config_static_selectorELNS0_4arch9wavefront6targetE1EEEvSL_.has_recursion, 0
	.set _ZN7rocprim17ROCPRIM_400000_NS6detail17trampoline_kernelINS0_14default_configENS1_22reduce_config_selectorIiEEZNS1_11reduce_implILb1ES3_N6thrust23THRUST_200600_302600_NS11hip_rocprim35transform_pair_of_input_iterators_tIiPsSB_NS8_12not_equal_toIsEEEEPiiNS8_4plusIiEEEE10hipError_tPvRmT1_T2_T3_mT4_P12ihipStream_tbEUlT_E0_NS1_11comp_targetILNS1_3genE0ELNS1_11target_archE4294967295ELNS1_3gpuE0ELNS1_3repE0EEENS1_30default_config_static_selectorELNS0_4arch9wavefront6targetE1EEEvSL_.has_indirect_call, 0
	.section	.AMDGPU.csdata,"",@progbits
; Kernel info:
; codeLenInByte = 0
; TotalNumSgprs: 4
; NumVgprs: 0
; ScratchSize: 0
; MemoryBound: 0
; FloatMode: 240
; IeeeMode: 1
; LDSByteSize: 0 bytes/workgroup (compile time only)
; SGPRBlocks: 0
; VGPRBlocks: 0
; NumSGPRsForWavesPerEU: 4
; NumVGPRsForWavesPerEU: 1
; Occupancy: 10
; WaveLimiterHint : 0
; COMPUTE_PGM_RSRC2:SCRATCH_EN: 0
; COMPUTE_PGM_RSRC2:USER_SGPR: 6
; COMPUTE_PGM_RSRC2:TRAP_HANDLER: 0
; COMPUTE_PGM_RSRC2:TGID_X_EN: 1
; COMPUTE_PGM_RSRC2:TGID_Y_EN: 0
; COMPUTE_PGM_RSRC2:TGID_Z_EN: 0
; COMPUTE_PGM_RSRC2:TIDIG_COMP_CNT: 0
	.section	.text._ZN7rocprim17ROCPRIM_400000_NS6detail17trampoline_kernelINS0_14default_configENS1_22reduce_config_selectorIiEEZNS1_11reduce_implILb1ES3_N6thrust23THRUST_200600_302600_NS11hip_rocprim35transform_pair_of_input_iterators_tIiPsSB_NS8_12not_equal_toIsEEEEPiiNS8_4plusIiEEEE10hipError_tPvRmT1_T2_T3_mT4_P12ihipStream_tbEUlT_E0_NS1_11comp_targetILNS1_3genE5ELNS1_11target_archE942ELNS1_3gpuE9ELNS1_3repE0EEENS1_30default_config_static_selectorELNS0_4arch9wavefront6targetE1EEEvSL_,"axG",@progbits,_ZN7rocprim17ROCPRIM_400000_NS6detail17trampoline_kernelINS0_14default_configENS1_22reduce_config_selectorIiEEZNS1_11reduce_implILb1ES3_N6thrust23THRUST_200600_302600_NS11hip_rocprim35transform_pair_of_input_iterators_tIiPsSB_NS8_12not_equal_toIsEEEEPiiNS8_4plusIiEEEE10hipError_tPvRmT1_T2_T3_mT4_P12ihipStream_tbEUlT_E0_NS1_11comp_targetILNS1_3genE5ELNS1_11target_archE942ELNS1_3gpuE9ELNS1_3repE0EEENS1_30default_config_static_selectorELNS0_4arch9wavefront6targetE1EEEvSL_,comdat
	.protected	_ZN7rocprim17ROCPRIM_400000_NS6detail17trampoline_kernelINS0_14default_configENS1_22reduce_config_selectorIiEEZNS1_11reduce_implILb1ES3_N6thrust23THRUST_200600_302600_NS11hip_rocprim35transform_pair_of_input_iterators_tIiPsSB_NS8_12not_equal_toIsEEEEPiiNS8_4plusIiEEEE10hipError_tPvRmT1_T2_T3_mT4_P12ihipStream_tbEUlT_E0_NS1_11comp_targetILNS1_3genE5ELNS1_11target_archE942ELNS1_3gpuE9ELNS1_3repE0EEENS1_30default_config_static_selectorELNS0_4arch9wavefront6targetE1EEEvSL_ ; -- Begin function _ZN7rocprim17ROCPRIM_400000_NS6detail17trampoline_kernelINS0_14default_configENS1_22reduce_config_selectorIiEEZNS1_11reduce_implILb1ES3_N6thrust23THRUST_200600_302600_NS11hip_rocprim35transform_pair_of_input_iterators_tIiPsSB_NS8_12not_equal_toIsEEEEPiiNS8_4plusIiEEEE10hipError_tPvRmT1_T2_T3_mT4_P12ihipStream_tbEUlT_E0_NS1_11comp_targetILNS1_3genE5ELNS1_11target_archE942ELNS1_3gpuE9ELNS1_3repE0EEENS1_30default_config_static_selectorELNS0_4arch9wavefront6targetE1EEEvSL_
	.globl	_ZN7rocprim17ROCPRIM_400000_NS6detail17trampoline_kernelINS0_14default_configENS1_22reduce_config_selectorIiEEZNS1_11reduce_implILb1ES3_N6thrust23THRUST_200600_302600_NS11hip_rocprim35transform_pair_of_input_iterators_tIiPsSB_NS8_12not_equal_toIsEEEEPiiNS8_4plusIiEEEE10hipError_tPvRmT1_T2_T3_mT4_P12ihipStream_tbEUlT_E0_NS1_11comp_targetILNS1_3genE5ELNS1_11target_archE942ELNS1_3gpuE9ELNS1_3repE0EEENS1_30default_config_static_selectorELNS0_4arch9wavefront6targetE1EEEvSL_
	.p2align	8
	.type	_ZN7rocprim17ROCPRIM_400000_NS6detail17trampoline_kernelINS0_14default_configENS1_22reduce_config_selectorIiEEZNS1_11reduce_implILb1ES3_N6thrust23THRUST_200600_302600_NS11hip_rocprim35transform_pair_of_input_iterators_tIiPsSB_NS8_12not_equal_toIsEEEEPiiNS8_4plusIiEEEE10hipError_tPvRmT1_T2_T3_mT4_P12ihipStream_tbEUlT_E0_NS1_11comp_targetILNS1_3genE5ELNS1_11target_archE942ELNS1_3gpuE9ELNS1_3repE0EEENS1_30default_config_static_selectorELNS0_4arch9wavefront6targetE1EEEvSL_,@function
_ZN7rocprim17ROCPRIM_400000_NS6detail17trampoline_kernelINS0_14default_configENS1_22reduce_config_selectorIiEEZNS1_11reduce_implILb1ES3_N6thrust23THRUST_200600_302600_NS11hip_rocprim35transform_pair_of_input_iterators_tIiPsSB_NS8_12not_equal_toIsEEEEPiiNS8_4plusIiEEEE10hipError_tPvRmT1_T2_T3_mT4_P12ihipStream_tbEUlT_E0_NS1_11comp_targetILNS1_3genE5ELNS1_11target_archE942ELNS1_3gpuE9ELNS1_3repE0EEENS1_30default_config_static_selectorELNS0_4arch9wavefront6targetE1EEEvSL_: ; @_ZN7rocprim17ROCPRIM_400000_NS6detail17trampoline_kernelINS0_14default_configENS1_22reduce_config_selectorIiEEZNS1_11reduce_implILb1ES3_N6thrust23THRUST_200600_302600_NS11hip_rocprim35transform_pair_of_input_iterators_tIiPsSB_NS8_12not_equal_toIsEEEEPiiNS8_4plusIiEEEE10hipError_tPvRmT1_T2_T3_mT4_P12ihipStream_tbEUlT_E0_NS1_11comp_targetILNS1_3genE5ELNS1_11target_archE942ELNS1_3gpuE9ELNS1_3repE0EEENS1_30default_config_static_selectorELNS0_4arch9wavefront6targetE1EEEvSL_
; %bb.0:
	.section	.rodata,"a",@progbits
	.p2align	6, 0x0
	.amdhsa_kernel _ZN7rocprim17ROCPRIM_400000_NS6detail17trampoline_kernelINS0_14default_configENS1_22reduce_config_selectorIiEEZNS1_11reduce_implILb1ES3_N6thrust23THRUST_200600_302600_NS11hip_rocprim35transform_pair_of_input_iterators_tIiPsSB_NS8_12not_equal_toIsEEEEPiiNS8_4plusIiEEEE10hipError_tPvRmT1_T2_T3_mT4_P12ihipStream_tbEUlT_E0_NS1_11comp_targetILNS1_3genE5ELNS1_11target_archE942ELNS1_3gpuE9ELNS1_3repE0EEENS1_30default_config_static_selectorELNS0_4arch9wavefront6targetE1EEEvSL_
		.amdhsa_group_segment_fixed_size 0
		.amdhsa_private_segment_fixed_size 0
		.amdhsa_kernarg_size 72
		.amdhsa_user_sgpr_count 6
		.amdhsa_user_sgpr_private_segment_buffer 1
		.amdhsa_user_sgpr_dispatch_ptr 0
		.amdhsa_user_sgpr_queue_ptr 0
		.amdhsa_user_sgpr_kernarg_segment_ptr 1
		.amdhsa_user_sgpr_dispatch_id 0
		.amdhsa_user_sgpr_flat_scratch_init 0
		.amdhsa_user_sgpr_private_segment_size 0
		.amdhsa_uses_dynamic_stack 0
		.amdhsa_system_sgpr_private_segment_wavefront_offset 0
		.amdhsa_system_sgpr_workgroup_id_x 1
		.amdhsa_system_sgpr_workgroup_id_y 0
		.amdhsa_system_sgpr_workgroup_id_z 0
		.amdhsa_system_sgpr_workgroup_info 0
		.amdhsa_system_vgpr_workitem_id 0
		.amdhsa_next_free_vgpr 1
		.amdhsa_next_free_sgpr 0
		.amdhsa_reserve_vcc 0
		.amdhsa_reserve_flat_scratch 0
		.amdhsa_float_round_mode_32 0
		.amdhsa_float_round_mode_16_64 0
		.amdhsa_float_denorm_mode_32 3
		.amdhsa_float_denorm_mode_16_64 3
		.amdhsa_dx10_clamp 1
		.amdhsa_ieee_mode 1
		.amdhsa_fp16_overflow 0
		.amdhsa_exception_fp_ieee_invalid_op 0
		.amdhsa_exception_fp_denorm_src 0
		.amdhsa_exception_fp_ieee_div_zero 0
		.amdhsa_exception_fp_ieee_overflow 0
		.amdhsa_exception_fp_ieee_underflow 0
		.amdhsa_exception_fp_ieee_inexact 0
		.amdhsa_exception_int_div_zero 0
	.end_amdhsa_kernel
	.section	.text._ZN7rocprim17ROCPRIM_400000_NS6detail17trampoline_kernelINS0_14default_configENS1_22reduce_config_selectorIiEEZNS1_11reduce_implILb1ES3_N6thrust23THRUST_200600_302600_NS11hip_rocprim35transform_pair_of_input_iterators_tIiPsSB_NS8_12not_equal_toIsEEEEPiiNS8_4plusIiEEEE10hipError_tPvRmT1_T2_T3_mT4_P12ihipStream_tbEUlT_E0_NS1_11comp_targetILNS1_3genE5ELNS1_11target_archE942ELNS1_3gpuE9ELNS1_3repE0EEENS1_30default_config_static_selectorELNS0_4arch9wavefront6targetE1EEEvSL_,"axG",@progbits,_ZN7rocprim17ROCPRIM_400000_NS6detail17trampoline_kernelINS0_14default_configENS1_22reduce_config_selectorIiEEZNS1_11reduce_implILb1ES3_N6thrust23THRUST_200600_302600_NS11hip_rocprim35transform_pair_of_input_iterators_tIiPsSB_NS8_12not_equal_toIsEEEEPiiNS8_4plusIiEEEE10hipError_tPvRmT1_T2_T3_mT4_P12ihipStream_tbEUlT_E0_NS1_11comp_targetILNS1_3genE5ELNS1_11target_archE942ELNS1_3gpuE9ELNS1_3repE0EEENS1_30default_config_static_selectorELNS0_4arch9wavefront6targetE1EEEvSL_,comdat
.Lfunc_end1453:
	.size	_ZN7rocprim17ROCPRIM_400000_NS6detail17trampoline_kernelINS0_14default_configENS1_22reduce_config_selectorIiEEZNS1_11reduce_implILb1ES3_N6thrust23THRUST_200600_302600_NS11hip_rocprim35transform_pair_of_input_iterators_tIiPsSB_NS8_12not_equal_toIsEEEEPiiNS8_4plusIiEEEE10hipError_tPvRmT1_T2_T3_mT4_P12ihipStream_tbEUlT_E0_NS1_11comp_targetILNS1_3genE5ELNS1_11target_archE942ELNS1_3gpuE9ELNS1_3repE0EEENS1_30default_config_static_selectorELNS0_4arch9wavefront6targetE1EEEvSL_, .Lfunc_end1453-_ZN7rocprim17ROCPRIM_400000_NS6detail17trampoline_kernelINS0_14default_configENS1_22reduce_config_selectorIiEEZNS1_11reduce_implILb1ES3_N6thrust23THRUST_200600_302600_NS11hip_rocprim35transform_pair_of_input_iterators_tIiPsSB_NS8_12not_equal_toIsEEEEPiiNS8_4plusIiEEEE10hipError_tPvRmT1_T2_T3_mT4_P12ihipStream_tbEUlT_E0_NS1_11comp_targetILNS1_3genE5ELNS1_11target_archE942ELNS1_3gpuE9ELNS1_3repE0EEENS1_30default_config_static_selectorELNS0_4arch9wavefront6targetE1EEEvSL_
                                        ; -- End function
	.set _ZN7rocprim17ROCPRIM_400000_NS6detail17trampoline_kernelINS0_14default_configENS1_22reduce_config_selectorIiEEZNS1_11reduce_implILb1ES3_N6thrust23THRUST_200600_302600_NS11hip_rocprim35transform_pair_of_input_iterators_tIiPsSB_NS8_12not_equal_toIsEEEEPiiNS8_4plusIiEEEE10hipError_tPvRmT1_T2_T3_mT4_P12ihipStream_tbEUlT_E0_NS1_11comp_targetILNS1_3genE5ELNS1_11target_archE942ELNS1_3gpuE9ELNS1_3repE0EEENS1_30default_config_static_selectorELNS0_4arch9wavefront6targetE1EEEvSL_.num_vgpr, 0
	.set _ZN7rocprim17ROCPRIM_400000_NS6detail17trampoline_kernelINS0_14default_configENS1_22reduce_config_selectorIiEEZNS1_11reduce_implILb1ES3_N6thrust23THRUST_200600_302600_NS11hip_rocprim35transform_pair_of_input_iterators_tIiPsSB_NS8_12not_equal_toIsEEEEPiiNS8_4plusIiEEEE10hipError_tPvRmT1_T2_T3_mT4_P12ihipStream_tbEUlT_E0_NS1_11comp_targetILNS1_3genE5ELNS1_11target_archE942ELNS1_3gpuE9ELNS1_3repE0EEENS1_30default_config_static_selectorELNS0_4arch9wavefront6targetE1EEEvSL_.num_agpr, 0
	.set _ZN7rocprim17ROCPRIM_400000_NS6detail17trampoline_kernelINS0_14default_configENS1_22reduce_config_selectorIiEEZNS1_11reduce_implILb1ES3_N6thrust23THRUST_200600_302600_NS11hip_rocprim35transform_pair_of_input_iterators_tIiPsSB_NS8_12not_equal_toIsEEEEPiiNS8_4plusIiEEEE10hipError_tPvRmT1_T2_T3_mT4_P12ihipStream_tbEUlT_E0_NS1_11comp_targetILNS1_3genE5ELNS1_11target_archE942ELNS1_3gpuE9ELNS1_3repE0EEENS1_30default_config_static_selectorELNS0_4arch9wavefront6targetE1EEEvSL_.numbered_sgpr, 0
	.set _ZN7rocprim17ROCPRIM_400000_NS6detail17trampoline_kernelINS0_14default_configENS1_22reduce_config_selectorIiEEZNS1_11reduce_implILb1ES3_N6thrust23THRUST_200600_302600_NS11hip_rocprim35transform_pair_of_input_iterators_tIiPsSB_NS8_12not_equal_toIsEEEEPiiNS8_4plusIiEEEE10hipError_tPvRmT1_T2_T3_mT4_P12ihipStream_tbEUlT_E0_NS1_11comp_targetILNS1_3genE5ELNS1_11target_archE942ELNS1_3gpuE9ELNS1_3repE0EEENS1_30default_config_static_selectorELNS0_4arch9wavefront6targetE1EEEvSL_.num_named_barrier, 0
	.set _ZN7rocprim17ROCPRIM_400000_NS6detail17trampoline_kernelINS0_14default_configENS1_22reduce_config_selectorIiEEZNS1_11reduce_implILb1ES3_N6thrust23THRUST_200600_302600_NS11hip_rocprim35transform_pair_of_input_iterators_tIiPsSB_NS8_12not_equal_toIsEEEEPiiNS8_4plusIiEEEE10hipError_tPvRmT1_T2_T3_mT4_P12ihipStream_tbEUlT_E0_NS1_11comp_targetILNS1_3genE5ELNS1_11target_archE942ELNS1_3gpuE9ELNS1_3repE0EEENS1_30default_config_static_selectorELNS0_4arch9wavefront6targetE1EEEvSL_.private_seg_size, 0
	.set _ZN7rocprim17ROCPRIM_400000_NS6detail17trampoline_kernelINS0_14default_configENS1_22reduce_config_selectorIiEEZNS1_11reduce_implILb1ES3_N6thrust23THRUST_200600_302600_NS11hip_rocprim35transform_pair_of_input_iterators_tIiPsSB_NS8_12not_equal_toIsEEEEPiiNS8_4plusIiEEEE10hipError_tPvRmT1_T2_T3_mT4_P12ihipStream_tbEUlT_E0_NS1_11comp_targetILNS1_3genE5ELNS1_11target_archE942ELNS1_3gpuE9ELNS1_3repE0EEENS1_30default_config_static_selectorELNS0_4arch9wavefront6targetE1EEEvSL_.uses_vcc, 0
	.set _ZN7rocprim17ROCPRIM_400000_NS6detail17trampoline_kernelINS0_14default_configENS1_22reduce_config_selectorIiEEZNS1_11reduce_implILb1ES3_N6thrust23THRUST_200600_302600_NS11hip_rocprim35transform_pair_of_input_iterators_tIiPsSB_NS8_12not_equal_toIsEEEEPiiNS8_4plusIiEEEE10hipError_tPvRmT1_T2_T3_mT4_P12ihipStream_tbEUlT_E0_NS1_11comp_targetILNS1_3genE5ELNS1_11target_archE942ELNS1_3gpuE9ELNS1_3repE0EEENS1_30default_config_static_selectorELNS0_4arch9wavefront6targetE1EEEvSL_.uses_flat_scratch, 0
	.set _ZN7rocprim17ROCPRIM_400000_NS6detail17trampoline_kernelINS0_14default_configENS1_22reduce_config_selectorIiEEZNS1_11reduce_implILb1ES3_N6thrust23THRUST_200600_302600_NS11hip_rocprim35transform_pair_of_input_iterators_tIiPsSB_NS8_12not_equal_toIsEEEEPiiNS8_4plusIiEEEE10hipError_tPvRmT1_T2_T3_mT4_P12ihipStream_tbEUlT_E0_NS1_11comp_targetILNS1_3genE5ELNS1_11target_archE942ELNS1_3gpuE9ELNS1_3repE0EEENS1_30default_config_static_selectorELNS0_4arch9wavefront6targetE1EEEvSL_.has_dyn_sized_stack, 0
	.set _ZN7rocprim17ROCPRIM_400000_NS6detail17trampoline_kernelINS0_14default_configENS1_22reduce_config_selectorIiEEZNS1_11reduce_implILb1ES3_N6thrust23THRUST_200600_302600_NS11hip_rocprim35transform_pair_of_input_iterators_tIiPsSB_NS8_12not_equal_toIsEEEEPiiNS8_4plusIiEEEE10hipError_tPvRmT1_T2_T3_mT4_P12ihipStream_tbEUlT_E0_NS1_11comp_targetILNS1_3genE5ELNS1_11target_archE942ELNS1_3gpuE9ELNS1_3repE0EEENS1_30default_config_static_selectorELNS0_4arch9wavefront6targetE1EEEvSL_.has_recursion, 0
	.set _ZN7rocprim17ROCPRIM_400000_NS6detail17trampoline_kernelINS0_14default_configENS1_22reduce_config_selectorIiEEZNS1_11reduce_implILb1ES3_N6thrust23THRUST_200600_302600_NS11hip_rocprim35transform_pair_of_input_iterators_tIiPsSB_NS8_12not_equal_toIsEEEEPiiNS8_4plusIiEEEE10hipError_tPvRmT1_T2_T3_mT4_P12ihipStream_tbEUlT_E0_NS1_11comp_targetILNS1_3genE5ELNS1_11target_archE942ELNS1_3gpuE9ELNS1_3repE0EEENS1_30default_config_static_selectorELNS0_4arch9wavefront6targetE1EEEvSL_.has_indirect_call, 0
	.section	.AMDGPU.csdata,"",@progbits
; Kernel info:
; codeLenInByte = 0
; TotalNumSgprs: 4
; NumVgprs: 0
; ScratchSize: 0
; MemoryBound: 0
; FloatMode: 240
; IeeeMode: 1
; LDSByteSize: 0 bytes/workgroup (compile time only)
; SGPRBlocks: 0
; VGPRBlocks: 0
; NumSGPRsForWavesPerEU: 4
; NumVGPRsForWavesPerEU: 1
; Occupancy: 10
; WaveLimiterHint : 0
; COMPUTE_PGM_RSRC2:SCRATCH_EN: 0
; COMPUTE_PGM_RSRC2:USER_SGPR: 6
; COMPUTE_PGM_RSRC2:TRAP_HANDLER: 0
; COMPUTE_PGM_RSRC2:TGID_X_EN: 1
; COMPUTE_PGM_RSRC2:TGID_Y_EN: 0
; COMPUTE_PGM_RSRC2:TGID_Z_EN: 0
; COMPUTE_PGM_RSRC2:TIDIG_COMP_CNT: 0
	.section	.text._ZN7rocprim17ROCPRIM_400000_NS6detail17trampoline_kernelINS0_14default_configENS1_22reduce_config_selectorIiEEZNS1_11reduce_implILb1ES3_N6thrust23THRUST_200600_302600_NS11hip_rocprim35transform_pair_of_input_iterators_tIiPsSB_NS8_12not_equal_toIsEEEEPiiNS8_4plusIiEEEE10hipError_tPvRmT1_T2_T3_mT4_P12ihipStream_tbEUlT_E0_NS1_11comp_targetILNS1_3genE4ELNS1_11target_archE910ELNS1_3gpuE8ELNS1_3repE0EEENS1_30default_config_static_selectorELNS0_4arch9wavefront6targetE1EEEvSL_,"axG",@progbits,_ZN7rocprim17ROCPRIM_400000_NS6detail17trampoline_kernelINS0_14default_configENS1_22reduce_config_selectorIiEEZNS1_11reduce_implILb1ES3_N6thrust23THRUST_200600_302600_NS11hip_rocprim35transform_pair_of_input_iterators_tIiPsSB_NS8_12not_equal_toIsEEEEPiiNS8_4plusIiEEEE10hipError_tPvRmT1_T2_T3_mT4_P12ihipStream_tbEUlT_E0_NS1_11comp_targetILNS1_3genE4ELNS1_11target_archE910ELNS1_3gpuE8ELNS1_3repE0EEENS1_30default_config_static_selectorELNS0_4arch9wavefront6targetE1EEEvSL_,comdat
	.protected	_ZN7rocprim17ROCPRIM_400000_NS6detail17trampoline_kernelINS0_14default_configENS1_22reduce_config_selectorIiEEZNS1_11reduce_implILb1ES3_N6thrust23THRUST_200600_302600_NS11hip_rocprim35transform_pair_of_input_iterators_tIiPsSB_NS8_12not_equal_toIsEEEEPiiNS8_4plusIiEEEE10hipError_tPvRmT1_T2_T3_mT4_P12ihipStream_tbEUlT_E0_NS1_11comp_targetILNS1_3genE4ELNS1_11target_archE910ELNS1_3gpuE8ELNS1_3repE0EEENS1_30default_config_static_selectorELNS0_4arch9wavefront6targetE1EEEvSL_ ; -- Begin function _ZN7rocprim17ROCPRIM_400000_NS6detail17trampoline_kernelINS0_14default_configENS1_22reduce_config_selectorIiEEZNS1_11reduce_implILb1ES3_N6thrust23THRUST_200600_302600_NS11hip_rocprim35transform_pair_of_input_iterators_tIiPsSB_NS8_12not_equal_toIsEEEEPiiNS8_4plusIiEEEE10hipError_tPvRmT1_T2_T3_mT4_P12ihipStream_tbEUlT_E0_NS1_11comp_targetILNS1_3genE4ELNS1_11target_archE910ELNS1_3gpuE8ELNS1_3repE0EEENS1_30default_config_static_selectorELNS0_4arch9wavefront6targetE1EEEvSL_
	.globl	_ZN7rocprim17ROCPRIM_400000_NS6detail17trampoline_kernelINS0_14default_configENS1_22reduce_config_selectorIiEEZNS1_11reduce_implILb1ES3_N6thrust23THRUST_200600_302600_NS11hip_rocprim35transform_pair_of_input_iterators_tIiPsSB_NS8_12not_equal_toIsEEEEPiiNS8_4plusIiEEEE10hipError_tPvRmT1_T2_T3_mT4_P12ihipStream_tbEUlT_E0_NS1_11comp_targetILNS1_3genE4ELNS1_11target_archE910ELNS1_3gpuE8ELNS1_3repE0EEENS1_30default_config_static_selectorELNS0_4arch9wavefront6targetE1EEEvSL_
	.p2align	8
	.type	_ZN7rocprim17ROCPRIM_400000_NS6detail17trampoline_kernelINS0_14default_configENS1_22reduce_config_selectorIiEEZNS1_11reduce_implILb1ES3_N6thrust23THRUST_200600_302600_NS11hip_rocprim35transform_pair_of_input_iterators_tIiPsSB_NS8_12not_equal_toIsEEEEPiiNS8_4plusIiEEEE10hipError_tPvRmT1_T2_T3_mT4_P12ihipStream_tbEUlT_E0_NS1_11comp_targetILNS1_3genE4ELNS1_11target_archE910ELNS1_3gpuE8ELNS1_3repE0EEENS1_30default_config_static_selectorELNS0_4arch9wavefront6targetE1EEEvSL_,@function
_ZN7rocprim17ROCPRIM_400000_NS6detail17trampoline_kernelINS0_14default_configENS1_22reduce_config_selectorIiEEZNS1_11reduce_implILb1ES3_N6thrust23THRUST_200600_302600_NS11hip_rocprim35transform_pair_of_input_iterators_tIiPsSB_NS8_12not_equal_toIsEEEEPiiNS8_4plusIiEEEE10hipError_tPvRmT1_T2_T3_mT4_P12ihipStream_tbEUlT_E0_NS1_11comp_targetILNS1_3genE4ELNS1_11target_archE910ELNS1_3gpuE8ELNS1_3repE0EEENS1_30default_config_static_selectorELNS0_4arch9wavefront6targetE1EEEvSL_: ; @_ZN7rocprim17ROCPRIM_400000_NS6detail17trampoline_kernelINS0_14default_configENS1_22reduce_config_selectorIiEEZNS1_11reduce_implILb1ES3_N6thrust23THRUST_200600_302600_NS11hip_rocprim35transform_pair_of_input_iterators_tIiPsSB_NS8_12not_equal_toIsEEEEPiiNS8_4plusIiEEEE10hipError_tPvRmT1_T2_T3_mT4_P12ihipStream_tbEUlT_E0_NS1_11comp_targetILNS1_3genE4ELNS1_11target_archE910ELNS1_3gpuE8ELNS1_3repE0EEENS1_30default_config_static_selectorELNS0_4arch9wavefront6targetE1EEEvSL_
; %bb.0:
	.section	.rodata,"a",@progbits
	.p2align	6, 0x0
	.amdhsa_kernel _ZN7rocprim17ROCPRIM_400000_NS6detail17trampoline_kernelINS0_14default_configENS1_22reduce_config_selectorIiEEZNS1_11reduce_implILb1ES3_N6thrust23THRUST_200600_302600_NS11hip_rocprim35transform_pair_of_input_iterators_tIiPsSB_NS8_12not_equal_toIsEEEEPiiNS8_4plusIiEEEE10hipError_tPvRmT1_T2_T3_mT4_P12ihipStream_tbEUlT_E0_NS1_11comp_targetILNS1_3genE4ELNS1_11target_archE910ELNS1_3gpuE8ELNS1_3repE0EEENS1_30default_config_static_selectorELNS0_4arch9wavefront6targetE1EEEvSL_
		.amdhsa_group_segment_fixed_size 0
		.amdhsa_private_segment_fixed_size 0
		.amdhsa_kernarg_size 72
		.amdhsa_user_sgpr_count 6
		.amdhsa_user_sgpr_private_segment_buffer 1
		.amdhsa_user_sgpr_dispatch_ptr 0
		.amdhsa_user_sgpr_queue_ptr 0
		.amdhsa_user_sgpr_kernarg_segment_ptr 1
		.amdhsa_user_sgpr_dispatch_id 0
		.amdhsa_user_sgpr_flat_scratch_init 0
		.amdhsa_user_sgpr_private_segment_size 0
		.amdhsa_uses_dynamic_stack 0
		.amdhsa_system_sgpr_private_segment_wavefront_offset 0
		.amdhsa_system_sgpr_workgroup_id_x 1
		.amdhsa_system_sgpr_workgroup_id_y 0
		.amdhsa_system_sgpr_workgroup_id_z 0
		.amdhsa_system_sgpr_workgroup_info 0
		.amdhsa_system_vgpr_workitem_id 0
		.amdhsa_next_free_vgpr 1
		.amdhsa_next_free_sgpr 0
		.amdhsa_reserve_vcc 0
		.amdhsa_reserve_flat_scratch 0
		.amdhsa_float_round_mode_32 0
		.amdhsa_float_round_mode_16_64 0
		.amdhsa_float_denorm_mode_32 3
		.amdhsa_float_denorm_mode_16_64 3
		.amdhsa_dx10_clamp 1
		.amdhsa_ieee_mode 1
		.amdhsa_fp16_overflow 0
		.amdhsa_exception_fp_ieee_invalid_op 0
		.amdhsa_exception_fp_denorm_src 0
		.amdhsa_exception_fp_ieee_div_zero 0
		.amdhsa_exception_fp_ieee_overflow 0
		.amdhsa_exception_fp_ieee_underflow 0
		.amdhsa_exception_fp_ieee_inexact 0
		.amdhsa_exception_int_div_zero 0
	.end_amdhsa_kernel
	.section	.text._ZN7rocprim17ROCPRIM_400000_NS6detail17trampoline_kernelINS0_14default_configENS1_22reduce_config_selectorIiEEZNS1_11reduce_implILb1ES3_N6thrust23THRUST_200600_302600_NS11hip_rocprim35transform_pair_of_input_iterators_tIiPsSB_NS8_12not_equal_toIsEEEEPiiNS8_4plusIiEEEE10hipError_tPvRmT1_T2_T3_mT4_P12ihipStream_tbEUlT_E0_NS1_11comp_targetILNS1_3genE4ELNS1_11target_archE910ELNS1_3gpuE8ELNS1_3repE0EEENS1_30default_config_static_selectorELNS0_4arch9wavefront6targetE1EEEvSL_,"axG",@progbits,_ZN7rocprim17ROCPRIM_400000_NS6detail17trampoline_kernelINS0_14default_configENS1_22reduce_config_selectorIiEEZNS1_11reduce_implILb1ES3_N6thrust23THRUST_200600_302600_NS11hip_rocprim35transform_pair_of_input_iterators_tIiPsSB_NS8_12not_equal_toIsEEEEPiiNS8_4plusIiEEEE10hipError_tPvRmT1_T2_T3_mT4_P12ihipStream_tbEUlT_E0_NS1_11comp_targetILNS1_3genE4ELNS1_11target_archE910ELNS1_3gpuE8ELNS1_3repE0EEENS1_30default_config_static_selectorELNS0_4arch9wavefront6targetE1EEEvSL_,comdat
.Lfunc_end1454:
	.size	_ZN7rocprim17ROCPRIM_400000_NS6detail17trampoline_kernelINS0_14default_configENS1_22reduce_config_selectorIiEEZNS1_11reduce_implILb1ES3_N6thrust23THRUST_200600_302600_NS11hip_rocprim35transform_pair_of_input_iterators_tIiPsSB_NS8_12not_equal_toIsEEEEPiiNS8_4plusIiEEEE10hipError_tPvRmT1_T2_T3_mT4_P12ihipStream_tbEUlT_E0_NS1_11comp_targetILNS1_3genE4ELNS1_11target_archE910ELNS1_3gpuE8ELNS1_3repE0EEENS1_30default_config_static_selectorELNS0_4arch9wavefront6targetE1EEEvSL_, .Lfunc_end1454-_ZN7rocprim17ROCPRIM_400000_NS6detail17trampoline_kernelINS0_14default_configENS1_22reduce_config_selectorIiEEZNS1_11reduce_implILb1ES3_N6thrust23THRUST_200600_302600_NS11hip_rocprim35transform_pair_of_input_iterators_tIiPsSB_NS8_12not_equal_toIsEEEEPiiNS8_4plusIiEEEE10hipError_tPvRmT1_T2_T3_mT4_P12ihipStream_tbEUlT_E0_NS1_11comp_targetILNS1_3genE4ELNS1_11target_archE910ELNS1_3gpuE8ELNS1_3repE0EEENS1_30default_config_static_selectorELNS0_4arch9wavefront6targetE1EEEvSL_
                                        ; -- End function
	.set _ZN7rocprim17ROCPRIM_400000_NS6detail17trampoline_kernelINS0_14default_configENS1_22reduce_config_selectorIiEEZNS1_11reduce_implILb1ES3_N6thrust23THRUST_200600_302600_NS11hip_rocprim35transform_pair_of_input_iterators_tIiPsSB_NS8_12not_equal_toIsEEEEPiiNS8_4plusIiEEEE10hipError_tPvRmT1_T2_T3_mT4_P12ihipStream_tbEUlT_E0_NS1_11comp_targetILNS1_3genE4ELNS1_11target_archE910ELNS1_3gpuE8ELNS1_3repE0EEENS1_30default_config_static_selectorELNS0_4arch9wavefront6targetE1EEEvSL_.num_vgpr, 0
	.set _ZN7rocprim17ROCPRIM_400000_NS6detail17trampoline_kernelINS0_14default_configENS1_22reduce_config_selectorIiEEZNS1_11reduce_implILb1ES3_N6thrust23THRUST_200600_302600_NS11hip_rocprim35transform_pair_of_input_iterators_tIiPsSB_NS8_12not_equal_toIsEEEEPiiNS8_4plusIiEEEE10hipError_tPvRmT1_T2_T3_mT4_P12ihipStream_tbEUlT_E0_NS1_11comp_targetILNS1_3genE4ELNS1_11target_archE910ELNS1_3gpuE8ELNS1_3repE0EEENS1_30default_config_static_selectorELNS0_4arch9wavefront6targetE1EEEvSL_.num_agpr, 0
	.set _ZN7rocprim17ROCPRIM_400000_NS6detail17trampoline_kernelINS0_14default_configENS1_22reduce_config_selectorIiEEZNS1_11reduce_implILb1ES3_N6thrust23THRUST_200600_302600_NS11hip_rocprim35transform_pair_of_input_iterators_tIiPsSB_NS8_12not_equal_toIsEEEEPiiNS8_4plusIiEEEE10hipError_tPvRmT1_T2_T3_mT4_P12ihipStream_tbEUlT_E0_NS1_11comp_targetILNS1_3genE4ELNS1_11target_archE910ELNS1_3gpuE8ELNS1_3repE0EEENS1_30default_config_static_selectorELNS0_4arch9wavefront6targetE1EEEvSL_.numbered_sgpr, 0
	.set _ZN7rocprim17ROCPRIM_400000_NS6detail17trampoline_kernelINS0_14default_configENS1_22reduce_config_selectorIiEEZNS1_11reduce_implILb1ES3_N6thrust23THRUST_200600_302600_NS11hip_rocprim35transform_pair_of_input_iterators_tIiPsSB_NS8_12not_equal_toIsEEEEPiiNS8_4plusIiEEEE10hipError_tPvRmT1_T2_T3_mT4_P12ihipStream_tbEUlT_E0_NS1_11comp_targetILNS1_3genE4ELNS1_11target_archE910ELNS1_3gpuE8ELNS1_3repE0EEENS1_30default_config_static_selectorELNS0_4arch9wavefront6targetE1EEEvSL_.num_named_barrier, 0
	.set _ZN7rocprim17ROCPRIM_400000_NS6detail17trampoline_kernelINS0_14default_configENS1_22reduce_config_selectorIiEEZNS1_11reduce_implILb1ES3_N6thrust23THRUST_200600_302600_NS11hip_rocprim35transform_pair_of_input_iterators_tIiPsSB_NS8_12not_equal_toIsEEEEPiiNS8_4plusIiEEEE10hipError_tPvRmT1_T2_T3_mT4_P12ihipStream_tbEUlT_E0_NS1_11comp_targetILNS1_3genE4ELNS1_11target_archE910ELNS1_3gpuE8ELNS1_3repE0EEENS1_30default_config_static_selectorELNS0_4arch9wavefront6targetE1EEEvSL_.private_seg_size, 0
	.set _ZN7rocprim17ROCPRIM_400000_NS6detail17trampoline_kernelINS0_14default_configENS1_22reduce_config_selectorIiEEZNS1_11reduce_implILb1ES3_N6thrust23THRUST_200600_302600_NS11hip_rocprim35transform_pair_of_input_iterators_tIiPsSB_NS8_12not_equal_toIsEEEEPiiNS8_4plusIiEEEE10hipError_tPvRmT1_T2_T3_mT4_P12ihipStream_tbEUlT_E0_NS1_11comp_targetILNS1_3genE4ELNS1_11target_archE910ELNS1_3gpuE8ELNS1_3repE0EEENS1_30default_config_static_selectorELNS0_4arch9wavefront6targetE1EEEvSL_.uses_vcc, 0
	.set _ZN7rocprim17ROCPRIM_400000_NS6detail17trampoline_kernelINS0_14default_configENS1_22reduce_config_selectorIiEEZNS1_11reduce_implILb1ES3_N6thrust23THRUST_200600_302600_NS11hip_rocprim35transform_pair_of_input_iterators_tIiPsSB_NS8_12not_equal_toIsEEEEPiiNS8_4plusIiEEEE10hipError_tPvRmT1_T2_T3_mT4_P12ihipStream_tbEUlT_E0_NS1_11comp_targetILNS1_3genE4ELNS1_11target_archE910ELNS1_3gpuE8ELNS1_3repE0EEENS1_30default_config_static_selectorELNS0_4arch9wavefront6targetE1EEEvSL_.uses_flat_scratch, 0
	.set _ZN7rocprim17ROCPRIM_400000_NS6detail17trampoline_kernelINS0_14default_configENS1_22reduce_config_selectorIiEEZNS1_11reduce_implILb1ES3_N6thrust23THRUST_200600_302600_NS11hip_rocprim35transform_pair_of_input_iterators_tIiPsSB_NS8_12not_equal_toIsEEEEPiiNS8_4plusIiEEEE10hipError_tPvRmT1_T2_T3_mT4_P12ihipStream_tbEUlT_E0_NS1_11comp_targetILNS1_3genE4ELNS1_11target_archE910ELNS1_3gpuE8ELNS1_3repE0EEENS1_30default_config_static_selectorELNS0_4arch9wavefront6targetE1EEEvSL_.has_dyn_sized_stack, 0
	.set _ZN7rocprim17ROCPRIM_400000_NS6detail17trampoline_kernelINS0_14default_configENS1_22reduce_config_selectorIiEEZNS1_11reduce_implILb1ES3_N6thrust23THRUST_200600_302600_NS11hip_rocprim35transform_pair_of_input_iterators_tIiPsSB_NS8_12not_equal_toIsEEEEPiiNS8_4plusIiEEEE10hipError_tPvRmT1_T2_T3_mT4_P12ihipStream_tbEUlT_E0_NS1_11comp_targetILNS1_3genE4ELNS1_11target_archE910ELNS1_3gpuE8ELNS1_3repE0EEENS1_30default_config_static_selectorELNS0_4arch9wavefront6targetE1EEEvSL_.has_recursion, 0
	.set _ZN7rocprim17ROCPRIM_400000_NS6detail17trampoline_kernelINS0_14default_configENS1_22reduce_config_selectorIiEEZNS1_11reduce_implILb1ES3_N6thrust23THRUST_200600_302600_NS11hip_rocprim35transform_pair_of_input_iterators_tIiPsSB_NS8_12not_equal_toIsEEEEPiiNS8_4plusIiEEEE10hipError_tPvRmT1_T2_T3_mT4_P12ihipStream_tbEUlT_E0_NS1_11comp_targetILNS1_3genE4ELNS1_11target_archE910ELNS1_3gpuE8ELNS1_3repE0EEENS1_30default_config_static_selectorELNS0_4arch9wavefront6targetE1EEEvSL_.has_indirect_call, 0
	.section	.AMDGPU.csdata,"",@progbits
; Kernel info:
; codeLenInByte = 0
; TotalNumSgprs: 4
; NumVgprs: 0
; ScratchSize: 0
; MemoryBound: 0
; FloatMode: 240
; IeeeMode: 1
; LDSByteSize: 0 bytes/workgroup (compile time only)
; SGPRBlocks: 0
; VGPRBlocks: 0
; NumSGPRsForWavesPerEU: 4
; NumVGPRsForWavesPerEU: 1
; Occupancy: 10
; WaveLimiterHint : 0
; COMPUTE_PGM_RSRC2:SCRATCH_EN: 0
; COMPUTE_PGM_RSRC2:USER_SGPR: 6
; COMPUTE_PGM_RSRC2:TRAP_HANDLER: 0
; COMPUTE_PGM_RSRC2:TGID_X_EN: 1
; COMPUTE_PGM_RSRC2:TGID_Y_EN: 0
; COMPUTE_PGM_RSRC2:TGID_Z_EN: 0
; COMPUTE_PGM_RSRC2:TIDIG_COMP_CNT: 0
	.section	.text._ZN7rocprim17ROCPRIM_400000_NS6detail17trampoline_kernelINS0_14default_configENS1_22reduce_config_selectorIiEEZNS1_11reduce_implILb1ES3_N6thrust23THRUST_200600_302600_NS11hip_rocprim35transform_pair_of_input_iterators_tIiPsSB_NS8_12not_equal_toIsEEEEPiiNS8_4plusIiEEEE10hipError_tPvRmT1_T2_T3_mT4_P12ihipStream_tbEUlT_E0_NS1_11comp_targetILNS1_3genE3ELNS1_11target_archE908ELNS1_3gpuE7ELNS1_3repE0EEENS1_30default_config_static_selectorELNS0_4arch9wavefront6targetE1EEEvSL_,"axG",@progbits,_ZN7rocprim17ROCPRIM_400000_NS6detail17trampoline_kernelINS0_14default_configENS1_22reduce_config_selectorIiEEZNS1_11reduce_implILb1ES3_N6thrust23THRUST_200600_302600_NS11hip_rocprim35transform_pair_of_input_iterators_tIiPsSB_NS8_12not_equal_toIsEEEEPiiNS8_4plusIiEEEE10hipError_tPvRmT1_T2_T3_mT4_P12ihipStream_tbEUlT_E0_NS1_11comp_targetILNS1_3genE3ELNS1_11target_archE908ELNS1_3gpuE7ELNS1_3repE0EEENS1_30default_config_static_selectorELNS0_4arch9wavefront6targetE1EEEvSL_,comdat
	.protected	_ZN7rocprim17ROCPRIM_400000_NS6detail17trampoline_kernelINS0_14default_configENS1_22reduce_config_selectorIiEEZNS1_11reduce_implILb1ES3_N6thrust23THRUST_200600_302600_NS11hip_rocprim35transform_pair_of_input_iterators_tIiPsSB_NS8_12not_equal_toIsEEEEPiiNS8_4plusIiEEEE10hipError_tPvRmT1_T2_T3_mT4_P12ihipStream_tbEUlT_E0_NS1_11comp_targetILNS1_3genE3ELNS1_11target_archE908ELNS1_3gpuE7ELNS1_3repE0EEENS1_30default_config_static_selectorELNS0_4arch9wavefront6targetE1EEEvSL_ ; -- Begin function _ZN7rocprim17ROCPRIM_400000_NS6detail17trampoline_kernelINS0_14default_configENS1_22reduce_config_selectorIiEEZNS1_11reduce_implILb1ES3_N6thrust23THRUST_200600_302600_NS11hip_rocprim35transform_pair_of_input_iterators_tIiPsSB_NS8_12not_equal_toIsEEEEPiiNS8_4plusIiEEEE10hipError_tPvRmT1_T2_T3_mT4_P12ihipStream_tbEUlT_E0_NS1_11comp_targetILNS1_3genE3ELNS1_11target_archE908ELNS1_3gpuE7ELNS1_3repE0EEENS1_30default_config_static_selectorELNS0_4arch9wavefront6targetE1EEEvSL_
	.globl	_ZN7rocprim17ROCPRIM_400000_NS6detail17trampoline_kernelINS0_14default_configENS1_22reduce_config_selectorIiEEZNS1_11reduce_implILb1ES3_N6thrust23THRUST_200600_302600_NS11hip_rocprim35transform_pair_of_input_iterators_tIiPsSB_NS8_12not_equal_toIsEEEEPiiNS8_4plusIiEEEE10hipError_tPvRmT1_T2_T3_mT4_P12ihipStream_tbEUlT_E0_NS1_11comp_targetILNS1_3genE3ELNS1_11target_archE908ELNS1_3gpuE7ELNS1_3repE0EEENS1_30default_config_static_selectorELNS0_4arch9wavefront6targetE1EEEvSL_
	.p2align	8
	.type	_ZN7rocprim17ROCPRIM_400000_NS6detail17trampoline_kernelINS0_14default_configENS1_22reduce_config_selectorIiEEZNS1_11reduce_implILb1ES3_N6thrust23THRUST_200600_302600_NS11hip_rocprim35transform_pair_of_input_iterators_tIiPsSB_NS8_12not_equal_toIsEEEEPiiNS8_4plusIiEEEE10hipError_tPvRmT1_T2_T3_mT4_P12ihipStream_tbEUlT_E0_NS1_11comp_targetILNS1_3genE3ELNS1_11target_archE908ELNS1_3gpuE7ELNS1_3repE0EEENS1_30default_config_static_selectorELNS0_4arch9wavefront6targetE1EEEvSL_,@function
_ZN7rocprim17ROCPRIM_400000_NS6detail17trampoline_kernelINS0_14default_configENS1_22reduce_config_selectorIiEEZNS1_11reduce_implILb1ES3_N6thrust23THRUST_200600_302600_NS11hip_rocprim35transform_pair_of_input_iterators_tIiPsSB_NS8_12not_equal_toIsEEEEPiiNS8_4plusIiEEEE10hipError_tPvRmT1_T2_T3_mT4_P12ihipStream_tbEUlT_E0_NS1_11comp_targetILNS1_3genE3ELNS1_11target_archE908ELNS1_3gpuE7ELNS1_3repE0EEENS1_30default_config_static_selectorELNS0_4arch9wavefront6targetE1EEEvSL_: ; @_ZN7rocprim17ROCPRIM_400000_NS6detail17trampoline_kernelINS0_14default_configENS1_22reduce_config_selectorIiEEZNS1_11reduce_implILb1ES3_N6thrust23THRUST_200600_302600_NS11hip_rocprim35transform_pair_of_input_iterators_tIiPsSB_NS8_12not_equal_toIsEEEEPiiNS8_4plusIiEEEE10hipError_tPvRmT1_T2_T3_mT4_P12ihipStream_tbEUlT_E0_NS1_11comp_targetILNS1_3genE3ELNS1_11target_archE908ELNS1_3gpuE7ELNS1_3repE0EEENS1_30default_config_static_selectorELNS0_4arch9wavefront6targetE1EEEvSL_
; %bb.0:
	.section	.rodata,"a",@progbits
	.p2align	6, 0x0
	.amdhsa_kernel _ZN7rocprim17ROCPRIM_400000_NS6detail17trampoline_kernelINS0_14default_configENS1_22reduce_config_selectorIiEEZNS1_11reduce_implILb1ES3_N6thrust23THRUST_200600_302600_NS11hip_rocprim35transform_pair_of_input_iterators_tIiPsSB_NS8_12not_equal_toIsEEEEPiiNS8_4plusIiEEEE10hipError_tPvRmT1_T2_T3_mT4_P12ihipStream_tbEUlT_E0_NS1_11comp_targetILNS1_3genE3ELNS1_11target_archE908ELNS1_3gpuE7ELNS1_3repE0EEENS1_30default_config_static_selectorELNS0_4arch9wavefront6targetE1EEEvSL_
		.amdhsa_group_segment_fixed_size 0
		.amdhsa_private_segment_fixed_size 0
		.amdhsa_kernarg_size 72
		.amdhsa_user_sgpr_count 6
		.amdhsa_user_sgpr_private_segment_buffer 1
		.amdhsa_user_sgpr_dispatch_ptr 0
		.amdhsa_user_sgpr_queue_ptr 0
		.amdhsa_user_sgpr_kernarg_segment_ptr 1
		.amdhsa_user_sgpr_dispatch_id 0
		.amdhsa_user_sgpr_flat_scratch_init 0
		.amdhsa_user_sgpr_private_segment_size 0
		.amdhsa_uses_dynamic_stack 0
		.amdhsa_system_sgpr_private_segment_wavefront_offset 0
		.amdhsa_system_sgpr_workgroup_id_x 1
		.amdhsa_system_sgpr_workgroup_id_y 0
		.amdhsa_system_sgpr_workgroup_id_z 0
		.amdhsa_system_sgpr_workgroup_info 0
		.amdhsa_system_vgpr_workitem_id 0
		.amdhsa_next_free_vgpr 1
		.amdhsa_next_free_sgpr 0
		.amdhsa_reserve_vcc 0
		.amdhsa_reserve_flat_scratch 0
		.amdhsa_float_round_mode_32 0
		.amdhsa_float_round_mode_16_64 0
		.amdhsa_float_denorm_mode_32 3
		.amdhsa_float_denorm_mode_16_64 3
		.amdhsa_dx10_clamp 1
		.amdhsa_ieee_mode 1
		.amdhsa_fp16_overflow 0
		.amdhsa_exception_fp_ieee_invalid_op 0
		.amdhsa_exception_fp_denorm_src 0
		.amdhsa_exception_fp_ieee_div_zero 0
		.amdhsa_exception_fp_ieee_overflow 0
		.amdhsa_exception_fp_ieee_underflow 0
		.amdhsa_exception_fp_ieee_inexact 0
		.amdhsa_exception_int_div_zero 0
	.end_amdhsa_kernel
	.section	.text._ZN7rocprim17ROCPRIM_400000_NS6detail17trampoline_kernelINS0_14default_configENS1_22reduce_config_selectorIiEEZNS1_11reduce_implILb1ES3_N6thrust23THRUST_200600_302600_NS11hip_rocprim35transform_pair_of_input_iterators_tIiPsSB_NS8_12not_equal_toIsEEEEPiiNS8_4plusIiEEEE10hipError_tPvRmT1_T2_T3_mT4_P12ihipStream_tbEUlT_E0_NS1_11comp_targetILNS1_3genE3ELNS1_11target_archE908ELNS1_3gpuE7ELNS1_3repE0EEENS1_30default_config_static_selectorELNS0_4arch9wavefront6targetE1EEEvSL_,"axG",@progbits,_ZN7rocprim17ROCPRIM_400000_NS6detail17trampoline_kernelINS0_14default_configENS1_22reduce_config_selectorIiEEZNS1_11reduce_implILb1ES3_N6thrust23THRUST_200600_302600_NS11hip_rocprim35transform_pair_of_input_iterators_tIiPsSB_NS8_12not_equal_toIsEEEEPiiNS8_4plusIiEEEE10hipError_tPvRmT1_T2_T3_mT4_P12ihipStream_tbEUlT_E0_NS1_11comp_targetILNS1_3genE3ELNS1_11target_archE908ELNS1_3gpuE7ELNS1_3repE0EEENS1_30default_config_static_selectorELNS0_4arch9wavefront6targetE1EEEvSL_,comdat
.Lfunc_end1455:
	.size	_ZN7rocprim17ROCPRIM_400000_NS6detail17trampoline_kernelINS0_14default_configENS1_22reduce_config_selectorIiEEZNS1_11reduce_implILb1ES3_N6thrust23THRUST_200600_302600_NS11hip_rocprim35transform_pair_of_input_iterators_tIiPsSB_NS8_12not_equal_toIsEEEEPiiNS8_4plusIiEEEE10hipError_tPvRmT1_T2_T3_mT4_P12ihipStream_tbEUlT_E0_NS1_11comp_targetILNS1_3genE3ELNS1_11target_archE908ELNS1_3gpuE7ELNS1_3repE0EEENS1_30default_config_static_selectorELNS0_4arch9wavefront6targetE1EEEvSL_, .Lfunc_end1455-_ZN7rocprim17ROCPRIM_400000_NS6detail17trampoline_kernelINS0_14default_configENS1_22reduce_config_selectorIiEEZNS1_11reduce_implILb1ES3_N6thrust23THRUST_200600_302600_NS11hip_rocprim35transform_pair_of_input_iterators_tIiPsSB_NS8_12not_equal_toIsEEEEPiiNS8_4plusIiEEEE10hipError_tPvRmT1_T2_T3_mT4_P12ihipStream_tbEUlT_E0_NS1_11comp_targetILNS1_3genE3ELNS1_11target_archE908ELNS1_3gpuE7ELNS1_3repE0EEENS1_30default_config_static_selectorELNS0_4arch9wavefront6targetE1EEEvSL_
                                        ; -- End function
	.set _ZN7rocprim17ROCPRIM_400000_NS6detail17trampoline_kernelINS0_14default_configENS1_22reduce_config_selectorIiEEZNS1_11reduce_implILb1ES3_N6thrust23THRUST_200600_302600_NS11hip_rocprim35transform_pair_of_input_iterators_tIiPsSB_NS8_12not_equal_toIsEEEEPiiNS8_4plusIiEEEE10hipError_tPvRmT1_T2_T3_mT4_P12ihipStream_tbEUlT_E0_NS1_11comp_targetILNS1_3genE3ELNS1_11target_archE908ELNS1_3gpuE7ELNS1_3repE0EEENS1_30default_config_static_selectorELNS0_4arch9wavefront6targetE1EEEvSL_.num_vgpr, 0
	.set _ZN7rocprim17ROCPRIM_400000_NS6detail17trampoline_kernelINS0_14default_configENS1_22reduce_config_selectorIiEEZNS1_11reduce_implILb1ES3_N6thrust23THRUST_200600_302600_NS11hip_rocprim35transform_pair_of_input_iterators_tIiPsSB_NS8_12not_equal_toIsEEEEPiiNS8_4plusIiEEEE10hipError_tPvRmT1_T2_T3_mT4_P12ihipStream_tbEUlT_E0_NS1_11comp_targetILNS1_3genE3ELNS1_11target_archE908ELNS1_3gpuE7ELNS1_3repE0EEENS1_30default_config_static_selectorELNS0_4arch9wavefront6targetE1EEEvSL_.num_agpr, 0
	.set _ZN7rocprim17ROCPRIM_400000_NS6detail17trampoline_kernelINS0_14default_configENS1_22reduce_config_selectorIiEEZNS1_11reduce_implILb1ES3_N6thrust23THRUST_200600_302600_NS11hip_rocprim35transform_pair_of_input_iterators_tIiPsSB_NS8_12not_equal_toIsEEEEPiiNS8_4plusIiEEEE10hipError_tPvRmT1_T2_T3_mT4_P12ihipStream_tbEUlT_E0_NS1_11comp_targetILNS1_3genE3ELNS1_11target_archE908ELNS1_3gpuE7ELNS1_3repE0EEENS1_30default_config_static_selectorELNS0_4arch9wavefront6targetE1EEEvSL_.numbered_sgpr, 0
	.set _ZN7rocprim17ROCPRIM_400000_NS6detail17trampoline_kernelINS0_14default_configENS1_22reduce_config_selectorIiEEZNS1_11reduce_implILb1ES3_N6thrust23THRUST_200600_302600_NS11hip_rocprim35transform_pair_of_input_iterators_tIiPsSB_NS8_12not_equal_toIsEEEEPiiNS8_4plusIiEEEE10hipError_tPvRmT1_T2_T3_mT4_P12ihipStream_tbEUlT_E0_NS1_11comp_targetILNS1_3genE3ELNS1_11target_archE908ELNS1_3gpuE7ELNS1_3repE0EEENS1_30default_config_static_selectorELNS0_4arch9wavefront6targetE1EEEvSL_.num_named_barrier, 0
	.set _ZN7rocprim17ROCPRIM_400000_NS6detail17trampoline_kernelINS0_14default_configENS1_22reduce_config_selectorIiEEZNS1_11reduce_implILb1ES3_N6thrust23THRUST_200600_302600_NS11hip_rocprim35transform_pair_of_input_iterators_tIiPsSB_NS8_12not_equal_toIsEEEEPiiNS8_4plusIiEEEE10hipError_tPvRmT1_T2_T3_mT4_P12ihipStream_tbEUlT_E0_NS1_11comp_targetILNS1_3genE3ELNS1_11target_archE908ELNS1_3gpuE7ELNS1_3repE0EEENS1_30default_config_static_selectorELNS0_4arch9wavefront6targetE1EEEvSL_.private_seg_size, 0
	.set _ZN7rocprim17ROCPRIM_400000_NS6detail17trampoline_kernelINS0_14default_configENS1_22reduce_config_selectorIiEEZNS1_11reduce_implILb1ES3_N6thrust23THRUST_200600_302600_NS11hip_rocprim35transform_pair_of_input_iterators_tIiPsSB_NS8_12not_equal_toIsEEEEPiiNS8_4plusIiEEEE10hipError_tPvRmT1_T2_T3_mT4_P12ihipStream_tbEUlT_E0_NS1_11comp_targetILNS1_3genE3ELNS1_11target_archE908ELNS1_3gpuE7ELNS1_3repE0EEENS1_30default_config_static_selectorELNS0_4arch9wavefront6targetE1EEEvSL_.uses_vcc, 0
	.set _ZN7rocprim17ROCPRIM_400000_NS6detail17trampoline_kernelINS0_14default_configENS1_22reduce_config_selectorIiEEZNS1_11reduce_implILb1ES3_N6thrust23THRUST_200600_302600_NS11hip_rocprim35transform_pair_of_input_iterators_tIiPsSB_NS8_12not_equal_toIsEEEEPiiNS8_4plusIiEEEE10hipError_tPvRmT1_T2_T3_mT4_P12ihipStream_tbEUlT_E0_NS1_11comp_targetILNS1_3genE3ELNS1_11target_archE908ELNS1_3gpuE7ELNS1_3repE0EEENS1_30default_config_static_selectorELNS0_4arch9wavefront6targetE1EEEvSL_.uses_flat_scratch, 0
	.set _ZN7rocprim17ROCPRIM_400000_NS6detail17trampoline_kernelINS0_14default_configENS1_22reduce_config_selectorIiEEZNS1_11reduce_implILb1ES3_N6thrust23THRUST_200600_302600_NS11hip_rocprim35transform_pair_of_input_iterators_tIiPsSB_NS8_12not_equal_toIsEEEEPiiNS8_4plusIiEEEE10hipError_tPvRmT1_T2_T3_mT4_P12ihipStream_tbEUlT_E0_NS1_11comp_targetILNS1_3genE3ELNS1_11target_archE908ELNS1_3gpuE7ELNS1_3repE0EEENS1_30default_config_static_selectorELNS0_4arch9wavefront6targetE1EEEvSL_.has_dyn_sized_stack, 0
	.set _ZN7rocprim17ROCPRIM_400000_NS6detail17trampoline_kernelINS0_14default_configENS1_22reduce_config_selectorIiEEZNS1_11reduce_implILb1ES3_N6thrust23THRUST_200600_302600_NS11hip_rocprim35transform_pair_of_input_iterators_tIiPsSB_NS8_12not_equal_toIsEEEEPiiNS8_4plusIiEEEE10hipError_tPvRmT1_T2_T3_mT4_P12ihipStream_tbEUlT_E0_NS1_11comp_targetILNS1_3genE3ELNS1_11target_archE908ELNS1_3gpuE7ELNS1_3repE0EEENS1_30default_config_static_selectorELNS0_4arch9wavefront6targetE1EEEvSL_.has_recursion, 0
	.set _ZN7rocprim17ROCPRIM_400000_NS6detail17trampoline_kernelINS0_14default_configENS1_22reduce_config_selectorIiEEZNS1_11reduce_implILb1ES3_N6thrust23THRUST_200600_302600_NS11hip_rocprim35transform_pair_of_input_iterators_tIiPsSB_NS8_12not_equal_toIsEEEEPiiNS8_4plusIiEEEE10hipError_tPvRmT1_T2_T3_mT4_P12ihipStream_tbEUlT_E0_NS1_11comp_targetILNS1_3genE3ELNS1_11target_archE908ELNS1_3gpuE7ELNS1_3repE0EEENS1_30default_config_static_selectorELNS0_4arch9wavefront6targetE1EEEvSL_.has_indirect_call, 0
	.section	.AMDGPU.csdata,"",@progbits
; Kernel info:
; codeLenInByte = 0
; TotalNumSgprs: 4
; NumVgprs: 0
; ScratchSize: 0
; MemoryBound: 0
; FloatMode: 240
; IeeeMode: 1
; LDSByteSize: 0 bytes/workgroup (compile time only)
; SGPRBlocks: 0
; VGPRBlocks: 0
; NumSGPRsForWavesPerEU: 4
; NumVGPRsForWavesPerEU: 1
; Occupancy: 10
; WaveLimiterHint : 0
; COMPUTE_PGM_RSRC2:SCRATCH_EN: 0
; COMPUTE_PGM_RSRC2:USER_SGPR: 6
; COMPUTE_PGM_RSRC2:TRAP_HANDLER: 0
; COMPUTE_PGM_RSRC2:TGID_X_EN: 1
; COMPUTE_PGM_RSRC2:TGID_Y_EN: 0
; COMPUTE_PGM_RSRC2:TGID_Z_EN: 0
; COMPUTE_PGM_RSRC2:TIDIG_COMP_CNT: 0
	.section	.text._ZN7rocprim17ROCPRIM_400000_NS6detail17trampoline_kernelINS0_14default_configENS1_22reduce_config_selectorIiEEZNS1_11reduce_implILb1ES3_N6thrust23THRUST_200600_302600_NS11hip_rocprim35transform_pair_of_input_iterators_tIiPsSB_NS8_12not_equal_toIsEEEEPiiNS8_4plusIiEEEE10hipError_tPvRmT1_T2_T3_mT4_P12ihipStream_tbEUlT_E0_NS1_11comp_targetILNS1_3genE2ELNS1_11target_archE906ELNS1_3gpuE6ELNS1_3repE0EEENS1_30default_config_static_selectorELNS0_4arch9wavefront6targetE1EEEvSL_,"axG",@progbits,_ZN7rocprim17ROCPRIM_400000_NS6detail17trampoline_kernelINS0_14default_configENS1_22reduce_config_selectorIiEEZNS1_11reduce_implILb1ES3_N6thrust23THRUST_200600_302600_NS11hip_rocprim35transform_pair_of_input_iterators_tIiPsSB_NS8_12not_equal_toIsEEEEPiiNS8_4plusIiEEEE10hipError_tPvRmT1_T2_T3_mT4_P12ihipStream_tbEUlT_E0_NS1_11comp_targetILNS1_3genE2ELNS1_11target_archE906ELNS1_3gpuE6ELNS1_3repE0EEENS1_30default_config_static_selectorELNS0_4arch9wavefront6targetE1EEEvSL_,comdat
	.protected	_ZN7rocprim17ROCPRIM_400000_NS6detail17trampoline_kernelINS0_14default_configENS1_22reduce_config_selectorIiEEZNS1_11reduce_implILb1ES3_N6thrust23THRUST_200600_302600_NS11hip_rocprim35transform_pair_of_input_iterators_tIiPsSB_NS8_12not_equal_toIsEEEEPiiNS8_4plusIiEEEE10hipError_tPvRmT1_T2_T3_mT4_P12ihipStream_tbEUlT_E0_NS1_11comp_targetILNS1_3genE2ELNS1_11target_archE906ELNS1_3gpuE6ELNS1_3repE0EEENS1_30default_config_static_selectorELNS0_4arch9wavefront6targetE1EEEvSL_ ; -- Begin function _ZN7rocprim17ROCPRIM_400000_NS6detail17trampoline_kernelINS0_14default_configENS1_22reduce_config_selectorIiEEZNS1_11reduce_implILb1ES3_N6thrust23THRUST_200600_302600_NS11hip_rocprim35transform_pair_of_input_iterators_tIiPsSB_NS8_12not_equal_toIsEEEEPiiNS8_4plusIiEEEE10hipError_tPvRmT1_T2_T3_mT4_P12ihipStream_tbEUlT_E0_NS1_11comp_targetILNS1_3genE2ELNS1_11target_archE906ELNS1_3gpuE6ELNS1_3repE0EEENS1_30default_config_static_selectorELNS0_4arch9wavefront6targetE1EEEvSL_
	.globl	_ZN7rocprim17ROCPRIM_400000_NS6detail17trampoline_kernelINS0_14default_configENS1_22reduce_config_selectorIiEEZNS1_11reduce_implILb1ES3_N6thrust23THRUST_200600_302600_NS11hip_rocprim35transform_pair_of_input_iterators_tIiPsSB_NS8_12not_equal_toIsEEEEPiiNS8_4plusIiEEEE10hipError_tPvRmT1_T2_T3_mT4_P12ihipStream_tbEUlT_E0_NS1_11comp_targetILNS1_3genE2ELNS1_11target_archE906ELNS1_3gpuE6ELNS1_3repE0EEENS1_30default_config_static_selectorELNS0_4arch9wavefront6targetE1EEEvSL_
	.p2align	8
	.type	_ZN7rocprim17ROCPRIM_400000_NS6detail17trampoline_kernelINS0_14default_configENS1_22reduce_config_selectorIiEEZNS1_11reduce_implILb1ES3_N6thrust23THRUST_200600_302600_NS11hip_rocprim35transform_pair_of_input_iterators_tIiPsSB_NS8_12not_equal_toIsEEEEPiiNS8_4plusIiEEEE10hipError_tPvRmT1_T2_T3_mT4_P12ihipStream_tbEUlT_E0_NS1_11comp_targetILNS1_3genE2ELNS1_11target_archE906ELNS1_3gpuE6ELNS1_3repE0EEENS1_30default_config_static_selectorELNS0_4arch9wavefront6targetE1EEEvSL_,@function
_ZN7rocprim17ROCPRIM_400000_NS6detail17trampoline_kernelINS0_14default_configENS1_22reduce_config_selectorIiEEZNS1_11reduce_implILb1ES3_N6thrust23THRUST_200600_302600_NS11hip_rocprim35transform_pair_of_input_iterators_tIiPsSB_NS8_12not_equal_toIsEEEEPiiNS8_4plusIiEEEE10hipError_tPvRmT1_T2_T3_mT4_P12ihipStream_tbEUlT_E0_NS1_11comp_targetILNS1_3genE2ELNS1_11target_archE906ELNS1_3gpuE6ELNS1_3repE0EEENS1_30default_config_static_selectorELNS0_4arch9wavefront6targetE1EEEvSL_: ; @_ZN7rocprim17ROCPRIM_400000_NS6detail17trampoline_kernelINS0_14default_configENS1_22reduce_config_selectorIiEEZNS1_11reduce_implILb1ES3_N6thrust23THRUST_200600_302600_NS11hip_rocprim35transform_pair_of_input_iterators_tIiPsSB_NS8_12not_equal_toIsEEEEPiiNS8_4plusIiEEEE10hipError_tPvRmT1_T2_T3_mT4_P12ihipStream_tbEUlT_E0_NS1_11comp_targetILNS1_3genE2ELNS1_11target_archE906ELNS1_3gpuE6ELNS1_3repE0EEENS1_30default_config_static_selectorELNS0_4arch9wavefront6targetE1EEEvSL_
; %bb.0:
	s_load_dwordx8 s[8:15], s[4:5], 0x18
	s_load_dwordx4 s[0:3], s[4:5], 0x0
	s_load_dwordx2 s[16:17], s[4:5], 0x38
	v_lshlrev_b32_e32 v6, 1, v0
	v_mbcnt_lo_u32_b32 v5, -1, 0
	s_waitcnt lgkmcnt(0)
	s_lshl_b64 s[8:9], s[8:9], 1
	s_add_u32 s20, s0, s8
	s_addc_u32 s21, s1, s9
	s_add_u32 s22, s2, s8
	s_addc_u32 s23, s3, s9
	s_lshl_b32 s0, s6, 10
	s_mov_b32 s1, 0
	s_lshr_b64 s[2:3], s[10:11], 10
	s_lshl_b64 s[18:19], s[0:1], 1
	s_add_u32 s8, s20, s18
	s_addc_u32 s9, s21, s19
	s_add_u32 s18, s22, s18
	s_mov_b32 s7, s1
	s_addc_u32 s19, s23, s19
	s_cmp_lg_u64 s[2:3], s[6:7]
	s_cbranch_scc0 .LBB1456_6
; %bb.1:
	global_load_ushort v1, v6, s[8:9]
	global_load_ushort v4, v6, s[18:19]
	global_load_ushort v7, v6, s[8:9] offset:1024
	global_load_ushort v8, v6, s[18:19] offset:1024
	;; [unrolled: 1-line block ×6, first 2 shown]
	v_mbcnt_hi_u32_b32 v2, -1, v5
	v_lshlrev_b32_e32 v3, 2, v2
	s_waitcnt vmcnt(6)
	v_cmp_ne_u16_e32 vcc, v1, v4
	v_cndmask_b32_e64 v1, 0, 1, vcc
	s_waitcnt vmcnt(4)
	v_cmp_ne_u16_e32 vcc, v7, v8
	v_cndmask_b32_e64 v4, 0, 1, vcc
	s_waitcnt vmcnt(2)
	v_cmp_ne_u16_e32 vcc, v9, v10
	v_addc_co_u32_e32 v1, vcc, 0, v1, vcc
	s_waitcnt vmcnt(0)
	v_cmp_ne_u16_e32 vcc, v12, v11
	v_addc_co_u32_e32 v1, vcc, v1, v4, vcc
	v_or_b32_e32 v4, 0xfc, v3
	s_nop 0
	v_add_u32_dpp v1, v1, v1 quad_perm:[1,0,3,2] row_mask:0xf bank_mask:0xf bound_ctrl:1
	v_cmp_eq_u32_e32 vcc, 0, v2
	s_nop 0
	v_add_u32_dpp v1, v1, v1 quad_perm:[2,3,0,1] row_mask:0xf bank_mask:0xf bound_ctrl:1
	s_nop 1
	v_add_u32_dpp v1, v1, v1 row_ror:4 row_mask:0xf bank_mask:0xf bound_ctrl:1
	s_nop 1
	v_add_u32_dpp v1, v1, v1 row_ror:8 row_mask:0xf bank_mask:0xf bound_ctrl:1
	s_nop 1
	v_add_u32_dpp v1, v1, v1 row_bcast:15 row_mask:0xf bank_mask:0xf bound_ctrl:1
	s_nop 1
	v_add_u32_dpp v1, v1, v1 row_bcast:31 row_mask:0xf bank_mask:0xf bound_ctrl:1
	ds_bpermute_b32 v1, v4, v1
	s_and_saveexec_b64 s[2:3], vcc
	s_cbranch_execz .LBB1456_3
; %bb.2:
	v_lshrrev_b32_e32 v4, 4, v0
	v_and_b32_e32 v4, 12, v4
	s_waitcnt lgkmcnt(0)
	ds_write_b32 v4, v1
.LBB1456_3:
	s_or_b64 exec, exec, s[2:3]
	v_cmp_gt_u32_e32 vcc, 64, v0
	s_waitcnt lgkmcnt(0)
	s_barrier
	s_and_saveexec_b64 s[2:3], vcc
	s_cbranch_execz .LBB1456_5
; %bb.4:
	v_and_b32_e32 v1, 3, v2
	v_lshlrev_b32_e32 v4, 2, v1
	ds_read_b32 v4, v4
	v_cmp_ne_u32_e32 vcc, 3, v1
	v_addc_co_u32_e32 v1, vcc, 0, v2, vcc
	v_lshlrev_b32_e32 v1, 2, v1
	s_waitcnt lgkmcnt(0)
	ds_bpermute_b32 v1, v1, v4
	v_or_b32_e32 v2, 8, v3
	s_waitcnt lgkmcnt(0)
	v_add_u32_e32 v1, v1, v4
	ds_bpermute_b32 v2, v2, v1
	s_waitcnt lgkmcnt(0)
	v_add_u32_e32 v1, v2, v1
.LBB1456_5:
	s_or_b64 exec, exec, s[2:3]
	s_load_dword s22, s[4:5], 0x40
	s_branch .LBB1456_20
.LBB1456_6:
                                        ; implicit-def: $vgpr1
	s_load_dword s22, s[4:5], 0x40
	s_cbranch_execz .LBB1456_20
; %bb.7:
	s_sub_i32 s23, s10, s0
	v_mov_b32_e32 v1, 0
	v_cmp_gt_u32_e32 vcc, s23, v0
	v_mov_b32_e32 v2, v1
	v_mov_b32_e32 v3, v1
	;; [unrolled: 1-line block ×3, first 2 shown]
	s_and_saveexec_b64 s[0:1], vcc
	s_cbranch_execz .LBB1456_9
; %bb.8:
	global_load_ushort v2, v6, s[8:9]
	global_load_ushort v3, v6, s[18:19]
	v_mov_b32_e32 v8, v1
	v_mov_b32_e32 v9, v1
	;; [unrolled: 1-line block ×3, first 2 shown]
	s_waitcnt vmcnt(0)
	v_cmp_ne_u16_e32 vcc, v2, v3
	v_cndmask_b32_e64 v2, 0, 1, vcc
	v_and_b32_e32 v7, 0xffff, v2
	v_mov_b32_e32 v1, v7
	v_mov_b32_e32 v2, v8
	v_mov_b32_e32 v3, v9
	v_mov_b32_e32 v4, v10
.LBB1456_9:
	s_or_b64 exec, exec, s[0:1]
	v_or_b32_e32 v7, 0x100, v0
	v_cmp_gt_u32_e32 vcc, s23, v7
	s_and_saveexec_b64 s[2:3], vcc
	s_cbranch_execz .LBB1456_11
; %bb.10:
	global_load_ushort v2, v6, s[8:9] offset:512
	global_load_ushort v7, v6, s[18:19] offset:512
	s_waitcnt vmcnt(0)
	v_cmp_ne_u16_e64 s[0:1], v2, v7
	v_cndmask_b32_e64 v2, 0, 1, s[0:1]
.LBB1456_11:
	s_or_b64 exec, exec, s[2:3]
	v_or_b32_e32 v7, 0x200, v0
	v_cmp_gt_u32_e64 s[0:1], s23, v7
	s_and_saveexec_b64 s[4:5], s[0:1]
	s_cbranch_execz .LBB1456_13
; %bb.12:
	global_load_ushort v3, v6, s[8:9] offset:1024
	global_load_ushort v7, v6, s[18:19] offset:1024
	s_waitcnt vmcnt(0)
	v_cmp_ne_u16_e64 s[2:3], v3, v7
	v_cndmask_b32_e64 v3, 0, 1, s[2:3]
.LBB1456_13:
	s_or_b64 exec, exec, s[4:5]
	v_or_b32_e32 v7, 0x300, v0
	v_cmp_gt_u32_e64 s[2:3], s23, v7
	s_and_saveexec_b64 s[20:21], s[2:3]
	s_cbranch_execz .LBB1456_15
; %bb.14:
	global_load_ushort v4, v6, s[8:9] offset:1536
	global_load_ushort v7, v6, s[18:19] offset:1536
	s_waitcnt vmcnt(0)
	v_cmp_ne_u16_e64 s[4:5], v4, v7
	v_cndmask_b32_e64 v4, 0, 1, s[4:5]
.LBB1456_15:
	s_or_b64 exec, exec, s[20:21]
	v_cndmask_b32_e32 v2, 0, v2, vcc
	v_add_u32_e32 v1, v2, v1
	v_cndmask_b32_e64 v2, 0, v3, s[0:1]
	v_cndmask_b32_e64 v3, 0, v4, s[2:3]
	v_add3_u32 v1, v1, v2, v3
	v_mbcnt_hi_u32_b32 v2, -1, v5
	v_and_b32_e32 v4, 63, v2
	v_cmp_ne_u32_e32 vcc, 63, v4
	v_addc_co_u32_e32 v3, vcc, 0, v2, vcc
	v_lshlrev_b32_e32 v3, 2, v3
	ds_bpermute_b32 v3, v3, v1
	s_min_u32 s2, s23, 0x100
	v_and_b32_e32 v5, 0xc0, v0
	v_sub_u32_e64 v5, s2, v5 clamp
	v_add_u32_e32 v6, 1, v4
	v_cmp_lt_u32_e32 vcc, v6, v5
	s_waitcnt lgkmcnt(0)
	v_cndmask_b32_e32 v3, 0, v3, vcc
	v_cmp_gt_u32_e32 vcc, 62, v4
	v_add_u32_e32 v1, v3, v1
	v_cndmask_b32_e64 v3, 0, 2, vcc
	v_add_lshl_u32 v3, v3, v2, 2
	ds_bpermute_b32 v3, v3, v1
	v_add_u32_e32 v6, 2, v4
	v_cmp_lt_u32_e32 vcc, v6, v5
	v_add_u32_e32 v6, 4, v4
	s_waitcnt lgkmcnt(0)
	v_cndmask_b32_e32 v3, 0, v3, vcc
	v_cmp_gt_u32_e32 vcc, 60, v4
	v_add_u32_e32 v1, v1, v3
	v_cndmask_b32_e64 v3, 0, 4, vcc
	v_add_lshl_u32 v3, v3, v2, 2
	ds_bpermute_b32 v3, v3, v1
	v_cmp_lt_u32_e32 vcc, v6, v5
	v_add_u32_e32 v6, 8, v4
	s_waitcnt lgkmcnt(0)
	v_cndmask_b32_e32 v3, 0, v3, vcc
	v_cmp_gt_u32_e32 vcc, 56, v4
	v_add_u32_e32 v1, v1, v3
	v_cndmask_b32_e64 v3, 0, 8, vcc
	v_add_lshl_u32 v3, v3, v2, 2
	ds_bpermute_b32 v3, v3, v1
	;; [unrolled: 9-line block ×3, first 2 shown]
	v_cmp_lt_u32_e32 vcc, v6, v5
	v_add_u32_e32 v4, 32, v4
	s_waitcnt lgkmcnt(0)
	v_cndmask_b32_e32 v3, 0, v3, vcc
	v_add_u32_e32 v1, v1, v3
	v_lshlrev_b32_e32 v3, 2, v2
	v_or_b32_e32 v6, 0x80, v3
	ds_bpermute_b32 v6, v6, v1
	v_cmp_lt_u32_e32 vcc, v4, v5
	s_waitcnt lgkmcnt(0)
	v_cndmask_b32_e32 v4, 0, v6, vcc
	v_add_u32_e32 v1, v1, v4
	v_cmp_eq_u32_e32 vcc, 0, v2
	s_and_saveexec_b64 s[0:1], vcc
; %bb.16:
	v_lshrrev_b32_e32 v4, 4, v0
	v_and_b32_e32 v4, 12, v4
	ds_write_b32 v4, v1 offset:16
; %bb.17:
	s_or_b64 exec, exec, s[0:1]
	v_cmp_gt_u32_e32 vcc, 4, v0
	s_waitcnt lgkmcnt(0)
	s_barrier
	s_and_saveexec_b64 s[0:1], vcc
	s_cbranch_execz .LBB1456_19
; %bb.18:
	ds_read_b32 v1, v3 offset:16
	v_and_b32_e32 v4, 3, v2
	v_cmp_ne_u32_e32 vcc, 3, v4
	v_addc_co_u32_e32 v2, vcc, 0, v2, vcc
	v_lshlrev_b32_e32 v2, 2, v2
	s_waitcnt lgkmcnt(0)
	ds_bpermute_b32 v2, v2, v1
	s_add_i32 s2, s2, 63
	s_lshr_b32 s2, s2, 6
	v_add_u32_e32 v5, 1, v4
	v_cmp_gt_u32_e32 vcc, s2, v5
	s_waitcnt lgkmcnt(0)
	v_cndmask_b32_e32 v2, 0, v2, vcc
	v_add_u32_e32 v1, v2, v1
	v_or_b32_e32 v2, 8, v3
	ds_bpermute_b32 v2, v2, v1
	v_add_u32_e32 v3, 2, v4
	v_cmp_gt_u32_e32 vcc, s2, v3
	s_waitcnt lgkmcnt(0)
	v_cndmask_b32_e32 v2, 0, v2, vcc
	v_add_u32_e32 v1, v1, v2
.LBB1456_19:
	s_or_b64 exec, exec, s[0:1]
.LBB1456_20:
	v_cmp_eq_u32_e32 vcc, 0, v0
	s_and_saveexec_b64 s[0:1], vcc
	s_cbranch_execnz .LBB1456_22
; %bb.21:
	s_endpgm
.LBB1456_22:
	s_mul_i32 s0, s16, s15
	s_mul_hi_u32 s1, s16, s14
	s_add_i32 s0, s1, s0
	s_mul_i32 s1, s17, s14
	s_add_i32 s1, s0, s1
	s_mul_i32 s0, s16, s14
	s_lshl_b64 s[0:1], s[0:1], 2
	s_add_u32 s2, s12, s0
	s_addc_u32 s3, s13, s1
	s_cmp_eq_u64 s[10:11], 0
	s_cselect_b64 vcc, -1, 0
	s_lshl_b64 s[0:1], s[6:7], 2
	s_waitcnt lgkmcnt(0)
	v_mov_b32_e32 v0, s22
	s_add_u32 s0, s2, s0
	v_cndmask_b32_e32 v0, v1, v0, vcc
	s_addc_u32 s1, s3, s1
	v_mov_b32_e32 v1, 0
	global_store_dword v1, v0, s[0:1]
	s_endpgm
	.section	.rodata,"a",@progbits
	.p2align	6, 0x0
	.amdhsa_kernel _ZN7rocprim17ROCPRIM_400000_NS6detail17trampoline_kernelINS0_14default_configENS1_22reduce_config_selectorIiEEZNS1_11reduce_implILb1ES3_N6thrust23THRUST_200600_302600_NS11hip_rocprim35transform_pair_of_input_iterators_tIiPsSB_NS8_12not_equal_toIsEEEEPiiNS8_4plusIiEEEE10hipError_tPvRmT1_T2_T3_mT4_P12ihipStream_tbEUlT_E0_NS1_11comp_targetILNS1_3genE2ELNS1_11target_archE906ELNS1_3gpuE6ELNS1_3repE0EEENS1_30default_config_static_selectorELNS0_4arch9wavefront6targetE1EEEvSL_
		.amdhsa_group_segment_fixed_size 32
		.amdhsa_private_segment_fixed_size 0
		.amdhsa_kernarg_size 72
		.amdhsa_user_sgpr_count 6
		.amdhsa_user_sgpr_private_segment_buffer 1
		.amdhsa_user_sgpr_dispatch_ptr 0
		.amdhsa_user_sgpr_queue_ptr 0
		.amdhsa_user_sgpr_kernarg_segment_ptr 1
		.amdhsa_user_sgpr_dispatch_id 0
		.amdhsa_user_sgpr_flat_scratch_init 0
		.amdhsa_user_sgpr_private_segment_size 0
		.amdhsa_uses_dynamic_stack 0
		.amdhsa_system_sgpr_private_segment_wavefront_offset 0
		.amdhsa_system_sgpr_workgroup_id_x 1
		.amdhsa_system_sgpr_workgroup_id_y 0
		.amdhsa_system_sgpr_workgroup_id_z 0
		.amdhsa_system_sgpr_workgroup_info 0
		.amdhsa_system_vgpr_workitem_id 0
		.amdhsa_next_free_vgpr 13
		.amdhsa_next_free_sgpr 24
		.amdhsa_reserve_vcc 1
		.amdhsa_reserve_flat_scratch 0
		.amdhsa_float_round_mode_32 0
		.amdhsa_float_round_mode_16_64 0
		.amdhsa_float_denorm_mode_32 3
		.amdhsa_float_denorm_mode_16_64 3
		.amdhsa_dx10_clamp 1
		.amdhsa_ieee_mode 1
		.amdhsa_fp16_overflow 0
		.amdhsa_exception_fp_ieee_invalid_op 0
		.amdhsa_exception_fp_denorm_src 0
		.amdhsa_exception_fp_ieee_div_zero 0
		.amdhsa_exception_fp_ieee_overflow 0
		.amdhsa_exception_fp_ieee_underflow 0
		.amdhsa_exception_fp_ieee_inexact 0
		.amdhsa_exception_int_div_zero 0
	.end_amdhsa_kernel
	.section	.text._ZN7rocprim17ROCPRIM_400000_NS6detail17trampoline_kernelINS0_14default_configENS1_22reduce_config_selectorIiEEZNS1_11reduce_implILb1ES3_N6thrust23THRUST_200600_302600_NS11hip_rocprim35transform_pair_of_input_iterators_tIiPsSB_NS8_12not_equal_toIsEEEEPiiNS8_4plusIiEEEE10hipError_tPvRmT1_T2_T3_mT4_P12ihipStream_tbEUlT_E0_NS1_11comp_targetILNS1_3genE2ELNS1_11target_archE906ELNS1_3gpuE6ELNS1_3repE0EEENS1_30default_config_static_selectorELNS0_4arch9wavefront6targetE1EEEvSL_,"axG",@progbits,_ZN7rocprim17ROCPRIM_400000_NS6detail17trampoline_kernelINS0_14default_configENS1_22reduce_config_selectorIiEEZNS1_11reduce_implILb1ES3_N6thrust23THRUST_200600_302600_NS11hip_rocprim35transform_pair_of_input_iterators_tIiPsSB_NS8_12not_equal_toIsEEEEPiiNS8_4plusIiEEEE10hipError_tPvRmT1_T2_T3_mT4_P12ihipStream_tbEUlT_E0_NS1_11comp_targetILNS1_3genE2ELNS1_11target_archE906ELNS1_3gpuE6ELNS1_3repE0EEENS1_30default_config_static_selectorELNS0_4arch9wavefront6targetE1EEEvSL_,comdat
.Lfunc_end1456:
	.size	_ZN7rocprim17ROCPRIM_400000_NS6detail17trampoline_kernelINS0_14default_configENS1_22reduce_config_selectorIiEEZNS1_11reduce_implILb1ES3_N6thrust23THRUST_200600_302600_NS11hip_rocprim35transform_pair_of_input_iterators_tIiPsSB_NS8_12not_equal_toIsEEEEPiiNS8_4plusIiEEEE10hipError_tPvRmT1_T2_T3_mT4_P12ihipStream_tbEUlT_E0_NS1_11comp_targetILNS1_3genE2ELNS1_11target_archE906ELNS1_3gpuE6ELNS1_3repE0EEENS1_30default_config_static_selectorELNS0_4arch9wavefront6targetE1EEEvSL_, .Lfunc_end1456-_ZN7rocprim17ROCPRIM_400000_NS6detail17trampoline_kernelINS0_14default_configENS1_22reduce_config_selectorIiEEZNS1_11reduce_implILb1ES3_N6thrust23THRUST_200600_302600_NS11hip_rocprim35transform_pair_of_input_iterators_tIiPsSB_NS8_12not_equal_toIsEEEEPiiNS8_4plusIiEEEE10hipError_tPvRmT1_T2_T3_mT4_P12ihipStream_tbEUlT_E0_NS1_11comp_targetILNS1_3genE2ELNS1_11target_archE906ELNS1_3gpuE6ELNS1_3repE0EEENS1_30default_config_static_selectorELNS0_4arch9wavefront6targetE1EEEvSL_
                                        ; -- End function
	.set _ZN7rocprim17ROCPRIM_400000_NS6detail17trampoline_kernelINS0_14default_configENS1_22reduce_config_selectorIiEEZNS1_11reduce_implILb1ES3_N6thrust23THRUST_200600_302600_NS11hip_rocprim35transform_pair_of_input_iterators_tIiPsSB_NS8_12not_equal_toIsEEEEPiiNS8_4plusIiEEEE10hipError_tPvRmT1_T2_T3_mT4_P12ihipStream_tbEUlT_E0_NS1_11comp_targetILNS1_3genE2ELNS1_11target_archE906ELNS1_3gpuE6ELNS1_3repE0EEENS1_30default_config_static_selectorELNS0_4arch9wavefront6targetE1EEEvSL_.num_vgpr, 13
	.set _ZN7rocprim17ROCPRIM_400000_NS6detail17trampoline_kernelINS0_14default_configENS1_22reduce_config_selectorIiEEZNS1_11reduce_implILb1ES3_N6thrust23THRUST_200600_302600_NS11hip_rocprim35transform_pair_of_input_iterators_tIiPsSB_NS8_12not_equal_toIsEEEEPiiNS8_4plusIiEEEE10hipError_tPvRmT1_T2_T3_mT4_P12ihipStream_tbEUlT_E0_NS1_11comp_targetILNS1_3genE2ELNS1_11target_archE906ELNS1_3gpuE6ELNS1_3repE0EEENS1_30default_config_static_selectorELNS0_4arch9wavefront6targetE1EEEvSL_.num_agpr, 0
	.set _ZN7rocprim17ROCPRIM_400000_NS6detail17trampoline_kernelINS0_14default_configENS1_22reduce_config_selectorIiEEZNS1_11reduce_implILb1ES3_N6thrust23THRUST_200600_302600_NS11hip_rocprim35transform_pair_of_input_iterators_tIiPsSB_NS8_12not_equal_toIsEEEEPiiNS8_4plusIiEEEE10hipError_tPvRmT1_T2_T3_mT4_P12ihipStream_tbEUlT_E0_NS1_11comp_targetILNS1_3genE2ELNS1_11target_archE906ELNS1_3gpuE6ELNS1_3repE0EEENS1_30default_config_static_selectorELNS0_4arch9wavefront6targetE1EEEvSL_.numbered_sgpr, 24
	.set _ZN7rocprim17ROCPRIM_400000_NS6detail17trampoline_kernelINS0_14default_configENS1_22reduce_config_selectorIiEEZNS1_11reduce_implILb1ES3_N6thrust23THRUST_200600_302600_NS11hip_rocprim35transform_pair_of_input_iterators_tIiPsSB_NS8_12not_equal_toIsEEEEPiiNS8_4plusIiEEEE10hipError_tPvRmT1_T2_T3_mT4_P12ihipStream_tbEUlT_E0_NS1_11comp_targetILNS1_3genE2ELNS1_11target_archE906ELNS1_3gpuE6ELNS1_3repE0EEENS1_30default_config_static_selectorELNS0_4arch9wavefront6targetE1EEEvSL_.num_named_barrier, 0
	.set _ZN7rocprim17ROCPRIM_400000_NS6detail17trampoline_kernelINS0_14default_configENS1_22reduce_config_selectorIiEEZNS1_11reduce_implILb1ES3_N6thrust23THRUST_200600_302600_NS11hip_rocprim35transform_pair_of_input_iterators_tIiPsSB_NS8_12not_equal_toIsEEEEPiiNS8_4plusIiEEEE10hipError_tPvRmT1_T2_T3_mT4_P12ihipStream_tbEUlT_E0_NS1_11comp_targetILNS1_3genE2ELNS1_11target_archE906ELNS1_3gpuE6ELNS1_3repE0EEENS1_30default_config_static_selectorELNS0_4arch9wavefront6targetE1EEEvSL_.private_seg_size, 0
	.set _ZN7rocprim17ROCPRIM_400000_NS6detail17trampoline_kernelINS0_14default_configENS1_22reduce_config_selectorIiEEZNS1_11reduce_implILb1ES3_N6thrust23THRUST_200600_302600_NS11hip_rocprim35transform_pair_of_input_iterators_tIiPsSB_NS8_12not_equal_toIsEEEEPiiNS8_4plusIiEEEE10hipError_tPvRmT1_T2_T3_mT4_P12ihipStream_tbEUlT_E0_NS1_11comp_targetILNS1_3genE2ELNS1_11target_archE906ELNS1_3gpuE6ELNS1_3repE0EEENS1_30default_config_static_selectorELNS0_4arch9wavefront6targetE1EEEvSL_.uses_vcc, 1
	.set _ZN7rocprim17ROCPRIM_400000_NS6detail17trampoline_kernelINS0_14default_configENS1_22reduce_config_selectorIiEEZNS1_11reduce_implILb1ES3_N6thrust23THRUST_200600_302600_NS11hip_rocprim35transform_pair_of_input_iterators_tIiPsSB_NS8_12not_equal_toIsEEEEPiiNS8_4plusIiEEEE10hipError_tPvRmT1_T2_T3_mT4_P12ihipStream_tbEUlT_E0_NS1_11comp_targetILNS1_3genE2ELNS1_11target_archE906ELNS1_3gpuE6ELNS1_3repE0EEENS1_30default_config_static_selectorELNS0_4arch9wavefront6targetE1EEEvSL_.uses_flat_scratch, 0
	.set _ZN7rocprim17ROCPRIM_400000_NS6detail17trampoline_kernelINS0_14default_configENS1_22reduce_config_selectorIiEEZNS1_11reduce_implILb1ES3_N6thrust23THRUST_200600_302600_NS11hip_rocprim35transform_pair_of_input_iterators_tIiPsSB_NS8_12not_equal_toIsEEEEPiiNS8_4plusIiEEEE10hipError_tPvRmT1_T2_T3_mT4_P12ihipStream_tbEUlT_E0_NS1_11comp_targetILNS1_3genE2ELNS1_11target_archE906ELNS1_3gpuE6ELNS1_3repE0EEENS1_30default_config_static_selectorELNS0_4arch9wavefront6targetE1EEEvSL_.has_dyn_sized_stack, 0
	.set _ZN7rocprim17ROCPRIM_400000_NS6detail17trampoline_kernelINS0_14default_configENS1_22reduce_config_selectorIiEEZNS1_11reduce_implILb1ES3_N6thrust23THRUST_200600_302600_NS11hip_rocprim35transform_pair_of_input_iterators_tIiPsSB_NS8_12not_equal_toIsEEEEPiiNS8_4plusIiEEEE10hipError_tPvRmT1_T2_T3_mT4_P12ihipStream_tbEUlT_E0_NS1_11comp_targetILNS1_3genE2ELNS1_11target_archE906ELNS1_3gpuE6ELNS1_3repE0EEENS1_30default_config_static_selectorELNS0_4arch9wavefront6targetE1EEEvSL_.has_recursion, 0
	.set _ZN7rocprim17ROCPRIM_400000_NS6detail17trampoline_kernelINS0_14default_configENS1_22reduce_config_selectorIiEEZNS1_11reduce_implILb1ES3_N6thrust23THRUST_200600_302600_NS11hip_rocprim35transform_pair_of_input_iterators_tIiPsSB_NS8_12not_equal_toIsEEEEPiiNS8_4plusIiEEEE10hipError_tPvRmT1_T2_T3_mT4_P12ihipStream_tbEUlT_E0_NS1_11comp_targetILNS1_3genE2ELNS1_11target_archE906ELNS1_3gpuE6ELNS1_3repE0EEENS1_30default_config_static_selectorELNS0_4arch9wavefront6targetE1EEEvSL_.has_indirect_call, 0
	.section	.AMDGPU.csdata,"",@progbits
; Kernel info:
; codeLenInByte = 1356
; TotalNumSgprs: 28
; NumVgprs: 13
; ScratchSize: 0
; MemoryBound: 0
; FloatMode: 240
; IeeeMode: 1
; LDSByteSize: 32 bytes/workgroup (compile time only)
; SGPRBlocks: 3
; VGPRBlocks: 3
; NumSGPRsForWavesPerEU: 28
; NumVGPRsForWavesPerEU: 13
; Occupancy: 10
; WaveLimiterHint : 0
; COMPUTE_PGM_RSRC2:SCRATCH_EN: 0
; COMPUTE_PGM_RSRC2:USER_SGPR: 6
; COMPUTE_PGM_RSRC2:TRAP_HANDLER: 0
; COMPUTE_PGM_RSRC2:TGID_X_EN: 1
; COMPUTE_PGM_RSRC2:TGID_Y_EN: 0
; COMPUTE_PGM_RSRC2:TGID_Z_EN: 0
; COMPUTE_PGM_RSRC2:TIDIG_COMP_CNT: 0
	.section	.text._ZN7rocprim17ROCPRIM_400000_NS6detail17trampoline_kernelINS0_14default_configENS1_22reduce_config_selectorIiEEZNS1_11reduce_implILb1ES3_N6thrust23THRUST_200600_302600_NS11hip_rocprim35transform_pair_of_input_iterators_tIiPsSB_NS8_12not_equal_toIsEEEEPiiNS8_4plusIiEEEE10hipError_tPvRmT1_T2_T3_mT4_P12ihipStream_tbEUlT_E0_NS1_11comp_targetILNS1_3genE10ELNS1_11target_archE1201ELNS1_3gpuE5ELNS1_3repE0EEENS1_30default_config_static_selectorELNS0_4arch9wavefront6targetE1EEEvSL_,"axG",@progbits,_ZN7rocprim17ROCPRIM_400000_NS6detail17trampoline_kernelINS0_14default_configENS1_22reduce_config_selectorIiEEZNS1_11reduce_implILb1ES3_N6thrust23THRUST_200600_302600_NS11hip_rocprim35transform_pair_of_input_iterators_tIiPsSB_NS8_12not_equal_toIsEEEEPiiNS8_4plusIiEEEE10hipError_tPvRmT1_T2_T3_mT4_P12ihipStream_tbEUlT_E0_NS1_11comp_targetILNS1_3genE10ELNS1_11target_archE1201ELNS1_3gpuE5ELNS1_3repE0EEENS1_30default_config_static_selectorELNS0_4arch9wavefront6targetE1EEEvSL_,comdat
	.protected	_ZN7rocprim17ROCPRIM_400000_NS6detail17trampoline_kernelINS0_14default_configENS1_22reduce_config_selectorIiEEZNS1_11reduce_implILb1ES3_N6thrust23THRUST_200600_302600_NS11hip_rocprim35transform_pair_of_input_iterators_tIiPsSB_NS8_12not_equal_toIsEEEEPiiNS8_4plusIiEEEE10hipError_tPvRmT1_T2_T3_mT4_P12ihipStream_tbEUlT_E0_NS1_11comp_targetILNS1_3genE10ELNS1_11target_archE1201ELNS1_3gpuE5ELNS1_3repE0EEENS1_30default_config_static_selectorELNS0_4arch9wavefront6targetE1EEEvSL_ ; -- Begin function _ZN7rocprim17ROCPRIM_400000_NS6detail17trampoline_kernelINS0_14default_configENS1_22reduce_config_selectorIiEEZNS1_11reduce_implILb1ES3_N6thrust23THRUST_200600_302600_NS11hip_rocprim35transform_pair_of_input_iterators_tIiPsSB_NS8_12not_equal_toIsEEEEPiiNS8_4plusIiEEEE10hipError_tPvRmT1_T2_T3_mT4_P12ihipStream_tbEUlT_E0_NS1_11comp_targetILNS1_3genE10ELNS1_11target_archE1201ELNS1_3gpuE5ELNS1_3repE0EEENS1_30default_config_static_selectorELNS0_4arch9wavefront6targetE1EEEvSL_
	.globl	_ZN7rocprim17ROCPRIM_400000_NS6detail17trampoline_kernelINS0_14default_configENS1_22reduce_config_selectorIiEEZNS1_11reduce_implILb1ES3_N6thrust23THRUST_200600_302600_NS11hip_rocprim35transform_pair_of_input_iterators_tIiPsSB_NS8_12not_equal_toIsEEEEPiiNS8_4plusIiEEEE10hipError_tPvRmT1_T2_T3_mT4_P12ihipStream_tbEUlT_E0_NS1_11comp_targetILNS1_3genE10ELNS1_11target_archE1201ELNS1_3gpuE5ELNS1_3repE0EEENS1_30default_config_static_selectorELNS0_4arch9wavefront6targetE1EEEvSL_
	.p2align	8
	.type	_ZN7rocprim17ROCPRIM_400000_NS6detail17trampoline_kernelINS0_14default_configENS1_22reduce_config_selectorIiEEZNS1_11reduce_implILb1ES3_N6thrust23THRUST_200600_302600_NS11hip_rocprim35transform_pair_of_input_iterators_tIiPsSB_NS8_12not_equal_toIsEEEEPiiNS8_4plusIiEEEE10hipError_tPvRmT1_T2_T3_mT4_P12ihipStream_tbEUlT_E0_NS1_11comp_targetILNS1_3genE10ELNS1_11target_archE1201ELNS1_3gpuE5ELNS1_3repE0EEENS1_30default_config_static_selectorELNS0_4arch9wavefront6targetE1EEEvSL_,@function
_ZN7rocprim17ROCPRIM_400000_NS6detail17trampoline_kernelINS0_14default_configENS1_22reduce_config_selectorIiEEZNS1_11reduce_implILb1ES3_N6thrust23THRUST_200600_302600_NS11hip_rocprim35transform_pair_of_input_iterators_tIiPsSB_NS8_12not_equal_toIsEEEEPiiNS8_4plusIiEEEE10hipError_tPvRmT1_T2_T3_mT4_P12ihipStream_tbEUlT_E0_NS1_11comp_targetILNS1_3genE10ELNS1_11target_archE1201ELNS1_3gpuE5ELNS1_3repE0EEENS1_30default_config_static_selectorELNS0_4arch9wavefront6targetE1EEEvSL_: ; @_ZN7rocprim17ROCPRIM_400000_NS6detail17trampoline_kernelINS0_14default_configENS1_22reduce_config_selectorIiEEZNS1_11reduce_implILb1ES3_N6thrust23THRUST_200600_302600_NS11hip_rocprim35transform_pair_of_input_iterators_tIiPsSB_NS8_12not_equal_toIsEEEEPiiNS8_4plusIiEEEE10hipError_tPvRmT1_T2_T3_mT4_P12ihipStream_tbEUlT_E0_NS1_11comp_targetILNS1_3genE10ELNS1_11target_archE1201ELNS1_3gpuE5ELNS1_3repE0EEENS1_30default_config_static_selectorELNS0_4arch9wavefront6targetE1EEEvSL_
; %bb.0:
	.section	.rodata,"a",@progbits
	.p2align	6, 0x0
	.amdhsa_kernel _ZN7rocprim17ROCPRIM_400000_NS6detail17trampoline_kernelINS0_14default_configENS1_22reduce_config_selectorIiEEZNS1_11reduce_implILb1ES3_N6thrust23THRUST_200600_302600_NS11hip_rocprim35transform_pair_of_input_iterators_tIiPsSB_NS8_12not_equal_toIsEEEEPiiNS8_4plusIiEEEE10hipError_tPvRmT1_T2_T3_mT4_P12ihipStream_tbEUlT_E0_NS1_11comp_targetILNS1_3genE10ELNS1_11target_archE1201ELNS1_3gpuE5ELNS1_3repE0EEENS1_30default_config_static_selectorELNS0_4arch9wavefront6targetE1EEEvSL_
		.amdhsa_group_segment_fixed_size 0
		.amdhsa_private_segment_fixed_size 0
		.amdhsa_kernarg_size 72
		.amdhsa_user_sgpr_count 6
		.amdhsa_user_sgpr_private_segment_buffer 1
		.amdhsa_user_sgpr_dispatch_ptr 0
		.amdhsa_user_sgpr_queue_ptr 0
		.amdhsa_user_sgpr_kernarg_segment_ptr 1
		.amdhsa_user_sgpr_dispatch_id 0
		.amdhsa_user_sgpr_flat_scratch_init 0
		.amdhsa_user_sgpr_private_segment_size 0
		.amdhsa_uses_dynamic_stack 0
		.amdhsa_system_sgpr_private_segment_wavefront_offset 0
		.amdhsa_system_sgpr_workgroup_id_x 1
		.amdhsa_system_sgpr_workgroup_id_y 0
		.amdhsa_system_sgpr_workgroup_id_z 0
		.amdhsa_system_sgpr_workgroup_info 0
		.amdhsa_system_vgpr_workitem_id 0
		.amdhsa_next_free_vgpr 1
		.amdhsa_next_free_sgpr 0
		.amdhsa_reserve_vcc 0
		.amdhsa_reserve_flat_scratch 0
		.amdhsa_float_round_mode_32 0
		.amdhsa_float_round_mode_16_64 0
		.amdhsa_float_denorm_mode_32 3
		.amdhsa_float_denorm_mode_16_64 3
		.amdhsa_dx10_clamp 1
		.amdhsa_ieee_mode 1
		.amdhsa_fp16_overflow 0
		.amdhsa_exception_fp_ieee_invalid_op 0
		.amdhsa_exception_fp_denorm_src 0
		.amdhsa_exception_fp_ieee_div_zero 0
		.amdhsa_exception_fp_ieee_overflow 0
		.amdhsa_exception_fp_ieee_underflow 0
		.amdhsa_exception_fp_ieee_inexact 0
		.amdhsa_exception_int_div_zero 0
	.end_amdhsa_kernel
	.section	.text._ZN7rocprim17ROCPRIM_400000_NS6detail17trampoline_kernelINS0_14default_configENS1_22reduce_config_selectorIiEEZNS1_11reduce_implILb1ES3_N6thrust23THRUST_200600_302600_NS11hip_rocprim35transform_pair_of_input_iterators_tIiPsSB_NS8_12not_equal_toIsEEEEPiiNS8_4plusIiEEEE10hipError_tPvRmT1_T2_T3_mT4_P12ihipStream_tbEUlT_E0_NS1_11comp_targetILNS1_3genE10ELNS1_11target_archE1201ELNS1_3gpuE5ELNS1_3repE0EEENS1_30default_config_static_selectorELNS0_4arch9wavefront6targetE1EEEvSL_,"axG",@progbits,_ZN7rocprim17ROCPRIM_400000_NS6detail17trampoline_kernelINS0_14default_configENS1_22reduce_config_selectorIiEEZNS1_11reduce_implILb1ES3_N6thrust23THRUST_200600_302600_NS11hip_rocprim35transform_pair_of_input_iterators_tIiPsSB_NS8_12not_equal_toIsEEEEPiiNS8_4plusIiEEEE10hipError_tPvRmT1_T2_T3_mT4_P12ihipStream_tbEUlT_E0_NS1_11comp_targetILNS1_3genE10ELNS1_11target_archE1201ELNS1_3gpuE5ELNS1_3repE0EEENS1_30default_config_static_selectorELNS0_4arch9wavefront6targetE1EEEvSL_,comdat
.Lfunc_end1457:
	.size	_ZN7rocprim17ROCPRIM_400000_NS6detail17trampoline_kernelINS0_14default_configENS1_22reduce_config_selectorIiEEZNS1_11reduce_implILb1ES3_N6thrust23THRUST_200600_302600_NS11hip_rocprim35transform_pair_of_input_iterators_tIiPsSB_NS8_12not_equal_toIsEEEEPiiNS8_4plusIiEEEE10hipError_tPvRmT1_T2_T3_mT4_P12ihipStream_tbEUlT_E0_NS1_11comp_targetILNS1_3genE10ELNS1_11target_archE1201ELNS1_3gpuE5ELNS1_3repE0EEENS1_30default_config_static_selectorELNS0_4arch9wavefront6targetE1EEEvSL_, .Lfunc_end1457-_ZN7rocprim17ROCPRIM_400000_NS6detail17trampoline_kernelINS0_14default_configENS1_22reduce_config_selectorIiEEZNS1_11reduce_implILb1ES3_N6thrust23THRUST_200600_302600_NS11hip_rocprim35transform_pair_of_input_iterators_tIiPsSB_NS8_12not_equal_toIsEEEEPiiNS8_4plusIiEEEE10hipError_tPvRmT1_T2_T3_mT4_P12ihipStream_tbEUlT_E0_NS1_11comp_targetILNS1_3genE10ELNS1_11target_archE1201ELNS1_3gpuE5ELNS1_3repE0EEENS1_30default_config_static_selectorELNS0_4arch9wavefront6targetE1EEEvSL_
                                        ; -- End function
	.set _ZN7rocprim17ROCPRIM_400000_NS6detail17trampoline_kernelINS0_14default_configENS1_22reduce_config_selectorIiEEZNS1_11reduce_implILb1ES3_N6thrust23THRUST_200600_302600_NS11hip_rocprim35transform_pair_of_input_iterators_tIiPsSB_NS8_12not_equal_toIsEEEEPiiNS8_4plusIiEEEE10hipError_tPvRmT1_T2_T3_mT4_P12ihipStream_tbEUlT_E0_NS1_11comp_targetILNS1_3genE10ELNS1_11target_archE1201ELNS1_3gpuE5ELNS1_3repE0EEENS1_30default_config_static_selectorELNS0_4arch9wavefront6targetE1EEEvSL_.num_vgpr, 0
	.set _ZN7rocprim17ROCPRIM_400000_NS6detail17trampoline_kernelINS0_14default_configENS1_22reduce_config_selectorIiEEZNS1_11reduce_implILb1ES3_N6thrust23THRUST_200600_302600_NS11hip_rocprim35transform_pair_of_input_iterators_tIiPsSB_NS8_12not_equal_toIsEEEEPiiNS8_4plusIiEEEE10hipError_tPvRmT1_T2_T3_mT4_P12ihipStream_tbEUlT_E0_NS1_11comp_targetILNS1_3genE10ELNS1_11target_archE1201ELNS1_3gpuE5ELNS1_3repE0EEENS1_30default_config_static_selectorELNS0_4arch9wavefront6targetE1EEEvSL_.num_agpr, 0
	.set _ZN7rocprim17ROCPRIM_400000_NS6detail17trampoline_kernelINS0_14default_configENS1_22reduce_config_selectorIiEEZNS1_11reduce_implILb1ES3_N6thrust23THRUST_200600_302600_NS11hip_rocprim35transform_pair_of_input_iterators_tIiPsSB_NS8_12not_equal_toIsEEEEPiiNS8_4plusIiEEEE10hipError_tPvRmT1_T2_T3_mT4_P12ihipStream_tbEUlT_E0_NS1_11comp_targetILNS1_3genE10ELNS1_11target_archE1201ELNS1_3gpuE5ELNS1_3repE0EEENS1_30default_config_static_selectorELNS0_4arch9wavefront6targetE1EEEvSL_.numbered_sgpr, 0
	.set _ZN7rocprim17ROCPRIM_400000_NS6detail17trampoline_kernelINS0_14default_configENS1_22reduce_config_selectorIiEEZNS1_11reduce_implILb1ES3_N6thrust23THRUST_200600_302600_NS11hip_rocprim35transform_pair_of_input_iterators_tIiPsSB_NS8_12not_equal_toIsEEEEPiiNS8_4plusIiEEEE10hipError_tPvRmT1_T2_T3_mT4_P12ihipStream_tbEUlT_E0_NS1_11comp_targetILNS1_3genE10ELNS1_11target_archE1201ELNS1_3gpuE5ELNS1_3repE0EEENS1_30default_config_static_selectorELNS0_4arch9wavefront6targetE1EEEvSL_.num_named_barrier, 0
	.set _ZN7rocprim17ROCPRIM_400000_NS6detail17trampoline_kernelINS0_14default_configENS1_22reduce_config_selectorIiEEZNS1_11reduce_implILb1ES3_N6thrust23THRUST_200600_302600_NS11hip_rocprim35transform_pair_of_input_iterators_tIiPsSB_NS8_12not_equal_toIsEEEEPiiNS8_4plusIiEEEE10hipError_tPvRmT1_T2_T3_mT4_P12ihipStream_tbEUlT_E0_NS1_11comp_targetILNS1_3genE10ELNS1_11target_archE1201ELNS1_3gpuE5ELNS1_3repE0EEENS1_30default_config_static_selectorELNS0_4arch9wavefront6targetE1EEEvSL_.private_seg_size, 0
	.set _ZN7rocprim17ROCPRIM_400000_NS6detail17trampoline_kernelINS0_14default_configENS1_22reduce_config_selectorIiEEZNS1_11reduce_implILb1ES3_N6thrust23THRUST_200600_302600_NS11hip_rocprim35transform_pair_of_input_iterators_tIiPsSB_NS8_12not_equal_toIsEEEEPiiNS8_4plusIiEEEE10hipError_tPvRmT1_T2_T3_mT4_P12ihipStream_tbEUlT_E0_NS1_11comp_targetILNS1_3genE10ELNS1_11target_archE1201ELNS1_3gpuE5ELNS1_3repE0EEENS1_30default_config_static_selectorELNS0_4arch9wavefront6targetE1EEEvSL_.uses_vcc, 0
	.set _ZN7rocprim17ROCPRIM_400000_NS6detail17trampoline_kernelINS0_14default_configENS1_22reduce_config_selectorIiEEZNS1_11reduce_implILb1ES3_N6thrust23THRUST_200600_302600_NS11hip_rocprim35transform_pair_of_input_iterators_tIiPsSB_NS8_12not_equal_toIsEEEEPiiNS8_4plusIiEEEE10hipError_tPvRmT1_T2_T3_mT4_P12ihipStream_tbEUlT_E0_NS1_11comp_targetILNS1_3genE10ELNS1_11target_archE1201ELNS1_3gpuE5ELNS1_3repE0EEENS1_30default_config_static_selectorELNS0_4arch9wavefront6targetE1EEEvSL_.uses_flat_scratch, 0
	.set _ZN7rocprim17ROCPRIM_400000_NS6detail17trampoline_kernelINS0_14default_configENS1_22reduce_config_selectorIiEEZNS1_11reduce_implILb1ES3_N6thrust23THRUST_200600_302600_NS11hip_rocprim35transform_pair_of_input_iterators_tIiPsSB_NS8_12not_equal_toIsEEEEPiiNS8_4plusIiEEEE10hipError_tPvRmT1_T2_T3_mT4_P12ihipStream_tbEUlT_E0_NS1_11comp_targetILNS1_3genE10ELNS1_11target_archE1201ELNS1_3gpuE5ELNS1_3repE0EEENS1_30default_config_static_selectorELNS0_4arch9wavefront6targetE1EEEvSL_.has_dyn_sized_stack, 0
	.set _ZN7rocprim17ROCPRIM_400000_NS6detail17trampoline_kernelINS0_14default_configENS1_22reduce_config_selectorIiEEZNS1_11reduce_implILb1ES3_N6thrust23THRUST_200600_302600_NS11hip_rocprim35transform_pair_of_input_iterators_tIiPsSB_NS8_12not_equal_toIsEEEEPiiNS8_4plusIiEEEE10hipError_tPvRmT1_T2_T3_mT4_P12ihipStream_tbEUlT_E0_NS1_11comp_targetILNS1_3genE10ELNS1_11target_archE1201ELNS1_3gpuE5ELNS1_3repE0EEENS1_30default_config_static_selectorELNS0_4arch9wavefront6targetE1EEEvSL_.has_recursion, 0
	.set _ZN7rocprim17ROCPRIM_400000_NS6detail17trampoline_kernelINS0_14default_configENS1_22reduce_config_selectorIiEEZNS1_11reduce_implILb1ES3_N6thrust23THRUST_200600_302600_NS11hip_rocprim35transform_pair_of_input_iterators_tIiPsSB_NS8_12not_equal_toIsEEEEPiiNS8_4plusIiEEEE10hipError_tPvRmT1_T2_T3_mT4_P12ihipStream_tbEUlT_E0_NS1_11comp_targetILNS1_3genE10ELNS1_11target_archE1201ELNS1_3gpuE5ELNS1_3repE0EEENS1_30default_config_static_selectorELNS0_4arch9wavefront6targetE1EEEvSL_.has_indirect_call, 0
	.section	.AMDGPU.csdata,"",@progbits
; Kernel info:
; codeLenInByte = 0
; TotalNumSgprs: 4
; NumVgprs: 0
; ScratchSize: 0
; MemoryBound: 0
; FloatMode: 240
; IeeeMode: 1
; LDSByteSize: 0 bytes/workgroup (compile time only)
; SGPRBlocks: 0
; VGPRBlocks: 0
; NumSGPRsForWavesPerEU: 4
; NumVGPRsForWavesPerEU: 1
; Occupancy: 10
; WaveLimiterHint : 0
; COMPUTE_PGM_RSRC2:SCRATCH_EN: 0
; COMPUTE_PGM_RSRC2:USER_SGPR: 6
; COMPUTE_PGM_RSRC2:TRAP_HANDLER: 0
; COMPUTE_PGM_RSRC2:TGID_X_EN: 1
; COMPUTE_PGM_RSRC2:TGID_Y_EN: 0
; COMPUTE_PGM_RSRC2:TGID_Z_EN: 0
; COMPUTE_PGM_RSRC2:TIDIG_COMP_CNT: 0
	.section	.text._ZN7rocprim17ROCPRIM_400000_NS6detail17trampoline_kernelINS0_14default_configENS1_22reduce_config_selectorIiEEZNS1_11reduce_implILb1ES3_N6thrust23THRUST_200600_302600_NS11hip_rocprim35transform_pair_of_input_iterators_tIiPsSB_NS8_12not_equal_toIsEEEEPiiNS8_4plusIiEEEE10hipError_tPvRmT1_T2_T3_mT4_P12ihipStream_tbEUlT_E0_NS1_11comp_targetILNS1_3genE10ELNS1_11target_archE1200ELNS1_3gpuE4ELNS1_3repE0EEENS1_30default_config_static_selectorELNS0_4arch9wavefront6targetE1EEEvSL_,"axG",@progbits,_ZN7rocprim17ROCPRIM_400000_NS6detail17trampoline_kernelINS0_14default_configENS1_22reduce_config_selectorIiEEZNS1_11reduce_implILb1ES3_N6thrust23THRUST_200600_302600_NS11hip_rocprim35transform_pair_of_input_iterators_tIiPsSB_NS8_12not_equal_toIsEEEEPiiNS8_4plusIiEEEE10hipError_tPvRmT1_T2_T3_mT4_P12ihipStream_tbEUlT_E0_NS1_11comp_targetILNS1_3genE10ELNS1_11target_archE1200ELNS1_3gpuE4ELNS1_3repE0EEENS1_30default_config_static_selectorELNS0_4arch9wavefront6targetE1EEEvSL_,comdat
	.protected	_ZN7rocprim17ROCPRIM_400000_NS6detail17trampoline_kernelINS0_14default_configENS1_22reduce_config_selectorIiEEZNS1_11reduce_implILb1ES3_N6thrust23THRUST_200600_302600_NS11hip_rocprim35transform_pair_of_input_iterators_tIiPsSB_NS8_12not_equal_toIsEEEEPiiNS8_4plusIiEEEE10hipError_tPvRmT1_T2_T3_mT4_P12ihipStream_tbEUlT_E0_NS1_11comp_targetILNS1_3genE10ELNS1_11target_archE1200ELNS1_3gpuE4ELNS1_3repE0EEENS1_30default_config_static_selectorELNS0_4arch9wavefront6targetE1EEEvSL_ ; -- Begin function _ZN7rocprim17ROCPRIM_400000_NS6detail17trampoline_kernelINS0_14default_configENS1_22reduce_config_selectorIiEEZNS1_11reduce_implILb1ES3_N6thrust23THRUST_200600_302600_NS11hip_rocprim35transform_pair_of_input_iterators_tIiPsSB_NS8_12not_equal_toIsEEEEPiiNS8_4plusIiEEEE10hipError_tPvRmT1_T2_T3_mT4_P12ihipStream_tbEUlT_E0_NS1_11comp_targetILNS1_3genE10ELNS1_11target_archE1200ELNS1_3gpuE4ELNS1_3repE0EEENS1_30default_config_static_selectorELNS0_4arch9wavefront6targetE1EEEvSL_
	.globl	_ZN7rocprim17ROCPRIM_400000_NS6detail17trampoline_kernelINS0_14default_configENS1_22reduce_config_selectorIiEEZNS1_11reduce_implILb1ES3_N6thrust23THRUST_200600_302600_NS11hip_rocprim35transform_pair_of_input_iterators_tIiPsSB_NS8_12not_equal_toIsEEEEPiiNS8_4plusIiEEEE10hipError_tPvRmT1_T2_T3_mT4_P12ihipStream_tbEUlT_E0_NS1_11comp_targetILNS1_3genE10ELNS1_11target_archE1200ELNS1_3gpuE4ELNS1_3repE0EEENS1_30default_config_static_selectorELNS0_4arch9wavefront6targetE1EEEvSL_
	.p2align	8
	.type	_ZN7rocprim17ROCPRIM_400000_NS6detail17trampoline_kernelINS0_14default_configENS1_22reduce_config_selectorIiEEZNS1_11reduce_implILb1ES3_N6thrust23THRUST_200600_302600_NS11hip_rocprim35transform_pair_of_input_iterators_tIiPsSB_NS8_12not_equal_toIsEEEEPiiNS8_4plusIiEEEE10hipError_tPvRmT1_T2_T3_mT4_P12ihipStream_tbEUlT_E0_NS1_11comp_targetILNS1_3genE10ELNS1_11target_archE1200ELNS1_3gpuE4ELNS1_3repE0EEENS1_30default_config_static_selectorELNS0_4arch9wavefront6targetE1EEEvSL_,@function
_ZN7rocprim17ROCPRIM_400000_NS6detail17trampoline_kernelINS0_14default_configENS1_22reduce_config_selectorIiEEZNS1_11reduce_implILb1ES3_N6thrust23THRUST_200600_302600_NS11hip_rocprim35transform_pair_of_input_iterators_tIiPsSB_NS8_12not_equal_toIsEEEEPiiNS8_4plusIiEEEE10hipError_tPvRmT1_T2_T3_mT4_P12ihipStream_tbEUlT_E0_NS1_11comp_targetILNS1_3genE10ELNS1_11target_archE1200ELNS1_3gpuE4ELNS1_3repE0EEENS1_30default_config_static_selectorELNS0_4arch9wavefront6targetE1EEEvSL_: ; @_ZN7rocprim17ROCPRIM_400000_NS6detail17trampoline_kernelINS0_14default_configENS1_22reduce_config_selectorIiEEZNS1_11reduce_implILb1ES3_N6thrust23THRUST_200600_302600_NS11hip_rocprim35transform_pair_of_input_iterators_tIiPsSB_NS8_12not_equal_toIsEEEEPiiNS8_4plusIiEEEE10hipError_tPvRmT1_T2_T3_mT4_P12ihipStream_tbEUlT_E0_NS1_11comp_targetILNS1_3genE10ELNS1_11target_archE1200ELNS1_3gpuE4ELNS1_3repE0EEENS1_30default_config_static_selectorELNS0_4arch9wavefront6targetE1EEEvSL_
; %bb.0:
	.section	.rodata,"a",@progbits
	.p2align	6, 0x0
	.amdhsa_kernel _ZN7rocprim17ROCPRIM_400000_NS6detail17trampoline_kernelINS0_14default_configENS1_22reduce_config_selectorIiEEZNS1_11reduce_implILb1ES3_N6thrust23THRUST_200600_302600_NS11hip_rocprim35transform_pair_of_input_iterators_tIiPsSB_NS8_12not_equal_toIsEEEEPiiNS8_4plusIiEEEE10hipError_tPvRmT1_T2_T3_mT4_P12ihipStream_tbEUlT_E0_NS1_11comp_targetILNS1_3genE10ELNS1_11target_archE1200ELNS1_3gpuE4ELNS1_3repE0EEENS1_30default_config_static_selectorELNS0_4arch9wavefront6targetE1EEEvSL_
		.amdhsa_group_segment_fixed_size 0
		.amdhsa_private_segment_fixed_size 0
		.amdhsa_kernarg_size 72
		.amdhsa_user_sgpr_count 6
		.amdhsa_user_sgpr_private_segment_buffer 1
		.amdhsa_user_sgpr_dispatch_ptr 0
		.amdhsa_user_sgpr_queue_ptr 0
		.amdhsa_user_sgpr_kernarg_segment_ptr 1
		.amdhsa_user_sgpr_dispatch_id 0
		.amdhsa_user_sgpr_flat_scratch_init 0
		.amdhsa_user_sgpr_private_segment_size 0
		.amdhsa_uses_dynamic_stack 0
		.amdhsa_system_sgpr_private_segment_wavefront_offset 0
		.amdhsa_system_sgpr_workgroup_id_x 1
		.amdhsa_system_sgpr_workgroup_id_y 0
		.amdhsa_system_sgpr_workgroup_id_z 0
		.amdhsa_system_sgpr_workgroup_info 0
		.amdhsa_system_vgpr_workitem_id 0
		.amdhsa_next_free_vgpr 1
		.amdhsa_next_free_sgpr 0
		.amdhsa_reserve_vcc 0
		.amdhsa_reserve_flat_scratch 0
		.amdhsa_float_round_mode_32 0
		.amdhsa_float_round_mode_16_64 0
		.amdhsa_float_denorm_mode_32 3
		.amdhsa_float_denorm_mode_16_64 3
		.amdhsa_dx10_clamp 1
		.amdhsa_ieee_mode 1
		.amdhsa_fp16_overflow 0
		.amdhsa_exception_fp_ieee_invalid_op 0
		.amdhsa_exception_fp_denorm_src 0
		.amdhsa_exception_fp_ieee_div_zero 0
		.amdhsa_exception_fp_ieee_overflow 0
		.amdhsa_exception_fp_ieee_underflow 0
		.amdhsa_exception_fp_ieee_inexact 0
		.amdhsa_exception_int_div_zero 0
	.end_amdhsa_kernel
	.section	.text._ZN7rocprim17ROCPRIM_400000_NS6detail17trampoline_kernelINS0_14default_configENS1_22reduce_config_selectorIiEEZNS1_11reduce_implILb1ES3_N6thrust23THRUST_200600_302600_NS11hip_rocprim35transform_pair_of_input_iterators_tIiPsSB_NS8_12not_equal_toIsEEEEPiiNS8_4plusIiEEEE10hipError_tPvRmT1_T2_T3_mT4_P12ihipStream_tbEUlT_E0_NS1_11comp_targetILNS1_3genE10ELNS1_11target_archE1200ELNS1_3gpuE4ELNS1_3repE0EEENS1_30default_config_static_selectorELNS0_4arch9wavefront6targetE1EEEvSL_,"axG",@progbits,_ZN7rocprim17ROCPRIM_400000_NS6detail17trampoline_kernelINS0_14default_configENS1_22reduce_config_selectorIiEEZNS1_11reduce_implILb1ES3_N6thrust23THRUST_200600_302600_NS11hip_rocprim35transform_pair_of_input_iterators_tIiPsSB_NS8_12not_equal_toIsEEEEPiiNS8_4plusIiEEEE10hipError_tPvRmT1_T2_T3_mT4_P12ihipStream_tbEUlT_E0_NS1_11comp_targetILNS1_3genE10ELNS1_11target_archE1200ELNS1_3gpuE4ELNS1_3repE0EEENS1_30default_config_static_selectorELNS0_4arch9wavefront6targetE1EEEvSL_,comdat
.Lfunc_end1458:
	.size	_ZN7rocprim17ROCPRIM_400000_NS6detail17trampoline_kernelINS0_14default_configENS1_22reduce_config_selectorIiEEZNS1_11reduce_implILb1ES3_N6thrust23THRUST_200600_302600_NS11hip_rocprim35transform_pair_of_input_iterators_tIiPsSB_NS8_12not_equal_toIsEEEEPiiNS8_4plusIiEEEE10hipError_tPvRmT1_T2_T3_mT4_P12ihipStream_tbEUlT_E0_NS1_11comp_targetILNS1_3genE10ELNS1_11target_archE1200ELNS1_3gpuE4ELNS1_3repE0EEENS1_30default_config_static_selectorELNS0_4arch9wavefront6targetE1EEEvSL_, .Lfunc_end1458-_ZN7rocprim17ROCPRIM_400000_NS6detail17trampoline_kernelINS0_14default_configENS1_22reduce_config_selectorIiEEZNS1_11reduce_implILb1ES3_N6thrust23THRUST_200600_302600_NS11hip_rocprim35transform_pair_of_input_iterators_tIiPsSB_NS8_12not_equal_toIsEEEEPiiNS8_4plusIiEEEE10hipError_tPvRmT1_T2_T3_mT4_P12ihipStream_tbEUlT_E0_NS1_11comp_targetILNS1_3genE10ELNS1_11target_archE1200ELNS1_3gpuE4ELNS1_3repE0EEENS1_30default_config_static_selectorELNS0_4arch9wavefront6targetE1EEEvSL_
                                        ; -- End function
	.set _ZN7rocprim17ROCPRIM_400000_NS6detail17trampoline_kernelINS0_14default_configENS1_22reduce_config_selectorIiEEZNS1_11reduce_implILb1ES3_N6thrust23THRUST_200600_302600_NS11hip_rocprim35transform_pair_of_input_iterators_tIiPsSB_NS8_12not_equal_toIsEEEEPiiNS8_4plusIiEEEE10hipError_tPvRmT1_T2_T3_mT4_P12ihipStream_tbEUlT_E0_NS1_11comp_targetILNS1_3genE10ELNS1_11target_archE1200ELNS1_3gpuE4ELNS1_3repE0EEENS1_30default_config_static_selectorELNS0_4arch9wavefront6targetE1EEEvSL_.num_vgpr, 0
	.set _ZN7rocprim17ROCPRIM_400000_NS6detail17trampoline_kernelINS0_14default_configENS1_22reduce_config_selectorIiEEZNS1_11reduce_implILb1ES3_N6thrust23THRUST_200600_302600_NS11hip_rocprim35transform_pair_of_input_iterators_tIiPsSB_NS8_12not_equal_toIsEEEEPiiNS8_4plusIiEEEE10hipError_tPvRmT1_T2_T3_mT4_P12ihipStream_tbEUlT_E0_NS1_11comp_targetILNS1_3genE10ELNS1_11target_archE1200ELNS1_3gpuE4ELNS1_3repE0EEENS1_30default_config_static_selectorELNS0_4arch9wavefront6targetE1EEEvSL_.num_agpr, 0
	.set _ZN7rocprim17ROCPRIM_400000_NS6detail17trampoline_kernelINS0_14default_configENS1_22reduce_config_selectorIiEEZNS1_11reduce_implILb1ES3_N6thrust23THRUST_200600_302600_NS11hip_rocprim35transform_pair_of_input_iterators_tIiPsSB_NS8_12not_equal_toIsEEEEPiiNS8_4plusIiEEEE10hipError_tPvRmT1_T2_T3_mT4_P12ihipStream_tbEUlT_E0_NS1_11comp_targetILNS1_3genE10ELNS1_11target_archE1200ELNS1_3gpuE4ELNS1_3repE0EEENS1_30default_config_static_selectorELNS0_4arch9wavefront6targetE1EEEvSL_.numbered_sgpr, 0
	.set _ZN7rocprim17ROCPRIM_400000_NS6detail17trampoline_kernelINS0_14default_configENS1_22reduce_config_selectorIiEEZNS1_11reduce_implILb1ES3_N6thrust23THRUST_200600_302600_NS11hip_rocprim35transform_pair_of_input_iterators_tIiPsSB_NS8_12not_equal_toIsEEEEPiiNS8_4plusIiEEEE10hipError_tPvRmT1_T2_T3_mT4_P12ihipStream_tbEUlT_E0_NS1_11comp_targetILNS1_3genE10ELNS1_11target_archE1200ELNS1_3gpuE4ELNS1_3repE0EEENS1_30default_config_static_selectorELNS0_4arch9wavefront6targetE1EEEvSL_.num_named_barrier, 0
	.set _ZN7rocprim17ROCPRIM_400000_NS6detail17trampoline_kernelINS0_14default_configENS1_22reduce_config_selectorIiEEZNS1_11reduce_implILb1ES3_N6thrust23THRUST_200600_302600_NS11hip_rocprim35transform_pair_of_input_iterators_tIiPsSB_NS8_12not_equal_toIsEEEEPiiNS8_4plusIiEEEE10hipError_tPvRmT1_T2_T3_mT4_P12ihipStream_tbEUlT_E0_NS1_11comp_targetILNS1_3genE10ELNS1_11target_archE1200ELNS1_3gpuE4ELNS1_3repE0EEENS1_30default_config_static_selectorELNS0_4arch9wavefront6targetE1EEEvSL_.private_seg_size, 0
	.set _ZN7rocprim17ROCPRIM_400000_NS6detail17trampoline_kernelINS0_14default_configENS1_22reduce_config_selectorIiEEZNS1_11reduce_implILb1ES3_N6thrust23THRUST_200600_302600_NS11hip_rocprim35transform_pair_of_input_iterators_tIiPsSB_NS8_12not_equal_toIsEEEEPiiNS8_4plusIiEEEE10hipError_tPvRmT1_T2_T3_mT4_P12ihipStream_tbEUlT_E0_NS1_11comp_targetILNS1_3genE10ELNS1_11target_archE1200ELNS1_3gpuE4ELNS1_3repE0EEENS1_30default_config_static_selectorELNS0_4arch9wavefront6targetE1EEEvSL_.uses_vcc, 0
	.set _ZN7rocprim17ROCPRIM_400000_NS6detail17trampoline_kernelINS0_14default_configENS1_22reduce_config_selectorIiEEZNS1_11reduce_implILb1ES3_N6thrust23THRUST_200600_302600_NS11hip_rocprim35transform_pair_of_input_iterators_tIiPsSB_NS8_12not_equal_toIsEEEEPiiNS8_4plusIiEEEE10hipError_tPvRmT1_T2_T3_mT4_P12ihipStream_tbEUlT_E0_NS1_11comp_targetILNS1_3genE10ELNS1_11target_archE1200ELNS1_3gpuE4ELNS1_3repE0EEENS1_30default_config_static_selectorELNS0_4arch9wavefront6targetE1EEEvSL_.uses_flat_scratch, 0
	.set _ZN7rocprim17ROCPRIM_400000_NS6detail17trampoline_kernelINS0_14default_configENS1_22reduce_config_selectorIiEEZNS1_11reduce_implILb1ES3_N6thrust23THRUST_200600_302600_NS11hip_rocprim35transform_pair_of_input_iterators_tIiPsSB_NS8_12not_equal_toIsEEEEPiiNS8_4plusIiEEEE10hipError_tPvRmT1_T2_T3_mT4_P12ihipStream_tbEUlT_E0_NS1_11comp_targetILNS1_3genE10ELNS1_11target_archE1200ELNS1_3gpuE4ELNS1_3repE0EEENS1_30default_config_static_selectorELNS0_4arch9wavefront6targetE1EEEvSL_.has_dyn_sized_stack, 0
	.set _ZN7rocprim17ROCPRIM_400000_NS6detail17trampoline_kernelINS0_14default_configENS1_22reduce_config_selectorIiEEZNS1_11reduce_implILb1ES3_N6thrust23THRUST_200600_302600_NS11hip_rocprim35transform_pair_of_input_iterators_tIiPsSB_NS8_12not_equal_toIsEEEEPiiNS8_4plusIiEEEE10hipError_tPvRmT1_T2_T3_mT4_P12ihipStream_tbEUlT_E0_NS1_11comp_targetILNS1_3genE10ELNS1_11target_archE1200ELNS1_3gpuE4ELNS1_3repE0EEENS1_30default_config_static_selectorELNS0_4arch9wavefront6targetE1EEEvSL_.has_recursion, 0
	.set _ZN7rocprim17ROCPRIM_400000_NS6detail17trampoline_kernelINS0_14default_configENS1_22reduce_config_selectorIiEEZNS1_11reduce_implILb1ES3_N6thrust23THRUST_200600_302600_NS11hip_rocprim35transform_pair_of_input_iterators_tIiPsSB_NS8_12not_equal_toIsEEEEPiiNS8_4plusIiEEEE10hipError_tPvRmT1_T2_T3_mT4_P12ihipStream_tbEUlT_E0_NS1_11comp_targetILNS1_3genE10ELNS1_11target_archE1200ELNS1_3gpuE4ELNS1_3repE0EEENS1_30default_config_static_selectorELNS0_4arch9wavefront6targetE1EEEvSL_.has_indirect_call, 0
	.section	.AMDGPU.csdata,"",@progbits
; Kernel info:
; codeLenInByte = 0
; TotalNumSgprs: 4
; NumVgprs: 0
; ScratchSize: 0
; MemoryBound: 0
; FloatMode: 240
; IeeeMode: 1
; LDSByteSize: 0 bytes/workgroup (compile time only)
; SGPRBlocks: 0
; VGPRBlocks: 0
; NumSGPRsForWavesPerEU: 4
; NumVGPRsForWavesPerEU: 1
; Occupancy: 10
; WaveLimiterHint : 0
; COMPUTE_PGM_RSRC2:SCRATCH_EN: 0
; COMPUTE_PGM_RSRC2:USER_SGPR: 6
; COMPUTE_PGM_RSRC2:TRAP_HANDLER: 0
; COMPUTE_PGM_RSRC2:TGID_X_EN: 1
; COMPUTE_PGM_RSRC2:TGID_Y_EN: 0
; COMPUTE_PGM_RSRC2:TGID_Z_EN: 0
; COMPUTE_PGM_RSRC2:TIDIG_COMP_CNT: 0
	.section	.text._ZN7rocprim17ROCPRIM_400000_NS6detail17trampoline_kernelINS0_14default_configENS1_22reduce_config_selectorIiEEZNS1_11reduce_implILb1ES3_N6thrust23THRUST_200600_302600_NS11hip_rocprim35transform_pair_of_input_iterators_tIiPsSB_NS8_12not_equal_toIsEEEEPiiNS8_4plusIiEEEE10hipError_tPvRmT1_T2_T3_mT4_P12ihipStream_tbEUlT_E0_NS1_11comp_targetILNS1_3genE9ELNS1_11target_archE1100ELNS1_3gpuE3ELNS1_3repE0EEENS1_30default_config_static_selectorELNS0_4arch9wavefront6targetE1EEEvSL_,"axG",@progbits,_ZN7rocprim17ROCPRIM_400000_NS6detail17trampoline_kernelINS0_14default_configENS1_22reduce_config_selectorIiEEZNS1_11reduce_implILb1ES3_N6thrust23THRUST_200600_302600_NS11hip_rocprim35transform_pair_of_input_iterators_tIiPsSB_NS8_12not_equal_toIsEEEEPiiNS8_4plusIiEEEE10hipError_tPvRmT1_T2_T3_mT4_P12ihipStream_tbEUlT_E0_NS1_11comp_targetILNS1_3genE9ELNS1_11target_archE1100ELNS1_3gpuE3ELNS1_3repE0EEENS1_30default_config_static_selectorELNS0_4arch9wavefront6targetE1EEEvSL_,comdat
	.protected	_ZN7rocprim17ROCPRIM_400000_NS6detail17trampoline_kernelINS0_14default_configENS1_22reduce_config_selectorIiEEZNS1_11reduce_implILb1ES3_N6thrust23THRUST_200600_302600_NS11hip_rocprim35transform_pair_of_input_iterators_tIiPsSB_NS8_12not_equal_toIsEEEEPiiNS8_4plusIiEEEE10hipError_tPvRmT1_T2_T3_mT4_P12ihipStream_tbEUlT_E0_NS1_11comp_targetILNS1_3genE9ELNS1_11target_archE1100ELNS1_3gpuE3ELNS1_3repE0EEENS1_30default_config_static_selectorELNS0_4arch9wavefront6targetE1EEEvSL_ ; -- Begin function _ZN7rocprim17ROCPRIM_400000_NS6detail17trampoline_kernelINS0_14default_configENS1_22reduce_config_selectorIiEEZNS1_11reduce_implILb1ES3_N6thrust23THRUST_200600_302600_NS11hip_rocprim35transform_pair_of_input_iterators_tIiPsSB_NS8_12not_equal_toIsEEEEPiiNS8_4plusIiEEEE10hipError_tPvRmT1_T2_T3_mT4_P12ihipStream_tbEUlT_E0_NS1_11comp_targetILNS1_3genE9ELNS1_11target_archE1100ELNS1_3gpuE3ELNS1_3repE0EEENS1_30default_config_static_selectorELNS0_4arch9wavefront6targetE1EEEvSL_
	.globl	_ZN7rocprim17ROCPRIM_400000_NS6detail17trampoline_kernelINS0_14default_configENS1_22reduce_config_selectorIiEEZNS1_11reduce_implILb1ES3_N6thrust23THRUST_200600_302600_NS11hip_rocprim35transform_pair_of_input_iterators_tIiPsSB_NS8_12not_equal_toIsEEEEPiiNS8_4plusIiEEEE10hipError_tPvRmT1_T2_T3_mT4_P12ihipStream_tbEUlT_E0_NS1_11comp_targetILNS1_3genE9ELNS1_11target_archE1100ELNS1_3gpuE3ELNS1_3repE0EEENS1_30default_config_static_selectorELNS0_4arch9wavefront6targetE1EEEvSL_
	.p2align	8
	.type	_ZN7rocprim17ROCPRIM_400000_NS6detail17trampoline_kernelINS0_14default_configENS1_22reduce_config_selectorIiEEZNS1_11reduce_implILb1ES3_N6thrust23THRUST_200600_302600_NS11hip_rocprim35transform_pair_of_input_iterators_tIiPsSB_NS8_12not_equal_toIsEEEEPiiNS8_4plusIiEEEE10hipError_tPvRmT1_T2_T3_mT4_P12ihipStream_tbEUlT_E0_NS1_11comp_targetILNS1_3genE9ELNS1_11target_archE1100ELNS1_3gpuE3ELNS1_3repE0EEENS1_30default_config_static_selectorELNS0_4arch9wavefront6targetE1EEEvSL_,@function
_ZN7rocprim17ROCPRIM_400000_NS6detail17trampoline_kernelINS0_14default_configENS1_22reduce_config_selectorIiEEZNS1_11reduce_implILb1ES3_N6thrust23THRUST_200600_302600_NS11hip_rocprim35transform_pair_of_input_iterators_tIiPsSB_NS8_12not_equal_toIsEEEEPiiNS8_4plusIiEEEE10hipError_tPvRmT1_T2_T3_mT4_P12ihipStream_tbEUlT_E0_NS1_11comp_targetILNS1_3genE9ELNS1_11target_archE1100ELNS1_3gpuE3ELNS1_3repE0EEENS1_30default_config_static_selectorELNS0_4arch9wavefront6targetE1EEEvSL_: ; @_ZN7rocprim17ROCPRIM_400000_NS6detail17trampoline_kernelINS0_14default_configENS1_22reduce_config_selectorIiEEZNS1_11reduce_implILb1ES3_N6thrust23THRUST_200600_302600_NS11hip_rocprim35transform_pair_of_input_iterators_tIiPsSB_NS8_12not_equal_toIsEEEEPiiNS8_4plusIiEEEE10hipError_tPvRmT1_T2_T3_mT4_P12ihipStream_tbEUlT_E0_NS1_11comp_targetILNS1_3genE9ELNS1_11target_archE1100ELNS1_3gpuE3ELNS1_3repE0EEENS1_30default_config_static_selectorELNS0_4arch9wavefront6targetE1EEEvSL_
; %bb.0:
	.section	.rodata,"a",@progbits
	.p2align	6, 0x0
	.amdhsa_kernel _ZN7rocprim17ROCPRIM_400000_NS6detail17trampoline_kernelINS0_14default_configENS1_22reduce_config_selectorIiEEZNS1_11reduce_implILb1ES3_N6thrust23THRUST_200600_302600_NS11hip_rocprim35transform_pair_of_input_iterators_tIiPsSB_NS8_12not_equal_toIsEEEEPiiNS8_4plusIiEEEE10hipError_tPvRmT1_T2_T3_mT4_P12ihipStream_tbEUlT_E0_NS1_11comp_targetILNS1_3genE9ELNS1_11target_archE1100ELNS1_3gpuE3ELNS1_3repE0EEENS1_30default_config_static_selectorELNS0_4arch9wavefront6targetE1EEEvSL_
		.amdhsa_group_segment_fixed_size 0
		.amdhsa_private_segment_fixed_size 0
		.amdhsa_kernarg_size 72
		.amdhsa_user_sgpr_count 6
		.amdhsa_user_sgpr_private_segment_buffer 1
		.amdhsa_user_sgpr_dispatch_ptr 0
		.amdhsa_user_sgpr_queue_ptr 0
		.amdhsa_user_sgpr_kernarg_segment_ptr 1
		.amdhsa_user_sgpr_dispatch_id 0
		.amdhsa_user_sgpr_flat_scratch_init 0
		.amdhsa_user_sgpr_private_segment_size 0
		.amdhsa_uses_dynamic_stack 0
		.amdhsa_system_sgpr_private_segment_wavefront_offset 0
		.amdhsa_system_sgpr_workgroup_id_x 1
		.amdhsa_system_sgpr_workgroup_id_y 0
		.amdhsa_system_sgpr_workgroup_id_z 0
		.amdhsa_system_sgpr_workgroup_info 0
		.amdhsa_system_vgpr_workitem_id 0
		.amdhsa_next_free_vgpr 1
		.amdhsa_next_free_sgpr 0
		.amdhsa_reserve_vcc 0
		.amdhsa_reserve_flat_scratch 0
		.amdhsa_float_round_mode_32 0
		.amdhsa_float_round_mode_16_64 0
		.amdhsa_float_denorm_mode_32 3
		.amdhsa_float_denorm_mode_16_64 3
		.amdhsa_dx10_clamp 1
		.amdhsa_ieee_mode 1
		.amdhsa_fp16_overflow 0
		.amdhsa_exception_fp_ieee_invalid_op 0
		.amdhsa_exception_fp_denorm_src 0
		.amdhsa_exception_fp_ieee_div_zero 0
		.amdhsa_exception_fp_ieee_overflow 0
		.amdhsa_exception_fp_ieee_underflow 0
		.amdhsa_exception_fp_ieee_inexact 0
		.amdhsa_exception_int_div_zero 0
	.end_amdhsa_kernel
	.section	.text._ZN7rocprim17ROCPRIM_400000_NS6detail17trampoline_kernelINS0_14default_configENS1_22reduce_config_selectorIiEEZNS1_11reduce_implILb1ES3_N6thrust23THRUST_200600_302600_NS11hip_rocprim35transform_pair_of_input_iterators_tIiPsSB_NS8_12not_equal_toIsEEEEPiiNS8_4plusIiEEEE10hipError_tPvRmT1_T2_T3_mT4_P12ihipStream_tbEUlT_E0_NS1_11comp_targetILNS1_3genE9ELNS1_11target_archE1100ELNS1_3gpuE3ELNS1_3repE0EEENS1_30default_config_static_selectorELNS0_4arch9wavefront6targetE1EEEvSL_,"axG",@progbits,_ZN7rocprim17ROCPRIM_400000_NS6detail17trampoline_kernelINS0_14default_configENS1_22reduce_config_selectorIiEEZNS1_11reduce_implILb1ES3_N6thrust23THRUST_200600_302600_NS11hip_rocprim35transform_pair_of_input_iterators_tIiPsSB_NS8_12not_equal_toIsEEEEPiiNS8_4plusIiEEEE10hipError_tPvRmT1_T2_T3_mT4_P12ihipStream_tbEUlT_E0_NS1_11comp_targetILNS1_3genE9ELNS1_11target_archE1100ELNS1_3gpuE3ELNS1_3repE0EEENS1_30default_config_static_selectorELNS0_4arch9wavefront6targetE1EEEvSL_,comdat
.Lfunc_end1459:
	.size	_ZN7rocprim17ROCPRIM_400000_NS6detail17trampoline_kernelINS0_14default_configENS1_22reduce_config_selectorIiEEZNS1_11reduce_implILb1ES3_N6thrust23THRUST_200600_302600_NS11hip_rocprim35transform_pair_of_input_iterators_tIiPsSB_NS8_12not_equal_toIsEEEEPiiNS8_4plusIiEEEE10hipError_tPvRmT1_T2_T3_mT4_P12ihipStream_tbEUlT_E0_NS1_11comp_targetILNS1_3genE9ELNS1_11target_archE1100ELNS1_3gpuE3ELNS1_3repE0EEENS1_30default_config_static_selectorELNS0_4arch9wavefront6targetE1EEEvSL_, .Lfunc_end1459-_ZN7rocprim17ROCPRIM_400000_NS6detail17trampoline_kernelINS0_14default_configENS1_22reduce_config_selectorIiEEZNS1_11reduce_implILb1ES3_N6thrust23THRUST_200600_302600_NS11hip_rocprim35transform_pair_of_input_iterators_tIiPsSB_NS8_12not_equal_toIsEEEEPiiNS8_4plusIiEEEE10hipError_tPvRmT1_T2_T3_mT4_P12ihipStream_tbEUlT_E0_NS1_11comp_targetILNS1_3genE9ELNS1_11target_archE1100ELNS1_3gpuE3ELNS1_3repE0EEENS1_30default_config_static_selectorELNS0_4arch9wavefront6targetE1EEEvSL_
                                        ; -- End function
	.set _ZN7rocprim17ROCPRIM_400000_NS6detail17trampoline_kernelINS0_14default_configENS1_22reduce_config_selectorIiEEZNS1_11reduce_implILb1ES3_N6thrust23THRUST_200600_302600_NS11hip_rocprim35transform_pair_of_input_iterators_tIiPsSB_NS8_12not_equal_toIsEEEEPiiNS8_4plusIiEEEE10hipError_tPvRmT1_T2_T3_mT4_P12ihipStream_tbEUlT_E0_NS1_11comp_targetILNS1_3genE9ELNS1_11target_archE1100ELNS1_3gpuE3ELNS1_3repE0EEENS1_30default_config_static_selectorELNS0_4arch9wavefront6targetE1EEEvSL_.num_vgpr, 0
	.set _ZN7rocprim17ROCPRIM_400000_NS6detail17trampoline_kernelINS0_14default_configENS1_22reduce_config_selectorIiEEZNS1_11reduce_implILb1ES3_N6thrust23THRUST_200600_302600_NS11hip_rocprim35transform_pair_of_input_iterators_tIiPsSB_NS8_12not_equal_toIsEEEEPiiNS8_4plusIiEEEE10hipError_tPvRmT1_T2_T3_mT4_P12ihipStream_tbEUlT_E0_NS1_11comp_targetILNS1_3genE9ELNS1_11target_archE1100ELNS1_3gpuE3ELNS1_3repE0EEENS1_30default_config_static_selectorELNS0_4arch9wavefront6targetE1EEEvSL_.num_agpr, 0
	.set _ZN7rocprim17ROCPRIM_400000_NS6detail17trampoline_kernelINS0_14default_configENS1_22reduce_config_selectorIiEEZNS1_11reduce_implILb1ES3_N6thrust23THRUST_200600_302600_NS11hip_rocprim35transform_pair_of_input_iterators_tIiPsSB_NS8_12not_equal_toIsEEEEPiiNS8_4plusIiEEEE10hipError_tPvRmT1_T2_T3_mT4_P12ihipStream_tbEUlT_E0_NS1_11comp_targetILNS1_3genE9ELNS1_11target_archE1100ELNS1_3gpuE3ELNS1_3repE0EEENS1_30default_config_static_selectorELNS0_4arch9wavefront6targetE1EEEvSL_.numbered_sgpr, 0
	.set _ZN7rocprim17ROCPRIM_400000_NS6detail17trampoline_kernelINS0_14default_configENS1_22reduce_config_selectorIiEEZNS1_11reduce_implILb1ES3_N6thrust23THRUST_200600_302600_NS11hip_rocprim35transform_pair_of_input_iterators_tIiPsSB_NS8_12not_equal_toIsEEEEPiiNS8_4plusIiEEEE10hipError_tPvRmT1_T2_T3_mT4_P12ihipStream_tbEUlT_E0_NS1_11comp_targetILNS1_3genE9ELNS1_11target_archE1100ELNS1_3gpuE3ELNS1_3repE0EEENS1_30default_config_static_selectorELNS0_4arch9wavefront6targetE1EEEvSL_.num_named_barrier, 0
	.set _ZN7rocprim17ROCPRIM_400000_NS6detail17trampoline_kernelINS0_14default_configENS1_22reduce_config_selectorIiEEZNS1_11reduce_implILb1ES3_N6thrust23THRUST_200600_302600_NS11hip_rocprim35transform_pair_of_input_iterators_tIiPsSB_NS8_12not_equal_toIsEEEEPiiNS8_4plusIiEEEE10hipError_tPvRmT1_T2_T3_mT4_P12ihipStream_tbEUlT_E0_NS1_11comp_targetILNS1_3genE9ELNS1_11target_archE1100ELNS1_3gpuE3ELNS1_3repE0EEENS1_30default_config_static_selectorELNS0_4arch9wavefront6targetE1EEEvSL_.private_seg_size, 0
	.set _ZN7rocprim17ROCPRIM_400000_NS6detail17trampoline_kernelINS0_14default_configENS1_22reduce_config_selectorIiEEZNS1_11reduce_implILb1ES3_N6thrust23THRUST_200600_302600_NS11hip_rocprim35transform_pair_of_input_iterators_tIiPsSB_NS8_12not_equal_toIsEEEEPiiNS8_4plusIiEEEE10hipError_tPvRmT1_T2_T3_mT4_P12ihipStream_tbEUlT_E0_NS1_11comp_targetILNS1_3genE9ELNS1_11target_archE1100ELNS1_3gpuE3ELNS1_3repE0EEENS1_30default_config_static_selectorELNS0_4arch9wavefront6targetE1EEEvSL_.uses_vcc, 0
	.set _ZN7rocprim17ROCPRIM_400000_NS6detail17trampoline_kernelINS0_14default_configENS1_22reduce_config_selectorIiEEZNS1_11reduce_implILb1ES3_N6thrust23THRUST_200600_302600_NS11hip_rocprim35transform_pair_of_input_iterators_tIiPsSB_NS8_12not_equal_toIsEEEEPiiNS8_4plusIiEEEE10hipError_tPvRmT1_T2_T3_mT4_P12ihipStream_tbEUlT_E0_NS1_11comp_targetILNS1_3genE9ELNS1_11target_archE1100ELNS1_3gpuE3ELNS1_3repE0EEENS1_30default_config_static_selectorELNS0_4arch9wavefront6targetE1EEEvSL_.uses_flat_scratch, 0
	.set _ZN7rocprim17ROCPRIM_400000_NS6detail17trampoline_kernelINS0_14default_configENS1_22reduce_config_selectorIiEEZNS1_11reduce_implILb1ES3_N6thrust23THRUST_200600_302600_NS11hip_rocprim35transform_pair_of_input_iterators_tIiPsSB_NS8_12not_equal_toIsEEEEPiiNS8_4plusIiEEEE10hipError_tPvRmT1_T2_T3_mT4_P12ihipStream_tbEUlT_E0_NS1_11comp_targetILNS1_3genE9ELNS1_11target_archE1100ELNS1_3gpuE3ELNS1_3repE0EEENS1_30default_config_static_selectorELNS0_4arch9wavefront6targetE1EEEvSL_.has_dyn_sized_stack, 0
	.set _ZN7rocprim17ROCPRIM_400000_NS6detail17trampoline_kernelINS0_14default_configENS1_22reduce_config_selectorIiEEZNS1_11reduce_implILb1ES3_N6thrust23THRUST_200600_302600_NS11hip_rocprim35transform_pair_of_input_iterators_tIiPsSB_NS8_12not_equal_toIsEEEEPiiNS8_4plusIiEEEE10hipError_tPvRmT1_T2_T3_mT4_P12ihipStream_tbEUlT_E0_NS1_11comp_targetILNS1_3genE9ELNS1_11target_archE1100ELNS1_3gpuE3ELNS1_3repE0EEENS1_30default_config_static_selectorELNS0_4arch9wavefront6targetE1EEEvSL_.has_recursion, 0
	.set _ZN7rocprim17ROCPRIM_400000_NS6detail17trampoline_kernelINS0_14default_configENS1_22reduce_config_selectorIiEEZNS1_11reduce_implILb1ES3_N6thrust23THRUST_200600_302600_NS11hip_rocprim35transform_pair_of_input_iterators_tIiPsSB_NS8_12not_equal_toIsEEEEPiiNS8_4plusIiEEEE10hipError_tPvRmT1_T2_T3_mT4_P12ihipStream_tbEUlT_E0_NS1_11comp_targetILNS1_3genE9ELNS1_11target_archE1100ELNS1_3gpuE3ELNS1_3repE0EEENS1_30default_config_static_selectorELNS0_4arch9wavefront6targetE1EEEvSL_.has_indirect_call, 0
	.section	.AMDGPU.csdata,"",@progbits
; Kernel info:
; codeLenInByte = 0
; TotalNumSgprs: 4
; NumVgprs: 0
; ScratchSize: 0
; MemoryBound: 0
; FloatMode: 240
; IeeeMode: 1
; LDSByteSize: 0 bytes/workgroup (compile time only)
; SGPRBlocks: 0
; VGPRBlocks: 0
; NumSGPRsForWavesPerEU: 4
; NumVGPRsForWavesPerEU: 1
; Occupancy: 10
; WaveLimiterHint : 0
; COMPUTE_PGM_RSRC2:SCRATCH_EN: 0
; COMPUTE_PGM_RSRC2:USER_SGPR: 6
; COMPUTE_PGM_RSRC2:TRAP_HANDLER: 0
; COMPUTE_PGM_RSRC2:TGID_X_EN: 1
; COMPUTE_PGM_RSRC2:TGID_Y_EN: 0
; COMPUTE_PGM_RSRC2:TGID_Z_EN: 0
; COMPUTE_PGM_RSRC2:TIDIG_COMP_CNT: 0
	.section	.text._ZN7rocprim17ROCPRIM_400000_NS6detail17trampoline_kernelINS0_14default_configENS1_22reduce_config_selectorIiEEZNS1_11reduce_implILb1ES3_N6thrust23THRUST_200600_302600_NS11hip_rocprim35transform_pair_of_input_iterators_tIiPsSB_NS8_12not_equal_toIsEEEEPiiNS8_4plusIiEEEE10hipError_tPvRmT1_T2_T3_mT4_P12ihipStream_tbEUlT_E0_NS1_11comp_targetILNS1_3genE8ELNS1_11target_archE1030ELNS1_3gpuE2ELNS1_3repE0EEENS1_30default_config_static_selectorELNS0_4arch9wavefront6targetE1EEEvSL_,"axG",@progbits,_ZN7rocprim17ROCPRIM_400000_NS6detail17trampoline_kernelINS0_14default_configENS1_22reduce_config_selectorIiEEZNS1_11reduce_implILb1ES3_N6thrust23THRUST_200600_302600_NS11hip_rocprim35transform_pair_of_input_iterators_tIiPsSB_NS8_12not_equal_toIsEEEEPiiNS8_4plusIiEEEE10hipError_tPvRmT1_T2_T3_mT4_P12ihipStream_tbEUlT_E0_NS1_11comp_targetILNS1_3genE8ELNS1_11target_archE1030ELNS1_3gpuE2ELNS1_3repE0EEENS1_30default_config_static_selectorELNS0_4arch9wavefront6targetE1EEEvSL_,comdat
	.protected	_ZN7rocprim17ROCPRIM_400000_NS6detail17trampoline_kernelINS0_14default_configENS1_22reduce_config_selectorIiEEZNS1_11reduce_implILb1ES3_N6thrust23THRUST_200600_302600_NS11hip_rocprim35transform_pair_of_input_iterators_tIiPsSB_NS8_12not_equal_toIsEEEEPiiNS8_4plusIiEEEE10hipError_tPvRmT1_T2_T3_mT4_P12ihipStream_tbEUlT_E0_NS1_11comp_targetILNS1_3genE8ELNS1_11target_archE1030ELNS1_3gpuE2ELNS1_3repE0EEENS1_30default_config_static_selectorELNS0_4arch9wavefront6targetE1EEEvSL_ ; -- Begin function _ZN7rocprim17ROCPRIM_400000_NS6detail17trampoline_kernelINS0_14default_configENS1_22reduce_config_selectorIiEEZNS1_11reduce_implILb1ES3_N6thrust23THRUST_200600_302600_NS11hip_rocprim35transform_pair_of_input_iterators_tIiPsSB_NS8_12not_equal_toIsEEEEPiiNS8_4plusIiEEEE10hipError_tPvRmT1_T2_T3_mT4_P12ihipStream_tbEUlT_E0_NS1_11comp_targetILNS1_3genE8ELNS1_11target_archE1030ELNS1_3gpuE2ELNS1_3repE0EEENS1_30default_config_static_selectorELNS0_4arch9wavefront6targetE1EEEvSL_
	.globl	_ZN7rocprim17ROCPRIM_400000_NS6detail17trampoline_kernelINS0_14default_configENS1_22reduce_config_selectorIiEEZNS1_11reduce_implILb1ES3_N6thrust23THRUST_200600_302600_NS11hip_rocprim35transform_pair_of_input_iterators_tIiPsSB_NS8_12not_equal_toIsEEEEPiiNS8_4plusIiEEEE10hipError_tPvRmT1_T2_T3_mT4_P12ihipStream_tbEUlT_E0_NS1_11comp_targetILNS1_3genE8ELNS1_11target_archE1030ELNS1_3gpuE2ELNS1_3repE0EEENS1_30default_config_static_selectorELNS0_4arch9wavefront6targetE1EEEvSL_
	.p2align	8
	.type	_ZN7rocprim17ROCPRIM_400000_NS6detail17trampoline_kernelINS0_14default_configENS1_22reduce_config_selectorIiEEZNS1_11reduce_implILb1ES3_N6thrust23THRUST_200600_302600_NS11hip_rocprim35transform_pair_of_input_iterators_tIiPsSB_NS8_12not_equal_toIsEEEEPiiNS8_4plusIiEEEE10hipError_tPvRmT1_T2_T3_mT4_P12ihipStream_tbEUlT_E0_NS1_11comp_targetILNS1_3genE8ELNS1_11target_archE1030ELNS1_3gpuE2ELNS1_3repE0EEENS1_30default_config_static_selectorELNS0_4arch9wavefront6targetE1EEEvSL_,@function
_ZN7rocprim17ROCPRIM_400000_NS6detail17trampoline_kernelINS0_14default_configENS1_22reduce_config_selectorIiEEZNS1_11reduce_implILb1ES3_N6thrust23THRUST_200600_302600_NS11hip_rocprim35transform_pair_of_input_iterators_tIiPsSB_NS8_12not_equal_toIsEEEEPiiNS8_4plusIiEEEE10hipError_tPvRmT1_T2_T3_mT4_P12ihipStream_tbEUlT_E0_NS1_11comp_targetILNS1_3genE8ELNS1_11target_archE1030ELNS1_3gpuE2ELNS1_3repE0EEENS1_30default_config_static_selectorELNS0_4arch9wavefront6targetE1EEEvSL_: ; @_ZN7rocprim17ROCPRIM_400000_NS6detail17trampoline_kernelINS0_14default_configENS1_22reduce_config_selectorIiEEZNS1_11reduce_implILb1ES3_N6thrust23THRUST_200600_302600_NS11hip_rocprim35transform_pair_of_input_iterators_tIiPsSB_NS8_12not_equal_toIsEEEEPiiNS8_4plusIiEEEE10hipError_tPvRmT1_T2_T3_mT4_P12ihipStream_tbEUlT_E0_NS1_11comp_targetILNS1_3genE8ELNS1_11target_archE1030ELNS1_3gpuE2ELNS1_3repE0EEENS1_30default_config_static_selectorELNS0_4arch9wavefront6targetE1EEEvSL_
; %bb.0:
	.section	.rodata,"a",@progbits
	.p2align	6, 0x0
	.amdhsa_kernel _ZN7rocprim17ROCPRIM_400000_NS6detail17trampoline_kernelINS0_14default_configENS1_22reduce_config_selectorIiEEZNS1_11reduce_implILb1ES3_N6thrust23THRUST_200600_302600_NS11hip_rocprim35transform_pair_of_input_iterators_tIiPsSB_NS8_12not_equal_toIsEEEEPiiNS8_4plusIiEEEE10hipError_tPvRmT1_T2_T3_mT4_P12ihipStream_tbEUlT_E0_NS1_11comp_targetILNS1_3genE8ELNS1_11target_archE1030ELNS1_3gpuE2ELNS1_3repE0EEENS1_30default_config_static_selectorELNS0_4arch9wavefront6targetE1EEEvSL_
		.amdhsa_group_segment_fixed_size 0
		.amdhsa_private_segment_fixed_size 0
		.amdhsa_kernarg_size 72
		.amdhsa_user_sgpr_count 6
		.amdhsa_user_sgpr_private_segment_buffer 1
		.amdhsa_user_sgpr_dispatch_ptr 0
		.amdhsa_user_sgpr_queue_ptr 0
		.amdhsa_user_sgpr_kernarg_segment_ptr 1
		.amdhsa_user_sgpr_dispatch_id 0
		.amdhsa_user_sgpr_flat_scratch_init 0
		.amdhsa_user_sgpr_private_segment_size 0
		.amdhsa_uses_dynamic_stack 0
		.amdhsa_system_sgpr_private_segment_wavefront_offset 0
		.amdhsa_system_sgpr_workgroup_id_x 1
		.amdhsa_system_sgpr_workgroup_id_y 0
		.amdhsa_system_sgpr_workgroup_id_z 0
		.amdhsa_system_sgpr_workgroup_info 0
		.amdhsa_system_vgpr_workitem_id 0
		.amdhsa_next_free_vgpr 1
		.amdhsa_next_free_sgpr 0
		.amdhsa_reserve_vcc 0
		.amdhsa_reserve_flat_scratch 0
		.amdhsa_float_round_mode_32 0
		.amdhsa_float_round_mode_16_64 0
		.amdhsa_float_denorm_mode_32 3
		.amdhsa_float_denorm_mode_16_64 3
		.amdhsa_dx10_clamp 1
		.amdhsa_ieee_mode 1
		.amdhsa_fp16_overflow 0
		.amdhsa_exception_fp_ieee_invalid_op 0
		.amdhsa_exception_fp_denorm_src 0
		.amdhsa_exception_fp_ieee_div_zero 0
		.amdhsa_exception_fp_ieee_overflow 0
		.amdhsa_exception_fp_ieee_underflow 0
		.amdhsa_exception_fp_ieee_inexact 0
		.amdhsa_exception_int_div_zero 0
	.end_amdhsa_kernel
	.section	.text._ZN7rocprim17ROCPRIM_400000_NS6detail17trampoline_kernelINS0_14default_configENS1_22reduce_config_selectorIiEEZNS1_11reduce_implILb1ES3_N6thrust23THRUST_200600_302600_NS11hip_rocprim35transform_pair_of_input_iterators_tIiPsSB_NS8_12not_equal_toIsEEEEPiiNS8_4plusIiEEEE10hipError_tPvRmT1_T2_T3_mT4_P12ihipStream_tbEUlT_E0_NS1_11comp_targetILNS1_3genE8ELNS1_11target_archE1030ELNS1_3gpuE2ELNS1_3repE0EEENS1_30default_config_static_selectorELNS0_4arch9wavefront6targetE1EEEvSL_,"axG",@progbits,_ZN7rocprim17ROCPRIM_400000_NS6detail17trampoline_kernelINS0_14default_configENS1_22reduce_config_selectorIiEEZNS1_11reduce_implILb1ES3_N6thrust23THRUST_200600_302600_NS11hip_rocprim35transform_pair_of_input_iterators_tIiPsSB_NS8_12not_equal_toIsEEEEPiiNS8_4plusIiEEEE10hipError_tPvRmT1_T2_T3_mT4_P12ihipStream_tbEUlT_E0_NS1_11comp_targetILNS1_3genE8ELNS1_11target_archE1030ELNS1_3gpuE2ELNS1_3repE0EEENS1_30default_config_static_selectorELNS0_4arch9wavefront6targetE1EEEvSL_,comdat
.Lfunc_end1460:
	.size	_ZN7rocprim17ROCPRIM_400000_NS6detail17trampoline_kernelINS0_14default_configENS1_22reduce_config_selectorIiEEZNS1_11reduce_implILb1ES3_N6thrust23THRUST_200600_302600_NS11hip_rocprim35transform_pair_of_input_iterators_tIiPsSB_NS8_12not_equal_toIsEEEEPiiNS8_4plusIiEEEE10hipError_tPvRmT1_T2_T3_mT4_P12ihipStream_tbEUlT_E0_NS1_11comp_targetILNS1_3genE8ELNS1_11target_archE1030ELNS1_3gpuE2ELNS1_3repE0EEENS1_30default_config_static_selectorELNS0_4arch9wavefront6targetE1EEEvSL_, .Lfunc_end1460-_ZN7rocprim17ROCPRIM_400000_NS6detail17trampoline_kernelINS0_14default_configENS1_22reduce_config_selectorIiEEZNS1_11reduce_implILb1ES3_N6thrust23THRUST_200600_302600_NS11hip_rocprim35transform_pair_of_input_iterators_tIiPsSB_NS8_12not_equal_toIsEEEEPiiNS8_4plusIiEEEE10hipError_tPvRmT1_T2_T3_mT4_P12ihipStream_tbEUlT_E0_NS1_11comp_targetILNS1_3genE8ELNS1_11target_archE1030ELNS1_3gpuE2ELNS1_3repE0EEENS1_30default_config_static_selectorELNS0_4arch9wavefront6targetE1EEEvSL_
                                        ; -- End function
	.set _ZN7rocprim17ROCPRIM_400000_NS6detail17trampoline_kernelINS0_14default_configENS1_22reduce_config_selectorIiEEZNS1_11reduce_implILb1ES3_N6thrust23THRUST_200600_302600_NS11hip_rocprim35transform_pair_of_input_iterators_tIiPsSB_NS8_12not_equal_toIsEEEEPiiNS8_4plusIiEEEE10hipError_tPvRmT1_T2_T3_mT4_P12ihipStream_tbEUlT_E0_NS1_11comp_targetILNS1_3genE8ELNS1_11target_archE1030ELNS1_3gpuE2ELNS1_3repE0EEENS1_30default_config_static_selectorELNS0_4arch9wavefront6targetE1EEEvSL_.num_vgpr, 0
	.set _ZN7rocprim17ROCPRIM_400000_NS6detail17trampoline_kernelINS0_14default_configENS1_22reduce_config_selectorIiEEZNS1_11reduce_implILb1ES3_N6thrust23THRUST_200600_302600_NS11hip_rocprim35transform_pair_of_input_iterators_tIiPsSB_NS8_12not_equal_toIsEEEEPiiNS8_4plusIiEEEE10hipError_tPvRmT1_T2_T3_mT4_P12ihipStream_tbEUlT_E0_NS1_11comp_targetILNS1_3genE8ELNS1_11target_archE1030ELNS1_3gpuE2ELNS1_3repE0EEENS1_30default_config_static_selectorELNS0_4arch9wavefront6targetE1EEEvSL_.num_agpr, 0
	.set _ZN7rocprim17ROCPRIM_400000_NS6detail17trampoline_kernelINS0_14default_configENS1_22reduce_config_selectorIiEEZNS1_11reduce_implILb1ES3_N6thrust23THRUST_200600_302600_NS11hip_rocprim35transform_pair_of_input_iterators_tIiPsSB_NS8_12not_equal_toIsEEEEPiiNS8_4plusIiEEEE10hipError_tPvRmT1_T2_T3_mT4_P12ihipStream_tbEUlT_E0_NS1_11comp_targetILNS1_3genE8ELNS1_11target_archE1030ELNS1_3gpuE2ELNS1_3repE0EEENS1_30default_config_static_selectorELNS0_4arch9wavefront6targetE1EEEvSL_.numbered_sgpr, 0
	.set _ZN7rocprim17ROCPRIM_400000_NS6detail17trampoline_kernelINS0_14default_configENS1_22reduce_config_selectorIiEEZNS1_11reduce_implILb1ES3_N6thrust23THRUST_200600_302600_NS11hip_rocprim35transform_pair_of_input_iterators_tIiPsSB_NS8_12not_equal_toIsEEEEPiiNS8_4plusIiEEEE10hipError_tPvRmT1_T2_T3_mT4_P12ihipStream_tbEUlT_E0_NS1_11comp_targetILNS1_3genE8ELNS1_11target_archE1030ELNS1_3gpuE2ELNS1_3repE0EEENS1_30default_config_static_selectorELNS0_4arch9wavefront6targetE1EEEvSL_.num_named_barrier, 0
	.set _ZN7rocprim17ROCPRIM_400000_NS6detail17trampoline_kernelINS0_14default_configENS1_22reduce_config_selectorIiEEZNS1_11reduce_implILb1ES3_N6thrust23THRUST_200600_302600_NS11hip_rocprim35transform_pair_of_input_iterators_tIiPsSB_NS8_12not_equal_toIsEEEEPiiNS8_4plusIiEEEE10hipError_tPvRmT1_T2_T3_mT4_P12ihipStream_tbEUlT_E0_NS1_11comp_targetILNS1_3genE8ELNS1_11target_archE1030ELNS1_3gpuE2ELNS1_3repE0EEENS1_30default_config_static_selectorELNS0_4arch9wavefront6targetE1EEEvSL_.private_seg_size, 0
	.set _ZN7rocprim17ROCPRIM_400000_NS6detail17trampoline_kernelINS0_14default_configENS1_22reduce_config_selectorIiEEZNS1_11reduce_implILb1ES3_N6thrust23THRUST_200600_302600_NS11hip_rocprim35transform_pair_of_input_iterators_tIiPsSB_NS8_12not_equal_toIsEEEEPiiNS8_4plusIiEEEE10hipError_tPvRmT1_T2_T3_mT4_P12ihipStream_tbEUlT_E0_NS1_11comp_targetILNS1_3genE8ELNS1_11target_archE1030ELNS1_3gpuE2ELNS1_3repE0EEENS1_30default_config_static_selectorELNS0_4arch9wavefront6targetE1EEEvSL_.uses_vcc, 0
	.set _ZN7rocprim17ROCPRIM_400000_NS6detail17trampoline_kernelINS0_14default_configENS1_22reduce_config_selectorIiEEZNS1_11reduce_implILb1ES3_N6thrust23THRUST_200600_302600_NS11hip_rocprim35transform_pair_of_input_iterators_tIiPsSB_NS8_12not_equal_toIsEEEEPiiNS8_4plusIiEEEE10hipError_tPvRmT1_T2_T3_mT4_P12ihipStream_tbEUlT_E0_NS1_11comp_targetILNS1_3genE8ELNS1_11target_archE1030ELNS1_3gpuE2ELNS1_3repE0EEENS1_30default_config_static_selectorELNS0_4arch9wavefront6targetE1EEEvSL_.uses_flat_scratch, 0
	.set _ZN7rocprim17ROCPRIM_400000_NS6detail17trampoline_kernelINS0_14default_configENS1_22reduce_config_selectorIiEEZNS1_11reduce_implILb1ES3_N6thrust23THRUST_200600_302600_NS11hip_rocprim35transform_pair_of_input_iterators_tIiPsSB_NS8_12not_equal_toIsEEEEPiiNS8_4plusIiEEEE10hipError_tPvRmT1_T2_T3_mT4_P12ihipStream_tbEUlT_E0_NS1_11comp_targetILNS1_3genE8ELNS1_11target_archE1030ELNS1_3gpuE2ELNS1_3repE0EEENS1_30default_config_static_selectorELNS0_4arch9wavefront6targetE1EEEvSL_.has_dyn_sized_stack, 0
	.set _ZN7rocprim17ROCPRIM_400000_NS6detail17trampoline_kernelINS0_14default_configENS1_22reduce_config_selectorIiEEZNS1_11reduce_implILb1ES3_N6thrust23THRUST_200600_302600_NS11hip_rocprim35transform_pair_of_input_iterators_tIiPsSB_NS8_12not_equal_toIsEEEEPiiNS8_4plusIiEEEE10hipError_tPvRmT1_T2_T3_mT4_P12ihipStream_tbEUlT_E0_NS1_11comp_targetILNS1_3genE8ELNS1_11target_archE1030ELNS1_3gpuE2ELNS1_3repE0EEENS1_30default_config_static_selectorELNS0_4arch9wavefront6targetE1EEEvSL_.has_recursion, 0
	.set _ZN7rocprim17ROCPRIM_400000_NS6detail17trampoline_kernelINS0_14default_configENS1_22reduce_config_selectorIiEEZNS1_11reduce_implILb1ES3_N6thrust23THRUST_200600_302600_NS11hip_rocprim35transform_pair_of_input_iterators_tIiPsSB_NS8_12not_equal_toIsEEEEPiiNS8_4plusIiEEEE10hipError_tPvRmT1_T2_T3_mT4_P12ihipStream_tbEUlT_E0_NS1_11comp_targetILNS1_3genE8ELNS1_11target_archE1030ELNS1_3gpuE2ELNS1_3repE0EEENS1_30default_config_static_selectorELNS0_4arch9wavefront6targetE1EEEvSL_.has_indirect_call, 0
	.section	.AMDGPU.csdata,"",@progbits
; Kernel info:
; codeLenInByte = 0
; TotalNumSgprs: 4
; NumVgprs: 0
; ScratchSize: 0
; MemoryBound: 0
; FloatMode: 240
; IeeeMode: 1
; LDSByteSize: 0 bytes/workgroup (compile time only)
; SGPRBlocks: 0
; VGPRBlocks: 0
; NumSGPRsForWavesPerEU: 4
; NumVGPRsForWavesPerEU: 1
; Occupancy: 10
; WaveLimiterHint : 0
; COMPUTE_PGM_RSRC2:SCRATCH_EN: 0
; COMPUTE_PGM_RSRC2:USER_SGPR: 6
; COMPUTE_PGM_RSRC2:TRAP_HANDLER: 0
; COMPUTE_PGM_RSRC2:TGID_X_EN: 1
; COMPUTE_PGM_RSRC2:TGID_Y_EN: 0
; COMPUTE_PGM_RSRC2:TGID_Z_EN: 0
; COMPUTE_PGM_RSRC2:TIDIG_COMP_CNT: 0
	.section	.text._ZN7rocprim17ROCPRIM_400000_NS6detail17trampoline_kernelINS0_14default_configENS1_22reduce_config_selectorIiEEZNS1_11reduce_implILb1ES3_N6thrust23THRUST_200600_302600_NS11hip_rocprim35transform_pair_of_input_iterators_tIiPsSB_NS8_12not_equal_toIsEEEEPiiNS8_4plusIiEEEE10hipError_tPvRmT1_T2_T3_mT4_P12ihipStream_tbEUlT_E1_NS1_11comp_targetILNS1_3genE0ELNS1_11target_archE4294967295ELNS1_3gpuE0ELNS1_3repE0EEENS1_30default_config_static_selectorELNS0_4arch9wavefront6targetE1EEEvSL_,"axG",@progbits,_ZN7rocprim17ROCPRIM_400000_NS6detail17trampoline_kernelINS0_14default_configENS1_22reduce_config_selectorIiEEZNS1_11reduce_implILb1ES3_N6thrust23THRUST_200600_302600_NS11hip_rocprim35transform_pair_of_input_iterators_tIiPsSB_NS8_12not_equal_toIsEEEEPiiNS8_4plusIiEEEE10hipError_tPvRmT1_T2_T3_mT4_P12ihipStream_tbEUlT_E1_NS1_11comp_targetILNS1_3genE0ELNS1_11target_archE4294967295ELNS1_3gpuE0ELNS1_3repE0EEENS1_30default_config_static_selectorELNS0_4arch9wavefront6targetE1EEEvSL_,comdat
	.protected	_ZN7rocprim17ROCPRIM_400000_NS6detail17trampoline_kernelINS0_14default_configENS1_22reduce_config_selectorIiEEZNS1_11reduce_implILb1ES3_N6thrust23THRUST_200600_302600_NS11hip_rocprim35transform_pair_of_input_iterators_tIiPsSB_NS8_12not_equal_toIsEEEEPiiNS8_4plusIiEEEE10hipError_tPvRmT1_T2_T3_mT4_P12ihipStream_tbEUlT_E1_NS1_11comp_targetILNS1_3genE0ELNS1_11target_archE4294967295ELNS1_3gpuE0ELNS1_3repE0EEENS1_30default_config_static_selectorELNS0_4arch9wavefront6targetE1EEEvSL_ ; -- Begin function _ZN7rocprim17ROCPRIM_400000_NS6detail17trampoline_kernelINS0_14default_configENS1_22reduce_config_selectorIiEEZNS1_11reduce_implILb1ES3_N6thrust23THRUST_200600_302600_NS11hip_rocprim35transform_pair_of_input_iterators_tIiPsSB_NS8_12not_equal_toIsEEEEPiiNS8_4plusIiEEEE10hipError_tPvRmT1_T2_T3_mT4_P12ihipStream_tbEUlT_E1_NS1_11comp_targetILNS1_3genE0ELNS1_11target_archE4294967295ELNS1_3gpuE0ELNS1_3repE0EEENS1_30default_config_static_selectorELNS0_4arch9wavefront6targetE1EEEvSL_
	.globl	_ZN7rocprim17ROCPRIM_400000_NS6detail17trampoline_kernelINS0_14default_configENS1_22reduce_config_selectorIiEEZNS1_11reduce_implILb1ES3_N6thrust23THRUST_200600_302600_NS11hip_rocprim35transform_pair_of_input_iterators_tIiPsSB_NS8_12not_equal_toIsEEEEPiiNS8_4plusIiEEEE10hipError_tPvRmT1_T2_T3_mT4_P12ihipStream_tbEUlT_E1_NS1_11comp_targetILNS1_3genE0ELNS1_11target_archE4294967295ELNS1_3gpuE0ELNS1_3repE0EEENS1_30default_config_static_selectorELNS0_4arch9wavefront6targetE1EEEvSL_
	.p2align	8
	.type	_ZN7rocprim17ROCPRIM_400000_NS6detail17trampoline_kernelINS0_14default_configENS1_22reduce_config_selectorIiEEZNS1_11reduce_implILb1ES3_N6thrust23THRUST_200600_302600_NS11hip_rocprim35transform_pair_of_input_iterators_tIiPsSB_NS8_12not_equal_toIsEEEEPiiNS8_4plusIiEEEE10hipError_tPvRmT1_T2_T3_mT4_P12ihipStream_tbEUlT_E1_NS1_11comp_targetILNS1_3genE0ELNS1_11target_archE4294967295ELNS1_3gpuE0ELNS1_3repE0EEENS1_30default_config_static_selectorELNS0_4arch9wavefront6targetE1EEEvSL_,@function
_ZN7rocprim17ROCPRIM_400000_NS6detail17trampoline_kernelINS0_14default_configENS1_22reduce_config_selectorIiEEZNS1_11reduce_implILb1ES3_N6thrust23THRUST_200600_302600_NS11hip_rocprim35transform_pair_of_input_iterators_tIiPsSB_NS8_12not_equal_toIsEEEEPiiNS8_4plusIiEEEE10hipError_tPvRmT1_T2_T3_mT4_P12ihipStream_tbEUlT_E1_NS1_11comp_targetILNS1_3genE0ELNS1_11target_archE4294967295ELNS1_3gpuE0ELNS1_3repE0EEENS1_30default_config_static_selectorELNS0_4arch9wavefront6targetE1EEEvSL_: ; @_ZN7rocprim17ROCPRIM_400000_NS6detail17trampoline_kernelINS0_14default_configENS1_22reduce_config_selectorIiEEZNS1_11reduce_implILb1ES3_N6thrust23THRUST_200600_302600_NS11hip_rocprim35transform_pair_of_input_iterators_tIiPsSB_NS8_12not_equal_toIsEEEEPiiNS8_4plusIiEEEE10hipError_tPvRmT1_T2_T3_mT4_P12ihipStream_tbEUlT_E1_NS1_11comp_targetILNS1_3genE0ELNS1_11target_archE4294967295ELNS1_3gpuE0ELNS1_3repE0EEENS1_30default_config_static_selectorELNS0_4arch9wavefront6targetE1EEEvSL_
; %bb.0:
	.section	.rodata,"a",@progbits
	.p2align	6, 0x0
	.amdhsa_kernel _ZN7rocprim17ROCPRIM_400000_NS6detail17trampoline_kernelINS0_14default_configENS1_22reduce_config_selectorIiEEZNS1_11reduce_implILb1ES3_N6thrust23THRUST_200600_302600_NS11hip_rocprim35transform_pair_of_input_iterators_tIiPsSB_NS8_12not_equal_toIsEEEEPiiNS8_4plusIiEEEE10hipError_tPvRmT1_T2_T3_mT4_P12ihipStream_tbEUlT_E1_NS1_11comp_targetILNS1_3genE0ELNS1_11target_archE4294967295ELNS1_3gpuE0ELNS1_3repE0EEENS1_30default_config_static_selectorELNS0_4arch9wavefront6targetE1EEEvSL_
		.amdhsa_group_segment_fixed_size 0
		.amdhsa_private_segment_fixed_size 0
		.amdhsa_kernarg_size 56
		.amdhsa_user_sgpr_count 6
		.amdhsa_user_sgpr_private_segment_buffer 1
		.amdhsa_user_sgpr_dispatch_ptr 0
		.amdhsa_user_sgpr_queue_ptr 0
		.amdhsa_user_sgpr_kernarg_segment_ptr 1
		.amdhsa_user_sgpr_dispatch_id 0
		.amdhsa_user_sgpr_flat_scratch_init 0
		.amdhsa_user_sgpr_private_segment_size 0
		.amdhsa_uses_dynamic_stack 0
		.amdhsa_system_sgpr_private_segment_wavefront_offset 0
		.amdhsa_system_sgpr_workgroup_id_x 1
		.amdhsa_system_sgpr_workgroup_id_y 0
		.amdhsa_system_sgpr_workgroup_id_z 0
		.amdhsa_system_sgpr_workgroup_info 0
		.amdhsa_system_vgpr_workitem_id 0
		.amdhsa_next_free_vgpr 1
		.amdhsa_next_free_sgpr 0
		.amdhsa_reserve_vcc 0
		.amdhsa_reserve_flat_scratch 0
		.amdhsa_float_round_mode_32 0
		.amdhsa_float_round_mode_16_64 0
		.amdhsa_float_denorm_mode_32 3
		.amdhsa_float_denorm_mode_16_64 3
		.amdhsa_dx10_clamp 1
		.amdhsa_ieee_mode 1
		.amdhsa_fp16_overflow 0
		.amdhsa_exception_fp_ieee_invalid_op 0
		.amdhsa_exception_fp_denorm_src 0
		.amdhsa_exception_fp_ieee_div_zero 0
		.amdhsa_exception_fp_ieee_overflow 0
		.amdhsa_exception_fp_ieee_underflow 0
		.amdhsa_exception_fp_ieee_inexact 0
		.amdhsa_exception_int_div_zero 0
	.end_amdhsa_kernel
	.section	.text._ZN7rocprim17ROCPRIM_400000_NS6detail17trampoline_kernelINS0_14default_configENS1_22reduce_config_selectorIiEEZNS1_11reduce_implILb1ES3_N6thrust23THRUST_200600_302600_NS11hip_rocprim35transform_pair_of_input_iterators_tIiPsSB_NS8_12not_equal_toIsEEEEPiiNS8_4plusIiEEEE10hipError_tPvRmT1_T2_T3_mT4_P12ihipStream_tbEUlT_E1_NS1_11comp_targetILNS1_3genE0ELNS1_11target_archE4294967295ELNS1_3gpuE0ELNS1_3repE0EEENS1_30default_config_static_selectorELNS0_4arch9wavefront6targetE1EEEvSL_,"axG",@progbits,_ZN7rocprim17ROCPRIM_400000_NS6detail17trampoline_kernelINS0_14default_configENS1_22reduce_config_selectorIiEEZNS1_11reduce_implILb1ES3_N6thrust23THRUST_200600_302600_NS11hip_rocprim35transform_pair_of_input_iterators_tIiPsSB_NS8_12not_equal_toIsEEEEPiiNS8_4plusIiEEEE10hipError_tPvRmT1_T2_T3_mT4_P12ihipStream_tbEUlT_E1_NS1_11comp_targetILNS1_3genE0ELNS1_11target_archE4294967295ELNS1_3gpuE0ELNS1_3repE0EEENS1_30default_config_static_selectorELNS0_4arch9wavefront6targetE1EEEvSL_,comdat
.Lfunc_end1461:
	.size	_ZN7rocprim17ROCPRIM_400000_NS6detail17trampoline_kernelINS0_14default_configENS1_22reduce_config_selectorIiEEZNS1_11reduce_implILb1ES3_N6thrust23THRUST_200600_302600_NS11hip_rocprim35transform_pair_of_input_iterators_tIiPsSB_NS8_12not_equal_toIsEEEEPiiNS8_4plusIiEEEE10hipError_tPvRmT1_T2_T3_mT4_P12ihipStream_tbEUlT_E1_NS1_11comp_targetILNS1_3genE0ELNS1_11target_archE4294967295ELNS1_3gpuE0ELNS1_3repE0EEENS1_30default_config_static_selectorELNS0_4arch9wavefront6targetE1EEEvSL_, .Lfunc_end1461-_ZN7rocprim17ROCPRIM_400000_NS6detail17trampoline_kernelINS0_14default_configENS1_22reduce_config_selectorIiEEZNS1_11reduce_implILb1ES3_N6thrust23THRUST_200600_302600_NS11hip_rocprim35transform_pair_of_input_iterators_tIiPsSB_NS8_12not_equal_toIsEEEEPiiNS8_4plusIiEEEE10hipError_tPvRmT1_T2_T3_mT4_P12ihipStream_tbEUlT_E1_NS1_11comp_targetILNS1_3genE0ELNS1_11target_archE4294967295ELNS1_3gpuE0ELNS1_3repE0EEENS1_30default_config_static_selectorELNS0_4arch9wavefront6targetE1EEEvSL_
                                        ; -- End function
	.set _ZN7rocprim17ROCPRIM_400000_NS6detail17trampoline_kernelINS0_14default_configENS1_22reduce_config_selectorIiEEZNS1_11reduce_implILb1ES3_N6thrust23THRUST_200600_302600_NS11hip_rocprim35transform_pair_of_input_iterators_tIiPsSB_NS8_12not_equal_toIsEEEEPiiNS8_4plusIiEEEE10hipError_tPvRmT1_T2_T3_mT4_P12ihipStream_tbEUlT_E1_NS1_11comp_targetILNS1_3genE0ELNS1_11target_archE4294967295ELNS1_3gpuE0ELNS1_3repE0EEENS1_30default_config_static_selectorELNS0_4arch9wavefront6targetE1EEEvSL_.num_vgpr, 0
	.set _ZN7rocprim17ROCPRIM_400000_NS6detail17trampoline_kernelINS0_14default_configENS1_22reduce_config_selectorIiEEZNS1_11reduce_implILb1ES3_N6thrust23THRUST_200600_302600_NS11hip_rocprim35transform_pair_of_input_iterators_tIiPsSB_NS8_12not_equal_toIsEEEEPiiNS8_4plusIiEEEE10hipError_tPvRmT1_T2_T3_mT4_P12ihipStream_tbEUlT_E1_NS1_11comp_targetILNS1_3genE0ELNS1_11target_archE4294967295ELNS1_3gpuE0ELNS1_3repE0EEENS1_30default_config_static_selectorELNS0_4arch9wavefront6targetE1EEEvSL_.num_agpr, 0
	.set _ZN7rocprim17ROCPRIM_400000_NS6detail17trampoline_kernelINS0_14default_configENS1_22reduce_config_selectorIiEEZNS1_11reduce_implILb1ES3_N6thrust23THRUST_200600_302600_NS11hip_rocprim35transform_pair_of_input_iterators_tIiPsSB_NS8_12not_equal_toIsEEEEPiiNS8_4plusIiEEEE10hipError_tPvRmT1_T2_T3_mT4_P12ihipStream_tbEUlT_E1_NS1_11comp_targetILNS1_3genE0ELNS1_11target_archE4294967295ELNS1_3gpuE0ELNS1_3repE0EEENS1_30default_config_static_selectorELNS0_4arch9wavefront6targetE1EEEvSL_.numbered_sgpr, 0
	.set _ZN7rocprim17ROCPRIM_400000_NS6detail17trampoline_kernelINS0_14default_configENS1_22reduce_config_selectorIiEEZNS1_11reduce_implILb1ES3_N6thrust23THRUST_200600_302600_NS11hip_rocprim35transform_pair_of_input_iterators_tIiPsSB_NS8_12not_equal_toIsEEEEPiiNS8_4plusIiEEEE10hipError_tPvRmT1_T2_T3_mT4_P12ihipStream_tbEUlT_E1_NS1_11comp_targetILNS1_3genE0ELNS1_11target_archE4294967295ELNS1_3gpuE0ELNS1_3repE0EEENS1_30default_config_static_selectorELNS0_4arch9wavefront6targetE1EEEvSL_.num_named_barrier, 0
	.set _ZN7rocprim17ROCPRIM_400000_NS6detail17trampoline_kernelINS0_14default_configENS1_22reduce_config_selectorIiEEZNS1_11reduce_implILb1ES3_N6thrust23THRUST_200600_302600_NS11hip_rocprim35transform_pair_of_input_iterators_tIiPsSB_NS8_12not_equal_toIsEEEEPiiNS8_4plusIiEEEE10hipError_tPvRmT1_T2_T3_mT4_P12ihipStream_tbEUlT_E1_NS1_11comp_targetILNS1_3genE0ELNS1_11target_archE4294967295ELNS1_3gpuE0ELNS1_3repE0EEENS1_30default_config_static_selectorELNS0_4arch9wavefront6targetE1EEEvSL_.private_seg_size, 0
	.set _ZN7rocprim17ROCPRIM_400000_NS6detail17trampoline_kernelINS0_14default_configENS1_22reduce_config_selectorIiEEZNS1_11reduce_implILb1ES3_N6thrust23THRUST_200600_302600_NS11hip_rocprim35transform_pair_of_input_iterators_tIiPsSB_NS8_12not_equal_toIsEEEEPiiNS8_4plusIiEEEE10hipError_tPvRmT1_T2_T3_mT4_P12ihipStream_tbEUlT_E1_NS1_11comp_targetILNS1_3genE0ELNS1_11target_archE4294967295ELNS1_3gpuE0ELNS1_3repE0EEENS1_30default_config_static_selectorELNS0_4arch9wavefront6targetE1EEEvSL_.uses_vcc, 0
	.set _ZN7rocprim17ROCPRIM_400000_NS6detail17trampoline_kernelINS0_14default_configENS1_22reduce_config_selectorIiEEZNS1_11reduce_implILb1ES3_N6thrust23THRUST_200600_302600_NS11hip_rocprim35transform_pair_of_input_iterators_tIiPsSB_NS8_12not_equal_toIsEEEEPiiNS8_4plusIiEEEE10hipError_tPvRmT1_T2_T3_mT4_P12ihipStream_tbEUlT_E1_NS1_11comp_targetILNS1_3genE0ELNS1_11target_archE4294967295ELNS1_3gpuE0ELNS1_3repE0EEENS1_30default_config_static_selectorELNS0_4arch9wavefront6targetE1EEEvSL_.uses_flat_scratch, 0
	.set _ZN7rocprim17ROCPRIM_400000_NS6detail17trampoline_kernelINS0_14default_configENS1_22reduce_config_selectorIiEEZNS1_11reduce_implILb1ES3_N6thrust23THRUST_200600_302600_NS11hip_rocprim35transform_pair_of_input_iterators_tIiPsSB_NS8_12not_equal_toIsEEEEPiiNS8_4plusIiEEEE10hipError_tPvRmT1_T2_T3_mT4_P12ihipStream_tbEUlT_E1_NS1_11comp_targetILNS1_3genE0ELNS1_11target_archE4294967295ELNS1_3gpuE0ELNS1_3repE0EEENS1_30default_config_static_selectorELNS0_4arch9wavefront6targetE1EEEvSL_.has_dyn_sized_stack, 0
	.set _ZN7rocprim17ROCPRIM_400000_NS6detail17trampoline_kernelINS0_14default_configENS1_22reduce_config_selectorIiEEZNS1_11reduce_implILb1ES3_N6thrust23THRUST_200600_302600_NS11hip_rocprim35transform_pair_of_input_iterators_tIiPsSB_NS8_12not_equal_toIsEEEEPiiNS8_4plusIiEEEE10hipError_tPvRmT1_T2_T3_mT4_P12ihipStream_tbEUlT_E1_NS1_11comp_targetILNS1_3genE0ELNS1_11target_archE4294967295ELNS1_3gpuE0ELNS1_3repE0EEENS1_30default_config_static_selectorELNS0_4arch9wavefront6targetE1EEEvSL_.has_recursion, 0
	.set _ZN7rocprim17ROCPRIM_400000_NS6detail17trampoline_kernelINS0_14default_configENS1_22reduce_config_selectorIiEEZNS1_11reduce_implILb1ES3_N6thrust23THRUST_200600_302600_NS11hip_rocprim35transform_pair_of_input_iterators_tIiPsSB_NS8_12not_equal_toIsEEEEPiiNS8_4plusIiEEEE10hipError_tPvRmT1_T2_T3_mT4_P12ihipStream_tbEUlT_E1_NS1_11comp_targetILNS1_3genE0ELNS1_11target_archE4294967295ELNS1_3gpuE0ELNS1_3repE0EEENS1_30default_config_static_selectorELNS0_4arch9wavefront6targetE1EEEvSL_.has_indirect_call, 0
	.section	.AMDGPU.csdata,"",@progbits
; Kernel info:
; codeLenInByte = 0
; TotalNumSgprs: 4
; NumVgprs: 0
; ScratchSize: 0
; MemoryBound: 0
; FloatMode: 240
; IeeeMode: 1
; LDSByteSize: 0 bytes/workgroup (compile time only)
; SGPRBlocks: 0
; VGPRBlocks: 0
; NumSGPRsForWavesPerEU: 4
; NumVGPRsForWavesPerEU: 1
; Occupancy: 10
; WaveLimiterHint : 0
; COMPUTE_PGM_RSRC2:SCRATCH_EN: 0
; COMPUTE_PGM_RSRC2:USER_SGPR: 6
; COMPUTE_PGM_RSRC2:TRAP_HANDLER: 0
; COMPUTE_PGM_RSRC2:TGID_X_EN: 1
; COMPUTE_PGM_RSRC2:TGID_Y_EN: 0
; COMPUTE_PGM_RSRC2:TGID_Z_EN: 0
; COMPUTE_PGM_RSRC2:TIDIG_COMP_CNT: 0
	.section	.text._ZN7rocprim17ROCPRIM_400000_NS6detail17trampoline_kernelINS0_14default_configENS1_22reduce_config_selectorIiEEZNS1_11reduce_implILb1ES3_N6thrust23THRUST_200600_302600_NS11hip_rocprim35transform_pair_of_input_iterators_tIiPsSB_NS8_12not_equal_toIsEEEEPiiNS8_4plusIiEEEE10hipError_tPvRmT1_T2_T3_mT4_P12ihipStream_tbEUlT_E1_NS1_11comp_targetILNS1_3genE5ELNS1_11target_archE942ELNS1_3gpuE9ELNS1_3repE0EEENS1_30default_config_static_selectorELNS0_4arch9wavefront6targetE1EEEvSL_,"axG",@progbits,_ZN7rocprim17ROCPRIM_400000_NS6detail17trampoline_kernelINS0_14default_configENS1_22reduce_config_selectorIiEEZNS1_11reduce_implILb1ES3_N6thrust23THRUST_200600_302600_NS11hip_rocprim35transform_pair_of_input_iterators_tIiPsSB_NS8_12not_equal_toIsEEEEPiiNS8_4plusIiEEEE10hipError_tPvRmT1_T2_T3_mT4_P12ihipStream_tbEUlT_E1_NS1_11comp_targetILNS1_3genE5ELNS1_11target_archE942ELNS1_3gpuE9ELNS1_3repE0EEENS1_30default_config_static_selectorELNS0_4arch9wavefront6targetE1EEEvSL_,comdat
	.protected	_ZN7rocprim17ROCPRIM_400000_NS6detail17trampoline_kernelINS0_14default_configENS1_22reduce_config_selectorIiEEZNS1_11reduce_implILb1ES3_N6thrust23THRUST_200600_302600_NS11hip_rocprim35transform_pair_of_input_iterators_tIiPsSB_NS8_12not_equal_toIsEEEEPiiNS8_4plusIiEEEE10hipError_tPvRmT1_T2_T3_mT4_P12ihipStream_tbEUlT_E1_NS1_11comp_targetILNS1_3genE5ELNS1_11target_archE942ELNS1_3gpuE9ELNS1_3repE0EEENS1_30default_config_static_selectorELNS0_4arch9wavefront6targetE1EEEvSL_ ; -- Begin function _ZN7rocprim17ROCPRIM_400000_NS6detail17trampoline_kernelINS0_14default_configENS1_22reduce_config_selectorIiEEZNS1_11reduce_implILb1ES3_N6thrust23THRUST_200600_302600_NS11hip_rocprim35transform_pair_of_input_iterators_tIiPsSB_NS8_12not_equal_toIsEEEEPiiNS8_4plusIiEEEE10hipError_tPvRmT1_T2_T3_mT4_P12ihipStream_tbEUlT_E1_NS1_11comp_targetILNS1_3genE5ELNS1_11target_archE942ELNS1_3gpuE9ELNS1_3repE0EEENS1_30default_config_static_selectorELNS0_4arch9wavefront6targetE1EEEvSL_
	.globl	_ZN7rocprim17ROCPRIM_400000_NS6detail17trampoline_kernelINS0_14default_configENS1_22reduce_config_selectorIiEEZNS1_11reduce_implILb1ES3_N6thrust23THRUST_200600_302600_NS11hip_rocprim35transform_pair_of_input_iterators_tIiPsSB_NS8_12not_equal_toIsEEEEPiiNS8_4plusIiEEEE10hipError_tPvRmT1_T2_T3_mT4_P12ihipStream_tbEUlT_E1_NS1_11comp_targetILNS1_3genE5ELNS1_11target_archE942ELNS1_3gpuE9ELNS1_3repE0EEENS1_30default_config_static_selectorELNS0_4arch9wavefront6targetE1EEEvSL_
	.p2align	8
	.type	_ZN7rocprim17ROCPRIM_400000_NS6detail17trampoline_kernelINS0_14default_configENS1_22reduce_config_selectorIiEEZNS1_11reduce_implILb1ES3_N6thrust23THRUST_200600_302600_NS11hip_rocprim35transform_pair_of_input_iterators_tIiPsSB_NS8_12not_equal_toIsEEEEPiiNS8_4plusIiEEEE10hipError_tPvRmT1_T2_T3_mT4_P12ihipStream_tbEUlT_E1_NS1_11comp_targetILNS1_3genE5ELNS1_11target_archE942ELNS1_3gpuE9ELNS1_3repE0EEENS1_30default_config_static_selectorELNS0_4arch9wavefront6targetE1EEEvSL_,@function
_ZN7rocprim17ROCPRIM_400000_NS6detail17trampoline_kernelINS0_14default_configENS1_22reduce_config_selectorIiEEZNS1_11reduce_implILb1ES3_N6thrust23THRUST_200600_302600_NS11hip_rocprim35transform_pair_of_input_iterators_tIiPsSB_NS8_12not_equal_toIsEEEEPiiNS8_4plusIiEEEE10hipError_tPvRmT1_T2_T3_mT4_P12ihipStream_tbEUlT_E1_NS1_11comp_targetILNS1_3genE5ELNS1_11target_archE942ELNS1_3gpuE9ELNS1_3repE0EEENS1_30default_config_static_selectorELNS0_4arch9wavefront6targetE1EEEvSL_: ; @_ZN7rocprim17ROCPRIM_400000_NS6detail17trampoline_kernelINS0_14default_configENS1_22reduce_config_selectorIiEEZNS1_11reduce_implILb1ES3_N6thrust23THRUST_200600_302600_NS11hip_rocprim35transform_pair_of_input_iterators_tIiPsSB_NS8_12not_equal_toIsEEEEPiiNS8_4plusIiEEEE10hipError_tPvRmT1_T2_T3_mT4_P12ihipStream_tbEUlT_E1_NS1_11comp_targetILNS1_3genE5ELNS1_11target_archE942ELNS1_3gpuE9ELNS1_3repE0EEENS1_30default_config_static_selectorELNS0_4arch9wavefront6targetE1EEEvSL_
; %bb.0:
	.section	.rodata,"a",@progbits
	.p2align	6, 0x0
	.amdhsa_kernel _ZN7rocprim17ROCPRIM_400000_NS6detail17trampoline_kernelINS0_14default_configENS1_22reduce_config_selectorIiEEZNS1_11reduce_implILb1ES3_N6thrust23THRUST_200600_302600_NS11hip_rocprim35transform_pair_of_input_iterators_tIiPsSB_NS8_12not_equal_toIsEEEEPiiNS8_4plusIiEEEE10hipError_tPvRmT1_T2_T3_mT4_P12ihipStream_tbEUlT_E1_NS1_11comp_targetILNS1_3genE5ELNS1_11target_archE942ELNS1_3gpuE9ELNS1_3repE0EEENS1_30default_config_static_selectorELNS0_4arch9wavefront6targetE1EEEvSL_
		.amdhsa_group_segment_fixed_size 0
		.amdhsa_private_segment_fixed_size 0
		.amdhsa_kernarg_size 56
		.amdhsa_user_sgpr_count 6
		.amdhsa_user_sgpr_private_segment_buffer 1
		.amdhsa_user_sgpr_dispatch_ptr 0
		.amdhsa_user_sgpr_queue_ptr 0
		.amdhsa_user_sgpr_kernarg_segment_ptr 1
		.amdhsa_user_sgpr_dispatch_id 0
		.amdhsa_user_sgpr_flat_scratch_init 0
		.amdhsa_user_sgpr_private_segment_size 0
		.amdhsa_uses_dynamic_stack 0
		.amdhsa_system_sgpr_private_segment_wavefront_offset 0
		.amdhsa_system_sgpr_workgroup_id_x 1
		.amdhsa_system_sgpr_workgroup_id_y 0
		.amdhsa_system_sgpr_workgroup_id_z 0
		.amdhsa_system_sgpr_workgroup_info 0
		.amdhsa_system_vgpr_workitem_id 0
		.amdhsa_next_free_vgpr 1
		.amdhsa_next_free_sgpr 0
		.amdhsa_reserve_vcc 0
		.amdhsa_reserve_flat_scratch 0
		.amdhsa_float_round_mode_32 0
		.amdhsa_float_round_mode_16_64 0
		.amdhsa_float_denorm_mode_32 3
		.amdhsa_float_denorm_mode_16_64 3
		.amdhsa_dx10_clamp 1
		.amdhsa_ieee_mode 1
		.amdhsa_fp16_overflow 0
		.amdhsa_exception_fp_ieee_invalid_op 0
		.amdhsa_exception_fp_denorm_src 0
		.amdhsa_exception_fp_ieee_div_zero 0
		.amdhsa_exception_fp_ieee_overflow 0
		.amdhsa_exception_fp_ieee_underflow 0
		.amdhsa_exception_fp_ieee_inexact 0
		.amdhsa_exception_int_div_zero 0
	.end_amdhsa_kernel
	.section	.text._ZN7rocprim17ROCPRIM_400000_NS6detail17trampoline_kernelINS0_14default_configENS1_22reduce_config_selectorIiEEZNS1_11reduce_implILb1ES3_N6thrust23THRUST_200600_302600_NS11hip_rocprim35transform_pair_of_input_iterators_tIiPsSB_NS8_12not_equal_toIsEEEEPiiNS8_4plusIiEEEE10hipError_tPvRmT1_T2_T3_mT4_P12ihipStream_tbEUlT_E1_NS1_11comp_targetILNS1_3genE5ELNS1_11target_archE942ELNS1_3gpuE9ELNS1_3repE0EEENS1_30default_config_static_selectorELNS0_4arch9wavefront6targetE1EEEvSL_,"axG",@progbits,_ZN7rocprim17ROCPRIM_400000_NS6detail17trampoline_kernelINS0_14default_configENS1_22reduce_config_selectorIiEEZNS1_11reduce_implILb1ES3_N6thrust23THRUST_200600_302600_NS11hip_rocprim35transform_pair_of_input_iterators_tIiPsSB_NS8_12not_equal_toIsEEEEPiiNS8_4plusIiEEEE10hipError_tPvRmT1_T2_T3_mT4_P12ihipStream_tbEUlT_E1_NS1_11comp_targetILNS1_3genE5ELNS1_11target_archE942ELNS1_3gpuE9ELNS1_3repE0EEENS1_30default_config_static_selectorELNS0_4arch9wavefront6targetE1EEEvSL_,comdat
.Lfunc_end1462:
	.size	_ZN7rocprim17ROCPRIM_400000_NS6detail17trampoline_kernelINS0_14default_configENS1_22reduce_config_selectorIiEEZNS1_11reduce_implILb1ES3_N6thrust23THRUST_200600_302600_NS11hip_rocprim35transform_pair_of_input_iterators_tIiPsSB_NS8_12not_equal_toIsEEEEPiiNS8_4plusIiEEEE10hipError_tPvRmT1_T2_T3_mT4_P12ihipStream_tbEUlT_E1_NS1_11comp_targetILNS1_3genE5ELNS1_11target_archE942ELNS1_3gpuE9ELNS1_3repE0EEENS1_30default_config_static_selectorELNS0_4arch9wavefront6targetE1EEEvSL_, .Lfunc_end1462-_ZN7rocprim17ROCPRIM_400000_NS6detail17trampoline_kernelINS0_14default_configENS1_22reduce_config_selectorIiEEZNS1_11reduce_implILb1ES3_N6thrust23THRUST_200600_302600_NS11hip_rocprim35transform_pair_of_input_iterators_tIiPsSB_NS8_12not_equal_toIsEEEEPiiNS8_4plusIiEEEE10hipError_tPvRmT1_T2_T3_mT4_P12ihipStream_tbEUlT_E1_NS1_11comp_targetILNS1_3genE5ELNS1_11target_archE942ELNS1_3gpuE9ELNS1_3repE0EEENS1_30default_config_static_selectorELNS0_4arch9wavefront6targetE1EEEvSL_
                                        ; -- End function
	.set _ZN7rocprim17ROCPRIM_400000_NS6detail17trampoline_kernelINS0_14default_configENS1_22reduce_config_selectorIiEEZNS1_11reduce_implILb1ES3_N6thrust23THRUST_200600_302600_NS11hip_rocprim35transform_pair_of_input_iterators_tIiPsSB_NS8_12not_equal_toIsEEEEPiiNS8_4plusIiEEEE10hipError_tPvRmT1_T2_T3_mT4_P12ihipStream_tbEUlT_E1_NS1_11comp_targetILNS1_3genE5ELNS1_11target_archE942ELNS1_3gpuE9ELNS1_3repE0EEENS1_30default_config_static_selectorELNS0_4arch9wavefront6targetE1EEEvSL_.num_vgpr, 0
	.set _ZN7rocprim17ROCPRIM_400000_NS6detail17trampoline_kernelINS0_14default_configENS1_22reduce_config_selectorIiEEZNS1_11reduce_implILb1ES3_N6thrust23THRUST_200600_302600_NS11hip_rocprim35transform_pair_of_input_iterators_tIiPsSB_NS8_12not_equal_toIsEEEEPiiNS8_4plusIiEEEE10hipError_tPvRmT1_T2_T3_mT4_P12ihipStream_tbEUlT_E1_NS1_11comp_targetILNS1_3genE5ELNS1_11target_archE942ELNS1_3gpuE9ELNS1_3repE0EEENS1_30default_config_static_selectorELNS0_4arch9wavefront6targetE1EEEvSL_.num_agpr, 0
	.set _ZN7rocprim17ROCPRIM_400000_NS6detail17trampoline_kernelINS0_14default_configENS1_22reduce_config_selectorIiEEZNS1_11reduce_implILb1ES3_N6thrust23THRUST_200600_302600_NS11hip_rocprim35transform_pair_of_input_iterators_tIiPsSB_NS8_12not_equal_toIsEEEEPiiNS8_4plusIiEEEE10hipError_tPvRmT1_T2_T3_mT4_P12ihipStream_tbEUlT_E1_NS1_11comp_targetILNS1_3genE5ELNS1_11target_archE942ELNS1_3gpuE9ELNS1_3repE0EEENS1_30default_config_static_selectorELNS0_4arch9wavefront6targetE1EEEvSL_.numbered_sgpr, 0
	.set _ZN7rocprim17ROCPRIM_400000_NS6detail17trampoline_kernelINS0_14default_configENS1_22reduce_config_selectorIiEEZNS1_11reduce_implILb1ES3_N6thrust23THRUST_200600_302600_NS11hip_rocprim35transform_pair_of_input_iterators_tIiPsSB_NS8_12not_equal_toIsEEEEPiiNS8_4plusIiEEEE10hipError_tPvRmT1_T2_T3_mT4_P12ihipStream_tbEUlT_E1_NS1_11comp_targetILNS1_3genE5ELNS1_11target_archE942ELNS1_3gpuE9ELNS1_3repE0EEENS1_30default_config_static_selectorELNS0_4arch9wavefront6targetE1EEEvSL_.num_named_barrier, 0
	.set _ZN7rocprim17ROCPRIM_400000_NS6detail17trampoline_kernelINS0_14default_configENS1_22reduce_config_selectorIiEEZNS1_11reduce_implILb1ES3_N6thrust23THRUST_200600_302600_NS11hip_rocprim35transform_pair_of_input_iterators_tIiPsSB_NS8_12not_equal_toIsEEEEPiiNS8_4plusIiEEEE10hipError_tPvRmT1_T2_T3_mT4_P12ihipStream_tbEUlT_E1_NS1_11comp_targetILNS1_3genE5ELNS1_11target_archE942ELNS1_3gpuE9ELNS1_3repE0EEENS1_30default_config_static_selectorELNS0_4arch9wavefront6targetE1EEEvSL_.private_seg_size, 0
	.set _ZN7rocprim17ROCPRIM_400000_NS6detail17trampoline_kernelINS0_14default_configENS1_22reduce_config_selectorIiEEZNS1_11reduce_implILb1ES3_N6thrust23THRUST_200600_302600_NS11hip_rocprim35transform_pair_of_input_iterators_tIiPsSB_NS8_12not_equal_toIsEEEEPiiNS8_4plusIiEEEE10hipError_tPvRmT1_T2_T3_mT4_P12ihipStream_tbEUlT_E1_NS1_11comp_targetILNS1_3genE5ELNS1_11target_archE942ELNS1_3gpuE9ELNS1_3repE0EEENS1_30default_config_static_selectorELNS0_4arch9wavefront6targetE1EEEvSL_.uses_vcc, 0
	.set _ZN7rocprim17ROCPRIM_400000_NS6detail17trampoline_kernelINS0_14default_configENS1_22reduce_config_selectorIiEEZNS1_11reduce_implILb1ES3_N6thrust23THRUST_200600_302600_NS11hip_rocprim35transform_pair_of_input_iterators_tIiPsSB_NS8_12not_equal_toIsEEEEPiiNS8_4plusIiEEEE10hipError_tPvRmT1_T2_T3_mT4_P12ihipStream_tbEUlT_E1_NS1_11comp_targetILNS1_3genE5ELNS1_11target_archE942ELNS1_3gpuE9ELNS1_3repE0EEENS1_30default_config_static_selectorELNS0_4arch9wavefront6targetE1EEEvSL_.uses_flat_scratch, 0
	.set _ZN7rocprim17ROCPRIM_400000_NS6detail17trampoline_kernelINS0_14default_configENS1_22reduce_config_selectorIiEEZNS1_11reduce_implILb1ES3_N6thrust23THRUST_200600_302600_NS11hip_rocprim35transform_pair_of_input_iterators_tIiPsSB_NS8_12not_equal_toIsEEEEPiiNS8_4plusIiEEEE10hipError_tPvRmT1_T2_T3_mT4_P12ihipStream_tbEUlT_E1_NS1_11comp_targetILNS1_3genE5ELNS1_11target_archE942ELNS1_3gpuE9ELNS1_3repE0EEENS1_30default_config_static_selectorELNS0_4arch9wavefront6targetE1EEEvSL_.has_dyn_sized_stack, 0
	.set _ZN7rocprim17ROCPRIM_400000_NS6detail17trampoline_kernelINS0_14default_configENS1_22reduce_config_selectorIiEEZNS1_11reduce_implILb1ES3_N6thrust23THRUST_200600_302600_NS11hip_rocprim35transform_pair_of_input_iterators_tIiPsSB_NS8_12not_equal_toIsEEEEPiiNS8_4plusIiEEEE10hipError_tPvRmT1_T2_T3_mT4_P12ihipStream_tbEUlT_E1_NS1_11comp_targetILNS1_3genE5ELNS1_11target_archE942ELNS1_3gpuE9ELNS1_3repE0EEENS1_30default_config_static_selectorELNS0_4arch9wavefront6targetE1EEEvSL_.has_recursion, 0
	.set _ZN7rocprim17ROCPRIM_400000_NS6detail17trampoline_kernelINS0_14default_configENS1_22reduce_config_selectorIiEEZNS1_11reduce_implILb1ES3_N6thrust23THRUST_200600_302600_NS11hip_rocprim35transform_pair_of_input_iterators_tIiPsSB_NS8_12not_equal_toIsEEEEPiiNS8_4plusIiEEEE10hipError_tPvRmT1_T2_T3_mT4_P12ihipStream_tbEUlT_E1_NS1_11comp_targetILNS1_3genE5ELNS1_11target_archE942ELNS1_3gpuE9ELNS1_3repE0EEENS1_30default_config_static_selectorELNS0_4arch9wavefront6targetE1EEEvSL_.has_indirect_call, 0
	.section	.AMDGPU.csdata,"",@progbits
; Kernel info:
; codeLenInByte = 0
; TotalNumSgprs: 4
; NumVgprs: 0
; ScratchSize: 0
; MemoryBound: 0
; FloatMode: 240
; IeeeMode: 1
; LDSByteSize: 0 bytes/workgroup (compile time only)
; SGPRBlocks: 0
; VGPRBlocks: 0
; NumSGPRsForWavesPerEU: 4
; NumVGPRsForWavesPerEU: 1
; Occupancy: 10
; WaveLimiterHint : 0
; COMPUTE_PGM_RSRC2:SCRATCH_EN: 0
; COMPUTE_PGM_RSRC2:USER_SGPR: 6
; COMPUTE_PGM_RSRC2:TRAP_HANDLER: 0
; COMPUTE_PGM_RSRC2:TGID_X_EN: 1
; COMPUTE_PGM_RSRC2:TGID_Y_EN: 0
; COMPUTE_PGM_RSRC2:TGID_Z_EN: 0
; COMPUTE_PGM_RSRC2:TIDIG_COMP_CNT: 0
	.section	.text._ZN7rocprim17ROCPRIM_400000_NS6detail17trampoline_kernelINS0_14default_configENS1_22reduce_config_selectorIiEEZNS1_11reduce_implILb1ES3_N6thrust23THRUST_200600_302600_NS11hip_rocprim35transform_pair_of_input_iterators_tIiPsSB_NS8_12not_equal_toIsEEEEPiiNS8_4plusIiEEEE10hipError_tPvRmT1_T2_T3_mT4_P12ihipStream_tbEUlT_E1_NS1_11comp_targetILNS1_3genE4ELNS1_11target_archE910ELNS1_3gpuE8ELNS1_3repE0EEENS1_30default_config_static_selectorELNS0_4arch9wavefront6targetE1EEEvSL_,"axG",@progbits,_ZN7rocprim17ROCPRIM_400000_NS6detail17trampoline_kernelINS0_14default_configENS1_22reduce_config_selectorIiEEZNS1_11reduce_implILb1ES3_N6thrust23THRUST_200600_302600_NS11hip_rocprim35transform_pair_of_input_iterators_tIiPsSB_NS8_12not_equal_toIsEEEEPiiNS8_4plusIiEEEE10hipError_tPvRmT1_T2_T3_mT4_P12ihipStream_tbEUlT_E1_NS1_11comp_targetILNS1_3genE4ELNS1_11target_archE910ELNS1_3gpuE8ELNS1_3repE0EEENS1_30default_config_static_selectorELNS0_4arch9wavefront6targetE1EEEvSL_,comdat
	.protected	_ZN7rocprim17ROCPRIM_400000_NS6detail17trampoline_kernelINS0_14default_configENS1_22reduce_config_selectorIiEEZNS1_11reduce_implILb1ES3_N6thrust23THRUST_200600_302600_NS11hip_rocprim35transform_pair_of_input_iterators_tIiPsSB_NS8_12not_equal_toIsEEEEPiiNS8_4plusIiEEEE10hipError_tPvRmT1_T2_T3_mT4_P12ihipStream_tbEUlT_E1_NS1_11comp_targetILNS1_3genE4ELNS1_11target_archE910ELNS1_3gpuE8ELNS1_3repE0EEENS1_30default_config_static_selectorELNS0_4arch9wavefront6targetE1EEEvSL_ ; -- Begin function _ZN7rocprim17ROCPRIM_400000_NS6detail17trampoline_kernelINS0_14default_configENS1_22reduce_config_selectorIiEEZNS1_11reduce_implILb1ES3_N6thrust23THRUST_200600_302600_NS11hip_rocprim35transform_pair_of_input_iterators_tIiPsSB_NS8_12not_equal_toIsEEEEPiiNS8_4plusIiEEEE10hipError_tPvRmT1_T2_T3_mT4_P12ihipStream_tbEUlT_E1_NS1_11comp_targetILNS1_3genE4ELNS1_11target_archE910ELNS1_3gpuE8ELNS1_3repE0EEENS1_30default_config_static_selectorELNS0_4arch9wavefront6targetE1EEEvSL_
	.globl	_ZN7rocprim17ROCPRIM_400000_NS6detail17trampoline_kernelINS0_14default_configENS1_22reduce_config_selectorIiEEZNS1_11reduce_implILb1ES3_N6thrust23THRUST_200600_302600_NS11hip_rocprim35transform_pair_of_input_iterators_tIiPsSB_NS8_12not_equal_toIsEEEEPiiNS8_4plusIiEEEE10hipError_tPvRmT1_T2_T3_mT4_P12ihipStream_tbEUlT_E1_NS1_11comp_targetILNS1_3genE4ELNS1_11target_archE910ELNS1_3gpuE8ELNS1_3repE0EEENS1_30default_config_static_selectorELNS0_4arch9wavefront6targetE1EEEvSL_
	.p2align	8
	.type	_ZN7rocprim17ROCPRIM_400000_NS6detail17trampoline_kernelINS0_14default_configENS1_22reduce_config_selectorIiEEZNS1_11reduce_implILb1ES3_N6thrust23THRUST_200600_302600_NS11hip_rocprim35transform_pair_of_input_iterators_tIiPsSB_NS8_12not_equal_toIsEEEEPiiNS8_4plusIiEEEE10hipError_tPvRmT1_T2_T3_mT4_P12ihipStream_tbEUlT_E1_NS1_11comp_targetILNS1_3genE4ELNS1_11target_archE910ELNS1_3gpuE8ELNS1_3repE0EEENS1_30default_config_static_selectorELNS0_4arch9wavefront6targetE1EEEvSL_,@function
_ZN7rocprim17ROCPRIM_400000_NS6detail17trampoline_kernelINS0_14default_configENS1_22reduce_config_selectorIiEEZNS1_11reduce_implILb1ES3_N6thrust23THRUST_200600_302600_NS11hip_rocprim35transform_pair_of_input_iterators_tIiPsSB_NS8_12not_equal_toIsEEEEPiiNS8_4plusIiEEEE10hipError_tPvRmT1_T2_T3_mT4_P12ihipStream_tbEUlT_E1_NS1_11comp_targetILNS1_3genE4ELNS1_11target_archE910ELNS1_3gpuE8ELNS1_3repE0EEENS1_30default_config_static_selectorELNS0_4arch9wavefront6targetE1EEEvSL_: ; @_ZN7rocprim17ROCPRIM_400000_NS6detail17trampoline_kernelINS0_14default_configENS1_22reduce_config_selectorIiEEZNS1_11reduce_implILb1ES3_N6thrust23THRUST_200600_302600_NS11hip_rocprim35transform_pair_of_input_iterators_tIiPsSB_NS8_12not_equal_toIsEEEEPiiNS8_4plusIiEEEE10hipError_tPvRmT1_T2_T3_mT4_P12ihipStream_tbEUlT_E1_NS1_11comp_targetILNS1_3genE4ELNS1_11target_archE910ELNS1_3gpuE8ELNS1_3repE0EEENS1_30default_config_static_selectorELNS0_4arch9wavefront6targetE1EEEvSL_
; %bb.0:
	.section	.rodata,"a",@progbits
	.p2align	6, 0x0
	.amdhsa_kernel _ZN7rocprim17ROCPRIM_400000_NS6detail17trampoline_kernelINS0_14default_configENS1_22reduce_config_selectorIiEEZNS1_11reduce_implILb1ES3_N6thrust23THRUST_200600_302600_NS11hip_rocprim35transform_pair_of_input_iterators_tIiPsSB_NS8_12not_equal_toIsEEEEPiiNS8_4plusIiEEEE10hipError_tPvRmT1_T2_T3_mT4_P12ihipStream_tbEUlT_E1_NS1_11comp_targetILNS1_3genE4ELNS1_11target_archE910ELNS1_3gpuE8ELNS1_3repE0EEENS1_30default_config_static_selectorELNS0_4arch9wavefront6targetE1EEEvSL_
		.amdhsa_group_segment_fixed_size 0
		.amdhsa_private_segment_fixed_size 0
		.amdhsa_kernarg_size 56
		.amdhsa_user_sgpr_count 6
		.amdhsa_user_sgpr_private_segment_buffer 1
		.amdhsa_user_sgpr_dispatch_ptr 0
		.amdhsa_user_sgpr_queue_ptr 0
		.amdhsa_user_sgpr_kernarg_segment_ptr 1
		.amdhsa_user_sgpr_dispatch_id 0
		.amdhsa_user_sgpr_flat_scratch_init 0
		.amdhsa_user_sgpr_private_segment_size 0
		.amdhsa_uses_dynamic_stack 0
		.amdhsa_system_sgpr_private_segment_wavefront_offset 0
		.amdhsa_system_sgpr_workgroup_id_x 1
		.amdhsa_system_sgpr_workgroup_id_y 0
		.amdhsa_system_sgpr_workgroup_id_z 0
		.amdhsa_system_sgpr_workgroup_info 0
		.amdhsa_system_vgpr_workitem_id 0
		.amdhsa_next_free_vgpr 1
		.amdhsa_next_free_sgpr 0
		.amdhsa_reserve_vcc 0
		.amdhsa_reserve_flat_scratch 0
		.amdhsa_float_round_mode_32 0
		.amdhsa_float_round_mode_16_64 0
		.amdhsa_float_denorm_mode_32 3
		.amdhsa_float_denorm_mode_16_64 3
		.amdhsa_dx10_clamp 1
		.amdhsa_ieee_mode 1
		.amdhsa_fp16_overflow 0
		.amdhsa_exception_fp_ieee_invalid_op 0
		.amdhsa_exception_fp_denorm_src 0
		.amdhsa_exception_fp_ieee_div_zero 0
		.amdhsa_exception_fp_ieee_overflow 0
		.amdhsa_exception_fp_ieee_underflow 0
		.amdhsa_exception_fp_ieee_inexact 0
		.amdhsa_exception_int_div_zero 0
	.end_amdhsa_kernel
	.section	.text._ZN7rocprim17ROCPRIM_400000_NS6detail17trampoline_kernelINS0_14default_configENS1_22reduce_config_selectorIiEEZNS1_11reduce_implILb1ES3_N6thrust23THRUST_200600_302600_NS11hip_rocprim35transform_pair_of_input_iterators_tIiPsSB_NS8_12not_equal_toIsEEEEPiiNS8_4plusIiEEEE10hipError_tPvRmT1_T2_T3_mT4_P12ihipStream_tbEUlT_E1_NS1_11comp_targetILNS1_3genE4ELNS1_11target_archE910ELNS1_3gpuE8ELNS1_3repE0EEENS1_30default_config_static_selectorELNS0_4arch9wavefront6targetE1EEEvSL_,"axG",@progbits,_ZN7rocprim17ROCPRIM_400000_NS6detail17trampoline_kernelINS0_14default_configENS1_22reduce_config_selectorIiEEZNS1_11reduce_implILb1ES3_N6thrust23THRUST_200600_302600_NS11hip_rocprim35transform_pair_of_input_iterators_tIiPsSB_NS8_12not_equal_toIsEEEEPiiNS8_4plusIiEEEE10hipError_tPvRmT1_T2_T3_mT4_P12ihipStream_tbEUlT_E1_NS1_11comp_targetILNS1_3genE4ELNS1_11target_archE910ELNS1_3gpuE8ELNS1_3repE0EEENS1_30default_config_static_selectorELNS0_4arch9wavefront6targetE1EEEvSL_,comdat
.Lfunc_end1463:
	.size	_ZN7rocprim17ROCPRIM_400000_NS6detail17trampoline_kernelINS0_14default_configENS1_22reduce_config_selectorIiEEZNS1_11reduce_implILb1ES3_N6thrust23THRUST_200600_302600_NS11hip_rocprim35transform_pair_of_input_iterators_tIiPsSB_NS8_12not_equal_toIsEEEEPiiNS8_4plusIiEEEE10hipError_tPvRmT1_T2_T3_mT4_P12ihipStream_tbEUlT_E1_NS1_11comp_targetILNS1_3genE4ELNS1_11target_archE910ELNS1_3gpuE8ELNS1_3repE0EEENS1_30default_config_static_selectorELNS0_4arch9wavefront6targetE1EEEvSL_, .Lfunc_end1463-_ZN7rocprim17ROCPRIM_400000_NS6detail17trampoline_kernelINS0_14default_configENS1_22reduce_config_selectorIiEEZNS1_11reduce_implILb1ES3_N6thrust23THRUST_200600_302600_NS11hip_rocprim35transform_pair_of_input_iterators_tIiPsSB_NS8_12not_equal_toIsEEEEPiiNS8_4plusIiEEEE10hipError_tPvRmT1_T2_T3_mT4_P12ihipStream_tbEUlT_E1_NS1_11comp_targetILNS1_3genE4ELNS1_11target_archE910ELNS1_3gpuE8ELNS1_3repE0EEENS1_30default_config_static_selectorELNS0_4arch9wavefront6targetE1EEEvSL_
                                        ; -- End function
	.set _ZN7rocprim17ROCPRIM_400000_NS6detail17trampoline_kernelINS0_14default_configENS1_22reduce_config_selectorIiEEZNS1_11reduce_implILb1ES3_N6thrust23THRUST_200600_302600_NS11hip_rocprim35transform_pair_of_input_iterators_tIiPsSB_NS8_12not_equal_toIsEEEEPiiNS8_4plusIiEEEE10hipError_tPvRmT1_T2_T3_mT4_P12ihipStream_tbEUlT_E1_NS1_11comp_targetILNS1_3genE4ELNS1_11target_archE910ELNS1_3gpuE8ELNS1_3repE0EEENS1_30default_config_static_selectorELNS0_4arch9wavefront6targetE1EEEvSL_.num_vgpr, 0
	.set _ZN7rocprim17ROCPRIM_400000_NS6detail17trampoline_kernelINS0_14default_configENS1_22reduce_config_selectorIiEEZNS1_11reduce_implILb1ES3_N6thrust23THRUST_200600_302600_NS11hip_rocprim35transform_pair_of_input_iterators_tIiPsSB_NS8_12not_equal_toIsEEEEPiiNS8_4plusIiEEEE10hipError_tPvRmT1_T2_T3_mT4_P12ihipStream_tbEUlT_E1_NS1_11comp_targetILNS1_3genE4ELNS1_11target_archE910ELNS1_3gpuE8ELNS1_3repE0EEENS1_30default_config_static_selectorELNS0_4arch9wavefront6targetE1EEEvSL_.num_agpr, 0
	.set _ZN7rocprim17ROCPRIM_400000_NS6detail17trampoline_kernelINS0_14default_configENS1_22reduce_config_selectorIiEEZNS1_11reduce_implILb1ES3_N6thrust23THRUST_200600_302600_NS11hip_rocprim35transform_pair_of_input_iterators_tIiPsSB_NS8_12not_equal_toIsEEEEPiiNS8_4plusIiEEEE10hipError_tPvRmT1_T2_T3_mT4_P12ihipStream_tbEUlT_E1_NS1_11comp_targetILNS1_3genE4ELNS1_11target_archE910ELNS1_3gpuE8ELNS1_3repE0EEENS1_30default_config_static_selectorELNS0_4arch9wavefront6targetE1EEEvSL_.numbered_sgpr, 0
	.set _ZN7rocprim17ROCPRIM_400000_NS6detail17trampoline_kernelINS0_14default_configENS1_22reduce_config_selectorIiEEZNS1_11reduce_implILb1ES3_N6thrust23THRUST_200600_302600_NS11hip_rocprim35transform_pair_of_input_iterators_tIiPsSB_NS8_12not_equal_toIsEEEEPiiNS8_4plusIiEEEE10hipError_tPvRmT1_T2_T3_mT4_P12ihipStream_tbEUlT_E1_NS1_11comp_targetILNS1_3genE4ELNS1_11target_archE910ELNS1_3gpuE8ELNS1_3repE0EEENS1_30default_config_static_selectorELNS0_4arch9wavefront6targetE1EEEvSL_.num_named_barrier, 0
	.set _ZN7rocprim17ROCPRIM_400000_NS6detail17trampoline_kernelINS0_14default_configENS1_22reduce_config_selectorIiEEZNS1_11reduce_implILb1ES3_N6thrust23THRUST_200600_302600_NS11hip_rocprim35transform_pair_of_input_iterators_tIiPsSB_NS8_12not_equal_toIsEEEEPiiNS8_4plusIiEEEE10hipError_tPvRmT1_T2_T3_mT4_P12ihipStream_tbEUlT_E1_NS1_11comp_targetILNS1_3genE4ELNS1_11target_archE910ELNS1_3gpuE8ELNS1_3repE0EEENS1_30default_config_static_selectorELNS0_4arch9wavefront6targetE1EEEvSL_.private_seg_size, 0
	.set _ZN7rocprim17ROCPRIM_400000_NS6detail17trampoline_kernelINS0_14default_configENS1_22reduce_config_selectorIiEEZNS1_11reduce_implILb1ES3_N6thrust23THRUST_200600_302600_NS11hip_rocprim35transform_pair_of_input_iterators_tIiPsSB_NS8_12not_equal_toIsEEEEPiiNS8_4plusIiEEEE10hipError_tPvRmT1_T2_T3_mT4_P12ihipStream_tbEUlT_E1_NS1_11comp_targetILNS1_3genE4ELNS1_11target_archE910ELNS1_3gpuE8ELNS1_3repE0EEENS1_30default_config_static_selectorELNS0_4arch9wavefront6targetE1EEEvSL_.uses_vcc, 0
	.set _ZN7rocprim17ROCPRIM_400000_NS6detail17trampoline_kernelINS0_14default_configENS1_22reduce_config_selectorIiEEZNS1_11reduce_implILb1ES3_N6thrust23THRUST_200600_302600_NS11hip_rocprim35transform_pair_of_input_iterators_tIiPsSB_NS8_12not_equal_toIsEEEEPiiNS8_4plusIiEEEE10hipError_tPvRmT1_T2_T3_mT4_P12ihipStream_tbEUlT_E1_NS1_11comp_targetILNS1_3genE4ELNS1_11target_archE910ELNS1_3gpuE8ELNS1_3repE0EEENS1_30default_config_static_selectorELNS0_4arch9wavefront6targetE1EEEvSL_.uses_flat_scratch, 0
	.set _ZN7rocprim17ROCPRIM_400000_NS6detail17trampoline_kernelINS0_14default_configENS1_22reduce_config_selectorIiEEZNS1_11reduce_implILb1ES3_N6thrust23THRUST_200600_302600_NS11hip_rocprim35transform_pair_of_input_iterators_tIiPsSB_NS8_12not_equal_toIsEEEEPiiNS8_4plusIiEEEE10hipError_tPvRmT1_T2_T3_mT4_P12ihipStream_tbEUlT_E1_NS1_11comp_targetILNS1_3genE4ELNS1_11target_archE910ELNS1_3gpuE8ELNS1_3repE0EEENS1_30default_config_static_selectorELNS0_4arch9wavefront6targetE1EEEvSL_.has_dyn_sized_stack, 0
	.set _ZN7rocprim17ROCPRIM_400000_NS6detail17trampoline_kernelINS0_14default_configENS1_22reduce_config_selectorIiEEZNS1_11reduce_implILb1ES3_N6thrust23THRUST_200600_302600_NS11hip_rocprim35transform_pair_of_input_iterators_tIiPsSB_NS8_12not_equal_toIsEEEEPiiNS8_4plusIiEEEE10hipError_tPvRmT1_T2_T3_mT4_P12ihipStream_tbEUlT_E1_NS1_11comp_targetILNS1_3genE4ELNS1_11target_archE910ELNS1_3gpuE8ELNS1_3repE0EEENS1_30default_config_static_selectorELNS0_4arch9wavefront6targetE1EEEvSL_.has_recursion, 0
	.set _ZN7rocprim17ROCPRIM_400000_NS6detail17trampoline_kernelINS0_14default_configENS1_22reduce_config_selectorIiEEZNS1_11reduce_implILb1ES3_N6thrust23THRUST_200600_302600_NS11hip_rocprim35transform_pair_of_input_iterators_tIiPsSB_NS8_12not_equal_toIsEEEEPiiNS8_4plusIiEEEE10hipError_tPvRmT1_T2_T3_mT4_P12ihipStream_tbEUlT_E1_NS1_11comp_targetILNS1_3genE4ELNS1_11target_archE910ELNS1_3gpuE8ELNS1_3repE0EEENS1_30default_config_static_selectorELNS0_4arch9wavefront6targetE1EEEvSL_.has_indirect_call, 0
	.section	.AMDGPU.csdata,"",@progbits
; Kernel info:
; codeLenInByte = 0
; TotalNumSgprs: 4
; NumVgprs: 0
; ScratchSize: 0
; MemoryBound: 0
; FloatMode: 240
; IeeeMode: 1
; LDSByteSize: 0 bytes/workgroup (compile time only)
; SGPRBlocks: 0
; VGPRBlocks: 0
; NumSGPRsForWavesPerEU: 4
; NumVGPRsForWavesPerEU: 1
; Occupancy: 10
; WaveLimiterHint : 0
; COMPUTE_PGM_RSRC2:SCRATCH_EN: 0
; COMPUTE_PGM_RSRC2:USER_SGPR: 6
; COMPUTE_PGM_RSRC2:TRAP_HANDLER: 0
; COMPUTE_PGM_RSRC2:TGID_X_EN: 1
; COMPUTE_PGM_RSRC2:TGID_Y_EN: 0
; COMPUTE_PGM_RSRC2:TGID_Z_EN: 0
; COMPUTE_PGM_RSRC2:TIDIG_COMP_CNT: 0
	.section	.text._ZN7rocprim17ROCPRIM_400000_NS6detail17trampoline_kernelINS0_14default_configENS1_22reduce_config_selectorIiEEZNS1_11reduce_implILb1ES3_N6thrust23THRUST_200600_302600_NS11hip_rocprim35transform_pair_of_input_iterators_tIiPsSB_NS8_12not_equal_toIsEEEEPiiNS8_4plusIiEEEE10hipError_tPvRmT1_T2_T3_mT4_P12ihipStream_tbEUlT_E1_NS1_11comp_targetILNS1_3genE3ELNS1_11target_archE908ELNS1_3gpuE7ELNS1_3repE0EEENS1_30default_config_static_selectorELNS0_4arch9wavefront6targetE1EEEvSL_,"axG",@progbits,_ZN7rocprim17ROCPRIM_400000_NS6detail17trampoline_kernelINS0_14default_configENS1_22reduce_config_selectorIiEEZNS1_11reduce_implILb1ES3_N6thrust23THRUST_200600_302600_NS11hip_rocprim35transform_pair_of_input_iterators_tIiPsSB_NS8_12not_equal_toIsEEEEPiiNS8_4plusIiEEEE10hipError_tPvRmT1_T2_T3_mT4_P12ihipStream_tbEUlT_E1_NS1_11comp_targetILNS1_3genE3ELNS1_11target_archE908ELNS1_3gpuE7ELNS1_3repE0EEENS1_30default_config_static_selectorELNS0_4arch9wavefront6targetE1EEEvSL_,comdat
	.protected	_ZN7rocprim17ROCPRIM_400000_NS6detail17trampoline_kernelINS0_14default_configENS1_22reduce_config_selectorIiEEZNS1_11reduce_implILb1ES3_N6thrust23THRUST_200600_302600_NS11hip_rocprim35transform_pair_of_input_iterators_tIiPsSB_NS8_12not_equal_toIsEEEEPiiNS8_4plusIiEEEE10hipError_tPvRmT1_T2_T3_mT4_P12ihipStream_tbEUlT_E1_NS1_11comp_targetILNS1_3genE3ELNS1_11target_archE908ELNS1_3gpuE7ELNS1_3repE0EEENS1_30default_config_static_selectorELNS0_4arch9wavefront6targetE1EEEvSL_ ; -- Begin function _ZN7rocprim17ROCPRIM_400000_NS6detail17trampoline_kernelINS0_14default_configENS1_22reduce_config_selectorIiEEZNS1_11reduce_implILb1ES3_N6thrust23THRUST_200600_302600_NS11hip_rocprim35transform_pair_of_input_iterators_tIiPsSB_NS8_12not_equal_toIsEEEEPiiNS8_4plusIiEEEE10hipError_tPvRmT1_T2_T3_mT4_P12ihipStream_tbEUlT_E1_NS1_11comp_targetILNS1_3genE3ELNS1_11target_archE908ELNS1_3gpuE7ELNS1_3repE0EEENS1_30default_config_static_selectorELNS0_4arch9wavefront6targetE1EEEvSL_
	.globl	_ZN7rocprim17ROCPRIM_400000_NS6detail17trampoline_kernelINS0_14default_configENS1_22reduce_config_selectorIiEEZNS1_11reduce_implILb1ES3_N6thrust23THRUST_200600_302600_NS11hip_rocprim35transform_pair_of_input_iterators_tIiPsSB_NS8_12not_equal_toIsEEEEPiiNS8_4plusIiEEEE10hipError_tPvRmT1_T2_T3_mT4_P12ihipStream_tbEUlT_E1_NS1_11comp_targetILNS1_3genE3ELNS1_11target_archE908ELNS1_3gpuE7ELNS1_3repE0EEENS1_30default_config_static_selectorELNS0_4arch9wavefront6targetE1EEEvSL_
	.p2align	8
	.type	_ZN7rocprim17ROCPRIM_400000_NS6detail17trampoline_kernelINS0_14default_configENS1_22reduce_config_selectorIiEEZNS1_11reduce_implILb1ES3_N6thrust23THRUST_200600_302600_NS11hip_rocprim35transform_pair_of_input_iterators_tIiPsSB_NS8_12not_equal_toIsEEEEPiiNS8_4plusIiEEEE10hipError_tPvRmT1_T2_T3_mT4_P12ihipStream_tbEUlT_E1_NS1_11comp_targetILNS1_3genE3ELNS1_11target_archE908ELNS1_3gpuE7ELNS1_3repE0EEENS1_30default_config_static_selectorELNS0_4arch9wavefront6targetE1EEEvSL_,@function
_ZN7rocprim17ROCPRIM_400000_NS6detail17trampoline_kernelINS0_14default_configENS1_22reduce_config_selectorIiEEZNS1_11reduce_implILb1ES3_N6thrust23THRUST_200600_302600_NS11hip_rocprim35transform_pair_of_input_iterators_tIiPsSB_NS8_12not_equal_toIsEEEEPiiNS8_4plusIiEEEE10hipError_tPvRmT1_T2_T3_mT4_P12ihipStream_tbEUlT_E1_NS1_11comp_targetILNS1_3genE3ELNS1_11target_archE908ELNS1_3gpuE7ELNS1_3repE0EEENS1_30default_config_static_selectorELNS0_4arch9wavefront6targetE1EEEvSL_: ; @_ZN7rocprim17ROCPRIM_400000_NS6detail17trampoline_kernelINS0_14default_configENS1_22reduce_config_selectorIiEEZNS1_11reduce_implILb1ES3_N6thrust23THRUST_200600_302600_NS11hip_rocprim35transform_pair_of_input_iterators_tIiPsSB_NS8_12not_equal_toIsEEEEPiiNS8_4plusIiEEEE10hipError_tPvRmT1_T2_T3_mT4_P12ihipStream_tbEUlT_E1_NS1_11comp_targetILNS1_3genE3ELNS1_11target_archE908ELNS1_3gpuE7ELNS1_3repE0EEENS1_30default_config_static_selectorELNS0_4arch9wavefront6targetE1EEEvSL_
; %bb.0:
	.section	.rodata,"a",@progbits
	.p2align	6, 0x0
	.amdhsa_kernel _ZN7rocprim17ROCPRIM_400000_NS6detail17trampoline_kernelINS0_14default_configENS1_22reduce_config_selectorIiEEZNS1_11reduce_implILb1ES3_N6thrust23THRUST_200600_302600_NS11hip_rocprim35transform_pair_of_input_iterators_tIiPsSB_NS8_12not_equal_toIsEEEEPiiNS8_4plusIiEEEE10hipError_tPvRmT1_T2_T3_mT4_P12ihipStream_tbEUlT_E1_NS1_11comp_targetILNS1_3genE3ELNS1_11target_archE908ELNS1_3gpuE7ELNS1_3repE0EEENS1_30default_config_static_selectorELNS0_4arch9wavefront6targetE1EEEvSL_
		.amdhsa_group_segment_fixed_size 0
		.amdhsa_private_segment_fixed_size 0
		.amdhsa_kernarg_size 56
		.amdhsa_user_sgpr_count 6
		.amdhsa_user_sgpr_private_segment_buffer 1
		.amdhsa_user_sgpr_dispatch_ptr 0
		.amdhsa_user_sgpr_queue_ptr 0
		.amdhsa_user_sgpr_kernarg_segment_ptr 1
		.amdhsa_user_sgpr_dispatch_id 0
		.amdhsa_user_sgpr_flat_scratch_init 0
		.amdhsa_user_sgpr_private_segment_size 0
		.amdhsa_uses_dynamic_stack 0
		.amdhsa_system_sgpr_private_segment_wavefront_offset 0
		.amdhsa_system_sgpr_workgroup_id_x 1
		.amdhsa_system_sgpr_workgroup_id_y 0
		.amdhsa_system_sgpr_workgroup_id_z 0
		.amdhsa_system_sgpr_workgroup_info 0
		.amdhsa_system_vgpr_workitem_id 0
		.amdhsa_next_free_vgpr 1
		.amdhsa_next_free_sgpr 0
		.amdhsa_reserve_vcc 0
		.amdhsa_reserve_flat_scratch 0
		.amdhsa_float_round_mode_32 0
		.amdhsa_float_round_mode_16_64 0
		.amdhsa_float_denorm_mode_32 3
		.amdhsa_float_denorm_mode_16_64 3
		.amdhsa_dx10_clamp 1
		.amdhsa_ieee_mode 1
		.amdhsa_fp16_overflow 0
		.amdhsa_exception_fp_ieee_invalid_op 0
		.amdhsa_exception_fp_denorm_src 0
		.amdhsa_exception_fp_ieee_div_zero 0
		.amdhsa_exception_fp_ieee_overflow 0
		.amdhsa_exception_fp_ieee_underflow 0
		.amdhsa_exception_fp_ieee_inexact 0
		.amdhsa_exception_int_div_zero 0
	.end_amdhsa_kernel
	.section	.text._ZN7rocprim17ROCPRIM_400000_NS6detail17trampoline_kernelINS0_14default_configENS1_22reduce_config_selectorIiEEZNS1_11reduce_implILb1ES3_N6thrust23THRUST_200600_302600_NS11hip_rocprim35transform_pair_of_input_iterators_tIiPsSB_NS8_12not_equal_toIsEEEEPiiNS8_4plusIiEEEE10hipError_tPvRmT1_T2_T3_mT4_P12ihipStream_tbEUlT_E1_NS1_11comp_targetILNS1_3genE3ELNS1_11target_archE908ELNS1_3gpuE7ELNS1_3repE0EEENS1_30default_config_static_selectorELNS0_4arch9wavefront6targetE1EEEvSL_,"axG",@progbits,_ZN7rocprim17ROCPRIM_400000_NS6detail17trampoline_kernelINS0_14default_configENS1_22reduce_config_selectorIiEEZNS1_11reduce_implILb1ES3_N6thrust23THRUST_200600_302600_NS11hip_rocprim35transform_pair_of_input_iterators_tIiPsSB_NS8_12not_equal_toIsEEEEPiiNS8_4plusIiEEEE10hipError_tPvRmT1_T2_T3_mT4_P12ihipStream_tbEUlT_E1_NS1_11comp_targetILNS1_3genE3ELNS1_11target_archE908ELNS1_3gpuE7ELNS1_3repE0EEENS1_30default_config_static_selectorELNS0_4arch9wavefront6targetE1EEEvSL_,comdat
.Lfunc_end1464:
	.size	_ZN7rocprim17ROCPRIM_400000_NS6detail17trampoline_kernelINS0_14default_configENS1_22reduce_config_selectorIiEEZNS1_11reduce_implILb1ES3_N6thrust23THRUST_200600_302600_NS11hip_rocprim35transform_pair_of_input_iterators_tIiPsSB_NS8_12not_equal_toIsEEEEPiiNS8_4plusIiEEEE10hipError_tPvRmT1_T2_T3_mT4_P12ihipStream_tbEUlT_E1_NS1_11comp_targetILNS1_3genE3ELNS1_11target_archE908ELNS1_3gpuE7ELNS1_3repE0EEENS1_30default_config_static_selectorELNS0_4arch9wavefront6targetE1EEEvSL_, .Lfunc_end1464-_ZN7rocprim17ROCPRIM_400000_NS6detail17trampoline_kernelINS0_14default_configENS1_22reduce_config_selectorIiEEZNS1_11reduce_implILb1ES3_N6thrust23THRUST_200600_302600_NS11hip_rocprim35transform_pair_of_input_iterators_tIiPsSB_NS8_12not_equal_toIsEEEEPiiNS8_4plusIiEEEE10hipError_tPvRmT1_T2_T3_mT4_P12ihipStream_tbEUlT_E1_NS1_11comp_targetILNS1_3genE3ELNS1_11target_archE908ELNS1_3gpuE7ELNS1_3repE0EEENS1_30default_config_static_selectorELNS0_4arch9wavefront6targetE1EEEvSL_
                                        ; -- End function
	.set _ZN7rocprim17ROCPRIM_400000_NS6detail17trampoline_kernelINS0_14default_configENS1_22reduce_config_selectorIiEEZNS1_11reduce_implILb1ES3_N6thrust23THRUST_200600_302600_NS11hip_rocprim35transform_pair_of_input_iterators_tIiPsSB_NS8_12not_equal_toIsEEEEPiiNS8_4plusIiEEEE10hipError_tPvRmT1_T2_T3_mT4_P12ihipStream_tbEUlT_E1_NS1_11comp_targetILNS1_3genE3ELNS1_11target_archE908ELNS1_3gpuE7ELNS1_3repE0EEENS1_30default_config_static_selectorELNS0_4arch9wavefront6targetE1EEEvSL_.num_vgpr, 0
	.set _ZN7rocprim17ROCPRIM_400000_NS6detail17trampoline_kernelINS0_14default_configENS1_22reduce_config_selectorIiEEZNS1_11reduce_implILb1ES3_N6thrust23THRUST_200600_302600_NS11hip_rocprim35transform_pair_of_input_iterators_tIiPsSB_NS8_12not_equal_toIsEEEEPiiNS8_4plusIiEEEE10hipError_tPvRmT1_T2_T3_mT4_P12ihipStream_tbEUlT_E1_NS1_11comp_targetILNS1_3genE3ELNS1_11target_archE908ELNS1_3gpuE7ELNS1_3repE0EEENS1_30default_config_static_selectorELNS0_4arch9wavefront6targetE1EEEvSL_.num_agpr, 0
	.set _ZN7rocprim17ROCPRIM_400000_NS6detail17trampoline_kernelINS0_14default_configENS1_22reduce_config_selectorIiEEZNS1_11reduce_implILb1ES3_N6thrust23THRUST_200600_302600_NS11hip_rocprim35transform_pair_of_input_iterators_tIiPsSB_NS8_12not_equal_toIsEEEEPiiNS8_4plusIiEEEE10hipError_tPvRmT1_T2_T3_mT4_P12ihipStream_tbEUlT_E1_NS1_11comp_targetILNS1_3genE3ELNS1_11target_archE908ELNS1_3gpuE7ELNS1_3repE0EEENS1_30default_config_static_selectorELNS0_4arch9wavefront6targetE1EEEvSL_.numbered_sgpr, 0
	.set _ZN7rocprim17ROCPRIM_400000_NS6detail17trampoline_kernelINS0_14default_configENS1_22reduce_config_selectorIiEEZNS1_11reduce_implILb1ES3_N6thrust23THRUST_200600_302600_NS11hip_rocprim35transform_pair_of_input_iterators_tIiPsSB_NS8_12not_equal_toIsEEEEPiiNS8_4plusIiEEEE10hipError_tPvRmT1_T2_T3_mT4_P12ihipStream_tbEUlT_E1_NS1_11comp_targetILNS1_3genE3ELNS1_11target_archE908ELNS1_3gpuE7ELNS1_3repE0EEENS1_30default_config_static_selectorELNS0_4arch9wavefront6targetE1EEEvSL_.num_named_barrier, 0
	.set _ZN7rocprim17ROCPRIM_400000_NS6detail17trampoline_kernelINS0_14default_configENS1_22reduce_config_selectorIiEEZNS1_11reduce_implILb1ES3_N6thrust23THRUST_200600_302600_NS11hip_rocprim35transform_pair_of_input_iterators_tIiPsSB_NS8_12not_equal_toIsEEEEPiiNS8_4plusIiEEEE10hipError_tPvRmT1_T2_T3_mT4_P12ihipStream_tbEUlT_E1_NS1_11comp_targetILNS1_3genE3ELNS1_11target_archE908ELNS1_3gpuE7ELNS1_3repE0EEENS1_30default_config_static_selectorELNS0_4arch9wavefront6targetE1EEEvSL_.private_seg_size, 0
	.set _ZN7rocprim17ROCPRIM_400000_NS6detail17trampoline_kernelINS0_14default_configENS1_22reduce_config_selectorIiEEZNS1_11reduce_implILb1ES3_N6thrust23THRUST_200600_302600_NS11hip_rocprim35transform_pair_of_input_iterators_tIiPsSB_NS8_12not_equal_toIsEEEEPiiNS8_4plusIiEEEE10hipError_tPvRmT1_T2_T3_mT4_P12ihipStream_tbEUlT_E1_NS1_11comp_targetILNS1_3genE3ELNS1_11target_archE908ELNS1_3gpuE7ELNS1_3repE0EEENS1_30default_config_static_selectorELNS0_4arch9wavefront6targetE1EEEvSL_.uses_vcc, 0
	.set _ZN7rocprim17ROCPRIM_400000_NS6detail17trampoline_kernelINS0_14default_configENS1_22reduce_config_selectorIiEEZNS1_11reduce_implILb1ES3_N6thrust23THRUST_200600_302600_NS11hip_rocprim35transform_pair_of_input_iterators_tIiPsSB_NS8_12not_equal_toIsEEEEPiiNS8_4plusIiEEEE10hipError_tPvRmT1_T2_T3_mT4_P12ihipStream_tbEUlT_E1_NS1_11comp_targetILNS1_3genE3ELNS1_11target_archE908ELNS1_3gpuE7ELNS1_3repE0EEENS1_30default_config_static_selectorELNS0_4arch9wavefront6targetE1EEEvSL_.uses_flat_scratch, 0
	.set _ZN7rocprim17ROCPRIM_400000_NS6detail17trampoline_kernelINS0_14default_configENS1_22reduce_config_selectorIiEEZNS1_11reduce_implILb1ES3_N6thrust23THRUST_200600_302600_NS11hip_rocprim35transform_pair_of_input_iterators_tIiPsSB_NS8_12not_equal_toIsEEEEPiiNS8_4plusIiEEEE10hipError_tPvRmT1_T2_T3_mT4_P12ihipStream_tbEUlT_E1_NS1_11comp_targetILNS1_3genE3ELNS1_11target_archE908ELNS1_3gpuE7ELNS1_3repE0EEENS1_30default_config_static_selectorELNS0_4arch9wavefront6targetE1EEEvSL_.has_dyn_sized_stack, 0
	.set _ZN7rocprim17ROCPRIM_400000_NS6detail17trampoline_kernelINS0_14default_configENS1_22reduce_config_selectorIiEEZNS1_11reduce_implILb1ES3_N6thrust23THRUST_200600_302600_NS11hip_rocprim35transform_pair_of_input_iterators_tIiPsSB_NS8_12not_equal_toIsEEEEPiiNS8_4plusIiEEEE10hipError_tPvRmT1_T2_T3_mT4_P12ihipStream_tbEUlT_E1_NS1_11comp_targetILNS1_3genE3ELNS1_11target_archE908ELNS1_3gpuE7ELNS1_3repE0EEENS1_30default_config_static_selectorELNS0_4arch9wavefront6targetE1EEEvSL_.has_recursion, 0
	.set _ZN7rocprim17ROCPRIM_400000_NS6detail17trampoline_kernelINS0_14default_configENS1_22reduce_config_selectorIiEEZNS1_11reduce_implILb1ES3_N6thrust23THRUST_200600_302600_NS11hip_rocprim35transform_pair_of_input_iterators_tIiPsSB_NS8_12not_equal_toIsEEEEPiiNS8_4plusIiEEEE10hipError_tPvRmT1_T2_T3_mT4_P12ihipStream_tbEUlT_E1_NS1_11comp_targetILNS1_3genE3ELNS1_11target_archE908ELNS1_3gpuE7ELNS1_3repE0EEENS1_30default_config_static_selectorELNS0_4arch9wavefront6targetE1EEEvSL_.has_indirect_call, 0
	.section	.AMDGPU.csdata,"",@progbits
; Kernel info:
; codeLenInByte = 0
; TotalNumSgprs: 4
; NumVgprs: 0
; ScratchSize: 0
; MemoryBound: 0
; FloatMode: 240
; IeeeMode: 1
; LDSByteSize: 0 bytes/workgroup (compile time only)
; SGPRBlocks: 0
; VGPRBlocks: 0
; NumSGPRsForWavesPerEU: 4
; NumVGPRsForWavesPerEU: 1
; Occupancy: 10
; WaveLimiterHint : 0
; COMPUTE_PGM_RSRC2:SCRATCH_EN: 0
; COMPUTE_PGM_RSRC2:USER_SGPR: 6
; COMPUTE_PGM_RSRC2:TRAP_HANDLER: 0
; COMPUTE_PGM_RSRC2:TGID_X_EN: 1
; COMPUTE_PGM_RSRC2:TGID_Y_EN: 0
; COMPUTE_PGM_RSRC2:TGID_Z_EN: 0
; COMPUTE_PGM_RSRC2:TIDIG_COMP_CNT: 0
	.section	.text._ZN7rocprim17ROCPRIM_400000_NS6detail17trampoline_kernelINS0_14default_configENS1_22reduce_config_selectorIiEEZNS1_11reduce_implILb1ES3_N6thrust23THRUST_200600_302600_NS11hip_rocprim35transform_pair_of_input_iterators_tIiPsSB_NS8_12not_equal_toIsEEEEPiiNS8_4plusIiEEEE10hipError_tPvRmT1_T2_T3_mT4_P12ihipStream_tbEUlT_E1_NS1_11comp_targetILNS1_3genE2ELNS1_11target_archE906ELNS1_3gpuE6ELNS1_3repE0EEENS1_30default_config_static_selectorELNS0_4arch9wavefront6targetE1EEEvSL_,"axG",@progbits,_ZN7rocprim17ROCPRIM_400000_NS6detail17trampoline_kernelINS0_14default_configENS1_22reduce_config_selectorIiEEZNS1_11reduce_implILb1ES3_N6thrust23THRUST_200600_302600_NS11hip_rocprim35transform_pair_of_input_iterators_tIiPsSB_NS8_12not_equal_toIsEEEEPiiNS8_4plusIiEEEE10hipError_tPvRmT1_T2_T3_mT4_P12ihipStream_tbEUlT_E1_NS1_11comp_targetILNS1_3genE2ELNS1_11target_archE906ELNS1_3gpuE6ELNS1_3repE0EEENS1_30default_config_static_selectorELNS0_4arch9wavefront6targetE1EEEvSL_,comdat
	.protected	_ZN7rocprim17ROCPRIM_400000_NS6detail17trampoline_kernelINS0_14default_configENS1_22reduce_config_selectorIiEEZNS1_11reduce_implILb1ES3_N6thrust23THRUST_200600_302600_NS11hip_rocprim35transform_pair_of_input_iterators_tIiPsSB_NS8_12not_equal_toIsEEEEPiiNS8_4plusIiEEEE10hipError_tPvRmT1_T2_T3_mT4_P12ihipStream_tbEUlT_E1_NS1_11comp_targetILNS1_3genE2ELNS1_11target_archE906ELNS1_3gpuE6ELNS1_3repE0EEENS1_30default_config_static_selectorELNS0_4arch9wavefront6targetE1EEEvSL_ ; -- Begin function _ZN7rocprim17ROCPRIM_400000_NS6detail17trampoline_kernelINS0_14default_configENS1_22reduce_config_selectorIiEEZNS1_11reduce_implILb1ES3_N6thrust23THRUST_200600_302600_NS11hip_rocprim35transform_pair_of_input_iterators_tIiPsSB_NS8_12not_equal_toIsEEEEPiiNS8_4plusIiEEEE10hipError_tPvRmT1_T2_T3_mT4_P12ihipStream_tbEUlT_E1_NS1_11comp_targetILNS1_3genE2ELNS1_11target_archE906ELNS1_3gpuE6ELNS1_3repE0EEENS1_30default_config_static_selectorELNS0_4arch9wavefront6targetE1EEEvSL_
	.globl	_ZN7rocprim17ROCPRIM_400000_NS6detail17trampoline_kernelINS0_14default_configENS1_22reduce_config_selectorIiEEZNS1_11reduce_implILb1ES3_N6thrust23THRUST_200600_302600_NS11hip_rocprim35transform_pair_of_input_iterators_tIiPsSB_NS8_12not_equal_toIsEEEEPiiNS8_4plusIiEEEE10hipError_tPvRmT1_T2_T3_mT4_P12ihipStream_tbEUlT_E1_NS1_11comp_targetILNS1_3genE2ELNS1_11target_archE906ELNS1_3gpuE6ELNS1_3repE0EEENS1_30default_config_static_selectorELNS0_4arch9wavefront6targetE1EEEvSL_
	.p2align	8
	.type	_ZN7rocprim17ROCPRIM_400000_NS6detail17trampoline_kernelINS0_14default_configENS1_22reduce_config_selectorIiEEZNS1_11reduce_implILb1ES3_N6thrust23THRUST_200600_302600_NS11hip_rocprim35transform_pair_of_input_iterators_tIiPsSB_NS8_12not_equal_toIsEEEEPiiNS8_4plusIiEEEE10hipError_tPvRmT1_T2_T3_mT4_P12ihipStream_tbEUlT_E1_NS1_11comp_targetILNS1_3genE2ELNS1_11target_archE906ELNS1_3gpuE6ELNS1_3repE0EEENS1_30default_config_static_selectorELNS0_4arch9wavefront6targetE1EEEvSL_,@function
_ZN7rocprim17ROCPRIM_400000_NS6detail17trampoline_kernelINS0_14default_configENS1_22reduce_config_selectorIiEEZNS1_11reduce_implILb1ES3_N6thrust23THRUST_200600_302600_NS11hip_rocprim35transform_pair_of_input_iterators_tIiPsSB_NS8_12not_equal_toIsEEEEPiiNS8_4plusIiEEEE10hipError_tPvRmT1_T2_T3_mT4_P12ihipStream_tbEUlT_E1_NS1_11comp_targetILNS1_3genE2ELNS1_11target_archE906ELNS1_3gpuE6ELNS1_3repE0EEENS1_30default_config_static_selectorELNS0_4arch9wavefront6targetE1EEEvSL_: ; @_ZN7rocprim17ROCPRIM_400000_NS6detail17trampoline_kernelINS0_14default_configENS1_22reduce_config_selectorIiEEZNS1_11reduce_implILb1ES3_N6thrust23THRUST_200600_302600_NS11hip_rocprim35transform_pair_of_input_iterators_tIiPsSB_NS8_12not_equal_toIsEEEEPiiNS8_4plusIiEEEE10hipError_tPvRmT1_T2_T3_mT4_P12ihipStream_tbEUlT_E1_NS1_11comp_targetILNS1_3genE2ELNS1_11target_archE906ELNS1_3gpuE6ELNS1_3repE0EEENS1_30default_config_static_selectorELNS0_4arch9wavefront6targetE1EEEvSL_
; %bb.0:
	s_load_dword s33, s[4:5], 0x4
	s_load_dwordx4 s[40:43], s[4:5], 0x8
	s_load_dwordx4 s[36:39], s[4:5], 0x20
	s_waitcnt lgkmcnt(0)
	s_cmp_lt_i32 s33, 8
	s_cbranch_scc1 .LBB1465_11
; %bb.1:
	s_cmp_gt_i32 s33, 15
	s_cbranch_scc0 .LBB1465_12
; %bb.2:
	s_cmp_gt_i32 s33, 31
	s_cbranch_scc0 .LBB1465_13
; %bb.3:
	s_cmp_eq_u32 s33, 32
	s_mov_b64 s[44:45], 0
	s_cbranch_scc0 .LBB1465_14
; %bb.4:
	s_mov_b32 s7, 0
	s_lshl_b32 s50, s6, 13
	s_mov_b32 s51, s7
	s_lshr_b64 s[0:1], s[36:37], 13
	s_lshl_b64 s[2:3], s[50:51], 1
	s_add_u32 s46, s40, s2
	s_addc_u32 s47, s41, s3
	s_add_u32 s48, s42, s2
	s_addc_u32 s49, s43, s3
	s_cmp_lg_u64 s[0:1], s[6:7]
	s_cbranch_scc0 .LBB1465_23
; %bb.5:
	v_lshlrev_b32_e32 v1, 1, v0
	v_add_co_u32_e32 v9, vcc, s46, v1
	v_mov_b32_e32 v2, s47
	v_addc_co_u32_e32 v10, vcc, 0, v2, vcc
	v_add_co_u32_e32 v11, vcc, s48, v1
	v_mov_b32_e32 v2, s49
	v_addc_co_u32_e32 v12, vcc, 0, v2, vcc
	global_load_ushort v2, v1, s[46:47]
	global_load_ushort v3, v1, s[48:49]
	s_movk_i32 s2, 0x1000
	s_movk_i32 s3, 0x2000
	;; [unrolled: 1-line block ×3, first 2 shown]
	s_waitcnt vmcnt(0)
	v_cmp_ne_u16_e32 vcc, v2, v3
	global_load_ushort v2, v1, s[46:47] offset:512
	global_load_ushort v3, v1, s[48:49] offset:512
	v_cndmask_b32_e64 v13, 0, 1, vcc
	s_waitcnt vmcnt(0)
	v_cmp_ne_u16_e32 vcc, v2, v3
	global_load_ushort v2, v1, s[46:47] offset:1024
	global_load_ushort v3, v1, s[48:49] offset:1024
	s_waitcnt vmcnt(0)
	v_cmp_ne_u16_e64 s[0:1], v2, v3
	global_load_ushort v2, v1, s[46:47] offset:1536
	global_load_ushort v3, v1, s[48:49] offset:1536
	v_cndmask_b32_e64 v14, 0, 1, s[0:1]
	s_waitcnt vmcnt(0)
	v_cmp_ne_u16_e64 s[14:15], v2, v3
	global_load_ushort v2, v1, s[46:47] offset:2048
	global_load_ushort v3, v1, s[48:49] offset:2048
	s_waitcnt vmcnt(0)
	v_cmp_ne_u16_e64 s[0:1], v2, v3
	global_load_ushort v2, v1, s[46:47] offset:2560
	global_load_ushort v3, v1, s[48:49] offset:2560
	v_cndmask_b32_e64 v15, 0, 1, s[0:1]
	s_waitcnt vmcnt(0)
	v_cmp_ne_u16_e64 s[8:9], v2, v3
	global_load_ushort v2, v1, s[46:47] offset:3072
	global_load_ushort v3, v1, s[48:49] offset:3072
	s_waitcnt vmcnt(0)
	v_cmp_ne_u16_e64 s[0:1], v2, v3
	global_load_ushort v2, v1, s[46:47] offset:3584
	global_load_ushort v3, v1, s[48:49] offset:3584
	v_cndmask_b32_e64 v16, 0, 1, s[0:1]
	v_add_co_u32_e64 v1, s[0:1], s2, v9
	s_waitcnt vmcnt(0)
	v_cmp_ne_u16_e64 s[10:11], v2, v3
	v_addc_co_u32_e64 v2, s[0:1], 0, v10, s[0:1]
	v_add_co_u32_e64 v3, s[0:1], s3, v9
	v_addc_co_u32_e64 v4, s[0:1], 0, v10, s[0:1]
	v_add_co_u32_e64 v5, s[0:1], s2, v11
	;; [unrolled: 2-line block ×3, first 2 shown]
	v_addc_co_u32_e64 v8, s[0:1], 0, v12, s[0:1]
	global_load_ushort v17, v[3:4], off offset:-4096
	global_load_ushort v18, v[7:8], off offset:-4096
	s_waitcnt vmcnt(0)
	v_cmp_ne_u16_e64 s[0:1], v17, v18
	global_load_ushort v18, v[1:2], off offset:512
	global_load_ushort v19, v[5:6], off offset:512
	v_cndmask_b32_e64 v17, 0, 1, s[0:1]
	s_waitcnt vmcnt(0)
	v_cmp_ne_u16_e64 s[16:17], v18, v19
	global_load_ushort v18, v[1:2], off offset:1024
	global_load_ushort v19, v[5:6], off offset:1024
	s_waitcnt vmcnt(0)
	v_cmp_ne_u16_e64 s[0:1], v18, v19
	global_load_ushort v19, v[1:2], off offset:1536
	global_load_ushort v20, v[5:6], off offset:1536
	v_cndmask_b32_e64 v18, 0, 1, s[0:1]
	s_waitcnt vmcnt(0)
	v_cmp_ne_u16_e64 s[0:1], v19, v20
	global_load_ushort v19, v[1:2], off offset:2048
	global_load_ushort v20, v[5:6], off offset:2048
	;; [unrolled: 9-line block ×3, first 2 shown]
	s_waitcnt vmcnt(0)
	v_cmp_ne_u16_e64 s[12:13], v20, v21
	global_load_ushort v21, v[1:2], off offset:3584
	global_load_ushort v22, v[5:6], off offset:3584
	s_nop 0
	global_load_ushort v1, v[3:4], off
	global_load_ushort v2, v[7:8], off
	v_cndmask_b32_e64 v20, 0, 1, s[12:13]
	s_waitcnt vmcnt(2)
	v_cmp_ne_u16_e64 s[12:13], v21, v22
	s_waitcnt vmcnt(0)
	v_cmp_ne_u16_e64 s[18:19], v1, v2
	global_load_ushort v1, v[3:4], off offset:512
	global_load_ushort v2, v[7:8], off offset:512
	v_cndmask_b32_e64 v5, 0, 1, s[18:19]
	s_waitcnt vmcnt(0)
	v_cmp_ne_u16_e64 s[18:19], v1, v2
	global_load_ushort v1, v[3:4], off offset:1024
	global_load_ushort v2, v[7:8], off offset:1024
	s_waitcnt vmcnt(0)
	v_cmp_ne_u16_e64 s[20:21], v1, v2
	global_load_ushort v1, v[3:4], off offset:1536
	global_load_ushort v2, v[7:8], off offset:1536
	v_cndmask_b32_e64 v6, 0, 1, s[20:21]
	s_waitcnt vmcnt(0)
	v_cmp_ne_u16_e64 s[20:21], v1, v2
	global_load_ushort v1, v[3:4], off offset:2048
	global_load_ushort v2, v[7:8], off offset:2048
	s_waitcnt vmcnt(0)
	v_cmp_ne_u16_e64 s[22:23], v1, v2
	global_load_ushort v1, v[3:4], off offset:2560
	global_load_ushort v2, v[7:8], off offset:2560
	v_cndmask_b32_e64 v21, 0, 1, s[22:23]
	s_waitcnt vmcnt(0)
	v_cmp_ne_u16_e64 s[22:23], v1, v2
	global_load_ushort v1, v[3:4], off offset:3072
	global_load_ushort v2, v[7:8], off offset:3072
	s_waitcnt vmcnt(0)
	v_cmp_ne_u16_e64 s[24:25], v1, v2
	global_load_ushort v1, v[3:4], off offset:3584
	global_load_ushort v2, v[7:8], off offset:3584
	v_cndmask_b32_e64 v22, 0, 1, s[24:25]
	s_waitcnt vmcnt(0)
	v_cmp_ne_u16_e64 s[24:25], v1, v2
	v_add_co_u32_e64 v1, s[26:27], s28, v9
	v_addc_co_u32_e64 v2, s[26:27], 0, v10, s[26:27]
	v_add_co_u32_e64 v3, s[26:27], s28, v11
	v_addc_co_u32_e64 v4, s[26:27], 0, v12, s[26:27]
	global_load_ushort v7, v[1:2], off
	global_load_ushort v8, v[3:4], off
	s_waitcnt vmcnt(0)
	v_cmp_ne_u16_e64 s[26:27], v7, v8
	global_load_ushort v8, v[1:2], off offset:512
	global_load_ushort v9, v[3:4], off offset:512
	v_cndmask_b32_e64 v7, 0, 1, s[26:27]
	s_waitcnt vmcnt(0)
	v_cmp_ne_u16_e64 s[26:27], v8, v9
	global_load_ushort v8, v[1:2], off offset:1024
	global_load_ushort v9, v[3:4], off offset:1024
	s_waitcnt vmcnt(0)
	v_cmp_ne_u16_e64 s[28:29], v8, v9
	global_load_ushort v9, v[1:2], off offset:1536
	global_load_ushort v10, v[3:4], off offset:1536
	v_cndmask_b32_e64 v8, 0, 1, s[28:29]
	s_waitcnt vmcnt(0)
	v_cmp_ne_u16_e64 s[28:29], v9, v10
	global_load_ushort v9, v[1:2], off offset:2048
	global_load_ushort v10, v[3:4], off offset:2048
	;; [unrolled: 9-line block ×3, first 2 shown]
	s_nop 0
	global_load_ushort v1, v[1:2], off offset:3584
	s_nop 0
	global_load_ushort v2, v[3:4], off offset:3584
	s_waitcnt vmcnt(2)
	v_cmp_ne_u16_e64 s[34:35], v10, v11
	v_cndmask_b32_e64 v10, 0, 1, s[34:35]
	s_waitcnt vmcnt(0)
	v_cmp_ne_u16_e64 s[34:35], v1, v2
	v_addc_co_u32_e32 v1, vcc, 0, v13, vcc
	v_addc_co_u32_e64 v1, vcc, v1, v14, s[14:15]
	v_addc_co_u32_e64 v1, vcc, v1, v15, s[8:9]
	;; [unrolled: 1-line block ×15, first 2 shown]
	v_mbcnt_lo_u32_b32 v2, -1, 0
	s_nop 0
	v_add_u32_dpp v1, v1, v1 quad_perm:[1,0,3,2] row_mask:0xf bank_mask:0xf bound_ctrl:1
	v_mbcnt_hi_u32_b32 v2, -1, v2
	v_lshlrev_b32_e32 v3, 2, v2
	v_add_u32_dpp v1, v1, v1 quad_perm:[2,3,0,1] row_mask:0xf bank_mask:0xf bound_ctrl:1
	v_or_b32_e32 v4, 0xfc, v3
	v_cmp_eq_u32_e32 vcc, 0, v2
	v_add_u32_dpp v1, v1, v1 row_ror:4 row_mask:0xf bank_mask:0xf bound_ctrl:1
	s_nop 1
	v_add_u32_dpp v1, v1, v1 row_ror:8 row_mask:0xf bank_mask:0xf bound_ctrl:1
	s_nop 1
	v_add_u32_dpp v1, v1, v1 row_bcast:15 row_mask:0xf bank_mask:0xf bound_ctrl:1
	s_nop 1
	v_add_u32_dpp v1, v1, v1 row_bcast:31 row_mask:0xf bank_mask:0xf bound_ctrl:1
	ds_bpermute_b32 v1, v4, v1
	s_and_saveexec_b64 s[0:1], vcc
	s_cbranch_execz .LBB1465_7
; %bb.6:
	v_lshrrev_b32_e32 v4, 4, v0
	v_and_b32_e32 v4, 12, v4
	s_waitcnt lgkmcnt(0)
	ds_write_b32 v4, v1 offset:48
.LBB1465_7:
	s_or_b64 exec, exec, s[0:1]
	v_cmp_gt_u32_e32 vcc, 64, v0
	s_waitcnt lgkmcnt(0)
	s_barrier
	s_and_saveexec_b64 s[0:1], vcc
	s_cbranch_execz .LBB1465_9
; %bb.8:
	v_and_b32_e32 v1, 3, v2
	v_lshlrev_b32_e32 v4, 2, v1
	ds_read_b32 v4, v4 offset:48
	v_cmp_ne_u32_e32 vcc, 3, v1
	v_addc_co_u32_e32 v1, vcc, 0, v2, vcc
	v_lshlrev_b32_e32 v1, 2, v1
	s_waitcnt lgkmcnt(0)
	ds_bpermute_b32 v1, v1, v4
	v_or_b32_e32 v2, 8, v3
	s_waitcnt lgkmcnt(0)
	v_add_u32_e32 v1, v1, v4
	ds_bpermute_b32 v2, v2, v1
	s_waitcnt lgkmcnt(0)
	v_add_u32_e32 v1, v2, v1
.LBB1465_9:
	s_or_b64 exec, exec, s[0:1]
.LBB1465_10:
	v_cmp_eq_u32_e64 s[0:1], 0, v0
	s_and_b64 vcc, exec, s[44:45]
	s_cbranch_vccnz .LBB1465_15
	s_branch .LBB1465_93
.LBB1465_11:
	s_mov_b64 s[0:1], 0
                                        ; implicit-def: $vgpr1
	s_cbranch_execnz .LBB1465_166
	s_branch .LBB1465_224
.LBB1465_12:
	s_mov_b64 s[0:1], 0
                                        ; implicit-def: $vgpr1
	s_cbranch_execnz .LBB1465_134
	s_branch .LBB1465_142
.LBB1465_13:
	s_mov_b64 s[44:45], -1
.LBB1465_14:
	s_mov_b64 s[0:1], 0
                                        ; implicit-def: $vgpr1
	s_and_b64 vcc, exec, s[44:45]
	s_cbranch_vccz .LBB1465_93
.LBB1465_15:
	s_cmp_eq_u32 s33, 16
	s_cbranch_scc0 .LBB1465_22
; %bb.16:
	s_mov_b32 s7, 0
	s_lshl_b32 s0, s6, 12
	s_mov_b32 s1, s7
	s_lshr_b64 s[2:3], s[36:37], 12
	s_lshl_b64 s[8:9], s[0:1], 1
	s_add_u32 s34, s40, s8
	s_addc_u32 s35, s41, s9
	s_add_u32 s44, s42, s8
	s_addc_u32 s45, s43, s9
	s_cmp_lg_u64 s[2:3], s[6:7]
	s_cbranch_scc0 .LBB1465_94
; %bb.17:
	v_lshlrev_b32_e32 v5, 1, v0
	global_load_ushort v6, v5, s[34:35]
	global_load_ushort v7, v5, s[44:45]
	v_mov_b32_e32 v1, s35
	v_add_co_u32_e32 v3, vcc, s34, v5
	global_load_ushort v10, v5, s[44:45] offset:512
	global_load_ushort v11, v5, s[44:45] offset:1024
	;; [unrolled: 1-line block ×11, first 2 shown]
	v_addc_co_u32_e32 v4, vcc, 0, v1, vcc
	v_mov_b32_e32 v2, s45
	v_add_co_u32_e32 v8, vcc, s44, v5
	s_movk_i32 s1, 0x1000
	v_addc_co_u32_e32 v9, vcc, 0, v2, vcc
	v_add_co_u32_e32 v1, vcc, s1, v3
	v_addc_co_u32_e32 v2, vcc, 0, v4, vcc
	v_add_co_u32_e32 v3, vcc, s1, v8
	v_addc_co_u32_e32 v4, vcc, 0, v9, vcc
	global_load_ushort v8, v[3:4], off
	global_load_ushort v9, v[3:4], off offset:1024
	global_load_ushort v21, v[1:2], off
	global_load_ushort v22, v[1:2], off offset:1024
	global_load_ushort v23, v[1:2], off offset:2048
	;; [unrolled: 1-line block ×5, first 2 shown]
	global_load_ushort v27, v5, s[44:45] offset:3584
	global_load_ushort v28, v5, s[44:45] offset:2560
	;; [unrolled: 1-line block ×3, first 2 shown]
	global_load_ushort v30, v[1:2], off offset:3584
	global_load_ushort v31, v[1:2], off offset:2560
	;; [unrolled: 1-line block ×4, first 2 shown]
	s_waitcnt vmcnt(26)
	v_cmp_ne_u16_e32 vcc, v6, v7
	global_load_ushort v1, v[3:4], off offset:3584
	global_load_ushort v2, v[3:4], off offset:2560
	;; [unrolled: 1-line block ×4, first 2 shown]
	v_cndmask_b32_e64 v3, 0, 1, vcc
	s_waitcnt vmcnt(24)
	v_cmp_ne_u16_e32 vcc, v15, v11
	v_cndmask_b32_e64 v4, 0, 1, vcc
	s_waitcnt vmcnt(23)
	v_cmp_ne_u16_e32 vcc, v16, v12
	;; [unrolled: 3-line block ×3, first 2 shown]
	v_cndmask_b32_e64 v11, 0, 1, vcc
	v_cmp_ne_u16_e32 vcc, v14, v10
	v_addc_co_u32_e32 v3, vcc, 0, v3, vcc
	s_waitcnt vmcnt(16)
	v_cmp_ne_u16_e32 vcc, v21, v8
	v_cndmask_b32_e64 v8, 0, 1, vcc
	s_waitcnt vmcnt(15)
	v_cmp_ne_u16_e32 vcc, v22, v9
	v_cndmask_b32_e64 v9, 0, 1, vcc
	;; [unrolled: 3-line block ×4, first 2 shown]
	s_waitcnt vmcnt(8)
	v_cmp_ne_u16_e32 vcc, v20, v29
	v_addc_co_u32_e32 v3, vcc, v3, v4, vcc
	v_cmp_ne_u16_e32 vcc, v19, v28
	v_addc_co_u32_e32 v3, vcc, v3, v7, vcc
	;; [unrolled: 2-line block ×3, first 2 shown]
	s_waitcnt vmcnt(0)
	v_cmp_ne_u16_e32 vcc, v33, v6
	v_addc_co_u32_e32 v3, vcc, v3, v8, vcc
	v_cmp_ne_u16_e32 vcc, v32, v5
	v_addc_co_u32_e32 v3, vcc, v3, v9, vcc
	;; [unrolled: 2-line block ×4, first 2 shown]
	v_mbcnt_lo_u32_b32 v2, -1, 0
	s_nop 0
	v_add_u32_dpp v1, v1, v1 quad_perm:[1,0,3,2] row_mask:0xf bank_mask:0xf bound_ctrl:1
	v_mbcnt_hi_u32_b32 v2, -1, v2
	v_lshlrev_b32_e32 v3, 2, v2
	v_add_u32_dpp v1, v1, v1 quad_perm:[2,3,0,1] row_mask:0xf bank_mask:0xf bound_ctrl:1
	v_or_b32_e32 v4, 0xfc, v3
	v_cmp_eq_u32_e32 vcc, 0, v2
	v_add_u32_dpp v1, v1, v1 row_ror:4 row_mask:0xf bank_mask:0xf bound_ctrl:1
	s_nop 1
	v_add_u32_dpp v1, v1, v1 row_ror:8 row_mask:0xf bank_mask:0xf bound_ctrl:1
	s_nop 1
	v_add_u32_dpp v1, v1, v1 row_bcast:15 row_mask:0xf bank_mask:0xf bound_ctrl:1
	s_nop 1
	v_add_u32_dpp v1, v1, v1 row_bcast:31 row_mask:0xf bank_mask:0xf bound_ctrl:1
	ds_bpermute_b32 v1, v4, v1
	s_and_saveexec_b64 s[2:3], vcc
	s_cbranch_execz .LBB1465_19
; %bb.18:
	v_lshrrev_b32_e32 v4, 4, v0
	v_and_b32_e32 v4, 12, v4
	s_waitcnt lgkmcnt(0)
	ds_write_b32 v4, v1
.LBB1465_19:
	s_or_b64 exec, exec, s[2:3]
	v_cmp_gt_u32_e32 vcc, 64, v0
	s_waitcnt lgkmcnt(0)
	s_barrier
	s_and_saveexec_b64 s[2:3], vcc
	s_cbranch_execz .LBB1465_21
; %bb.20:
	v_and_b32_e32 v1, 3, v2
	v_lshlrev_b32_e32 v4, 2, v1
	ds_read_b32 v4, v4
	v_cmp_ne_u32_e32 vcc, 3, v1
	v_addc_co_u32_e32 v1, vcc, 0, v2, vcc
	v_lshlrev_b32_e32 v1, 2, v1
	s_waitcnt lgkmcnt(0)
	ds_bpermute_b32 v1, v1, v4
	v_or_b32_e32 v2, 8, v3
	s_waitcnt lgkmcnt(0)
	v_add_u32_e32 v1, v1, v4
	ds_bpermute_b32 v2, v2, v1
	s_waitcnt lgkmcnt(0)
	v_add_u32_e32 v1, v2, v1
.LBB1465_21:
	s_or_b64 exec, exec, s[2:3]
	s_mov_b64 s[2:3], 0
	s_branch .LBB1465_95
.LBB1465_22:
                                        ; implicit-def: $vgpr1
	s_branch .LBB1465_142
.LBB1465_23:
                                        ; implicit-def: $vgpr1
	s_cbranch_execz .LBB1465_10
; %bb.24:
	s_sub_i32 s2, s36, s50
	v_cmp_gt_u32_e32 vcc, s2, v0
                                        ; implicit-def: $vgpr1
	s_and_saveexec_b64 s[0:1], vcc
	s_cbranch_execz .LBB1465_26
; %bb.25:
	v_lshlrev_b32_e32 v1, 1, v0
	global_load_ushort v2, v1, s[46:47]
	global_load_ushort v3, v1, s[48:49]
	s_waitcnt vmcnt(0)
	v_cmp_ne_u16_e32 vcc, v2, v3
	v_cndmask_b32_e64 v1, 0, 1, vcc
.LBB1465_26:
	s_or_b64 exec, exec, s[0:1]
	v_or_b32_e32 v2, 0x100, v0
	v_cmp_gt_u32_e32 vcc, s2, v2
	v_mov_b32_e32 v2, 0
	v_mov_b32_e32 v3, 0
	s_and_saveexec_b64 s[0:1], vcc
	s_cbranch_execz .LBB1465_28
; %bb.27:
	v_lshlrev_b32_e32 v3, 1, v0
	global_load_ushort v4, v3, s[46:47] offset:512
	global_load_ushort v5, v3, s[48:49] offset:512
	s_waitcnt vmcnt(0)
	v_cmp_ne_u16_e32 vcc, v4, v5
	v_cndmask_b32_e64 v3, 0, 1, vcc
.LBB1465_28:
	s_or_b64 exec, exec, s[0:1]
	v_or_b32_e32 v4, 0x200, v0
	v_cmp_gt_u32_e32 vcc, s2, v4
	s_and_saveexec_b64 s[0:1], vcc
	s_cbranch_execz .LBB1465_30
; %bb.29:
	v_lshlrev_b32_e32 v2, 1, v0
	global_load_ushort v4, v2, s[46:47] offset:1024
	global_load_ushort v5, v2, s[48:49] offset:1024
	s_waitcnt vmcnt(0)
	v_cmp_ne_u16_e32 vcc, v4, v5
	v_cndmask_b32_e64 v2, 0, 1, vcc
.LBB1465_30:
	s_or_b64 exec, exec, s[0:1]
	v_or_b32_e32 v4, 0x300, v0
	v_cmp_gt_u32_e32 vcc, s2, v4
	v_mov_b32_e32 v4, 0
	v_mov_b32_e32 v5, 0
	s_and_saveexec_b64 s[0:1], vcc
	s_cbranch_execz .LBB1465_32
; %bb.31:
	v_lshlrev_b32_e32 v5, 1, v0
	global_load_ushort v6, v5, s[46:47] offset:1536
	global_load_ushort v7, v5, s[48:49] offset:1536
	s_waitcnt vmcnt(0)
	v_cmp_ne_u16_e32 vcc, v6, v7
	v_cndmask_b32_e64 v5, 0, 1, vcc
.LBB1465_32:
	s_or_b64 exec, exec, s[0:1]
	v_or_b32_e32 v6, 0x400, v0
	v_cmp_gt_u32_e32 vcc, s2, v6
	s_and_saveexec_b64 s[0:1], vcc
	s_cbranch_execz .LBB1465_34
; %bb.33:
	v_lshlrev_b32_e32 v4, 1, v0
	global_load_ushort v6, v4, s[46:47] offset:2048
	global_load_ushort v7, v4, s[48:49] offset:2048
	s_waitcnt vmcnt(0)
	v_cmp_ne_u16_e32 vcc, v6, v7
	v_cndmask_b32_e64 v4, 0, 1, vcc
.LBB1465_34:
	;; [unrolled: 28-line block ×3, first 2 shown]
	s_or_b64 exec, exec, s[0:1]
	v_or_b32_e32 v8, 0x700, v0
	v_cmp_gt_u32_e32 vcc, s2, v8
	v_mov_b32_e32 v8, 0
	v_mov_b32_e32 v9, 0
	s_and_saveexec_b64 s[0:1], vcc
	s_cbranch_execz .LBB1465_40
; %bb.39:
	v_lshlrev_b32_e32 v9, 1, v0
	global_load_ushort v10, v9, s[46:47] offset:3584
	global_load_ushort v11, v9, s[48:49] offset:3584
	s_waitcnt vmcnt(0)
	v_cmp_ne_u16_e32 vcc, v10, v11
	v_cndmask_b32_e64 v9, 0, 1, vcc
.LBB1465_40:
	s_or_b64 exec, exec, s[0:1]
	v_or_b32_e32 v10, 0x800, v0
	v_cmp_gt_u32_e32 vcc, s2, v10
	s_and_saveexec_b64 s[0:1], vcc
	s_cbranch_execz .LBB1465_42
; %bb.41:
	v_lshlrev_b32_e32 v8, 1, v10
	global_load_ushort v10, v8, s[46:47]
	global_load_ushort v11, v8, s[48:49]
	s_waitcnt vmcnt(0)
	v_cmp_ne_u16_e32 vcc, v10, v11
	v_cndmask_b32_e64 v8, 0, 1, vcc
.LBB1465_42:
	s_or_b64 exec, exec, s[0:1]
	v_or_b32_e32 v12, 0x900, v0
	v_cmp_gt_u32_e32 vcc, s2, v12
	v_mov_b32_e32 v10, 0
	v_mov_b32_e32 v11, 0
	s_and_saveexec_b64 s[0:1], vcc
	s_cbranch_execz .LBB1465_44
; %bb.43:
	v_lshlrev_b32_e32 v11, 1, v12
	global_load_ushort v12, v11, s[46:47]
	global_load_ushort v13, v11, s[48:49]
	s_waitcnt vmcnt(0)
	v_cmp_ne_u16_e32 vcc, v12, v13
	v_cndmask_b32_e64 v11, 0, 1, vcc
.LBB1465_44:
	s_or_b64 exec, exec, s[0:1]
	v_or_b32_e32 v12, 0xa00, v0
	v_cmp_gt_u32_e32 vcc, s2, v12
	s_and_saveexec_b64 s[0:1], vcc
	s_cbranch_execz .LBB1465_46
; %bb.45:
	v_lshlrev_b32_e32 v10, 1, v12
	global_load_ushort v12, v10, s[46:47]
	global_load_ushort v13, v10, s[48:49]
	s_waitcnt vmcnt(0)
	v_cmp_ne_u16_e32 vcc, v12, v13
	v_cndmask_b32_e64 v10, 0, 1, vcc
.LBB1465_46:
	s_or_b64 exec, exec, s[0:1]
	v_or_b32_e32 v14, 0xb00, v0
	v_cmp_gt_u32_e32 vcc, s2, v14
	v_mov_b32_e32 v12, 0
	v_mov_b32_e32 v13, 0
	s_and_saveexec_b64 s[0:1], vcc
	s_cbranch_execz .LBB1465_48
; %bb.47:
	v_lshlrev_b32_e32 v13, 1, v14
	global_load_ushort v14, v13, s[46:47]
	global_load_ushort v15, v13, s[48:49]
	s_waitcnt vmcnt(0)
	v_cmp_ne_u16_e32 vcc, v14, v15
	v_cndmask_b32_e64 v13, 0, 1, vcc
.LBB1465_48:
	s_or_b64 exec, exec, s[0:1]
	v_or_b32_e32 v14, 0xc00, v0
	v_cmp_gt_u32_e32 vcc, s2, v14
	s_and_saveexec_b64 s[0:1], vcc
	s_cbranch_execz .LBB1465_50
; %bb.49:
	v_lshlrev_b32_e32 v12, 1, v14
	global_load_ushort v14, v12, s[46:47]
	global_load_ushort v15, v12, s[48:49]
	s_waitcnt vmcnt(0)
	v_cmp_ne_u16_e32 vcc, v14, v15
	v_cndmask_b32_e64 v12, 0, 1, vcc
.LBB1465_50:
	s_or_b64 exec, exec, s[0:1]
	v_or_b32_e32 v16, 0xd00, v0
	v_cmp_gt_u32_e32 vcc, s2, v16
	v_mov_b32_e32 v14, 0
	v_mov_b32_e32 v15, 0
	s_and_saveexec_b64 s[0:1], vcc
	s_cbranch_execz .LBB1465_52
; %bb.51:
	v_lshlrev_b32_e32 v15, 1, v16
	global_load_ushort v16, v15, s[46:47]
	global_load_ushort v17, v15, s[48:49]
	s_waitcnt vmcnt(0)
	v_cmp_ne_u16_e32 vcc, v16, v17
	v_cndmask_b32_e64 v15, 0, 1, vcc
.LBB1465_52:
	s_or_b64 exec, exec, s[0:1]
	v_or_b32_e32 v16, 0xe00, v0
	v_cmp_gt_u32_e32 vcc, s2, v16
	s_and_saveexec_b64 s[0:1], vcc
	s_cbranch_execz .LBB1465_54
; %bb.53:
	v_lshlrev_b32_e32 v14, 1, v16
	global_load_ushort v16, v14, s[46:47]
	global_load_ushort v17, v14, s[48:49]
	s_waitcnt vmcnt(0)
	v_cmp_ne_u16_e32 vcc, v16, v17
	v_cndmask_b32_e64 v14, 0, 1, vcc
.LBB1465_54:
	s_or_b64 exec, exec, s[0:1]
	v_or_b32_e32 v18, 0xf00, v0
	v_cmp_gt_u32_e32 vcc, s2, v18
	v_mov_b32_e32 v16, 0
	v_mov_b32_e32 v17, 0
	s_and_saveexec_b64 s[0:1], vcc
	s_cbranch_execz .LBB1465_56
; %bb.55:
	v_lshlrev_b32_e32 v17, 1, v18
	global_load_ushort v18, v17, s[46:47]
	global_load_ushort v19, v17, s[48:49]
	s_waitcnt vmcnt(0)
	v_cmp_ne_u16_e32 vcc, v18, v19
	v_cndmask_b32_e64 v17, 0, 1, vcc
.LBB1465_56:
	s_or_b64 exec, exec, s[0:1]
	v_or_b32_e32 v18, 0x1000, v0
	v_cmp_gt_u32_e32 vcc, s2, v18
	s_and_saveexec_b64 s[0:1], vcc
	s_cbranch_execz .LBB1465_58
; %bb.57:
	v_lshlrev_b32_e32 v16, 1, v18
	global_load_ushort v18, v16, s[46:47]
	global_load_ushort v19, v16, s[48:49]
	s_waitcnt vmcnt(0)
	v_cmp_ne_u16_e32 vcc, v18, v19
	v_cndmask_b32_e64 v16, 0, 1, vcc
.LBB1465_58:
	s_or_b64 exec, exec, s[0:1]
	v_or_b32_e32 v20, 0x1100, v0
	v_cmp_gt_u32_e32 vcc, s2, v20
	v_mov_b32_e32 v18, 0
	v_mov_b32_e32 v19, 0
	s_and_saveexec_b64 s[0:1], vcc
	s_cbranch_execz .LBB1465_60
; %bb.59:
	v_lshlrev_b32_e32 v19, 1, v20
	global_load_ushort v20, v19, s[46:47]
	global_load_ushort v21, v19, s[48:49]
	s_waitcnt vmcnt(0)
	v_cmp_ne_u16_e32 vcc, v20, v21
	v_cndmask_b32_e64 v19, 0, 1, vcc
.LBB1465_60:
	s_or_b64 exec, exec, s[0:1]
	v_or_b32_e32 v20, 0x1200, v0
	v_cmp_gt_u32_e32 vcc, s2, v20
	s_and_saveexec_b64 s[0:1], vcc
	s_cbranch_execz .LBB1465_62
; %bb.61:
	v_lshlrev_b32_e32 v18, 1, v20
	global_load_ushort v20, v18, s[46:47]
	global_load_ushort v21, v18, s[48:49]
	s_waitcnt vmcnt(0)
	v_cmp_ne_u16_e32 vcc, v20, v21
	v_cndmask_b32_e64 v18, 0, 1, vcc
.LBB1465_62:
	s_or_b64 exec, exec, s[0:1]
	v_or_b32_e32 v22, 0x1300, v0
	v_cmp_gt_u32_e32 vcc, s2, v22
	v_mov_b32_e32 v20, 0
	v_mov_b32_e32 v21, 0
	s_and_saveexec_b64 s[0:1], vcc
	s_cbranch_execz .LBB1465_64
; %bb.63:
	v_lshlrev_b32_e32 v21, 1, v22
	global_load_ushort v22, v21, s[46:47]
	global_load_ushort v23, v21, s[48:49]
	s_waitcnt vmcnt(0)
	v_cmp_ne_u16_e32 vcc, v22, v23
	v_cndmask_b32_e64 v21, 0, 1, vcc
.LBB1465_64:
	s_or_b64 exec, exec, s[0:1]
	v_or_b32_e32 v22, 0x1400, v0
	v_cmp_gt_u32_e32 vcc, s2, v22
	s_and_saveexec_b64 s[0:1], vcc
	s_cbranch_execz .LBB1465_66
; %bb.65:
	v_lshlrev_b32_e32 v20, 1, v22
	global_load_ushort v22, v20, s[46:47]
	global_load_ushort v23, v20, s[48:49]
	s_waitcnt vmcnt(0)
	v_cmp_ne_u16_e32 vcc, v22, v23
	v_cndmask_b32_e64 v20, 0, 1, vcc
.LBB1465_66:
	s_or_b64 exec, exec, s[0:1]
	v_or_b32_e32 v24, 0x1500, v0
	v_cmp_gt_u32_e32 vcc, s2, v24
	v_mov_b32_e32 v22, 0
	v_mov_b32_e32 v23, 0
	s_and_saveexec_b64 s[0:1], vcc
	s_cbranch_execz .LBB1465_68
; %bb.67:
	v_lshlrev_b32_e32 v23, 1, v24
	global_load_ushort v24, v23, s[46:47]
	global_load_ushort v25, v23, s[48:49]
	s_waitcnt vmcnt(0)
	v_cmp_ne_u16_e32 vcc, v24, v25
	v_cndmask_b32_e64 v23, 0, 1, vcc
.LBB1465_68:
	s_or_b64 exec, exec, s[0:1]
	v_or_b32_e32 v24, 0x1600, v0
	v_cmp_gt_u32_e32 vcc, s2, v24
	s_and_saveexec_b64 s[0:1], vcc
	s_cbranch_execz .LBB1465_70
; %bb.69:
	v_lshlrev_b32_e32 v22, 1, v24
	global_load_ushort v24, v22, s[46:47]
	global_load_ushort v25, v22, s[48:49]
	s_waitcnt vmcnt(0)
	v_cmp_ne_u16_e32 vcc, v24, v25
	v_cndmask_b32_e64 v22, 0, 1, vcc
.LBB1465_70:
	s_or_b64 exec, exec, s[0:1]
	v_or_b32_e32 v26, 0x1700, v0
	v_cmp_gt_u32_e32 vcc, s2, v26
	v_mov_b32_e32 v24, 0
	v_mov_b32_e32 v25, 0
	s_and_saveexec_b64 s[0:1], vcc
	s_cbranch_execz .LBB1465_72
; %bb.71:
	v_lshlrev_b32_e32 v25, 1, v26
	global_load_ushort v26, v25, s[46:47]
	global_load_ushort v27, v25, s[48:49]
	s_waitcnt vmcnt(0)
	v_cmp_ne_u16_e32 vcc, v26, v27
	v_cndmask_b32_e64 v25, 0, 1, vcc
.LBB1465_72:
	s_or_b64 exec, exec, s[0:1]
	v_or_b32_e32 v26, 0x1800, v0
	v_cmp_gt_u32_e32 vcc, s2, v26
	s_and_saveexec_b64 s[0:1], vcc
	s_cbranch_execz .LBB1465_74
; %bb.73:
	v_lshlrev_b32_e32 v24, 1, v26
	global_load_ushort v26, v24, s[46:47]
	global_load_ushort v27, v24, s[48:49]
	s_waitcnt vmcnt(0)
	v_cmp_ne_u16_e32 vcc, v26, v27
	v_cndmask_b32_e64 v24, 0, 1, vcc
.LBB1465_74:
	s_or_b64 exec, exec, s[0:1]
	v_or_b32_e32 v28, 0x1900, v0
	v_cmp_gt_u32_e32 vcc, s2, v28
	v_mov_b32_e32 v26, 0
	v_mov_b32_e32 v27, 0
	s_and_saveexec_b64 s[0:1], vcc
	s_cbranch_execz .LBB1465_76
; %bb.75:
	v_lshlrev_b32_e32 v27, 1, v28
	global_load_ushort v28, v27, s[46:47]
	global_load_ushort v29, v27, s[48:49]
	s_waitcnt vmcnt(0)
	v_cmp_ne_u16_e32 vcc, v28, v29
	v_cndmask_b32_e64 v27, 0, 1, vcc
.LBB1465_76:
	s_or_b64 exec, exec, s[0:1]
	v_or_b32_e32 v28, 0x1a00, v0
	v_cmp_gt_u32_e32 vcc, s2, v28
	s_and_saveexec_b64 s[0:1], vcc
	s_cbranch_execz .LBB1465_78
; %bb.77:
	v_lshlrev_b32_e32 v26, 1, v28
	global_load_ushort v28, v26, s[46:47]
	global_load_ushort v29, v26, s[48:49]
	s_waitcnt vmcnt(0)
	v_cmp_ne_u16_e32 vcc, v28, v29
	v_cndmask_b32_e64 v26, 0, 1, vcc
.LBB1465_78:
	s_or_b64 exec, exec, s[0:1]
	v_or_b32_e32 v30, 0x1b00, v0
	v_cmp_gt_u32_e32 vcc, s2, v30
	v_mov_b32_e32 v28, 0
	v_mov_b32_e32 v29, 0
	s_and_saveexec_b64 s[0:1], vcc
	s_cbranch_execz .LBB1465_80
; %bb.79:
	v_lshlrev_b32_e32 v29, 1, v30
	global_load_ushort v30, v29, s[46:47]
	global_load_ushort v31, v29, s[48:49]
	s_waitcnt vmcnt(0)
	v_cmp_ne_u16_e32 vcc, v30, v31
	v_cndmask_b32_e64 v29, 0, 1, vcc
.LBB1465_80:
	s_or_b64 exec, exec, s[0:1]
	v_or_b32_e32 v30, 0x1c00, v0
	v_cmp_gt_u32_e32 vcc, s2, v30
	s_and_saveexec_b64 s[0:1], vcc
	s_cbranch_execz .LBB1465_82
; %bb.81:
	v_lshlrev_b32_e32 v28, 1, v30
	global_load_ushort v30, v28, s[46:47]
	global_load_ushort v31, v28, s[48:49]
	s_waitcnt vmcnt(0)
	v_cmp_ne_u16_e32 vcc, v30, v31
	v_cndmask_b32_e64 v28, 0, 1, vcc
.LBB1465_82:
	s_or_b64 exec, exec, s[0:1]
	v_or_b32_e32 v32, 0x1d00, v0
	v_cmp_gt_u32_e32 vcc, s2, v32
	v_mov_b32_e32 v30, 0
	v_mov_b32_e32 v31, 0
	s_and_saveexec_b64 s[0:1], vcc
	s_cbranch_execz .LBB1465_84
; %bb.83:
	v_lshlrev_b32_e32 v31, 1, v32
	global_load_ushort v32, v31, s[46:47]
	global_load_ushort v33, v31, s[48:49]
	s_waitcnt vmcnt(0)
	v_cmp_ne_u16_e32 vcc, v32, v33
	v_cndmask_b32_e64 v31, 0, 1, vcc
.LBB1465_84:
	s_or_b64 exec, exec, s[0:1]
	v_or_b32_e32 v32, 0x1e00, v0
	v_cmp_gt_u32_e32 vcc, s2, v32
	s_and_saveexec_b64 s[0:1], vcc
	s_cbranch_execz .LBB1465_86
; %bb.85:
	v_lshlrev_b32_e32 v30, 1, v32
	global_load_ushort v32, v30, s[46:47]
	global_load_ushort v33, v30, s[48:49]
	s_waitcnt vmcnt(0)
	v_cmp_ne_u16_e32 vcc, v32, v33
	v_cndmask_b32_e64 v30, 0, 1, vcc
.LBB1465_86:
	s_or_b64 exec, exec, s[0:1]
	v_or_b32_e32 v33, 0x1f00, v0
	v_cmp_gt_u32_e32 vcc, s2, v33
	v_mov_b32_e32 v32, 0
	s_and_saveexec_b64 s[0:1], vcc
	s_cbranch_execz .LBB1465_88
; %bb.87:
	v_lshlrev_b32_e32 v32, 1, v33
	global_load_ushort v33, v32, s[46:47]
	global_load_ushort v34, v32, s[48:49]
	s_waitcnt vmcnt(0)
	v_cmp_ne_u16_e32 vcc, v33, v34
	v_cndmask_b32_e64 v32, 0, 1, vcc
.LBB1465_88:
	s_or_b64 exec, exec, s[0:1]
	v_add_u32_e32 v1, v3, v1
	v_add3_u32 v1, v1, v2, v5
	v_add3_u32 v1, v1, v4, v7
	;; [unrolled: 1-line block ×10, first 2 shown]
	v_mbcnt_lo_u32_b32 v2, -1, 0
	v_add3_u32 v1, v1, v22, v25
	v_mbcnt_hi_u32_b32 v2, -1, v2
	v_add3_u32 v1, v1, v24, v27
	v_and_b32_e32 v4, 63, v2
	v_add3_u32 v1, v1, v26, v29
	v_cmp_ne_u32_e32 vcc, 63, v4
	v_add3_u32 v1, v1, v28, v31
	v_addc_co_u32_e32 v3, vcc, 0, v2, vcc
	v_add3_u32 v1, v1, v30, v32
	v_lshlrev_b32_e32 v3, 2, v3
	ds_bpermute_b32 v3, v3, v1
	s_min_u32 s2, s2, 0x100
	v_and_b32_e32 v5, 0xc0, v0
	v_sub_u32_e64 v5, s2, v5 clamp
	v_add_u32_e32 v6, 1, v4
	v_cmp_lt_u32_e32 vcc, v6, v5
	s_waitcnt lgkmcnt(0)
	v_cndmask_b32_e32 v3, 0, v3, vcc
	v_cmp_gt_u32_e32 vcc, 62, v4
	v_add_u32_e32 v1, v3, v1
	v_cndmask_b32_e64 v3, 0, 2, vcc
	v_add_lshl_u32 v3, v3, v2, 2
	ds_bpermute_b32 v3, v3, v1
	v_add_u32_e32 v6, 2, v4
	v_cmp_lt_u32_e32 vcc, v6, v5
	v_add_u32_e32 v6, 4, v4
	s_waitcnt lgkmcnt(0)
	v_cndmask_b32_e32 v3, 0, v3, vcc
	v_cmp_gt_u32_e32 vcc, 60, v4
	v_add_u32_e32 v1, v1, v3
	v_cndmask_b32_e64 v3, 0, 4, vcc
	v_add_lshl_u32 v3, v3, v2, 2
	ds_bpermute_b32 v3, v3, v1
	v_cmp_lt_u32_e32 vcc, v6, v5
	v_add_u32_e32 v6, 8, v4
	s_waitcnt lgkmcnt(0)
	v_cndmask_b32_e32 v3, 0, v3, vcc
	v_cmp_gt_u32_e32 vcc, 56, v4
	v_add_u32_e32 v1, v1, v3
	v_cndmask_b32_e64 v3, 0, 8, vcc
	v_add_lshl_u32 v3, v3, v2, 2
	ds_bpermute_b32 v3, v3, v1
	;; [unrolled: 9-line block ×3, first 2 shown]
	v_cmp_lt_u32_e32 vcc, v6, v5
	v_add_u32_e32 v4, 32, v4
	s_waitcnt lgkmcnt(0)
	v_cndmask_b32_e32 v3, 0, v3, vcc
	v_add_u32_e32 v1, v1, v3
	v_lshlrev_b32_e32 v3, 2, v2
	v_or_b32_e32 v6, 0x80, v3
	ds_bpermute_b32 v6, v6, v1
	v_cmp_lt_u32_e32 vcc, v4, v5
	s_waitcnt lgkmcnt(0)
	v_cndmask_b32_e32 v4, 0, v6, vcc
	v_add_u32_e32 v1, v1, v4
	v_cmp_eq_u32_e32 vcc, 0, v2
	s_and_saveexec_b64 s[0:1], vcc
; %bb.89:
	v_lshrrev_b32_e32 v4, 4, v0
	v_and_b32_e32 v4, 12, v4
	ds_write_b32 v4, v1 offset:96
; %bb.90:
	s_or_b64 exec, exec, s[0:1]
	v_cmp_gt_u32_e32 vcc, 4, v0
	s_waitcnt lgkmcnt(0)
	s_barrier
	s_and_saveexec_b64 s[0:1], vcc
	s_cbranch_execz .LBB1465_92
; %bb.91:
	ds_read_b32 v1, v3 offset:96
	v_and_b32_e32 v4, 3, v2
	v_cmp_ne_u32_e32 vcc, 3, v4
	v_addc_co_u32_e32 v2, vcc, 0, v2, vcc
	v_lshlrev_b32_e32 v2, 2, v2
	s_waitcnt lgkmcnt(0)
	ds_bpermute_b32 v2, v2, v1
	s_add_i32 s2, s2, 63
	s_lshr_b32 s2, s2, 6
	v_add_u32_e32 v5, 1, v4
	v_cmp_gt_u32_e32 vcc, s2, v5
	s_waitcnt lgkmcnt(0)
	v_cndmask_b32_e32 v2, 0, v2, vcc
	v_add_u32_e32 v1, v2, v1
	v_or_b32_e32 v2, 8, v3
	ds_bpermute_b32 v2, v2, v1
	v_add_u32_e32 v3, 2, v4
	v_cmp_gt_u32_e32 vcc, s2, v3
	s_waitcnt lgkmcnt(0)
	v_cndmask_b32_e32 v2, 0, v2, vcc
	v_add_u32_e32 v1, v1, v2
.LBB1465_92:
	s_or_b64 exec, exec, s[0:1]
	v_cmp_eq_u32_e64 s[0:1], 0, v0
	s_and_b64 vcc, exec, s[44:45]
	s_cbranch_vccnz .LBB1465_15
.LBB1465_93:
	s_branch .LBB1465_142
.LBB1465_94:
	s_mov_b64 s[2:3], -1
                                        ; implicit-def: $vgpr1
.LBB1465_95:
	s_and_b64 vcc, exec, s[2:3]
	s_cbranch_vccz .LBB1465_133
; %bb.96:
	s_sub_i32 s48, s36, s0
	v_mov_b32_e32 v1, 0
	v_cmp_gt_u32_e32 vcc, s48, v0
	v_mov_b32_e32 v2, v1
	v_mov_b32_e32 v3, v1
	;; [unrolled: 1-line block ×15, first 2 shown]
	s_and_saveexec_b64 s[0:1], vcc
	s_cbranch_execz .LBB1465_98
; %bb.97:
	v_mov_b32_e32 v2, v1
	v_mov_b32_e32 v3, v1
	;; [unrolled: 1-line block ×15, first 2 shown]
	v_lshlrev_b32_e32 v1, 1, v0
	global_load_ushort v17, v1, s[34:35]
	global_load_ushort v18, v1, s[44:45]
	s_waitcnt vmcnt(0)
	v_cmp_ne_u16_e32 vcc, v17, v18
	v_cndmask_b32_e64 v1, 0, 1, vcc
	v_and_b32_e32 v1, 0xffff, v1
.LBB1465_98:
	s_or_b64 exec, exec, s[0:1]
	v_or_b32_e32 v17, 0x100, v0
	v_cmp_gt_u32_e32 vcc, s48, v17
	s_and_saveexec_b64 s[2:3], vcc
	s_cbranch_execz .LBB1465_100
; %bb.99:
	v_lshlrev_b32_e32 v2, 1, v0
	global_load_ushort v17, v2, s[34:35] offset:512
	global_load_ushort v18, v2, s[44:45] offset:512
	s_waitcnt vmcnt(0)
	v_cmp_ne_u16_e64 s[0:1], v17, v18
	v_cndmask_b32_e64 v2, 0, 1, s[0:1]
.LBB1465_100:
	s_or_b64 exec, exec, s[2:3]
	v_or_b32_e32 v17, 0x200, v0
	v_cmp_gt_u32_e64 s[0:1], s48, v17
	s_and_saveexec_b64 s[8:9], s[0:1]
	s_cbranch_execz .LBB1465_102
; %bb.101:
	v_lshlrev_b32_e32 v3, 1, v0
	global_load_ushort v17, v3, s[34:35] offset:1024
	global_load_ushort v18, v3, s[44:45] offset:1024
	s_waitcnt vmcnt(0)
	v_cmp_ne_u16_e64 s[2:3], v17, v18
	v_cndmask_b32_e64 v3, 0, 1, s[2:3]
.LBB1465_102:
	s_or_b64 exec, exec, s[8:9]
	v_or_b32_e32 v17, 0x300, v0
	v_cmp_gt_u32_e64 s[2:3], s48, v17
	s_and_saveexec_b64 s[10:11], s[2:3]
	;; [unrolled: 13-line block ×7, first 2 shown]
	s_cbranch_execz .LBB1465_114
; %bb.113:
	v_lshlrev_b32_e32 v9, 1, v17
	global_load_ushort v17, v9, s[34:35]
	global_load_ushort v18, v9, s[44:45]
	s_waitcnt vmcnt(0)
	v_cmp_ne_u16_e64 s[18:19], v17, v18
	v_cndmask_b32_e64 v9, 0, 1, s[18:19]
.LBB1465_114:
	s_or_b64 exec, exec, s[20:21]
	v_or_b32_e32 v17, 0x900, v0
	v_cmp_gt_u32_e64 s[18:19], s48, v17
	s_and_saveexec_b64 s[22:23], s[18:19]
	s_cbranch_execz .LBB1465_116
; %bb.115:
	v_lshlrev_b32_e32 v10, 1, v17
	global_load_ushort v17, v10, s[34:35]
	global_load_ushort v18, v10, s[44:45]
	s_waitcnt vmcnt(0)
	v_cmp_ne_u16_e64 s[20:21], v17, v18
	v_cndmask_b32_e64 v10, 0, 1, s[20:21]
.LBB1465_116:
	s_or_b64 exec, exec, s[22:23]
	v_or_b32_e32 v17, 0xa00, v0
	v_cmp_gt_u32_e64 s[20:21], s48, v17
	s_and_saveexec_b64 s[24:25], s[20:21]
	;; [unrolled: 13-line block ×6, first 2 shown]
	s_cbranch_execz .LBB1465_126
; %bb.125:
	v_lshlrev_b32_e32 v15, 1, v17
	global_load_ushort v17, v15, s[34:35]
	s_nop 0
	global_load_ushort v15, v15, s[44:45]
	s_waitcnt vmcnt(0)
	v_cmp_ne_u16_e64 s[30:31], v17, v15
	v_cndmask_b32_e64 v15, 0, 1, s[30:31]
.LBB1465_126:
	s_or_b64 exec, exec, s[46:47]
	v_or_b32_e32 v17, 0xf00, v0
	v_cmp_gt_u32_e64 s[30:31], s48, v17
	s_and_saveexec_b64 s[46:47], s[30:31]
	s_cbranch_execz .LBB1465_128
; %bb.127:
	v_lshlrev_b32_e32 v16, 1, v17
	global_load_ushort v17, v16, s[34:35]
	s_nop 0
	global_load_ushort v16, v16, s[44:45]
	s_waitcnt vmcnt(0)
	v_cmp_ne_u16_e64 s[34:35], v17, v16
	v_cndmask_b32_e64 v16, 0, 1, s[34:35]
.LBB1465_128:
	s_or_b64 exec, exec, s[46:47]
	v_cndmask_b32_e32 v2, 0, v2, vcc
	v_add_u32_e32 v1, v2, v1
	v_cndmask_b32_e64 v2, 0, v3, s[0:1]
	v_cndmask_b32_e64 v3, 0, v4, s[2:3]
	v_add3_u32 v1, v1, v2, v3
	v_cndmask_b32_e64 v2, 0, v5, s[8:9]
	v_cndmask_b32_e64 v3, 0, v6, s[10:11]
	v_add3_u32 v1, v1, v2, v3
	;; [unrolled: 3-line block ×7, first 2 shown]
	v_mbcnt_lo_u32_b32 v2, -1, 0
	v_mbcnt_hi_u32_b32 v2, -1, v2
	v_and_b32_e32 v4, 63, v2
	v_cmp_ne_u32_e32 vcc, 63, v4
	v_addc_co_u32_e32 v3, vcc, 0, v2, vcc
	v_lshlrev_b32_e32 v3, 2, v3
	ds_bpermute_b32 v3, v3, v1
	s_min_u32 s2, s48, 0x100
	v_and_b32_e32 v5, 0xc0, v0
	v_sub_u32_e64 v5, s2, v5 clamp
	v_add_u32_e32 v6, 1, v4
	v_cmp_lt_u32_e32 vcc, v6, v5
	s_waitcnt lgkmcnt(0)
	v_cndmask_b32_e32 v3, 0, v3, vcc
	v_cmp_gt_u32_e32 vcc, 62, v4
	v_add_u32_e32 v1, v1, v3
	v_cndmask_b32_e64 v3, 0, 2, vcc
	v_add_lshl_u32 v3, v3, v2, 2
	ds_bpermute_b32 v3, v3, v1
	v_add_u32_e32 v6, 2, v4
	v_cmp_lt_u32_e32 vcc, v6, v5
	v_add_u32_e32 v6, 4, v4
	s_waitcnt lgkmcnt(0)
	v_cndmask_b32_e32 v3, 0, v3, vcc
	v_cmp_gt_u32_e32 vcc, 60, v4
	v_add_u32_e32 v1, v1, v3
	v_cndmask_b32_e64 v3, 0, 4, vcc
	v_add_lshl_u32 v3, v3, v2, 2
	ds_bpermute_b32 v3, v3, v1
	v_cmp_lt_u32_e32 vcc, v6, v5
	v_add_u32_e32 v6, 8, v4
	s_waitcnt lgkmcnt(0)
	v_cndmask_b32_e32 v3, 0, v3, vcc
	v_cmp_gt_u32_e32 vcc, 56, v4
	v_add_u32_e32 v1, v1, v3
	v_cndmask_b32_e64 v3, 0, 8, vcc
	v_add_lshl_u32 v3, v3, v2, 2
	ds_bpermute_b32 v3, v3, v1
	;; [unrolled: 9-line block ×3, first 2 shown]
	v_cmp_lt_u32_e32 vcc, v6, v5
	v_add_u32_e32 v4, 32, v4
	s_waitcnt lgkmcnt(0)
	v_cndmask_b32_e32 v3, 0, v3, vcc
	v_add_u32_e32 v1, v1, v3
	v_lshlrev_b32_e32 v3, 2, v2
	v_or_b32_e32 v6, 0x80, v3
	ds_bpermute_b32 v6, v6, v1
	v_cmp_lt_u32_e32 vcc, v4, v5
	s_waitcnt lgkmcnt(0)
	v_cndmask_b32_e32 v4, 0, v6, vcc
	v_add_u32_e32 v1, v1, v4
	v_cmp_eq_u32_e32 vcc, 0, v2
	s_and_saveexec_b64 s[0:1], vcc
; %bb.129:
	v_lshrrev_b32_e32 v4, 4, v0
	v_and_b32_e32 v4, 12, v4
	ds_write_b32 v4, v1 offset:96
; %bb.130:
	s_or_b64 exec, exec, s[0:1]
	v_cmp_gt_u32_e32 vcc, 4, v0
	s_waitcnt lgkmcnt(0)
	s_barrier
	s_and_saveexec_b64 s[0:1], vcc
	s_cbranch_execz .LBB1465_132
; %bb.131:
	ds_read_b32 v1, v3 offset:96
	v_and_b32_e32 v4, 3, v2
	v_cmp_ne_u32_e32 vcc, 3, v4
	v_addc_co_u32_e32 v2, vcc, 0, v2, vcc
	v_lshlrev_b32_e32 v2, 2, v2
	s_waitcnt lgkmcnt(0)
	ds_bpermute_b32 v2, v2, v1
	s_add_i32 s2, s2, 63
	s_lshr_b32 s2, s2, 6
	v_add_u32_e32 v5, 1, v4
	v_cmp_gt_u32_e32 vcc, s2, v5
	s_waitcnt lgkmcnt(0)
	v_cndmask_b32_e32 v2, 0, v2, vcc
	v_add_u32_e32 v1, v2, v1
	v_or_b32_e32 v2, 8, v3
	ds_bpermute_b32 v2, v2, v1
	v_add_u32_e32 v3, 2, v4
	v_cmp_gt_u32_e32 vcc, s2, v3
	s_waitcnt lgkmcnt(0)
	v_cndmask_b32_e32 v2, 0, v2, vcc
	v_add_u32_e32 v1, v1, v2
.LBB1465_132:
	s_or_b64 exec, exec, s[0:1]
.LBB1465_133:
	v_cmp_eq_u32_e64 s[0:1], 0, v0
	s_branch .LBB1465_142
.LBB1465_134:
	s_cmp_eq_u32 s33, 8
	s_cbranch_scc0 .LBB1465_141
; %bb.135:
	s_mov_b32 s7, 0
	s_lshl_b32 s0, s6, 11
	s_mov_b32 s1, s7
	s_lshr_b64 s[2:3], s[36:37], 11
	s_lshl_b64 s[8:9], s[0:1], 1
	s_add_u32 s16, s40, s8
	s_addc_u32 s17, s41, s9
	s_add_u32 s18, s42, s8
	s_addc_u32 s19, s43, s9
	s_cmp_lg_u64 s[2:3], s[6:7]
	s_cbranch_scc0 .LBB1465_143
; %bb.136:
	v_lshlrev_b32_e32 v1, 1, v0
	global_load_ushort v4, v1, s[18:19]
	global_load_ushort v5, v1, s[16:17]
	global_load_ushort v6, v1, s[16:17] offset:1024
	global_load_ushort v7, v1, s[18:19] offset:1024
	;; [unrolled: 1-line block ×13, first 2 shown]
	s_nop 0
	global_load_ushort v1, v1, s[18:19] offset:3584
	v_mbcnt_lo_u32_b32 v2, -1, 0
	v_mbcnt_hi_u32_b32 v2, -1, v2
	v_lshlrev_b32_e32 v3, 2, v2
	s_waitcnt vmcnt(14)
	v_cmp_ne_u16_e32 vcc, v5, v4
	v_cndmask_b32_e64 v4, 0, 1, vcc
	s_waitcnt vmcnt(12)
	v_cmp_ne_u16_e32 vcc, v6, v7
	v_cndmask_b32_e64 v5, 0, 1, vcc
	s_waitcnt vmcnt(10)
	v_cmp_ne_u16_e32 vcc, v9, v8
	v_cndmask_b32_e64 v6, 0, 1, vcc
	s_waitcnt vmcnt(8)
	v_cmp_ne_u16_e32 vcc, v10, v11
	v_cndmask_b32_e64 v7, 0, 1, vcc
	s_waitcnt vmcnt(6)
	v_cmp_ne_u16_e32 vcc, v13, v12
	v_addc_co_u32_e32 v4, vcc, 0, v4, vcc
	s_waitcnt vmcnt(4)
	v_cmp_ne_u16_e32 vcc, v14, v15
	v_addc_co_u32_e32 v4, vcc, v4, v5, vcc
	;; [unrolled: 3-line block ×4, first 2 shown]
	v_or_b32_e32 v4, 0xfc, v3
	s_nop 0
	v_add_u32_dpp v1, v1, v1 quad_perm:[1,0,3,2] row_mask:0xf bank_mask:0xf bound_ctrl:1
	v_cmp_eq_u32_e32 vcc, 0, v2
	s_nop 0
	v_add_u32_dpp v1, v1, v1 quad_perm:[2,3,0,1] row_mask:0xf bank_mask:0xf bound_ctrl:1
	s_nop 1
	v_add_u32_dpp v1, v1, v1 row_ror:4 row_mask:0xf bank_mask:0xf bound_ctrl:1
	s_nop 1
	v_add_u32_dpp v1, v1, v1 row_ror:8 row_mask:0xf bank_mask:0xf bound_ctrl:1
	s_nop 1
	v_add_u32_dpp v1, v1, v1 row_bcast:15 row_mask:0xf bank_mask:0xf bound_ctrl:1
	s_nop 1
	v_add_u32_dpp v1, v1, v1 row_bcast:31 row_mask:0xf bank_mask:0xf bound_ctrl:1
	ds_bpermute_b32 v1, v4, v1
	s_and_saveexec_b64 s[2:3], vcc
	s_cbranch_execz .LBB1465_138
; %bb.137:
	v_lshrrev_b32_e32 v4, 4, v0
	v_and_b32_e32 v4, 12, v4
	s_waitcnt lgkmcnt(0)
	ds_write_b32 v4, v1 offset:80
.LBB1465_138:
	s_or_b64 exec, exec, s[2:3]
	v_cmp_gt_u32_e32 vcc, 64, v0
	s_waitcnt lgkmcnt(0)
	s_barrier
	s_and_saveexec_b64 s[2:3], vcc
	s_cbranch_execz .LBB1465_140
; %bb.139:
	v_and_b32_e32 v1, 3, v2
	v_lshlrev_b32_e32 v4, 2, v1
	ds_read_b32 v4, v4 offset:80
	v_cmp_ne_u32_e32 vcc, 3, v1
	v_addc_co_u32_e32 v1, vcc, 0, v2, vcc
	v_lshlrev_b32_e32 v1, 2, v1
	s_waitcnt lgkmcnt(0)
	ds_bpermute_b32 v1, v1, v4
	v_or_b32_e32 v2, 8, v3
	s_waitcnt lgkmcnt(0)
	v_add_u32_e32 v1, v1, v4
	ds_bpermute_b32 v2, v2, v1
	s_waitcnt lgkmcnt(0)
	v_add_u32_e32 v1, v2, v1
.LBB1465_140:
	s_or_b64 exec, exec, s[2:3]
	s_branch .LBB1465_165
.LBB1465_141:
                                        ; implicit-def: $vgpr1
.LBB1465_142:
	s_branch .LBB1465_224
.LBB1465_143:
                                        ; implicit-def: $vgpr1
	s_cbranch_execz .LBB1465_165
; %bb.144:
	s_sub_i32 s22, s36, s0
	v_mov_b32_e32 v1, 0
	v_cmp_gt_u32_e32 vcc, s22, v0
	v_mov_b32_e32 v2, v1
	v_mov_b32_e32 v3, v1
	;; [unrolled: 1-line block ×7, first 2 shown]
	s_and_saveexec_b64 s[0:1], vcc
	s_cbranch_execz .LBB1465_146
; %bb.145:
	v_lshlrev_b32_e32 v2, 1, v0
	global_load_ushort v9, v2, s[16:17]
	global_load_ushort v10, v2, s[18:19]
	v_mov_b32_e32 v3, v1
	v_mov_b32_e32 v4, v1
	;; [unrolled: 1-line block ×6, first 2 shown]
	s_waitcnt vmcnt(0)
	v_cmp_ne_u16_e32 vcc, v9, v10
	v_cndmask_b32_e64 v2, 0, 1, vcc
	v_and_b32_e32 v2, 0xffff, v2
	v_mov_b32_e32 v9, v1
	v_mov_b32_e32 v1, v2
	;; [unrolled: 1-line block ×9, first 2 shown]
.LBB1465_146:
	s_or_b64 exec, exec, s[0:1]
	v_or_b32_e32 v9, 0x100, v0
	v_cmp_gt_u32_e32 vcc, s22, v9
	s_and_saveexec_b64 s[2:3], vcc
	s_cbranch_execz .LBB1465_148
; %bb.147:
	v_lshlrev_b32_e32 v2, 1, v0
	global_load_ushort v9, v2, s[16:17] offset:512
	global_load_ushort v10, v2, s[18:19] offset:512
	s_waitcnt vmcnt(0)
	v_cmp_ne_u16_e64 s[0:1], v9, v10
	v_cndmask_b32_e64 v2, 0, 1, s[0:1]
.LBB1465_148:
	s_or_b64 exec, exec, s[2:3]
	v_or_b32_e32 v9, 0x200, v0
	v_cmp_gt_u32_e64 s[0:1], s22, v9
	s_and_saveexec_b64 s[8:9], s[0:1]
	s_cbranch_execz .LBB1465_150
; %bb.149:
	v_lshlrev_b32_e32 v3, 1, v0
	global_load_ushort v9, v3, s[16:17] offset:1024
	global_load_ushort v10, v3, s[18:19] offset:1024
	s_waitcnt vmcnt(0)
	v_cmp_ne_u16_e64 s[2:3], v9, v10
	v_cndmask_b32_e64 v3, 0, 1, s[2:3]
.LBB1465_150:
	s_or_b64 exec, exec, s[8:9]
	v_or_b32_e32 v9, 0x300, v0
	v_cmp_gt_u32_e64 s[2:3], s22, v9
	s_and_saveexec_b64 s[10:11], s[2:3]
	;; [unrolled: 13-line block ×6, first 2 shown]
	s_cbranch_execz .LBB1465_160
; %bb.159:
	v_lshlrev_b32_e32 v8, 1, v0
	global_load_ushort v9, v8, s[16:17] offset:3584
	global_load_ushort v10, v8, s[18:19] offset:3584
	s_waitcnt vmcnt(0)
	v_cmp_ne_u16_e64 s[16:17], v9, v10
	v_cndmask_b32_e64 v8, 0, 1, s[16:17]
.LBB1465_160:
	s_or_b64 exec, exec, s[20:21]
	v_cndmask_b32_e32 v2, 0, v2, vcc
	v_add_u32_e32 v1, v2, v1
	v_cndmask_b32_e64 v2, 0, v3, s[0:1]
	v_cndmask_b32_e64 v3, 0, v4, s[2:3]
	v_add3_u32 v1, v1, v2, v3
	v_cndmask_b32_e64 v2, 0, v5, s[8:9]
	v_cndmask_b32_e64 v3, 0, v6, s[10:11]
	v_add3_u32 v1, v1, v2, v3
	v_cndmask_b32_e64 v2, 0, v7, s[12:13]
	v_cndmask_b32_e64 v3, 0, v8, s[14:15]
	v_add3_u32 v1, v1, v2, v3
	v_mbcnt_lo_u32_b32 v2, -1, 0
	v_mbcnt_hi_u32_b32 v2, -1, v2
	v_and_b32_e32 v4, 63, v2
	v_cmp_ne_u32_e32 vcc, 63, v4
	v_addc_co_u32_e32 v3, vcc, 0, v2, vcc
	v_lshlrev_b32_e32 v3, 2, v3
	ds_bpermute_b32 v3, v3, v1
	s_min_u32 s2, s22, 0x100
	v_and_b32_e32 v5, 0xc0, v0
	v_sub_u32_e64 v5, s2, v5 clamp
	v_add_u32_e32 v6, 1, v4
	v_cmp_lt_u32_e32 vcc, v6, v5
	s_waitcnt lgkmcnt(0)
	v_cndmask_b32_e32 v3, 0, v3, vcc
	v_cmp_gt_u32_e32 vcc, 62, v4
	v_add_u32_e32 v1, v1, v3
	v_cndmask_b32_e64 v3, 0, 2, vcc
	v_add_lshl_u32 v3, v3, v2, 2
	ds_bpermute_b32 v3, v3, v1
	v_add_u32_e32 v6, 2, v4
	v_cmp_lt_u32_e32 vcc, v6, v5
	v_add_u32_e32 v6, 4, v4
	s_waitcnt lgkmcnt(0)
	v_cndmask_b32_e32 v3, 0, v3, vcc
	v_cmp_gt_u32_e32 vcc, 60, v4
	v_add_u32_e32 v1, v1, v3
	v_cndmask_b32_e64 v3, 0, 4, vcc
	v_add_lshl_u32 v3, v3, v2, 2
	ds_bpermute_b32 v3, v3, v1
	v_cmp_lt_u32_e32 vcc, v6, v5
	v_add_u32_e32 v6, 8, v4
	s_waitcnt lgkmcnt(0)
	v_cndmask_b32_e32 v3, 0, v3, vcc
	v_cmp_gt_u32_e32 vcc, 56, v4
	v_add_u32_e32 v1, v1, v3
	v_cndmask_b32_e64 v3, 0, 8, vcc
	v_add_lshl_u32 v3, v3, v2, 2
	ds_bpermute_b32 v3, v3, v1
	;; [unrolled: 9-line block ×3, first 2 shown]
	v_cmp_lt_u32_e32 vcc, v6, v5
	v_add_u32_e32 v4, 32, v4
	s_waitcnt lgkmcnt(0)
	v_cndmask_b32_e32 v3, 0, v3, vcc
	v_add_u32_e32 v1, v1, v3
	v_lshlrev_b32_e32 v3, 2, v2
	v_or_b32_e32 v6, 0x80, v3
	ds_bpermute_b32 v6, v6, v1
	v_cmp_lt_u32_e32 vcc, v4, v5
	s_waitcnt lgkmcnt(0)
	v_cndmask_b32_e32 v4, 0, v6, vcc
	v_add_u32_e32 v1, v1, v4
	v_cmp_eq_u32_e32 vcc, 0, v2
	s_and_saveexec_b64 s[0:1], vcc
; %bb.161:
	v_lshrrev_b32_e32 v4, 4, v0
	v_and_b32_e32 v4, 12, v4
	ds_write_b32 v4, v1 offset:96
; %bb.162:
	s_or_b64 exec, exec, s[0:1]
	v_cmp_gt_u32_e32 vcc, 4, v0
	s_waitcnt lgkmcnt(0)
	s_barrier
	s_and_saveexec_b64 s[0:1], vcc
	s_cbranch_execz .LBB1465_164
; %bb.163:
	ds_read_b32 v1, v3 offset:96
	v_and_b32_e32 v4, 3, v2
	v_cmp_ne_u32_e32 vcc, 3, v4
	v_addc_co_u32_e32 v2, vcc, 0, v2, vcc
	v_lshlrev_b32_e32 v2, 2, v2
	s_waitcnt lgkmcnt(0)
	ds_bpermute_b32 v2, v2, v1
	s_add_i32 s2, s2, 63
	s_lshr_b32 s2, s2, 6
	v_add_u32_e32 v5, 1, v4
	v_cmp_gt_u32_e32 vcc, s2, v5
	s_waitcnt lgkmcnt(0)
	v_cndmask_b32_e32 v2, 0, v2, vcc
	v_add_u32_e32 v1, v2, v1
	v_or_b32_e32 v2, 8, v3
	ds_bpermute_b32 v2, v2, v1
	v_add_u32_e32 v3, 2, v4
	v_cmp_gt_u32_e32 vcc, s2, v3
	s_waitcnt lgkmcnt(0)
	v_cndmask_b32_e32 v2, 0, v2, vcc
	v_add_u32_e32 v1, v1, v2
.LBB1465_164:
	s_or_b64 exec, exec, s[0:1]
.LBB1465_165:
	v_cmp_eq_u32_e64 s[0:1], 0, v0
	s_branch .LBB1465_224
.LBB1465_166:
	s_cmp_gt_i32 s33, 1
	s_cbranch_scc0 .LBB1465_175
; %bb.167:
	s_cmp_gt_i32 s33, 3
	s_cbranch_scc0 .LBB1465_176
; %bb.168:
	s_cmp_eq_u32 s33, 4
	s_cbranch_scc0 .LBB1465_177
; %bb.169:
	s_mov_b32 s7, 0
	s_lshl_b32 s0, s6, 10
	s_mov_b32 s1, s7
	s_lshr_b64 s[2:3], s[36:37], 10
	s_lshl_b64 s[10:11], s[0:1], 1
	s_add_u32 s8, s40, s10
	s_addc_u32 s9, s41, s11
	s_add_u32 s10, s42, s10
	s_addc_u32 s11, s43, s11
	s_cmp_lg_u64 s[2:3], s[6:7]
	s_cbranch_scc0 .LBB1465_179
; %bb.170:
	v_lshlrev_b32_e32 v1, 1, v0
	global_load_ushort v4, v1, s[8:9]
	global_load_ushort v5, v1, s[10:11]
	global_load_ushort v6, v1, s[8:9] offset:1024
	global_load_ushort v7, v1, s[10:11] offset:1024
	;; [unrolled: 1-line block ×6, first 2 shown]
	v_mbcnt_lo_u32_b32 v1, -1, 0
	v_mbcnt_hi_u32_b32 v2, -1, v1
	v_lshlrev_b32_e32 v3, 2, v2
	s_waitcnt vmcnt(6)
	v_cmp_ne_u16_e32 vcc, v4, v5
	v_cndmask_b32_e64 v1, 0, 1, vcc
	s_waitcnt vmcnt(4)
	v_cmp_ne_u16_e32 vcc, v6, v7
	v_cndmask_b32_e64 v4, 0, 1, vcc
	s_waitcnt vmcnt(2)
	v_cmp_ne_u16_e32 vcc, v8, v9
	v_addc_co_u32_e32 v1, vcc, 0, v1, vcc
	s_waitcnt vmcnt(0)
	v_cmp_ne_u16_e32 vcc, v11, v10
	v_addc_co_u32_e32 v1, vcc, v1, v4, vcc
	v_or_b32_e32 v4, 0xfc, v3
	s_nop 0
	v_add_u32_dpp v1, v1, v1 quad_perm:[1,0,3,2] row_mask:0xf bank_mask:0xf bound_ctrl:1
	v_cmp_eq_u32_e32 vcc, 0, v2
	s_nop 0
	v_add_u32_dpp v1, v1, v1 quad_perm:[2,3,0,1] row_mask:0xf bank_mask:0xf bound_ctrl:1
	s_nop 1
	v_add_u32_dpp v1, v1, v1 row_ror:4 row_mask:0xf bank_mask:0xf bound_ctrl:1
	s_nop 1
	v_add_u32_dpp v1, v1, v1 row_ror:8 row_mask:0xf bank_mask:0xf bound_ctrl:1
	s_nop 1
	v_add_u32_dpp v1, v1, v1 row_bcast:15 row_mask:0xf bank_mask:0xf bound_ctrl:1
	s_nop 1
	v_add_u32_dpp v1, v1, v1 row_bcast:31 row_mask:0xf bank_mask:0xf bound_ctrl:1
	ds_bpermute_b32 v1, v4, v1
	s_and_saveexec_b64 s[2:3], vcc
	s_cbranch_execz .LBB1465_172
; %bb.171:
	v_lshrrev_b32_e32 v4, 4, v0
	v_and_b32_e32 v4, 12, v4
	s_waitcnt lgkmcnt(0)
	ds_write_b32 v4, v1 offset:64
.LBB1465_172:
	s_or_b64 exec, exec, s[2:3]
	v_cmp_gt_u32_e32 vcc, 64, v0
	s_waitcnt lgkmcnt(0)
	s_barrier
	s_and_saveexec_b64 s[2:3], vcc
	s_cbranch_execz .LBB1465_174
; %bb.173:
	v_and_b32_e32 v1, 3, v2
	v_lshlrev_b32_e32 v4, 2, v1
	ds_read_b32 v4, v4 offset:64
	v_cmp_ne_u32_e32 vcc, 3, v1
	v_addc_co_u32_e32 v1, vcc, 0, v2, vcc
	v_lshlrev_b32_e32 v1, 2, v1
	s_waitcnt lgkmcnt(0)
	ds_bpermute_b32 v1, v1, v4
	v_or_b32_e32 v2, 8, v3
	s_waitcnt lgkmcnt(0)
	v_add_u32_e32 v1, v1, v4
	ds_bpermute_b32 v2, v2, v1
	s_waitcnt lgkmcnt(0)
	v_add_u32_e32 v1, v2, v1
.LBB1465_174:
	s_or_b64 exec, exec, s[2:3]
	s_mov_b64 s[2:3], 0
	s_branch .LBB1465_180
.LBB1465_175:
                                        ; implicit-def: $vgpr1
	s_cbranch_execnz .LBB1465_215
	s_branch .LBB1465_224
.LBB1465_176:
                                        ; implicit-def: $vgpr1
	s_cbranch_execz .LBB1465_178
	s_branch .LBB1465_195
.LBB1465_177:
                                        ; implicit-def: $vgpr1
.LBB1465_178:
	s_branch .LBB1465_224
.LBB1465_179:
	s_mov_b64 s[2:3], -1
                                        ; implicit-def: $vgpr1
.LBB1465_180:
	s_and_b64 vcc, exec, s[2:3]
	s_cbranch_vccz .LBB1465_194
; %bb.181:
	s_sub_i32 s14, s36, s0
	v_mov_b32_e32 v1, 0
	v_cmp_gt_u32_e32 vcc, s14, v0
	v_mov_b32_e32 v2, v1
	v_mov_b32_e32 v3, v1
	;; [unrolled: 1-line block ×3, first 2 shown]
	s_and_saveexec_b64 s[0:1], vcc
	s_cbranch_execz .LBB1465_183
; %bb.182:
	v_lshlrev_b32_e32 v2, 1, v0
	global_load_ushort v5, v2, s[8:9]
	global_load_ushort v6, v2, s[10:11]
	v_mov_b32_e32 v3, v1
	v_mov_b32_e32 v4, v1
	s_waitcnt vmcnt(0)
	v_cmp_ne_u16_e32 vcc, v5, v6
	v_cndmask_b32_e64 v2, 0, 1, vcc
	v_and_b32_e32 v2, 0xffff, v2
	v_mov_b32_e32 v5, v1
	v_mov_b32_e32 v1, v2
	;; [unrolled: 1-line block ×5, first 2 shown]
.LBB1465_183:
	s_or_b64 exec, exec, s[0:1]
	v_or_b32_e32 v5, 0x100, v0
	v_cmp_gt_u32_e32 vcc, s14, v5
	s_and_saveexec_b64 s[2:3], vcc
	s_cbranch_execz .LBB1465_185
; %bb.184:
	v_lshlrev_b32_e32 v2, 1, v0
	global_load_ushort v5, v2, s[8:9] offset:512
	global_load_ushort v6, v2, s[10:11] offset:512
	s_waitcnt vmcnt(0)
	v_cmp_ne_u16_e64 s[0:1], v5, v6
	v_cndmask_b32_e64 v2, 0, 1, s[0:1]
.LBB1465_185:
	s_or_b64 exec, exec, s[2:3]
	v_or_b32_e32 v5, 0x200, v0
	v_cmp_gt_u32_e64 s[0:1], s14, v5
	s_and_saveexec_b64 s[12:13], s[0:1]
	s_cbranch_execz .LBB1465_187
; %bb.186:
	v_lshlrev_b32_e32 v3, 1, v0
	global_load_ushort v5, v3, s[8:9] offset:1024
	global_load_ushort v6, v3, s[10:11] offset:1024
	s_waitcnt vmcnt(0)
	v_cmp_ne_u16_e64 s[2:3], v5, v6
	v_cndmask_b32_e64 v3, 0, 1, s[2:3]
.LBB1465_187:
	s_or_b64 exec, exec, s[12:13]
	v_or_b32_e32 v5, 0x300, v0
	v_cmp_gt_u32_e64 s[2:3], s14, v5
	s_and_saveexec_b64 s[12:13], s[2:3]
	s_cbranch_execz .LBB1465_189
; %bb.188:
	v_lshlrev_b32_e32 v4, 1, v0
	global_load_ushort v5, v4, s[8:9] offset:1536
	global_load_ushort v6, v4, s[10:11] offset:1536
	s_waitcnt vmcnt(0)
	v_cmp_ne_u16_e64 s[8:9], v5, v6
	v_cndmask_b32_e64 v4, 0, 1, s[8:9]
.LBB1465_189:
	s_or_b64 exec, exec, s[12:13]
	v_cndmask_b32_e32 v2, 0, v2, vcc
	v_add_u32_e32 v1, v2, v1
	v_cndmask_b32_e64 v2, 0, v3, s[0:1]
	v_cndmask_b32_e64 v3, 0, v4, s[2:3]
	v_add3_u32 v1, v1, v2, v3
	v_mbcnt_lo_u32_b32 v2, -1, 0
	v_mbcnt_hi_u32_b32 v2, -1, v2
	v_and_b32_e32 v4, 63, v2
	v_cmp_ne_u32_e32 vcc, 63, v4
	v_addc_co_u32_e32 v3, vcc, 0, v2, vcc
	v_lshlrev_b32_e32 v3, 2, v3
	ds_bpermute_b32 v3, v3, v1
	s_min_u32 s2, s14, 0x100
	v_and_b32_e32 v5, 0xc0, v0
	v_sub_u32_e64 v5, s2, v5 clamp
	v_add_u32_e32 v6, 1, v4
	v_cmp_lt_u32_e32 vcc, v6, v5
	s_waitcnt lgkmcnt(0)
	v_cndmask_b32_e32 v3, 0, v3, vcc
	v_cmp_gt_u32_e32 vcc, 62, v4
	v_add_u32_e32 v1, v3, v1
	v_cndmask_b32_e64 v3, 0, 2, vcc
	v_add_lshl_u32 v3, v3, v2, 2
	ds_bpermute_b32 v3, v3, v1
	v_add_u32_e32 v6, 2, v4
	v_cmp_lt_u32_e32 vcc, v6, v5
	v_add_u32_e32 v6, 4, v4
	s_waitcnt lgkmcnt(0)
	v_cndmask_b32_e32 v3, 0, v3, vcc
	v_cmp_gt_u32_e32 vcc, 60, v4
	v_add_u32_e32 v1, v1, v3
	v_cndmask_b32_e64 v3, 0, 4, vcc
	v_add_lshl_u32 v3, v3, v2, 2
	ds_bpermute_b32 v3, v3, v1
	v_cmp_lt_u32_e32 vcc, v6, v5
	v_add_u32_e32 v6, 8, v4
	s_waitcnt lgkmcnt(0)
	v_cndmask_b32_e32 v3, 0, v3, vcc
	v_cmp_gt_u32_e32 vcc, 56, v4
	v_add_u32_e32 v1, v1, v3
	v_cndmask_b32_e64 v3, 0, 8, vcc
	v_add_lshl_u32 v3, v3, v2, 2
	ds_bpermute_b32 v3, v3, v1
	;; [unrolled: 9-line block ×3, first 2 shown]
	v_cmp_lt_u32_e32 vcc, v6, v5
	v_add_u32_e32 v4, 32, v4
	s_waitcnt lgkmcnt(0)
	v_cndmask_b32_e32 v3, 0, v3, vcc
	v_add_u32_e32 v1, v1, v3
	v_lshlrev_b32_e32 v3, 2, v2
	v_or_b32_e32 v6, 0x80, v3
	ds_bpermute_b32 v6, v6, v1
	v_cmp_lt_u32_e32 vcc, v4, v5
	s_waitcnt lgkmcnt(0)
	v_cndmask_b32_e32 v4, 0, v6, vcc
	v_add_u32_e32 v1, v1, v4
	v_cmp_eq_u32_e32 vcc, 0, v2
	s_and_saveexec_b64 s[0:1], vcc
; %bb.190:
	v_lshrrev_b32_e32 v4, 4, v0
	v_and_b32_e32 v4, 12, v4
	ds_write_b32 v4, v1 offset:96
; %bb.191:
	s_or_b64 exec, exec, s[0:1]
	v_cmp_gt_u32_e32 vcc, 4, v0
	s_waitcnt lgkmcnt(0)
	s_barrier
	s_and_saveexec_b64 s[0:1], vcc
	s_cbranch_execz .LBB1465_193
; %bb.192:
	ds_read_b32 v1, v3 offset:96
	v_and_b32_e32 v4, 3, v2
	v_cmp_ne_u32_e32 vcc, 3, v4
	v_addc_co_u32_e32 v2, vcc, 0, v2, vcc
	v_lshlrev_b32_e32 v2, 2, v2
	s_waitcnt lgkmcnt(0)
	ds_bpermute_b32 v2, v2, v1
	s_add_i32 s2, s2, 63
	s_lshr_b32 s2, s2, 6
	v_add_u32_e32 v5, 1, v4
	v_cmp_gt_u32_e32 vcc, s2, v5
	s_waitcnt lgkmcnt(0)
	v_cndmask_b32_e32 v2, 0, v2, vcc
	v_add_u32_e32 v1, v2, v1
	v_or_b32_e32 v2, 8, v3
	ds_bpermute_b32 v2, v2, v1
	v_add_u32_e32 v3, 2, v4
	v_cmp_gt_u32_e32 vcc, s2, v3
	s_waitcnt lgkmcnt(0)
	v_cndmask_b32_e32 v2, 0, v2, vcc
	v_add_u32_e32 v1, v1, v2
.LBB1465_193:
	s_or_b64 exec, exec, s[0:1]
.LBB1465_194:
	v_cmp_eq_u32_e64 s[0:1], 0, v0
	s_branch .LBB1465_178
.LBB1465_195:
	s_cmp_eq_u32 s33, 2
	s_cbranch_scc0 .LBB1465_202
; %bb.196:
	s_mov_b32 s7, 0
	s_lshl_b32 s10, s6, 9
	s_mov_b32 s11, s7
	s_lshr_b64 s[0:1], s[36:37], 9
	s_lshl_b64 s[8:9], s[10:11], 1
	s_add_u32 s2, s40, s8
	s_addc_u32 s3, s41, s9
	s_add_u32 s8, s42, s8
	s_addc_u32 s9, s43, s9
	s_cmp_lg_u64 s[0:1], s[6:7]
	s_cbranch_scc0 .LBB1465_203
; %bb.197:
	v_lshlrev_b32_e32 v1, 1, v0
	global_load_ushort v4, v1, s[2:3]
	global_load_ushort v5, v1, s[8:9]
	global_load_ushort v6, v1, s[8:9] offset:512
	global_load_ushort v7, v1, s[2:3] offset:512
	v_mbcnt_lo_u32_b32 v1, -1, 0
	v_mbcnt_hi_u32_b32 v2, -1, v1
	v_lshlrev_b32_e32 v3, 2, v2
	s_waitcnt vmcnt(2)
	v_cmp_ne_u16_e32 vcc, v4, v5
	v_cndmask_b32_e64 v1, 0, 1, vcc
	s_waitcnt vmcnt(0)
	v_cmp_ne_u16_e32 vcc, v7, v6
	v_addc_co_u32_e64 v4, s[0:1], 0, v1, vcc
	s_nop 1
	v_mov_b32_dpp v4, v4 quad_perm:[1,0,3,2] row_mask:0xf bank_mask:0xf bound_ctrl:1
	v_addc_co_u32_e32 v1, vcc, v4, v1, vcc
	v_or_b32_e32 v4, 0xfc, v3
	s_nop 0
	v_add_u32_dpp v1, v1, v1 quad_perm:[2,3,0,1] row_mask:0xf bank_mask:0xf bound_ctrl:1
	v_cmp_eq_u32_e32 vcc, 0, v2
	s_nop 0
	v_add_u32_dpp v1, v1, v1 row_ror:4 row_mask:0xf bank_mask:0xf bound_ctrl:1
	s_nop 1
	v_add_u32_dpp v1, v1, v1 row_ror:8 row_mask:0xf bank_mask:0xf bound_ctrl:1
	s_nop 1
	v_add_u32_dpp v1, v1, v1 row_bcast:15 row_mask:0xf bank_mask:0xf bound_ctrl:1
	s_nop 1
	v_add_u32_dpp v1, v1, v1 row_bcast:31 row_mask:0xf bank_mask:0xf bound_ctrl:1
	ds_bpermute_b32 v1, v4, v1
	s_and_saveexec_b64 s[0:1], vcc
	s_cbranch_execz .LBB1465_199
; %bb.198:
	v_lshrrev_b32_e32 v4, 4, v0
	v_and_b32_e32 v4, 12, v4
	s_waitcnt lgkmcnt(0)
	ds_write_b32 v4, v1 offset:32
.LBB1465_199:
	s_or_b64 exec, exec, s[0:1]
	v_cmp_gt_u32_e32 vcc, 64, v0
	s_waitcnt lgkmcnt(0)
	s_barrier
	s_and_saveexec_b64 s[0:1], vcc
	s_cbranch_execz .LBB1465_201
; %bb.200:
	v_and_b32_e32 v1, 3, v2
	v_lshlrev_b32_e32 v4, 2, v1
	ds_read_b32 v4, v4 offset:32
	v_cmp_ne_u32_e32 vcc, 3, v1
	v_addc_co_u32_e32 v1, vcc, 0, v2, vcc
	v_lshlrev_b32_e32 v1, 2, v1
	s_waitcnt lgkmcnt(0)
	ds_bpermute_b32 v1, v1, v4
	v_or_b32_e32 v2, 8, v3
	s_waitcnt lgkmcnt(0)
	v_add_u32_e32 v1, v1, v4
	ds_bpermute_b32 v2, v2, v1
	s_waitcnt lgkmcnt(0)
	v_add_u32_e32 v1, v2, v1
.LBB1465_201:
	s_or_b64 exec, exec, s[0:1]
	s_mov_b64 s[0:1], 0
	s_branch .LBB1465_204
.LBB1465_202:
                                        ; implicit-def: $vgpr1
	s_branch .LBB1465_224
.LBB1465_203:
	s_mov_b64 s[0:1], -1
                                        ; implicit-def: $vgpr1
.LBB1465_204:
	s_and_b64 vcc, exec, s[0:1]
	s_cbranch_vccz .LBB1465_214
; %bb.205:
	s_sub_i32 s12, s36, s10
	v_mov_b32_e32 v1, 0
	v_cmp_gt_u32_e32 vcc, s12, v0
	v_mov_b32_e32 v2, v1
	s_and_saveexec_b64 s[0:1], vcc
	s_cbranch_execz .LBB1465_207
; %bb.206:
	v_lshlrev_b32_e32 v2, 1, v0
	global_load_ushort v3, v2, s[2:3]
	global_load_ushort v4, v2, s[8:9]
	s_waitcnt vmcnt(0)
	v_cmp_ne_u16_e32 vcc, v3, v4
	v_cndmask_b32_e64 v2, 0, 1, vcc
	v_and_b32_e32 v2, 0xffff, v2
	v_mov_b32_e32 v3, v1
	v_mov_b32_e32 v1, v2
	;; [unrolled: 1-line block ×3, first 2 shown]
.LBB1465_207:
	s_or_b64 exec, exec, s[0:1]
	v_or_b32_e32 v3, 0x100, v0
	v_cmp_gt_u32_e32 vcc, s12, v3
	s_and_saveexec_b64 s[10:11], vcc
	s_cbranch_execz .LBB1465_209
; %bb.208:
	v_lshlrev_b32_e32 v2, 1, v0
	global_load_ushort v3, v2, s[2:3] offset:512
	global_load_ushort v4, v2, s[8:9] offset:512
	s_waitcnt vmcnt(0)
	v_cmp_ne_u16_e64 s[0:1], v3, v4
	v_cndmask_b32_e64 v2, 0, 1, s[0:1]
.LBB1465_209:
	s_or_b64 exec, exec, s[10:11]
	v_cndmask_b32_e32 v2, 0, v2, vcc
	v_add_u32_e32 v1, v2, v1
	v_mbcnt_lo_u32_b32 v2, -1, 0
	v_mbcnt_hi_u32_b32 v2, -1, v2
	v_and_b32_e32 v4, 63, v2
	v_cmp_ne_u32_e32 vcc, 63, v4
	v_addc_co_u32_e32 v3, vcc, 0, v2, vcc
	v_lshlrev_b32_e32 v3, 2, v3
	ds_bpermute_b32 v3, v3, v1
	s_min_u32 s2, s12, 0x100
	v_and_b32_e32 v5, 0xc0, v0
	v_sub_u32_e64 v5, s2, v5 clamp
	v_add_u32_e32 v6, 1, v4
	v_cmp_lt_u32_e32 vcc, v6, v5
	s_waitcnt lgkmcnt(0)
	v_cndmask_b32_e32 v3, 0, v3, vcc
	v_cmp_gt_u32_e32 vcc, 62, v4
	v_add_u32_e32 v1, v3, v1
	v_cndmask_b32_e64 v3, 0, 2, vcc
	v_add_lshl_u32 v3, v3, v2, 2
	ds_bpermute_b32 v3, v3, v1
	v_add_u32_e32 v6, 2, v4
	v_cmp_lt_u32_e32 vcc, v6, v5
	v_add_u32_e32 v6, 4, v4
	s_waitcnt lgkmcnt(0)
	v_cndmask_b32_e32 v3, 0, v3, vcc
	v_cmp_gt_u32_e32 vcc, 60, v4
	v_add_u32_e32 v1, v1, v3
	v_cndmask_b32_e64 v3, 0, 4, vcc
	v_add_lshl_u32 v3, v3, v2, 2
	ds_bpermute_b32 v3, v3, v1
	v_cmp_lt_u32_e32 vcc, v6, v5
	v_add_u32_e32 v6, 8, v4
	s_waitcnt lgkmcnt(0)
	v_cndmask_b32_e32 v3, 0, v3, vcc
	v_cmp_gt_u32_e32 vcc, 56, v4
	v_add_u32_e32 v1, v1, v3
	v_cndmask_b32_e64 v3, 0, 8, vcc
	v_add_lshl_u32 v3, v3, v2, 2
	ds_bpermute_b32 v3, v3, v1
	;; [unrolled: 9-line block ×3, first 2 shown]
	v_cmp_lt_u32_e32 vcc, v6, v5
	v_add_u32_e32 v4, 32, v4
	s_waitcnt lgkmcnt(0)
	v_cndmask_b32_e32 v3, 0, v3, vcc
	v_add_u32_e32 v1, v1, v3
	v_lshlrev_b32_e32 v3, 2, v2
	v_or_b32_e32 v6, 0x80, v3
	ds_bpermute_b32 v6, v6, v1
	v_cmp_lt_u32_e32 vcc, v4, v5
	s_waitcnt lgkmcnt(0)
	v_cndmask_b32_e32 v4, 0, v6, vcc
	v_add_u32_e32 v1, v1, v4
	v_cmp_eq_u32_e32 vcc, 0, v2
	s_and_saveexec_b64 s[0:1], vcc
; %bb.210:
	v_lshrrev_b32_e32 v4, 4, v0
	v_and_b32_e32 v4, 12, v4
	ds_write_b32 v4, v1 offset:96
; %bb.211:
	s_or_b64 exec, exec, s[0:1]
	v_cmp_gt_u32_e32 vcc, 4, v0
	s_waitcnt lgkmcnt(0)
	s_barrier
	s_and_saveexec_b64 s[0:1], vcc
	s_cbranch_execz .LBB1465_213
; %bb.212:
	ds_read_b32 v1, v3 offset:96
	v_and_b32_e32 v4, 3, v2
	v_cmp_ne_u32_e32 vcc, 3, v4
	v_addc_co_u32_e32 v2, vcc, 0, v2, vcc
	v_lshlrev_b32_e32 v2, 2, v2
	s_waitcnt lgkmcnt(0)
	ds_bpermute_b32 v2, v2, v1
	s_add_i32 s2, s2, 63
	s_lshr_b32 s2, s2, 6
	v_add_u32_e32 v5, 1, v4
	v_cmp_gt_u32_e32 vcc, s2, v5
	s_waitcnt lgkmcnt(0)
	v_cndmask_b32_e32 v2, 0, v2, vcc
	v_add_u32_e32 v1, v2, v1
	v_or_b32_e32 v2, 8, v3
	ds_bpermute_b32 v2, v2, v1
	v_add_u32_e32 v3, 2, v4
	v_cmp_gt_u32_e32 vcc, s2, v3
	s_waitcnt lgkmcnt(0)
	v_cndmask_b32_e32 v2, 0, v2, vcc
	v_add_u32_e32 v1, v1, v2
.LBB1465_213:
	s_or_b64 exec, exec, s[0:1]
.LBB1465_214:
	v_cmp_eq_u32_e64 s[0:1], 0, v0
	s_branch .LBB1465_224
.LBB1465_215:
	s_cmp_eq_u32 s33, 1
	s_cbranch_scc0 .LBB1465_223
; %bb.216:
	s_mov_b32 s3, 0
	s_lshl_b32 s2, s6, 8
	s_mov_b32 s7, s3
	s_lshr_b64 s[0:1], s[36:37], 8
	s_cmp_lg_u64 s[0:1], s[6:7]
	v_mbcnt_lo_u32_b32 v2, -1, 0
	s_cbranch_scc0 .LBB1465_227
; %bb.217:
	s_lshl_b64 s[0:1], s[2:3], 1
	s_add_u32 s8, s40, s0
	s_addc_u32 s9, s41, s1
	s_add_u32 s0, s42, s0
	v_lshlrev_b32_e32 v1, 1, v0
	s_addc_u32 s1, s43, s1
	global_load_ushort v5, v1, s[8:9]
	global_load_ushort v6, v1, s[0:1]
	v_mbcnt_hi_u32_b32 v3, -1, v2
	v_lshlrev_b32_e32 v4, 2, v3
	s_waitcnt vmcnt(0)
	v_cmp_ne_u16_e32 vcc, v5, v6
	v_cndmask_b32_e64 v1, 0, 1, vcc
	s_nop 1
	v_mov_b32_dpp v1, v1 quad_perm:[1,0,3,2] row_mask:0xf bank_mask:0xf bound_ctrl:1
	v_addc_co_u32_e64 v5, s[0:1], 0, v1, vcc
	s_nop 1
	v_mov_b32_dpp v5, v5 quad_perm:[2,3,0,1] row_mask:0xf bank_mask:0xf bound_ctrl:1
	v_addc_co_u32_e32 v1, vcc, v5, v1, vcc
	v_or_b32_e32 v5, 0xfc, v4
	s_nop 0
	v_add_u32_dpp v1, v1, v1 row_ror:4 row_mask:0xf bank_mask:0xf bound_ctrl:1
	v_cmp_eq_u32_e32 vcc, 0, v3
	s_nop 0
	v_add_u32_dpp v1, v1, v1 row_ror:8 row_mask:0xf bank_mask:0xf bound_ctrl:1
	s_nop 1
	v_add_u32_dpp v1, v1, v1 row_bcast:15 row_mask:0xf bank_mask:0xf bound_ctrl:1
	s_nop 1
	v_add_u32_dpp v1, v1, v1 row_bcast:31 row_mask:0xf bank_mask:0xf bound_ctrl:1
	ds_bpermute_b32 v1, v5, v1
	s_and_saveexec_b64 s[0:1], vcc
	s_cbranch_execz .LBB1465_219
; %bb.218:
	v_lshrrev_b32_e32 v5, 4, v0
	v_and_b32_e32 v5, 12, v5
	s_waitcnt lgkmcnt(0)
	ds_write_b32 v5, v1 offset:16
.LBB1465_219:
	s_or_b64 exec, exec, s[0:1]
	v_cmp_gt_u32_e32 vcc, 64, v0
	s_waitcnt lgkmcnt(0)
	s_barrier
	s_and_saveexec_b64 s[0:1], vcc
	s_cbranch_execz .LBB1465_221
; %bb.220:
	v_and_b32_e32 v1, 3, v3
	v_lshlrev_b32_e32 v5, 2, v1
	ds_read_b32 v5, v5 offset:16
	v_cmp_ne_u32_e32 vcc, 3, v1
	v_addc_co_u32_e32 v1, vcc, 0, v3, vcc
	v_lshlrev_b32_e32 v1, 2, v1
	s_waitcnt lgkmcnt(0)
	ds_bpermute_b32 v1, v1, v5
	v_or_b32_e32 v3, 8, v4
	s_waitcnt lgkmcnt(0)
	v_add_u32_e32 v1, v1, v5
	ds_bpermute_b32 v3, v3, v1
	s_waitcnt lgkmcnt(0)
	v_add_u32_e32 v1, v3, v1
.LBB1465_221:
	s_or_b64 exec, exec, s[0:1]
.LBB1465_222:
	v_cmp_eq_u32_e64 s[0:1], 0, v0
	s_and_saveexec_b64 s[2:3], s[0:1]
	s_cbranch_execnz .LBB1465_225
	s_branch .LBB1465_226
.LBB1465_223:
                                        ; implicit-def: $vgpr1
                                        ; implicit-def: $sgpr6_sgpr7
.LBB1465_224:
	s_and_saveexec_b64 s[2:3], s[0:1]
	s_cbranch_execz .LBB1465_226
.LBB1465_225:
	s_lshl_b64 s[0:1], s[6:7], 2
	s_load_dword s2, s[4:5], 0x30
	s_add_u32 s0, s38, s0
	s_addc_u32 s1, s39, s1
	s_cmp_lg_u64 s[36:37], 0
	s_cselect_b64 vcc, -1, 0
	v_cndmask_b32_e32 v1, 0, v1, vcc
	v_mov_b32_e32 v0, 0
	s_waitcnt lgkmcnt(0)
	v_add_u32_e32 v1, s2, v1
	global_store_dword v0, v1, s[0:1]
.LBB1465_226:
	s_endpgm
.LBB1465_227:
                                        ; implicit-def: $vgpr1
	s_cbranch_execz .LBB1465_222
; %bb.228:
	s_sub_i32 s8, s36, s2
	v_cmp_gt_u32_e32 vcc, s8, v0
                                        ; implicit-def: $vgpr1
	s_and_saveexec_b64 s[0:1], vcc
	s_cbranch_execz .LBB1465_230
; %bb.229:
	s_lshl_b64 s[2:3], s[2:3], 1
	s_add_u32 s10, s42, s2
	s_addc_u32 s11, s43, s3
	s_add_u32 s2, s40, s2
	v_lshlrev_b32_e32 v1, 1, v0
	s_addc_u32 s3, s41, s3
	global_load_ushort v3, v1, s[2:3]
	global_load_ushort v4, v1, s[10:11]
	s_waitcnt vmcnt(0)
	v_cmp_ne_u16_e32 vcc, v3, v4
	v_cndmask_b32_e64 v1, 0, 1, vcc
.LBB1465_230:
	s_or_b64 exec, exec, s[0:1]
	v_mbcnt_hi_u32_b32 v2, -1, v2
	v_and_b32_e32 v4, 63, v2
	v_cmp_ne_u32_e32 vcc, 63, v4
	v_addc_co_u32_e32 v3, vcc, 0, v2, vcc
	v_lshlrev_b32_e32 v3, 2, v3
	ds_bpermute_b32 v3, v3, v1
	s_min_u32 s2, s8, 0x100
	v_and_b32_e32 v5, 0xc0, v0
	v_sub_u32_e64 v5, s2, v5 clamp
	v_add_u32_e32 v6, 1, v4
	v_cmp_lt_u32_e32 vcc, v6, v5
	s_waitcnt lgkmcnt(0)
	v_cndmask_b32_e32 v3, 0, v3, vcc
	v_cmp_gt_u32_e32 vcc, 62, v4
	v_add_u32_e32 v1, v3, v1
	v_cndmask_b32_e64 v3, 0, 2, vcc
	v_add_lshl_u32 v3, v3, v2, 2
	ds_bpermute_b32 v3, v3, v1
	v_add_u32_e32 v6, 2, v4
	v_cmp_lt_u32_e32 vcc, v6, v5
	v_add_u32_e32 v6, 4, v4
	s_waitcnt lgkmcnt(0)
	v_cndmask_b32_e32 v3, 0, v3, vcc
	v_cmp_gt_u32_e32 vcc, 60, v4
	v_add_u32_e32 v1, v1, v3
	v_cndmask_b32_e64 v3, 0, 4, vcc
	v_add_lshl_u32 v3, v3, v2, 2
	ds_bpermute_b32 v3, v3, v1
	v_cmp_lt_u32_e32 vcc, v6, v5
	v_add_u32_e32 v6, 8, v4
	s_waitcnt lgkmcnt(0)
	v_cndmask_b32_e32 v3, 0, v3, vcc
	v_cmp_gt_u32_e32 vcc, 56, v4
	v_add_u32_e32 v1, v1, v3
	v_cndmask_b32_e64 v3, 0, 8, vcc
	v_add_lshl_u32 v3, v3, v2, 2
	ds_bpermute_b32 v3, v3, v1
	;; [unrolled: 9-line block ×3, first 2 shown]
	v_cmp_lt_u32_e32 vcc, v6, v5
	v_add_u32_e32 v4, 32, v4
	s_waitcnt lgkmcnt(0)
	v_cndmask_b32_e32 v3, 0, v3, vcc
	v_add_u32_e32 v1, v1, v3
	v_lshlrev_b32_e32 v3, 2, v2
	v_or_b32_e32 v6, 0x80, v3
	ds_bpermute_b32 v6, v6, v1
	v_cmp_lt_u32_e32 vcc, v4, v5
	s_waitcnt lgkmcnt(0)
	v_cndmask_b32_e32 v4, 0, v6, vcc
	v_add_u32_e32 v1, v1, v4
	v_cmp_eq_u32_e32 vcc, 0, v2
	s_and_saveexec_b64 s[0:1], vcc
; %bb.231:
	v_lshrrev_b32_e32 v4, 4, v0
	v_and_b32_e32 v4, 12, v4
	ds_write_b32 v4, v1 offset:96
; %bb.232:
	s_or_b64 exec, exec, s[0:1]
	v_cmp_gt_u32_e32 vcc, 4, v0
	s_waitcnt lgkmcnt(0)
	s_barrier
	s_and_saveexec_b64 s[0:1], vcc
	s_cbranch_execz .LBB1465_234
; %bb.233:
	ds_read_b32 v1, v3 offset:96
	v_and_b32_e32 v4, 3, v2
	v_cmp_ne_u32_e32 vcc, 3, v4
	v_addc_co_u32_e32 v2, vcc, 0, v2, vcc
	v_lshlrev_b32_e32 v2, 2, v2
	s_waitcnt lgkmcnt(0)
	ds_bpermute_b32 v2, v2, v1
	s_add_i32 s2, s2, 63
	s_lshr_b32 s2, s2, 6
	v_add_u32_e32 v5, 1, v4
	v_cmp_gt_u32_e32 vcc, s2, v5
	s_waitcnt lgkmcnt(0)
	v_cndmask_b32_e32 v2, 0, v2, vcc
	v_add_u32_e32 v1, v2, v1
	v_or_b32_e32 v2, 8, v3
	ds_bpermute_b32 v2, v2, v1
	v_add_u32_e32 v3, 2, v4
	v_cmp_gt_u32_e32 vcc, s2, v3
	s_waitcnt lgkmcnt(0)
	v_cndmask_b32_e32 v2, 0, v2, vcc
	v_add_u32_e32 v1, v1, v2
.LBB1465_234:
	s_or_b64 exec, exec, s[0:1]
	v_cmp_eq_u32_e64 s[0:1], 0, v0
	s_and_saveexec_b64 s[2:3], s[0:1]
	s_cbranch_execnz .LBB1465_225
	s_branch .LBB1465_226
	.section	.rodata,"a",@progbits
	.p2align	6, 0x0
	.amdhsa_kernel _ZN7rocprim17ROCPRIM_400000_NS6detail17trampoline_kernelINS0_14default_configENS1_22reduce_config_selectorIiEEZNS1_11reduce_implILb1ES3_N6thrust23THRUST_200600_302600_NS11hip_rocprim35transform_pair_of_input_iterators_tIiPsSB_NS8_12not_equal_toIsEEEEPiiNS8_4plusIiEEEE10hipError_tPvRmT1_T2_T3_mT4_P12ihipStream_tbEUlT_E1_NS1_11comp_targetILNS1_3genE2ELNS1_11target_archE906ELNS1_3gpuE6ELNS1_3repE0EEENS1_30default_config_static_selectorELNS0_4arch9wavefront6targetE1EEEvSL_
		.amdhsa_group_segment_fixed_size 112
		.amdhsa_private_segment_fixed_size 0
		.amdhsa_kernarg_size 56
		.amdhsa_user_sgpr_count 6
		.amdhsa_user_sgpr_private_segment_buffer 1
		.amdhsa_user_sgpr_dispatch_ptr 0
		.amdhsa_user_sgpr_queue_ptr 0
		.amdhsa_user_sgpr_kernarg_segment_ptr 1
		.amdhsa_user_sgpr_dispatch_id 0
		.amdhsa_user_sgpr_flat_scratch_init 0
		.amdhsa_user_sgpr_private_segment_size 0
		.amdhsa_uses_dynamic_stack 0
		.amdhsa_system_sgpr_private_segment_wavefront_offset 0
		.amdhsa_system_sgpr_workgroup_id_x 1
		.amdhsa_system_sgpr_workgroup_id_y 0
		.amdhsa_system_sgpr_workgroup_id_z 0
		.amdhsa_system_sgpr_workgroup_info 0
		.amdhsa_system_vgpr_workitem_id 0
		.amdhsa_next_free_vgpr 35
		.amdhsa_next_free_sgpr 52
		.amdhsa_reserve_vcc 1
		.amdhsa_reserve_flat_scratch 0
		.amdhsa_float_round_mode_32 0
		.amdhsa_float_round_mode_16_64 0
		.amdhsa_float_denorm_mode_32 3
		.amdhsa_float_denorm_mode_16_64 3
		.amdhsa_dx10_clamp 1
		.amdhsa_ieee_mode 1
		.amdhsa_fp16_overflow 0
		.amdhsa_exception_fp_ieee_invalid_op 0
		.amdhsa_exception_fp_denorm_src 0
		.amdhsa_exception_fp_ieee_div_zero 0
		.amdhsa_exception_fp_ieee_overflow 0
		.amdhsa_exception_fp_ieee_underflow 0
		.amdhsa_exception_fp_ieee_inexact 0
		.amdhsa_exception_int_div_zero 0
	.end_amdhsa_kernel
	.section	.text._ZN7rocprim17ROCPRIM_400000_NS6detail17trampoline_kernelINS0_14default_configENS1_22reduce_config_selectorIiEEZNS1_11reduce_implILb1ES3_N6thrust23THRUST_200600_302600_NS11hip_rocprim35transform_pair_of_input_iterators_tIiPsSB_NS8_12not_equal_toIsEEEEPiiNS8_4plusIiEEEE10hipError_tPvRmT1_T2_T3_mT4_P12ihipStream_tbEUlT_E1_NS1_11comp_targetILNS1_3genE2ELNS1_11target_archE906ELNS1_3gpuE6ELNS1_3repE0EEENS1_30default_config_static_selectorELNS0_4arch9wavefront6targetE1EEEvSL_,"axG",@progbits,_ZN7rocprim17ROCPRIM_400000_NS6detail17trampoline_kernelINS0_14default_configENS1_22reduce_config_selectorIiEEZNS1_11reduce_implILb1ES3_N6thrust23THRUST_200600_302600_NS11hip_rocprim35transform_pair_of_input_iterators_tIiPsSB_NS8_12not_equal_toIsEEEEPiiNS8_4plusIiEEEE10hipError_tPvRmT1_T2_T3_mT4_P12ihipStream_tbEUlT_E1_NS1_11comp_targetILNS1_3genE2ELNS1_11target_archE906ELNS1_3gpuE6ELNS1_3repE0EEENS1_30default_config_static_selectorELNS0_4arch9wavefront6targetE1EEEvSL_,comdat
.Lfunc_end1465:
	.size	_ZN7rocprim17ROCPRIM_400000_NS6detail17trampoline_kernelINS0_14default_configENS1_22reduce_config_selectorIiEEZNS1_11reduce_implILb1ES3_N6thrust23THRUST_200600_302600_NS11hip_rocprim35transform_pair_of_input_iterators_tIiPsSB_NS8_12not_equal_toIsEEEEPiiNS8_4plusIiEEEE10hipError_tPvRmT1_T2_T3_mT4_P12ihipStream_tbEUlT_E1_NS1_11comp_targetILNS1_3genE2ELNS1_11target_archE906ELNS1_3gpuE6ELNS1_3repE0EEENS1_30default_config_static_selectorELNS0_4arch9wavefront6targetE1EEEvSL_, .Lfunc_end1465-_ZN7rocprim17ROCPRIM_400000_NS6detail17trampoline_kernelINS0_14default_configENS1_22reduce_config_selectorIiEEZNS1_11reduce_implILb1ES3_N6thrust23THRUST_200600_302600_NS11hip_rocprim35transform_pair_of_input_iterators_tIiPsSB_NS8_12not_equal_toIsEEEEPiiNS8_4plusIiEEEE10hipError_tPvRmT1_T2_T3_mT4_P12ihipStream_tbEUlT_E1_NS1_11comp_targetILNS1_3genE2ELNS1_11target_archE906ELNS1_3gpuE6ELNS1_3repE0EEENS1_30default_config_static_selectorELNS0_4arch9wavefront6targetE1EEEvSL_
                                        ; -- End function
	.set _ZN7rocprim17ROCPRIM_400000_NS6detail17trampoline_kernelINS0_14default_configENS1_22reduce_config_selectorIiEEZNS1_11reduce_implILb1ES3_N6thrust23THRUST_200600_302600_NS11hip_rocprim35transform_pair_of_input_iterators_tIiPsSB_NS8_12not_equal_toIsEEEEPiiNS8_4plusIiEEEE10hipError_tPvRmT1_T2_T3_mT4_P12ihipStream_tbEUlT_E1_NS1_11comp_targetILNS1_3genE2ELNS1_11target_archE906ELNS1_3gpuE6ELNS1_3repE0EEENS1_30default_config_static_selectorELNS0_4arch9wavefront6targetE1EEEvSL_.num_vgpr, 35
	.set _ZN7rocprim17ROCPRIM_400000_NS6detail17trampoline_kernelINS0_14default_configENS1_22reduce_config_selectorIiEEZNS1_11reduce_implILb1ES3_N6thrust23THRUST_200600_302600_NS11hip_rocprim35transform_pair_of_input_iterators_tIiPsSB_NS8_12not_equal_toIsEEEEPiiNS8_4plusIiEEEE10hipError_tPvRmT1_T2_T3_mT4_P12ihipStream_tbEUlT_E1_NS1_11comp_targetILNS1_3genE2ELNS1_11target_archE906ELNS1_3gpuE6ELNS1_3repE0EEENS1_30default_config_static_selectorELNS0_4arch9wavefront6targetE1EEEvSL_.num_agpr, 0
	.set _ZN7rocprim17ROCPRIM_400000_NS6detail17trampoline_kernelINS0_14default_configENS1_22reduce_config_selectorIiEEZNS1_11reduce_implILb1ES3_N6thrust23THRUST_200600_302600_NS11hip_rocprim35transform_pair_of_input_iterators_tIiPsSB_NS8_12not_equal_toIsEEEEPiiNS8_4plusIiEEEE10hipError_tPvRmT1_T2_T3_mT4_P12ihipStream_tbEUlT_E1_NS1_11comp_targetILNS1_3genE2ELNS1_11target_archE906ELNS1_3gpuE6ELNS1_3repE0EEENS1_30default_config_static_selectorELNS0_4arch9wavefront6targetE1EEEvSL_.numbered_sgpr, 52
	.set _ZN7rocprim17ROCPRIM_400000_NS6detail17trampoline_kernelINS0_14default_configENS1_22reduce_config_selectorIiEEZNS1_11reduce_implILb1ES3_N6thrust23THRUST_200600_302600_NS11hip_rocprim35transform_pair_of_input_iterators_tIiPsSB_NS8_12not_equal_toIsEEEEPiiNS8_4plusIiEEEE10hipError_tPvRmT1_T2_T3_mT4_P12ihipStream_tbEUlT_E1_NS1_11comp_targetILNS1_3genE2ELNS1_11target_archE906ELNS1_3gpuE6ELNS1_3repE0EEENS1_30default_config_static_selectorELNS0_4arch9wavefront6targetE1EEEvSL_.num_named_barrier, 0
	.set _ZN7rocprim17ROCPRIM_400000_NS6detail17trampoline_kernelINS0_14default_configENS1_22reduce_config_selectorIiEEZNS1_11reduce_implILb1ES3_N6thrust23THRUST_200600_302600_NS11hip_rocprim35transform_pair_of_input_iterators_tIiPsSB_NS8_12not_equal_toIsEEEEPiiNS8_4plusIiEEEE10hipError_tPvRmT1_T2_T3_mT4_P12ihipStream_tbEUlT_E1_NS1_11comp_targetILNS1_3genE2ELNS1_11target_archE906ELNS1_3gpuE6ELNS1_3repE0EEENS1_30default_config_static_selectorELNS0_4arch9wavefront6targetE1EEEvSL_.private_seg_size, 0
	.set _ZN7rocprim17ROCPRIM_400000_NS6detail17trampoline_kernelINS0_14default_configENS1_22reduce_config_selectorIiEEZNS1_11reduce_implILb1ES3_N6thrust23THRUST_200600_302600_NS11hip_rocprim35transform_pair_of_input_iterators_tIiPsSB_NS8_12not_equal_toIsEEEEPiiNS8_4plusIiEEEE10hipError_tPvRmT1_T2_T3_mT4_P12ihipStream_tbEUlT_E1_NS1_11comp_targetILNS1_3genE2ELNS1_11target_archE906ELNS1_3gpuE6ELNS1_3repE0EEENS1_30default_config_static_selectorELNS0_4arch9wavefront6targetE1EEEvSL_.uses_vcc, 1
	.set _ZN7rocprim17ROCPRIM_400000_NS6detail17trampoline_kernelINS0_14default_configENS1_22reduce_config_selectorIiEEZNS1_11reduce_implILb1ES3_N6thrust23THRUST_200600_302600_NS11hip_rocprim35transform_pair_of_input_iterators_tIiPsSB_NS8_12not_equal_toIsEEEEPiiNS8_4plusIiEEEE10hipError_tPvRmT1_T2_T3_mT4_P12ihipStream_tbEUlT_E1_NS1_11comp_targetILNS1_3genE2ELNS1_11target_archE906ELNS1_3gpuE6ELNS1_3repE0EEENS1_30default_config_static_selectorELNS0_4arch9wavefront6targetE1EEEvSL_.uses_flat_scratch, 0
	.set _ZN7rocprim17ROCPRIM_400000_NS6detail17trampoline_kernelINS0_14default_configENS1_22reduce_config_selectorIiEEZNS1_11reduce_implILb1ES3_N6thrust23THRUST_200600_302600_NS11hip_rocprim35transform_pair_of_input_iterators_tIiPsSB_NS8_12not_equal_toIsEEEEPiiNS8_4plusIiEEEE10hipError_tPvRmT1_T2_T3_mT4_P12ihipStream_tbEUlT_E1_NS1_11comp_targetILNS1_3genE2ELNS1_11target_archE906ELNS1_3gpuE6ELNS1_3repE0EEENS1_30default_config_static_selectorELNS0_4arch9wavefront6targetE1EEEvSL_.has_dyn_sized_stack, 0
	.set _ZN7rocprim17ROCPRIM_400000_NS6detail17trampoline_kernelINS0_14default_configENS1_22reduce_config_selectorIiEEZNS1_11reduce_implILb1ES3_N6thrust23THRUST_200600_302600_NS11hip_rocprim35transform_pair_of_input_iterators_tIiPsSB_NS8_12not_equal_toIsEEEEPiiNS8_4plusIiEEEE10hipError_tPvRmT1_T2_T3_mT4_P12ihipStream_tbEUlT_E1_NS1_11comp_targetILNS1_3genE2ELNS1_11target_archE906ELNS1_3gpuE6ELNS1_3repE0EEENS1_30default_config_static_selectorELNS0_4arch9wavefront6targetE1EEEvSL_.has_recursion, 0
	.set _ZN7rocprim17ROCPRIM_400000_NS6detail17trampoline_kernelINS0_14default_configENS1_22reduce_config_selectorIiEEZNS1_11reduce_implILb1ES3_N6thrust23THRUST_200600_302600_NS11hip_rocprim35transform_pair_of_input_iterators_tIiPsSB_NS8_12not_equal_toIsEEEEPiiNS8_4plusIiEEEE10hipError_tPvRmT1_T2_T3_mT4_P12ihipStream_tbEUlT_E1_NS1_11comp_targetILNS1_3genE2ELNS1_11target_archE906ELNS1_3gpuE6ELNS1_3repE0EEENS1_30default_config_static_selectorELNS0_4arch9wavefront6targetE1EEEvSL_.has_indirect_call, 0
	.section	.AMDGPU.csdata,"",@progbits
; Kernel info:
; codeLenInByte = 12016
; TotalNumSgprs: 56
; NumVgprs: 35
; ScratchSize: 0
; MemoryBound: 0
; FloatMode: 240
; IeeeMode: 1
; LDSByteSize: 112 bytes/workgroup (compile time only)
; SGPRBlocks: 6
; VGPRBlocks: 8
; NumSGPRsForWavesPerEU: 56
; NumVGPRsForWavesPerEU: 35
; Occupancy: 7
; WaveLimiterHint : 0
; COMPUTE_PGM_RSRC2:SCRATCH_EN: 0
; COMPUTE_PGM_RSRC2:USER_SGPR: 6
; COMPUTE_PGM_RSRC2:TRAP_HANDLER: 0
; COMPUTE_PGM_RSRC2:TGID_X_EN: 1
; COMPUTE_PGM_RSRC2:TGID_Y_EN: 0
; COMPUTE_PGM_RSRC2:TGID_Z_EN: 0
; COMPUTE_PGM_RSRC2:TIDIG_COMP_CNT: 0
	.section	.text._ZN7rocprim17ROCPRIM_400000_NS6detail17trampoline_kernelINS0_14default_configENS1_22reduce_config_selectorIiEEZNS1_11reduce_implILb1ES3_N6thrust23THRUST_200600_302600_NS11hip_rocprim35transform_pair_of_input_iterators_tIiPsSB_NS8_12not_equal_toIsEEEEPiiNS8_4plusIiEEEE10hipError_tPvRmT1_T2_T3_mT4_P12ihipStream_tbEUlT_E1_NS1_11comp_targetILNS1_3genE10ELNS1_11target_archE1201ELNS1_3gpuE5ELNS1_3repE0EEENS1_30default_config_static_selectorELNS0_4arch9wavefront6targetE1EEEvSL_,"axG",@progbits,_ZN7rocprim17ROCPRIM_400000_NS6detail17trampoline_kernelINS0_14default_configENS1_22reduce_config_selectorIiEEZNS1_11reduce_implILb1ES3_N6thrust23THRUST_200600_302600_NS11hip_rocprim35transform_pair_of_input_iterators_tIiPsSB_NS8_12not_equal_toIsEEEEPiiNS8_4plusIiEEEE10hipError_tPvRmT1_T2_T3_mT4_P12ihipStream_tbEUlT_E1_NS1_11comp_targetILNS1_3genE10ELNS1_11target_archE1201ELNS1_3gpuE5ELNS1_3repE0EEENS1_30default_config_static_selectorELNS0_4arch9wavefront6targetE1EEEvSL_,comdat
	.protected	_ZN7rocprim17ROCPRIM_400000_NS6detail17trampoline_kernelINS0_14default_configENS1_22reduce_config_selectorIiEEZNS1_11reduce_implILb1ES3_N6thrust23THRUST_200600_302600_NS11hip_rocprim35transform_pair_of_input_iterators_tIiPsSB_NS8_12not_equal_toIsEEEEPiiNS8_4plusIiEEEE10hipError_tPvRmT1_T2_T3_mT4_P12ihipStream_tbEUlT_E1_NS1_11comp_targetILNS1_3genE10ELNS1_11target_archE1201ELNS1_3gpuE5ELNS1_3repE0EEENS1_30default_config_static_selectorELNS0_4arch9wavefront6targetE1EEEvSL_ ; -- Begin function _ZN7rocprim17ROCPRIM_400000_NS6detail17trampoline_kernelINS0_14default_configENS1_22reduce_config_selectorIiEEZNS1_11reduce_implILb1ES3_N6thrust23THRUST_200600_302600_NS11hip_rocprim35transform_pair_of_input_iterators_tIiPsSB_NS8_12not_equal_toIsEEEEPiiNS8_4plusIiEEEE10hipError_tPvRmT1_T2_T3_mT4_P12ihipStream_tbEUlT_E1_NS1_11comp_targetILNS1_3genE10ELNS1_11target_archE1201ELNS1_3gpuE5ELNS1_3repE0EEENS1_30default_config_static_selectorELNS0_4arch9wavefront6targetE1EEEvSL_
	.globl	_ZN7rocprim17ROCPRIM_400000_NS6detail17trampoline_kernelINS0_14default_configENS1_22reduce_config_selectorIiEEZNS1_11reduce_implILb1ES3_N6thrust23THRUST_200600_302600_NS11hip_rocprim35transform_pair_of_input_iterators_tIiPsSB_NS8_12not_equal_toIsEEEEPiiNS8_4plusIiEEEE10hipError_tPvRmT1_T2_T3_mT4_P12ihipStream_tbEUlT_E1_NS1_11comp_targetILNS1_3genE10ELNS1_11target_archE1201ELNS1_3gpuE5ELNS1_3repE0EEENS1_30default_config_static_selectorELNS0_4arch9wavefront6targetE1EEEvSL_
	.p2align	8
	.type	_ZN7rocprim17ROCPRIM_400000_NS6detail17trampoline_kernelINS0_14default_configENS1_22reduce_config_selectorIiEEZNS1_11reduce_implILb1ES3_N6thrust23THRUST_200600_302600_NS11hip_rocprim35transform_pair_of_input_iterators_tIiPsSB_NS8_12not_equal_toIsEEEEPiiNS8_4plusIiEEEE10hipError_tPvRmT1_T2_T3_mT4_P12ihipStream_tbEUlT_E1_NS1_11comp_targetILNS1_3genE10ELNS1_11target_archE1201ELNS1_3gpuE5ELNS1_3repE0EEENS1_30default_config_static_selectorELNS0_4arch9wavefront6targetE1EEEvSL_,@function
_ZN7rocprim17ROCPRIM_400000_NS6detail17trampoline_kernelINS0_14default_configENS1_22reduce_config_selectorIiEEZNS1_11reduce_implILb1ES3_N6thrust23THRUST_200600_302600_NS11hip_rocprim35transform_pair_of_input_iterators_tIiPsSB_NS8_12not_equal_toIsEEEEPiiNS8_4plusIiEEEE10hipError_tPvRmT1_T2_T3_mT4_P12ihipStream_tbEUlT_E1_NS1_11comp_targetILNS1_3genE10ELNS1_11target_archE1201ELNS1_3gpuE5ELNS1_3repE0EEENS1_30default_config_static_selectorELNS0_4arch9wavefront6targetE1EEEvSL_: ; @_ZN7rocprim17ROCPRIM_400000_NS6detail17trampoline_kernelINS0_14default_configENS1_22reduce_config_selectorIiEEZNS1_11reduce_implILb1ES3_N6thrust23THRUST_200600_302600_NS11hip_rocprim35transform_pair_of_input_iterators_tIiPsSB_NS8_12not_equal_toIsEEEEPiiNS8_4plusIiEEEE10hipError_tPvRmT1_T2_T3_mT4_P12ihipStream_tbEUlT_E1_NS1_11comp_targetILNS1_3genE10ELNS1_11target_archE1201ELNS1_3gpuE5ELNS1_3repE0EEENS1_30default_config_static_selectorELNS0_4arch9wavefront6targetE1EEEvSL_
; %bb.0:
	.section	.rodata,"a",@progbits
	.p2align	6, 0x0
	.amdhsa_kernel _ZN7rocprim17ROCPRIM_400000_NS6detail17trampoline_kernelINS0_14default_configENS1_22reduce_config_selectorIiEEZNS1_11reduce_implILb1ES3_N6thrust23THRUST_200600_302600_NS11hip_rocprim35transform_pair_of_input_iterators_tIiPsSB_NS8_12not_equal_toIsEEEEPiiNS8_4plusIiEEEE10hipError_tPvRmT1_T2_T3_mT4_P12ihipStream_tbEUlT_E1_NS1_11comp_targetILNS1_3genE10ELNS1_11target_archE1201ELNS1_3gpuE5ELNS1_3repE0EEENS1_30default_config_static_selectorELNS0_4arch9wavefront6targetE1EEEvSL_
		.amdhsa_group_segment_fixed_size 0
		.amdhsa_private_segment_fixed_size 0
		.amdhsa_kernarg_size 56
		.amdhsa_user_sgpr_count 6
		.amdhsa_user_sgpr_private_segment_buffer 1
		.amdhsa_user_sgpr_dispatch_ptr 0
		.amdhsa_user_sgpr_queue_ptr 0
		.amdhsa_user_sgpr_kernarg_segment_ptr 1
		.amdhsa_user_sgpr_dispatch_id 0
		.amdhsa_user_sgpr_flat_scratch_init 0
		.amdhsa_user_sgpr_private_segment_size 0
		.amdhsa_uses_dynamic_stack 0
		.amdhsa_system_sgpr_private_segment_wavefront_offset 0
		.amdhsa_system_sgpr_workgroup_id_x 1
		.amdhsa_system_sgpr_workgroup_id_y 0
		.amdhsa_system_sgpr_workgroup_id_z 0
		.amdhsa_system_sgpr_workgroup_info 0
		.amdhsa_system_vgpr_workitem_id 0
		.amdhsa_next_free_vgpr 1
		.amdhsa_next_free_sgpr 0
		.amdhsa_reserve_vcc 0
		.amdhsa_reserve_flat_scratch 0
		.amdhsa_float_round_mode_32 0
		.amdhsa_float_round_mode_16_64 0
		.amdhsa_float_denorm_mode_32 3
		.amdhsa_float_denorm_mode_16_64 3
		.amdhsa_dx10_clamp 1
		.amdhsa_ieee_mode 1
		.amdhsa_fp16_overflow 0
		.amdhsa_exception_fp_ieee_invalid_op 0
		.amdhsa_exception_fp_denorm_src 0
		.amdhsa_exception_fp_ieee_div_zero 0
		.amdhsa_exception_fp_ieee_overflow 0
		.amdhsa_exception_fp_ieee_underflow 0
		.amdhsa_exception_fp_ieee_inexact 0
		.amdhsa_exception_int_div_zero 0
	.end_amdhsa_kernel
	.section	.text._ZN7rocprim17ROCPRIM_400000_NS6detail17trampoline_kernelINS0_14default_configENS1_22reduce_config_selectorIiEEZNS1_11reduce_implILb1ES3_N6thrust23THRUST_200600_302600_NS11hip_rocprim35transform_pair_of_input_iterators_tIiPsSB_NS8_12not_equal_toIsEEEEPiiNS8_4plusIiEEEE10hipError_tPvRmT1_T2_T3_mT4_P12ihipStream_tbEUlT_E1_NS1_11comp_targetILNS1_3genE10ELNS1_11target_archE1201ELNS1_3gpuE5ELNS1_3repE0EEENS1_30default_config_static_selectorELNS0_4arch9wavefront6targetE1EEEvSL_,"axG",@progbits,_ZN7rocprim17ROCPRIM_400000_NS6detail17trampoline_kernelINS0_14default_configENS1_22reduce_config_selectorIiEEZNS1_11reduce_implILb1ES3_N6thrust23THRUST_200600_302600_NS11hip_rocprim35transform_pair_of_input_iterators_tIiPsSB_NS8_12not_equal_toIsEEEEPiiNS8_4plusIiEEEE10hipError_tPvRmT1_T2_T3_mT4_P12ihipStream_tbEUlT_E1_NS1_11comp_targetILNS1_3genE10ELNS1_11target_archE1201ELNS1_3gpuE5ELNS1_3repE0EEENS1_30default_config_static_selectorELNS0_4arch9wavefront6targetE1EEEvSL_,comdat
.Lfunc_end1466:
	.size	_ZN7rocprim17ROCPRIM_400000_NS6detail17trampoline_kernelINS0_14default_configENS1_22reduce_config_selectorIiEEZNS1_11reduce_implILb1ES3_N6thrust23THRUST_200600_302600_NS11hip_rocprim35transform_pair_of_input_iterators_tIiPsSB_NS8_12not_equal_toIsEEEEPiiNS8_4plusIiEEEE10hipError_tPvRmT1_T2_T3_mT4_P12ihipStream_tbEUlT_E1_NS1_11comp_targetILNS1_3genE10ELNS1_11target_archE1201ELNS1_3gpuE5ELNS1_3repE0EEENS1_30default_config_static_selectorELNS0_4arch9wavefront6targetE1EEEvSL_, .Lfunc_end1466-_ZN7rocprim17ROCPRIM_400000_NS6detail17trampoline_kernelINS0_14default_configENS1_22reduce_config_selectorIiEEZNS1_11reduce_implILb1ES3_N6thrust23THRUST_200600_302600_NS11hip_rocprim35transform_pair_of_input_iterators_tIiPsSB_NS8_12not_equal_toIsEEEEPiiNS8_4plusIiEEEE10hipError_tPvRmT1_T2_T3_mT4_P12ihipStream_tbEUlT_E1_NS1_11comp_targetILNS1_3genE10ELNS1_11target_archE1201ELNS1_3gpuE5ELNS1_3repE0EEENS1_30default_config_static_selectorELNS0_4arch9wavefront6targetE1EEEvSL_
                                        ; -- End function
	.set _ZN7rocprim17ROCPRIM_400000_NS6detail17trampoline_kernelINS0_14default_configENS1_22reduce_config_selectorIiEEZNS1_11reduce_implILb1ES3_N6thrust23THRUST_200600_302600_NS11hip_rocprim35transform_pair_of_input_iterators_tIiPsSB_NS8_12not_equal_toIsEEEEPiiNS8_4plusIiEEEE10hipError_tPvRmT1_T2_T3_mT4_P12ihipStream_tbEUlT_E1_NS1_11comp_targetILNS1_3genE10ELNS1_11target_archE1201ELNS1_3gpuE5ELNS1_3repE0EEENS1_30default_config_static_selectorELNS0_4arch9wavefront6targetE1EEEvSL_.num_vgpr, 0
	.set _ZN7rocprim17ROCPRIM_400000_NS6detail17trampoline_kernelINS0_14default_configENS1_22reduce_config_selectorIiEEZNS1_11reduce_implILb1ES3_N6thrust23THRUST_200600_302600_NS11hip_rocprim35transform_pair_of_input_iterators_tIiPsSB_NS8_12not_equal_toIsEEEEPiiNS8_4plusIiEEEE10hipError_tPvRmT1_T2_T3_mT4_P12ihipStream_tbEUlT_E1_NS1_11comp_targetILNS1_3genE10ELNS1_11target_archE1201ELNS1_3gpuE5ELNS1_3repE0EEENS1_30default_config_static_selectorELNS0_4arch9wavefront6targetE1EEEvSL_.num_agpr, 0
	.set _ZN7rocprim17ROCPRIM_400000_NS6detail17trampoline_kernelINS0_14default_configENS1_22reduce_config_selectorIiEEZNS1_11reduce_implILb1ES3_N6thrust23THRUST_200600_302600_NS11hip_rocprim35transform_pair_of_input_iterators_tIiPsSB_NS8_12not_equal_toIsEEEEPiiNS8_4plusIiEEEE10hipError_tPvRmT1_T2_T3_mT4_P12ihipStream_tbEUlT_E1_NS1_11comp_targetILNS1_3genE10ELNS1_11target_archE1201ELNS1_3gpuE5ELNS1_3repE0EEENS1_30default_config_static_selectorELNS0_4arch9wavefront6targetE1EEEvSL_.numbered_sgpr, 0
	.set _ZN7rocprim17ROCPRIM_400000_NS6detail17trampoline_kernelINS0_14default_configENS1_22reduce_config_selectorIiEEZNS1_11reduce_implILb1ES3_N6thrust23THRUST_200600_302600_NS11hip_rocprim35transform_pair_of_input_iterators_tIiPsSB_NS8_12not_equal_toIsEEEEPiiNS8_4plusIiEEEE10hipError_tPvRmT1_T2_T3_mT4_P12ihipStream_tbEUlT_E1_NS1_11comp_targetILNS1_3genE10ELNS1_11target_archE1201ELNS1_3gpuE5ELNS1_3repE0EEENS1_30default_config_static_selectorELNS0_4arch9wavefront6targetE1EEEvSL_.num_named_barrier, 0
	.set _ZN7rocprim17ROCPRIM_400000_NS6detail17trampoline_kernelINS0_14default_configENS1_22reduce_config_selectorIiEEZNS1_11reduce_implILb1ES3_N6thrust23THRUST_200600_302600_NS11hip_rocprim35transform_pair_of_input_iterators_tIiPsSB_NS8_12not_equal_toIsEEEEPiiNS8_4plusIiEEEE10hipError_tPvRmT1_T2_T3_mT4_P12ihipStream_tbEUlT_E1_NS1_11comp_targetILNS1_3genE10ELNS1_11target_archE1201ELNS1_3gpuE5ELNS1_3repE0EEENS1_30default_config_static_selectorELNS0_4arch9wavefront6targetE1EEEvSL_.private_seg_size, 0
	.set _ZN7rocprim17ROCPRIM_400000_NS6detail17trampoline_kernelINS0_14default_configENS1_22reduce_config_selectorIiEEZNS1_11reduce_implILb1ES3_N6thrust23THRUST_200600_302600_NS11hip_rocprim35transform_pair_of_input_iterators_tIiPsSB_NS8_12not_equal_toIsEEEEPiiNS8_4plusIiEEEE10hipError_tPvRmT1_T2_T3_mT4_P12ihipStream_tbEUlT_E1_NS1_11comp_targetILNS1_3genE10ELNS1_11target_archE1201ELNS1_3gpuE5ELNS1_3repE0EEENS1_30default_config_static_selectorELNS0_4arch9wavefront6targetE1EEEvSL_.uses_vcc, 0
	.set _ZN7rocprim17ROCPRIM_400000_NS6detail17trampoline_kernelINS0_14default_configENS1_22reduce_config_selectorIiEEZNS1_11reduce_implILb1ES3_N6thrust23THRUST_200600_302600_NS11hip_rocprim35transform_pair_of_input_iterators_tIiPsSB_NS8_12not_equal_toIsEEEEPiiNS8_4plusIiEEEE10hipError_tPvRmT1_T2_T3_mT4_P12ihipStream_tbEUlT_E1_NS1_11comp_targetILNS1_3genE10ELNS1_11target_archE1201ELNS1_3gpuE5ELNS1_3repE0EEENS1_30default_config_static_selectorELNS0_4arch9wavefront6targetE1EEEvSL_.uses_flat_scratch, 0
	.set _ZN7rocprim17ROCPRIM_400000_NS6detail17trampoline_kernelINS0_14default_configENS1_22reduce_config_selectorIiEEZNS1_11reduce_implILb1ES3_N6thrust23THRUST_200600_302600_NS11hip_rocprim35transform_pair_of_input_iterators_tIiPsSB_NS8_12not_equal_toIsEEEEPiiNS8_4plusIiEEEE10hipError_tPvRmT1_T2_T3_mT4_P12ihipStream_tbEUlT_E1_NS1_11comp_targetILNS1_3genE10ELNS1_11target_archE1201ELNS1_3gpuE5ELNS1_3repE0EEENS1_30default_config_static_selectorELNS0_4arch9wavefront6targetE1EEEvSL_.has_dyn_sized_stack, 0
	.set _ZN7rocprim17ROCPRIM_400000_NS6detail17trampoline_kernelINS0_14default_configENS1_22reduce_config_selectorIiEEZNS1_11reduce_implILb1ES3_N6thrust23THRUST_200600_302600_NS11hip_rocprim35transform_pair_of_input_iterators_tIiPsSB_NS8_12not_equal_toIsEEEEPiiNS8_4plusIiEEEE10hipError_tPvRmT1_T2_T3_mT4_P12ihipStream_tbEUlT_E1_NS1_11comp_targetILNS1_3genE10ELNS1_11target_archE1201ELNS1_3gpuE5ELNS1_3repE0EEENS1_30default_config_static_selectorELNS0_4arch9wavefront6targetE1EEEvSL_.has_recursion, 0
	.set _ZN7rocprim17ROCPRIM_400000_NS6detail17trampoline_kernelINS0_14default_configENS1_22reduce_config_selectorIiEEZNS1_11reduce_implILb1ES3_N6thrust23THRUST_200600_302600_NS11hip_rocprim35transform_pair_of_input_iterators_tIiPsSB_NS8_12not_equal_toIsEEEEPiiNS8_4plusIiEEEE10hipError_tPvRmT1_T2_T3_mT4_P12ihipStream_tbEUlT_E1_NS1_11comp_targetILNS1_3genE10ELNS1_11target_archE1201ELNS1_3gpuE5ELNS1_3repE0EEENS1_30default_config_static_selectorELNS0_4arch9wavefront6targetE1EEEvSL_.has_indirect_call, 0
	.section	.AMDGPU.csdata,"",@progbits
; Kernel info:
; codeLenInByte = 0
; TotalNumSgprs: 4
; NumVgprs: 0
; ScratchSize: 0
; MemoryBound: 0
; FloatMode: 240
; IeeeMode: 1
; LDSByteSize: 0 bytes/workgroup (compile time only)
; SGPRBlocks: 0
; VGPRBlocks: 0
; NumSGPRsForWavesPerEU: 4
; NumVGPRsForWavesPerEU: 1
; Occupancy: 10
; WaveLimiterHint : 0
; COMPUTE_PGM_RSRC2:SCRATCH_EN: 0
; COMPUTE_PGM_RSRC2:USER_SGPR: 6
; COMPUTE_PGM_RSRC2:TRAP_HANDLER: 0
; COMPUTE_PGM_RSRC2:TGID_X_EN: 1
; COMPUTE_PGM_RSRC2:TGID_Y_EN: 0
; COMPUTE_PGM_RSRC2:TGID_Z_EN: 0
; COMPUTE_PGM_RSRC2:TIDIG_COMP_CNT: 0
	.section	.text._ZN7rocprim17ROCPRIM_400000_NS6detail17trampoline_kernelINS0_14default_configENS1_22reduce_config_selectorIiEEZNS1_11reduce_implILb1ES3_N6thrust23THRUST_200600_302600_NS11hip_rocprim35transform_pair_of_input_iterators_tIiPsSB_NS8_12not_equal_toIsEEEEPiiNS8_4plusIiEEEE10hipError_tPvRmT1_T2_T3_mT4_P12ihipStream_tbEUlT_E1_NS1_11comp_targetILNS1_3genE10ELNS1_11target_archE1200ELNS1_3gpuE4ELNS1_3repE0EEENS1_30default_config_static_selectorELNS0_4arch9wavefront6targetE1EEEvSL_,"axG",@progbits,_ZN7rocprim17ROCPRIM_400000_NS6detail17trampoline_kernelINS0_14default_configENS1_22reduce_config_selectorIiEEZNS1_11reduce_implILb1ES3_N6thrust23THRUST_200600_302600_NS11hip_rocprim35transform_pair_of_input_iterators_tIiPsSB_NS8_12not_equal_toIsEEEEPiiNS8_4plusIiEEEE10hipError_tPvRmT1_T2_T3_mT4_P12ihipStream_tbEUlT_E1_NS1_11comp_targetILNS1_3genE10ELNS1_11target_archE1200ELNS1_3gpuE4ELNS1_3repE0EEENS1_30default_config_static_selectorELNS0_4arch9wavefront6targetE1EEEvSL_,comdat
	.protected	_ZN7rocprim17ROCPRIM_400000_NS6detail17trampoline_kernelINS0_14default_configENS1_22reduce_config_selectorIiEEZNS1_11reduce_implILb1ES3_N6thrust23THRUST_200600_302600_NS11hip_rocprim35transform_pair_of_input_iterators_tIiPsSB_NS8_12not_equal_toIsEEEEPiiNS8_4plusIiEEEE10hipError_tPvRmT1_T2_T3_mT4_P12ihipStream_tbEUlT_E1_NS1_11comp_targetILNS1_3genE10ELNS1_11target_archE1200ELNS1_3gpuE4ELNS1_3repE0EEENS1_30default_config_static_selectorELNS0_4arch9wavefront6targetE1EEEvSL_ ; -- Begin function _ZN7rocprim17ROCPRIM_400000_NS6detail17trampoline_kernelINS0_14default_configENS1_22reduce_config_selectorIiEEZNS1_11reduce_implILb1ES3_N6thrust23THRUST_200600_302600_NS11hip_rocprim35transform_pair_of_input_iterators_tIiPsSB_NS8_12not_equal_toIsEEEEPiiNS8_4plusIiEEEE10hipError_tPvRmT1_T2_T3_mT4_P12ihipStream_tbEUlT_E1_NS1_11comp_targetILNS1_3genE10ELNS1_11target_archE1200ELNS1_3gpuE4ELNS1_3repE0EEENS1_30default_config_static_selectorELNS0_4arch9wavefront6targetE1EEEvSL_
	.globl	_ZN7rocprim17ROCPRIM_400000_NS6detail17trampoline_kernelINS0_14default_configENS1_22reduce_config_selectorIiEEZNS1_11reduce_implILb1ES3_N6thrust23THRUST_200600_302600_NS11hip_rocprim35transform_pair_of_input_iterators_tIiPsSB_NS8_12not_equal_toIsEEEEPiiNS8_4plusIiEEEE10hipError_tPvRmT1_T2_T3_mT4_P12ihipStream_tbEUlT_E1_NS1_11comp_targetILNS1_3genE10ELNS1_11target_archE1200ELNS1_3gpuE4ELNS1_3repE0EEENS1_30default_config_static_selectorELNS0_4arch9wavefront6targetE1EEEvSL_
	.p2align	8
	.type	_ZN7rocprim17ROCPRIM_400000_NS6detail17trampoline_kernelINS0_14default_configENS1_22reduce_config_selectorIiEEZNS1_11reduce_implILb1ES3_N6thrust23THRUST_200600_302600_NS11hip_rocprim35transform_pair_of_input_iterators_tIiPsSB_NS8_12not_equal_toIsEEEEPiiNS8_4plusIiEEEE10hipError_tPvRmT1_T2_T3_mT4_P12ihipStream_tbEUlT_E1_NS1_11comp_targetILNS1_3genE10ELNS1_11target_archE1200ELNS1_3gpuE4ELNS1_3repE0EEENS1_30default_config_static_selectorELNS0_4arch9wavefront6targetE1EEEvSL_,@function
_ZN7rocprim17ROCPRIM_400000_NS6detail17trampoline_kernelINS0_14default_configENS1_22reduce_config_selectorIiEEZNS1_11reduce_implILb1ES3_N6thrust23THRUST_200600_302600_NS11hip_rocprim35transform_pair_of_input_iterators_tIiPsSB_NS8_12not_equal_toIsEEEEPiiNS8_4plusIiEEEE10hipError_tPvRmT1_T2_T3_mT4_P12ihipStream_tbEUlT_E1_NS1_11comp_targetILNS1_3genE10ELNS1_11target_archE1200ELNS1_3gpuE4ELNS1_3repE0EEENS1_30default_config_static_selectorELNS0_4arch9wavefront6targetE1EEEvSL_: ; @_ZN7rocprim17ROCPRIM_400000_NS6detail17trampoline_kernelINS0_14default_configENS1_22reduce_config_selectorIiEEZNS1_11reduce_implILb1ES3_N6thrust23THRUST_200600_302600_NS11hip_rocprim35transform_pair_of_input_iterators_tIiPsSB_NS8_12not_equal_toIsEEEEPiiNS8_4plusIiEEEE10hipError_tPvRmT1_T2_T3_mT4_P12ihipStream_tbEUlT_E1_NS1_11comp_targetILNS1_3genE10ELNS1_11target_archE1200ELNS1_3gpuE4ELNS1_3repE0EEENS1_30default_config_static_selectorELNS0_4arch9wavefront6targetE1EEEvSL_
; %bb.0:
	.section	.rodata,"a",@progbits
	.p2align	6, 0x0
	.amdhsa_kernel _ZN7rocprim17ROCPRIM_400000_NS6detail17trampoline_kernelINS0_14default_configENS1_22reduce_config_selectorIiEEZNS1_11reduce_implILb1ES3_N6thrust23THRUST_200600_302600_NS11hip_rocprim35transform_pair_of_input_iterators_tIiPsSB_NS8_12not_equal_toIsEEEEPiiNS8_4plusIiEEEE10hipError_tPvRmT1_T2_T3_mT4_P12ihipStream_tbEUlT_E1_NS1_11comp_targetILNS1_3genE10ELNS1_11target_archE1200ELNS1_3gpuE4ELNS1_3repE0EEENS1_30default_config_static_selectorELNS0_4arch9wavefront6targetE1EEEvSL_
		.amdhsa_group_segment_fixed_size 0
		.amdhsa_private_segment_fixed_size 0
		.amdhsa_kernarg_size 56
		.amdhsa_user_sgpr_count 6
		.amdhsa_user_sgpr_private_segment_buffer 1
		.amdhsa_user_sgpr_dispatch_ptr 0
		.amdhsa_user_sgpr_queue_ptr 0
		.amdhsa_user_sgpr_kernarg_segment_ptr 1
		.amdhsa_user_sgpr_dispatch_id 0
		.amdhsa_user_sgpr_flat_scratch_init 0
		.amdhsa_user_sgpr_private_segment_size 0
		.amdhsa_uses_dynamic_stack 0
		.amdhsa_system_sgpr_private_segment_wavefront_offset 0
		.amdhsa_system_sgpr_workgroup_id_x 1
		.amdhsa_system_sgpr_workgroup_id_y 0
		.amdhsa_system_sgpr_workgroup_id_z 0
		.amdhsa_system_sgpr_workgroup_info 0
		.amdhsa_system_vgpr_workitem_id 0
		.amdhsa_next_free_vgpr 1
		.amdhsa_next_free_sgpr 0
		.amdhsa_reserve_vcc 0
		.amdhsa_reserve_flat_scratch 0
		.amdhsa_float_round_mode_32 0
		.amdhsa_float_round_mode_16_64 0
		.amdhsa_float_denorm_mode_32 3
		.amdhsa_float_denorm_mode_16_64 3
		.amdhsa_dx10_clamp 1
		.amdhsa_ieee_mode 1
		.amdhsa_fp16_overflow 0
		.amdhsa_exception_fp_ieee_invalid_op 0
		.amdhsa_exception_fp_denorm_src 0
		.amdhsa_exception_fp_ieee_div_zero 0
		.amdhsa_exception_fp_ieee_overflow 0
		.amdhsa_exception_fp_ieee_underflow 0
		.amdhsa_exception_fp_ieee_inexact 0
		.amdhsa_exception_int_div_zero 0
	.end_amdhsa_kernel
	.section	.text._ZN7rocprim17ROCPRIM_400000_NS6detail17trampoline_kernelINS0_14default_configENS1_22reduce_config_selectorIiEEZNS1_11reduce_implILb1ES3_N6thrust23THRUST_200600_302600_NS11hip_rocprim35transform_pair_of_input_iterators_tIiPsSB_NS8_12not_equal_toIsEEEEPiiNS8_4plusIiEEEE10hipError_tPvRmT1_T2_T3_mT4_P12ihipStream_tbEUlT_E1_NS1_11comp_targetILNS1_3genE10ELNS1_11target_archE1200ELNS1_3gpuE4ELNS1_3repE0EEENS1_30default_config_static_selectorELNS0_4arch9wavefront6targetE1EEEvSL_,"axG",@progbits,_ZN7rocprim17ROCPRIM_400000_NS6detail17trampoline_kernelINS0_14default_configENS1_22reduce_config_selectorIiEEZNS1_11reduce_implILb1ES3_N6thrust23THRUST_200600_302600_NS11hip_rocprim35transform_pair_of_input_iterators_tIiPsSB_NS8_12not_equal_toIsEEEEPiiNS8_4plusIiEEEE10hipError_tPvRmT1_T2_T3_mT4_P12ihipStream_tbEUlT_E1_NS1_11comp_targetILNS1_3genE10ELNS1_11target_archE1200ELNS1_3gpuE4ELNS1_3repE0EEENS1_30default_config_static_selectorELNS0_4arch9wavefront6targetE1EEEvSL_,comdat
.Lfunc_end1467:
	.size	_ZN7rocprim17ROCPRIM_400000_NS6detail17trampoline_kernelINS0_14default_configENS1_22reduce_config_selectorIiEEZNS1_11reduce_implILb1ES3_N6thrust23THRUST_200600_302600_NS11hip_rocprim35transform_pair_of_input_iterators_tIiPsSB_NS8_12not_equal_toIsEEEEPiiNS8_4plusIiEEEE10hipError_tPvRmT1_T2_T3_mT4_P12ihipStream_tbEUlT_E1_NS1_11comp_targetILNS1_3genE10ELNS1_11target_archE1200ELNS1_3gpuE4ELNS1_3repE0EEENS1_30default_config_static_selectorELNS0_4arch9wavefront6targetE1EEEvSL_, .Lfunc_end1467-_ZN7rocprim17ROCPRIM_400000_NS6detail17trampoline_kernelINS0_14default_configENS1_22reduce_config_selectorIiEEZNS1_11reduce_implILb1ES3_N6thrust23THRUST_200600_302600_NS11hip_rocprim35transform_pair_of_input_iterators_tIiPsSB_NS8_12not_equal_toIsEEEEPiiNS8_4plusIiEEEE10hipError_tPvRmT1_T2_T3_mT4_P12ihipStream_tbEUlT_E1_NS1_11comp_targetILNS1_3genE10ELNS1_11target_archE1200ELNS1_3gpuE4ELNS1_3repE0EEENS1_30default_config_static_selectorELNS0_4arch9wavefront6targetE1EEEvSL_
                                        ; -- End function
	.set _ZN7rocprim17ROCPRIM_400000_NS6detail17trampoline_kernelINS0_14default_configENS1_22reduce_config_selectorIiEEZNS1_11reduce_implILb1ES3_N6thrust23THRUST_200600_302600_NS11hip_rocprim35transform_pair_of_input_iterators_tIiPsSB_NS8_12not_equal_toIsEEEEPiiNS8_4plusIiEEEE10hipError_tPvRmT1_T2_T3_mT4_P12ihipStream_tbEUlT_E1_NS1_11comp_targetILNS1_3genE10ELNS1_11target_archE1200ELNS1_3gpuE4ELNS1_3repE0EEENS1_30default_config_static_selectorELNS0_4arch9wavefront6targetE1EEEvSL_.num_vgpr, 0
	.set _ZN7rocprim17ROCPRIM_400000_NS6detail17trampoline_kernelINS0_14default_configENS1_22reduce_config_selectorIiEEZNS1_11reduce_implILb1ES3_N6thrust23THRUST_200600_302600_NS11hip_rocprim35transform_pair_of_input_iterators_tIiPsSB_NS8_12not_equal_toIsEEEEPiiNS8_4plusIiEEEE10hipError_tPvRmT1_T2_T3_mT4_P12ihipStream_tbEUlT_E1_NS1_11comp_targetILNS1_3genE10ELNS1_11target_archE1200ELNS1_3gpuE4ELNS1_3repE0EEENS1_30default_config_static_selectorELNS0_4arch9wavefront6targetE1EEEvSL_.num_agpr, 0
	.set _ZN7rocprim17ROCPRIM_400000_NS6detail17trampoline_kernelINS0_14default_configENS1_22reduce_config_selectorIiEEZNS1_11reduce_implILb1ES3_N6thrust23THRUST_200600_302600_NS11hip_rocprim35transform_pair_of_input_iterators_tIiPsSB_NS8_12not_equal_toIsEEEEPiiNS8_4plusIiEEEE10hipError_tPvRmT1_T2_T3_mT4_P12ihipStream_tbEUlT_E1_NS1_11comp_targetILNS1_3genE10ELNS1_11target_archE1200ELNS1_3gpuE4ELNS1_3repE0EEENS1_30default_config_static_selectorELNS0_4arch9wavefront6targetE1EEEvSL_.numbered_sgpr, 0
	.set _ZN7rocprim17ROCPRIM_400000_NS6detail17trampoline_kernelINS0_14default_configENS1_22reduce_config_selectorIiEEZNS1_11reduce_implILb1ES3_N6thrust23THRUST_200600_302600_NS11hip_rocprim35transform_pair_of_input_iterators_tIiPsSB_NS8_12not_equal_toIsEEEEPiiNS8_4plusIiEEEE10hipError_tPvRmT1_T2_T3_mT4_P12ihipStream_tbEUlT_E1_NS1_11comp_targetILNS1_3genE10ELNS1_11target_archE1200ELNS1_3gpuE4ELNS1_3repE0EEENS1_30default_config_static_selectorELNS0_4arch9wavefront6targetE1EEEvSL_.num_named_barrier, 0
	.set _ZN7rocprim17ROCPRIM_400000_NS6detail17trampoline_kernelINS0_14default_configENS1_22reduce_config_selectorIiEEZNS1_11reduce_implILb1ES3_N6thrust23THRUST_200600_302600_NS11hip_rocprim35transform_pair_of_input_iterators_tIiPsSB_NS8_12not_equal_toIsEEEEPiiNS8_4plusIiEEEE10hipError_tPvRmT1_T2_T3_mT4_P12ihipStream_tbEUlT_E1_NS1_11comp_targetILNS1_3genE10ELNS1_11target_archE1200ELNS1_3gpuE4ELNS1_3repE0EEENS1_30default_config_static_selectorELNS0_4arch9wavefront6targetE1EEEvSL_.private_seg_size, 0
	.set _ZN7rocprim17ROCPRIM_400000_NS6detail17trampoline_kernelINS0_14default_configENS1_22reduce_config_selectorIiEEZNS1_11reduce_implILb1ES3_N6thrust23THRUST_200600_302600_NS11hip_rocprim35transform_pair_of_input_iterators_tIiPsSB_NS8_12not_equal_toIsEEEEPiiNS8_4plusIiEEEE10hipError_tPvRmT1_T2_T3_mT4_P12ihipStream_tbEUlT_E1_NS1_11comp_targetILNS1_3genE10ELNS1_11target_archE1200ELNS1_3gpuE4ELNS1_3repE0EEENS1_30default_config_static_selectorELNS0_4arch9wavefront6targetE1EEEvSL_.uses_vcc, 0
	.set _ZN7rocprim17ROCPRIM_400000_NS6detail17trampoline_kernelINS0_14default_configENS1_22reduce_config_selectorIiEEZNS1_11reduce_implILb1ES3_N6thrust23THRUST_200600_302600_NS11hip_rocprim35transform_pair_of_input_iterators_tIiPsSB_NS8_12not_equal_toIsEEEEPiiNS8_4plusIiEEEE10hipError_tPvRmT1_T2_T3_mT4_P12ihipStream_tbEUlT_E1_NS1_11comp_targetILNS1_3genE10ELNS1_11target_archE1200ELNS1_3gpuE4ELNS1_3repE0EEENS1_30default_config_static_selectorELNS0_4arch9wavefront6targetE1EEEvSL_.uses_flat_scratch, 0
	.set _ZN7rocprim17ROCPRIM_400000_NS6detail17trampoline_kernelINS0_14default_configENS1_22reduce_config_selectorIiEEZNS1_11reduce_implILb1ES3_N6thrust23THRUST_200600_302600_NS11hip_rocprim35transform_pair_of_input_iterators_tIiPsSB_NS8_12not_equal_toIsEEEEPiiNS8_4plusIiEEEE10hipError_tPvRmT1_T2_T3_mT4_P12ihipStream_tbEUlT_E1_NS1_11comp_targetILNS1_3genE10ELNS1_11target_archE1200ELNS1_3gpuE4ELNS1_3repE0EEENS1_30default_config_static_selectorELNS0_4arch9wavefront6targetE1EEEvSL_.has_dyn_sized_stack, 0
	.set _ZN7rocprim17ROCPRIM_400000_NS6detail17trampoline_kernelINS0_14default_configENS1_22reduce_config_selectorIiEEZNS1_11reduce_implILb1ES3_N6thrust23THRUST_200600_302600_NS11hip_rocprim35transform_pair_of_input_iterators_tIiPsSB_NS8_12not_equal_toIsEEEEPiiNS8_4plusIiEEEE10hipError_tPvRmT1_T2_T3_mT4_P12ihipStream_tbEUlT_E1_NS1_11comp_targetILNS1_3genE10ELNS1_11target_archE1200ELNS1_3gpuE4ELNS1_3repE0EEENS1_30default_config_static_selectorELNS0_4arch9wavefront6targetE1EEEvSL_.has_recursion, 0
	.set _ZN7rocprim17ROCPRIM_400000_NS6detail17trampoline_kernelINS0_14default_configENS1_22reduce_config_selectorIiEEZNS1_11reduce_implILb1ES3_N6thrust23THRUST_200600_302600_NS11hip_rocprim35transform_pair_of_input_iterators_tIiPsSB_NS8_12not_equal_toIsEEEEPiiNS8_4plusIiEEEE10hipError_tPvRmT1_T2_T3_mT4_P12ihipStream_tbEUlT_E1_NS1_11comp_targetILNS1_3genE10ELNS1_11target_archE1200ELNS1_3gpuE4ELNS1_3repE0EEENS1_30default_config_static_selectorELNS0_4arch9wavefront6targetE1EEEvSL_.has_indirect_call, 0
	.section	.AMDGPU.csdata,"",@progbits
; Kernel info:
; codeLenInByte = 0
; TotalNumSgprs: 4
; NumVgprs: 0
; ScratchSize: 0
; MemoryBound: 0
; FloatMode: 240
; IeeeMode: 1
; LDSByteSize: 0 bytes/workgroup (compile time only)
; SGPRBlocks: 0
; VGPRBlocks: 0
; NumSGPRsForWavesPerEU: 4
; NumVGPRsForWavesPerEU: 1
; Occupancy: 10
; WaveLimiterHint : 0
; COMPUTE_PGM_RSRC2:SCRATCH_EN: 0
; COMPUTE_PGM_RSRC2:USER_SGPR: 6
; COMPUTE_PGM_RSRC2:TRAP_HANDLER: 0
; COMPUTE_PGM_RSRC2:TGID_X_EN: 1
; COMPUTE_PGM_RSRC2:TGID_Y_EN: 0
; COMPUTE_PGM_RSRC2:TGID_Z_EN: 0
; COMPUTE_PGM_RSRC2:TIDIG_COMP_CNT: 0
	.section	.text._ZN7rocprim17ROCPRIM_400000_NS6detail17trampoline_kernelINS0_14default_configENS1_22reduce_config_selectorIiEEZNS1_11reduce_implILb1ES3_N6thrust23THRUST_200600_302600_NS11hip_rocprim35transform_pair_of_input_iterators_tIiPsSB_NS8_12not_equal_toIsEEEEPiiNS8_4plusIiEEEE10hipError_tPvRmT1_T2_T3_mT4_P12ihipStream_tbEUlT_E1_NS1_11comp_targetILNS1_3genE9ELNS1_11target_archE1100ELNS1_3gpuE3ELNS1_3repE0EEENS1_30default_config_static_selectorELNS0_4arch9wavefront6targetE1EEEvSL_,"axG",@progbits,_ZN7rocprim17ROCPRIM_400000_NS6detail17trampoline_kernelINS0_14default_configENS1_22reduce_config_selectorIiEEZNS1_11reduce_implILb1ES3_N6thrust23THRUST_200600_302600_NS11hip_rocprim35transform_pair_of_input_iterators_tIiPsSB_NS8_12not_equal_toIsEEEEPiiNS8_4plusIiEEEE10hipError_tPvRmT1_T2_T3_mT4_P12ihipStream_tbEUlT_E1_NS1_11comp_targetILNS1_3genE9ELNS1_11target_archE1100ELNS1_3gpuE3ELNS1_3repE0EEENS1_30default_config_static_selectorELNS0_4arch9wavefront6targetE1EEEvSL_,comdat
	.protected	_ZN7rocprim17ROCPRIM_400000_NS6detail17trampoline_kernelINS0_14default_configENS1_22reduce_config_selectorIiEEZNS1_11reduce_implILb1ES3_N6thrust23THRUST_200600_302600_NS11hip_rocprim35transform_pair_of_input_iterators_tIiPsSB_NS8_12not_equal_toIsEEEEPiiNS8_4plusIiEEEE10hipError_tPvRmT1_T2_T3_mT4_P12ihipStream_tbEUlT_E1_NS1_11comp_targetILNS1_3genE9ELNS1_11target_archE1100ELNS1_3gpuE3ELNS1_3repE0EEENS1_30default_config_static_selectorELNS0_4arch9wavefront6targetE1EEEvSL_ ; -- Begin function _ZN7rocprim17ROCPRIM_400000_NS6detail17trampoline_kernelINS0_14default_configENS1_22reduce_config_selectorIiEEZNS1_11reduce_implILb1ES3_N6thrust23THRUST_200600_302600_NS11hip_rocprim35transform_pair_of_input_iterators_tIiPsSB_NS8_12not_equal_toIsEEEEPiiNS8_4plusIiEEEE10hipError_tPvRmT1_T2_T3_mT4_P12ihipStream_tbEUlT_E1_NS1_11comp_targetILNS1_3genE9ELNS1_11target_archE1100ELNS1_3gpuE3ELNS1_3repE0EEENS1_30default_config_static_selectorELNS0_4arch9wavefront6targetE1EEEvSL_
	.globl	_ZN7rocprim17ROCPRIM_400000_NS6detail17trampoline_kernelINS0_14default_configENS1_22reduce_config_selectorIiEEZNS1_11reduce_implILb1ES3_N6thrust23THRUST_200600_302600_NS11hip_rocprim35transform_pair_of_input_iterators_tIiPsSB_NS8_12not_equal_toIsEEEEPiiNS8_4plusIiEEEE10hipError_tPvRmT1_T2_T3_mT4_P12ihipStream_tbEUlT_E1_NS1_11comp_targetILNS1_3genE9ELNS1_11target_archE1100ELNS1_3gpuE3ELNS1_3repE0EEENS1_30default_config_static_selectorELNS0_4arch9wavefront6targetE1EEEvSL_
	.p2align	8
	.type	_ZN7rocprim17ROCPRIM_400000_NS6detail17trampoline_kernelINS0_14default_configENS1_22reduce_config_selectorIiEEZNS1_11reduce_implILb1ES3_N6thrust23THRUST_200600_302600_NS11hip_rocprim35transform_pair_of_input_iterators_tIiPsSB_NS8_12not_equal_toIsEEEEPiiNS8_4plusIiEEEE10hipError_tPvRmT1_T2_T3_mT4_P12ihipStream_tbEUlT_E1_NS1_11comp_targetILNS1_3genE9ELNS1_11target_archE1100ELNS1_3gpuE3ELNS1_3repE0EEENS1_30default_config_static_selectorELNS0_4arch9wavefront6targetE1EEEvSL_,@function
_ZN7rocprim17ROCPRIM_400000_NS6detail17trampoline_kernelINS0_14default_configENS1_22reduce_config_selectorIiEEZNS1_11reduce_implILb1ES3_N6thrust23THRUST_200600_302600_NS11hip_rocprim35transform_pair_of_input_iterators_tIiPsSB_NS8_12not_equal_toIsEEEEPiiNS8_4plusIiEEEE10hipError_tPvRmT1_T2_T3_mT4_P12ihipStream_tbEUlT_E1_NS1_11comp_targetILNS1_3genE9ELNS1_11target_archE1100ELNS1_3gpuE3ELNS1_3repE0EEENS1_30default_config_static_selectorELNS0_4arch9wavefront6targetE1EEEvSL_: ; @_ZN7rocprim17ROCPRIM_400000_NS6detail17trampoline_kernelINS0_14default_configENS1_22reduce_config_selectorIiEEZNS1_11reduce_implILb1ES3_N6thrust23THRUST_200600_302600_NS11hip_rocprim35transform_pair_of_input_iterators_tIiPsSB_NS8_12not_equal_toIsEEEEPiiNS8_4plusIiEEEE10hipError_tPvRmT1_T2_T3_mT4_P12ihipStream_tbEUlT_E1_NS1_11comp_targetILNS1_3genE9ELNS1_11target_archE1100ELNS1_3gpuE3ELNS1_3repE0EEENS1_30default_config_static_selectorELNS0_4arch9wavefront6targetE1EEEvSL_
; %bb.0:
	.section	.rodata,"a",@progbits
	.p2align	6, 0x0
	.amdhsa_kernel _ZN7rocprim17ROCPRIM_400000_NS6detail17trampoline_kernelINS0_14default_configENS1_22reduce_config_selectorIiEEZNS1_11reduce_implILb1ES3_N6thrust23THRUST_200600_302600_NS11hip_rocprim35transform_pair_of_input_iterators_tIiPsSB_NS8_12not_equal_toIsEEEEPiiNS8_4plusIiEEEE10hipError_tPvRmT1_T2_T3_mT4_P12ihipStream_tbEUlT_E1_NS1_11comp_targetILNS1_3genE9ELNS1_11target_archE1100ELNS1_3gpuE3ELNS1_3repE0EEENS1_30default_config_static_selectorELNS0_4arch9wavefront6targetE1EEEvSL_
		.amdhsa_group_segment_fixed_size 0
		.amdhsa_private_segment_fixed_size 0
		.amdhsa_kernarg_size 56
		.amdhsa_user_sgpr_count 6
		.amdhsa_user_sgpr_private_segment_buffer 1
		.amdhsa_user_sgpr_dispatch_ptr 0
		.amdhsa_user_sgpr_queue_ptr 0
		.amdhsa_user_sgpr_kernarg_segment_ptr 1
		.amdhsa_user_sgpr_dispatch_id 0
		.amdhsa_user_sgpr_flat_scratch_init 0
		.amdhsa_user_sgpr_private_segment_size 0
		.amdhsa_uses_dynamic_stack 0
		.amdhsa_system_sgpr_private_segment_wavefront_offset 0
		.amdhsa_system_sgpr_workgroup_id_x 1
		.amdhsa_system_sgpr_workgroup_id_y 0
		.amdhsa_system_sgpr_workgroup_id_z 0
		.amdhsa_system_sgpr_workgroup_info 0
		.amdhsa_system_vgpr_workitem_id 0
		.amdhsa_next_free_vgpr 1
		.amdhsa_next_free_sgpr 0
		.amdhsa_reserve_vcc 0
		.amdhsa_reserve_flat_scratch 0
		.amdhsa_float_round_mode_32 0
		.amdhsa_float_round_mode_16_64 0
		.amdhsa_float_denorm_mode_32 3
		.amdhsa_float_denorm_mode_16_64 3
		.amdhsa_dx10_clamp 1
		.amdhsa_ieee_mode 1
		.amdhsa_fp16_overflow 0
		.amdhsa_exception_fp_ieee_invalid_op 0
		.amdhsa_exception_fp_denorm_src 0
		.amdhsa_exception_fp_ieee_div_zero 0
		.amdhsa_exception_fp_ieee_overflow 0
		.amdhsa_exception_fp_ieee_underflow 0
		.amdhsa_exception_fp_ieee_inexact 0
		.amdhsa_exception_int_div_zero 0
	.end_amdhsa_kernel
	.section	.text._ZN7rocprim17ROCPRIM_400000_NS6detail17trampoline_kernelINS0_14default_configENS1_22reduce_config_selectorIiEEZNS1_11reduce_implILb1ES3_N6thrust23THRUST_200600_302600_NS11hip_rocprim35transform_pair_of_input_iterators_tIiPsSB_NS8_12not_equal_toIsEEEEPiiNS8_4plusIiEEEE10hipError_tPvRmT1_T2_T3_mT4_P12ihipStream_tbEUlT_E1_NS1_11comp_targetILNS1_3genE9ELNS1_11target_archE1100ELNS1_3gpuE3ELNS1_3repE0EEENS1_30default_config_static_selectorELNS0_4arch9wavefront6targetE1EEEvSL_,"axG",@progbits,_ZN7rocprim17ROCPRIM_400000_NS6detail17trampoline_kernelINS0_14default_configENS1_22reduce_config_selectorIiEEZNS1_11reduce_implILb1ES3_N6thrust23THRUST_200600_302600_NS11hip_rocprim35transform_pair_of_input_iterators_tIiPsSB_NS8_12not_equal_toIsEEEEPiiNS8_4plusIiEEEE10hipError_tPvRmT1_T2_T3_mT4_P12ihipStream_tbEUlT_E1_NS1_11comp_targetILNS1_3genE9ELNS1_11target_archE1100ELNS1_3gpuE3ELNS1_3repE0EEENS1_30default_config_static_selectorELNS0_4arch9wavefront6targetE1EEEvSL_,comdat
.Lfunc_end1468:
	.size	_ZN7rocprim17ROCPRIM_400000_NS6detail17trampoline_kernelINS0_14default_configENS1_22reduce_config_selectorIiEEZNS1_11reduce_implILb1ES3_N6thrust23THRUST_200600_302600_NS11hip_rocprim35transform_pair_of_input_iterators_tIiPsSB_NS8_12not_equal_toIsEEEEPiiNS8_4plusIiEEEE10hipError_tPvRmT1_T2_T3_mT4_P12ihipStream_tbEUlT_E1_NS1_11comp_targetILNS1_3genE9ELNS1_11target_archE1100ELNS1_3gpuE3ELNS1_3repE0EEENS1_30default_config_static_selectorELNS0_4arch9wavefront6targetE1EEEvSL_, .Lfunc_end1468-_ZN7rocprim17ROCPRIM_400000_NS6detail17trampoline_kernelINS0_14default_configENS1_22reduce_config_selectorIiEEZNS1_11reduce_implILb1ES3_N6thrust23THRUST_200600_302600_NS11hip_rocprim35transform_pair_of_input_iterators_tIiPsSB_NS8_12not_equal_toIsEEEEPiiNS8_4plusIiEEEE10hipError_tPvRmT1_T2_T3_mT4_P12ihipStream_tbEUlT_E1_NS1_11comp_targetILNS1_3genE9ELNS1_11target_archE1100ELNS1_3gpuE3ELNS1_3repE0EEENS1_30default_config_static_selectorELNS0_4arch9wavefront6targetE1EEEvSL_
                                        ; -- End function
	.set _ZN7rocprim17ROCPRIM_400000_NS6detail17trampoline_kernelINS0_14default_configENS1_22reduce_config_selectorIiEEZNS1_11reduce_implILb1ES3_N6thrust23THRUST_200600_302600_NS11hip_rocprim35transform_pair_of_input_iterators_tIiPsSB_NS8_12not_equal_toIsEEEEPiiNS8_4plusIiEEEE10hipError_tPvRmT1_T2_T3_mT4_P12ihipStream_tbEUlT_E1_NS1_11comp_targetILNS1_3genE9ELNS1_11target_archE1100ELNS1_3gpuE3ELNS1_3repE0EEENS1_30default_config_static_selectorELNS0_4arch9wavefront6targetE1EEEvSL_.num_vgpr, 0
	.set _ZN7rocprim17ROCPRIM_400000_NS6detail17trampoline_kernelINS0_14default_configENS1_22reduce_config_selectorIiEEZNS1_11reduce_implILb1ES3_N6thrust23THRUST_200600_302600_NS11hip_rocprim35transform_pair_of_input_iterators_tIiPsSB_NS8_12not_equal_toIsEEEEPiiNS8_4plusIiEEEE10hipError_tPvRmT1_T2_T3_mT4_P12ihipStream_tbEUlT_E1_NS1_11comp_targetILNS1_3genE9ELNS1_11target_archE1100ELNS1_3gpuE3ELNS1_3repE0EEENS1_30default_config_static_selectorELNS0_4arch9wavefront6targetE1EEEvSL_.num_agpr, 0
	.set _ZN7rocprim17ROCPRIM_400000_NS6detail17trampoline_kernelINS0_14default_configENS1_22reduce_config_selectorIiEEZNS1_11reduce_implILb1ES3_N6thrust23THRUST_200600_302600_NS11hip_rocprim35transform_pair_of_input_iterators_tIiPsSB_NS8_12not_equal_toIsEEEEPiiNS8_4plusIiEEEE10hipError_tPvRmT1_T2_T3_mT4_P12ihipStream_tbEUlT_E1_NS1_11comp_targetILNS1_3genE9ELNS1_11target_archE1100ELNS1_3gpuE3ELNS1_3repE0EEENS1_30default_config_static_selectorELNS0_4arch9wavefront6targetE1EEEvSL_.numbered_sgpr, 0
	.set _ZN7rocprim17ROCPRIM_400000_NS6detail17trampoline_kernelINS0_14default_configENS1_22reduce_config_selectorIiEEZNS1_11reduce_implILb1ES3_N6thrust23THRUST_200600_302600_NS11hip_rocprim35transform_pair_of_input_iterators_tIiPsSB_NS8_12not_equal_toIsEEEEPiiNS8_4plusIiEEEE10hipError_tPvRmT1_T2_T3_mT4_P12ihipStream_tbEUlT_E1_NS1_11comp_targetILNS1_3genE9ELNS1_11target_archE1100ELNS1_3gpuE3ELNS1_3repE0EEENS1_30default_config_static_selectorELNS0_4arch9wavefront6targetE1EEEvSL_.num_named_barrier, 0
	.set _ZN7rocprim17ROCPRIM_400000_NS6detail17trampoline_kernelINS0_14default_configENS1_22reduce_config_selectorIiEEZNS1_11reduce_implILb1ES3_N6thrust23THRUST_200600_302600_NS11hip_rocprim35transform_pair_of_input_iterators_tIiPsSB_NS8_12not_equal_toIsEEEEPiiNS8_4plusIiEEEE10hipError_tPvRmT1_T2_T3_mT4_P12ihipStream_tbEUlT_E1_NS1_11comp_targetILNS1_3genE9ELNS1_11target_archE1100ELNS1_3gpuE3ELNS1_3repE0EEENS1_30default_config_static_selectorELNS0_4arch9wavefront6targetE1EEEvSL_.private_seg_size, 0
	.set _ZN7rocprim17ROCPRIM_400000_NS6detail17trampoline_kernelINS0_14default_configENS1_22reduce_config_selectorIiEEZNS1_11reduce_implILb1ES3_N6thrust23THRUST_200600_302600_NS11hip_rocprim35transform_pair_of_input_iterators_tIiPsSB_NS8_12not_equal_toIsEEEEPiiNS8_4plusIiEEEE10hipError_tPvRmT1_T2_T3_mT4_P12ihipStream_tbEUlT_E1_NS1_11comp_targetILNS1_3genE9ELNS1_11target_archE1100ELNS1_3gpuE3ELNS1_3repE0EEENS1_30default_config_static_selectorELNS0_4arch9wavefront6targetE1EEEvSL_.uses_vcc, 0
	.set _ZN7rocprim17ROCPRIM_400000_NS6detail17trampoline_kernelINS0_14default_configENS1_22reduce_config_selectorIiEEZNS1_11reduce_implILb1ES3_N6thrust23THRUST_200600_302600_NS11hip_rocprim35transform_pair_of_input_iterators_tIiPsSB_NS8_12not_equal_toIsEEEEPiiNS8_4plusIiEEEE10hipError_tPvRmT1_T2_T3_mT4_P12ihipStream_tbEUlT_E1_NS1_11comp_targetILNS1_3genE9ELNS1_11target_archE1100ELNS1_3gpuE3ELNS1_3repE0EEENS1_30default_config_static_selectorELNS0_4arch9wavefront6targetE1EEEvSL_.uses_flat_scratch, 0
	.set _ZN7rocprim17ROCPRIM_400000_NS6detail17trampoline_kernelINS0_14default_configENS1_22reduce_config_selectorIiEEZNS1_11reduce_implILb1ES3_N6thrust23THRUST_200600_302600_NS11hip_rocprim35transform_pair_of_input_iterators_tIiPsSB_NS8_12not_equal_toIsEEEEPiiNS8_4plusIiEEEE10hipError_tPvRmT1_T2_T3_mT4_P12ihipStream_tbEUlT_E1_NS1_11comp_targetILNS1_3genE9ELNS1_11target_archE1100ELNS1_3gpuE3ELNS1_3repE0EEENS1_30default_config_static_selectorELNS0_4arch9wavefront6targetE1EEEvSL_.has_dyn_sized_stack, 0
	.set _ZN7rocprim17ROCPRIM_400000_NS6detail17trampoline_kernelINS0_14default_configENS1_22reduce_config_selectorIiEEZNS1_11reduce_implILb1ES3_N6thrust23THRUST_200600_302600_NS11hip_rocprim35transform_pair_of_input_iterators_tIiPsSB_NS8_12not_equal_toIsEEEEPiiNS8_4plusIiEEEE10hipError_tPvRmT1_T2_T3_mT4_P12ihipStream_tbEUlT_E1_NS1_11comp_targetILNS1_3genE9ELNS1_11target_archE1100ELNS1_3gpuE3ELNS1_3repE0EEENS1_30default_config_static_selectorELNS0_4arch9wavefront6targetE1EEEvSL_.has_recursion, 0
	.set _ZN7rocprim17ROCPRIM_400000_NS6detail17trampoline_kernelINS0_14default_configENS1_22reduce_config_selectorIiEEZNS1_11reduce_implILb1ES3_N6thrust23THRUST_200600_302600_NS11hip_rocprim35transform_pair_of_input_iterators_tIiPsSB_NS8_12not_equal_toIsEEEEPiiNS8_4plusIiEEEE10hipError_tPvRmT1_T2_T3_mT4_P12ihipStream_tbEUlT_E1_NS1_11comp_targetILNS1_3genE9ELNS1_11target_archE1100ELNS1_3gpuE3ELNS1_3repE0EEENS1_30default_config_static_selectorELNS0_4arch9wavefront6targetE1EEEvSL_.has_indirect_call, 0
	.section	.AMDGPU.csdata,"",@progbits
; Kernel info:
; codeLenInByte = 0
; TotalNumSgprs: 4
; NumVgprs: 0
; ScratchSize: 0
; MemoryBound: 0
; FloatMode: 240
; IeeeMode: 1
; LDSByteSize: 0 bytes/workgroup (compile time only)
; SGPRBlocks: 0
; VGPRBlocks: 0
; NumSGPRsForWavesPerEU: 4
; NumVGPRsForWavesPerEU: 1
; Occupancy: 10
; WaveLimiterHint : 0
; COMPUTE_PGM_RSRC2:SCRATCH_EN: 0
; COMPUTE_PGM_RSRC2:USER_SGPR: 6
; COMPUTE_PGM_RSRC2:TRAP_HANDLER: 0
; COMPUTE_PGM_RSRC2:TGID_X_EN: 1
; COMPUTE_PGM_RSRC2:TGID_Y_EN: 0
; COMPUTE_PGM_RSRC2:TGID_Z_EN: 0
; COMPUTE_PGM_RSRC2:TIDIG_COMP_CNT: 0
	.section	.text._ZN7rocprim17ROCPRIM_400000_NS6detail17trampoline_kernelINS0_14default_configENS1_22reduce_config_selectorIiEEZNS1_11reduce_implILb1ES3_N6thrust23THRUST_200600_302600_NS11hip_rocprim35transform_pair_of_input_iterators_tIiPsSB_NS8_12not_equal_toIsEEEEPiiNS8_4plusIiEEEE10hipError_tPvRmT1_T2_T3_mT4_P12ihipStream_tbEUlT_E1_NS1_11comp_targetILNS1_3genE8ELNS1_11target_archE1030ELNS1_3gpuE2ELNS1_3repE0EEENS1_30default_config_static_selectorELNS0_4arch9wavefront6targetE1EEEvSL_,"axG",@progbits,_ZN7rocprim17ROCPRIM_400000_NS6detail17trampoline_kernelINS0_14default_configENS1_22reduce_config_selectorIiEEZNS1_11reduce_implILb1ES3_N6thrust23THRUST_200600_302600_NS11hip_rocprim35transform_pair_of_input_iterators_tIiPsSB_NS8_12not_equal_toIsEEEEPiiNS8_4plusIiEEEE10hipError_tPvRmT1_T2_T3_mT4_P12ihipStream_tbEUlT_E1_NS1_11comp_targetILNS1_3genE8ELNS1_11target_archE1030ELNS1_3gpuE2ELNS1_3repE0EEENS1_30default_config_static_selectorELNS0_4arch9wavefront6targetE1EEEvSL_,comdat
	.protected	_ZN7rocprim17ROCPRIM_400000_NS6detail17trampoline_kernelINS0_14default_configENS1_22reduce_config_selectorIiEEZNS1_11reduce_implILb1ES3_N6thrust23THRUST_200600_302600_NS11hip_rocprim35transform_pair_of_input_iterators_tIiPsSB_NS8_12not_equal_toIsEEEEPiiNS8_4plusIiEEEE10hipError_tPvRmT1_T2_T3_mT4_P12ihipStream_tbEUlT_E1_NS1_11comp_targetILNS1_3genE8ELNS1_11target_archE1030ELNS1_3gpuE2ELNS1_3repE0EEENS1_30default_config_static_selectorELNS0_4arch9wavefront6targetE1EEEvSL_ ; -- Begin function _ZN7rocprim17ROCPRIM_400000_NS6detail17trampoline_kernelINS0_14default_configENS1_22reduce_config_selectorIiEEZNS1_11reduce_implILb1ES3_N6thrust23THRUST_200600_302600_NS11hip_rocprim35transform_pair_of_input_iterators_tIiPsSB_NS8_12not_equal_toIsEEEEPiiNS8_4plusIiEEEE10hipError_tPvRmT1_T2_T3_mT4_P12ihipStream_tbEUlT_E1_NS1_11comp_targetILNS1_3genE8ELNS1_11target_archE1030ELNS1_3gpuE2ELNS1_3repE0EEENS1_30default_config_static_selectorELNS0_4arch9wavefront6targetE1EEEvSL_
	.globl	_ZN7rocprim17ROCPRIM_400000_NS6detail17trampoline_kernelINS0_14default_configENS1_22reduce_config_selectorIiEEZNS1_11reduce_implILb1ES3_N6thrust23THRUST_200600_302600_NS11hip_rocprim35transform_pair_of_input_iterators_tIiPsSB_NS8_12not_equal_toIsEEEEPiiNS8_4plusIiEEEE10hipError_tPvRmT1_T2_T3_mT4_P12ihipStream_tbEUlT_E1_NS1_11comp_targetILNS1_3genE8ELNS1_11target_archE1030ELNS1_3gpuE2ELNS1_3repE0EEENS1_30default_config_static_selectorELNS0_4arch9wavefront6targetE1EEEvSL_
	.p2align	8
	.type	_ZN7rocprim17ROCPRIM_400000_NS6detail17trampoline_kernelINS0_14default_configENS1_22reduce_config_selectorIiEEZNS1_11reduce_implILb1ES3_N6thrust23THRUST_200600_302600_NS11hip_rocprim35transform_pair_of_input_iterators_tIiPsSB_NS8_12not_equal_toIsEEEEPiiNS8_4plusIiEEEE10hipError_tPvRmT1_T2_T3_mT4_P12ihipStream_tbEUlT_E1_NS1_11comp_targetILNS1_3genE8ELNS1_11target_archE1030ELNS1_3gpuE2ELNS1_3repE0EEENS1_30default_config_static_selectorELNS0_4arch9wavefront6targetE1EEEvSL_,@function
_ZN7rocprim17ROCPRIM_400000_NS6detail17trampoline_kernelINS0_14default_configENS1_22reduce_config_selectorIiEEZNS1_11reduce_implILb1ES3_N6thrust23THRUST_200600_302600_NS11hip_rocprim35transform_pair_of_input_iterators_tIiPsSB_NS8_12not_equal_toIsEEEEPiiNS8_4plusIiEEEE10hipError_tPvRmT1_T2_T3_mT4_P12ihipStream_tbEUlT_E1_NS1_11comp_targetILNS1_3genE8ELNS1_11target_archE1030ELNS1_3gpuE2ELNS1_3repE0EEENS1_30default_config_static_selectorELNS0_4arch9wavefront6targetE1EEEvSL_: ; @_ZN7rocprim17ROCPRIM_400000_NS6detail17trampoline_kernelINS0_14default_configENS1_22reduce_config_selectorIiEEZNS1_11reduce_implILb1ES3_N6thrust23THRUST_200600_302600_NS11hip_rocprim35transform_pair_of_input_iterators_tIiPsSB_NS8_12not_equal_toIsEEEEPiiNS8_4plusIiEEEE10hipError_tPvRmT1_T2_T3_mT4_P12ihipStream_tbEUlT_E1_NS1_11comp_targetILNS1_3genE8ELNS1_11target_archE1030ELNS1_3gpuE2ELNS1_3repE0EEENS1_30default_config_static_selectorELNS0_4arch9wavefront6targetE1EEEvSL_
; %bb.0:
	.section	.rodata,"a",@progbits
	.p2align	6, 0x0
	.amdhsa_kernel _ZN7rocprim17ROCPRIM_400000_NS6detail17trampoline_kernelINS0_14default_configENS1_22reduce_config_selectorIiEEZNS1_11reduce_implILb1ES3_N6thrust23THRUST_200600_302600_NS11hip_rocprim35transform_pair_of_input_iterators_tIiPsSB_NS8_12not_equal_toIsEEEEPiiNS8_4plusIiEEEE10hipError_tPvRmT1_T2_T3_mT4_P12ihipStream_tbEUlT_E1_NS1_11comp_targetILNS1_3genE8ELNS1_11target_archE1030ELNS1_3gpuE2ELNS1_3repE0EEENS1_30default_config_static_selectorELNS0_4arch9wavefront6targetE1EEEvSL_
		.amdhsa_group_segment_fixed_size 0
		.amdhsa_private_segment_fixed_size 0
		.amdhsa_kernarg_size 56
		.amdhsa_user_sgpr_count 6
		.amdhsa_user_sgpr_private_segment_buffer 1
		.amdhsa_user_sgpr_dispatch_ptr 0
		.amdhsa_user_sgpr_queue_ptr 0
		.amdhsa_user_sgpr_kernarg_segment_ptr 1
		.amdhsa_user_sgpr_dispatch_id 0
		.amdhsa_user_sgpr_flat_scratch_init 0
		.amdhsa_user_sgpr_private_segment_size 0
		.amdhsa_uses_dynamic_stack 0
		.amdhsa_system_sgpr_private_segment_wavefront_offset 0
		.amdhsa_system_sgpr_workgroup_id_x 1
		.amdhsa_system_sgpr_workgroup_id_y 0
		.amdhsa_system_sgpr_workgroup_id_z 0
		.amdhsa_system_sgpr_workgroup_info 0
		.amdhsa_system_vgpr_workitem_id 0
		.amdhsa_next_free_vgpr 1
		.amdhsa_next_free_sgpr 0
		.amdhsa_reserve_vcc 0
		.amdhsa_reserve_flat_scratch 0
		.amdhsa_float_round_mode_32 0
		.amdhsa_float_round_mode_16_64 0
		.amdhsa_float_denorm_mode_32 3
		.amdhsa_float_denorm_mode_16_64 3
		.amdhsa_dx10_clamp 1
		.amdhsa_ieee_mode 1
		.amdhsa_fp16_overflow 0
		.amdhsa_exception_fp_ieee_invalid_op 0
		.amdhsa_exception_fp_denorm_src 0
		.amdhsa_exception_fp_ieee_div_zero 0
		.amdhsa_exception_fp_ieee_overflow 0
		.amdhsa_exception_fp_ieee_underflow 0
		.amdhsa_exception_fp_ieee_inexact 0
		.amdhsa_exception_int_div_zero 0
	.end_amdhsa_kernel
	.section	.text._ZN7rocprim17ROCPRIM_400000_NS6detail17trampoline_kernelINS0_14default_configENS1_22reduce_config_selectorIiEEZNS1_11reduce_implILb1ES3_N6thrust23THRUST_200600_302600_NS11hip_rocprim35transform_pair_of_input_iterators_tIiPsSB_NS8_12not_equal_toIsEEEEPiiNS8_4plusIiEEEE10hipError_tPvRmT1_T2_T3_mT4_P12ihipStream_tbEUlT_E1_NS1_11comp_targetILNS1_3genE8ELNS1_11target_archE1030ELNS1_3gpuE2ELNS1_3repE0EEENS1_30default_config_static_selectorELNS0_4arch9wavefront6targetE1EEEvSL_,"axG",@progbits,_ZN7rocprim17ROCPRIM_400000_NS6detail17trampoline_kernelINS0_14default_configENS1_22reduce_config_selectorIiEEZNS1_11reduce_implILb1ES3_N6thrust23THRUST_200600_302600_NS11hip_rocprim35transform_pair_of_input_iterators_tIiPsSB_NS8_12not_equal_toIsEEEEPiiNS8_4plusIiEEEE10hipError_tPvRmT1_T2_T3_mT4_P12ihipStream_tbEUlT_E1_NS1_11comp_targetILNS1_3genE8ELNS1_11target_archE1030ELNS1_3gpuE2ELNS1_3repE0EEENS1_30default_config_static_selectorELNS0_4arch9wavefront6targetE1EEEvSL_,comdat
.Lfunc_end1469:
	.size	_ZN7rocprim17ROCPRIM_400000_NS6detail17trampoline_kernelINS0_14default_configENS1_22reduce_config_selectorIiEEZNS1_11reduce_implILb1ES3_N6thrust23THRUST_200600_302600_NS11hip_rocprim35transform_pair_of_input_iterators_tIiPsSB_NS8_12not_equal_toIsEEEEPiiNS8_4plusIiEEEE10hipError_tPvRmT1_T2_T3_mT4_P12ihipStream_tbEUlT_E1_NS1_11comp_targetILNS1_3genE8ELNS1_11target_archE1030ELNS1_3gpuE2ELNS1_3repE0EEENS1_30default_config_static_selectorELNS0_4arch9wavefront6targetE1EEEvSL_, .Lfunc_end1469-_ZN7rocprim17ROCPRIM_400000_NS6detail17trampoline_kernelINS0_14default_configENS1_22reduce_config_selectorIiEEZNS1_11reduce_implILb1ES3_N6thrust23THRUST_200600_302600_NS11hip_rocprim35transform_pair_of_input_iterators_tIiPsSB_NS8_12not_equal_toIsEEEEPiiNS8_4plusIiEEEE10hipError_tPvRmT1_T2_T3_mT4_P12ihipStream_tbEUlT_E1_NS1_11comp_targetILNS1_3genE8ELNS1_11target_archE1030ELNS1_3gpuE2ELNS1_3repE0EEENS1_30default_config_static_selectorELNS0_4arch9wavefront6targetE1EEEvSL_
                                        ; -- End function
	.set _ZN7rocprim17ROCPRIM_400000_NS6detail17trampoline_kernelINS0_14default_configENS1_22reduce_config_selectorIiEEZNS1_11reduce_implILb1ES3_N6thrust23THRUST_200600_302600_NS11hip_rocprim35transform_pair_of_input_iterators_tIiPsSB_NS8_12not_equal_toIsEEEEPiiNS8_4plusIiEEEE10hipError_tPvRmT1_T2_T3_mT4_P12ihipStream_tbEUlT_E1_NS1_11comp_targetILNS1_3genE8ELNS1_11target_archE1030ELNS1_3gpuE2ELNS1_3repE0EEENS1_30default_config_static_selectorELNS0_4arch9wavefront6targetE1EEEvSL_.num_vgpr, 0
	.set _ZN7rocprim17ROCPRIM_400000_NS6detail17trampoline_kernelINS0_14default_configENS1_22reduce_config_selectorIiEEZNS1_11reduce_implILb1ES3_N6thrust23THRUST_200600_302600_NS11hip_rocprim35transform_pair_of_input_iterators_tIiPsSB_NS8_12not_equal_toIsEEEEPiiNS8_4plusIiEEEE10hipError_tPvRmT1_T2_T3_mT4_P12ihipStream_tbEUlT_E1_NS1_11comp_targetILNS1_3genE8ELNS1_11target_archE1030ELNS1_3gpuE2ELNS1_3repE0EEENS1_30default_config_static_selectorELNS0_4arch9wavefront6targetE1EEEvSL_.num_agpr, 0
	.set _ZN7rocprim17ROCPRIM_400000_NS6detail17trampoline_kernelINS0_14default_configENS1_22reduce_config_selectorIiEEZNS1_11reduce_implILb1ES3_N6thrust23THRUST_200600_302600_NS11hip_rocprim35transform_pair_of_input_iterators_tIiPsSB_NS8_12not_equal_toIsEEEEPiiNS8_4plusIiEEEE10hipError_tPvRmT1_T2_T3_mT4_P12ihipStream_tbEUlT_E1_NS1_11comp_targetILNS1_3genE8ELNS1_11target_archE1030ELNS1_3gpuE2ELNS1_3repE0EEENS1_30default_config_static_selectorELNS0_4arch9wavefront6targetE1EEEvSL_.numbered_sgpr, 0
	.set _ZN7rocprim17ROCPRIM_400000_NS6detail17trampoline_kernelINS0_14default_configENS1_22reduce_config_selectorIiEEZNS1_11reduce_implILb1ES3_N6thrust23THRUST_200600_302600_NS11hip_rocprim35transform_pair_of_input_iterators_tIiPsSB_NS8_12not_equal_toIsEEEEPiiNS8_4plusIiEEEE10hipError_tPvRmT1_T2_T3_mT4_P12ihipStream_tbEUlT_E1_NS1_11comp_targetILNS1_3genE8ELNS1_11target_archE1030ELNS1_3gpuE2ELNS1_3repE0EEENS1_30default_config_static_selectorELNS0_4arch9wavefront6targetE1EEEvSL_.num_named_barrier, 0
	.set _ZN7rocprim17ROCPRIM_400000_NS6detail17trampoline_kernelINS0_14default_configENS1_22reduce_config_selectorIiEEZNS1_11reduce_implILb1ES3_N6thrust23THRUST_200600_302600_NS11hip_rocprim35transform_pair_of_input_iterators_tIiPsSB_NS8_12not_equal_toIsEEEEPiiNS8_4plusIiEEEE10hipError_tPvRmT1_T2_T3_mT4_P12ihipStream_tbEUlT_E1_NS1_11comp_targetILNS1_3genE8ELNS1_11target_archE1030ELNS1_3gpuE2ELNS1_3repE0EEENS1_30default_config_static_selectorELNS0_4arch9wavefront6targetE1EEEvSL_.private_seg_size, 0
	.set _ZN7rocprim17ROCPRIM_400000_NS6detail17trampoline_kernelINS0_14default_configENS1_22reduce_config_selectorIiEEZNS1_11reduce_implILb1ES3_N6thrust23THRUST_200600_302600_NS11hip_rocprim35transform_pair_of_input_iterators_tIiPsSB_NS8_12not_equal_toIsEEEEPiiNS8_4plusIiEEEE10hipError_tPvRmT1_T2_T3_mT4_P12ihipStream_tbEUlT_E1_NS1_11comp_targetILNS1_3genE8ELNS1_11target_archE1030ELNS1_3gpuE2ELNS1_3repE0EEENS1_30default_config_static_selectorELNS0_4arch9wavefront6targetE1EEEvSL_.uses_vcc, 0
	.set _ZN7rocprim17ROCPRIM_400000_NS6detail17trampoline_kernelINS0_14default_configENS1_22reduce_config_selectorIiEEZNS1_11reduce_implILb1ES3_N6thrust23THRUST_200600_302600_NS11hip_rocprim35transform_pair_of_input_iterators_tIiPsSB_NS8_12not_equal_toIsEEEEPiiNS8_4plusIiEEEE10hipError_tPvRmT1_T2_T3_mT4_P12ihipStream_tbEUlT_E1_NS1_11comp_targetILNS1_3genE8ELNS1_11target_archE1030ELNS1_3gpuE2ELNS1_3repE0EEENS1_30default_config_static_selectorELNS0_4arch9wavefront6targetE1EEEvSL_.uses_flat_scratch, 0
	.set _ZN7rocprim17ROCPRIM_400000_NS6detail17trampoline_kernelINS0_14default_configENS1_22reduce_config_selectorIiEEZNS1_11reduce_implILb1ES3_N6thrust23THRUST_200600_302600_NS11hip_rocprim35transform_pair_of_input_iterators_tIiPsSB_NS8_12not_equal_toIsEEEEPiiNS8_4plusIiEEEE10hipError_tPvRmT1_T2_T3_mT4_P12ihipStream_tbEUlT_E1_NS1_11comp_targetILNS1_3genE8ELNS1_11target_archE1030ELNS1_3gpuE2ELNS1_3repE0EEENS1_30default_config_static_selectorELNS0_4arch9wavefront6targetE1EEEvSL_.has_dyn_sized_stack, 0
	.set _ZN7rocprim17ROCPRIM_400000_NS6detail17trampoline_kernelINS0_14default_configENS1_22reduce_config_selectorIiEEZNS1_11reduce_implILb1ES3_N6thrust23THRUST_200600_302600_NS11hip_rocprim35transform_pair_of_input_iterators_tIiPsSB_NS8_12not_equal_toIsEEEEPiiNS8_4plusIiEEEE10hipError_tPvRmT1_T2_T3_mT4_P12ihipStream_tbEUlT_E1_NS1_11comp_targetILNS1_3genE8ELNS1_11target_archE1030ELNS1_3gpuE2ELNS1_3repE0EEENS1_30default_config_static_selectorELNS0_4arch9wavefront6targetE1EEEvSL_.has_recursion, 0
	.set _ZN7rocprim17ROCPRIM_400000_NS6detail17trampoline_kernelINS0_14default_configENS1_22reduce_config_selectorIiEEZNS1_11reduce_implILb1ES3_N6thrust23THRUST_200600_302600_NS11hip_rocprim35transform_pair_of_input_iterators_tIiPsSB_NS8_12not_equal_toIsEEEEPiiNS8_4plusIiEEEE10hipError_tPvRmT1_T2_T3_mT4_P12ihipStream_tbEUlT_E1_NS1_11comp_targetILNS1_3genE8ELNS1_11target_archE1030ELNS1_3gpuE2ELNS1_3repE0EEENS1_30default_config_static_selectorELNS0_4arch9wavefront6targetE1EEEvSL_.has_indirect_call, 0
	.section	.AMDGPU.csdata,"",@progbits
; Kernel info:
; codeLenInByte = 0
; TotalNumSgprs: 4
; NumVgprs: 0
; ScratchSize: 0
; MemoryBound: 0
; FloatMode: 240
; IeeeMode: 1
; LDSByteSize: 0 bytes/workgroup (compile time only)
; SGPRBlocks: 0
; VGPRBlocks: 0
; NumSGPRsForWavesPerEU: 4
; NumVGPRsForWavesPerEU: 1
; Occupancy: 10
; WaveLimiterHint : 0
; COMPUTE_PGM_RSRC2:SCRATCH_EN: 0
; COMPUTE_PGM_RSRC2:USER_SGPR: 6
; COMPUTE_PGM_RSRC2:TRAP_HANDLER: 0
; COMPUTE_PGM_RSRC2:TGID_X_EN: 1
; COMPUTE_PGM_RSRC2:TGID_Y_EN: 0
; COMPUTE_PGM_RSRC2:TGID_Z_EN: 0
; COMPUTE_PGM_RSRC2:TIDIG_COMP_CNT: 0
	.section	.text._ZN7rocprim17ROCPRIM_400000_NS6detail17trampoline_kernelINS0_14default_configENS1_29reduce_by_key_config_selectorIslN6thrust23THRUST_200600_302600_NS4plusIlEEEEZZNS1_33reduce_by_key_impl_wrapped_configILNS1_25lookback_scan_determinismE0ES3_S9_PsNS6_17constant_iteratorIiNS6_11use_defaultESE_EENS6_10device_ptrIsEENSG_IlEEPmS8_NS6_8equal_toIsEEEE10hipError_tPvRmT2_T3_mT4_T5_T6_T7_T8_P12ihipStream_tbENKUlT_T0_E_clISt17integral_constantIbLb0EES13_EEDaSY_SZ_EUlSY_E_NS1_11comp_targetILNS1_3genE0ELNS1_11target_archE4294967295ELNS1_3gpuE0ELNS1_3repE0EEENS1_30default_config_static_selectorELNS0_4arch9wavefront6targetE1EEEvT1_,"axG",@progbits,_ZN7rocprim17ROCPRIM_400000_NS6detail17trampoline_kernelINS0_14default_configENS1_29reduce_by_key_config_selectorIslN6thrust23THRUST_200600_302600_NS4plusIlEEEEZZNS1_33reduce_by_key_impl_wrapped_configILNS1_25lookback_scan_determinismE0ES3_S9_PsNS6_17constant_iteratorIiNS6_11use_defaultESE_EENS6_10device_ptrIsEENSG_IlEEPmS8_NS6_8equal_toIsEEEE10hipError_tPvRmT2_T3_mT4_T5_T6_T7_T8_P12ihipStream_tbENKUlT_T0_E_clISt17integral_constantIbLb0EES13_EEDaSY_SZ_EUlSY_E_NS1_11comp_targetILNS1_3genE0ELNS1_11target_archE4294967295ELNS1_3gpuE0ELNS1_3repE0EEENS1_30default_config_static_selectorELNS0_4arch9wavefront6targetE1EEEvT1_,comdat
	.protected	_ZN7rocprim17ROCPRIM_400000_NS6detail17trampoline_kernelINS0_14default_configENS1_29reduce_by_key_config_selectorIslN6thrust23THRUST_200600_302600_NS4plusIlEEEEZZNS1_33reduce_by_key_impl_wrapped_configILNS1_25lookback_scan_determinismE0ES3_S9_PsNS6_17constant_iteratorIiNS6_11use_defaultESE_EENS6_10device_ptrIsEENSG_IlEEPmS8_NS6_8equal_toIsEEEE10hipError_tPvRmT2_T3_mT4_T5_T6_T7_T8_P12ihipStream_tbENKUlT_T0_E_clISt17integral_constantIbLb0EES13_EEDaSY_SZ_EUlSY_E_NS1_11comp_targetILNS1_3genE0ELNS1_11target_archE4294967295ELNS1_3gpuE0ELNS1_3repE0EEENS1_30default_config_static_selectorELNS0_4arch9wavefront6targetE1EEEvT1_ ; -- Begin function _ZN7rocprim17ROCPRIM_400000_NS6detail17trampoline_kernelINS0_14default_configENS1_29reduce_by_key_config_selectorIslN6thrust23THRUST_200600_302600_NS4plusIlEEEEZZNS1_33reduce_by_key_impl_wrapped_configILNS1_25lookback_scan_determinismE0ES3_S9_PsNS6_17constant_iteratorIiNS6_11use_defaultESE_EENS6_10device_ptrIsEENSG_IlEEPmS8_NS6_8equal_toIsEEEE10hipError_tPvRmT2_T3_mT4_T5_T6_T7_T8_P12ihipStream_tbENKUlT_T0_E_clISt17integral_constantIbLb0EES13_EEDaSY_SZ_EUlSY_E_NS1_11comp_targetILNS1_3genE0ELNS1_11target_archE4294967295ELNS1_3gpuE0ELNS1_3repE0EEENS1_30default_config_static_selectorELNS0_4arch9wavefront6targetE1EEEvT1_
	.globl	_ZN7rocprim17ROCPRIM_400000_NS6detail17trampoline_kernelINS0_14default_configENS1_29reduce_by_key_config_selectorIslN6thrust23THRUST_200600_302600_NS4plusIlEEEEZZNS1_33reduce_by_key_impl_wrapped_configILNS1_25lookback_scan_determinismE0ES3_S9_PsNS6_17constant_iteratorIiNS6_11use_defaultESE_EENS6_10device_ptrIsEENSG_IlEEPmS8_NS6_8equal_toIsEEEE10hipError_tPvRmT2_T3_mT4_T5_T6_T7_T8_P12ihipStream_tbENKUlT_T0_E_clISt17integral_constantIbLb0EES13_EEDaSY_SZ_EUlSY_E_NS1_11comp_targetILNS1_3genE0ELNS1_11target_archE4294967295ELNS1_3gpuE0ELNS1_3repE0EEENS1_30default_config_static_selectorELNS0_4arch9wavefront6targetE1EEEvT1_
	.p2align	8
	.type	_ZN7rocprim17ROCPRIM_400000_NS6detail17trampoline_kernelINS0_14default_configENS1_29reduce_by_key_config_selectorIslN6thrust23THRUST_200600_302600_NS4plusIlEEEEZZNS1_33reduce_by_key_impl_wrapped_configILNS1_25lookback_scan_determinismE0ES3_S9_PsNS6_17constant_iteratorIiNS6_11use_defaultESE_EENS6_10device_ptrIsEENSG_IlEEPmS8_NS6_8equal_toIsEEEE10hipError_tPvRmT2_T3_mT4_T5_T6_T7_T8_P12ihipStream_tbENKUlT_T0_E_clISt17integral_constantIbLb0EES13_EEDaSY_SZ_EUlSY_E_NS1_11comp_targetILNS1_3genE0ELNS1_11target_archE4294967295ELNS1_3gpuE0ELNS1_3repE0EEENS1_30default_config_static_selectorELNS0_4arch9wavefront6targetE1EEEvT1_,@function
_ZN7rocprim17ROCPRIM_400000_NS6detail17trampoline_kernelINS0_14default_configENS1_29reduce_by_key_config_selectorIslN6thrust23THRUST_200600_302600_NS4plusIlEEEEZZNS1_33reduce_by_key_impl_wrapped_configILNS1_25lookback_scan_determinismE0ES3_S9_PsNS6_17constant_iteratorIiNS6_11use_defaultESE_EENS6_10device_ptrIsEENSG_IlEEPmS8_NS6_8equal_toIsEEEE10hipError_tPvRmT2_T3_mT4_T5_T6_T7_T8_P12ihipStream_tbENKUlT_T0_E_clISt17integral_constantIbLb0EES13_EEDaSY_SZ_EUlSY_E_NS1_11comp_targetILNS1_3genE0ELNS1_11target_archE4294967295ELNS1_3gpuE0ELNS1_3repE0EEENS1_30default_config_static_selectorELNS0_4arch9wavefront6targetE1EEEvT1_: ; @_ZN7rocprim17ROCPRIM_400000_NS6detail17trampoline_kernelINS0_14default_configENS1_29reduce_by_key_config_selectorIslN6thrust23THRUST_200600_302600_NS4plusIlEEEEZZNS1_33reduce_by_key_impl_wrapped_configILNS1_25lookback_scan_determinismE0ES3_S9_PsNS6_17constant_iteratorIiNS6_11use_defaultESE_EENS6_10device_ptrIsEENSG_IlEEPmS8_NS6_8equal_toIsEEEE10hipError_tPvRmT2_T3_mT4_T5_T6_T7_T8_P12ihipStream_tbENKUlT_T0_E_clISt17integral_constantIbLb0EES13_EEDaSY_SZ_EUlSY_E_NS1_11comp_targetILNS1_3genE0ELNS1_11target_archE4294967295ELNS1_3gpuE0ELNS1_3repE0EEENS1_30default_config_static_selectorELNS0_4arch9wavefront6targetE1EEEvT1_
; %bb.0:
	.section	.rodata,"a",@progbits
	.p2align	6, 0x0
	.amdhsa_kernel _ZN7rocprim17ROCPRIM_400000_NS6detail17trampoline_kernelINS0_14default_configENS1_29reduce_by_key_config_selectorIslN6thrust23THRUST_200600_302600_NS4plusIlEEEEZZNS1_33reduce_by_key_impl_wrapped_configILNS1_25lookback_scan_determinismE0ES3_S9_PsNS6_17constant_iteratorIiNS6_11use_defaultESE_EENS6_10device_ptrIsEENSG_IlEEPmS8_NS6_8equal_toIsEEEE10hipError_tPvRmT2_T3_mT4_T5_T6_T7_T8_P12ihipStream_tbENKUlT_T0_E_clISt17integral_constantIbLb0EES13_EEDaSY_SZ_EUlSY_E_NS1_11comp_targetILNS1_3genE0ELNS1_11target_archE4294967295ELNS1_3gpuE0ELNS1_3repE0EEENS1_30default_config_static_selectorELNS0_4arch9wavefront6targetE1EEEvT1_
		.amdhsa_group_segment_fixed_size 0
		.amdhsa_private_segment_fixed_size 0
		.amdhsa_kernarg_size 144
		.amdhsa_user_sgpr_count 6
		.amdhsa_user_sgpr_private_segment_buffer 1
		.amdhsa_user_sgpr_dispatch_ptr 0
		.amdhsa_user_sgpr_queue_ptr 0
		.amdhsa_user_sgpr_kernarg_segment_ptr 1
		.amdhsa_user_sgpr_dispatch_id 0
		.amdhsa_user_sgpr_flat_scratch_init 0
		.amdhsa_user_sgpr_private_segment_size 0
		.amdhsa_uses_dynamic_stack 0
		.amdhsa_system_sgpr_private_segment_wavefront_offset 0
		.amdhsa_system_sgpr_workgroup_id_x 1
		.amdhsa_system_sgpr_workgroup_id_y 0
		.amdhsa_system_sgpr_workgroup_id_z 0
		.amdhsa_system_sgpr_workgroup_info 0
		.amdhsa_system_vgpr_workitem_id 0
		.amdhsa_next_free_vgpr 1
		.amdhsa_next_free_sgpr 0
		.amdhsa_reserve_vcc 0
		.amdhsa_reserve_flat_scratch 0
		.amdhsa_float_round_mode_32 0
		.amdhsa_float_round_mode_16_64 0
		.amdhsa_float_denorm_mode_32 3
		.amdhsa_float_denorm_mode_16_64 3
		.amdhsa_dx10_clamp 1
		.amdhsa_ieee_mode 1
		.amdhsa_fp16_overflow 0
		.amdhsa_exception_fp_ieee_invalid_op 0
		.amdhsa_exception_fp_denorm_src 0
		.amdhsa_exception_fp_ieee_div_zero 0
		.amdhsa_exception_fp_ieee_overflow 0
		.amdhsa_exception_fp_ieee_underflow 0
		.amdhsa_exception_fp_ieee_inexact 0
		.amdhsa_exception_int_div_zero 0
	.end_amdhsa_kernel
	.section	.text._ZN7rocprim17ROCPRIM_400000_NS6detail17trampoline_kernelINS0_14default_configENS1_29reduce_by_key_config_selectorIslN6thrust23THRUST_200600_302600_NS4plusIlEEEEZZNS1_33reduce_by_key_impl_wrapped_configILNS1_25lookback_scan_determinismE0ES3_S9_PsNS6_17constant_iteratorIiNS6_11use_defaultESE_EENS6_10device_ptrIsEENSG_IlEEPmS8_NS6_8equal_toIsEEEE10hipError_tPvRmT2_T3_mT4_T5_T6_T7_T8_P12ihipStream_tbENKUlT_T0_E_clISt17integral_constantIbLb0EES13_EEDaSY_SZ_EUlSY_E_NS1_11comp_targetILNS1_3genE0ELNS1_11target_archE4294967295ELNS1_3gpuE0ELNS1_3repE0EEENS1_30default_config_static_selectorELNS0_4arch9wavefront6targetE1EEEvT1_,"axG",@progbits,_ZN7rocprim17ROCPRIM_400000_NS6detail17trampoline_kernelINS0_14default_configENS1_29reduce_by_key_config_selectorIslN6thrust23THRUST_200600_302600_NS4plusIlEEEEZZNS1_33reduce_by_key_impl_wrapped_configILNS1_25lookback_scan_determinismE0ES3_S9_PsNS6_17constant_iteratorIiNS6_11use_defaultESE_EENS6_10device_ptrIsEENSG_IlEEPmS8_NS6_8equal_toIsEEEE10hipError_tPvRmT2_T3_mT4_T5_T6_T7_T8_P12ihipStream_tbENKUlT_T0_E_clISt17integral_constantIbLb0EES13_EEDaSY_SZ_EUlSY_E_NS1_11comp_targetILNS1_3genE0ELNS1_11target_archE4294967295ELNS1_3gpuE0ELNS1_3repE0EEENS1_30default_config_static_selectorELNS0_4arch9wavefront6targetE1EEEvT1_,comdat
.Lfunc_end1470:
	.size	_ZN7rocprim17ROCPRIM_400000_NS6detail17trampoline_kernelINS0_14default_configENS1_29reduce_by_key_config_selectorIslN6thrust23THRUST_200600_302600_NS4plusIlEEEEZZNS1_33reduce_by_key_impl_wrapped_configILNS1_25lookback_scan_determinismE0ES3_S9_PsNS6_17constant_iteratorIiNS6_11use_defaultESE_EENS6_10device_ptrIsEENSG_IlEEPmS8_NS6_8equal_toIsEEEE10hipError_tPvRmT2_T3_mT4_T5_T6_T7_T8_P12ihipStream_tbENKUlT_T0_E_clISt17integral_constantIbLb0EES13_EEDaSY_SZ_EUlSY_E_NS1_11comp_targetILNS1_3genE0ELNS1_11target_archE4294967295ELNS1_3gpuE0ELNS1_3repE0EEENS1_30default_config_static_selectorELNS0_4arch9wavefront6targetE1EEEvT1_, .Lfunc_end1470-_ZN7rocprim17ROCPRIM_400000_NS6detail17trampoline_kernelINS0_14default_configENS1_29reduce_by_key_config_selectorIslN6thrust23THRUST_200600_302600_NS4plusIlEEEEZZNS1_33reduce_by_key_impl_wrapped_configILNS1_25lookback_scan_determinismE0ES3_S9_PsNS6_17constant_iteratorIiNS6_11use_defaultESE_EENS6_10device_ptrIsEENSG_IlEEPmS8_NS6_8equal_toIsEEEE10hipError_tPvRmT2_T3_mT4_T5_T6_T7_T8_P12ihipStream_tbENKUlT_T0_E_clISt17integral_constantIbLb0EES13_EEDaSY_SZ_EUlSY_E_NS1_11comp_targetILNS1_3genE0ELNS1_11target_archE4294967295ELNS1_3gpuE0ELNS1_3repE0EEENS1_30default_config_static_selectorELNS0_4arch9wavefront6targetE1EEEvT1_
                                        ; -- End function
	.set _ZN7rocprim17ROCPRIM_400000_NS6detail17trampoline_kernelINS0_14default_configENS1_29reduce_by_key_config_selectorIslN6thrust23THRUST_200600_302600_NS4plusIlEEEEZZNS1_33reduce_by_key_impl_wrapped_configILNS1_25lookback_scan_determinismE0ES3_S9_PsNS6_17constant_iteratorIiNS6_11use_defaultESE_EENS6_10device_ptrIsEENSG_IlEEPmS8_NS6_8equal_toIsEEEE10hipError_tPvRmT2_T3_mT4_T5_T6_T7_T8_P12ihipStream_tbENKUlT_T0_E_clISt17integral_constantIbLb0EES13_EEDaSY_SZ_EUlSY_E_NS1_11comp_targetILNS1_3genE0ELNS1_11target_archE4294967295ELNS1_3gpuE0ELNS1_3repE0EEENS1_30default_config_static_selectorELNS0_4arch9wavefront6targetE1EEEvT1_.num_vgpr, 0
	.set _ZN7rocprim17ROCPRIM_400000_NS6detail17trampoline_kernelINS0_14default_configENS1_29reduce_by_key_config_selectorIslN6thrust23THRUST_200600_302600_NS4plusIlEEEEZZNS1_33reduce_by_key_impl_wrapped_configILNS1_25lookback_scan_determinismE0ES3_S9_PsNS6_17constant_iteratorIiNS6_11use_defaultESE_EENS6_10device_ptrIsEENSG_IlEEPmS8_NS6_8equal_toIsEEEE10hipError_tPvRmT2_T3_mT4_T5_T6_T7_T8_P12ihipStream_tbENKUlT_T0_E_clISt17integral_constantIbLb0EES13_EEDaSY_SZ_EUlSY_E_NS1_11comp_targetILNS1_3genE0ELNS1_11target_archE4294967295ELNS1_3gpuE0ELNS1_3repE0EEENS1_30default_config_static_selectorELNS0_4arch9wavefront6targetE1EEEvT1_.num_agpr, 0
	.set _ZN7rocprim17ROCPRIM_400000_NS6detail17trampoline_kernelINS0_14default_configENS1_29reduce_by_key_config_selectorIslN6thrust23THRUST_200600_302600_NS4plusIlEEEEZZNS1_33reduce_by_key_impl_wrapped_configILNS1_25lookback_scan_determinismE0ES3_S9_PsNS6_17constant_iteratorIiNS6_11use_defaultESE_EENS6_10device_ptrIsEENSG_IlEEPmS8_NS6_8equal_toIsEEEE10hipError_tPvRmT2_T3_mT4_T5_T6_T7_T8_P12ihipStream_tbENKUlT_T0_E_clISt17integral_constantIbLb0EES13_EEDaSY_SZ_EUlSY_E_NS1_11comp_targetILNS1_3genE0ELNS1_11target_archE4294967295ELNS1_3gpuE0ELNS1_3repE0EEENS1_30default_config_static_selectorELNS0_4arch9wavefront6targetE1EEEvT1_.numbered_sgpr, 0
	.set _ZN7rocprim17ROCPRIM_400000_NS6detail17trampoline_kernelINS0_14default_configENS1_29reduce_by_key_config_selectorIslN6thrust23THRUST_200600_302600_NS4plusIlEEEEZZNS1_33reduce_by_key_impl_wrapped_configILNS1_25lookback_scan_determinismE0ES3_S9_PsNS6_17constant_iteratorIiNS6_11use_defaultESE_EENS6_10device_ptrIsEENSG_IlEEPmS8_NS6_8equal_toIsEEEE10hipError_tPvRmT2_T3_mT4_T5_T6_T7_T8_P12ihipStream_tbENKUlT_T0_E_clISt17integral_constantIbLb0EES13_EEDaSY_SZ_EUlSY_E_NS1_11comp_targetILNS1_3genE0ELNS1_11target_archE4294967295ELNS1_3gpuE0ELNS1_3repE0EEENS1_30default_config_static_selectorELNS0_4arch9wavefront6targetE1EEEvT1_.num_named_barrier, 0
	.set _ZN7rocprim17ROCPRIM_400000_NS6detail17trampoline_kernelINS0_14default_configENS1_29reduce_by_key_config_selectorIslN6thrust23THRUST_200600_302600_NS4plusIlEEEEZZNS1_33reduce_by_key_impl_wrapped_configILNS1_25lookback_scan_determinismE0ES3_S9_PsNS6_17constant_iteratorIiNS6_11use_defaultESE_EENS6_10device_ptrIsEENSG_IlEEPmS8_NS6_8equal_toIsEEEE10hipError_tPvRmT2_T3_mT4_T5_T6_T7_T8_P12ihipStream_tbENKUlT_T0_E_clISt17integral_constantIbLb0EES13_EEDaSY_SZ_EUlSY_E_NS1_11comp_targetILNS1_3genE0ELNS1_11target_archE4294967295ELNS1_3gpuE0ELNS1_3repE0EEENS1_30default_config_static_selectorELNS0_4arch9wavefront6targetE1EEEvT1_.private_seg_size, 0
	.set _ZN7rocprim17ROCPRIM_400000_NS6detail17trampoline_kernelINS0_14default_configENS1_29reduce_by_key_config_selectorIslN6thrust23THRUST_200600_302600_NS4plusIlEEEEZZNS1_33reduce_by_key_impl_wrapped_configILNS1_25lookback_scan_determinismE0ES3_S9_PsNS6_17constant_iteratorIiNS6_11use_defaultESE_EENS6_10device_ptrIsEENSG_IlEEPmS8_NS6_8equal_toIsEEEE10hipError_tPvRmT2_T3_mT4_T5_T6_T7_T8_P12ihipStream_tbENKUlT_T0_E_clISt17integral_constantIbLb0EES13_EEDaSY_SZ_EUlSY_E_NS1_11comp_targetILNS1_3genE0ELNS1_11target_archE4294967295ELNS1_3gpuE0ELNS1_3repE0EEENS1_30default_config_static_selectorELNS0_4arch9wavefront6targetE1EEEvT1_.uses_vcc, 0
	.set _ZN7rocprim17ROCPRIM_400000_NS6detail17trampoline_kernelINS0_14default_configENS1_29reduce_by_key_config_selectorIslN6thrust23THRUST_200600_302600_NS4plusIlEEEEZZNS1_33reduce_by_key_impl_wrapped_configILNS1_25lookback_scan_determinismE0ES3_S9_PsNS6_17constant_iteratorIiNS6_11use_defaultESE_EENS6_10device_ptrIsEENSG_IlEEPmS8_NS6_8equal_toIsEEEE10hipError_tPvRmT2_T3_mT4_T5_T6_T7_T8_P12ihipStream_tbENKUlT_T0_E_clISt17integral_constantIbLb0EES13_EEDaSY_SZ_EUlSY_E_NS1_11comp_targetILNS1_3genE0ELNS1_11target_archE4294967295ELNS1_3gpuE0ELNS1_3repE0EEENS1_30default_config_static_selectorELNS0_4arch9wavefront6targetE1EEEvT1_.uses_flat_scratch, 0
	.set _ZN7rocprim17ROCPRIM_400000_NS6detail17trampoline_kernelINS0_14default_configENS1_29reduce_by_key_config_selectorIslN6thrust23THRUST_200600_302600_NS4plusIlEEEEZZNS1_33reduce_by_key_impl_wrapped_configILNS1_25lookback_scan_determinismE0ES3_S9_PsNS6_17constant_iteratorIiNS6_11use_defaultESE_EENS6_10device_ptrIsEENSG_IlEEPmS8_NS6_8equal_toIsEEEE10hipError_tPvRmT2_T3_mT4_T5_T6_T7_T8_P12ihipStream_tbENKUlT_T0_E_clISt17integral_constantIbLb0EES13_EEDaSY_SZ_EUlSY_E_NS1_11comp_targetILNS1_3genE0ELNS1_11target_archE4294967295ELNS1_3gpuE0ELNS1_3repE0EEENS1_30default_config_static_selectorELNS0_4arch9wavefront6targetE1EEEvT1_.has_dyn_sized_stack, 0
	.set _ZN7rocprim17ROCPRIM_400000_NS6detail17trampoline_kernelINS0_14default_configENS1_29reduce_by_key_config_selectorIslN6thrust23THRUST_200600_302600_NS4plusIlEEEEZZNS1_33reduce_by_key_impl_wrapped_configILNS1_25lookback_scan_determinismE0ES3_S9_PsNS6_17constant_iteratorIiNS6_11use_defaultESE_EENS6_10device_ptrIsEENSG_IlEEPmS8_NS6_8equal_toIsEEEE10hipError_tPvRmT2_T3_mT4_T5_T6_T7_T8_P12ihipStream_tbENKUlT_T0_E_clISt17integral_constantIbLb0EES13_EEDaSY_SZ_EUlSY_E_NS1_11comp_targetILNS1_3genE0ELNS1_11target_archE4294967295ELNS1_3gpuE0ELNS1_3repE0EEENS1_30default_config_static_selectorELNS0_4arch9wavefront6targetE1EEEvT1_.has_recursion, 0
	.set _ZN7rocprim17ROCPRIM_400000_NS6detail17trampoline_kernelINS0_14default_configENS1_29reduce_by_key_config_selectorIslN6thrust23THRUST_200600_302600_NS4plusIlEEEEZZNS1_33reduce_by_key_impl_wrapped_configILNS1_25lookback_scan_determinismE0ES3_S9_PsNS6_17constant_iteratorIiNS6_11use_defaultESE_EENS6_10device_ptrIsEENSG_IlEEPmS8_NS6_8equal_toIsEEEE10hipError_tPvRmT2_T3_mT4_T5_T6_T7_T8_P12ihipStream_tbENKUlT_T0_E_clISt17integral_constantIbLb0EES13_EEDaSY_SZ_EUlSY_E_NS1_11comp_targetILNS1_3genE0ELNS1_11target_archE4294967295ELNS1_3gpuE0ELNS1_3repE0EEENS1_30default_config_static_selectorELNS0_4arch9wavefront6targetE1EEEvT1_.has_indirect_call, 0
	.section	.AMDGPU.csdata,"",@progbits
; Kernel info:
; codeLenInByte = 0
; TotalNumSgprs: 4
; NumVgprs: 0
; ScratchSize: 0
; MemoryBound: 0
; FloatMode: 240
; IeeeMode: 1
; LDSByteSize: 0 bytes/workgroup (compile time only)
; SGPRBlocks: 0
; VGPRBlocks: 0
; NumSGPRsForWavesPerEU: 4
; NumVGPRsForWavesPerEU: 1
; Occupancy: 10
; WaveLimiterHint : 0
; COMPUTE_PGM_RSRC2:SCRATCH_EN: 0
; COMPUTE_PGM_RSRC2:USER_SGPR: 6
; COMPUTE_PGM_RSRC2:TRAP_HANDLER: 0
; COMPUTE_PGM_RSRC2:TGID_X_EN: 1
; COMPUTE_PGM_RSRC2:TGID_Y_EN: 0
; COMPUTE_PGM_RSRC2:TGID_Z_EN: 0
; COMPUTE_PGM_RSRC2:TIDIG_COMP_CNT: 0
	.section	.text._ZN7rocprim17ROCPRIM_400000_NS6detail17trampoline_kernelINS0_14default_configENS1_29reduce_by_key_config_selectorIslN6thrust23THRUST_200600_302600_NS4plusIlEEEEZZNS1_33reduce_by_key_impl_wrapped_configILNS1_25lookback_scan_determinismE0ES3_S9_PsNS6_17constant_iteratorIiNS6_11use_defaultESE_EENS6_10device_ptrIsEENSG_IlEEPmS8_NS6_8equal_toIsEEEE10hipError_tPvRmT2_T3_mT4_T5_T6_T7_T8_P12ihipStream_tbENKUlT_T0_E_clISt17integral_constantIbLb0EES13_EEDaSY_SZ_EUlSY_E_NS1_11comp_targetILNS1_3genE5ELNS1_11target_archE942ELNS1_3gpuE9ELNS1_3repE0EEENS1_30default_config_static_selectorELNS0_4arch9wavefront6targetE1EEEvT1_,"axG",@progbits,_ZN7rocprim17ROCPRIM_400000_NS6detail17trampoline_kernelINS0_14default_configENS1_29reduce_by_key_config_selectorIslN6thrust23THRUST_200600_302600_NS4plusIlEEEEZZNS1_33reduce_by_key_impl_wrapped_configILNS1_25lookback_scan_determinismE0ES3_S9_PsNS6_17constant_iteratorIiNS6_11use_defaultESE_EENS6_10device_ptrIsEENSG_IlEEPmS8_NS6_8equal_toIsEEEE10hipError_tPvRmT2_T3_mT4_T5_T6_T7_T8_P12ihipStream_tbENKUlT_T0_E_clISt17integral_constantIbLb0EES13_EEDaSY_SZ_EUlSY_E_NS1_11comp_targetILNS1_3genE5ELNS1_11target_archE942ELNS1_3gpuE9ELNS1_3repE0EEENS1_30default_config_static_selectorELNS0_4arch9wavefront6targetE1EEEvT1_,comdat
	.protected	_ZN7rocprim17ROCPRIM_400000_NS6detail17trampoline_kernelINS0_14default_configENS1_29reduce_by_key_config_selectorIslN6thrust23THRUST_200600_302600_NS4plusIlEEEEZZNS1_33reduce_by_key_impl_wrapped_configILNS1_25lookback_scan_determinismE0ES3_S9_PsNS6_17constant_iteratorIiNS6_11use_defaultESE_EENS6_10device_ptrIsEENSG_IlEEPmS8_NS6_8equal_toIsEEEE10hipError_tPvRmT2_T3_mT4_T5_T6_T7_T8_P12ihipStream_tbENKUlT_T0_E_clISt17integral_constantIbLb0EES13_EEDaSY_SZ_EUlSY_E_NS1_11comp_targetILNS1_3genE5ELNS1_11target_archE942ELNS1_3gpuE9ELNS1_3repE0EEENS1_30default_config_static_selectorELNS0_4arch9wavefront6targetE1EEEvT1_ ; -- Begin function _ZN7rocprim17ROCPRIM_400000_NS6detail17trampoline_kernelINS0_14default_configENS1_29reduce_by_key_config_selectorIslN6thrust23THRUST_200600_302600_NS4plusIlEEEEZZNS1_33reduce_by_key_impl_wrapped_configILNS1_25lookback_scan_determinismE0ES3_S9_PsNS6_17constant_iteratorIiNS6_11use_defaultESE_EENS6_10device_ptrIsEENSG_IlEEPmS8_NS6_8equal_toIsEEEE10hipError_tPvRmT2_T3_mT4_T5_T6_T7_T8_P12ihipStream_tbENKUlT_T0_E_clISt17integral_constantIbLb0EES13_EEDaSY_SZ_EUlSY_E_NS1_11comp_targetILNS1_3genE5ELNS1_11target_archE942ELNS1_3gpuE9ELNS1_3repE0EEENS1_30default_config_static_selectorELNS0_4arch9wavefront6targetE1EEEvT1_
	.globl	_ZN7rocprim17ROCPRIM_400000_NS6detail17trampoline_kernelINS0_14default_configENS1_29reduce_by_key_config_selectorIslN6thrust23THRUST_200600_302600_NS4plusIlEEEEZZNS1_33reduce_by_key_impl_wrapped_configILNS1_25lookback_scan_determinismE0ES3_S9_PsNS6_17constant_iteratorIiNS6_11use_defaultESE_EENS6_10device_ptrIsEENSG_IlEEPmS8_NS6_8equal_toIsEEEE10hipError_tPvRmT2_T3_mT4_T5_T6_T7_T8_P12ihipStream_tbENKUlT_T0_E_clISt17integral_constantIbLb0EES13_EEDaSY_SZ_EUlSY_E_NS1_11comp_targetILNS1_3genE5ELNS1_11target_archE942ELNS1_3gpuE9ELNS1_3repE0EEENS1_30default_config_static_selectorELNS0_4arch9wavefront6targetE1EEEvT1_
	.p2align	8
	.type	_ZN7rocprim17ROCPRIM_400000_NS6detail17trampoline_kernelINS0_14default_configENS1_29reduce_by_key_config_selectorIslN6thrust23THRUST_200600_302600_NS4plusIlEEEEZZNS1_33reduce_by_key_impl_wrapped_configILNS1_25lookback_scan_determinismE0ES3_S9_PsNS6_17constant_iteratorIiNS6_11use_defaultESE_EENS6_10device_ptrIsEENSG_IlEEPmS8_NS6_8equal_toIsEEEE10hipError_tPvRmT2_T3_mT4_T5_T6_T7_T8_P12ihipStream_tbENKUlT_T0_E_clISt17integral_constantIbLb0EES13_EEDaSY_SZ_EUlSY_E_NS1_11comp_targetILNS1_3genE5ELNS1_11target_archE942ELNS1_3gpuE9ELNS1_3repE0EEENS1_30default_config_static_selectorELNS0_4arch9wavefront6targetE1EEEvT1_,@function
_ZN7rocprim17ROCPRIM_400000_NS6detail17trampoline_kernelINS0_14default_configENS1_29reduce_by_key_config_selectorIslN6thrust23THRUST_200600_302600_NS4plusIlEEEEZZNS1_33reduce_by_key_impl_wrapped_configILNS1_25lookback_scan_determinismE0ES3_S9_PsNS6_17constant_iteratorIiNS6_11use_defaultESE_EENS6_10device_ptrIsEENSG_IlEEPmS8_NS6_8equal_toIsEEEE10hipError_tPvRmT2_T3_mT4_T5_T6_T7_T8_P12ihipStream_tbENKUlT_T0_E_clISt17integral_constantIbLb0EES13_EEDaSY_SZ_EUlSY_E_NS1_11comp_targetILNS1_3genE5ELNS1_11target_archE942ELNS1_3gpuE9ELNS1_3repE0EEENS1_30default_config_static_selectorELNS0_4arch9wavefront6targetE1EEEvT1_: ; @_ZN7rocprim17ROCPRIM_400000_NS6detail17trampoline_kernelINS0_14default_configENS1_29reduce_by_key_config_selectorIslN6thrust23THRUST_200600_302600_NS4plusIlEEEEZZNS1_33reduce_by_key_impl_wrapped_configILNS1_25lookback_scan_determinismE0ES3_S9_PsNS6_17constant_iteratorIiNS6_11use_defaultESE_EENS6_10device_ptrIsEENSG_IlEEPmS8_NS6_8equal_toIsEEEE10hipError_tPvRmT2_T3_mT4_T5_T6_T7_T8_P12ihipStream_tbENKUlT_T0_E_clISt17integral_constantIbLb0EES13_EEDaSY_SZ_EUlSY_E_NS1_11comp_targetILNS1_3genE5ELNS1_11target_archE942ELNS1_3gpuE9ELNS1_3repE0EEENS1_30default_config_static_selectorELNS0_4arch9wavefront6targetE1EEEvT1_
; %bb.0:
	.section	.rodata,"a",@progbits
	.p2align	6, 0x0
	.amdhsa_kernel _ZN7rocprim17ROCPRIM_400000_NS6detail17trampoline_kernelINS0_14default_configENS1_29reduce_by_key_config_selectorIslN6thrust23THRUST_200600_302600_NS4plusIlEEEEZZNS1_33reduce_by_key_impl_wrapped_configILNS1_25lookback_scan_determinismE0ES3_S9_PsNS6_17constant_iteratorIiNS6_11use_defaultESE_EENS6_10device_ptrIsEENSG_IlEEPmS8_NS6_8equal_toIsEEEE10hipError_tPvRmT2_T3_mT4_T5_T6_T7_T8_P12ihipStream_tbENKUlT_T0_E_clISt17integral_constantIbLb0EES13_EEDaSY_SZ_EUlSY_E_NS1_11comp_targetILNS1_3genE5ELNS1_11target_archE942ELNS1_3gpuE9ELNS1_3repE0EEENS1_30default_config_static_selectorELNS0_4arch9wavefront6targetE1EEEvT1_
		.amdhsa_group_segment_fixed_size 0
		.amdhsa_private_segment_fixed_size 0
		.amdhsa_kernarg_size 144
		.amdhsa_user_sgpr_count 6
		.amdhsa_user_sgpr_private_segment_buffer 1
		.amdhsa_user_sgpr_dispatch_ptr 0
		.amdhsa_user_sgpr_queue_ptr 0
		.amdhsa_user_sgpr_kernarg_segment_ptr 1
		.amdhsa_user_sgpr_dispatch_id 0
		.amdhsa_user_sgpr_flat_scratch_init 0
		.amdhsa_user_sgpr_private_segment_size 0
		.amdhsa_uses_dynamic_stack 0
		.amdhsa_system_sgpr_private_segment_wavefront_offset 0
		.amdhsa_system_sgpr_workgroup_id_x 1
		.amdhsa_system_sgpr_workgroup_id_y 0
		.amdhsa_system_sgpr_workgroup_id_z 0
		.amdhsa_system_sgpr_workgroup_info 0
		.amdhsa_system_vgpr_workitem_id 0
		.amdhsa_next_free_vgpr 1
		.amdhsa_next_free_sgpr 0
		.amdhsa_reserve_vcc 0
		.amdhsa_reserve_flat_scratch 0
		.amdhsa_float_round_mode_32 0
		.amdhsa_float_round_mode_16_64 0
		.amdhsa_float_denorm_mode_32 3
		.amdhsa_float_denorm_mode_16_64 3
		.amdhsa_dx10_clamp 1
		.amdhsa_ieee_mode 1
		.amdhsa_fp16_overflow 0
		.amdhsa_exception_fp_ieee_invalid_op 0
		.amdhsa_exception_fp_denorm_src 0
		.amdhsa_exception_fp_ieee_div_zero 0
		.amdhsa_exception_fp_ieee_overflow 0
		.amdhsa_exception_fp_ieee_underflow 0
		.amdhsa_exception_fp_ieee_inexact 0
		.amdhsa_exception_int_div_zero 0
	.end_amdhsa_kernel
	.section	.text._ZN7rocprim17ROCPRIM_400000_NS6detail17trampoline_kernelINS0_14default_configENS1_29reduce_by_key_config_selectorIslN6thrust23THRUST_200600_302600_NS4plusIlEEEEZZNS1_33reduce_by_key_impl_wrapped_configILNS1_25lookback_scan_determinismE0ES3_S9_PsNS6_17constant_iteratorIiNS6_11use_defaultESE_EENS6_10device_ptrIsEENSG_IlEEPmS8_NS6_8equal_toIsEEEE10hipError_tPvRmT2_T3_mT4_T5_T6_T7_T8_P12ihipStream_tbENKUlT_T0_E_clISt17integral_constantIbLb0EES13_EEDaSY_SZ_EUlSY_E_NS1_11comp_targetILNS1_3genE5ELNS1_11target_archE942ELNS1_3gpuE9ELNS1_3repE0EEENS1_30default_config_static_selectorELNS0_4arch9wavefront6targetE1EEEvT1_,"axG",@progbits,_ZN7rocprim17ROCPRIM_400000_NS6detail17trampoline_kernelINS0_14default_configENS1_29reduce_by_key_config_selectorIslN6thrust23THRUST_200600_302600_NS4plusIlEEEEZZNS1_33reduce_by_key_impl_wrapped_configILNS1_25lookback_scan_determinismE0ES3_S9_PsNS6_17constant_iteratorIiNS6_11use_defaultESE_EENS6_10device_ptrIsEENSG_IlEEPmS8_NS6_8equal_toIsEEEE10hipError_tPvRmT2_T3_mT4_T5_T6_T7_T8_P12ihipStream_tbENKUlT_T0_E_clISt17integral_constantIbLb0EES13_EEDaSY_SZ_EUlSY_E_NS1_11comp_targetILNS1_3genE5ELNS1_11target_archE942ELNS1_3gpuE9ELNS1_3repE0EEENS1_30default_config_static_selectorELNS0_4arch9wavefront6targetE1EEEvT1_,comdat
.Lfunc_end1471:
	.size	_ZN7rocprim17ROCPRIM_400000_NS6detail17trampoline_kernelINS0_14default_configENS1_29reduce_by_key_config_selectorIslN6thrust23THRUST_200600_302600_NS4plusIlEEEEZZNS1_33reduce_by_key_impl_wrapped_configILNS1_25lookback_scan_determinismE0ES3_S9_PsNS6_17constant_iteratorIiNS6_11use_defaultESE_EENS6_10device_ptrIsEENSG_IlEEPmS8_NS6_8equal_toIsEEEE10hipError_tPvRmT2_T3_mT4_T5_T6_T7_T8_P12ihipStream_tbENKUlT_T0_E_clISt17integral_constantIbLb0EES13_EEDaSY_SZ_EUlSY_E_NS1_11comp_targetILNS1_3genE5ELNS1_11target_archE942ELNS1_3gpuE9ELNS1_3repE0EEENS1_30default_config_static_selectorELNS0_4arch9wavefront6targetE1EEEvT1_, .Lfunc_end1471-_ZN7rocprim17ROCPRIM_400000_NS6detail17trampoline_kernelINS0_14default_configENS1_29reduce_by_key_config_selectorIslN6thrust23THRUST_200600_302600_NS4plusIlEEEEZZNS1_33reduce_by_key_impl_wrapped_configILNS1_25lookback_scan_determinismE0ES3_S9_PsNS6_17constant_iteratorIiNS6_11use_defaultESE_EENS6_10device_ptrIsEENSG_IlEEPmS8_NS6_8equal_toIsEEEE10hipError_tPvRmT2_T3_mT4_T5_T6_T7_T8_P12ihipStream_tbENKUlT_T0_E_clISt17integral_constantIbLb0EES13_EEDaSY_SZ_EUlSY_E_NS1_11comp_targetILNS1_3genE5ELNS1_11target_archE942ELNS1_3gpuE9ELNS1_3repE0EEENS1_30default_config_static_selectorELNS0_4arch9wavefront6targetE1EEEvT1_
                                        ; -- End function
	.set _ZN7rocprim17ROCPRIM_400000_NS6detail17trampoline_kernelINS0_14default_configENS1_29reduce_by_key_config_selectorIslN6thrust23THRUST_200600_302600_NS4plusIlEEEEZZNS1_33reduce_by_key_impl_wrapped_configILNS1_25lookback_scan_determinismE0ES3_S9_PsNS6_17constant_iteratorIiNS6_11use_defaultESE_EENS6_10device_ptrIsEENSG_IlEEPmS8_NS6_8equal_toIsEEEE10hipError_tPvRmT2_T3_mT4_T5_T6_T7_T8_P12ihipStream_tbENKUlT_T0_E_clISt17integral_constantIbLb0EES13_EEDaSY_SZ_EUlSY_E_NS1_11comp_targetILNS1_3genE5ELNS1_11target_archE942ELNS1_3gpuE9ELNS1_3repE0EEENS1_30default_config_static_selectorELNS0_4arch9wavefront6targetE1EEEvT1_.num_vgpr, 0
	.set _ZN7rocprim17ROCPRIM_400000_NS6detail17trampoline_kernelINS0_14default_configENS1_29reduce_by_key_config_selectorIslN6thrust23THRUST_200600_302600_NS4plusIlEEEEZZNS1_33reduce_by_key_impl_wrapped_configILNS1_25lookback_scan_determinismE0ES3_S9_PsNS6_17constant_iteratorIiNS6_11use_defaultESE_EENS6_10device_ptrIsEENSG_IlEEPmS8_NS6_8equal_toIsEEEE10hipError_tPvRmT2_T3_mT4_T5_T6_T7_T8_P12ihipStream_tbENKUlT_T0_E_clISt17integral_constantIbLb0EES13_EEDaSY_SZ_EUlSY_E_NS1_11comp_targetILNS1_3genE5ELNS1_11target_archE942ELNS1_3gpuE9ELNS1_3repE0EEENS1_30default_config_static_selectorELNS0_4arch9wavefront6targetE1EEEvT1_.num_agpr, 0
	.set _ZN7rocprim17ROCPRIM_400000_NS6detail17trampoline_kernelINS0_14default_configENS1_29reduce_by_key_config_selectorIslN6thrust23THRUST_200600_302600_NS4plusIlEEEEZZNS1_33reduce_by_key_impl_wrapped_configILNS1_25lookback_scan_determinismE0ES3_S9_PsNS6_17constant_iteratorIiNS6_11use_defaultESE_EENS6_10device_ptrIsEENSG_IlEEPmS8_NS6_8equal_toIsEEEE10hipError_tPvRmT2_T3_mT4_T5_T6_T7_T8_P12ihipStream_tbENKUlT_T0_E_clISt17integral_constantIbLb0EES13_EEDaSY_SZ_EUlSY_E_NS1_11comp_targetILNS1_3genE5ELNS1_11target_archE942ELNS1_3gpuE9ELNS1_3repE0EEENS1_30default_config_static_selectorELNS0_4arch9wavefront6targetE1EEEvT1_.numbered_sgpr, 0
	.set _ZN7rocprim17ROCPRIM_400000_NS6detail17trampoline_kernelINS0_14default_configENS1_29reduce_by_key_config_selectorIslN6thrust23THRUST_200600_302600_NS4plusIlEEEEZZNS1_33reduce_by_key_impl_wrapped_configILNS1_25lookback_scan_determinismE0ES3_S9_PsNS6_17constant_iteratorIiNS6_11use_defaultESE_EENS6_10device_ptrIsEENSG_IlEEPmS8_NS6_8equal_toIsEEEE10hipError_tPvRmT2_T3_mT4_T5_T6_T7_T8_P12ihipStream_tbENKUlT_T0_E_clISt17integral_constantIbLb0EES13_EEDaSY_SZ_EUlSY_E_NS1_11comp_targetILNS1_3genE5ELNS1_11target_archE942ELNS1_3gpuE9ELNS1_3repE0EEENS1_30default_config_static_selectorELNS0_4arch9wavefront6targetE1EEEvT1_.num_named_barrier, 0
	.set _ZN7rocprim17ROCPRIM_400000_NS6detail17trampoline_kernelINS0_14default_configENS1_29reduce_by_key_config_selectorIslN6thrust23THRUST_200600_302600_NS4plusIlEEEEZZNS1_33reduce_by_key_impl_wrapped_configILNS1_25lookback_scan_determinismE0ES3_S9_PsNS6_17constant_iteratorIiNS6_11use_defaultESE_EENS6_10device_ptrIsEENSG_IlEEPmS8_NS6_8equal_toIsEEEE10hipError_tPvRmT2_T3_mT4_T5_T6_T7_T8_P12ihipStream_tbENKUlT_T0_E_clISt17integral_constantIbLb0EES13_EEDaSY_SZ_EUlSY_E_NS1_11comp_targetILNS1_3genE5ELNS1_11target_archE942ELNS1_3gpuE9ELNS1_3repE0EEENS1_30default_config_static_selectorELNS0_4arch9wavefront6targetE1EEEvT1_.private_seg_size, 0
	.set _ZN7rocprim17ROCPRIM_400000_NS6detail17trampoline_kernelINS0_14default_configENS1_29reduce_by_key_config_selectorIslN6thrust23THRUST_200600_302600_NS4plusIlEEEEZZNS1_33reduce_by_key_impl_wrapped_configILNS1_25lookback_scan_determinismE0ES3_S9_PsNS6_17constant_iteratorIiNS6_11use_defaultESE_EENS6_10device_ptrIsEENSG_IlEEPmS8_NS6_8equal_toIsEEEE10hipError_tPvRmT2_T3_mT4_T5_T6_T7_T8_P12ihipStream_tbENKUlT_T0_E_clISt17integral_constantIbLb0EES13_EEDaSY_SZ_EUlSY_E_NS1_11comp_targetILNS1_3genE5ELNS1_11target_archE942ELNS1_3gpuE9ELNS1_3repE0EEENS1_30default_config_static_selectorELNS0_4arch9wavefront6targetE1EEEvT1_.uses_vcc, 0
	.set _ZN7rocprim17ROCPRIM_400000_NS6detail17trampoline_kernelINS0_14default_configENS1_29reduce_by_key_config_selectorIslN6thrust23THRUST_200600_302600_NS4plusIlEEEEZZNS1_33reduce_by_key_impl_wrapped_configILNS1_25lookback_scan_determinismE0ES3_S9_PsNS6_17constant_iteratorIiNS6_11use_defaultESE_EENS6_10device_ptrIsEENSG_IlEEPmS8_NS6_8equal_toIsEEEE10hipError_tPvRmT2_T3_mT4_T5_T6_T7_T8_P12ihipStream_tbENKUlT_T0_E_clISt17integral_constantIbLb0EES13_EEDaSY_SZ_EUlSY_E_NS1_11comp_targetILNS1_3genE5ELNS1_11target_archE942ELNS1_3gpuE9ELNS1_3repE0EEENS1_30default_config_static_selectorELNS0_4arch9wavefront6targetE1EEEvT1_.uses_flat_scratch, 0
	.set _ZN7rocprim17ROCPRIM_400000_NS6detail17trampoline_kernelINS0_14default_configENS1_29reduce_by_key_config_selectorIslN6thrust23THRUST_200600_302600_NS4plusIlEEEEZZNS1_33reduce_by_key_impl_wrapped_configILNS1_25lookback_scan_determinismE0ES3_S9_PsNS6_17constant_iteratorIiNS6_11use_defaultESE_EENS6_10device_ptrIsEENSG_IlEEPmS8_NS6_8equal_toIsEEEE10hipError_tPvRmT2_T3_mT4_T5_T6_T7_T8_P12ihipStream_tbENKUlT_T0_E_clISt17integral_constantIbLb0EES13_EEDaSY_SZ_EUlSY_E_NS1_11comp_targetILNS1_3genE5ELNS1_11target_archE942ELNS1_3gpuE9ELNS1_3repE0EEENS1_30default_config_static_selectorELNS0_4arch9wavefront6targetE1EEEvT1_.has_dyn_sized_stack, 0
	.set _ZN7rocprim17ROCPRIM_400000_NS6detail17trampoline_kernelINS0_14default_configENS1_29reduce_by_key_config_selectorIslN6thrust23THRUST_200600_302600_NS4plusIlEEEEZZNS1_33reduce_by_key_impl_wrapped_configILNS1_25lookback_scan_determinismE0ES3_S9_PsNS6_17constant_iteratorIiNS6_11use_defaultESE_EENS6_10device_ptrIsEENSG_IlEEPmS8_NS6_8equal_toIsEEEE10hipError_tPvRmT2_T3_mT4_T5_T6_T7_T8_P12ihipStream_tbENKUlT_T0_E_clISt17integral_constantIbLb0EES13_EEDaSY_SZ_EUlSY_E_NS1_11comp_targetILNS1_3genE5ELNS1_11target_archE942ELNS1_3gpuE9ELNS1_3repE0EEENS1_30default_config_static_selectorELNS0_4arch9wavefront6targetE1EEEvT1_.has_recursion, 0
	.set _ZN7rocprim17ROCPRIM_400000_NS6detail17trampoline_kernelINS0_14default_configENS1_29reduce_by_key_config_selectorIslN6thrust23THRUST_200600_302600_NS4plusIlEEEEZZNS1_33reduce_by_key_impl_wrapped_configILNS1_25lookback_scan_determinismE0ES3_S9_PsNS6_17constant_iteratorIiNS6_11use_defaultESE_EENS6_10device_ptrIsEENSG_IlEEPmS8_NS6_8equal_toIsEEEE10hipError_tPvRmT2_T3_mT4_T5_T6_T7_T8_P12ihipStream_tbENKUlT_T0_E_clISt17integral_constantIbLb0EES13_EEDaSY_SZ_EUlSY_E_NS1_11comp_targetILNS1_3genE5ELNS1_11target_archE942ELNS1_3gpuE9ELNS1_3repE0EEENS1_30default_config_static_selectorELNS0_4arch9wavefront6targetE1EEEvT1_.has_indirect_call, 0
	.section	.AMDGPU.csdata,"",@progbits
; Kernel info:
; codeLenInByte = 0
; TotalNumSgprs: 4
; NumVgprs: 0
; ScratchSize: 0
; MemoryBound: 0
; FloatMode: 240
; IeeeMode: 1
; LDSByteSize: 0 bytes/workgroup (compile time only)
; SGPRBlocks: 0
; VGPRBlocks: 0
; NumSGPRsForWavesPerEU: 4
; NumVGPRsForWavesPerEU: 1
; Occupancy: 10
; WaveLimiterHint : 0
; COMPUTE_PGM_RSRC2:SCRATCH_EN: 0
; COMPUTE_PGM_RSRC2:USER_SGPR: 6
; COMPUTE_PGM_RSRC2:TRAP_HANDLER: 0
; COMPUTE_PGM_RSRC2:TGID_X_EN: 1
; COMPUTE_PGM_RSRC2:TGID_Y_EN: 0
; COMPUTE_PGM_RSRC2:TGID_Z_EN: 0
; COMPUTE_PGM_RSRC2:TIDIG_COMP_CNT: 0
	.section	.text._ZN7rocprim17ROCPRIM_400000_NS6detail17trampoline_kernelINS0_14default_configENS1_29reduce_by_key_config_selectorIslN6thrust23THRUST_200600_302600_NS4plusIlEEEEZZNS1_33reduce_by_key_impl_wrapped_configILNS1_25lookback_scan_determinismE0ES3_S9_PsNS6_17constant_iteratorIiNS6_11use_defaultESE_EENS6_10device_ptrIsEENSG_IlEEPmS8_NS6_8equal_toIsEEEE10hipError_tPvRmT2_T3_mT4_T5_T6_T7_T8_P12ihipStream_tbENKUlT_T0_E_clISt17integral_constantIbLb0EES13_EEDaSY_SZ_EUlSY_E_NS1_11comp_targetILNS1_3genE4ELNS1_11target_archE910ELNS1_3gpuE8ELNS1_3repE0EEENS1_30default_config_static_selectorELNS0_4arch9wavefront6targetE1EEEvT1_,"axG",@progbits,_ZN7rocprim17ROCPRIM_400000_NS6detail17trampoline_kernelINS0_14default_configENS1_29reduce_by_key_config_selectorIslN6thrust23THRUST_200600_302600_NS4plusIlEEEEZZNS1_33reduce_by_key_impl_wrapped_configILNS1_25lookback_scan_determinismE0ES3_S9_PsNS6_17constant_iteratorIiNS6_11use_defaultESE_EENS6_10device_ptrIsEENSG_IlEEPmS8_NS6_8equal_toIsEEEE10hipError_tPvRmT2_T3_mT4_T5_T6_T7_T8_P12ihipStream_tbENKUlT_T0_E_clISt17integral_constantIbLb0EES13_EEDaSY_SZ_EUlSY_E_NS1_11comp_targetILNS1_3genE4ELNS1_11target_archE910ELNS1_3gpuE8ELNS1_3repE0EEENS1_30default_config_static_selectorELNS0_4arch9wavefront6targetE1EEEvT1_,comdat
	.protected	_ZN7rocprim17ROCPRIM_400000_NS6detail17trampoline_kernelINS0_14default_configENS1_29reduce_by_key_config_selectorIslN6thrust23THRUST_200600_302600_NS4plusIlEEEEZZNS1_33reduce_by_key_impl_wrapped_configILNS1_25lookback_scan_determinismE0ES3_S9_PsNS6_17constant_iteratorIiNS6_11use_defaultESE_EENS6_10device_ptrIsEENSG_IlEEPmS8_NS6_8equal_toIsEEEE10hipError_tPvRmT2_T3_mT4_T5_T6_T7_T8_P12ihipStream_tbENKUlT_T0_E_clISt17integral_constantIbLb0EES13_EEDaSY_SZ_EUlSY_E_NS1_11comp_targetILNS1_3genE4ELNS1_11target_archE910ELNS1_3gpuE8ELNS1_3repE0EEENS1_30default_config_static_selectorELNS0_4arch9wavefront6targetE1EEEvT1_ ; -- Begin function _ZN7rocprim17ROCPRIM_400000_NS6detail17trampoline_kernelINS0_14default_configENS1_29reduce_by_key_config_selectorIslN6thrust23THRUST_200600_302600_NS4plusIlEEEEZZNS1_33reduce_by_key_impl_wrapped_configILNS1_25lookback_scan_determinismE0ES3_S9_PsNS6_17constant_iteratorIiNS6_11use_defaultESE_EENS6_10device_ptrIsEENSG_IlEEPmS8_NS6_8equal_toIsEEEE10hipError_tPvRmT2_T3_mT4_T5_T6_T7_T8_P12ihipStream_tbENKUlT_T0_E_clISt17integral_constantIbLb0EES13_EEDaSY_SZ_EUlSY_E_NS1_11comp_targetILNS1_3genE4ELNS1_11target_archE910ELNS1_3gpuE8ELNS1_3repE0EEENS1_30default_config_static_selectorELNS0_4arch9wavefront6targetE1EEEvT1_
	.globl	_ZN7rocprim17ROCPRIM_400000_NS6detail17trampoline_kernelINS0_14default_configENS1_29reduce_by_key_config_selectorIslN6thrust23THRUST_200600_302600_NS4plusIlEEEEZZNS1_33reduce_by_key_impl_wrapped_configILNS1_25lookback_scan_determinismE0ES3_S9_PsNS6_17constant_iteratorIiNS6_11use_defaultESE_EENS6_10device_ptrIsEENSG_IlEEPmS8_NS6_8equal_toIsEEEE10hipError_tPvRmT2_T3_mT4_T5_T6_T7_T8_P12ihipStream_tbENKUlT_T0_E_clISt17integral_constantIbLb0EES13_EEDaSY_SZ_EUlSY_E_NS1_11comp_targetILNS1_3genE4ELNS1_11target_archE910ELNS1_3gpuE8ELNS1_3repE0EEENS1_30default_config_static_selectorELNS0_4arch9wavefront6targetE1EEEvT1_
	.p2align	8
	.type	_ZN7rocprim17ROCPRIM_400000_NS6detail17trampoline_kernelINS0_14default_configENS1_29reduce_by_key_config_selectorIslN6thrust23THRUST_200600_302600_NS4plusIlEEEEZZNS1_33reduce_by_key_impl_wrapped_configILNS1_25lookback_scan_determinismE0ES3_S9_PsNS6_17constant_iteratorIiNS6_11use_defaultESE_EENS6_10device_ptrIsEENSG_IlEEPmS8_NS6_8equal_toIsEEEE10hipError_tPvRmT2_T3_mT4_T5_T6_T7_T8_P12ihipStream_tbENKUlT_T0_E_clISt17integral_constantIbLb0EES13_EEDaSY_SZ_EUlSY_E_NS1_11comp_targetILNS1_3genE4ELNS1_11target_archE910ELNS1_3gpuE8ELNS1_3repE0EEENS1_30default_config_static_selectorELNS0_4arch9wavefront6targetE1EEEvT1_,@function
_ZN7rocprim17ROCPRIM_400000_NS6detail17trampoline_kernelINS0_14default_configENS1_29reduce_by_key_config_selectorIslN6thrust23THRUST_200600_302600_NS4plusIlEEEEZZNS1_33reduce_by_key_impl_wrapped_configILNS1_25lookback_scan_determinismE0ES3_S9_PsNS6_17constant_iteratorIiNS6_11use_defaultESE_EENS6_10device_ptrIsEENSG_IlEEPmS8_NS6_8equal_toIsEEEE10hipError_tPvRmT2_T3_mT4_T5_T6_T7_T8_P12ihipStream_tbENKUlT_T0_E_clISt17integral_constantIbLb0EES13_EEDaSY_SZ_EUlSY_E_NS1_11comp_targetILNS1_3genE4ELNS1_11target_archE910ELNS1_3gpuE8ELNS1_3repE0EEENS1_30default_config_static_selectorELNS0_4arch9wavefront6targetE1EEEvT1_: ; @_ZN7rocprim17ROCPRIM_400000_NS6detail17trampoline_kernelINS0_14default_configENS1_29reduce_by_key_config_selectorIslN6thrust23THRUST_200600_302600_NS4plusIlEEEEZZNS1_33reduce_by_key_impl_wrapped_configILNS1_25lookback_scan_determinismE0ES3_S9_PsNS6_17constant_iteratorIiNS6_11use_defaultESE_EENS6_10device_ptrIsEENSG_IlEEPmS8_NS6_8equal_toIsEEEE10hipError_tPvRmT2_T3_mT4_T5_T6_T7_T8_P12ihipStream_tbENKUlT_T0_E_clISt17integral_constantIbLb0EES13_EEDaSY_SZ_EUlSY_E_NS1_11comp_targetILNS1_3genE4ELNS1_11target_archE910ELNS1_3gpuE8ELNS1_3repE0EEENS1_30default_config_static_selectorELNS0_4arch9wavefront6targetE1EEEvT1_
; %bb.0:
	.section	.rodata,"a",@progbits
	.p2align	6, 0x0
	.amdhsa_kernel _ZN7rocprim17ROCPRIM_400000_NS6detail17trampoline_kernelINS0_14default_configENS1_29reduce_by_key_config_selectorIslN6thrust23THRUST_200600_302600_NS4plusIlEEEEZZNS1_33reduce_by_key_impl_wrapped_configILNS1_25lookback_scan_determinismE0ES3_S9_PsNS6_17constant_iteratorIiNS6_11use_defaultESE_EENS6_10device_ptrIsEENSG_IlEEPmS8_NS6_8equal_toIsEEEE10hipError_tPvRmT2_T3_mT4_T5_T6_T7_T8_P12ihipStream_tbENKUlT_T0_E_clISt17integral_constantIbLb0EES13_EEDaSY_SZ_EUlSY_E_NS1_11comp_targetILNS1_3genE4ELNS1_11target_archE910ELNS1_3gpuE8ELNS1_3repE0EEENS1_30default_config_static_selectorELNS0_4arch9wavefront6targetE1EEEvT1_
		.amdhsa_group_segment_fixed_size 0
		.amdhsa_private_segment_fixed_size 0
		.amdhsa_kernarg_size 144
		.amdhsa_user_sgpr_count 6
		.amdhsa_user_sgpr_private_segment_buffer 1
		.amdhsa_user_sgpr_dispatch_ptr 0
		.amdhsa_user_sgpr_queue_ptr 0
		.amdhsa_user_sgpr_kernarg_segment_ptr 1
		.amdhsa_user_sgpr_dispatch_id 0
		.amdhsa_user_sgpr_flat_scratch_init 0
		.amdhsa_user_sgpr_private_segment_size 0
		.amdhsa_uses_dynamic_stack 0
		.amdhsa_system_sgpr_private_segment_wavefront_offset 0
		.amdhsa_system_sgpr_workgroup_id_x 1
		.amdhsa_system_sgpr_workgroup_id_y 0
		.amdhsa_system_sgpr_workgroup_id_z 0
		.amdhsa_system_sgpr_workgroup_info 0
		.amdhsa_system_vgpr_workitem_id 0
		.amdhsa_next_free_vgpr 1
		.amdhsa_next_free_sgpr 0
		.amdhsa_reserve_vcc 0
		.amdhsa_reserve_flat_scratch 0
		.amdhsa_float_round_mode_32 0
		.amdhsa_float_round_mode_16_64 0
		.amdhsa_float_denorm_mode_32 3
		.amdhsa_float_denorm_mode_16_64 3
		.amdhsa_dx10_clamp 1
		.amdhsa_ieee_mode 1
		.amdhsa_fp16_overflow 0
		.amdhsa_exception_fp_ieee_invalid_op 0
		.amdhsa_exception_fp_denorm_src 0
		.amdhsa_exception_fp_ieee_div_zero 0
		.amdhsa_exception_fp_ieee_overflow 0
		.amdhsa_exception_fp_ieee_underflow 0
		.amdhsa_exception_fp_ieee_inexact 0
		.amdhsa_exception_int_div_zero 0
	.end_amdhsa_kernel
	.section	.text._ZN7rocprim17ROCPRIM_400000_NS6detail17trampoline_kernelINS0_14default_configENS1_29reduce_by_key_config_selectorIslN6thrust23THRUST_200600_302600_NS4plusIlEEEEZZNS1_33reduce_by_key_impl_wrapped_configILNS1_25lookback_scan_determinismE0ES3_S9_PsNS6_17constant_iteratorIiNS6_11use_defaultESE_EENS6_10device_ptrIsEENSG_IlEEPmS8_NS6_8equal_toIsEEEE10hipError_tPvRmT2_T3_mT4_T5_T6_T7_T8_P12ihipStream_tbENKUlT_T0_E_clISt17integral_constantIbLb0EES13_EEDaSY_SZ_EUlSY_E_NS1_11comp_targetILNS1_3genE4ELNS1_11target_archE910ELNS1_3gpuE8ELNS1_3repE0EEENS1_30default_config_static_selectorELNS0_4arch9wavefront6targetE1EEEvT1_,"axG",@progbits,_ZN7rocprim17ROCPRIM_400000_NS6detail17trampoline_kernelINS0_14default_configENS1_29reduce_by_key_config_selectorIslN6thrust23THRUST_200600_302600_NS4plusIlEEEEZZNS1_33reduce_by_key_impl_wrapped_configILNS1_25lookback_scan_determinismE0ES3_S9_PsNS6_17constant_iteratorIiNS6_11use_defaultESE_EENS6_10device_ptrIsEENSG_IlEEPmS8_NS6_8equal_toIsEEEE10hipError_tPvRmT2_T3_mT4_T5_T6_T7_T8_P12ihipStream_tbENKUlT_T0_E_clISt17integral_constantIbLb0EES13_EEDaSY_SZ_EUlSY_E_NS1_11comp_targetILNS1_3genE4ELNS1_11target_archE910ELNS1_3gpuE8ELNS1_3repE0EEENS1_30default_config_static_selectorELNS0_4arch9wavefront6targetE1EEEvT1_,comdat
.Lfunc_end1472:
	.size	_ZN7rocprim17ROCPRIM_400000_NS6detail17trampoline_kernelINS0_14default_configENS1_29reduce_by_key_config_selectorIslN6thrust23THRUST_200600_302600_NS4plusIlEEEEZZNS1_33reduce_by_key_impl_wrapped_configILNS1_25lookback_scan_determinismE0ES3_S9_PsNS6_17constant_iteratorIiNS6_11use_defaultESE_EENS6_10device_ptrIsEENSG_IlEEPmS8_NS6_8equal_toIsEEEE10hipError_tPvRmT2_T3_mT4_T5_T6_T7_T8_P12ihipStream_tbENKUlT_T0_E_clISt17integral_constantIbLb0EES13_EEDaSY_SZ_EUlSY_E_NS1_11comp_targetILNS1_3genE4ELNS1_11target_archE910ELNS1_3gpuE8ELNS1_3repE0EEENS1_30default_config_static_selectorELNS0_4arch9wavefront6targetE1EEEvT1_, .Lfunc_end1472-_ZN7rocprim17ROCPRIM_400000_NS6detail17trampoline_kernelINS0_14default_configENS1_29reduce_by_key_config_selectorIslN6thrust23THRUST_200600_302600_NS4plusIlEEEEZZNS1_33reduce_by_key_impl_wrapped_configILNS1_25lookback_scan_determinismE0ES3_S9_PsNS6_17constant_iteratorIiNS6_11use_defaultESE_EENS6_10device_ptrIsEENSG_IlEEPmS8_NS6_8equal_toIsEEEE10hipError_tPvRmT2_T3_mT4_T5_T6_T7_T8_P12ihipStream_tbENKUlT_T0_E_clISt17integral_constantIbLb0EES13_EEDaSY_SZ_EUlSY_E_NS1_11comp_targetILNS1_3genE4ELNS1_11target_archE910ELNS1_3gpuE8ELNS1_3repE0EEENS1_30default_config_static_selectorELNS0_4arch9wavefront6targetE1EEEvT1_
                                        ; -- End function
	.set _ZN7rocprim17ROCPRIM_400000_NS6detail17trampoline_kernelINS0_14default_configENS1_29reduce_by_key_config_selectorIslN6thrust23THRUST_200600_302600_NS4plusIlEEEEZZNS1_33reduce_by_key_impl_wrapped_configILNS1_25lookback_scan_determinismE0ES3_S9_PsNS6_17constant_iteratorIiNS6_11use_defaultESE_EENS6_10device_ptrIsEENSG_IlEEPmS8_NS6_8equal_toIsEEEE10hipError_tPvRmT2_T3_mT4_T5_T6_T7_T8_P12ihipStream_tbENKUlT_T0_E_clISt17integral_constantIbLb0EES13_EEDaSY_SZ_EUlSY_E_NS1_11comp_targetILNS1_3genE4ELNS1_11target_archE910ELNS1_3gpuE8ELNS1_3repE0EEENS1_30default_config_static_selectorELNS0_4arch9wavefront6targetE1EEEvT1_.num_vgpr, 0
	.set _ZN7rocprim17ROCPRIM_400000_NS6detail17trampoline_kernelINS0_14default_configENS1_29reduce_by_key_config_selectorIslN6thrust23THRUST_200600_302600_NS4plusIlEEEEZZNS1_33reduce_by_key_impl_wrapped_configILNS1_25lookback_scan_determinismE0ES3_S9_PsNS6_17constant_iteratorIiNS6_11use_defaultESE_EENS6_10device_ptrIsEENSG_IlEEPmS8_NS6_8equal_toIsEEEE10hipError_tPvRmT2_T3_mT4_T5_T6_T7_T8_P12ihipStream_tbENKUlT_T0_E_clISt17integral_constantIbLb0EES13_EEDaSY_SZ_EUlSY_E_NS1_11comp_targetILNS1_3genE4ELNS1_11target_archE910ELNS1_3gpuE8ELNS1_3repE0EEENS1_30default_config_static_selectorELNS0_4arch9wavefront6targetE1EEEvT1_.num_agpr, 0
	.set _ZN7rocprim17ROCPRIM_400000_NS6detail17trampoline_kernelINS0_14default_configENS1_29reduce_by_key_config_selectorIslN6thrust23THRUST_200600_302600_NS4plusIlEEEEZZNS1_33reduce_by_key_impl_wrapped_configILNS1_25lookback_scan_determinismE0ES3_S9_PsNS6_17constant_iteratorIiNS6_11use_defaultESE_EENS6_10device_ptrIsEENSG_IlEEPmS8_NS6_8equal_toIsEEEE10hipError_tPvRmT2_T3_mT4_T5_T6_T7_T8_P12ihipStream_tbENKUlT_T0_E_clISt17integral_constantIbLb0EES13_EEDaSY_SZ_EUlSY_E_NS1_11comp_targetILNS1_3genE4ELNS1_11target_archE910ELNS1_3gpuE8ELNS1_3repE0EEENS1_30default_config_static_selectorELNS0_4arch9wavefront6targetE1EEEvT1_.numbered_sgpr, 0
	.set _ZN7rocprim17ROCPRIM_400000_NS6detail17trampoline_kernelINS0_14default_configENS1_29reduce_by_key_config_selectorIslN6thrust23THRUST_200600_302600_NS4plusIlEEEEZZNS1_33reduce_by_key_impl_wrapped_configILNS1_25lookback_scan_determinismE0ES3_S9_PsNS6_17constant_iteratorIiNS6_11use_defaultESE_EENS6_10device_ptrIsEENSG_IlEEPmS8_NS6_8equal_toIsEEEE10hipError_tPvRmT2_T3_mT4_T5_T6_T7_T8_P12ihipStream_tbENKUlT_T0_E_clISt17integral_constantIbLb0EES13_EEDaSY_SZ_EUlSY_E_NS1_11comp_targetILNS1_3genE4ELNS1_11target_archE910ELNS1_3gpuE8ELNS1_3repE0EEENS1_30default_config_static_selectorELNS0_4arch9wavefront6targetE1EEEvT1_.num_named_barrier, 0
	.set _ZN7rocprim17ROCPRIM_400000_NS6detail17trampoline_kernelINS0_14default_configENS1_29reduce_by_key_config_selectorIslN6thrust23THRUST_200600_302600_NS4plusIlEEEEZZNS1_33reduce_by_key_impl_wrapped_configILNS1_25lookback_scan_determinismE0ES3_S9_PsNS6_17constant_iteratorIiNS6_11use_defaultESE_EENS6_10device_ptrIsEENSG_IlEEPmS8_NS6_8equal_toIsEEEE10hipError_tPvRmT2_T3_mT4_T5_T6_T7_T8_P12ihipStream_tbENKUlT_T0_E_clISt17integral_constantIbLb0EES13_EEDaSY_SZ_EUlSY_E_NS1_11comp_targetILNS1_3genE4ELNS1_11target_archE910ELNS1_3gpuE8ELNS1_3repE0EEENS1_30default_config_static_selectorELNS0_4arch9wavefront6targetE1EEEvT1_.private_seg_size, 0
	.set _ZN7rocprim17ROCPRIM_400000_NS6detail17trampoline_kernelINS0_14default_configENS1_29reduce_by_key_config_selectorIslN6thrust23THRUST_200600_302600_NS4plusIlEEEEZZNS1_33reduce_by_key_impl_wrapped_configILNS1_25lookback_scan_determinismE0ES3_S9_PsNS6_17constant_iteratorIiNS6_11use_defaultESE_EENS6_10device_ptrIsEENSG_IlEEPmS8_NS6_8equal_toIsEEEE10hipError_tPvRmT2_T3_mT4_T5_T6_T7_T8_P12ihipStream_tbENKUlT_T0_E_clISt17integral_constantIbLb0EES13_EEDaSY_SZ_EUlSY_E_NS1_11comp_targetILNS1_3genE4ELNS1_11target_archE910ELNS1_3gpuE8ELNS1_3repE0EEENS1_30default_config_static_selectorELNS0_4arch9wavefront6targetE1EEEvT1_.uses_vcc, 0
	.set _ZN7rocprim17ROCPRIM_400000_NS6detail17trampoline_kernelINS0_14default_configENS1_29reduce_by_key_config_selectorIslN6thrust23THRUST_200600_302600_NS4plusIlEEEEZZNS1_33reduce_by_key_impl_wrapped_configILNS1_25lookback_scan_determinismE0ES3_S9_PsNS6_17constant_iteratorIiNS6_11use_defaultESE_EENS6_10device_ptrIsEENSG_IlEEPmS8_NS6_8equal_toIsEEEE10hipError_tPvRmT2_T3_mT4_T5_T6_T7_T8_P12ihipStream_tbENKUlT_T0_E_clISt17integral_constantIbLb0EES13_EEDaSY_SZ_EUlSY_E_NS1_11comp_targetILNS1_3genE4ELNS1_11target_archE910ELNS1_3gpuE8ELNS1_3repE0EEENS1_30default_config_static_selectorELNS0_4arch9wavefront6targetE1EEEvT1_.uses_flat_scratch, 0
	.set _ZN7rocprim17ROCPRIM_400000_NS6detail17trampoline_kernelINS0_14default_configENS1_29reduce_by_key_config_selectorIslN6thrust23THRUST_200600_302600_NS4plusIlEEEEZZNS1_33reduce_by_key_impl_wrapped_configILNS1_25lookback_scan_determinismE0ES3_S9_PsNS6_17constant_iteratorIiNS6_11use_defaultESE_EENS6_10device_ptrIsEENSG_IlEEPmS8_NS6_8equal_toIsEEEE10hipError_tPvRmT2_T3_mT4_T5_T6_T7_T8_P12ihipStream_tbENKUlT_T0_E_clISt17integral_constantIbLb0EES13_EEDaSY_SZ_EUlSY_E_NS1_11comp_targetILNS1_3genE4ELNS1_11target_archE910ELNS1_3gpuE8ELNS1_3repE0EEENS1_30default_config_static_selectorELNS0_4arch9wavefront6targetE1EEEvT1_.has_dyn_sized_stack, 0
	.set _ZN7rocprim17ROCPRIM_400000_NS6detail17trampoline_kernelINS0_14default_configENS1_29reduce_by_key_config_selectorIslN6thrust23THRUST_200600_302600_NS4plusIlEEEEZZNS1_33reduce_by_key_impl_wrapped_configILNS1_25lookback_scan_determinismE0ES3_S9_PsNS6_17constant_iteratorIiNS6_11use_defaultESE_EENS6_10device_ptrIsEENSG_IlEEPmS8_NS6_8equal_toIsEEEE10hipError_tPvRmT2_T3_mT4_T5_T6_T7_T8_P12ihipStream_tbENKUlT_T0_E_clISt17integral_constantIbLb0EES13_EEDaSY_SZ_EUlSY_E_NS1_11comp_targetILNS1_3genE4ELNS1_11target_archE910ELNS1_3gpuE8ELNS1_3repE0EEENS1_30default_config_static_selectorELNS0_4arch9wavefront6targetE1EEEvT1_.has_recursion, 0
	.set _ZN7rocprim17ROCPRIM_400000_NS6detail17trampoline_kernelINS0_14default_configENS1_29reduce_by_key_config_selectorIslN6thrust23THRUST_200600_302600_NS4plusIlEEEEZZNS1_33reduce_by_key_impl_wrapped_configILNS1_25lookback_scan_determinismE0ES3_S9_PsNS6_17constant_iteratorIiNS6_11use_defaultESE_EENS6_10device_ptrIsEENSG_IlEEPmS8_NS6_8equal_toIsEEEE10hipError_tPvRmT2_T3_mT4_T5_T6_T7_T8_P12ihipStream_tbENKUlT_T0_E_clISt17integral_constantIbLb0EES13_EEDaSY_SZ_EUlSY_E_NS1_11comp_targetILNS1_3genE4ELNS1_11target_archE910ELNS1_3gpuE8ELNS1_3repE0EEENS1_30default_config_static_selectorELNS0_4arch9wavefront6targetE1EEEvT1_.has_indirect_call, 0
	.section	.AMDGPU.csdata,"",@progbits
; Kernel info:
; codeLenInByte = 0
; TotalNumSgprs: 4
; NumVgprs: 0
; ScratchSize: 0
; MemoryBound: 0
; FloatMode: 240
; IeeeMode: 1
; LDSByteSize: 0 bytes/workgroup (compile time only)
; SGPRBlocks: 0
; VGPRBlocks: 0
; NumSGPRsForWavesPerEU: 4
; NumVGPRsForWavesPerEU: 1
; Occupancy: 10
; WaveLimiterHint : 0
; COMPUTE_PGM_RSRC2:SCRATCH_EN: 0
; COMPUTE_PGM_RSRC2:USER_SGPR: 6
; COMPUTE_PGM_RSRC2:TRAP_HANDLER: 0
; COMPUTE_PGM_RSRC2:TGID_X_EN: 1
; COMPUTE_PGM_RSRC2:TGID_Y_EN: 0
; COMPUTE_PGM_RSRC2:TGID_Z_EN: 0
; COMPUTE_PGM_RSRC2:TIDIG_COMP_CNT: 0
	.section	.text._ZN7rocprim17ROCPRIM_400000_NS6detail17trampoline_kernelINS0_14default_configENS1_29reduce_by_key_config_selectorIslN6thrust23THRUST_200600_302600_NS4plusIlEEEEZZNS1_33reduce_by_key_impl_wrapped_configILNS1_25lookback_scan_determinismE0ES3_S9_PsNS6_17constant_iteratorIiNS6_11use_defaultESE_EENS6_10device_ptrIsEENSG_IlEEPmS8_NS6_8equal_toIsEEEE10hipError_tPvRmT2_T3_mT4_T5_T6_T7_T8_P12ihipStream_tbENKUlT_T0_E_clISt17integral_constantIbLb0EES13_EEDaSY_SZ_EUlSY_E_NS1_11comp_targetILNS1_3genE3ELNS1_11target_archE908ELNS1_3gpuE7ELNS1_3repE0EEENS1_30default_config_static_selectorELNS0_4arch9wavefront6targetE1EEEvT1_,"axG",@progbits,_ZN7rocprim17ROCPRIM_400000_NS6detail17trampoline_kernelINS0_14default_configENS1_29reduce_by_key_config_selectorIslN6thrust23THRUST_200600_302600_NS4plusIlEEEEZZNS1_33reduce_by_key_impl_wrapped_configILNS1_25lookback_scan_determinismE0ES3_S9_PsNS6_17constant_iteratorIiNS6_11use_defaultESE_EENS6_10device_ptrIsEENSG_IlEEPmS8_NS6_8equal_toIsEEEE10hipError_tPvRmT2_T3_mT4_T5_T6_T7_T8_P12ihipStream_tbENKUlT_T0_E_clISt17integral_constantIbLb0EES13_EEDaSY_SZ_EUlSY_E_NS1_11comp_targetILNS1_3genE3ELNS1_11target_archE908ELNS1_3gpuE7ELNS1_3repE0EEENS1_30default_config_static_selectorELNS0_4arch9wavefront6targetE1EEEvT1_,comdat
	.protected	_ZN7rocprim17ROCPRIM_400000_NS6detail17trampoline_kernelINS0_14default_configENS1_29reduce_by_key_config_selectorIslN6thrust23THRUST_200600_302600_NS4plusIlEEEEZZNS1_33reduce_by_key_impl_wrapped_configILNS1_25lookback_scan_determinismE0ES3_S9_PsNS6_17constant_iteratorIiNS6_11use_defaultESE_EENS6_10device_ptrIsEENSG_IlEEPmS8_NS6_8equal_toIsEEEE10hipError_tPvRmT2_T3_mT4_T5_T6_T7_T8_P12ihipStream_tbENKUlT_T0_E_clISt17integral_constantIbLb0EES13_EEDaSY_SZ_EUlSY_E_NS1_11comp_targetILNS1_3genE3ELNS1_11target_archE908ELNS1_3gpuE7ELNS1_3repE0EEENS1_30default_config_static_selectorELNS0_4arch9wavefront6targetE1EEEvT1_ ; -- Begin function _ZN7rocprim17ROCPRIM_400000_NS6detail17trampoline_kernelINS0_14default_configENS1_29reduce_by_key_config_selectorIslN6thrust23THRUST_200600_302600_NS4plusIlEEEEZZNS1_33reduce_by_key_impl_wrapped_configILNS1_25lookback_scan_determinismE0ES3_S9_PsNS6_17constant_iteratorIiNS6_11use_defaultESE_EENS6_10device_ptrIsEENSG_IlEEPmS8_NS6_8equal_toIsEEEE10hipError_tPvRmT2_T3_mT4_T5_T6_T7_T8_P12ihipStream_tbENKUlT_T0_E_clISt17integral_constantIbLb0EES13_EEDaSY_SZ_EUlSY_E_NS1_11comp_targetILNS1_3genE3ELNS1_11target_archE908ELNS1_3gpuE7ELNS1_3repE0EEENS1_30default_config_static_selectorELNS0_4arch9wavefront6targetE1EEEvT1_
	.globl	_ZN7rocprim17ROCPRIM_400000_NS6detail17trampoline_kernelINS0_14default_configENS1_29reduce_by_key_config_selectorIslN6thrust23THRUST_200600_302600_NS4plusIlEEEEZZNS1_33reduce_by_key_impl_wrapped_configILNS1_25lookback_scan_determinismE0ES3_S9_PsNS6_17constant_iteratorIiNS6_11use_defaultESE_EENS6_10device_ptrIsEENSG_IlEEPmS8_NS6_8equal_toIsEEEE10hipError_tPvRmT2_T3_mT4_T5_T6_T7_T8_P12ihipStream_tbENKUlT_T0_E_clISt17integral_constantIbLb0EES13_EEDaSY_SZ_EUlSY_E_NS1_11comp_targetILNS1_3genE3ELNS1_11target_archE908ELNS1_3gpuE7ELNS1_3repE0EEENS1_30default_config_static_selectorELNS0_4arch9wavefront6targetE1EEEvT1_
	.p2align	8
	.type	_ZN7rocprim17ROCPRIM_400000_NS6detail17trampoline_kernelINS0_14default_configENS1_29reduce_by_key_config_selectorIslN6thrust23THRUST_200600_302600_NS4plusIlEEEEZZNS1_33reduce_by_key_impl_wrapped_configILNS1_25lookback_scan_determinismE0ES3_S9_PsNS6_17constant_iteratorIiNS6_11use_defaultESE_EENS6_10device_ptrIsEENSG_IlEEPmS8_NS6_8equal_toIsEEEE10hipError_tPvRmT2_T3_mT4_T5_T6_T7_T8_P12ihipStream_tbENKUlT_T0_E_clISt17integral_constantIbLb0EES13_EEDaSY_SZ_EUlSY_E_NS1_11comp_targetILNS1_3genE3ELNS1_11target_archE908ELNS1_3gpuE7ELNS1_3repE0EEENS1_30default_config_static_selectorELNS0_4arch9wavefront6targetE1EEEvT1_,@function
_ZN7rocprim17ROCPRIM_400000_NS6detail17trampoline_kernelINS0_14default_configENS1_29reduce_by_key_config_selectorIslN6thrust23THRUST_200600_302600_NS4plusIlEEEEZZNS1_33reduce_by_key_impl_wrapped_configILNS1_25lookback_scan_determinismE0ES3_S9_PsNS6_17constant_iteratorIiNS6_11use_defaultESE_EENS6_10device_ptrIsEENSG_IlEEPmS8_NS6_8equal_toIsEEEE10hipError_tPvRmT2_T3_mT4_T5_T6_T7_T8_P12ihipStream_tbENKUlT_T0_E_clISt17integral_constantIbLb0EES13_EEDaSY_SZ_EUlSY_E_NS1_11comp_targetILNS1_3genE3ELNS1_11target_archE908ELNS1_3gpuE7ELNS1_3repE0EEENS1_30default_config_static_selectorELNS0_4arch9wavefront6targetE1EEEvT1_: ; @_ZN7rocprim17ROCPRIM_400000_NS6detail17trampoline_kernelINS0_14default_configENS1_29reduce_by_key_config_selectorIslN6thrust23THRUST_200600_302600_NS4plusIlEEEEZZNS1_33reduce_by_key_impl_wrapped_configILNS1_25lookback_scan_determinismE0ES3_S9_PsNS6_17constant_iteratorIiNS6_11use_defaultESE_EENS6_10device_ptrIsEENSG_IlEEPmS8_NS6_8equal_toIsEEEE10hipError_tPvRmT2_T3_mT4_T5_T6_T7_T8_P12ihipStream_tbENKUlT_T0_E_clISt17integral_constantIbLb0EES13_EEDaSY_SZ_EUlSY_E_NS1_11comp_targetILNS1_3genE3ELNS1_11target_archE908ELNS1_3gpuE7ELNS1_3repE0EEENS1_30default_config_static_selectorELNS0_4arch9wavefront6targetE1EEEvT1_
; %bb.0:
	.section	.rodata,"a",@progbits
	.p2align	6, 0x0
	.amdhsa_kernel _ZN7rocprim17ROCPRIM_400000_NS6detail17trampoline_kernelINS0_14default_configENS1_29reduce_by_key_config_selectorIslN6thrust23THRUST_200600_302600_NS4plusIlEEEEZZNS1_33reduce_by_key_impl_wrapped_configILNS1_25lookback_scan_determinismE0ES3_S9_PsNS6_17constant_iteratorIiNS6_11use_defaultESE_EENS6_10device_ptrIsEENSG_IlEEPmS8_NS6_8equal_toIsEEEE10hipError_tPvRmT2_T3_mT4_T5_T6_T7_T8_P12ihipStream_tbENKUlT_T0_E_clISt17integral_constantIbLb0EES13_EEDaSY_SZ_EUlSY_E_NS1_11comp_targetILNS1_3genE3ELNS1_11target_archE908ELNS1_3gpuE7ELNS1_3repE0EEENS1_30default_config_static_selectorELNS0_4arch9wavefront6targetE1EEEvT1_
		.amdhsa_group_segment_fixed_size 0
		.amdhsa_private_segment_fixed_size 0
		.amdhsa_kernarg_size 144
		.amdhsa_user_sgpr_count 6
		.amdhsa_user_sgpr_private_segment_buffer 1
		.amdhsa_user_sgpr_dispatch_ptr 0
		.amdhsa_user_sgpr_queue_ptr 0
		.amdhsa_user_sgpr_kernarg_segment_ptr 1
		.amdhsa_user_sgpr_dispatch_id 0
		.amdhsa_user_sgpr_flat_scratch_init 0
		.amdhsa_user_sgpr_private_segment_size 0
		.amdhsa_uses_dynamic_stack 0
		.amdhsa_system_sgpr_private_segment_wavefront_offset 0
		.amdhsa_system_sgpr_workgroup_id_x 1
		.amdhsa_system_sgpr_workgroup_id_y 0
		.amdhsa_system_sgpr_workgroup_id_z 0
		.amdhsa_system_sgpr_workgroup_info 0
		.amdhsa_system_vgpr_workitem_id 0
		.amdhsa_next_free_vgpr 1
		.amdhsa_next_free_sgpr 0
		.amdhsa_reserve_vcc 0
		.amdhsa_reserve_flat_scratch 0
		.amdhsa_float_round_mode_32 0
		.amdhsa_float_round_mode_16_64 0
		.amdhsa_float_denorm_mode_32 3
		.amdhsa_float_denorm_mode_16_64 3
		.amdhsa_dx10_clamp 1
		.amdhsa_ieee_mode 1
		.amdhsa_fp16_overflow 0
		.amdhsa_exception_fp_ieee_invalid_op 0
		.amdhsa_exception_fp_denorm_src 0
		.amdhsa_exception_fp_ieee_div_zero 0
		.amdhsa_exception_fp_ieee_overflow 0
		.amdhsa_exception_fp_ieee_underflow 0
		.amdhsa_exception_fp_ieee_inexact 0
		.amdhsa_exception_int_div_zero 0
	.end_amdhsa_kernel
	.section	.text._ZN7rocprim17ROCPRIM_400000_NS6detail17trampoline_kernelINS0_14default_configENS1_29reduce_by_key_config_selectorIslN6thrust23THRUST_200600_302600_NS4plusIlEEEEZZNS1_33reduce_by_key_impl_wrapped_configILNS1_25lookback_scan_determinismE0ES3_S9_PsNS6_17constant_iteratorIiNS6_11use_defaultESE_EENS6_10device_ptrIsEENSG_IlEEPmS8_NS6_8equal_toIsEEEE10hipError_tPvRmT2_T3_mT4_T5_T6_T7_T8_P12ihipStream_tbENKUlT_T0_E_clISt17integral_constantIbLb0EES13_EEDaSY_SZ_EUlSY_E_NS1_11comp_targetILNS1_3genE3ELNS1_11target_archE908ELNS1_3gpuE7ELNS1_3repE0EEENS1_30default_config_static_selectorELNS0_4arch9wavefront6targetE1EEEvT1_,"axG",@progbits,_ZN7rocprim17ROCPRIM_400000_NS6detail17trampoline_kernelINS0_14default_configENS1_29reduce_by_key_config_selectorIslN6thrust23THRUST_200600_302600_NS4plusIlEEEEZZNS1_33reduce_by_key_impl_wrapped_configILNS1_25lookback_scan_determinismE0ES3_S9_PsNS6_17constant_iteratorIiNS6_11use_defaultESE_EENS6_10device_ptrIsEENSG_IlEEPmS8_NS6_8equal_toIsEEEE10hipError_tPvRmT2_T3_mT4_T5_T6_T7_T8_P12ihipStream_tbENKUlT_T0_E_clISt17integral_constantIbLb0EES13_EEDaSY_SZ_EUlSY_E_NS1_11comp_targetILNS1_3genE3ELNS1_11target_archE908ELNS1_3gpuE7ELNS1_3repE0EEENS1_30default_config_static_selectorELNS0_4arch9wavefront6targetE1EEEvT1_,comdat
.Lfunc_end1473:
	.size	_ZN7rocprim17ROCPRIM_400000_NS6detail17trampoline_kernelINS0_14default_configENS1_29reduce_by_key_config_selectorIslN6thrust23THRUST_200600_302600_NS4plusIlEEEEZZNS1_33reduce_by_key_impl_wrapped_configILNS1_25lookback_scan_determinismE0ES3_S9_PsNS6_17constant_iteratorIiNS6_11use_defaultESE_EENS6_10device_ptrIsEENSG_IlEEPmS8_NS6_8equal_toIsEEEE10hipError_tPvRmT2_T3_mT4_T5_T6_T7_T8_P12ihipStream_tbENKUlT_T0_E_clISt17integral_constantIbLb0EES13_EEDaSY_SZ_EUlSY_E_NS1_11comp_targetILNS1_3genE3ELNS1_11target_archE908ELNS1_3gpuE7ELNS1_3repE0EEENS1_30default_config_static_selectorELNS0_4arch9wavefront6targetE1EEEvT1_, .Lfunc_end1473-_ZN7rocprim17ROCPRIM_400000_NS6detail17trampoline_kernelINS0_14default_configENS1_29reduce_by_key_config_selectorIslN6thrust23THRUST_200600_302600_NS4plusIlEEEEZZNS1_33reduce_by_key_impl_wrapped_configILNS1_25lookback_scan_determinismE0ES3_S9_PsNS6_17constant_iteratorIiNS6_11use_defaultESE_EENS6_10device_ptrIsEENSG_IlEEPmS8_NS6_8equal_toIsEEEE10hipError_tPvRmT2_T3_mT4_T5_T6_T7_T8_P12ihipStream_tbENKUlT_T0_E_clISt17integral_constantIbLb0EES13_EEDaSY_SZ_EUlSY_E_NS1_11comp_targetILNS1_3genE3ELNS1_11target_archE908ELNS1_3gpuE7ELNS1_3repE0EEENS1_30default_config_static_selectorELNS0_4arch9wavefront6targetE1EEEvT1_
                                        ; -- End function
	.set _ZN7rocprim17ROCPRIM_400000_NS6detail17trampoline_kernelINS0_14default_configENS1_29reduce_by_key_config_selectorIslN6thrust23THRUST_200600_302600_NS4plusIlEEEEZZNS1_33reduce_by_key_impl_wrapped_configILNS1_25lookback_scan_determinismE0ES3_S9_PsNS6_17constant_iteratorIiNS6_11use_defaultESE_EENS6_10device_ptrIsEENSG_IlEEPmS8_NS6_8equal_toIsEEEE10hipError_tPvRmT2_T3_mT4_T5_T6_T7_T8_P12ihipStream_tbENKUlT_T0_E_clISt17integral_constantIbLb0EES13_EEDaSY_SZ_EUlSY_E_NS1_11comp_targetILNS1_3genE3ELNS1_11target_archE908ELNS1_3gpuE7ELNS1_3repE0EEENS1_30default_config_static_selectorELNS0_4arch9wavefront6targetE1EEEvT1_.num_vgpr, 0
	.set _ZN7rocprim17ROCPRIM_400000_NS6detail17trampoline_kernelINS0_14default_configENS1_29reduce_by_key_config_selectorIslN6thrust23THRUST_200600_302600_NS4plusIlEEEEZZNS1_33reduce_by_key_impl_wrapped_configILNS1_25lookback_scan_determinismE0ES3_S9_PsNS6_17constant_iteratorIiNS6_11use_defaultESE_EENS6_10device_ptrIsEENSG_IlEEPmS8_NS6_8equal_toIsEEEE10hipError_tPvRmT2_T3_mT4_T5_T6_T7_T8_P12ihipStream_tbENKUlT_T0_E_clISt17integral_constantIbLb0EES13_EEDaSY_SZ_EUlSY_E_NS1_11comp_targetILNS1_3genE3ELNS1_11target_archE908ELNS1_3gpuE7ELNS1_3repE0EEENS1_30default_config_static_selectorELNS0_4arch9wavefront6targetE1EEEvT1_.num_agpr, 0
	.set _ZN7rocprim17ROCPRIM_400000_NS6detail17trampoline_kernelINS0_14default_configENS1_29reduce_by_key_config_selectorIslN6thrust23THRUST_200600_302600_NS4plusIlEEEEZZNS1_33reduce_by_key_impl_wrapped_configILNS1_25lookback_scan_determinismE0ES3_S9_PsNS6_17constant_iteratorIiNS6_11use_defaultESE_EENS6_10device_ptrIsEENSG_IlEEPmS8_NS6_8equal_toIsEEEE10hipError_tPvRmT2_T3_mT4_T5_T6_T7_T8_P12ihipStream_tbENKUlT_T0_E_clISt17integral_constantIbLb0EES13_EEDaSY_SZ_EUlSY_E_NS1_11comp_targetILNS1_3genE3ELNS1_11target_archE908ELNS1_3gpuE7ELNS1_3repE0EEENS1_30default_config_static_selectorELNS0_4arch9wavefront6targetE1EEEvT1_.numbered_sgpr, 0
	.set _ZN7rocprim17ROCPRIM_400000_NS6detail17trampoline_kernelINS0_14default_configENS1_29reduce_by_key_config_selectorIslN6thrust23THRUST_200600_302600_NS4plusIlEEEEZZNS1_33reduce_by_key_impl_wrapped_configILNS1_25lookback_scan_determinismE0ES3_S9_PsNS6_17constant_iteratorIiNS6_11use_defaultESE_EENS6_10device_ptrIsEENSG_IlEEPmS8_NS6_8equal_toIsEEEE10hipError_tPvRmT2_T3_mT4_T5_T6_T7_T8_P12ihipStream_tbENKUlT_T0_E_clISt17integral_constantIbLb0EES13_EEDaSY_SZ_EUlSY_E_NS1_11comp_targetILNS1_3genE3ELNS1_11target_archE908ELNS1_3gpuE7ELNS1_3repE0EEENS1_30default_config_static_selectorELNS0_4arch9wavefront6targetE1EEEvT1_.num_named_barrier, 0
	.set _ZN7rocprim17ROCPRIM_400000_NS6detail17trampoline_kernelINS0_14default_configENS1_29reduce_by_key_config_selectorIslN6thrust23THRUST_200600_302600_NS4plusIlEEEEZZNS1_33reduce_by_key_impl_wrapped_configILNS1_25lookback_scan_determinismE0ES3_S9_PsNS6_17constant_iteratorIiNS6_11use_defaultESE_EENS6_10device_ptrIsEENSG_IlEEPmS8_NS6_8equal_toIsEEEE10hipError_tPvRmT2_T3_mT4_T5_T6_T7_T8_P12ihipStream_tbENKUlT_T0_E_clISt17integral_constantIbLb0EES13_EEDaSY_SZ_EUlSY_E_NS1_11comp_targetILNS1_3genE3ELNS1_11target_archE908ELNS1_3gpuE7ELNS1_3repE0EEENS1_30default_config_static_selectorELNS0_4arch9wavefront6targetE1EEEvT1_.private_seg_size, 0
	.set _ZN7rocprim17ROCPRIM_400000_NS6detail17trampoline_kernelINS0_14default_configENS1_29reduce_by_key_config_selectorIslN6thrust23THRUST_200600_302600_NS4plusIlEEEEZZNS1_33reduce_by_key_impl_wrapped_configILNS1_25lookback_scan_determinismE0ES3_S9_PsNS6_17constant_iteratorIiNS6_11use_defaultESE_EENS6_10device_ptrIsEENSG_IlEEPmS8_NS6_8equal_toIsEEEE10hipError_tPvRmT2_T3_mT4_T5_T6_T7_T8_P12ihipStream_tbENKUlT_T0_E_clISt17integral_constantIbLb0EES13_EEDaSY_SZ_EUlSY_E_NS1_11comp_targetILNS1_3genE3ELNS1_11target_archE908ELNS1_3gpuE7ELNS1_3repE0EEENS1_30default_config_static_selectorELNS0_4arch9wavefront6targetE1EEEvT1_.uses_vcc, 0
	.set _ZN7rocprim17ROCPRIM_400000_NS6detail17trampoline_kernelINS0_14default_configENS1_29reduce_by_key_config_selectorIslN6thrust23THRUST_200600_302600_NS4plusIlEEEEZZNS1_33reduce_by_key_impl_wrapped_configILNS1_25lookback_scan_determinismE0ES3_S9_PsNS6_17constant_iteratorIiNS6_11use_defaultESE_EENS6_10device_ptrIsEENSG_IlEEPmS8_NS6_8equal_toIsEEEE10hipError_tPvRmT2_T3_mT4_T5_T6_T7_T8_P12ihipStream_tbENKUlT_T0_E_clISt17integral_constantIbLb0EES13_EEDaSY_SZ_EUlSY_E_NS1_11comp_targetILNS1_3genE3ELNS1_11target_archE908ELNS1_3gpuE7ELNS1_3repE0EEENS1_30default_config_static_selectorELNS0_4arch9wavefront6targetE1EEEvT1_.uses_flat_scratch, 0
	.set _ZN7rocprim17ROCPRIM_400000_NS6detail17trampoline_kernelINS0_14default_configENS1_29reduce_by_key_config_selectorIslN6thrust23THRUST_200600_302600_NS4plusIlEEEEZZNS1_33reduce_by_key_impl_wrapped_configILNS1_25lookback_scan_determinismE0ES3_S9_PsNS6_17constant_iteratorIiNS6_11use_defaultESE_EENS6_10device_ptrIsEENSG_IlEEPmS8_NS6_8equal_toIsEEEE10hipError_tPvRmT2_T3_mT4_T5_T6_T7_T8_P12ihipStream_tbENKUlT_T0_E_clISt17integral_constantIbLb0EES13_EEDaSY_SZ_EUlSY_E_NS1_11comp_targetILNS1_3genE3ELNS1_11target_archE908ELNS1_3gpuE7ELNS1_3repE0EEENS1_30default_config_static_selectorELNS0_4arch9wavefront6targetE1EEEvT1_.has_dyn_sized_stack, 0
	.set _ZN7rocprim17ROCPRIM_400000_NS6detail17trampoline_kernelINS0_14default_configENS1_29reduce_by_key_config_selectorIslN6thrust23THRUST_200600_302600_NS4plusIlEEEEZZNS1_33reduce_by_key_impl_wrapped_configILNS1_25lookback_scan_determinismE0ES3_S9_PsNS6_17constant_iteratorIiNS6_11use_defaultESE_EENS6_10device_ptrIsEENSG_IlEEPmS8_NS6_8equal_toIsEEEE10hipError_tPvRmT2_T3_mT4_T5_T6_T7_T8_P12ihipStream_tbENKUlT_T0_E_clISt17integral_constantIbLb0EES13_EEDaSY_SZ_EUlSY_E_NS1_11comp_targetILNS1_3genE3ELNS1_11target_archE908ELNS1_3gpuE7ELNS1_3repE0EEENS1_30default_config_static_selectorELNS0_4arch9wavefront6targetE1EEEvT1_.has_recursion, 0
	.set _ZN7rocprim17ROCPRIM_400000_NS6detail17trampoline_kernelINS0_14default_configENS1_29reduce_by_key_config_selectorIslN6thrust23THRUST_200600_302600_NS4plusIlEEEEZZNS1_33reduce_by_key_impl_wrapped_configILNS1_25lookback_scan_determinismE0ES3_S9_PsNS6_17constant_iteratorIiNS6_11use_defaultESE_EENS6_10device_ptrIsEENSG_IlEEPmS8_NS6_8equal_toIsEEEE10hipError_tPvRmT2_T3_mT4_T5_T6_T7_T8_P12ihipStream_tbENKUlT_T0_E_clISt17integral_constantIbLb0EES13_EEDaSY_SZ_EUlSY_E_NS1_11comp_targetILNS1_3genE3ELNS1_11target_archE908ELNS1_3gpuE7ELNS1_3repE0EEENS1_30default_config_static_selectorELNS0_4arch9wavefront6targetE1EEEvT1_.has_indirect_call, 0
	.section	.AMDGPU.csdata,"",@progbits
; Kernel info:
; codeLenInByte = 0
; TotalNumSgprs: 4
; NumVgprs: 0
; ScratchSize: 0
; MemoryBound: 0
; FloatMode: 240
; IeeeMode: 1
; LDSByteSize: 0 bytes/workgroup (compile time only)
; SGPRBlocks: 0
; VGPRBlocks: 0
; NumSGPRsForWavesPerEU: 4
; NumVGPRsForWavesPerEU: 1
; Occupancy: 10
; WaveLimiterHint : 0
; COMPUTE_PGM_RSRC2:SCRATCH_EN: 0
; COMPUTE_PGM_RSRC2:USER_SGPR: 6
; COMPUTE_PGM_RSRC2:TRAP_HANDLER: 0
; COMPUTE_PGM_RSRC2:TGID_X_EN: 1
; COMPUTE_PGM_RSRC2:TGID_Y_EN: 0
; COMPUTE_PGM_RSRC2:TGID_Z_EN: 0
; COMPUTE_PGM_RSRC2:TIDIG_COMP_CNT: 0
	.section	.text._ZN7rocprim17ROCPRIM_400000_NS6detail17trampoline_kernelINS0_14default_configENS1_29reduce_by_key_config_selectorIslN6thrust23THRUST_200600_302600_NS4plusIlEEEEZZNS1_33reduce_by_key_impl_wrapped_configILNS1_25lookback_scan_determinismE0ES3_S9_PsNS6_17constant_iteratorIiNS6_11use_defaultESE_EENS6_10device_ptrIsEENSG_IlEEPmS8_NS6_8equal_toIsEEEE10hipError_tPvRmT2_T3_mT4_T5_T6_T7_T8_P12ihipStream_tbENKUlT_T0_E_clISt17integral_constantIbLb0EES13_EEDaSY_SZ_EUlSY_E_NS1_11comp_targetILNS1_3genE2ELNS1_11target_archE906ELNS1_3gpuE6ELNS1_3repE0EEENS1_30default_config_static_selectorELNS0_4arch9wavefront6targetE1EEEvT1_,"axG",@progbits,_ZN7rocprim17ROCPRIM_400000_NS6detail17trampoline_kernelINS0_14default_configENS1_29reduce_by_key_config_selectorIslN6thrust23THRUST_200600_302600_NS4plusIlEEEEZZNS1_33reduce_by_key_impl_wrapped_configILNS1_25lookback_scan_determinismE0ES3_S9_PsNS6_17constant_iteratorIiNS6_11use_defaultESE_EENS6_10device_ptrIsEENSG_IlEEPmS8_NS6_8equal_toIsEEEE10hipError_tPvRmT2_T3_mT4_T5_T6_T7_T8_P12ihipStream_tbENKUlT_T0_E_clISt17integral_constantIbLb0EES13_EEDaSY_SZ_EUlSY_E_NS1_11comp_targetILNS1_3genE2ELNS1_11target_archE906ELNS1_3gpuE6ELNS1_3repE0EEENS1_30default_config_static_selectorELNS0_4arch9wavefront6targetE1EEEvT1_,comdat
	.protected	_ZN7rocprim17ROCPRIM_400000_NS6detail17trampoline_kernelINS0_14default_configENS1_29reduce_by_key_config_selectorIslN6thrust23THRUST_200600_302600_NS4plusIlEEEEZZNS1_33reduce_by_key_impl_wrapped_configILNS1_25lookback_scan_determinismE0ES3_S9_PsNS6_17constant_iteratorIiNS6_11use_defaultESE_EENS6_10device_ptrIsEENSG_IlEEPmS8_NS6_8equal_toIsEEEE10hipError_tPvRmT2_T3_mT4_T5_T6_T7_T8_P12ihipStream_tbENKUlT_T0_E_clISt17integral_constantIbLb0EES13_EEDaSY_SZ_EUlSY_E_NS1_11comp_targetILNS1_3genE2ELNS1_11target_archE906ELNS1_3gpuE6ELNS1_3repE0EEENS1_30default_config_static_selectorELNS0_4arch9wavefront6targetE1EEEvT1_ ; -- Begin function _ZN7rocprim17ROCPRIM_400000_NS6detail17trampoline_kernelINS0_14default_configENS1_29reduce_by_key_config_selectorIslN6thrust23THRUST_200600_302600_NS4plusIlEEEEZZNS1_33reduce_by_key_impl_wrapped_configILNS1_25lookback_scan_determinismE0ES3_S9_PsNS6_17constant_iteratorIiNS6_11use_defaultESE_EENS6_10device_ptrIsEENSG_IlEEPmS8_NS6_8equal_toIsEEEE10hipError_tPvRmT2_T3_mT4_T5_T6_T7_T8_P12ihipStream_tbENKUlT_T0_E_clISt17integral_constantIbLb0EES13_EEDaSY_SZ_EUlSY_E_NS1_11comp_targetILNS1_3genE2ELNS1_11target_archE906ELNS1_3gpuE6ELNS1_3repE0EEENS1_30default_config_static_selectorELNS0_4arch9wavefront6targetE1EEEvT1_
	.globl	_ZN7rocprim17ROCPRIM_400000_NS6detail17trampoline_kernelINS0_14default_configENS1_29reduce_by_key_config_selectorIslN6thrust23THRUST_200600_302600_NS4plusIlEEEEZZNS1_33reduce_by_key_impl_wrapped_configILNS1_25lookback_scan_determinismE0ES3_S9_PsNS6_17constant_iteratorIiNS6_11use_defaultESE_EENS6_10device_ptrIsEENSG_IlEEPmS8_NS6_8equal_toIsEEEE10hipError_tPvRmT2_T3_mT4_T5_T6_T7_T8_P12ihipStream_tbENKUlT_T0_E_clISt17integral_constantIbLb0EES13_EEDaSY_SZ_EUlSY_E_NS1_11comp_targetILNS1_3genE2ELNS1_11target_archE906ELNS1_3gpuE6ELNS1_3repE0EEENS1_30default_config_static_selectorELNS0_4arch9wavefront6targetE1EEEvT1_
	.p2align	8
	.type	_ZN7rocprim17ROCPRIM_400000_NS6detail17trampoline_kernelINS0_14default_configENS1_29reduce_by_key_config_selectorIslN6thrust23THRUST_200600_302600_NS4plusIlEEEEZZNS1_33reduce_by_key_impl_wrapped_configILNS1_25lookback_scan_determinismE0ES3_S9_PsNS6_17constant_iteratorIiNS6_11use_defaultESE_EENS6_10device_ptrIsEENSG_IlEEPmS8_NS6_8equal_toIsEEEE10hipError_tPvRmT2_T3_mT4_T5_T6_T7_T8_P12ihipStream_tbENKUlT_T0_E_clISt17integral_constantIbLb0EES13_EEDaSY_SZ_EUlSY_E_NS1_11comp_targetILNS1_3genE2ELNS1_11target_archE906ELNS1_3gpuE6ELNS1_3repE0EEENS1_30default_config_static_selectorELNS0_4arch9wavefront6targetE1EEEvT1_,@function
_ZN7rocprim17ROCPRIM_400000_NS6detail17trampoline_kernelINS0_14default_configENS1_29reduce_by_key_config_selectorIslN6thrust23THRUST_200600_302600_NS4plusIlEEEEZZNS1_33reduce_by_key_impl_wrapped_configILNS1_25lookback_scan_determinismE0ES3_S9_PsNS6_17constant_iteratorIiNS6_11use_defaultESE_EENS6_10device_ptrIsEENSG_IlEEPmS8_NS6_8equal_toIsEEEE10hipError_tPvRmT2_T3_mT4_T5_T6_T7_T8_P12ihipStream_tbENKUlT_T0_E_clISt17integral_constantIbLb0EES13_EEDaSY_SZ_EUlSY_E_NS1_11comp_targetILNS1_3genE2ELNS1_11target_archE906ELNS1_3gpuE6ELNS1_3repE0EEENS1_30default_config_static_selectorELNS0_4arch9wavefront6targetE1EEEvT1_: ; @_ZN7rocprim17ROCPRIM_400000_NS6detail17trampoline_kernelINS0_14default_configENS1_29reduce_by_key_config_selectorIslN6thrust23THRUST_200600_302600_NS4plusIlEEEEZZNS1_33reduce_by_key_impl_wrapped_configILNS1_25lookback_scan_determinismE0ES3_S9_PsNS6_17constant_iteratorIiNS6_11use_defaultESE_EENS6_10device_ptrIsEENSG_IlEEPmS8_NS6_8equal_toIsEEEE10hipError_tPvRmT2_T3_mT4_T5_T6_T7_T8_P12ihipStream_tbENKUlT_T0_E_clISt17integral_constantIbLb0EES13_EEDaSY_SZ_EUlSY_E_NS1_11comp_targetILNS1_3genE2ELNS1_11target_archE906ELNS1_3gpuE6ELNS1_3repE0EEENS1_30default_config_static_selectorELNS0_4arch9wavefront6targetE1EEEvT1_
; %bb.0:
	s_load_dwordx16 s[40:55], s[4:5], 0x40
	s_load_dwordx4 s[8:11], s[4:5], 0x0
	s_load_dword s12, s[4:5], 0x18
	s_load_dwordx4 s[56:59], s[4:5], 0x20
	s_load_dwordx2 s[38:39], s[4:5], 0x30
	s_add_u32 s0, s0, s7
	s_waitcnt lgkmcnt(0)
	s_mul_i32 s7, s48, s47
	s_mul_hi_u32 s13, s48, s46
	s_addc_u32 s1, s1, 0
	s_add_i32 s7, s13, s7
	s_mul_i32 s13, s49, s46
	s_add_i32 s7, s7, s13
	s_lshl_b64 s[10:11], s[10:11], 1
	s_add_u32 s10, s8, s10
	s_addc_u32 s11, s9, s11
	s_mul_i32 s8, s6, 0xf00
	s_mov_b32 s9, 0
	s_lshl_b64 s[8:9], s[8:9], 1
	s_add_u32 s62, s10, s8
	s_mul_i32 s13, s48, s46
	s_addc_u32 s63, s11, s9
	s_add_u32 s8, s13, s6
	s_addc_u32 s9, s7, 0
	s_add_u32 s16, s50, -1
	s_addc_u32 s17, s51, -1
	s_cmp_eq_u64 s[8:9], s[16:17]
	s_cselect_b64 s[48:49], -1, 0
	s_cmp_lg_u64 s[8:9], s[16:17]
	s_mov_b64 s[14:15], -1
	s_cselect_b64 s[10:11], -1, 0
	s_mul_i32 s33, s16, 0xfffff100
	s_and_b64 vcc, exec, s[48:49]
	s_cbranch_vccnz .LBB1474_2
; %bb.1:
	v_lshlrev_b32_e32 v4, 1, v0
	v_mov_b32_e32 v1, s63
	v_add_co_u32_e32 v2, vcc, s62, v4
	v_addc_co_u32_e32 v3, vcc, 0, v1, vcc
	v_add_co_u32_e32 v1, vcc, 0x1000, v2
	v_addc_co_u32_e32 v2, vcc, 0, v3, vcc
	global_load_ushort v5, v4, s[62:63]
	global_load_ushort v6, v4, s[62:63] offset:512
	global_load_ushort v7, v4, s[62:63] offset:1024
	;; [unrolled: 1-line block ×7, first 2 shown]
	global_load_ushort v13, v[1:2], off
	global_load_ushort v14, v[1:2], off offset:512
	global_load_ushort v15, v[1:2], off offset:1024
	global_load_ushort v16, v[1:2], off offset:1536
	global_load_ushort v17, v[1:2], off offset:2048
	global_load_ushort v18, v[1:2], off offset:2560
	global_load_ushort v19, v[1:2], off offset:3072
	v_mad_u32_u24 v20, v0, 28, v4
	s_ashr_i32 s13, s12, 31
	s_movk_i32 s7, 0xffea
	v_mov_b32_e32 v2, s12
	v_mul_u32_u24_e32 v1, 15, v0
	v_mov_b32_e32 v3, s13
	v_mad_i32_i24 v21, v0, s7, v20
	s_waitcnt vmcnt(14)
	ds_write_b16 v4, v5
	s_waitcnt vmcnt(13)
	ds_write_b16 v4, v6 offset:512
	s_waitcnt vmcnt(12)
	ds_write_b16 v4, v7 offset:1024
	;; [unrolled: 2-line block ×14, first 2 shown]
	s_waitcnt lgkmcnt(0)
	s_barrier
	ds_read_u16 v77, v20
	ds_read_b128 v[5:8], v20 offset:2
	ds_read_b96 v[33:35], v20 offset:18
	s_waitcnt lgkmcnt(0)
	s_barrier
	ds_write2st64_b64 v21, v[2:3], v[2:3] offset1:4
	ds_write2st64_b64 v21, v[2:3], v[2:3] offset0:8 offset1:12
	ds_write2st64_b64 v21, v[2:3], v[2:3] offset0:16 offset1:20
	;; [unrolled: 1-line block ×6, first 2 shown]
	ds_write_b64 v21, v[2:3] offset:28672
	s_waitcnt lgkmcnt(0)
	s_barrier
	s_load_dwordx2 s[60:61], s[4:5], 0x80
	s_add_i32 s33, s33, s52
	s_cbranch_execz .LBB1474_3
	s_branch .LBB1474_34
.LBB1474_2:
                                        ; implicit-def: $vgpr5
                                        ; implicit-def: $vgpr33
                                        ; implicit-def: $vgpr77
                                        ; implicit-def: $vgpr1
	s_load_dwordx2 s[60:61], s[4:5], 0x80
	s_andn2_b64 vcc, exec, s[14:15]
	s_add_i32 s33, s33, s52
	s_cbranch_vccnz .LBB1474_34
.LBB1474_3:
	v_cmp_gt_u32_e32 vcc, s33, v0
                                        ; implicit-def: $vgpr1
	s_and_saveexec_b64 s[4:5], vcc
	s_cbranch_execz .LBB1474_5
; %bb.4:
	v_lshlrev_b32_e32 v1, 1, v0
	global_load_ushort v1, v1, s[62:63]
.LBB1474_5:
	s_or_b64 exec, exec, s[4:5]
	v_or_b32_e32 v2, 0x100, v0
	v_cmp_gt_u32_e32 vcc, s33, v2
                                        ; implicit-def: $vgpr2
	s_and_saveexec_b64 s[4:5], vcc
	s_cbranch_execz .LBB1474_7
; %bb.6:
	v_lshlrev_b32_e32 v2, 1, v0
	global_load_ushort v2, v2, s[62:63] offset:512
.LBB1474_7:
	s_or_b64 exec, exec, s[4:5]
	v_or_b32_e32 v3, 0x200, v0
	v_cmp_gt_u32_e32 vcc, s33, v3
                                        ; implicit-def: $vgpr3
	s_and_saveexec_b64 s[4:5], vcc
	s_cbranch_execz .LBB1474_9
; %bb.8:
	v_lshlrev_b32_e32 v3, 1, v0
	global_load_ushort v3, v3, s[62:63] offset:1024
.LBB1474_9:
	s_or_b64 exec, exec, s[4:5]
	v_or_b32_e32 v4, 0x300, v0
	v_cmp_gt_u32_e32 vcc, s33, v4
                                        ; implicit-def: $vgpr4
	s_and_saveexec_b64 s[4:5], vcc
	s_cbranch_execz .LBB1474_11
; %bb.10:
	v_lshlrev_b32_e32 v4, 1, v0
	global_load_ushort v4, v4, s[62:63] offset:1536
.LBB1474_11:
	s_or_b64 exec, exec, s[4:5]
	v_or_b32_e32 v5, 0x400, v0
	v_cmp_gt_u32_e32 vcc, s33, v5
                                        ; implicit-def: $vgpr5
	s_and_saveexec_b64 s[4:5], vcc
	s_cbranch_execz .LBB1474_13
; %bb.12:
	v_lshlrev_b32_e32 v5, 1, v0
	global_load_ushort v5, v5, s[62:63] offset:2048
.LBB1474_13:
	s_or_b64 exec, exec, s[4:5]
	v_or_b32_e32 v6, 0x500, v0
	v_cmp_gt_u32_e32 vcc, s33, v6
                                        ; implicit-def: $vgpr6
	s_and_saveexec_b64 s[4:5], vcc
	s_cbranch_execz .LBB1474_15
; %bb.14:
	v_lshlrev_b32_e32 v6, 1, v0
	global_load_ushort v6, v6, s[62:63] offset:2560
.LBB1474_15:
	s_or_b64 exec, exec, s[4:5]
	v_or_b32_e32 v7, 0x600, v0
	v_cmp_gt_u32_e32 vcc, s33, v7
                                        ; implicit-def: $vgpr7
	s_and_saveexec_b64 s[4:5], vcc
	s_cbranch_execz .LBB1474_17
; %bb.16:
	v_lshlrev_b32_e32 v7, 1, v0
	global_load_ushort v7, v7, s[62:63] offset:3072
.LBB1474_17:
	s_or_b64 exec, exec, s[4:5]
	v_or_b32_e32 v8, 0x700, v0
	v_cmp_gt_u32_e32 vcc, s33, v8
                                        ; implicit-def: $vgpr8
	s_and_saveexec_b64 s[4:5], vcc
	s_cbranch_execz .LBB1474_19
; %bb.18:
	v_lshlrev_b32_e32 v8, 1, v0
	global_load_ushort v8, v8, s[62:63] offset:3584
.LBB1474_19:
	s_or_b64 exec, exec, s[4:5]
	v_or_b32_e32 v10, 0x800, v0
	v_cmp_gt_u32_e32 vcc, s33, v10
                                        ; implicit-def: $vgpr9
	s_and_saveexec_b64 s[4:5], vcc
	s_cbranch_execz .LBB1474_21
; %bb.20:
	v_lshlrev_b32_e32 v9, 1, v10
	global_load_ushort v9, v9, s[62:63]
.LBB1474_21:
	s_or_b64 exec, exec, s[4:5]
	v_or_b32_e32 v11, 0x900, v0
	v_cmp_gt_u32_e32 vcc, s33, v11
                                        ; implicit-def: $vgpr10
	s_and_saveexec_b64 s[4:5], vcc
	s_cbranch_execz .LBB1474_23
; %bb.22:
	v_lshlrev_b32_e32 v10, 1, v11
	global_load_ushort v10, v10, s[62:63]
.LBB1474_23:
	s_or_b64 exec, exec, s[4:5]
	v_or_b32_e32 v12, 0xa00, v0
	v_cmp_gt_u32_e32 vcc, s33, v12
                                        ; implicit-def: $vgpr11
	s_and_saveexec_b64 s[4:5], vcc
	s_cbranch_execz .LBB1474_25
; %bb.24:
	v_lshlrev_b32_e32 v11, 1, v12
	global_load_ushort v11, v11, s[62:63]
.LBB1474_25:
	s_or_b64 exec, exec, s[4:5]
	v_or_b32_e32 v13, 0xb00, v0
	v_cmp_gt_u32_e32 vcc, s33, v13
                                        ; implicit-def: $vgpr12
	s_and_saveexec_b64 s[4:5], vcc
	s_cbranch_execz .LBB1474_27
; %bb.26:
	v_lshlrev_b32_e32 v12, 1, v13
	global_load_ushort v12, v12, s[62:63]
.LBB1474_27:
	s_or_b64 exec, exec, s[4:5]
	v_or_b32_e32 v14, 0xc00, v0
	v_cmp_gt_u32_e32 vcc, s33, v14
                                        ; implicit-def: $vgpr13
	s_and_saveexec_b64 s[4:5], vcc
	s_cbranch_execz .LBB1474_29
; %bb.28:
	v_lshlrev_b32_e32 v13, 1, v14
	global_load_ushort v13, v13, s[62:63]
.LBB1474_29:
	s_or_b64 exec, exec, s[4:5]
	v_or_b32_e32 v15, 0xd00, v0
	v_cmp_gt_u32_e32 vcc, s33, v15
                                        ; implicit-def: $vgpr14
	s_and_saveexec_b64 s[4:5], vcc
	s_cbranch_execz .LBB1474_31
; %bb.30:
	v_lshlrev_b32_e32 v14, 1, v15
	global_load_ushort v14, v14, s[62:63]
.LBB1474_31:
	s_or_b64 exec, exec, s[4:5]
	v_or_b32_e32 v16, 0xe00, v0
	v_cmp_gt_u32_e32 vcc, s33, v16
                                        ; implicit-def: $vgpr15
	s_and_saveexec_b64 s[4:5], vcc
	s_cbranch_execz .LBB1474_33
; %bb.32:
	v_lshlrev_b32_e32 v15, 1, v16
	global_load_ushort v15, v15, s[62:63]
.LBB1474_33:
	s_or_b64 exec, exec, s[4:5]
	v_lshlrev_b32_e32 v16, 1, v0
	s_waitcnt vmcnt(0)
	ds_write_b16 v16, v1
	ds_write_b16 v16, v2 offset:512
	ds_write_b16 v16, v3 offset:1024
	;; [unrolled: 1-line block ×14, first 2 shown]
	v_mad_u32_u24 v2, v0, 28, v16
	s_waitcnt lgkmcnt(0)
	s_barrier
	ds_read_u16 v77, v2
	ds_read_b128 v[5:8], v2 offset:2
	ds_read_b96 v[33:35], v2 offset:18
	s_movk_i32 s4, 0xffea
	s_ashr_i32 s13, s12, 31
	v_mad_i32_i24 v4, v0, s4, v2
	v_mov_b32_e32 v2, s12
	v_mul_u32_u24_e32 v1, 15, v0
	v_mov_b32_e32 v3, s13
	s_waitcnt lgkmcnt(0)
	s_barrier
	ds_write2st64_b64 v4, v[2:3], v[2:3] offset1:4
	ds_write2st64_b64 v4, v[2:3], v[2:3] offset0:8 offset1:12
	ds_write2st64_b64 v4, v[2:3], v[2:3] offset0:16 offset1:20
	;; [unrolled: 1-line block ×6, first 2 shown]
	ds_write_b64 v4, v[2:3] offset:28672
	s_waitcnt lgkmcnt(0)
	s_barrier
.LBB1474_34:
	v_lshlrev_b32_e32 v29, 3, v1
	s_waitcnt lgkmcnt(0)
	ds_read_b64 v[70:71], v29 offset:112
	ds_read2_b64 v[1:4], v29 offset0:12 offset1:13
	ds_read2_b64 v[9:12], v29 offset0:10 offset1:11
	;; [unrolled: 1-line block ×6, first 2 shown]
	ds_read2_b64 v[29:32], v29 offset1:1
	s_cmp_eq_u64 s[8:9], 0
	s_cselect_b64 s[50:51], -1, 0
	s_cmp_lg_u64 s[8:9], 0
	s_mov_b64 s[64:65], 0
	s_cselect_b64 s[4:5], -1, 0
	v_lshrrev_b32_e32 v81, 16, v5
	v_lshrrev_b32_e32 v80, 16, v6
	v_lshrrev_b32_e32 v79, 16, v7
	v_lshrrev_b32_e32 v78, 16, v8
	v_lshrrev_b32_e32 v76, 16, v33
	v_lshrrev_b32_e32 v75, 16, v34
	v_lshrrev_b32_e32 v74, 16, v35
	s_and_b64 vcc, exec, s[10:11]
	s_waitcnt lgkmcnt(0)
	s_barrier
	s_cbranch_vccz .LBB1474_39
; %bb.35:
	s_and_b64 vcc, exec, s[4:5]
	s_cbranch_vccz .LBB1474_40
; %bb.36:
	v_mov_b32_e32 v36, 0
	global_load_ushort v36, v36, s[62:63] offset:-2
	v_cmp_ne_u16_e32 vcc, v35, v74
	v_cndmask_b32_e64 v38, 0, 1, vcc
	v_cmp_ne_u16_e32 vcc, v75, v35
	buffer_store_dword v38, off, s[0:3], 0 offset:56
	v_cndmask_b32_e64 v38, 0, 1, vcc
	v_cmp_ne_u16_e32 vcc, v34, v75
	buffer_store_dword v38, off, s[0:3], 0 offset:52
	v_cndmask_b32_e64 v38, 0, 1, vcc
	v_cmp_ne_u16_e32 vcc, v76, v34
	buffer_store_dword v38, off, s[0:3], 0 offset:48
	v_cndmask_b32_e64 v38, 0, 1, vcc
	v_cmp_ne_u16_e32 vcc, v33, v76
	buffer_store_dword v38, off, s[0:3], 0 offset:44
	v_cndmask_b32_e64 v38, 0, 1, vcc
	v_cmp_ne_u16_e32 vcc, v78, v33
	buffer_store_dword v38, off, s[0:3], 0 offset:40
	v_cndmask_b32_e64 v38, 0, 1, vcc
	v_cmp_ne_u16_e32 vcc, v8, v78
	buffer_store_dword v38, off, s[0:3], 0 offset:36
	v_cndmask_b32_e64 v38, 0, 1, vcc
	v_cmp_ne_u16_e32 vcc, v79, v8
	buffer_store_dword v38, off, s[0:3], 0 offset:32
	v_cndmask_b32_e64 v38, 0, 1, vcc
	v_cmp_ne_u16_e32 vcc, v7, v79
	buffer_store_dword v38, off, s[0:3], 0 offset:28
	v_cndmask_b32_e64 v38, 0, 1, vcc
	v_cmp_ne_u16_e32 vcc, v80, v7
	buffer_store_dword v38, off, s[0:3], 0 offset:24
	v_cndmask_b32_e64 v38, 0, 1, vcc
	v_cmp_ne_u16_e32 vcc, v6, v80
	buffer_store_dword v38, off, s[0:3], 0 offset:20
	v_cndmask_b32_e64 v38, 0, 1, vcc
	v_cmp_ne_u16_e32 vcc, v81, v6
	buffer_store_dword v38, off, s[0:3], 0 offset:16
	v_cndmask_b32_e64 v38, 0, 1, vcc
	v_cmp_ne_u16_e32 vcc, v5, v81
	buffer_store_dword v38, off, s[0:3], 0 offset:12
	v_cndmask_b32_e64 v38, 0, 1, vcc
	v_cmp_ne_u16_e32 vcc, v77, v5
	v_lshlrev_b32_e32 v37, 1, v0
	buffer_store_dword v38, off, s[0:3], 0 offset:8
	v_cndmask_b32_e64 v38, 0, 1, vcc
	v_cmp_ne_u32_e32 vcc, 0, v0
	ds_write_b16 v37, v74
	buffer_store_dword v38, off, s[0:3], 0 offset:4
	s_waitcnt vmcnt(0) lgkmcnt(0)
	s_barrier
	s_and_saveexec_b64 s[10:11], vcc
; %bb.37:
	v_add_u32_e32 v36, -2, v37
	ds_read_u16 v36, v36
; %bb.38:
	s_or_b64 exec, exec, s[10:11]
	s_waitcnt lgkmcnt(0)
	v_cmp_ne_u16_e64 s[10:11], v36, v77
	s_mov_b64 s[64:65], -1
	s_branch .LBB1474_44
.LBB1474_39:
                                        ; implicit-def: $sgpr10_sgpr11
	s_cbranch_execnz .LBB1474_45
	s_branch .LBB1474_53
.LBB1474_40:
                                        ; implicit-def: $sgpr10_sgpr11
	s_cbranch_execz .LBB1474_44
; %bb.41:
	v_cmp_ne_u16_e32 vcc, v35, v74
	v_cndmask_b32_e64 v38, 0, 1, vcc
	v_cmp_ne_u16_e32 vcc, v75, v35
	buffer_store_dword v38, off, s[0:3], 0 offset:56
	v_cndmask_b32_e64 v38, 0, 1, vcc
	v_cmp_ne_u16_e32 vcc, v34, v75
	buffer_store_dword v38, off, s[0:3], 0 offset:52
	;; [unrolled: 3-line block ×12, first 2 shown]
	v_cndmask_b32_e64 v38, 0, 1, vcc
	v_cmp_ne_u16_e32 vcc, v77, v5
	v_mov_b32_e32 v37, 1
	v_lshlrev_b32_e32 v36, 1, v0
	buffer_store_dword v38, off, s[0:3], 0 offset:8
	v_cndmask_b32_e64 v38, 0, 1, vcc
	v_cmp_ne_u32_e32 vcc, 0, v0
	ds_write_b16 v36, v74
	buffer_store_dword v38, off, s[0:3], 0 offset:4
	s_waitcnt vmcnt(0) lgkmcnt(0)
	s_barrier
	buffer_store_dword v37, off, s[0:3], 0
                                        ; implicit-def: $sgpr10_sgpr11
	s_and_saveexec_b64 s[12:13], vcc
	s_xor_b64 s[12:13], exec, s[12:13]
	s_cbranch_execz .LBB1474_43
; %bb.42:
	v_add_u32_e32 v36, -2, v36
	ds_read_u16 v36, v36
	s_or_b64 s[64:65], s[64:65], exec
	s_waitcnt lgkmcnt(0)
	v_cmp_ne_u16_e64 s[10:11], v36, v77
.LBB1474_43:
	s_or_b64 exec, exec, s[12:13]
.LBB1474_44:
	s_branch .LBB1474_53
.LBB1474_45:
	s_mul_i32 s7, s9, 0xfffff100
	s_mul_hi_u32 s9, s8, 0xfffff100
	s_sub_i32 s9, s9, s8
	s_add_i32 s9, s9, s7
	s_mul_i32 s7, s8, 0xfffff100
	s_add_u32 s52, s7, s52
	s_addc_u32 s53, s9, s53
	s_and_b64 vcc, exec, s[4:5]
	v_cmp_ne_u16_e64 s[34:35], v35, v74
	v_cmp_ne_u16_e64 s[30:31], v75, v35
	;; [unrolled: 1-line block ×14, first 2 shown]
	v_mad_u32_u24 v36, v0, 15, 14
	v_mad_u32_u24 v62, v0, 15, 13
	v_mad_u32_u24 v60, v0, 15, 12
	v_mad_u32_u24 v58, v0, 15, 11
	v_mad_u32_u24 v56, v0, 15, 10
	v_mad_u32_u24 v54, v0, 15, 9
	v_mad_u32_u24 v52, v0, 15, 8
	v_mad_u32_u24 v50, v0, 15, 7
	v_mad_u32_u24 v48, v0, 15, 6
	v_mad_u32_u24 v46, v0, 15, 5
	v_mad_u32_u24 v44, v0, 15, 4
	v_mad_u32_u24 v42, v0, 15, 3
	v_mad_u32_u24 v40, v0, 15, 2
	v_mad_u32_u24 v38, v0, 15, 1
	v_cmp_ne_u32_e64 s[8:9], 0, v0
	s_cbranch_vccz .LBB1474_49
; %bb.46:
	v_mov_b32_e32 v37, 0
	global_load_ushort v66, v37, s[62:63] offset:-2
	v_cmp_gt_u64_e32 vcc, s[52:53], v[36:37]
	v_mov_b32_e32 v63, v37
	s_and_b64 s[34:35], vcc, s[34:35]
	v_cmp_gt_u64_e32 vcc, s[52:53], v[62:63]
	v_mov_b32_e32 v61, v37
	s_and_b64 s[30:31], vcc, s[30:31]
	;; [unrolled: 3-line block ×6, first 2 shown]
	v_cmp_gt_u64_e32 vcc, s[52:53], v[52:53]
	v_mov_b32_e32 v51, v37
	v_cndmask_b32_e64 v39, 0, 1, s[34:35]
	s_and_b64 s[20:21], vcc, s[20:21]
	v_cmp_gt_u64_e32 vcc, s[52:53], v[50:51]
	buffer_store_dword v39, off, s[0:3], 0 offset:56
	v_cndmask_b32_e64 v39, 0, 1, s[30:31]
	v_mov_b32_e32 v49, v37
	buffer_store_dword v39, off, s[0:3], 0 offset:52
	v_cndmask_b32_e64 v39, 0, 1, s[28:29]
	s_and_b64 s[18:19], vcc, s[18:19]
	v_cmp_gt_u64_e32 vcc, s[52:53], v[48:49]
	buffer_store_dword v39, off, s[0:3], 0 offset:48
	v_cndmask_b32_e64 v39, 0, 1, s[26:27]
	v_mov_b32_e32 v47, v37
	buffer_store_dword v39, off, s[0:3], 0 offset:44
	v_cndmask_b32_e64 v39, 0, 1, s[24:25]
	s_and_b64 s[16:17], vcc, s[16:17]
	v_cmp_gt_u64_e32 vcc, s[52:53], v[46:47]
	buffer_store_dword v39, off, s[0:3], 0 offset:40
	v_cndmask_b32_e64 v39, 0, 1, s[22:23]
	v_mov_b32_e32 v45, v37
	buffer_store_dword v39, off, s[0:3], 0 offset:36
	v_cndmask_b32_e64 v39, 0, 1, s[20:21]
	s_and_b64 s[14:15], vcc, s[14:15]
	v_cmp_gt_u64_e32 vcc, s[52:53], v[44:45]
	buffer_store_dword v39, off, s[0:3], 0 offset:32
	v_cndmask_b32_e64 v39, 0, 1, s[18:19]
	v_mov_b32_e32 v43, v37
	buffer_store_dword v39, off, s[0:3], 0 offset:28
	v_cndmask_b32_e64 v39, 0, 1, s[16:17]
	s_and_b64 s[12:13], vcc, s[12:13]
	v_cmp_gt_u64_e32 vcc, s[52:53], v[42:43]
	buffer_store_dword v39, off, s[0:3], 0 offset:24
	v_cndmask_b32_e64 v39, 0, 1, s[14:15]
	buffer_store_dword v39, off, s[0:3], 0 offset:20
	v_cndmask_b32_e64 v39, 0, 1, s[12:13]
	s_and_b64 s[10:11], vcc, s[10:11]
	v_mov_b32_e32 v41, v37
	buffer_store_dword v39, off, s[0:3], 0 offset:16
	v_cndmask_b32_e64 v39, 0, 1, s[10:11]
	v_cmp_gt_u64_e32 vcc, s[52:53], v[40:41]
	buffer_store_dword v39, off, s[0:3], 0 offset:12
	v_mov_b32_e32 v39, v37
	s_and_b64 s[10:11], vcc, s[36:37]
	v_cmp_gt_u64_e32 vcc, s[52:53], v[38:39]
	v_lshlrev_b32_e32 v65, 1, v0
	s_and_b64 s[4:5], vcc, s[4:5]
	v_mul_u32_u24_e32 v64, 15, v0
	v_cndmask_b32_e64 v41, 0, 1, s[10:11]
	v_cndmask_b32_e64 v39, 0, 1, s[4:5]
	ds_write_b16 v65, v74
	buffer_store_dword v41, off, s[0:3], 0 offset:8
	buffer_store_dword v39, off, s[0:3], 0 offset:4
	s_waitcnt vmcnt(0) lgkmcnt(0)
	s_barrier
	s_and_saveexec_b64 s[4:5], s[8:9]
; %bb.47:
	v_add_u32_e32 v39, -2, v65
	ds_read_u16 v66, v39
; %bb.48:
	s_or_b64 exec, exec, s[4:5]
	v_mov_b32_e32 v65, v37
	v_cmp_gt_u64_e32 vcc, s[52:53], v[64:65]
	s_waitcnt lgkmcnt(0)
	v_cmp_ne_u16_e64 s[4:5], v66, v77
	s_and_b64 s[10:11], vcc, s[4:5]
	s_mov_b64 s[64:65], -1
	s_branch .LBB1474_53
.LBB1474_49:
                                        ; implicit-def: $sgpr10_sgpr11
	s_cbranch_execz .LBB1474_53
; %bb.50:
	v_mov_b32_e32 v37, 0
	v_cmp_gt_u64_e32 vcc, s[52:53], v[36:37]
	v_cmp_ne_u16_e64 s[4:5], v35, v74
	v_mov_b32_e32 v63, v37
	s_and_b64 s[4:5], vcc, s[4:5]
	v_cmp_gt_u64_e32 vcc, s[52:53], v[62:63]
	v_cndmask_b32_e64 v36, 0, 1, s[4:5]
	v_cmp_ne_u16_e64 s[4:5], v75, v35
	v_mov_b32_e32 v61, v37
	s_and_b64 s[4:5], vcc, s[4:5]
	v_cmp_gt_u64_e32 vcc, s[52:53], v[60:61]
	buffer_store_dword v36, off, s[0:3], 0 offset:56
	v_cndmask_b32_e64 v36, 0, 1, s[4:5]
	v_cmp_ne_u16_e64 s[4:5], v34, v75
	v_mov_b32_e32 v59, v37
	s_and_b64 s[4:5], vcc, s[4:5]
	v_cmp_gt_u64_e32 vcc, s[52:53], v[58:59]
	buffer_store_dword v36, off, s[0:3], 0 offset:52
	;; [unrolled: 6-line block ×12, first 2 shown]
	v_cndmask_b32_e64 v36, 0, 1, s[4:5]
	v_cmp_ne_u16_e64 s[4:5], v77, v5
	s_and_b64 s[4:5], vcc, s[4:5]
	v_mov_b32_e32 v65, 1
	v_lshlrev_b32_e32 v64, 1, v0
	buffer_store_dword v36, off, s[0:3], 0 offset:8
	v_cndmask_b32_e64 v36, 0, 1, s[4:5]
	v_cmp_ne_u32_e32 vcc, 0, v0
	ds_write_b16 v64, v74
	buffer_store_dword v36, off, s[0:3], 0 offset:4
	s_waitcnt vmcnt(0) lgkmcnt(0)
	s_barrier
	buffer_store_dword v65, off, s[0:3], 0
                                        ; implicit-def: $sgpr10_sgpr11
	s_and_saveexec_b64 s[8:9], vcc
	s_cbranch_execz .LBB1474_52
; %bb.51:
	v_add_u32_e32 v36, -2, v64
	ds_read_u16 v38, v36
	v_mul_u32_u24_e32 v36, 15, v0
	v_cmp_gt_u64_e32 vcc, s[52:53], v[36:37]
	s_or_b64 s[64:65], s[64:65], exec
	s_waitcnt lgkmcnt(0)
	v_cmp_ne_u16_e64 s[4:5], v38, v77
	s_and_b64 s[10:11], vcc, s[4:5]
.LBB1474_52:
	s_or_b64 exec, exec, s[8:9]
.LBB1474_53:
	v_mov_b32_e32 v82, 1
	s_and_saveexec_b64 s[4:5], s[64:65]
	s_cbranch_execz .LBB1474_55
; %bb.54:
	v_cndmask_b32_e64 v82, 0, 1, s[10:11]
	buffer_store_dword v82, off, s[0:3], 0
.LBB1474_55:
	s_or_b64 exec, exec, s[4:5]
	buffer_load_dword v95, off, s[0:3], 0 offset:4
	buffer_load_dword v94, off, s[0:3], 0 offset:8
	buffer_load_dword v93, off, s[0:3], 0 offset:12
	buffer_load_dword v83, off, s[0:3], 0 offset:16
	buffer_load_dword v84, off, s[0:3], 0 offset:20
	buffer_load_dword v85, off, s[0:3], 0 offset:24
	buffer_load_dword v86, off, s[0:3], 0 offset:28
	buffer_load_dword v87, off, s[0:3], 0 offset:32
	buffer_load_dword v88, off, s[0:3], 0 offset:36
	buffer_load_dword v89, off, s[0:3], 0 offset:40
	buffer_load_dword v90, off, s[0:3], 0 offset:44
	buffer_load_dword v91, off, s[0:3], 0 offset:48
	buffer_load_dword v92, off, s[0:3], 0 offset:52
	buffer_load_dword v96, off, s[0:3], 0 offset:56
	s_cmp_eq_u64 s[46:47], 0
	s_cselect_b64 s[46:47], -1, 0
	s_cmp_lg_u32 s6, 0
	v_mbcnt_lo_u32_b32 v97, -1, 0
	s_waitcnt vmcnt(13)
	v_cmp_eq_u32_e64 s[28:29], 0, v95
	s_waitcnt vmcnt(12)
	v_add3_u32 v36, v95, v82, v94
	v_cmp_eq_u32_e64 s[26:27], 0, v94
	s_waitcnt vmcnt(11)
	v_cmp_eq_u32_e64 s[24:25], 0, v93
	s_waitcnt vmcnt(10)
	v_cmp_eq_u32_e64 s[22:23], 0, v83
	s_waitcnt vmcnt(9)
	v_cmp_eq_u32_e64 s[20:21], 0, v84
	s_waitcnt vmcnt(8)
	v_cmp_eq_u32_e64 s[18:19], 0, v85
	s_waitcnt vmcnt(7)
	v_cmp_eq_u32_e64 s[16:17], 0, v86
	s_waitcnt vmcnt(6)
	v_cmp_eq_u32_e64 s[14:15], 0, v87
	s_waitcnt vmcnt(5)
	v_cmp_eq_u32_e64 s[12:13], 0, v88
	s_waitcnt vmcnt(4)
	v_cmp_eq_u32_e64 s[10:11], 0, v89
	s_waitcnt vmcnt(3)
	v_cmp_eq_u32_e64 s[8:9], 0, v90
	s_waitcnt vmcnt(2)
	v_cmp_eq_u32_e64 s[34:35], 0, v91
	s_waitcnt vmcnt(1)
	v_cmp_eq_u32_e64 s[4:5], 0, v92
	s_waitcnt vmcnt(0)
	v_cmp_eq_u32_e32 vcc, 0, v96
	v_add3_u32 v98, v36, v93, v83
	s_cbranch_scc0 .LBB1474_117
; %bb.56:
	v_cndmask_b32_e64 v37, 0, v29, s[28:29]
	v_cndmask_b32_e64 v36, 0, v30, s[28:29]
	v_add_co_u32_e64 v37, s[30:31], v37, v31
	v_addc_co_u32_e64 v36, s[30:31], v36, v32, s[30:31]
	v_cndmask_b32_e64 v37, 0, v37, s[26:27]
	v_cndmask_b32_e64 v36, 0, v36, s[26:27]
	v_add_co_u32_e64 v37, s[30:31], v37, v25
	v_addc_co_u32_e64 v36, s[30:31], v36, v26, s[30:31]
	;; [unrolled: 4-line block ×11, first 2 shown]
	v_cndmask_b32_e64 v37, 0, v37, s[34:35]
	v_add3_u32 v38, v98, v84, v85
	v_cndmask_b32_e64 v36, 0, v36, s[34:35]
	v_add_co_u32_e64 v37, s[30:31], v37, v1
	v_add3_u32 v38, v38, v86, v87
	v_addc_co_u32_e64 v36, s[30:31], v36, v2, s[30:31]
	v_cndmask_b32_e64 v37, 0, v37, s[4:5]
	v_add3_u32 v38, v38, v88, v89
	v_cndmask_b32_e64 v36, 0, v36, s[4:5]
	v_add_co_u32_e64 v37, s[30:31], v37, v3
	v_add3_u32 v38, v38, v90, v91
	v_addc_co_u32_e64 v36, s[30:31], v36, v4, s[30:31]
	v_cndmask_b32_e32 v37, 0, v37, vcc
	v_add3_u32 v40, v38, v92, v96
	v_cndmask_b32_e32 v36, 0, v36, vcc
	v_add_co_u32_e32 v38, vcc, v37, v70
	v_mbcnt_hi_u32_b32 v45, -1, v97
	v_addc_co_u32_e32 v39, vcc, v36, v71, vcc
	v_and_b32_e32 v36, 15, v45
	v_mov_b32_dpp v41, v40 row_shr:1 row_mask:0xf bank_mask:0xf
	v_mov_b32_dpp v37, v38 row_shr:1 row_mask:0xf bank_mask:0xf
	;; [unrolled: 1-line block ×3, first 2 shown]
	v_cmp_ne_u32_e32 vcc, 0, v36
	s_and_saveexec_b64 s[30:31], vcc
; %bb.57:
	v_cmp_eq_u32_e32 vcc, 0, v40
	v_cndmask_b32_e32 v37, 0, v37, vcc
	v_add_u32_e32 v41, v41, v40
	v_cndmask_b32_e32 v40, 0, v42, vcc
	v_add_co_u32_e32 v38, vcc, v37, v38
	v_addc_co_u32_e32 v39, vcc, v40, v39, vcc
	v_mov_b32_e32 v40, v41
; %bb.58:
	s_or_b64 exec, exec, s[30:31]
	s_nop 0
	v_mov_b32_dpp v41, v40 row_shr:2 row_mask:0xf bank_mask:0xf
	v_mov_b32_dpp v37, v38 row_shr:2 row_mask:0xf bank_mask:0xf
	v_mov_b32_dpp v42, v39 row_shr:2 row_mask:0xf bank_mask:0xf
	v_cmp_lt_u32_e32 vcc, 1, v36
	s_and_saveexec_b64 s[30:31], vcc
; %bb.59:
	v_cmp_eq_u32_e32 vcc, 0, v40
	v_cndmask_b32_e32 v37, 0, v37, vcc
	v_add_u32_e32 v41, v41, v40
	v_cndmask_b32_e32 v40, 0, v42, vcc
	v_add_co_u32_e32 v38, vcc, v37, v38
	v_addc_co_u32_e32 v39, vcc, v40, v39, vcc
	v_mov_b32_e32 v40, v41
; %bb.60:
	s_or_b64 exec, exec, s[30:31]
	s_nop 0
	v_mov_b32_dpp v41, v40 row_shr:4 row_mask:0xf bank_mask:0xf
	v_mov_b32_dpp v37, v38 row_shr:4 row_mask:0xf bank_mask:0xf
	v_mov_b32_dpp v42, v39 row_shr:4 row_mask:0xf bank_mask:0xf
	v_cmp_lt_u32_e32 vcc, 3, v36
	;; [unrolled: 16-line block ×3, first 2 shown]
	s_and_saveexec_b64 s[30:31], vcc
; %bb.63:
	v_cmp_eq_u32_e32 vcc, 0, v40
	v_cndmask_b32_e32 v37, 0, v37, vcc
	v_add_u32_e32 v36, v41, v40
	v_cndmask_b32_e32 v40, 0, v42, vcc
	v_add_co_u32_e32 v38, vcc, v37, v38
	v_addc_co_u32_e32 v39, vcc, v40, v39, vcc
	v_mov_b32_e32 v40, v36
; %bb.64:
	s_or_b64 exec, exec, s[30:31]
	v_and_b32_e32 v42, 16, v45
	v_mov_b32_dpp v37, v40 row_bcast:15 row_mask:0xf bank_mask:0xf
	v_mov_b32_dpp v36, v38 row_bcast:15 row_mask:0xf bank_mask:0xf
	;; [unrolled: 1-line block ×3, first 2 shown]
	v_cmp_ne_u32_e32 vcc, 0, v42
	s_and_saveexec_b64 s[30:31], vcc
; %bb.65:
	v_cmp_eq_u32_e32 vcc, 0, v40
	v_cndmask_b32_e32 v36, 0, v36, vcc
	v_add_u32_e32 v37, v37, v40
	v_cndmask_b32_e32 v40, 0, v41, vcc
	v_add_co_u32_e32 v38, vcc, v36, v38
	v_addc_co_u32_e32 v39, vcc, v40, v39, vcc
	v_mov_b32_e32 v40, v37
; %bb.66:
	s_or_b64 exec, exec, s[30:31]
	s_nop 0
	v_mov_b32_dpp v37, v40 row_bcast:31 row_mask:0xf bank_mask:0xf
	v_mov_b32_dpp v36, v38 row_bcast:31 row_mask:0xf bank_mask:0xf
	;; [unrolled: 1-line block ×3, first 2 shown]
	v_cmp_lt_u32_e32 vcc, 31, v45
	s_and_saveexec_b64 s[30:31], vcc
; %bb.67:
	v_cmp_eq_u32_e32 vcc, 0, v40
	v_cndmask_b32_e32 v36, 0, v36, vcc
	v_add_u32_e32 v37, v37, v40
	v_cndmask_b32_e32 v40, 0, v41, vcc
	v_add_co_u32_e32 v38, vcc, v36, v38
	v_addc_co_u32_e32 v39, vcc, v40, v39, vcc
	v_mov_b32_e32 v40, v37
; %bb.68:
	s_or_b64 exec, exec, s[30:31]
	v_lshrrev_b32_e32 v36, 6, v0
	v_or_b32_e32 v37, 63, v0
	v_cmp_eq_u32_e32 vcc, v0, v37
	v_lshlrev_b32_e32 v41, 4, v36
	s_and_saveexec_b64 s[30:31], vcc
	s_cbranch_execz .LBB1474_70
; %bb.69:
	ds_write_b32 v41, v40 offset:1056
	ds_write_b64 v41, v[38:39] offset:1064
.LBB1474_70:
	s_or_b64 exec, exec, s[30:31]
	v_cmp_gt_u32_e32 vcc, 4, v0
	s_waitcnt lgkmcnt(0)
	s_barrier
	s_and_saveexec_b64 s[30:31], vcc
	s_cbranch_execz .LBB1474_76
; %bb.71:
	v_lshlrev_b32_e32 v42, 4, v0
	ds_read_b32 v43, v42 offset:1056
	ds_read_b64 v[36:37], v42 offset:1064
	v_and_b32_e32 v44, 3, v45
	v_cmp_ne_u32_e32 vcc, 0, v44
	s_waitcnt lgkmcnt(1)
	v_mov_b32_dpp v47, v43 row_shr:1 row_mask:0xf bank_mask:0xf
	s_waitcnt lgkmcnt(0)
	v_mov_b32_dpp v46, v36 row_shr:1 row_mask:0xf bank_mask:0xf
	v_mov_b32_dpp v48, v37 row_shr:1 row_mask:0xf bank_mask:0xf
	s_and_saveexec_b64 s[36:37], vcc
; %bb.72:
	v_cmp_eq_u32_e32 vcc, 0, v43
	v_cndmask_b32_e32 v46, 0, v46, vcc
	v_add_u32_e32 v47, v47, v43
	v_cndmask_b32_e32 v43, 0, v48, vcc
	v_add_co_u32_e32 v36, vcc, v46, v36
	v_addc_co_u32_e32 v37, vcc, v43, v37, vcc
	v_mov_b32_e32 v43, v47
; %bb.73:
	s_or_b64 exec, exec, s[36:37]
	s_nop 0
	v_mov_b32_dpp v47, v43 row_shr:2 row_mask:0xf bank_mask:0xf
	v_mov_b32_dpp v46, v36 row_shr:2 row_mask:0xf bank_mask:0xf
	;; [unrolled: 1-line block ×3, first 2 shown]
	v_cmp_lt_u32_e32 vcc, 1, v44
	s_and_saveexec_b64 s[36:37], vcc
; %bb.74:
	v_cmp_eq_u32_e32 vcc, 0, v43
	v_cndmask_b32_e32 v46, 0, v46, vcc
	v_add_u32_e32 v44, v47, v43
	v_cndmask_b32_e32 v43, 0, v48, vcc
	v_add_co_u32_e32 v36, vcc, v46, v36
	v_addc_co_u32_e32 v37, vcc, v43, v37, vcc
	v_mov_b32_e32 v43, v44
; %bb.75:
	s_or_b64 exec, exec, s[36:37]
	ds_write_b32 v42, v43 offset:1056
	ds_write_b64 v42, v[36:37] offset:1064
.LBB1474_76:
	s_or_b64 exec, exec, s[30:31]
	v_mov_b32_e32 v36, 0
	v_cmp_gt_u32_e32 vcc, 64, v0
	v_cmp_lt_u32_e64 s[30:31], 63, v0
	v_mov_b32_e32 v37, 0
	v_mov_b32_e32 v48, 0
	s_waitcnt lgkmcnt(0)
	s_barrier
	s_and_saveexec_b64 s[36:37], s[30:31]
	s_cbranch_execz .LBB1474_78
; %bb.77:
	ds_read_b32 v48, v41 offset:1040
	ds_read_b64 v[36:37], v41 offset:1048
	v_cmp_eq_u32_e64 s[30:31], 0, v40
	s_waitcnt lgkmcnt(1)
	v_add_u32_e32 v41, v48, v40
	s_waitcnt lgkmcnt(0)
	v_cndmask_b32_e64 v42, 0, v36, s[30:31]
	v_cndmask_b32_e64 v40, 0, v37, s[30:31]
	v_add_co_u32_e64 v38, s[30:31], v42, v38
	v_addc_co_u32_e64 v39, s[30:31], v40, v39, s[30:31]
	v_mov_b32_e32 v40, v41
.LBB1474_78:
	s_or_b64 exec, exec, s[36:37]
	v_subrev_co_u32_e64 v41, s[30:31], 1, v45
	v_and_b32_e32 v42, 64, v45
	v_cmp_lt_i32_e64 s[36:37], v41, v42
	v_cndmask_b32_e64 v41, v41, v45, s[36:37]
	v_lshlrev_b32_e32 v41, 2, v41
	ds_bpermute_b32 v49, v41, v40
	ds_bpermute_b32 v50, v41, v38
	;; [unrolled: 1-line block ×3, first 2 shown]
	s_and_saveexec_b64 s[52:53], vcc
	s_cbranch_execz .LBB1474_122
; %bb.79:
	v_mov_b32_e32 v42, 0
	ds_read_b32 v52, v42 offset:1104
	ds_read_b64 v[38:39], v42 offset:1112
	s_and_saveexec_b64 s[36:37], s[30:31]
	s_cbranch_execz .LBB1474_81
; %bb.80:
	s_add_i32 s62, s6, 64
	s_mov_b32 s63, 0
	s_lshl_b64 s[64:65], s[62:63], 4
	s_add_u32 s64, s40, s64
	s_addc_u32 s65, s41, s65
	v_mov_b32_e32 v40, 1
	v_mov_b32_e32 v41, s62
	s_waitcnt lgkmcnt(1)
	global_store_dword v42, v52, s[64:65]
	s_waitcnt lgkmcnt(0)
	global_store_dwordx2 v42, v[38:39], s[64:65] offset:8
	s_waitcnt vmcnt(0)
	buffer_wbinvl1_vol
	global_store_byte v41, v40, s[44:45]
.LBB1474_81:
	s_or_b64 exec, exec, s[36:37]
	v_xad_u32 v40, v45, -1, s6
	v_add_u32_e32 v41, 64, v40
	global_load_ubyte v53, v41, s[44:45] glc
	s_waitcnt vmcnt(0)
	v_cmp_eq_u16_e32 vcc, 0, v53
	s_and_saveexec_b64 s[36:37], vcc
	s_cbranch_execz .LBB1474_85
; %bb.82:
	v_mov_b32_e32 v44, s45
	v_add_co_u32_e32 v43, vcc, s44, v41
	v_addc_co_u32_e32 v44, vcc, 0, v44, vcc
	s_mov_b64 s[62:63], 0
.LBB1474_83:                            ; =>This Inner Loop Header: Depth=1
	global_load_ubyte v53, v[43:44], off glc
	s_waitcnt vmcnt(0)
	v_cmp_ne_u16_e32 vcc, 0, v53
	s_or_b64 s[62:63], vcc, s[62:63]
	s_andn2_b64 exec, exec, s[62:63]
	s_cbranch_execnz .LBB1474_83
; %bb.84:
	s_or_b64 exec, exec, s[62:63]
.LBB1474_85:
	s_or_b64 exec, exec, s[36:37]
	v_mov_b32_e32 v43, s43
	v_mov_b32_e32 v44, s41
	v_cmp_eq_u16_e32 vcc, 1, v53
	v_cndmask_b32_e32 v43, v43, v44, vcc
	v_mov_b32_e32 v44, s42
	v_mov_b32_e32 v46, s40
	v_lshlrev_b64 v[41:42], 4, v[41:42]
	v_cndmask_b32_e32 v44, v44, v46, vcc
	v_add_co_u32_e32 v41, vcc, v44, v41
	v_addc_co_u32_e32 v42, vcc, v43, v42, vcc
	s_waitcnt lgkmcnt(0)
	buffer_wbinvl1_vol
	global_load_dword v68, v[41:42], off
	global_load_dwordx2 v[46:47], v[41:42], off offset:8
	v_and_b32_e32 v54, 63, v45
	v_lshlrev_b64 v[42:43], v45, -1
	v_cmp_ne_u32_e64 s[36:37], 63, v54
	v_cmp_eq_u16_e32 vcc, 2, v53
	v_addc_co_u32_e64 v41, s[36:37], 0, v45, s[36:37]
	v_and_b32_e32 v44, vcc_hi, v43
	v_lshlrev_b32_e32 v55, 2, v41
	v_or_b32_e32 v41, 0x80000000, v44
	v_and_b32_e32 v58, vcc_lo, v42
	v_ffbl_b32_e32 v41, v41
	v_add_u32_e32 v41, 32, v41
	v_ffbl_b32_e32 v58, v58
	v_min_u32_e32 v41, v58, v41
	v_cmp_lt_u32_e32 vcc, v54, v41
	s_waitcnt vmcnt(1)
	ds_bpermute_b32 v56, v55, v68
	s_waitcnt vmcnt(0)
	ds_bpermute_b32 v44, v55, v46
	ds_bpermute_b32 v57, v55, v47
	s_and_saveexec_b64 s[36:37], vcc
	s_cbranch_execz .LBB1474_87
; %bb.86:
	v_cmp_eq_u32_e32 vcc, 0, v68
	s_waitcnt lgkmcnt(1)
	v_cndmask_b32_e32 v44, 0, v44, vcc
	v_add_u32_e32 v56, v56, v68
	s_waitcnt lgkmcnt(0)
	v_cndmask_b32_e32 v57, 0, v57, vcc
	v_add_co_u32_e32 v46, vcc, v44, v46
	v_addc_co_u32_e32 v47, vcc, v57, v47, vcc
	v_mov_b32_e32 v68, v56
.LBB1474_87:
	s_or_b64 exec, exec, s[36:37]
	v_cmp_gt_u32_e32 vcc, 62, v54
	s_waitcnt lgkmcnt(1)
	v_cndmask_b32_e64 v44, 0, 2, vcc
	v_add_lshl_u32 v56, v44, v45, 2
	ds_bpermute_b32 v58, v56, v68
	ds_bpermute_b32 v44, v56, v46
	ds_bpermute_b32 v59, v56, v47
	s_waitcnt lgkmcnt(3)
	v_add_u32_e32 v57, 2, v54
	v_cmp_le_u32_e32 vcc, v57, v41
	s_and_saveexec_b64 s[36:37], vcc
	s_cbranch_execz .LBB1474_89
; %bb.88:
	v_cmp_eq_u32_e32 vcc, 0, v68
	s_waitcnt lgkmcnt(1)
	v_cndmask_b32_e32 v44, 0, v44, vcc
	v_add_u32_e32 v58, v58, v68
	s_waitcnt lgkmcnt(0)
	v_cndmask_b32_e32 v59, 0, v59, vcc
	v_add_co_u32_e32 v46, vcc, v44, v46
	v_addc_co_u32_e32 v47, vcc, v59, v47, vcc
	v_mov_b32_e32 v68, v58
.LBB1474_89:
	s_or_b64 exec, exec, s[36:37]
	v_cmp_gt_u32_e32 vcc, 60, v54
	s_waitcnt lgkmcnt(1)
	v_cndmask_b32_e64 v44, 0, 4, vcc
	v_add_lshl_u32 v58, v44, v45, 2
	ds_bpermute_b32 v60, v58, v68
	ds_bpermute_b32 v44, v58, v46
	ds_bpermute_b32 v61, v58, v47
	s_waitcnt lgkmcnt(3)
	v_add_u32_e32 v59, 4, v54
	v_cmp_le_u32_e32 vcc, v59, v41
	;; [unrolled: 24-line block ×4, first 2 shown]
	s_and_saveexec_b64 s[36:37], vcc
	s_cbranch_execz .LBB1474_95
; %bb.94:
	v_cmp_eq_u32_e32 vcc, 0, v68
	s_waitcnt lgkmcnt(1)
	v_cndmask_b32_e32 v44, 0, v44, vcc
	v_add_u32_e32 v64, v64, v68
	s_waitcnt lgkmcnt(0)
	v_cndmask_b32_e32 v65, 0, v65, vcc
	v_add_co_u32_e32 v46, vcc, v44, v46
	v_addc_co_u32_e32 v47, vcc, v65, v47, vcc
	v_mov_b32_e32 v68, v64
.LBB1474_95:
	s_or_b64 exec, exec, s[36:37]
	s_waitcnt lgkmcnt(1)
	v_mov_b32_e32 v44, 0x80
	s_waitcnt lgkmcnt(0)
	v_lshl_or_b32 v65, v45, 2, v44
	ds_bpermute_b32 v45, v65, v68
	ds_bpermute_b32 v44, v65, v46
	;; [unrolled: 1-line block ×3, first 2 shown]
	v_add_u32_e32 v66, 32, v54
	v_cmp_le_u32_e32 vcc, v66, v41
	s_and_saveexec_b64 s[36:37], vcc
	s_cbranch_execz .LBB1474_97
; %bb.96:
	v_cmp_eq_u32_e32 vcc, 0, v68
	s_waitcnt lgkmcnt(1)
	v_cndmask_b32_e32 v44, 0, v44, vcc
	v_add_u32_e32 v41, v45, v68
	s_waitcnt lgkmcnt(0)
	v_cndmask_b32_e32 v45, 0, v64, vcc
	v_add_co_u32_e32 v46, vcc, v44, v46
	v_addc_co_u32_e32 v47, vcc, v45, v47, vcc
	v_mov_b32_e32 v68, v41
.LBB1474_97:
	s_or_b64 exec, exec, s[36:37]
	v_mov_b32_e32 v41, 0
	v_mov_b32_e32 v67, 2
	s_branch .LBB1474_100
.LBB1474_98:                            ;   in Loop: Header=BB1474_100 Depth=1
	s_or_b64 exec, exec, s[36:37]
	v_cmp_eq_u32_e32 vcc, 0, v64
	v_cndmask_b32_e32 v46, 0, v46, vcc
	v_cndmask_b32_e32 v47, 0, v47, vcc
	v_add_co_u32_e32 v46, vcc, v46, v44
	v_subrev_u32_e32 v40, 64, v40
	v_add_u32_e32 v68, v69, v64
	v_addc_co_u32_e32 v47, vcc, v47, v45, vcc
	s_mov_b64 s[36:37], 0
.LBB1474_99:                            ;   in Loop: Header=BB1474_100 Depth=1
	s_and_b64 vcc, exec, s[36:37]
	s_cbranch_vccnz .LBB1474_118
.LBB1474_100:                           ; =>This Loop Header: Depth=1
                                        ;     Child Loop BB1474_103 Depth 2
	s_waitcnt lgkmcnt(1)
	v_mov_b32_e32 v44, v46
	v_cmp_ne_u16_sdwa s[36:37], v53, v67 src0_sel:BYTE_0 src1_sel:DWORD
	v_mov_b32_e32 v45, v47
	s_waitcnt lgkmcnt(0)
	v_mov_b32_e32 v64, v68
	s_cmp_lg_u64 s[36:37], exec
	s_mov_b64 s[36:37], -1
                                        ; implicit-def: $vgpr46_vgpr47
                                        ; implicit-def: $vgpr68
                                        ; implicit-def: $vgpr53
	s_cbranch_scc1 .LBB1474_99
; %bb.101:                              ;   in Loop: Header=BB1474_100 Depth=1
	global_load_ubyte v53, v40, s[44:45] glc
	s_waitcnt vmcnt(0)
	v_cmp_eq_u16_e32 vcc, 0, v53
	s_and_saveexec_b64 s[36:37], vcc
	s_cbranch_execz .LBB1474_105
; %bb.102:                              ;   in Loop: Header=BB1474_100 Depth=1
	v_mov_b32_e32 v47, s45
	v_add_co_u32_e32 v46, vcc, s44, v40
	v_addc_co_u32_e32 v47, vcc, 0, v47, vcc
	s_mov_b64 s[62:63], 0
.LBB1474_103:                           ;   Parent Loop BB1474_100 Depth=1
                                        ; =>  This Inner Loop Header: Depth=2
	global_load_ubyte v53, v[46:47], off glc
	s_waitcnt vmcnt(0)
	v_cmp_ne_u16_e32 vcc, 0, v53
	s_or_b64 s[62:63], vcc, s[62:63]
	s_andn2_b64 exec, exec, s[62:63]
	s_cbranch_execnz .LBB1474_103
; %bb.104:                              ;   in Loop: Header=BB1474_100 Depth=1
	s_or_b64 exec, exec, s[62:63]
.LBB1474_105:                           ;   in Loop: Header=BB1474_100 Depth=1
	s_or_b64 exec, exec, s[36:37]
	v_mov_b32_e32 v46, s43
	v_mov_b32_e32 v47, s41
	v_cmp_eq_u16_e32 vcc, 1, v53
	v_cndmask_b32_e32 v68, v46, v47, vcc
	v_mov_b32_e32 v46, s42
	v_mov_b32_e32 v47, s40
	v_cndmask_b32_e32 v69, v46, v47, vcc
	v_lshlrev_b64 v[46:47], 4, v[40:41]
	buffer_wbinvl1_vol
	v_add_co_u32_e32 v46, vcc, v69, v46
	v_addc_co_u32_e32 v47, vcc, v68, v47, vcc
	global_load_dword v69, v[46:47], off
	s_nop 0
	global_load_dwordx2 v[46:47], v[46:47], off offset:8
	v_cmp_eq_u16_e32 vcc, 2, v53
	v_and_b32_e32 v68, vcc_hi, v43
	v_or_b32_e32 v68, 0x80000000, v68
	v_and_b32_e32 v100, vcc_lo, v42
	v_ffbl_b32_e32 v68, v68
	v_add_u32_e32 v68, 32, v68
	v_ffbl_b32_e32 v100, v100
	v_min_u32_e32 v68, v100, v68
	v_cmp_lt_u32_e32 vcc, v54, v68
	s_waitcnt vmcnt(1)
	ds_bpermute_b32 v73, v55, v69
	s_waitcnt vmcnt(0)
	ds_bpermute_b32 v72, v55, v46
	ds_bpermute_b32 v99, v55, v47
	s_and_saveexec_b64 s[36:37], vcc
	s_cbranch_execz .LBB1474_107
; %bb.106:                              ;   in Loop: Header=BB1474_100 Depth=1
	v_cmp_eq_u32_e32 vcc, 0, v69
	s_waitcnt lgkmcnt(1)
	v_cndmask_b32_e32 v72, 0, v72, vcc
	v_add_u32_e32 v73, v73, v69
	s_waitcnt lgkmcnt(0)
	v_cndmask_b32_e32 v69, 0, v99, vcc
	v_add_co_u32_e32 v46, vcc, v72, v46
	v_addc_co_u32_e32 v47, vcc, v69, v47, vcc
	v_mov_b32_e32 v69, v73
.LBB1474_107:                           ;   in Loop: Header=BB1474_100 Depth=1
	s_or_b64 exec, exec, s[36:37]
	s_waitcnt lgkmcnt(2)
	ds_bpermute_b32 v73, v56, v69
	s_waitcnt lgkmcnt(2)
	ds_bpermute_b32 v72, v56, v46
	s_waitcnt lgkmcnt(2)
	ds_bpermute_b32 v99, v56, v47
	v_cmp_le_u32_e32 vcc, v57, v68
	s_and_saveexec_b64 s[36:37], vcc
	s_cbranch_execz .LBB1474_109
; %bb.108:                              ;   in Loop: Header=BB1474_100 Depth=1
	v_cmp_eq_u32_e32 vcc, 0, v69
	s_waitcnt lgkmcnt(1)
	v_cndmask_b32_e32 v72, 0, v72, vcc
	v_add_u32_e32 v73, v73, v69
	s_waitcnt lgkmcnt(0)
	v_cndmask_b32_e32 v69, 0, v99, vcc
	v_add_co_u32_e32 v46, vcc, v72, v46
	v_addc_co_u32_e32 v47, vcc, v69, v47, vcc
	v_mov_b32_e32 v69, v73
.LBB1474_109:                           ;   in Loop: Header=BB1474_100 Depth=1
	s_or_b64 exec, exec, s[36:37]
	s_waitcnt lgkmcnt(2)
	ds_bpermute_b32 v73, v58, v69
	s_waitcnt lgkmcnt(2)
	ds_bpermute_b32 v72, v58, v46
	s_waitcnt lgkmcnt(2)
	ds_bpermute_b32 v99, v58, v47
	v_cmp_le_u32_e32 vcc, v59, v68
	;; [unrolled: 21-line block ×5, first 2 shown]
	s_and_saveexec_b64 s[36:37], vcc
	s_cbranch_execz .LBB1474_98
; %bb.116:                              ;   in Loop: Header=BB1474_100 Depth=1
	v_cmp_eq_u32_e32 vcc, 0, v69
	s_waitcnt lgkmcnt(1)
	v_cndmask_b32_e32 v72, 0, v72, vcc
	v_add_u32_e32 v68, v73, v69
	s_waitcnt lgkmcnt(0)
	v_cndmask_b32_e32 v69, 0, v99, vcc
	v_add_co_u32_e32 v46, vcc, v72, v46
	v_addc_co_u32_e32 v47, vcc, v69, v47, vcc
	v_mov_b32_e32 v69, v68
	s_branch .LBB1474_98
.LBB1474_117:
                                        ; implicit-def: $vgpr36
                                        ; implicit-def: $vgpr38_vgpr39
                                        ; implicit-def: $vgpr40
                                        ; implicit-def: $vgpr66_vgpr67
                                        ; implicit-def: $vgpr42_vgpr43
                                        ; implicit-def: $vgpr44_vgpr45
                                        ; implicit-def: $vgpr46_vgpr47
                                        ; implicit-def: $vgpr48_vgpr49
                                        ; implicit-def: $vgpr50_vgpr51
                                        ; implicit-def: $vgpr52_vgpr53
                                        ; implicit-def: $vgpr54_vgpr55
                                        ; implicit-def: $vgpr56_vgpr57
                                        ; implicit-def: $vgpr58_vgpr59
                                        ; implicit-def: $vgpr60_vgpr61
                                        ; implicit-def: $vgpr62_vgpr63
                                        ; implicit-def: $vgpr64_vgpr65
                                        ; implicit-def: $vgpr68_vgpr69
                                        ; implicit-def: $vgpr72_vgpr73
                                        ; implicit-def: $vgpr37
	s_cbranch_execnz .LBB1474_123
	s_branch .LBB1474_150
.LBB1474_118:
	s_and_saveexec_b64 s[36:37], s[30:31]
	s_cbranch_execz .LBB1474_120
; %bb.119:
	s_mov_b32 s7, 0
	v_cmp_eq_u32_e32 vcc, 0, v52
	s_add_i32 s6, s6, 64
	v_cndmask_b32_e32 v40, 0, v44, vcc
	s_lshl_b64 s[40:41], s[6:7], 4
	v_cndmask_b32_e32 v41, 0, v45, vcc
	v_add_co_u32_e32 v40, vcc, v40, v38
	s_add_u32 s40, s42, s40
	v_add_u32_e32 v42, v64, v52
	v_addc_co_u32_e32 v41, vcc, v41, v39, vcc
	s_addc_u32 s41, s43, s41
	v_mov_b32_e32 v43, 0
	global_store_dword v43, v42, s[40:41]
	global_store_dwordx2 v43, v[40:41], s[40:41] offset:8
	v_mov_b32_e32 v40, 2
	v_mov_b32_e32 v41, s6
	s_waitcnt vmcnt(0) lgkmcnt(0)
	buffer_wbinvl1_vol
	global_store_byte v41, v40, s[44:45]
	ds_write_b32 v43, v52 offset:1024
	ds_write_b64 v43, v[38:39] offset:1032
	ds_write_b32 v43, v64 offset:1040
	ds_write_b64 v43, v[44:45] offset:1048
.LBB1474_120:
	s_or_b64 exec, exec, s[36:37]
	v_cmp_eq_u32_e32 vcc, 0, v0
	s_and_b64 exec, exec, vcc
	s_cbranch_execz .LBB1474_122
; %bb.121:
	v_mov_b32_e32 v38, 0
	ds_write_b32 v38, v64 offset:1104
	ds_write_b64 v38, v[44:45] offset:1112
.LBB1474_122:
	s_or_b64 exec, exec, s[52:53]
	v_mov_b32_e32 v41, 0
	s_waitcnt vmcnt(0) lgkmcnt(0)
	s_barrier
	ds_read_b32 v40, v41 offset:1104
	ds_read_b64 v[38:39], v41 offset:1112
	v_cndmask_b32_e64 v42, v49, v48, s[30:31]
	v_cmp_eq_u32_e32 vcc, 0, v42
	v_cndmask_b32_e64 v36, v50, v36, s[30:31]
	v_cndmask_b32_e64 v37, v51, v37, s[30:31]
	s_waitcnt lgkmcnt(0)
	v_cndmask_b32_e32 v44, 0, v38, vcc
	v_cndmask_b32_e32 v43, 0, v39, vcc
	v_add_co_u32_e32 v36, vcc, v44, v36
	v_addc_co_u32_e32 v43, vcc, v43, v37, vcc
	v_cmp_eq_u32_e32 vcc, 0, v0
	v_cndmask_b32_e64 v37, v42, 0, vcc
	v_cndmask_b32_e32 v67, v43, v39, vcc
	v_cndmask_b32_e32 v66, v36, v38, vcc
	v_cmp_eq_u32_e32 vcc, 0, v82
	v_cndmask_b32_e32 v38, 0, v66, vcc
	v_cndmask_b32_e32 v36, 0, v67, vcc
	v_add_co_u32_e32 v42, vcc, v38, v29
	v_addc_co_u32_e32 v43, vcc, v36, v30, vcc
	v_cndmask_b32_e64 v38, 0, v42, s[28:29]
	v_cndmask_b32_e64 v36, 0, v43, s[28:29]
	v_add_co_u32_e32 v44, vcc, v38, v31
	v_addc_co_u32_e32 v45, vcc, v36, v32, vcc
	v_cndmask_b32_e64 v38, 0, v44, s[26:27]
	v_cndmask_b32_e64 v36, 0, v45, s[26:27]
	;; [unrolled: 4-line block ×11, first 2 shown]
	v_add_co_u32_e32 v64, vcc, v38, v11
	v_add_u32_e32 v37, v40, v37
	v_addc_co_u32_e32 v65, vcc, v36, v12, vcc
	s_barrier
	ds_read_b32 v36, v41 offset:1024
	ds_read_b64 v[38:39], v41 offset:1032
	ds_read_b32 v40, v41 offset:1040
	ds_read_b64 v[99:100], v41 offset:1048
	v_cndmask_b32_e64 v68, 0, v64, s[34:35]
	v_cndmask_b32_e64 v69, 0, v65, s[34:35]
	v_add_co_u32_e32 v68, vcc, v68, v1
	v_addc_co_u32_e32 v69, vcc, v69, v2, vcc
	s_waitcnt lgkmcnt(3)
	v_cmp_eq_u32_e32 vcc, 0, v36
	s_waitcnt lgkmcnt(0)
	v_cndmask_b32_e32 v99, 0, v99, vcc
	v_cndmask_b32_e32 v41, 0, v100, vcc
	v_add_co_u32_e32 v38, vcc, v99, v38
	v_cndmask_b32_e64 v73, 0, v69, s[4:5]
	v_cndmask_b32_e64 v72, 0, v68, s[4:5]
	v_addc_co_u32_e32 v39, vcc, v41, v39, vcc
	s_branch .LBB1474_150
.LBB1474_123:
	s_cmp_eq_u64 s[60:61], 0
	s_cselect_b64 s[4:5], -1, 0
	s_or_b64 s[4:5], s[46:47], s[4:5]
	v_mov_b32_e32 v41, v30
	s_and_b64 vcc, exec, s[4:5]
	v_mov_b32_e32 v40, v29
	s_cbranch_vccnz .LBB1474_125
; %bb.124:
	v_mov_b32_e32 v36, 0
	global_load_dwordx2 v[40:41], v36, s[60:61]
.LBB1474_125:
	v_cmp_eq_u32_e64 s[26:27], 0, v95
	v_cndmask_b32_e64 v37, 0, v29, s[26:27]
	v_cndmask_b32_e64 v36, 0, v30, s[26:27]
	v_add_co_u32_e32 v37, vcc, v37, v31
	v_cmp_eq_u32_e64 s[24:25], 0, v94
	v_addc_co_u32_e32 v36, vcc, v36, v32, vcc
	v_cndmask_b32_e64 v37, 0, v37, s[24:25]
	v_cndmask_b32_e64 v36, 0, v36, s[24:25]
	v_add_co_u32_e32 v37, vcc, v37, v25
	v_cmp_eq_u32_e64 s[22:23], 0, v93
	v_addc_co_u32_e32 v36, vcc, v36, v26, vcc
	;; [unrolled: 5-line block ×11, first 2 shown]
	v_cndmask_b32_e64 v37, 0, v37, s[6:7]
	v_cndmask_b32_e64 v36, 0, v36, s[6:7]
	v_add_co_u32_e32 v37, vcc, v37, v1
	v_addc_co_u32_e32 v36, vcc, v36, v2, vcc
	v_cmp_eq_u32_e32 vcc, 0, v92
	v_add3_u32 v38, v98, v84, v85
	v_cndmask_b32_e32 v37, 0, v37, vcc
	v_add3_u32 v38, v38, v86, v87
	v_cndmask_b32_e32 v36, 0, v36, vcc
	v_add_co_u32_e64 v37, s[28:29], v37, v3
	v_add3_u32 v38, v38, v88, v89
	v_addc_co_u32_e64 v36, s[28:29], v36, v4, s[28:29]
	v_add3_u32 v38, v38, v90, v91
	v_cmp_eq_u32_e64 s[28:29], 0, v96
	v_add3_u32 v43, v38, v92, v96
	v_cndmask_b32_e64 v38, 0, v36, s[28:29]
	v_cndmask_b32_e64 v36, 0, v37, s[28:29]
	v_add_co_u32_e64 v36, s[28:29], v36, v70
	v_mbcnt_hi_u32_b32 v42, -1, v97
	v_addc_co_u32_e64 v37, s[28:29], v38, v71, s[28:29]
	v_and_b32_e32 v38, 15, v42
	v_mov_b32_dpp v44, v43 row_shr:1 row_mask:0xf bank_mask:0xf
	v_mov_b32_dpp v39, v36 row_shr:1 row_mask:0xf bank_mask:0xf
	;; [unrolled: 1-line block ×3, first 2 shown]
	v_cmp_ne_u32_e64 s[28:29], 0, v38
	s_and_saveexec_b64 s[30:31], s[28:29]
; %bb.126:
	v_cmp_eq_u32_e64 s[28:29], 0, v43
	v_cndmask_b32_e64 v39, 0, v39, s[28:29]
	v_add_u32_e32 v44, v44, v43
	v_cndmask_b32_e64 v43, 0, v45, s[28:29]
	v_add_co_u32_e64 v36, s[28:29], v39, v36
	v_addc_co_u32_e64 v37, s[28:29], v43, v37, s[28:29]
	v_mov_b32_e32 v43, v44
; %bb.127:
	s_or_b64 exec, exec, s[30:31]
	s_nop 0
	v_mov_b32_dpp v44, v43 row_shr:2 row_mask:0xf bank_mask:0xf
	v_mov_b32_dpp v39, v36 row_shr:2 row_mask:0xf bank_mask:0xf
	v_mov_b32_dpp v45, v37 row_shr:2 row_mask:0xf bank_mask:0xf
	v_cmp_lt_u32_e64 s[28:29], 1, v38
	s_and_saveexec_b64 s[30:31], s[28:29]
; %bb.128:
	v_cmp_eq_u32_e64 s[28:29], 0, v43
	v_cndmask_b32_e64 v39, 0, v39, s[28:29]
	v_add_u32_e32 v44, v44, v43
	v_cndmask_b32_e64 v43, 0, v45, s[28:29]
	v_add_co_u32_e64 v36, s[28:29], v39, v36
	v_addc_co_u32_e64 v37, s[28:29], v43, v37, s[28:29]
	v_mov_b32_e32 v43, v44
; %bb.129:
	s_or_b64 exec, exec, s[30:31]
	s_nop 0
	v_mov_b32_dpp v44, v43 row_shr:4 row_mask:0xf bank_mask:0xf
	v_mov_b32_dpp v39, v36 row_shr:4 row_mask:0xf bank_mask:0xf
	v_mov_b32_dpp v45, v37 row_shr:4 row_mask:0xf bank_mask:0xf
	v_cmp_lt_u32_e64 s[28:29], 3, v38
	;; [unrolled: 16-line block ×3, first 2 shown]
	s_and_saveexec_b64 s[30:31], s[28:29]
; %bb.132:
	v_cmp_eq_u32_e64 s[28:29], 0, v43
	v_cndmask_b32_e64 v39, 0, v39, s[28:29]
	v_add_u32_e32 v38, v44, v43
	v_cndmask_b32_e64 v43, 0, v45, s[28:29]
	v_add_co_u32_e64 v36, s[28:29], v39, v36
	v_addc_co_u32_e64 v37, s[28:29], v43, v37, s[28:29]
	v_mov_b32_e32 v43, v38
; %bb.133:
	s_or_b64 exec, exec, s[30:31]
	v_and_b32_e32 v45, 16, v42
	v_mov_b32_dpp v39, v43 row_bcast:15 row_mask:0xf bank_mask:0xf
	v_mov_b32_dpp v38, v36 row_bcast:15 row_mask:0xf bank_mask:0xf
	v_mov_b32_dpp v44, v37 row_bcast:15 row_mask:0xf bank_mask:0xf
	v_cmp_ne_u32_e64 s[28:29], 0, v45
	s_and_saveexec_b64 s[30:31], s[28:29]
; %bb.134:
	v_cmp_eq_u32_e64 s[28:29], 0, v43
	v_cndmask_b32_e64 v38, 0, v38, s[28:29]
	v_add_u32_e32 v39, v39, v43
	v_cndmask_b32_e64 v43, 0, v44, s[28:29]
	v_add_co_u32_e64 v36, s[28:29], v38, v36
	v_addc_co_u32_e64 v37, s[28:29], v43, v37, s[28:29]
	v_mov_b32_e32 v43, v39
; %bb.135:
	s_or_b64 exec, exec, s[30:31]
	s_nop 0
	v_mov_b32_dpp v39, v43 row_bcast:31 row_mask:0xf bank_mask:0xf
	v_mov_b32_dpp v38, v36 row_bcast:31 row_mask:0xf bank_mask:0xf
	;; [unrolled: 1-line block ×3, first 2 shown]
	v_cmp_lt_u32_e64 s[28:29], 31, v42
	s_and_saveexec_b64 s[30:31], s[28:29]
; %bb.136:
	v_cmp_eq_u32_e64 s[28:29], 0, v43
	v_cndmask_b32_e64 v38, 0, v38, s[28:29]
	v_add_u32_e32 v39, v39, v43
	v_cndmask_b32_e64 v43, 0, v44, s[28:29]
	v_add_co_u32_e64 v36, s[28:29], v38, v36
	v_addc_co_u32_e64 v37, s[28:29], v43, v37, s[28:29]
	v_mov_b32_e32 v43, v39
; %bb.137:
	s_or_b64 exec, exec, s[30:31]
	v_lshrrev_b32_e32 v38, 6, v0
	v_or_b32_e32 v39, 63, v0
	v_cmp_eq_u32_e64 s[28:29], v0, v39
	v_lshlrev_b32_e32 v44, 4, v38
	s_and_saveexec_b64 s[30:31], s[28:29]
	s_cbranch_execz .LBB1474_139
; %bb.138:
	ds_write_b32 v44, v43 offset:1056
	ds_write_b64 v44, v[36:37] offset:1064
.LBB1474_139:
	s_or_b64 exec, exec, s[30:31]
	v_cmp_gt_u32_e64 s[28:29], 4, v0
	s_waitcnt vmcnt(0) lgkmcnt(0)
	s_barrier
	s_and_saveexec_b64 s[30:31], s[28:29]
	s_cbranch_execz .LBB1474_145
; %bb.140:
	v_lshlrev_b32_e32 v45, 4, v0
	ds_read_b32 v46, v45 offset:1056
	ds_read_b64 v[38:39], v45 offset:1064
	v_and_b32_e32 v47, 3, v42
	v_cmp_ne_u32_e64 s[28:29], 0, v47
	s_waitcnt lgkmcnt(1)
	v_mov_b32_dpp v49, v46 row_shr:1 row_mask:0xf bank_mask:0xf
	s_waitcnt lgkmcnt(0)
	v_mov_b32_dpp v48, v38 row_shr:1 row_mask:0xf bank_mask:0xf
	v_mov_b32_dpp v50, v39 row_shr:1 row_mask:0xf bank_mask:0xf
	s_and_saveexec_b64 s[34:35], s[28:29]
; %bb.141:
	v_cmp_eq_u32_e64 s[28:29], 0, v46
	v_cndmask_b32_e64 v48, 0, v48, s[28:29]
	v_add_u32_e32 v49, v49, v46
	v_cndmask_b32_e64 v46, 0, v50, s[28:29]
	v_add_co_u32_e64 v38, s[28:29], v48, v38
	v_addc_co_u32_e64 v39, s[28:29], v46, v39, s[28:29]
	v_mov_b32_e32 v46, v49
; %bb.142:
	s_or_b64 exec, exec, s[34:35]
	s_nop 0
	v_mov_b32_dpp v49, v46 row_shr:2 row_mask:0xf bank_mask:0xf
	v_mov_b32_dpp v48, v38 row_shr:2 row_mask:0xf bank_mask:0xf
	;; [unrolled: 1-line block ×3, first 2 shown]
	v_cmp_lt_u32_e64 s[28:29], 1, v47
	s_and_saveexec_b64 s[34:35], s[28:29]
; %bb.143:
	v_cmp_eq_u32_e64 s[28:29], 0, v46
	v_cndmask_b32_e64 v48, 0, v48, s[28:29]
	v_add_u32_e32 v47, v49, v46
	v_cndmask_b32_e64 v46, 0, v50, s[28:29]
	v_add_co_u32_e64 v38, s[28:29], v48, v38
	v_addc_co_u32_e64 v39, s[28:29], v46, v39, s[28:29]
	v_mov_b32_e32 v46, v47
; %bb.144:
	s_or_b64 exec, exec, s[34:35]
	ds_write_b32 v45, v46 offset:1056
	ds_write_b64 v45, v[38:39] offset:1064
.LBB1474_145:
	s_or_b64 exec, exec, s[30:31]
	v_mov_b32_e32 v38, v40
	v_cmp_lt_u32_e64 s[28:29], 63, v0
	v_mov_b32_e32 v70, 0
	v_mov_b32_e32 v45, 0
	;; [unrolled: 1-line block ×3, first 2 shown]
	s_waitcnt lgkmcnt(0)
	s_barrier
	s_and_saveexec_b64 s[30:31], s[28:29]
	s_cbranch_execz .LBB1474_147
; %bb.146:
	ds_read_b32 v45, v44 offset:1040
	ds_read_b64 v[38:39], v44 offset:1048
	s_waitcnt lgkmcnt(1)
	v_cmp_eq_u32_e64 s[28:29], 0, v45
	v_cndmask_b32_e64 v46, 0, v40, s[28:29]
	v_cndmask_b32_e64 v44, 0, v41, s[28:29]
	s_waitcnt lgkmcnt(0)
	v_add_co_u32_e64 v38, s[28:29], v46, v38
	v_addc_co_u32_e64 v39, s[28:29], v44, v39, s[28:29]
.LBB1474_147:
	s_or_b64 exec, exec, s[30:31]
	v_cmp_eq_u32_e64 s[28:29], 0, v43
	v_cndmask_b32_e64 v46, 0, v38, s[28:29]
	v_add_u32_e32 v44, v45, v43
	v_cndmask_b32_e64 v43, 0, v39, s[28:29]
	v_add_co_u32_e64 v36, s[28:29], v46, v36
	v_addc_co_u32_e64 v37, s[28:29], v43, v37, s[28:29]
	v_subrev_co_u32_e64 v43, s[28:29], 1, v42
	v_and_b32_e32 v46, 64, v42
	v_cmp_lt_i32_e64 s[30:31], v43, v46
	v_cndmask_b32_e64 v42, v43, v42, s[30:31]
	v_lshlrev_b32_e32 v42, 2, v42
	ds_bpermute_b32 v43, v42, v44
	ds_bpermute_b32 v44, v42, v37
	;; [unrolled: 1-line block ×3, first 2 shown]
	v_cmp_eq_u32_e64 s[30:31], 0, v82
	s_waitcnt lgkmcnt(2)
	v_cndmask_b32_e64 v37, v43, v45, s[28:29]
	s_waitcnt lgkmcnt(1)
	v_cndmask_b32_e64 v67, v44, v39, s[28:29]
	;; [unrolled: 2-line block ×3, first 2 shown]
	v_cmp_eq_u32_e64 s[28:29], 0, v0
	v_cndmask_b32_e64 v36, v66, v40, s[28:29]
	v_cndmask_b32_e64 v38, v67, v41, s[28:29]
	v_cndmask_b32_e64 v36, 0, v36, s[30:31]
	v_cndmask_b32_e64 v38, 0, v38, s[30:31]
	v_add_co_u32_e64 v42, s[30:31], v36, v29
	v_addc_co_u32_e64 v43, s[30:31], v38, v30, s[30:31]
	v_cndmask_b32_e64 v30, 0, v42, s[26:27]
	v_cndmask_b32_e64 v29, 0, v43, s[26:27]
	v_add_co_u32_e64 v44, s[26:27], v30, v31
	v_addc_co_u32_e64 v45, s[26:27], v29, v32, s[26:27]
	v_cndmask_b32_e64 v30, 0, v44, s[24:25]
	v_cndmask_b32_e64 v29, 0, v45, s[24:25]
	;; [unrolled: 4-line block ×11, first 2 shown]
	v_add_co_u32_e64 v64, s[4:5], v10, v11
	v_addc_co_u32_e64 v65, s[4:5], v9, v12, s[4:5]
	v_cndmask_b32_e64 v10, 0, v64, s[6:7]
	ds_read_b32 v36, v70 offset:1104
	v_cndmask_b32_e64 v9, 0, v65, s[6:7]
	v_add_co_u32_e64 v68, s[4:5], v10, v1
	v_addc_co_u32_e64 v69, s[4:5], v9, v2, s[4:5]
	ds_read_b64 v[1:2], v70 offset:1112
	v_cndmask_b32_e32 v73, 0, v69, vcc
	v_cndmask_b32_e32 v72, 0, v68, vcc
	s_waitcnt lgkmcnt(1)
	v_cmp_eq_u32_e32 vcc, 0, v36
	v_cndmask_b32_e32 v10, 0, v40, vcc
	v_cndmask_b32_e32 v9, 0, v41, vcc
	s_waitcnt lgkmcnt(0)
	v_add_co_u32_e32 v38, vcc, v10, v1
	v_addc_co_u32_e32 v39, vcc, v9, v2, vcc
	s_and_saveexec_b64 s[4:5], s[28:29]
	s_cbranch_execz .LBB1474_149
; %bb.148:
	v_mov_b32_e32 v67, v41
	v_mov_b32_e32 v37, 0
	;; [unrolled: 1-line block ×4, first 2 shown]
	global_store_dword v37, v36, s[42:43] offset:1024
	global_store_dwordx2 v37, v[38:39], s[42:43] offset:1032
	s_waitcnt vmcnt(0)
	buffer_wbinvl1_vol
	global_store_byte v37, v1, s[44:45] offset:64
.LBB1474_149:
	s_or_b64 exec, exec, s[4:5]
	v_mov_b32_e32 v40, 0
.LBB1474_150:
	s_cmp_eq_u64 s[54:55], 0
	s_cselect_b64 s[4:5], -1, 0
	s_or_b64 s[4:5], s[46:47], s[4:5]
	v_mov_b32_e32 v9, 0
	s_and_b64 vcc, exec, s[4:5]
	v_mov_b32_e32 v10, 0
	s_waitcnt vmcnt(0)
	s_barrier
	s_cbranch_vccnz .LBB1474_152
; %bb.151:
	v_mov_b32_e32 v1, 0
	global_load_dwordx2 v[9:10], v1, s[54:55]
.LBB1474_152:
	buffer_load_dword v27, off, s[0:3], 0
	buffer_load_dword v28, off, s[0:3], 0 offset:4
	buffer_load_dword v29, off, s[0:3], 0 offset:8
	;; [unrolled: 1-line block ×13, first 2 shown]
	v_add_u32_e32 v24, v37, v82
	buffer_load_dword v82, off, s[0:3], 0 offset:56
	s_waitcnt vmcnt(15)
	v_lshlrev_b64 v[1:2], 1, v[9:10]
	v_mov_b32_e32 v41, 0
	v_mov_b32_e32 v13, s57
	v_lshlrev_b64 v[11:12], 1, v[40:41]
	v_add_co_u32_e32 v1, vcc, s56, v1
	v_addc_co_u32_e32 v2, vcc, v13, v2, vcc
	v_add_co_u32_e32 v25, vcc, v1, v11
	v_addc_co_u32_e32 v26, vcc, v2, v12, vcc
	v_add_u32_e32 v23, v24, v95
	v_add_u32_e32 v22, v23, v94
	;; [unrolled: 1-line block ×11, first 2 shown]
	s_movk_i32 s36, 0x100
	v_add_u32_e32 v12, v13, v91
	v_add_u32_e32 v11, v12, v92
	s_mov_b64 s[40:41], -1
	s_waitcnt vmcnt(14)
	v_cmp_eq_u32_e32 vcc, 0, v27
	v_cndmask_b32_e64 v1, 1, 2, vcc
	s_waitcnt vmcnt(13)
	v_cmp_eq_u32_e32 vcc, 0, v28
	v_cndmask_b32_e64 v2, 1, 2, vcc
	s_waitcnt vmcnt(12)
	v_cmp_eq_u32_e32 vcc, 0, v29
	v_cmp_ne_u32_e64 s[34:35], 0, v27
	v_cndmask_b32_e64 v27, 1, 2, vcc
	s_waitcnt vmcnt(11)
	v_cmp_eq_u32_e32 vcc, 0, v30
	v_and_b32_e32 v1, v2, v1
	v_cmp_ne_u32_e64 s[30:31], 0, v28
	v_cndmask_b32_e64 v28, 1, 2, vcc
	s_waitcnt vmcnt(10)
	v_cmp_eq_u32_e32 vcc, 0, v31
	v_and_b32_e32 v1, v1, v27
	;; [unrolled: 5-line block ×8, first 2 shown]
	v_cndmask_b32_e64 v83, 1, 2, vcc
	s_waitcnt vmcnt(3)
	v_cmp_eq_u32_e32 vcc, 0, v99
	v_and_b32_e32 v1, v1, v71
	v_cndmask_b32_e64 v84, 1, 2, vcc
	s_waitcnt vmcnt(2)
	v_cmp_eq_u32_e32 vcc, 0, v100
	v_and_b32_e32 v1, v1, v83
	v_cndmask_b32_e64 v85, 1, 2, vcc
	v_and_b32_e32 v1, v1, v84
	s_waitcnt vmcnt(1)
	v_cmp_eq_u32_e32 vcc, 0, v101
	v_and_b32_e32 v1, v1, v85
	v_cndmask_b32_e64 v2, 1, 2, vcc
	s_waitcnt vmcnt(0)
	v_cmp_eq_u32_e32 vcc, 0, v82
	v_and_b32_e32 v1, v1, v2
	v_cndmask_b32_e64 v2, 1, 2, vcc
	v_and_b32_e32 v1, v1, v2
	v_cmp_gt_u32_e32 vcc, s36, v36
	v_cmp_ne_u32_e64 s[16:17], 0, v96
	v_cmp_ne_u32_e64 s[14:15], 0, v97
	;; [unrolled: 1-line block ×7, first 2 shown]
	v_cmp_gt_i16_e64 s[36:37], 2, v1
	s_cbranch_vccz .LBB1474_159
; %bb.153:
	s_and_saveexec_b64 s[40:41], s[36:37]
	s_cbranch_execz .LBB1474_158
; %bb.154:
	v_cmp_ne_u16_e32 vcc, 1, v1
	s_mov_b64 s[42:43], 0
	s_and_saveexec_b64 s[36:37], vcc
	s_xor_b64 s[36:37], exec, s[36:37]
	s_cbranch_execnz .LBB1474_206
; %bb.155:
	s_andn2_saveexec_b64 s[36:37], s[36:37]
	s_cbranch_execnz .LBB1474_222
.LBB1474_156:
	s_or_b64 exec, exec, s[36:37]
	s_and_b64 exec, exec, s[42:43]
	s_cbranch_execz .LBB1474_158
.LBB1474_157:
	v_sub_u32_e32 v27, v11, v40
	v_mov_b32_e32 v28, 0
	v_lshlrev_b64 v[27:28], 1, v[27:28]
	v_add_co_u32_e32 v27, vcc, v25, v27
	v_addc_co_u32_e32 v28, vcc, v26, v28, vcc
	global_store_short v[27:28], v74, off
.LBB1474_158:
	s_or_b64 exec, exec, s[40:41]
	s_mov_b64 s[40:41], 0
.LBB1474_159:
	s_and_b64 vcc, exec, s[40:41]
	s_cbranch_vccz .LBB1474_181
; %bb.160:
	v_cmp_gt_i16_e32 vcc, 2, v1
	s_and_saveexec_b64 s[36:37], vcc
	s_cbranch_execz .LBB1474_165
; %bb.161:
	v_cmp_ne_u16_e32 vcc, 1, v1
	s_mov_b64 s[42:43], 0
	s_and_saveexec_b64 s[40:41], vcc
	s_xor_b64 s[40:41], exec, s[40:41]
	s_cbranch_execnz .LBB1474_223
; %bb.162:
	s_andn2_saveexec_b64 s[4:5], s[40:41]
	s_cbranch_execnz .LBB1474_239
.LBB1474_163:
	s_or_b64 exec, exec, s[4:5]
	s_and_b64 exec, exec, s[42:43]
.LBB1474_164:
	v_sub_u32_e32 v1, v11, v40
	v_lshlrev_b32_e32 v1, 1, v1
	ds_write_b16 v1, v74
.LBB1474_165:
	s_or_b64 exec, exec, s[36:37]
	v_cmp_lt_u32_e32 vcc, v0, v36
	s_waitcnt vmcnt(0) lgkmcnt(0)
	s_barrier
	s_and_saveexec_b64 s[6:7], vcc
	s_cbranch_execz .LBB1474_180
; %bb.166:
	v_xad_u32 v2, v0, -1, v36
	s_movk_i32 s4, 0x1900
	s_movk_i32 s8, 0x18ff
	v_cmp_gt_u32_e64 s[4:5], s4, v2
	v_cmp_lt_u32_e32 vcc, s8, v2
	v_mov_b32_e32 v1, v0
	s_and_saveexec_b64 s[8:9], vcc
	s_cbranch_execz .LBB1474_177
; %bb.167:
	v_sub_u32_e32 v1, v0, v36
	v_or_b32_e32 v1, 0xff, v1
	v_cmp_ge_u32_e32 vcc, v1, v0
	s_mov_b64 s[12:13], -1
	v_mov_b32_e32 v1, v0
	s_and_saveexec_b64 s[10:11], vcc
	s_cbranch_execz .LBB1474_176
; %bb.168:
	v_lshrrev_b32_e32 v7, 8, v2
	v_add_u32_e32 v2, -1, v7
	v_or_b32_e32 v1, 0x100, v0
	v_lshrrev_b32_e32 v5, 1, v2
	v_add_u32_e32 v27, 1, v5
	v_mov_b32_e32 v6, v1
	s_mov_b32 s16, 0
	v_cmp_lt_u32_e32 vcc, 13, v2
	v_mov_b32_e32 v30, 0
	v_lshlrev_b32_e32 v8, 1, v0
	v_mov_b32_e32 v5, v0
	s_and_saveexec_b64 s[12:13], vcc
	s_cbranch_execz .LBB1474_172
; %bb.169:
	v_mov_b32_e32 v6, v1
	v_and_b32_e32 v28, -8, v27
	s_mov_b64 s[14:15], 0
	v_mov_b32_e32 v2, 0
	v_mov_b32_e32 v29, v8
	v_mov_b32_e32 v5, v0
.LBB1474_170:                           ; =>This Inner Loop Header: Depth=1
	v_mov_b32_e32 v1, v5
	v_add_u32_e32 v28, -8, v28
	v_lshlrev_b64 v[80:81], 1, v[1:2]
	v_add_u32_e32 v30, 0x200, v6
	v_mov_b32_e32 v31, v2
	s_add_i32 s16, s16, 16
	v_cmp_eq_u32_e32 vcc, 0, v28
	v_lshlrev_b64 v[82:83], 1, v[30:31]
	s_or_b64 s[14:15], vcc, s[14:15]
	v_add_co_u32_e32 v80, vcc, v25, v80
	v_add_u32_e32 v32, 0x400, v6
	v_mov_b32_e32 v33, v2
	v_addc_co_u32_e32 v81, vcc, v26, v81, vcc
	v_lshlrev_b64 v[31:32], 1, v[32:33]
	v_add_co_u32_e32 v82, vcc, v25, v82
	v_add_u32_e32 v34, 0x600, v6
	v_mov_b32_e32 v35, v2
	v_addc_co_u32_e32 v83, vcc, v26, v83, vcc
	v_lshlrev_b64 v[33:34], 1, v[34:35]
	;; [unrolled: 5-line block ×6, first 2 shown]
	v_add_co_u32_e32 v76, vcc, v25, v76
	v_mov_b32_e32 v1, v6
	v_addc_co_u32_e32 v77, vcc, v26, v77, vcc
	v_lshlrev_b64 v[84:85], 1, v[1:2]
	v_add_co_u32_e32 v78, vcc, v25, v78
	v_add_u32_e32 v1, 0x200, v5
	v_addc_co_u32_e32 v79, vcc, v26, v79, vcc
	v_lshlrev_b64 v[86:87], 1, v[1:2]
	v_add_co_u32_e32 v84, vcc, v25, v84
	v_add_u32_e32 v1, 0x400, v5
	v_addc_co_u32_e32 v85, vcc, v26, v85, vcc
	ds_read_u16 v90, v29
	ds_read_u16 v91, v29 offset:512
	ds_read_u16 v92, v29 offset:1024
	;; [unrolled: 1-line block ×15, first 2 shown]
	v_lshlrev_b64 v[88:89], 1, v[1:2]
	s_waitcnt lgkmcnt(14)
	global_store_short v[80:81], v90, off
	global_store_short v[84:85], v91, off
	v_add_co_u32_e32 v80, vcc, v25, v86
	v_add_u32_e32 v1, 0x600, v5
	v_addc_co_u32_e32 v81, vcc, v26, v87, vcc
	v_lshlrev_b64 v[84:85], 1, v[1:2]
	s_waitcnt lgkmcnt(13)
	global_store_short v[80:81], v92, off
	s_waitcnt lgkmcnt(12)
	global_store_short v[82:83], v93, off
	v_add_co_u32_e32 v80, vcc, v25, v88
	v_add_u32_e32 v1, 0x800, v5
	v_addc_co_u32_e32 v81, vcc, v26, v89, vcc
	v_lshlrev_b64 v[82:83], 1, v[1:2]
	s_waitcnt lgkmcnt(11)
	global_store_short v[80:81], v94, off
	s_waitcnt lgkmcnt(10)
	;; [unrolled: 8-line block ×5, first 2 shown]
	global_store_short v[74:75], v101, off
	v_add_co_u32_e32 v31, vcc, v25, v33
	v_addc_co_u32_e32 v32, vcc, v26, v34, vcc
	s_waitcnt lgkmcnt(3)
	global_store_short v[31:32], v102, off
	s_waitcnt lgkmcnt(2)
	global_store_short v[76:77], v103, off
	v_add_co_u32_e32 v31, vcc, v25, v70
	v_add_u32_e32 v29, 0x2000, v29
	v_add_u32_e32 v6, 0x1000, v6
	v_mov_b32_e32 v30, s16
	v_add_u32_e32 v5, 0x1000, v5
	v_addc_co_u32_e32 v32, vcc, v26, v71, vcc
	s_waitcnt lgkmcnt(1)
	global_store_short v[31:32], v104, off
	s_waitcnt lgkmcnt(0)
	global_store_short v[78:79], v105, off
	s_andn2_b64 exec, exec, s[14:15]
	s_cbranch_execnz .LBB1474_170
; %bb.171:
	s_or_b64 exec, exec, s[14:15]
.LBB1474_172:
	s_or_b64 exec, exec, s[12:13]
	v_and_b32_e32 v27, 7, v27
	v_cmp_ne_u32_e32 vcc, 0, v27
	s_and_saveexec_b64 s[12:13], vcc
	s_cbranch_execz .LBB1474_175
; %bb.173:
	v_lshl_or_b32 v8, v30, 9, v8
	s_mov_b64 s[14:15], 0
	v_mov_b32_e32 v2, 0
.LBB1474_174:                           ; =>This Inner Loop Header: Depth=1
	v_mov_b32_e32 v1, v5
	ds_read_u16 v32, v8
	ds_read_u16 v33, v8 offset:512
	v_add_u32_e32 v27, -1, v27
	v_lshlrev_b64 v[28:29], 1, v[1:2]
	v_mov_b32_e32 v1, v6
	v_cmp_eq_u32_e32 vcc, 0, v27
	v_lshlrev_b64 v[30:31], 1, v[1:2]
	s_or_b64 s[14:15], vcc, s[14:15]
	v_add_co_u32_e32 v28, vcc, v25, v28
	v_addc_co_u32_e32 v29, vcc, v26, v29, vcc
	v_add_u32_e32 v5, 0x200, v5
	v_add_u32_e32 v8, 0x400, v8
	;; [unrolled: 1-line block ×3, first 2 shown]
	v_add_co_u32_e32 v30, vcc, v25, v30
	v_addc_co_u32_e32 v31, vcc, v26, v31, vcc
	s_waitcnt lgkmcnt(1)
	global_store_short v[28:29], v32, off
	s_waitcnt lgkmcnt(0)
	global_store_short v[30:31], v33, off
	s_andn2_b64 exec, exec, s[14:15]
	s_cbranch_execnz .LBB1474_174
.LBB1474_175:
	s_or_b64 exec, exec, s[12:13]
	v_add_u32_e32 v2, 1, v7
	v_and_b32_e32 v5, 0x1fffffe, v2
	v_cmp_ne_u32_e32 vcc, v2, v5
	v_lshl_or_b32 v1, v5, 8, v0
	s_orn2_b64 s[12:13], vcc, exec
.LBB1474_176:
	s_or_b64 exec, exec, s[10:11]
	s_andn2_b64 s[4:5], s[4:5], exec
	s_and_b64 s[10:11], s[12:13], exec
	s_or_b64 s[4:5], s[4:5], s[10:11]
.LBB1474_177:
	s_or_b64 exec, exec, s[8:9]
	s_and_b64 exec, exec, s[4:5]
	s_cbranch_execz .LBB1474_180
; %bb.178:
	v_lshlrev_b32_e32 v5, 1, v1
	s_mov_b64 s[8:9], 0
	v_mov_b32_e32 v2, 0
.LBB1474_179:                           ; =>This Inner Loop Header: Depth=1
	ds_read_u16 v8, v5
	v_lshlrev_b64 v[6:7], 1, v[1:2]
	v_add_u32_e32 v1, 0x100, v1
	v_cmp_ge_u32_e32 vcc, v1, v36
	v_add_co_u32_e64 v6, s[4:5], v25, v6
	v_add_u32_e32 v5, 0x200, v5
	v_addc_co_u32_e64 v7, s[4:5], v26, v7, s[4:5]
	s_or_b64 s[8:9], vcc, s[8:9]
	s_waitcnt lgkmcnt(0)
	global_store_short v[6:7], v8, off
	s_andn2_b64 exec, exec, s[8:9]
	s_cbranch_execnz .LBB1474_179
.LBB1474_180:
	s_or_b64 exec, exec, s[6:7]
.LBB1474_181:
	v_cmp_eq_u32_e32 vcc, 0, v0
	s_and_b64 s[6:7], vcc, s[50:51]
	s_waitcnt vmcnt(0)
	s_barrier
	s_and_saveexec_b64 s[4:5], s[6:7]
	s_cbranch_execz .LBB1474_183
; %bb.182:
	v_mov_b32_e32 v1, 0
	buffer_store_dword v1, off, s[0:3], 0
.LBB1474_183:
	s_or_b64 exec, exec, s[4:5]
	s_mul_hi_u32 s4, s33, 0x88888889
	s_lshr_b32 s4, s4, 3
	v_cmp_eq_u32_e32 vcc, s4, v0
	s_and_b64 s[6:7], s[48:49], vcc
	s_and_saveexec_b64 s[4:5], s[6:7]
	s_cbranch_execz .LBB1474_185
; %bb.184:
	s_lshl_b32 s6, s33, 2
	v_mov_b32_e32 v1, s6
	s_movk_i32 s6, 0xffc4
	v_mad_i32_i24 v1, v0, s6, v1
	v_mov_b32_e32 v2, 1
	buffer_store_dword v2, v1, s[0:3], 0 offen
.LBB1474_185:
	s_or_b64 exec, exec, s[4:5]
	buffer_load_dword v25, off, s[0:3], 0
	buffer_load_dword v26, off, s[0:3], 0 offset:4
	buffer_load_dword v27, off, s[0:3], 0 offset:8
	buffer_load_dword v28, off, s[0:3], 0 offset:12
	buffer_load_dword v29, off, s[0:3], 0 offset:16
	buffer_load_dword v30, off, s[0:3], 0 offset:20
	buffer_load_dword v31, off, s[0:3], 0 offset:24
	buffer_load_dword v32, off, s[0:3], 0 offset:28
	buffer_load_dword v33, off, s[0:3], 0 offset:32
	buffer_load_dword v34, off, s[0:3], 0 offset:36
	buffer_load_dword v35, off, s[0:3], 0 offset:40
	buffer_load_dword v70, off, s[0:3], 0 offset:44
	buffer_load_dword v71, off, s[0:3], 0 offset:48
	buffer_load_dword v74, off, s[0:3], 0 offset:52
	v_add_co_u32_e32 v1, vcc, v72, v3
	v_addc_co_u32_e32 v2, vcc, v73, v4, vcc
	buffer_load_dword v73, off, s[0:3], 0 offset:56
	v_lshlrev_b64 v[3:4], 3, v[9:10]
	v_mov_b32_e32 v72, s59
	v_lshlrev_b64 v[6:7], 3, v[40:41]
	v_add_co_u32_e32 v3, vcc, s58, v3
	v_addc_co_u32_e32 v4, vcc, v72, v4, vcc
	v_cndmask_b32_e64 v5, 0, 1, s[50:51]
	v_add_co_u32_e32 v3, vcc, v3, v6
	v_lshlrev_b32_e32 v75, 3, v5
	v_addc_co_u32_e32 v4, vcc, v4, v7, vcc
	v_add_co_u32_e32 v6, vcc, v3, v75
	v_addc_co_u32_e32 v7, vcc, 0, v4, vcc
	v_add_co_u32_e32 v6, vcc, -8, v6
	v_addc_co_u32_e32 v7, vcc, -1, v7, vcc
	s_cmpk_lg_i32 s33, 0xf00
	s_cselect_b64 s[4:5], -1, 0
	s_and_b64 s[4:5], s[48:49], s[4:5]
	v_sub_u32_e32 v41, v36, v5
	v_add_u32_e32 v8, v40, v5
	v_cndmask_b32_e64 v5, 0, 1, s[4:5]
	v_add_u32_e32 v5, v41, v5
	s_movk_i32 s36, 0x100
	s_mov_b64 s[40:41], -1
	s_waitcnt vmcnt(14)
	v_cmp_eq_u32_e32 vcc, 0, v25
	v_cmp_ne_u32_e64 s[34:35], 0, v25
	v_cndmask_b32_e64 v25, 1, 2, vcc
	s_waitcnt vmcnt(13)
	v_cmp_eq_u32_e32 vcc, 0, v26
	v_cmp_ne_u32_e64 s[30:31], 0, v26
	v_cndmask_b32_e64 v26, 1, 2, vcc
	;; [unrolled: 4-line block ×3, first 2 shown]
	s_waitcnt vmcnt(11)
	v_cmp_eq_u32_e32 vcc, 0, v28
	v_and_b32_e32 v25, v26, v25
	v_cmp_ne_u32_e64 s[26:27], 0, v28
	v_cndmask_b32_e64 v28, 1, 2, vcc
	s_waitcnt vmcnt(10)
	v_cmp_eq_u32_e32 vcc, 0, v29
	v_and_b32_e32 v25, v25, v27
	v_cmp_ne_u32_e64 s[24:25], 0, v29
	v_cndmask_b32_e64 v29, 1, 2, vcc
	;; [unrolled: 5-line block ×8, first 2 shown]
	v_and_b32_e32 v25, v25, v34
	s_waitcnt vmcnt(3)
	v_cmp_eq_u32_e32 vcc, 0, v70
	v_and_b32_e32 v25, v25, v35
	v_cndmask_b32_e64 v26, 1, 2, vcc
	s_waitcnt vmcnt(2)
	v_cmp_eq_u32_e32 vcc, 0, v71
	v_and_b32_e32 v25, v25, v26
	v_cndmask_b32_e64 v26, 1, 2, vcc
	;; [unrolled: 4-line block ×4, first 2 shown]
	v_and_b32_e32 v25, v25, v26
	v_cmp_gt_u32_e32 vcc, s36, v5
	v_cmp_ne_u32_e64 s[8:9], 0, v70
	v_cmp_ne_u32_e64 s[10:11], 0, v71
	;; [unrolled: 1-line block ×4, first 2 shown]
	v_cmp_gt_i16_e64 s[36:37], 2, v25
	s_cbranch_vccz .LBB1474_192
; %bb.186:
	s_and_saveexec_b64 s[40:41], s[36:37]
	s_cbranch_execz .LBB1474_191
; %bb.187:
	v_cmp_ne_u16_e32 vcc, 1, v25
	s_mov_b64 s[42:43], 0
	s_and_saveexec_b64 s[36:37], vcc
	s_xor_b64 s[36:37], exec, s[36:37]
	s_cbranch_execnz .LBB1474_240
; %bb.188:
	s_andn2_saveexec_b64 s[36:37], s[36:37]
	s_cbranch_execnz .LBB1474_256
.LBB1474_189:
	s_or_b64 exec, exec, s[36:37]
	s_and_b64 exec, exec, s[42:43]
	s_cbranch_execz .LBB1474_191
.LBB1474_190:
	v_sub_u32_e32 v26, v11, v8
	v_mov_b32_e32 v27, 0
	v_lshlrev_b64 v[26:27], 3, v[26:27]
	v_add_co_u32_e32 v26, vcc, v6, v26
	v_addc_co_u32_e32 v27, vcc, v7, v27, vcc
	global_store_dwordx2 v[26:27], v[1:2], off
.LBB1474_191:
	s_or_b64 exec, exec, s[40:41]
	s_mov_b64 s[40:41], 0
.LBB1474_192:
	s_and_b64 vcc, exec, s[40:41]
	s_cbranch_vccz .LBB1474_202
; %bb.193:
	v_cmp_gt_i16_e32 vcc, 2, v25
	s_and_saveexec_b64 s[36:37], vcc
	s_cbranch_execz .LBB1474_198
; %bb.194:
	v_cmp_ne_u16_e32 vcc, 1, v25
	s_mov_b64 s[42:43], 0
	s_and_saveexec_b64 s[40:41], vcc
	s_xor_b64 s[40:41], exec, s[40:41]
	s_cbranch_execnz .LBB1474_257
; %bb.195:
	s_andn2_saveexec_b64 s[4:5], s[40:41]
	s_cbranch_execnz .LBB1474_273
.LBB1474_196:
	s_or_b64 exec, exec, s[4:5]
	s_and_b64 exec, exec, s[42:43]
.LBB1474_197:
	v_sub_u32_e32 v8, v11, v8
	v_lshlrev_b32_e32 v8, 3, v8
	ds_write_b64 v8, v[1:2]
.LBB1474_198:
	s_or_b64 exec, exec, s[36:37]
	v_cmp_lt_u32_e32 vcc, v0, v5
	s_waitcnt vmcnt(0) lgkmcnt(0)
	s_barrier
	s_and_saveexec_b64 s[6:7], vcc
	s_cbranch_execz .LBB1474_201
; %bb.199:
	v_lshlrev_b32_e32 v8, 3, v0
	s_mov_b64 s[8:9], 0
	v_mov_b32_e32 v2, 0
	v_mov_b32_e32 v1, v0
.LBB1474_200:                           ; =>This Inner Loop Header: Depth=1
	ds_read_b64 v[13:14], v8
	v_lshlrev_b64 v[11:12], 3, v[1:2]
	v_add_u32_e32 v1, 0x100, v1
	v_cmp_ge_u32_e32 vcc, v1, v5
	v_add_co_u32_e64 v11, s[4:5], v6, v11
	v_add_u32_e32 v8, 0x800, v8
	v_addc_co_u32_e64 v12, s[4:5], v7, v12, s[4:5]
	s_or_b64 s[8:9], vcc, s[8:9]
	s_waitcnt lgkmcnt(0)
	global_store_dwordx2 v[11:12], v[13:14], off
	s_andn2_b64 exec, exec, s[8:9]
	s_cbranch_execnz .LBB1474_200
.LBB1474_201:
	s_or_b64 exec, exec, s[6:7]
.LBB1474_202:
	s_movk_i32 s4, 0xff
	v_cmp_eq_u32_e32 vcc, s4, v0
	s_and_b64 s[4:5], vcc, s[48:49]
	s_and_saveexec_b64 s[6:7], s[4:5]
	s_cbranch_execz .LBB1474_205
; %bb.203:
	v_add_co_u32_e32 v0, vcc, v36, v40
	v_addc_co_u32_e64 v1, s[4:5], 0, 0, vcc
	v_add_co_u32_e32 v0, vcc, v0, v9
	v_mov_b32_e32 v37, 0
	v_addc_co_u32_e32 v1, vcc, v1, v10, vcc
	s_cmpk_lg_i32 s33, 0xf00
	global_store_dwordx2 v37, v[0:1], s[38:39]
	s_cbranch_scc1 .LBB1474_205
; %bb.204:
	v_lshlrev_b64 v[0:1], 3, v[36:37]
	v_add_co_u32_e32 v0, vcc, v3, v0
	v_addc_co_u32_e32 v1, vcc, v4, v1, vcc
	global_store_dwordx2 v[0:1], v[38:39], off offset:-8
.LBB1474_205:
	s_endpgm
.LBB1474_206:
	s_and_saveexec_b64 s[42:43], s[34:35]
	s_cbranch_execnz .LBB1474_274
; %bb.207:
	s_or_b64 exec, exec, s[42:43]
	s_and_saveexec_b64 s[42:43], s[30:31]
	s_cbranch_execnz .LBB1474_275
.LBB1474_208:
	s_or_b64 exec, exec, s[42:43]
	s_and_saveexec_b64 s[42:43], s[28:29]
	s_cbranch_execnz .LBB1474_276
.LBB1474_209:
	s_or_b64 exec, exec, s[42:43]
	s_and_saveexec_b64 s[42:43], s[26:27]
	s_cbranch_execnz .LBB1474_277
.LBB1474_210:
	s_or_b64 exec, exec, s[42:43]
	s_and_saveexec_b64 s[42:43], s[24:25]
	s_cbranch_execnz .LBB1474_278
.LBB1474_211:
	s_or_b64 exec, exec, s[42:43]
	s_and_saveexec_b64 s[42:43], s[22:23]
	s_cbranch_execnz .LBB1474_279
.LBB1474_212:
	s_or_b64 exec, exec, s[42:43]
	s_and_saveexec_b64 s[42:43], s[20:21]
	s_cbranch_execnz .LBB1474_280
.LBB1474_213:
	s_or_b64 exec, exec, s[42:43]
	s_and_saveexec_b64 s[42:43], s[18:19]
	s_cbranch_execnz .LBB1474_281
.LBB1474_214:
	s_or_b64 exec, exec, s[42:43]
	s_and_saveexec_b64 s[42:43], s[16:17]
	s_cbranch_execnz .LBB1474_282
.LBB1474_215:
	s_or_b64 exec, exec, s[42:43]
	s_and_saveexec_b64 s[42:43], s[14:15]
	s_cbranch_execnz .LBB1474_283
.LBB1474_216:
	s_or_b64 exec, exec, s[42:43]
	s_and_saveexec_b64 s[42:43], s[12:13]
	s_cbranch_execnz .LBB1474_284
.LBB1474_217:
	s_or_b64 exec, exec, s[42:43]
	s_and_saveexec_b64 s[42:43], s[10:11]
	s_cbranch_execnz .LBB1474_285
.LBB1474_218:
	s_or_b64 exec, exec, s[42:43]
	s_and_saveexec_b64 s[42:43], s[8:9]
	s_cbranch_execnz .LBB1474_286
.LBB1474_219:
	s_or_b64 exec, exec, s[42:43]
	s_and_saveexec_b64 s[42:43], s[4:5]
	s_cbranch_execz .LBB1474_221
.LBB1474_220:
	v_sub_u32_e32 v27, v12, v40
	v_mov_b32_e32 v28, 0
	v_lshlrev_b64 v[27:28], 1, v[27:28]
	v_add_co_u32_e32 v27, vcc, v25, v27
	v_addc_co_u32_e32 v28, vcc, v26, v28, vcc
	global_store_short v[27:28], v35, off
.LBB1474_221:
	s_or_b64 exec, exec, s[42:43]
	s_and_b64 s[42:43], s[6:7], exec
	s_andn2_saveexec_b64 s[36:37], s[36:37]
	s_cbranch_execz .LBB1474_156
.LBB1474_222:
	v_sub_u32_e32 v27, v37, v40
	v_mov_b32_e32 v28, 0
	v_lshlrev_b64 v[29:30], 1, v[27:28]
	v_sub_u32_e32 v27, v24, v40
	v_add_co_u32_e32 v29, vcc, v25, v29
	v_addc_co_u32_e32 v30, vcc, v26, v30, vcc
	global_store_short v[29:30], v77, off
	v_lshlrev_b64 v[29:30], 1, v[27:28]
	v_sub_u32_e32 v27, v23, v40
	v_add_co_u32_e32 v29, vcc, v25, v29
	v_addc_co_u32_e32 v30, vcc, v26, v30, vcc
	global_store_short v[29:30], v5, off
	;; [unrolled: 5-line block ×12, first 2 shown]
	v_lshlrev_b64 v[29:30], 1, v[27:28]
	v_sub_u32_e32 v27, v12, v40
	v_add_co_u32_e32 v29, vcc, v25, v29
	v_lshlrev_b64 v[27:28], 1, v[27:28]
	v_addc_co_u32_e32 v30, vcc, v26, v30, vcc
	v_add_co_u32_e32 v27, vcc, v25, v27
	v_addc_co_u32_e32 v28, vcc, v26, v28, vcc
	s_or_b64 s[42:43], s[42:43], exec
	global_store_short v[29:30], v75, off
	global_store_short v[27:28], v35, off
	s_or_b64 exec, exec, s[36:37]
	s_and_b64 exec, exec, s[42:43]
	s_cbranch_execnz .LBB1474_157
	s_branch .LBB1474_158
.LBB1474_223:
	s_and_saveexec_b64 s[42:43], s[34:35]
	s_cbranch_execnz .LBB1474_287
; %bb.224:
	s_or_b64 exec, exec, s[42:43]
	s_and_saveexec_b64 s[34:35], s[30:31]
	s_cbranch_execnz .LBB1474_288
.LBB1474_225:
	s_or_b64 exec, exec, s[34:35]
	s_and_saveexec_b64 s[30:31], s[28:29]
	s_cbranch_execnz .LBB1474_289
.LBB1474_226:
	s_or_b64 exec, exec, s[30:31]
	s_and_saveexec_b64 s[28:29], s[26:27]
	s_cbranch_execnz .LBB1474_290
.LBB1474_227:
	s_or_b64 exec, exec, s[28:29]
	s_and_saveexec_b64 s[26:27], s[24:25]
	s_cbranch_execnz .LBB1474_291
.LBB1474_228:
	s_or_b64 exec, exec, s[26:27]
	s_and_saveexec_b64 s[24:25], s[22:23]
	s_cbranch_execnz .LBB1474_292
.LBB1474_229:
	s_or_b64 exec, exec, s[24:25]
	s_and_saveexec_b64 s[22:23], s[20:21]
	s_cbranch_execnz .LBB1474_293
.LBB1474_230:
	s_or_b64 exec, exec, s[22:23]
	s_and_saveexec_b64 s[20:21], s[18:19]
	s_cbranch_execnz .LBB1474_294
.LBB1474_231:
	s_or_b64 exec, exec, s[20:21]
	s_and_saveexec_b64 s[18:19], s[16:17]
	s_cbranch_execnz .LBB1474_295
.LBB1474_232:
	s_or_b64 exec, exec, s[18:19]
	s_and_saveexec_b64 s[16:17], s[14:15]
	s_cbranch_execnz .LBB1474_296
.LBB1474_233:
	s_or_b64 exec, exec, s[16:17]
	s_and_saveexec_b64 s[14:15], s[12:13]
	s_cbranch_execnz .LBB1474_297
.LBB1474_234:
	s_or_b64 exec, exec, s[14:15]
	s_and_saveexec_b64 s[12:13], s[10:11]
	s_cbranch_execnz .LBB1474_298
.LBB1474_235:
	s_or_b64 exec, exec, s[12:13]
	s_and_saveexec_b64 s[10:11], s[8:9]
	s_cbranch_execnz .LBB1474_299
.LBB1474_236:
	s_or_b64 exec, exec, s[10:11]
	s_and_saveexec_b64 s[8:9], s[4:5]
.LBB1474_237:
	v_sub_u32_e32 v1, v12, v40
	v_lshlrev_b32_e32 v1, 1, v1
	ds_write_b16 v1, v35
.LBB1474_238:
	s_or_b64 exec, exec, s[8:9]
	s_and_b64 s[42:43], s[6:7], exec
                                        ; implicit-def: $vgpr5
                                        ; implicit-def: $vgpr33
                                        ; implicit-def: $vgpr77
                                        ; implicit-def: $vgpr81
                                        ; implicit-def: $vgpr80
                                        ; implicit-def: $vgpr79
                                        ; implicit-def: $vgpr78
                                        ; implicit-def: $vgpr76
                                        ; implicit-def: $vgpr75
	s_andn2_saveexec_b64 s[4:5], s[40:41]
	s_cbranch_execz .LBB1474_163
.LBB1474_239:
	v_sub_u32_e32 v1, v37, v40
	v_lshlrev_b32_e32 v1, 1, v1
	ds_write_b16 v1, v77
	v_sub_u32_e32 v1, v24, v40
	v_lshlrev_b32_e32 v1, 1, v1
	ds_write_b16 v1, v5
	v_sub_u32_e32 v1, v23, v40
	v_lshlrev_b32_e32 v1, 1, v1
	ds_write_b16 v1, v81
	v_sub_u32_e32 v1, v22, v40
	v_lshlrev_b32_e32 v1, 1, v1
	ds_write_b16 v1, v6
	v_sub_u32_e32 v1, v21, v40
	v_lshlrev_b32_e32 v1, 1, v1
	ds_write_b16 v1, v80
	v_sub_u32_e32 v1, v20, v40
	v_lshlrev_b32_e32 v1, 1, v1
	ds_write_b16 v1, v7
	v_sub_u32_e32 v1, v19, v40
	v_lshlrev_b32_e32 v1, 1, v1
	ds_write_b16 v1, v79
	v_sub_u32_e32 v1, v18, v40
	v_lshlrev_b32_e32 v1, 1, v1
	ds_write_b16 v1, v8
	v_sub_u32_e32 v1, v17, v40
	v_lshlrev_b32_e32 v1, 1, v1
	ds_write_b16 v1, v78
	v_sub_u32_e32 v1, v16, v40
	v_lshlrev_b32_e32 v1, 1, v1
	ds_write_b16 v1, v33
	v_sub_u32_e32 v1, v15, v40
	v_lshlrev_b32_e32 v1, 1, v1
	ds_write_b16 v1, v76
	v_sub_u32_e32 v1, v14, v40
	v_lshlrev_b32_e32 v1, 1, v1
	ds_write_b16 v1, v34
	v_sub_u32_e32 v1, v13, v40
	v_lshlrev_b32_e32 v1, 1, v1
	ds_write_b16 v1, v75
	v_sub_u32_e32 v1, v12, v40
	v_lshlrev_b32_e32 v1, 1, v1
	s_or_b64 s[42:43], s[42:43], exec
	ds_write_b16 v1, v35
	s_or_b64 exec, exec, s[4:5]
	s_and_b64 exec, exec, s[42:43]
	s_cbranch_execnz .LBB1474_164
	s_branch .LBB1474_165
.LBB1474_240:
	s_and_saveexec_b64 s[42:43], s[34:35]
	s_cbranch_execnz .LBB1474_300
; %bb.241:
	s_or_b64 exec, exec, s[42:43]
	s_and_saveexec_b64 s[42:43], s[30:31]
	s_cbranch_execnz .LBB1474_301
.LBB1474_242:
	s_or_b64 exec, exec, s[42:43]
	s_and_saveexec_b64 s[42:43], s[28:29]
	s_cbranch_execnz .LBB1474_302
.LBB1474_243:
	s_or_b64 exec, exec, s[42:43]
	s_and_saveexec_b64 s[42:43], s[26:27]
	s_cbranch_execnz .LBB1474_303
.LBB1474_244:
	s_or_b64 exec, exec, s[42:43]
	s_and_saveexec_b64 s[42:43], s[24:25]
	s_cbranch_execnz .LBB1474_304
.LBB1474_245:
	s_or_b64 exec, exec, s[42:43]
	s_and_saveexec_b64 s[42:43], s[22:23]
	s_cbranch_execnz .LBB1474_305
.LBB1474_246:
	s_or_b64 exec, exec, s[42:43]
	s_and_saveexec_b64 s[42:43], s[20:21]
	s_cbranch_execnz .LBB1474_306
.LBB1474_247:
	s_or_b64 exec, exec, s[42:43]
	s_and_saveexec_b64 s[42:43], s[18:19]
	s_cbranch_execnz .LBB1474_307
.LBB1474_248:
	s_or_b64 exec, exec, s[42:43]
	s_and_saveexec_b64 s[42:43], s[16:17]
	s_cbranch_execnz .LBB1474_308
.LBB1474_249:
	s_or_b64 exec, exec, s[42:43]
	s_and_saveexec_b64 s[42:43], s[14:15]
	s_cbranch_execnz .LBB1474_309
.LBB1474_250:
	s_or_b64 exec, exec, s[42:43]
	s_and_saveexec_b64 s[42:43], s[12:13]
	s_cbranch_execnz .LBB1474_310
.LBB1474_251:
	s_or_b64 exec, exec, s[42:43]
	s_and_saveexec_b64 s[42:43], s[8:9]
	s_cbranch_execnz .LBB1474_311
.LBB1474_252:
	s_or_b64 exec, exec, s[42:43]
	s_and_saveexec_b64 s[42:43], s[10:11]
	s_cbranch_execnz .LBB1474_312
.LBB1474_253:
	s_or_b64 exec, exec, s[42:43]
	s_and_saveexec_b64 s[42:43], s[6:7]
	s_cbranch_execz .LBB1474_255
.LBB1474_254:
	v_sub_u32_e32 v26, v12, v8
	v_mov_b32_e32 v27, 0
	v_lshlrev_b64 v[26:27], 3, v[26:27]
	v_add_co_u32_e32 v26, vcc, v6, v26
	v_addc_co_u32_e32 v27, vcc, v7, v27, vcc
	global_store_dwordx2 v[26:27], v[68:69], off
.LBB1474_255:
	s_or_b64 exec, exec, s[42:43]
	s_and_b64 s[42:43], s[4:5], exec
	s_andn2_saveexec_b64 s[36:37], s[36:37]
	s_cbranch_execz .LBB1474_189
.LBB1474_256:
	v_sub_u32_e32 v26, v37, v8
	v_mov_b32_e32 v27, 0
	v_lshlrev_b64 v[28:29], 3, v[26:27]
	v_sub_u32_e32 v26, v24, v8
	v_add_co_u32_e32 v28, vcc, v6, v28
	v_addc_co_u32_e32 v29, vcc, v7, v29, vcc
	global_store_dwordx2 v[28:29], v[66:67], off
	v_lshlrev_b64 v[28:29], 3, v[26:27]
	v_sub_u32_e32 v26, v23, v8
	v_add_co_u32_e32 v28, vcc, v6, v28
	v_addc_co_u32_e32 v29, vcc, v7, v29, vcc
	global_store_dwordx2 v[28:29], v[42:43], off
	;; [unrolled: 5-line block ×12, first 2 shown]
	v_lshlrev_b64 v[28:29], 3, v[26:27]
	v_sub_u32_e32 v26, v12, v8
	v_add_co_u32_e32 v28, vcc, v6, v28
	v_lshlrev_b64 v[26:27], 3, v[26:27]
	v_addc_co_u32_e32 v29, vcc, v7, v29, vcc
	v_add_co_u32_e32 v26, vcc, v6, v26
	v_addc_co_u32_e32 v27, vcc, v7, v27, vcc
	s_or_b64 s[42:43], s[42:43], exec
	global_store_dwordx2 v[28:29], v[64:65], off
	global_store_dwordx2 v[26:27], v[68:69], off
	s_or_b64 exec, exec, s[36:37]
	s_and_b64 exec, exec, s[42:43]
	s_cbranch_execnz .LBB1474_190
	s_branch .LBB1474_191
.LBB1474_257:
	s_and_saveexec_b64 s[42:43], s[34:35]
	s_cbranch_execnz .LBB1474_313
; %bb.258:
	s_or_b64 exec, exec, s[42:43]
	s_and_saveexec_b64 s[34:35], s[30:31]
	s_cbranch_execnz .LBB1474_314
.LBB1474_259:
	s_or_b64 exec, exec, s[34:35]
	s_and_saveexec_b64 s[30:31], s[28:29]
	s_cbranch_execnz .LBB1474_315
.LBB1474_260:
	s_or_b64 exec, exec, s[30:31]
	s_and_saveexec_b64 s[28:29], s[26:27]
	s_cbranch_execnz .LBB1474_316
.LBB1474_261:
	s_or_b64 exec, exec, s[28:29]
	s_and_saveexec_b64 s[26:27], s[24:25]
	s_cbranch_execnz .LBB1474_317
.LBB1474_262:
	s_or_b64 exec, exec, s[26:27]
	s_and_saveexec_b64 s[24:25], s[22:23]
	s_cbranch_execnz .LBB1474_318
.LBB1474_263:
	s_or_b64 exec, exec, s[24:25]
	s_and_saveexec_b64 s[22:23], s[20:21]
	s_cbranch_execnz .LBB1474_319
.LBB1474_264:
	s_or_b64 exec, exec, s[22:23]
	s_and_saveexec_b64 s[20:21], s[18:19]
	s_cbranch_execnz .LBB1474_320
.LBB1474_265:
	s_or_b64 exec, exec, s[20:21]
	s_and_saveexec_b64 s[18:19], s[16:17]
	s_cbranch_execnz .LBB1474_321
.LBB1474_266:
	s_or_b64 exec, exec, s[18:19]
	s_and_saveexec_b64 s[16:17], s[14:15]
	s_cbranch_execnz .LBB1474_322
.LBB1474_267:
	s_or_b64 exec, exec, s[16:17]
	s_and_saveexec_b64 s[14:15], s[12:13]
	s_cbranch_execnz .LBB1474_323
.LBB1474_268:
	s_or_b64 exec, exec, s[14:15]
	s_and_saveexec_b64 s[12:13], s[8:9]
	s_cbranch_execnz .LBB1474_324
.LBB1474_269:
	s_or_b64 exec, exec, s[12:13]
	s_and_saveexec_b64 s[8:9], s[10:11]
	s_cbranch_execnz .LBB1474_325
.LBB1474_270:
	s_or_b64 exec, exec, s[8:9]
	s_and_saveexec_b64 s[8:9], s[6:7]
.LBB1474_271:
	v_sub_u32_e32 v12, v12, v8
	v_lshlrev_b32_e32 v12, 3, v12
	ds_write_b64 v12, v[68:69]
.LBB1474_272:
	s_or_b64 exec, exec, s[8:9]
	s_and_b64 s[42:43], s[4:5], exec
                                        ; implicit-def: $vgpr66_vgpr67
                                        ; implicit-def: $vgpr42_vgpr43
                                        ; implicit-def: $vgpr44_vgpr45
                                        ; implicit-def: $vgpr46_vgpr47
                                        ; implicit-def: $vgpr48_vgpr49
                                        ; implicit-def: $vgpr50_vgpr51
                                        ; implicit-def: $vgpr52_vgpr53
                                        ; implicit-def: $vgpr54_vgpr55
                                        ; implicit-def: $vgpr56_vgpr57
                                        ; implicit-def: $vgpr58_vgpr59
                                        ; implicit-def: $vgpr60_vgpr61
                                        ; implicit-def: $vgpr62_vgpr63
                                        ; implicit-def: $vgpr64_vgpr65
                                        ; implicit-def: $vgpr68_vgpr69
                                        ; implicit-def: $vgpr37
                                        ; implicit-def: $vgpr24
                                        ; implicit-def: $vgpr23
                                        ; implicit-def: $vgpr22
                                        ; implicit-def: $vgpr21
                                        ; implicit-def: $vgpr20
                                        ; implicit-def: $vgpr19
                                        ; implicit-def: $vgpr18
                                        ; implicit-def: $vgpr17
                                        ; implicit-def: $vgpr16
                                        ; implicit-def: $vgpr15
                                        ; implicit-def: $vgpr14
                                        ; implicit-def: $vgpr13
                                        ; implicit-def: $vgpr12
	s_andn2_saveexec_b64 s[4:5], s[40:41]
	s_cbranch_execz .LBB1474_196
.LBB1474_273:
	v_sub_u32_e32 v25, v37, v8
	v_sub_u32_e32 v24, v24, v8
	;; [unrolled: 1-line block ×14, first 2 shown]
	v_lshlrev_b32_e32 v25, 3, v25
	v_lshlrev_b32_e32 v24, 3, v24
	;; [unrolled: 1-line block ×14, first 2 shown]
	s_or_b64 s[42:43], s[42:43], exec
	ds_write_b64 v25, v[66:67]
	ds_write_b64 v24, v[42:43]
	;; [unrolled: 1-line block ×14, first 2 shown]
	s_or_b64 exec, exec, s[4:5]
	s_and_b64 exec, exec, s[42:43]
	s_cbranch_execnz .LBB1474_197
	s_branch .LBB1474_198
.LBB1474_274:
	v_sub_u32_e32 v27, v37, v40
	v_mov_b32_e32 v28, 0
	v_lshlrev_b64 v[27:28], 1, v[27:28]
	v_add_co_u32_e32 v27, vcc, v25, v27
	v_addc_co_u32_e32 v28, vcc, v26, v28, vcc
	global_store_short v[27:28], v77, off
	s_or_b64 exec, exec, s[42:43]
	s_and_saveexec_b64 s[42:43], s[30:31]
	s_cbranch_execz .LBB1474_208
.LBB1474_275:
	v_sub_u32_e32 v27, v24, v40
	v_mov_b32_e32 v28, 0
	v_lshlrev_b64 v[27:28], 1, v[27:28]
	v_add_co_u32_e32 v27, vcc, v25, v27
	v_addc_co_u32_e32 v28, vcc, v26, v28, vcc
	global_store_short v[27:28], v5, off
	s_or_b64 exec, exec, s[42:43]
	s_and_saveexec_b64 s[42:43], s[28:29]
	s_cbranch_execz .LBB1474_209
.LBB1474_276:
	v_sub_u32_e32 v27, v23, v40
	v_mov_b32_e32 v28, 0
	v_lshlrev_b64 v[27:28], 1, v[27:28]
	v_add_co_u32_e32 v27, vcc, v25, v27
	v_addc_co_u32_e32 v28, vcc, v26, v28, vcc
	global_store_short v[27:28], v81, off
	s_or_b64 exec, exec, s[42:43]
	s_and_saveexec_b64 s[42:43], s[26:27]
	s_cbranch_execz .LBB1474_210
.LBB1474_277:
	v_sub_u32_e32 v27, v22, v40
	v_mov_b32_e32 v28, 0
	v_lshlrev_b64 v[27:28], 1, v[27:28]
	v_add_co_u32_e32 v27, vcc, v25, v27
	v_addc_co_u32_e32 v28, vcc, v26, v28, vcc
	global_store_short v[27:28], v6, off
	s_or_b64 exec, exec, s[42:43]
	s_and_saveexec_b64 s[42:43], s[24:25]
	s_cbranch_execz .LBB1474_211
.LBB1474_278:
	v_sub_u32_e32 v27, v21, v40
	v_mov_b32_e32 v28, 0
	v_lshlrev_b64 v[27:28], 1, v[27:28]
	v_add_co_u32_e32 v27, vcc, v25, v27
	v_addc_co_u32_e32 v28, vcc, v26, v28, vcc
	global_store_short v[27:28], v80, off
	s_or_b64 exec, exec, s[42:43]
	s_and_saveexec_b64 s[42:43], s[22:23]
	s_cbranch_execz .LBB1474_212
.LBB1474_279:
	v_sub_u32_e32 v27, v20, v40
	v_mov_b32_e32 v28, 0
	v_lshlrev_b64 v[27:28], 1, v[27:28]
	v_add_co_u32_e32 v27, vcc, v25, v27
	v_addc_co_u32_e32 v28, vcc, v26, v28, vcc
	global_store_short v[27:28], v7, off
	s_or_b64 exec, exec, s[42:43]
	s_and_saveexec_b64 s[42:43], s[20:21]
	s_cbranch_execz .LBB1474_213
.LBB1474_280:
	v_sub_u32_e32 v27, v19, v40
	v_mov_b32_e32 v28, 0
	v_lshlrev_b64 v[27:28], 1, v[27:28]
	v_add_co_u32_e32 v27, vcc, v25, v27
	v_addc_co_u32_e32 v28, vcc, v26, v28, vcc
	global_store_short v[27:28], v79, off
	s_or_b64 exec, exec, s[42:43]
	s_and_saveexec_b64 s[42:43], s[18:19]
	s_cbranch_execz .LBB1474_214
.LBB1474_281:
	v_sub_u32_e32 v27, v18, v40
	v_mov_b32_e32 v28, 0
	v_lshlrev_b64 v[27:28], 1, v[27:28]
	v_add_co_u32_e32 v27, vcc, v25, v27
	v_addc_co_u32_e32 v28, vcc, v26, v28, vcc
	global_store_short v[27:28], v8, off
	s_or_b64 exec, exec, s[42:43]
	s_and_saveexec_b64 s[42:43], s[16:17]
	s_cbranch_execz .LBB1474_215
.LBB1474_282:
	v_sub_u32_e32 v27, v17, v40
	v_mov_b32_e32 v28, 0
	v_lshlrev_b64 v[27:28], 1, v[27:28]
	v_add_co_u32_e32 v27, vcc, v25, v27
	v_addc_co_u32_e32 v28, vcc, v26, v28, vcc
	global_store_short v[27:28], v78, off
	s_or_b64 exec, exec, s[42:43]
	s_and_saveexec_b64 s[42:43], s[14:15]
	s_cbranch_execz .LBB1474_216
.LBB1474_283:
	v_sub_u32_e32 v27, v16, v40
	v_mov_b32_e32 v28, 0
	v_lshlrev_b64 v[27:28], 1, v[27:28]
	v_add_co_u32_e32 v27, vcc, v25, v27
	v_addc_co_u32_e32 v28, vcc, v26, v28, vcc
	global_store_short v[27:28], v33, off
	s_or_b64 exec, exec, s[42:43]
	s_and_saveexec_b64 s[42:43], s[12:13]
	s_cbranch_execz .LBB1474_217
.LBB1474_284:
	v_sub_u32_e32 v27, v15, v40
	v_mov_b32_e32 v28, 0
	v_lshlrev_b64 v[27:28], 1, v[27:28]
	v_add_co_u32_e32 v27, vcc, v25, v27
	v_addc_co_u32_e32 v28, vcc, v26, v28, vcc
	global_store_short v[27:28], v76, off
	s_or_b64 exec, exec, s[42:43]
	s_and_saveexec_b64 s[42:43], s[10:11]
	s_cbranch_execz .LBB1474_218
.LBB1474_285:
	v_sub_u32_e32 v27, v14, v40
	v_mov_b32_e32 v28, 0
	v_lshlrev_b64 v[27:28], 1, v[27:28]
	v_add_co_u32_e32 v27, vcc, v25, v27
	v_addc_co_u32_e32 v28, vcc, v26, v28, vcc
	global_store_short v[27:28], v34, off
	s_or_b64 exec, exec, s[42:43]
	s_and_saveexec_b64 s[42:43], s[8:9]
	s_cbranch_execz .LBB1474_219
.LBB1474_286:
	v_sub_u32_e32 v27, v13, v40
	v_mov_b32_e32 v28, 0
	v_lshlrev_b64 v[27:28], 1, v[27:28]
	v_add_co_u32_e32 v27, vcc, v25, v27
	v_addc_co_u32_e32 v28, vcc, v26, v28, vcc
	global_store_short v[27:28], v75, off
	s_or_b64 exec, exec, s[42:43]
	s_and_saveexec_b64 s[42:43], s[4:5]
	s_cbranch_execnz .LBB1474_220
	s_branch .LBB1474_221
.LBB1474_287:
	v_sub_u32_e32 v1, v37, v40
	v_lshlrev_b32_e32 v1, 1, v1
	ds_write_b16 v1, v77
	s_or_b64 exec, exec, s[42:43]
	s_and_saveexec_b64 s[34:35], s[30:31]
	s_cbranch_execz .LBB1474_225
.LBB1474_288:
	v_sub_u32_e32 v1, v24, v40
	v_lshlrev_b32_e32 v1, 1, v1
	ds_write_b16 v1, v5
	s_or_b64 exec, exec, s[34:35]
	s_and_saveexec_b64 s[30:31], s[28:29]
	s_cbranch_execz .LBB1474_226
.LBB1474_289:
	v_sub_u32_e32 v1, v23, v40
	v_lshlrev_b32_e32 v1, 1, v1
	ds_write_b16 v1, v81
	s_or_b64 exec, exec, s[30:31]
	s_and_saveexec_b64 s[28:29], s[26:27]
	s_cbranch_execz .LBB1474_227
.LBB1474_290:
	v_sub_u32_e32 v1, v22, v40
	v_lshlrev_b32_e32 v1, 1, v1
	ds_write_b16 v1, v6
	s_or_b64 exec, exec, s[28:29]
	s_and_saveexec_b64 s[26:27], s[24:25]
	s_cbranch_execz .LBB1474_228
.LBB1474_291:
	v_sub_u32_e32 v1, v21, v40
	v_lshlrev_b32_e32 v1, 1, v1
	ds_write_b16 v1, v80
	s_or_b64 exec, exec, s[26:27]
	s_and_saveexec_b64 s[24:25], s[22:23]
	s_cbranch_execz .LBB1474_229
.LBB1474_292:
	v_sub_u32_e32 v1, v20, v40
	v_lshlrev_b32_e32 v1, 1, v1
	ds_write_b16 v1, v7
	s_or_b64 exec, exec, s[24:25]
	s_and_saveexec_b64 s[22:23], s[20:21]
	s_cbranch_execz .LBB1474_230
.LBB1474_293:
	v_sub_u32_e32 v1, v19, v40
	v_lshlrev_b32_e32 v1, 1, v1
	ds_write_b16 v1, v79
	s_or_b64 exec, exec, s[22:23]
	s_and_saveexec_b64 s[20:21], s[18:19]
	s_cbranch_execz .LBB1474_231
.LBB1474_294:
	v_sub_u32_e32 v1, v18, v40
	v_lshlrev_b32_e32 v1, 1, v1
	ds_write_b16 v1, v8
	s_or_b64 exec, exec, s[20:21]
	s_and_saveexec_b64 s[18:19], s[16:17]
	s_cbranch_execz .LBB1474_232
.LBB1474_295:
	v_sub_u32_e32 v1, v17, v40
	v_lshlrev_b32_e32 v1, 1, v1
	ds_write_b16 v1, v78
	s_or_b64 exec, exec, s[18:19]
	s_and_saveexec_b64 s[16:17], s[14:15]
	s_cbranch_execz .LBB1474_233
.LBB1474_296:
	v_sub_u32_e32 v1, v16, v40
	v_lshlrev_b32_e32 v1, 1, v1
	ds_write_b16 v1, v33
	s_or_b64 exec, exec, s[16:17]
	s_and_saveexec_b64 s[14:15], s[12:13]
	s_cbranch_execz .LBB1474_234
.LBB1474_297:
	v_sub_u32_e32 v1, v15, v40
	v_lshlrev_b32_e32 v1, 1, v1
	ds_write_b16 v1, v76
	s_or_b64 exec, exec, s[14:15]
	s_and_saveexec_b64 s[12:13], s[10:11]
	s_cbranch_execz .LBB1474_235
.LBB1474_298:
	v_sub_u32_e32 v1, v14, v40
	v_lshlrev_b32_e32 v1, 1, v1
	ds_write_b16 v1, v34
	s_or_b64 exec, exec, s[12:13]
	s_and_saveexec_b64 s[10:11], s[8:9]
	s_cbranch_execz .LBB1474_236
.LBB1474_299:
	v_sub_u32_e32 v1, v13, v40
	v_lshlrev_b32_e32 v1, 1, v1
	ds_write_b16 v1, v75
	s_or_b64 exec, exec, s[10:11]
	s_and_saveexec_b64 s[8:9], s[4:5]
	s_cbranch_execnz .LBB1474_237
	s_branch .LBB1474_238
.LBB1474_300:
	v_sub_u32_e32 v26, v37, v8
	v_mov_b32_e32 v27, 0
	v_lshlrev_b64 v[26:27], 3, v[26:27]
	v_add_co_u32_e32 v26, vcc, v6, v26
	v_addc_co_u32_e32 v27, vcc, v7, v27, vcc
	global_store_dwordx2 v[26:27], v[66:67], off
	s_or_b64 exec, exec, s[42:43]
	s_and_saveexec_b64 s[42:43], s[30:31]
	s_cbranch_execz .LBB1474_242
.LBB1474_301:
	v_sub_u32_e32 v26, v24, v8
	v_mov_b32_e32 v27, 0
	v_lshlrev_b64 v[26:27], 3, v[26:27]
	v_add_co_u32_e32 v26, vcc, v6, v26
	v_addc_co_u32_e32 v27, vcc, v7, v27, vcc
	global_store_dwordx2 v[26:27], v[42:43], off
	s_or_b64 exec, exec, s[42:43]
	s_and_saveexec_b64 s[42:43], s[28:29]
	s_cbranch_execz .LBB1474_243
.LBB1474_302:
	v_sub_u32_e32 v26, v23, v8
	v_mov_b32_e32 v27, 0
	v_lshlrev_b64 v[26:27], 3, v[26:27]
	v_add_co_u32_e32 v26, vcc, v6, v26
	v_addc_co_u32_e32 v27, vcc, v7, v27, vcc
	global_store_dwordx2 v[26:27], v[44:45], off
	s_or_b64 exec, exec, s[42:43]
	s_and_saveexec_b64 s[42:43], s[26:27]
	s_cbranch_execz .LBB1474_244
.LBB1474_303:
	v_sub_u32_e32 v26, v22, v8
	v_mov_b32_e32 v27, 0
	v_lshlrev_b64 v[26:27], 3, v[26:27]
	v_add_co_u32_e32 v26, vcc, v6, v26
	v_addc_co_u32_e32 v27, vcc, v7, v27, vcc
	global_store_dwordx2 v[26:27], v[46:47], off
	s_or_b64 exec, exec, s[42:43]
	s_and_saveexec_b64 s[42:43], s[24:25]
	s_cbranch_execz .LBB1474_245
.LBB1474_304:
	v_sub_u32_e32 v26, v21, v8
	v_mov_b32_e32 v27, 0
	v_lshlrev_b64 v[26:27], 3, v[26:27]
	v_add_co_u32_e32 v26, vcc, v6, v26
	v_addc_co_u32_e32 v27, vcc, v7, v27, vcc
	global_store_dwordx2 v[26:27], v[48:49], off
	s_or_b64 exec, exec, s[42:43]
	s_and_saveexec_b64 s[42:43], s[22:23]
	s_cbranch_execz .LBB1474_246
.LBB1474_305:
	v_sub_u32_e32 v26, v20, v8
	v_mov_b32_e32 v27, 0
	v_lshlrev_b64 v[26:27], 3, v[26:27]
	v_add_co_u32_e32 v26, vcc, v6, v26
	v_addc_co_u32_e32 v27, vcc, v7, v27, vcc
	global_store_dwordx2 v[26:27], v[50:51], off
	s_or_b64 exec, exec, s[42:43]
	s_and_saveexec_b64 s[42:43], s[20:21]
	s_cbranch_execz .LBB1474_247
.LBB1474_306:
	v_sub_u32_e32 v26, v19, v8
	v_mov_b32_e32 v27, 0
	v_lshlrev_b64 v[26:27], 3, v[26:27]
	v_add_co_u32_e32 v26, vcc, v6, v26
	v_addc_co_u32_e32 v27, vcc, v7, v27, vcc
	global_store_dwordx2 v[26:27], v[52:53], off
	s_or_b64 exec, exec, s[42:43]
	s_and_saveexec_b64 s[42:43], s[18:19]
	s_cbranch_execz .LBB1474_248
.LBB1474_307:
	v_sub_u32_e32 v26, v18, v8
	v_mov_b32_e32 v27, 0
	v_lshlrev_b64 v[26:27], 3, v[26:27]
	v_add_co_u32_e32 v26, vcc, v6, v26
	v_addc_co_u32_e32 v27, vcc, v7, v27, vcc
	global_store_dwordx2 v[26:27], v[54:55], off
	s_or_b64 exec, exec, s[42:43]
	s_and_saveexec_b64 s[42:43], s[16:17]
	s_cbranch_execz .LBB1474_249
.LBB1474_308:
	v_sub_u32_e32 v26, v17, v8
	v_mov_b32_e32 v27, 0
	v_lshlrev_b64 v[26:27], 3, v[26:27]
	v_add_co_u32_e32 v26, vcc, v6, v26
	v_addc_co_u32_e32 v27, vcc, v7, v27, vcc
	global_store_dwordx2 v[26:27], v[56:57], off
	s_or_b64 exec, exec, s[42:43]
	s_and_saveexec_b64 s[42:43], s[14:15]
	s_cbranch_execz .LBB1474_250
.LBB1474_309:
	v_sub_u32_e32 v26, v16, v8
	v_mov_b32_e32 v27, 0
	v_lshlrev_b64 v[26:27], 3, v[26:27]
	v_add_co_u32_e32 v26, vcc, v6, v26
	v_addc_co_u32_e32 v27, vcc, v7, v27, vcc
	global_store_dwordx2 v[26:27], v[58:59], off
	s_or_b64 exec, exec, s[42:43]
	s_and_saveexec_b64 s[42:43], s[12:13]
	s_cbranch_execz .LBB1474_251
.LBB1474_310:
	v_sub_u32_e32 v26, v15, v8
	v_mov_b32_e32 v27, 0
	v_lshlrev_b64 v[26:27], 3, v[26:27]
	v_add_co_u32_e32 v26, vcc, v6, v26
	v_addc_co_u32_e32 v27, vcc, v7, v27, vcc
	global_store_dwordx2 v[26:27], v[60:61], off
	s_or_b64 exec, exec, s[42:43]
	s_and_saveexec_b64 s[42:43], s[8:9]
	s_cbranch_execz .LBB1474_252
.LBB1474_311:
	v_sub_u32_e32 v26, v14, v8
	v_mov_b32_e32 v27, 0
	v_lshlrev_b64 v[26:27], 3, v[26:27]
	v_add_co_u32_e32 v26, vcc, v6, v26
	v_addc_co_u32_e32 v27, vcc, v7, v27, vcc
	global_store_dwordx2 v[26:27], v[62:63], off
	s_or_b64 exec, exec, s[42:43]
	s_and_saveexec_b64 s[42:43], s[10:11]
	s_cbranch_execz .LBB1474_253
.LBB1474_312:
	v_sub_u32_e32 v26, v13, v8
	v_mov_b32_e32 v27, 0
	v_lshlrev_b64 v[26:27], 3, v[26:27]
	v_add_co_u32_e32 v26, vcc, v6, v26
	v_addc_co_u32_e32 v27, vcc, v7, v27, vcc
	global_store_dwordx2 v[26:27], v[64:65], off
	s_or_b64 exec, exec, s[42:43]
	s_and_saveexec_b64 s[42:43], s[6:7]
	s_cbranch_execnz .LBB1474_254
	s_branch .LBB1474_255
.LBB1474_313:
	v_sub_u32_e32 v25, v37, v8
	v_lshlrev_b32_e32 v25, 3, v25
	ds_write_b64 v25, v[66:67]
	s_or_b64 exec, exec, s[42:43]
	s_and_saveexec_b64 s[34:35], s[30:31]
	s_cbranch_execz .LBB1474_259
.LBB1474_314:
	v_sub_u32_e32 v24, v24, v8
	v_lshlrev_b32_e32 v24, 3, v24
	ds_write_b64 v24, v[42:43]
	s_or_b64 exec, exec, s[34:35]
	s_and_saveexec_b64 s[30:31], s[28:29]
	s_cbranch_execz .LBB1474_260
.LBB1474_315:
	v_sub_u32_e32 v23, v23, v8
	v_lshlrev_b32_e32 v23, 3, v23
	ds_write_b64 v23, v[44:45]
	s_or_b64 exec, exec, s[30:31]
	s_and_saveexec_b64 s[28:29], s[26:27]
	s_cbranch_execz .LBB1474_261
.LBB1474_316:
	v_sub_u32_e32 v22, v22, v8
	v_lshlrev_b32_e32 v22, 3, v22
	ds_write_b64 v22, v[46:47]
	s_or_b64 exec, exec, s[28:29]
	s_and_saveexec_b64 s[26:27], s[24:25]
	s_cbranch_execz .LBB1474_262
.LBB1474_317:
	v_sub_u32_e32 v21, v21, v8
	v_lshlrev_b32_e32 v21, 3, v21
	ds_write_b64 v21, v[48:49]
	s_or_b64 exec, exec, s[26:27]
	s_and_saveexec_b64 s[24:25], s[22:23]
	s_cbranch_execz .LBB1474_263
.LBB1474_318:
	v_sub_u32_e32 v20, v20, v8
	v_lshlrev_b32_e32 v20, 3, v20
	ds_write_b64 v20, v[50:51]
	s_or_b64 exec, exec, s[24:25]
	s_and_saveexec_b64 s[22:23], s[20:21]
	s_cbranch_execz .LBB1474_264
.LBB1474_319:
	v_sub_u32_e32 v19, v19, v8
	v_lshlrev_b32_e32 v19, 3, v19
	ds_write_b64 v19, v[52:53]
	s_or_b64 exec, exec, s[22:23]
	s_and_saveexec_b64 s[20:21], s[18:19]
	s_cbranch_execz .LBB1474_265
.LBB1474_320:
	v_sub_u32_e32 v18, v18, v8
	v_lshlrev_b32_e32 v18, 3, v18
	ds_write_b64 v18, v[54:55]
	s_or_b64 exec, exec, s[20:21]
	s_and_saveexec_b64 s[18:19], s[16:17]
	s_cbranch_execz .LBB1474_266
.LBB1474_321:
	v_sub_u32_e32 v17, v17, v8
	v_lshlrev_b32_e32 v17, 3, v17
	ds_write_b64 v17, v[56:57]
	s_or_b64 exec, exec, s[18:19]
	s_and_saveexec_b64 s[16:17], s[14:15]
	s_cbranch_execz .LBB1474_267
.LBB1474_322:
	v_sub_u32_e32 v16, v16, v8
	v_lshlrev_b32_e32 v16, 3, v16
	ds_write_b64 v16, v[58:59]
	s_or_b64 exec, exec, s[16:17]
	s_and_saveexec_b64 s[14:15], s[12:13]
	s_cbranch_execz .LBB1474_268
.LBB1474_323:
	v_sub_u32_e32 v15, v15, v8
	v_lshlrev_b32_e32 v15, 3, v15
	ds_write_b64 v15, v[60:61]
	s_or_b64 exec, exec, s[14:15]
	s_and_saveexec_b64 s[12:13], s[8:9]
	s_cbranch_execz .LBB1474_269
.LBB1474_324:
	v_sub_u32_e32 v14, v14, v8
	v_lshlrev_b32_e32 v14, 3, v14
	ds_write_b64 v14, v[62:63]
	s_or_b64 exec, exec, s[12:13]
	s_and_saveexec_b64 s[8:9], s[10:11]
	s_cbranch_execz .LBB1474_270
.LBB1474_325:
	v_sub_u32_e32 v13, v13, v8
	v_lshlrev_b32_e32 v13, 3, v13
	ds_write_b64 v13, v[64:65]
	s_or_b64 exec, exec, s[8:9]
	s_and_saveexec_b64 s[8:9], s[6:7]
	s_cbranch_execnz .LBB1474_271
	s_branch .LBB1474_272
	.section	.rodata,"a",@progbits
	.p2align	6, 0x0
	.amdhsa_kernel _ZN7rocprim17ROCPRIM_400000_NS6detail17trampoline_kernelINS0_14default_configENS1_29reduce_by_key_config_selectorIslN6thrust23THRUST_200600_302600_NS4plusIlEEEEZZNS1_33reduce_by_key_impl_wrapped_configILNS1_25lookback_scan_determinismE0ES3_S9_PsNS6_17constant_iteratorIiNS6_11use_defaultESE_EENS6_10device_ptrIsEENSG_IlEEPmS8_NS6_8equal_toIsEEEE10hipError_tPvRmT2_T3_mT4_T5_T6_T7_T8_P12ihipStream_tbENKUlT_T0_E_clISt17integral_constantIbLb0EES13_EEDaSY_SZ_EUlSY_E_NS1_11comp_targetILNS1_3genE2ELNS1_11target_archE906ELNS1_3gpuE6ELNS1_3repE0EEENS1_30default_config_static_selectorELNS0_4arch9wavefront6targetE1EEEvT1_
		.amdhsa_group_segment_fixed_size 30720
		.amdhsa_private_segment_fixed_size 64
		.amdhsa_kernarg_size 144
		.amdhsa_user_sgpr_count 6
		.amdhsa_user_sgpr_private_segment_buffer 1
		.amdhsa_user_sgpr_dispatch_ptr 0
		.amdhsa_user_sgpr_queue_ptr 0
		.amdhsa_user_sgpr_kernarg_segment_ptr 1
		.amdhsa_user_sgpr_dispatch_id 0
		.amdhsa_user_sgpr_flat_scratch_init 0
		.amdhsa_user_sgpr_private_segment_size 0
		.amdhsa_uses_dynamic_stack 0
		.amdhsa_system_sgpr_private_segment_wavefront_offset 1
		.amdhsa_system_sgpr_workgroup_id_x 1
		.amdhsa_system_sgpr_workgroup_id_y 0
		.amdhsa_system_sgpr_workgroup_id_z 0
		.amdhsa_system_sgpr_workgroup_info 0
		.amdhsa_system_vgpr_workitem_id 0
		.amdhsa_next_free_vgpr 106
		.amdhsa_next_free_sgpr 98
		.amdhsa_reserve_vcc 1
		.amdhsa_reserve_flat_scratch 0
		.amdhsa_float_round_mode_32 0
		.amdhsa_float_round_mode_16_64 0
		.amdhsa_float_denorm_mode_32 3
		.amdhsa_float_denorm_mode_16_64 3
		.amdhsa_dx10_clamp 1
		.amdhsa_ieee_mode 1
		.amdhsa_fp16_overflow 0
		.amdhsa_exception_fp_ieee_invalid_op 0
		.amdhsa_exception_fp_denorm_src 0
		.amdhsa_exception_fp_ieee_div_zero 0
		.amdhsa_exception_fp_ieee_overflow 0
		.amdhsa_exception_fp_ieee_underflow 0
		.amdhsa_exception_fp_ieee_inexact 0
		.amdhsa_exception_int_div_zero 0
	.end_amdhsa_kernel
	.section	.text._ZN7rocprim17ROCPRIM_400000_NS6detail17trampoline_kernelINS0_14default_configENS1_29reduce_by_key_config_selectorIslN6thrust23THRUST_200600_302600_NS4plusIlEEEEZZNS1_33reduce_by_key_impl_wrapped_configILNS1_25lookback_scan_determinismE0ES3_S9_PsNS6_17constant_iteratorIiNS6_11use_defaultESE_EENS6_10device_ptrIsEENSG_IlEEPmS8_NS6_8equal_toIsEEEE10hipError_tPvRmT2_T3_mT4_T5_T6_T7_T8_P12ihipStream_tbENKUlT_T0_E_clISt17integral_constantIbLb0EES13_EEDaSY_SZ_EUlSY_E_NS1_11comp_targetILNS1_3genE2ELNS1_11target_archE906ELNS1_3gpuE6ELNS1_3repE0EEENS1_30default_config_static_selectorELNS0_4arch9wavefront6targetE1EEEvT1_,"axG",@progbits,_ZN7rocprim17ROCPRIM_400000_NS6detail17trampoline_kernelINS0_14default_configENS1_29reduce_by_key_config_selectorIslN6thrust23THRUST_200600_302600_NS4plusIlEEEEZZNS1_33reduce_by_key_impl_wrapped_configILNS1_25lookback_scan_determinismE0ES3_S9_PsNS6_17constant_iteratorIiNS6_11use_defaultESE_EENS6_10device_ptrIsEENSG_IlEEPmS8_NS6_8equal_toIsEEEE10hipError_tPvRmT2_T3_mT4_T5_T6_T7_T8_P12ihipStream_tbENKUlT_T0_E_clISt17integral_constantIbLb0EES13_EEDaSY_SZ_EUlSY_E_NS1_11comp_targetILNS1_3genE2ELNS1_11target_archE906ELNS1_3gpuE6ELNS1_3repE0EEENS1_30default_config_static_selectorELNS0_4arch9wavefront6targetE1EEEvT1_,comdat
.Lfunc_end1474:
	.size	_ZN7rocprim17ROCPRIM_400000_NS6detail17trampoline_kernelINS0_14default_configENS1_29reduce_by_key_config_selectorIslN6thrust23THRUST_200600_302600_NS4plusIlEEEEZZNS1_33reduce_by_key_impl_wrapped_configILNS1_25lookback_scan_determinismE0ES3_S9_PsNS6_17constant_iteratorIiNS6_11use_defaultESE_EENS6_10device_ptrIsEENSG_IlEEPmS8_NS6_8equal_toIsEEEE10hipError_tPvRmT2_T3_mT4_T5_T6_T7_T8_P12ihipStream_tbENKUlT_T0_E_clISt17integral_constantIbLb0EES13_EEDaSY_SZ_EUlSY_E_NS1_11comp_targetILNS1_3genE2ELNS1_11target_archE906ELNS1_3gpuE6ELNS1_3repE0EEENS1_30default_config_static_selectorELNS0_4arch9wavefront6targetE1EEEvT1_, .Lfunc_end1474-_ZN7rocprim17ROCPRIM_400000_NS6detail17trampoline_kernelINS0_14default_configENS1_29reduce_by_key_config_selectorIslN6thrust23THRUST_200600_302600_NS4plusIlEEEEZZNS1_33reduce_by_key_impl_wrapped_configILNS1_25lookback_scan_determinismE0ES3_S9_PsNS6_17constant_iteratorIiNS6_11use_defaultESE_EENS6_10device_ptrIsEENSG_IlEEPmS8_NS6_8equal_toIsEEEE10hipError_tPvRmT2_T3_mT4_T5_T6_T7_T8_P12ihipStream_tbENKUlT_T0_E_clISt17integral_constantIbLb0EES13_EEDaSY_SZ_EUlSY_E_NS1_11comp_targetILNS1_3genE2ELNS1_11target_archE906ELNS1_3gpuE6ELNS1_3repE0EEENS1_30default_config_static_selectorELNS0_4arch9wavefront6targetE1EEEvT1_
                                        ; -- End function
	.set _ZN7rocprim17ROCPRIM_400000_NS6detail17trampoline_kernelINS0_14default_configENS1_29reduce_by_key_config_selectorIslN6thrust23THRUST_200600_302600_NS4plusIlEEEEZZNS1_33reduce_by_key_impl_wrapped_configILNS1_25lookback_scan_determinismE0ES3_S9_PsNS6_17constant_iteratorIiNS6_11use_defaultESE_EENS6_10device_ptrIsEENSG_IlEEPmS8_NS6_8equal_toIsEEEE10hipError_tPvRmT2_T3_mT4_T5_T6_T7_T8_P12ihipStream_tbENKUlT_T0_E_clISt17integral_constantIbLb0EES13_EEDaSY_SZ_EUlSY_E_NS1_11comp_targetILNS1_3genE2ELNS1_11target_archE906ELNS1_3gpuE6ELNS1_3repE0EEENS1_30default_config_static_selectorELNS0_4arch9wavefront6targetE1EEEvT1_.num_vgpr, 106
	.set _ZN7rocprim17ROCPRIM_400000_NS6detail17trampoline_kernelINS0_14default_configENS1_29reduce_by_key_config_selectorIslN6thrust23THRUST_200600_302600_NS4plusIlEEEEZZNS1_33reduce_by_key_impl_wrapped_configILNS1_25lookback_scan_determinismE0ES3_S9_PsNS6_17constant_iteratorIiNS6_11use_defaultESE_EENS6_10device_ptrIsEENSG_IlEEPmS8_NS6_8equal_toIsEEEE10hipError_tPvRmT2_T3_mT4_T5_T6_T7_T8_P12ihipStream_tbENKUlT_T0_E_clISt17integral_constantIbLb0EES13_EEDaSY_SZ_EUlSY_E_NS1_11comp_targetILNS1_3genE2ELNS1_11target_archE906ELNS1_3gpuE6ELNS1_3repE0EEENS1_30default_config_static_selectorELNS0_4arch9wavefront6targetE1EEEvT1_.num_agpr, 0
	.set _ZN7rocprim17ROCPRIM_400000_NS6detail17trampoline_kernelINS0_14default_configENS1_29reduce_by_key_config_selectorIslN6thrust23THRUST_200600_302600_NS4plusIlEEEEZZNS1_33reduce_by_key_impl_wrapped_configILNS1_25lookback_scan_determinismE0ES3_S9_PsNS6_17constant_iteratorIiNS6_11use_defaultESE_EENS6_10device_ptrIsEENSG_IlEEPmS8_NS6_8equal_toIsEEEE10hipError_tPvRmT2_T3_mT4_T5_T6_T7_T8_P12ihipStream_tbENKUlT_T0_E_clISt17integral_constantIbLb0EES13_EEDaSY_SZ_EUlSY_E_NS1_11comp_targetILNS1_3genE2ELNS1_11target_archE906ELNS1_3gpuE6ELNS1_3repE0EEENS1_30default_config_static_selectorELNS0_4arch9wavefront6targetE1EEEvT1_.numbered_sgpr, 66
	.set _ZN7rocprim17ROCPRIM_400000_NS6detail17trampoline_kernelINS0_14default_configENS1_29reduce_by_key_config_selectorIslN6thrust23THRUST_200600_302600_NS4plusIlEEEEZZNS1_33reduce_by_key_impl_wrapped_configILNS1_25lookback_scan_determinismE0ES3_S9_PsNS6_17constant_iteratorIiNS6_11use_defaultESE_EENS6_10device_ptrIsEENSG_IlEEPmS8_NS6_8equal_toIsEEEE10hipError_tPvRmT2_T3_mT4_T5_T6_T7_T8_P12ihipStream_tbENKUlT_T0_E_clISt17integral_constantIbLb0EES13_EEDaSY_SZ_EUlSY_E_NS1_11comp_targetILNS1_3genE2ELNS1_11target_archE906ELNS1_3gpuE6ELNS1_3repE0EEENS1_30default_config_static_selectorELNS0_4arch9wavefront6targetE1EEEvT1_.num_named_barrier, 0
	.set _ZN7rocprim17ROCPRIM_400000_NS6detail17trampoline_kernelINS0_14default_configENS1_29reduce_by_key_config_selectorIslN6thrust23THRUST_200600_302600_NS4plusIlEEEEZZNS1_33reduce_by_key_impl_wrapped_configILNS1_25lookback_scan_determinismE0ES3_S9_PsNS6_17constant_iteratorIiNS6_11use_defaultESE_EENS6_10device_ptrIsEENSG_IlEEPmS8_NS6_8equal_toIsEEEE10hipError_tPvRmT2_T3_mT4_T5_T6_T7_T8_P12ihipStream_tbENKUlT_T0_E_clISt17integral_constantIbLb0EES13_EEDaSY_SZ_EUlSY_E_NS1_11comp_targetILNS1_3genE2ELNS1_11target_archE906ELNS1_3gpuE6ELNS1_3repE0EEENS1_30default_config_static_selectorELNS0_4arch9wavefront6targetE1EEEvT1_.private_seg_size, 64
	.set _ZN7rocprim17ROCPRIM_400000_NS6detail17trampoline_kernelINS0_14default_configENS1_29reduce_by_key_config_selectorIslN6thrust23THRUST_200600_302600_NS4plusIlEEEEZZNS1_33reduce_by_key_impl_wrapped_configILNS1_25lookback_scan_determinismE0ES3_S9_PsNS6_17constant_iteratorIiNS6_11use_defaultESE_EENS6_10device_ptrIsEENSG_IlEEPmS8_NS6_8equal_toIsEEEE10hipError_tPvRmT2_T3_mT4_T5_T6_T7_T8_P12ihipStream_tbENKUlT_T0_E_clISt17integral_constantIbLb0EES13_EEDaSY_SZ_EUlSY_E_NS1_11comp_targetILNS1_3genE2ELNS1_11target_archE906ELNS1_3gpuE6ELNS1_3repE0EEENS1_30default_config_static_selectorELNS0_4arch9wavefront6targetE1EEEvT1_.uses_vcc, 1
	.set _ZN7rocprim17ROCPRIM_400000_NS6detail17trampoline_kernelINS0_14default_configENS1_29reduce_by_key_config_selectorIslN6thrust23THRUST_200600_302600_NS4plusIlEEEEZZNS1_33reduce_by_key_impl_wrapped_configILNS1_25lookback_scan_determinismE0ES3_S9_PsNS6_17constant_iteratorIiNS6_11use_defaultESE_EENS6_10device_ptrIsEENSG_IlEEPmS8_NS6_8equal_toIsEEEE10hipError_tPvRmT2_T3_mT4_T5_T6_T7_T8_P12ihipStream_tbENKUlT_T0_E_clISt17integral_constantIbLb0EES13_EEDaSY_SZ_EUlSY_E_NS1_11comp_targetILNS1_3genE2ELNS1_11target_archE906ELNS1_3gpuE6ELNS1_3repE0EEENS1_30default_config_static_selectorELNS0_4arch9wavefront6targetE1EEEvT1_.uses_flat_scratch, 0
	.set _ZN7rocprim17ROCPRIM_400000_NS6detail17trampoline_kernelINS0_14default_configENS1_29reduce_by_key_config_selectorIslN6thrust23THRUST_200600_302600_NS4plusIlEEEEZZNS1_33reduce_by_key_impl_wrapped_configILNS1_25lookback_scan_determinismE0ES3_S9_PsNS6_17constant_iteratorIiNS6_11use_defaultESE_EENS6_10device_ptrIsEENSG_IlEEPmS8_NS6_8equal_toIsEEEE10hipError_tPvRmT2_T3_mT4_T5_T6_T7_T8_P12ihipStream_tbENKUlT_T0_E_clISt17integral_constantIbLb0EES13_EEDaSY_SZ_EUlSY_E_NS1_11comp_targetILNS1_3genE2ELNS1_11target_archE906ELNS1_3gpuE6ELNS1_3repE0EEENS1_30default_config_static_selectorELNS0_4arch9wavefront6targetE1EEEvT1_.has_dyn_sized_stack, 0
	.set _ZN7rocprim17ROCPRIM_400000_NS6detail17trampoline_kernelINS0_14default_configENS1_29reduce_by_key_config_selectorIslN6thrust23THRUST_200600_302600_NS4plusIlEEEEZZNS1_33reduce_by_key_impl_wrapped_configILNS1_25lookback_scan_determinismE0ES3_S9_PsNS6_17constant_iteratorIiNS6_11use_defaultESE_EENS6_10device_ptrIsEENSG_IlEEPmS8_NS6_8equal_toIsEEEE10hipError_tPvRmT2_T3_mT4_T5_T6_T7_T8_P12ihipStream_tbENKUlT_T0_E_clISt17integral_constantIbLb0EES13_EEDaSY_SZ_EUlSY_E_NS1_11comp_targetILNS1_3genE2ELNS1_11target_archE906ELNS1_3gpuE6ELNS1_3repE0EEENS1_30default_config_static_selectorELNS0_4arch9wavefront6targetE1EEEvT1_.has_recursion, 0
	.set _ZN7rocprim17ROCPRIM_400000_NS6detail17trampoline_kernelINS0_14default_configENS1_29reduce_by_key_config_selectorIslN6thrust23THRUST_200600_302600_NS4plusIlEEEEZZNS1_33reduce_by_key_impl_wrapped_configILNS1_25lookback_scan_determinismE0ES3_S9_PsNS6_17constant_iteratorIiNS6_11use_defaultESE_EENS6_10device_ptrIsEENSG_IlEEPmS8_NS6_8equal_toIsEEEE10hipError_tPvRmT2_T3_mT4_T5_T6_T7_T8_P12ihipStream_tbENKUlT_T0_E_clISt17integral_constantIbLb0EES13_EEDaSY_SZ_EUlSY_E_NS1_11comp_targetILNS1_3genE2ELNS1_11target_archE906ELNS1_3gpuE6ELNS1_3repE0EEENS1_30default_config_static_selectorELNS0_4arch9wavefront6targetE1EEEvT1_.has_indirect_call, 0
	.section	.AMDGPU.csdata,"",@progbits
; Kernel info:
; codeLenInByte = 17300
; TotalNumSgprs: 70
; NumVgprs: 106
; ScratchSize: 64
; MemoryBound: 0
; FloatMode: 240
; IeeeMode: 1
; LDSByteSize: 30720 bytes/workgroup (compile time only)
; SGPRBlocks: 12
; VGPRBlocks: 26
; NumSGPRsForWavesPerEU: 102
; NumVGPRsForWavesPerEU: 106
; Occupancy: 2
; WaveLimiterHint : 1
; COMPUTE_PGM_RSRC2:SCRATCH_EN: 1
; COMPUTE_PGM_RSRC2:USER_SGPR: 6
; COMPUTE_PGM_RSRC2:TRAP_HANDLER: 0
; COMPUTE_PGM_RSRC2:TGID_X_EN: 1
; COMPUTE_PGM_RSRC2:TGID_Y_EN: 0
; COMPUTE_PGM_RSRC2:TGID_Z_EN: 0
; COMPUTE_PGM_RSRC2:TIDIG_COMP_CNT: 0
	.section	.text._ZN7rocprim17ROCPRIM_400000_NS6detail17trampoline_kernelINS0_14default_configENS1_29reduce_by_key_config_selectorIslN6thrust23THRUST_200600_302600_NS4plusIlEEEEZZNS1_33reduce_by_key_impl_wrapped_configILNS1_25lookback_scan_determinismE0ES3_S9_PsNS6_17constant_iteratorIiNS6_11use_defaultESE_EENS6_10device_ptrIsEENSG_IlEEPmS8_NS6_8equal_toIsEEEE10hipError_tPvRmT2_T3_mT4_T5_T6_T7_T8_P12ihipStream_tbENKUlT_T0_E_clISt17integral_constantIbLb0EES13_EEDaSY_SZ_EUlSY_E_NS1_11comp_targetILNS1_3genE10ELNS1_11target_archE1201ELNS1_3gpuE5ELNS1_3repE0EEENS1_30default_config_static_selectorELNS0_4arch9wavefront6targetE1EEEvT1_,"axG",@progbits,_ZN7rocprim17ROCPRIM_400000_NS6detail17trampoline_kernelINS0_14default_configENS1_29reduce_by_key_config_selectorIslN6thrust23THRUST_200600_302600_NS4plusIlEEEEZZNS1_33reduce_by_key_impl_wrapped_configILNS1_25lookback_scan_determinismE0ES3_S9_PsNS6_17constant_iteratorIiNS6_11use_defaultESE_EENS6_10device_ptrIsEENSG_IlEEPmS8_NS6_8equal_toIsEEEE10hipError_tPvRmT2_T3_mT4_T5_T6_T7_T8_P12ihipStream_tbENKUlT_T0_E_clISt17integral_constantIbLb0EES13_EEDaSY_SZ_EUlSY_E_NS1_11comp_targetILNS1_3genE10ELNS1_11target_archE1201ELNS1_3gpuE5ELNS1_3repE0EEENS1_30default_config_static_selectorELNS0_4arch9wavefront6targetE1EEEvT1_,comdat
	.protected	_ZN7rocprim17ROCPRIM_400000_NS6detail17trampoline_kernelINS0_14default_configENS1_29reduce_by_key_config_selectorIslN6thrust23THRUST_200600_302600_NS4plusIlEEEEZZNS1_33reduce_by_key_impl_wrapped_configILNS1_25lookback_scan_determinismE0ES3_S9_PsNS6_17constant_iteratorIiNS6_11use_defaultESE_EENS6_10device_ptrIsEENSG_IlEEPmS8_NS6_8equal_toIsEEEE10hipError_tPvRmT2_T3_mT4_T5_T6_T7_T8_P12ihipStream_tbENKUlT_T0_E_clISt17integral_constantIbLb0EES13_EEDaSY_SZ_EUlSY_E_NS1_11comp_targetILNS1_3genE10ELNS1_11target_archE1201ELNS1_3gpuE5ELNS1_3repE0EEENS1_30default_config_static_selectorELNS0_4arch9wavefront6targetE1EEEvT1_ ; -- Begin function _ZN7rocprim17ROCPRIM_400000_NS6detail17trampoline_kernelINS0_14default_configENS1_29reduce_by_key_config_selectorIslN6thrust23THRUST_200600_302600_NS4plusIlEEEEZZNS1_33reduce_by_key_impl_wrapped_configILNS1_25lookback_scan_determinismE0ES3_S9_PsNS6_17constant_iteratorIiNS6_11use_defaultESE_EENS6_10device_ptrIsEENSG_IlEEPmS8_NS6_8equal_toIsEEEE10hipError_tPvRmT2_T3_mT4_T5_T6_T7_T8_P12ihipStream_tbENKUlT_T0_E_clISt17integral_constantIbLb0EES13_EEDaSY_SZ_EUlSY_E_NS1_11comp_targetILNS1_3genE10ELNS1_11target_archE1201ELNS1_3gpuE5ELNS1_3repE0EEENS1_30default_config_static_selectorELNS0_4arch9wavefront6targetE1EEEvT1_
	.globl	_ZN7rocprim17ROCPRIM_400000_NS6detail17trampoline_kernelINS0_14default_configENS1_29reduce_by_key_config_selectorIslN6thrust23THRUST_200600_302600_NS4plusIlEEEEZZNS1_33reduce_by_key_impl_wrapped_configILNS1_25lookback_scan_determinismE0ES3_S9_PsNS6_17constant_iteratorIiNS6_11use_defaultESE_EENS6_10device_ptrIsEENSG_IlEEPmS8_NS6_8equal_toIsEEEE10hipError_tPvRmT2_T3_mT4_T5_T6_T7_T8_P12ihipStream_tbENKUlT_T0_E_clISt17integral_constantIbLb0EES13_EEDaSY_SZ_EUlSY_E_NS1_11comp_targetILNS1_3genE10ELNS1_11target_archE1201ELNS1_3gpuE5ELNS1_3repE0EEENS1_30default_config_static_selectorELNS0_4arch9wavefront6targetE1EEEvT1_
	.p2align	8
	.type	_ZN7rocprim17ROCPRIM_400000_NS6detail17trampoline_kernelINS0_14default_configENS1_29reduce_by_key_config_selectorIslN6thrust23THRUST_200600_302600_NS4plusIlEEEEZZNS1_33reduce_by_key_impl_wrapped_configILNS1_25lookback_scan_determinismE0ES3_S9_PsNS6_17constant_iteratorIiNS6_11use_defaultESE_EENS6_10device_ptrIsEENSG_IlEEPmS8_NS6_8equal_toIsEEEE10hipError_tPvRmT2_T3_mT4_T5_T6_T7_T8_P12ihipStream_tbENKUlT_T0_E_clISt17integral_constantIbLb0EES13_EEDaSY_SZ_EUlSY_E_NS1_11comp_targetILNS1_3genE10ELNS1_11target_archE1201ELNS1_3gpuE5ELNS1_3repE0EEENS1_30default_config_static_selectorELNS0_4arch9wavefront6targetE1EEEvT1_,@function
_ZN7rocprim17ROCPRIM_400000_NS6detail17trampoline_kernelINS0_14default_configENS1_29reduce_by_key_config_selectorIslN6thrust23THRUST_200600_302600_NS4plusIlEEEEZZNS1_33reduce_by_key_impl_wrapped_configILNS1_25lookback_scan_determinismE0ES3_S9_PsNS6_17constant_iteratorIiNS6_11use_defaultESE_EENS6_10device_ptrIsEENSG_IlEEPmS8_NS6_8equal_toIsEEEE10hipError_tPvRmT2_T3_mT4_T5_T6_T7_T8_P12ihipStream_tbENKUlT_T0_E_clISt17integral_constantIbLb0EES13_EEDaSY_SZ_EUlSY_E_NS1_11comp_targetILNS1_3genE10ELNS1_11target_archE1201ELNS1_3gpuE5ELNS1_3repE0EEENS1_30default_config_static_selectorELNS0_4arch9wavefront6targetE1EEEvT1_: ; @_ZN7rocprim17ROCPRIM_400000_NS6detail17trampoline_kernelINS0_14default_configENS1_29reduce_by_key_config_selectorIslN6thrust23THRUST_200600_302600_NS4plusIlEEEEZZNS1_33reduce_by_key_impl_wrapped_configILNS1_25lookback_scan_determinismE0ES3_S9_PsNS6_17constant_iteratorIiNS6_11use_defaultESE_EENS6_10device_ptrIsEENSG_IlEEPmS8_NS6_8equal_toIsEEEE10hipError_tPvRmT2_T3_mT4_T5_T6_T7_T8_P12ihipStream_tbENKUlT_T0_E_clISt17integral_constantIbLb0EES13_EEDaSY_SZ_EUlSY_E_NS1_11comp_targetILNS1_3genE10ELNS1_11target_archE1201ELNS1_3gpuE5ELNS1_3repE0EEENS1_30default_config_static_selectorELNS0_4arch9wavefront6targetE1EEEvT1_
; %bb.0:
	.section	.rodata,"a",@progbits
	.p2align	6, 0x0
	.amdhsa_kernel _ZN7rocprim17ROCPRIM_400000_NS6detail17trampoline_kernelINS0_14default_configENS1_29reduce_by_key_config_selectorIslN6thrust23THRUST_200600_302600_NS4plusIlEEEEZZNS1_33reduce_by_key_impl_wrapped_configILNS1_25lookback_scan_determinismE0ES3_S9_PsNS6_17constant_iteratorIiNS6_11use_defaultESE_EENS6_10device_ptrIsEENSG_IlEEPmS8_NS6_8equal_toIsEEEE10hipError_tPvRmT2_T3_mT4_T5_T6_T7_T8_P12ihipStream_tbENKUlT_T0_E_clISt17integral_constantIbLb0EES13_EEDaSY_SZ_EUlSY_E_NS1_11comp_targetILNS1_3genE10ELNS1_11target_archE1201ELNS1_3gpuE5ELNS1_3repE0EEENS1_30default_config_static_selectorELNS0_4arch9wavefront6targetE1EEEvT1_
		.amdhsa_group_segment_fixed_size 0
		.amdhsa_private_segment_fixed_size 0
		.amdhsa_kernarg_size 144
		.amdhsa_user_sgpr_count 6
		.amdhsa_user_sgpr_private_segment_buffer 1
		.amdhsa_user_sgpr_dispatch_ptr 0
		.amdhsa_user_sgpr_queue_ptr 0
		.amdhsa_user_sgpr_kernarg_segment_ptr 1
		.amdhsa_user_sgpr_dispatch_id 0
		.amdhsa_user_sgpr_flat_scratch_init 0
		.amdhsa_user_sgpr_private_segment_size 0
		.amdhsa_uses_dynamic_stack 0
		.amdhsa_system_sgpr_private_segment_wavefront_offset 0
		.amdhsa_system_sgpr_workgroup_id_x 1
		.amdhsa_system_sgpr_workgroup_id_y 0
		.amdhsa_system_sgpr_workgroup_id_z 0
		.amdhsa_system_sgpr_workgroup_info 0
		.amdhsa_system_vgpr_workitem_id 0
		.amdhsa_next_free_vgpr 1
		.amdhsa_next_free_sgpr 0
		.amdhsa_reserve_vcc 0
		.amdhsa_reserve_flat_scratch 0
		.amdhsa_float_round_mode_32 0
		.amdhsa_float_round_mode_16_64 0
		.amdhsa_float_denorm_mode_32 3
		.amdhsa_float_denorm_mode_16_64 3
		.amdhsa_dx10_clamp 1
		.amdhsa_ieee_mode 1
		.amdhsa_fp16_overflow 0
		.amdhsa_exception_fp_ieee_invalid_op 0
		.amdhsa_exception_fp_denorm_src 0
		.amdhsa_exception_fp_ieee_div_zero 0
		.amdhsa_exception_fp_ieee_overflow 0
		.amdhsa_exception_fp_ieee_underflow 0
		.amdhsa_exception_fp_ieee_inexact 0
		.amdhsa_exception_int_div_zero 0
	.end_amdhsa_kernel
	.section	.text._ZN7rocprim17ROCPRIM_400000_NS6detail17trampoline_kernelINS0_14default_configENS1_29reduce_by_key_config_selectorIslN6thrust23THRUST_200600_302600_NS4plusIlEEEEZZNS1_33reduce_by_key_impl_wrapped_configILNS1_25lookback_scan_determinismE0ES3_S9_PsNS6_17constant_iteratorIiNS6_11use_defaultESE_EENS6_10device_ptrIsEENSG_IlEEPmS8_NS6_8equal_toIsEEEE10hipError_tPvRmT2_T3_mT4_T5_T6_T7_T8_P12ihipStream_tbENKUlT_T0_E_clISt17integral_constantIbLb0EES13_EEDaSY_SZ_EUlSY_E_NS1_11comp_targetILNS1_3genE10ELNS1_11target_archE1201ELNS1_3gpuE5ELNS1_3repE0EEENS1_30default_config_static_selectorELNS0_4arch9wavefront6targetE1EEEvT1_,"axG",@progbits,_ZN7rocprim17ROCPRIM_400000_NS6detail17trampoline_kernelINS0_14default_configENS1_29reduce_by_key_config_selectorIslN6thrust23THRUST_200600_302600_NS4plusIlEEEEZZNS1_33reduce_by_key_impl_wrapped_configILNS1_25lookback_scan_determinismE0ES3_S9_PsNS6_17constant_iteratorIiNS6_11use_defaultESE_EENS6_10device_ptrIsEENSG_IlEEPmS8_NS6_8equal_toIsEEEE10hipError_tPvRmT2_T3_mT4_T5_T6_T7_T8_P12ihipStream_tbENKUlT_T0_E_clISt17integral_constantIbLb0EES13_EEDaSY_SZ_EUlSY_E_NS1_11comp_targetILNS1_3genE10ELNS1_11target_archE1201ELNS1_3gpuE5ELNS1_3repE0EEENS1_30default_config_static_selectorELNS0_4arch9wavefront6targetE1EEEvT1_,comdat
.Lfunc_end1475:
	.size	_ZN7rocprim17ROCPRIM_400000_NS6detail17trampoline_kernelINS0_14default_configENS1_29reduce_by_key_config_selectorIslN6thrust23THRUST_200600_302600_NS4plusIlEEEEZZNS1_33reduce_by_key_impl_wrapped_configILNS1_25lookback_scan_determinismE0ES3_S9_PsNS6_17constant_iteratorIiNS6_11use_defaultESE_EENS6_10device_ptrIsEENSG_IlEEPmS8_NS6_8equal_toIsEEEE10hipError_tPvRmT2_T3_mT4_T5_T6_T7_T8_P12ihipStream_tbENKUlT_T0_E_clISt17integral_constantIbLb0EES13_EEDaSY_SZ_EUlSY_E_NS1_11comp_targetILNS1_3genE10ELNS1_11target_archE1201ELNS1_3gpuE5ELNS1_3repE0EEENS1_30default_config_static_selectorELNS0_4arch9wavefront6targetE1EEEvT1_, .Lfunc_end1475-_ZN7rocprim17ROCPRIM_400000_NS6detail17trampoline_kernelINS0_14default_configENS1_29reduce_by_key_config_selectorIslN6thrust23THRUST_200600_302600_NS4plusIlEEEEZZNS1_33reduce_by_key_impl_wrapped_configILNS1_25lookback_scan_determinismE0ES3_S9_PsNS6_17constant_iteratorIiNS6_11use_defaultESE_EENS6_10device_ptrIsEENSG_IlEEPmS8_NS6_8equal_toIsEEEE10hipError_tPvRmT2_T3_mT4_T5_T6_T7_T8_P12ihipStream_tbENKUlT_T0_E_clISt17integral_constantIbLb0EES13_EEDaSY_SZ_EUlSY_E_NS1_11comp_targetILNS1_3genE10ELNS1_11target_archE1201ELNS1_3gpuE5ELNS1_3repE0EEENS1_30default_config_static_selectorELNS0_4arch9wavefront6targetE1EEEvT1_
                                        ; -- End function
	.set _ZN7rocprim17ROCPRIM_400000_NS6detail17trampoline_kernelINS0_14default_configENS1_29reduce_by_key_config_selectorIslN6thrust23THRUST_200600_302600_NS4plusIlEEEEZZNS1_33reduce_by_key_impl_wrapped_configILNS1_25lookback_scan_determinismE0ES3_S9_PsNS6_17constant_iteratorIiNS6_11use_defaultESE_EENS6_10device_ptrIsEENSG_IlEEPmS8_NS6_8equal_toIsEEEE10hipError_tPvRmT2_T3_mT4_T5_T6_T7_T8_P12ihipStream_tbENKUlT_T0_E_clISt17integral_constantIbLb0EES13_EEDaSY_SZ_EUlSY_E_NS1_11comp_targetILNS1_3genE10ELNS1_11target_archE1201ELNS1_3gpuE5ELNS1_3repE0EEENS1_30default_config_static_selectorELNS0_4arch9wavefront6targetE1EEEvT1_.num_vgpr, 0
	.set _ZN7rocprim17ROCPRIM_400000_NS6detail17trampoline_kernelINS0_14default_configENS1_29reduce_by_key_config_selectorIslN6thrust23THRUST_200600_302600_NS4plusIlEEEEZZNS1_33reduce_by_key_impl_wrapped_configILNS1_25lookback_scan_determinismE0ES3_S9_PsNS6_17constant_iteratorIiNS6_11use_defaultESE_EENS6_10device_ptrIsEENSG_IlEEPmS8_NS6_8equal_toIsEEEE10hipError_tPvRmT2_T3_mT4_T5_T6_T7_T8_P12ihipStream_tbENKUlT_T0_E_clISt17integral_constantIbLb0EES13_EEDaSY_SZ_EUlSY_E_NS1_11comp_targetILNS1_3genE10ELNS1_11target_archE1201ELNS1_3gpuE5ELNS1_3repE0EEENS1_30default_config_static_selectorELNS0_4arch9wavefront6targetE1EEEvT1_.num_agpr, 0
	.set _ZN7rocprim17ROCPRIM_400000_NS6detail17trampoline_kernelINS0_14default_configENS1_29reduce_by_key_config_selectorIslN6thrust23THRUST_200600_302600_NS4plusIlEEEEZZNS1_33reduce_by_key_impl_wrapped_configILNS1_25lookback_scan_determinismE0ES3_S9_PsNS6_17constant_iteratorIiNS6_11use_defaultESE_EENS6_10device_ptrIsEENSG_IlEEPmS8_NS6_8equal_toIsEEEE10hipError_tPvRmT2_T3_mT4_T5_T6_T7_T8_P12ihipStream_tbENKUlT_T0_E_clISt17integral_constantIbLb0EES13_EEDaSY_SZ_EUlSY_E_NS1_11comp_targetILNS1_3genE10ELNS1_11target_archE1201ELNS1_3gpuE5ELNS1_3repE0EEENS1_30default_config_static_selectorELNS0_4arch9wavefront6targetE1EEEvT1_.numbered_sgpr, 0
	.set _ZN7rocprim17ROCPRIM_400000_NS6detail17trampoline_kernelINS0_14default_configENS1_29reduce_by_key_config_selectorIslN6thrust23THRUST_200600_302600_NS4plusIlEEEEZZNS1_33reduce_by_key_impl_wrapped_configILNS1_25lookback_scan_determinismE0ES3_S9_PsNS6_17constant_iteratorIiNS6_11use_defaultESE_EENS6_10device_ptrIsEENSG_IlEEPmS8_NS6_8equal_toIsEEEE10hipError_tPvRmT2_T3_mT4_T5_T6_T7_T8_P12ihipStream_tbENKUlT_T0_E_clISt17integral_constantIbLb0EES13_EEDaSY_SZ_EUlSY_E_NS1_11comp_targetILNS1_3genE10ELNS1_11target_archE1201ELNS1_3gpuE5ELNS1_3repE0EEENS1_30default_config_static_selectorELNS0_4arch9wavefront6targetE1EEEvT1_.num_named_barrier, 0
	.set _ZN7rocprim17ROCPRIM_400000_NS6detail17trampoline_kernelINS0_14default_configENS1_29reduce_by_key_config_selectorIslN6thrust23THRUST_200600_302600_NS4plusIlEEEEZZNS1_33reduce_by_key_impl_wrapped_configILNS1_25lookback_scan_determinismE0ES3_S9_PsNS6_17constant_iteratorIiNS6_11use_defaultESE_EENS6_10device_ptrIsEENSG_IlEEPmS8_NS6_8equal_toIsEEEE10hipError_tPvRmT2_T3_mT4_T5_T6_T7_T8_P12ihipStream_tbENKUlT_T0_E_clISt17integral_constantIbLb0EES13_EEDaSY_SZ_EUlSY_E_NS1_11comp_targetILNS1_3genE10ELNS1_11target_archE1201ELNS1_3gpuE5ELNS1_3repE0EEENS1_30default_config_static_selectorELNS0_4arch9wavefront6targetE1EEEvT1_.private_seg_size, 0
	.set _ZN7rocprim17ROCPRIM_400000_NS6detail17trampoline_kernelINS0_14default_configENS1_29reduce_by_key_config_selectorIslN6thrust23THRUST_200600_302600_NS4plusIlEEEEZZNS1_33reduce_by_key_impl_wrapped_configILNS1_25lookback_scan_determinismE0ES3_S9_PsNS6_17constant_iteratorIiNS6_11use_defaultESE_EENS6_10device_ptrIsEENSG_IlEEPmS8_NS6_8equal_toIsEEEE10hipError_tPvRmT2_T3_mT4_T5_T6_T7_T8_P12ihipStream_tbENKUlT_T0_E_clISt17integral_constantIbLb0EES13_EEDaSY_SZ_EUlSY_E_NS1_11comp_targetILNS1_3genE10ELNS1_11target_archE1201ELNS1_3gpuE5ELNS1_3repE0EEENS1_30default_config_static_selectorELNS0_4arch9wavefront6targetE1EEEvT1_.uses_vcc, 0
	.set _ZN7rocprim17ROCPRIM_400000_NS6detail17trampoline_kernelINS0_14default_configENS1_29reduce_by_key_config_selectorIslN6thrust23THRUST_200600_302600_NS4plusIlEEEEZZNS1_33reduce_by_key_impl_wrapped_configILNS1_25lookback_scan_determinismE0ES3_S9_PsNS6_17constant_iteratorIiNS6_11use_defaultESE_EENS6_10device_ptrIsEENSG_IlEEPmS8_NS6_8equal_toIsEEEE10hipError_tPvRmT2_T3_mT4_T5_T6_T7_T8_P12ihipStream_tbENKUlT_T0_E_clISt17integral_constantIbLb0EES13_EEDaSY_SZ_EUlSY_E_NS1_11comp_targetILNS1_3genE10ELNS1_11target_archE1201ELNS1_3gpuE5ELNS1_3repE0EEENS1_30default_config_static_selectorELNS0_4arch9wavefront6targetE1EEEvT1_.uses_flat_scratch, 0
	.set _ZN7rocprim17ROCPRIM_400000_NS6detail17trampoline_kernelINS0_14default_configENS1_29reduce_by_key_config_selectorIslN6thrust23THRUST_200600_302600_NS4plusIlEEEEZZNS1_33reduce_by_key_impl_wrapped_configILNS1_25lookback_scan_determinismE0ES3_S9_PsNS6_17constant_iteratorIiNS6_11use_defaultESE_EENS6_10device_ptrIsEENSG_IlEEPmS8_NS6_8equal_toIsEEEE10hipError_tPvRmT2_T3_mT4_T5_T6_T7_T8_P12ihipStream_tbENKUlT_T0_E_clISt17integral_constantIbLb0EES13_EEDaSY_SZ_EUlSY_E_NS1_11comp_targetILNS1_3genE10ELNS1_11target_archE1201ELNS1_3gpuE5ELNS1_3repE0EEENS1_30default_config_static_selectorELNS0_4arch9wavefront6targetE1EEEvT1_.has_dyn_sized_stack, 0
	.set _ZN7rocprim17ROCPRIM_400000_NS6detail17trampoline_kernelINS0_14default_configENS1_29reduce_by_key_config_selectorIslN6thrust23THRUST_200600_302600_NS4plusIlEEEEZZNS1_33reduce_by_key_impl_wrapped_configILNS1_25lookback_scan_determinismE0ES3_S9_PsNS6_17constant_iteratorIiNS6_11use_defaultESE_EENS6_10device_ptrIsEENSG_IlEEPmS8_NS6_8equal_toIsEEEE10hipError_tPvRmT2_T3_mT4_T5_T6_T7_T8_P12ihipStream_tbENKUlT_T0_E_clISt17integral_constantIbLb0EES13_EEDaSY_SZ_EUlSY_E_NS1_11comp_targetILNS1_3genE10ELNS1_11target_archE1201ELNS1_3gpuE5ELNS1_3repE0EEENS1_30default_config_static_selectorELNS0_4arch9wavefront6targetE1EEEvT1_.has_recursion, 0
	.set _ZN7rocprim17ROCPRIM_400000_NS6detail17trampoline_kernelINS0_14default_configENS1_29reduce_by_key_config_selectorIslN6thrust23THRUST_200600_302600_NS4plusIlEEEEZZNS1_33reduce_by_key_impl_wrapped_configILNS1_25lookback_scan_determinismE0ES3_S9_PsNS6_17constant_iteratorIiNS6_11use_defaultESE_EENS6_10device_ptrIsEENSG_IlEEPmS8_NS6_8equal_toIsEEEE10hipError_tPvRmT2_T3_mT4_T5_T6_T7_T8_P12ihipStream_tbENKUlT_T0_E_clISt17integral_constantIbLb0EES13_EEDaSY_SZ_EUlSY_E_NS1_11comp_targetILNS1_3genE10ELNS1_11target_archE1201ELNS1_3gpuE5ELNS1_3repE0EEENS1_30default_config_static_selectorELNS0_4arch9wavefront6targetE1EEEvT1_.has_indirect_call, 0
	.section	.AMDGPU.csdata,"",@progbits
; Kernel info:
; codeLenInByte = 0
; TotalNumSgprs: 4
; NumVgprs: 0
; ScratchSize: 0
; MemoryBound: 0
; FloatMode: 240
; IeeeMode: 1
; LDSByteSize: 0 bytes/workgroup (compile time only)
; SGPRBlocks: 0
; VGPRBlocks: 0
; NumSGPRsForWavesPerEU: 4
; NumVGPRsForWavesPerEU: 1
; Occupancy: 10
; WaveLimiterHint : 0
; COMPUTE_PGM_RSRC2:SCRATCH_EN: 0
; COMPUTE_PGM_RSRC2:USER_SGPR: 6
; COMPUTE_PGM_RSRC2:TRAP_HANDLER: 0
; COMPUTE_PGM_RSRC2:TGID_X_EN: 1
; COMPUTE_PGM_RSRC2:TGID_Y_EN: 0
; COMPUTE_PGM_RSRC2:TGID_Z_EN: 0
; COMPUTE_PGM_RSRC2:TIDIG_COMP_CNT: 0
	.section	.text._ZN7rocprim17ROCPRIM_400000_NS6detail17trampoline_kernelINS0_14default_configENS1_29reduce_by_key_config_selectorIslN6thrust23THRUST_200600_302600_NS4plusIlEEEEZZNS1_33reduce_by_key_impl_wrapped_configILNS1_25lookback_scan_determinismE0ES3_S9_PsNS6_17constant_iteratorIiNS6_11use_defaultESE_EENS6_10device_ptrIsEENSG_IlEEPmS8_NS6_8equal_toIsEEEE10hipError_tPvRmT2_T3_mT4_T5_T6_T7_T8_P12ihipStream_tbENKUlT_T0_E_clISt17integral_constantIbLb0EES13_EEDaSY_SZ_EUlSY_E_NS1_11comp_targetILNS1_3genE10ELNS1_11target_archE1200ELNS1_3gpuE4ELNS1_3repE0EEENS1_30default_config_static_selectorELNS0_4arch9wavefront6targetE1EEEvT1_,"axG",@progbits,_ZN7rocprim17ROCPRIM_400000_NS6detail17trampoline_kernelINS0_14default_configENS1_29reduce_by_key_config_selectorIslN6thrust23THRUST_200600_302600_NS4plusIlEEEEZZNS1_33reduce_by_key_impl_wrapped_configILNS1_25lookback_scan_determinismE0ES3_S9_PsNS6_17constant_iteratorIiNS6_11use_defaultESE_EENS6_10device_ptrIsEENSG_IlEEPmS8_NS6_8equal_toIsEEEE10hipError_tPvRmT2_T3_mT4_T5_T6_T7_T8_P12ihipStream_tbENKUlT_T0_E_clISt17integral_constantIbLb0EES13_EEDaSY_SZ_EUlSY_E_NS1_11comp_targetILNS1_3genE10ELNS1_11target_archE1200ELNS1_3gpuE4ELNS1_3repE0EEENS1_30default_config_static_selectorELNS0_4arch9wavefront6targetE1EEEvT1_,comdat
	.protected	_ZN7rocprim17ROCPRIM_400000_NS6detail17trampoline_kernelINS0_14default_configENS1_29reduce_by_key_config_selectorIslN6thrust23THRUST_200600_302600_NS4plusIlEEEEZZNS1_33reduce_by_key_impl_wrapped_configILNS1_25lookback_scan_determinismE0ES3_S9_PsNS6_17constant_iteratorIiNS6_11use_defaultESE_EENS6_10device_ptrIsEENSG_IlEEPmS8_NS6_8equal_toIsEEEE10hipError_tPvRmT2_T3_mT4_T5_T6_T7_T8_P12ihipStream_tbENKUlT_T0_E_clISt17integral_constantIbLb0EES13_EEDaSY_SZ_EUlSY_E_NS1_11comp_targetILNS1_3genE10ELNS1_11target_archE1200ELNS1_3gpuE4ELNS1_3repE0EEENS1_30default_config_static_selectorELNS0_4arch9wavefront6targetE1EEEvT1_ ; -- Begin function _ZN7rocprim17ROCPRIM_400000_NS6detail17trampoline_kernelINS0_14default_configENS1_29reduce_by_key_config_selectorIslN6thrust23THRUST_200600_302600_NS4plusIlEEEEZZNS1_33reduce_by_key_impl_wrapped_configILNS1_25lookback_scan_determinismE0ES3_S9_PsNS6_17constant_iteratorIiNS6_11use_defaultESE_EENS6_10device_ptrIsEENSG_IlEEPmS8_NS6_8equal_toIsEEEE10hipError_tPvRmT2_T3_mT4_T5_T6_T7_T8_P12ihipStream_tbENKUlT_T0_E_clISt17integral_constantIbLb0EES13_EEDaSY_SZ_EUlSY_E_NS1_11comp_targetILNS1_3genE10ELNS1_11target_archE1200ELNS1_3gpuE4ELNS1_3repE0EEENS1_30default_config_static_selectorELNS0_4arch9wavefront6targetE1EEEvT1_
	.globl	_ZN7rocprim17ROCPRIM_400000_NS6detail17trampoline_kernelINS0_14default_configENS1_29reduce_by_key_config_selectorIslN6thrust23THRUST_200600_302600_NS4plusIlEEEEZZNS1_33reduce_by_key_impl_wrapped_configILNS1_25lookback_scan_determinismE0ES3_S9_PsNS6_17constant_iteratorIiNS6_11use_defaultESE_EENS6_10device_ptrIsEENSG_IlEEPmS8_NS6_8equal_toIsEEEE10hipError_tPvRmT2_T3_mT4_T5_T6_T7_T8_P12ihipStream_tbENKUlT_T0_E_clISt17integral_constantIbLb0EES13_EEDaSY_SZ_EUlSY_E_NS1_11comp_targetILNS1_3genE10ELNS1_11target_archE1200ELNS1_3gpuE4ELNS1_3repE0EEENS1_30default_config_static_selectorELNS0_4arch9wavefront6targetE1EEEvT1_
	.p2align	8
	.type	_ZN7rocprim17ROCPRIM_400000_NS6detail17trampoline_kernelINS0_14default_configENS1_29reduce_by_key_config_selectorIslN6thrust23THRUST_200600_302600_NS4plusIlEEEEZZNS1_33reduce_by_key_impl_wrapped_configILNS1_25lookback_scan_determinismE0ES3_S9_PsNS6_17constant_iteratorIiNS6_11use_defaultESE_EENS6_10device_ptrIsEENSG_IlEEPmS8_NS6_8equal_toIsEEEE10hipError_tPvRmT2_T3_mT4_T5_T6_T7_T8_P12ihipStream_tbENKUlT_T0_E_clISt17integral_constantIbLb0EES13_EEDaSY_SZ_EUlSY_E_NS1_11comp_targetILNS1_3genE10ELNS1_11target_archE1200ELNS1_3gpuE4ELNS1_3repE0EEENS1_30default_config_static_selectorELNS0_4arch9wavefront6targetE1EEEvT1_,@function
_ZN7rocprim17ROCPRIM_400000_NS6detail17trampoline_kernelINS0_14default_configENS1_29reduce_by_key_config_selectorIslN6thrust23THRUST_200600_302600_NS4plusIlEEEEZZNS1_33reduce_by_key_impl_wrapped_configILNS1_25lookback_scan_determinismE0ES3_S9_PsNS6_17constant_iteratorIiNS6_11use_defaultESE_EENS6_10device_ptrIsEENSG_IlEEPmS8_NS6_8equal_toIsEEEE10hipError_tPvRmT2_T3_mT4_T5_T6_T7_T8_P12ihipStream_tbENKUlT_T0_E_clISt17integral_constantIbLb0EES13_EEDaSY_SZ_EUlSY_E_NS1_11comp_targetILNS1_3genE10ELNS1_11target_archE1200ELNS1_3gpuE4ELNS1_3repE0EEENS1_30default_config_static_selectorELNS0_4arch9wavefront6targetE1EEEvT1_: ; @_ZN7rocprim17ROCPRIM_400000_NS6detail17trampoline_kernelINS0_14default_configENS1_29reduce_by_key_config_selectorIslN6thrust23THRUST_200600_302600_NS4plusIlEEEEZZNS1_33reduce_by_key_impl_wrapped_configILNS1_25lookback_scan_determinismE0ES3_S9_PsNS6_17constant_iteratorIiNS6_11use_defaultESE_EENS6_10device_ptrIsEENSG_IlEEPmS8_NS6_8equal_toIsEEEE10hipError_tPvRmT2_T3_mT4_T5_T6_T7_T8_P12ihipStream_tbENKUlT_T0_E_clISt17integral_constantIbLb0EES13_EEDaSY_SZ_EUlSY_E_NS1_11comp_targetILNS1_3genE10ELNS1_11target_archE1200ELNS1_3gpuE4ELNS1_3repE0EEENS1_30default_config_static_selectorELNS0_4arch9wavefront6targetE1EEEvT1_
; %bb.0:
	.section	.rodata,"a",@progbits
	.p2align	6, 0x0
	.amdhsa_kernel _ZN7rocprim17ROCPRIM_400000_NS6detail17trampoline_kernelINS0_14default_configENS1_29reduce_by_key_config_selectorIslN6thrust23THRUST_200600_302600_NS4plusIlEEEEZZNS1_33reduce_by_key_impl_wrapped_configILNS1_25lookback_scan_determinismE0ES3_S9_PsNS6_17constant_iteratorIiNS6_11use_defaultESE_EENS6_10device_ptrIsEENSG_IlEEPmS8_NS6_8equal_toIsEEEE10hipError_tPvRmT2_T3_mT4_T5_T6_T7_T8_P12ihipStream_tbENKUlT_T0_E_clISt17integral_constantIbLb0EES13_EEDaSY_SZ_EUlSY_E_NS1_11comp_targetILNS1_3genE10ELNS1_11target_archE1200ELNS1_3gpuE4ELNS1_3repE0EEENS1_30default_config_static_selectorELNS0_4arch9wavefront6targetE1EEEvT1_
		.amdhsa_group_segment_fixed_size 0
		.amdhsa_private_segment_fixed_size 0
		.amdhsa_kernarg_size 144
		.amdhsa_user_sgpr_count 6
		.amdhsa_user_sgpr_private_segment_buffer 1
		.amdhsa_user_sgpr_dispatch_ptr 0
		.amdhsa_user_sgpr_queue_ptr 0
		.amdhsa_user_sgpr_kernarg_segment_ptr 1
		.amdhsa_user_sgpr_dispatch_id 0
		.amdhsa_user_sgpr_flat_scratch_init 0
		.amdhsa_user_sgpr_private_segment_size 0
		.amdhsa_uses_dynamic_stack 0
		.amdhsa_system_sgpr_private_segment_wavefront_offset 0
		.amdhsa_system_sgpr_workgroup_id_x 1
		.amdhsa_system_sgpr_workgroup_id_y 0
		.amdhsa_system_sgpr_workgroup_id_z 0
		.amdhsa_system_sgpr_workgroup_info 0
		.amdhsa_system_vgpr_workitem_id 0
		.amdhsa_next_free_vgpr 1
		.amdhsa_next_free_sgpr 0
		.amdhsa_reserve_vcc 0
		.amdhsa_reserve_flat_scratch 0
		.amdhsa_float_round_mode_32 0
		.amdhsa_float_round_mode_16_64 0
		.amdhsa_float_denorm_mode_32 3
		.amdhsa_float_denorm_mode_16_64 3
		.amdhsa_dx10_clamp 1
		.amdhsa_ieee_mode 1
		.amdhsa_fp16_overflow 0
		.amdhsa_exception_fp_ieee_invalid_op 0
		.amdhsa_exception_fp_denorm_src 0
		.amdhsa_exception_fp_ieee_div_zero 0
		.amdhsa_exception_fp_ieee_overflow 0
		.amdhsa_exception_fp_ieee_underflow 0
		.amdhsa_exception_fp_ieee_inexact 0
		.amdhsa_exception_int_div_zero 0
	.end_amdhsa_kernel
	.section	.text._ZN7rocprim17ROCPRIM_400000_NS6detail17trampoline_kernelINS0_14default_configENS1_29reduce_by_key_config_selectorIslN6thrust23THRUST_200600_302600_NS4plusIlEEEEZZNS1_33reduce_by_key_impl_wrapped_configILNS1_25lookback_scan_determinismE0ES3_S9_PsNS6_17constant_iteratorIiNS6_11use_defaultESE_EENS6_10device_ptrIsEENSG_IlEEPmS8_NS6_8equal_toIsEEEE10hipError_tPvRmT2_T3_mT4_T5_T6_T7_T8_P12ihipStream_tbENKUlT_T0_E_clISt17integral_constantIbLb0EES13_EEDaSY_SZ_EUlSY_E_NS1_11comp_targetILNS1_3genE10ELNS1_11target_archE1200ELNS1_3gpuE4ELNS1_3repE0EEENS1_30default_config_static_selectorELNS0_4arch9wavefront6targetE1EEEvT1_,"axG",@progbits,_ZN7rocprim17ROCPRIM_400000_NS6detail17trampoline_kernelINS0_14default_configENS1_29reduce_by_key_config_selectorIslN6thrust23THRUST_200600_302600_NS4plusIlEEEEZZNS1_33reduce_by_key_impl_wrapped_configILNS1_25lookback_scan_determinismE0ES3_S9_PsNS6_17constant_iteratorIiNS6_11use_defaultESE_EENS6_10device_ptrIsEENSG_IlEEPmS8_NS6_8equal_toIsEEEE10hipError_tPvRmT2_T3_mT4_T5_T6_T7_T8_P12ihipStream_tbENKUlT_T0_E_clISt17integral_constantIbLb0EES13_EEDaSY_SZ_EUlSY_E_NS1_11comp_targetILNS1_3genE10ELNS1_11target_archE1200ELNS1_3gpuE4ELNS1_3repE0EEENS1_30default_config_static_selectorELNS0_4arch9wavefront6targetE1EEEvT1_,comdat
.Lfunc_end1476:
	.size	_ZN7rocprim17ROCPRIM_400000_NS6detail17trampoline_kernelINS0_14default_configENS1_29reduce_by_key_config_selectorIslN6thrust23THRUST_200600_302600_NS4plusIlEEEEZZNS1_33reduce_by_key_impl_wrapped_configILNS1_25lookback_scan_determinismE0ES3_S9_PsNS6_17constant_iteratorIiNS6_11use_defaultESE_EENS6_10device_ptrIsEENSG_IlEEPmS8_NS6_8equal_toIsEEEE10hipError_tPvRmT2_T3_mT4_T5_T6_T7_T8_P12ihipStream_tbENKUlT_T0_E_clISt17integral_constantIbLb0EES13_EEDaSY_SZ_EUlSY_E_NS1_11comp_targetILNS1_3genE10ELNS1_11target_archE1200ELNS1_3gpuE4ELNS1_3repE0EEENS1_30default_config_static_selectorELNS0_4arch9wavefront6targetE1EEEvT1_, .Lfunc_end1476-_ZN7rocprim17ROCPRIM_400000_NS6detail17trampoline_kernelINS0_14default_configENS1_29reduce_by_key_config_selectorIslN6thrust23THRUST_200600_302600_NS4plusIlEEEEZZNS1_33reduce_by_key_impl_wrapped_configILNS1_25lookback_scan_determinismE0ES3_S9_PsNS6_17constant_iteratorIiNS6_11use_defaultESE_EENS6_10device_ptrIsEENSG_IlEEPmS8_NS6_8equal_toIsEEEE10hipError_tPvRmT2_T3_mT4_T5_T6_T7_T8_P12ihipStream_tbENKUlT_T0_E_clISt17integral_constantIbLb0EES13_EEDaSY_SZ_EUlSY_E_NS1_11comp_targetILNS1_3genE10ELNS1_11target_archE1200ELNS1_3gpuE4ELNS1_3repE0EEENS1_30default_config_static_selectorELNS0_4arch9wavefront6targetE1EEEvT1_
                                        ; -- End function
	.set _ZN7rocprim17ROCPRIM_400000_NS6detail17trampoline_kernelINS0_14default_configENS1_29reduce_by_key_config_selectorIslN6thrust23THRUST_200600_302600_NS4plusIlEEEEZZNS1_33reduce_by_key_impl_wrapped_configILNS1_25lookback_scan_determinismE0ES3_S9_PsNS6_17constant_iteratorIiNS6_11use_defaultESE_EENS6_10device_ptrIsEENSG_IlEEPmS8_NS6_8equal_toIsEEEE10hipError_tPvRmT2_T3_mT4_T5_T6_T7_T8_P12ihipStream_tbENKUlT_T0_E_clISt17integral_constantIbLb0EES13_EEDaSY_SZ_EUlSY_E_NS1_11comp_targetILNS1_3genE10ELNS1_11target_archE1200ELNS1_3gpuE4ELNS1_3repE0EEENS1_30default_config_static_selectorELNS0_4arch9wavefront6targetE1EEEvT1_.num_vgpr, 0
	.set _ZN7rocprim17ROCPRIM_400000_NS6detail17trampoline_kernelINS0_14default_configENS1_29reduce_by_key_config_selectorIslN6thrust23THRUST_200600_302600_NS4plusIlEEEEZZNS1_33reduce_by_key_impl_wrapped_configILNS1_25lookback_scan_determinismE0ES3_S9_PsNS6_17constant_iteratorIiNS6_11use_defaultESE_EENS6_10device_ptrIsEENSG_IlEEPmS8_NS6_8equal_toIsEEEE10hipError_tPvRmT2_T3_mT4_T5_T6_T7_T8_P12ihipStream_tbENKUlT_T0_E_clISt17integral_constantIbLb0EES13_EEDaSY_SZ_EUlSY_E_NS1_11comp_targetILNS1_3genE10ELNS1_11target_archE1200ELNS1_3gpuE4ELNS1_3repE0EEENS1_30default_config_static_selectorELNS0_4arch9wavefront6targetE1EEEvT1_.num_agpr, 0
	.set _ZN7rocprim17ROCPRIM_400000_NS6detail17trampoline_kernelINS0_14default_configENS1_29reduce_by_key_config_selectorIslN6thrust23THRUST_200600_302600_NS4plusIlEEEEZZNS1_33reduce_by_key_impl_wrapped_configILNS1_25lookback_scan_determinismE0ES3_S9_PsNS6_17constant_iteratorIiNS6_11use_defaultESE_EENS6_10device_ptrIsEENSG_IlEEPmS8_NS6_8equal_toIsEEEE10hipError_tPvRmT2_T3_mT4_T5_T6_T7_T8_P12ihipStream_tbENKUlT_T0_E_clISt17integral_constantIbLb0EES13_EEDaSY_SZ_EUlSY_E_NS1_11comp_targetILNS1_3genE10ELNS1_11target_archE1200ELNS1_3gpuE4ELNS1_3repE0EEENS1_30default_config_static_selectorELNS0_4arch9wavefront6targetE1EEEvT1_.numbered_sgpr, 0
	.set _ZN7rocprim17ROCPRIM_400000_NS6detail17trampoline_kernelINS0_14default_configENS1_29reduce_by_key_config_selectorIslN6thrust23THRUST_200600_302600_NS4plusIlEEEEZZNS1_33reduce_by_key_impl_wrapped_configILNS1_25lookback_scan_determinismE0ES3_S9_PsNS6_17constant_iteratorIiNS6_11use_defaultESE_EENS6_10device_ptrIsEENSG_IlEEPmS8_NS6_8equal_toIsEEEE10hipError_tPvRmT2_T3_mT4_T5_T6_T7_T8_P12ihipStream_tbENKUlT_T0_E_clISt17integral_constantIbLb0EES13_EEDaSY_SZ_EUlSY_E_NS1_11comp_targetILNS1_3genE10ELNS1_11target_archE1200ELNS1_3gpuE4ELNS1_3repE0EEENS1_30default_config_static_selectorELNS0_4arch9wavefront6targetE1EEEvT1_.num_named_barrier, 0
	.set _ZN7rocprim17ROCPRIM_400000_NS6detail17trampoline_kernelINS0_14default_configENS1_29reduce_by_key_config_selectorIslN6thrust23THRUST_200600_302600_NS4plusIlEEEEZZNS1_33reduce_by_key_impl_wrapped_configILNS1_25lookback_scan_determinismE0ES3_S9_PsNS6_17constant_iteratorIiNS6_11use_defaultESE_EENS6_10device_ptrIsEENSG_IlEEPmS8_NS6_8equal_toIsEEEE10hipError_tPvRmT2_T3_mT4_T5_T6_T7_T8_P12ihipStream_tbENKUlT_T0_E_clISt17integral_constantIbLb0EES13_EEDaSY_SZ_EUlSY_E_NS1_11comp_targetILNS1_3genE10ELNS1_11target_archE1200ELNS1_3gpuE4ELNS1_3repE0EEENS1_30default_config_static_selectorELNS0_4arch9wavefront6targetE1EEEvT1_.private_seg_size, 0
	.set _ZN7rocprim17ROCPRIM_400000_NS6detail17trampoline_kernelINS0_14default_configENS1_29reduce_by_key_config_selectorIslN6thrust23THRUST_200600_302600_NS4plusIlEEEEZZNS1_33reduce_by_key_impl_wrapped_configILNS1_25lookback_scan_determinismE0ES3_S9_PsNS6_17constant_iteratorIiNS6_11use_defaultESE_EENS6_10device_ptrIsEENSG_IlEEPmS8_NS6_8equal_toIsEEEE10hipError_tPvRmT2_T3_mT4_T5_T6_T7_T8_P12ihipStream_tbENKUlT_T0_E_clISt17integral_constantIbLb0EES13_EEDaSY_SZ_EUlSY_E_NS1_11comp_targetILNS1_3genE10ELNS1_11target_archE1200ELNS1_3gpuE4ELNS1_3repE0EEENS1_30default_config_static_selectorELNS0_4arch9wavefront6targetE1EEEvT1_.uses_vcc, 0
	.set _ZN7rocprim17ROCPRIM_400000_NS6detail17trampoline_kernelINS0_14default_configENS1_29reduce_by_key_config_selectorIslN6thrust23THRUST_200600_302600_NS4plusIlEEEEZZNS1_33reduce_by_key_impl_wrapped_configILNS1_25lookback_scan_determinismE0ES3_S9_PsNS6_17constant_iteratorIiNS6_11use_defaultESE_EENS6_10device_ptrIsEENSG_IlEEPmS8_NS6_8equal_toIsEEEE10hipError_tPvRmT2_T3_mT4_T5_T6_T7_T8_P12ihipStream_tbENKUlT_T0_E_clISt17integral_constantIbLb0EES13_EEDaSY_SZ_EUlSY_E_NS1_11comp_targetILNS1_3genE10ELNS1_11target_archE1200ELNS1_3gpuE4ELNS1_3repE0EEENS1_30default_config_static_selectorELNS0_4arch9wavefront6targetE1EEEvT1_.uses_flat_scratch, 0
	.set _ZN7rocprim17ROCPRIM_400000_NS6detail17trampoline_kernelINS0_14default_configENS1_29reduce_by_key_config_selectorIslN6thrust23THRUST_200600_302600_NS4plusIlEEEEZZNS1_33reduce_by_key_impl_wrapped_configILNS1_25lookback_scan_determinismE0ES3_S9_PsNS6_17constant_iteratorIiNS6_11use_defaultESE_EENS6_10device_ptrIsEENSG_IlEEPmS8_NS6_8equal_toIsEEEE10hipError_tPvRmT2_T3_mT4_T5_T6_T7_T8_P12ihipStream_tbENKUlT_T0_E_clISt17integral_constantIbLb0EES13_EEDaSY_SZ_EUlSY_E_NS1_11comp_targetILNS1_3genE10ELNS1_11target_archE1200ELNS1_3gpuE4ELNS1_3repE0EEENS1_30default_config_static_selectorELNS0_4arch9wavefront6targetE1EEEvT1_.has_dyn_sized_stack, 0
	.set _ZN7rocprim17ROCPRIM_400000_NS6detail17trampoline_kernelINS0_14default_configENS1_29reduce_by_key_config_selectorIslN6thrust23THRUST_200600_302600_NS4plusIlEEEEZZNS1_33reduce_by_key_impl_wrapped_configILNS1_25lookback_scan_determinismE0ES3_S9_PsNS6_17constant_iteratorIiNS6_11use_defaultESE_EENS6_10device_ptrIsEENSG_IlEEPmS8_NS6_8equal_toIsEEEE10hipError_tPvRmT2_T3_mT4_T5_T6_T7_T8_P12ihipStream_tbENKUlT_T0_E_clISt17integral_constantIbLb0EES13_EEDaSY_SZ_EUlSY_E_NS1_11comp_targetILNS1_3genE10ELNS1_11target_archE1200ELNS1_3gpuE4ELNS1_3repE0EEENS1_30default_config_static_selectorELNS0_4arch9wavefront6targetE1EEEvT1_.has_recursion, 0
	.set _ZN7rocprim17ROCPRIM_400000_NS6detail17trampoline_kernelINS0_14default_configENS1_29reduce_by_key_config_selectorIslN6thrust23THRUST_200600_302600_NS4plusIlEEEEZZNS1_33reduce_by_key_impl_wrapped_configILNS1_25lookback_scan_determinismE0ES3_S9_PsNS6_17constant_iteratorIiNS6_11use_defaultESE_EENS6_10device_ptrIsEENSG_IlEEPmS8_NS6_8equal_toIsEEEE10hipError_tPvRmT2_T3_mT4_T5_T6_T7_T8_P12ihipStream_tbENKUlT_T0_E_clISt17integral_constantIbLb0EES13_EEDaSY_SZ_EUlSY_E_NS1_11comp_targetILNS1_3genE10ELNS1_11target_archE1200ELNS1_3gpuE4ELNS1_3repE0EEENS1_30default_config_static_selectorELNS0_4arch9wavefront6targetE1EEEvT1_.has_indirect_call, 0
	.section	.AMDGPU.csdata,"",@progbits
; Kernel info:
; codeLenInByte = 0
; TotalNumSgprs: 4
; NumVgprs: 0
; ScratchSize: 0
; MemoryBound: 0
; FloatMode: 240
; IeeeMode: 1
; LDSByteSize: 0 bytes/workgroup (compile time only)
; SGPRBlocks: 0
; VGPRBlocks: 0
; NumSGPRsForWavesPerEU: 4
; NumVGPRsForWavesPerEU: 1
; Occupancy: 10
; WaveLimiterHint : 0
; COMPUTE_PGM_RSRC2:SCRATCH_EN: 0
; COMPUTE_PGM_RSRC2:USER_SGPR: 6
; COMPUTE_PGM_RSRC2:TRAP_HANDLER: 0
; COMPUTE_PGM_RSRC2:TGID_X_EN: 1
; COMPUTE_PGM_RSRC2:TGID_Y_EN: 0
; COMPUTE_PGM_RSRC2:TGID_Z_EN: 0
; COMPUTE_PGM_RSRC2:TIDIG_COMP_CNT: 0
	.section	.text._ZN7rocprim17ROCPRIM_400000_NS6detail17trampoline_kernelINS0_14default_configENS1_29reduce_by_key_config_selectorIslN6thrust23THRUST_200600_302600_NS4plusIlEEEEZZNS1_33reduce_by_key_impl_wrapped_configILNS1_25lookback_scan_determinismE0ES3_S9_PsNS6_17constant_iteratorIiNS6_11use_defaultESE_EENS6_10device_ptrIsEENSG_IlEEPmS8_NS6_8equal_toIsEEEE10hipError_tPvRmT2_T3_mT4_T5_T6_T7_T8_P12ihipStream_tbENKUlT_T0_E_clISt17integral_constantIbLb0EES13_EEDaSY_SZ_EUlSY_E_NS1_11comp_targetILNS1_3genE9ELNS1_11target_archE1100ELNS1_3gpuE3ELNS1_3repE0EEENS1_30default_config_static_selectorELNS0_4arch9wavefront6targetE1EEEvT1_,"axG",@progbits,_ZN7rocprim17ROCPRIM_400000_NS6detail17trampoline_kernelINS0_14default_configENS1_29reduce_by_key_config_selectorIslN6thrust23THRUST_200600_302600_NS4plusIlEEEEZZNS1_33reduce_by_key_impl_wrapped_configILNS1_25lookback_scan_determinismE0ES3_S9_PsNS6_17constant_iteratorIiNS6_11use_defaultESE_EENS6_10device_ptrIsEENSG_IlEEPmS8_NS6_8equal_toIsEEEE10hipError_tPvRmT2_T3_mT4_T5_T6_T7_T8_P12ihipStream_tbENKUlT_T0_E_clISt17integral_constantIbLb0EES13_EEDaSY_SZ_EUlSY_E_NS1_11comp_targetILNS1_3genE9ELNS1_11target_archE1100ELNS1_3gpuE3ELNS1_3repE0EEENS1_30default_config_static_selectorELNS0_4arch9wavefront6targetE1EEEvT1_,comdat
	.protected	_ZN7rocprim17ROCPRIM_400000_NS6detail17trampoline_kernelINS0_14default_configENS1_29reduce_by_key_config_selectorIslN6thrust23THRUST_200600_302600_NS4plusIlEEEEZZNS1_33reduce_by_key_impl_wrapped_configILNS1_25lookback_scan_determinismE0ES3_S9_PsNS6_17constant_iteratorIiNS6_11use_defaultESE_EENS6_10device_ptrIsEENSG_IlEEPmS8_NS6_8equal_toIsEEEE10hipError_tPvRmT2_T3_mT4_T5_T6_T7_T8_P12ihipStream_tbENKUlT_T0_E_clISt17integral_constantIbLb0EES13_EEDaSY_SZ_EUlSY_E_NS1_11comp_targetILNS1_3genE9ELNS1_11target_archE1100ELNS1_3gpuE3ELNS1_3repE0EEENS1_30default_config_static_selectorELNS0_4arch9wavefront6targetE1EEEvT1_ ; -- Begin function _ZN7rocprim17ROCPRIM_400000_NS6detail17trampoline_kernelINS0_14default_configENS1_29reduce_by_key_config_selectorIslN6thrust23THRUST_200600_302600_NS4plusIlEEEEZZNS1_33reduce_by_key_impl_wrapped_configILNS1_25lookback_scan_determinismE0ES3_S9_PsNS6_17constant_iteratorIiNS6_11use_defaultESE_EENS6_10device_ptrIsEENSG_IlEEPmS8_NS6_8equal_toIsEEEE10hipError_tPvRmT2_T3_mT4_T5_T6_T7_T8_P12ihipStream_tbENKUlT_T0_E_clISt17integral_constantIbLb0EES13_EEDaSY_SZ_EUlSY_E_NS1_11comp_targetILNS1_3genE9ELNS1_11target_archE1100ELNS1_3gpuE3ELNS1_3repE0EEENS1_30default_config_static_selectorELNS0_4arch9wavefront6targetE1EEEvT1_
	.globl	_ZN7rocprim17ROCPRIM_400000_NS6detail17trampoline_kernelINS0_14default_configENS1_29reduce_by_key_config_selectorIslN6thrust23THRUST_200600_302600_NS4plusIlEEEEZZNS1_33reduce_by_key_impl_wrapped_configILNS1_25lookback_scan_determinismE0ES3_S9_PsNS6_17constant_iteratorIiNS6_11use_defaultESE_EENS6_10device_ptrIsEENSG_IlEEPmS8_NS6_8equal_toIsEEEE10hipError_tPvRmT2_T3_mT4_T5_T6_T7_T8_P12ihipStream_tbENKUlT_T0_E_clISt17integral_constantIbLb0EES13_EEDaSY_SZ_EUlSY_E_NS1_11comp_targetILNS1_3genE9ELNS1_11target_archE1100ELNS1_3gpuE3ELNS1_3repE0EEENS1_30default_config_static_selectorELNS0_4arch9wavefront6targetE1EEEvT1_
	.p2align	8
	.type	_ZN7rocprim17ROCPRIM_400000_NS6detail17trampoline_kernelINS0_14default_configENS1_29reduce_by_key_config_selectorIslN6thrust23THRUST_200600_302600_NS4plusIlEEEEZZNS1_33reduce_by_key_impl_wrapped_configILNS1_25lookback_scan_determinismE0ES3_S9_PsNS6_17constant_iteratorIiNS6_11use_defaultESE_EENS6_10device_ptrIsEENSG_IlEEPmS8_NS6_8equal_toIsEEEE10hipError_tPvRmT2_T3_mT4_T5_T6_T7_T8_P12ihipStream_tbENKUlT_T0_E_clISt17integral_constantIbLb0EES13_EEDaSY_SZ_EUlSY_E_NS1_11comp_targetILNS1_3genE9ELNS1_11target_archE1100ELNS1_3gpuE3ELNS1_3repE0EEENS1_30default_config_static_selectorELNS0_4arch9wavefront6targetE1EEEvT1_,@function
_ZN7rocprim17ROCPRIM_400000_NS6detail17trampoline_kernelINS0_14default_configENS1_29reduce_by_key_config_selectorIslN6thrust23THRUST_200600_302600_NS4plusIlEEEEZZNS1_33reduce_by_key_impl_wrapped_configILNS1_25lookback_scan_determinismE0ES3_S9_PsNS6_17constant_iteratorIiNS6_11use_defaultESE_EENS6_10device_ptrIsEENSG_IlEEPmS8_NS6_8equal_toIsEEEE10hipError_tPvRmT2_T3_mT4_T5_T6_T7_T8_P12ihipStream_tbENKUlT_T0_E_clISt17integral_constantIbLb0EES13_EEDaSY_SZ_EUlSY_E_NS1_11comp_targetILNS1_3genE9ELNS1_11target_archE1100ELNS1_3gpuE3ELNS1_3repE0EEENS1_30default_config_static_selectorELNS0_4arch9wavefront6targetE1EEEvT1_: ; @_ZN7rocprim17ROCPRIM_400000_NS6detail17trampoline_kernelINS0_14default_configENS1_29reduce_by_key_config_selectorIslN6thrust23THRUST_200600_302600_NS4plusIlEEEEZZNS1_33reduce_by_key_impl_wrapped_configILNS1_25lookback_scan_determinismE0ES3_S9_PsNS6_17constant_iteratorIiNS6_11use_defaultESE_EENS6_10device_ptrIsEENSG_IlEEPmS8_NS6_8equal_toIsEEEE10hipError_tPvRmT2_T3_mT4_T5_T6_T7_T8_P12ihipStream_tbENKUlT_T0_E_clISt17integral_constantIbLb0EES13_EEDaSY_SZ_EUlSY_E_NS1_11comp_targetILNS1_3genE9ELNS1_11target_archE1100ELNS1_3gpuE3ELNS1_3repE0EEENS1_30default_config_static_selectorELNS0_4arch9wavefront6targetE1EEEvT1_
; %bb.0:
	.section	.rodata,"a",@progbits
	.p2align	6, 0x0
	.amdhsa_kernel _ZN7rocprim17ROCPRIM_400000_NS6detail17trampoline_kernelINS0_14default_configENS1_29reduce_by_key_config_selectorIslN6thrust23THRUST_200600_302600_NS4plusIlEEEEZZNS1_33reduce_by_key_impl_wrapped_configILNS1_25lookback_scan_determinismE0ES3_S9_PsNS6_17constant_iteratorIiNS6_11use_defaultESE_EENS6_10device_ptrIsEENSG_IlEEPmS8_NS6_8equal_toIsEEEE10hipError_tPvRmT2_T3_mT4_T5_T6_T7_T8_P12ihipStream_tbENKUlT_T0_E_clISt17integral_constantIbLb0EES13_EEDaSY_SZ_EUlSY_E_NS1_11comp_targetILNS1_3genE9ELNS1_11target_archE1100ELNS1_3gpuE3ELNS1_3repE0EEENS1_30default_config_static_selectorELNS0_4arch9wavefront6targetE1EEEvT1_
		.amdhsa_group_segment_fixed_size 0
		.amdhsa_private_segment_fixed_size 0
		.amdhsa_kernarg_size 144
		.amdhsa_user_sgpr_count 6
		.amdhsa_user_sgpr_private_segment_buffer 1
		.amdhsa_user_sgpr_dispatch_ptr 0
		.amdhsa_user_sgpr_queue_ptr 0
		.amdhsa_user_sgpr_kernarg_segment_ptr 1
		.amdhsa_user_sgpr_dispatch_id 0
		.amdhsa_user_sgpr_flat_scratch_init 0
		.amdhsa_user_sgpr_private_segment_size 0
		.amdhsa_uses_dynamic_stack 0
		.amdhsa_system_sgpr_private_segment_wavefront_offset 0
		.amdhsa_system_sgpr_workgroup_id_x 1
		.amdhsa_system_sgpr_workgroup_id_y 0
		.amdhsa_system_sgpr_workgroup_id_z 0
		.amdhsa_system_sgpr_workgroup_info 0
		.amdhsa_system_vgpr_workitem_id 0
		.amdhsa_next_free_vgpr 1
		.amdhsa_next_free_sgpr 0
		.amdhsa_reserve_vcc 0
		.amdhsa_reserve_flat_scratch 0
		.amdhsa_float_round_mode_32 0
		.amdhsa_float_round_mode_16_64 0
		.amdhsa_float_denorm_mode_32 3
		.amdhsa_float_denorm_mode_16_64 3
		.amdhsa_dx10_clamp 1
		.amdhsa_ieee_mode 1
		.amdhsa_fp16_overflow 0
		.amdhsa_exception_fp_ieee_invalid_op 0
		.amdhsa_exception_fp_denorm_src 0
		.amdhsa_exception_fp_ieee_div_zero 0
		.amdhsa_exception_fp_ieee_overflow 0
		.amdhsa_exception_fp_ieee_underflow 0
		.amdhsa_exception_fp_ieee_inexact 0
		.amdhsa_exception_int_div_zero 0
	.end_amdhsa_kernel
	.section	.text._ZN7rocprim17ROCPRIM_400000_NS6detail17trampoline_kernelINS0_14default_configENS1_29reduce_by_key_config_selectorIslN6thrust23THRUST_200600_302600_NS4plusIlEEEEZZNS1_33reduce_by_key_impl_wrapped_configILNS1_25lookback_scan_determinismE0ES3_S9_PsNS6_17constant_iteratorIiNS6_11use_defaultESE_EENS6_10device_ptrIsEENSG_IlEEPmS8_NS6_8equal_toIsEEEE10hipError_tPvRmT2_T3_mT4_T5_T6_T7_T8_P12ihipStream_tbENKUlT_T0_E_clISt17integral_constantIbLb0EES13_EEDaSY_SZ_EUlSY_E_NS1_11comp_targetILNS1_3genE9ELNS1_11target_archE1100ELNS1_3gpuE3ELNS1_3repE0EEENS1_30default_config_static_selectorELNS0_4arch9wavefront6targetE1EEEvT1_,"axG",@progbits,_ZN7rocprim17ROCPRIM_400000_NS6detail17trampoline_kernelINS0_14default_configENS1_29reduce_by_key_config_selectorIslN6thrust23THRUST_200600_302600_NS4plusIlEEEEZZNS1_33reduce_by_key_impl_wrapped_configILNS1_25lookback_scan_determinismE0ES3_S9_PsNS6_17constant_iteratorIiNS6_11use_defaultESE_EENS6_10device_ptrIsEENSG_IlEEPmS8_NS6_8equal_toIsEEEE10hipError_tPvRmT2_T3_mT4_T5_T6_T7_T8_P12ihipStream_tbENKUlT_T0_E_clISt17integral_constantIbLb0EES13_EEDaSY_SZ_EUlSY_E_NS1_11comp_targetILNS1_3genE9ELNS1_11target_archE1100ELNS1_3gpuE3ELNS1_3repE0EEENS1_30default_config_static_selectorELNS0_4arch9wavefront6targetE1EEEvT1_,comdat
.Lfunc_end1477:
	.size	_ZN7rocprim17ROCPRIM_400000_NS6detail17trampoline_kernelINS0_14default_configENS1_29reduce_by_key_config_selectorIslN6thrust23THRUST_200600_302600_NS4plusIlEEEEZZNS1_33reduce_by_key_impl_wrapped_configILNS1_25lookback_scan_determinismE0ES3_S9_PsNS6_17constant_iteratorIiNS6_11use_defaultESE_EENS6_10device_ptrIsEENSG_IlEEPmS8_NS6_8equal_toIsEEEE10hipError_tPvRmT2_T3_mT4_T5_T6_T7_T8_P12ihipStream_tbENKUlT_T0_E_clISt17integral_constantIbLb0EES13_EEDaSY_SZ_EUlSY_E_NS1_11comp_targetILNS1_3genE9ELNS1_11target_archE1100ELNS1_3gpuE3ELNS1_3repE0EEENS1_30default_config_static_selectorELNS0_4arch9wavefront6targetE1EEEvT1_, .Lfunc_end1477-_ZN7rocprim17ROCPRIM_400000_NS6detail17trampoline_kernelINS0_14default_configENS1_29reduce_by_key_config_selectorIslN6thrust23THRUST_200600_302600_NS4plusIlEEEEZZNS1_33reduce_by_key_impl_wrapped_configILNS1_25lookback_scan_determinismE0ES3_S9_PsNS6_17constant_iteratorIiNS6_11use_defaultESE_EENS6_10device_ptrIsEENSG_IlEEPmS8_NS6_8equal_toIsEEEE10hipError_tPvRmT2_T3_mT4_T5_T6_T7_T8_P12ihipStream_tbENKUlT_T0_E_clISt17integral_constantIbLb0EES13_EEDaSY_SZ_EUlSY_E_NS1_11comp_targetILNS1_3genE9ELNS1_11target_archE1100ELNS1_3gpuE3ELNS1_3repE0EEENS1_30default_config_static_selectorELNS0_4arch9wavefront6targetE1EEEvT1_
                                        ; -- End function
	.set _ZN7rocprim17ROCPRIM_400000_NS6detail17trampoline_kernelINS0_14default_configENS1_29reduce_by_key_config_selectorIslN6thrust23THRUST_200600_302600_NS4plusIlEEEEZZNS1_33reduce_by_key_impl_wrapped_configILNS1_25lookback_scan_determinismE0ES3_S9_PsNS6_17constant_iteratorIiNS6_11use_defaultESE_EENS6_10device_ptrIsEENSG_IlEEPmS8_NS6_8equal_toIsEEEE10hipError_tPvRmT2_T3_mT4_T5_T6_T7_T8_P12ihipStream_tbENKUlT_T0_E_clISt17integral_constantIbLb0EES13_EEDaSY_SZ_EUlSY_E_NS1_11comp_targetILNS1_3genE9ELNS1_11target_archE1100ELNS1_3gpuE3ELNS1_3repE0EEENS1_30default_config_static_selectorELNS0_4arch9wavefront6targetE1EEEvT1_.num_vgpr, 0
	.set _ZN7rocprim17ROCPRIM_400000_NS6detail17trampoline_kernelINS0_14default_configENS1_29reduce_by_key_config_selectorIslN6thrust23THRUST_200600_302600_NS4plusIlEEEEZZNS1_33reduce_by_key_impl_wrapped_configILNS1_25lookback_scan_determinismE0ES3_S9_PsNS6_17constant_iteratorIiNS6_11use_defaultESE_EENS6_10device_ptrIsEENSG_IlEEPmS8_NS6_8equal_toIsEEEE10hipError_tPvRmT2_T3_mT4_T5_T6_T7_T8_P12ihipStream_tbENKUlT_T0_E_clISt17integral_constantIbLb0EES13_EEDaSY_SZ_EUlSY_E_NS1_11comp_targetILNS1_3genE9ELNS1_11target_archE1100ELNS1_3gpuE3ELNS1_3repE0EEENS1_30default_config_static_selectorELNS0_4arch9wavefront6targetE1EEEvT1_.num_agpr, 0
	.set _ZN7rocprim17ROCPRIM_400000_NS6detail17trampoline_kernelINS0_14default_configENS1_29reduce_by_key_config_selectorIslN6thrust23THRUST_200600_302600_NS4plusIlEEEEZZNS1_33reduce_by_key_impl_wrapped_configILNS1_25lookback_scan_determinismE0ES3_S9_PsNS6_17constant_iteratorIiNS6_11use_defaultESE_EENS6_10device_ptrIsEENSG_IlEEPmS8_NS6_8equal_toIsEEEE10hipError_tPvRmT2_T3_mT4_T5_T6_T7_T8_P12ihipStream_tbENKUlT_T0_E_clISt17integral_constantIbLb0EES13_EEDaSY_SZ_EUlSY_E_NS1_11comp_targetILNS1_3genE9ELNS1_11target_archE1100ELNS1_3gpuE3ELNS1_3repE0EEENS1_30default_config_static_selectorELNS0_4arch9wavefront6targetE1EEEvT1_.numbered_sgpr, 0
	.set _ZN7rocprim17ROCPRIM_400000_NS6detail17trampoline_kernelINS0_14default_configENS1_29reduce_by_key_config_selectorIslN6thrust23THRUST_200600_302600_NS4plusIlEEEEZZNS1_33reduce_by_key_impl_wrapped_configILNS1_25lookback_scan_determinismE0ES3_S9_PsNS6_17constant_iteratorIiNS6_11use_defaultESE_EENS6_10device_ptrIsEENSG_IlEEPmS8_NS6_8equal_toIsEEEE10hipError_tPvRmT2_T3_mT4_T5_T6_T7_T8_P12ihipStream_tbENKUlT_T0_E_clISt17integral_constantIbLb0EES13_EEDaSY_SZ_EUlSY_E_NS1_11comp_targetILNS1_3genE9ELNS1_11target_archE1100ELNS1_3gpuE3ELNS1_3repE0EEENS1_30default_config_static_selectorELNS0_4arch9wavefront6targetE1EEEvT1_.num_named_barrier, 0
	.set _ZN7rocprim17ROCPRIM_400000_NS6detail17trampoline_kernelINS0_14default_configENS1_29reduce_by_key_config_selectorIslN6thrust23THRUST_200600_302600_NS4plusIlEEEEZZNS1_33reduce_by_key_impl_wrapped_configILNS1_25lookback_scan_determinismE0ES3_S9_PsNS6_17constant_iteratorIiNS6_11use_defaultESE_EENS6_10device_ptrIsEENSG_IlEEPmS8_NS6_8equal_toIsEEEE10hipError_tPvRmT2_T3_mT4_T5_T6_T7_T8_P12ihipStream_tbENKUlT_T0_E_clISt17integral_constantIbLb0EES13_EEDaSY_SZ_EUlSY_E_NS1_11comp_targetILNS1_3genE9ELNS1_11target_archE1100ELNS1_3gpuE3ELNS1_3repE0EEENS1_30default_config_static_selectorELNS0_4arch9wavefront6targetE1EEEvT1_.private_seg_size, 0
	.set _ZN7rocprim17ROCPRIM_400000_NS6detail17trampoline_kernelINS0_14default_configENS1_29reduce_by_key_config_selectorIslN6thrust23THRUST_200600_302600_NS4plusIlEEEEZZNS1_33reduce_by_key_impl_wrapped_configILNS1_25lookback_scan_determinismE0ES3_S9_PsNS6_17constant_iteratorIiNS6_11use_defaultESE_EENS6_10device_ptrIsEENSG_IlEEPmS8_NS6_8equal_toIsEEEE10hipError_tPvRmT2_T3_mT4_T5_T6_T7_T8_P12ihipStream_tbENKUlT_T0_E_clISt17integral_constantIbLb0EES13_EEDaSY_SZ_EUlSY_E_NS1_11comp_targetILNS1_3genE9ELNS1_11target_archE1100ELNS1_3gpuE3ELNS1_3repE0EEENS1_30default_config_static_selectorELNS0_4arch9wavefront6targetE1EEEvT1_.uses_vcc, 0
	.set _ZN7rocprim17ROCPRIM_400000_NS6detail17trampoline_kernelINS0_14default_configENS1_29reduce_by_key_config_selectorIslN6thrust23THRUST_200600_302600_NS4plusIlEEEEZZNS1_33reduce_by_key_impl_wrapped_configILNS1_25lookback_scan_determinismE0ES3_S9_PsNS6_17constant_iteratorIiNS6_11use_defaultESE_EENS6_10device_ptrIsEENSG_IlEEPmS8_NS6_8equal_toIsEEEE10hipError_tPvRmT2_T3_mT4_T5_T6_T7_T8_P12ihipStream_tbENKUlT_T0_E_clISt17integral_constantIbLb0EES13_EEDaSY_SZ_EUlSY_E_NS1_11comp_targetILNS1_3genE9ELNS1_11target_archE1100ELNS1_3gpuE3ELNS1_3repE0EEENS1_30default_config_static_selectorELNS0_4arch9wavefront6targetE1EEEvT1_.uses_flat_scratch, 0
	.set _ZN7rocprim17ROCPRIM_400000_NS6detail17trampoline_kernelINS0_14default_configENS1_29reduce_by_key_config_selectorIslN6thrust23THRUST_200600_302600_NS4plusIlEEEEZZNS1_33reduce_by_key_impl_wrapped_configILNS1_25lookback_scan_determinismE0ES3_S9_PsNS6_17constant_iteratorIiNS6_11use_defaultESE_EENS6_10device_ptrIsEENSG_IlEEPmS8_NS6_8equal_toIsEEEE10hipError_tPvRmT2_T3_mT4_T5_T6_T7_T8_P12ihipStream_tbENKUlT_T0_E_clISt17integral_constantIbLb0EES13_EEDaSY_SZ_EUlSY_E_NS1_11comp_targetILNS1_3genE9ELNS1_11target_archE1100ELNS1_3gpuE3ELNS1_3repE0EEENS1_30default_config_static_selectorELNS0_4arch9wavefront6targetE1EEEvT1_.has_dyn_sized_stack, 0
	.set _ZN7rocprim17ROCPRIM_400000_NS6detail17trampoline_kernelINS0_14default_configENS1_29reduce_by_key_config_selectorIslN6thrust23THRUST_200600_302600_NS4plusIlEEEEZZNS1_33reduce_by_key_impl_wrapped_configILNS1_25lookback_scan_determinismE0ES3_S9_PsNS6_17constant_iteratorIiNS6_11use_defaultESE_EENS6_10device_ptrIsEENSG_IlEEPmS8_NS6_8equal_toIsEEEE10hipError_tPvRmT2_T3_mT4_T5_T6_T7_T8_P12ihipStream_tbENKUlT_T0_E_clISt17integral_constantIbLb0EES13_EEDaSY_SZ_EUlSY_E_NS1_11comp_targetILNS1_3genE9ELNS1_11target_archE1100ELNS1_3gpuE3ELNS1_3repE0EEENS1_30default_config_static_selectorELNS0_4arch9wavefront6targetE1EEEvT1_.has_recursion, 0
	.set _ZN7rocprim17ROCPRIM_400000_NS6detail17trampoline_kernelINS0_14default_configENS1_29reduce_by_key_config_selectorIslN6thrust23THRUST_200600_302600_NS4plusIlEEEEZZNS1_33reduce_by_key_impl_wrapped_configILNS1_25lookback_scan_determinismE0ES3_S9_PsNS6_17constant_iteratorIiNS6_11use_defaultESE_EENS6_10device_ptrIsEENSG_IlEEPmS8_NS6_8equal_toIsEEEE10hipError_tPvRmT2_T3_mT4_T5_T6_T7_T8_P12ihipStream_tbENKUlT_T0_E_clISt17integral_constantIbLb0EES13_EEDaSY_SZ_EUlSY_E_NS1_11comp_targetILNS1_3genE9ELNS1_11target_archE1100ELNS1_3gpuE3ELNS1_3repE0EEENS1_30default_config_static_selectorELNS0_4arch9wavefront6targetE1EEEvT1_.has_indirect_call, 0
	.section	.AMDGPU.csdata,"",@progbits
; Kernel info:
; codeLenInByte = 0
; TotalNumSgprs: 4
; NumVgprs: 0
; ScratchSize: 0
; MemoryBound: 0
; FloatMode: 240
; IeeeMode: 1
; LDSByteSize: 0 bytes/workgroup (compile time only)
; SGPRBlocks: 0
; VGPRBlocks: 0
; NumSGPRsForWavesPerEU: 4
; NumVGPRsForWavesPerEU: 1
; Occupancy: 10
; WaveLimiterHint : 0
; COMPUTE_PGM_RSRC2:SCRATCH_EN: 0
; COMPUTE_PGM_RSRC2:USER_SGPR: 6
; COMPUTE_PGM_RSRC2:TRAP_HANDLER: 0
; COMPUTE_PGM_RSRC2:TGID_X_EN: 1
; COMPUTE_PGM_RSRC2:TGID_Y_EN: 0
; COMPUTE_PGM_RSRC2:TGID_Z_EN: 0
; COMPUTE_PGM_RSRC2:TIDIG_COMP_CNT: 0
	.section	.text._ZN7rocprim17ROCPRIM_400000_NS6detail17trampoline_kernelINS0_14default_configENS1_29reduce_by_key_config_selectorIslN6thrust23THRUST_200600_302600_NS4plusIlEEEEZZNS1_33reduce_by_key_impl_wrapped_configILNS1_25lookback_scan_determinismE0ES3_S9_PsNS6_17constant_iteratorIiNS6_11use_defaultESE_EENS6_10device_ptrIsEENSG_IlEEPmS8_NS6_8equal_toIsEEEE10hipError_tPvRmT2_T3_mT4_T5_T6_T7_T8_P12ihipStream_tbENKUlT_T0_E_clISt17integral_constantIbLb0EES13_EEDaSY_SZ_EUlSY_E_NS1_11comp_targetILNS1_3genE8ELNS1_11target_archE1030ELNS1_3gpuE2ELNS1_3repE0EEENS1_30default_config_static_selectorELNS0_4arch9wavefront6targetE1EEEvT1_,"axG",@progbits,_ZN7rocprim17ROCPRIM_400000_NS6detail17trampoline_kernelINS0_14default_configENS1_29reduce_by_key_config_selectorIslN6thrust23THRUST_200600_302600_NS4plusIlEEEEZZNS1_33reduce_by_key_impl_wrapped_configILNS1_25lookback_scan_determinismE0ES3_S9_PsNS6_17constant_iteratorIiNS6_11use_defaultESE_EENS6_10device_ptrIsEENSG_IlEEPmS8_NS6_8equal_toIsEEEE10hipError_tPvRmT2_T3_mT4_T5_T6_T7_T8_P12ihipStream_tbENKUlT_T0_E_clISt17integral_constantIbLb0EES13_EEDaSY_SZ_EUlSY_E_NS1_11comp_targetILNS1_3genE8ELNS1_11target_archE1030ELNS1_3gpuE2ELNS1_3repE0EEENS1_30default_config_static_selectorELNS0_4arch9wavefront6targetE1EEEvT1_,comdat
	.protected	_ZN7rocprim17ROCPRIM_400000_NS6detail17trampoline_kernelINS0_14default_configENS1_29reduce_by_key_config_selectorIslN6thrust23THRUST_200600_302600_NS4plusIlEEEEZZNS1_33reduce_by_key_impl_wrapped_configILNS1_25lookback_scan_determinismE0ES3_S9_PsNS6_17constant_iteratorIiNS6_11use_defaultESE_EENS6_10device_ptrIsEENSG_IlEEPmS8_NS6_8equal_toIsEEEE10hipError_tPvRmT2_T3_mT4_T5_T6_T7_T8_P12ihipStream_tbENKUlT_T0_E_clISt17integral_constantIbLb0EES13_EEDaSY_SZ_EUlSY_E_NS1_11comp_targetILNS1_3genE8ELNS1_11target_archE1030ELNS1_3gpuE2ELNS1_3repE0EEENS1_30default_config_static_selectorELNS0_4arch9wavefront6targetE1EEEvT1_ ; -- Begin function _ZN7rocprim17ROCPRIM_400000_NS6detail17trampoline_kernelINS0_14default_configENS1_29reduce_by_key_config_selectorIslN6thrust23THRUST_200600_302600_NS4plusIlEEEEZZNS1_33reduce_by_key_impl_wrapped_configILNS1_25lookback_scan_determinismE0ES3_S9_PsNS6_17constant_iteratorIiNS6_11use_defaultESE_EENS6_10device_ptrIsEENSG_IlEEPmS8_NS6_8equal_toIsEEEE10hipError_tPvRmT2_T3_mT4_T5_T6_T7_T8_P12ihipStream_tbENKUlT_T0_E_clISt17integral_constantIbLb0EES13_EEDaSY_SZ_EUlSY_E_NS1_11comp_targetILNS1_3genE8ELNS1_11target_archE1030ELNS1_3gpuE2ELNS1_3repE0EEENS1_30default_config_static_selectorELNS0_4arch9wavefront6targetE1EEEvT1_
	.globl	_ZN7rocprim17ROCPRIM_400000_NS6detail17trampoline_kernelINS0_14default_configENS1_29reduce_by_key_config_selectorIslN6thrust23THRUST_200600_302600_NS4plusIlEEEEZZNS1_33reduce_by_key_impl_wrapped_configILNS1_25lookback_scan_determinismE0ES3_S9_PsNS6_17constant_iteratorIiNS6_11use_defaultESE_EENS6_10device_ptrIsEENSG_IlEEPmS8_NS6_8equal_toIsEEEE10hipError_tPvRmT2_T3_mT4_T5_T6_T7_T8_P12ihipStream_tbENKUlT_T0_E_clISt17integral_constantIbLb0EES13_EEDaSY_SZ_EUlSY_E_NS1_11comp_targetILNS1_3genE8ELNS1_11target_archE1030ELNS1_3gpuE2ELNS1_3repE0EEENS1_30default_config_static_selectorELNS0_4arch9wavefront6targetE1EEEvT1_
	.p2align	8
	.type	_ZN7rocprim17ROCPRIM_400000_NS6detail17trampoline_kernelINS0_14default_configENS1_29reduce_by_key_config_selectorIslN6thrust23THRUST_200600_302600_NS4plusIlEEEEZZNS1_33reduce_by_key_impl_wrapped_configILNS1_25lookback_scan_determinismE0ES3_S9_PsNS6_17constant_iteratorIiNS6_11use_defaultESE_EENS6_10device_ptrIsEENSG_IlEEPmS8_NS6_8equal_toIsEEEE10hipError_tPvRmT2_T3_mT4_T5_T6_T7_T8_P12ihipStream_tbENKUlT_T0_E_clISt17integral_constantIbLb0EES13_EEDaSY_SZ_EUlSY_E_NS1_11comp_targetILNS1_3genE8ELNS1_11target_archE1030ELNS1_3gpuE2ELNS1_3repE0EEENS1_30default_config_static_selectorELNS0_4arch9wavefront6targetE1EEEvT1_,@function
_ZN7rocprim17ROCPRIM_400000_NS6detail17trampoline_kernelINS0_14default_configENS1_29reduce_by_key_config_selectorIslN6thrust23THRUST_200600_302600_NS4plusIlEEEEZZNS1_33reduce_by_key_impl_wrapped_configILNS1_25lookback_scan_determinismE0ES3_S9_PsNS6_17constant_iteratorIiNS6_11use_defaultESE_EENS6_10device_ptrIsEENSG_IlEEPmS8_NS6_8equal_toIsEEEE10hipError_tPvRmT2_T3_mT4_T5_T6_T7_T8_P12ihipStream_tbENKUlT_T0_E_clISt17integral_constantIbLb0EES13_EEDaSY_SZ_EUlSY_E_NS1_11comp_targetILNS1_3genE8ELNS1_11target_archE1030ELNS1_3gpuE2ELNS1_3repE0EEENS1_30default_config_static_selectorELNS0_4arch9wavefront6targetE1EEEvT1_: ; @_ZN7rocprim17ROCPRIM_400000_NS6detail17trampoline_kernelINS0_14default_configENS1_29reduce_by_key_config_selectorIslN6thrust23THRUST_200600_302600_NS4plusIlEEEEZZNS1_33reduce_by_key_impl_wrapped_configILNS1_25lookback_scan_determinismE0ES3_S9_PsNS6_17constant_iteratorIiNS6_11use_defaultESE_EENS6_10device_ptrIsEENSG_IlEEPmS8_NS6_8equal_toIsEEEE10hipError_tPvRmT2_T3_mT4_T5_T6_T7_T8_P12ihipStream_tbENKUlT_T0_E_clISt17integral_constantIbLb0EES13_EEDaSY_SZ_EUlSY_E_NS1_11comp_targetILNS1_3genE8ELNS1_11target_archE1030ELNS1_3gpuE2ELNS1_3repE0EEENS1_30default_config_static_selectorELNS0_4arch9wavefront6targetE1EEEvT1_
; %bb.0:
	.section	.rodata,"a",@progbits
	.p2align	6, 0x0
	.amdhsa_kernel _ZN7rocprim17ROCPRIM_400000_NS6detail17trampoline_kernelINS0_14default_configENS1_29reduce_by_key_config_selectorIslN6thrust23THRUST_200600_302600_NS4plusIlEEEEZZNS1_33reduce_by_key_impl_wrapped_configILNS1_25lookback_scan_determinismE0ES3_S9_PsNS6_17constant_iteratorIiNS6_11use_defaultESE_EENS6_10device_ptrIsEENSG_IlEEPmS8_NS6_8equal_toIsEEEE10hipError_tPvRmT2_T3_mT4_T5_T6_T7_T8_P12ihipStream_tbENKUlT_T0_E_clISt17integral_constantIbLb0EES13_EEDaSY_SZ_EUlSY_E_NS1_11comp_targetILNS1_3genE8ELNS1_11target_archE1030ELNS1_3gpuE2ELNS1_3repE0EEENS1_30default_config_static_selectorELNS0_4arch9wavefront6targetE1EEEvT1_
		.amdhsa_group_segment_fixed_size 0
		.amdhsa_private_segment_fixed_size 0
		.amdhsa_kernarg_size 144
		.amdhsa_user_sgpr_count 6
		.amdhsa_user_sgpr_private_segment_buffer 1
		.amdhsa_user_sgpr_dispatch_ptr 0
		.amdhsa_user_sgpr_queue_ptr 0
		.amdhsa_user_sgpr_kernarg_segment_ptr 1
		.amdhsa_user_sgpr_dispatch_id 0
		.amdhsa_user_sgpr_flat_scratch_init 0
		.amdhsa_user_sgpr_private_segment_size 0
		.amdhsa_uses_dynamic_stack 0
		.amdhsa_system_sgpr_private_segment_wavefront_offset 0
		.amdhsa_system_sgpr_workgroup_id_x 1
		.amdhsa_system_sgpr_workgroup_id_y 0
		.amdhsa_system_sgpr_workgroup_id_z 0
		.amdhsa_system_sgpr_workgroup_info 0
		.amdhsa_system_vgpr_workitem_id 0
		.amdhsa_next_free_vgpr 1
		.amdhsa_next_free_sgpr 0
		.amdhsa_reserve_vcc 0
		.amdhsa_reserve_flat_scratch 0
		.amdhsa_float_round_mode_32 0
		.amdhsa_float_round_mode_16_64 0
		.amdhsa_float_denorm_mode_32 3
		.amdhsa_float_denorm_mode_16_64 3
		.amdhsa_dx10_clamp 1
		.amdhsa_ieee_mode 1
		.amdhsa_fp16_overflow 0
		.amdhsa_exception_fp_ieee_invalid_op 0
		.amdhsa_exception_fp_denorm_src 0
		.amdhsa_exception_fp_ieee_div_zero 0
		.amdhsa_exception_fp_ieee_overflow 0
		.amdhsa_exception_fp_ieee_underflow 0
		.amdhsa_exception_fp_ieee_inexact 0
		.amdhsa_exception_int_div_zero 0
	.end_amdhsa_kernel
	.section	.text._ZN7rocprim17ROCPRIM_400000_NS6detail17trampoline_kernelINS0_14default_configENS1_29reduce_by_key_config_selectorIslN6thrust23THRUST_200600_302600_NS4plusIlEEEEZZNS1_33reduce_by_key_impl_wrapped_configILNS1_25lookback_scan_determinismE0ES3_S9_PsNS6_17constant_iteratorIiNS6_11use_defaultESE_EENS6_10device_ptrIsEENSG_IlEEPmS8_NS6_8equal_toIsEEEE10hipError_tPvRmT2_T3_mT4_T5_T6_T7_T8_P12ihipStream_tbENKUlT_T0_E_clISt17integral_constantIbLb0EES13_EEDaSY_SZ_EUlSY_E_NS1_11comp_targetILNS1_3genE8ELNS1_11target_archE1030ELNS1_3gpuE2ELNS1_3repE0EEENS1_30default_config_static_selectorELNS0_4arch9wavefront6targetE1EEEvT1_,"axG",@progbits,_ZN7rocprim17ROCPRIM_400000_NS6detail17trampoline_kernelINS0_14default_configENS1_29reduce_by_key_config_selectorIslN6thrust23THRUST_200600_302600_NS4plusIlEEEEZZNS1_33reduce_by_key_impl_wrapped_configILNS1_25lookback_scan_determinismE0ES3_S9_PsNS6_17constant_iteratorIiNS6_11use_defaultESE_EENS6_10device_ptrIsEENSG_IlEEPmS8_NS6_8equal_toIsEEEE10hipError_tPvRmT2_T3_mT4_T5_T6_T7_T8_P12ihipStream_tbENKUlT_T0_E_clISt17integral_constantIbLb0EES13_EEDaSY_SZ_EUlSY_E_NS1_11comp_targetILNS1_3genE8ELNS1_11target_archE1030ELNS1_3gpuE2ELNS1_3repE0EEENS1_30default_config_static_selectorELNS0_4arch9wavefront6targetE1EEEvT1_,comdat
.Lfunc_end1478:
	.size	_ZN7rocprim17ROCPRIM_400000_NS6detail17trampoline_kernelINS0_14default_configENS1_29reduce_by_key_config_selectorIslN6thrust23THRUST_200600_302600_NS4plusIlEEEEZZNS1_33reduce_by_key_impl_wrapped_configILNS1_25lookback_scan_determinismE0ES3_S9_PsNS6_17constant_iteratorIiNS6_11use_defaultESE_EENS6_10device_ptrIsEENSG_IlEEPmS8_NS6_8equal_toIsEEEE10hipError_tPvRmT2_T3_mT4_T5_T6_T7_T8_P12ihipStream_tbENKUlT_T0_E_clISt17integral_constantIbLb0EES13_EEDaSY_SZ_EUlSY_E_NS1_11comp_targetILNS1_3genE8ELNS1_11target_archE1030ELNS1_3gpuE2ELNS1_3repE0EEENS1_30default_config_static_selectorELNS0_4arch9wavefront6targetE1EEEvT1_, .Lfunc_end1478-_ZN7rocprim17ROCPRIM_400000_NS6detail17trampoline_kernelINS0_14default_configENS1_29reduce_by_key_config_selectorIslN6thrust23THRUST_200600_302600_NS4plusIlEEEEZZNS1_33reduce_by_key_impl_wrapped_configILNS1_25lookback_scan_determinismE0ES3_S9_PsNS6_17constant_iteratorIiNS6_11use_defaultESE_EENS6_10device_ptrIsEENSG_IlEEPmS8_NS6_8equal_toIsEEEE10hipError_tPvRmT2_T3_mT4_T5_T6_T7_T8_P12ihipStream_tbENKUlT_T0_E_clISt17integral_constantIbLb0EES13_EEDaSY_SZ_EUlSY_E_NS1_11comp_targetILNS1_3genE8ELNS1_11target_archE1030ELNS1_3gpuE2ELNS1_3repE0EEENS1_30default_config_static_selectorELNS0_4arch9wavefront6targetE1EEEvT1_
                                        ; -- End function
	.set _ZN7rocprim17ROCPRIM_400000_NS6detail17trampoline_kernelINS0_14default_configENS1_29reduce_by_key_config_selectorIslN6thrust23THRUST_200600_302600_NS4plusIlEEEEZZNS1_33reduce_by_key_impl_wrapped_configILNS1_25lookback_scan_determinismE0ES3_S9_PsNS6_17constant_iteratorIiNS6_11use_defaultESE_EENS6_10device_ptrIsEENSG_IlEEPmS8_NS6_8equal_toIsEEEE10hipError_tPvRmT2_T3_mT4_T5_T6_T7_T8_P12ihipStream_tbENKUlT_T0_E_clISt17integral_constantIbLb0EES13_EEDaSY_SZ_EUlSY_E_NS1_11comp_targetILNS1_3genE8ELNS1_11target_archE1030ELNS1_3gpuE2ELNS1_3repE0EEENS1_30default_config_static_selectorELNS0_4arch9wavefront6targetE1EEEvT1_.num_vgpr, 0
	.set _ZN7rocprim17ROCPRIM_400000_NS6detail17trampoline_kernelINS0_14default_configENS1_29reduce_by_key_config_selectorIslN6thrust23THRUST_200600_302600_NS4plusIlEEEEZZNS1_33reduce_by_key_impl_wrapped_configILNS1_25lookback_scan_determinismE0ES3_S9_PsNS6_17constant_iteratorIiNS6_11use_defaultESE_EENS6_10device_ptrIsEENSG_IlEEPmS8_NS6_8equal_toIsEEEE10hipError_tPvRmT2_T3_mT4_T5_T6_T7_T8_P12ihipStream_tbENKUlT_T0_E_clISt17integral_constantIbLb0EES13_EEDaSY_SZ_EUlSY_E_NS1_11comp_targetILNS1_3genE8ELNS1_11target_archE1030ELNS1_3gpuE2ELNS1_3repE0EEENS1_30default_config_static_selectorELNS0_4arch9wavefront6targetE1EEEvT1_.num_agpr, 0
	.set _ZN7rocprim17ROCPRIM_400000_NS6detail17trampoline_kernelINS0_14default_configENS1_29reduce_by_key_config_selectorIslN6thrust23THRUST_200600_302600_NS4plusIlEEEEZZNS1_33reduce_by_key_impl_wrapped_configILNS1_25lookback_scan_determinismE0ES3_S9_PsNS6_17constant_iteratorIiNS6_11use_defaultESE_EENS6_10device_ptrIsEENSG_IlEEPmS8_NS6_8equal_toIsEEEE10hipError_tPvRmT2_T3_mT4_T5_T6_T7_T8_P12ihipStream_tbENKUlT_T0_E_clISt17integral_constantIbLb0EES13_EEDaSY_SZ_EUlSY_E_NS1_11comp_targetILNS1_3genE8ELNS1_11target_archE1030ELNS1_3gpuE2ELNS1_3repE0EEENS1_30default_config_static_selectorELNS0_4arch9wavefront6targetE1EEEvT1_.numbered_sgpr, 0
	.set _ZN7rocprim17ROCPRIM_400000_NS6detail17trampoline_kernelINS0_14default_configENS1_29reduce_by_key_config_selectorIslN6thrust23THRUST_200600_302600_NS4plusIlEEEEZZNS1_33reduce_by_key_impl_wrapped_configILNS1_25lookback_scan_determinismE0ES3_S9_PsNS6_17constant_iteratorIiNS6_11use_defaultESE_EENS6_10device_ptrIsEENSG_IlEEPmS8_NS6_8equal_toIsEEEE10hipError_tPvRmT2_T3_mT4_T5_T6_T7_T8_P12ihipStream_tbENKUlT_T0_E_clISt17integral_constantIbLb0EES13_EEDaSY_SZ_EUlSY_E_NS1_11comp_targetILNS1_3genE8ELNS1_11target_archE1030ELNS1_3gpuE2ELNS1_3repE0EEENS1_30default_config_static_selectorELNS0_4arch9wavefront6targetE1EEEvT1_.num_named_barrier, 0
	.set _ZN7rocprim17ROCPRIM_400000_NS6detail17trampoline_kernelINS0_14default_configENS1_29reduce_by_key_config_selectorIslN6thrust23THRUST_200600_302600_NS4plusIlEEEEZZNS1_33reduce_by_key_impl_wrapped_configILNS1_25lookback_scan_determinismE0ES3_S9_PsNS6_17constant_iteratorIiNS6_11use_defaultESE_EENS6_10device_ptrIsEENSG_IlEEPmS8_NS6_8equal_toIsEEEE10hipError_tPvRmT2_T3_mT4_T5_T6_T7_T8_P12ihipStream_tbENKUlT_T0_E_clISt17integral_constantIbLb0EES13_EEDaSY_SZ_EUlSY_E_NS1_11comp_targetILNS1_3genE8ELNS1_11target_archE1030ELNS1_3gpuE2ELNS1_3repE0EEENS1_30default_config_static_selectorELNS0_4arch9wavefront6targetE1EEEvT1_.private_seg_size, 0
	.set _ZN7rocprim17ROCPRIM_400000_NS6detail17trampoline_kernelINS0_14default_configENS1_29reduce_by_key_config_selectorIslN6thrust23THRUST_200600_302600_NS4plusIlEEEEZZNS1_33reduce_by_key_impl_wrapped_configILNS1_25lookback_scan_determinismE0ES3_S9_PsNS6_17constant_iteratorIiNS6_11use_defaultESE_EENS6_10device_ptrIsEENSG_IlEEPmS8_NS6_8equal_toIsEEEE10hipError_tPvRmT2_T3_mT4_T5_T6_T7_T8_P12ihipStream_tbENKUlT_T0_E_clISt17integral_constantIbLb0EES13_EEDaSY_SZ_EUlSY_E_NS1_11comp_targetILNS1_3genE8ELNS1_11target_archE1030ELNS1_3gpuE2ELNS1_3repE0EEENS1_30default_config_static_selectorELNS0_4arch9wavefront6targetE1EEEvT1_.uses_vcc, 0
	.set _ZN7rocprim17ROCPRIM_400000_NS6detail17trampoline_kernelINS0_14default_configENS1_29reduce_by_key_config_selectorIslN6thrust23THRUST_200600_302600_NS4plusIlEEEEZZNS1_33reduce_by_key_impl_wrapped_configILNS1_25lookback_scan_determinismE0ES3_S9_PsNS6_17constant_iteratorIiNS6_11use_defaultESE_EENS6_10device_ptrIsEENSG_IlEEPmS8_NS6_8equal_toIsEEEE10hipError_tPvRmT2_T3_mT4_T5_T6_T7_T8_P12ihipStream_tbENKUlT_T0_E_clISt17integral_constantIbLb0EES13_EEDaSY_SZ_EUlSY_E_NS1_11comp_targetILNS1_3genE8ELNS1_11target_archE1030ELNS1_3gpuE2ELNS1_3repE0EEENS1_30default_config_static_selectorELNS0_4arch9wavefront6targetE1EEEvT1_.uses_flat_scratch, 0
	.set _ZN7rocprim17ROCPRIM_400000_NS6detail17trampoline_kernelINS0_14default_configENS1_29reduce_by_key_config_selectorIslN6thrust23THRUST_200600_302600_NS4plusIlEEEEZZNS1_33reduce_by_key_impl_wrapped_configILNS1_25lookback_scan_determinismE0ES3_S9_PsNS6_17constant_iteratorIiNS6_11use_defaultESE_EENS6_10device_ptrIsEENSG_IlEEPmS8_NS6_8equal_toIsEEEE10hipError_tPvRmT2_T3_mT4_T5_T6_T7_T8_P12ihipStream_tbENKUlT_T0_E_clISt17integral_constantIbLb0EES13_EEDaSY_SZ_EUlSY_E_NS1_11comp_targetILNS1_3genE8ELNS1_11target_archE1030ELNS1_3gpuE2ELNS1_3repE0EEENS1_30default_config_static_selectorELNS0_4arch9wavefront6targetE1EEEvT1_.has_dyn_sized_stack, 0
	.set _ZN7rocprim17ROCPRIM_400000_NS6detail17trampoline_kernelINS0_14default_configENS1_29reduce_by_key_config_selectorIslN6thrust23THRUST_200600_302600_NS4plusIlEEEEZZNS1_33reduce_by_key_impl_wrapped_configILNS1_25lookback_scan_determinismE0ES3_S9_PsNS6_17constant_iteratorIiNS6_11use_defaultESE_EENS6_10device_ptrIsEENSG_IlEEPmS8_NS6_8equal_toIsEEEE10hipError_tPvRmT2_T3_mT4_T5_T6_T7_T8_P12ihipStream_tbENKUlT_T0_E_clISt17integral_constantIbLb0EES13_EEDaSY_SZ_EUlSY_E_NS1_11comp_targetILNS1_3genE8ELNS1_11target_archE1030ELNS1_3gpuE2ELNS1_3repE0EEENS1_30default_config_static_selectorELNS0_4arch9wavefront6targetE1EEEvT1_.has_recursion, 0
	.set _ZN7rocprim17ROCPRIM_400000_NS6detail17trampoline_kernelINS0_14default_configENS1_29reduce_by_key_config_selectorIslN6thrust23THRUST_200600_302600_NS4plusIlEEEEZZNS1_33reduce_by_key_impl_wrapped_configILNS1_25lookback_scan_determinismE0ES3_S9_PsNS6_17constant_iteratorIiNS6_11use_defaultESE_EENS6_10device_ptrIsEENSG_IlEEPmS8_NS6_8equal_toIsEEEE10hipError_tPvRmT2_T3_mT4_T5_T6_T7_T8_P12ihipStream_tbENKUlT_T0_E_clISt17integral_constantIbLb0EES13_EEDaSY_SZ_EUlSY_E_NS1_11comp_targetILNS1_3genE8ELNS1_11target_archE1030ELNS1_3gpuE2ELNS1_3repE0EEENS1_30default_config_static_selectorELNS0_4arch9wavefront6targetE1EEEvT1_.has_indirect_call, 0
	.section	.AMDGPU.csdata,"",@progbits
; Kernel info:
; codeLenInByte = 0
; TotalNumSgprs: 4
; NumVgprs: 0
; ScratchSize: 0
; MemoryBound: 0
; FloatMode: 240
; IeeeMode: 1
; LDSByteSize: 0 bytes/workgroup (compile time only)
; SGPRBlocks: 0
; VGPRBlocks: 0
; NumSGPRsForWavesPerEU: 4
; NumVGPRsForWavesPerEU: 1
; Occupancy: 10
; WaveLimiterHint : 0
; COMPUTE_PGM_RSRC2:SCRATCH_EN: 0
; COMPUTE_PGM_RSRC2:USER_SGPR: 6
; COMPUTE_PGM_RSRC2:TRAP_HANDLER: 0
; COMPUTE_PGM_RSRC2:TGID_X_EN: 1
; COMPUTE_PGM_RSRC2:TGID_Y_EN: 0
; COMPUTE_PGM_RSRC2:TGID_Z_EN: 0
; COMPUTE_PGM_RSRC2:TIDIG_COMP_CNT: 0
	.section	.text._ZN7rocprim17ROCPRIM_400000_NS6detail17trampoline_kernelINS0_14default_configENS1_29reduce_by_key_config_selectorIslN6thrust23THRUST_200600_302600_NS4plusIlEEEEZZNS1_33reduce_by_key_impl_wrapped_configILNS1_25lookback_scan_determinismE0ES3_S9_PsNS6_17constant_iteratorIiNS6_11use_defaultESE_EENS6_10device_ptrIsEENSG_IlEEPmS8_NS6_8equal_toIsEEEE10hipError_tPvRmT2_T3_mT4_T5_T6_T7_T8_P12ihipStream_tbENKUlT_T0_E_clISt17integral_constantIbLb1EES13_EEDaSY_SZ_EUlSY_E_NS1_11comp_targetILNS1_3genE0ELNS1_11target_archE4294967295ELNS1_3gpuE0ELNS1_3repE0EEENS1_30default_config_static_selectorELNS0_4arch9wavefront6targetE1EEEvT1_,"axG",@progbits,_ZN7rocprim17ROCPRIM_400000_NS6detail17trampoline_kernelINS0_14default_configENS1_29reduce_by_key_config_selectorIslN6thrust23THRUST_200600_302600_NS4plusIlEEEEZZNS1_33reduce_by_key_impl_wrapped_configILNS1_25lookback_scan_determinismE0ES3_S9_PsNS6_17constant_iteratorIiNS6_11use_defaultESE_EENS6_10device_ptrIsEENSG_IlEEPmS8_NS6_8equal_toIsEEEE10hipError_tPvRmT2_T3_mT4_T5_T6_T7_T8_P12ihipStream_tbENKUlT_T0_E_clISt17integral_constantIbLb1EES13_EEDaSY_SZ_EUlSY_E_NS1_11comp_targetILNS1_3genE0ELNS1_11target_archE4294967295ELNS1_3gpuE0ELNS1_3repE0EEENS1_30default_config_static_selectorELNS0_4arch9wavefront6targetE1EEEvT1_,comdat
	.protected	_ZN7rocprim17ROCPRIM_400000_NS6detail17trampoline_kernelINS0_14default_configENS1_29reduce_by_key_config_selectorIslN6thrust23THRUST_200600_302600_NS4plusIlEEEEZZNS1_33reduce_by_key_impl_wrapped_configILNS1_25lookback_scan_determinismE0ES3_S9_PsNS6_17constant_iteratorIiNS6_11use_defaultESE_EENS6_10device_ptrIsEENSG_IlEEPmS8_NS6_8equal_toIsEEEE10hipError_tPvRmT2_T3_mT4_T5_T6_T7_T8_P12ihipStream_tbENKUlT_T0_E_clISt17integral_constantIbLb1EES13_EEDaSY_SZ_EUlSY_E_NS1_11comp_targetILNS1_3genE0ELNS1_11target_archE4294967295ELNS1_3gpuE0ELNS1_3repE0EEENS1_30default_config_static_selectorELNS0_4arch9wavefront6targetE1EEEvT1_ ; -- Begin function _ZN7rocprim17ROCPRIM_400000_NS6detail17trampoline_kernelINS0_14default_configENS1_29reduce_by_key_config_selectorIslN6thrust23THRUST_200600_302600_NS4plusIlEEEEZZNS1_33reduce_by_key_impl_wrapped_configILNS1_25lookback_scan_determinismE0ES3_S9_PsNS6_17constant_iteratorIiNS6_11use_defaultESE_EENS6_10device_ptrIsEENSG_IlEEPmS8_NS6_8equal_toIsEEEE10hipError_tPvRmT2_T3_mT4_T5_T6_T7_T8_P12ihipStream_tbENKUlT_T0_E_clISt17integral_constantIbLb1EES13_EEDaSY_SZ_EUlSY_E_NS1_11comp_targetILNS1_3genE0ELNS1_11target_archE4294967295ELNS1_3gpuE0ELNS1_3repE0EEENS1_30default_config_static_selectorELNS0_4arch9wavefront6targetE1EEEvT1_
	.globl	_ZN7rocprim17ROCPRIM_400000_NS6detail17trampoline_kernelINS0_14default_configENS1_29reduce_by_key_config_selectorIslN6thrust23THRUST_200600_302600_NS4plusIlEEEEZZNS1_33reduce_by_key_impl_wrapped_configILNS1_25lookback_scan_determinismE0ES3_S9_PsNS6_17constant_iteratorIiNS6_11use_defaultESE_EENS6_10device_ptrIsEENSG_IlEEPmS8_NS6_8equal_toIsEEEE10hipError_tPvRmT2_T3_mT4_T5_T6_T7_T8_P12ihipStream_tbENKUlT_T0_E_clISt17integral_constantIbLb1EES13_EEDaSY_SZ_EUlSY_E_NS1_11comp_targetILNS1_3genE0ELNS1_11target_archE4294967295ELNS1_3gpuE0ELNS1_3repE0EEENS1_30default_config_static_selectorELNS0_4arch9wavefront6targetE1EEEvT1_
	.p2align	8
	.type	_ZN7rocprim17ROCPRIM_400000_NS6detail17trampoline_kernelINS0_14default_configENS1_29reduce_by_key_config_selectorIslN6thrust23THRUST_200600_302600_NS4plusIlEEEEZZNS1_33reduce_by_key_impl_wrapped_configILNS1_25lookback_scan_determinismE0ES3_S9_PsNS6_17constant_iteratorIiNS6_11use_defaultESE_EENS6_10device_ptrIsEENSG_IlEEPmS8_NS6_8equal_toIsEEEE10hipError_tPvRmT2_T3_mT4_T5_T6_T7_T8_P12ihipStream_tbENKUlT_T0_E_clISt17integral_constantIbLb1EES13_EEDaSY_SZ_EUlSY_E_NS1_11comp_targetILNS1_3genE0ELNS1_11target_archE4294967295ELNS1_3gpuE0ELNS1_3repE0EEENS1_30default_config_static_selectorELNS0_4arch9wavefront6targetE1EEEvT1_,@function
_ZN7rocprim17ROCPRIM_400000_NS6detail17trampoline_kernelINS0_14default_configENS1_29reduce_by_key_config_selectorIslN6thrust23THRUST_200600_302600_NS4plusIlEEEEZZNS1_33reduce_by_key_impl_wrapped_configILNS1_25lookback_scan_determinismE0ES3_S9_PsNS6_17constant_iteratorIiNS6_11use_defaultESE_EENS6_10device_ptrIsEENSG_IlEEPmS8_NS6_8equal_toIsEEEE10hipError_tPvRmT2_T3_mT4_T5_T6_T7_T8_P12ihipStream_tbENKUlT_T0_E_clISt17integral_constantIbLb1EES13_EEDaSY_SZ_EUlSY_E_NS1_11comp_targetILNS1_3genE0ELNS1_11target_archE4294967295ELNS1_3gpuE0ELNS1_3repE0EEENS1_30default_config_static_selectorELNS0_4arch9wavefront6targetE1EEEvT1_: ; @_ZN7rocprim17ROCPRIM_400000_NS6detail17trampoline_kernelINS0_14default_configENS1_29reduce_by_key_config_selectorIslN6thrust23THRUST_200600_302600_NS4plusIlEEEEZZNS1_33reduce_by_key_impl_wrapped_configILNS1_25lookback_scan_determinismE0ES3_S9_PsNS6_17constant_iteratorIiNS6_11use_defaultESE_EENS6_10device_ptrIsEENSG_IlEEPmS8_NS6_8equal_toIsEEEE10hipError_tPvRmT2_T3_mT4_T5_T6_T7_T8_P12ihipStream_tbENKUlT_T0_E_clISt17integral_constantIbLb1EES13_EEDaSY_SZ_EUlSY_E_NS1_11comp_targetILNS1_3genE0ELNS1_11target_archE4294967295ELNS1_3gpuE0ELNS1_3repE0EEENS1_30default_config_static_selectorELNS0_4arch9wavefront6targetE1EEEvT1_
; %bb.0:
	.section	.rodata,"a",@progbits
	.p2align	6, 0x0
	.amdhsa_kernel _ZN7rocprim17ROCPRIM_400000_NS6detail17trampoline_kernelINS0_14default_configENS1_29reduce_by_key_config_selectorIslN6thrust23THRUST_200600_302600_NS4plusIlEEEEZZNS1_33reduce_by_key_impl_wrapped_configILNS1_25lookback_scan_determinismE0ES3_S9_PsNS6_17constant_iteratorIiNS6_11use_defaultESE_EENS6_10device_ptrIsEENSG_IlEEPmS8_NS6_8equal_toIsEEEE10hipError_tPvRmT2_T3_mT4_T5_T6_T7_T8_P12ihipStream_tbENKUlT_T0_E_clISt17integral_constantIbLb1EES13_EEDaSY_SZ_EUlSY_E_NS1_11comp_targetILNS1_3genE0ELNS1_11target_archE4294967295ELNS1_3gpuE0ELNS1_3repE0EEENS1_30default_config_static_selectorELNS0_4arch9wavefront6targetE1EEEvT1_
		.amdhsa_group_segment_fixed_size 0
		.amdhsa_private_segment_fixed_size 0
		.amdhsa_kernarg_size 144
		.amdhsa_user_sgpr_count 6
		.amdhsa_user_sgpr_private_segment_buffer 1
		.amdhsa_user_sgpr_dispatch_ptr 0
		.amdhsa_user_sgpr_queue_ptr 0
		.amdhsa_user_sgpr_kernarg_segment_ptr 1
		.amdhsa_user_sgpr_dispatch_id 0
		.amdhsa_user_sgpr_flat_scratch_init 0
		.amdhsa_user_sgpr_private_segment_size 0
		.amdhsa_uses_dynamic_stack 0
		.amdhsa_system_sgpr_private_segment_wavefront_offset 0
		.amdhsa_system_sgpr_workgroup_id_x 1
		.amdhsa_system_sgpr_workgroup_id_y 0
		.amdhsa_system_sgpr_workgroup_id_z 0
		.amdhsa_system_sgpr_workgroup_info 0
		.amdhsa_system_vgpr_workitem_id 0
		.amdhsa_next_free_vgpr 1
		.amdhsa_next_free_sgpr 0
		.amdhsa_reserve_vcc 0
		.amdhsa_reserve_flat_scratch 0
		.amdhsa_float_round_mode_32 0
		.amdhsa_float_round_mode_16_64 0
		.amdhsa_float_denorm_mode_32 3
		.amdhsa_float_denorm_mode_16_64 3
		.amdhsa_dx10_clamp 1
		.amdhsa_ieee_mode 1
		.amdhsa_fp16_overflow 0
		.amdhsa_exception_fp_ieee_invalid_op 0
		.amdhsa_exception_fp_denorm_src 0
		.amdhsa_exception_fp_ieee_div_zero 0
		.amdhsa_exception_fp_ieee_overflow 0
		.amdhsa_exception_fp_ieee_underflow 0
		.amdhsa_exception_fp_ieee_inexact 0
		.amdhsa_exception_int_div_zero 0
	.end_amdhsa_kernel
	.section	.text._ZN7rocprim17ROCPRIM_400000_NS6detail17trampoline_kernelINS0_14default_configENS1_29reduce_by_key_config_selectorIslN6thrust23THRUST_200600_302600_NS4plusIlEEEEZZNS1_33reduce_by_key_impl_wrapped_configILNS1_25lookback_scan_determinismE0ES3_S9_PsNS6_17constant_iteratorIiNS6_11use_defaultESE_EENS6_10device_ptrIsEENSG_IlEEPmS8_NS6_8equal_toIsEEEE10hipError_tPvRmT2_T3_mT4_T5_T6_T7_T8_P12ihipStream_tbENKUlT_T0_E_clISt17integral_constantIbLb1EES13_EEDaSY_SZ_EUlSY_E_NS1_11comp_targetILNS1_3genE0ELNS1_11target_archE4294967295ELNS1_3gpuE0ELNS1_3repE0EEENS1_30default_config_static_selectorELNS0_4arch9wavefront6targetE1EEEvT1_,"axG",@progbits,_ZN7rocprim17ROCPRIM_400000_NS6detail17trampoline_kernelINS0_14default_configENS1_29reduce_by_key_config_selectorIslN6thrust23THRUST_200600_302600_NS4plusIlEEEEZZNS1_33reduce_by_key_impl_wrapped_configILNS1_25lookback_scan_determinismE0ES3_S9_PsNS6_17constant_iteratorIiNS6_11use_defaultESE_EENS6_10device_ptrIsEENSG_IlEEPmS8_NS6_8equal_toIsEEEE10hipError_tPvRmT2_T3_mT4_T5_T6_T7_T8_P12ihipStream_tbENKUlT_T0_E_clISt17integral_constantIbLb1EES13_EEDaSY_SZ_EUlSY_E_NS1_11comp_targetILNS1_3genE0ELNS1_11target_archE4294967295ELNS1_3gpuE0ELNS1_3repE0EEENS1_30default_config_static_selectorELNS0_4arch9wavefront6targetE1EEEvT1_,comdat
.Lfunc_end1479:
	.size	_ZN7rocprim17ROCPRIM_400000_NS6detail17trampoline_kernelINS0_14default_configENS1_29reduce_by_key_config_selectorIslN6thrust23THRUST_200600_302600_NS4plusIlEEEEZZNS1_33reduce_by_key_impl_wrapped_configILNS1_25lookback_scan_determinismE0ES3_S9_PsNS6_17constant_iteratorIiNS6_11use_defaultESE_EENS6_10device_ptrIsEENSG_IlEEPmS8_NS6_8equal_toIsEEEE10hipError_tPvRmT2_T3_mT4_T5_T6_T7_T8_P12ihipStream_tbENKUlT_T0_E_clISt17integral_constantIbLb1EES13_EEDaSY_SZ_EUlSY_E_NS1_11comp_targetILNS1_3genE0ELNS1_11target_archE4294967295ELNS1_3gpuE0ELNS1_3repE0EEENS1_30default_config_static_selectorELNS0_4arch9wavefront6targetE1EEEvT1_, .Lfunc_end1479-_ZN7rocprim17ROCPRIM_400000_NS6detail17trampoline_kernelINS0_14default_configENS1_29reduce_by_key_config_selectorIslN6thrust23THRUST_200600_302600_NS4plusIlEEEEZZNS1_33reduce_by_key_impl_wrapped_configILNS1_25lookback_scan_determinismE0ES3_S9_PsNS6_17constant_iteratorIiNS6_11use_defaultESE_EENS6_10device_ptrIsEENSG_IlEEPmS8_NS6_8equal_toIsEEEE10hipError_tPvRmT2_T3_mT4_T5_T6_T7_T8_P12ihipStream_tbENKUlT_T0_E_clISt17integral_constantIbLb1EES13_EEDaSY_SZ_EUlSY_E_NS1_11comp_targetILNS1_3genE0ELNS1_11target_archE4294967295ELNS1_3gpuE0ELNS1_3repE0EEENS1_30default_config_static_selectorELNS0_4arch9wavefront6targetE1EEEvT1_
                                        ; -- End function
	.set _ZN7rocprim17ROCPRIM_400000_NS6detail17trampoline_kernelINS0_14default_configENS1_29reduce_by_key_config_selectorIslN6thrust23THRUST_200600_302600_NS4plusIlEEEEZZNS1_33reduce_by_key_impl_wrapped_configILNS1_25lookback_scan_determinismE0ES3_S9_PsNS6_17constant_iteratorIiNS6_11use_defaultESE_EENS6_10device_ptrIsEENSG_IlEEPmS8_NS6_8equal_toIsEEEE10hipError_tPvRmT2_T3_mT4_T5_T6_T7_T8_P12ihipStream_tbENKUlT_T0_E_clISt17integral_constantIbLb1EES13_EEDaSY_SZ_EUlSY_E_NS1_11comp_targetILNS1_3genE0ELNS1_11target_archE4294967295ELNS1_3gpuE0ELNS1_3repE0EEENS1_30default_config_static_selectorELNS0_4arch9wavefront6targetE1EEEvT1_.num_vgpr, 0
	.set _ZN7rocprim17ROCPRIM_400000_NS6detail17trampoline_kernelINS0_14default_configENS1_29reduce_by_key_config_selectorIslN6thrust23THRUST_200600_302600_NS4plusIlEEEEZZNS1_33reduce_by_key_impl_wrapped_configILNS1_25lookback_scan_determinismE0ES3_S9_PsNS6_17constant_iteratorIiNS6_11use_defaultESE_EENS6_10device_ptrIsEENSG_IlEEPmS8_NS6_8equal_toIsEEEE10hipError_tPvRmT2_T3_mT4_T5_T6_T7_T8_P12ihipStream_tbENKUlT_T0_E_clISt17integral_constantIbLb1EES13_EEDaSY_SZ_EUlSY_E_NS1_11comp_targetILNS1_3genE0ELNS1_11target_archE4294967295ELNS1_3gpuE0ELNS1_3repE0EEENS1_30default_config_static_selectorELNS0_4arch9wavefront6targetE1EEEvT1_.num_agpr, 0
	.set _ZN7rocprim17ROCPRIM_400000_NS6detail17trampoline_kernelINS0_14default_configENS1_29reduce_by_key_config_selectorIslN6thrust23THRUST_200600_302600_NS4plusIlEEEEZZNS1_33reduce_by_key_impl_wrapped_configILNS1_25lookback_scan_determinismE0ES3_S9_PsNS6_17constant_iteratorIiNS6_11use_defaultESE_EENS6_10device_ptrIsEENSG_IlEEPmS8_NS6_8equal_toIsEEEE10hipError_tPvRmT2_T3_mT4_T5_T6_T7_T8_P12ihipStream_tbENKUlT_T0_E_clISt17integral_constantIbLb1EES13_EEDaSY_SZ_EUlSY_E_NS1_11comp_targetILNS1_3genE0ELNS1_11target_archE4294967295ELNS1_3gpuE0ELNS1_3repE0EEENS1_30default_config_static_selectorELNS0_4arch9wavefront6targetE1EEEvT1_.numbered_sgpr, 0
	.set _ZN7rocprim17ROCPRIM_400000_NS6detail17trampoline_kernelINS0_14default_configENS1_29reduce_by_key_config_selectorIslN6thrust23THRUST_200600_302600_NS4plusIlEEEEZZNS1_33reduce_by_key_impl_wrapped_configILNS1_25lookback_scan_determinismE0ES3_S9_PsNS6_17constant_iteratorIiNS6_11use_defaultESE_EENS6_10device_ptrIsEENSG_IlEEPmS8_NS6_8equal_toIsEEEE10hipError_tPvRmT2_T3_mT4_T5_T6_T7_T8_P12ihipStream_tbENKUlT_T0_E_clISt17integral_constantIbLb1EES13_EEDaSY_SZ_EUlSY_E_NS1_11comp_targetILNS1_3genE0ELNS1_11target_archE4294967295ELNS1_3gpuE0ELNS1_3repE0EEENS1_30default_config_static_selectorELNS0_4arch9wavefront6targetE1EEEvT1_.num_named_barrier, 0
	.set _ZN7rocprim17ROCPRIM_400000_NS6detail17trampoline_kernelINS0_14default_configENS1_29reduce_by_key_config_selectorIslN6thrust23THRUST_200600_302600_NS4plusIlEEEEZZNS1_33reduce_by_key_impl_wrapped_configILNS1_25lookback_scan_determinismE0ES3_S9_PsNS6_17constant_iteratorIiNS6_11use_defaultESE_EENS6_10device_ptrIsEENSG_IlEEPmS8_NS6_8equal_toIsEEEE10hipError_tPvRmT2_T3_mT4_T5_T6_T7_T8_P12ihipStream_tbENKUlT_T0_E_clISt17integral_constantIbLb1EES13_EEDaSY_SZ_EUlSY_E_NS1_11comp_targetILNS1_3genE0ELNS1_11target_archE4294967295ELNS1_3gpuE0ELNS1_3repE0EEENS1_30default_config_static_selectorELNS0_4arch9wavefront6targetE1EEEvT1_.private_seg_size, 0
	.set _ZN7rocprim17ROCPRIM_400000_NS6detail17trampoline_kernelINS0_14default_configENS1_29reduce_by_key_config_selectorIslN6thrust23THRUST_200600_302600_NS4plusIlEEEEZZNS1_33reduce_by_key_impl_wrapped_configILNS1_25lookback_scan_determinismE0ES3_S9_PsNS6_17constant_iteratorIiNS6_11use_defaultESE_EENS6_10device_ptrIsEENSG_IlEEPmS8_NS6_8equal_toIsEEEE10hipError_tPvRmT2_T3_mT4_T5_T6_T7_T8_P12ihipStream_tbENKUlT_T0_E_clISt17integral_constantIbLb1EES13_EEDaSY_SZ_EUlSY_E_NS1_11comp_targetILNS1_3genE0ELNS1_11target_archE4294967295ELNS1_3gpuE0ELNS1_3repE0EEENS1_30default_config_static_selectorELNS0_4arch9wavefront6targetE1EEEvT1_.uses_vcc, 0
	.set _ZN7rocprim17ROCPRIM_400000_NS6detail17trampoline_kernelINS0_14default_configENS1_29reduce_by_key_config_selectorIslN6thrust23THRUST_200600_302600_NS4plusIlEEEEZZNS1_33reduce_by_key_impl_wrapped_configILNS1_25lookback_scan_determinismE0ES3_S9_PsNS6_17constant_iteratorIiNS6_11use_defaultESE_EENS6_10device_ptrIsEENSG_IlEEPmS8_NS6_8equal_toIsEEEE10hipError_tPvRmT2_T3_mT4_T5_T6_T7_T8_P12ihipStream_tbENKUlT_T0_E_clISt17integral_constantIbLb1EES13_EEDaSY_SZ_EUlSY_E_NS1_11comp_targetILNS1_3genE0ELNS1_11target_archE4294967295ELNS1_3gpuE0ELNS1_3repE0EEENS1_30default_config_static_selectorELNS0_4arch9wavefront6targetE1EEEvT1_.uses_flat_scratch, 0
	.set _ZN7rocprim17ROCPRIM_400000_NS6detail17trampoline_kernelINS0_14default_configENS1_29reduce_by_key_config_selectorIslN6thrust23THRUST_200600_302600_NS4plusIlEEEEZZNS1_33reduce_by_key_impl_wrapped_configILNS1_25lookback_scan_determinismE0ES3_S9_PsNS6_17constant_iteratorIiNS6_11use_defaultESE_EENS6_10device_ptrIsEENSG_IlEEPmS8_NS6_8equal_toIsEEEE10hipError_tPvRmT2_T3_mT4_T5_T6_T7_T8_P12ihipStream_tbENKUlT_T0_E_clISt17integral_constantIbLb1EES13_EEDaSY_SZ_EUlSY_E_NS1_11comp_targetILNS1_3genE0ELNS1_11target_archE4294967295ELNS1_3gpuE0ELNS1_3repE0EEENS1_30default_config_static_selectorELNS0_4arch9wavefront6targetE1EEEvT1_.has_dyn_sized_stack, 0
	.set _ZN7rocprim17ROCPRIM_400000_NS6detail17trampoline_kernelINS0_14default_configENS1_29reduce_by_key_config_selectorIslN6thrust23THRUST_200600_302600_NS4plusIlEEEEZZNS1_33reduce_by_key_impl_wrapped_configILNS1_25lookback_scan_determinismE0ES3_S9_PsNS6_17constant_iteratorIiNS6_11use_defaultESE_EENS6_10device_ptrIsEENSG_IlEEPmS8_NS6_8equal_toIsEEEE10hipError_tPvRmT2_T3_mT4_T5_T6_T7_T8_P12ihipStream_tbENKUlT_T0_E_clISt17integral_constantIbLb1EES13_EEDaSY_SZ_EUlSY_E_NS1_11comp_targetILNS1_3genE0ELNS1_11target_archE4294967295ELNS1_3gpuE0ELNS1_3repE0EEENS1_30default_config_static_selectorELNS0_4arch9wavefront6targetE1EEEvT1_.has_recursion, 0
	.set _ZN7rocprim17ROCPRIM_400000_NS6detail17trampoline_kernelINS0_14default_configENS1_29reduce_by_key_config_selectorIslN6thrust23THRUST_200600_302600_NS4plusIlEEEEZZNS1_33reduce_by_key_impl_wrapped_configILNS1_25lookback_scan_determinismE0ES3_S9_PsNS6_17constant_iteratorIiNS6_11use_defaultESE_EENS6_10device_ptrIsEENSG_IlEEPmS8_NS6_8equal_toIsEEEE10hipError_tPvRmT2_T3_mT4_T5_T6_T7_T8_P12ihipStream_tbENKUlT_T0_E_clISt17integral_constantIbLb1EES13_EEDaSY_SZ_EUlSY_E_NS1_11comp_targetILNS1_3genE0ELNS1_11target_archE4294967295ELNS1_3gpuE0ELNS1_3repE0EEENS1_30default_config_static_selectorELNS0_4arch9wavefront6targetE1EEEvT1_.has_indirect_call, 0
	.section	.AMDGPU.csdata,"",@progbits
; Kernel info:
; codeLenInByte = 0
; TotalNumSgprs: 4
; NumVgprs: 0
; ScratchSize: 0
; MemoryBound: 0
; FloatMode: 240
; IeeeMode: 1
; LDSByteSize: 0 bytes/workgroup (compile time only)
; SGPRBlocks: 0
; VGPRBlocks: 0
; NumSGPRsForWavesPerEU: 4
; NumVGPRsForWavesPerEU: 1
; Occupancy: 10
; WaveLimiterHint : 0
; COMPUTE_PGM_RSRC2:SCRATCH_EN: 0
; COMPUTE_PGM_RSRC2:USER_SGPR: 6
; COMPUTE_PGM_RSRC2:TRAP_HANDLER: 0
; COMPUTE_PGM_RSRC2:TGID_X_EN: 1
; COMPUTE_PGM_RSRC2:TGID_Y_EN: 0
; COMPUTE_PGM_RSRC2:TGID_Z_EN: 0
; COMPUTE_PGM_RSRC2:TIDIG_COMP_CNT: 0
	.section	.text._ZN7rocprim17ROCPRIM_400000_NS6detail17trampoline_kernelINS0_14default_configENS1_29reduce_by_key_config_selectorIslN6thrust23THRUST_200600_302600_NS4plusIlEEEEZZNS1_33reduce_by_key_impl_wrapped_configILNS1_25lookback_scan_determinismE0ES3_S9_PsNS6_17constant_iteratorIiNS6_11use_defaultESE_EENS6_10device_ptrIsEENSG_IlEEPmS8_NS6_8equal_toIsEEEE10hipError_tPvRmT2_T3_mT4_T5_T6_T7_T8_P12ihipStream_tbENKUlT_T0_E_clISt17integral_constantIbLb1EES13_EEDaSY_SZ_EUlSY_E_NS1_11comp_targetILNS1_3genE5ELNS1_11target_archE942ELNS1_3gpuE9ELNS1_3repE0EEENS1_30default_config_static_selectorELNS0_4arch9wavefront6targetE1EEEvT1_,"axG",@progbits,_ZN7rocprim17ROCPRIM_400000_NS6detail17trampoline_kernelINS0_14default_configENS1_29reduce_by_key_config_selectorIslN6thrust23THRUST_200600_302600_NS4plusIlEEEEZZNS1_33reduce_by_key_impl_wrapped_configILNS1_25lookback_scan_determinismE0ES3_S9_PsNS6_17constant_iteratorIiNS6_11use_defaultESE_EENS6_10device_ptrIsEENSG_IlEEPmS8_NS6_8equal_toIsEEEE10hipError_tPvRmT2_T3_mT4_T5_T6_T7_T8_P12ihipStream_tbENKUlT_T0_E_clISt17integral_constantIbLb1EES13_EEDaSY_SZ_EUlSY_E_NS1_11comp_targetILNS1_3genE5ELNS1_11target_archE942ELNS1_3gpuE9ELNS1_3repE0EEENS1_30default_config_static_selectorELNS0_4arch9wavefront6targetE1EEEvT1_,comdat
	.protected	_ZN7rocprim17ROCPRIM_400000_NS6detail17trampoline_kernelINS0_14default_configENS1_29reduce_by_key_config_selectorIslN6thrust23THRUST_200600_302600_NS4plusIlEEEEZZNS1_33reduce_by_key_impl_wrapped_configILNS1_25lookback_scan_determinismE0ES3_S9_PsNS6_17constant_iteratorIiNS6_11use_defaultESE_EENS6_10device_ptrIsEENSG_IlEEPmS8_NS6_8equal_toIsEEEE10hipError_tPvRmT2_T3_mT4_T5_T6_T7_T8_P12ihipStream_tbENKUlT_T0_E_clISt17integral_constantIbLb1EES13_EEDaSY_SZ_EUlSY_E_NS1_11comp_targetILNS1_3genE5ELNS1_11target_archE942ELNS1_3gpuE9ELNS1_3repE0EEENS1_30default_config_static_selectorELNS0_4arch9wavefront6targetE1EEEvT1_ ; -- Begin function _ZN7rocprim17ROCPRIM_400000_NS6detail17trampoline_kernelINS0_14default_configENS1_29reduce_by_key_config_selectorIslN6thrust23THRUST_200600_302600_NS4plusIlEEEEZZNS1_33reduce_by_key_impl_wrapped_configILNS1_25lookback_scan_determinismE0ES3_S9_PsNS6_17constant_iteratorIiNS6_11use_defaultESE_EENS6_10device_ptrIsEENSG_IlEEPmS8_NS6_8equal_toIsEEEE10hipError_tPvRmT2_T3_mT4_T5_T6_T7_T8_P12ihipStream_tbENKUlT_T0_E_clISt17integral_constantIbLb1EES13_EEDaSY_SZ_EUlSY_E_NS1_11comp_targetILNS1_3genE5ELNS1_11target_archE942ELNS1_3gpuE9ELNS1_3repE0EEENS1_30default_config_static_selectorELNS0_4arch9wavefront6targetE1EEEvT1_
	.globl	_ZN7rocprim17ROCPRIM_400000_NS6detail17trampoline_kernelINS0_14default_configENS1_29reduce_by_key_config_selectorIslN6thrust23THRUST_200600_302600_NS4plusIlEEEEZZNS1_33reduce_by_key_impl_wrapped_configILNS1_25lookback_scan_determinismE0ES3_S9_PsNS6_17constant_iteratorIiNS6_11use_defaultESE_EENS6_10device_ptrIsEENSG_IlEEPmS8_NS6_8equal_toIsEEEE10hipError_tPvRmT2_T3_mT4_T5_T6_T7_T8_P12ihipStream_tbENKUlT_T0_E_clISt17integral_constantIbLb1EES13_EEDaSY_SZ_EUlSY_E_NS1_11comp_targetILNS1_3genE5ELNS1_11target_archE942ELNS1_3gpuE9ELNS1_3repE0EEENS1_30default_config_static_selectorELNS0_4arch9wavefront6targetE1EEEvT1_
	.p2align	8
	.type	_ZN7rocprim17ROCPRIM_400000_NS6detail17trampoline_kernelINS0_14default_configENS1_29reduce_by_key_config_selectorIslN6thrust23THRUST_200600_302600_NS4plusIlEEEEZZNS1_33reduce_by_key_impl_wrapped_configILNS1_25lookback_scan_determinismE0ES3_S9_PsNS6_17constant_iteratorIiNS6_11use_defaultESE_EENS6_10device_ptrIsEENSG_IlEEPmS8_NS6_8equal_toIsEEEE10hipError_tPvRmT2_T3_mT4_T5_T6_T7_T8_P12ihipStream_tbENKUlT_T0_E_clISt17integral_constantIbLb1EES13_EEDaSY_SZ_EUlSY_E_NS1_11comp_targetILNS1_3genE5ELNS1_11target_archE942ELNS1_3gpuE9ELNS1_3repE0EEENS1_30default_config_static_selectorELNS0_4arch9wavefront6targetE1EEEvT1_,@function
_ZN7rocprim17ROCPRIM_400000_NS6detail17trampoline_kernelINS0_14default_configENS1_29reduce_by_key_config_selectorIslN6thrust23THRUST_200600_302600_NS4plusIlEEEEZZNS1_33reduce_by_key_impl_wrapped_configILNS1_25lookback_scan_determinismE0ES3_S9_PsNS6_17constant_iteratorIiNS6_11use_defaultESE_EENS6_10device_ptrIsEENSG_IlEEPmS8_NS6_8equal_toIsEEEE10hipError_tPvRmT2_T3_mT4_T5_T6_T7_T8_P12ihipStream_tbENKUlT_T0_E_clISt17integral_constantIbLb1EES13_EEDaSY_SZ_EUlSY_E_NS1_11comp_targetILNS1_3genE5ELNS1_11target_archE942ELNS1_3gpuE9ELNS1_3repE0EEENS1_30default_config_static_selectorELNS0_4arch9wavefront6targetE1EEEvT1_: ; @_ZN7rocprim17ROCPRIM_400000_NS6detail17trampoline_kernelINS0_14default_configENS1_29reduce_by_key_config_selectorIslN6thrust23THRUST_200600_302600_NS4plusIlEEEEZZNS1_33reduce_by_key_impl_wrapped_configILNS1_25lookback_scan_determinismE0ES3_S9_PsNS6_17constant_iteratorIiNS6_11use_defaultESE_EENS6_10device_ptrIsEENSG_IlEEPmS8_NS6_8equal_toIsEEEE10hipError_tPvRmT2_T3_mT4_T5_T6_T7_T8_P12ihipStream_tbENKUlT_T0_E_clISt17integral_constantIbLb1EES13_EEDaSY_SZ_EUlSY_E_NS1_11comp_targetILNS1_3genE5ELNS1_11target_archE942ELNS1_3gpuE9ELNS1_3repE0EEENS1_30default_config_static_selectorELNS0_4arch9wavefront6targetE1EEEvT1_
; %bb.0:
	.section	.rodata,"a",@progbits
	.p2align	6, 0x0
	.amdhsa_kernel _ZN7rocprim17ROCPRIM_400000_NS6detail17trampoline_kernelINS0_14default_configENS1_29reduce_by_key_config_selectorIslN6thrust23THRUST_200600_302600_NS4plusIlEEEEZZNS1_33reduce_by_key_impl_wrapped_configILNS1_25lookback_scan_determinismE0ES3_S9_PsNS6_17constant_iteratorIiNS6_11use_defaultESE_EENS6_10device_ptrIsEENSG_IlEEPmS8_NS6_8equal_toIsEEEE10hipError_tPvRmT2_T3_mT4_T5_T6_T7_T8_P12ihipStream_tbENKUlT_T0_E_clISt17integral_constantIbLb1EES13_EEDaSY_SZ_EUlSY_E_NS1_11comp_targetILNS1_3genE5ELNS1_11target_archE942ELNS1_3gpuE9ELNS1_3repE0EEENS1_30default_config_static_selectorELNS0_4arch9wavefront6targetE1EEEvT1_
		.amdhsa_group_segment_fixed_size 0
		.amdhsa_private_segment_fixed_size 0
		.amdhsa_kernarg_size 144
		.amdhsa_user_sgpr_count 6
		.amdhsa_user_sgpr_private_segment_buffer 1
		.amdhsa_user_sgpr_dispatch_ptr 0
		.amdhsa_user_sgpr_queue_ptr 0
		.amdhsa_user_sgpr_kernarg_segment_ptr 1
		.amdhsa_user_sgpr_dispatch_id 0
		.amdhsa_user_sgpr_flat_scratch_init 0
		.amdhsa_user_sgpr_private_segment_size 0
		.amdhsa_uses_dynamic_stack 0
		.amdhsa_system_sgpr_private_segment_wavefront_offset 0
		.amdhsa_system_sgpr_workgroup_id_x 1
		.amdhsa_system_sgpr_workgroup_id_y 0
		.amdhsa_system_sgpr_workgroup_id_z 0
		.amdhsa_system_sgpr_workgroup_info 0
		.amdhsa_system_vgpr_workitem_id 0
		.amdhsa_next_free_vgpr 1
		.amdhsa_next_free_sgpr 0
		.amdhsa_reserve_vcc 0
		.amdhsa_reserve_flat_scratch 0
		.amdhsa_float_round_mode_32 0
		.amdhsa_float_round_mode_16_64 0
		.amdhsa_float_denorm_mode_32 3
		.amdhsa_float_denorm_mode_16_64 3
		.amdhsa_dx10_clamp 1
		.amdhsa_ieee_mode 1
		.amdhsa_fp16_overflow 0
		.amdhsa_exception_fp_ieee_invalid_op 0
		.amdhsa_exception_fp_denorm_src 0
		.amdhsa_exception_fp_ieee_div_zero 0
		.amdhsa_exception_fp_ieee_overflow 0
		.amdhsa_exception_fp_ieee_underflow 0
		.amdhsa_exception_fp_ieee_inexact 0
		.amdhsa_exception_int_div_zero 0
	.end_amdhsa_kernel
	.section	.text._ZN7rocprim17ROCPRIM_400000_NS6detail17trampoline_kernelINS0_14default_configENS1_29reduce_by_key_config_selectorIslN6thrust23THRUST_200600_302600_NS4plusIlEEEEZZNS1_33reduce_by_key_impl_wrapped_configILNS1_25lookback_scan_determinismE0ES3_S9_PsNS6_17constant_iteratorIiNS6_11use_defaultESE_EENS6_10device_ptrIsEENSG_IlEEPmS8_NS6_8equal_toIsEEEE10hipError_tPvRmT2_T3_mT4_T5_T6_T7_T8_P12ihipStream_tbENKUlT_T0_E_clISt17integral_constantIbLb1EES13_EEDaSY_SZ_EUlSY_E_NS1_11comp_targetILNS1_3genE5ELNS1_11target_archE942ELNS1_3gpuE9ELNS1_3repE0EEENS1_30default_config_static_selectorELNS0_4arch9wavefront6targetE1EEEvT1_,"axG",@progbits,_ZN7rocprim17ROCPRIM_400000_NS6detail17trampoline_kernelINS0_14default_configENS1_29reduce_by_key_config_selectorIslN6thrust23THRUST_200600_302600_NS4plusIlEEEEZZNS1_33reduce_by_key_impl_wrapped_configILNS1_25lookback_scan_determinismE0ES3_S9_PsNS6_17constant_iteratorIiNS6_11use_defaultESE_EENS6_10device_ptrIsEENSG_IlEEPmS8_NS6_8equal_toIsEEEE10hipError_tPvRmT2_T3_mT4_T5_T6_T7_T8_P12ihipStream_tbENKUlT_T0_E_clISt17integral_constantIbLb1EES13_EEDaSY_SZ_EUlSY_E_NS1_11comp_targetILNS1_3genE5ELNS1_11target_archE942ELNS1_3gpuE9ELNS1_3repE0EEENS1_30default_config_static_selectorELNS0_4arch9wavefront6targetE1EEEvT1_,comdat
.Lfunc_end1480:
	.size	_ZN7rocprim17ROCPRIM_400000_NS6detail17trampoline_kernelINS0_14default_configENS1_29reduce_by_key_config_selectorIslN6thrust23THRUST_200600_302600_NS4plusIlEEEEZZNS1_33reduce_by_key_impl_wrapped_configILNS1_25lookback_scan_determinismE0ES3_S9_PsNS6_17constant_iteratorIiNS6_11use_defaultESE_EENS6_10device_ptrIsEENSG_IlEEPmS8_NS6_8equal_toIsEEEE10hipError_tPvRmT2_T3_mT4_T5_T6_T7_T8_P12ihipStream_tbENKUlT_T0_E_clISt17integral_constantIbLb1EES13_EEDaSY_SZ_EUlSY_E_NS1_11comp_targetILNS1_3genE5ELNS1_11target_archE942ELNS1_3gpuE9ELNS1_3repE0EEENS1_30default_config_static_selectorELNS0_4arch9wavefront6targetE1EEEvT1_, .Lfunc_end1480-_ZN7rocprim17ROCPRIM_400000_NS6detail17trampoline_kernelINS0_14default_configENS1_29reduce_by_key_config_selectorIslN6thrust23THRUST_200600_302600_NS4plusIlEEEEZZNS1_33reduce_by_key_impl_wrapped_configILNS1_25lookback_scan_determinismE0ES3_S9_PsNS6_17constant_iteratorIiNS6_11use_defaultESE_EENS6_10device_ptrIsEENSG_IlEEPmS8_NS6_8equal_toIsEEEE10hipError_tPvRmT2_T3_mT4_T5_T6_T7_T8_P12ihipStream_tbENKUlT_T0_E_clISt17integral_constantIbLb1EES13_EEDaSY_SZ_EUlSY_E_NS1_11comp_targetILNS1_3genE5ELNS1_11target_archE942ELNS1_3gpuE9ELNS1_3repE0EEENS1_30default_config_static_selectorELNS0_4arch9wavefront6targetE1EEEvT1_
                                        ; -- End function
	.set _ZN7rocprim17ROCPRIM_400000_NS6detail17trampoline_kernelINS0_14default_configENS1_29reduce_by_key_config_selectorIslN6thrust23THRUST_200600_302600_NS4plusIlEEEEZZNS1_33reduce_by_key_impl_wrapped_configILNS1_25lookback_scan_determinismE0ES3_S9_PsNS6_17constant_iteratorIiNS6_11use_defaultESE_EENS6_10device_ptrIsEENSG_IlEEPmS8_NS6_8equal_toIsEEEE10hipError_tPvRmT2_T3_mT4_T5_T6_T7_T8_P12ihipStream_tbENKUlT_T0_E_clISt17integral_constantIbLb1EES13_EEDaSY_SZ_EUlSY_E_NS1_11comp_targetILNS1_3genE5ELNS1_11target_archE942ELNS1_3gpuE9ELNS1_3repE0EEENS1_30default_config_static_selectorELNS0_4arch9wavefront6targetE1EEEvT1_.num_vgpr, 0
	.set _ZN7rocprim17ROCPRIM_400000_NS6detail17trampoline_kernelINS0_14default_configENS1_29reduce_by_key_config_selectorIslN6thrust23THRUST_200600_302600_NS4plusIlEEEEZZNS1_33reduce_by_key_impl_wrapped_configILNS1_25lookback_scan_determinismE0ES3_S9_PsNS6_17constant_iteratorIiNS6_11use_defaultESE_EENS6_10device_ptrIsEENSG_IlEEPmS8_NS6_8equal_toIsEEEE10hipError_tPvRmT2_T3_mT4_T5_T6_T7_T8_P12ihipStream_tbENKUlT_T0_E_clISt17integral_constantIbLb1EES13_EEDaSY_SZ_EUlSY_E_NS1_11comp_targetILNS1_3genE5ELNS1_11target_archE942ELNS1_3gpuE9ELNS1_3repE0EEENS1_30default_config_static_selectorELNS0_4arch9wavefront6targetE1EEEvT1_.num_agpr, 0
	.set _ZN7rocprim17ROCPRIM_400000_NS6detail17trampoline_kernelINS0_14default_configENS1_29reduce_by_key_config_selectorIslN6thrust23THRUST_200600_302600_NS4plusIlEEEEZZNS1_33reduce_by_key_impl_wrapped_configILNS1_25lookback_scan_determinismE0ES3_S9_PsNS6_17constant_iteratorIiNS6_11use_defaultESE_EENS6_10device_ptrIsEENSG_IlEEPmS8_NS6_8equal_toIsEEEE10hipError_tPvRmT2_T3_mT4_T5_T6_T7_T8_P12ihipStream_tbENKUlT_T0_E_clISt17integral_constantIbLb1EES13_EEDaSY_SZ_EUlSY_E_NS1_11comp_targetILNS1_3genE5ELNS1_11target_archE942ELNS1_3gpuE9ELNS1_3repE0EEENS1_30default_config_static_selectorELNS0_4arch9wavefront6targetE1EEEvT1_.numbered_sgpr, 0
	.set _ZN7rocprim17ROCPRIM_400000_NS6detail17trampoline_kernelINS0_14default_configENS1_29reduce_by_key_config_selectorIslN6thrust23THRUST_200600_302600_NS4plusIlEEEEZZNS1_33reduce_by_key_impl_wrapped_configILNS1_25lookback_scan_determinismE0ES3_S9_PsNS6_17constant_iteratorIiNS6_11use_defaultESE_EENS6_10device_ptrIsEENSG_IlEEPmS8_NS6_8equal_toIsEEEE10hipError_tPvRmT2_T3_mT4_T5_T6_T7_T8_P12ihipStream_tbENKUlT_T0_E_clISt17integral_constantIbLb1EES13_EEDaSY_SZ_EUlSY_E_NS1_11comp_targetILNS1_3genE5ELNS1_11target_archE942ELNS1_3gpuE9ELNS1_3repE0EEENS1_30default_config_static_selectorELNS0_4arch9wavefront6targetE1EEEvT1_.num_named_barrier, 0
	.set _ZN7rocprim17ROCPRIM_400000_NS6detail17trampoline_kernelINS0_14default_configENS1_29reduce_by_key_config_selectorIslN6thrust23THRUST_200600_302600_NS4plusIlEEEEZZNS1_33reduce_by_key_impl_wrapped_configILNS1_25lookback_scan_determinismE0ES3_S9_PsNS6_17constant_iteratorIiNS6_11use_defaultESE_EENS6_10device_ptrIsEENSG_IlEEPmS8_NS6_8equal_toIsEEEE10hipError_tPvRmT2_T3_mT4_T5_T6_T7_T8_P12ihipStream_tbENKUlT_T0_E_clISt17integral_constantIbLb1EES13_EEDaSY_SZ_EUlSY_E_NS1_11comp_targetILNS1_3genE5ELNS1_11target_archE942ELNS1_3gpuE9ELNS1_3repE0EEENS1_30default_config_static_selectorELNS0_4arch9wavefront6targetE1EEEvT1_.private_seg_size, 0
	.set _ZN7rocprim17ROCPRIM_400000_NS6detail17trampoline_kernelINS0_14default_configENS1_29reduce_by_key_config_selectorIslN6thrust23THRUST_200600_302600_NS4plusIlEEEEZZNS1_33reduce_by_key_impl_wrapped_configILNS1_25lookback_scan_determinismE0ES3_S9_PsNS6_17constant_iteratorIiNS6_11use_defaultESE_EENS6_10device_ptrIsEENSG_IlEEPmS8_NS6_8equal_toIsEEEE10hipError_tPvRmT2_T3_mT4_T5_T6_T7_T8_P12ihipStream_tbENKUlT_T0_E_clISt17integral_constantIbLb1EES13_EEDaSY_SZ_EUlSY_E_NS1_11comp_targetILNS1_3genE5ELNS1_11target_archE942ELNS1_3gpuE9ELNS1_3repE0EEENS1_30default_config_static_selectorELNS0_4arch9wavefront6targetE1EEEvT1_.uses_vcc, 0
	.set _ZN7rocprim17ROCPRIM_400000_NS6detail17trampoline_kernelINS0_14default_configENS1_29reduce_by_key_config_selectorIslN6thrust23THRUST_200600_302600_NS4plusIlEEEEZZNS1_33reduce_by_key_impl_wrapped_configILNS1_25lookback_scan_determinismE0ES3_S9_PsNS6_17constant_iteratorIiNS6_11use_defaultESE_EENS6_10device_ptrIsEENSG_IlEEPmS8_NS6_8equal_toIsEEEE10hipError_tPvRmT2_T3_mT4_T5_T6_T7_T8_P12ihipStream_tbENKUlT_T0_E_clISt17integral_constantIbLb1EES13_EEDaSY_SZ_EUlSY_E_NS1_11comp_targetILNS1_3genE5ELNS1_11target_archE942ELNS1_3gpuE9ELNS1_3repE0EEENS1_30default_config_static_selectorELNS0_4arch9wavefront6targetE1EEEvT1_.uses_flat_scratch, 0
	.set _ZN7rocprim17ROCPRIM_400000_NS6detail17trampoline_kernelINS0_14default_configENS1_29reduce_by_key_config_selectorIslN6thrust23THRUST_200600_302600_NS4plusIlEEEEZZNS1_33reduce_by_key_impl_wrapped_configILNS1_25lookback_scan_determinismE0ES3_S9_PsNS6_17constant_iteratorIiNS6_11use_defaultESE_EENS6_10device_ptrIsEENSG_IlEEPmS8_NS6_8equal_toIsEEEE10hipError_tPvRmT2_T3_mT4_T5_T6_T7_T8_P12ihipStream_tbENKUlT_T0_E_clISt17integral_constantIbLb1EES13_EEDaSY_SZ_EUlSY_E_NS1_11comp_targetILNS1_3genE5ELNS1_11target_archE942ELNS1_3gpuE9ELNS1_3repE0EEENS1_30default_config_static_selectorELNS0_4arch9wavefront6targetE1EEEvT1_.has_dyn_sized_stack, 0
	.set _ZN7rocprim17ROCPRIM_400000_NS6detail17trampoline_kernelINS0_14default_configENS1_29reduce_by_key_config_selectorIslN6thrust23THRUST_200600_302600_NS4plusIlEEEEZZNS1_33reduce_by_key_impl_wrapped_configILNS1_25lookback_scan_determinismE0ES3_S9_PsNS6_17constant_iteratorIiNS6_11use_defaultESE_EENS6_10device_ptrIsEENSG_IlEEPmS8_NS6_8equal_toIsEEEE10hipError_tPvRmT2_T3_mT4_T5_T6_T7_T8_P12ihipStream_tbENKUlT_T0_E_clISt17integral_constantIbLb1EES13_EEDaSY_SZ_EUlSY_E_NS1_11comp_targetILNS1_3genE5ELNS1_11target_archE942ELNS1_3gpuE9ELNS1_3repE0EEENS1_30default_config_static_selectorELNS0_4arch9wavefront6targetE1EEEvT1_.has_recursion, 0
	.set _ZN7rocprim17ROCPRIM_400000_NS6detail17trampoline_kernelINS0_14default_configENS1_29reduce_by_key_config_selectorIslN6thrust23THRUST_200600_302600_NS4plusIlEEEEZZNS1_33reduce_by_key_impl_wrapped_configILNS1_25lookback_scan_determinismE0ES3_S9_PsNS6_17constant_iteratorIiNS6_11use_defaultESE_EENS6_10device_ptrIsEENSG_IlEEPmS8_NS6_8equal_toIsEEEE10hipError_tPvRmT2_T3_mT4_T5_T6_T7_T8_P12ihipStream_tbENKUlT_T0_E_clISt17integral_constantIbLb1EES13_EEDaSY_SZ_EUlSY_E_NS1_11comp_targetILNS1_3genE5ELNS1_11target_archE942ELNS1_3gpuE9ELNS1_3repE0EEENS1_30default_config_static_selectorELNS0_4arch9wavefront6targetE1EEEvT1_.has_indirect_call, 0
	.section	.AMDGPU.csdata,"",@progbits
; Kernel info:
; codeLenInByte = 0
; TotalNumSgprs: 4
; NumVgprs: 0
; ScratchSize: 0
; MemoryBound: 0
; FloatMode: 240
; IeeeMode: 1
; LDSByteSize: 0 bytes/workgroup (compile time only)
; SGPRBlocks: 0
; VGPRBlocks: 0
; NumSGPRsForWavesPerEU: 4
; NumVGPRsForWavesPerEU: 1
; Occupancy: 10
; WaveLimiterHint : 0
; COMPUTE_PGM_RSRC2:SCRATCH_EN: 0
; COMPUTE_PGM_RSRC2:USER_SGPR: 6
; COMPUTE_PGM_RSRC2:TRAP_HANDLER: 0
; COMPUTE_PGM_RSRC2:TGID_X_EN: 1
; COMPUTE_PGM_RSRC2:TGID_Y_EN: 0
; COMPUTE_PGM_RSRC2:TGID_Z_EN: 0
; COMPUTE_PGM_RSRC2:TIDIG_COMP_CNT: 0
	.section	.text._ZN7rocprim17ROCPRIM_400000_NS6detail17trampoline_kernelINS0_14default_configENS1_29reduce_by_key_config_selectorIslN6thrust23THRUST_200600_302600_NS4plusIlEEEEZZNS1_33reduce_by_key_impl_wrapped_configILNS1_25lookback_scan_determinismE0ES3_S9_PsNS6_17constant_iteratorIiNS6_11use_defaultESE_EENS6_10device_ptrIsEENSG_IlEEPmS8_NS6_8equal_toIsEEEE10hipError_tPvRmT2_T3_mT4_T5_T6_T7_T8_P12ihipStream_tbENKUlT_T0_E_clISt17integral_constantIbLb1EES13_EEDaSY_SZ_EUlSY_E_NS1_11comp_targetILNS1_3genE4ELNS1_11target_archE910ELNS1_3gpuE8ELNS1_3repE0EEENS1_30default_config_static_selectorELNS0_4arch9wavefront6targetE1EEEvT1_,"axG",@progbits,_ZN7rocprim17ROCPRIM_400000_NS6detail17trampoline_kernelINS0_14default_configENS1_29reduce_by_key_config_selectorIslN6thrust23THRUST_200600_302600_NS4plusIlEEEEZZNS1_33reduce_by_key_impl_wrapped_configILNS1_25lookback_scan_determinismE0ES3_S9_PsNS6_17constant_iteratorIiNS6_11use_defaultESE_EENS6_10device_ptrIsEENSG_IlEEPmS8_NS6_8equal_toIsEEEE10hipError_tPvRmT2_T3_mT4_T5_T6_T7_T8_P12ihipStream_tbENKUlT_T0_E_clISt17integral_constantIbLb1EES13_EEDaSY_SZ_EUlSY_E_NS1_11comp_targetILNS1_3genE4ELNS1_11target_archE910ELNS1_3gpuE8ELNS1_3repE0EEENS1_30default_config_static_selectorELNS0_4arch9wavefront6targetE1EEEvT1_,comdat
	.protected	_ZN7rocprim17ROCPRIM_400000_NS6detail17trampoline_kernelINS0_14default_configENS1_29reduce_by_key_config_selectorIslN6thrust23THRUST_200600_302600_NS4plusIlEEEEZZNS1_33reduce_by_key_impl_wrapped_configILNS1_25lookback_scan_determinismE0ES3_S9_PsNS6_17constant_iteratorIiNS6_11use_defaultESE_EENS6_10device_ptrIsEENSG_IlEEPmS8_NS6_8equal_toIsEEEE10hipError_tPvRmT2_T3_mT4_T5_T6_T7_T8_P12ihipStream_tbENKUlT_T0_E_clISt17integral_constantIbLb1EES13_EEDaSY_SZ_EUlSY_E_NS1_11comp_targetILNS1_3genE4ELNS1_11target_archE910ELNS1_3gpuE8ELNS1_3repE0EEENS1_30default_config_static_selectorELNS0_4arch9wavefront6targetE1EEEvT1_ ; -- Begin function _ZN7rocprim17ROCPRIM_400000_NS6detail17trampoline_kernelINS0_14default_configENS1_29reduce_by_key_config_selectorIslN6thrust23THRUST_200600_302600_NS4plusIlEEEEZZNS1_33reduce_by_key_impl_wrapped_configILNS1_25lookback_scan_determinismE0ES3_S9_PsNS6_17constant_iteratorIiNS6_11use_defaultESE_EENS6_10device_ptrIsEENSG_IlEEPmS8_NS6_8equal_toIsEEEE10hipError_tPvRmT2_T3_mT4_T5_T6_T7_T8_P12ihipStream_tbENKUlT_T0_E_clISt17integral_constantIbLb1EES13_EEDaSY_SZ_EUlSY_E_NS1_11comp_targetILNS1_3genE4ELNS1_11target_archE910ELNS1_3gpuE8ELNS1_3repE0EEENS1_30default_config_static_selectorELNS0_4arch9wavefront6targetE1EEEvT1_
	.globl	_ZN7rocprim17ROCPRIM_400000_NS6detail17trampoline_kernelINS0_14default_configENS1_29reduce_by_key_config_selectorIslN6thrust23THRUST_200600_302600_NS4plusIlEEEEZZNS1_33reduce_by_key_impl_wrapped_configILNS1_25lookback_scan_determinismE0ES3_S9_PsNS6_17constant_iteratorIiNS6_11use_defaultESE_EENS6_10device_ptrIsEENSG_IlEEPmS8_NS6_8equal_toIsEEEE10hipError_tPvRmT2_T3_mT4_T5_T6_T7_T8_P12ihipStream_tbENKUlT_T0_E_clISt17integral_constantIbLb1EES13_EEDaSY_SZ_EUlSY_E_NS1_11comp_targetILNS1_3genE4ELNS1_11target_archE910ELNS1_3gpuE8ELNS1_3repE0EEENS1_30default_config_static_selectorELNS0_4arch9wavefront6targetE1EEEvT1_
	.p2align	8
	.type	_ZN7rocprim17ROCPRIM_400000_NS6detail17trampoline_kernelINS0_14default_configENS1_29reduce_by_key_config_selectorIslN6thrust23THRUST_200600_302600_NS4plusIlEEEEZZNS1_33reduce_by_key_impl_wrapped_configILNS1_25lookback_scan_determinismE0ES3_S9_PsNS6_17constant_iteratorIiNS6_11use_defaultESE_EENS6_10device_ptrIsEENSG_IlEEPmS8_NS6_8equal_toIsEEEE10hipError_tPvRmT2_T3_mT4_T5_T6_T7_T8_P12ihipStream_tbENKUlT_T0_E_clISt17integral_constantIbLb1EES13_EEDaSY_SZ_EUlSY_E_NS1_11comp_targetILNS1_3genE4ELNS1_11target_archE910ELNS1_3gpuE8ELNS1_3repE0EEENS1_30default_config_static_selectorELNS0_4arch9wavefront6targetE1EEEvT1_,@function
_ZN7rocprim17ROCPRIM_400000_NS6detail17trampoline_kernelINS0_14default_configENS1_29reduce_by_key_config_selectorIslN6thrust23THRUST_200600_302600_NS4plusIlEEEEZZNS1_33reduce_by_key_impl_wrapped_configILNS1_25lookback_scan_determinismE0ES3_S9_PsNS6_17constant_iteratorIiNS6_11use_defaultESE_EENS6_10device_ptrIsEENSG_IlEEPmS8_NS6_8equal_toIsEEEE10hipError_tPvRmT2_T3_mT4_T5_T6_T7_T8_P12ihipStream_tbENKUlT_T0_E_clISt17integral_constantIbLb1EES13_EEDaSY_SZ_EUlSY_E_NS1_11comp_targetILNS1_3genE4ELNS1_11target_archE910ELNS1_3gpuE8ELNS1_3repE0EEENS1_30default_config_static_selectorELNS0_4arch9wavefront6targetE1EEEvT1_: ; @_ZN7rocprim17ROCPRIM_400000_NS6detail17trampoline_kernelINS0_14default_configENS1_29reduce_by_key_config_selectorIslN6thrust23THRUST_200600_302600_NS4plusIlEEEEZZNS1_33reduce_by_key_impl_wrapped_configILNS1_25lookback_scan_determinismE0ES3_S9_PsNS6_17constant_iteratorIiNS6_11use_defaultESE_EENS6_10device_ptrIsEENSG_IlEEPmS8_NS6_8equal_toIsEEEE10hipError_tPvRmT2_T3_mT4_T5_T6_T7_T8_P12ihipStream_tbENKUlT_T0_E_clISt17integral_constantIbLb1EES13_EEDaSY_SZ_EUlSY_E_NS1_11comp_targetILNS1_3genE4ELNS1_11target_archE910ELNS1_3gpuE8ELNS1_3repE0EEENS1_30default_config_static_selectorELNS0_4arch9wavefront6targetE1EEEvT1_
; %bb.0:
	.section	.rodata,"a",@progbits
	.p2align	6, 0x0
	.amdhsa_kernel _ZN7rocprim17ROCPRIM_400000_NS6detail17trampoline_kernelINS0_14default_configENS1_29reduce_by_key_config_selectorIslN6thrust23THRUST_200600_302600_NS4plusIlEEEEZZNS1_33reduce_by_key_impl_wrapped_configILNS1_25lookback_scan_determinismE0ES3_S9_PsNS6_17constant_iteratorIiNS6_11use_defaultESE_EENS6_10device_ptrIsEENSG_IlEEPmS8_NS6_8equal_toIsEEEE10hipError_tPvRmT2_T3_mT4_T5_T6_T7_T8_P12ihipStream_tbENKUlT_T0_E_clISt17integral_constantIbLb1EES13_EEDaSY_SZ_EUlSY_E_NS1_11comp_targetILNS1_3genE4ELNS1_11target_archE910ELNS1_3gpuE8ELNS1_3repE0EEENS1_30default_config_static_selectorELNS0_4arch9wavefront6targetE1EEEvT1_
		.amdhsa_group_segment_fixed_size 0
		.amdhsa_private_segment_fixed_size 0
		.amdhsa_kernarg_size 144
		.amdhsa_user_sgpr_count 6
		.amdhsa_user_sgpr_private_segment_buffer 1
		.amdhsa_user_sgpr_dispatch_ptr 0
		.amdhsa_user_sgpr_queue_ptr 0
		.amdhsa_user_sgpr_kernarg_segment_ptr 1
		.amdhsa_user_sgpr_dispatch_id 0
		.amdhsa_user_sgpr_flat_scratch_init 0
		.amdhsa_user_sgpr_private_segment_size 0
		.amdhsa_uses_dynamic_stack 0
		.amdhsa_system_sgpr_private_segment_wavefront_offset 0
		.amdhsa_system_sgpr_workgroup_id_x 1
		.amdhsa_system_sgpr_workgroup_id_y 0
		.amdhsa_system_sgpr_workgroup_id_z 0
		.amdhsa_system_sgpr_workgroup_info 0
		.amdhsa_system_vgpr_workitem_id 0
		.amdhsa_next_free_vgpr 1
		.amdhsa_next_free_sgpr 0
		.amdhsa_reserve_vcc 0
		.amdhsa_reserve_flat_scratch 0
		.amdhsa_float_round_mode_32 0
		.amdhsa_float_round_mode_16_64 0
		.amdhsa_float_denorm_mode_32 3
		.amdhsa_float_denorm_mode_16_64 3
		.amdhsa_dx10_clamp 1
		.amdhsa_ieee_mode 1
		.amdhsa_fp16_overflow 0
		.amdhsa_exception_fp_ieee_invalid_op 0
		.amdhsa_exception_fp_denorm_src 0
		.amdhsa_exception_fp_ieee_div_zero 0
		.amdhsa_exception_fp_ieee_overflow 0
		.amdhsa_exception_fp_ieee_underflow 0
		.amdhsa_exception_fp_ieee_inexact 0
		.amdhsa_exception_int_div_zero 0
	.end_amdhsa_kernel
	.section	.text._ZN7rocprim17ROCPRIM_400000_NS6detail17trampoline_kernelINS0_14default_configENS1_29reduce_by_key_config_selectorIslN6thrust23THRUST_200600_302600_NS4plusIlEEEEZZNS1_33reduce_by_key_impl_wrapped_configILNS1_25lookback_scan_determinismE0ES3_S9_PsNS6_17constant_iteratorIiNS6_11use_defaultESE_EENS6_10device_ptrIsEENSG_IlEEPmS8_NS6_8equal_toIsEEEE10hipError_tPvRmT2_T3_mT4_T5_T6_T7_T8_P12ihipStream_tbENKUlT_T0_E_clISt17integral_constantIbLb1EES13_EEDaSY_SZ_EUlSY_E_NS1_11comp_targetILNS1_3genE4ELNS1_11target_archE910ELNS1_3gpuE8ELNS1_3repE0EEENS1_30default_config_static_selectorELNS0_4arch9wavefront6targetE1EEEvT1_,"axG",@progbits,_ZN7rocprim17ROCPRIM_400000_NS6detail17trampoline_kernelINS0_14default_configENS1_29reduce_by_key_config_selectorIslN6thrust23THRUST_200600_302600_NS4plusIlEEEEZZNS1_33reduce_by_key_impl_wrapped_configILNS1_25lookback_scan_determinismE0ES3_S9_PsNS6_17constant_iteratorIiNS6_11use_defaultESE_EENS6_10device_ptrIsEENSG_IlEEPmS8_NS6_8equal_toIsEEEE10hipError_tPvRmT2_T3_mT4_T5_T6_T7_T8_P12ihipStream_tbENKUlT_T0_E_clISt17integral_constantIbLb1EES13_EEDaSY_SZ_EUlSY_E_NS1_11comp_targetILNS1_3genE4ELNS1_11target_archE910ELNS1_3gpuE8ELNS1_3repE0EEENS1_30default_config_static_selectorELNS0_4arch9wavefront6targetE1EEEvT1_,comdat
.Lfunc_end1481:
	.size	_ZN7rocprim17ROCPRIM_400000_NS6detail17trampoline_kernelINS0_14default_configENS1_29reduce_by_key_config_selectorIslN6thrust23THRUST_200600_302600_NS4plusIlEEEEZZNS1_33reduce_by_key_impl_wrapped_configILNS1_25lookback_scan_determinismE0ES3_S9_PsNS6_17constant_iteratorIiNS6_11use_defaultESE_EENS6_10device_ptrIsEENSG_IlEEPmS8_NS6_8equal_toIsEEEE10hipError_tPvRmT2_T3_mT4_T5_T6_T7_T8_P12ihipStream_tbENKUlT_T0_E_clISt17integral_constantIbLb1EES13_EEDaSY_SZ_EUlSY_E_NS1_11comp_targetILNS1_3genE4ELNS1_11target_archE910ELNS1_3gpuE8ELNS1_3repE0EEENS1_30default_config_static_selectorELNS0_4arch9wavefront6targetE1EEEvT1_, .Lfunc_end1481-_ZN7rocprim17ROCPRIM_400000_NS6detail17trampoline_kernelINS0_14default_configENS1_29reduce_by_key_config_selectorIslN6thrust23THRUST_200600_302600_NS4plusIlEEEEZZNS1_33reduce_by_key_impl_wrapped_configILNS1_25lookback_scan_determinismE0ES3_S9_PsNS6_17constant_iteratorIiNS6_11use_defaultESE_EENS6_10device_ptrIsEENSG_IlEEPmS8_NS6_8equal_toIsEEEE10hipError_tPvRmT2_T3_mT4_T5_T6_T7_T8_P12ihipStream_tbENKUlT_T0_E_clISt17integral_constantIbLb1EES13_EEDaSY_SZ_EUlSY_E_NS1_11comp_targetILNS1_3genE4ELNS1_11target_archE910ELNS1_3gpuE8ELNS1_3repE0EEENS1_30default_config_static_selectorELNS0_4arch9wavefront6targetE1EEEvT1_
                                        ; -- End function
	.set _ZN7rocprim17ROCPRIM_400000_NS6detail17trampoline_kernelINS0_14default_configENS1_29reduce_by_key_config_selectorIslN6thrust23THRUST_200600_302600_NS4plusIlEEEEZZNS1_33reduce_by_key_impl_wrapped_configILNS1_25lookback_scan_determinismE0ES3_S9_PsNS6_17constant_iteratorIiNS6_11use_defaultESE_EENS6_10device_ptrIsEENSG_IlEEPmS8_NS6_8equal_toIsEEEE10hipError_tPvRmT2_T3_mT4_T5_T6_T7_T8_P12ihipStream_tbENKUlT_T0_E_clISt17integral_constantIbLb1EES13_EEDaSY_SZ_EUlSY_E_NS1_11comp_targetILNS1_3genE4ELNS1_11target_archE910ELNS1_3gpuE8ELNS1_3repE0EEENS1_30default_config_static_selectorELNS0_4arch9wavefront6targetE1EEEvT1_.num_vgpr, 0
	.set _ZN7rocprim17ROCPRIM_400000_NS6detail17trampoline_kernelINS0_14default_configENS1_29reduce_by_key_config_selectorIslN6thrust23THRUST_200600_302600_NS4plusIlEEEEZZNS1_33reduce_by_key_impl_wrapped_configILNS1_25lookback_scan_determinismE0ES3_S9_PsNS6_17constant_iteratorIiNS6_11use_defaultESE_EENS6_10device_ptrIsEENSG_IlEEPmS8_NS6_8equal_toIsEEEE10hipError_tPvRmT2_T3_mT4_T5_T6_T7_T8_P12ihipStream_tbENKUlT_T0_E_clISt17integral_constantIbLb1EES13_EEDaSY_SZ_EUlSY_E_NS1_11comp_targetILNS1_3genE4ELNS1_11target_archE910ELNS1_3gpuE8ELNS1_3repE0EEENS1_30default_config_static_selectorELNS0_4arch9wavefront6targetE1EEEvT1_.num_agpr, 0
	.set _ZN7rocprim17ROCPRIM_400000_NS6detail17trampoline_kernelINS0_14default_configENS1_29reduce_by_key_config_selectorIslN6thrust23THRUST_200600_302600_NS4plusIlEEEEZZNS1_33reduce_by_key_impl_wrapped_configILNS1_25lookback_scan_determinismE0ES3_S9_PsNS6_17constant_iteratorIiNS6_11use_defaultESE_EENS6_10device_ptrIsEENSG_IlEEPmS8_NS6_8equal_toIsEEEE10hipError_tPvRmT2_T3_mT4_T5_T6_T7_T8_P12ihipStream_tbENKUlT_T0_E_clISt17integral_constantIbLb1EES13_EEDaSY_SZ_EUlSY_E_NS1_11comp_targetILNS1_3genE4ELNS1_11target_archE910ELNS1_3gpuE8ELNS1_3repE0EEENS1_30default_config_static_selectorELNS0_4arch9wavefront6targetE1EEEvT1_.numbered_sgpr, 0
	.set _ZN7rocprim17ROCPRIM_400000_NS6detail17trampoline_kernelINS0_14default_configENS1_29reduce_by_key_config_selectorIslN6thrust23THRUST_200600_302600_NS4plusIlEEEEZZNS1_33reduce_by_key_impl_wrapped_configILNS1_25lookback_scan_determinismE0ES3_S9_PsNS6_17constant_iteratorIiNS6_11use_defaultESE_EENS6_10device_ptrIsEENSG_IlEEPmS8_NS6_8equal_toIsEEEE10hipError_tPvRmT2_T3_mT4_T5_T6_T7_T8_P12ihipStream_tbENKUlT_T0_E_clISt17integral_constantIbLb1EES13_EEDaSY_SZ_EUlSY_E_NS1_11comp_targetILNS1_3genE4ELNS1_11target_archE910ELNS1_3gpuE8ELNS1_3repE0EEENS1_30default_config_static_selectorELNS0_4arch9wavefront6targetE1EEEvT1_.num_named_barrier, 0
	.set _ZN7rocprim17ROCPRIM_400000_NS6detail17trampoline_kernelINS0_14default_configENS1_29reduce_by_key_config_selectorIslN6thrust23THRUST_200600_302600_NS4plusIlEEEEZZNS1_33reduce_by_key_impl_wrapped_configILNS1_25lookback_scan_determinismE0ES3_S9_PsNS6_17constant_iteratorIiNS6_11use_defaultESE_EENS6_10device_ptrIsEENSG_IlEEPmS8_NS6_8equal_toIsEEEE10hipError_tPvRmT2_T3_mT4_T5_T6_T7_T8_P12ihipStream_tbENKUlT_T0_E_clISt17integral_constantIbLb1EES13_EEDaSY_SZ_EUlSY_E_NS1_11comp_targetILNS1_3genE4ELNS1_11target_archE910ELNS1_3gpuE8ELNS1_3repE0EEENS1_30default_config_static_selectorELNS0_4arch9wavefront6targetE1EEEvT1_.private_seg_size, 0
	.set _ZN7rocprim17ROCPRIM_400000_NS6detail17trampoline_kernelINS0_14default_configENS1_29reduce_by_key_config_selectorIslN6thrust23THRUST_200600_302600_NS4plusIlEEEEZZNS1_33reduce_by_key_impl_wrapped_configILNS1_25lookback_scan_determinismE0ES3_S9_PsNS6_17constant_iteratorIiNS6_11use_defaultESE_EENS6_10device_ptrIsEENSG_IlEEPmS8_NS6_8equal_toIsEEEE10hipError_tPvRmT2_T3_mT4_T5_T6_T7_T8_P12ihipStream_tbENKUlT_T0_E_clISt17integral_constantIbLb1EES13_EEDaSY_SZ_EUlSY_E_NS1_11comp_targetILNS1_3genE4ELNS1_11target_archE910ELNS1_3gpuE8ELNS1_3repE0EEENS1_30default_config_static_selectorELNS0_4arch9wavefront6targetE1EEEvT1_.uses_vcc, 0
	.set _ZN7rocprim17ROCPRIM_400000_NS6detail17trampoline_kernelINS0_14default_configENS1_29reduce_by_key_config_selectorIslN6thrust23THRUST_200600_302600_NS4plusIlEEEEZZNS1_33reduce_by_key_impl_wrapped_configILNS1_25lookback_scan_determinismE0ES3_S9_PsNS6_17constant_iteratorIiNS6_11use_defaultESE_EENS6_10device_ptrIsEENSG_IlEEPmS8_NS6_8equal_toIsEEEE10hipError_tPvRmT2_T3_mT4_T5_T6_T7_T8_P12ihipStream_tbENKUlT_T0_E_clISt17integral_constantIbLb1EES13_EEDaSY_SZ_EUlSY_E_NS1_11comp_targetILNS1_3genE4ELNS1_11target_archE910ELNS1_3gpuE8ELNS1_3repE0EEENS1_30default_config_static_selectorELNS0_4arch9wavefront6targetE1EEEvT1_.uses_flat_scratch, 0
	.set _ZN7rocprim17ROCPRIM_400000_NS6detail17trampoline_kernelINS0_14default_configENS1_29reduce_by_key_config_selectorIslN6thrust23THRUST_200600_302600_NS4plusIlEEEEZZNS1_33reduce_by_key_impl_wrapped_configILNS1_25lookback_scan_determinismE0ES3_S9_PsNS6_17constant_iteratorIiNS6_11use_defaultESE_EENS6_10device_ptrIsEENSG_IlEEPmS8_NS6_8equal_toIsEEEE10hipError_tPvRmT2_T3_mT4_T5_T6_T7_T8_P12ihipStream_tbENKUlT_T0_E_clISt17integral_constantIbLb1EES13_EEDaSY_SZ_EUlSY_E_NS1_11comp_targetILNS1_3genE4ELNS1_11target_archE910ELNS1_3gpuE8ELNS1_3repE0EEENS1_30default_config_static_selectorELNS0_4arch9wavefront6targetE1EEEvT1_.has_dyn_sized_stack, 0
	.set _ZN7rocprim17ROCPRIM_400000_NS6detail17trampoline_kernelINS0_14default_configENS1_29reduce_by_key_config_selectorIslN6thrust23THRUST_200600_302600_NS4plusIlEEEEZZNS1_33reduce_by_key_impl_wrapped_configILNS1_25lookback_scan_determinismE0ES3_S9_PsNS6_17constant_iteratorIiNS6_11use_defaultESE_EENS6_10device_ptrIsEENSG_IlEEPmS8_NS6_8equal_toIsEEEE10hipError_tPvRmT2_T3_mT4_T5_T6_T7_T8_P12ihipStream_tbENKUlT_T0_E_clISt17integral_constantIbLb1EES13_EEDaSY_SZ_EUlSY_E_NS1_11comp_targetILNS1_3genE4ELNS1_11target_archE910ELNS1_3gpuE8ELNS1_3repE0EEENS1_30default_config_static_selectorELNS0_4arch9wavefront6targetE1EEEvT1_.has_recursion, 0
	.set _ZN7rocprim17ROCPRIM_400000_NS6detail17trampoline_kernelINS0_14default_configENS1_29reduce_by_key_config_selectorIslN6thrust23THRUST_200600_302600_NS4plusIlEEEEZZNS1_33reduce_by_key_impl_wrapped_configILNS1_25lookback_scan_determinismE0ES3_S9_PsNS6_17constant_iteratorIiNS6_11use_defaultESE_EENS6_10device_ptrIsEENSG_IlEEPmS8_NS6_8equal_toIsEEEE10hipError_tPvRmT2_T3_mT4_T5_T6_T7_T8_P12ihipStream_tbENKUlT_T0_E_clISt17integral_constantIbLb1EES13_EEDaSY_SZ_EUlSY_E_NS1_11comp_targetILNS1_3genE4ELNS1_11target_archE910ELNS1_3gpuE8ELNS1_3repE0EEENS1_30default_config_static_selectorELNS0_4arch9wavefront6targetE1EEEvT1_.has_indirect_call, 0
	.section	.AMDGPU.csdata,"",@progbits
; Kernel info:
; codeLenInByte = 0
; TotalNumSgprs: 4
; NumVgprs: 0
; ScratchSize: 0
; MemoryBound: 0
; FloatMode: 240
; IeeeMode: 1
; LDSByteSize: 0 bytes/workgroup (compile time only)
; SGPRBlocks: 0
; VGPRBlocks: 0
; NumSGPRsForWavesPerEU: 4
; NumVGPRsForWavesPerEU: 1
; Occupancy: 10
; WaveLimiterHint : 0
; COMPUTE_PGM_RSRC2:SCRATCH_EN: 0
; COMPUTE_PGM_RSRC2:USER_SGPR: 6
; COMPUTE_PGM_RSRC2:TRAP_HANDLER: 0
; COMPUTE_PGM_RSRC2:TGID_X_EN: 1
; COMPUTE_PGM_RSRC2:TGID_Y_EN: 0
; COMPUTE_PGM_RSRC2:TGID_Z_EN: 0
; COMPUTE_PGM_RSRC2:TIDIG_COMP_CNT: 0
	.section	.text._ZN7rocprim17ROCPRIM_400000_NS6detail17trampoline_kernelINS0_14default_configENS1_29reduce_by_key_config_selectorIslN6thrust23THRUST_200600_302600_NS4plusIlEEEEZZNS1_33reduce_by_key_impl_wrapped_configILNS1_25lookback_scan_determinismE0ES3_S9_PsNS6_17constant_iteratorIiNS6_11use_defaultESE_EENS6_10device_ptrIsEENSG_IlEEPmS8_NS6_8equal_toIsEEEE10hipError_tPvRmT2_T3_mT4_T5_T6_T7_T8_P12ihipStream_tbENKUlT_T0_E_clISt17integral_constantIbLb1EES13_EEDaSY_SZ_EUlSY_E_NS1_11comp_targetILNS1_3genE3ELNS1_11target_archE908ELNS1_3gpuE7ELNS1_3repE0EEENS1_30default_config_static_selectorELNS0_4arch9wavefront6targetE1EEEvT1_,"axG",@progbits,_ZN7rocprim17ROCPRIM_400000_NS6detail17trampoline_kernelINS0_14default_configENS1_29reduce_by_key_config_selectorIslN6thrust23THRUST_200600_302600_NS4plusIlEEEEZZNS1_33reduce_by_key_impl_wrapped_configILNS1_25lookback_scan_determinismE0ES3_S9_PsNS6_17constant_iteratorIiNS6_11use_defaultESE_EENS6_10device_ptrIsEENSG_IlEEPmS8_NS6_8equal_toIsEEEE10hipError_tPvRmT2_T3_mT4_T5_T6_T7_T8_P12ihipStream_tbENKUlT_T0_E_clISt17integral_constantIbLb1EES13_EEDaSY_SZ_EUlSY_E_NS1_11comp_targetILNS1_3genE3ELNS1_11target_archE908ELNS1_3gpuE7ELNS1_3repE0EEENS1_30default_config_static_selectorELNS0_4arch9wavefront6targetE1EEEvT1_,comdat
	.protected	_ZN7rocprim17ROCPRIM_400000_NS6detail17trampoline_kernelINS0_14default_configENS1_29reduce_by_key_config_selectorIslN6thrust23THRUST_200600_302600_NS4plusIlEEEEZZNS1_33reduce_by_key_impl_wrapped_configILNS1_25lookback_scan_determinismE0ES3_S9_PsNS6_17constant_iteratorIiNS6_11use_defaultESE_EENS6_10device_ptrIsEENSG_IlEEPmS8_NS6_8equal_toIsEEEE10hipError_tPvRmT2_T3_mT4_T5_T6_T7_T8_P12ihipStream_tbENKUlT_T0_E_clISt17integral_constantIbLb1EES13_EEDaSY_SZ_EUlSY_E_NS1_11comp_targetILNS1_3genE3ELNS1_11target_archE908ELNS1_3gpuE7ELNS1_3repE0EEENS1_30default_config_static_selectorELNS0_4arch9wavefront6targetE1EEEvT1_ ; -- Begin function _ZN7rocprim17ROCPRIM_400000_NS6detail17trampoline_kernelINS0_14default_configENS1_29reduce_by_key_config_selectorIslN6thrust23THRUST_200600_302600_NS4plusIlEEEEZZNS1_33reduce_by_key_impl_wrapped_configILNS1_25lookback_scan_determinismE0ES3_S9_PsNS6_17constant_iteratorIiNS6_11use_defaultESE_EENS6_10device_ptrIsEENSG_IlEEPmS8_NS6_8equal_toIsEEEE10hipError_tPvRmT2_T3_mT4_T5_T6_T7_T8_P12ihipStream_tbENKUlT_T0_E_clISt17integral_constantIbLb1EES13_EEDaSY_SZ_EUlSY_E_NS1_11comp_targetILNS1_3genE3ELNS1_11target_archE908ELNS1_3gpuE7ELNS1_3repE0EEENS1_30default_config_static_selectorELNS0_4arch9wavefront6targetE1EEEvT1_
	.globl	_ZN7rocprim17ROCPRIM_400000_NS6detail17trampoline_kernelINS0_14default_configENS1_29reduce_by_key_config_selectorIslN6thrust23THRUST_200600_302600_NS4plusIlEEEEZZNS1_33reduce_by_key_impl_wrapped_configILNS1_25lookback_scan_determinismE0ES3_S9_PsNS6_17constant_iteratorIiNS6_11use_defaultESE_EENS6_10device_ptrIsEENSG_IlEEPmS8_NS6_8equal_toIsEEEE10hipError_tPvRmT2_T3_mT4_T5_T6_T7_T8_P12ihipStream_tbENKUlT_T0_E_clISt17integral_constantIbLb1EES13_EEDaSY_SZ_EUlSY_E_NS1_11comp_targetILNS1_3genE3ELNS1_11target_archE908ELNS1_3gpuE7ELNS1_3repE0EEENS1_30default_config_static_selectorELNS0_4arch9wavefront6targetE1EEEvT1_
	.p2align	8
	.type	_ZN7rocprim17ROCPRIM_400000_NS6detail17trampoline_kernelINS0_14default_configENS1_29reduce_by_key_config_selectorIslN6thrust23THRUST_200600_302600_NS4plusIlEEEEZZNS1_33reduce_by_key_impl_wrapped_configILNS1_25lookback_scan_determinismE0ES3_S9_PsNS6_17constant_iteratorIiNS6_11use_defaultESE_EENS6_10device_ptrIsEENSG_IlEEPmS8_NS6_8equal_toIsEEEE10hipError_tPvRmT2_T3_mT4_T5_T6_T7_T8_P12ihipStream_tbENKUlT_T0_E_clISt17integral_constantIbLb1EES13_EEDaSY_SZ_EUlSY_E_NS1_11comp_targetILNS1_3genE3ELNS1_11target_archE908ELNS1_3gpuE7ELNS1_3repE0EEENS1_30default_config_static_selectorELNS0_4arch9wavefront6targetE1EEEvT1_,@function
_ZN7rocprim17ROCPRIM_400000_NS6detail17trampoline_kernelINS0_14default_configENS1_29reduce_by_key_config_selectorIslN6thrust23THRUST_200600_302600_NS4plusIlEEEEZZNS1_33reduce_by_key_impl_wrapped_configILNS1_25lookback_scan_determinismE0ES3_S9_PsNS6_17constant_iteratorIiNS6_11use_defaultESE_EENS6_10device_ptrIsEENSG_IlEEPmS8_NS6_8equal_toIsEEEE10hipError_tPvRmT2_T3_mT4_T5_T6_T7_T8_P12ihipStream_tbENKUlT_T0_E_clISt17integral_constantIbLb1EES13_EEDaSY_SZ_EUlSY_E_NS1_11comp_targetILNS1_3genE3ELNS1_11target_archE908ELNS1_3gpuE7ELNS1_3repE0EEENS1_30default_config_static_selectorELNS0_4arch9wavefront6targetE1EEEvT1_: ; @_ZN7rocprim17ROCPRIM_400000_NS6detail17trampoline_kernelINS0_14default_configENS1_29reduce_by_key_config_selectorIslN6thrust23THRUST_200600_302600_NS4plusIlEEEEZZNS1_33reduce_by_key_impl_wrapped_configILNS1_25lookback_scan_determinismE0ES3_S9_PsNS6_17constant_iteratorIiNS6_11use_defaultESE_EENS6_10device_ptrIsEENSG_IlEEPmS8_NS6_8equal_toIsEEEE10hipError_tPvRmT2_T3_mT4_T5_T6_T7_T8_P12ihipStream_tbENKUlT_T0_E_clISt17integral_constantIbLb1EES13_EEDaSY_SZ_EUlSY_E_NS1_11comp_targetILNS1_3genE3ELNS1_11target_archE908ELNS1_3gpuE7ELNS1_3repE0EEENS1_30default_config_static_selectorELNS0_4arch9wavefront6targetE1EEEvT1_
; %bb.0:
	.section	.rodata,"a",@progbits
	.p2align	6, 0x0
	.amdhsa_kernel _ZN7rocprim17ROCPRIM_400000_NS6detail17trampoline_kernelINS0_14default_configENS1_29reduce_by_key_config_selectorIslN6thrust23THRUST_200600_302600_NS4plusIlEEEEZZNS1_33reduce_by_key_impl_wrapped_configILNS1_25lookback_scan_determinismE0ES3_S9_PsNS6_17constant_iteratorIiNS6_11use_defaultESE_EENS6_10device_ptrIsEENSG_IlEEPmS8_NS6_8equal_toIsEEEE10hipError_tPvRmT2_T3_mT4_T5_T6_T7_T8_P12ihipStream_tbENKUlT_T0_E_clISt17integral_constantIbLb1EES13_EEDaSY_SZ_EUlSY_E_NS1_11comp_targetILNS1_3genE3ELNS1_11target_archE908ELNS1_3gpuE7ELNS1_3repE0EEENS1_30default_config_static_selectorELNS0_4arch9wavefront6targetE1EEEvT1_
		.amdhsa_group_segment_fixed_size 0
		.amdhsa_private_segment_fixed_size 0
		.amdhsa_kernarg_size 144
		.amdhsa_user_sgpr_count 6
		.amdhsa_user_sgpr_private_segment_buffer 1
		.amdhsa_user_sgpr_dispatch_ptr 0
		.amdhsa_user_sgpr_queue_ptr 0
		.amdhsa_user_sgpr_kernarg_segment_ptr 1
		.amdhsa_user_sgpr_dispatch_id 0
		.amdhsa_user_sgpr_flat_scratch_init 0
		.amdhsa_user_sgpr_private_segment_size 0
		.amdhsa_uses_dynamic_stack 0
		.amdhsa_system_sgpr_private_segment_wavefront_offset 0
		.amdhsa_system_sgpr_workgroup_id_x 1
		.amdhsa_system_sgpr_workgroup_id_y 0
		.amdhsa_system_sgpr_workgroup_id_z 0
		.amdhsa_system_sgpr_workgroup_info 0
		.amdhsa_system_vgpr_workitem_id 0
		.amdhsa_next_free_vgpr 1
		.amdhsa_next_free_sgpr 0
		.amdhsa_reserve_vcc 0
		.amdhsa_reserve_flat_scratch 0
		.amdhsa_float_round_mode_32 0
		.amdhsa_float_round_mode_16_64 0
		.amdhsa_float_denorm_mode_32 3
		.amdhsa_float_denorm_mode_16_64 3
		.amdhsa_dx10_clamp 1
		.amdhsa_ieee_mode 1
		.amdhsa_fp16_overflow 0
		.amdhsa_exception_fp_ieee_invalid_op 0
		.amdhsa_exception_fp_denorm_src 0
		.amdhsa_exception_fp_ieee_div_zero 0
		.amdhsa_exception_fp_ieee_overflow 0
		.amdhsa_exception_fp_ieee_underflow 0
		.amdhsa_exception_fp_ieee_inexact 0
		.amdhsa_exception_int_div_zero 0
	.end_amdhsa_kernel
	.section	.text._ZN7rocprim17ROCPRIM_400000_NS6detail17trampoline_kernelINS0_14default_configENS1_29reduce_by_key_config_selectorIslN6thrust23THRUST_200600_302600_NS4plusIlEEEEZZNS1_33reduce_by_key_impl_wrapped_configILNS1_25lookback_scan_determinismE0ES3_S9_PsNS6_17constant_iteratorIiNS6_11use_defaultESE_EENS6_10device_ptrIsEENSG_IlEEPmS8_NS6_8equal_toIsEEEE10hipError_tPvRmT2_T3_mT4_T5_T6_T7_T8_P12ihipStream_tbENKUlT_T0_E_clISt17integral_constantIbLb1EES13_EEDaSY_SZ_EUlSY_E_NS1_11comp_targetILNS1_3genE3ELNS1_11target_archE908ELNS1_3gpuE7ELNS1_3repE0EEENS1_30default_config_static_selectorELNS0_4arch9wavefront6targetE1EEEvT1_,"axG",@progbits,_ZN7rocprim17ROCPRIM_400000_NS6detail17trampoline_kernelINS0_14default_configENS1_29reduce_by_key_config_selectorIslN6thrust23THRUST_200600_302600_NS4plusIlEEEEZZNS1_33reduce_by_key_impl_wrapped_configILNS1_25lookback_scan_determinismE0ES3_S9_PsNS6_17constant_iteratorIiNS6_11use_defaultESE_EENS6_10device_ptrIsEENSG_IlEEPmS8_NS6_8equal_toIsEEEE10hipError_tPvRmT2_T3_mT4_T5_T6_T7_T8_P12ihipStream_tbENKUlT_T0_E_clISt17integral_constantIbLb1EES13_EEDaSY_SZ_EUlSY_E_NS1_11comp_targetILNS1_3genE3ELNS1_11target_archE908ELNS1_3gpuE7ELNS1_3repE0EEENS1_30default_config_static_selectorELNS0_4arch9wavefront6targetE1EEEvT1_,comdat
.Lfunc_end1482:
	.size	_ZN7rocprim17ROCPRIM_400000_NS6detail17trampoline_kernelINS0_14default_configENS1_29reduce_by_key_config_selectorIslN6thrust23THRUST_200600_302600_NS4plusIlEEEEZZNS1_33reduce_by_key_impl_wrapped_configILNS1_25lookback_scan_determinismE0ES3_S9_PsNS6_17constant_iteratorIiNS6_11use_defaultESE_EENS6_10device_ptrIsEENSG_IlEEPmS8_NS6_8equal_toIsEEEE10hipError_tPvRmT2_T3_mT4_T5_T6_T7_T8_P12ihipStream_tbENKUlT_T0_E_clISt17integral_constantIbLb1EES13_EEDaSY_SZ_EUlSY_E_NS1_11comp_targetILNS1_3genE3ELNS1_11target_archE908ELNS1_3gpuE7ELNS1_3repE0EEENS1_30default_config_static_selectorELNS0_4arch9wavefront6targetE1EEEvT1_, .Lfunc_end1482-_ZN7rocprim17ROCPRIM_400000_NS6detail17trampoline_kernelINS0_14default_configENS1_29reduce_by_key_config_selectorIslN6thrust23THRUST_200600_302600_NS4plusIlEEEEZZNS1_33reduce_by_key_impl_wrapped_configILNS1_25lookback_scan_determinismE0ES3_S9_PsNS6_17constant_iteratorIiNS6_11use_defaultESE_EENS6_10device_ptrIsEENSG_IlEEPmS8_NS6_8equal_toIsEEEE10hipError_tPvRmT2_T3_mT4_T5_T6_T7_T8_P12ihipStream_tbENKUlT_T0_E_clISt17integral_constantIbLb1EES13_EEDaSY_SZ_EUlSY_E_NS1_11comp_targetILNS1_3genE3ELNS1_11target_archE908ELNS1_3gpuE7ELNS1_3repE0EEENS1_30default_config_static_selectorELNS0_4arch9wavefront6targetE1EEEvT1_
                                        ; -- End function
	.set _ZN7rocprim17ROCPRIM_400000_NS6detail17trampoline_kernelINS0_14default_configENS1_29reduce_by_key_config_selectorIslN6thrust23THRUST_200600_302600_NS4plusIlEEEEZZNS1_33reduce_by_key_impl_wrapped_configILNS1_25lookback_scan_determinismE0ES3_S9_PsNS6_17constant_iteratorIiNS6_11use_defaultESE_EENS6_10device_ptrIsEENSG_IlEEPmS8_NS6_8equal_toIsEEEE10hipError_tPvRmT2_T3_mT4_T5_T6_T7_T8_P12ihipStream_tbENKUlT_T0_E_clISt17integral_constantIbLb1EES13_EEDaSY_SZ_EUlSY_E_NS1_11comp_targetILNS1_3genE3ELNS1_11target_archE908ELNS1_3gpuE7ELNS1_3repE0EEENS1_30default_config_static_selectorELNS0_4arch9wavefront6targetE1EEEvT1_.num_vgpr, 0
	.set _ZN7rocprim17ROCPRIM_400000_NS6detail17trampoline_kernelINS0_14default_configENS1_29reduce_by_key_config_selectorIslN6thrust23THRUST_200600_302600_NS4plusIlEEEEZZNS1_33reduce_by_key_impl_wrapped_configILNS1_25lookback_scan_determinismE0ES3_S9_PsNS6_17constant_iteratorIiNS6_11use_defaultESE_EENS6_10device_ptrIsEENSG_IlEEPmS8_NS6_8equal_toIsEEEE10hipError_tPvRmT2_T3_mT4_T5_T6_T7_T8_P12ihipStream_tbENKUlT_T0_E_clISt17integral_constantIbLb1EES13_EEDaSY_SZ_EUlSY_E_NS1_11comp_targetILNS1_3genE3ELNS1_11target_archE908ELNS1_3gpuE7ELNS1_3repE0EEENS1_30default_config_static_selectorELNS0_4arch9wavefront6targetE1EEEvT1_.num_agpr, 0
	.set _ZN7rocprim17ROCPRIM_400000_NS6detail17trampoline_kernelINS0_14default_configENS1_29reduce_by_key_config_selectorIslN6thrust23THRUST_200600_302600_NS4plusIlEEEEZZNS1_33reduce_by_key_impl_wrapped_configILNS1_25lookback_scan_determinismE0ES3_S9_PsNS6_17constant_iteratorIiNS6_11use_defaultESE_EENS6_10device_ptrIsEENSG_IlEEPmS8_NS6_8equal_toIsEEEE10hipError_tPvRmT2_T3_mT4_T5_T6_T7_T8_P12ihipStream_tbENKUlT_T0_E_clISt17integral_constantIbLb1EES13_EEDaSY_SZ_EUlSY_E_NS1_11comp_targetILNS1_3genE3ELNS1_11target_archE908ELNS1_3gpuE7ELNS1_3repE0EEENS1_30default_config_static_selectorELNS0_4arch9wavefront6targetE1EEEvT1_.numbered_sgpr, 0
	.set _ZN7rocprim17ROCPRIM_400000_NS6detail17trampoline_kernelINS0_14default_configENS1_29reduce_by_key_config_selectorIslN6thrust23THRUST_200600_302600_NS4plusIlEEEEZZNS1_33reduce_by_key_impl_wrapped_configILNS1_25lookback_scan_determinismE0ES3_S9_PsNS6_17constant_iteratorIiNS6_11use_defaultESE_EENS6_10device_ptrIsEENSG_IlEEPmS8_NS6_8equal_toIsEEEE10hipError_tPvRmT2_T3_mT4_T5_T6_T7_T8_P12ihipStream_tbENKUlT_T0_E_clISt17integral_constantIbLb1EES13_EEDaSY_SZ_EUlSY_E_NS1_11comp_targetILNS1_3genE3ELNS1_11target_archE908ELNS1_3gpuE7ELNS1_3repE0EEENS1_30default_config_static_selectorELNS0_4arch9wavefront6targetE1EEEvT1_.num_named_barrier, 0
	.set _ZN7rocprim17ROCPRIM_400000_NS6detail17trampoline_kernelINS0_14default_configENS1_29reduce_by_key_config_selectorIslN6thrust23THRUST_200600_302600_NS4plusIlEEEEZZNS1_33reduce_by_key_impl_wrapped_configILNS1_25lookback_scan_determinismE0ES3_S9_PsNS6_17constant_iteratorIiNS6_11use_defaultESE_EENS6_10device_ptrIsEENSG_IlEEPmS8_NS6_8equal_toIsEEEE10hipError_tPvRmT2_T3_mT4_T5_T6_T7_T8_P12ihipStream_tbENKUlT_T0_E_clISt17integral_constantIbLb1EES13_EEDaSY_SZ_EUlSY_E_NS1_11comp_targetILNS1_3genE3ELNS1_11target_archE908ELNS1_3gpuE7ELNS1_3repE0EEENS1_30default_config_static_selectorELNS0_4arch9wavefront6targetE1EEEvT1_.private_seg_size, 0
	.set _ZN7rocprim17ROCPRIM_400000_NS6detail17trampoline_kernelINS0_14default_configENS1_29reduce_by_key_config_selectorIslN6thrust23THRUST_200600_302600_NS4plusIlEEEEZZNS1_33reduce_by_key_impl_wrapped_configILNS1_25lookback_scan_determinismE0ES3_S9_PsNS6_17constant_iteratorIiNS6_11use_defaultESE_EENS6_10device_ptrIsEENSG_IlEEPmS8_NS6_8equal_toIsEEEE10hipError_tPvRmT2_T3_mT4_T5_T6_T7_T8_P12ihipStream_tbENKUlT_T0_E_clISt17integral_constantIbLb1EES13_EEDaSY_SZ_EUlSY_E_NS1_11comp_targetILNS1_3genE3ELNS1_11target_archE908ELNS1_3gpuE7ELNS1_3repE0EEENS1_30default_config_static_selectorELNS0_4arch9wavefront6targetE1EEEvT1_.uses_vcc, 0
	.set _ZN7rocprim17ROCPRIM_400000_NS6detail17trampoline_kernelINS0_14default_configENS1_29reduce_by_key_config_selectorIslN6thrust23THRUST_200600_302600_NS4plusIlEEEEZZNS1_33reduce_by_key_impl_wrapped_configILNS1_25lookback_scan_determinismE0ES3_S9_PsNS6_17constant_iteratorIiNS6_11use_defaultESE_EENS6_10device_ptrIsEENSG_IlEEPmS8_NS6_8equal_toIsEEEE10hipError_tPvRmT2_T3_mT4_T5_T6_T7_T8_P12ihipStream_tbENKUlT_T0_E_clISt17integral_constantIbLb1EES13_EEDaSY_SZ_EUlSY_E_NS1_11comp_targetILNS1_3genE3ELNS1_11target_archE908ELNS1_3gpuE7ELNS1_3repE0EEENS1_30default_config_static_selectorELNS0_4arch9wavefront6targetE1EEEvT1_.uses_flat_scratch, 0
	.set _ZN7rocprim17ROCPRIM_400000_NS6detail17trampoline_kernelINS0_14default_configENS1_29reduce_by_key_config_selectorIslN6thrust23THRUST_200600_302600_NS4plusIlEEEEZZNS1_33reduce_by_key_impl_wrapped_configILNS1_25lookback_scan_determinismE0ES3_S9_PsNS6_17constant_iteratorIiNS6_11use_defaultESE_EENS6_10device_ptrIsEENSG_IlEEPmS8_NS6_8equal_toIsEEEE10hipError_tPvRmT2_T3_mT4_T5_T6_T7_T8_P12ihipStream_tbENKUlT_T0_E_clISt17integral_constantIbLb1EES13_EEDaSY_SZ_EUlSY_E_NS1_11comp_targetILNS1_3genE3ELNS1_11target_archE908ELNS1_3gpuE7ELNS1_3repE0EEENS1_30default_config_static_selectorELNS0_4arch9wavefront6targetE1EEEvT1_.has_dyn_sized_stack, 0
	.set _ZN7rocprim17ROCPRIM_400000_NS6detail17trampoline_kernelINS0_14default_configENS1_29reduce_by_key_config_selectorIslN6thrust23THRUST_200600_302600_NS4plusIlEEEEZZNS1_33reduce_by_key_impl_wrapped_configILNS1_25lookback_scan_determinismE0ES3_S9_PsNS6_17constant_iteratorIiNS6_11use_defaultESE_EENS6_10device_ptrIsEENSG_IlEEPmS8_NS6_8equal_toIsEEEE10hipError_tPvRmT2_T3_mT4_T5_T6_T7_T8_P12ihipStream_tbENKUlT_T0_E_clISt17integral_constantIbLb1EES13_EEDaSY_SZ_EUlSY_E_NS1_11comp_targetILNS1_3genE3ELNS1_11target_archE908ELNS1_3gpuE7ELNS1_3repE0EEENS1_30default_config_static_selectorELNS0_4arch9wavefront6targetE1EEEvT1_.has_recursion, 0
	.set _ZN7rocprim17ROCPRIM_400000_NS6detail17trampoline_kernelINS0_14default_configENS1_29reduce_by_key_config_selectorIslN6thrust23THRUST_200600_302600_NS4plusIlEEEEZZNS1_33reduce_by_key_impl_wrapped_configILNS1_25lookback_scan_determinismE0ES3_S9_PsNS6_17constant_iteratorIiNS6_11use_defaultESE_EENS6_10device_ptrIsEENSG_IlEEPmS8_NS6_8equal_toIsEEEE10hipError_tPvRmT2_T3_mT4_T5_T6_T7_T8_P12ihipStream_tbENKUlT_T0_E_clISt17integral_constantIbLb1EES13_EEDaSY_SZ_EUlSY_E_NS1_11comp_targetILNS1_3genE3ELNS1_11target_archE908ELNS1_3gpuE7ELNS1_3repE0EEENS1_30default_config_static_selectorELNS0_4arch9wavefront6targetE1EEEvT1_.has_indirect_call, 0
	.section	.AMDGPU.csdata,"",@progbits
; Kernel info:
; codeLenInByte = 0
; TotalNumSgprs: 4
; NumVgprs: 0
; ScratchSize: 0
; MemoryBound: 0
; FloatMode: 240
; IeeeMode: 1
; LDSByteSize: 0 bytes/workgroup (compile time only)
; SGPRBlocks: 0
; VGPRBlocks: 0
; NumSGPRsForWavesPerEU: 4
; NumVGPRsForWavesPerEU: 1
; Occupancy: 10
; WaveLimiterHint : 0
; COMPUTE_PGM_RSRC2:SCRATCH_EN: 0
; COMPUTE_PGM_RSRC2:USER_SGPR: 6
; COMPUTE_PGM_RSRC2:TRAP_HANDLER: 0
; COMPUTE_PGM_RSRC2:TGID_X_EN: 1
; COMPUTE_PGM_RSRC2:TGID_Y_EN: 0
; COMPUTE_PGM_RSRC2:TGID_Z_EN: 0
; COMPUTE_PGM_RSRC2:TIDIG_COMP_CNT: 0
	.section	.text._ZN7rocprim17ROCPRIM_400000_NS6detail17trampoline_kernelINS0_14default_configENS1_29reduce_by_key_config_selectorIslN6thrust23THRUST_200600_302600_NS4plusIlEEEEZZNS1_33reduce_by_key_impl_wrapped_configILNS1_25lookback_scan_determinismE0ES3_S9_PsNS6_17constant_iteratorIiNS6_11use_defaultESE_EENS6_10device_ptrIsEENSG_IlEEPmS8_NS6_8equal_toIsEEEE10hipError_tPvRmT2_T3_mT4_T5_T6_T7_T8_P12ihipStream_tbENKUlT_T0_E_clISt17integral_constantIbLb1EES13_EEDaSY_SZ_EUlSY_E_NS1_11comp_targetILNS1_3genE2ELNS1_11target_archE906ELNS1_3gpuE6ELNS1_3repE0EEENS1_30default_config_static_selectorELNS0_4arch9wavefront6targetE1EEEvT1_,"axG",@progbits,_ZN7rocprim17ROCPRIM_400000_NS6detail17trampoline_kernelINS0_14default_configENS1_29reduce_by_key_config_selectorIslN6thrust23THRUST_200600_302600_NS4plusIlEEEEZZNS1_33reduce_by_key_impl_wrapped_configILNS1_25lookback_scan_determinismE0ES3_S9_PsNS6_17constant_iteratorIiNS6_11use_defaultESE_EENS6_10device_ptrIsEENSG_IlEEPmS8_NS6_8equal_toIsEEEE10hipError_tPvRmT2_T3_mT4_T5_T6_T7_T8_P12ihipStream_tbENKUlT_T0_E_clISt17integral_constantIbLb1EES13_EEDaSY_SZ_EUlSY_E_NS1_11comp_targetILNS1_3genE2ELNS1_11target_archE906ELNS1_3gpuE6ELNS1_3repE0EEENS1_30default_config_static_selectorELNS0_4arch9wavefront6targetE1EEEvT1_,comdat
	.protected	_ZN7rocprim17ROCPRIM_400000_NS6detail17trampoline_kernelINS0_14default_configENS1_29reduce_by_key_config_selectorIslN6thrust23THRUST_200600_302600_NS4plusIlEEEEZZNS1_33reduce_by_key_impl_wrapped_configILNS1_25lookback_scan_determinismE0ES3_S9_PsNS6_17constant_iteratorIiNS6_11use_defaultESE_EENS6_10device_ptrIsEENSG_IlEEPmS8_NS6_8equal_toIsEEEE10hipError_tPvRmT2_T3_mT4_T5_T6_T7_T8_P12ihipStream_tbENKUlT_T0_E_clISt17integral_constantIbLb1EES13_EEDaSY_SZ_EUlSY_E_NS1_11comp_targetILNS1_3genE2ELNS1_11target_archE906ELNS1_3gpuE6ELNS1_3repE0EEENS1_30default_config_static_selectorELNS0_4arch9wavefront6targetE1EEEvT1_ ; -- Begin function _ZN7rocprim17ROCPRIM_400000_NS6detail17trampoline_kernelINS0_14default_configENS1_29reduce_by_key_config_selectorIslN6thrust23THRUST_200600_302600_NS4plusIlEEEEZZNS1_33reduce_by_key_impl_wrapped_configILNS1_25lookback_scan_determinismE0ES3_S9_PsNS6_17constant_iteratorIiNS6_11use_defaultESE_EENS6_10device_ptrIsEENSG_IlEEPmS8_NS6_8equal_toIsEEEE10hipError_tPvRmT2_T3_mT4_T5_T6_T7_T8_P12ihipStream_tbENKUlT_T0_E_clISt17integral_constantIbLb1EES13_EEDaSY_SZ_EUlSY_E_NS1_11comp_targetILNS1_3genE2ELNS1_11target_archE906ELNS1_3gpuE6ELNS1_3repE0EEENS1_30default_config_static_selectorELNS0_4arch9wavefront6targetE1EEEvT1_
	.globl	_ZN7rocprim17ROCPRIM_400000_NS6detail17trampoline_kernelINS0_14default_configENS1_29reduce_by_key_config_selectorIslN6thrust23THRUST_200600_302600_NS4plusIlEEEEZZNS1_33reduce_by_key_impl_wrapped_configILNS1_25lookback_scan_determinismE0ES3_S9_PsNS6_17constant_iteratorIiNS6_11use_defaultESE_EENS6_10device_ptrIsEENSG_IlEEPmS8_NS6_8equal_toIsEEEE10hipError_tPvRmT2_T3_mT4_T5_T6_T7_T8_P12ihipStream_tbENKUlT_T0_E_clISt17integral_constantIbLb1EES13_EEDaSY_SZ_EUlSY_E_NS1_11comp_targetILNS1_3genE2ELNS1_11target_archE906ELNS1_3gpuE6ELNS1_3repE0EEENS1_30default_config_static_selectorELNS0_4arch9wavefront6targetE1EEEvT1_
	.p2align	8
	.type	_ZN7rocprim17ROCPRIM_400000_NS6detail17trampoline_kernelINS0_14default_configENS1_29reduce_by_key_config_selectorIslN6thrust23THRUST_200600_302600_NS4plusIlEEEEZZNS1_33reduce_by_key_impl_wrapped_configILNS1_25lookback_scan_determinismE0ES3_S9_PsNS6_17constant_iteratorIiNS6_11use_defaultESE_EENS6_10device_ptrIsEENSG_IlEEPmS8_NS6_8equal_toIsEEEE10hipError_tPvRmT2_T3_mT4_T5_T6_T7_T8_P12ihipStream_tbENKUlT_T0_E_clISt17integral_constantIbLb1EES13_EEDaSY_SZ_EUlSY_E_NS1_11comp_targetILNS1_3genE2ELNS1_11target_archE906ELNS1_3gpuE6ELNS1_3repE0EEENS1_30default_config_static_selectorELNS0_4arch9wavefront6targetE1EEEvT1_,@function
_ZN7rocprim17ROCPRIM_400000_NS6detail17trampoline_kernelINS0_14default_configENS1_29reduce_by_key_config_selectorIslN6thrust23THRUST_200600_302600_NS4plusIlEEEEZZNS1_33reduce_by_key_impl_wrapped_configILNS1_25lookback_scan_determinismE0ES3_S9_PsNS6_17constant_iteratorIiNS6_11use_defaultESE_EENS6_10device_ptrIsEENSG_IlEEPmS8_NS6_8equal_toIsEEEE10hipError_tPvRmT2_T3_mT4_T5_T6_T7_T8_P12ihipStream_tbENKUlT_T0_E_clISt17integral_constantIbLb1EES13_EEDaSY_SZ_EUlSY_E_NS1_11comp_targetILNS1_3genE2ELNS1_11target_archE906ELNS1_3gpuE6ELNS1_3repE0EEENS1_30default_config_static_selectorELNS0_4arch9wavefront6targetE1EEEvT1_: ; @_ZN7rocprim17ROCPRIM_400000_NS6detail17trampoline_kernelINS0_14default_configENS1_29reduce_by_key_config_selectorIslN6thrust23THRUST_200600_302600_NS4plusIlEEEEZZNS1_33reduce_by_key_impl_wrapped_configILNS1_25lookback_scan_determinismE0ES3_S9_PsNS6_17constant_iteratorIiNS6_11use_defaultESE_EENS6_10device_ptrIsEENSG_IlEEPmS8_NS6_8equal_toIsEEEE10hipError_tPvRmT2_T3_mT4_T5_T6_T7_T8_P12ihipStream_tbENKUlT_T0_E_clISt17integral_constantIbLb1EES13_EEDaSY_SZ_EUlSY_E_NS1_11comp_targetILNS1_3genE2ELNS1_11target_archE906ELNS1_3gpuE6ELNS1_3repE0EEENS1_30default_config_static_selectorELNS0_4arch9wavefront6targetE1EEEvT1_
; %bb.0:
	s_endpgm
	.section	.rodata,"a",@progbits
	.p2align	6, 0x0
	.amdhsa_kernel _ZN7rocprim17ROCPRIM_400000_NS6detail17trampoline_kernelINS0_14default_configENS1_29reduce_by_key_config_selectorIslN6thrust23THRUST_200600_302600_NS4plusIlEEEEZZNS1_33reduce_by_key_impl_wrapped_configILNS1_25lookback_scan_determinismE0ES3_S9_PsNS6_17constant_iteratorIiNS6_11use_defaultESE_EENS6_10device_ptrIsEENSG_IlEEPmS8_NS6_8equal_toIsEEEE10hipError_tPvRmT2_T3_mT4_T5_T6_T7_T8_P12ihipStream_tbENKUlT_T0_E_clISt17integral_constantIbLb1EES13_EEDaSY_SZ_EUlSY_E_NS1_11comp_targetILNS1_3genE2ELNS1_11target_archE906ELNS1_3gpuE6ELNS1_3repE0EEENS1_30default_config_static_selectorELNS0_4arch9wavefront6targetE1EEEvT1_
		.amdhsa_group_segment_fixed_size 0
		.amdhsa_private_segment_fixed_size 0
		.amdhsa_kernarg_size 144
		.amdhsa_user_sgpr_count 6
		.amdhsa_user_sgpr_private_segment_buffer 1
		.amdhsa_user_sgpr_dispatch_ptr 0
		.amdhsa_user_sgpr_queue_ptr 0
		.amdhsa_user_sgpr_kernarg_segment_ptr 1
		.amdhsa_user_sgpr_dispatch_id 0
		.amdhsa_user_sgpr_flat_scratch_init 0
		.amdhsa_user_sgpr_private_segment_size 0
		.amdhsa_uses_dynamic_stack 0
		.amdhsa_system_sgpr_private_segment_wavefront_offset 0
		.amdhsa_system_sgpr_workgroup_id_x 1
		.amdhsa_system_sgpr_workgroup_id_y 0
		.amdhsa_system_sgpr_workgroup_id_z 0
		.amdhsa_system_sgpr_workgroup_info 0
		.amdhsa_system_vgpr_workitem_id 0
		.amdhsa_next_free_vgpr 1
		.amdhsa_next_free_sgpr 0
		.amdhsa_reserve_vcc 0
		.amdhsa_reserve_flat_scratch 0
		.amdhsa_float_round_mode_32 0
		.amdhsa_float_round_mode_16_64 0
		.amdhsa_float_denorm_mode_32 3
		.amdhsa_float_denorm_mode_16_64 3
		.amdhsa_dx10_clamp 1
		.amdhsa_ieee_mode 1
		.amdhsa_fp16_overflow 0
		.amdhsa_exception_fp_ieee_invalid_op 0
		.amdhsa_exception_fp_denorm_src 0
		.amdhsa_exception_fp_ieee_div_zero 0
		.amdhsa_exception_fp_ieee_overflow 0
		.amdhsa_exception_fp_ieee_underflow 0
		.amdhsa_exception_fp_ieee_inexact 0
		.amdhsa_exception_int_div_zero 0
	.end_amdhsa_kernel
	.section	.text._ZN7rocprim17ROCPRIM_400000_NS6detail17trampoline_kernelINS0_14default_configENS1_29reduce_by_key_config_selectorIslN6thrust23THRUST_200600_302600_NS4plusIlEEEEZZNS1_33reduce_by_key_impl_wrapped_configILNS1_25lookback_scan_determinismE0ES3_S9_PsNS6_17constant_iteratorIiNS6_11use_defaultESE_EENS6_10device_ptrIsEENSG_IlEEPmS8_NS6_8equal_toIsEEEE10hipError_tPvRmT2_T3_mT4_T5_T6_T7_T8_P12ihipStream_tbENKUlT_T0_E_clISt17integral_constantIbLb1EES13_EEDaSY_SZ_EUlSY_E_NS1_11comp_targetILNS1_3genE2ELNS1_11target_archE906ELNS1_3gpuE6ELNS1_3repE0EEENS1_30default_config_static_selectorELNS0_4arch9wavefront6targetE1EEEvT1_,"axG",@progbits,_ZN7rocprim17ROCPRIM_400000_NS6detail17trampoline_kernelINS0_14default_configENS1_29reduce_by_key_config_selectorIslN6thrust23THRUST_200600_302600_NS4plusIlEEEEZZNS1_33reduce_by_key_impl_wrapped_configILNS1_25lookback_scan_determinismE0ES3_S9_PsNS6_17constant_iteratorIiNS6_11use_defaultESE_EENS6_10device_ptrIsEENSG_IlEEPmS8_NS6_8equal_toIsEEEE10hipError_tPvRmT2_T3_mT4_T5_T6_T7_T8_P12ihipStream_tbENKUlT_T0_E_clISt17integral_constantIbLb1EES13_EEDaSY_SZ_EUlSY_E_NS1_11comp_targetILNS1_3genE2ELNS1_11target_archE906ELNS1_3gpuE6ELNS1_3repE0EEENS1_30default_config_static_selectorELNS0_4arch9wavefront6targetE1EEEvT1_,comdat
.Lfunc_end1483:
	.size	_ZN7rocprim17ROCPRIM_400000_NS6detail17trampoline_kernelINS0_14default_configENS1_29reduce_by_key_config_selectorIslN6thrust23THRUST_200600_302600_NS4plusIlEEEEZZNS1_33reduce_by_key_impl_wrapped_configILNS1_25lookback_scan_determinismE0ES3_S9_PsNS6_17constant_iteratorIiNS6_11use_defaultESE_EENS6_10device_ptrIsEENSG_IlEEPmS8_NS6_8equal_toIsEEEE10hipError_tPvRmT2_T3_mT4_T5_T6_T7_T8_P12ihipStream_tbENKUlT_T0_E_clISt17integral_constantIbLb1EES13_EEDaSY_SZ_EUlSY_E_NS1_11comp_targetILNS1_3genE2ELNS1_11target_archE906ELNS1_3gpuE6ELNS1_3repE0EEENS1_30default_config_static_selectorELNS0_4arch9wavefront6targetE1EEEvT1_, .Lfunc_end1483-_ZN7rocprim17ROCPRIM_400000_NS6detail17trampoline_kernelINS0_14default_configENS1_29reduce_by_key_config_selectorIslN6thrust23THRUST_200600_302600_NS4plusIlEEEEZZNS1_33reduce_by_key_impl_wrapped_configILNS1_25lookback_scan_determinismE0ES3_S9_PsNS6_17constant_iteratorIiNS6_11use_defaultESE_EENS6_10device_ptrIsEENSG_IlEEPmS8_NS6_8equal_toIsEEEE10hipError_tPvRmT2_T3_mT4_T5_T6_T7_T8_P12ihipStream_tbENKUlT_T0_E_clISt17integral_constantIbLb1EES13_EEDaSY_SZ_EUlSY_E_NS1_11comp_targetILNS1_3genE2ELNS1_11target_archE906ELNS1_3gpuE6ELNS1_3repE0EEENS1_30default_config_static_selectorELNS0_4arch9wavefront6targetE1EEEvT1_
                                        ; -- End function
	.set _ZN7rocprim17ROCPRIM_400000_NS6detail17trampoline_kernelINS0_14default_configENS1_29reduce_by_key_config_selectorIslN6thrust23THRUST_200600_302600_NS4plusIlEEEEZZNS1_33reduce_by_key_impl_wrapped_configILNS1_25lookback_scan_determinismE0ES3_S9_PsNS6_17constant_iteratorIiNS6_11use_defaultESE_EENS6_10device_ptrIsEENSG_IlEEPmS8_NS6_8equal_toIsEEEE10hipError_tPvRmT2_T3_mT4_T5_T6_T7_T8_P12ihipStream_tbENKUlT_T0_E_clISt17integral_constantIbLb1EES13_EEDaSY_SZ_EUlSY_E_NS1_11comp_targetILNS1_3genE2ELNS1_11target_archE906ELNS1_3gpuE6ELNS1_3repE0EEENS1_30default_config_static_selectorELNS0_4arch9wavefront6targetE1EEEvT1_.num_vgpr, 0
	.set _ZN7rocprim17ROCPRIM_400000_NS6detail17trampoline_kernelINS0_14default_configENS1_29reduce_by_key_config_selectorIslN6thrust23THRUST_200600_302600_NS4plusIlEEEEZZNS1_33reduce_by_key_impl_wrapped_configILNS1_25lookback_scan_determinismE0ES3_S9_PsNS6_17constant_iteratorIiNS6_11use_defaultESE_EENS6_10device_ptrIsEENSG_IlEEPmS8_NS6_8equal_toIsEEEE10hipError_tPvRmT2_T3_mT4_T5_T6_T7_T8_P12ihipStream_tbENKUlT_T0_E_clISt17integral_constantIbLb1EES13_EEDaSY_SZ_EUlSY_E_NS1_11comp_targetILNS1_3genE2ELNS1_11target_archE906ELNS1_3gpuE6ELNS1_3repE0EEENS1_30default_config_static_selectorELNS0_4arch9wavefront6targetE1EEEvT1_.num_agpr, 0
	.set _ZN7rocprim17ROCPRIM_400000_NS6detail17trampoline_kernelINS0_14default_configENS1_29reduce_by_key_config_selectorIslN6thrust23THRUST_200600_302600_NS4plusIlEEEEZZNS1_33reduce_by_key_impl_wrapped_configILNS1_25lookback_scan_determinismE0ES3_S9_PsNS6_17constant_iteratorIiNS6_11use_defaultESE_EENS6_10device_ptrIsEENSG_IlEEPmS8_NS6_8equal_toIsEEEE10hipError_tPvRmT2_T3_mT4_T5_T6_T7_T8_P12ihipStream_tbENKUlT_T0_E_clISt17integral_constantIbLb1EES13_EEDaSY_SZ_EUlSY_E_NS1_11comp_targetILNS1_3genE2ELNS1_11target_archE906ELNS1_3gpuE6ELNS1_3repE0EEENS1_30default_config_static_selectorELNS0_4arch9wavefront6targetE1EEEvT1_.numbered_sgpr, 0
	.set _ZN7rocprim17ROCPRIM_400000_NS6detail17trampoline_kernelINS0_14default_configENS1_29reduce_by_key_config_selectorIslN6thrust23THRUST_200600_302600_NS4plusIlEEEEZZNS1_33reduce_by_key_impl_wrapped_configILNS1_25lookback_scan_determinismE0ES3_S9_PsNS6_17constant_iteratorIiNS6_11use_defaultESE_EENS6_10device_ptrIsEENSG_IlEEPmS8_NS6_8equal_toIsEEEE10hipError_tPvRmT2_T3_mT4_T5_T6_T7_T8_P12ihipStream_tbENKUlT_T0_E_clISt17integral_constantIbLb1EES13_EEDaSY_SZ_EUlSY_E_NS1_11comp_targetILNS1_3genE2ELNS1_11target_archE906ELNS1_3gpuE6ELNS1_3repE0EEENS1_30default_config_static_selectorELNS0_4arch9wavefront6targetE1EEEvT1_.num_named_barrier, 0
	.set _ZN7rocprim17ROCPRIM_400000_NS6detail17trampoline_kernelINS0_14default_configENS1_29reduce_by_key_config_selectorIslN6thrust23THRUST_200600_302600_NS4plusIlEEEEZZNS1_33reduce_by_key_impl_wrapped_configILNS1_25lookback_scan_determinismE0ES3_S9_PsNS6_17constant_iteratorIiNS6_11use_defaultESE_EENS6_10device_ptrIsEENSG_IlEEPmS8_NS6_8equal_toIsEEEE10hipError_tPvRmT2_T3_mT4_T5_T6_T7_T8_P12ihipStream_tbENKUlT_T0_E_clISt17integral_constantIbLb1EES13_EEDaSY_SZ_EUlSY_E_NS1_11comp_targetILNS1_3genE2ELNS1_11target_archE906ELNS1_3gpuE6ELNS1_3repE0EEENS1_30default_config_static_selectorELNS0_4arch9wavefront6targetE1EEEvT1_.private_seg_size, 0
	.set _ZN7rocprim17ROCPRIM_400000_NS6detail17trampoline_kernelINS0_14default_configENS1_29reduce_by_key_config_selectorIslN6thrust23THRUST_200600_302600_NS4plusIlEEEEZZNS1_33reduce_by_key_impl_wrapped_configILNS1_25lookback_scan_determinismE0ES3_S9_PsNS6_17constant_iteratorIiNS6_11use_defaultESE_EENS6_10device_ptrIsEENSG_IlEEPmS8_NS6_8equal_toIsEEEE10hipError_tPvRmT2_T3_mT4_T5_T6_T7_T8_P12ihipStream_tbENKUlT_T0_E_clISt17integral_constantIbLb1EES13_EEDaSY_SZ_EUlSY_E_NS1_11comp_targetILNS1_3genE2ELNS1_11target_archE906ELNS1_3gpuE6ELNS1_3repE0EEENS1_30default_config_static_selectorELNS0_4arch9wavefront6targetE1EEEvT1_.uses_vcc, 0
	.set _ZN7rocprim17ROCPRIM_400000_NS6detail17trampoline_kernelINS0_14default_configENS1_29reduce_by_key_config_selectorIslN6thrust23THRUST_200600_302600_NS4plusIlEEEEZZNS1_33reduce_by_key_impl_wrapped_configILNS1_25lookback_scan_determinismE0ES3_S9_PsNS6_17constant_iteratorIiNS6_11use_defaultESE_EENS6_10device_ptrIsEENSG_IlEEPmS8_NS6_8equal_toIsEEEE10hipError_tPvRmT2_T3_mT4_T5_T6_T7_T8_P12ihipStream_tbENKUlT_T0_E_clISt17integral_constantIbLb1EES13_EEDaSY_SZ_EUlSY_E_NS1_11comp_targetILNS1_3genE2ELNS1_11target_archE906ELNS1_3gpuE6ELNS1_3repE0EEENS1_30default_config_static_selectorELNS0_4arch9wavefront6targetE1EEEvT1_.uses_flat_scratch, 0
	.set _ZN7rocprim17ROCPRIM_400000_NS6detail17trampoline_kernelINS0_14default_configENS1_29reduce_by_key_config_selectorIslN6thrust23THRUST_200600_302600_NS4plusIlEEEEZZNS1_33reduce_by_key_impl_wrapped_configILNS1_25lookback_scan_determinismE0ES3_S9_PsNS6_17constant_iteratorIiNS6_11use_defaultESE_EENS6_10device_ptrIsEENSG_IlEEPmS8_NS6_8equal_toIsEEEE10hipError_tPvRmT2_T3_mT4_T5_T6_T7_T8_P12ihipStream_tbENKUlT_T0_E_clISt17integral_constantIbLb1EES13_EEDaSY_SZ_EUlSY_E_NS1_11comp_targetILNS1_3genE2ELNS1_11target_archE906ELNS1_3gpuE6ELNS1_3repE0EEENS1_30default_config_static_selectorELNS0_4arch9wavefront6targetE1EEEvT1_.has_dyn_sized_stack, 0
	.set _ZN7rocprim17ROCPRIM_400000_NS6detail17trampoline_kernelINS0_14default_configENS1_29reduce_by_key_config_selectorIslN6thrust23THRUST_200600_302600_NS4plusIlEEEEZZNS1_33reduce_by_key_impl_wrapped_configILNS1_25lookback_scan_determinismE0ES3_S9_PsNS6_17constant_iteratorIiNS6_11use_defaultESE_EENS6_10device_ptrIsEENSG_IlEEPmS8_NS6_8equal_toIsEEEE10hipError_tPvRmT2_T3_mT4_T5_T6_T7_T8_P12ihipStream_tbENKUlT_T0_E_clISt17integral_constantIbLb1EES13_EEDaSY_SZ_EUlSY_E_NS1_11comp_targetILNS1_3genE2ELNS1_11target_archE906ELNS1_3gpuE6ELNS1_3repE0EEENS1_30default_config_static_selectorELNS0_4arch9wavefront6targetE1EEEvT1_.has_recursion, 0
	.set _ZN7rocprim17ROCPRIM_400000_NS6detail17trampoline_kernelINS0_14default_configENS1_29reduce_by_key_config_selectorIslN6thrust23THRUST_200600_302600_NS4plusIlEEEEZZNS1_33reduce_by_key_impl_wrapped_configILNS1_25lookback_scan_determinismE0ES3_S9_PsNS6_17constant_iteratorIiNS6_11use_defaultESE_EENS6_10device_ptrIsEENSG_IlEEPmS8_NS6_8equal_toIsEEEE10hipError_tPvRmT2_T3_mT4_T5_T6_T7_T8_P12ihipStream_tbENKUlT_T0_E_clISt17integral_constantIbLb1EES13_EEDaSY_SZ_EUlSY_E_NS1_11comp_targetILNS1_3genE2ELNS1_11target_archE906ELNS1_3gpuE6ELNS1_3repE0EEENS1_30default_config_static_selectorELNS0_4arch9wavefront6targetE1EEEvT1_.has_indirect_call, 0
	.section	.AMDGPU.csdata,"",@progbits
; Kernel info:
; codeLenInByte = 4
; TotalNumSgprs: 4
; NumVgprs: 0
; ScratchSize: 0
; MemoryBound: 0
; FloatMode: 240
; IeeeMode: 1
; LDSByteSize: 0 bytes/workgroup (compile time only)
; SGPRBlocks: 0
; VGPRBlocks: 0
; NumSGPRsForWavesPerEU: 4
; NumVGPRsForWavesPerEU: 1
; Occupancy: 10
; WaveLimiterHint : 0
; COMPUTE_PGM_RSRC2:SCRATCH_EN: 0
; COMPUTE_PGM_RSRC2:USER_SGPR: 6
; COMPUTE_PGM_RSRC2:TRAP_HANDLER: 0
; COMPUTE_PGM_RSRC2:TGID_X_EN: 1
; COMPUTE_PGM_RSRC2:TGID_Y_EN: 0
; COMPUTE_PGM_RSRC2:TGID_Z_EN: 0
; COMPUTE_PGM_RSRC2:TIDIG_COMP_CNT: 0
	.section	.text._ZN7rocprim17ROCPRIM_400000_NS6detail17trampoline_kernelINS0_14default_configENS1_29reduce_by_key_config_selectorIslN6thrust23THRUST_200600_302600_NS4plusIlEEEEZZNS1_33reduce_by_key_impl_wrapped_configILNS1_25lookback_scan_determinismE0ES3_S9_PsNS6_17constant_iteratorIiNS6_11use_defaultESE_EENS6_10device_ptrIsEENSG_IlEEPmS8_NS6_8equal_toIsEEEE10hipError_tPvRmT2_T3_mT4_T5_T6_T7_T8_P12ihipStream_tbENKUlT_T0_E_clISt17integral_constantIbLb1EES13_EEDaSY_SZ_EUlSY_E_NS1_11comp_targetILNS1_3genE10ELNS1_11target_archE1201ELNS1_3gpuE5ELNS1_3repE0EEENS1_30default_config_static_selectorELNS0_4arch9wavefront6targetE1EEEvT1_,"axG",@progbits,_ZN7rocprim17ROCPRIM_400000_NS6detail17trampoline_kernelINS0_14default_configENS1_29reduce_by_key_config_selectorIslN6thrust23THRUST_200600_302600_NS4plusIlEEEEZZNS1_33reduce_by_key_impl_wrapped_configILNS1_25lookback_scan_determinismE0ES3_S9_PsNS6_17constant_iteratorIiNS6_11use_defaultESE_EENS6_10device_ptrIsEENSG_IlEEPmS8_NS6_8equal_toIsEEEE10hipError_tPvRmT2_T3_mT4_T5_T6_T7_T8_P12ihipStream_tbENKUlT_T0_E_clISt17integral_constantIbLb1EES13_EEDaSY_SZ_EUlSY_E_NS1_11comp_targetILNS1_3genE10ELNS1_11target_archE1201ELNS1_3gpuE5ELNS1_3repE0EEENS1_30default_config_static_selectorELNS0_4arch9wavefront6targetE1EEEvT1_,comdat
	.protected	_ZN7rocprim17ROCPRIM_400000_NS6detail17trampoline_kernelINS0_14default_configENS1_29reduce_by_key_config_selectorIslN6thrust23THRUST_200600_302600_NS4plusIlEEEEZZNS1_33reduce_by_key_impl_wrapped_configILNS1_25lookback_scan_determinismE0ES3_S9_PsNS6_17constant_iteratorIiNS6_11use_defaultESE_EENS6_10device_ptrIsEENSG_IlEEPmS8_NS6_8equal_toIsEEEE10hipError_tPvRmT2_T3_mT4_T5_T6_T7_T8_P12ihipStream_tbENKUlT_T0_E_clISt17integral_constantIbLb1EES13_EEDaSY_SZ_EUlSY_E_NS1_11comp_targetILNS1_3genE10ELNS1_11target_archE1201ELNS1_3gpuE5ELNS1_3repE0EEENS1_30default_config_static_selectorELNS0_4arch9wavefront6targetE1EEEvT1_ ; -- Begin function _ZN7rocprim17ROCPRIM_400000_NS6detail17trampoline_kernelINS0_14default_configENS1_29reduce_by_key_config_selectorIslN6thrust23THRUST_200600_302600_NS4plusIlEEEEZZNS1_33reduce_by_key_impl_wrapped_configILNS1_25lookback_scan_determinismE0ES3_S9_PsNS6_17constant_iteratorIiNS6_11use_defaultESE_EENS6_10device_ptrIsEENSG_IlEEPmS8_NS6_8equal_toIsEEEE10hipError_tPvRmT2_T3_mT4_T5_T6_T7_T8_P12ihipStream_tbENKUlT_T0_E_clISt17integral_constantIbLb1EES13_EEDaSY_SZ_EUlSY_E_NS1_11comp_targetILNS1_3genE10ELNS1_11target_archE1201ELNS1_3gpuE5ELNS1_3repE0EEENS1_30default_config_static_selectorELNS0_4arch9wavefront6targetE1EEEvT1_
	.globl	_ZN7rocprim17ROCPRIM_400000_NS6detail17trampoline_kernelINS0_14default_configENS1_29reduce_by_key_config_selectorIslN6thrust23THRUST_200600_302600_NS4plusIlEEEEZZNS1_33reduce_by_key_impl_wrapped_configILNS1_25lookback_scan_determinismE0ES3_S9_PsNS6_17constant_iteratorIiNS6_11use_defaultESE_EENS6_10device_ptrIsEENSG_IlEEPmS8_NS6_8equal_toIsEEEE10hipError_tPvRmT2_T3_mT4_T5_T6_T7_T8_P12ihipStream_tbENKUlT_T0_E_clISt17integral_constantIbLb1EES13_EEDaSY_SZ_EUlSY_E_NS1_11comp_targetILNS1_3genE10ELNS1_11target_archE1201ELNS1_3gpuE5ELNS1_3repE0EEENS1_30default_config_static_selectorELNS0_4arch9wavefront6targetE1EEEvT1_
	.p2align	8
	.type	_ZN7rocprim17ROCPRIM_400000_NS6detail17trampoline_kernelINS0_14default_configENS1_29reduce_by_key_config_selectorIslN6thrust23THRUST_200600_302600_NS4plusIlEEEEZZNS1_33reduce_by_key_impl_wrapped_configILNS1_25lookback_scan_determinismE0ES3_S9_PsNS6_17constant_iteratorIiNS6_11use_defaultESE_EENS6_10device_ptrIsEENSG_IlEEPmS8_NS6_8equal_toIsEEEE10hipError_tPvRmT2_T3_mT4_T5_T6_T7_T8_P12ihipStream_tbENKUlT_T0_E_clISt17integral_constantIbLb1EES13_EEDaSY_SZ_EUlSY_E_NS1_11comp_targetILNS1_3genE10ELNS1_11target_archE1201ELNS1_3gpuE5ELNS1_3repE0EEENS1_30default_config_static_selectorELNS0_4arch9wavefront6targetE1EEEvT1_,@function
_ZN7rocprim17ROCPRIM_400000_NS6detail17trampoline_kernelINS0_14default_configENS1_29reduce_by_key_config_selectorIslN6thrust23THRUST_200600_302600_NS4plusIlEEEEZZNS1_33reduce_by_key_impl_wrapped_configILNS1_25lookback_scan_determinismE0ES3_S9_PsNS6_17constant_iteratorIiNS6_11use_defaultESE_EENS6_10device_ptrIsEENSG_IlEEPmS8_NS6_8equal_toIsEEEE10hipError_tPvRmT2_T3_mT4_T5_T6_T7_T8_P12ihipStream_tbENKUlT_T0_E_clISt17integral_constantIbLb1EES13_EEDaSY_SZ_EUlSY_E_NS1_11comp_targetILNS1_3genE10ELNS1_11target_archE1201ELNS1_3gpuE5ELNS1_3repE0EEENS1_30default_config_static_selectorELNS0_4arch9wavefront6targetE1EEEvT1_: ; @_ZN7rocprim17ROCPRIM_400000_NS6detail17trampoline_kernelINS0_14default_configENS1_29reduce_by_key_config_selectorIslN6thrust23THRUST_200600_302600_NS4plusIlEEEEZZNS1_33reduce_by_key_impl_wrapped_configILNS1_25lookback_scan_determinismE0ES3_S9_PsNS6_17constant_iteratorIiNS6_11use_defaultESE_EENS6_10device_ptrIsEENSG_IlEEPmS8_NS6_8equal_toIsEEEE10hipError_tPvRmT2_T3_mT4_T5_T6_T7_T8_P12ihipStream_tbENKUlT_T0_E_clISt17integral_constantIbLb1EES13_EEDaSY_SZ_EUlSY_E_NS1_11comp_targetILNS1_3genE10ELNS1_11target_archE1201ELNS1_3gpuE5ELNS1_3repE0EEENS1_30default_config_static_selectorELNS0_4arch9wavefront6targetE1EEEvT1_
; %bb.0:
	.section	.rodata,"a",@progbits
	.p2align	6, 0x0
	.amdhsa_kernel _ZN7rocprim17ROCPRIM_400000_NS6detail17trampoline_kernelINS0_14default_configENS1_29reduce_by_key_config_selectorIslN6thrust23THRUST_200600_302600_NS4plusIlEEEEZZNS1_33reduce_by_key_impl_wrapped_configILNS1_25lookback_scan_determinismE0ES3_S9_PsNS6_17constant_iteratorIiNS6_11use_defaultESE_EENS6_10device_ptrIsEENSG_IlEEPmS8_NS6_8equal_toIsEEEE10hipError_tPvRmT2_T3_mT4_T5_T6_T7_T8_P12ihipStream_tbENKUlT_T0_E_clISt17integral_constantIbLb1EES13_EEDaSY_SZ_EUlSY_E_NS1_11comp_targetILNS1_3genE10ELNS1_11target_archE1201ELNS1_3gpuE5ELNS1_3repE0EEENS1_30default_config_static_selectorELNS0_4arch9wavefront6targetE1EEEvT1_
		.amdhsa_group_segment_fixed_size 0
		.amdhsa_private_segment_fixed_size 0
		.amdhsa_kernarg_size 144
		.amdhsa_user_sgpr_count 6
		.amdhsa_user_sgpr_private_segment_buffer 1
		.amdhsa_user_sgpr_dispatch_ptr 0
		.amdhsa_user_sgpr_queue_ptr 0
		.amdhsa_user_sgpr_kernarg_segment_ptr 1
		.amdhsa_user_sgpr_dispatch_id 0
		.amdhsa_user_sgpr_flat_scratch_init 0
		.amdhsa_user_sgpr_private_segment_size 0
		.amdhsa_uses_dynamic_stack 0
		.amdhsa_system_sgpr_private_segment_wavefront_offset 0
		.amdhsa_system_sgpr_workgroup_id_x 1
		.amdhsa_system_sgpr_workgroup_id_y 0
		.amdhsa_system_sgpr_workgroup_id_z 0
		.amdhsa_system_sgpr_workgroup_info 0
		.amdhsa_system_vgpr_workitem_id 0
		.amdhsa_next_free_vgpr 1
		.amdhsa_next_free_sgpr 0
		.amdhsa_reserve_vcc 0
		.amdhsa_reserve_flat_scratch 0
		.amdhsa_float_round_mode_32 0
		.amdhsa_float_round_mode_16_64 0
		.amdhsa_float_denorm_mode_32 3
		.amdhsa_float_denorm_mode_16_64 3
		.amdhsa_dx10_clamp 1
		.amdhsa_ieee_mode 1
		.amdhsa_fp16_overflow 0
		.amdhsa_exception_fp_ieee_invalid_op 0
		.amdhsa_exception_fp_denorm_src 0
		.amdhsa_exception_fp_ieee_div_zero 0
		.amdhsa_exception_fp_ieee_overflow 0
		.amdhsa_exception_fp_ieee_underflow 0
		.amdhsa_exception_fp_ieee_inexact 0
		.amdhsa_exception_int_div_zero 0
	.end_amdhsa_kernel
	.section	.text._ZN7rocprim17ROCPRIM_400000_NS6detail17trampoline_kernelINS0_14default_configENS1_29reduce_by_key_config_selectorIslN6thrust23THRUST_200600_302600_NS4plusIlEEEEZZNS1_33reduce_by_key_impl_wrapped_configILNS1_25lookback_scan_determinismE0ES3_S9_PsNS6_17constant_iteratorIiNS6_11use_defaultESE_EENS6_10device_ptrIsEENSG_IlEEPmS8_NS6_8equal_toIsEEEE10hipError_tPvRmT2_T3_mT4_T5_T6_T7_T8_P12ihipStream_tbENKUlT_T0_E_clISt17integral_constantIbLb1EES13_EEDaSY_SZ_EUlSY_E_NS1_11comp_targetILNS1_3genE10ELNS1_11target_archE1201ELNS1_3gpuE5ELNS1_3repE0EEENS1_30default_config_static_selectorELNS0_4arch9wavefront6targetE1EEEvT1_,"axG",@progbits,_ZN7rocprim17ROCPRIM_400000_NS6detail17trampoline_kernelINS0_14default_configENS1_29reduce_by_key_config_selectorIslN6thrust23THRUST_200600_302600_NS4plusIlEEEEZZNS1_33reduce_by_key_impl_wrapped_configILNS1_25lookback_scan_determinismE0ES3_S9_PsNS6_17constant_iteratorIiNS6_11use_defaultESE_EENS6_10device_ptrIsEENSG_IlEEPmS8_NS6_8equal_toIsEEEE10hipError_tPvRmT2_T3_mT4_T5_T6_T7_T8_P12ihipStream_tbENKUlT_T0_E_clISt17integral_constantIbLb1EES13_EEDaSY_SZ_EUlSY_E_NS1_11comp_targetILNS1_3genE10ELNS1_11target_archE1201ELNS1_3gpuE5ELNS1_3repE0EEENS1_30default_config_static_selectorELNS0_4arch9wavefront6targetE1EEEvT1_,comdat
.Lfunc_end1484:
	.size	_ZN7rocprim17ROCPRIM_400000_NS6detail17trampoline_kernelINS0_14default_configENS1_29reduce_by_key_config_selectorIslN6thrust23THRUST_200600_302600_NS4plusIlEEEEZZNS1_33reduce_by_key_impl_wrapped_configILNS1_25lookback_scan_determinismE0ES3_S9_PsNS6_17constant_iteratorIiNS6_11use_defaultESE_EENS6_10device_ptrIsEENSG_IlEEPmS8_NS6_8equal_toIsEEEE10hipError_tPvRmT2_T3_mT4_T5_T6_T7_T8_P12ihipStream_tbENKUlT_T0_E_clISt17integral_constantIbLb1EES13_EEDaSY_SZ_EUlSY_E_NS1_11comp_targetILNS1_3genE10ELNS1_11target_archE1201ELNS1_3gpuE5ELNS1_3repE0EEENS1_30default_config_static_selectorELNS0_4arch9wavefront6targetE1EEEvT1_, .Lfunc_end1484-_ZN7rocprim17ROCPRIM_400000_NS6detail17trampoline_kernelINS0_14default_configENS1_29reduce_by_key_config_selectorIslN6thrust23THRUST_200600_302600_NS4plusIlEEEEZZNS1_33reduce_by_key_impl_wrapped_configILNS1_25lookback_scan_determinismE0ES3_S9_PsNS6_17constant_iteratorIiNS6_11use_defaultESE_EENS6_10device_ptrIsEENSG_IlEEPmS8_NS6_8equal_toIsEEEE10hipError_tPvRmT2_T3_mT4_T5_T6_T7_T8_P12ihipStream_tbENKUlT_T0_E_clISt17integral_constantIbLb1EES13_EEDaSY_SZ_EUlSY_E_NS1_11comp_targetILNS1_3genE10ELNS1_11target_archE1201ELNS1_3gpuE5ELNS1_3repE0EEENS1_30default_config_static_selectorELNS0_4arch9wavefront6targetE1EEEvT1_
                                        ; -- End function
	.set _ZN7rocprim17ROCPRIM_400000_NS6detail17trampoline_kernelINS0_14default_configENS1_29reduce_by_key_config_selectorIslN6thrust23THRUST_200600_302600_NS4plusIlEEEEZZNS1_33reduce_by_key_impl_wrapped_configILNS1_25lookback_scan_determinismE0ES3_S9_PsNS6_17constant_iteratorIiNS6_11use_defaultESE_EENS6_10device_ptrIsEENSG_IlEEPmS8_NS6_8equal_toIsEEEE10hipError_tPvRmT2_T3_mT4_T5_T6_T7_T8_P12ihipStream_tbENKUlT_T0_E_clISt17integral_constantIbLb1EES13_EEDaSY_SZ_EUlSY_E_NS1_11comp_targetILNS1_3genE10ELNS1_11target_archE1201ELNS1_3gpuE5ELNS1_3repE0EEENS1_30default_config_static_selectorELNS0_4arch9wavefront6targetE1EEEvT1_.num_vgpr, 0
	.set _ZN7rocprim17ROCPRIM_400000_NS6detail17trampoline_kernelINS0_14default_configENS1_29reduce_by_key_config_selectorIslN6thrust23THRUST_200600_302600_NS4plusIlEEEEZZNS1_33reduce_by_key_impl_wrapped_configILNS1_25lookback_scan_determinismE0ES3_S9_PsNS6_17constant_iteratorIiNS6_11use_defaultESE_EENS6_10device_ptrIsEENSG_IlEEPmS8_NS6_8equal_toIsEEEE10hipError_tPvRmT2_T3_mT4_T5_T6_T7_T8_P12ihipStream_tbENKUlT_T0_E_clISt17integral_constantIbLb1EES13_EEDaSY_SZ_EUlSY_E_NS1_11comp_targetILNS1_3genE10ELNS1_11target_archE1201ELNS1_3gpuE5ELNS1_3repE0EEENS1_30default_config_static_selectorELNS0_4arch9wavefront6targetE1EEEvT1_.num_agpr, 0
	.set _ZN7rocprim17ROCPRIM_400000_NS6detail17trampoline_kernelINS0_14default_configENS1_29reduce_by_key_config_selectorIslN6thrust23THRUST_200600_302600_NS4plusIlEEEEZZNS1_33reduce_by_key_impl_wrapped_configILNS1_25lookback_scan_determinismE0ES3_S9_PsNS6_17constant_iteratorIiNS6_11use_defaultESE_EENS6_10device_ptrIsEENSG_IlEEPmS8_NS6_8equal_toIsEEEE10hipError_tPvRmT2_T3_mT4_T5_T6_T7_T8_P12ihipStream_tbENKUlT_T0_E_clISt17integral_constantIbLb1EES13_EEDaSY_SZ_EUlSY_E_NS1_11comp_targetILNS1_3genE10ELNS1_11target_archE1201ELNS1_3gpuE5ELNS1_3repE0EEENS1_30default_config_static_selectorELNS0_4arch9wavefront6targetE1EEEvT1_.numbered_sgpr, 0
	.set _ZN7rocprim17ROCPRIM_400000_NS6detail17trampoline_kernelINS0_14default_configENS1_29reduce_by_key_config_selectorIslN6thrust23THRUST_200600_302600_NS4plusIlEEEEZZNS1_33reduce_by_key_impl_wrapped_configILNS1_25lookback_scan_determinismE0ES3_S9_PsNS6_17constant_iteratorIiNS6_11use_defaultESE_EENS6_10device_ptrIsEENSG_IlEEPmS8_NS6_8equal_toIsEEEE10hipError_tPvRmT2_T3_mT4_T5_T6_T7_T8_P12ihipStream_tbENKUlT_T0_E_clISt17integral_constantIbLb1EES13_EEDaSY_SZ_EUlSY_E_NS1_11comp_targetILNS1_3genE10ELNS1_11target_archE1201ELNS1_3gpuE5ELNS1_3repE0EEENS1_30default_config_static_selectorELNS0_4arch9wavefront6targetE1EEEvT1_.num_named_barrier, 0
	.set _ZN7rocprim17ROCPRIM_400000_NS6detail17trampoline_kernelINS0_14default_configENS1_29reduce_by_key_config_selectorIslN6thrust23THRUST_200600_302600_NS4plusIlEEEEZZNS1_33reduce_by_key_impl_wrapped_configILNS1_25lookback_scan_determinismE0ES3_S9_PsNS6_17constant_iteratorIiNS6_11use_defaultESE_EENS6_10device_ptrIsEENSG_IlEEPmS8_NS6_8equal_toIsEEEE10hipError_tPvRmT2_T3_mT4_T5_T6_T7_T8_P12ihipStream_tbENKUlT_T0_E_clISt17integral_constantIbLb1EES13_EEDaSY_SZ_EUlSY_E_NS1_11comp_targetILNS1_3genE10ELNS1_11target_archE1201ELNS1_3gpuE5ELNS1_3repE0EEENS1_30default_config_static_selectorELNS0_4arch9wavefront6targetE1EEEvT1_.private_seg_size, 0
	.set _ZN7rocprim17ROCPRIM_400000_NS6detail17trampoline_kernelINS0_14default_configENS1_29reduce_by_key_config_selectorIslN6thrust23THRUST_200600_302600_NS4plusIlEEEEZZNS1_33reduce_by_key_impl_wrapped_configILNS1_25lookback_scan_determinismE0ES3_S9_PsNS6_17constant_iteratorIiNS6_11use_defaultESE_EENS6_10device_ptrIsEENSG_IlEEPmS8_NS6_8equal_toIsEEEE10hipError_tPvRmT2_T3_mT4_T5_T6_T7_T8_P12ihipStream_tbENKUlT_T0_E_clISt17integral_constantIbLb1EES13_EEDaSY_SZ_EUlSY_E_NS1_11comp_targetILNS1_3genE10ELNS1_11target_archE1201ELNS1_3gpuE5ELNS1_3repE0EEENS1_30default_config_static_selectorELNS0_4arch9wavefront6targetE1EEEvT1_.uses_vcc, 0
	.set _ZN7rocprim17ROCPRIM_400000_NS6detail17trampoline_kernelINS0_14default_configENS1_29reduce_by_key_config_selectorIslN6thrust23THRUST_200600_302600_NS4plusIlEEEEZZNS1_33reduce_by_key_impl_wrapped_configILNS1_25lookback_scan_determinismE0ES3_S9_PsNS6_17constant_iteratorIiNS6_11use_defaultESE_EENS6_10device_ptrIsEENSG_IlEEPmS8_NS6_8equal_toIsEEEE10hipError_tPvRmT2_T3_mT4_T5_T6_T7_T8_P12ihipStream_tbENKUlT_T0_E_clISt17integral_constantIbLb1EES13_EEDaSY_SZ_EUlSY_E_NS1_11comp_targetILNS1_3genE10ELNS1_11target_archE1201ELNS1_3gpuE5ELNS1_3repE0EEENS1_30default_config_static_selectorELNS0_4arch9wavefront6targetE1EEEvT1_.uses_flat_scratch, 0
	.set _ZN7rocprim17ROCPRIM_400000_NS6detail17trampoline_kernelINS0_14default_configENS1_29reduce_by_key_config_selectorIslN6thrust23THRUST_200600_302600_NS4plusIlEEEEZZNS1_33reduce_by_key_impl_wrapped_configILNS1_25lookback_scan_determinismE0ES3_S9_PsNS6_17constant_iteratorIiNS6_11use_defaultESE_EENS6_10device_ptrIsEENSG_IlEEPmS8_NS6_8equal_toIsEEEE10hipError_tPvRmT2_T3_mT4_T5_T6_T7_T8_P12ihipStream_tbENKUlT_T0_E_clISt17integral_constantIbLb1EES13_EEDaSY_SZ_EUlSY_E_NS1_11comp_targetILNS1_3genE10ELNS1_11target_archE1201ELNS1_3gpuE5ELNS1_3repE0EEENS1_30default_config_static_selectorELNS0_4arch9wavefront6targetE1EEEvT1_.has_dyn_sized_stack, 0
	.set _ZN7rocprim17ROCPRIM_400000_NS6detail17trampoline_kernelINS0_14default_configENS1_29reduce_by_key_config_selectorIslN6thrust23THRUST_200600_302600_NS4plusIlEEEEZZNS1_33reduce_by_key_impl_wrapped_configILNS1_25lookback_scan_determinismE0ES3_S9_PsNS6_17constant_iteratorIiNS6_11use_defaultESE_EENS6_10device_ptrIsEENSG_IlEEPmS8_NS6_8equal_toIsEEEE10hipError_tPvRmT2_T3_mT4_T5_T6_T7_T8_P12ihipStream_tbENKUlT_T0_E_clISt17integral_constantIbLb1EES13_EEDaSY_SZ_EUlSY_E_NS1_11comp_targetILNS1_3genE10ELNS1_11target_archE1201ELNS1_3gpuE5ELNS1_3repE0EEENS1_30default_config_static_selectorELNS0_4arch9wavefront6targetE1EEEvT1_.has_recursion, 0
	.set _ZN7rocprim17ROCPRIM_400000_NS6detail17trampoline_kernelINS0_14default_configENS1_29reduce_by_key_config_selectorIslN6thrust23THRUST_200600_302600_NS4plusIlEEEEZZNS1_33reduce_by_key_impl_wrapped_configILNS1_25lookback_scan_determinismE0ES3_S9_PsNS6_17constant_iteratorIiNS6_11use_defaultESE_EENS6_10device_ptrIsEENSG_IlEEPmS8_NS6_8equal_toIsEEEE10hipError_tPvRmT2_T3_mT4_T5_T6_T7_T8_P12ihipStream_tbENKUlT_T0_E_clISt17integral_constantIbLb1EES13_EEDaSY_SZ_EUlSY_E_NS1_11comp_targetILNS1_3genE10ELNS1_11target_archE1201ELNS1_3gpuE5ELNS1_3repE0EEENS1_30default_config_static_selectorELNS0_4arch9wavefront6targetE1EEEvT1_.has_indirect_call, 0
	.section	.AMDGPU.csdata,"",@progbits
; Kernel info:
; codeLenInByte = 0
; TotalNumSgprs: 4
; NumVgprs: 0
; ScratchSize: 0
; MemoryBound: 0
; FloatMode: 240
; IeeeMode: 1
; LDSByteSize: 0 bytes/workgroup (compile time only)
; SGPRBlocks: 0
; VGPRBlocks: 0
; NumSGPRsForWavesPerEU: 4
; NumVGPRsForWavesPerEU: 1
; Occupancy: 10
; WaveLimiterHint : 0
; COMPUTE_PGM_RSRC2:SCRATCH_EN: 0
; COMPUTE_PGM_RSRC2:USER_SGPR: 6
; COMPUTE_PGM_RSRC2:TRAP_HANDLER: 0
; COMPUTE_PGM_RSRC2:TGID_X_EN: 1
; COMPUTE_PGM_RSRC2:TGID_Y_EN: 0
; COMPUTE_PGM_RSRC2:TGID_Z_EN: 0
; COMPUTE_PGM_RSRC2:TIDIG_COMP_CNT: 0
	.section	.text._ZN7rocprim17ROCPRIM_400000_NS6detail17trampoline_kernelINS0_14default_configENS1_29reduce_by_key_config_selectorIslN6thrust23THRUST_200600_302600_NS4plusIlEEEEZZNS1_33reduce_by_key_impl_wrapped_configILNS1_25lookback_scan_determinismE0ES3_S9_PsNS6_17constant_iteratorIiNS6_11use_defaultESE_EENS6_10device_ptrIsEENSG_IlEEPmS8_NS6_8equal_toIsEEEE10hipError_tPvRmT2_T3_mT4_T5_T6_T7_T8_P12ihipStream_tbENKUlT_T0_E_clISt17integral_constantIbLb1EES13_EEDaSY_SZ_EUlSY_E_NS1_11comp_targetILNS1_3genE10ELNS1_11target_archE1200ELNS1_3gpuE4ELNS1_3repE0EEENS1_30default_config_static_selectorELNS0_4arch9wavefront6targetE1EEEvT1_,"axG",@progbits,_ZN7rocprim17ROCPRIM_400000_NS6detail17trampoline_kernelINS0_14default_configENS1_29reduce_by_key_config_selectorIslN6thrust23THRUST_200600_302600_NS4plusIlEEEEZZNS1_33reduce_by_key_impl_wrapped_configILNS1_25lookback_scan_determinismE0ES3_S9_PsNS6_17constant_iteratorIiNS6_11use_defaultESE_EENS6_10device_ptrIsEENSG_IlEEPmS8_NS6_8equal_toIsEEEE10hipError_tPvRmT2_T3_mT4_T5_T6_T7_T8_P12ihipStream_tbENKUlT_T0_E_clISt17integral_constantIbLb1EES13_EEDaSY_SZ_EUlSY_E_NS1_11comp_targetILNS1_3genE10ELNS1_11target_archE1200ELNS1_3gpuE4ELNS1_3repE0EEENS1_30default_config_static_selectorELNS0_4arch9wavefront6targetE1EEEvT1_,comdat
	.protected	_ZN7rocprim17ROCPRIM_400000_NS6detail17trampoline_kernelINS0_14default_configENS1_29reduce_by_key_config_selectorIslN6thrust23THRUST_200600_302600_NS4plusIlEEEEZZNS1_33reduce_by_key_impl_wrapped_configILNS1_25lookback_scan_determinismE0ES3_S9_PsNS6_17constant_iteratorIiNS6_11use_defaultESE_EENS6_10device_ptrIsEENSG_IlEEPmS8_NS6_8equal_toIsEEEE10hipError_tPvRmT2_T3_mT4_T5_T6_T7_T8_P12ihipStream_tbENKUlT_T0_E_clISt17integral_constantIbLb1EES13_EEDaSY_SZ_EUlSY_E_NS1_11comp_targetILNS1_3genE10ELNS1_11target_archE1200ELNS1_3gpuE4ELNS1_3repE0EEENS1_30default_config_static_selectorELNS0_4arch9wavefront6targetE1EEEvT1_ ; -- Begin function _ZN7rocprim17ROCPRIM_400000_NS6detail17trampoline_kernelINS0_14default_configENS1_29reduce_by_key_config_selectorIslN6thrust23THRUST_200600_302600_NS4plusIlEEEEZZNS1_33reduce_by_key_impl_wrapped_configILNS1_25lookback_scan_determinismE0ES3_S9_PsNS6_17constant_iteratorIiNS6_11use_defaultESE_EENS6_10device_ptrIsEENSG_IlEEPmS8_NS6_8equal_toIsEEEE10hipError_tPvRmT2_T3_mT4_T5_T6_T7_T8_P12ihipStream_tbENKUlT_T0_E_clISt17integral_constantIbLb1EES13_EEDaSY_SZ_EUlSY_E_NS1_11comp_targetILNS1_3genE10ELNS1_11target_archE1200ELNS1_3gpuE4ELNS1_3repE0EEENS1_30default_config_static_selectorELNS0_4arch9wavefront6targetE1EEEvT1_
	.globl	_ZN7rocprim17ROCPRIM_400000_NS6detail17trampoline_kernelINS0_14default_configENS1_29reduce_by_key_config_selectorIslN6thrust23THRUST_200600_302600_NS4plusIlEEEEZZNS1_33reduce_by_key_impl_wrapped_configILNS1_25lookback_scan_determinismE0ES3_S9_PsNS6_17constant_iteratorIiNS6_11use_defaultESE_EENS6_10device_ptrIsEENSG_IlEEPmS8_NS6_8equal_toIsEEEE10hipError_tPvRmT2_T3_mT4_T5_T6_T7_T8_P12ihipStream_tbENKUlT_T0_E_clISt17integral_constantIbLb1EES13_EEDaSY_SZ_EUlSY_E_NS1_11comp_targetILNS1_3genE10ELNS1_11target_archE1200ELNS1_3gpuE4ELNS1_3repE0EEENS1_30default_config_static_selectorELNS0_4arch9wavefront6targetE1EEEvT1_
	.p2align	8
	.type	_ZN7rocprim17ROCPRIM_400000_NS6detail17trampoline_kernelINS0_14default_configENS1_29reduce_by_key_config_selectorIslN6thrust23THRUST_200600_302600_NS4plusIlEEEEZZNS1_33reduce_by_key_impl_wrapped_configILNS1_25lookback_scan_determinismE0ES3_S9_PsNS6_17constant_iteratorIiNS6_11use_defaultESE_EENS6_10device_ptrIsEENSG_IlEEPmS8_NS6_8equal_toIsEEEE10hipError_tPvRmT2_T3_mT4_T5_T6_T7_T8_P12ihipStream_tbENKUlT_T0_E_clISt17integral_constantIbLb1EES13_EEDaSY_SZ_EUlSY_E_NS1_11comp_targetILNS1_3genE10ELNS1_11target_archE1200ELNS1_3gpuE4ELNS1_3repE0EEENS1_30default_config_static_selectorELNS0_4arch9wavefront6targetE1EEEvT1_,@function
_ZN7rocprim17ROCPRIM_400000_NS6detail17trampoline_kernelINS0_14default_configENS1_29reduce_by_key_config_selectorIslN6thrust23THRUST_200600_302600_NS4plusIlEEEEZZNS1_33reduce_by_key_impl_wrapped_configILNS1_25lookback_scan_determinismE0ES3_S9_PsNS6_17constant_iteratorIiNS6_11use_defaultESE_EENS6_10device_ptrIsEENSG_IlEEPmS8_NS6_8equal_toIsEEEE10hipError_tPvRmT2_T3_mT4_T5_T6_T7_T8_P12ihipStream_tbENKUlT_T0_E_clISt17integral_constantIbLb1EES13_EEDaSY_SZ_EUlSY_E_NS1_11comp_targetILNS1_3genE10ELNS1_11target_archE1200ELNS1_3gpuE4ELNS1_3repE0EEENS1_30default_config_static_selectorELNS0_4arch9wavefront6targetE1EEEvT1_: ; @_ZN7rocprim17ROCPRIM_400000_NS6detail17trampoline_kernelINS0_14default_configENS1_29reduce_by_key_config_selectorIslN6thrust23THRUST_200600_302600_NS4plusIlEEEEZZNS1_33reduce_by_key_impl_wrapped_configILNS1_25lookback_scan_determinismE0ES3_S9_PsNS6_17constant_iteratorIiNS6_11use_defaultESE_EENS6_10device_ptrIsEENSG_IlEEPmS8_NS6_8equal_toIsEEEE10hipError_tPvRmT2_T3_mT4_T5_T6_T7_T8_P12ihipStream_tbENKUlT_T0_E_clISt17integral_constantIbLb1EES13_EEDaSY_SZ_EUlSY_E_NS1_11comp_targetILNS1_3genE10ELNS1_11target_archE1200ELNS1_3gpuE4ELNS1_3repE0EEENS1_30default_config_static_selectorELNS0_4arch9wavefront6targetE1EEEvT1_
; %bb.0:
	.section	.rodata,"a",@progbits
	.p2align	6, 0x0
	.amdhsa_kernel _ZN7rocprim17ROCPRIM_400000_NS6detail17trampoline_kernelINS0_14default_configENS1_29reduce_by_key_config_selectorIslN6thrust23THRUST_200600_302600_NS4plusIlEEEEZZNS1_33reduce_by_key_impl_wrapped_configILNS1_25lookback_scan_determinismE0ES3_S9_PsNS6_17constant_iteratorIiNS6_11use_defaultESE_EENS6_10device_ptrIsEENSG_IlEEPmS8_NS6_8equal_toIsEEEE10hipError_tPvRmT2_T3_mT4_T5_T6_T7_T8_P12ihipStream_tbENKUlT_T0_E_clISt17integral_constantIbLb1EES13_EEDaSY_SZ_EUlSY_E_NS1_11comp_targetILNS1_3genE10ELNS1_11target_archE1200ELNS1_3gpuE4ELNS1_3repE0EEENS1_30default_config_static_selectorELNS0_4arch9wavefront6targetE1EEEvT1_
		.amdhsa_group_segment_fixed_size 0
		.amdhsa_private_segment_fixed_size 0
		.amdhsa_kernarg_size 144
		.amdhsa_user_sgpr_count 6
		.amdhsa_user_sgpr_private_segment_buffer 1
		.amdhsa_user_sgpr_dispatch_ptr 0
		.amdhsa_user_sgpr_queue_ptr 0
		.amdhsa_user_sgpr_kernarg_segment_ptr 1
		.amdhsa_user_sgpr_dispatch_id 0
		.amdhsa_user_sgpr_flat_scratch_init 0
		.amdhsa_user_sgpr_private_segment_size 0
		.amdhsa_uses_dynamic_stack 0
		.amdhsa_system_sgpr_private_segment_wavefront_offset 0
		.amdhsa_system_sgpr_workgroup_id_x 1
		.amdhsa_system_sgpr_workgroup_id_y 0
		.amdhsa_system_sgpr_workgroup_id_z 0
		.amdhsa_system_sgpr_workgroup_info 0
		.amdhsa_system_vgpr_workitem_id 0
		.amdhsa_next_free_vgpr 1
		.amdhsa_next_free_sgpr 0
		.amdhsa_reserve_vcc 0
		.amdhsa_reserve_flat_scratch 0
		.amdhsa_float_round_mode_32 0
		.amdhsa_float_round_mode_16_64 0
		.amdhsa_float_denorm_mode_32 3
		.amdhsa_float_denorm_mode_16_64 3
		.amdhsa_dx10_clamp 1
		.amdhsa_ieee_mode 1
		.amdhsa_fp16_overflow 0
		.amdhsa_exception_fp_ieee_invalid_op 0
		.amdhsa_exception_fp_denorm_src 0
		.amdhsa_exception_fp_ieee_div_zero 0
		.amdhsa_exception_fp_ieee_overflow 0
		.amdhsa_exception_fp_ieee_underflow 0
		.amdhsa_exception_fp_ieee_inexact 0
		.amdhsa_exception_int_div_zero 0
	.end_amdhsa_kernel
	.section	.text._ZN7rocprim17ROCPRIM_400000_NS6detail17trampoline_kernelINS0_14default_configENS1_29reduce_by_key_config_selectorIslN6thrust23THRUST_200600_302600_NS4plusIlEEEEZZNS1_33reduce_by_key_impl_wrapped_configILNS1_25lookback_scan_determinismE0ES3_S9_PsNS6_17constant_iteratorIiNS6_11use_defaultESE_EENS6_10device_ptrIsEENSG_IlEEPmS8_NS6_8equal_toIsEEEE10hipError_tPvRmT2_T3_mT4_T5_T6_T7_T8_P12ihipStream_tbENKUlT_T0_E_clISt17integral_constantIbLb1EES13_EEDaSY_SZ_EUlSY_E_NS1_11comp_targetILNS1_3genE10ELNS1_11target_archE1200ELNS1_3gpuE4ELNS1_3repE0EEENS1_30default_config_static_selectorELNS0_4arch9wavefront6targetE1EEEvT1_,"axG",@progbits,_ZN7rocprim17ROCPRIM_400000_NS6detail17trampoline_kernelINS0_14default_configENS1_29reduce_by_key_config_selectorIslN6thrust23THRUST_200600_302600_NS4plusIlEEEEZZNS1_33reduce_by_key_impl_wrapped_configILNS1_25lookback_scan_determinismE0ES3_S9_PsNS6_17constant_iteratorIiNS6_11use_defaultESE_EENS6_10device_ptrIsEENSG_IlEEPmS8_NS6_8equal_toIsEEEE10hipError_tPvRmT2_T3_mT4_T5_T6_T7_T8_P12ihipStream_tbENKUlT_T0_E_clISt17integral_constantIbLb1EES13_EEDaSY_SZ_EUlSY_E_NS1_11comp_targetILNS1_3genE10ELNS1_11target_archE1200ELNS1_3gpuE4ELNS1_3repE0EEENS1_30default_config_static_selectorELNS0_4arch9wavefront6targetE1EEEvT1_,comdat
.Lfunc_end1485:
	.size	_ZN7rocprim17ROCPRIM_400000_NS6detail17trampoline_kernelINS0_14default_configENS1_29reduce_by_key_config_selectorIslN6thrust23THRUST_200600_302600_NS4plusIlEEEEZZNS1_33reduce_by_key_impl_wrapped_configILNS1_25lookback_scan_determinismE0ES3_S9_PsNS6_17constant_iteratorIiNS6_11use_defaultESE_EENS6_10device_ptrIsEENSG_IlEEPmS8_NS6_8equal_toIsEEEE10hipError_tPvRmT2_T3_mT4_T5_T6_T7_T8_P12ihipStream_tbENKUlT_T0_E_clISt17integral_constantIbLb1EES13_EEDaSY_SZ_EUlSY_E_NS1_11comp_targetILNS1_3genE10ELNS1_11target_archE1200ELNS1_3gpuE4ELNS1_3repE0EEENS1_30default_config_static_selectorELNS0_4arch9wavefront6targetE1EEEvT1_, .Lfunc_end1485-_ZN7rocprim17ROCPRIM_400000_NS6detail17trampoline_kernelINS0_14default_configENS1_29reduce_by_key_config_selectorIslN6thrust23THRUST_200600_302600_NS4plusIlEEEEZZNS1_33reduce_by_key_impl_wrapped_configILNS1_25lookback_scan_determinismE0ES3_S9_PsNS6_17constant_iteratorIiNS6_11use_defaultESE_EENS6_10device_ptrIsEENSG_IlEEPmS8_NS6_8equal_toIsEEEE10hipError_tPvRmT2_T3_mT4_T5_T6_T7_T8_P12ihipStream_tbENKUlT_T0_E_clISt17integral_constantIbLb1EES13_EEDaSY_SZ_EUlSY_E_NS1_11comp_targetILNS1_3genE10ELNS1_11target_archE1200ELNS1_3gpuE4ELNS1_3repE0EEENS1_30default_config_static_selectorELNS0_4arch9wavefront6targetE1EEEvT1_
                                        ; -- End function
	.set _ZN7rocprim17ROCPRIM_400000_NS6detail17trampoline_kernelINS0_14default_configENS1_29reduce_by_key_config_selectorIslN6thrust23THRUST_200600_302600_NS4plusIlEEEEZZNS1_33reduce_by_key_impl_wrapped_configILNS1_25lookback_scan_determinismE0ES3_S9_PsNS6_17constant_iteratorIiNS6_11use_defaultESE_EENS6_10device_ptrIsEENSG_IlEEPmS8_NS6_8equal_toIsEEEE10hipError_tPvRmT2_T3_mT4_T5_T6_T7_T8_P12ihipStream_tbENKUlT_T0_E_clISt17integral_constantIbLb1EES13_EEDaSY_SZ_EUlSY_E_NS1_11comp_targetILNS1_3genE10ELNS1_11target_archE1200ELNS1_3gpuE4ELNS1_3repE0EEENS1_30default_config_static_selectorELNS0_4arch9wavefront6targetE1EEEvT1_.num_vgpr, 0
	.set _ZN7rocprim17ROCPRIM_400000_NS6detail17trampoline_kernelINS0_14default_configENS1_29reduce_by_key_config_selectorIslN6thrust23THRUST_200600_302600_NS4plusIlEEEEZZNS1_33reduce_by_key_impl_wrapped_configILNS1_25lookback_scan_determinismE0ES3_S9_PsNS6_17constant_iteratorIiNS6_11use_defaultESE_EENS6_10device_ptrIsEENSG_IlEEPmS8_NS6_8equal_toIsEEEE10hipError_tPvRmT2_T3_mT4_T5_T6_T7_T8_P12ihipStream_tbENKUlT_T0_E_clISt17integral_constantIbLb1EES13_EEDaSY_SZ_EUlSY_E_NS1_11comp_targetILNS1_3genE10ELNS1_11target_archE1200ELNS1_3gpuE4ELNS1_3repE0EEENS1_30default_config_static_selectorELNS0_4arch9wavefront6targetE1EEEvT1_.num_agpr, 0
	.set _ZN7rocprim17ROCPRIM_400000_NS6detail17trampoline_kernelINS0_14default_configENS1_29reduce_by_key_config_selectorIslN6thrust23THRUST_200600_302600_NS4plusIlEEEEZZNS1_33reduce_by_key_impl_wrapped_configILNS1_25lookback_scan_determinismE0ES3_S9_PsNS6_17constant_iteratorIiNS6_11use_defaultESE_EENS6_10device_ptrIsEENSG_IlEEPmS8_NS6_8equal_toIsEEEE10hipError_tPvRmT2_T3_mT4_T5_T6_T7_T8_P12ihipStream_tbENKUlT_T0_E_clISt17integral_constantIbLb1EES13_EEDaSY_SZ_EUlSY_E_NS1_11comp_targetILNS1_3genE10ELNS1_11target_archE1200ELNS1_3gpuE4ELNS1_3repE0EEENS1_30default_config_static_selectorELNS0_4arch9wavefront6targetE1EEEvT1_.numbered_sgpr, 0
	.set _ZN7rocprim17ROCPRIM_400000_NS6detail17trampoline_kernelINS0_14default_configENS1_29reduce_by_key_config_selectorIslN6thrust23THRUST_200600_302600_NS4plusIlEEEEZZNS1_33reduce_by_key_impl_wrapped_configILNS1_25lookback_scan_determinismE0ES3_S9_PsNS6_17constant_iteratorIiNS6_11use_defaultESE_EENS6_10device_ptrIsEENSG_IlEEPmS8_NS6_8equal_toIsEEEE10hipError_tPvRmT2_T3_mT4_T5_T6_T7_T8_P12ihipStream_tbENKUlT_T0_E_clISt17integral_constantIbLb1EES13_EEDaSY_SZ_EUlSY_E_NS1_11comp_targetILNS1_3genE10ELNS1_11target_archE1200ELNS1_3gpuE4ELNS1_3repE0EEENS1_30default_config_static_selectorELNS0_4arch9wavefront6targetE1EEEvT1_.num_named_barrier, 0
	.set _ZN7rocprim17ROCPRIM_400000_NS6detail17trampoline_kernelINS0_14default_configENS1_29reduce_by_key_config_selectorIslN6thrust23THRUST_200600_302600_NS4plusIlEEEEZZNS1_33reduce_by_key_impl_wrapped_configILNS1_25lookback_scan_determinismE0ES3_S9_PsNS6_17constant_iteratorIiNS6_11use_defaultESE_EENS6_10device_ptrIsEENSG_IlEEPmS8_NS6_8equal_toIsEEEE10hipError_tPvRmT2_T3_mT4_T5_T6_T7_T8_P12ihipStream_tbENKUlT_T0_E_clISt17integral_constantIbLb1EES13_EEDaSY_SZ_EUlSY_E_NS1_11comp_targetILNS1_3genE10ELNS1_11target_archE1200ELNS1_3gpuE4ELNS1_3repE0EEENS1_30default_config_static_selectorELNS0_4arch9wavefront6targetE1EEEvT1_.private_seg_size, 0
	.set _ZN7rocprim17ROCPRIM_400000_NS6detail17trampoline_kernelINS0_14default_configENS1_29reduce_by_key_config_selectorIslN6thrust23THRUST_200600_302600_NS4plusIlEEEEZZNS1_33reduce_by_key_impl_wrapped_configILNS1_25lookback_scan_determinismE0ES3_S9_PsNS6_17constant_iteratorIiNS6_11use_defaultESE_EENS6_10device_ptrIsEENSG_IlEEPmS8_NS6_8equal_toIsEEEE10hipError_tPvRmT2_T3_mT4_T5_T6_T7_T8_P12ihipStream_tbENKUlT_T0_E_clISt17integral_constantIbLb1EES13_EEDaSY_SZ_EUlSY_E_NS1_11comp_targetILNS1_3genE10ELNS1_11target_archE1200ELNS1_3gpuE4ELNS1_3repE0EEENS1_30default_config_static_selectorELNS0_4arch9wavefront6targetE1EEEvT1_.uses_vcc, 0
	.set _ZN7rocprim17ROCPRIM_400000_NS6detail17trampoline_kernelINS0_14default_configENS1_29reduce_by_key_config_selectorIslN6thrust23THRUST_200600_302600_NS4plusIlEEEEZZNS1_33reduce_by_key_impl_wrapped_configILNS1_25lookback_scan_determinismE0ES3_S9_PsNS6_17constant_iteratorIiNS6_11use_defaultESE_EENS6_10device_ptrIsEENSG_IlEEPmS8_NS6_8equal_toIsEEEE10hipError_tPvRmT2_T3_mT4_T5_T6_T7_T8_P12ihipStream_tbENKUlT_T0_E_clISt17integral_constantIbLb1EES13_EEDaSY_SZ_EUlSY_E_NS1_11comp_targetILNS1_3genE10ELNS1_11target_archE1200ELNS1_3gpuE4ELNS1_3repE0EEENS1_30default_config_static_selectorELNS0_4arch9wavefront6targetE1EEEvT1_.uses_flat_scratch, 0
	.set _ZN7rocprim17ROCPRIM_400000_NS6detail17trampoline_kernelINS0_14default_configENS1_29reduce_by_key_config_selectorIslN6thrust23THRUST_200600_302600_NS4plusIlEEEEZZNS1_33reduce_by_key_impl_wrapped_configILNS1_25lookback_scan_determinismE0ES3_S9_PsNS6_17constant_iteratorIiNS6_11use_defaultESE_EENS6_10device_ptrIsEENSG_IlEEPmS8_NS6_8equal_toIsEEEE10hipError_tPvRmT2_T3_mT4_T5_T6_T7_T8_P12ihipStream_tbENKUlT_T0_E_clISt17integral_constantIbLb1EES13_EEDaSY_SZ_EUlSY_E_NS1_11comp_targetILNS1_3genE10ELNS1_11target_archE1200ELNS1_3gpuE4ELNS1_3repE0EEENS1_30default_config_static_selectorELNS0_4arch9wavefront6targetE1EEEvT1_.has_dyn_sized_stack, 0
	.set _ZN7rocprim17ROCPRIM_400000_NS6detail17trampoline_kernelINS0_14default_configENS1_29reduce_by_key_config_selectorIslN6thrust23THRUST_200600_302600_NS4plusIlEEEEZZNS1_33reduce_by_key_impl_wrapped_configILNS1_25lookback_scan_determinismE0ES3_S9_PsNS6_17constant_iteratorIiNS6_11use_defaultESE_EENS6_10device_ptrIsEENSG_IlEEPmS8_NS6_8equal_toIsEEEE10hipError_tPvRmT2_T3_mT4_T5_T6_T7_T8_P12ihipStream_tbENKUlT_T0_E_clISt17integral_constantIbLb1EES13_EEDaSY_SZ_EUlSY_E_NS1_11comp_targetILNS1_3genE10ELNS1_11target_archE1200ELNS1_3gpuE4ELNS1_3repE0EEENS1_30default_config_static_selectorELNS0_4arch9wavefront6targetE1EEEvT1_.has_recursion, 0
	.set _ZN7rocprim17ROCPRIM_400000_NS6detail17trampoline_kernelINS0_14default_configENS1_29reduce_by_key_config_selectorIslN6thrust23THRUST_200600_302600_NS4plusIlEEEEZZNS1_33reduce_by_key_impl_wrapped_configILNS1_25lookback_scan_determinismE0ES3_S9_PsNS6_17constant_iteratorIiNS6_11use_defaultESE_EENS6_10device_ptrIsEENSG_IlEEPmS8_NS6_8equal_toIsEEEE10hipError_tPvRmT2_T3_mT4_T5_T6_T7_T8_P12ihipStream_tbENKUlT_T0_E_clISt17integral_constantIbLb1EES13_EEDaSY_SZ_EUlSY_E_NS1_11comp_targetILNS1_3genE10ELNS1_11target_archE1200ELNS1_3gpuE4ELNS1_3repE0EEENS1_30default_config_static_selectorELNS0_4arch9wavefront6targetE1EEEvT1_.has_indirect_call, 0
	.section	.AMDGPU.csdata,"",@progbits
; Kernel info:
; codeLenInByte = 0
; TotalNumSgprs: 4
; NumVgprs: 0
; ScratchSize: 0
; MemoryBound: 0
; FloatMode: 240
; IeeeMode: 1
; LDSByteSize: 0 bytes/workgroup (compile time only)
; SGPRBlocks: 0
; VGPRBlocks: 0
; NumSGPRsForWavesPerEU: 4
; NumVGPRsForWavesPerEU: 1
; Occupancy: 10
; WaveLimiterHint : 0
; COMPUTE_PGM_RSRC2:SCRATCH_EN: 0
; COMPUTE_PGM_RSRC2:USER_SGPR: 6
; COMPUTE_PGM_RSRC2:TRAP_HANDLER: 0
; COMPUTE_PGM_RSRC2:TGID_X_EN: 1
; COMPUTE_PGM_RSRC2:TGID_Y_EN: 0
; COMPUTE_PGM_RSRC2:TGID_Z_EN: 0
; COMPUTE_PGM_RSRC2:TIDIG_COMP_CNT: 0
	.section	.text._ZN7rocprim17ROCPRIM_400000_NS6detail17trampoline_kernelINS0_14default_configENS1_29reduce_by_key_config_selectorIslN6thrust23THRUST_200600_302600_NS4plusIlEEEEZZNS1_33reduce_by_key_impl_wrapped_configILNS1_25lookback_scan_determinismE0ES3_S9_PsNS6_17constant_iteratorIiNS6_11use_defaultESE_EENS6_10device_ptrIsEENSG_IlEEPmS8_NS6_8equal_toIsEEEE10hipError_tPvRmT2_T3_mT4_T5_T6_T7_T8_P12ihipStream_tbENKUlT_T0_E_clISt17integral_constantIbLb1EES13_EEDaSY_SZ_EUlSY_E_NS1_11comp_targetILNS1_3genE9ELNS1_11target_archE1100ELNS1_3gpuE3ELNS1_3repE0EEENS1_30default_config_static_selectorELNS0_4arch9wavefront6targetE1EEEvT1_,"axG",@progbits,_ZN7rocprim17ROCPRIM_400000_NS6detail17trampoline_kernelINS0_14default_configENS1_29reduce_by_key_config_selectorIslN6thrust23THRUST_200600_302600_NS4plusIlEEEEZZNS1_33reduce_by_key_impl_wrapped_configILNS1_25lookback_scan_determinismE0ES3_S9_PsNS6_17constant_iteratorIiNS6_11use_defaultESE_EENS6_10device_ptrIsEENSG_IlEEPmS8_NS6_8equal_toIsEEEE10hipError_tPvRmT2_T3_mT4_T5_T6_T7_T8_P12ihipStream_tbENKUlT_T0_E_clISt17integral_constantIbLb1EES13_EEDaSY_SZ_EUlSY_E_NS1_11comp_targetILNS1_3genE9ELNS1_11target_archE1100ELNS1_3gpuE3ELNS1_3repE0EEENS1_30default_config_static_selectorELNS0_4arch9wavefront6targetE1EEEvT1_,comdat
	.protected	_ZN7rocprim17ROCPRIM_400000_NS6detail17trampoline_kernelINS0_14default_configENS1_29reduce_by_key_config_selectorIslN6thrust23THRUST_200600_302600_NS4plusIlEEEEZZNS1_33reduce_by_key_impl_wrapped_configILNS1_25lookback_scan_determinismE0ES3_S9_PsNS6_17constant_iteratorIiNS6_11use_defaultESE_EENS6_10device_ptrIsEENSG_IlEEPmS8_NS6_8equal_toIsEEEE10hipError_tPvRmT2_T3_mT4_T5_T6_T7_T8_P12ihipStream_tbENKUlT_T0_E_clISt17integral_constantIbLb1EES13_EEDaSY_SZ_EUlSY_E_NS1_11comp_targetILNS1_3genE9ELNS1_11target_archE1100ELNS1_3gpuE3ELNS1_3repE0EEENS1_30default_config_static_selectorELNS0_4arch9wavefront6targetE1EEEvT1_ ; -- Begin function _ZN7rocprim17ROCPRIM_400000_NS6detail17trampoline_kernelINS0_14default_configENS1_29reduce_by_key_config_selectorIslN6thrust23THRUST_200600_302600_NS4plusIlEEEEZZNS1_33reduce_by_key_impl_wrapped_configILNS1_25lookback_scan_determinismE0ES3_S9_PsNS6_17constant_iteratorIiNS6_11use_defaultESE_EENS6_10device_ptrIsEENSG_IlEEPmS8_NS6_8equal_toIsEEEE10hipError_tPvRmT2_T3_mT4_T5_T6_T7_T8_P12ihipStream_tbENKUlT_T0_E_clISt17integral_constantIbLb1EES13_EEDaSY_SZ_EUlSY_E_NS1_11comp_targetILNS1_3genE9ELNS1_11target_archE1100ELNS1_3gpuE3ELNS1_3repE0EEENS1_30default_config_static_selectorELNS0_4arch9wavefront6targetE1EEEvT1_
	.globl	_ZN7rocprim17ROCPRIM_400000_NS6detail17trampoline_kernelINS0_14default_configENS1_29reduce_by_key_config_selectorIslN6thrust23THRUST_200600_302600_NS4plusIlEEEEZZNS1_33reduce_by_key_impl_wrapped_configILNS1_25lookback_scan_determinismE0ES3_S9_PsNS6_17constant_iteratorIiNS6_11use_defaultESE_EENS6_10device_ptrIsEENSG_IlEEPmS8_NS6_8equal_toIsEEEE10hipError_tPvRmT2_T3_mT4_T5_T6_T7_T8_P12ihipStream_tbENKUlT_T0_E_clISt17integral_constantIbLb1EES13_EEDaSY_SZ_EUlSY_E_NS1_11comp_targetILNS1_3genE9ELNS1_11target_archE1100ELNS1_3gpuE3ELNS1_3repE0EEENS1_30default_config_static_selectorELNS0_4arch9wavefront6targetE1EEEvT1_
	.p2align	8
	.type	_ZN7rocprim17ROCPRIM_400000_NS6detail17trampoline_kernelINS0_14default_configENS1_29reduce_by_key_config_selectorIslN6thrust23THRUST_200600_302600_NS4plusIlEEEEZZNS1_33reduce_by_key_impl_wrapped_configILNS1_25lookback_scan_determinismE0ES3_S9_PsNS6_17constant_iteratorIiNS6_11use_defaultESE_EENS6_10device_ptrIsEENSG_IlEEPmS8_NS6_8equal_toIsEEEE10hipError_tPvRmT2_T3_mT4_T5_T6_T7_T8_P12ihipStream_tbENKUlT_T0_E_clISt17integral_constantIbLb1EES13_EEDaSY_SZ_EUlSY_E_NS1_11comp_targetILNS1_3genE9ELNS1_11target_archE1100ELNS1_3gpuE3ELNS1_3repE0EEENS1_30default_config_static_selectorELNS0_4arch9wavefront6targetE1EEEvT1_,@function
_ZN7rocprim17ROCPRIM_400000_NS6detail17trampoline_kernelINS0_14default_configENS1_29reduce_by_key_config_selectorIslN6thrust23THRUST_200600_302600_NS4plusIlEEEEZZNS1_33reduce_by_key_impl_wrapped_configILNS1_25lookback_scan_determinismE0ES3_S9_PsNS6_17constant_iteratorIiNS6_11use_defaultESE_EENS6_10device_ptrIsEENSG_IlEEPmS8_NS6_8equal_toIsEEEE10hipError_tPvRmT2_T3_mT4_T5_T6_T7_T8_P12ihipStream_tbENKUlT_T0_E_clISt17integral_constantIbLb1EES13_EEDaSY_SZ_EUlSY_E_NS1_11comp_targetILNS1_3genE9ELNS1_11target_archE1100ELNS1_3gpuE3ELNS1_3repE0EEENS1_30default_config_static_selectorELNS0_4arch9wavefront6targetE1EEEvT1_: ; @_ZN7rocprim17ROCPRIM_400000_NS6detail17trampoline_kernelINS0_14default_configENS1_29reduce_by_key_config_selectorIslN6thrust23THRUST_200600_302600_NS4plusIlEEEEZZNS1_33reduce_by_key_impl_wrapped_configILNS1_25lookback_scan_determinismE0ES3_S9_PsNS6_17constant_iteratorIiNS6_11use_defaultESE_EENS6_10device_ptrIsEENSG_IlEEPmS8_NS6_8equal_toIsEEEE10hipError_tPvRmT2_T3_mT4_T5_T6_T7_T8_P12ihipStream_tbENKUlT_T0_E_clISt17integral_constantIbLb1EES13_EEDaSY_SZ_EUlSY_E_NS1_11comp_targetILNS1_3genE9ELNS1_11target_archE1100ELNS1_3gpuE3ELNS1_3repE0EEENS1_30default_config_static_selectorELNS0_4arch9wavefront6targetE1EEEvT1_
; %bb.0:
	.section	.rodata,"a",@progbits
	.p2align	6, 0x0
	.amdhsa_kernel _ZN7rocprim17ROCPRIM_400000_NS6detail17trampoline_kernelINS0_14default_configENS1_29reduce_by_key_config_selectorIslN6thrust23THRUST_200600_302600_NS4plusIlEEEEZZNS1_33reduce_by_key_impl_wrapped_configILNS1_25lookback_scan_determinismE0ES3_S9_PsNS6_17constant_iteratorIiNS6_11use_defaultESE_EENS6_10device_ptrIsEENSG_IlEEPmS8_NS6_8equal_toIsEEEE10hipError_tPvRmT2_T3_mT4_T5_T6_T7_T8_P12ihipStream_tbENKUlT_T0_E_clISt17integral_constantIbLb1EES13_EEDaSY_SZ_EUlSY_E_NS1_11comp_targetILNS1_3genE9ELNS1_11target_archE1100ELNS1_3gpuE3ELNS1_3repE0EEENS1_30default_config_static_selectorELNS0_4arch9wavefront6targetE1EEEvT1_
		.amdhsa_group_segment_fixed_size 0
		.amdhsa_private_segment_fixed_size 0
		.amdhsa_kernarg_size 144
		.amdhsa_user_sgpr_count 6
		.amdhsa_user_sgpr_private_segment_buffer 1
		.amdhsa_user_sgpr_dispatch_ptr 0
		.amdhsa_user_sgpr_queue_ptr 0
		.amdhsa_user_sgpr_kernarg_segment_ptr 1
		.amdhsa_user_sgpr_dispatch_id 0
		.amdhsa_user_sgpr_flat_scratch_init 0
		.amdhsa_user_sgpr_private_segment_size 0
		.amdhsa_uses_dynamic_stack 0
		.amdhsa_system_sgpr_private_segment_wavefront_offset 0
		.amdhsa_system_sgpr_workgroup_id_x 1
		.amdhsa_system_sgpr_workgroup_id_y 0
		.amdhsa_system_sgpr_workgroup_id_z 0
		.amdhsa_system_sgpr_workgroup_info 0
		.amdhsa_system_vgpr_workitem_id 0
		.amdhsa_next_free_vgpr 1
		.amdhsa_next_free_sgpr 0
		.amdhsa_reserve_vcc 0
		.amdhsa_reserve_flat_scratch 0
		.amdhsa_float_round_mode_32 0
		.amdhsa_float_round_mode_16_64 0
		.amdhsa_float_denorm_mode_32 3
		.amdhsa_float_denorm_mode_16_64 3
		.amdhsa_dx10_clamp 1
		.amdhsa_ieee_mode 1
		.amdhsa_fp16_overflow 0
		.amdhsa_exception_fp_ieee_invalid_op 0
		.amdhsa_exception_fp_denorm_src 0
		.amdhsa_exception_fp_ieee_div_zero 0
		.amdhsa_exception_fp_ieee_overflow 0
		.amdhsa_exception_fp_ieee_underflow 0
		.amdhsa_exception_fp_ieee_inexact 0
		.amdhsa_exception_int_div_zero 0
	.end_amdhsa_kernel
	.section	.text._ZN7rocprim17ROCPRIM_400000_NS6detail17trampoline_kernelINS0_14default_configENS1_29reduce_by_key_config_selectorIslN6thrust23THRUST_200600_302600_NS4plusIlEEEEZZNS1_33reduce_by_key_impl_wrapped_configILNS1_25lookback_scan_determinismE0ES3_S9_PsNS6_17constant_iteratorIiNS6_11use_defaultESE_EENS6_10device_ptrIsEENSG_IlEEPmS8_NS6_8equal_toIsEEEE10hipError_tPvRmT2_T3_mT4_T5_T6_T7_T8_P12ihipStream_tbENKUlT_T0_E_clISt17integral_constantIbLb1EES13_EEDaSY_SZ_EUlSY_E_NS1_11comp_targetILNS1_3genE9ELNS1_11target_archE1100ELNS1_3gpuE3ELNS1_3repE0EEENS1_30default_config_static_selectorELNS0_4arch9wavefront6targetE1EEEvT1_,"axG",@progbits,_ZN7rocprim17ROCPRIM_400000_NS6detail17trampoline_kernelINS0_14default_configENS1_29reduce_by_key_config_selectorIslN6thrust23THRUST_200600_302600_NS4plusIlEEEEZZNS1_33reduce_by_key_impl_wrapped_configILNS1_25lookback_scan_determinismE0ES3_S9_PsNS6_17constant_iteratorIiNS6_11use_defaultESE_EENS6_10device_ptrIsEENSG_IlEEPmS8_NS6_8equal_toIsEEEE10hipError_tPvRmT2_T3_mT4_T5_T6_T7_T8_P12ihipStream_tbENKUlT_T0_E_clISt17integral_constantIbLb1EES13_EEDaSY_SZ_EUlSY_E_NS1_11comp_targetILNS1_3genE9ELNS1_11target_archE1100ELNS1_3gpuE3ELNS1_3repE0EEENS1_30default_config_static_selectorELNS0_4arch9wavefront6targetE1EEEvT1_,comdat
.Lfunc_end1486:
	.size	_ZN7rocprim17ROCPRIM_400000_NS6detail17trampoline_kernelINS0_14default_configENS1_29reduce_by_key_config_selectorIslN6thrust23THRUST_200600_302600_NS4plusIlEEEEZZNS1_33reduce_by_key_impl_wrapped_configILNS1_25lookback_scan_determinismE0ES3_S9_PsNS6_17constant_iteratorIiNS6_11use_defaultESE_EENS6_10device_ptrIsEENSG_IlEEPmS8_NS6_8equal_toIsEEEE10hipError_tPvRmT2_T3_mT4_T5_T6_T7_T8_P12ihipStream_tbENKUlT_T0_E_clISt17integral_constantIbLb1EES13_EEDaSY_SZ_EUlSY_E_NS1_11comp_targetILNS1_3genE9ELNS1_11target_archE1100ELNS1_3gpuE3ELNS1_3repE0EEENS1_30default_config_static_selectorELNS0_4arch9wavefront6targetE1EEEvT1_, .Lfunc_end1486-_ZN7rocprim17ROCPRIM_400000_NS6detail17trampoline_kernelINS0_14default_configENS1_29reduce_by_key_config_selectorIslN6thrust23THRUST_200600_302600_NS4plusIlEEEEZZNS1_33reduce_by_key_impl_wrapped_configILNS1_25lookback_scan_determinismE0ES3_S9_PsNS6_17constant_iteratorIiNS6_11use_defaultESE_EENS6_10device_ptrIsEENSG_IlEEPmS8_NS6_8equal_toIsEEEE10hipError_tPvRmT2_T3_mT4_T5_T6_T7_T8_P12ihipStream_tbENKUlT_T0_E_clISt17integral_constantIbLb1EES13_EEDaSY_SZ_EUlSY_E_NS1_11comp_targetILNS1_3genE9ELNS1_11target_archE1100ELNS1_3gpuE3ELNS1_3repE0EEENS1_30default_config_static_selectorELNS0_4arch9wavefront6targetE1EEEvT1_
                                        ; -- End function
	.set _ZN7rocprim17ROCPRIM_400000_NS6detail17trampoline_kernelINS0_14default_configENS1_29reduce_by_key_config_selectorIslN6thrust23THRUST_200600_302600_NS4plusIlEEEEZZNS1_33reduce_by_key_impl_wrapped_configILNS1_25lookback_scan_determinismE0ES3_S9_PsNS6_17constant_iteratorIiNS6_11use_defaultESE_EENS6_10device_ptrIsEENSG_IlEEPmS8_NS6_8equal_toIsEEEE10hipError_tPvRmT2_T3_mT4_T5_T6_T7_T8_P12ihipStream_tbENKUlT_T0_E_clISt17integral_constantIbLb1EES13_EEDaSY_SZ_EUlSY_E_NS1_11comp_targetILNS1_3genE9ELNS1_11target_archE1100ELNS1_3gpuE3ELNS1_3repE0EEENS1_30default_config_static_selectorELNS0_4arch9wavefront6targetE1EEEvT1_.num_vgpr, 0
	.set _ZN7rocprim17ROCPRIM_400000_NS6detail17trampoline_kernelINS0_14default_configENS1_29reduce_by_key_config_selectorIslN6thrust23THRUST_200600_302600_NS4plusIlEEEEZZNS1_33reduce_by_key_impl_wrapped_configILNS1_25lookback_scan_determinismE0ES3_S9_PsNS6_17constant_iteratorIiNS6_11use_defaultESE_EENS6_10device_ptrIsEENSG_IlEEPmS8_NS6_8equal_toIsEEEE10hipError_tPvRmT2_T3_mT4_T5_T6_T7_T8_P12ihipStream_tbENKUlT_T0_E_clISt17integral_constantIbLb1EES13_EEDaSY_SZ_EUlSY_E_NS1_11comp_targetILNS1_3genE9ELNS1_11target_archE1100ELNS1_3gpuE3ELNS1_3repE0EEENS1_30default_config_static_selectorELNS0_4arch9wavefront6targetE1EEEvT1_.num_agpr, 0
	.set _ZN7rocprim17ROCPRIM_400000_NS6detail17trampoline_kernelINS0_14default_configENS1_29reduce_by_key_config_selectorIslN6thrust23THRUST_200600_302600_NS4plusIlEEEEZZNS1_33reduce_by_key_impl_wrapped_configILNS1_25lookback_scan_determinismE0ES3_S9_PsNS6_17constant_iteratorIiNS6_11use_defaultESE_EENS6_10device_ptrIsEENSG_IlEEPmS8_NS6_8equal_toIsEEEE10hipError_tPvRmT2_T3_mT4_T5_T6_T7_T8_P12ihipStream_tbENKUlT_T0_E_clISt17integral_constantIbLb1EES13_EEDaSY_SZ_EUlSY_E_NS1_11comp_targetILNS1_3genE9ELNS1_11target_archE1100ELNS1_3gpuE3ELNS1_3repE0EEENS1_30default_config_static_selectorELNS0_4arch9wavefront6targetE1EEEvT1_.numbered_sgpr, 0
	.set _ZN7rocprim17ROCPRIM_400000_NS6detail17trampoline_kernelINS0_14default_configENS1_29reduce_by_key_config_selectorIslN6thrust23THRUST_200600_302600_NS4plusIlEEEEZZNS1_33reduce_by_key_impl_wrapped_configILNS1_25lookback_scan_determinismE0ES3_S9_PsNS6_17constant_iteratorIiNS6_11use_defaultESE_EENS6_10device_ptrIsEENSG_IlEEPmS8_NS6_8equal_toIsEEEE10hipError_tPvRmT2_T3_mT4_T5_T6_T7_T8_P12ihipStream_tbENKUlT_T0_E_clISt17integral_constantIbLb1EES13_EEDaSY_SZ_EUlSY_E_NS1_11comp_targetILNS1_3genE9ELNS1_11target_archE1100ELNS1_3gpuE3ELNS1_3repE0EEENS1_30default_config_static_selectorELNS0_4arch9wavefront6targetE1EEEvT1_.num_named_barrier, 0
	.set _ZN7rocprim17ROCPRIM_400000_NS6detail17trampoline_kernelINS0_14default_configENS1_29reduce_by_key_config_selectorIslN6thrust23THRUST_200600_302600_NS4plusIlEEEEZZNS1_33reduce_by_key_impl_wrapped_configILNS1_25lookback_scan_determinismE0ES3_S9_PsNS6_17constant_iteratorIiNS6_11use_defaultESE_EENS6_10device_ptrIsEENSG_IlEEPmS8_NS6_8equal_toIsEEEE10hipError_tPvRmT2_T3_mT4_T5_T6_T7_T8_P12ihipStream_tbENKUlT_T0_E_clISt17integral_constantIbLb1EES13_EEDaSY_SZ_EUlSY_E_NS1_11comp_targetILNS1_3genE9ELNS1_11target_archE1100ELNS1_3gpuE3ELNS1_3repE0EEENS1_30default_config_static_selectorELNS0_4arch9wavefront6targetE1EEEvT1_.private_seg_size, 0
	.set _ZN7rocprim17ROCPRIM_400000_NS6detail17trampoline_kernelINS0_14default_configENS1_29reduce_by_key_config_selectorIslN6thrust23THRUST_200600_302600_NS4plusIlEEEEZZNS1_33reduce_by_key_impl_wrapped_configILNS1_25lookback_scan_determinismE0ES3_S9_PsNS6_17constant_iteratorIiNS6_11use_defaultESE_EENS6_10device_ptrIsEENSG_IlEEPmS8_NS6_8equal_toIsEEEE10hipError_tPvRmT2_T3_mT4_T5_T6_T7_T8_P12ihipStream_tbENKUlT_T0_E_clISt17integral_constantIbLb1EES13_EEDaSY_SZ_EUlSY_E_NS1_11comp_targetILNS1_3genE9ELNS1_11target_archE1100ELNS1_3gpuE3ELNS1_3repE0EEENS1_30default_config_static_selectorELNS0_4arch9wavefront6targetE1EEEvT1_.uses_vcc, 0
	.set _ZN7rocprim17ROCPRIM_400000_NS6detail17trampoline_kernelINS0_14default_configENS1_29reduce_by_key_config_selectorIslN6thrust23THRUST_200600_302600_NS4plusIlEEEEZZNS1_33reduce_by_key_impl_wrapped_configILNS1_25lookback_scan_determinismE0ES3_S9_PsNS6_17constant_iteratorIiNS6_11use_defaultESE_EENS6_10device_ptrIsEENSG_IlEEPmS8_NS6_8equal_toIsEEEE10hipError_tPvRmT2_T3_mT4_T5_T6_T7_T8_P12ihipStream_tbENKUlT_T0_E_clISt17integral_constantIbLb1EES13_EEDaSY_SZ_EUlSY_E_NS1_11comp_targetILNS1_3genE9ELNS1_11target_archE1100ELNS1_3gpuE3ELNS1_3repE0EEENS1_30default_config_static_selectorELNS0_4arch9wavefront6targetE1EEEvT1_.uses_flat_scratch, 0
	.set _ZN7rocprim17ROCPRIM_400000_NS6detail17trampoline_kernelINS0_14default_configENS1_29reduce_by_key_config_selectorIslN6thrust23THRUST_200600_302600_NS4plusIlEEEEZZNS1_33reduce_by_key_impl_wrapped_configILNS1_25lookback_scan_determinismE0ES3_S9_PsNS6_17constant_iteratorIiNS6_11use_defaultESE_EENS6_10device_ptrIsEENSG_IlEEPmS8_NS6_8equal_toIsEEEE10hipError_tPvRmT2_T3_mT4_T5_T6_T7_T8_P12ihipStream_tbENKUlT_T0_E_clISt17integral_constantIbLb1EES13_EEDaSY_SZ_EUlSY_E_NS1_11comp_targetILNS1_3genE9ELNS1_11target_archE1100ELNS1_3gpuE3ELNS1_3repE0EEENS1_30default_config_static_selectorELNS0_4arch9wavefront6targetE1EEEvT1_.has_dyn_sized_stack, 0
	.set _ZN7rocprim17ROCPRIM_400000_NS6detail17trampoline_kernelINS0_14default_configENS1_29reduce_by_key_config_selectorIslN6thrust23THRUST_200600_302600_NS4plusIlEEEEZZNS1_33reduce_by_key_impl_wrapped_configILNS1_25lookback_scan_determinismE0ES3_S9_PsNS6_17constant_iteratorIiNS6_11use_defaultESE_EENS6_10device_ptrIsEENSG_IlEEPmS8_NS6_8equal_toIsEEEE10hipError_tPvRmT2_T3_mT4_T5_T6_T7_T8_P12ihipStream_tbENKUlT_T0_E_clISt17integral_constantIbLb1EES13_EEDaSY_SZ_EUlSY_E_NS1_11comp_targetILNS1_3genE9ELNS1_11target_archE1100ELNS1_3gpuE3ELNS1_3repE0EEENS1_30default_config_static_selectorELNS0_4arch9wavefront6targetE1EEEvT1_.has_recursion, 0
	.set _ZN7rocprim17ROCPRIM_400000_NS6detail17trampoline_kernelINS0_14default_configENS1_29reduce_by_key_config_selectorIslN6thrust23THRUST_200600_302600_NS4plusIlEEEEZZNS1_33reduce_by_key_impl_wrapped_configILNS1_25lookback_scan_determinismE0ES3_S9_PsNS6_17constant_iteratorIiNS6_11use_defaultESE_EENS6_10device_ptrIsEENSG_IlEEPmS8_NS6_8equal_toIsEEEE10hipError_tPvRmT2_T3_mT4_T5_T6_T7_T8_P12ihipStream_tbENKUlT_T0_E_clISt17integral_constantIbLb1EES13_EEDaSY_SZ_EUlSY_E_NS1_11comp_targetILNS1_3genE9ELNS1_11target_archE1100ELNS1_3gpuE3ELNS1_3repE0EEENS1_30default_config_static_selectorELNS0_4arch9wavefront6targetE1EEEvT1_.has_indirect_call, 0
	.section	.AMDGPU.csdata,"",@progbits
; Kernel info:
; codeLenInByte = 0
; TotalNumSgprs: 4
; NumVgprs: 0
; ScratchSize: 0
; MemoryBound: 0
; FloatMode: 240
; IeeeMode: 1
; LDSByteSize: 0 bytes/workgroup (compile time only)
; SGPRBlocks: 0
; VGPRBlocks: 0
; NumSGPRsForWavesPerEU: 4
; NumVGPRsForWavesPerEU: 1
; Occupancy: 10
; WaveLimiterHint : 0
; COMPUTE_PGM_RSRC2:SCRATCH_EN: 0
; COMPUTE_PGM_RSRC2:USER_SGPR: 6
; COMPUTE_PGM_RSRC2:TRAP_HANDLER: 0
; COMPUTE_PGM_RSRC2:TGID_X_EN: 1
; COMPUTE_PGM_RSRC2:TGID_Y_EN: 0
; COMPUTE_PGM_RSRC2:TGID_Z_EN: 0
; COMPUTE_PGM_RSRC2:TIDIG_COMP_CNT: 0
	.section	.text._ZN7rocprim17ROCPRIM_400000_NS6detail17trampoline_kernelINS0_14default_configENS1_29reduce_by_key_config_selectorIslN6thrust23THRUST_200600_302600_NS4plusIlEEEEZZNS1_33reduce_by_key_impl_wrapped_configILNS1_25lookback_scan_determinismE0ES3_S9_PsNS6_17constant_iteratorIiNS6_11use_defaultESE_EENS6_10device_ptrIsEENSG_IlEEPmS8_NS6_8equal_toIsEEEE10hipError_tPvRmT2_T3_mT4_T5_T6_T7_T8_P12ihipStream_tbENKUlT_T0_E_clISt17integral_constantIbLb1EES13_EEDaSY_SZ_EUlSY_E_NS1_11comp_targetILNS1_3genE8ELNS1_11target_archE1030ELNS1_3gpuE2ELNS1_3repE0EEENS1_30default_config_static_selectorELNS0_4arch9wavefront6targetE1EEEvT1_,"axG",@progbits,_ZN7rocprim17ROCPRIM_400000_NS6detail17trampoline_kernelINS0_14default_configENS1_29reduce_by_key_config_selectorIslN6thrust23THRUST_200600_302600_NS4plusIlEEEEZZNS1_33reduce_by_key_impl_wrapped_configILNS1_25lookback_scan_determinismE0ES3_S9_PsNS6_17constant_iteratorIiNS6_11use_defaultESE_EENS6_10device_ptrIsEENSG_IlEEPmS8_NS6_8equal_toIsEEEE10hipError_tPvRmT2_T3_mT4_T5_T6_T7_T8_P12ihipStream_tbENKUlT_T0_E_clISt17integral_constantIbLb1EES13_EEDaSY_SZ_EUlSY_E_NS1_11comp_targetILNS1_3genE8ELNS1_11target_archE1030ELNS1_3gpuE2ELNS1_3repE0EEENS1_30default_config_static_selectorELNS0_4arch9wavefront6targetE1EEEvT1_,comdat
	.protected	_ZN7rocprim17ROCPRIM_400000_NS6detail17trampoline_kernelINS0_14default_configENS1_29reduce_by_key_config_selectorIslN6thrust23THRUST_200600_302600_NS4plusIlEEEEZZNS1_33reduce_by_key_impl_wrapped_configILNS1_25lookback_scan_determinismE0ES3_S9_PsNS6_17constant_iteratorIiNS6_11use_defaultESE_EENS6_10device_ptrIsEENSG_IlEEPmS8_NS6_8equal_toIsEEEE10hipError_tPvRmT2_T3_mT4_T5_T6_T7_T8_P12ihipStream_tbENKUlT_T0_E_clISt17integral_constantIbLb1EES13_EEDaSY_SZ_EUlSY_E_NS1_11comp_targetILNS1_3genE8ELNS1_11target_archE1030ELNS1_3gpuE2ELNS1_3repE0EEENS1_30default_config_static_selectorELNS0_4arch9wavefront6targetE1EEEvT1_ ; -- Begin function _ZN7rocprim17ROCPRIM_400000_NS6detail17trampoline_kernelINS0_14default_configENS1_29reduce_by_key_config_selectorIslN6thrust23THRUST_200600_302600_NS4plusIlEEEEZZNS1_33reduce_by_key_impl_wrapped_configILNS1_25lookback_scan_determinismE0ES3_S9_PsNS6_17constant_iteratorIiNS6_11use_defaultESE_EENS6_10device_ptrIsEENSG_IlEEPmS8_NS6_8equal_toIsEEEE10hipError_tPvRmT2_T3_mT4_T5_T6_T7_T8_P12ihipStream_tbENKUlT_T0_E_clISt17integral_constantIbLb1EES13_EEDaSY_SZ_EUlSY_E_NS1_11comp_targetILNS1_3genE8ELNS1_11target_archE1030ELNS1_3gpuE2ELNS1_3repE0EEENS1_30default_config_static_selectorELNS0_4arch9wavefront6targetE1EEEvT1_
	.globl	_ZN7rocprim17ROCPRIM_400000_NS6detail17trampoline_kernelINS0_14default_configENS1_29reduce_by_key_config_selectorIslN6thrust23THRUST_200600_302600_NS4plusIlEEEEZZNS1_33reduce_by_key_impl_wrapped_configILNS1_25lookback_scan_determinismE0ES3_S9_PsNS6_17constant_iteratorIiNS6_11use_defaultESE_EENS6_10device_ptrIsEENSG_IlEEPmS8_NS6_8equal_toIsEEEE10hipError_tPvRmT2_T3_mT4_T5_T6_T7_T8_P12ihipStream_tbENKUlT_T0_E_clISt17integral_constantIbLb1EES13_EEDaSY_SZ_EUlSY_E_NS1_11comp_targetILNS1_3genE8ELNS1_11target_archE1030ELNS1_3gpuE2ELNS1_3repE0EEENS1_30default_config_static_selectorELNS0_4arch9wavefront6targetE1EEEvT1_
	.p2align	8
	.type	_ZN7rocprim17ROCPRIM_400000_NS6detail17trampoline_kernelINS0_14default_configENS1_29reduce_by_key_config_selectorIslN6thrust23THRUST_200600_302600_NS4plusIlEEEEZZNS1_33reduce_by_key_impl_wrapped_configILNS1_25lookback_scan_determinismE0ES3_S9_PsNS6_17constant_iteratorIiNS6_11use_defaultESE_EENS6_10device_ptrIsEENSG_IlEEPmS8_NS6_8equal_toIsEEEE10hipError_tPvRmT2_T3_mT4_T5_T6_T7_T8_P12ihipStream_tbENKUlT_T0_E_clISt17integral_constantIbLb1EES13_EEDaSY_SZ_EUlSY_E_NS1_11comp_targetILNS1_3genE8ELNS1_11target_archE1030ELNS1_3gpuE2ELNS1_3repE0EEENS1_30default_config_static_selectorELNS0_4arch9wavefront6targetE1EEEvT1_,@function
_ZN7rocprim17ROCPRIM_400000_NS6detail17trampoline_kernelINS0_14default_configENS1_29reduce_by_key_config_selectorIslN6thrust23THRUST_200600_302600_NS4plusIlEEEEZZNS1_33reduce_by_key_impl_wrapped_configILNS1_25lookback_scan_determinismE0ES3_S9_PsNS6_17constant_iteratorIiNS6_11use_defaultESE_EENS6_10device_ptrIsEENSG_IlEEPmS8_NS6_8equal_toIsEEEE10hipError_tPvRmT2_T3_mT4_T5_T6_T7_T8_P12ihipStream_tbENKUlT_T0_E_clISt17integral_constantIbLb1EES13_EEDaSY_SZ_EUlSY_E_NS1_11comp_targetILNS1_3genE8ELNS1_11target_archE1030ELNS1_3gpuE2ELNS1_3repE0EEENS1_30default_config_static_selectorELNS0_4arch9wavefront6targetE1EEEvT1_: ; @_ZN7rocprim17ROCPRIM_400000_NS6detail17trampoline_kernelINS0_14default_configENS1_29reduce_by_key_config_selectorIslN6thrust23THRUST_200600_302600_NS4plusIlEEEEZZNS1_33reduce_by_key_impl_wrapped_configILNS1_25lookback_scan_determinismE0ES3_S9_PsNS6_17constant_iteratorIiNS6_11use_defaultESE_EENS6_10device_ptrIsEENSG_IlEEPmS8_NS6_8equal_toIsEEEE10hipError_tPvRmT2_T3_mT4_T5_T6_T7_T8_P12ihipStream_tbENKUlT_T0_E_clISt17integral_constantIbLb1EES13_EEDaSY_SZ_EUlSY_E_NS1_11comp_targetILNS1_3genE8ELNS1_11target_archE1030ELNS1_3gpuE2ELNS1_3repE0EEENS1_30default_config_static_selectorELNS0_4arch9wavefront6targetE1EEEvT1_
; %bb.0:
	.section	.rodata,"a",@progbits
	.p2align	6, 0x0
	.amdhsa_kernel _ZN7rocprim17ROCPRIM_400000_NS6detail17trampoline_kernelINS0_14default_configENS1_29reduce_by_key_config_selectorIslN6thrust23THRUST_200600_302600_NS4plusIlEEEEZZNS1_33reduce_by_key_impl_wrapped_configILNS1_25lookback_scan_determinismE0ES3_S9_PsNS6_17constant_iteratorIiNS6_11use_defaultESE_EENS6_10device_ptrIsEENSG_IlEEPmS8_NS6_8equal_toIsEEEE10hipError_tPvRmT2_T3_mT4_T5_T6_T7_T8_P12ihipStream_tbENKUlT_T0_E_clISt17integral_constantIbLb1EES13_EEDaSY_SZ_EUlSY_E_NS1_11comp_targetILNS1_3genE8ELNS1_11target_archE1030ELNS1_3gpuE2ELNS1_3repE0EEENS1_30default_config_static_selectorELNS0_4arch9wavefront6targetE1EEEvT1_
		.amdhsa_group_segment_fixed_size 0
		.amdhsa_private_segment_fixed_size 0
		.amdhsa_kernarg_size 144
		.amdhsa_user_sgpr_count 6
		.amdhsa_user_sgpr_private_segment_buffer 1
		.amdhsa_user_sgpr_dispatch_ptr 0
		.amdhsa_user_sgpr_queue_ptr 0
		.amdhsa_user_sgpr_kernarg_segment_ptr 1
		.amdhsa_user_sgpr_dispatch_id 0
		.amdhsa_user_sgpr_flat_scratch_init 0
		.amdhsa_user_sgpr_private_segment_size 0
		.amdhsa_uses_dynamic_stack 0
		.amdhsa_system_sgpr_private_segment_wavefront_offset 0
		.amdhsa_system_sgpr_workgroup_id_x 1
		.amdhsa_system_sgpr_workgroup_id_y 0
		.amdhsa_system_sgpr_workgroup_id_z 0
		.amdhsa_system_sgpr_workgroup_info 0
		.amdhsa_system_vgpr_workitem_id 0
		.amdhsa_next_free_vgpr 1
		.amdhsa_next_free_sgpr 0
		.amdhsa_reserve_vcc 0
		.amdhsa_reserve_flat_scratch 0
		.amdhsa_float_round_mode_32 0
		.amdhsa_float_round_mode_16_64 0
		.amdhsa_float_denorm_mode_32 3
		.amdhsa_float_denorm_mode_16_64 3
		.amdhsa_dx10_clamp 1
		.amdhsa_ieee_mode 1
		.amdhsa_fp16_overflow 0
		.amdhsa_exception_fp_ieee_invalid_op 0
		.amdhsa_exception_fp_denorm_src 0
		.amdhsa_exception_fp_ieee_div_zero 0
		.amdhsa_exception_fp_ieee_overflow 0
		.amdhsa_exception_fp_ieee_underflow 0
		.amdhsa_exception_fp_ieee_inexact 0
		.amdhsa_exception_int_div_zero 0
	.end_amdhsa_kernel
	.section	.text._ZN7rocprim17ROCPRIM_400000_NS6detail17trampoline_kernelINS0_14default_configENS1_29reduce_by_key_config_selectorIslN6thrust23THRUST_200600_302600_NS4plusIlEEEEZZNS1_33reduce_by_key_impl_wrapped_configILNS1_25lookback_scan_determinismE0ES3_S9_PsNS6_17constant_iteratorIiNS6_11use_defaultESE_EENS6_10device_ptrIsEENSG_IlEEPmS8_NS6_8equal_toIsEEEE10hipError_tPvRmT2_T3_mT4_T5_T6_T7_T8_P12ihipStream_tbENKUlT_T0_E_clISt17integral_constantIbLb1EES13_EEDaSY_SZ_EUlSY_E_NS1_11comp_targetILNS1_3genE8ELNS1_11target_archE1030ELNS1_3gpuE2ELNS1_3repE0EEENS1_30default_config_static_selectorELNS0_4arch9wavefront6targetE1EEEvT1_,"axG",@progbits,_ZN7rocprim17ROCPRIM_400000_NS6detail17trampoline_kernelINS0_14default_configENS1_29reduce_by_key_config_selectorIslN6thrust23THRUST_200600_302600_NS4plusIlEEEEZZNS1_33reduce_by_key_impl_wrapped_configILNS1_25lookback_scan_determinismE0ES3_S9_PsNS6_17constant_iteratorIiNS6_11use_defaultESE_EENS6_10device_ptrIsEENSG_IlEEPmS8_NS6_8equal_toIsEEEE10hipError_tPvRmT2_T3_mT4_T5_T6_T7_T8_P12ihipStream_tbENKUlT_T0_E_clISt17integral_constantIbLb1EES13_EEDaSY_SZ_EUlSY_E_NS1_11comp_targetILNS1_3genE8ELNS1_11target_archE1030ELNS1_3gpuE2ELNS1_3repE0EEENS1_30default_config_static_selectorELNS0_4arch9wavefront6targetE1EEEvT1_,comdat
.Lfunc_end1487:
	.size	_ZN7rocprim17ROCPRIM_400000_NS6detail17trampoline_kernelINS0_14default_configENS1_29reduce_by_key_config_selectorIslN6thrust23THRUST_200600_302600_NS4plusIlEEEEZZNS1_33reduce_by_key_impl_wrapped_configILNS1_25lookback_scan_determinismE0ES3_S9_PsNS6_17constant_iteratorIiNS6_11use_defaultESE_EENS6_10device_ptrIsEENSG_IlEEPmS8_NS6_8equal_toIsEEEE10hipError_tPvRmT2_T3_mT4_T5_T6_T7_T8_P12ihipStream_tbENKUlT_T0_E_clISt17integral_constantIbLb1EES13_EEDaSY_SZ_EUlSY_E_NS1_11comp_targetILNS1_3genE8ELNS1_11target_archE1030ELNS1_3gpuE2ELNS1_3repE0EEENS1_30default_config_static_selectorELNS0_4arch9wavefront6targetE1EEEvT1_, .Lfunc_end1487-_ZN7rocprim17ROCPRIM_400000_NS6detail17trampoline_kernelINS0_14default_configENS1_29reduce_by_key_config_selectorIslN6thrust23THRUST_200600_302600_NS4plusIlEEEEZZNS1_33reduce_by_key_impl_wrapped_configILNS1_25lookback_scan_determinismE0ES3_S9_PsNS6_17constant_iteratorIiNS6_11use_defaultESE_EENS6_10device_ptrIsEENSG_IlEEPmS8_NS6_8equal_toIsEEEE10hipError_tPvRmT2_T3_mT4_T5_T6_T7_T8_P12ihipStream_tbENKUlT_T0_E_clISt17integral_constantIbLb1EES13_EEDaSY_SZ_EUlSY_E_NS1_11comp_targetILNS1_3genE8ELNS1_11target_archE1030ELNS1_3gpuE2ELNS1_3repE0EEENS1_30default_config_static_selectorELNS0_4arch9wavefront6targetE1EEEvT1_
                                        ; -- End function
	.set _ZN7rocprim17ROCPRIM_400000_NS6detail17trampoline_kernelINS0_14default_configENS1_29reduce_by_key_config_selectorIslN6thrust23THRUST_200600_302600_NS4plusIlEEEEZZNS1_33reduce_by_key_impl_wrapped_configILNS1_25lookback_scan_determinismE0ES3_S9_PsNS6_17constant_iteratorIiNS6_11use_defaultESE_EENS6_10device_ptrIsEENSG_IlEEPmS8_NS6_8equal_toIsEEEE10hipError_tPvRmT2_T3_mT4_T5_T6_T7_T8_P12ihipStream_tbENKUlT_T0_E_clISt17integral_constantIbLb1EES13_EEDaSY_SZ_EUlSY_E_NS1_11comp_targetILNS1_3genE8ELNS1_11target_archE1030ELNS1_3gpuE2ELNS1_3repE0EEENS1_30default_config_static_selectorELNS0_4arch9wavefront6targetE1EEEvT1_.num_vgpr, 0
	.set _ZN7rocprim17ROCPRIM_400000_NS6detail17trampoline_kernelINS0_14default_configENS1_29reduce_by_key_config_selectorIslN6thrust23THRUST_200600_302600_NS4plusIlEEEEZZNS1_33reduce_by_key_impl_wrapped_configILNS1_25lookback_scan_determinismE0ES3_S9_PsNS6_17constant_iteratorIiNS6_11use_defaultESE_EENS6_10device_ptrIsEENSG_IlEEPmS8_NS6_8equal_toIsEEEE10hipError_tPvRmT2_T3_mT4_T5_T6_T7_T8_P12ihipStream_tbENKUlT_T0_E_clISt17integral_constantIbLb1EES13_EEDaSY_SZ_EUlSY_E_NS1_11comp_targetILNS1_3genE8ELNS1_11target_archE1030ELNS1_3gpuE2ELNS1_3repE0EEENS1_30default_config_static_selectorELNS0_4arch9wavefront6targetE1EEEvT1_.num_agpr, 0
	.set _ZN7rocprim17ROCPRIM_400000_NS6detail17trampoline_kernelINS0_14default_configENS1_29reduce_by_key_config_selectorIslN6thrust23THRUST_200600_302600_NS4plusIlEEEEZZNS1_33reduce_by_key_impl_wrapped_configILNS1_25lookback_scan_determinismE0ES3_S9_PsNS6_17constant_iteratorIiNS6_11use_defaultESE_EENS6_10device_ptrIsEENSG_IlEEPmS8_NS6_8equal_toIsEEEE10hipError_tPvRmT2_T3_mT4_T5_T6_T7_T8_P12ihipStream_tbENKUlT_T0_E_clISt17integral_constantIbLb1EES13_EEDaSY_SZ_EUlSY_E_NS1_11comp_targetILNS1_3genE8ELNS1_11target_archE1030ELNS1_3gpuE2ELNS1_3repE0EEENS1_30default_config_static_selectorELNS0_4arch9wavefront6targetE1EEEvT1_.numbered_sgpr, 0
	.set _ZN7rocprim17ROCPRIM_400000_NS6detail17trampoline_kernelINS0_14default_configENS1_29reduce_by_key_config_selectorIslN6thrust23THRUST_200600_302600_NS4plusIlEEEEZZNS1_33reduce_by_key_impl_wrapped_configILNS1_25lookback_scan_determinismE0ES3_S9_PsNS6_17constant_iteratorIiNS6_11use_defaultESE_EENS6_10device_ptrIsEENSG_IlEEPmS8_NS6_8equal_toIsEEEE10hipError_tPvRmT2_T3_mT4_T5_T6_T7_T8_P12ihipStream_tbENKUlT_T0_E_clISt17integral_constantIbLb1EES13_EEDaSY_SZ_EUlSY_E_NS1_11comp_targetILNS1_3genE8ELNS1_11target_archE1030ELNS1_3gpuE2ELNS1_3repE0EEENS1_30default_config_static_selectorELNS0_4arch9wavefront6targetE1EEEvT1_.num_named_barrier, 0
	.set _ZN7rocprim17ROCPRIM_400000_NS6detail17trampoline_kernelINS0_14default_configENS1_29reduce_by_key_config_selectorIslN6thrust23THRUST_200600_302600_NS4plusIlEEEEZZNS1_33reduce_by_key_impl_wrapped_configILNS1_25lookback_scan_determinismE0ES3_S9_PsNS6_17constant_iteratorIiNS6_11use_defaultESE_EENS6_10device_ptrIsEENSG_IlEEPmS8_NS6_8equal_toIsEEEE10hipError_tPvRmT2_T3_mT4_T5_T6_T7_T8_P12ihipStream_tbENKUlT_T0_E_clISt17integral_constantIbLb1EES13_EEDaSY_SZ_EUlSY_E_NS1_11comp_targetILNS1_3genE8ELNS1_11target_archE1030ELNS1_3gpuE2ELNS1_3repE0EEENS1_30default_config_static_selectorELNS0_4arch9wavefront6targetE1EEEvT1_.private_seg_size, 0
	.set _ZN7rocprim17ROCPRIM_400000_NS6detail17trampoline_kernelINS0_14default_configENS1_29reduce_by_key_config_selectorIslN6thrust23THRUST_200600_302600_NS4plusIlEEEEZZNS1_33reduce_by_key_impl_wrapped_configILNS1_25lookback_scan_determinismE0ES3_S9_PsNS6_17constant_iteratorIiNS6_11use_defaultESE_EENS6_10device_ptrIsEENSG_IlEEPmS8_NS6_8equal_toIsEEEE10hipError_tPvRmT2_T3_mT4_T5_T6_T7_T8_P12ihipStream_tbENKUlT_T0_E_clISt17integral_constantIbLb1EES13_EEDaSY_SZ_EUlSY_E_NS1_11comp_targetILNS1_3genE8ELNS1_11target_archE1030ELNS1_3gpuE2ELNS1_3repE0EEENS1_30default_config_static_selectorELNS0_4arch9wavefront6targetE1EEEvT1_.uses_vcc, 0
	.set _ZN7rocprim17ROCPRIM_400000_NS6detail17trampoline_kernelINS0_14default_configENS1_29reduce_by_key_config_selectorIslN6thrust23THRUST_200600_302600_NS4plusIlEEEEZZNS1_33reduce_by_key_impl_wrapped_configILNS1_25lookback_scan_determinismE0ES3_S9_PsNS6_17constant_iteratorIiNS6_11use_defaultESE_EENS6_10device_ptrIsEENSG_IlEEPmS8_NS6_8equal_toIsEEEE10hipError_tPvRmT2_T3_mT4_T5_T6_T7_T8_P12ihipStream_tbENKUlT_T0_E_clISt17integral_constantIbLb1EES13_EEDaSY_SZ_EUlSY_E_NS1_11comp_targetILNS1_3genE8ELNS1_11target_archE1030ELNS1_3gpuE2ELNS1_3repE0EEENS1_30default_config_static_selectorELNS0_4arch9wavefront6targetE1EEEvT1_.uses_flat_scratch, 0
	.set _ZN7rocprim17ROCPRIM_400000_NS6detail17trampoline_kernelINS0_14default_configENS1_29reduce_by_key_config_selectorIslN6thrust23THRUST_200600_302600_NS4plusIlEEEEZZNS1_33reduce_by_key_impl_wrapped_configILNS1_25lookback_scan_determinismE0ES3_S9_PsNS6_17constant_iteratorIiNS6_11use_defaultESE_EENS6_10device_ptrIsEENSG_IlEEPmS8_NS6_8equal_toIsEEEE10hipError_tPvRmT2_T3_mT4_T5_T6_T7_T8_P12ihipStream_tbENKUlT_T0_E_clISt17integral_constantIbLb1EES13_EEDaSY_SZ_EUlSY_E_NS1_11comp_targetILNS1_3genE8ELNS1_11target_archE1030ELNS1_3gpuE2ELNS1_3repE0EEENS1_30default_config_static_selectorELNS0_4arch9wavefront6targetE1EEEvT1_.has_dyn_sized_stack, 0
	.set _ZN7rocprim17ROCPRIM_400000_NS6detail17trampoline_kernelINS0_14default_configENS1_29reduce_by_key_config_selectorIslN6thrust23THRUST_200600_302600_NS4plusIlEEEEZZNS1_33reduce_by_key_impl_wrapped_configILNS1_25lookback_scan_determinismE0ES3_S9_PsNS6_17constant_iteratorIiNS6_11use_defaultESE_EENS6_10device_ptrIsEENSG_IlEEPmS8_NS6_8equal_toIsEEEE10hipError_tPvRmT2_T3_mT4_T5_T6_T7_T8_P12ihipStream_tbENKUlT_T0_E_clISt17integral_constantIbLb1EES13_EEDaSY_SZ_EUlSY_E_NS1_11comp_targetILNS1_3genE8ELNS1_11target_archE1030ELNS1_3gpuE2ELNS1_3repE0EEENS1_30default_config_static_selectorELNS0_4arch9wavefront6targetE1EEEvT1_.has_recursion, 0
	.set _ZN7rocprim17ROCPRIM_400000_NS6detail17trampoline_kernelINS0_14default_configENS1_29reduce_by_key_config_selectorIslN6thrust23THRUST_200600_302600_NS4plusIlEEEEZZNS1_33reduce_by_key_impl_wrapped_configILNS1_25lookback_scan_determinismE0ES3_S9_PsNS6_17constant_iteratorIiNS6_11use_defaultESE_EENS6_10device_ptrIsEENSG_IlEEPmS8_NS6_8equal_toIsEEEE10hipError_tPvRmT2_T3_mT4_T5_T6_T7_T8_P12ihipStream_tbENKUlT_T0_E_clISt17integral_constantIbLb1EES13_EEDaSY_SZ_EUlSY_E_NS1_11comp_targetILNS1_3genE8ELNS1_11target_archE1030ELNS1_3gpuE2ELNS1_3repE0EEENS1_30default_config_static_selectorELNS0_4arch9wavefront6targetE1EEEvT1_.has_indirect_call, 0
	.section	.AMDGPU.csdata,"",@progbits
; Kernel info:
; codeLenInByte = 0
; TotalNumSgprs: 4
; NumVgprs: 0
; ScratchSize: 0
; MemoryBound: 0
; FloatMode: 240
; IeeeMode: 1
; LDSByteSize: 0 bytes/workgroup (compile time only)
; SGPRBlocks: 0
; VGPRBlocks: 0
; NumSGPRsForWavesPerEU: 4
; NumVGPRsForWavesPerEU: 1
; Occupancy: 10
; WaveLimiterHint : 0
; COMPUTE_PGM_RSRC2:SCRATCH_EN: 0
; COMPUTE_PGM_RSRC2:USER_SGPR: 6
; COMPUTE_PGM_RSRC2:TRAP_HANDLER: 0
; COMPUTE_PGM_RSRC2:TGID_X_EN: 1
; COMPUTE_PGM_RSRC2:TGID_Y_EN: 0
; COMPUTE_PGM_RSRC2:TGID_Z_EN: 0
; COMPUTE_PGM_RSRC2:TIDIG_COMP_CNT: 0
	.section	.text._ZN7rocprim17ROCPRIM_400000_NS6detail17trampoline_kernelINS0_14default_configENS1_29reduce_by_key_config_selectorIslN6thrust23THRUST_200600_302600_NS4plusIlEEEEZZNS1_33reduce_by_key_impl_wrapped_configILNS1_25lookback_scan_determinismE0ES3_S9_PsNS6_17constant_iteratorIiNS6_11use_defaultESE_EENS6_10device_ptrIsEENSG_IlEEPmS8_NS6_8equal_toIsEEEE10hipError_tPvRmT2_T3_mT4_T5_T6_T7_T8_P12ihipStream_tbENKUlT_T0_E_clISt17integral_constantIbLb1EES12_IbLb0EEEEDaSY_SZ_EUlSY_E_NS1_11comp_targetILNS1_3genE0ELNS1_11target_archE4294967295ELNS1_3gpuE0ELNS1_3repE0EEENS1_30default_config_static_selectorELNS0_4arch9wavefront6targetE1EEEvT1_,"axG",@progbits,_ZN7rocprim17ROCPRIM_400000_NS6detail17trampoline_kernelINS0_14default_configENS1_29reduce_by_key_config_selectorIslN6thrust23THRUST_200600_302600_NS4plusIlEEEEZZNS1_33reduce_by_key_impl_wrapped_configILNS1_25lookback_scan_determinismE0ES3_S9_PsNS6_17constant_iteratorIiNS6_11use_defaultESE_EENS6_10device_ptrIsEENSG_IlEEPmS8_NS6_8equal_toIsEEEE10hipError_tPvRmT2_T3_mT4_T5_T6_T7_T8_P12ihipStream_tbENKUlT_T0_E_clISt17integral_constantIbLb1EES12_IbLb0EEEEDaSY_SZ_EUlSY_E_NS1_11comp_targetILNS1_3genE0ELNS1_11target_archE4294967295ELNS1_3gpuE0ELNS1_3repE0EEENS1_30default_config_static_selectorELNS0_4arch9wavefront6targetE1EEEvT1_,comdat
	.protected	_ZN7rocprim17ROCPRIM_400000_NS6detail17trampoline_kernelINS0_14default_configENS1_29reduce_by_key_config_selectorIslN6thrust23THRUST_200600_302600_NS4plusIlEEEEZZNS1_33reduce_by_key_impl_wrapped_configILNS1_25lookback_scan_determinismE0ES3_S9_PsNS6_17constant_iteratorIiNS6_11use_defaultESE_EENS6_10device_ptrIsEENSG_IlEEPmS8_NS6_8equal_toIsEEEE10hipError_tPvRmT2_T3_mT4_T5_T6_T7_T8_P12ihipStream_tbENKUlT_T0_E_clISt17integral_constantIbLb1EES12_IbLb0EEEEDaSY_SZ_EUlSY_E_NS1_11comp_targetILNS1_3genE0ELNS1_11target_archE4294967295ELNS1_3gpuE0ELNS1_3repE0EEENS1_30default_config_static_selectorELNS0_4arch9wavefront6targetE1EEEvT1_ ; -- Begin function _ZN7rocprim17ROCPRIM_400000_NS6detail17trampoline_kernelINS0_14default_configENS1_29reduce_by_key_config_selectorIslN6thrust23THRUST_200600_302600_NS4plusIlEEEEZZNS1_33reduce_by_key_impl_wrapped_configILNS1_25lookback_scan_determinismE0ES3_S9_PsNS6_17constant_iteratorIiNS6_11use_defaultESE_EENS6_10device_ptrIsEENSG_IlEEPmS8_NS6_8equal_toIsEEEE10hipError_tPvRmT2_T3_mT4_T5_T6_T7_T8_P12ihipStream_tbENKUlT_T0_E_clISt17integral_constantIbLb1EES12_IbLb0EEEEDaSY_SZ_EUlSY_E_NS1_11comp_targetILNS1_3genE0ELNS1_11target_archE4294967295ELNS1_3gpuE0ELNS1_3repE0EEENS1_30default_config_static_selectorELNS0_4arch9wavefront6targetE1EEEvT1_
	.globl	_ZN7rocprim17ROCPRIM_400000_NS6detail17trampoline_kernelINS0_14default_configENS1_29reduce_by_key_config_selectorIslN6thrust23THRUST_200600_302600_NS4plusIlEEEEZZNS1_33reduce_by_key_impl_wrapped_configILNS1_25lookback_scan_determinismE0ES3_S9_PsNS6_17constant_iteratorIiNS6_11use_defaultESE_EENS6_10device_ptrIsEENSG_IlEEPmS8_NS6_8equal_toIsEEEE10hipError_tPvRmT2_T3_mT4_T5_T6_T7_T8_P12ihipStream_tbENKUlT_T0_E_clISt17integral_constantIbLb1EES12_IbLb0EEEEDaSY_SZ_EUlSY_E_NS1_11comp_targetILNS1_3genE0ELNS1_11target_archE4294967295ELNS1_3gpuE0ELNS1_3repE0EEENS1_30default_config_static_selectorELNS0_4arch9wavefront6targetE1EEEvT1_
	.p2align	8
	.type	_ZN7rocprim17ROCPRIM_400000_NS6detail17trampoline_kernelINS0_14default_configENS1_29reduce_by_key_config_selectorIslN6thrust23THRUST_200600_302600_NS4plusIlEEEEZZNS1_33reduce_by_key_impl_wrapped_configILNS1_25lookback_scan_determinismE0ES3_S9_PsNS6_17constant_iteratorIiNS6_11use_defaultESE_EENS6_10device_ptrIsEENSG_IlEEPmS8_NS6_8equal_toIsEEEE10hipError_tPvRmT2_T3_mT4_T5_T6_T7_T8_P12ihipStream_tbENKUlT_T0_E_clISt17integral_constantIbLb1EES12_IbLb0EEEEDaSY_SZ_EUlSY_E_NS1_11comp_targetILNS1_3genE0ELNS1_11target_archE4294967295ELNS1_3gpuE0ELNS1_3repE0EEENS1_30default_config_static_selectorELNS0_4arch9wavefront6targetE1EEEvT1_,@function
_ZN7rocprim17ROCPRIM_400000_NS6detail17trampoline_kernelINS0_14default_configENS1_29reduce_by_key_config_selectorIslN6thrust23THRUST_200600_302600_NS4plusIlEEEEZZNS1_33reduce_by_key_impl_wrapped_configILNS1_25lookback_scan_determinismE0ES3_S9_PsNS6_17constant_iteratorIiNS6_11use_defaultESE_EENS6_10device_ptrIsEENSG_IlEEPmS8_NS6_8equal_toIsEEEE10hipError_tPvRmT2_T3_mT4_T5_T6_T7_T8_P12ihipStream_tbENKUlT_T0_E_clISt17integral_constantIbLb1EES12_IbLb0EEEEDaSY_SZ_EUlSY_E_NS1_11comp_targetILNS1_3genE0ELNS1_11target_archE4294967295ELNS1_3gpuE0ELNS1_3repE0EEENS1_30default_config_static_selectorELNS0_4arch9wavefront6targetE1EEEvT1_: ; @_ZN7rocprim17ROCPRIM_400000_NS6detail17trampoline_kernelINS0_14default_configENS1_29reduce_by_key_config_selectorIslN6thrust23THRUST_200600_302600_NS4plusIlEEEEZZNS1_33reduce_by_key_impl_wrapped_configILNS1_25lookback_scan_determinismE0ES3_S9_PsNS6_17constant_iteratorIiNS6_11use_defaultESE_EENS6_10device_ptrIsEENSG_IlEEPmS8_NS6_8equal_toIsEEEE10hipError_tPvRmT2_T3_mT4_T5_T6_T7_T8_P12ihipStream_tbENKUlT_T0_E_clISt17integral_constantIbLb1EES12_IbLb0EEEEDaSY_SZ_EUlSY_E_NS1_11comp_targetILNS1_3genE0ELNS1_11target_archE4294967295ELNS1_3gpuE0ELNS1_3repE0EEENS1_30default_config_static_selectorELNS0_4arch9wavefront6targetE1EEEvT1_
; %bb.0:
	.section	.rodata,"a",@progbits
	.p2align	6, 0x0
	.amdhsa_kernel _ZN7rocprim17ROCPRIM_400000_NS6detail17trampoline_kernelINS0_14default_configENS1_29reduce_by_key_config_selectorIslN6thrust23THRUST_200600_302600_NS4plusIlEEEEZZNS1_33reduce_by_key_impl_wrapped_configILNS1_25lookback_scan_determinismE0ES3_S9_PsNS6_17constant_iteratorIiNS6_11use_defaultESE_EENS6_10device_ptrIsEENSG_IlEEPmS8_NS6_8equal_toIsEEEE10hipError_tPvRmT2_T3_mT4_T5_T6_T7_T8_P12ihipStream_tbENKUlT_T0_E_clISt17integral_constantIbLb1EES12_IbLb0EEEEDaSY_SZ_EUlSY_E_NS1_11comp_targetILNS1_3genE0ELNS1_11target_archE4294967295ELNS1_3gpuE0ELNS1_3repE0EEENS1_30default_config_static_selectorELNS0_4arch9wavefront6targetE1EEEvT1_
		.amdhsa_group_segment_fixed_size 0
		.amdhsa_private_segment_fixed_size 0
		.amdhsa_kernarg_size 144
		.amdhsa_user_sgpr_count 6
		.amdhsa_user_sgpr_private_segment_buffer 1
		.amdhsa_user_sgpr_dispatch_ptr 0
		.amdhsa_user_sgpr_queue_ptr 0
		.amdhsa_user_sgpr_kernarg_segment_ptr 1
		.amdhsa_user_sgpr_dispatch_id 0
		.amdhsa_user_sgpr_flat_scratch_init 0
		.amdhsa_user_sgpr_private_segment_size 0
		.amdhsa_uses_dynamic_stack 0
		.amdhsa_system_sgpr_private_segment_wavefront_offset 0
		.amdhsa_system_sgpr_workgroup_id_x 1
		.amdhsa_system_sgpr_workgroup_id_y 0
		.amdhsa_system_sgpr_workgroup_id_z 0
		.amdhsa_system_sgpr_workgroup_info 0
		.amdhsa_system_vgpr_workitem_id 0
		.amdhsa_next_free_vgpr 1
		.amdhsa_next_free_sgpr 0
		.amdhsa_reserve_vcc 0
		.amdhsa_reserve_flat_scratch 0
		.amdhsa_float_round_mode_32 0
		.amdhsa_float_round_mode_16_64 0
		.amdhsa_float_denorm_mode_32 3
		.amdhsa_float_denorm_mode_16_64 3
		.amdhsa_dx10_clamp 1
		.amdhsa_ieee_mode 1
		.amdhsa_fp16_overflow 0
		.amdhsa_exception_fp_ieee_invalid_op 0
		.amdhsa_exception_fp_denorm_src 0
		.amdhsa_exception_fp_ieee_div_zero 0
		.amdhsa_exception_fp_ieee_overflow 0
		.amdhsa_exception_fp_ieee_underflow 0
		.amdhsa_exception_fp_ieee_inexact 0
		.amdhsa_exception_int_div_zero 0
	.end_amdhsa_kernel
	.section	.text._ZN7rocprim17ROCPRIM_400000_NS6detail17trampoline_kernelINS0_14default_configENS1_29reduce_by_key_config_selectorIslN6thrust23THRUST_200600_302600_NS4plusIlEEEEZZNS1_33reduce_by_key_impl_wrapped_configILNS1_25lookback_scan_determinismE0ES3_S9_PsNS6_17constant_iteratorIiNS6_11use_defaultESE_EENS6_10device_ptrIsEENSG_IlEEPmS8_NS6_8equal_toIsEEEE10hipError_tPvRmT2_T3_mT4_T5_T6_T7_T8_P12ihipStream_tbENKUlT_T0_E_clISt17integral_constantIbLb1EES12_IbLb0EEEEDaSY_SZ_EUlSY_E_NS1_11comp_targetILNS1_3genE0ELNS1_11target_archE4294967295ELNS1_3gpuE0ELNS1_3repE0EEENS1_30default_config_static_selectorELNS0_4arch9wavefront6targetE1EEEvT1_,"axG",@progbits,_ZN7rocprim17ROCPRIM_400000_NS6detail17trampoline_kernelINS0_14default_configENS1_29reduce_by_key_config_selectorIslN6thrust23THRUST_200600_302600_NS4plusIlEEEEZZNS1_33reduce_by_key_impl_wrapped_configILNS1_25lookback_scan_determinismE0ES3_S9_PsNS6_17constant_iteratorIiNS6_11use_defaultESE_EENS6_10device_ptrIsEENSG_IlEEPmS8_NS6_8equal_toIsEEEE10hipError_tPvRmT2_T3_mT4_T5_T6_T7_T8_P12ihipStream_tbENKUlT_T0_E_clISt17integral_constantIbLb1EES12_IbLb0EEEEDaSY_SZ_EUlSY_E_NS1_11comp_targetILNS1_3genE0ELNS1_11target_archE4294967295ELNS1_3gpuE0ELNS1_3repE0EEENS1_30default_config_static_selectorELNS0_4arch9wavefront6targetE1EEEvT1_,comdat
.Lfunc_end1488:
	.size	_ZN7rocprim17ROCPRIM_400000_NS6detail17trampoline_kernelINS0_14default_configENS1_29reduce_by_key_config_selectorIslN6thrust23THRUST_200600_302600_NS4plusIlEEEEZZNS1_33reduce_by_key_impl_wrapped_configILNS1_25lookback_scan_determinismE0ES3_S9_PsNS6_17constant_iteratorIiNS6_11use_defaultESE_EENS6_10device_ptrIsEENSG_IlEEPmS8_NS6_8equal_toIsEEEE10hipError_tPvRmT2_T3_mT4_T5_T6_T7_T8_P12ihipStream_tbENKUlT_T0_E_clISt17integral_constantIbLb1EES12_IbLb0EEEEDaSY_SZ_EUlSY_E_NS1_11comp_targetILNS1_3genE0ELNS1_11target_archE4294967295ELNS1_3gpuE0ELNS1_3repE0EEENS1_30default_config_static_selectorELNS0_4arch9wavefront6targetE1EEEvT1_, .Lfunc_end1488-_ZN7rocprim17ROCPRIM_400000_NS6detail17trampoline_kernelINS0_14default_configENS1_29reduce_by_key_config_selectorIslN6thrust23THRUST_200600_302600_NS4plusIlEEEEZZNS1_33reduce_by_key_impl_wrapped_configILNS1_25lookback_scan_determinismE0ES3_S9_PsNS6_17constant_iteratorIiNS6_11use_defaultESE_EENS6_10device_ptrIsEENSG_IlEEPmS8_NS6_8equal_toIsEEEE10hipError_tPvRmT2_T3_mT4_T5_T6_T7_T8_P12ihipStream_tbENKUlT_T0_E_clISt17integral_constantIbLb1EES12_IbLb0EEEEDaSY_SZ_EUlSY_E_NS1_11comp_targetILNS1_3genE0ELNS1_11target_archE4294967295ELNS1_3gpuE0ELNS1_3repE0EEENS1_30default_config_static_selectorELNS0_4arch9wavefront6targetE1EEEvT1_
                                        ; -- End function
	.set _ZN7rocprim17ROCPRIM_400000_NS6detail17trampoline_kernelINS0_14default_configENS1_29reduce_by_key_config_selectorIslN6thrust23THRUST_200600_302600_NS4plusIlEEEEZZNS1_33reduce_by_key_impl_wrapped_configILNS1_25lookback_scan_determinismE0ES3_S9_PsNS6_17constant_iteratorIiNS6_11use_defaultESE_EENS6_10device_ptrIsEENSG_IlEEPmS8_NS6_8equal_toIsEEEE10hipError_tPvRmT2_T3_mT4_T5_T6_T7_T8_P12ihipStream_tbENKUlT_T0_E_clISt17integral_constantIbLb1EES12_IbLb0EEEEDaSY_SZ_EUlSY_E_NS1_11comp_targetILNS1_3genE0ELNS1_11target_archE4294967295ELNS1_3gpuE0ELNS1_3repE0EEENS1_30default_config_static_selectorELNS0_4arch9wavefront6targetE1EEEvT1_.num_vgpr, 0
	.set _ZN7rocprim17ROCPRIM_400000_NS6detail17trampoline_kernelINS0_14default_configENS1_29reduce_by_key_config_selectorIslN6thrust23THRUST_200600_302600_NS4plusIlEEEEZZNS1_33reduce_by_key_impl_wrapped_configILNS1_25lookback_scan_determinismE0ES3_S9_PsNS6_17constant_iteratorIiNS6_11use_defaultESE_EENS6_10device_ptrIsEENSG_IlEEPmS8_NS6_8equal_toIsEEEE10hipError_tPvRmT2_T3_mT4_T5_T6_T7_T8_P12ihipStream_tbENKUlT_T0_E_clISt17integral_constantIbLb1EES12_IbLb0EEEEDaSY_SZ_EUlSY_E_NS1_11comp_targetILNS1_3genE0ELNS1_11target_archE4294967295ELNS1_3gpuE0ELNS1_3repE0EEENS1_30default_config_static_selectorELNS0_4arch9wavefront6targetE1EEEvT1_.num_agpr, 0
	.set _ZN7rocprim17ROCPRIM_400000_NS6detail17trampoline_kernelINS0_14default_configENS1_29reduce_by_key_config_selectorIslN6thrust23THRUST_200600_302600_NS4plusIlEEEEZZNS1_33reduce_by_key_impl_wrapped_configILNS1_25lookback_scan_determinismE0ES3_S9_PsNS6_17constant_iteratorIiNS6_11use_defaultESE_EENS6_10device_ptrIsEENSG_IlEEPmS8_NS6_8equal_toIsEEEE10hipError_tPvRmT2_T3_mT4_T5_T6_T7_T8_P12ihipStream_tbENKUlT_T0_E_clISt17integral_constantIbLb1EES12_IbLb0EEEEDaSY_SZ_EUlSY_E_NS1_11comp_targetILNS1_3genE0ELNS1_11target_archE4294967295ELNS1_3gpuE0ELNS1_3repE0EEENS1_30default_config_static_selectorELNS0_4arch9wavefront6targetE1EEEvT1_.numbered_sgpr, 0
	.set _ZN7rocprim17ROCPRIM_400000_NS6detail17trampoline_kernelINS0_14default_configENS1_29reduce_by_key_config_selectorIslN6thrust23THRUST_200600_302600_NS4plusIlEEEEZZNS1_33reduce_by_key_impl_wrapped_configILNS1_25lookback_scan_determinismE0ES3_S9_PsNS6_17constant_iteratorIiNS6_11use_defaultESE_EENS6_10device_ptrIsEENSG_IlEEPmS8_NS6_8equal_toIsEEEE10hipError_tPvRmT2_T3_mT4_T5_T6_T7_T8_P12ihipStream_tbENKUlT_T0_E_clISt17integral_constantIbLb1EES12_IbLb0EEEEDaSY_SZ_EUlSY_E_NS1_11comp_targetILNS1_3genE0ELNS1_11target_archE4294967295ELNS1_3gpuE0ELNS1_3repE0EEENS1_30default_config_static_selectorELNS0_4arch9wavefront6targetE1EEEvT1_.num_named_barrier, 0
	.set _ZN7rocprim17ROCPRIM_400000_NS6detail17trampoline_kernelINS0_14default_configENS1_29reduce_by_key_config_selectorIslN6thrust23THRUST_200600_302600_NS4plusIlEEEEZZNS1_33reduce_by_key_impl_wrapped_configILNS1_25lookback_scan_determinismE0ES3_S9_PsNS6_17constant_iteratorIiNS6_11use_defaultESE_EENS6_10device_ptrIsEENSG_IlEEPmS8_NS6_8equal_toIsEEEE10hipError_tPvRmT2_T3_mT4_T5_T6_T7_T8_P12ihipStream_tbENKUlT_T0_E_clISt17integral_constantIbLb1EES12_IbLb0EEEEDaSY_SZ_EUlSY_E_NS1_11comp_targetILNS1_3genE0ELNS1_11target_archE4294967295ELNS1_3gpuE0ELNS1_3repE0EEENS1_30default_config_static_selectorELNS0_4arch9wavefront6targetE1EEEvT1_.private_seg_size, 0
	.set _ZN7rocprim17ROCPRIM_400000_NS6detail17trampoline_kernelINS0_14default_configENS1_29reduce_by_key_config_selectorIslN6thrust23THRUST_200600_302600_NS4plusIlEEEEZZNS1_33reduce_by_key_impl_wrapped_configILNS1_25lookback_scan_determinismE0ES3_S9_PsNS6_17constant_iteratorIiNS6_11use_defaultESE_EENS6_10device_ptrIsEENSG_IlEEPmS8_NS6_8equal_toIsEEEE10hipError_tPvRmT2_T3_mT4_T5_T6_T7_T8_P12ihipStream_tbENKUlT_T0_E_clISt17integral_constantIbLb1EES12_IbLb0EEEEDaSY_SZ_EUlSY_E_NS1_11comp_targetILNS1_3genE0ELNS1_11target_archE4294967295ELNS1_3gpuE0ELNS1_3repE0EEENS1_30default_config_static_selectorELNS0_4arch9wavefront6targetE1EEEvT1_.uses_vcc, 0
	.set _ZN7rocprim17ROCPRIM_400000_NS6detail17trampoline_kernelINS0_14default_configENS1_29reduce_by_key_config_selectorIslN6thrust23THRUST_200600_302600_NS4plusIlEEEEZZNS1_33reduce_by_key_impl_wrapped_configILNS1_25lookback_scan_determinismE0ES3_S9_PsNS6_17constant_iteratorIiNS6_11use_defaultESE_EENS6_10device_ptrIsEENSG_IlEEPmS8_NS6_8equal_toIsEEEE10hipError_tPvRmT2_T3_mT4_T5_T6_T7_T8_P12ihipStream_tbENKUlT_T0_E_clISt17integral_constantIbLb1EES12_IbLb0EEEEDaSY_SZ_EUlSY_E_NS1_11comp_targetILNS1_3genE0ELNS1_11target_archE4294967295ELNS1_3gpuE0ELNS1_3repE0EEENS1_30default_config_static_selectorELNS0_4arch9wavefront6targetE1EEEvT1_.uses_flat_scratch, 0
	.set _ZN7rocprim17ROCPRIM_400000_NS6detail17trampoline_kernelINS0_14default_configENS1_29reduce_by_key_config_selectorIslN6thrust23THRUST_200600_302600_NS4plusIlEEEEZZNS1_33reduce_by_key_impl_wrapped_configILNS1_25lookback_scan_determinismE0ES3_S9_PsNS6_17constant_iteratorIiNS6_11use_defaultESE_EENS6_10device_ptrIsEENSG_IlEEPmS8_NS6_8equal_toIsEEEE10hipError_tPvRmT2_T3_mT4_T5_T6_T7_T8_P12ihipStream_tbENKUlT_T0_E_clISt17integral_constantIbLb1EES12_IbLb0EEEEDaSY_SZ_EUlSY_E_NS1_11comp_targetILNS1_3genE0ELNS1_11target_archE4294967295ELNS1_3gpuE0ELNS1_3repE0EEENS1_30default_config_static_selectorELNS0_4arch9wavefront6targetE1EEEvT1_.has_dyn_sized_stack, 0
	.set _ZN7rocprim17ROCPRIM_400000_NS6detail17trampoline_kernelINS0_14default_configENS1_29reduce_by_key_config_selectorIslN6thrust23THRUST_200600_302600_NS4plusIlEEEEZZNS1_33reduce_by_key_impl_wrapped_configILNS1_25lookback_scan_determinismE0ES3_S9_PsNS6_17constant_iteratorIiNS6_11use_defaultESE_EENS6_10device_ptrIsEENSG_IlEEPmS8_NS6_8equal_toIsEEEE10hipError_tPvRmT2_T3_mT4_T5_T6_T7_T8_P12ihipStream_tbENKUlT_T0_E_clISt17integral_constantIbLb1EES12_IbLb0EEEEDaSY_SZ_EUlSY_E_NS1_11comp_targetILNS1_3genE0ELNS1_11target_archE4294967295ELNS1_3gpuE0ELNS1_3repE0EEENS1_30default_config_static_selectorELNS0_4arch9wavefront6targetE1EEEvT1_.has_recursion, 0
	.set _ZN7rocprim17ROCPRIM_400000_NS6detail17trampoline_kernelINS0_14default_configENS1_29reduce_by_key_config_selectorIslN6thrust23THRUST_200600_302600_NS4plusIlEEEEZZNS1_33reduce_by_key_impl_wrapped_configILNS1_25lookback_scan_determinismE0ES3_S9_PsNS6_17constant_iteratorIiNS6_11use_defaultESE_EENS6_10device_ptrIsEENSG_IlEEPmS8_NS6_8equal_toIsEEEE10hipError_tPvRmT2_T3_mT4_T5_T6_T7_T8_P12ihipStream_tbENKUlT_T0_E_clISt17integral_constantIbLb1EES12_IbLb0EEEEDaSY_SZ_EUlSY_E_NS1_11comp_targetILNS1_3genE0ELNS1_11target_archE4294967295ELNS1_3gpuE0ELNS1_3repE0EEENS1_30default_config_static_selectorELNS0_4arch9wavefront6targetE1EEEvT1_.has_indirect_call, 0
	.section	.AMDGPU.csdata,"",@progbits
; Kernel info:
; codeLenInByte = 0
; TotalNumSgprs: 4
; NumVgprs: 0
; ScratchSize: 0
; MemoryBound: 0
; FloatMode: 240
; IeeeMode: 1
; LDSByteSize: 0 bytes/workgroup (compile time only)
; SGPRBlocks: 0
; VGPRBlocks: 0
; NumSGPRsForWavesPerEU: 4
; NumVGPRsForWavesPerEU: 1
; Occupancy: 10
; WaveLimiterHint : 0
; COMPUTE_PGM_RSRC2:SCRATCH_EN: 0
; COMPUTE_PGM_RSRC2:USER_SGPR: 6
; COMPUTE_PGM_RSRC2:TRAP_HANDLER: 0
; COMPUTE_PGM_RSRC2:TGID_X_EN: 1
; COMPUTE_PGM_RSRC2:TGID_Y_EN: 0
; COMPUTE_PGM_RSRC2:TGID_Z_EN: 0
; COMPUTE_PGM_RSRC2:TIDIG_COMP_CNT: 0
	.section	.text._ZN7rocprim17ROCPRIM_400000_NS6detail17trampoline_kernelINS0_14default_configENS1_29reduce_by_key_config_selectorIslN6thrust23THRUST_200600_302600_NS4plusIlEEEEZZNS1_33reduce_by_key_impl_wrapped_configILNS1_25lookback_scan_determinismE0ES3_S9_PsNS6_17constant_iteratorIiNS6_11use_defaultESE_EENS6_10device_ptrIsEENSG_IlEEPmS8_NS6_8equal_toIsEEEE10hipError_tPvRmT2_T3_mT4_T5_T6_T7_T8_P12ihipStream_tbENKUlT_T0_E_clISt17integral_constantIbLb1EES12_IbLb0EEEEDaSY_SZ_EUlSY_E_NS1_11comp_targetILNS1_3genE5ELNS1_11target_archE942ELNS1_3gpuE9ELNS1_3repE0EEENS1_30default_config_static_selectorELNS0_4arch9wavefront6targetE1EEEvT1_,"axG",@progbits,_ZN7rocprim17ROCPRIM_400000_NS6detail17trampoline_kernelINS0_14default_configENS1_29reduce_by_key_config_selectorIslN6thrust23THRUST_200600_302600_NS4plusIlEEEEZZNS1_33reduce_by_key_impl_wrapped_configILNS1_25lookback_scan_determinismE0ES3_S9_PsNS6_17constant_iteratorIiNS6_11use_defaultESE_EENS6_10device_ptrIsEENSG_IlEEPmS8_NS6_8equal_toIsEEEE10hipError_tPvRmT2_T3_mT4_T5_T6_T7_T8_P12ihipStream_tbENKUlT_T0_E_clISt17integral_constantIbLb1EES12_IbLb0EEEEDaSY_SZ_EUlSY_E_NS1_11comp_targetILNS1_3genE5ELNS1_11target_archE942ELNS1_3gpuE9ELNS1_3repE0EEENS1_30default_config_static_selectorELNS0_4arch9wavefront6targetE1EEEvT1_,comdat
	.protected	_ZN7rocprim17ROCPRIM_400000_NS6detail17trampoline_kernelINS0_14default_configENS1_29reduce_by_key_config_selectorIslN6thrust23THRUST_200600_302600_NS4plusIlEEEEZZNS1_33reduce_by_key_impl_wrapped_configILNS1_25lookback_scan_determinismE0ES3_S9_PsNS6_17constant_iteratorIiNS6_11use_defaultESE_EENS6_10device_ptrIsEENSG_IlEEPmS8_NS6_8equal_toIsEEEE10hipError_tPvRmT2_T3_mT4_T5_T6_T7_T8_P12ihipStream_tbENKUlT_T0_E_clISt17integral_constantIbLb1EES12_IbLb0EEEEDaSY_SZ_EUlSY_E_NS1_11comp_targetILNS1_3genE5ELNS1_11target_archE942ELNS1_3gpuE9ELNS1_3repE0EEENS1_30default_config_static_selectorELNS0_4arch9wavefront6targetE1EEEvT1_ ; -- Begin function _ZN7rocprim17ROCPRIM_400000_NS6detail17trampoline_kernelINS0_14default_configENS1_29reduce_by_key_config_selectorIslN6thrust23THRUST_200600_302600_NS4plusIlEEEEZZNS1_33reduce_by_key_impl_wrapped_configILNS1_25lookback_scan_determinismE0ES3_S9_PsNS6_17constant_iteratorIiNS6_11use_defaultESE_EENS6_10device_ptrIsEENSG_IlEEPmS8_NS6_8equal_toIsEEEE10hipError_tPvRmT2_T3_mT4_T5_T6_T7_T8_P12ihipStream_tbENKUlT_T0_E_clISt17integral_constantIbLb1EES12_IbLb0EEEEDaSY_SZ_EUlSY_E_NS1_11comp_targetILNS1_3genE5ELNS1_11target_archE942ELNS1_3gpuE9ELNS1_3repE0EEENS1_30default_config_static_selectorELNS0_4arch9wavefront6targetE1EEEvT1_
	.globl	_ZN7rocprim17ROCPRIM_400000_NS6detail17trampoline_kernelINS0_14default_configENS1_29reduce_by_key_config_selectorIslN6thrust23THRUST_200600_302600_NS4plusIlEEEEZZNS1_33reduce_by_key_impl_wrapped_configILNS1_25lookback_scan_determinismE0ES3_S9_PsNS6_17constant_iteratorIiNS6_11use_defaultESE_EENS6_10device_ptrIsEENSG_IlEEPmS8_NS6_8equal_toIsEEEE10hipError_tPvRmT2_T3_mT4_T5_T6_T7_T8_P12ihipStream_tbENKUlT_T0_E_clISt17integral_constantIbLb1EES12_IbLb0EEEEDaSY_SZ_EUlSY_E_NS1_11comp_targetILNS1_3genE5ELNS1_11target_archE942ELNS1_3gpuE9ELNS1_3repE0EEENS1_30default_config_static_selectorELNS0_4arch9wavefront6targetE1EEEvT1_
	.p2align	8
	.type	_ZN7rocprim17ROCPRIM_400000_NS6detail17trampoline_kernelINS0_14default_configENS1_29reduce_by_key_config_selectorIslN6thrust23THRUST_200600_302600_NS4plusIlEEEEZZNS1_33reduce_by_key_impl_wrapped_configILNS1_25lookback_scan_determinismE0ES3_S9_PsNS6_17constant_iteratorIiNS6_11use_defaultESE_EENS6_10device_ptrIsEENSG_IlEEPmS8_NS6_8equal_toIsEEEE10hipError_tPvRmT2_T3_mT4_T5_T6_T7_T8_P12ihipStream_tbENKUlT_T0_E_clISt17integral_constantIbLb1EES12_IbLb0EEEEDaSY_SZ_EUlSY_E_NS1_11comp_targetILNS1_3genE5ELNS1_11target_archE942ELNS1_3gpuE9ELNS1_3repE0EEENS1_30default_config_static_selectorELNS0_4arch9wavefront6targetE1EEEvT1_,@function
_ZN7rocprim17ROCPRIM_400000_NS6detail17trampoline_kernelINS0_14default_configENS1_29reduce_by_key_config_selectorIslN6thrust23THRUST_200600_302600_NS4plusIlEEEEZZNS1_33reduce_by_key_impl_wrapped_configILNS1_25lookback_scan_determinismE0ES3_S9_PsNS6_17constant_iteratorIiNS6_11use_defaultESE_EENS6_10device_ptrIsEENSG_IlEEPmS8_NS6_8equal_toIsEEEE10hipError_tPvRmT2_T3_mT4_T5_T6_T7_T8_P12ihipStream_tbENKUlT_T0_E_clISt17integral_constantIbLb1EES12_IbLb0EEEEDaSY_SZ_EUlSY_E_NS1_11comp_targetILNS1_3genE5ELNS1_11target_archE942ELNS1_3gpuE9ELNS1_3repE0EEENS1_30default_config_static_selectorELNS0_4arch9wavefront6targetE1EEEvT1_: ; @_ZN7rocprim17ROCPRIM_400000_NS6detail17trampoline_kernelINS0_14default_configENS1_29reduce_by_key_config_selectorIslN6thrust23THRUST_200600_302600_NS4plusIlEEEEZZNS1_33reduce_by_key_impl_wrapped_configILNS1_25lookback_scan_determinismE0ES3_S9_PsNS6_17constant_iteratorIiNS6_11use_defaultESE_EENS6_10device_ptrIsEENSG_IlEEPmS8_NS6_8equal_toIsEEEE10hipError_tPvRmT2_T3_mT4_T5_T6_T7_T8_P12ihipStream_tbENKUlT_T0_E_clISt17integral_constantIbLb1EES12_IbLb0EEEEDaSY_SZ_EUlSY_E_NS1_11comp_targetILNS1_3genE5ELNS1_11target_archE942ELNS1_3gpuE9ELNS1_3repE0EEENS1_30default_config_static_selectorELNS0_4arch9wavefront6targetE1EEEvT1_
; %bb.0:
	.section	.rodata,"a",@progbits
	.p2align	6, 0x0
	.amdhsa_kernel _ZN7rocprim17ROCPRIM_400000_NS6detail17trampoline_kernelINS0_14default_configENS1_29reduce_by_key_config_selectorIslN6thrust23THRUST_200600_302600_NS4plusIlEEEEZZNS1_33reduce_by_key_impl_wrapped_configILNS1_25lookback_scan_determinismE0ES3_S9_PsNS6_17constant_iteratorIiNS6_11use_defaultESE_EENS6_10device_ptrIsEENSG_IlEEPmS8_NS6_8equal_toIsEEEE10hipError_tPvRmT2_T3_mT4_T5_T6_T7_T8_P12ihipStream_tbENKUlT_T0_E_clISt17integral_constantIbLb1EES12_IbLb0EEEEDaSY_SZ_EUlSY_E_NS1_11comp_targetILNS1_3genE5ELNS1_11target_archE942ELNS1_3gpuE9ELNS1_3repE0EEENS1_30default_config_static_selectorELNS0_4arch9wavefront6targetE1EEEvT1_
		.amdhsa_group_segment_fixed_size 0
		.amdhsa_private_segment_fixed_size 0
		.amdhsa_kernarg_size 144
		.amdhsa_user_sgpr_count 6
		.amdhsa_user_sgpr_private_segment_buffer 1
		.amdhsa_user_sgpr_dispatch_ptr 0
		.amdhsa_user_sgpr_queue_ptr 0
		.amdhsa_user_sgpr_kernarg_segment_ptr 1
		.amdhsa_user_sgpr_dispatch_id 0
		.amdhsa_user_sgpr_flat_scratch_init 0
		.amdhsa_user_sgpr_private_segment_size 0
		.amdhsa_uses_dynamic_stack 0
		.amdhsa_system_sgpr_private_segment_wavefront_offset 0
		.amdhsa_system_sgpr_workgroup_id_x 1
		.amdhsa_system_sgpr_workgroup_id_y 0
		.amdhsa_system_sgpr_workgroup_id_z 0
		.amdhsa_system_sgpr_workgroup_info 0
		.amdhsa_system_vgpr_workitem_id 0
		.amdhsa_next_free_vgpr 1
		.amdhsa_next_free_sgpr 0
		.amdhsa_reserve_vcc 0
		.amdhsa_reserve_flat_scratch 0
		.amdhsa_float_round_mode_32 0
		.amdhsa_float_round_mode_16_64 0
		.amdhsa_float_denorm_mode_32 3
		.amdhsa_float_denorm_mode_16_64 3
		.amdhsa_dx10_clamp 1
		.amdhsa_ieee_mode 1
		.amdhsa_fp16_overflow 0
		.amdhsa_exception_fp_ieee_invalid_op 0
		.amdhsa_exception_fp_denorm_src 0
		.amdhsa_exception_fp_ieee_div_zero 0
		.amdhsa_exception_fp_ieee_overflow 0
		.amdhsa_exception_fp_ieee_underflow 0
		.amdhsa_exception_fp_ieee_inexact 0
		.amdhsa_exception_int_div_zero 0
	.end_amdhsa_kernel
	.section	.text._ZN7rocprim17ROCPRIM_400000_NS6detail17trampoline_kernelINS0_14default_configENS1_29reduce_by_key_config_selectorIslN6thrust23THRUST_200600_302600_NS4plusIlEEEEZZNS1_33reduce_by_key_impl_wrapped_configILNS1_25lookback_scan_determinismE0ES3_S9_PsNS6_17constant_iteratorIiNS6_11use_defaultESE_EENS6_10device_ptrIsEENSG_IlEEPmS8_NS6_8equal_toIsEEEE10hipError_tPvRmT2_T3_mT4_T5_T6_T7_T8_P12ihipStream_tbENKUlT_T0_E_clISt17integral_constantIbLb1EES12_IbLb0EEEEDaSY_SZ_EUlSY_E_NS1_11comp_targetILNS1_3genE5ELNS1_11target_archE942ELNS1_3gpuE9ELNS1_3repE0EEENS1_30default_config_static_selectorELNS0_4arch9wavefront6targetE1EEEvT1_,"axG",@progbits,_ZN7rocprim17ROCPRIM_400000_NS6detail17trampoline_kernelINS0_14default_configENS1_29reduce_by_key_config_selectorIslN6thrust23THRUST_200600_302600_NS4plusIlEEEEZZNS1_33reduce_by_key_impl_wrapped_configILNS1_25lookback_scan_determinismE0ES3_S9_PsNS6_17constant_iteratorIiNS6_11use_defaultESE_EENS6_10device_ptrIsEENSG_IlEEPmS8_NS6_8equal_toIsEEEE10hipError_tPvRmT2_T3_mT4_T5_T6_T7_T8_P12ihipStream_tbENKUlT_T0_E_clISt17integral_constantIbLb1EES12_IbLb0EEEEDaSY_SZ_EUlSY_E_NS1_11comp_targetILNS1_3genE5ELNS1_11target_archE942ELNS1_3gpuE9ELNS1_3repE0EEENS1_30default_config_static_selectorELNS0_4arch9wavefront6targetE1EEEvT1_,comdat
.Lfunc_end1489:
	.size	_ZN7rocprim17ROCPRIM_400000_NS6detail17trampoline_kernelINS0_14default_configENS1_29reduce_by_key_config_selectorIslN6thrust23THRUST_200600_302600_NS4plusIlEEEEZZNS1_33reduce_by_key_impl_wrapped_configILNS1_25lookback_scan_determinismE0ES3_S9_PsNS6_17constant_iteratorIiNS6_11use_defaultESE_EENS6_10device_ptrIsEENSG_IlEEPmS8_NS6_8equal_toIsEEEE10hipError_tPvRmT2_T3_mT4_T5_T6_T7_T8_P12ihipStream_tbENKUlT_T0_E_clISt17integral_constantIbLb1EES12_IbLb0EEEEDaSY_SZ_EUlSY_E_NS1_11comp_targetILNS1_3genE5ELNS1_11target_archE942ELNS1_3gpuE9ELNS1_3repE0EEENS1_30default_config_static_selectorELNS0_4arch9wavefront6targetE1EEEvT1_, .Lfunc_end1489-_ZN7rocprim17ROCPRIM_400000_NS6detail17trampoline_kernelINS0_14default_configENS1_29reduce_by_key_config_selectorIslN6thrust23THRUST_200600_302600_NS4plusIlEEEEZZNS1_33reduce_by_key_impl_wrapped_configILNS1_25lookback_scan_determinismE0ES3_S9_PsNS6_17constant_iteratorIiNS6_11use_defaultESE_EENS6_10device_ptrIsEENSG_IlEEPmS8_NS6_8equal_toIsEEEE10hipError_tPvRmT2_T3_mT4_T5_T6_T7_T8_P12ihipStream_tbENKUlT_T0_E_clISt17integral_constantIbLb1EES12_IbLb0EEEEDaSY_SZ_EUlSY_E_NS1_11comp_targetILNS1_3genE5ELNS1_11target_archE942ELNS1_3gpuE9ELNS1_3repE0EEENS1_30default_config_static_selectorELNS0_4arch9wavefront6targetE1EEEvT1_
                                        ; -- End function
	.set _ZN7rocprim17ROCPRIM_400000_NS6detail17trampoline_kernelINS0_14default_configENS1_29reduce_by_key_config_selectorIslN6thrust23THRUST_200600_302600_NS4plusIlEEEEZZNS1_33reduce_by_key_impl_wrapped_configILNS1_25lookback_scan_determinismE0ES3_S9_PsNS6_17constant_iteratorIiNS6_11use_defaultESE_EENS6_10device_ptrIsEENSG_IlEEPmS8_NS6_8equal_toIsEEEE10hipError_tPvRmT2_T3_mT4_T5_T6_T7_T8_P12ihipStream_tbENKUlT_T0_E_clISt17integral_constantIbLb1EES12_IbLb0EEEEDaSY_SZ_EUlSY_E_NS1_11comp_targetILNS1_3genE5ELNS1_11target_archE942ELNS1_3gpuE9ELNS1_3repE0EEENS1_30default_config_static_selectorELNS0_4arch9wavefront6targetE1EEEvT1_.num_vgpr, 0
	.set _ZN7rocprim17ROCPRIM_400000_NS6detail17trampoline_kernelINS0_14default_configENS1_29reduce_by_key_config_selectorIslN6thrust23THRUST_200600_302600_NS4plusIlEEEEZZNS1_33reduce_by_key_impl_wrapped_configILNS1_25lookback_scan_determinismE0ES3_S9_PsNS6_17constant_iteratorIiNS6_11use_defaultESE_EENS6_10device_ptrIsEENSG_IlEEPmS8_NS6_8equal_toIsEEEE10hipError_tPvRmT2_T3_mT4_T5_T6_T7_T8_P12ihipStream_tbENKUlT_T0_E_clISt17integral_constantIbLb1EES12_IbLb0EEEEDaSY_SZ_EUlSY_E_NS1_11comp_targetILNS1_3genE5ELNS1_11target_archE942ELNS1_3gpuE9ELNS1_3repE0EEENS1_30default_config_static_selectorELNS0_4arch9wavefront6targetE1EEEvT1_.num_agpr, 0
	.set _ZN7rocprim17ROCPRIM_400000_NS6detail17trampoline_kernelINS0_14default_configENS1_29reduce_by_key_config_selectorIslN6thrust23THRUST_200600_302600_NS4plusIlEEEEZZNS1_33reduce_by_key_impl_wrapped_configILNS1_25lookback_scan_determinismE0ES3_S9_PsNS6_17constant_iteratorIiNS6_11use_defaultESE_EENS6_10device_ptrIsEENSG_IlEEPmS8_NS6_8equal_toIsEEEE10hipError_tPvRmT2_T3_mT4_T5_T6_T7_T8_P12ihipStream_tbENKUlT_T0_E_clISt17integral_constantIbLb1EES12_IbLb0EEEEDaSY_SZ_EUlSY_E_NS1_11comp_targetILNS1_3genE5ELNS1_11target_archE942ELNS1_3gpuE9ELNS1_3repE0EEENS1_30default_config_static_selectorELNS0_4arch9wavefront6targetE1EEEvT1_.numbered_sgpr, 0
	.set _ZN7rocprim17ROCPRIM_400000_NS6detail17trampoline_kernelINS0_14default_configENS1_29reduce_by_key_config_selectorIslN6thrust23THRUST_200600_302600_NS4plusIlEEEEZZNS1_33reduce_by_key_impl_wrapped_configILNS1_25lookback_scan_determinismE0ES3_S9_PsNS6_17constant_iteratorIiNS6_11use_defaultESE_EENS6_10device_ptrIsEENSG_IlEEPmS8_NS6_8equal_toIsEEEE10hipError_tPvRmT2_T3_mT4_T5_T6_T7_T8_P12ihipStream_tbENKUlT_T0_E_clISt17integral_constantIbLb1EES12_IbLb0EEEEDaSY_SZ_EUlSY_E_NS1_11comp_targetILNS1_3genE5ELNS1_11target_archE942ELNS1_3gpuE9ELNS1_3repE0EEENS1_30default_config_static_selectorELNS0_4arch9wavefront6targetE1EEEvT1_.num_named_barrier, 0
	.set _ZN7rocprim17ROCPRIM_400000_NS6detail17trampoline_kernelINS0_14default_configENS1_29reduce_by_key_config_selectorIslN6thrust23THRUST_200600_302600_NS4plusIlEEEEZZNS1_33reduce_by_key_impl_wrapped_configILNS1_25lookback_scan_determinismE0ES3_S9_PsNS6_17constant_iteratorIiNS6_11use_defaultESE_EENS6_10device_ptrIsEENSG_IlEEPmS8_NS6_8equal_toIsEEEE10hipError_tPvRmT2_T3_mT4_T5_T6_T7_T8_P12ihipStream_tbENKUlT_T0_E_clISt17integral_constantIbLb1EES12_IbLb0EEEEDaSY_SZ_EUlSY_E_NS1_11comp_targetILNS1_3genE5ELNS1_11target_archE942ELNS1_3gpuE9ELNS1_3repE0EEENS1_30default_config_static_selectorELNS0_4arch9wavefront6targetE1EEEvT1_.private_seg_size, 0
	.set _ZN7rocprim17ROCPRIM_400000_NS6detail17trampoline_kernelINS0_14default_configENS1_29reduce_by_key_config_selectorIslN6thrust23THRUST_200600_302600_NS4plusIlEEEEZZNS1_33reduce_by_key_impl_wrapped_configILNS1_25lookback_scan_determinismE0ES3_S9_PsNS6_17constant_iteratorIiNS6_11use_defaultESE_EENS6_10device_ptrIsEENSG_IlEEPmS8_NS6_8equal_toIsEEEE10hipError_tPvRmT2_T3_mT4_T5_T6_T7_T8_P12ihipStream_tbENKUlT_T0_E_clISt17integral_constantIbLb1EES12_IbLb0EEEEDaSY_SZ_EUlSY_E_NS1_11comp_targetILNS1_3genE5ELNS1_11target_archE942ELNS1_3gpuE9ELNS1_3repE0EEENS1_30default_config_static_selectorELNS0_4arch9wavefront6targetE1EEEvT1_.uses_vcc, 0
	.set _ZN7rocprim17ROCPRIM_400000_NS6detail17trampoline_kernelINS0_14default_configENS1_29reduce_by_key_config_selectorIslN6thrust23THRUST_200600_302600_NS4plusIlEEEEZZNS1_33reduce_by_key_impl_wrapped_configILNS1_25lookback_scan_determinismE0ES3_S9_PsNS6_17constant_iteratorIiNS6_11use_defaultESE_EENS6_10device_ptrIsEENSG_IlEEPmS8_NS6_8equal_toIsEEEE10hipError_tPvRmT2_T3_mT4_T5_T6_T7_T8_P12ihipStream_tbENKUlT_T0_E_clISt17integral_constantIbLb1EES12_IbLb0EEEEDaSY_SZ_EUlSY_E_NS1_11comp_targetILNS1_3genE5ELNS1_11target_archE942ELNS1_3gpuE9ELNS1_3repE0EEENS1_30default_config_static_selectorELNS0_4arch9wavefront6targetE1EEEvT1_.uses_flat_scratch, 0
	.set _ZN7rocprim17ROCPRIM_400000_NS6detail17trampoline_kernelINS0_14default_configENS1_29reduce_by_key_config_selectorIslN6thrust23THRUST_200600_302600_NS4plusIlEEEEZZNS1_33reduce_by_key_impl_wrapped_configILNS1_25lookback_scan_determinismE0ES3_S9_PsNS6_17constant_iteratorIiNS6_11use_defaultESE_EENS6_10device_ptrIsEENSG_IlEEPmS8_NS6_8equal_toIsEEEE10hipError_tPvRmT2_T3_mT4_T5_T6_T7_T8_P12ihipStream_tbENKUlT_T0_E_clISt17integral_constantIbLb1EES12_IbLb0EEEEDaSY_SZ_EUlSY_E_NS1_11comp_targetILNS1_3genE5ELNS1_11target_archE942ELNS1_3gpuE9ELNS1_3repE0EEENS1_30default_config_static_selectorELNS0_4arch9wavefront6targetE1EEEvT1_.has_dyn_sized_stack, 0
	.set _ZN7rocprim17ROCPRIM_400000_NS6detail17trampoline_kernelINS0_14default_configENS1_29reduce_by_key_config_selectorIslN6thrust23THRUST_200600_302600_NS4plusIlEEEEZZNS1_33reduce_by_key_impl_wrapped_configILNS1_25lookback_scan_determinismE0ES3_S9_PsNS6_17constant_iteratorIiNS6_11use_defaultESE_EENS6_10device_ptrIsEENSG_IlEEPmS8_NS6_8equal_toIsEEEE10hipError_tPvRmT2_T3_mT4_T5_T6_T7_T8_P12ihipStream_tbENKUlT_T0_E_clISt17integral_constantIbLb1EES12_IbLb0EEEEDaSY_SZ_EUlSY_E_NS1_11comp_targetILNS1_3genE5ELNS1_11target_archE942ELNS1_3gpuE9ELNS1_3repE0EEENS1_30default_config_static_selectorELNS0_4arch9wavefront6targetE1EEEvT1_.has_recursion, 0
	.set _ZN7rocprim17ROCPRIM_400000_NS6detail17trampoline_kernelINS0_14default_configENS1_29reduce_by_key_config_selectorIslN6thrust23THRUST_200600_302600_NS4plusIlEEEEZZNS1_33reduce_by_key_impl_wrapped_configILNS1_25lookback_scan_determinismE0ES3_S9_PsNS6_17constant_iteratorIiNS6_11use_defaultESE_EENS6_10device_ptrIsEENSG_IlEEPmS8_NS6_8equal_toIsEEEE10hipError_tPvRmT2_T3_mT4_T5_T6_T7_T8_P12ihipStream_tbENKUlT_T0_E_clISt17integral_constantIbLb1EES12_IbLb0EEEEDaSY_SZ_EUlSY_E_NS1_11comp_targetILNS1_3genE5ELNS1_11target_archE942ELNS1_3gpuE9ELNS1_3repE0EEENS1_30default_config_static_selectorELNS0_4arch9wavefront6targetE1EEEvT1_.has_indirect_call, 0
	.section	.AMDGPU.csdata,"",@progbits
; Kernel info:
; codeLenInByte = 0
; TotalNumSgprs: 4
; NumVgprs: 0
; ScratchSize: 0
; MemoryBound: 0
; FloatMode: 240
; IeeeMode: 1
; LDSByteSize: 0 bytes/workgroup (compile time only)
; SGPRBlocks: 0
; VGPRBlocks: 0
; NumSGPRsForWavesPerEU: 4
; NumVGPRsForWavesPerEU: 1
; Occupancy: 10
; WaveLimiterHint : 0
; COMPUTE_PGM_RSRC2:SCRATCH_EN: 0
; COMPUTE_PGM_RSRC2:USER_SGPR: 6
; COMPUTE_PGM_RSRC2:TRAP_HANDLER: 0
; COMPUTE_PGM_RSRC2:TGID_X_EN: 1
; COMPUTE_PGM_RSRC2:TGID_Y_EN: 0
; COMPUTE_PGM_RSRC2:TGID_Z_EN: 0
; COMPUTE_PGM_RSRC2:TIDIG_COMP_CNT: 0
	.section	.text._ZN7rocprim17ROCPRIM_400000_NS6detail17trampoline_kernelINS0_14default_configENS1_29reduce_by_key_config_selectorIslN6thrust23THRUST_200600_302600_NS4plusIlEEEEZZNS1_33reduce_by_key_impl_wrapped_configILNS1_25lookback_scan_determinismE0ES3_S9_PsNS6_17constant_iteratorIiNS6_11use_defaultESE_EENS6_10device_ptrIsEENSG_IlEEPmS8_NS6_8equal_toIsEEEE10hipError_tPvRmT2_T3_mT4_T5_T6_T7_T8_P12ihipStream_tbENKUlT_T0_E_clISt17integral_constantIbLb1EES12_IbLb0EEEEDaSY_SZ_EUlSY_E_NS1_11comp_targetILNS1_3genE4ELNS1_11target_archE910ELNS1_3gpuE8ELNS1_3repE0EEENS1_30default_config_static_selectorELNS0_4arch9wavefront6targetE1EEEvT1_,"axG",@progbits,_ZN7rocprim17ROCPRIM_400000_NS6detail17trampoline_kernelINS0_14default_configENS1_29reduce_by_key_config_selectorIslN6thrust23THRUST_200600_302600_NS4plusIlEEEEZZNS1_33reduce_by_key_impl_wrapped_configILNS1_25lookback_scan_determinismE0ES3_S9_PsNS6_17constant_iteratorIiNS6_11use_defaultESE_EENS6_10device_ptrIsEENSG_IlEEPmS8_NS6_8equal_toIsEEEE10hipError_tPvRmT2_T3_mT4_T5_T6_T7_T8_P12ihipStream_tbENKUlT_T0_E_clISt17integral_constantIbLb1EES12_IbLb0EEEEDaSY_SZ_EUlSY_E_NS1_11comp_targetILNS1_3genE4ELNS1_11target_archE910ELNS1_3gpuE8ELNS1_3repE0EEENS1_30default_config_static_selectorELNS0_4arch9wavefront6targetE1EEEvT1_,comdat
	.protected	_ZN7rocprim17ROCPRIM_400000_NS6detail17trampoline_kernelINS0_14default_configENS1_29reduce_by_key_config_selectorIslN6thrust23THRUST_200600_302600_NS4plusIlEEEEZZNS1_33reduce_by_key_impl_wrapped_configILNS1_25lookback_scan_determinismE0ES3_S9_PsNS6_17constant_iteratorIiNS6_11use_defaultESE_EENS6_10device_ptrIsEENSG_IlEEPmS8_NS6_8equal_toIsEEEE10hipError_tPvRmT2_T3_mT4_T5_T6_T7_T8_P12ihipStream_tbENKUlT_T0_E_clISt17integral_constantIbLb1EES12_IbLb0EEEEDaSY_SZ_EUlSY_E_NS1_11comp_targetILNS1_3genE4ELNS1_11target_archE910ELNS1_3gpuE8ELNS1_3repE0EEENS1_30default_config_static_selectorELNS0_4arch9wavefront6targetE1EEEvT1_ ; -- Begin function _ZN7rocprim17ROCPRIM_400000_NS6detail17trampoline_kernelINS0_14default_configENS1_29reduce_by_key_config_selectorIslN6thrust23THRUST_200600_302600_NS4plusIlEEEEZZNS1_33reduce_by_key_impl_wrapped_configILNS1_25lookback_scan_determinismE0ES3_S9_PsNS6_17constant_iteratorIiNS6_11use_defaultESE_EENS6_10device_ptrIsEENSG_IlEEPmS8_NS6_8equal_toIsEEEE10hipError_tPvRmT2_T3_mT4_T5_T6_T7_T8_P12ihipStream_tbENKUlT_T0_E_clISt17integral_constantIbLb1EES12_IbLb0EEEEDaSY_SZ_EUlSY_E_NS1_11comp_targetILNS1_3genE4ELNS1_11target_archE910ELNS1_3gpuE8ELNS1_3repE0EEENS1_30default_config_static_selectorELNS0_4arch9wavefront6targetE1EEEvT1_
	.globl	_ZN7rocprim17ROCPRIM_400000_NS6detail17trampoline_kernelINS0_14default_configENS1_29reduce_by_key_config_selectorIslN6thrust23THRUST_200600_302600_NS4plusIlEEEEZZNS1_33reduce_by_key_impl_wrapped_configILNS1_25lookback_scan_determinismE0ES3_S9_PsNS6_17constant_iteratorIiNS6_11use_defaultESE_EENS6_10device_ptrIsEENSG_IlEEPmS8_NS6_8equal_toIsEEEE10hipError_tPvRmT2_T3_mT4_T5_T6_T7_T8_P12ihipStream_tbENKUlT_T0_E_clISt17integral_constantIbLb1EES12_IbLb0EEEEDaSY_SZ_EUlSY_E_NS1_11comp_targetILNS1_3genE4ELNS1_11target_archE910ELNS1_3gpuE8ELNS1_3repE0EEENS1_30default_config_static_selectorELNS0_4arch9wavefront6targetE1EEEvT1_
	.p2align	8
	.type	_ZN7rocprim17ROCPRIM_400000_NS6detail17trampoline_kernelINS0_14default_configENS1_29reduce_by_key_config_selectorIslN6thrust23THRUST_200600_302600_NS4plusIlEEEEZZNS1_33reduce_by_key_impl_wrapped_configILNS1_25lookback_scan_determinismE0ES3_S9_PsNS6_17constant_iteratorIiNS6_11use_defaultESE_EENS6_10device_ptrIsEENSG_IlEEPmS8_NS6_8equal_toIsEEEE10hipError_tPvRmT2_T3_mT4_T5_T6_T7_T8_P12ihipStream_tbENKUlT_T0_E_clISt17integral_constantIbLb1EES12_IbLb0EEEEDaSY_SZ_EUlSY_E_NS1_11comp_targetILNS1_3genE4ELNS1_11target_archE910ELNS1_3gpuE8ELNS1_3repE0EEENS1_30default_config_static_selectorELNS0_4arch9wavefront6targetE1EEEvT1_,@function
_ZN7rocprim17ROCPRIM_400000_NS6detail17trampoline_kernelINS0_14default_configENS1_29reduce_by_key_config_selectorIslN6thrust23THRUST_200600_302600_NS4plusIlEEEEZZNS1_33reduce_by_key_impl_wrapped_configILNS1_25lookback_scan_determinismE0ES3_S9_PsNS6_17constant_iteratorIiNS6_11use_defaultESE_EENS6_10device_ptrIsEENSG_IlEEPmS8_NS6_8equal_toIsEEEE10hipError_tPvRmT2_T3_mT4_T5_T6_T7_T8_P12ihipStream_tbENKUlT_T0_E_clISt17integral_constantIbLb1EES12_IbLb0EEEEDaSY_SZ_EUlSY_E_NS1_11comp_targetILNS1_3genE4ELNS1_11target_archE910ELNS1_3gpuE8ELNS1_3repE0EEENS1_30default_config_static_selectorELNS0_4arch9wavefront6targetE1EEEvT1_: ; @_ZN7rocprim17ROCPRIM_400000_NS6detail17trampoline_kernelINS0_14default_configENS1_29reduce_by_key_config_selectorIslN6thrust23THRUST_200600_302600_NS4plusIlEEEEZZNS1_33reduce_by_key_impl_wrapped_configILNS1_25lookback_scan_determinismE0ES3_S9_PsNS6_17constant_iteratorIiNS6_11use_defaultESE_EENS6_10device_ptrIsEENSG_IlEEPmS8_NS6_8equal_toIsEEEE10hipError_tPvRmT2_T3_mT4_T5_T6_T7_T8_P12ihipStream_tbENKUlT_T0_E_clISt17integral_constantIbLb1EES12_IbLb0EEEEDaSY_SZ_EUlSY_E_NS1_11comp_targetILNS1_3genE4ELNS1_11target_archE910ELNS1_3gpuE8ELNS1_3repE0EEENS1_30default_config_static_selectorELNS0_4arch9wavefront6targetE1EEEvT1_
; %bb.0:
	.section	.rodata,"a",@progbits
	.p2align	6, 0x0
	.amdhsa_kernel _ZN7rocprim17ROCPRIM_400000_NS6detail17trampoline_kernelINS0_14default_configENS1_29reduce_by_key_config_selectorIslN6thrust23THRUST_200600_302600_NS4plusIlEEEEZZNS1_33reduce_by_key_impl_wrapped_configILNS1_25lookback_scan_determinismE0ES3_S9_PsNS6_17constant_iteratorIiNS6_11use_defaultESE_EENS6_10device_ptrIsEENSG_IlEEPmS8_NS6_8equal_toIsEEEE10hipError_tPvRmT2_T3_mT4_T5_T6_T7_T8_P12ihipStream_tbENKUlT_T0_E_clISt17integral_constantIbLb1EES12_IbLb0EEEEDaSY_SZ_EUlSY_E_NS1_11comp_targetILNS1_3genE4ELNS1_11target_archE910ELNS1_3gpuE8ELNS1_3repE0EEENS1_30default_config_static_selectorELNS0_4arch9wavefront6targetE1EEEvT1_
		.amdhsa_group_segment_fixed_size 0
		.amdhsa_private_segment_fixed_size 0
		.amdhsa_kernarg_size 144
		.amdhsa_user_sgpr_count 6
		.amdhsa_user_sgpr_private_segment_buffer 1
		.amdhsa_user_sgpr_dispatch_ptr 0
		.amdhsa_user_sgpr_queue_ptr 0
		.amdhsa_user_sgpr_kernarg_segment_ptr 1
		.amdhsa_user_sgpr_dispatch_id 0
		.amdhsa_user_sgpr_flat_scratch_init 0
		.amdhsa_user_sgpr_private_segment_size 0
		.amdhsa_uses_dynamic_stack 0
		.amdhsa_system_sgpr_private_segment_wavefront_offset 0
		.amdhsa_system_sgpr_workgroup_id_x 1
		.amdhsa_system_sgpr_workgroup_id_y 0
		.amdhsa_system_sgpr_workgroup_id_z 0
		.amdhsa_system_sgpr_workgroup_info 0
		.amdhsa_system_vgpr_workitem_id 0
		.amdhsa_next_free_vgpr 1
		.amdhsa_next_free_sgpr 0
		.amdhsa_reserve_vcc 0
		.amdhsa_reserve_flat_scratch 0
		.amdhsa_float_round_mode_32 0
		.amdhsa_float_round_mode_16_64 0
		.amdhsa_float_denorm_mode_32 3
		.amdhsa_float_denorm_mode_16_64 3
		.amdhsa_dx10_clamp 1
		.amdhsa_ieee_mode 1
		.amdhsa_fp16_overflow 0
		.amdhsa_exception_fp_ieee_invalid_op 0
		.amdhsa_exception_fp_denorm_src 0
		.amdhsa_exception_fp_ieee_div_zero 0
		.amdhsa_exception_fp_ieee_overflow 0
		.amdhsa_exception_fp_ieee_underflow 0
		.amdhsa_exception_fp_ieee_inexact 0
		.amdhsa_exception_int_div_zero 0
	.end_amdhsa_kernel
	.section	.text._ZN7rocprim17ROCPRIM_400000_NS6detail17trampoline_kernelINS0_14default_configENS1_29reduce_by_key_config_selectorIslN6thrust23THRUST_200600_302600_NS4plusIlEEEEZZNS1_33reduce_by_key_impl_wrapped_configILNS1_25lookback_scan_determinismE0ES3_S9_PsNS6_17constant_iteratorIiNS6_11use_defaultESE_EENS6_10device_ptrIsEENSG_IlEEPmS8_NS6_8equal_toIsEEEE10hipError_tPvRmT2_T3_mT4_T5_T6_T7_T8_P12ihipStream_tbENKUlT_T0_E_clISt17integral_constantIbLb1EES12_IbLb0EEEEDaSY_SZ_EUlSY_E_NS1_11comp_targetILNS1_3genE4ELNS1_11target_archE910ELNS1_3gpuE8ELNS1_3repE0EEENS1_30default_config_static_selectorELNS0_4arch9wavefront6targetE1EEEvT1_,"axG",@progbits,_ZN7rocprim17ROCPRIM_400000_NS6detail17trampoline_kernelINS0_14default_configENS1_29reduce_by_key_config_selectorIslN6thrust23THRUST_200600_302600_NS4plusIlEEEEZZNS1_33reduce_by_key_impl_wrapped_configILNS1_25lookback_scan_determinismE0ES3_S9_PsNS6_17constant_iteratorIiNS6_11use_defaultESE_EENS6_10device_ptrIsEENSG_IlEEPmS8_NS6_8equal_toIsEEEE10hipError_tPvRmT2_T3_mT4_T5_T6_T7_T8_P12ihipStream_tbENKUlT_T0_E_clISt17integral_constantIbLb1EES12_IbLb0EEEEDaSY_SZ_EUlSY_E_NS1_11comp_targetILNS1_3genE4ELNS1_11target_archE910ELNS1_3gpuE8ELNS1_3repE0EEENS1_30default_config_static_selectorELNS0_4arch9wavefront6targetE1EEEvT1_,comdat
.Lfunc_end1490:
	.size	_ZN7rocprim17ROCPRIM_400000_NS6detail17trampoline_kernelINS0_14default_configENS1_29reduce_by_key_config_selectorIslN6thrust23THRUST_200600_302600_NS4plusIlEEEEZZNS1_33reduce_by_key_impl_wrapped_configILNS1_25lookback_scan_determinismE0ES3_S9_PsNS6_17constant_iteratorIiNS6_11use_defaultESE_EENS6_10device_ptrIsEENSG_IlEEPmS8_NS6_8equal_toIsEEEE10hipError_tPvRmT2_T3_mT4_T5_T6_T7_T8_P12ihipStream_tbENKUlT_T0_E_clISt17integral_constantIbLb1EES12_IbLb0EEEEDaSY_SZ_EUlSY_E_NS1_11comp_targetILNS1_3genE4ELNS1_11target_archE910ELNS1_3gpuE8ELNS1_3repE0EEENS1_30default_config_static_selectorELNS0_4arch9wavefront6targetE1EEEvT1_, .Lfunc_end1490-_ZN7rocprim17ROCPRIM_400000_NS6detail17trampoline_kernelINS0_14default_configENS1_29reduce_by_key_config_selectorIslN6thrust23THRUST_200600_302600_NS4plusIlEEEEZZNS1_33reduce_by_key_impl_wrapped_configILNS1_25lookback_scan_determinismE0ES3_S9_PsNS6_17constant_iteratorIiNS6_11use_defaultESE_EENS6_10device_ptrIsEENSG_IlEEPmS8_NS6_8equal_toIsEEEE10hipError_tPvRmT2_T3_mT4_T5_T6_T7_T8_P12ihipStream_tbENKUlT_T0_E_clISt17integral_constantIbLb1EES12_IbLb0EEEEDaSY_SZ_EUlSY_E_NS1_11comp_targetILNS1_3genE4ELNS1_11target_archE910ELNS1_3gpuE8ELNS1_3repE0EEENS1_30default_config_static_selectorELNS0_4arch9wavefront6targetE1EEEvT1_
                                        ; -- End function
	.set _ZN7rocprim17ROCPRIM_400000_NS6detail17trampoline_kernelINS0_14default_configENS1_29reduce_by_key_config_selectorIslN6thrust23THRUST_200600_302600_NS4plusIlEEEEZZNS1_33reduce_by_key_impl_wrapped_configILNS1_25lookback_scan_determinismE0ES3_S9_PsNS6_17constant_iteratorIiNS6_11use_defaultESE_EENS6_10device_ptrIsEENSG_IlEEPmS8_NS6_8equal_toIsEEEE10hipError_tPvRmT2_T3_mT4_T5_T6_T7_T8_P12ihipStream_tbENKUlT_T0_E_clISt17integral_constantIbLb1EES12_IbLb0EEEEDaSY_SZ_EUlSY_E_NS1_11comp_targetILNS1_3genE4ELNS1_11target_archE910ELNS1_3gpuE8ELNS1_3repE0EEENS1_30default_config_static_selectorELNS0_4arch9wavefront6targetE1EEEvT1_.num_vgpr, 0
	.set _ZN7rocprim17ROCPRIM_400000_NS6detail17trampoline_kernelINS0_14default_configENS1_29reduce_by_key_config_selectorIslN6thrust23THRUST_200600_302600_NS4plusIlEEEEZZNS1_33reduce_by_key_impl_wrapped_configILNS1_25lookback_scan_determinismE0ES3_S9_PsNS6_17constant_iteratorIiNS6_11use_defaultESE_EENS6_10device_ptrIsEENSG_IlEEPmS8_NS6_8equal_toIsEEEE10hipError_tPvRmT2_T3_mT4_T5_T6_T7_T8_P12ihipStream_tbENKUlT_T0_E_clISt17integral_constantIbLb1EES12_IbLb0EEEEDaSY_SZ_EUlSY_E_NS1_11comp_targetILNS1_3genE4ELNS1_11target_archE910ELNS1_3gpuE8ELNS1_3repE0EEENS1_30default_config_static_selectorELNS0_4arch9wavefront6targetE1EEEvT1_.num_agpr, 0
	.set _ZN7rocprim17ROCPRIM_400000_NS6detail17trampoline_kernelINS0_14default_configENS1_29reduce_by_key_config_selectorIslN6thrust23THRUST_200600_302600_NS4plusIlEEEEZZNS1_33reduce_by_key_impl_wrapped_configILNS1_25lookback_scan_determinismE0ES3_S9_PsNS6_17constant_iteratorIiNS6_11use_defaultESE_EENS6_10device_ptrIsEENSG_IlEEPmS8_NS6_8equal_toIsEEEE10hipError_tPvRmT2_T3_mT4_T5_T6_T7_T8_P12ihipStream_tbENKUlT_T0_E_clISt17integral_constantIbLb1EES12_IbLb0EEEEDaSY_SZ_EUlSY_E_NS1_11comp_targetILNS1_3genE4ELNS1_11target_archE910ELNS1_3gpuE8ELNS1_3repE0EEENS1_30default_config_static_selectorELNS0_4arch9wavefront6targetE1EEEvT1_.numbered_sgpr, 0
	.set _ZN7rocprim17ROCPRIM_400000_NS6detail17trampoline_kernelINS0_14default_configENS1_29reduce_by_key_config_selectorIslN6thrust23THRUST_200600_302600_NS4plusIlEEEEZZNS1_33reduce_by_key_impl_wrapped_configILNS1_25lookback_scan_determinismE0ES3_S9_PsNS6_17constant_iteratorIiNS6_11use_defaultESE_EENS6_10device_ptrIsEENSG_IlEEPmS8_NS6_8equal_toIsEEEE10hipError_tPvRmT2_T3_mT4_T5_T6_T7_T8_P12ihipStream_tbENKUlT_T0_E_clISt17integral_constantIbLb1EES12_IbLb0EEEEDaSY_SZ_EUlSY_E_NS1_11comp_targetILNS1_3genE4ELNS1_11target_archE910ELNS1_3gpuE8ELNS1_3repE0EEENS1_30default_config_static_selectorELNS0_4arch9wavefront6targetE1EEEvT1_.num_named_barrier, 0
	.set _ZN7rocprim17ROCPRIM_400000_NS6detail17trampoline_kernelINS0_14default_configENS1_29reduce_by_key_config_selectorIslN6thrust23THRUST_200600_302600_NS4plusIlEEEEZZNS1_33reduce_by_key_impl_wrapped_configILNS1_25lookback_scan_determinismE0ES3_S9_PsNS6_17constant_iteratorIiNS6_11use_defaultESE_EENS6_10device_ptrIsEENSG_IlEEPmS8_NS6_8equal_toIsEEEE10hipError_tPvRmT2_T3_mT4_T5_T6_T7_T8_P12ihipStream_tbENKUlT_T0_E_clISt17integral_constantIbLb1EES12_IbLb0EEEEDaSY_SZ_EUlSY_E_NS1_11comp_targetILNS1_3genE4ELNS1_11target_archE910ELNS1_3gpuE8ELNS1_3repE0EEENS1_30default_config_static_selectorELNS0_4arch9wavefront6targetE1EEEvT1_.private_seg_size, 0
	.set _ZN7rocprim17ROCPRIM_400000_NS6detail17trampoline_kernelINS0_14default_configENS1_29reduce_by_key_config_selectorIslN6thrust23THRUST_200600_302600_NS4plusIlEEEEZZNS1_33reduce_by_key_impl_wrapped_configILNS1_25lookback_scan_determinismE0ES3_S9_PsNS6_17constant_iteratorIiNS6_11use_defaultESE_EENS6_10device_ptrIsEENSG_IlEEPmS8_NS6_8equal_toIsEEEE10hipError_tPvRmT2_T3_mT4_T5_T6_T7_T8_P12ihipStream_tbENKUlT_T0_E_clISt17integral_constantIbLb1EES12_IbLb0EEEEDaSY_SZ_EUlSY_E_NS1_11comp_targetILNS1_3genE4ELNS1_11target_archE910ELNS1_3gpuE8ELNS1_3repE0EEENS1_30default_config_static_selectorELNS0_4arch9wavefront6targetE1EEEvT1_.uses_vcc, 0
	.set _ZN7rocprim17ROCPRIM_400000_NS6detail17trampoline_kernelINS0_14default_configENS1_29reduce_by_key_config_selectorIslN6thrust23THRUST_200600_302600_NS4plusIlEEEEZZNS1_33reduce_by_key_impl_wrapped_configILNS1_25lookback_scan_determinismE0ES3_S9_PsNS6_17constant_iteratorIiNS6_11use_defaultESE_EENS6_10device_ptrIsEENSG_IlEEPmS8_NS6_8equal_toIsEEEE10hipError_tPvRmT2_T3_mT4_T5_T6_T7_T8_P12ihipStream_tbENKUlT_T0_E_clISt17integral_constantIbLb1EES12_IbLb0EEEEDaSY_SZ_EUlSY_E_NS1_11comp_targetILNS1_3genE4ELNS1_11target_archE910ELNS1_3gpuE8ELNS1_3repE0EEENS1_30default_config_static_selectorELNS0_4arch9wavefront6targetE1EEEvT1_.uses_flat_scratch, 0
	.set _ZN7rocprim17ROCPRIM_400000_NS6detail17trampoline_kernelINS0_14default_configENS1_29reduce_by_key_config_selectorIslN6thrust23THRUST_200600_302600_NS4plusIlEEEEZZNS1_33reduce_by_key_impl_wrapped_configILNS1_25lookback_scan_determinismE0ES3_S9_PsNS6_17constant_iteratorIiNS6_11use_defaultESE_EENS6_10device_ptrIsEENSG_IlEEPmS8_NS6_8equal_toIsEEEE10hipError_tPvRmT2_T3_mT4_T5_T6_T7_T8_P12ihipStream_tbENKUlT_T0_E_clISt17integral_constantIbLb1EES12_IbLb0EEEEDaSY_SZ_EUlSY_E_NS1_11comp_targetILNS1_3genE4ELNS1_11target_archE910ELNS1_3gpuE8ELNS1_3repE0EEENS1_30default_config_static_selectorELNS0_4arch9wavefront6targetE1EEEvT1_.has_dyn_sized_stack, 0
	.set _ZN7rocprim17ROCPRIM_400000_NS6detail17trampoline_kernelINS0_14default_configENS1_29reduce_by_key_config_selectorIslN6thrust23THRUST_200600_302600_NS4plusIlEEEEZZNS1_33reduce_by_key_impl_wrapped_configILNS1_25lookback_scan_determinismE0ES3_S9_PsNS6_17constant_iteratorIiNS6_11use_defaultESE_EENS6_10device_ptrIsEENSG_IlEEPmS8_NS6_8equal_toIsEEEE10hipError_tPvRmT2_T3_mT4_T5_T6_T7_T8_P12ihipStream_tbENKUlT_T0_E_clISt17integral_constantIbLb1EES12_IbLb0EEEEDaSY_SZ_EUlSY_E_NS1_11comp_targetILNS1_3genE4ELNS1_11target_archE910ELNS1_3gpuE8ELNS1_3repE0EEENS1_30default_config_static_selectorELNS0_4arch9wavefront6targetE1EEEvT1_.has_recursion, 0
	.set _ZN7rocprim17ROCPRIM_400000_NS6detail17trampoline_kernelINS0_14default_configENS1_29reduce_by_key_config_selectorIslN6thrust23THRUST_200600_302600_NS4plusIlEEEEZZNS1_33reduce_by_key_impl_wrapped_configILNS1_25lookback_scan_determinismE0ES3_S9_PsNS6_17constant_iteratorIiNS6_11use_defaultESE_EENS6_10device_ptrIsEENSG_IlEEPmS8_NS6_8equal_toIsEEEE10hipError_tPvRmT2_T3_mT4_T5_T6_T7_T8_P12ihipStream_tbENKUlT_T0_E_clISt17integral_constantIbLb1EES12_IbLb0EEEEDaSY_SZ_EUlSY_E_NS1_11comp_targetILNS1_3genE4ELNS1_11target_archE910ELNS1_3gpuE8ELNS1_3repE0EEENS1_30default_config_static_selectorELNS0_4arch9wavefront6targetE1EEEvT1_.has_indirect_call, 0
	.section	.AMDGPU.csdata,"",@progbits
; Kernel info:
; codeLenInByte = 0
; TotalNumSgprs: 4
; NumVgprs: 0
; ScratchSize: 0
; MemoryBound: 0
; FloatMode: 240
; IeeeMode: 1
; LDSByteSize: 0 bytes/workgroup (compile time only)
; SGPRBlocks: 0
; VGPRBlocks: 0
; NumSGPRsForWavesPerEU: 4
; NumVGPRsForWavesPerEU: 1
; Occupancy: 10
; WaveLimiterHint : 0
; COMPUTE_PGM_RSRC2:SCRATCH_EN: 0
; COMPUTE_PGM_RSRC2:USER_SGPR: 6
; COMPUTE_PGM_RSRC2:TRAP_HANDLER: 0
; COMPUTE_PGM_RSRC2:TGID_X_EN: 1
; COMPUTE_PGM_RSRC2:TGID_Y_EN: 0
; COMPUTE_PGM_RSRC2:TGID_Z_EN: 0
; COMPUTE_PGM_RSRC2:TIDIG_COMP_CNT: 0
	.section	.text._ZN7rocprim17ROCPRIM_400000_NS6detail17trampoline_kernelINS0_14default_configENS1_29reduce_by_key_config_selectorIslN6thrust23THRUST_200600_302600_NS4plusIlEEEEZZNS1_33reduce_by_key_impl_wrapped_configILNS1_25lookback_scan_determinismE0ES3_S9_PsNS6_17constant_iteratorIiNS6_11use_defaultESE_EENS6_10device_ptrIsEENSG_IlEEPmS8_NS6_8equal_toIsEEEE10hipError_tPvRmT2_T3_mT4_T5_T6_T7_T8_P12ihipStream_tbENKUlT_T0_E_clISt17integral_constantIbLb1EES12_IbLb0EEEEDaSY_SZ_EUlSY_E_NS1_11comp_targetILNS1_3genE3ELNS1_11target_archE908ELNS1_3gpuE7ELNS1_3repE0EEENS1_30default_config_static_selectorELNS0_4arch9wavefront6targetE1EEEvT1_,"axG",@progbits,_ZN7rocprim17ROCPRIM_400000_NS6detail17trampoline_kernelINS0_14default_configENS1_29reduce_by_key_config_selectorIslN6thrust23THRUST_200600_302600_NS4plusIlEEEEZZNS1_33reduce_by_key_impl_wrapped_configILNS1_25lookback_scan_determinismE0ES3_S9_PsNS6_17constant_iteratorIiNS6_11use_defaultESE_EENS6_10device_ptrIsEENSG_IlEEPmS8_NS6_8equal_toIsEEEE10hipError_tPvRmT2_T3_mT4_T5_T6_T7_T8_P12ihipStream_tbENKUlT_T0_E_clISt17integral_constantIbLb1EES12_IbLb0EEEEDaSY_SZ_EUlSY_E_NS1_11comp_targetILNS1_3genE3ELNS1_11target_archE908ELNS1_3gpuE7ELNS1_3repE0EEENS1_30default_config_static_selectorELNS0_4arch9wavefront6targetE1EEEvT1_,comdat
	.protected	_ZN7rocprim17ROCPRIM_400000_NS6detail17trampoline_kernelINS0_14default_configENS1_29reduce_by_key_config_selectorIslN6thrust23THRUST_200600_302600_NS4plusIlEEEEZZNS1_33reduce_by_key_impl_wrapped_configILNS1_25lookback_scan_determinismE0ES3_S9_PsNS6_17constant_iteratorIiNS6_11use_defaultESE_EENS6_10device_ptrIsEENSG_IlEEPmS8_NS6_8equal_toIsEEEE10hipError_tPvRmT2_T3_mT4_T5_T6_T7_T8_P12ihipStream_tbENKUlT_T0_E_clISt17integral_constantIbLb1EES12_IbLb0EEEEDaSY_SZ_EUlSY_E_NS1_11comp_targetILNS1_3genE3ELNS1_11target_archE908ELNS1_3gpuE7ELNS1_3repE0EEENS1_30default_config_static_selectorELNS0_4arch9wavefront6targetE1EEEvT1_ ; -- Begin function _ZN7rocprim17ROCPRIM_400000_NS6detail17trampoline_kernelINS0_14default_configENS1_29reduce_by_key_config_selectorIslN6thrust23THRUST_200600_302600_NS4plusIlEEEEZZNS1_33reduce_by_key_impl_wrapped_configILNS1_25lookback_scan_determinismE0ES3_S9_PsNS6_17constant_iteratorIiNS6_11use_defaultESE_EENS6_10device_ptrIsEENSG_IlEEPmS8_NS6_8equal_toIsEEEE10hipError_tPvRmT2_T3_mT4_T5_T6_T7_T8_P12ihipStream_tbENKUlT_T0_E_clISt17integral_constantIbLb1EES12_IbLb0EEEEDaSY_SZ_EUlSY_E_NS1_11comp_targetILNS1_3genE3ELNS1_11target_archE908ELNS1_3gpuE7ELNS1_3repE0EEENS1_30default_config_static_selectorELNS0_4arch9wavefront6targetE1EEEvT1_
	.globl	_ZN7rocprim17ROCPRIM_400000_NS6detail17trampoline_kernelINS0_14default_configENS1_29reduce_by_key_config_selectorIslN6thrust23THRUST_200600_302600_NS4plusIlEEEEZZNS1_33reduce_by_key_impl_wrapped_configILNS1_25lookback_scan_determinismE0ES3_S9_PsNS6_17constant_iteratorIiNS6_11use_defaultESE_EENS6_10device_ptrIsEENSG_IlEEPmS8_NS6_8equal_toIsEEEE10hipError_tPvRmT2_T3_mT4_T5_T6_T7_T8_P12ihipStream_tbENKUlT_T0_E_clISt17integral_constantIbLb1EES12_IbLb0EEEEDaSY_SZ_EUlSY_E_NS1_11comp_targetILNS1_3genE3ELNS1_11target_archE908ELNS1_3gpuE7ELNS1_3repE0EEENS1_30default_config_static_selectorELNS0_4arch9wavefront6targetE1EEEvT1_
	.p2align	8
	.type	_ZN7rocprim17ROCPRIM_400000_NS6detail17trampoline_kernelINS0_14default_configENS1_29reduce_by_key_config_selectorIslN6thrust23THRUST_200600_302600_NS4plusIlEEEEZZNS1_33reduce_by_key_impl_wrapped_configILNS1_25lookback_scan_determinismE0ES3_S9_PsNS6_17constant_iteratorIiNS6_11use_defaultESE_EENS6_10device_ptrIsEENSG_IlEEPmS8_NS6_8equal_toIsEEEE10hipError_tPvRmT2_T3_mT4_T5_T6_T7_T8_P12ihipStream_tbENKUlT_T0_E_clISt17integral_constantIbLb1EES12_IbLb0EEEEDaSY_SZ_EUlSY_E_NS1_11comp_targetILNS1_3genE3ELNS1_11target_archE908ELNS1_3gpuE7ELNS1_3repE0EEENS1_30default_config_static_selectorELNS0_4arch9wavefront6targetE1EEEvT1_,@function
_ZN7rocprim17ROCPRIM_400000_NS6detail17trampoline_kernelINS0_14default_configENS1_29reduce_by_key_config_selectorIslN6thrust23THRUST_200600_302600_NS4plusIlEEEEZZNS1_33reduce_by_key_impl_wrapped_configILNS1_25lookback_scan_determinismE0ES3_S9_PsNS6_17constant_iteratorIiNS6_11use_defaultESE_EENS6_10device_ptrIsEENSG_IlEEPmS8_NS6_8equal_toIsEEEE10hipError_tPvRmT2_T3_mT4_T5_T6_T7_T8_P12ihipStream_tbENKUlT_T0_E_clISt17integral_constantIbLb1EES12_IbLb0EEEEDaSY_SZ_EUlSY_E_NS1_11comp_targetILNS1_3genE3ELNS1_11target_archE908ELNS1_3gpuE7ELNS1_3repE0EEENS1_30default_config_static_selectorELNS0_4arch9wavefront6targetE1EEEvT1_: ; @_ZN7rocprim17ROCPRIM_400000_NS6detail17trampoline_kernelINS0_14default_configENS1_29reduce_by_key_config_selectorIslN6thrust23THRUST_200600_302600_NS4plusIlEEEEZZNS1_33reduce_by_key_impl_wrapped_configILNS1_25lookback_scan_determinismE0ES3_S9_PsNS6_17constant_iteratorIiNS6_11use_defaultESE_EENS6_10device_ptrIsEENSG_IlEEPmS8_NS6_8equal_toIsEEEE10hipError_tPvRmT2_T3_mT4_T5_T6_T7_T8_P12ihipStream_tbENKUlT_T0_E_clISt17integral_constantIbLb1EES12_IbLb0EEEEDaSY_SZ_EUlSY_E_NS1_11comp_targetILNS1_3genE3ELNS1_11target_archE908ELNS1_3gpuE7ELNS1_3repE0EEENS1_30default_config_static_selectorELNS0_4arch9wavefront6targetE1EEEvT1_
; %bb.0:
	.section	.rodata,"a",@progbits
	.p2align	6, 0x0
	.amdhsa_kernel _ZN7rocprim17ROCPRIM_400000_NS6detail17trampoline_kernelINS0_14default_configENS1_29reduce_by_key_config_selectorIslN6thrust23THRUST_200600_302600_NS4plusIlEEEEZZNS1_33reduce_by_key_impl_wrapped_configILNS1_25lookback_scan_determinismE0ES3_S9_PsNS6_17constant_iteratorIiNS6_11use_defaultESE_EENS6_10device_ptrIsEENSG_IlEEPmS8_NS6_8equal_toIsEEEE10hipError_tPvRmT2_T3_mT4_T5_T6_T7_T8_P12ihipStream_tbENKUlT_T0_E_clISt17integral_constantIbLb1EES12_IbLb0EEEEDaSY_SZ_EUlSY_E_NS1_11comp_targetILNS1_3genE3ELNS1_11target_archE908ELNS1_3gpuE7ELNS1_3repE0EEENS1_30default_config_static_selectorELNS0_4arch9wavefront6targetE1EEEvT1_
		.amdhsa_group_segment_fixed_size 0
		.amdhsa_private_segment_fixed_size 0
		.amdhsa_kernarg_size 144
		.amdhsa_user_sgpr_count 6
		.amdhsa_user_sgpr_private_segment_buffer 1
		.amdhsa_user_sgpr_dispatch_ptr 0
		.amdhsa_user_sgpr_queue_ptr 0
		.amdhsa_user_sgpr_kernarg_segment_ptr 1
		.amdhsa_user_sgpr_dispatch_id 0
		.amdhsa_user_sgpr_flat_scratch_init 0
		.amdhsa_user_sgpr_private_segment_size 0
		.amdhsa_uses_dynamic_stack 0
		.amdhsa_system_sgpr_private_segment_wavefront_offset 0
		.amdhsa_system_sgpr_workgroup_id_x 1
		.amdhsa_system_sgpr_workgroup_id_y 0
		.amdhsa_system_sgpr_workgroup_id_z 0
		.amdhsa_system_sgpr_workgroup_info 0
		.amdhsa_system_vgpr_workitem_id 0
		.amdhsa_next_free_vgpr 1
		.amdhsa_next_free_sgpr 0
		.amdhsa_reserve_vcc 0
		.amdhsa_reserve_flat_scratch 0
		.amdhsa_float_round_mode_32 0
		.amdhsa_float_round_mode_16_64 0
		.amdhsa_float_denorm_mode_32 3
		.amdhsa_float_denorm_mode_16_64 3
		.amdhsa_dx10_clamp 1
		.amdhsa_ieee_mode 1
		.amdhsa_fp16_overflow 0
		.amdhsa_exception_fp_ieee_invalid_op 0
		.amdhsa_exception_fp_denorm_src 0
		.amdhsa_exception_fp_ieee_div_zero 0
		.amdhsa_exception_fp_ieee_overflow 0
		.amdhsa_exception_fp_ieee_underflow 0
		.amdhsa_exception_fp_ieee_inexact 0
		.amdhsa_exception_int_div_zero 0
	.end_amdhsa_kernel
	.section	.text._ZN7rocprim17ROCPRIM_400000_NS6detail17trampoline_kernelINS0_14default_configENS1_29reduce_by_key_config_selectorIslN6thrust23THRUST_200600_302600_NS4plusIlEEEEZZNS1_33reduce_by_key_impl_wrapped_configILNS1_25lookback_scan_determinismE0ES3_S9_PsNS6_17constant_iteratorIiNS6_11use_defaultESE_EENS6_10device_ptrIsEENSG_IlEEPmS8_NS6_8equal_toIsEEEE10hipError_tPvRmT2_T3_mT4_T5_T6_T7_T8_P12ihipStream_tbENKUlT_T0_E_clISt17integral_constantIbLb1EES12_IbLb0EEEEDaSY_SZ_EUlSY_E_NS1_11comp_targetILNS1_3genE3ELNS1_11target_archE908ELNS1_3gpuE7ELNS1_3repE0EEENS1_30default_config_static_selectorELNS0_4arch9wavefront6targetE1EEEvT1_,"axG",@progbits,_ZN7rocprim17ROCPRIM_400000_NS6detail17trampoline_kernelINS0_14default_configENS1_29reduce_by_key_config_selectorIslN6thrust23THRUST_200600_302600_NS4plusIlEEEEZZNS1_33reduce_by_key_impl_wrapped_configILNS1_25lookback_scan_determinismE0ES3_S9_PsNS6_17constant_iteratorIiNS6_11use_defaultESE_EENS6_10device_ptrIsEENSG_IlEEPmS8_NS6_8equal_toIsEEEE10hipError_tPvRmT2_T3_mT4_T5_T6_T7_T8_P12ihipStream_tbENKUlT_T0_E_clISt17integral_constantIbLb1EES12_IbLb0EEEEDaSY_SZ_EUlSY_E_NS1_11comp_targetILNS1_3genE3ELNS1_11target_archE908ELNS1_3gpuE7ELNS1_3repE0EEENS1_30default_config_static_selectorELNS0_4arch9wavefront6targetE1EEEvT1_,comdat
.Lfunc_end1491:
	.size	_ZN7rocprim17ROCPRIM_400000_NS6detail17trampoline_kernelINS0_14default_configENS1_29reduce_by_key_config_selectorIslN6thrust23THRUST_200600_302600_NS4plusIlEEEEZZNS1_33reduce_by_key_impl_wrapped_configILNS1_25lookback_scan_determinismE0ES3_S9_PsNS6_17constant_iteratorIiNS6_11use_defaultESE_EENS6_10device_ptrIsEENSG_IlEEPmS8_NS6_8equal_toIsEEEE10hipError_tPvRmT2_T3_mT4_T5_T6_T7_T8_P12ihipStream_tbENKUlT_T0_E_clISt17integral_constantIbLb1EES12_IbLb0EEEEDaSY_SZ_EUlSY_E_NS1_11comp_targetILNS1_3genE3ELNS1_11target_archE908ELNS1_3gpuE7ELNS1_3repE0EEENS1_30default_config_static_selectorELNS0_4arch9wavefront6targetE1EEEvT1_, .Lfunc_end1491-_ZN7rocprim17ROCPRIM_400000_NS6detail17trampoline_kernelINS0_14default_configENS1_29reduce_by_key_config_selectorIslN6thrust23THRUST_200600_302600_NS4plusIlEEEEZZNS1_33reduce_by_key_impl_wrapped_configILNS1_25lookback_scan_determinismE0ES3_S9_PsNS6_17constant_iteratorIiNS6_11use_defaultESE_EENS6_10device_ptrIsEENSG_IlEEPmS8_NS6_8equal_toIsEEEE10hipError_tPvRmT2_T3_mT4_T5_T6_T7_T8_P12ihipStream_tbENKUlT_T0_E_clISt17integral_constantIbLb1EES12_IbLb0EEEEDaSY_SZ_EUlSY_E_NS1_11comp_targetILNS1_3genE3ELNS1_11target_archE908ELNS1_3gpuE7ELNS1_3repE0EEENS1_30default_config_static_selectorELNS0_4arch9wavefront6targetE1EEEvT1_
                                        ; -- End function
	.set _ZN7rocprim17ROCPRIM_400000_NS6detail17trampoline_kernelINS0_14default_configENS1_29reduce_by_key_config_selectorIslN6thrust23THRUST_200600_302600_NS4plusIlEEEEZZNS1_33reduce_by_key_impl_wrapped_configILNS1_25lookback_scan_determinismE0ES3_S9_PsNS6_17constant_iteratorIiNS6_11use_defaultESE_EENS6_10device_ptrIsEENSG_IlEEPmS8_NS6_8equal_toIsEEEE10hipError_tPvRmT2_T3_mT4_T5_T6_T7_T8_P12ihipStream_tbENKUlT_T0_E_clISt17integral_constantIbLb1EES12_IbLb0EEEEDaSY_SZ_EUlSY_E_NS1_11comp_targetILNS1_3genE3ELNS1_11target_archE908ELNS1_3gpuE7ELNS1_3repE0EEENS1_30default_config_static_selectorELNS0_4arch9wavefront6targetE1EEEvT1_.num_vgpr, 0
	.set _ZN7rocprim17ROCPRIM_400000_NS6detail17trampoline_kernelINS0_14default_configENS1_29reduce_by_key_config_selectorIslN6thrust23THRUST_200600_302600_NS4plusIlEEEEZZNS1_33reduce_by_key_impl_wrapped_configILNS1_25lookback_scan_determinismE0ES3_S9_PsNS6_17constant_iteratorIiNS6_11use_defaultESE_EENS6_10device_ptrIsEENSG_IlEEPmS8_NS6_8equal_toIsEEEE10hipError_tPvRmT2_T3_mT4_T5_T6_T7_T8_P12ihipStream_tbENKUlT_T0_E_clISt17integral_constantIbLb1EES12_IbLb0EEEEDaSY_SZ_EUlSY_E_NS1_11comp_targetILNS1_3genE3ELNS1_11target_archE908ELNS1_3gpuE7ELNS1_3repE0EEENS1_30default_config_static_selectorELNS0_4arch9wavefront6targetE1EEEvT1_.num_agpr, 0
	.set _ZN7rocprim17ROCPRIM_400000_NS6detail17trampoline_kernelINS0_14default_configENS1_29reduce_by_key_config_selectorIslN6thrust23THRUST_200600_302600_NS4plusIlEEEEZZNS1_33reduce_by_key_impl_wrapped_configILNS1_25lookback_scan_determinismE0ES3_S9_PsNS6_17constant_iteratorIiNS6_11use_defaultESE_EENS6_10device_ptrIsEENSG_IlEEPmS8_NS6_8equal_toIsEEEE10hipError_tPvRmT2_T3_mT4_T5_T6_T7_T8_P12ihipStream_tbENKUlT_T0_E_clISt17integral_constantIbLb1EES12_IbLb0EEEEDaSY_SZ_EUlSY_E_NS1_11comp_targetILNS1_3genE3ELNS1_11target_archE908ELNS1_3gpuE7ELNS1_3repE0EEENS1_30default_config_static_selectorELNS0_4arch9wavefront6targetE1EEEvT1_.numbered_sgpr, 0
	.set _ZN7rocprim17ROCPRIM_400000_NS6detail17trampoline_kernelINS0_14default_configENS1_29reduce_by_key_config_selectorIslN6thrust23THRUST_200600_302600_NS4plusIlEEEEZZNS1_33reduce_by_key_impl_wrapped_configILNS1_25lookback_scan_determinismE0ES3_S9_PsNS6_17constant_iteratorIiNS6_11use_defaultESE_EENS6_10device_ptrIsEENSG_IlEEPmS8_NS6_8equal_toIsEEEE10hipError_tPvRmT2_T3_mT4_T5_T6_T7_T8_P12ihipStream_tbENKUlT_T0_E_clISt17integral_constantIbLb1EES12_IbLb0EEEEDaSY_SZ_EUlSY_E_NS1_11comp_targetILNS1_3genE3ELNS1_11target_archE908ELNS1_3gpuE7ELNS1_3repE0EEENS1_30default_config_static_selectorELNS0_4arch9wavefront6targetE1EEEvT1_.num_named_barrier, 0
	.set _ZN7rocprim17ROCPRIM_400000_NS6detail17trampoline_kernelINS0_14default_configENS1_29reduce_by_key_config_selectorIslN6thrust23THRUST_200600_302600_NS4plusIlEEEEZZNS1_33reduce_by_key_impl_wrapped_configILNS1_25lookback_scan_determinismE0ES3_S9_PsNS6_17constant_iteratorIiNS6_11use_defaultESE_EENS6_10device_ptrIsEENSG_IlEEPmS8_NS6_8equal_toIsEEEE10hipError_tPvRmT2_T3_mT4_T5_T6_T7_T8_P12ihipStream_tbENKUlT_T0_E_clISt17integral_constantIbLb1EES12_IbLb0EEEEDaSY_SZ_EUlSY_E_NS1_11comp_targetILNS1_3genE3ELNS1_11target_archE908ELNS1_3gpuE7ELNS1_3repE0EEENS1_30default_config_static_selectorELNS0_4arch9wavefront6targetE1EEEvT1_.private_seg_size, 0
	.set _ZN7rocprim17ROCPRIM_400000_NS6detail17trampoline_kernelINS0_14default_configENS1_29reduce_by_key_config_selectorIslN6thrust23THRUST_200600_302600_NS4plusIlEEEEZZNS1_33reduce_by_key_impl_wrapped_configILNS1_25lookback_scan_determinismE0ES3_S9_PsNS6_17constant_iteratorIiNS6_11use_defaultESE_EENS6_10device_ptrIsEENSG_IlEEPmS8_NS6_8equal_toIsEEEE10hipError_tPvRmT2_T3_mT4_T5_T6_T7_T8_P12ihipStream_tbENKUlT_T0_E_clISt17integral_constantIbLb1EES12_IbLb0EEEEDaSY_SZ_EUlSY_E_NS1_11comp_targetILNS1_3genE3ELNS1_11target_archE908ELNS1_3gpuE7ELNS1_3repE0EEENS1_30default_config_static_selectorELNS0_4arch9wavefront6targetE1EEEvT1_.uses_vcc, 0
	.set _ZN7rocprim17ROCPRIM_400000_NS6detail17trampoline_kernelINS0_14default_configENS1_29reduce_by_key_config_selectorIslN6thrust23THRUST_200600_302600_NS4plusIlEEEEZZNS1_33reduce_by_key_impl_wrapped_configILNS1_25lookback_scan_determinismE0ES3_S9_PsNS6_17constant_iteratorIiNS6_11use_defaultESE_EENS6_10device_ptrIsEENSG_IlEEPmS8_NS6_8equal_toIsEEEE10hipError_tPvRmT2_T3_mT4_T5_T6_T7_T8_P12ihipStream_tbENKUlT_T0_E_clISt17integral_constantIbLb1EES12_IbLb0EEEEDaSY_SZ_EUlSY_E_NS1_11comp_targetILNS1_3genE3ELNS1_11target_archE908ELNS1_3gpuE7ELNS1_3repE0EEENS1_30default_config_static_selectorELNS0_4arch9wavefront6targetE1EEEvT1_.uses_flat_scratch, 0
	.set _ZN7rocprim17ROCPRIM_400000_NS6detail17trampoline_kernelINS0_14default_configENS1_29reduce_by_key_config_selectorIslN6thrust23THRUST_200600_302600_NS4plusIlEEEEZZNS1_33reduce_by_key_impl_wrapped_configILNS1_25lookback_scan_determinismE0ES3_S9_PsNS6_17constant_iteratorIiNS6_11use_defaultESE_EENS6_10device_ptrIsEENSG_IlEEPmS8_NS6_8equal_toIsEEEE10hipError_tPvRmT2_T3_mT4_T5_T6_T7_T8_P12ihipStream_tbENKUlT_T0_E_clISt17integral_constantIbLb1EES12_IbLb0EEEEDaSY_SZ_EUlSY_E_NS1_11comp_targetILNS1_3genE3ELNS1_11target_archE908ELNS1_3gpuE7ELNS1_3repE0EEENS1_30default_config_static_selectorELNS0_4arch9wavefront6targetE1EEEvT1_.has_dyn_sized_stack, 0
	.set _ZN7rocprim17ROCPRIM_400000_NS6detail17trampoline_kernelINS0_14default_configENS1_29reduce_by_key_config_selectorIslN6thrust23THRUST_200600_302600_NS4plusIlEEEEZZNS1_33reduce_by_key_impl_wrapped_configILNS1_25lookback_scan_determinismE0ES3_S9_PsNS6_17constant_iteratorIiNS6_11use_defaultESE_EENS6_10device_ptrIsEENSG_IlEEPmS8_NS6_8equal_toIsEEEE10hipError_tPvRmT2_T3_mT4_T5_T6_T7_T8_P12ihipStream_tbENKUlT_T0_E_clISt17integral_constantIbLb1EES12_IbLb0EEEEDaSY_SZ_EUlSY_E_NS1_11comp_targetILNS1_3genE3ELNS1_11target_archE908ELNS1_3gpuE7ELNS1_3repE0EEENS1_30default_config_static_selectorELNS0_4arch9wavefront6targetE1EEEvT1_.has_recursion, 0
	.set _ZN7rocprim17ROCPRIM_400000_NS6detail17trampoline_kernelINS0_14default_configENS1_29reduce_by_key_config_selectorIslN6thrust23THRUST_200600_302600_NS4plusIlEEEEZZNS1_33reduce_by_key_impl_wrapped_configILNS1_25lookback_scan_determinismE0ES3_S9_PsNS6_17constant_iteratorIiNS6_11use_defaultESE_EENS6_10device_ptrIsEENSG_IlEEPmS8_NS6_8equal_toIsEEEE10hipError_tPvRmT2_T3_mT4_T5_T6_T7_T8_P12ihipStream_tbENKUlT_T0_E_clISt17integral_constantIbLb1EES12_IbLb0EEEEDaSY_SZ_EUlSY_E_NS1_11comp_targetILNS1_3genE3ELNS1_11target_archE908ELNS1_3gpuE7ELNS1_3repE0EEENS1_30default_config_static_selectorELNS0_4arch9wavefront6targetE1EEEvT1_.has_indirect_call, 0
	.section	.AMDGPU.csdata,"",@progbits
; Kernel info:
; codeLenInByte = 0
; TotalNumSgprs: 4
; NumVgprs: 0
; ScratchSize: 0
; MemoryBound: 0
; FloatMode: 240
; IeeeMode: 1
; LDSByteSize: 0 bytes/workgroup (compile time only)
; SGPRBlocks: 0
; VGPRBlocks: 0
; NumSGPRsForWavesPerEU: 4
; NumVGPRsForWavesPerEU: 1
; Occupancy: 10
; WaveLimiterHint : 0
; COMPUTE_PGM_RSRC2:SCRATCH_EN: 0
; COMPUTE_PGM_RSRC2:USER_SGPR: 6
; COMPUTE_PGM_RSRC2:TRAP_HANDLER: 0
; COMPUTE_PGM_RSRC2:TGID_X_EN: 1
; COMPUTE_PGM_RSRC2:TGID_Y_EN: 0
; COMPUTE_PGM_RSRC2:TGID_Z_EN: 0
; COMPUTE_PGM_RSRC2:TIDIG_COMP_CNT: 0
	.section	.text._ZN7rocprim17ROCPRIM_400000_NS6detail17trampoline_kernelINS0_14default_configENS1_29reduce_by_key_config_selectorIslN6thrust23THRUST_200600_302600_NS4plusIlEEEEZZNS1_33reduce_by_key_impl_wrapped_configILNS1_25lookback_scan_determinismE0ES3_S9_PsNS6_17constant_iteratorIiNS6_11use_defaultESE_EENS6_10device_ptrIsEENSG_IlEEPmS8_NS6_8equal_toIsEEEE10hipError_tPvRmT2_T3_mT4_T5_T6_T7_T8_P12ihipStream_tbENKUlT_T0_E_clISt17integral_constantIbLb1EES12_IbLb0EEEEDaSY_SZ_EUlSY_E_NS1_11comp_targetILNS1_3genE2ELNS1_11target_archE906ELNS1_3gpuE6ELNS1_3repE0EEENS1_30default_config_static_selectorELNS0_4arch9wavefront6targetE1EEEvT1_,"axG",@progbits,_ZN7rocprim17ROCPRIM_400000_NS6detail17trampoline_kernelINS0_14default_configENS1_29reduce_by_key_config_selectorIslN6thrust23THRUST_200600_302600_NS4plusIlEEEEZZNS1_33reduce_by_key_impl_wrapped_configILNS1_25lookback_scan_determinismE0ES3_S9_PsNS6_17constant_iteratorIiNS6_11use_defaultESE_EENS6_10device_ptrIsEENSG_IlEEPmS8_NS6_8equal_toIsEEEE10hipError_tPvRmT2_T3_mT4_T5_T6_T7_T8_P12ihipStream_tbENKUlT_T0_E_clISt17integral_constantIbLb1EES12_IbLb0EEEEDaSY_SZ_EUlSY_E_NS1_11comp_targetILNS1_3genE2ELNS1_11target_archE906ELNS1_3gpuE6ELNS1_3repE0EEENS1_30default_config_static_selectorELNS0_4arch9wavefront6targetE1EEEvT1_,comdat
	.protected	_ZN7rocprim17ROCPRIM_400000_NS6detail17trampoline_kernelINS0_14default_configENS1_29reduce_by_key_config_selectorIslN6thrust23THRUST_200600_302600_NS4plusIlEEEEZZNS1_33reduce_by_key_impl_wrapped_configILNS1_25lookback_scan_determinismE0ES3_S9_PsNS6_17constant_iteratorIiNS6_11use_defaultESE_EENS6_10device_ptrIsEENSG_IlEEPmS8_NS6_8equal_toIsEEEE10hipError_tPvRmT2_T3_mT4_T5_T6_T7_T8_P12ihipStream_tbENKUlT_T0_E_clISt17integral_constantIbLb1EES12_IbLb0EEEEDaSY_SZ_EUlSY_E_NS1_11comp_targetILNS1_3genE2ELNS1_11target_archE906ELNS1_3gpuE6ELNS1_3repE0EEENS1_30default_config_static_selectorELNS0_4arch9wavefront6targetE1EEEvT1_ ; -- Begin function _ZN7rocprim17ROCPRIM_400000_NS6detail17trampoline_kernelINS0_14default_configENS1_29reduce_by_key_config_selectorIslN6thrust23THRUST_200600_302600_NS4plusIlEEEEZZNS1_33reduce_by_key_impl_wrapped_configILNS1_25lookback_scan_determinismE0ES3_S9_PsNS6_17constant_iteratorIiNS6_11use_defaultESE_EENS6_10device_ptrIsEENSG_IlEEPmS8_NS6_8equal_toIsEEEE10hipError_tPvRmT2_T3_mT4_T5_T6_T7_T8_P12ihipStream_tbENKUlT_T0_E_clISt17integral_constantIbLb1EES12_IbLb0EEEEDaSY_SZ_EUlSY_E_NS1_11comp_targetILNS1_3genE2ELNS1_11target_archE906ELNS1_3gpuE6ELNS1_3repE0EEENS1_30default_config_static_selectorELNS0_4arch9wavefront6targetE1EEEvT1_
	.globl	_ZN7rocprim17ROCPRIM_400000_NS6detail17trampoline_kernelINS0_14default_configENS1_29reduce_by_key_config_selectorIslN6thrust23THRUST_200600_302600_NS4plusIlEEEEZZNS1_33reduce_by_key_impl_wrapped_configILNS1_25lookback_scan_determinismE0ES3_S9_PsNS6_17constant_iteratorIiNS6_11use_defaultESE_EENS6_10device_ptrIsEENSG_IlEEPmS8_NS6_8equal_toIsEEEE10hipError_tPvRmT2_T3_mT4_T5_T6_T7_T8_P12ihipStream_tbENKUlT_T0_E_clISt17integral_constantIbLb1EES12_IbLb0EEEEDaSY_SZ_EUlSY_E_NS1_11comp_targetILNS1_3genE2ELNS1_11target_archE906ELNS1_3gpuE6ELNS1_3repE0EEENS1_30default_config_static_selectorELNS0_4arch9wavefront6targetE1EEEvT1_
	.p2align	8
	.type	_ZN7rocprim17ROCPRIM_400000_NS6detail17trampoline_kernelINS0_14default_configENS1_29reduce_by_key_config_selectorIslN6thrust23THRUST_200600_302600_NS4plusIlEEEEZZNS1_33reduce_by_key_impl_wrapped_configILNS1_25lookback_scan_determinismE0ES3_S9_PsNS6_17constant_iteratorIiNS6_11use_defaultESE_EENS6_10device_ptrIsEENSG_IlEEPmS8_NS6_8equal_toIsEEEE10hipError_tPvRmT2_T3_mT4_T5_T6_T7_T8_P12ihipStream_tbENKUlT_T0_E_clISt17integral_constantIbLb1EES12_IbLb0EEEEDaSY_SZ_EUlSY_E_NS1_11comp_targetILNS1_3genE2ELNS1_11target_archE906ELNS1_3gpuE6ELNS1_3repE0EEENS1_30default_config_static_selectorELNS0_4arch9wavefront6targetE1EEEvT1_,@function
_ZN7rocprim17ROCPRIM_400000_NS6detail17trampoline_kernelINS0_14default_configENS1_29reduce_by_key_config_selectorIslN6thrust23THRUST_200600_302600_NS4plusIlEEEEZZNS1_33reduce_by_key_impl_wrapped_configILNS1_25lookback_scan_determinismE0ES3_S9_PsNS6_17constant_iteratorIiNS6_11use_defaultESE_EENS6_10device_ptrIsEENSG_IlEEPmS8_NS6_8equal_toIsEEEE10hipError_tPvRmT2_T3_mT4_T5_T6_T7_T8_P12ihipStream_tbENKUlT_T0_E_clISt17integral_constantIbLb1EES12_IbLb0EEEEDaSY_SZ_EUlSY_E_NS1_11comp_targetILNS1_3genE2ELNS1_11target_archE906ELNS1_3gpuE6ELNS1_3repE0EEENS1_30default_config_static_selectorELNS0_4arch9wavefront6targetE1EEEvT1_: ; @_ZN7rocprim17ROCPRIM_400000_NS6detail17trampoline_kernelINS0_14default_configENS1_29reduce_by_key_config_selectorIslN6thrust23THRUST_200600_302600_NS4plusIlEEEEZZNS1_33reduce_by_key_impl_wrapped_configILNS1_25lookback_scan_determinismE0ES3_S9_PsNS6_17constant_iteratorIiNS6_11use_defaultESE_EENS6_10device_ptrIsEENSG_IlEEPmS8_NS6_8equal_toIsEEEE10hipError_tPvRmT2_T3_mT4_T5_T6_T7_T8_P12ihipStream_tbENKUlT_T0_E_clISt17integral_constantIbLb1EES12_IbLb0EEEEDaSY_SZ_EUlSY_E_NS1_11comp_targetILNS1_3genE2ELNS1_11target_archE906ELNS1_3gpuE6ELNS1_3repE0EEENS1_30default_config_static_selectorELNS0_4arch9wavefront6targetE1EEEvT1_
; %bb.0:
	s_endpgm
	.section	.rodata,"a",@progbits
	.p2align	6, 0x0
	.amdhsa_kernel _ZN7rocprim17ROCPRIM_400000_NS6detail17trampoline_kernelINS0_14default_configENS1_29reduce_by_key_config_selectorIslN6thrust23THRUST_200600_302600_NS4plusIlEEEEZZNS1_33reduce_by_key_impl_wrapped_configILNS1_25lookback_scan_determinismE0ES3_S9_PsNS6_17constant_iteratorIiNS6_11use_defaultESE_EENS6_10device_ptrIsEENSG_IlEEPmS8_NS6_8equal_toIsEEEE10hipError_tPvRmT2_T3_mT4_T5_T6_T7_T8_P12ihipStream_tbENKUlT_T0_E_clISt17integral_constantIbLb1EES12_IbLb0EEEEDaSY_SZ_EUlSY_E_NS1_11comp_targetILNS1_3genE2ELNS1_11target_archE906ELNS1_3gpuE6ELNS1_3repE0EEENS1_30default_config_static_selectorELNS0_4arch9wavefront6targetE1EEEvT1_
		.amdhsa_group_segment_fixed_size 0
		.amdhsa_private_segment_fixed_size 0
		.amdhsa_kernarg_size 144
		.amdhsa_user_sgpr_count 6
		.amdhsa_user_sgpr_private_segment_buffer 1
		.amdhsa_user_sgpr_dispatch_ptr 0
		.amdhsa_user_sgpr_queue_ptr 0
		.amdhsa_user_sgpr_kernarg_segment_ptr 1
		.amdhsa_user_sgpr_dispatch_id 0
		.amdhsa_user_sgpr_flat_scratch_init 0
		.amdhsa_user_sgpr_private_segment_size 0
		.amdhsa_uses_dynamic_stack 0
		.amdhsa_system_sgpr_private_segment_wavefront_offset 0
		.amdhsa_system_sgpr_workgroup_id_x 1
		.amdhsa_system_sgpr_workgroup_id_y 0
		.amdhsa_system_sgpr_workgroup_id_z 0
		.amdhsa_system_sgpr_workgroup_info 0
		.amdhsa_system_vgpr_workitem_id 0
		.amdhsa_next_free_vgpr 1
		.amdhsa_next_free_sgpr 0
		.amdhsa_reserve_vcc 0
		.amdhsa_reserve_flat_scratch 0
		.amdhsa_float_round_mode_32 0
		.amdhsa_float_round_mode_16_64 0
		.amdhsa_float_denorm_mode_32 3
		.amdhsa_float_denorm_mode_16_64 3
		.amdhsa_dx10_clamp 1
		.amdhsa_ieee_mode 1
		.amdhsa_fp16_overflow 0
		.amdhsa_exception_fp_ieee_invalid_op 0
		.amdhsa_exception_fp_denorm_src 0
		.amdhsa_exception_fp_ieee_div_zero 0
		.amdhsa_exception_fp_ieee_overflow 0
		.amdhsa_exception_fp_ieee_underflow 0
		.amdhsa_exception_fp_ieee_inexact 0
		.amdhsa_exception_int_div_zero 0
	.end_amdhsa_kernel
	.section	.text._ZN7rocprim17ROCPRIM_400000_NS6detail17trampoline_kernelINS0_14default_configENS1_29reduce_by_key_config_selectorIslN6thrust23THRUST_200600_302600_NS4plusIlEEEEZZNS1_33reduce_by_key_impl_wrapped_configILNS1_25lookback_scan_determinismE0ES3_S9_PsNS6_17constant_iteratorIiNS6_11use_defaultESE_EENS6_10device_ptrIsEENSG_IlEEPmS8_NS6_8equal_toIsEEEE10hipError_tPvRmT2_T3_mT4_T5_T6_T7_T8_P12ihipStream_tbENKUlT_T0_E_clISt17integral_constantIbLb1EES12_IbLb0EEEEDaSY_SZ_EUlSY_E_NS1_11comp_targetILNS1_3genE2ELNS1_11target_archE906ELNS1_3gpuE6ELNS1_3repE0EEENS1_30default_config_static_selectorELNS0_4arch9wavefront6targetE1EEEvT1_,"axG",@progbits,_ZN7rocprim17ROCPRIM_400000_NS6detail17trampoline_kernelINS0_14default_configENS1_29reduce_by_key_config_selectorIslN6thrust23THRUST_200600_302600_NS4plusIlEEEEZZNS1_33reduce_by_key_impl_wrapped_configILNS1_25lookback_scan_determinismE0ES3_S9_PsNS6_17constant_iteratorIiNS6_11use_defaultESE_EENS6_10device_ptrIsEENSG_IlEEPmS8_NS6_8equal_toIsEEEE10hipError_tPvRmT2_T3_mT4_T5_T6_T7_T8_P12ihipStream_tbENKUlT_T0_E_clISt17integral_constantIbLb1EES12_IbLb0EEEEDaSY_SZ_EUlSY_E_NS1_11comp_targetILNS1_3genE2ELNS1_11target_archE906ELNS1_3gpuE6ELNS1_3repE0EEENS1_30default_config_static_selectorELNS0_4arch9wavefront6targetE1EEEvT1_,comdat
.Lfunc_end1492:
	.size	_ZN7rocprim17ROCPRIM_400000_NS6detail17trampoline_kernelINS0_14default_configENS1_29reduce_by_key_config_selectorIslN6thrust23THRUST_200600_302600_NS4plusIlEEEEZZNS1_33reduce_by_key_impl_wrapped_configILNS1_25lookback_scan_determinismE0ES3_S9_PsNS6_17constant_iteratorIiNS6_11use_defaultESE_EENS6_10device_ptrIsEENSG_IlEEPmS8_NS6_8equal_toIsEEEE10hipError_tPvRmT2_T3_mT4_T5_T6_T7_T8_P12ihipStream_tbENKUlT_T0_E_clISt17integral_constantIbLb1EES12_IbLb0EEEEDaSY_SZ_EUlSY_E_NS1_11comp_targetILNS1_3genE2ELNS1_11target_archE906ELNS1_3gpuE6ELNS1_3repE0EEENS1_30default_config_static_selectorELNS0_4arch9wavefront6targetE1EEEvT1_, .Lfunc_end1492-_ZN7rocprim17ROCPRIM_400000_NS6detail17trampoline_kernelINS0_14default_configENS1_29reduce_by_key_config_selectorIslN6thrust23THRUST_200600_302600_NS4plusIlEEEEZZNS1_33reduce_by_key_impl_wrapped_configILNS1_25lookback_scan_determinismE0ES3_S9_PsNS6_17constant_iteratorIiNS6_11use_defaultESE_EENS6_10device_ptrIsEENSG_IlEEPmS8_NS6_8equal_toIsEEEE10hipError_tPvRmT2_T3_mT4_T5_T6_T7_T8_P12ihipStream_tbENKUlT_T0_E_clISt17integral_constantIbLb1EES12_IbLb0EEEEDaSY_SZ_EUlSY_E_NS1_11comp_targetILNS1_3genE2ELNS1_11target_archE906ELNS1_3gpuE6ELNS1_3repE0EEENS1_30default_config_static_selectorELNS0_4arch9wavefront6targetE1EEEvT1_
                                        ; -- End function
	.set _ZN7rocprim17ROCPRIM_400000_NS6detail17trampoline_kernelINS0_14default_configENS1_29reduce_by_key_config_selectorIslN6thrust23THRUST_200600_302600_NS4plusIlEEEEZZNS1_33reduce_by_key_impl_wrapped_configILNS1_25lookback_scan_determinismE0ES3_S9_PsNS6_17constant_iteratorIiNS6_11use_defaultESE_EENS6_10device_ptrIsEENSG_IlEEPmS8_NS6_8equal_toIsEEEE10hipError_tPvRmT2_T3_mT4_T5_T6_T7_T8_P12ihipStream_tbENKUlT_T0_E_clISt17integral_constantIbLb1EES12_IbLb0EEEEDaSY_SZ_EUlSY_E_NS1_11comp_targetILNS1_3genE2ELNS1_11target_archE906ELNS1_3gpuE6ELNS1_3repE0EEENS1_30default_config_static_selectorELNS0_4arch9wavefront6targetE1EEEvT1_.num_vgpr, 0
	.set _ZN7rocprim17ROCPRIM_400000_NS6detail17trampoline_kernelINS0_14default_configENS1_29reduce_by_key_config_selectorIslN6thrust23THRUST_200600_302600_NS4plusIlEEEEZZNS1_33reduce_by_key_impl_wrapped_configILNS1_25lookback_scan_determinismE0ES3_S9_PsNS6_17constant_iteratorIiNS6_11use_defaultESE_EENS6_10device_ptrIsEENSG_IlEEPmS8_NS6_8equal_toIsEEEE10hipError_tPvRmT2_T3_mT4_T5_T6_T7_T8_P12ihipStream_tbENKUlT_T0_E_clISt17integral_constantIbLb1EES12_IbLb0EEEEDaSY_SZ_EUlSY_E_NS1_11comp_targetILNS1_3genE2ELNS1_11target_archE906ELNS1_3gpuE6ELNS1_3repE0EEENS1_30default_config_static_selectorELNS0_4arch9wavefront6targetE1EEEvT1_.num_agpr, 0
	.set _ZN7rocprim17ROCPRIM_400000_NS6detail17trampoline_kernelINS0_14default_configENS1_29reduce_by_key_config_selectorIslN6thrust23THRUST_200600_302600_NS4plusIlEEEEZZNS1_33reduce_by_key_impl_wrapped_configILNS1_25lookback_scan_determinismE0ES3_S9_PsNS6_17constant_iteratorIiNS6_11use_defaultESE_EENS6_10device_ptrIsEENSG_IlEEPmS8_NS6_8equal_toIsEEEE10hipError_tPvRmT2_T3_mT4_T5_T6_T7_T8_P12ihipStream_tbENKUlT_T0_E_clISt17integral_constantIbLb1EES12_IbLb0EEEEDaSY_SZ_EUlSY_E_NS1_11comp_targetILNS1_3genE2ELNS1_11target_archE906ELNS1_3gpuE6ELNS1_3repE0EEENS1_30default_config_static_selectorELNS0_4arch9wavefront6targetE1EEEvT1_.numbered_sgpr, 0
	.set _ZN7rocprim17ROCPRIM_400000_NS6detail17trampoline_kernelINS0_14default_configENS1_29reduce_by_key_config_selectorIslN6thrust23THRUST_200600_302600_NS4plusIlEEEEZZNS1_33reduce_by_key_impl_wrapped_configILNS1_25lookback_scan_determinismE0ES3_S9_PsNS6_17constant_iteratorIiNS6_11use_defaultESE_EENS6_10device_ptrIsEENSG_IlEEPmS8_NS6_8equal_toIsEEEE10hipError_tPvRmT2_T3_mT4_T5_T6_T7_T8_P12ihipStream_tbENKUlT_T0_E_clISt17integral_constantIbLb1EES12_IbLb0EEEEDaSY_SZ_EUlSY_E_NS1_11comp_targetILNS1_3genE2ELNS1_11target_archE906ELNS1_3gpuE6ELNS1_3repE0EEENS1_30default_config_static_selectorELNS0_4arch9wavefront6targetE1EEEvT1_.num_named_barrier, 0
	.set _ZN7rocprim17ROCPRIM_400000_NS6detail17trampoline_kernelINS0_14default_configENS1_29reduce_by_key_config_selectorIslN6thrust23THRUST_200600_302600_NS4plusIlEEEEZZNS1_33reduce_by_key_impl_wrapped_configILNS1_25lookback_scan_determinismE0ES3_S9_PsNS6_17constant_iteratorIiNS6_11use_defaultESE_EENS6_10device_ptrIsEENSG_IlEEPmS8_NS6_8equal_toIsEEEE10hipError_tPvRmT2_T3_mT4_T5_T6_T7_T8_P12ihipStream_tbENKUlT_T0_E_clISt17integral_constantIbLb1EES12_IbLb0EEEEDaSY_SZ_EUlSY_E_NS1_11comp_targetILNS1_3genE2ELNS1_11target_archE906ELNS1_3gpuE6ELNS1_3repE0EEENS1_30default_config_static_selectorELNS0_4arch9wavefront6targetE1EEEvT1_.private_seg_size, 0
	.set _ZN7rocprim17ROCPRIM_400000_NS6detail17trampoline_kernelINS0_14default_configENS1_29reduce_by_key_config_selectorIslN6thrust23THRUST_200600_302600_NS4plusIlEEEEZZNS1_33reduce_by_key_impl_wrapped_configILNS1_25lookback_scan_determinismE0ES3_S9_PsNS6_17constant_iteratorIiNS6_11use_defaultESE_EENS6_10device_ptrIsEENSG_IlEEPmS8_NS6_8equal_toIsEEEE10hipError_tPvRmT2_T3_mT4_T5_T6_T7_T8_P12ihipStream_tbENKUlT_T0_E_clISt17integral_constantIbLb1EES12_IbLb0EEEEDaSY_SZ_EUlSY_E_NS1_11comp_targetILNS1_3genE2ELNS1_11target_archE906ELNS1_3gpuE6ELNS1_3repE0EEENS1_30default_config_static_selectorELNS0_4arch9wavefront6targetE1EEEvT1_.uses_vcc, 0
	.set _ZN7rocprim17ROCPRIM_400000_NS6detail17trampoline_kernelINS0_14default_configENS1_29reduce_by_key_config_selectorIslN6thrust23THRUST_200600_302600_NS4plusIlEEEEZZNS1_33reduce_by_key_impl_wrapped_configILNS1_25lookback_scan_determinismE0ES3_S9_PsNS6_17constant_iteratorIiNS6_11use_defaultESE_EENS6_10device_ptrIsEENSG_IlEEPmS8_NS6_8equal_toIsEEEE10hipError_tPvRmT2_T3_mT4_T5_T6_T7_T8_P12ihipStream_tbENKUlT_T0_E_clISt17integral_constantIbLb1EES12_IbLb0EEEEDaSY_SZ_EUlSY_E_NS1_11comp_targetILNS1_3genE2ELNS1_11target_archE906ELNS1_3gpuE6ELNS1_3repE0EEENS1_30default_config_static_selectorELNS0_4arch9wavefront6targetE1EEEvT1_.uses_flat_scratch, 0
	.set _ZN7rocprim17ROCPRIM_400000_NS6detail17trampoline_kernelINS0_14default_configENS1_29reduce_by_key_config_selectorIslN6thrust23THRUST_200600_302600_NS4plusIlEEEEZZNS1_33reduce_by_key_impl_wrapped_configILNS1_25lookback_scan_determinismE0ES3_S9_PsNS6_17constant_iteratorIiNS6_11use_defaultESE_EENS6_10device_ptrIsEENSG_IlEEPmS8_NS6_8equal_toIsEEEE10hipError_tPvRmT2_T3_mT4_T5_T6_T7_T8_P12ihipStream_tbENKUlT_T0_E_clISt17integral_constantIbLb1EES12_IbLb0EEEEDaSY_SZ_EUlSY_E_NS1_11comp_targetILNS1_3genE2ELNS1_11target_archE906ELNS1_3gpuE6ELNS1_3repE0EEENS1_30default_config_static_selectorELNS0_4arch9wavefront6targetE1EEEvT1_.has_dyn_sized_stack, 0
	.set _ZN7rocprim17ROCPRIM_400000_NS6detail17trampoline_kernelINS0_14default_configENS1_29reduce_by_key_config_selectorIslN6thrust23THRUST_200600_302600_NS4plusIlEEEEZZNS1_33reduce_by_key_impl_wrapped_configILNS1_25lookback_scan_determinismE0ES3_S9_PsNS6_17constant_iteratorIiNS6_11use_defaultESE_EENS6_10device_ptrIsEENSG_IlEEPmS8_NS6_8equal_toIsEEEE10hipError_tPvRmT2_T3_mT4_T5_T6_T7_T8_P12ihipStream_tbENKUlT_T0_E_clISt17integral_constantIbLb1EES12_IbLb0EEEEDaSY_SZ_EUlSY_E_NS1_11comp_targetILNS1_3genE2ELNS1_11target_archE906ELNS1_3gpuE6ELNS1_3repE0EEENS1_30default_config_static_selectorELNS0_4arch9wavefront6targetE1EEEvT1_.has_recursion, 0
	.set _ZN7rocprim17ROCPRIM_400000_NS6detail17trampoline_kernelINS0_14default_configENS1_29reduce_by_key_config_selectorIslN6thrust23THRUST_200600_302600_NS4plusIlEEEEZZNS1_33reduce_by_key_impl_wrapped_configILNS1_25lookback_scan_determinismE0ES3_S9_PsNS6_17constant_iteratorIiNS6_11use_defaultESE_EENS6_10device_ptrIsEENSG_IlEEPmS8_NS6_8equal_toIsEEEE10hipError_tPvRmT2_T3_mT4_T5_T6_T7_T8_P12ihipStream_tbENKUlT_T0_E_clISt17integral_constantIbLb1EES12_IbLb0EEEEDaSY_SZ_EUlSY_E_NS1_11comp_targetILNS1_3genE2ELNS1_11target_archE906ELNS1_3gpuE6ELNS1_3repE0EEENS1_30default_config_static_selectorELNS0_4arch9wavefront6targetE1EEEvT1_.has_indirect_call, 0
	.section	.AMDGPU.csdata,"",@progbits
; Kernel info:
; codeLenInByte = 4
; TotalNumSgprs: 4
; NumVgprs: 0
; ScratchSize: 0
; MemoryBound: 0
; FloatMode: 240
; IeeeMode: 1
; LDSByteSize: 0 bytes/workgroup (compile time only)
; SGPRBlocks: 0
; VGPRBlocks: 0
; NumSGPRsForWavesPerEU: 4
; NumVGPRsForWavesPerEU: 1
; Occupancy: 10
; WaveLimiterHint : 0
; COMPUTE_PGM_RSRC2:SCRATCH_EN: 0
; COMPUTE_PGM_RSRC2:USER_SGPR: 6
; COMPUTE_PGM_RSRC2:TRAP_HANDLER: 0
; COMPUTE_PGM_RSRC2:TGID_X_EN: 1
; COMPUTE_PGM_RSRC2:TGID_Y_EN: 0
; COMPUTE_PGM_RSRC2:TGID_Z_EN: 0
; COMPUTE_PGM_RSRC2:TIDIG_COMP_CNT: 0
	.section	.text._ZN7rocprim17ROCPRIM_400000_NS6detail17trampoline_kernelINS0_14default_configENS1_29reduce_by_key_config_selectorIslN6thrust23THRUST_200600_302600_NS4plusIlEEEEZZNS1_33reduce_by_key_impl_wrapped_configILNS1_25lookback_scan_determinismE0ES3_S9_PsNS6_17constant_iteratorIiNS6_11use_defaultESE_EENS6_10device_ptrIsEENSG_IlEEPmS8_NS6_8equal_toIsEEEE10hipError_tPvRmT2_T3_mT4_T5_T6_T7_T8_P12ihipStream_tbENKUlT_T0_E_clISt17integral_constantIbLb1EES12_IbLb0EEEEDaSY_SZ_EUlSY_E_NS1_11comp_targetILNS1_3genE10ELNS1_11target_archE1201ELNS1_3gpuE5ELNS1_3repE0EEENS1_30default_config_static_selectorELNS0_4arch9wavefront6targetE1EEEvT1_,"axG",@progbits,_ZN7rocprim17ROCPRIM_400000_NS6detail17trampoline_kernelINS0_14default_configENS1_29reduce_by_key_config_selectorIslN6thrust23THRUST_200600_302600_NS4plusIlEEEEZZNS1_33reduce_by_key_impl_wrapped_configILNS1_25lookback_scan_determinismE0ES3_S9_PsNS6_17constant_iteratorIiNS6_11use_defaultESE_EENS6_10device_ptrIsEENSG_IlEEPmS8_NS6_8equal_toIsEEEE10hipError_tPvRmT2_T3_mT4_T5_T6_T7_T8_P12ihipStream_tbENKUlT_T0_E_clISt17integral_constantIbLb1EES12_IbLb0EEEEDaSY_SZ_EUlSY_E_NS1_11comp_targetILNS1_3genE10ELNS1_11target_archE1201ELNS1_3gpuE5ELNS1_3repE0EEENS1_30default_config_static_selectorELNS0_4arch9wavefront6targetE1EEEvT1_,comdat
	.protected	_ZN7rocprim17ROCPRIM_400000_NS6detail17trampoline_kernelINS0_14default_configENS1_29reduce_by_key_config_selectorIslN6thrust23THRUST_200600_302600_NS4plusIlEEEEZZNS1_33reduce_by_key_impl_wrapped_configILNS1_25lookback_scan_determinismE0ES3_S9_PsNS6_17constant_iteratorIiNS6_11use_defaultESE_EENS6_10device_ptrIsEENSG_IlEEPmS8_NS6_8equal_toIsEEEE10hipError_tPvRmT2_T3_mT4_T5_T6_T7_T8_P12ihipStream_tbENKUlT_T0_E_clISt17integral_constantIbLb1EES12_IbLb0EEEEDaSY_SZ_EUlSY_E_NS1_11comp_targetILNS1_3genE10ELNS1_11target_archE1201ELNS1_3gpuE5ELNS1_3repE0EEENS1_30default_config_static_selectorELNS0_4arch9wavefront6targetE1EEEvT1_ ; -- Begin function _ZN7rocprim17ROCPRIM_400000_NS6detail17trampoline_kernelINS0_14default_configENS1_29reduce_by_key_config_selectorIslN6thrust23THRUST_200600_302600_NS4plusIlEEEEZZNS1_33reduce_by_key_impl_wrapped_configILNS1_25lookback_scan_determinismE0ES3_S9_PsNS6_17constant_iteratorIiNS6_11use_defaultESE_EENS6_10device_ptrIsEENSG_IlEEPmS8_NS6_8equal_toIsEEEE10hipError_tPvRmT2_T3_mT4_T5_T6_T7_T8_P12ihipStream_tbENKUlT_T0_E_clISt17integral_constantIbLb1EES12_IbLb0EEEEDaSY_SZ_EUlSY_E_NS1_11comp_targetILNS1_3genE10ELNS1_11target_archE1201ELNS1_3gpuE5ELNS1_3repE0EEENS1_30default_config_static_selectorELNS0_4arch9wavefront6targetE1EEEvT1_
	.globl	_ZN7rocprim17ROCPRIM_400000_NS6detail17trampoline_kernelINS0_14default_configENS1_29reduce_by_key_config_selectorIslN6thrust23THRUST_200600_302600_NS4plusIlEEEEZZNS1_33reduce_by_key_impl_wrapped_configILNS1_25lookback_scan_determinismE0ES3_S9_PsNS6_17constant_iteratorIiNS6_11use_defaultESE_EENS6_10device_ptrIsEENSG_IlEEPmS8_NS6_8equal_toIsEEEE10hipError_tPvRmT2_T3_mT4_T5_T6_T7_T8_P12ihipStream_tbENKUlT_T0_E_clISt17integral_constantIbLb1EES12_IbLb0EEEEDaSY_SZ_EUlSY_E_NS1_11comp_targetILNS1_3genE10ELNS1_11target_archE1201ELNS1_3gpuE5ELNS1_3repE0EEENS1_30default_config_static_selectorELNS0_4arch9wavefront6targetE1EEEvT1_
	.p2align	8
	.type	_ZN7rocprim17ROCPRIM_400000_NS6detail17trampoline_kernelINS0_14default_configENS1_29reduce_by_key_config_selectorIslN6thrust23THRUST_200600_302600_NS4plusIlEEEEZZNS1_33reduce_by_key_impl_wrapped_configILNS1_25lookback_scan_determinismE0ES3_S9_PsNS6_17constant_iteratorIiNS6_11use_defaultESE_EENS6_10device_ptrIsEENSG_IlEEPmS8_NS6_8equal_toIsEEEE10hipError_tPvRmT2_T3_mT4_T5_T6_T7_T8_P12ihipStream_tbENKUlT_T0_E_clISt17integral_constantIbLb1EES12_IbLb0EEEEDaSY_SZ_EUlSY_E_NS1_11comp_targetILNS1_3genE10ELNS1_11target_archE1201ELNS1_3gpuE5ELNS1_3repE0EEENS1_30default_config_static_selectorELNS0_4arch9wavefront6targetE1EEEvT1_,@function
_ZN7rocprim17ROCPRIM_400000_NS6detail17trampoline_kernelINS0_14default_configENS1_29reduce_by_key_config_selectorIslN6thrust23THRUST_200600_302600_NS4plusIlEEEEZZNS1_33reduce_by_key_impl_wrapped_configILNS1_25lookback_scan_determinismE0ES3_S9_PsNS6_17constant_iteratorIiNS6_11use_defaultESE_EENS6_10device_ptrIsEENSG_IlEEPmS8_NS6_8equal_toIsEEEE10hipError_tPvRmT2_T3_mT4_T5_T6_T7_T8_P12ihipStream_tbENKUlT_T0_E_clISt17integral_constantIbLb1EES12_IbLb0EEEEDaSY_SZ_EUlSY_E_NS1_11comp_targetILNS1_3genE10ELNS1_11target_archE1201ELNS1_3gpuE5ELNS1_3repE0EEENS1_30default_config_static_selectorELNS0_4arch9wavefront6targetE1EEEvT1_: ; @_ZN7rocprim17ROCPRIM_400000_NS6detail17trampoline_kernelINS0_14default_configENS1_29reduce_by_key_config_selectorIslN6thrust23THRUST_200600_302600_NS4plusIlEEEEZZNS1_33reduce_by_key_impl_wrapped_configILNS1_25lookback_scan_determinismE0ES3_S9_PsNS6_17constant_iteratorIiNS6_11use_defaultESE_EENS6_10device_ptrIsEENSG_IlEEPmS8_NS6_8equal_toIsEEEE10hipError_tPvRmT2_T3_mT4_T5_T6_T7_T8_P12ihipStream_tbENKUlT_T0_E_clISt17integral_constantIbLb1EES12_IbLb0EEEEDaSY_SZ_EUlSY_E_NS1_11comp_targetILNS1_3genE10ELNS1_11target_archE1201ELNS1_3gpuE5ELNS1_3repE0EEENS1_30default_config_static_selectorELNS0_4arch9wavefront6targetE1EEEvT1_
; %bb.0:
	.section	.rodata,"a",@progbits
	.p2align	6, 0x0
	.amdhsa_kernel _ZN7rocprim17ROCPRIM_400000_NS6detail17trampoline_kernelINS0_14default_configENS1_29reduce_by_key_config_selectorIslN6thrust23THRUST_200600_302600_NS4plusIlEEEEZZNS1_33reduce_by_key_impl_wrapped_configILNS1_25lookback_scan_determinismE0ES3_S9_PsNS6_17constant_iteratorIiNS6_11use_defaultESE_EENS6_10device_ptrIsEENSG_IlEEPmS8_NS6_8equal_toIsEEEE10hipError_tPvRmT2_T3_mT4_T5_T6_T7_T8_P12ihipStream_tbENKUlT_T0_E_clISt17integral_constantIbLb1EES12_IbLb0EEEEDaSY_SZ_EUlSY_E_NS1_11comp_targetILNS1_3genE10ELNS1_11target_archE1201ELNS1_3gpuE5ELNS1_3repE0EEENS1_30default_config_static_selectorELNS0_4arch9wavefront6targetE1EEEvT1_
		.amdhsa_group_segment_fixed_size 0
		.amdhsa_private_segment_fixed_size 0
		.amdhsa_kernarg_size 144
		.amdhsa_user_sgpr_count 6
		.amdhsa_user_sgpr_private_segment_buffer 1
		.amdhsa_user_sgpr_dispatch_ptr 0
		.amdhsa_user_sgpr_queue_ptr 0
		.amdhsa_user_sgpr_kernarg_segment_ptr 1
		.amdhsa_user_sgpr_dispatch_id 0
		.amdhsa_user_sgpr_flat_scratch_init 0
		.amdhsa_user_sgpr_private_segment_size 0
		.amdhsa_uses_dynamic_stack 0
		.amdhsa_system_sgpr_private_segment_wavefront_offset 0
		.amdhsa_system_sgpr_workgroup_id_x 1
		.amdhsa_system_sgpr_workgroup_id_y 0
		.amdhsa_system_sgpr_workgroup_id_z 0
		.amdhsa_system_sgpr_workgroup_info 0
		.amdhsa_system_vgpr_workitem_id 0
		.amdhsa_next_free_vgpr 1
		.amdhsa_next_free_sgpr 0
		.amdhsa_reserve_vcc 0
		.amdhsa_reserve_flat_scratch 0
		.amdhsa_float_round_mode_32 0
		.amdhsa_float_round_mode_16_64 0
		.amdhsa_float_denorm_mode_32 3
		.amdhsa_float_denorm_mode_16_64 3
		.amdhsa_dx10_clamp 1
		.amdhsa_ieee_mode 1
		.amdhsa_fp16_overflow 0
		.amdhsa_exception_fp_ieee_invalid_op 0
		.amdhsa_exception_fp_denorm_src 0
		.amdhsa_exception_fp_ieee_div_zero 0
		.amdhsa_exception_fp_ieee_overflow 0
		.amdhsa_exception_fp_ieee_underflow 0
		.amdhsa_exception_fp_ieee_inexact 0
		.amdhsa_exception_int_div_zero 0
	.end_amdhsa_kernel
	.section	.text._ZN7rocprim17ROCPRIM_400000_NS6detail17trampoline_kernelINS0_14default_configENS1_29reduce_by_key_config_selectorIslN6thrust23THRUST_200600_302600_NS4plusIlEEEEZZNS1_33reduce_by_key_impl_wrapped_configILNS1_25lookback_scan_determinismE0ES3_S9_PsNS6_17constant_iteratorIiNS6_11use_defaultESE_EENS6_10device_ptrIsEENSG_IlEEPmS8_NS6_8equal_toIsEEEE10hipError_tPvRmT2_T3_mT4_T5_T6_T7_T8_P12ihipStream_tbENKUlT_T0_E_clISt17integral_constantIbLb1EES12_IbLb0EEEEDaSY_SZ_EUlSY_E_NS1_11comp_targetILNS1_3genE10ELNS1_11target_archE1201ELNS1_3gpuE5ELNS1_3repE0EEENS1_30default_config_static_selectorELNS0_4arch9wavefront6targetE1EEEvT1_,"axG",@progbits,_ZN7rocprim17ROCPRIM_400000_NS6detail17trampoline_kernelINS0_14default_configENS1_29reduce_by_key_config_selectorIslN6thrust23THRUST_200600_302600_NS4plusIlEEEEZZNS1_33reduce_by_key_impl_wrapped_configILNS1_25lookback_scan_determinismE0ES3_S9_PsNS6_17constant_iteratorIiNS6_11use_defaultESE_EENS6_10device_ptrIsEENSG_IlEEPmS8_NS6_8equal_toIsEEEE10hipError_tPvRmT2_T3_mT4_T5_T6_T7_T8_P12ihipStream_tbENKUlT_T0_E_clISt17integral_constantIbLb1EES12_IbLb0EEEEDaSY_SZ_EUlSY_E_NS1_11comp_targetILNS1_3genE10ELNS1_11target_archE1201ELNS1_3gpuE5ELNS1_3repE0EEENS1_30default_config_static_selectorELNS0_4arch9wavefront6targetE1EEEvT1_,comdat
.Lfunc_end1493:
	.size	_ZN7rocprim17ROCPRIM_400000_NS6detail17trampoline_kernelINS0_14default_configENS1_29reduce_by_key_config_selectorIslN6thrust23THRUST_200600_302600_NS4plusIlEEEEZZNS1_33reduce_by_key_impl_wrapped_configILNS1_25lookback_scan_determinismE0ES3_S9_PsNS6_17constant_iteratorIiNS6_11use_defaultESE_EENS6_10device_ptrIsEENSG_IlEEPmS8_NS6_8equal_toIsEEEE10hipError_tPvRmT2_T3_mT4_T5_T6_T7_T8_P12ihipStream_tbENKUlT_T0_E_clISt17integral_constantIbLb1EES12_IbLb0EEEEDaSY_SZ_EUlSY_E_NS1_11comp_targetILNS1_3genE10ELNS1_11target_archE1201ELNS1_3gpuE5ELNS1_3repE0EEENS1_30default_config_static_selectorELNS0_4arch9wavefront6targetE1EEEvT1_, .Lfunc_end1493-_ZN7rocprim17ROCPRIM_400000_NS6detail17trampoline_kernelINS0_14default_configENS1_29reduce_by_key_config_selectorIslN6thrust23THRUST_200600_302600_NS4plusIlEEEEZZNS1_33reduce_by_key_impl_wrapped_configILNS1_25lookback_scan_determinismE0ES3_S9_PsNS6_17constant_iteratorIiNS6_11use_defaultESE_EENS6_10device_ptrIsEENSG_IlEEPmS8_NS6_8equal_toIsEEEE10hipError_tPvRmT2_T3_mT4_T5_T6_T7_T8_P12ihipStream_tbENKUlT_T0_E_clISt17integral_constantIbLb1EES12_IbLb0EEEEDaSY_SZ_EUlSY_E_NS1_11comp_targetILNS1_3genE10ELNS1_11target_archE1201ELNS1_3gpuE5ELNS1_3repE0EEENS1_30default_config_static_selectorELNS0_4arch9wavefront6targetE1EEEvT1_
                                        ; -- End function
	.set _ZN7rocprim17ROCPRIM_400000_NS6detail17trampoline_kernelINS0_14default_configENS1_29reduce_by_key_config_selectorIslN6thrust23THRUST_200600_302600_NS4plusIlEEEEZZNS1_33reduce_by_key_impl_wrapped_configILNS1_25lookback_scan_determinismE0ES3_S9_PsNS6_17constant_iteratorIiNS6_11use_defaultESE_EENS6_10device_ptrIsEENSG_IlEEPmS8_NS6_8equal_toIsEEEE10hipError_tPvRmT2_T3_mT4_T5_T6_T7_T8_P12ihipStream_tbENKUlT_T0_E_clISt17integral_constantIbLb1EES12_IbLb0EEEEDaSY_SZ_EUlSY_E_NS1_11comp_targetILNS1_3genE10ELNS1_11target_archE1201ELNS1_3gpuE5ELNS1_3repE0EEENS1_30default_config_static_selectorELNS0_4arch9wavefront6targetE1EEEvT1_.num_vgpr, 0
	.set _ZN7rocprim17ROCPRIM_400000_NS6detail17trampoline_kernelINS0_14default_configENS1_29reduce_by_key_config_selectorIslN6thrust23THRUST_200600_302600_NS4plusIlEEEEZZNS1_33reduce_by_key_impl_wrapped_configILNS1_25lookback_scan_determinismE0ES3_S9_PsNS6_17constant_iteratorIiNS6_11use_defaultESE_EENS6_10device_ptrIsEENSG_IlEEPmS8_NS6_8equal_toIsEEEE10hipError_tPvRmT2_T3_mT4_T5_T6_T7_T8_P12ihipStream_tbENKUlT_T0_E_clISt17integral_constantIbLb1EES12_IbLb0EEEEDaSY_SZ_EUlSY_E_NS1_11comp_targetILNS1_3genE10ELNS1_11target_archE1201ELNS1_3gpuE5ELNS1_3repE0EEENS1_30default_config_static_selectorELNS0_4arch9wavefront6targetE1EEEvT1_.num_agpr, 0
	.set _ZN7rocprim17ROCPRIM_400000_NS6detail17trampoline_kernelINS0_14default_configENS1_29reduce_by_key_config_selectorIslN6thrust23THRUST_200600_302600_NS4plusIlEEEEZZNS1_33reduce_by_key_impl_wrapped_configILNS1_25lookback_scan_determinismE0ES3_S9_PsNS6_17constant_iteratorIiNS6_11use_defaultESE_EENS6_10device_ptrIsEENSG_IlEEPmS8_NS6_8equal_toIsEEEE10hipError_tPvRmT2_T3_mT4_T5_T6_T7_T8_P12ihipStream_tbENKUlT_T0_E_clISt17integral_constantIbLb1EES12_IbLb0EEEEDaSY_SZ_EUlSY_E_NS1_11comp_targetILNS1_3genE10ELNS1_11target_archE1201ELNS1_3gpuE5ELNS1_3repE0EEENS1_30default_config_static_selectorELNS0_4arch9wavefront6targetE1EEEvT1_.numbered_sgpr, 0
	.set _ZN7rocprim17ROCPRIM_400000_NS6detail17trampoline_kernelINS0_14default_configENS1_29reduce_by_key_config_selectorIslN6thrust23THRUST_200600_302600_NS4plusIlEEEEZZNS1_33reduce_by_key_impl_wrapped_configILNS1_25lookback_scan_determinismE0ES3_S9_PsNS6_17constant_iteratorIiNS6_11use_defaultESE_EENS6_10device_ptrIsEENSG_IlEEPmS8_NS6_8equal_toIsEEEE10hipError_tPvRmT2_T3_mT4_T5_T6_T7_T8_P12ihipStream_tbENKUlT_T0_E_clISt17integral_constantIbLb1EES12_IbLb0EEEEDaSY_SZ_EUlSY_E_NS1_11comp_targetILNS1_3genE10ELNS1_11target_archE1201ELNS1_3gpuE5ELNS1_3repE0EEENS1_30default_config_static_selectorELNS0_4arch9wavefront6targetE1EEEvT1_.num_named_barrier, 0
	.set _ZN7rocprim17ROCPRIM_400000_NS6detail17trampoline_kernelINS0_14default_configENS1_29reduce_by_key_config_selectorIslN6thrust23THRUST_200600_302600_NS4plusIlEEEEZZNS1_33reduce_by_key_impl_wrapped_configILNS1_25lookback_scan_determinismE0ES3_S9_PsNS6_17constant_iteratorIiNS6_11use_defaultESE_EENS6_10device_ptrIsEENSG_IlEEPmS8_NS6_8equal_toIsEEEE10hipError_tPvRmT2_T3_mT4_T5_T6_T7_T8_P12ihipStream_tbENKUlT_T0_E_clISt17integral_constantIbLb1EES12_IbLb0EEEEDaSY_SZ_EUlSY_E_NS1_11comp_targetILNS1_3genE10ELNS1_11target_archE1201ELNS1_3gpuE5ELNS1_3repE0EEENS1_30default_config_static_selectorELNS0_4arch9wavefront6targetE1EEEvT1_.private_seg_size, 0
	.set _ZN7rocprim17ROCPRIM_400000_NS6detail17trampoline_kernelINS0_14default_configENS1_29reduce_by_key_config_selectorIslN6thrust23THRUST_200600_302600_NS4plusIlEEEEZZNS1_33reduce_by_key_impl_wrapped_configILNS1_25lookback_scan_determinismE0ES3_S9_PsNS6_17constant_iteratorIiNS6_11use_defaultESE_EENS6_10device_ptrIsEENSG_IlEEPmS8_NS6_8equal_toIsEEEE10hipError_tPvRmT2_T3_mT4_T5_T6_T7_T8_P12ihipStream_tbENKUlT_T0_E_clISt17integral_constantIbLb1EES12_IbLb0EEEEDaSY_SZ_EUlSY_E_NS1_11comp_targetILNS1_3genE10ELNS1_11target_archE1201ELNS1_3gpuE5ELNS1_3repE0EEENS1_30default_config_static_selectorELNS0_4arch9wavefront6targetE1EEEvT1_.uses_vcc, 0
	.set _ZN7rocprim17ROCPRIM_400000_NS6detail17trampoline_kernelINS0_14default_configENS1_29reduce_by_key_config_selectorIslN6thrust23THRUST_200600_302600_NS4plusIlEEEEZZNS1_33reduce_by_key_impl_wrapped_configILNS1_25lookback_scan_determinismE0ES3_S9_PsNS6_17constant_iteratorIiNS6_11use_defaultESE_EENS6_10device_ptrIsEENSG_IlEEPmS8_NS6_8equal_toIsEEEE10hipError_tPvRmT2_T3_mT4_T5_T6_T7_T8_P12ihipStream_tbENKUlT_T0_E_clISt17integral_constantIbLb1EES12_IbLb0EEEEDaSY_SZ_EUlSY_E_NS1_11comp_targetILNS1_3genE10ELNS1_11target_archE1201ELNS1_3gpuE5ELNS1_3repE0EEENS1_30default_config_static_selectorELNS0_4arch9wavefront6targetE1EEEvT1_.uses_flat_scratch, 0
	.set _ZN7rocprim17ROCPRIM_400000_NS6detail17trampoline_kernelINS0_14default_configENS1_29reduce_by_key_config_selectorIslN6thrust23THRUST_200600_302600_NS4plusIlEEEEZZNS1_33reduce_by_key_impl_wrapped_configILNS1_25lookback_scan_determinismE0ES3_S9_PsNS6_17constant_iteratorIiNS6_11use_defaultESE_EENS6_10device_ptrIsEENSG_IlEEPmS8_NS6_8equal_toIsEEEE10hipError_tPvRmT2_T3_mT4_T5_T6_T7_T8_P12ihipStream_tbENKUlT_T0_E_clISt17integral_constantIbLb1EES12_IbLb0EEEEDaSY_SZ_EUlSY_E_NS1_11comp_targetILNS1_3genE10ELNS1_11target_archE1201ELNS1_3gpuE5ELNS1_3repE0EEENS1_30default_config_static_selectorELNS0_4arch9wavefront6targetE1EEEvT1_.has_dyn_sized_stack, 0
	.set _ZN7rocprim17ROCPRIM_400000_NS6detail17trampoline_kernelINS0_14default_configENS1_29reduce_by_key_config_selectorIslN6thrust23THRUST_200600_302600_NS4plusIlEEEEZZNS1_33reduce_by_key_impl_wrapped_configILNS1_25lookback_scan_determinismE0ES3_S9_PsNS6_17constant_iteratorIiNS6_11use_defaultESE_EENS6_10device_ptrIsEENSG_IlEEPmS8_NS6_8equal_toIsEEEE10hipError_tPvRmT2_T3_mT4_T5_T6_T7_T8_P12ihipStream_tbENKUlT_T0_E_clISt17integral_constantIbLb1EES12_IbLb0EEEEDaSY_SZ_EUlSY_E_NS1_11comp_targetILNS1_3genE10ELNS1_11target_archE1201ELNS1_3gpuE5ELNS1_3repE0EEENS1_30default_config_static_selectorELNS0_4arch9wavefront6targetE1EEEvT1_.has_recursion, 0
	.set _ZN7rocprim17ROCPRIM_400000_NS6detail17trampoline_kernelINS0_14default_configENS1_29reduce_by_key_config_selectorIslN6thrust23THRUST_200600_302600_NS4plusIlEEEEZZNS1_33reduce_by_key_impl_wrapped_configILNS1_25lookback_scan_determinismE0ES3_S9_PsNS6_17constant_iteratorIiNS6_11use_defaultESE_EENS6_10device_ptrIsEENSG_IlEEPmS8_NS6_8equal_toIsEEEE10hipError_tPvRmT2_T3_mT4_T5_T6_T7_T8_P12ihipStream_tbENKUlT_T0_E_clISt17integral_constantIbLb1EES12_IbLb0EEEEDaSY_SZ_EUlSY_E_NS1_11comp_targetILNS1_3genE10ELNS1_11target_archE1201ELNS1_3gpuE5ELNS1_3repE0EEENS1_30default_config_static_selectorELNS0_4arch9wavefront6targetE1EEEvT1_.has_indirect_call, 0
	.section	.AMDGPU.csdata,"",@progbits
; Kernel info:
; codeLenInByte = 0
; TotalNumSgprs: 4
; NumVgprs: 0
; ScratchSize: 0
; MemoryBound: 0
; FloatMode: 240
; IeeeMode: 1
; LDSByteSize: 0 bytes/workgroup (compile time only)
; SGPRBlocks: 0
; VGPRBlocks: 0
; NumSGPRsForWavesPerEU: 4
; NumVGPRsForWavesPerEU: 1
; Occupancy: 10
; WaveLimiterHint : 0
; COMPUTE_PGM_RSRC2:SCRATCH_EN: 0
; COMPUTE_PGM_RSRC2:USER_SGPR: 6
; COMPUTE_PGM_RSRC2:TRAP_HANDLER: 0
; COMPUTE_PGM_RSRC2:TGID_X_EN: 1
; COMPUTE_PGM_RSRC2:TGID_Y_EN: 0
; COMPUTE_PGM_RSRC2:TGID_Z_EN: 0
; COMPUTE_PGM_RSRC2:TIDIG_COMP_CNT: 0
	.section	.text._ZN7rocprim17ROCPRIM_400000_NS6detail17trampoline_kernelINS0_14default_configENS1_29reduce_by_key_config_selectorIslN6thrust23THRUST_200600_302600_NS4plusIlEEEEZZNS1_33reduce_by_key_impl_wrapped_configILNS1_25lookback_scan_determinismE0ES3_S9_PsNS6_17constant_iteratorIiNS6_11use_defaultESE_EENS6_10device_ptrIsEENSG_IlEEPmS8_NS6_8equal_toIsEEEE10hipError_tPvRmT2_T3_mT4_T5_T6_T7_T8_P12ihipStream_tbENKUlT_T0_E_clISt17integral_constantIbLb1EES12_IbLb0EEEEDaSY_SZ_EUlSY_E_NS1_11comp_targetILNS1_3genE10ELNS1_11target_archE1200ELNS1_3gpuE4ELNS1_3repE0EEENS1_30default_config_static_selectorELNS0_4arch9wavefront6targetE1EEEvT1_,"axG",@progbits,_ZN7rocprim17ROCPRIM_400000_NS6detail17trampoline_kernelINS0_14default_configENS1_29reduce_by_key_config_selectorIslN6thrust23THRUST_200600_302600_NS4plusIlEEEEZZNS1_33reduce_by_key_impl_wrapped_configILNS1_25lookback_scan_determinismE0ES3_S9_PsNS6_17constant_iteratorIiNS6_11use_defaultESE_EENS6_10device_ptrIsEENSG_IlEEPmS8_NS6_8equal_toIsEEEE10hipError_tPvRmT2_T3_mT4_T5_T6_T7_T8_P12ihipStream_tbENKUlT_T0_E_clISt17integral_constantIbLb1EES12_IbLb0EEEEDaSY_SZ_EUlSY_E_NS1_11comp_targetILNS1_3genE10ELNS1_11target_archE1200ELNS1_3gpuE4ELNS1_3repE0EEENS1_30default_config_static_selectorELNS0_4arch9wavefront6targetE1EEEvT1_,comdat
	.protected	_ZN7rocprim17ROCPRIM_400000_NS6detail17trampoline_kernelINS0_14default_configENS1_29reduce_by_key_config_selectorIslN6thrust23THRUST_200600_302600_NS4plusIlEEEEZZNS1_33reduce_by_key_impl_wrapped_configILNS1_25lookback_scan_determinismE0ES3_S9_PsNS6_17constant_iteratorIiNS6_11use_defaultESE_EENS6_10device_ptrIsEENSG_IlEEPmS8_NS6_8equal_toIsEEEE10hipError_tPvRmT2_T3_mT4_T5_T6_T7_T8_P12ihipStream_tbENKUlT_T0_E_clISt17integral_constantIbLb1EES12_IbLb0EEEEDaSY_SZ_EUlSY_E_NS1_11comp_targetILNS1_3genE10ELNS1_11target_archE1200ELNS1_3gpuE4ELNS1_3repE0EEENS1_30default_config_static_selectorELNS0_4arch9wavefront6targetE1EEEvT1_ ; -- Begin function _ZN7rocprim17ROCPRIM_400000_NS6detail17trampoline_kernelINS0_14default_configENS1_29reduce_by_key_config_selectorIslN6thrust23THRUST_200600_302600_NS4plusIlEEEEZZNS1_33reduce_by_key_impl_wrapped_configILNS1_25lookback_scan_determinismE0ES3_S9_PsNS6_17constant_iteratorIiNS6_11use_defaultESE_EENS6_10device_ptrIsEENSG_IlEEPmS8_NS6_8equal_toIsEEEE10hipError_tPvRmT2_T3_mT4_T5_T6_T7_T8_P12ihipStream_tbENKUlT_T0_E_clISt17integral_constantIbLb1EES12_IbLb0EEEEDaSY_SZ_EUlSY_E_NS1_11comp_targetILNS1_3genE10ELNS1_11target_archE1200ELNS1_3gpuE4ELNS1_3repE0EEENS1_30default_config_static_selectorELNS0_4arch9wavefront6targetE1EEEvT1_
	.globl	_ZN7rocprim17ROCPRIM_400000_NS6detail17trampoline_kernelINS0_14default_configENS1_29reduce_by_key_config_selectorIslN6thrust23THRUST_200600_302600_NS4plusIlEEEEZZNS1_33reduce_by_key_impl_wrapped_configILNS1_25lookback_scan_determinismE0ES3_S9_PsNS6_17constant_iteratorIiNS6_11use_defaultESE_EENS6_10device_ptrIsEENSG_IlEEPmS8_NS6_8equal_toIsEEEE10hipError_tPvRmT2_T3_mT4_T5_T6_T7_T8_P12ihipStream_tbENKUlT_T0_E_clISt17integral_constantIbLb1EES12_IbLb0EEEEDaSY_SZ_EUlSY_E_NS1_11comp_targetILNS1_3genE10ELNS1_11target_archE1200ELNS1_3gpuE4ELNS1_3repE0EEENS1_30default_config_static_selectorELNS0_4arch9wavefront6targetE1EEEvT1_
	.p2align	8
	.type	_ZN7rocprim17ROCPRIM_400000_NS6detail17trampoline_kernelINS0_14default_configENS1_29reduce_by_key_config_selectorIslN6thrust23THRUST_200600_302600_NS4plusIlEEEEZZNS1_33reduce_by_key_impl_wrapped_configILNS1_25lookback_scan_determinismE0ES3_S9_PsNS6_17constant_iteratorIiNS6_11use_defaultESE_EENS6_10device_ptrIsEENSG_IlEEPmS8_NS6_8equal_toIsEEEE10hipError_tPvRmT2_T3_mT4_T5_T6_T7_T8_P12ihipStream_tbENKUlT_T0_E_clISt17integral_constantIbLb1EES12_IbLb0EEEEDaSY_SZ_EUlSY_E_NS1_11comp_targetILNS1_3genE10ELNS1_11target_archE1200ELNS1_3gpuE4ELNS1_3repE0EEENS1_30default_config_static_selectorELNS0_4arch9wavefront6targetE1EEEvT1_,@function
_ZN7rocprim17ROCPRIM_400000_NS6detail17trampoline_kernelINS0_14default_configENS1_29reduce_by_key_config_selectorIslN6thrust23THRUST_200600_302600_NS4plusIlEEEEZZNS1_33reduce_by_key_impl_wrapped_configILNS1_25lookback_scan_determinismE0ES3_S9_PsNS6_17constant_iteratorIiNS6_11use_defaultESE_EENS6_10device_ptrIsEENSG_IlEEPmS8_NS6_8equal_toIsEEEE10hipError_tPvRmT2_T3_mT4_T5_T6_T7_T8_P12ihipStream_tbENKUlT_T0_E_clISt17integral_constantIbLb1EES12_IbLb0EEEEDaSY_SZ_EUlSY_E_NS1_11comp_targetILNS1_3genE10ELNS1_11target_archE1200ELNS1_3gpuE4ELNS1_3repE0EEENS1_30default_config_static_selectorELNS0_4arch9wavefront6targetE1EEEvT1_: ; @_ZN7rocprim17ROCPRIM_400000_NS6detail17trampoline_kernelINS0_14default_configENS1_29reduce_by_key_config_selectorIslN6thrust23THRUST_200600_302600_NS4plusIlEEEEZZNS1_33reduce_by_key_impl_wrapped_configILNS1_25lookback_scan_determinismE0ES3_S9_PsNS6_17constant_iteratorIiNS6_11use_defaultESE_EENS6_10device_ptrIsEENSG_IlEEPmS8_NS6_8equal_toIsEEEE10hipError_tPvRmT2_T3_mT4_T5_T6_T7_T8_P12ihipStream_tbENKUlT_T0_E_clISt17integral_constantIbLb1EES12_IbLb0EEEEDaSY_SZ_EUlSY_E_NS1_11comp_targetILNS1_3genE10ELNS1_11target_archE1200ELNS1_3gpuE4ELNS1_3repE0EEENS1_30default_config_static_selectorELNS0_4arch9wavefront6targetE1EEEvT1_
; %bb.0:
	.section	.rodata,"a",@progbits
	.p2align	6, 0x0
	.amdhsa_kernel _ZN7rocprim17ROCPRIM_400000_NS6detail17trampoline_kernelINS0_14default_configENS1_29reduce_by_key_config_selectorIslN6thrust23THRUST_200600_302600_NS4plusIlEEEEZZNS1_33reduce_by_key_impl_wrapped_configILNS1_25lookback_scan_determinismE0ES3_S9_PsNS6_17constant_iteratorIiNS6_11use_defaultESE_EENS6_10device_ptrIsEENSG_IlEEPmS8_NS6_8equal_toIsEEEE10hipError_tPvRmT2_T3_mT4_T5_T6_T7_T8_P12ihipStream_tbENKUlT_T0_E_clISt17integral_constantIbLb1EES12_IbLb0EEEEDaSY_SZ_EUlSY_E_NS1_11comp_targetILNS1_3genE10ELNS1_11target_archE1200ELNS1_3gpuE4ELNS1_3repE0EEENS1_30default_config_static_selectorELNS0_4arch9wavefront6targetE1EEEvT1_
		.amdhsa_group_segment_fixed_size 0
		.amdhsa_private_segment_fixed_size 0
		.amdhsa_kernarg_size 144
		.amdhsa_user_sgpr_count 6
		.amdhsa_user_sgpr_private_segment_buffer 1
		.amdhsa_user_sgpr_dispatch_ptr 0
		.amdhsa_user_sgpr_queue_ptr 0
		.amdhsa_user_sgpr_kernarg_segment_ptr 1
		.amdhsa_user_sgpr_dispatch_id 0
		.amdhsa_user_sgpr_flat_scratch_init 0
		.amdhsa_user_sgpr_private_segment_size 0
		.amdhsa_uses_dynamic_stack 0
		.amdhsa_system_sgpr_private_segment_wavefront_offset 0
		.amdhsa_system_sgpr_workgroup_id_x 1
		.amdhsa_system_sgpr_workgroup_id_y 0
		.amdhsa_system_sgpr_workgroup_id_z 0
		.amdhsa_system_sgpr_workgroup_info 0
		.amdhsa_system_vgpr_workitem_id 0
		.amdhsa_next_free_vgpr 1
		.amdhsa_next_free_sgpr 0
		.amdhsa_reserve_vcc 0
		.amdhsa_reserve_flat_scratch 0
		.amdhsa_float_round_mode_32 0
		.amdhsa_float_round_mode_16_64 0
		.amdhsa_float_denorm_mode_32 3
		.amdhsa_float_denorm_mode_16_64 3
		.amdhsa_dx10_clamp 1
		.amdhsa_ieee_mode 1
		.amdhsa_fp16_overflow 0
		.amdhsa_exception_fp_ieee_invalid_op 0
		.amdhsa_exception_fp_denorm_src 0
		.amdhsa_exception_fp_ieee_div_zero 0
		.amdhsa_exception_fp_ieee_overflow 0
		.amdhsa_exception_fp_ieee_underflow 0
		.amdhsa_exception_fp_ieee_inexact 0
		.amdhsa_exception_int_div_zero 0
	.end_amdhsa_kernel
	.section	.text._ZN7rocprim17ROCPRIM_400000_NS6detail17trampoline_kernelINS0_14default_configENS1_29reduce_by_key_config_selectorIslN6thrust23THRUST_200600_302600_NS4plusIlEEEEZZNS1_33reduce_by_key_impl_wrapped_configILNS1_25lookback_scan_determinismE0ES3_S9_PsNS6_17constant_iteratorIiNS6_11use_defaultESE_EENS6_10device_ptrIsEENSG_IlEEPmS8_NS6_8equal_toIsEEEE10hipError_tPvRmT2_T3_mT4_T5_T6_T7_T8_P12ihipStream_tbENKUlT_T0_E_clISt17integral_constantIbLb1EES12_IbLb0EEEEDaSY_SZ_EUlSY_E_NS1_11comp_targetILNS1_3genE10ELNS1_11target_archE1200ELNS1_3gpuE4ELNS1_3repE0EEENS1_30default_config_static_selectorELNS0_4arch9wavefront6targetE1EEEvT1_,"axG",@progbits,_ZN7rocprim17ROCPRIM_400000_NS6detail17trampoline_kernelINS0_14default_configENS1_29reduce_by_key_config_selectorIslN6thrust23THRUST_200600_302600_NS4plusIlEEEEZZNS1_33reduce_by_key_impl_wrapped_configILNS1_25lookback_scan_determinismE0ES3_S9_PsNS6_17constant_iteratorIiNS6_11use_defaultESE_EENS6_10device_ptrIsEENSG_IlEEPmS8_NS6_8equal_toIsEEEE10hipError_tPvRmT2_T3_mT4_T5_T6_T7_T8_P12ihipStream_tbENKUlT_T0_E_clISt17integral_constantIbLb1EES12_IbLb0EEEEDaSY_SZ_EUlSY_E_NS1_11comp_targetILNS1_3genE10ELNS1_11target_archE1200ELNS1_3gpuE4ELNS1_3repE0EEENS1_30default_config_static_selectorELNS0_4arch9wavefront6targetE1EEEvT1_,comdat
.Lfunc_end1494:
	.size	_ZN7rocprim17ROCPRIM_400000_NS6detail17trampoline_kernelINS0_14default_configENS1_29reduce_by_key_config_selectorIslN6thrust23THRUST_200600_302600_NS4plusIlEEEEZZNS1_33reduce_by_key_impl_wrapped_configILNS1_25lookback_scan_determinismE0ES3_S9_PsNS6_17constant_iteratorIiNS6_11use_defaultESE_EENS6_10device_ptrIsEENSG_IlEEPmS8_NS6_8equal_toIsEEEE10hipError_tPvRmT2_T3_mT4_T5_T6_T7_T8_P12ihipStream_tbENKUlT_T0_E_clISt17integral_constantIbLb1EES12_IbLb0EEEEDaSY_SZ_EUlSY_E_NS1_11comp_targetILNS1_3genE10ELNS1_11target_archE1200ELNS1_3gpuE4ELNS1_3repE0EEENS1_30default_config_static_selectorELNS0_4arch9wavefront6targetE1EEEvT1_, .Lfunc_end1494-_ZN7rocprim17ROCPRIM_400000_NS6detail17trampoline_kernelINS0_14default_configENS1_29reduce_by_key_config_selectorIslN6thrust23THRUST_200600_302600_NS4plusIlEEEEZZNS1_33reduce_by_key_impl_wrapped_configILNS1_25lookback_scan_determinismE0ES3_S9_PsNS6_17constant_iteratorIiNS6_11use_defaultESE_EENS6_10device_ptrIsEENSG_IlEEPmS8_NS6_8equal_toIsEEEE10hipError_tPvRmT2_T3_mT4_T5_T6_T7_T8_P12ihipStream_tbENKUlT_T0_E_clISt17integral_constantIbLb1EES12_IbLb0EEEEDaSY_SZ_EUlSY_E_NS1_11comp_targetILNS1_3genE10ELNS1_11target_archE1200ELNS1_3gpuE4ELNS1_3repE0EEENS1_30default_config_static_selectorELNS0_4arch9wavefront6targetE1EEEvT1_
                                        ; -- End function
	.set _ZN7rocprim17ROCPRIM_400000_NS6detail17trampoline_kernelINS0_14default_configENS1_29reduce_by_key_config_selectorIslN6thrust23THRUST_200600_302600_NS4plusIlEEEEZZNS1_33reduce_by_key_impl_wrapped_configILNS1_25lookback_scan_determinismE0ES3_S9_PsNS6_17constant_iteratorIiNS6_11use_defaultESE_EENS6_10device_ptrIsEENSG_IlEEPmS8_NS6_8equal_toIsEEEE10hipError_tPvRmT2_T3_mT4_T5_T6_T7_T8_P12ihipStream_tbENKUlT_T0_E_clISt17integral_constantIbLb1EES12_IbLb0EEEEDaSY_SZ_EUlSY_E_NS1_11comp_targetILNS1_3genE10ELNS1_11target_archE1200ELNS1_3gpuE4ELNS1_3repE0EEENS1_30default_config_static_selectorELNS0_4arch9wavefront6targetE1EEEvT1_.num_vgpr, 0
	.set _ZN7rocprim17ROCPRIM_400000_NS6detail17trampoline_kernelINS0_14default_configENS1_29reduce_by_key_config_selectorIslN6thrust23THRUST_200600_302600_NS4plusIlEEEEZZNS1_33reduce_by_key_impl_wrapped_configILNS1_25lookback_scan_determinismE0ES3_S9_PsNS6_17constant_iteratorIiNS6_11use_defaultESE_EENS6_10device_ptrIsEENSG_IlEEPmS8_NS6_8equal_toIsEEEE10hipError_tPvRmT2_T3_mT4_T5_T6_T7_T8_P12ihipStream_tbENKUlT_T0_E_clISt17integral_constantIbLb1EES12_IbLb0EEEEDaSY_SZ_EUlSY_E_NS1_11comp_targetILNS1_3genE10ELNS1_11target_archE1200ELNS1_3gpuE4ELNS1_3repE0EEENS1_30default_config_static_selectorELNS0_4arch9wavefront6targetE1EEEvT1_.num_agpr, 0
	.set _ZN7rocprim17ROCPRIM_400000_NS6detail17trampoline_kernelINS0_14default_configENS1_29reduce_by_key_config_selectorIslN6thrust23THRUST_200600_302600_NS4plusIlEEEEZZNS1_33reduce_by_key_impl_wrapped_configILNS1_25lookback_scan_determinismE0ES3_S9_PsNS6_17constant_iteratorIiNS6_11use_defaultESE_EENS6_10device_ptrIsEENSG_IlEEPmS8_NS6_8equal_toIsEEEE10hipError_tPvRmT2_T3_mT4_T5_T6_T7_T8_P12ihipStream_tbENKUlT_T0_E_clISt17integral_constantIbLb1EES12_IbLb0EEEEDaSY_SZ_EUlSY_E_NS1_11comp_targetILNS1_3genE10ELNS1_11target_archE1200ELNS1_3gpuE4ELNS1_3repE0EEENS1_30default_config_static_selectorELNS0_4arch9wavefront6targetE1EEEvT1_.numbered_sgpr, 0
	.set _ZN7rocprim17ROCPRIM_400000_NS6detail17trampoline_kernelINS0_14default_configENS1_29reduce_by_key_config_selectorIslN6thrust23THRUST_200600_302600_NS4plusIlEEEEZZNS1_33reduce_by_key_impl_wrapped_configILNS1_25lookback_scan_determinismE0ES3_S9_PsNS6_17constant_iteratorIiNS6_11use_defaultESE_EENS6_10device_ptrIsEENSG_IlEEPmS8_NS6_8equal_toIsEEEE10hipError_tPvRmT2_T3_mT4_T5_T6_T7_T8_P12ihipStream_tbENKUlT_T0_E_clISt17integral_constantIbLb1EES12_IbLb0EEEEDaSY_SZ_EUlSY_E_NS1_11comp_targetILNS1_3genE10ELNS1_11target_archE1200ELNS1_3gpuE4ELNS1_3repE0EEENS1_30default_config_static_selectorELNS0_4arch9wavefront6targetE1EEEvT1_.num_named_barrier, 0
	.set _ZN7rocprim17ROCPRIM_400000_NS6detail17trampoline_kernelINS0_14default_configENS1_29reduce_by_key_config_selectorIslN6thrust23THRUST_200600_302600_NS4plusIlEEEEZZNS1_33reduce_by_key_impl_wrapped_configILNS1_25lookback_scan_determinismE0ES3_S9_PsNS6_17constant_iteratorIiNS6_11use_defaultESE_EENS6_10device_ptrIsEENSG_IlEEPmS8_NS6_8equal_toIsEEEE10hipError_tPvRmT2_T3_mT4_T5_T6_T7_T8_P12ihipStream_tbENKUlT_T0_E_clISt17integral_constantIbLb1EES12_IbLb0EEEEDaSY_SZ_EUlSY_E_NS1_11comp_targetILNS1_3genE10ELNS1_11target_archE1200ELNS1_3gpuE4ELNS1_3repE0EEENS1_30default_config_static_selectorELNS0_4arch9wavefront6targetE1EEEvT1_.private_seg_size, 0
	.set _ZN7rocprim17ROCPRIM_400000_NS6detail17trampoline_kernelINS0_14default_configENS1_29reduce_by_key_config_selectorIslN6thrust23THRUST_200600_302600_NS4plusIlEEEEZZNS1_33reduce_by_key_impl_wrapped_configILNS1_25lookback_scan_determinismE0ES3_S9_PsNS6_17constant_iteratorIiNS6_11use_defaultESE_EENS6_10device_ptrIsEENSG_IlEEPmS8_NS6_8equal_toIsEEEE10hipError_tPvRmT2_T3_mT4_T5_T6_T7_T8_P12ihipStream_tbENKUlT_T0_E_clISt17integral_constantIbLb1EES12_IbLb0EEEEDaSY_SZ_EUlSY_E_NS1_11comp_targetILNS1_3genE10ELNS1_11target_archE1200ELNS1_3gpuE4ELNS1_3repE0EEENS1_30default_config_static_selectorELNS0_4arch9wavefront6targetE1EEEvT1_.uses_vcc, 0
	.set _ZN7rocprim17ROCPRIM_400000_NS6detail17trampoline_kernelINS0_14default_configENS1_29reduce_by_key_config_selectorIslN6thrust23THRUST_200600_302600_NS4plusIlEEEEZZNS1_33reduce_by_key_impl_wrapped_configILNS1_25lookback_scan_determinismE0ES3_S9_PsNS6_17constant_iteratorIiNS6_11use_defaultESE_EENS6_10device_ptrIsEENSG_IlEEPmS8_NS6_8equal_toIsEEEE10hipError_tPvRmT2_T3_mT4_T5_T6_T7_T8_P12ihipStream_tbENKUlT_T0_E_clISt17integral_constantIbLb1EES12_IbLb0EEEEDaSY_SZ_EUlSY_E_NS1_11comp_targetILNS1_3genE10ELNS1_11target_archE1200ELNS1_3gpuE4ELNS1_3repE0EEENS1_30default_config_static_selectorELNS0_4arch9wavefront6targetE1EEEvT1_.uses_flat_scratch, 0
	.set _ZN7rocprim17ROCPRIM_400000_NS6detail17trampoline_kernelINS0_14default_configENS1_29reduce_by_key_config_selectorIslN6thrust23THRUST_200600_302600_NS4plusIlEEEEZZNS1_33reduce_by_key_impl_wrapped_configILNS1_25lookback_scan_determinismE0ES3_S9_PsNS6_17constant_iteratorIiNS6_11use_defaultESE_EENS6_10device_ptrIsEENSG_IlEEPmS8_NS6_8equal_toIsEEEE10hipError_tPvRmT2_T3_mT4_T5_T6_T7_T8_P12ihipStream_tbENKUlT_T0_E_clISt17integral_constantIbLb1EES12_IbLb0EEEEDaSY_SZ_EUlSY_E_NS1_11comp_targetILNS1_3genE10ELNS1_11target_archE1200ELNS1_3gpuE4ELNS1_3repE0EEENS1_30default_config_static_selectorELNS0_4arch9wavefront6targetE1EEEvT1_.has_dyn_sized_stack, 0
	.set _ZN7rocprim17ROCPRIM_400000_NS6detail17trampoline_kernelINS0_14default_configENS1_29reduce_by_key_config_selectorIslN6thrust23THRUST_200600_302600_NS4plusIlEEEEZZNS1_33reduce_by_key_impl_wrapped_configILNS1_25lookback_scan_determinismE0ES3_S9_PsNS6_17constant_iteratorIiNS6_11use_defaultESE_EENS6_10device_ptrIsEENSG_IlEEPmS8_NS6_8equal_toIsEEEE10hipError_tPvRmT2_T3_mT4_T5_T6_T7_T8_P12ihipStream_tbENKUlT_T0_E_clISt17integral_constantIbLb1EES12_IbLb0EEEEDaSY_SZ_EUlSY_E_NS1_11comp_targetILNS1_3genE10ELNS1_11target_archE1200ELNS1_3gpuE4ELNS1_3repE0EEENS1_30default_config_static_selectorELNS0_4arch9wavefront6targetE1EEEvT1_.has_recursion, 0
	.set _ZN7rocprim17ROCPRIM_400000_NS6detail17trampoline_kernelINS0_14default_configENS1_29reduce_by_key_config_selectorIslN6thrust23THRUST_200600_302600_NS4plusIlEEEEZZNS1_33reduce_by_key_impl_wrapped_configILNS1_25lookback_scan_determinismE0ES3_S9_PsNS6_17constant_iteratorIiNS6_11use_defaultESE_EENS6_10device_ptrIsEENSG_IlEEPmS8_NS6_8equal_toIsEEEE10hipError_tPvRmT2_T3_mT4_T5_T6_T7_T8_P12ihipStream_tbENKUlT_T0_E_clISt17integral_constantIbLb1EES12_IbLb0EEEEDaSY_SZ_EUlSY_E_NS1_11comp_targetILNS1_3genE10ELNS1_11target_archE1200ELNS1_3gpuE4ELNS1_3repE0EEENS1_30default_config_static_selectorELNS0_4arch9wavefront6targetE1EEEvT1_.has_indirect_call, 0
	.section	.AMDGPU.csdata,"",@progbits
; Kernel info:
; codeLenInByte = 0
; TotalNumSgprs: 4
; NumVgprs: 0
; ScratchSize: 0
; MemoryBound: 0
; FloatMode: 240
; IeeeMode: 1
; LDSByteSize: 0 bytes/workgroup (compile time only)
; SGPRBlocks: 0
; VGPRBlocks: 0
; NumSGPRsForWavesPerEU: 4
; NumVGPRsForWavesPerEU: 1
; Occupancy: 10
; WaveLimiterHint : 0
; COMPUTE_PGM_RSRC2:SCRATCH_EN: 0
; COMPUTE_PGM_RSRC2:USER_SGPR: 6
; COMPUTE_PGM_RSRC2:TRAP_HANDLER: 0
; COMPUTE_PGM_RSRC2:TGID_X_EN: 1
; COMPUTE_PGM_RSRC2:TGID_Y_EN: 0
; COMPUTE_PGM_RSRC2:TGID_Z_EN: 0
; COMPUTE_PGM_RSRC2:TIDIG_COMP_CNT: 0
	.section	.text._ZN7rocprim17ROCPRIM_400000_NS6detail17trampoline_kernelINS0_14default_configENS1_29reduce_by_key_config_selectorIslN6thrust23THRUST_200600_302600_NS4plusIlEEEEZZNS1_33reduce_by_key_impl_wrapped_configILNS1_25lookback_scan_determinismE0ES3_S9_PsNS6_17constant_iteratorIiNS6_11use_defaultESE_EENS6_10device_ptrIsEENSG_IlEEPmS8_NS6_8equal_toIsEEEE10hipError_tPvRmT2_T3_mT4_T5_T6_T7_T8_P12ihipStream_tbENKUlT_T0_E_clISt17integral_constantIbLb1EES12_IbLb0EEEEDaSY_SZ_EUlSY_E_NS1_11comp_targetILNS1_3genE9ELNS1_11target_archE1100ELNS1_3gpuE3ELNS1_3repE0EEENS1_30default_config_static_selectorELNS0_4arch9wavefront6targetE1EEEvT1_,"axG",@progbits,_ZN7rocprim17ROCPRIM_400000_NS6detail17trampoline_kernelINS0_14default_configENS1_29reduce_by_key_config_selectorIslN6thrust23THRUST_200600_302600_NS4plusIlEEEEZZNS1_33reduce_by_key_impl_wrapped_configILNS1_25lookback_scan_determinismE0ES3_S9_PsNS6_17constant_iteratorIiNS6_11use_defaultESE_EENS6_10device_ptrIsEENSG_IlEEPmS8_NS6_8equal_toIsEEEE10hipError_tPvRmT2_T3_mT4_T5_T6_T7_T8_P12ihipStream_tbENKUlT_T0_E_clISt17integral_constantIbLb1EES12_IbLb0EEEEDaSY_SZ_EUlSY_E_NS1_11comp_targetILNS1_3genE9ELNS1_11target_archE1100ELNS1_3gpuE3ELNS1_3repE0EEENS1_30default_config_static_selectorELNS0_4arch9wavefront6targetE1EEEvT1_,comdat
	.protected	_ZN7rocprim17ROCPRIM_400000_NS6detail17trampoline_kernelINS0_14default_configENS1_29reduce_by_key_config_selectorIslN6thrust23THRUST_200600_302600_NS4plusIlEEEEZZNS1_33reduce_by_key_impl_wrapped_configILNS1_25lookback_scan_determinismE0ES3_S9_PsNS6_17constant_iteratorIiNS6_11use_defaultESE_EENS6_10device_ptrIsEENSG_IlEEPmS8_NS6_8equal_toIsEEEE10hipError_tPvRmT2_T3_mT4_T5_T6_T7_T8_P12ihipStream_tbENKUlT_T0_E_clISt17integral_constantIbLb1EES12_IbLb0EEEEDaSY_SZ_EUlSY_E_NS1_11comp_targetILNS1_3genE9ELNS1_11target_archE1100ELNS1_3gpuE3ELNS1_3repE0EEENS1_30default_config_static_selectorELNS0_4arch9wavefront6targetE1EEEvT1_ ; -- Begin function _ZN7rocprim17ROCPRIM_400000_NS6detail17trampoline_kernelINS0_14default_configENS1_29reduce_by_key_config_selectorIslN6thrust23THRUST_200600_302600_NS4plusIlEEEEZZNS1_33reduce_by_key_impl_wrapped_configILNS1_25lookback_scan_determinismE0ES3_S9_PsNS6_17constant_iteratorIiNS6_11use_defaultESE_EENS6_10device_ptrIsEENSG_IlEEPmS8_NS6_8equal_toIsEEEE10hipError_tPvRmT2_T3_mT4_T5_T6_T7_T8_P12ihipStream_tbENKUlT_T0_E_clISt17integral_constantIbLb1EES12_IbLb0EEEEDaSY_SZ_EUlSY_E_NS1_11comp_targetILNS1_3genE9ELNS1_11target_archE1100ELNS1_3gpuE3ELNS1_3repE0EEENS1_30default_config_static_selectorELNS0_4arch9wavefront6targetE1EEEvT1_
	.globl	_ZN7rocprim17ROCPRIM_400000_NS6detail17trampoline_kernelINS0_14default_configENS1_29reduce_by_key_config_selectorIslN6thrust23THRUST_200600_302600_NS4plusIlEEEEZZNS1_33reduce_by_key_impl_wrapped_configILNS1_25lookback_scan_determinismE0ES3_S9_PsNS6_17constant_iteratorIiNS6_11use_defaultESE_EENS6_10device_ptrIsEENSG_IlEEPmS8_NS6_8equal_toIsEEEE10hipError_tPvRmT2_T3_mT4_T5_T6_T7_T8_P12ihipStream_tbENKUlT_T0_E_clISt17integral_constantIbLb1EES12_IbLb0EEEEDaSY_SZ_EUlSY_E_NS1_11comp_targetILNS1_3genE9ELNS1_11target_archE1100ELNS1_3gpuE3ELNS1_3repE0EEENS1_30default_config_static_selectorELNS0_4arch9wavefront6targetE1EEEvT1_
	.p2align	8
	.type	_ZN7rocprim17ROCPRIM_400000_NS6detail17trampoline_kernelINS0_14default_configENS1_29reduce_by_key_config_selectorIslN6thrust23THRUST_200600_302600_NS4plusIlEEEEZZNS1_33reduce_by_key_impl_wrapped_configILNS1_25lookback_scan_determinismE0ES3_S9_PsNS6_17constant_iteratorIiNS6_11use_defaultESE_EENS6_10device_ptrIsEENSG_IlEEPmS8_NS6_8equal_toIsEEEE10hipError_tPvRmT2_T3_mT4_T5_T6_T7_T8_P12ihipStream_tbENKUlT_T0_E_clISt17integral_constantIbLb1EES12_IbLb0EEEEDaSY_SZ_EUlSY_E_NS1_11comp_targetILNS1_3genE9ELNS1_11target_archE1100ELNS1_3gpuE3ELNS1_3repE0EEENS1_30default_config_static_selectorELNS0_4arch9wavefront6targetE1EEEvT1_,@function
_ZN7rocprim17ROCPRIM_400000_NS6detail17trampoline_kernelINS0_14default_configENS1_29reduce_by_key_config_selectorIslN6thrust23THRUST_200600_302600_NS4plusIlEEEEZZNS1_33reduce_by_key_impl_wrapped_configILNS1_25lookback_scan_determinismE0ES3_S9_PsNS6_17constant_iteratorIiNS6_11use_defaultESE_EENS6_10device_ptrIsEENSG_IlEEPmS8_NS6_8equal_toIsEEEE10hipError_tPvRmT2_T3_mT4_T5_T6_T7_T8_P12ihipStream_tbENKUlT_T0_E_clISt17integral_constantIbLb1EES12_IbLb0EEEEDaSY_SZ_EUlSY_E_NS1_11comp_targetILNS1_3genE9ELNS1_11target_archE1100ELNS1_3gpuE3ELNS1_3repE0EEENS1_30default_config_static_selectorELNS0_4arch9wavefront6targetE1EEEvT1_: ; @_ZN7rocprim17ROCPRIM_400000_NS6detail17trampoline_kernelINS0_14default_configENS1_29reduce_by_key_config_selectorIslN6thrust23THRUST_200600_302600_NS4plusIlEEEEZZNS1_33reduce_by_key_impl_wrapped_configILNS1_25lookback_scan_determinismE0ES3_S9_PsNS6_17constant_iteratorIiNS6_11use_defaultESE_EENS6_10device_ptrIsEENSG_IlEEPmS8_NS6_8equal_toIsEEEE10hipError_tPvRmT2_T3_mT4_T5_T6_T7_T8_P12ihipStream_tbENKUlT_T0_E_clISt17integral_constantIbLb1EES12_IbLb0EEEEDaSY_SZ_EUlSY_E_NS1_11comp_targetILNS1_3genE9ELNS1_11target_archE1100ELNS1_3gpuE3ELNS1_3repE0EEENS1_30default_config_static_selectorELNS0_4arch9wavefront6targetE1EEEvT1_
; %bb.0:
	.section	.rodata,"a",@progbits
	.p2align	6, 0x0
	.amdhsa_kernel _ZN7rocprim17ROCPRIM_400000_NS6detail17trampoline_kernelINS0_14default_configENS1_29reduce_by_key_config_selectorIslN6thrust23THRUST_200600_302600_NS4plusIlEEEEZZNS1_33reduce_by_key_impl_wrapped_configILNS1_25lookback_scan_determinismE0ES3_S9_PsNS6_17constant_iteratorIiNS6_11use_defaultESE_EENS6_10device_ptrIsEENSG_IlEEPmS8_NS6_8equal_toIsEEEE10hipError_tPvRmT2_T3_mT4_T5_T6_T7_T8_P12ihipStream_tbENKUlT_T0_E_clISt17integral_constantIbLb1EES12_IbLb0EEEEDaSY_SZ_EUlSY_E_NS1_11comp_targetILNS1_3genE9ELNS1_11target_archE1100ELNS1_3gpuE3ELNS1_3repE0EEENS1_30default_config_static_selectorELNS0_4arch9wavefront6targetE1EEEvT1_
		.amdhsa_group_segment_fixed_size 0
		.amdhsa_private_segment_fixed_size 0
		.amdhsa_kernarg_size 144
		.amdhsa_user_sgpr_count 6
		.amdhsa_user_sgpr_private_segment_buffer 1
		.amdhsa_user_sgpr_dispatch_ptr 0
		.amdhsa_user_sgpr_queue_ptr 0
		.amdhsa_user_sgpr_kernarg_segment_ptr 1
		.amdhsa_user_sgpr_dispatch_id 0
		.amdhsa_user_sgpr_flat_scratch_init 0
		.amdhsa_user_sgpr_private_segment_size 0
		.amdhsa_uses_dynamic_stack 0
		.amdhsa_system_sgpr_private_segment_wavefront_offset 0
		.amdhsa_system_sgpr_workgroup_id_x 1
		.amdhsa_system_sgpr_workgroup_id_y 0
		.amdhsa_system_sgpr_workgroup_id_z 0
		.amdhsa_system_sgpr_workgroup_info 0
		.amdhsa_system_vgpr_workitem_id 0
		.amdhsa_next_free_vgpr 1
		.amdhsa_next_free_sgpr 0
		.amdhsa_reserve_vcc 0
		.amdhsa_reserve_flat_scratch 0
		.amdhsa_float_round_mode_32 0
		.amdhsa_float_round_mode_16_64 0
		.amdhsa_float_denorm_mode_32 3
		.amdhsa_float_denorm_mode_16_64 3
		.amdhsa_dx10_clamp 1
		.amdhsa_ieee_mode 1
		.amdhsa_fp16_overflow 0
		.amdhsa_exception_fp_ieee_invalid_op 0
		.amdhsa_exception_fp_denorm_src 0
		.amdhsa_exception_fp_ieee_div_zero 0
		.amdhsa_exception_fp_ieee_overflow 0
		.amdhsa_exception_fp_ieee_underflow 0
		.amdhsa_exception_fp_ieee_inexact 0
		.amdhsa_exception_int_div_zero 0
	.end_amdhsa_kernel
	.section	.text._ZN7rocprim17ROCPRIM_400000_NS6detail17trampoline_kernelINS0_14default_configENS1_29reduce_by_key_config_selectorIslN6thrust23THRUST_200600_302600_NS4plusIlEEEEZZNS1_33reduce_by_key_impl_wrapped_configILNS1_25lookback_scan_determinismE0ES3_S9_PsNS6_17constant_iteratorIiNS6_11use_defaultESE_EENS6_10device_ptrIsEENSG_IlEEPmS8_NS6_8equal_toIsEEEE10hipError_tPvRmT2_T3_mT4_T5_T6_T7_T8_P12ihipStream_tbENKUlT_T0_E_clISt17integral_constantIbLb1EES12_IbLb0EEEEDaSY_SZ_EUlSY_E_NS1_11comp_targetILNS1_3genE9ELNS1_11target_archE1100ELNS1_3gpuE3ELNS1_3repE0EEENS1_30default_config_static_selectorELNS0_4arch9wavefront6targetE1EEEvT1_,"axG",@progbits,_ZN7rocprim17ROCPRIM_400000_NS6detail17trampoline_kernelINS0_14default_configENS1_29reduce_by_key_config_selectorIslN6thrust23THRUST_200600_302600_NS4plusIlEEEEZZNS1_33reduce_by_key_impl_wrapped_configILNS1_25lookback_scan_determinismE0ES3_S9_PsNS6_17constant_iteratorIiNS6_11use_defaultESE_EENS6_10device_ptrIsEENSG_IlEEPmS8_NS6_8equal_toIsEEEE10hipError_tPvRmT2_T3_mT4_T5_T6_T7_T8_P12ihipStream_tbENKUlT_T0_E_clISt17integral_constantIbLb1EES12_IbLb0EEEEDaSY_SZ_EUlSY_E_NS1_11comp_targetILNS1_3genE9ELNS1_11target_archE1100ELNS1_3gpuE3ELNS1_3repE0EEENS1_30default_config_static_selectorELNS0_4arch9wavefront6targetE1EEEvT1_,comdat
.Lfunc_end1495:
	.size	_ZN7rocprim17ROCPRIM_400000_NS6detail17trampoline_kernelINS0_14default_configENS1_29reduce_by_key_config_selectorIslN6thrust23THRUST_200600_302600_NS4plusIlEEEEZZNS1_33reduce_by_key_impl_wrapped_configILNS1_25lookback_scan_determinismE0ES3_S9_PsNS6_17constant_iteratorIiNS6_11use_defaultESE_EENS6_10device_ptrIsEENSG_IlEEPmS8_NS6_8equal_toIsEEEE10hipError_tPvRmT2_T3_mT4_T5_T6_T7_T8_P12ihipStream_tbENKUlT_T0_E_clISt17integral_constantIbLb1EES12_IbLb0EEEEDaSY_SZ_EUlSY_E_NS1_11comp_targetILNS1_3genE9ELNS1_11target_archE1100ELNS1_3gpuE3ELNS1_3repE0EEENS1_30default_config_static_selectorELNS0_4arch9wavefront6targetE1EEEvT1_, .Lfunc_end1495-_ZN7rocprim17ROCPRIM_400000_NS6detail17trampoline_kernelINS0_14default_configENS1_29reduce_by_key_config_selectorIslN6thrust23THRUST_200600_302600_NS4plusIlEEEEZZNS1_33reduce_by_key_impl_wrapped_configILNS1_25lookback_scan_determinismE0ES3_S9_PsNS6_17constant_iteratorIiNS6_11use_defaultESE_EENS6_10device_ptrIsEENSG_IlEEPmS8_NS6_8equal_toIsEEEE10hipError_tPvRmT2_T3_mT4_T5_T6_T7_T8_P12ihipStream_tbENKUlT_T0_E_clISt17integral_constantIbLb1EES12_IbLb0EEEEDaSY_SZ_EUlSY_E_NS1_11comp_targetILNS1_3genE9ELNS1_11target_archE1100ELNS1_3gpuE3ELNS1_3repE0EEENS1_30default_config_static_selectorELNS0_4arch9wavefront6targetE1EEEvT1_
                                        ; -- End function
	.set _ZN7rocprim17ROCPRIM_400000_NS6detail17trampoline_kernelINS0_14default_configENS1_29reduce_by_key_config_selectorIslN6thrust23THRUST_200600_302600_NS4plusIlEEEEZZNS1_33reduce_by_key_impl_wrapped_configILNS1_25lookback_scan_determinismE0ES3_S9_PsNS6_17constant_iteratorIiNS6_11use_defaultESE_EENS6_10device_ptrIsEENSG_IlEEPmS8_NS6_8equal_toIsEEEE10hipError_tPvRmT2_T3_mT4_T5_T6_T7_T8_P12ihipStream_tbENKUlT_T0_E_clISt17integral_constantIbLb1EES12_IbLb0EEEEDaSY_SZ_EUlSY_E_NS1_11comp_targetILNS1_3genE9ELNS1_11target_archE1100ELNS1_3gpuE3ELNS1_3repE0EEENS1_30default_config_static_selectorELNS0_4arch9wavefront6targetE1EEEvT1_.num_vgpr, 0
	.set _ZN7rocprim17ROCPRIM_400000_NS6detail17trampoline_kernelINS0_14default_configENS1_29reduce_by_key_config_selectorIslN6thrust23THRUST_200600_302600_NS4plusIlEEEEZZNS1_33reduce_by_key_impl_wrapped_configILNS1_25lookback_scan_determinismE0ES3_S9_PsNS6_17constant_iteratorIiNS6_11use_defaultESE_EENS6_10device_ptrIsEENSG_IlEEPmS8_NS6_8equal_toIsEEEE10hipError_tPvRmT2_T3_mT4_T5_T6_T7_T8_P12ihipStream_tbENKUlT_T0_E_clISt17integral_constantIbLb1EES12_IbLb0EEEEDaSY_SZ_EUlSY_E_NS1_11comp_targetILNS1_3genE9ELNS1_11target_archE1100ELNS1_3gpuE3ELNS1_3repE0EEENS1_30default_config_static_selectorELNS0_4arch9wavefront6targetE1EEEvT1_.num_agpr, 0
	.set _ZN7rocprim17ROCPRIM_400000_NS6detail17trampoline_kernelINS0_14default_configENS1_29reduce_by_key_config_selectorIslN6thrust23THRUST_200600_302600_NS4plusIlEEEEZZNS1_33reduce_by_key_impl_wrapped_configILNS1_25lookback_scan_determinismE0ES3_S9_PsNS6_17constant_iteratorIiNS6_11use_defaultESE_EENS6_10device_ptrIsEENSG_IlEEPmS8_NS6_8equal_toIsEEEE10hipError_tPvRmT2_T3_mT4_T5_T6_T7_T8_P12ihipStream_tbENKUlT_T0_E_clISt17integral_constantIbLb1EES12_IbLb0EEEEDaSY_SZ_EUlSY_E_NS1_11comp_targetILNS1_3genE9ELNS1_11target_archE1100ELNS1_3gpuE3ELNS1_3repE0EEENS1_30default_config_static_selectorELNS0_4arch9wavefront6targetE1EEEvT1_.numbered_sgpr, 0
	.set _ZN7rocprim17ROCPRIM_400000_NS6detail17trampoline_kernelINS0_14default_configENS1_29reduce_by_key_config_selectorIslN6thrust23THRUST_200600_302600_NS4plusIlEEEEZZNS1_33reduce_by_key_impl_wrapped_configILNS1_25lookback_scan_determinismE0ES3_S9_PsNS6_17constant_iteratorIiNS6_11use_defaultESE_EENS6_10device_ptrIsEENSG_IlEEPmS8_NS6_8equal_toIsEEEE10hipError_tPvRmT2_T3_mT4_T5_T6_T7_T8_P12ihipStream_tbENKUlT_T0_E_clISt17integral_constantIbLb1EES12_IbLb0EEEEDaSY_SZ_EUlSY_E_NS1_11comp_targetILNS1_3genE9ELNS1_11target_archE1100ELNS1_3gpuE3ELNS1_3repE0EEENS1_30default_config_static_selectorELNS0_4arch9wavefront6targetE1EEEvT1_.num_named_barrier, 0
	.set _ZN7rocprim17ROCPRIM_400000_NS6detail17trampoline_kernelINS0_14default_configENS1_29reduce_by_key_config_selectorIslN6thrust23THRUST_200600_302600_NS4plusIlEEEEZZNS1_33reduce_by_key_impl_wrapped_configILNS1_25lookback_scan_determinismE0ES3_S9_PsNS6_17constant_iteratorIiNS6_11use_defaultESE_EENS6_10device_ptrIsEENSG_IlEEPmS8_NS6_8equal_toIsEEEE10hipError_tPvRmT2_T3_mT4_T5_T6_T7_T8_P12ihipStream_tbENKUlT_T0_E_clISt17integral_constantIbLb1EES12_IbLb0EEEEDaSY_SZ_EUlSY_E_NS1_11comp_targetILNS1_3genE9ELNS1_11target_archE1100ELNS1_3gpuE3ELNS1_3repE0EEENS1_30default_config_static_selectorELNS0_4arch9wavefront6targetE1EEEvT1_.private_seg_size, 0
	.set _ZN7rocprim17ROCPRIM_400000_NS6detail17trampoline_kernelINS0_14default_configENS1_29reduce_by_key_config_selectorIslN6thrust23THRUST_200600_302600_NS4plusIlEEEEZZNS1_33reduce_by_key_impl_wrapped_configILNS1_25lookback_scan_determinismE0ES3_S9_PsNS6_17constant_iteratorIiNS6_11use_defaultESE_EENS6_10device_ptrIsEENSG_IlEEPmS8_NS6_8equal_toIsEEEE10hipError_tPvRmT2_T3_mT4_T5_T6_T7_T8_P12ihipStream_tbENKUlT_T0_E_clISt17integral_constantIbLb1EES12_IbLb0EEEEDaSY_SZ_EUlSY_E_NS1_11comp_targetILNS1_3genE9ELNS1_11target_archE1100ELNS1_3gpuE3ELNS1_3repE0EEENS1_30default_config_static_selectorELNS0_4arch9wavefront6targetE1EEEvT1_.uses_vcc, 0
	.set _ZN7rocprim17ROCPRIM_400000_NS6detail17trampoline_kernelINS0_14default_configENS1_29reduce_by_key_config_selectorIslN6thrust23THRUST_200600_302600_NS4plusIlEEEEZZNS1_33reduce_by_key_impl_wrapped_configILNS1_25lookback_scan_determinismE0ES3_S9_PsNS6_17constant_iteratorIiNS6_11use_defaultESE_EENS6_10device_ptrIsEENSG_IlEEPmS8_NS6_8equal_toIsEEEE10hipError_tPvRmT2_T3_mT4_T5_T6_T7_T8_P12ihipStream_tbENKUlT_T0_E_clISt17integral_constantIbLb1EES12_IbLb0EEEEDaSY_SZ_EUlSY_E_NS1_11comp_targetILNS1_3genE9ELNS1_11target_archE1100ELNS1_3gpuE3ELNS1_3repE0EEENS1_30default_config_static_selectorELNS0_4arch9wavefront6targetE1EEEvT1_.uses_flat_scratch, 0
	.set _ZN7rocprim17ROCPRIM_400000_NS6detail17trampoline_kernelINS0_14default_configENS1_29reduce_by_key_config_selectorIslN6thrust23THRUST_200600_302600_NS4plusIlEEEEZZNS1_33reduce_by_key_impl_wrapped_configILNS1_25lookback_scan_determinismE0ES3_S9_PsNS6_17constant_iteratorIiNS6_11use_defaultESE_EENS6_10device_ptrIsEENSG_IlEEPmS8_NS6_8equal_toIsEEEE10hipError_tPvRmT2_T3_mT4_T5_T6_T7_T8_P12ihipStream_tbENKUlT_T0_E_clISt17integral_constantIbLb1EES12_IbLb0EEEEDaSY_SZ_EUlSY_E_NS1_11comp_targetILNS1_3genE9ELNS1_11target_archE1100ELNS1_3gpuE3ELNS1_3repE0EEENS1_30default_config_static_selectorELNS0_4arch9wavefront6targetE1EEEvT1_.has_dyn_sized_stack, 0
	.set _ZN7rocprim17ROCPRIM_400000_NS6detail17trampoline_kernelINS0_14default_configENS1_29reduce_by_key_config_selectorIslN6thrust23THRUST_200600_302600_NS4plusIlEEEEZZNS1_33reduce_by_key_impl_wrapped_configILNS1_25lookback_scan_determinismE0ES3_S9_PsNS6_17constant_iteratorIiNS6_11use_defaultESE_EENS6_10device_ptrIsEENSG_IlEEPmS8_NS6_8equal_toIsEEEE10hipError_tPvRmT2_T3_mT4_T5_T6_T7_T8_P12ihipStream_tbENKUlT_T0_E_clISt17integral_constantIbLb1EES12_IbLb0EEEEDaSY_SZ_EUlSY_E_NS1_11comp_targetILNS1_3genE9ELNS1_11target_archE1100ELNS1_3gpuE3ELNS1_3repE0EEENS1_30default_config_static_selectorELNS0_4arch9wavefront6targetE1EEEvT1_.has_recursion, 0
	.set _ZN7rocprim17ROCPRIM_400000_NS6detail17trampoline_kernelINS0_14default_configENS1_29reduce_by_key_config_selectorIslN6thrust23THRUST_200600_302600_NS4plusIlEEEEZZNS1_33reduce_by_key_impl_wrapped_configILNS1_25lookback_scan_determinismE0ES3_S9_PsNS6_17constant_iteratorIiNS6_11use_defaultESE_EENS6_10device_ptrIsEENSG_IlEEPmS8_NS6_8equal_toIsEEEE10hipError_tPvRmT2_T3_mT4_T5_T6_T7_T8_P12ihipStream_tbENKUlT_T0_E_clISt17integral_constantIbLb1EES12_IbLb0EEEEDaSY_SZ_EUlSY_E_NS1_11comp_targetILNS1_3genE9ELNS1_11target_archE1100ELNS1_3gpuE3ELNS1_3repE0EEENS1_30default_config_static_selectorELNS0_4arch9wavefront6targetE1EEEvT1_.has_indirect_call, 0
	.section	.AMDGPU.csdata,"",@progbits
; Kernel info:
; codeLenInByte = 0
; TotalNumSgprs: 4
; NumVgprs: 0
; ScratchSize: 0
; MemoryBound: 0
; FloatMode: 240
; IeeeMode: 1
; LDSByteSize: 0 bytes/workgroup (compile time only)
; SGPRBlocks: 0
; VGPRBlocks: 0
; NumSGPRsForWavesPerEU: 4
; NumVGPRsForWavesPerEU: 1
; Occupancy: 10
; WaveLimiterHint : 0
; COMPUTE_PGM_RSRC2:SCRATCH_EN: 0
; COMPUTE_PGM_RSRC2:USER_SGPR: 6
; COMPUTE_PGM_RSRC2:TRAP_HANDLER: 0
; COMPUTE_PGM_RSRC2:TGID_X_EN: 1
; COMPUTE_PGM_RSRC2:TGID_Y_EN: 0
; COMPUTE_PGM_RSRC2:TGID_Z_EN: 0
; COMPUTE_PGM_RSRC2:TIDIG_COMP_CNT: 0
	.section	.text._ZN7rocprim17ROCPRIM_400000_NS6detail17trampoline_kernelINS0_14default_configENS1_29reduce_by_key_config_selectorIslN6thrust23THRUST_200600_302600_NS4plusIlEEEEZZNS1_33reduce_by_key_impl_wrapped_configILNS1_25lookback_scan_determinismE0ES3_S9_PsNS6_17constant_iteratorIiNS6_11use_defaultESE_EENS6_10device_ptrIsEENSG_IlEEPmS8_NS6_8equal_toIsEEEE10hipError_tPvRmT2_T3_mT4_T5_T6_T7_T8_P12ihipStream_tbENKUlT_T0_E_clISt17integral_constantIbLb1EES12_IbLb0EEEEDaSY_SZ_EUlSY_E_NS1_11comp_targetILNS1_3genE8ELNS1_11target_archE1030ELNS1_3gpuE2ELNS1_3repE0EEENS1_30default_config_static_selectorELNS0_4arch9wavefront6targetE1EEEvT1_,"axG",@progbits,_ZN7rocprim17ROCPRIM_400000_NS6detail17trampoline_kernelINS0_14default_configENS1_29reduce_by_key_config_selectorIslN6thrust23THRUST_200600_302600_NS4plusIlEEEEZZNS1_33reduce_by_key_impl_wrapped_configILNS1_25lookback_scan_determinismE0ES3_S9_PsNS6_17constant_iteratorIiNS6_11use_defaultESE_EENS6_10device_ptrIsEENSG_IlEEPmS8_NS6_8equal_toIsEEEE10hipError_tPvRmT2_T3_mT4_T5_T6_T7_T8_P12ihipStream_tbENKUlT_T0_E_clISt17integral_constantIbLb1EES12_IbLb0EEEEDaSY_SZ_EUlSY_E_NS1_11comp_targetILNS1_3genE8ELNS1_11target_archE1030ELNS1_3gpuE2ELNS1_3repE0EEENS1_30default_config_static_selectorELNS0_4arch9wavefront6targetE1EEEvT1_,comdat
	.protected	_ZN7rocprim17ROCPRIM_400000_NS6detail17trampoline_kernelINS0_14default_configENS1_29reduce_by_key_config_selectorIslN6thrust23THRUST_200600_302600_NS4plusIlEEEEZZNS1_33reduce_by_key_impl_wrapped_configILNS1_25lookback_scan_determinismE0ES3_S9_PsNS6_17constant_iteratorIiNS6_11use_defaultESE_EENS6_10device_ptrIsEENSG_IlEEPmS8_NS6_8equal_toIsEEEE10hipError_tPvRmT2_T3_mT4_T5_T6_T7_T8_P12ihipStream_tbENKUlT_T0_E_clISt17integral_constantIbLb1EES12_IbLb0EEEEDaSY_SZ_EUlSY_E_NS1_11comp_targetILNS1_3genE8ELNS1_11target_archE1030ELNS1_3gpuE2ELNS1_3repE0EEENS1_30default_config_static_selectorELNS0_4arch9wavefront6targetE1EEEvT1_ ; -- Begin function _ZN7rocprim17ROCPRIM_400000_NS6detail17trampoline_kernelINS0_14default_configENS1_29reduce_by_key_config_selectorIslN6thrust23THRUST_200600_302600_NS4plusIlEEEEZZNS1_33reduce_by_key_impl_wrapped_configILNS1_25lookback_scan_determinismE0ES3_S9_PsNS6_17constant_iteratorIiNS6_11use_defaultESE_EENS6_10device_ptrIsEENSG_IlEEPmS8_NS6_8equal_toIsEEEE10hipError_tPvRmT2_T3_mT4_T5_T6_T7_T8_P12ihipStream_tbENKUlT_T0_E_clISt17integral_constantIbLb1EES12_IbLb0EEEEDaSY_SZ_EUlSY_E_NS1_11comp_targetILNS1_3genE8ELNS1_11target_archE1030ELNS1_3gpuE2ELNS1_3repE0EEENS1_30default_config_static_selectorELNS0_4arch9wavefront6targetE1EEEvT1_
	.globl	_ZN7rocprim17ROCPRIM_400000_NS6detail17trampoline_kernelINS0_14default_configENS1_29reduce_by_key_config_selectorIslN6thrust23THRUST_200600_302600_NS4plusIlEEEEZZNS1_33reduce_by_key_impl_wrapped_configILNS1_25lookback_scan_determinismE0ES3_S9_PsNS6_17constant_iteratorIiNS6_11use_defaultESE_EENS6_10device_ptrIsEENSG_IlEEPmS8_NS6_8equal_toIsEEEE10hipError_tPvRmT2_T3_mT4_T5_T6_T7_T8_P12ihipStream_tbENKUlT_T0_E_clISt17integral_constantIbLb1EES12_IbLb0EEEEDaSY_SZ_EUlSY_E_NS1_11comp_targetILNS1_3genE8ELNS1_11target_archE1030ELNS1_3gpuE2ELNS1_3repE0EEENS1_30default_config_static_selectorELNS0_4arch9wavefront6targetE1EEEvT1_
	.p2align	8
	.type	_ZN7rocprim17ROCPRIM_400000_NS6detail17trampoline_kernelINS0_14default_configENS1_29reduce_by_key_config_selectorIslN6thrust23THRUST_200600_302600_NS4plusIlEEEEZZNS1_33reduce_by_key_impl_wrapped_configILNS1_25lookback_scan_determinismE0ES3_S9_PsNS6_17constant_iteratorIiNS6_11use_defaultESE_EENS6_10device_ptrIsEENSG_IlEEPmS8_NS6_8equal_toIsEEEE10hipError_tPvRmT2_T3_mT4_T5_T6_T7_T8_P12ihipStream_tbENKUlT_T0_E_clISt17integral_constantIbLb1EES12_IbLb0EEEEDaSY_SZ_EUlSY_E_NS1_11comp_targetILNS1_3genE8ELNS1_11target_archE1030ELNS1_3gpuE2ELNS1_3repE0EEENS1_30default_config_static_selectorELNS0_4arch9wavefront6targetE1EEEvT1_,@function
_ZN7rocprim17ROCPRIM_400000_NS6detail17trampoline_kernelINS0_14default_configENS1_29reduce_by_key_config_selectorIslN6thrust23THRUST_200600_302600_NS4plusIlEEEEZZNS1_33reduce_by_key_impl_wrapped_configILNS1_25lookback_scan_determinismE0ES3_S9_PsNS6_17constant_iteratorIiNS6_11use_defaultESE_EENS6_10device_ptrIsEENSG_IlEEPmS8_NS6_8equal_toIsEEEE10hipError_tPvRmT2_T3_mT4_T5_T6_T7_T8_P12ihipStream_tbENKUlT_T0_E_clISt17integral_constantIbLb1EES12_IbLb0EEEEDaSY_SZ_EUlSY_E_NS1_11comp_targetILNS1_3genE8ELNS1_11target_archE1030ELNS1_3gpuE2ELNS1_3repE0EEENS1_30default_config_static_selectorELNS0_4arch9wavefront6targetE1EEEvT1_: ; @_ZN7rocprim17ROCPRIM_400000_NS6detail17trampoline_kernelINS0_14default_configENS1_29reduce_by_key_config_selectorIslN6thrust23THRUST_200600_302600_NS4plusIlEEEEZZNS1_33reduce_by_key_impl_wrapped_configILNS1_25lookback_scan_determinismE0ES3_S9_PsNS6_17constant_iteratorIiNS6_11use_defaultESE_EENS6_10device_ptrIsEENSG_IlEEPmS8_NS6_8equal_toIsEEEE10hipError_tPvRmT2_T3_mT4_T5_T6_T7_T8_P12ihipStream_tbENKUlT_T0_E_clISt17integral_constantIbLb1EES12_IbLb0EEEEDaSY_SZ_EUlSY_E_NS1_11comp_targetILNS1_3genE8ELNS1_11target_archE1030ELNS1_3gpuE2ELNS1_3repE0EEENS1_30default_config_static_selectorELNS0_4arch9wavefront6targetE1EEEvT1_
; %bb.0:
	.section	.rodata,"a",@progbits
	.p2align	6, 0x0
	.amdhsa_kernel _ZN7rocprim17ROCPRIM_400000_NS6detail17trampoline_kernelINS0_14default_configENS1_29reduce_by_key_config_selectorIslN6thrust23THRUST_200600_302600_NS4plusIlEEEEZZNS1_33reduce_by_key_impl_wrapped_configILNS1_25lookback_scan_determinismE0ES3_S9_PsNS6_17constant_iteratorIiNS6_11use_defaultESE_EENS6_10device_ptrIsEENSG_IlEEPmS8_NS6_8equal_toIsEEEE10hipError_tPvRmT2_T3_mT4_T5_T6_T7_T8_P12ihipStream_tbENKUlT_T0_E_clISt17integral_constantIbLb1EES12_IbLb0EEEEDaSY_SZ_EUlSY_E_NS1_11comp_targetILNS1_3genE8ELNS1_11target_archE1030ELNS1_3gpuE2ELNS1_3repE0EEENS1_30default_config_static_selectorELNS0_4arch9wavefront6targetE1EEEvT1_
		.amdhsa_group_segment_fixed_size 0
		.amdhsa_private_segment_fixed_size 0
		.amdhsa_kernarg_size 144
		.amdhsa_user_sgpr_count 6
		.amdhsa_user_sgpr_private_segment_buffer 1
		.amdhsa_user_sgpr_dispatch_ptr 0
		.amdhsa_user_sgpr_queue_ptr 0
		.amdhsa_user_sgpr_kernarg_segment_ptr 1
		.amdhsa_user_sgpr_dispatch_id 0
		.amdhsa_user_sgpr_flat_scratch_init 0
		.amdhsa_user_sgpr_private_segment_size 0
		.amdhsa_uses_dynamic_stack 0
		.amdhsa_system_sgpr_private_segment_wavefront_offset 0
		.amdhsa_system_sgpr_workgroup_id_x 1
		.amdhsa_system_sgpr_workgroup_id_y 0
		.amdhsa_system_sgpr_workgroup_id_z 0
		.amdhsa_system_sgpr_workgroup_info 0
		.amdhsa_system_vgpr_workitem_id 0
		.amdhsa_next_free_vgpr 1
		.amdhsa_next_free_sgpr 0
		.amdhsa_reserve_vcc 0
		.amdhsa_reserve_flat_scratch 0
		.amdhsa_float_round_mode_32 0
		.amdhsa_float_round_mode_16_64 0
		.amdhsa_float_denorm_mode_32 3
		.amdhsa_float_denorm_mode_16_64 3
		.amdhsa_dx10_clamp 1
		.amdhsa_ieee_mode 1
		.amdhsa_fp16_overflow 0
		.amdhsa_exception_fp_ieee_invalid_op 0
		.amdhsa_exception_fp_denorm_src 0
		.amdhsa_exception_fp_ieee_div_zero 0
		.amdhsa_exception_fp_ieee_overflow 0
		.amdhsa_exception_fp_ieee_underflow 0
		.amdhsa_exception_fp_ieee_inexact 0
		.amdhsa_exception_int_div_zero 0
	.end_amdhsa_kernel
	.section	.text._ZN7rocprim17ROCPRIM_400000_NS6detail17trampoline_kernelINS0_14default_configENS1_29reduce_by_key_config_selectorIslN6thrust23THRUST_200600_302600_NS4plusIlEEEEZZNS1_33reduce_by_key_impl_wrapped_configILNS1_25lookback_scan_determinismE0ES3_S9_PsNS6_17constant_iteratorIiNS6_11use_defaultESE_EENS6_10device_ptrIsEENSG_IlEEPmS8_NS6_8equal_toIsEEEE10hipError_tPvRmT2_T3_mT4_T5_T6_T7_T8_P12ihipStream_tbENKUlT_T0_E_clISt17integral_constantIbLb1EES12_IbLb0EEEEDaSY_SZ_EUlSY_E_NS1_11comp_targetILNS1_3genE8ELNS1_11target_archE1030ELNS1_3gpuE2ELNS1_3repE0EEENS1_30default_config_static_selectorELNS0_4arch9wavefront6targetE1EEEvT1_,"axG",@progbits,_ZN7rocprim17ROCPRIM_400000_NS6detail17trampoline_kernelINS0_14default_configENS1_29reduce_by_key_config_selectorIslN6thrust23THRUST_200600_302600_NS4plusIlEEEEZZNS1_33reduce_by_key_impl_wrapped_configILNS1_25lookback_scan_determinismE0ES3_S9_PsNS6_17constant_iteratorIiNS6_11use_defaultESE_EENS6_10device_ptrIsEENSG_IlEEPmS8_NS6_8equal_toIsEEEE10hipError_tPvRmT2_T3_mT4_T5_T6_T7_T8_P12ihipStream_tbENKUlT_T0_E_clISt17integral_constantIbLb1EES12_IbLb0EEEEDaSY_SZ_EUlSY_E_NS1_11comp_targetILNS1_3genE8ELNS1_11target_archE1030ELNS1_3gpuE2ELNS1_3repE0EEENS1_30default_config_static_selectorELNS0_4arch9wavefront6targetE1EEEvT1_,comdat
.Lfunc_end1496:
	.size	_ZN7rocprim17ROCPRIM_400000_NS6detail17trampoline_kernelINS0_14default_configENS1_29reduce_by_key_config_selectorIslN6thrust23THRUST_200600_302600_NS4plusIlEEEEZZNS1_33reduce_by_key_impl_wrapped_configILNS1_25lookback_scan_determinismE0ES3_S9_PsNS6_17constant_iteratorIiNS6_11use_defaultESE_EENS6_10device_ptrIsEENSG_IlEEPmS8_NS6_8equal_toIsEEEE10hipError_tPvRmT2_T3_mT4_T5_T6_T7_T8_P12ihipStream_tbENKUlT_T0_E_clISt17integral_constantIbLb1EES12_IbLb0EEEEDaSY_SZ_EUlSY_E_NS1_11comp_targetILNS1_3genE8ELNS1_11target_archE1030ELNS1_3gpuE2ELNS1_3repE0EEENS1_30default_config_static_selectorELNS0_4arch9wavefront6targetE1EEEvT1_, .Lfunc_end1496-_ZN7rocprim17ROCPRIM_400000_NS6detail17trampoline_kernelINS0_14default_configENS1_29reduce_by_key_config_selectorIslN6thrust23THRUST_200600_302600_NS4plusIlEEEEZZNS1_33reduce_by_key_impl_wrapped_configILNS1_25lookback_scan_determinismE0ES3_S9_PsNS6_17constant_iteratorIiNS6_11use_defaultESE_EENS6_10device_ptrIsEENSG_IlEEPmS8_NS6_8equal_toIsEEEE10hipError_tPvRmT2_T3_mT4_T5_T6_T7_T8_P12ihipStream_tbENKUlT_T0_E_clISt17integral_constantIbLb1EES12_IbLb0EEEEDaSY_SZ_EUlSY_E_NS1_11comp_targetILNS1_3genE8ELNS1_11target_archE1030ELNS1_3gpuE2ELNS1_3repE0EEENS1_30default_config_static_selectorELNS0_4arch9wavefront6targetE1EEEvT1_
                                        ; -- End function
	.set _ZN7rocprim17ROCPRIM_400000_NS6detail17trampoline_kernelINS0_14default_configENS1_29reduce_by_key_config_selectorIslN6thrust23THRUST_200600_302600_NS4plusIlEEEEZZNS1_33reduce_by_key_impl_wrapped_configILNS1_25lookback_scan_determinismE0ES3_S9_PsNS6_17constant_iteratorIiNS6_11use_defaultESE_EENS6_10device_ptrIsEENSG_IlEEPmS8_NS6_8equal_toIsEEEE10hipError_tPvRmT2_T3_mT4_T5_T6_T7_T8_P12ihipStream_tbENKUlT_T0_E_clISt17integral_constantIbLb1EES12_IbLb0EEEEDaSY_SZ_EUlSY_E_NS1_11comp_targetILNS1_3genE8ELNS1_11target_archE1030ELNS1_3gpuE2ELNS1_3repE0EEENS1_30default_config_static_selectorELNS0_4arch9wavefront6targetE1EEEvT1_.num_vgpr, 0
	.set _ZN7rocprim17ROCPRIM_400000_NS6detail17trampoline_kernelINS0_14default_configENS1_29reduce_by_key_config_selectorIslN6thrust23THRUST_200600_302600_NS4plusIlEEEEZZNS1_33reduce_by_key_impl_wrapped_configILNS1_25lookback_scan_determinismE0ES3_S9_PsNS6_17constant_iteratorIiNS6_11use_defaultESE_EENS6_10device_ptrIsEENSG_IlEEPmS8_NS6_8equal_toIsEEEE10hipError_tPvRmT2_T3_mT4_T5_T6_T7_T8_P12ihipStream_tbENKUlT_T0_E_clISt17integral_constantIbLb1EES12_IbLb0EEEEDaSY_SZ_EUlSY_E_NS1_11comp_targetILNS1_3genE8ELNS1_11target_archE1030ELNS1_3gpuE2ELNS1_3repE0EEENS1_30default_config_static_selectorELNS0_4arch9wavefront6targetE1EEEvT1_.num_agpr, 0
	.set _ZN7rocprim17ROCPRIM_400000_NS6detail17trampoline_kernelINS0_14default_configENS1_29reduce_by_key_config_selectorIslN6thrust23THRUST_200600_302600_NS4plusIlEEEEZZNS1_33reduce_by_key_impl_wrapped_configILNS1_25lookback_scan_determinismE0ES3_S9_PsNS6_17constant_iteratorIiNS6_11use_defaultESE_EENS6_10device_ptrIsEENSG_IlEEPmS8_NS6_8equal_toIsEEEE10hipError_tPvRmT2_T3_mT4_T5_T6_T7_T8_P12ihipStream_tbENKUlT_T0_E_clISt17integral_constantIbLb1EES12_IbLb0EEEEDaSY_SZ_EUlSY_E_NS1_11comp_targetILNS1_3genE8ELNS1_11target_archE1030ELNS1_3gpuE2ELNS1_3repE0EEENS1_30default_config_static_selectorELNS0_4arch9wavefront6targetE1EEEvT1_.numbered_sgpr, 0
	.set _ZN7rocprim17ROCPRIM_400000_NS6detail17trampoline_kernelINS0_14default_configENS1_29reduce_by_key_config_selectorIslN6thrust23THRUST_200600_302600_NS4plusIlEEEEZZNS1_33reduce_by_key_impl_wrapped_configILNS1_25lookback_scan_determinismE0ES3_S9_PsNS6_17constant_iteratorIiNS6_11use_defaultESE_EENS6_10device_ptrIsEENSG_IlEEPmS8_NS6_8equal_toIsEEEE10hipError_tPvRmT2_T3_mT4_T5_T6_T7_T8_P12ihipStream_tbENKUlT_T0_E_clISt17integral_constantIbLb1EES12_IbLb0EEEEDaSY_SZ_EUlSY_E_NS1_11comp_targetILNS1_3genE8ELNS1_11target_archE1030ELNS1_3gpuE2ELNS1_3repE0EEENS1_30default_config_static_selectorELNS0_4arch9wavefront6targetE1EEEvT1_.num_named_barrier, 0
	.set _ZN7rocprim17ROCPRIM_400000_NS6detail17trampoline_kernelINS0_14default_configENS1_29reduce_by_key_config_selectorIslN6thrust23THRUST_200600_302600_NS4plusIlEEEEZZNS1_33reduce_by_key_impl_wrapped_configILNS1_25lookback_scan_determinismE0ES3_S9_PsNS6_17constant_iteratorIiNS6_11use_defaultESE_EENS6_10device_ptrIsEENSG_IlEEPmS8_NS6_8equal_toIsEEEE10hipError_tPvRmT2_T3_mT4_T5_T6_T7_T8_P12ihipStream_tbENKUlT_T0_E_clISt17integral_constantIbLb1EES12_IbLb0EEEEDaSY_SZ_EUlSY_E_NS1_11comp_targetILNS1_3genE8ELNS1_11target_archE1030ELNS1_3gpuE2ELNS1_3repE0EEENS1_30default_config_static_selectorELNS0_4arch9wavefront6targetE1EEEvT1_.private_seg_size, 0
	.set _ZN7rocprim17ROCPRIM_400000_NS6detail17trampoline_kernelINS0_14default_configENS1_29reduce_by_key_config_selectorIslN6thrust23THRUST_200600_302600_NS4plusIlEEEEZZNS1_33reduce_by_key_impl_wrapped_configILNS1_25lookback_scan_determinismE0ES3_S9_PsNS6_17constant_iteratorIiNS6_11use_defaultESE_EENS6_10device_ptrIsEENSG_IlEEPmS8_NS6_8equal_toIsEEEE10hipError_tPvRmT2_T3_mT4_T5_T6_T7_T8_P12ihipStream_tbENKUlT_T0_E_clISt17integral_constantIbLb1EES12_IbLb0EEEEDaSY_SZ_EUlSY_E_NS1_11comp_targetILNS1_3genE8ELNS1_11target_archE1030ELNS1_3gpuE2ELNS1_3repE0EEENS1_30default_config_static_selectorELNS0_4arch9wavefront6targetE1EEEvT1_.uses_vcc, 0
	.set _ZN7rocprim17ROCPRIM_400000_NS6detail17trampoline_kernelINS0_14default_configENS1_29reduce_by_key_config_selectorIslN6thrust23THRUST_200600_302600_NS4plusIlEEEEZZNS1_33reduce_by_key_impl_wrapped_configILNS1_25lookback_scan_determinismE0ES3_S9_PsNS6_17constant_iteratorIiNS6_11use_defaultESE_EENS6_10device_ptrIsEENSG_IlEEPmS8_NS6_8equal_toIsEEEE10hipError_tPvRmT2_T3_mT4_T5_T6_T7_T8_P12ihipStream_tbENKUlT_T0_E_clISt17integral_constantIbLb1EES12_IbLb0EEEEDaSY_SZ_EUlSY_E_NS1_11comp_targetILNS1_3genE8ELNS1_11target_archE1030ELNS1_3gpuE2ELNS1_3repE0EEENS1_30default_config_static_selectorELNS0_4arch9wavefront6targetE1EEEvT1_.uses_flat_scratch, 0
	.set _ZN7rocprim17ROCPRIM_400000_NS6detail17trampoline_kernelINS0_14default_configENS1_29reduce_by_key_config_selectorIslN6thrust23THRUST_200600_302600_NS4plusIlEEEEZZNS1_33reduce_by_key_impl_wrapped_configILNS1_25lookback_scan_determinismE0ES3_S9_PsNS6_17constant_iteratorIiNS6_11use_defaultESE_EENS6_10device_ptrIsEENSG_IlEEPmS8_NS6_8equal_toIsEEEE10hipError_tPvRmT2_T3_mT4_T5_T6_T7_T8_P12ihipStream_tbENKUlT_T0_E_clISt17integral_constantIbLb1EES12_IbLb0EEEEDaSY_SZ_EUlSY_E_NS1_11comp_targetILNS1_3genE8ELNS1_11target_archE1030ELNS1_3gpuE2ELNS1_3repE0EEENS1_30default_config_static_selectorELNS0_4arch9wavefront6targetE1EEEvT1_.has_dyn_sized_stack, 0
	.set _ZN7rocprim17ROCPRIM_400000_NS6detail17trampoline_kernelINS0_14default_configENS1_29reduce_by_key_config_selectorIslN6thrust23THRUST_200600_302600_NS4plusIlEEEEZZNS1_33reduce_by_key_impl_wrapped_configILNS1_25lookback_scan_determinismE0ES3_S9_PsNS6_17constant_iteratorIiNS6_11use_defaultESE_EENS6_10device_ptrIsEENSG_IlEEPmS8_NS6_8equal_toIsEEEE10hipError_tPvRmT2_T3_mT4_T5_T6_T7_T8_P12ihipStream_tbENKUlT_T0_E_clISt17integral_constantIbLb1EES12_IbLb0EEEEDaSY_SZ_EUlSY_E_NS1_11comp_targetILNS1_3genE8ELNS1_11target_archE1030ELNS1_3gpuE2ELNS1_3repE0EEENS1_30default_config_static_selectorELNS0_4arch9wavefront6targetE1EEEvT1_.has_recursion, 0
	.set _ZN7rocprim17ROCPRIM_400000_NS6detail17trampoline_kernelINS0_14default_configENS1_29reduce_by_key_config_selectorIslN6thrust23THRUST_200600_302600_NS4plusIlEEEEZZNS1_33reduce_by_key_impl_wrapped_configILNS1_25lookback_scan_determinismE0ES3_S9_PsNS6_17constant_iteratorIiNS6_11use_defaultESE_EENS6_10device_ptrIsEENSG_IlEEPmS8_NS6_8equal_toIsEEEE10hipError_tPvRmT2_T3_mT4_T5_T6_T7_T8_P12ihipStream_tbENKUlT_T0_E_clISt17integral_constantIbLb1EES12_IbLb0EEEEDaSY_SZ_EUlSY_E_NS1_11comp_targetILNS1_3genE8ELNS1_11target_archE1030ELNS1_3gpuE2ELNS1_3repE0EEENS1_30default_config_static_selectorELNS0_4arch9wavefront6targetE1EEEvT1_.has_indirect_call, 0
	.section	.AMDGPU.csdata,"",@progbits
; Kernel info:
; codeLenInByte = 0
; TotalNumSgprs: 4
; NumVgprs: 0
; ScratchSize: 0
; MemoryBound: 0
; FloatMode: 240
; IeeeMode: 1
; LDSByteSize: 0 bytes/workgroup (compile time only)
; SGPRBlocks: 0
; VGPRBlocks: 0
; NumSGPRsForWavesPerEU: 4
; NumVGPRsForWavesPerEU: 1
; Occupancy: 10
; WaveLimiterHint : 0
; COMPUTE_PGM_RSRC2:SCRATCH_EN: 0
; COMPUTE_PGM_RSRC2:USER_SGPR: 6
; COMPUTE_PGM_RSRC2:TRAP_HANDLER: 0
; COMPUTE_PGM_RSRC2:TGID_X_EN: 1
; COMPUTE_PGM_RSRC2:TGID_Y_EN: 0
; COMPUTE_PGM_RSRC2:TGID_Z_EN: 0
; COMPUTE_PGM_RSRC2:TIDIG_COMP_CNT: 0
	.section	.text._ZN7rocprim17ROCPRIM_400000_NS6detail17trampoline_kernelINS0_14default_configENS1_29reduce_by_key_config_selectorIslN6thrust23THRUST_200600_302600_NS4plusIlEEEEZZNS1_33reduce_by_key_impl_wrapped_configILNS1_25lookback_scan_determinismE0ES3_S9_PsNS6_17constant_iteratorIiNS6_11use_defaultESE_EENS6_10device_ptrIsEENSG_IlEEPmS8_NS6_8equal_toIsEEEE10hipError_tPvRmT2_T3_mT4_T5_T6_T7_T8_P12ihipStream_tbENKUlT_T0_E_clISt17integral_constantIbLb0EES12_IbLb1EEEEDaSY_SZ_EUlSY_E_NS1_11comp_targetILNS1_3genE0ELNS1_11target_archE4294967295ELNS1_3gpuE0ELNS1_3repE0EEENS1_30default_config_static_selectorELNS0_4arch9wavefront6targetE1EEEvT1_,"axG",@progbits,_ZN7rocprim17ROCPRIM_400000_NS6detail17trampoline_kernelINS0_14default_configENS1_29reduce_by_key_config_selectorIslN6thrust23THRUST_200600_302600_NS4plusIlEEEEZZNS1_33reduce_by_key_impl_wrapped_configILNS1_25lookback_scan_determinismE0ES3_S9_PsNS6_17constant_iteratorIiNS6_11use_defaultESE_EENS6_10device_ptrIsEENSG_IlEEPmS8_NS6_8equal_toIsEEEE10hipError_tPvRmT2_T3_mT4_T5_T6_T7_T8_P12ihipStream_tbENKUlT_T0_E_clISt17integral_constantIbLb0EES12_IbLb1EEEEDaSY_SZ_EUlSY_E_NS1_11comp_targetILNS1_3genE0ELNS1_11target_archE4294967295ELNS1_3gpuE0ELNS1_3repE0EEENS1_30default_config_static_selectorELNS0_4arch9wavefront6targetE1EEEvT1_,comdat
	.protected	_ZN7rocprim17ROCPRIM_400000_NS6detail17trampoline_kernelINS0_14default_configENS1_29reduce_by_key_config_selectorIslN6thrust23THRUST_200600_302600_NS4plusIlEEEEZZNS1_33reduce_by_key_impl_wrapped_configILNS1_25lookback_scan_determinismE0ES3_S9_PsNS6_17constant_iteratorIiNS6_11use_defaultESE_EENS6_10device_ptrIsEENSG_IlEEPmS8_NS6_8equal_toIsEEEE10hipError_tPvRmT2_T3_mT4_T5_T6_T7_T8_P12ihipStream_tbENKUlT_T0_E_clISt17integral_constantIbLb0EES12_IbLb1EEEEDaSY_SZ_EUlSY_E_NS1_11comp_targetILNS1_3genE0ELNS1_11target_archE4294967295ELNS1_3gpuE0ELNS1_3repE0EEENS1_30default_config_static_selectorELNS0_4arch9wavefront6targetE1EEEvT1_ ; -- Begin function _ZN7rocprim17ROCPRIM_400000_NS6detail17trampoline_kernelINS0_14default_configENS1_29reduce_by_key_config_selectorIslN6thrust23THRUST_200600_302600_NS4plusIlEEEEZZNS1_33reduce_by_key_impl_wrapped_configILNS1_25lookback_scan_determinismE0ES3_S9_PsNS6_17constant_iteratorIiNS6_11use_defaultESE_EENS6_10device_ptrIsEENSG_IlEEPmS8_NS6_8equal_toIsEEEE10hipError_tPvRmT2_T3_mT4_T5_T6_T7_T8_P12ihipStream_tbENKUlT_T0_E_clISt17integral_constantIbLb0EES12_IbLb1EEEEDaSY_SZ_EUlSY_E_NS1_11comp_targetILNS1_3genE0ELNS1_11target_archE4294967295ELNS1_3gpuE0ELNS1_3repE0EEENS1_30default_config_static_selectorELNS0_4arch9wavefront6targetE1EEEvT1_
	.globl	_ZN7rocprim17ROCPRIM_400000_NS6detail17trampoline_kernelINS0_14default_configENS1_29reduce_by_key_config_selectorIslN6thrust23THRUST_200600_302600_NS4plusIlEEEEZZNS1_33reduce_by_key_impl_wrapped_configILNS1_25lookback_scan_determinismE0ES3_S9_PsNS6_17constant_iteratorIiNS6_11use_defaultESE_EENS6_10device_ptrIsEENSG_IlEEPmS8_NS6_8equal_toIsEEEE10hipError_tPvRmT2_T3_mT4_T5_T6_T7_T8_P12ihipStream_tbENKUlT_T0_E_clISt17integral_constantIbLb0EES12_IbLb1EEEEDaSY_SZ_EUlSY_E_NS1_11comp_targetILNS1_3genE0ELNS1_11target_archE4294967295ELNS1_3gpuE0ELNS1_3repE0EEENS1_30default_config_static_selectorELNS0_4arch9wavefront6targetE1EEEvT1_
	.p2align	8
	.type	_ZN7rocprim17ROCPRIM_400000_NS6detail17trampoline_kernelINS0_14default_configENS1_29reduce_by_key_config_selectorIslN6thrust23THRUST_200600_302600_NS4plusIlEEEEZZNS1_33reduce_by_key_impl_wrapped_configILNS1_25lookback_scan_determinismE0ES3_S9_PsNS6_17constant_iteratorIiNS6_11use_defaultESE_EENS6_10device_ptrIsEENSG_IlEEPmS8_NS6_8equal_toIsEEEE10hipError_tPvRmT2_T3_mT4_T5_T6_T7_T8_P12ihipStream_tbENKUlT_T0_E_clISt17integral_constantIbLb0EES12_IbLb1EEEEDaSY_SZ_EUlSY_E_NS1_11comp_targetILNS1_3genE0ELNS1_11target_archE4294967295ELNS1_3gpuE0ELNS1_3repE0EEENS1_30default_config_static_selectorELNS0_4arch9wavefront6targetE1EEEvT1_,@function
_ZN7rocprim17ROCPRIM_400000_NS6detail17trampoline_kernelINS0_14default_configENS1_29reduce_by_key_config_selectorIslN6thrust23THRUST_200600_302600_NS4plusIlEEEEZZNS1_33reduce_by_key_impl_wrapped_configILNS1_25lookback_scan_determinismE0ES3_S9_PsNS6_17constant_iteratorIiNS6_11use_defaultESE_EENS6_10device_ptrIsEENSG_IlEEPmS8_NS6_8equal_toIsEEEE10hipError_tPvRmT2_T3_mT4_T5_T6_T7_T8_P12ihipStream_tbENKUlT_T0_E_clISt17integral_constantIbLb0EES12_IbLb1EEEEDaSY_SZ_EUlSY_E_NS1_11comp_targetILNS1_3genE0ELNS1_11target_archE4294967295ELNS1_3gpuE0ELNS1_3repE0EEENS1_30default_config_static_selectorELNS0_4arch9wavefront6targetE1EEEvT1_: ; @_ZN7rocprim17ROCPRIM_400000_NS6detail17trampoline_kernelINS0_14default_configENS1_29reduce_by_key_config_selectorIslN6thrust23THRUST_200600_302600_NS4plusIlEEEEZZNS1_33reduce_by_key_impl_wrapped_configILNS1_25lookback_scan_determinismE0ES3_S9_PsNS6_17constant_iteratorIiNS6_11use_defaultESE_EENS6_10device_ptrIsEENSG_IlEEPmS8_NS6_8equal_toIsEEEE10hipError_tPvRmT2_T3_mT4_T5_T6_T7_T8_P12ihipStream_tbENKUlT_T0_E_clISt17integral_constantIbLb0EES12_IbLb1EEEEDaSY_SZ_EUlSY_E_NS1_11comp_targetILNS1_3genE0ELNS1_11target_archE4294967295ELNS1_3gpuE0ELNS1_3repE0EEENS1_30default_config_static_selectorELNS0_4arch9wavefront6targetE1EEEvT1_
; %bb.0:
	.section	.rodata,"a",@progbits
	.p2align	6, 0x0
	.amdhsa_kernel _ZN7rocprim17ROCPRIM_400000_NS6detail17trampoline_kernelINS0_14default_configENS1_29reduce_by_key_config_selectorIslN6thrust23THRUST_200600_302600_NS4plusIlEEEEZZNS1_33reduce_by_key_impl_wrapped_configILNS1_25lookback_scan_determinismE0ES3_S9_PsNS6_17constant_iteratorIiNS6_11use_defaultESE_EENS6_10device_ptrIsEENSG_IlEEPmS8_NS6_8equal_toIsEEEE10hipError_tPvRmT2_T3_mT4_T5_T6_T7_T8_P12ihipStream_tbENKUlT_T0_E_clISt17integral_constantIbLb0EES12_IbLb1EEEEDaSY_SZ_EUlSY_E_NS1_11comp_targetILNS1_3genE0ELNS1_11target_archE4294967295ELNS1_3gpuE0ELNS1_3repE0EEENS1_30default_config_static_selectorELNS0_4arch9wavefront6targetE1EEEvT1_
		.amdhsa_group_segment_fixed_size 0
		.amdhsa_private_segment_fixed_size 0
		.amdhsa_kernarg_size 144
		.amdhsa_user_sgpr_count 6
		.amdhsa_user_sgpr_private_segment_buffer 1
		.amdhsa_user_sgpr_dispatch_ptr 0
		.amdhsa_user_sgpr_queue_ptr 0
		.amdhsa_user_sgpr_kernarg_segment_ptr 1
		.amdhsa_user_sgpr_dispatch_id 0
		.amdhsa_user_sgpr_flat_scratch_init 0
		.amdhsa_user_sgpr_private_segment_size 0
		.amdhsa_uses_dynamic_stack 0
		.amdhsa_system_sgpr_private_segment_wavefront_offset 0
		.amdhsa_system_sgpr_workgroup_id_x 1
		.amdhsa_system_sgpr_workgroup_id_y 0
		.amdhsa_system_sgpr_workgroup_id_z 0
		.amdhsa_system_sgpr_workgroup_info 0
		.amdhsa_system_vgpr_workitem_id 0
		.amdhsa_next_free_vgpr 1
		.amdhsa_next_free_sgpr 0
		.amdhsa_reserve_vcc 0
		.amdhsa_reserve_flat_scratch 0
		.amdhsa_float_round_mode_32 0
		.amdhsa_float_round_mode_16_64 0
		.amdhsa_float_denorm_mode_32 3
		.amdhsa_float_denorm_mode_16_64 3
		.amdhsa_dx10_clamp 1
		.amdhsa_ieee_mode 1
		.amdhsa_fp16_overflow 0
		.amdhsa_exception_fp_ieee_invalid_op 0
		.amdhsa_exception_fp_denorm_src 0
		.amdhsa_exception_fp_ieee_div_zero 0
		.amdhsa_exception_fp_ieee_overflow 0
		.amdhsa_exception_fp_ieee_underflow 0
		.amdhsa_exception_fp_ieee_inexact 0
		.amdhsa_exception_int_div_zero 0
	.end_amdhsa_kernel
	.section	.text._ZN7rocprim17ROCPRIM_400000_NS6detail17trampoline_kernelINS0_14default_configENS1_29reduce_by_key_config_selectorIslN6thrust23THRUST_200600_302600_NS4plusIlEEEEZZNS1_33reduce_by_key_impl_wrapped_configILNS1_25lookback_scan_determinismE0ES3_S9_PsNS6_17constant_iteratorIiNS6_11use_defaultESE_EENS6_10device_ptrIsEENSG_IlEEPmS8_NS6_8equal_toIsEEEE10hipError_tPvRmT2_T3_mT4_T5_T6_T7_T8_P12ihipStream_tbENKUlT_T0_E_clISt17integral_constantIbLb0EES12_IbLb1EEEEDaSY_SZ_EUlSY_E_NS1_11comp_targetILNS1_3genE0ELNS1_11target_archE4294967295ELNS1_3gpuE0ELNS1_3repE0EEENS1_30default_config_static_selectorELNS0_4arch9wavefront6targetE1EEEvT1_,"axG",@progbits,_ZN7rocprim17ROCPRIM_400000_NS6detail17trampoline_kernelINS0_14default_configENS1_29reduce_by_key_config_selectorIslN6thrust23THRUST_200600_302600_NS4plusIlEEEEZZNS1_33reduce_by_key_impl_wrapped_configILNS1_25lookback_scan_determinismE0ES3_S9_PsNS6_17constant_iteratorIiNS6_11use_defaultESE_EENS6_10device_ptrIsEENSG_IlEEPmS8_NS6_8equal_toIsEEEE10hipError_tPvRmT2_T3_mT4_T5_T6_T7_T8_P12ihipStream_tbENKUlT_T0_E_clISt17integral_constantIbLb0EES12_IbLb1EEEEDaSY_SZ_EUlSY_E_NS1_11comp_targetILNS1_3genE0ELNS1_11target_archE4294967295ELNS1_3gpuE0ELNS1_3repE0EEENS1_30default_config_static_selectorELNS0_4arch9wavefront6targetE1EEEvT1_,comdat
.Lfunc_end1497:
	.size	_ZN7rocprim17ROCPRIM_400000_NS6detail17trampoline_kernelINS0_14default_configENS1_29reduce_by_key_config_selectorIslN6thrust23THRUST_200600_302600_NS4plusIlEEEEZZNS1_33reduce_by_key_impl_wrapped_configILNS1_25lookback_scan_determinismE0ES3_S9_PsNS6_17constant_iteratorIiNS6_11use_defaultESE_EENS6_10device_ptrIsEENSG_IlEEPmS8_NS6_8equal_toIsEEEE10hipError_tPvRmT2_T3_mT4_T5_T6_T7_T8_P12ihipStream_tbENKUlT_T0_E_clISt17integral_constantIbLb0EES12_IbLb1EEEEDaSY_SZ_EUlSY_E_NS1_11comp_targetILNS1_3genE0ELNS1_11target_archE4294967295ELNS1_3gpuE0ELNS1_3repE0EEENS1_30default_config_static_selectorELNS0_4arch9wavefront6targetE1EEEvT1_, .Lfunc_end1497-_ZN7rocprim17ROCPRIM_400000_NS6detail17trampoline_kernelINS0_14default_configENS1_29reduce_by_key_config_selectorIslN6thrust23THRUST_200600_302600_NS4plusIlEEEEZZNS1_33reduce_by_key_impl_wrapped_configILNS1_25lookback_scan_determinismE0ES3_S9_PsNS6_17constant_iteratorIiNS6_11use_defaultESE_EENS6_10device_ptrIsEENSG_IlEEPmS8_NS6_8equal_toIsEEEE10hipError_tPvRmT2_T3_mT4_T5_T6_T7_T8_P12ihipStream_tbENKUlT_T0_E_clISt17integral_constantIbLb0EES12_IbLb1EEEEDaSY_SZ_EUlSY_E_NS1_11comp_targetILNS1_3genE0ELNS1_11target_archE4294967295ELNS1_3gpuE0ELNS1_3repE0EEENS1_30default_config_static_selectorELNS0_4arch9wavefront6targetE1EEEvT1_
                                        ; -- End function
	.set _ZN7rocprim17ROCPRIM_400000_NS6detail17trampoline_kernelINS0_14default_configENS1_29reduce_by_key_config_selectorIslN6thrust23THRUST_200600_302600_NS4plusIlEEEEZZNS1_33reduce_by_key_impl_wrapped_configILNS1_25lookback_scan_determinismE0ES3_S9_PsNS6_17constant_iteratorIiNS6_11use_defaultESE_EENS6_10device_ptrIsEENSG_IlEEPmS8_NS6_8equal_toIsEEEE10hipError_tPvRmT2_T3_mT4_T5_T6_T7_T8_P12ihipStream_tbENKUlT_T0_E_clISt17integral_constantIbLb0EES12_IbLb1EEEEDaSY_SZ_EUlSY_E_NS1_11comp_targetILNS1_3genE0ELNS1_11target_archE4294967295ELNS1_3gpuE0ELNS1_3repE0EEENS1_30default_config_static_selectorELNS0_4arch9wavefront6targetE1EEEvT1_.num_vgpr, 0
	.set _ZN7rocprim17ROCPRIM_400000_NS6detail17trampoline_kernelINS0_14default_configENS1_29reduce_by_key_config_selectorIslN6thrust23THRUST_200600_302600_NS4plusIlEEEEZZNS1_33reduce_by_key_impl_wrapped_configILNS1_25lookback_scan_determinismE0ES3_S9_PsNS6_17constant_iteratorIiNS6_11use_defaultESE_EENS6_10device_ptrIsEENSG_IlEEPmS8_NS6_8equal_toIsEEEE10hipError_tPvRmT2_T3_mT4_T5_T6_T7_T8_P12ihipStream_tbENKUlT_T0_E_clISt17integral_constantIbLb0EES12_IbLb1EEEEDaSY_SZ_EUlSY_E_NS1_11comp_targetILNS1_3genE0ELNS1_11target_archE4294967295ELNS1_3gpuE0ELNS1_3repE0EEENS1_30default_config_static_selectorELNS0_4arch9wavefront6targetE1EEEvT1_.num_agpr, 0
	.set _ZN7rocprim17ROCPRIM_400000_NS6detail17trampoline_kernelINS0_14default_configENS1_29reduce_by_key_config_selectorIslN6thrust23THRUST_200600_302600_NS4plusIlEEEEZZNS1_33reduce_by_key_impl_wrapped_configILNS1_25lookback_scan_determinismE0ES3_S9_PsNS6_17constant_iteratorIiNS6_11use_defaultESE_EENS6_10device_ptrIsEENSG_IlEEPmS8_NS6_8equal_toIsEEEE10hipError_tPvRmT2_T3_mT4_T5_T6_T7_T8_P12ihipStream_tbENKUlT_T0_E_clISt17integral_constantIbLb0EES12_IbLb1EEEEDaSY_SZ_EUlSY_E_NS1_11comp_targetILNS1_3genE0ELNS1_11target_archE4294967295ELNS1_3gpuE0ELNS1_3repE0EEENS1_30default_config_static_selectorELNS0_4arch9wavefront6targetE1EEEvT1_.numbered_sgpr, 0
	.set _ZN7rocprim17ROCPRIM_400000_NS6detail17trampoline_kernelINS0_14default_configENS1_29reduce_by_key_config_selectorIslN6thrust23THRUST_200600_302600_NS4plusIlEEEEZZNS1_33reduce_by_key_impl_wrapped_configILNS1_25lookback_scan_determinismE0ES3_S9_PsNS6_17constant_iteratorIiNS6_11use_defaultESE_EENS6_10device_ptrIsEENSG_IlEEPmS8_NS6_8equal_toIsEEEE10hipError_tPvRmT2_T3_mT4_T5_T6_T7_T8_P12ihipStream_tbENKUlT_T0_E_clISt17integral_constantIbLb0EES12_IbLb1EEEEDaSY_SZ_EUlSY_E_NS1_11comp_targetILNS1_3genE0ELNS1_11target_archE4294967295ELNS1_3gpuE0ELNS1_3repE0EEENS1_30default_config_static_selectorELNS0_4arch9wavefront6targetE1EEEvT1_.num_named_barrier, 0
	.set _ZN7rocprim17ROCPRIM_400000_NS6detail17trampoline_kernelINS0_14default_configENS1_29reduce_by_key_config_selectorIslN6thrust23THRUST_200600_302600_NS4plusIlEEEEZZNS1_33reduce_by_key_impl_wrapped_configILNS1_25lookback_scan_determinismE0ES3_S9_PsNS6_17constant_iteratorIiNS6_11use_defaultESE_EENS6_10device_ptrIsEENSG_IlEEPmS8_NS6_8equal_toIsEEEE10hipError_tPvRmT2_T3_mT4_T5_T6_T7_T8_P12ihipStream_tbENKUlT_T0_E_clISt17integral_constantIbLb0EES12_IbLb1EEEEDaSY_SZ_EUlSY_E_NS1_11comp_targetILNS1_3genE0ELNS1_11target_archE4294967295ELNS1_3gpuE0ELNS1_3repE0EEENS1_30default_config_static_selectorELNS0_4arch9wavefront6targetE1EEEvT1_.private_seg_size, 0
	.set _ZN7rocprim17ROCPRIM_400000_NS6detail17trampoline_kernelINS0_14default_configENS1_29reduce_by_key_config_selectorIslN6thrust23THRUST_200600_302600_NS4plusIlEEEEZZNS1_33reduce_by_key_impl_wrapped_configILNS1_25lookback_scan_determinismE0ES3_S9_PsNS6_17constant_iteratorIiNS6_11use_defaultESE_EENS6_10device_ptrIsEENSG_IlEEPmS8_NS6_8equal_toIsEEEE10hipError_tPvRmT2_T3_mT4_T5_T6_T7_T8_P12ihipStream_tbENKUlT_T0_E_clISt17integral_constantIbLb0EES12_IbLb1EEEEDaSY_SZ_EUlSY_E_NS1_11comp_targetILNS1_3genE0ELNS1_11target_archE4294967295ELNS1_3gpuE0ELNS1_3repE0EEENS1_30default_config_static_selectorELNS0_4arch9wavefront6targetE1EEEvT1_.uses_vcc, 0
	.set _ZN7rocprim17ROCPRIM_400000_NS6detail17trampoline_kernelINS0_14default_configENS1_29reduce_by_key_config_selectorIslN6thrust23THRUST_200600_302600_NS4plusIlEEEEZZNS1_33reduce_by_key_impl_wrapped_configILNS1_25lookback_scan_determinismE0ES3_S9_PsNS6_17constant_iteratorIiNS6_11use_defaultESE_EENS6_10device_ptrIsEENSG_IlEEPmS8_NS6_8equal_toIsEEEE10hipError_tPvRmT2_T3_mT4_T5_T6_T7_T8_P12ihipStream_tbENKUlT_T0_E_clISt17integral_constantIbLb0EES12_IbLb1EEEEDaSY_SZ_EUlSY_E_NS1_11comp_targetILNS1_3genE0ELNS1_11target_archE4294967295ELNS1_3gpuE0ELNS1_3repE0EEENS1_30default_config_static_selectorELNS0_4arch9wavefront6targetE1EEEvT1_.uses_flat_scratch, 0
	.set _ZN7rocprim17ROCPRIM_400000_NS6detail17trampoline_kernelINS0_14default_configENS1_29reduce_by_key_config_selectorIslN6thrust23THRUST_200600_302600_NS4plusIlEEEEZZNS1_33reduce_by_key_impl_wrapped_configILNS1_25lookback_scan_determinismE0ES3_S9_PsNS6_17constant_iteratorIiNS6_11use_defaultESE_EENS6_10device_ptrIsEENSG_IlEEPmS8_NS6_8equal_toIsEEEE10hipError_tPvRmT2_T3_mT4_T5_T6_T7_T8_P12ihipStream_tbENKUlT_T0_E_clISt17integral_constantIbLb0EES12_IbLb1EEEEDaSY_SZ_EUlSY_E_NS1_11comp_targetILNS1_3genE0ELNS1_11target_archE4294967295ELNS1_3gpuE0ELNS1_3repE0EEENS1_30default_config_static_selectorELNS0_4arch9wavefront6targetE1EEEvT1_.has_dyn_sized_stack, 0
	.set _ZN7rocprim17ROCPRIM_400000_NS6detail17trampoline_kernelINS0_14default_configENS1_29reduce_by_key_config_selectorIslN6thrust23THRUST_200600_302600_NS4plusIlEEEEZZNS1_33reduce_by_key_impl_wrapped_configILNS1_25lookback_scan_determinismE0ES3_S9_PsNS6_17constant_iteratorIiNS6_11use_defaultESE_EENS6_10device_ptrIsEENSG_IlEEPmS8_NS6_8equal_toIsEEEE10hipError_tPvRmT2_T3_mT4_T5_T6_T7_T8_P12ihipStream_tbENKUlT_T0_E_clISt17integral_constantIbLb0EES12_IbLb1EEEEDaSY_SZ_EUlSY_E_NS1_11comp_targetILNS1_3genE0ELNS1_11target_archE4294967295ELNS1_3gpuE0ELNS1_3repE0EEENS1_30default_config_static_selectorELNS0_4arch9wavefront6targetE1EEEvT1_.has_recursion, 0
	.set _ZN7rocprim17ROCPRIM_400000_NS6detail17trampoline_kernelINS0_14default_configENS1_29reduce_by_key_config_selectorIslN6thrust23THRUST_200600_302600_NS4plusIlEEEEZZNS1_33reduce_by_key_impl_wrapped_configILNS1_25lookback_scan_determinismE0ES3_S9_PsNS6_17constant_iteratorIiNS6_11use_defaultESE_EENS6_10device_ptrIsEENSG_IlEEPmS8_NS6_8equal_toIsEEEE10hipError_tPvRmT2_T3_mT4_T5_T6_T7_T8_P12ihipStream_tbENKUlT_T0_E_clISt17integral_constantIbLb0EES12_IbLb1EEEEDaSY_SZ_EUlSY_E_NS1_11comp_targetILNS1_3genE0ELNS1_11target_archE4294967295ELNS1_3gpuE0ELNS1_3repE0EEENS1_30default_config_static_selectorELNS0_4arch9wavefront6targetE1EEEvT1_.has_indirect_call, 0
	.section	.AMDGPU.csdata,"",@progbits
; Kernel info:
; codeLenInByte = 0
; TotalNumSgprs: 4
; NumVgprs: 0
; ScratchSize: 0
; MemoryBound: 0
; FloatMode: 240
; IeeeMode: 1
; LDSByteSize: 0 bytes/workgroup (compile time only)
; SGPRBlocks: 0
; VGPRBlocks: 0
; NumSGPRsForWavesPerEU: 4
; NumVGPRsForWavesPerEU: 1
; Occupancy: 10
; WaveLimiterHint : 0
; COMPUTE_PGM_RSRC2:SCRATCH_EN: 0
; COMPUTE_PGM_RSRC2:USER_SGPR: 6
; COMPUTE_PGM_RSRC2:TRAP_HANDLER: 0
; COMPUTE_PGM_RSRC2:TGID_X_EN: 1
; COMPUTE_PGM_RSRC2:TGID_Y_EN: 0
; COMPUTE_PGM_RSRC2:TGID_Z_EN: 0
; COMPUTE_PGM_RSRC2:TIDIG_COMP_CNT: 0
	.section	.text._ZN7rocprim17ROCPRIM_400000_NS6detail17trampoline_kernelINS0_14default_configENS1_29reduce_by_key_config_selectorIslN6thrust23THRUST_200600_302600_NS4plusIlEEEEZZNS1_33reduce_by_key_impl_wrapped_configILNS1_25lookback_scan_determinismE0ES3_S9_PsNS6_17constant_iteratorIiNS6_11use_defaultESE_EENS6_10device_ptrIsEENSG_IlEEPmS8_NS6_8equal_toIsEEEE10hipError_tPvRmT2_T3_mT4_T5_T6_T7_T8_P12ihipStream_tbENKUlT_T0_E_clISt17integral_constantIbLb0EES12_IbLb1EEEEDaSY_SZ_EUlSY_E_NS1_11comp_targetILNS1_3genE5ELNS1_11target_archE942ELNS1_3gpuE9ELNS1_3repE0EEENS1_30default_config_static_selectorELNS0_4arch9wavefront6targetE1EEEvT1_,"axG",@progbits,_ZN7rocprim17ROCPRIM_400000_NS6detail17trampoline_kernelINS0_14default_configENS1_29reduce_by_key_config_selectorIslN6thrust23THRUST_200600_302600_NS4plusIlEEEEZZNS1_33reduce_by_key_impl_wrapped_configILNS1_25lookback_scan_determinismE0ES3_S9_PsNS6_17constant_iteratorIiNS6_11use_defaultESE_EENS6_10device_ptrIsEENSG_IlEEPmS8_NS6_8equal_toIsEEEE10hipError_tPvRmT2_T3_mT4_T5_T6_T7_T8_P12ihipStream_tbENKUlT_T0_E_clISt17integral_constantIbLb0EES12_IbLb1EEEEDaSY_SZ_EUlSY_E_NS1_11comp_targetILNS1_3genE5ELNS1_11target_archE942ELNS1_3gpuE9ELNS1_3repE0EEENS1_30default_config_static_selectorELNS0_4arch9wavefront6targetE1EEEvT1_,comdat
	.protected	_ZN7rocprim17ROCPRIM_400000_NS6detail17trampoline_kernelINS0_14default_configENS1_29reduce_by_key_config_selectorIslN6thrust23THRUST_200600_302600_NS4plusIlEEEEZZNS1_33reduce_by_key_impl_wrapped_configILNS1_25lookback_scan_determinismE0ES3_S9_PsNS6_17constant_iteratorIiNS6_11use_defaultESE_EENS6_10device_ptrIsEENSG_IlEEPmS8_NS6_8equal_toIsEEEE10hipError_tPvRmT2_T3_mT4_T5_T6_T7_T8_P12ihipStream_tbENKUlT_T0_E_clISt17integral_constantIbLb0EES12_IbLb1EEEEDaSY_SZ_EUlSY_E_NS1_11comp_targetILNS1_3genE5ELNS1_11target_archE942ELNS1_3gpuE9ELNS1_3repE0EEENS1_30default_config_static_selectorELNS0_4arch9wavefront6targetE1EEEvT1_ ; -- Begin function _ZN7rocprim17ROCPRIM_400000_NS6detail17trampoline_kernelINS0_14default_configENS1_29reduce_by_key_config_selectorIslN6thrust23THRUST_200600_302600_NS4plusIlEEEEZZNS1_33reduce_by_key_impl_wrapped_configILNS1_25lookback_scan_determinismE0ES3_S9_PsNS6_17constant_iteratorIiNS6_11use_defaultESE_EENS6_10device_ptrIsEENSG_IlEEPmS8_NS6_8equal_toIsEEEE10hipError_tPvRmT2_T3_mT4_T5_T6_T7_T8_P12ihipStream_tbENKUlT_T0_E_clISt17integral_constantIbLb0EES12_IbLb1EEEEDaSY_SZ_EUlSY_E_NS1_11comp_targetILNS1_3genE5ELNS1_11target_archE942ELNS1_3gpuE9ELNS1_3repE0EEENS1_30default_config_static_selectorELNS0_4arch9wavefront6targetE1EEEvT1_
	.globl	_ZN7rocprim17ROCPRIM_400000_NS6detail17trampoline_kernelINS0_14default_configENS1_29reduce_by_key_config_selectorIslN6thrust23THRUST_200600_302600_NS4plusIlEEEEZZNS1_33reduce_by_key_impl_wrapped_configILNS1_25lookback_scan_determinismE0ES3_S9_PsNS6_17constant_iteratorIiNS6_11use_defaultESE_EENS6_10device_ptrIsEENSG_IlEEPmS8_NS6_8equal_toIsEEEE10hipError_tPvRmT2_T3_mT4_T5_T6_T7_T8_P12ihipStream_tbENKUlT_T0_E_clISt17integral_constantIbLb0EES12_IbLb1EEEEDaSY_SZ_EUlSY_E_NS1_11comp_targetILNS1_3genE5ELNS1_11target_archE942ELNS1_3gpuE9ELNS1_3repE0EEENS1_30default_config_static_selectorELNS0_4arch9wavefront6targetE1EEEvT1_
	.p2align	8
	.type	_ZN7rocprim17ROCPRIM_400000_NS6detail17trampoline_kernelINS0_14default_configENS1_29reduce_by_key_config_selectorIslN6thrust23THRUST_200600_302600_NS4plusIlEEEEZZNS1_33reduce_by_key_impl_wrapped_configILNS1_25lookback_scan_determinismE0ES3_S9_PsNS6_17constant_iteratorIiNS6_11use_defaultESE_EENS6_10device_ptrIsEENSG_IlEEPmS8_NS6_8equal_toIsEEEE10hipError_tPvRmT2_T3_mT4_T5_T6_T7_T8_P12ihipStream_tbENKUlT_T0_E_clISt17integral_constantIbLb0EES12_IbLb1EEEEDaSY_SZ_EUlSY_E_NS1_11comp_targetILNS1_3genE5ELNS1_11target_archE942ELNS1_3gpuE9ELNS1_3repE0EEENS1_30default_config_static_selectorELNS0_4arch9wavefront6targetE1EEEvT1_,@function
_ZN7rocprim17ROCPRIM_400000_NS6detail17trampoline_kernelINS0_14default_configENS1_29reduce_by_key_config_selectorIslN6thrust23THRUST_200600_302600_NS4plusIlEEEEZZNS1_33reduce_by_key_impl_wrapped_configILNS1_25lookback_scan_determinismE0ES3_S9_PsNS6_17constant_iteratorIiNS6_11use_defaultESE_EENS6_10device_ptrIsEENSG_IlEEPmS8_NS6_8equal_toIsEEEE10hipError_tPvRmT2_T3_mT4_T5_T6_T7_T8_P12ihipStream_tbENKUlT_T0_E_clISt17integral_constantIbLb0EES12_IbLb1EEEEDaSY_SZ_EUlSY_E_NS1_11comp_targetILNS1_3genE5ELNS1_11target_archE942ELNS1_3gpuE9ELNS1_3repE0EEENS1_30default_config_static_selectorELNS0_4arch9wavefront6targetE1EEEvT1_: ; @_ZN7rocprim17ROCPRIM_400000_NS6detail17trampoline_kernelINS0_14default_configENS1_29reduce_by_key_config_selectorIslN6thrust23THRUST_200600_302600_NS4plusIlEEEEZZNS1_33reduce_by_key_impl_wrapped_configILNS1_25lookback_scan_determinismE0ES3_S9_PsNS6_17constant_iteratorIiNS6_11use_defaultESE_EENS6_10device_ptrIsEENSG_IlEEPmS8_NS6_8equal_toIsEEEE10hipError_tPvRmT2_T3_mT4_T5_T6_T7_T8_P12ihipStream_tbENKUlT_T0_E_clISt17integral_constantIbLb0EES12_IbLb1EEEEDaSY_SZ_EUlSY_E_NS1_11comp_targetILNS1_3genE5ELNS1_11target_archE942ELNS1_3gpuE9ELNS1_3repE0EEENS1_30default_config_static_selectorELNS0_4arch9wavefront6targetE1EEEvT1_
; %bb.0:
	.section	.rodata,"a",@progbits
	.p2align	6, 0x0
	.amdhsa_kernel _ZN7rocprim17ROCPRIM_400000_NS6detail17trampoline_kernelINS0_14default_configENS1_29reduce_by_key_config_selectorIslN6thrust23THRUST_200600_302600_NS4plusIlEEEEZZNS1_33reduce_by_key_impl_wrapped_configILNS1_25lookback_scan_determinismE0ES3_S9_PsNS6_17constant_iteratorIiNS6_11use_defaultESE_EENS6_10device_ptrIsEENSG_IlEEPmS8_NS6_8equal_toIsEEEE10hipError_tPvRmT2_T3_mT4_T5_T6_T7_T8_P12ihipStream_tbENKUlT_T0_E_clISt17integral_constantIbLb0EES12_IbLb1EEEEDaSY_SZ_EUlSY_E_NS1_11comp_targetILNS1_3genE5ELNS1_11target_archE942ELNS1_3gpuE9ELNS1_3repE0EEENS1_30default_config_static_selectorELNS0_4arch9wavefront6targetE1EEEvT1_
		.amdhsa_group_segment_fixed_size 0
		.amdhsa_private_segment_fixed_size 0
		.amdhsa_kernarg_size 144
		.amdhsa_user_sgpr_count 6
		.amdhsa_user_sgpr_private_segment_buffer 1
		.amdhsa_user_sgpr_dispatch_ptr 0
		.amdhsa_user_sgpr_queue_ptr 0
		.amdhsa_user_sgpr_kernarg_segment_ptr 1
		.amdhsa_user_sgpr_dispatch_id 0
		.amdhsa_user_sgpr_flat_scratch_init 0
		.amdhsa_user_sgpr_private_segment_size 0
		.amdhsa_uses_dynamic_stack 0
		.amdhsa_system_sgpr_private_segment_wavefront_offset 0
		.amdhsa_system_sgpr_workgroup_id_x 1
		.amdhsa_system_sgpr_workgroup_id_y 0
		.amdhsa_system_sgpr_workgroup_id_z 0
		.amdhsa_system_sgpr_workgroup_info 0
		.amdhsa_system_vgpr_workitem_id 0
		.amdhsa_next_free_vgpr 1
		.amdhsa_next_free_sgpr 0
		.amdhsa_reserve_vcc 0
		.amdhsa_reserve_flat_scratch 0
		.amdhsa_float_round_mode_32 0
		.amdhsa_float_round_mode_16_64 0
		.amdhsa_float_denorm_mode_32 3
		.amdhsa_float_denorm_mode_16_64 3
		.amdhsa_dx10_clamp 1
		.amdhsa_ieee_mode 1
		.amdhsa_fp16_overflow 0
		.amdhsa_exception_fp_ieee_invalid_op 0
		.amdhsa_exception_fp_denorm_src 0
		.amdhsa_exception_fp_ieee_div_zero 0
		.amdhsa_exception_fp_ieee_overflow 0
		.amdhsa_exception_fp_ieee_underflow 0
		.amdhsa_exception_fp_ieee_inexact 0
		.amdhsa_exception_int_div_zero 0
	.end_amdhsa_kernel
	.section	.text._ZN7rocprim17ROCPRIM_400000_NS6detail17trampoline_kernelINS0_14default_configENS1_29reduce_by_key_config_selectorIslN6thrust23THRUST_200600_302600_NS4plusIlEEEEZZNS1_33reduce_by_key_impl_wrapped_configILNS1_25lookback_scan_determinismE0ES3_S9_PsNS6_17constant_iteratorIiNS6_11use_defaultESE_EENS6_10device_ptrIsEENSG_IlEEPmS8_NS6_8equal_toIsEEEE10hipError_tPvRmT2_T3_mT4_T5_T6_T7_T8_P12ihipStream_tbENKUlT_T0_E_clISt17integral_constantIbLb0EES12_IbLb1EEEEDaSY_SZ_EUlSY_E_NS1_11comp_targetILNS1_3genE5ELNS1_11target_archE942ELNS1_3gpuE9ELNS1_3repE0EEENS1_30default_config_static_selectorELNS0_4arch9wavefront6targetE1EEEvT1_,"axG",@progbits,_ZN7rocprim17ROCPRIM_400000_NS6detail17trampoline_kernelINS0_14default_configENS1_29reduce_by_key_config_selectorIslN6thrust23THRUST_200600_302600_NS4plusIlEEEEZZNS1_33reduce_by_key_impl_wrapped_configILNS1_25lookback_scan_determinismE0ES3_S9_PsNS6_17constant_iteratorIiNS6_11use_defaultESE_EENS6_10device_ptrIsEENSG_IlEEPmS8_NS6_8equal_toIsEEEE10hipError_tPvRmT2_T3_mT4_T5_T6_T7_T8_P12ihipStream_tbENKUlT_T0_E_clISt17integral_constantIbLb0EES12_IbLb1EEEEDaSY_SZ_EUlSY_E_NS1_11comp_targetILNS1_3genE5ELNS1_11target_archE942ELNS1_3gpuE9ELNS1_3repE0EEENS1_30default_config_static_selectorELNS0_4arch9wavefront6targetE1EEEvT1_,comdat
.Lfunc_end1498:
	.size	_ZN7rocprim17ROCPRIM_400000_NS6detail17trampoline_kernelINS0_14default_configENS1_29reduce_by_key_config_selectorIslN6thrust23THRUST_200600_302600_NS4plusIlEEEEZZNS1_33reduce_by_key_impl_wrapped_configILNS1_25lookback_scan_determinismE0ES3_S9_PsNS6_17constant_iteratorIiNS6_11use_defaultESE_EENS6_10device_ptrIsEENSG_IlEEPmS8_NS6_8equal_toIsEEEE10hipError_tPvRmT2_T3_mT4_T5_T6_T7_T8_P12ihipStream_tbENKUlT_T0_E_clISt17integral_constantIbLb0EES12_IbLb1EEEEDaSY_SZ_EUlSY_E_NS1_11comp_targetILNS1_3genE5ELNS1_11target_archE942ELNS1_3gpuE9ELNS1_3repE0EEENS1_30default_config_static_selectorELNS0_4arch9wavefront6targetE1EEEvT1_, .Lfunc_end1498-_ZN7rocprim17ROCPRIM_400000_NS6detail17trampoline_kernelINS0_14default_configENS1_29reduce_by_key_config_selectorIslN6thrust23THRUST_200600_302600_NS4plusIlEEEEZZNS1_33reduce_by_key_impl_wrapped_configILNS1_25lookback_scan_determinismE0ES3_S9_PsNS6_17constant_iteratorIiNS6_11use_defaultESE_EENS6_10device_ptrIsEENSG_IlEEPmS8_NS6_8equal_toIsEEEE10hipError_tPvRmT2_T3_mT4_T5_T6_T7_T8_P12ihipStream_tbENKUlT_T0_E_clISt17integral_constantIbLb0EES12_IbLb1EEEEDaSY_SZ_EUlSY_E_NS1_11comp_targetILNS1_3genE5ELNS1_11target_archE942ELNS1_3gpuE9ELNS1_3repE0EEENS1_30default_config_static_selectorELNS0_4arch9wavefront6targetE1EEEvT1_
                                        ; -- End function
	.set _ZN7rocprim17ROCPRIM_400000_NS6detail17trampoline_kernelINS0_14default_configENS1_29reduce_by_key_config_selectorIslN6thrust23THRUST_200600_302600_NS4plusIlEEEEZZNS1_33reduce_by_key_impl_wrapped_configILNS1_25lookback_scan_determinismE0ES3_S9_PsNS6_17constant_iteratorIiNS6_11use_defaultESE_EENS6_10device_ptrIsEENSG_IlEEPmS8_NS6_8equal_toIsEEEE10hipError_tPvRmT2_T3_mT4_T5_T6_T7_T8_P12ihipStream_tbENKUlT_T0_E_clISt17integral_constantIbLb0EES12_IbLb1EEEEDaSY_SZ_EUlSY_E_NS1_11comp_targetILNS1_3genE5ELNS1_11target_archE942ELNS1_3gpuE9ELNS1_3repE0EEENS1_30default_config_static_selectorELNS0_4arch9wavefront6targetE1EEEvT1_.num_vgpr, 0
	.set _ZN7rocprim17ROCPRIM_400000_NS6detail17trampoline_kernelINS0_14default_configENS1_29reduce_by_key_config_selectorIslN6thrust23THRUST_200600_302600_NS4plusIlEEEEZZNS1_33reduce_by_key_impl_wrapped_configILNS1_25lookback_scan_determinismE0ES3_S9_PsNS6_17constant_iteratorIiNS6_11use_defaultESE_EENS6_10device_ptrIsEENSG_IlEEPmS8_NS6_8equal_toIsEEEE10hipError_tPvRmT2_T3_mT4_T5_T6_T7_T8_P12ihipStream_tbENKUlT_T0_E_clISt17integral_constantIbLb0EES12_IbLb1EEEEDaSY_SZ_EUlSY_E_NS1_11comp_targetILNS1_3genE5ELNS1_11target_archE942ELNS1_3gpuE9ELNS1_3repE0EEENS1_30default_config_static_selectorELNS0_4arch9wavefront6targetE1EEEvT1_.num_agpr, 0
	.set _ZN7rocprim17ROCPRIM_400000_NS6detail17trampoline_kernelINS0_14default_configENS1_29reduce_by_key_config_selectorIslN6thrust23THRUST_200600_302600_NS4plusIlEEEEZZNS1_33reduce_by_key_impl_wrapped_configILNS1_25lookback_scan_determinismE0ES3_S9_PsNS6_17constant_iteratorIiNS6_11use_defaultESE_EENS6_10device_ptrIsEENSG_IlEEPmS8_NS6_8equal_toIsEEEE10hipError_tPvRmT2_T3_mT4_T5_T6_T7_T8_P12ihipStream_tbENKUlT_T0_E_clISt17integral_constantIbLb0EES12_IbLb1EEEEDaSY_SZ_EUlSY_E_NS1_11comp_targetILNS1_3genE5ELNS1_11target_archE942ELNS1_3gpuE9ELNS1_3repE0EEENS1_30default_config_static_selectorELNS0_4arch9wavefront6targetE1EEEvT1_.numbered_sgpr, 0
	.set _ZN7rocprim17ROCPRIM_400000_NS6detail17trampoline_kernelINS0_14default_configENS1_29reduce_by_key_config_selectorIslN6thrust23THRUST_200600_302600_NS4plusIlEEEEZZNS1_33reduce_by_key_impl_wrapped_configILNS1_25lookback_scan_determinismE0ES3_S9_PsNS6_17constant_iteratorIiNS6_11use_defaultESE_EENS6_10device_ptrIsEENSG_IlEEPmS8_NS6_8equal_toIsEEEE10hipError_tPvRmT2_T3_mT4_T5_T6_T7_T8_P12ihipStream_tbENKUlT_T0_E_clISt17integral_constantIbLb0EES12_IbLb1EEEEDaSY_SZ_EUlSY_E_NS1_11comp_targetILNS1_3genE5ELNS1_11target_archE942ELNS1_3gpuE9ELNS1_3repE0EEENS1_30default_config_static_selectorELNS0_4arch9wavefront6targetE1EEEvT1_.num_named_barrier, 0
	.set _ZN7rocprim17ROCPRIM_400000_NS6detail17trampoline_kernelINS0_14default_configENS1_29reduce_by_key_config_selectorIslN6thrust23THRUST_200600_302600_NS4plusIlEEEEZZNS1_33reduce_by_key_impl_wrapped_configILNS1_25lookback_scan_determinismE0ES3_S9_PsNS6_17constant_iteratorIiNS6_11use_defaultESE_EENS6_10device_ptrIsEENSG_IlEEPmS8_NS6_8equal_toIsEEEE10hipError_tPvRmT2_T3_mT4_T5_T6_T7_T8_P12ihipStream_tbENKUlT_T0_E_clISt17integral_constantIbLb0EES12_IbLb1EEEEDaSY_SZ_EUlSY_E_NS1_11comp_targetILNS1_3genE5ELNS1_11target_archE942ELNS1_3gpuE9ELNS1_3repE0EEENS1_30default_config_static_selectorELNS0_4arch9wavefront6targetE1EEEvT1_.private_seg_size, 0
	.set _ZN7rocprim17ROCPRIM_400000_NS6detail17trampoline_kernelINS0_14default_configENS1_29reduce_by_key_config_selectorIslN6thrust23THRUST_200600_302600_NS4plusIlEEEEZZNS1_33reduce_by_key_impl_wrapped_configILNS1_25lookback_scan_determinismE0ES3_S9_PsNS6_17constant_iteratorIiNS6_11use_defaultESE_EENS6_10device_ptrIsEENSG_IlEEPmS8_NS6_8equal_toIsEEEE10hipError_tPvRmT2_T3_mT4_T5_T6_T7_T8_P12ihipStream_tbENKUlT_T0_E_clISt17integral_constantIbLb0EES12_IbLb1EEEEDaSY_SZ_EUlSY_E_NS1_11comp_targetILNS1_3genE5ELNS1_11target_archE942ELNS1_3gpuE9ELNS1_3repE0EEENS1_30default_config_static_selectorELNS0_4arch9wavefront6targetE1EEEvT1_.uses_vcc, 0
	.set _ZN7rocprim17ROCPRIM_400000_NS6detail17trampoline_kernelINS0_14default_configENS1_29reduce_by_key_config_selectorIslN6thrust23THRUST_200600_302600_NS4plusIlEEEEZZNS1_33reduce_by_key_impl_wrapped_configILNS1_25lookback_scan_determinismE0ES3_S9_PsNS6_17constant_iteratorIiNS6_11use_defaultESE_EENS6_10device_ptrIsEENSG_IlEEPmS8_NS6_8equal_toIsEEEE10hipError_tPvRmT2_T3_mT4_T5_T6_T7_T8_P12ihipStream_tbENKUlT_T0_E_clISt17integral_constantIbLb0EES12_IbLb1EEEEDaSY_SZ_EUlSY_E_NS1_11comp_targetILNS1_3genE5ELNS1_11target_archE942ELNS1_3gpuE9ELNS1_3repE0EEENS1_30default_config_static_selectorELNS0_4arch9wavefront6targetE1EEEvT1_.uses_flat_scratch, 0
	.set _ZN7rocprim17ROCPRIM_400000_NS6detail17trampoline_kernelINS0_14default_configENS1_29reduce_by_key_config_selectorIslN6thrust23THRUST_200600_302600_NS4plusIlEEEEZZNS1_33reduce_by_key_impl_wrapped_configILNS1_25lookback_scan_determinismE0ES3_S9_PsNS6_17constant_iteratorIiNS6_11use_defaultESE_EENS6_10device_ptrIsEENSG_IlEEPmS8_NS6_8equal_toIsEEEE10hipError_tPvRmT2_T3_mT4_T5_T6_T7_T8_P12ihipStream_tbENKUlT_T0_E_clISt17integral_constantIbLb0EES12_IbLb1EEEEDaSY_SZ_EUlSY_E_NS1_11comp_targetILNS1_3genE5ELNS1_11target_archE942ELNS1_3gpuE9ELNS1_3repE0EEENS1_30default_config_static_selectorELNS0_4arch9wavefront6targetE1EEEvT1_.has_dyn_sized_stack, 0
	.set _ZN7rocprim17ROCPRIM_400000_NS6detail17trampoline_kernelINS0_14default_configENS1_29reduce_by_key_config_selectorIslN6thrust23THRUST_200600_302600_NS4plusIlEEEEZZNS1_33reduce_by_key_impl_wrapped_configILNS1_25lookback_scan_determinismE0ES3_S9_PsNS6_17constant_iteratorIiNS6_11use_defaultESE_EENS6_10device_ptrIsEENSG_IlEEPmS8_NS6_8equal_toIsEEEE10hipError_tPvRmT2_T3_mT4_T5_T6_T7_T8_P12ihipStream_tbENKUlT_T0_E_clISt17integral_constantIbLb0EES12_IbLb1EEEEDaSY_SZ_EUlSY_E_NS1_11comp_targetILNS1_3genE5ELNS1_11target_archE942ELNS1_3gpuE9ELNS1_3repE0EEENS1_30default_config_static_selectorELNS0_4arch9wavefront6targetE1EEEvT1_.has_recursion, 0
	.set _ZN7rocprim17ROCPRIM_400000_NS6detail17trampoline_kernelINS0_14default_configENS1_29reduce_by_key_config_selectorIslN6thrust23THRUST_200600_302600_NS4plusIlEEEEZZNS1_33reduce_by_key_impl_wrapped_configILNS1_25lookback_scan_determinismE0ES3_S9_PsNS6_17constant_iteratorIiNS6_11use_defaultESE_EENS6_10device_ptrIsEENSG_IlEEPmS8_NS6_8equal_toIsEEEE10hipError_tPvRmT2_T3_mT4_T5_T6_T7_T8_P12ihipStream_tbENKUlT_T0_E_clISt17integral_constantIbLb0EES12_IbLb1EEEEDaSY_SZ_EUlSY_E_NS1_11comp_targetILNS1_3genE5ELNS1_11target_archE942ELNS1_3gpuE9ELNS1_3repE0EEENS1_30default_config_static_selectorELNS0_4arch9wavefront6targetE1EEEvT1_.has_indirect_call, 0
	.section	.AMDGPU.csdata,"",@progbits
; Kernel info:
; codeLenInByte = 0
; TotalNumSgprs: 4
; NumVgprs: 0
; ScratchSize: 0
; MemoryBound: 0
; FloatMode: 240
; IeeeMode: 1
; LDSByteSize: 0 bytes/workgroup (compile time only)
; SGPRBlocks: 0
; VGPRBlocks: 0
; NumSGPRsForWavesPerEU: 4
; NumVGPRsForWavesPerEU: 1
; Occupancy: 10
; WaveLimiterHint : 0
; COMPUTE_PGM_RSRC2:SCRATCH_EN: 0
; COMPUTE_PGM_RSRC2:USER_SGPR: 6
; COMPUTE_PGM_RSRC2:TRAP_HANDLER: 0
; COMPUTE_PGM_RSRC2:TGID_X_EN: 1
; COMPUTE_PGM_RSRC2:TGID_Y_EN: 0
; COMPUTE_PGM_RSRC2:TGID_Z_EN: 0
; COMPUTE_PGM_RSRC2:TIDIG_COMP_CNT: 0
	.section	.text._ZN7rocprim17ROCPRIM_400000_NS6detail17trampoline_kernelINS0_14default_configENS1_29reduce_by_key_config_selectorIslN6thrust23THRUST_200600_302600_NS4plusIlEEEEZZNS1_33reduce_by_key_impl_wrapped_configILNS1_25lookback_scan_determinismE0ES3_S9_PsNS6_17constant_iteratorIiNS6_11use_defaultESE_EENS6_10device_ptrIsEENSG_IlEEPmS8_NS6_8equal_toIsEEEE10hipError_tPvRmT2_T3_mT4_T5_T6_T7_T8_P12ihipStream_tbENKUlT_T0_E_clISt17integral_constantIbLb0EES12_IbLb1EEEEDaSY_SZ_EUlSY_E_NS1_11comp_targetILNS1_3genE4ELNS1_11target_archE910ELNS1_3gpuE8ELNS1_3repE0EEENS1_30default_config_static_selectorELNS0_4arch9wavefront6targetE1EEEvT1_,"axG",@progbits,_ZN7rocprim17ROCPRIM_400000_NS6detail17trampoline_kernelINS0_14default_configENS1_29reduce_by_key_config_selectorIslN6thrust23THRUST_200600_302600_NS4plusIlEEEEZZNS1_33reduce_by_key_impl_wrapped_configILNS1_25lookback_scan_determinismE0ES3_S9_PsNS6_17constant_iteratorIiNS6_11use_defaultESE_EENS6_10device_ptrIsEENSG_IlEEPmS8_NS6_8equal_toIsEEEE10hipError_tPvRmT2_T3_mT4_T5_T6_T7_T8_P12ihipStream_tbENKUlT_T0_E_clISt17integral_constantIbLb0EES12_IbLb1EEEEDaSY_SZ_EUlSY_E_NS1_11comp_targetILNS1_3genE4ELNS1_11target_archE910ELNS1_3gpuE8ELNS1_3repE0EEENS1_30default_config_static_selectorELNS0_4arch9wavefront6targetE1EEEvT1_,comdat
	.protected	_ZN7rocprim17ROCPRIM_400000_NS6detail17trampoline_kernelINS0_14default_configENS1_29reduce_by_key_config_selectorIslN6thrust23THRUST_200600_302600_NS4plusIlEEEEZZNS1_33reduce_by_key_impl_wrapped_configILNS1_25lookback_scan_determinismE0ES3_S9_PsNS6_17constant_iteratorIiNS6_11use_defaultESE_EENS6_10device_ptrIsEENSG_IlEEPmS8_NS6_8equal_toIsEEEE10hipError_tPvRmT2_T3_mT4_T5_T6_T7_T8_P12ihipStream_tbENKUlT_T0_E_clISt17integral_constantIbLb0EES12_IbLb1EEEEDaSY_SZ_EUlSY_E_NS1_11comp_targetILNS1_3genE4ELNS1_11target_archE910ELNS1_3gpuE8ELNS1_3repE0EEENS1_30default_config_static_selectorELNS0_4arch9wavefront6targetE1EEEvT1_ ; -- Begin function _ZN7rocprim17ROCPRIM_400000_NS6detail17trampoline_kernelINS0_14default_configENS1_29reduce_by_key_config_selectorIslN6thrust23THRUST_200600_302600_NS4plusIlEEEEZZNS1_33reduce_by_key_impl_wrapped_configILNS1_25lookback_scan_determinismE0ES3_S9_PsNS6_17constant_iteratorIiNS6_11use_defaultESE_EENS6_10device_ptrIsEENSG_IlEEPmS8_NS6_8equal_toIsEEEE10hipError_tPvRmT2_T3_mT4_T5_T6_T7_T8_P12ihipStream_tbENKUlT_T0_E_clISt17integral_constantIbLb0EES12_IbLb1EEEEDaSY_SZ_EUlSY_E_NS1_11comp_targetILNS1_3genE4ELNS1_11target_archE910ELNS1_3gpuE8ELNS1_3repE0EEENS1_30default_config_static_selectorELNS0_4arch9wavefront6targetE1EEEvT1_
	.globl	_ZN7rocprim17ROCPRIM_400000_NS6detail17trampoline_kernelINS0_14default_configENS1_29reduce_by_key_config_selectorIslN6thrust23THRUST_200600_302600_NS4plusIlEEEEZZNS1_33reduce_by_key_impl_wrapped_configILNS1_25lookback_scan_determinismE0ES3_S9_PsNS6_17constant_iteratorIiNS6_11use_defaultESE_EENS6_10device_ptrIsEENSG_IlEEPmS8_NS6_8equal_toIsEEEE10hipError_tPvRmT2_T3_mT4_T5_T6_T7_T8_P12ihipStream_tbENKUlT_T0_E_clISt17integral_constantIbLb0EES12_IbLb1EEEEDaSY_SZ_EUlSY_E_NS1_11comp_targetILNS1_3genE4ELNS1_11target_archE910ELNS1_3gpuE8ELNS1_3repE0EEENS1_30default_config_static_selectorELNS0_4arch9wavefront6targetE1EEEvT1_
	.p2align	8
	.type	_ZN7rocprim17ROCPRIM_400000_NS6detail17trampoline_kernelINS0_14default_configENS1_29reduce_by_key_config_selectorIslN6thrust23THRUST_200600_302600_NS4plusIlEEEEZZNS1_33reduce_by_key_impl_wrapped_configILNS1_25lookback_scan_determinismE0ES3_S9_PsNS6_17constant_iteratorIiNS6_11use_defaultESE_EENS6_10device_ptrIsEENSG_IlEEPmS8_NS6_8equal_toIsEEEE10hipError_tPvRmT2_T3_mT4_T5_T6_T7_T8_P12ihipStream_tbENKUlT_T0_E_clISt17integral_constantIbLb0EES12_IbLb1EEEEDaSY_SZ_EUlSY_E_NS1_11comp_targetILNS1_3genE4ELNS1_11target_archE910ELNS1_3gpuE8ELNS1_3repE0EEENS1_30default_config_static_selectorELNS0_4arch9wavefront6targetE1EEEvT1_,@function
_ZN7rocprim17ROCPRIM_400000_NS6detail17trampoline_kernelINS0_14default_configENS1_29reduce_by_key_config_selectorIslN6thrust23THRUST_200600_302600_NS4plusIlEEEEZZNS1_33reduce_by_key_impl_wrapped_configILNS1_25lookback_scan_determinismE0ES3_S9_PsNS6_17constant_iteratorIiNS6_11use_defaultESE_EENS6_10device_ptrIsEENSG_IlEEPmS8_NS6_8equal_toIsEEEE10hipError_tPvRmT2_T3_mT4_T5_T6_T7_T8_P12ihipStream_tbENKUlT_T0_E_clISt17integral_constantIbLb0EES12_IbLb1EEEEDaSY_SZ_EUlSY_E_NS1_11comp_targetILNS1_3genE4ELNS1_11target_archE910ELNS1_3gpuE8ELNS1_3repE0EEENS1_30default_config_static_selectorELNS0_4arch9wavefront6targetE1EEEvT1_: ; @_ZN7rocprim17ROCPRIM_400000_NS6detail17trampoline_kernelINS0_14default_configENS1_29reduce_by_key_config_selectorIslN6thrust23THRUST_200600_302600_NS4plusIlEEEEZZNS1_33reduce_by_key_impl_wrapped_configILNS1_25lookback_scan_determinismE0ES3_S9_PsNS6_17constant_iteratorIiNS6_11use_defaultESE_EENS6_10device_ptrIsEENSG_IlEEPmS8_NS6_8equal_toIsEEEE10hipError_tPvRmT2_T3_mT4_T5_T6_T7_T8_P12ihipStream_tbENKUlT_T0_E_clISt17integral_constantIbLb0EES12_IbLb1EEEEDaSY_SZ_EUlSY_E_NS1_11comp_targetILNS1_3genE4ELNS1_11target_archE910ELNS1_3gpuE8ELNS1_3repE0EEENS1_30default_config_static_selectorELNS0_4arch9wavefront6targetE1EEEvT1_
; %bb.0:
	.section	.rodata,"a",@progbits
	.p2align	6, 0x0
	.amdhsa_kernel _ZN7rocprim17ROCPRIM_400000_NS6detail17trampoline_kernelINS0_14default_configENS1_29reduce_by_key_config_selectorIslN6thrust23THRUST_200600_302600_NS4plusIlEEEEZZNS1_33reduce_by_key_impl_wrapped_configILNS1_25lookback_scan_determinismE0ES3_S9_PsNS6_17constant_iteratorIiNS6_11use_defaultESE_EENS6_10device_ptrIsEENSG_IlEEPmS8_NS6_8equal_toIsEEEE10hipError_tPvRmT2_T3_mT4_T5_T6_T7_T8_P12ihipStream_tbENKUlT_T0_E_clISt17integral_constantIbLb0EES12_IbLb1EEEEDaSY_SZ_EUlSY_E_NS1_11comp_targetILNS1_3genE4ELNS1_11target_archE910ELNS1_3gpuE8ELNS1_3repE0EEENS1_30default_config_static_selectorELNS0_4arch9wavefront6targetE1EEEvT1_
		.amdhsa_group_segment_fixed_size 0
		.amdhsa_private_segment_fixed_size 0
		.amdhsa_kernarg_size 144
		.amdhsa_user_sgpr_count 6
		.amdhsa_user_sgpr_private_segment_buffer 1
		.amdhsa_user_sgpr_dispatch_ptr 0
		.amdhsa_user_sgpr_queue_ptr 0
		.amdhsa_user_sgpr_kernarg_segment_ptr 1
		.amdhsa_user_sgpr_dispatch_id 0
		.amdhsa_user_sgpr_flat_scratch_init 0
		.amdhsa_user_sgpr_private_segment_size 0
		.amdhsa_uses_dynamic_stack 0
		.amdhsa_system_sgpr_private_segment_wavefront_offset 0
		.amdhsa_system_sgpr_workgroup_id_x 1
		.amdhsa_system_sgpr_workgroup_id_y 0
		.amdhsa_system_sgpr_workgroup_id_z 0
		.amdhsa_system_sgpr_workgroup_info 0
		.amdhsa_system_vgpr_workitem_id 0
		.amdhsa_next_free_vgpr 1
		.amdhsa_next_free_sgpr 0
		.amdhsa_reserve_vcc 0
		.amdhsa_reserve_flat_scratch 0
		.amdhsa_float_round_mode_32 0
		.amdhsa_float_round_mode_16_64 0
		.amdhsa_float_denorm_mode_32 3
		.amdhsa_float_denorm_mode_16_64 3
		.amdhsa_dx10_clamp 1
		.amdhsa_ieee_mode 1
		.amdhsa_fp16_overflow 0
		.amdhsa_exception_fp_ieee_invalid_op 0
		.amdhsa_exception_fp_denorm_src 0
		.amdhsa_exception_fp_ieee_div_zero 0
		.amdhsa_exception_fp_ieee_overflow 0
		.amdhsa_exception_fp_ieee_underflow 0
		.amdhsa_exception_fp_ieee_inexact 0
		.amdhsa_exception_int_div_zero 0
	.end_amdhsa_kernel
	.section	.text._ZN7rocprim17ROCPRIM_400000_NS6detail17trampoline_kernelINS0_14default_configENS1_29reduce_by_key_config_selectorIslN6thrust23THRUST_200600_302600_NS4plusIlEEEEZZNS1_33reduce_by_key_impl_wrapped_configILNS1_25lookback_scan_determinismE0ES3_S9_PsNS6_17constant_iteratorIiNS6_11use_defaultESE_EENS6_10device_ptrIsEENSG_IlEEPmS8_NS6_8equal_toIsEEEE10hipError_tPvRmT2_T3_mT4_T5_T6_T7_T8_P12ihipStream_tbENKUlT_T0_E_clISt17integral_constantIbLb0EES12_IbLb1EEEEDaSY_SZ_EUlSY_E_NS1_11comp_targetILNS1_3genE4ELNS1_11target_archE910ELNS1_3gpuE8ELNS1_3repE0EEENS1_30default_config_static_selectorELNS0_4arch9wavefront6targetE1EEEvT1_,"axG",@progbits,_ZN7rocprim17ROCPRIM_400000_NS6detail17trampoline_kernelINS0_14default_configENS1_29reduce_by_key_config_selectorIslN6thrust23THRUST_200600_302600_NS4plusIlEEEEZZNS1_33reduce_by_key_impl_wrapped_configILNS1_25lookback_scan_determinismE0ES3_S9_PsNS6_17constant_iteratorIiNS6_11use_defaultESE_EENS6_10device_ptrIsEENSG_IlEEPmS8_NS6_8equal_toIsEEEE10hipError_tPvRmT2_T3_mT4_T5_T6_T7_T8_P12ihipStream_tbENKUlT_T0_E_clISt17integral_constantIbLb0EES12_IbLb1EEEEDaSY_SZ_EUlSY_E_NS1_11comp_targetILNS1_3genE4ELNS1_11target_archE910ELNS1_3gpuE8ELNS1_3repE0EEENS1_30default_config_static_selectorELNS0_4arch9wavefront6targetE1EEEvT1_,comdat
.Lfunc_end1499:
	.size	_ZN7rocprim17ROCPRIM_400000_NS6detail17trampoline_kernelINS0_14default_configENS1_29reduce_by_key_config_selectorIslN6thrust23THRUST_200600_302600_NS4plusIlEEEEZZNS1_33reduce_by_key_impl_wrapped_configILNS1_25lookback_scan_determinismE0ES3_S9_PsNS6_17constant_iteratorIiNS6_11use_defaultESE_EENS6_10device_ptrIsEENSG_IlEEPmS8_NS6_8equal_toIsEEEE10hipError_tPvRmT2_T3_mT4_T5_T6_T7_T8_P12ihipStream_tbENKUlT_T0_E_clISt17integral_constantIbLb0EES12_IbLb1EEEEDaSY_SZ_EUlSY_E_NS1_11comp_targetILNS1_3genE4ELNS1_11target_archE910ELNS1_3gpuE8ELNS1_3repE0EEENS1_30default_config_static_selectorELNS0_4arch9wavefront6targetE1EEEvT1_, .Lfunc_end1499-_ZN7rocprim17ROCPRIM_400000_NS6detail17trampoline_kernelINS0_14default_configENS1_29reduce_by_key_config_selectorIslN6thrust23THRUST_200600_302600_NS4plusIlEEEEZZNS1_33reduce_by_key_impl_wrapped_configILNS1_25lookback_scan_determinismE0ES3_S9_PsNS6_17constant_iteratorIiNS6_11use_defaultESE_EENS6_10device_ptrIsEENSG_IlEEPmS8_NS6_8equal_toIsEEEE10hipError_tPvRmT2_T3_mT4_T5_T6_T7_T8_P12ihipStream_tbENKUlT_T0_E_clISt17integral_constantIbLb0EES12_IbLb1EEEEDaSY_SZ_EUlSY_E_NS1_11comp_targetILNS1_3genE4ELNS1_11target_archE910ELNS1_3gpuE8ELNS1_3repE0EEENS1_30default_config_static_selectorELNS0_4arch9wavefront6targetE1EEEvT1_
                                        ; -- End function
	.set _ZN7rocprim17ROCPRIM_400000_NS6detail17trampoline_kernelINS0_14default_configENS1_29reduce_by_key_config_selectorIslN6thrust23THRUST_200600_302600_NS4plusIlEEEEZZNS1_33reduce_by_key_impl_wrapped_configILNS1_25lookback_scan_determinismE0ES3_S9_PsNS6_17constant_iteratorIiNS6_11use_defaultESE_EENS6_10device_ptrIsEENSG_IlEEPmS8_NS6_8equal_toIsEEEE10hipError_tPvRmT2_T3_mT4_T5_T6_T7_T8_P12ihipStream_tbENKUlT_T0_E_clISt17integral_constantIbLb0EES12_IbLb1EEEEDaSY_SZ_EUlSY_E_NS1_11comp_targetILNS1_3genE4ELNS1_11target_archE910ELNS1_3gpuE8ELNS1_3repE0EEENS1_30default_config_static_selectorELNS0_4arch9wavefront6targetE1EEEvT1_.num_vgpr, 0
	.set _ZN7rocprim17ROCPRIM_400000_NS6detail17trampoline_kernelINS0_14default_configENS1_29reduce_by_key_config_selectorIslN6thrust23THRUST_200600_302600_NS4plusIlEEEEZZNS1_33reduce_by_key_impl_wrapped_configILNS1_25lookback_scan_determinismE0ES3_S9_PsNS6_17constant_iteratorIiNS6_11use_defaultESE_EENS6_10device_ptrIsEENSG_IlEEPmS8_NS6_8equal_toIsEEEE10hipError_tPvRmT2_T3_mT4_T5_T6_T7_T8_P12ihipStream_tbENKUlT_T0_E_clISt17integral_constantIbLb0EES12_IbLb1EEEEDaSY_SZ_EUlSY_E_NS1_11comp_targetILNS1_3genE4ELNS1_11target_archE910ELNS1_3gpuE8ELNS1_3repE0EEENS1_30default_config_static_selectorELNS0_4arch9wavefront6targetE1EEEvT1_.num_agpr, 0
	.set _ZN7rocprim17ROCPRIM_400000_NS6detail17trampoline_kernelINS0_14default_configENS1_29reduce_by_key_config_selectorIslN6thrust23THRUST_200600_302600_NS4plusIlEEEEZZNS1_33reduce_by_key_impl_wrapped_configILNS1_25lookback_scan_determinismE0ES3_S9_PsNS6_17constant_iteratorIiNS6_11use_defaultESE_EENS6_10device_ptrIsEENSG_IlEEPmS8_NS6_8equal_toIsEEEE10hipError_tPvRmT2_T3_mT4_T5_T6_T7_T8_P12ihipStream_tbENKUlT_T0_E_clISt17integral_constantIbLb0EES12_IbLb1EEEEDaSY_SZ_EUlSY_E_NS1_11comp_targetILNS1_3genE4ELNS1_11target_archE910ELNS1_3gpuE8ELNS1_3repE0EEENS1_30default_config_static_selectorELNS0_4arch9wavefront6targetE1EEEvT1_.numbered_sgpr, 0
	.set _ZN7rocprim17ROCPRIM_400000_NS6detail17trampoline_kernelINS0_14default_configENS1_29reduce_by_key_config_selectorIslN6thrust23THRUST_200600_302600_NS4plusIlEEEEZZNS1_33reduce_by_key_impl_wrapped_configILNS1_25lookback_scan_determinismE0ES3_S9_PsNS6_17constant_iteratorIiNS6_11use_defaultESE_EENS6_10device_ptrIsEENSG_IlEEPmS8_NS6_8equal_toIsEEEE10hipError_tPvRmT2_T3_mT4_T5_T6_T7_T8_P12ihipStream_tbENKUlT_T0_E_clISt17integral_constantIbLb0EES12_IbLb1EEEEDaSY_SZ_EUlSY_E_NS1_11comp_targetILNS1_3genE4ELNS1_11target_archE910ELNS1_3gpuE8ELNS1_3repE0EEENS1_30default_config_static_selectorELNS0_4arch9wavefront6targetE1EEEvT1_.num_named_barrier, 0
	.set _ZN7rocprim17ROCPRIM_400000_NS6detail17trampoline_kernelINS0_14default_configENS1_29reduce_by_key_config_selectorIslN6thrust23THRUST_200600_302600_NS4plusIlEEEEZZNS1_33reduce_by_key_impl_wrapped_configILNS1_25lookback_scan_determinismE0ES3_S9_PsNS6_17constant_iteratorIiNS6_11use_defaultESE_EENS6_10device_ptrIsEENSG_IlEEPmS8_NS6_8equal_toIsEEEE10hipError_tPvRmT2_T3_mT4_T5_T6_T7_T8_P12ihipStream_tbENKUlT_T0_E_clISt17integral_constantIbLb0EES12_IbLb1EEEEDaSY_SZ_EUlSY_E_NS1_11comp_targetILNS1_3genE4ELNS1_11target_archE910ELNS1_3gpuE8ELNS1_3repE0EEENS1_30default_config_static_selectorELNS0_4arch9wavefront6targetE1EEEvT1_.private_seg_size, 0
	.set _ZN7rocprim17ROCPRIM_400000_NS6detail17trampoline_kernelINS0_14default_configENS1_29reduce_by_key_config_selectorIslN6thrust23THRUST_200600_302600_NS4plusIlEEEEZZNS1_33reduce_by_key_impl_wrapped_configILNS1_25lookback_scan_determinismE0ES3_S9_PsNS6_17constant_iteratorIiNS6_11use_defaultESE_EENS6_10device_ptrIsEENSG_IlEEPmS8_NS6_8equal_toIsEEEE10hipError_tPvRmT2_T3_mT4_T5_T6_T7_T8_P12ihipStream_tbENKUlT_T0_E_clISt17integral_constantIbLb0EES12_IbLb1EEEEDaSY_SZ_EUlSY_E_NS1_11comp_targetILNS1_3genE4ELNS1_11target_archE910ELNS1_3gpuE8ELNS1_3repE0EEENS1_30default_config_static_selectorELNS0_4arch9wavefront6targetE1EEEvT1_.uses_vcc, 0
	.set _ZN7rocprim17ROCPRIM_400000_NS6detail17trampoline_kernelINS0_14default_configENS1_29reduce_by_key_config_selectorIslN6thrust23THRUST_200600_302600_NS4plusIlEEEEZZNS1_33reduce_by_key_impl_wrapped_configILNS1_25lookback_scan_determinismE0ES3_S9_PsNS6_17constant_iteratorIiNS6_11use_defaultESE_EENS6_10device_ptrIsEENSG_IlEEPmS8_NS6_8equal_toIsEEEE10hipError_tPvRmT2_T3_mT4_T5_T6_T7_T8_P12ihipStream_tbENKUlT_T0_E_clISt17integral_constantIbLb0EES12_IbLb1EEEEDaSY_SZ_EUlSY_E_NS1_11comp_targetILNS1_3genE4ELNS1_11target_archE910ELNS1_3gpuE8ELNS1_3repE0EEENS1_30default_config_static_selectorELNS0_4arch9wavefront6targetE1EEEvT1_.uses_flat_scratch, 0
	.set _ZN7rocprim17ROCPRIM_400000_NS6detail17trampoline_kernelINS0_14default_configENS1_29reduce_by_key_config_selectorIslN6thrust23THRUST_200600_302600_NS4plusIlEEEEZZNS1_33reduce_by_key_impl_wrapped_configILNS1_25lookback_scan_determinismE0ES3_S9_PsNS6_17constant_iteratorIiNS6_11use_defaultESE_EENS6_10device_ptrIsEENSG_IlEEPmS8_NS6_8equal_toIsEEEE10hipError_tPvRmT2_T3_mT4_T5_T6_T7_T8_P12ihipStream_tbENKUlT_T0_E_clISt17integral_constantIbLb0EES12_IbLb1EEEEDaSY_SZ_EUlSY_E_NS1_11comp_targetILNS1_3genE4ELNS1_11target_archE910ELNS1_3gpuE8ELNS1_3repE0EEENS1_30default_config_static_selectorELNS0_4arch9wavefront6targetE1EEEvT1_.has_dyn_sized_stack, 0
	.set _ZN7rocprim17ROCPRIM_400000_NS6detail17trampoline_kernelINS0_14default_configENS1_29reduce_by_key_config_selectorIslN6thrust23THRUST_200600_302600_NS4plusIlEEEEZZNS1_33reduce_by_key_impl_wrapped_configILNS1_25lookback_scan_determinismE0ES3_S9_PsNS6_17constant_iteratorIiNS6_11use_defaultESE_EENS6_10device_ptrIsEENSG_IlEEPmS8_NS6_8equal_toIsEEEE10hipError_tPvRmT2_T3_mT4_T5_T6_T7_T8_P12ihipStream_tbENKUlT_T0_E_clISt17integral_constantIbLb0EES12_IbLb1EEEEDaSY_SZ_EUlSY_E_NS1_11comp_targetILNS1_3genE4ELNS1_11target_archE910ELNS1_3gpuE8ELNS1_3repE0EEENS1_30default_config_static_selectorELNS0_4arch9wavefront6targetE1EEEvT1_.has_recursion, 0
	.set _ZN7rocprim17ROCPRIM_400000_NS6detail17trampoline_kernelINS0_14default_configENS1_29reduce_by_key_config_selectorIslN6thrust23THRUST_200600_302600_NS4plusIlEEEEZZNS1_33reduce_by_key_impl_wrapped_configILNS1_25lookback_scan_determinismE0ES3_S9_PsNS6_17constant_iteratorIiNS6_11use_defaultESE_EENS6_10device_ptrIsEENSG_IlEEPmS8_NS6_8equal_toIsEEEE10hipError_tPvRmT2_T3_mT4_T5_T6_T7_T8_P12ihipStream_tbENKUlT_T0_E_clISt17integral_constantIbLb0EES12_IbLb1EEEEDaSY_SZ_EUlSY_E_NS1_11comp_targetILNS1_3genE4ELNS1_11target_archE910ELNS1_3gpuE8ELNS1_3repE0EEENS1_30default_config_static_selectorELNS0_4arch9wavefront6targetE1EEEvT1_.has_indirect_call, 0
	.section	.AMDGPU.csdata,"",@progbits
; Kernel info:
; codeLenInByte = 0
; TotalNumSgprs: 4
; NumVgprs: 0
; ScratchSize: 0
; MemoryBound: 0
; FloatMode: 240
; IeeeMode: 1
; LDSByteSize: 0 bytes/workgroup (compile time only)
; SGPRBlocks: 0
; VGPRBlocks: 0
; NumSGPRsForWavesPerEU: 4
; NumVGPRsForWavesPerEU: 1
; Occupancy: 10
; WaveLimiterHint : 0
; COMPUTE_PGM_RSRC2:SCRATCH_EN: 0
; COMPUTE_PGM_RSRC2:USER_SGPR: 6
; COMPUTE_PGM_RSRC2:TRAP_HANDLER: 0
; COMPUTE_PGM_RSRC2:TGID_X_EN: 1
; COMPUTE_PGM_RSRC2:TGID_Y_EN: 0
; COMPUTE_PGM_RSRC2:TGID_Z_EN: 0
; COMPUTE_PGM_RSRC2:TIDIG_COMP_CNT: 0
	.section	.text._ZN7rocprim17ROCPRIM_400000_NS6detail17trampoline_kernelINS0_14default_configENS1_29reduce_by_key_config_selectorIslN6thrust23THRUST_200600_302600_NS4plusIlEEEEZZNS1_33reduce_by_key_impl_wrapped_configILNS1_25lookback_scan_determinismE0ES3_S9_PsNS6_17constant_iteratorIiNS6_11use_defaultESE_EENS6_10device_ptrIsEENSG_IlEEPmS8_NS6_8equal_toIsEEEE10hipError_tPvRmT2_T3_mT4_T5_T6_T7_T8_P12ihipStream_tbENKUlT_T0_E_clISt17integral_constantIbLb0EES12_IbLb1EEEEDaSY_SZ_EUlSY_E_NS1_11comp_targetILNS1_3genE3ELNS1_11target_archE908ELNS1_3gpuE7ELNS1_3repE0EEENS1_30default_config_static_selectorELNS0_4arch9wavefront6targetE1EEEvT1_,"axG",@progbits,_ZN7rocprim17ROCPRIM_400000_NS6detail17trampoline_kernelINS0_14default_configENS1_29reduce_by_key_config_selectorIslN6thrust23THRUST_200600_302600_NS4plusIlEEEEZZNS1_33reduce_by_key_impl_wrapped_configILNS1_25lookback_scan_determinismE0ES3_S9_PsNS6_17constant_iteratorIiNS6_11use_defaultESE_EENS6_10device_ptrIsEENSG_IlEEPmS8_NS6_8equal_toIsEEEE10hipError_tPvRmT2_T3_mT4_T5_T6_T7_T8_P12ihipStream_tbENKUlT_T0_E_clISt17integral_constantIbLb0EES12_IbLb1EEEEDaSY_SZ_EUlSY_E_NS1_11comp_targetILNS1_3genE3ELNS1_11target_archE908ELNS1_3gpuE7ELNS1_3repE0EEENS1_30default_config_static_selectorELNS0_4arch9wavefront6targetE1EEEvT1_,comdat
	.protected	_ZN7rocprim17ROCPRIM_400000_NS6detail17trampoline_kernelINS0_14default_configENS1_29reduce_by_key_config_selectorIslN6thrust23THRUST_200600_302600_NS4plusIlEEEEZZNS1_33reduce_by_key_impl_wrapped_configILNS1_25lookback_scan_determinismE0ES3_S9_PsNS6_17constant_iteratorIiNS6_11use_defaultESE_EENS6_10device_ptrIsEENSG_IlEEPmS8_NS6_8equal_toIsEEEE10hipError_tPvRmT2_T3_mT4_T5_T6_T7_T8_P12ihipStream_tbENKUlT_T0_E_clISt17integral_constantIbLb0EES12_IbLb1EEEEDaSY_SZ_EUlSY_E_NS1_11comp_targetILNS1_3genE3ELNS1_11target_archE908ELNS1_3gpuE7ELNS1_3repE0EEENS1_30default_config_static_selectorELNS0_4arch9wavefront6targetE1EEEvT1_ ; -- Begin function _ZN7rocprim17ROCPRIM_400000_NS6detail17trampoline_kernelINS0_14default_configENS1_29reduce_by_key_config_selectorIslN6thrust23THRUST_200600_302600_NS4plusIlEEEEZZNS1_33reduce_by_key_impl_wrapped_configILNS1_25lookback_scan_determinismE0ES3_S9_PsNS6_17constant_iteratorIiNS6_11use_defaultESE_EENS6_10device_ptrIsEENSG_IlEEPmS8_NS6_8equal_toIsEEEE10hipError_tPvRmT2_T3_mT4_T5_T6_T7_T8_P12ihipStream_tbENKUlT_T0_E_clISt17integral_constantIbLb0EES12_IbLb1EEEEDaSY_SZ_EUlSY_E_NS1_11comp_targetILNS1_3genE3ELNS1_11target_archE908ELNS1_3gpuE7ELNS1_3repE0EEENS1_30default_config_static_selectorELNS0_4arch9wavefront6targetE1EEEvT1_
	.globl	_ZN7rocprim17ROCPRIM_400000_NS6detail17trampoline_kernelINS0_14default_configENS1_29reduce_by_key_config_selectorIslN6thrust23THRUST_200600_302600_NS4plusIlEEEEZZNS1_33reduce_by_key_impl_wrapped_configILNS1_25lookback_scan_determinismE0ES3_S9_PsNS6_17constant_iteratorIiNS6_11use_defaultESE_EENS6_10device_ptrIsEENSG_IlEEPmS8_NS6_8equal_toIsEEEE10hipError_tPvRmT2_T3_mT4_T5_T6_T7_T8_P12ihipStream_tbENKUlT_T0_E_clISt17integral_constantIbLb0EES12_IbLb1EEEEDaSY_SZ_EUlSY_E_NS1_11comp_targetILNS1_3genE3ELNS1_11target_archE908ELNS1_3gpuE7ELNS1_3repE0EEENS1_30default_config_static_selectorELNS0_4arch9wavefront6targetE1EEEvT1_
	.p2align	8
	.type	_ZN7rocprim17ROCPRIM_400000_NS6detail17trampoline_kernelINS0_14default_configENS1_29reduce_by_key_config_selectorIslN6thrust23THRUST_200600_302600_NS4plusIlEEEEZZNS1_33reduce_by_key_impl_wrapped_configILNS1_25lookback_scan_determinismE0ES3_S9_PsNS6_17constant_iteratorIiNS6_11use_defaultESE_EENS6_10device_ptrIsEENSG_IlEEPmS8_NS6_8equal_toIsEEEE10hipError_tPvRmT2_T3_mT4_T5_T6_T7_T8_P12ihipStream_tbENKUlT_T0_E_clISt17integral_constantIbLb0EES12_IbLb1EEEEDaSY_SZ_EUlSY_E_NS1_11comp_targetILNS1_3genE3ELNS1_11target_archE908ELNS1_3gpuE7ELNS1_3repE0EEENS1_30default_config_static_selectorELNS0_4arch9wavefront6targetE1EEEvT1_,@function
_ZN7rocprim17ROCPRIM_400000_NS6detail17trampoline_kernelINS0_14default_configENS1_29reduce_by_key_config_selectorIslN6thrust23THRUST_200600_302600_NS4plusIlEEEEZZNS1_33reduce_by_key_impl_wrapped_configILNS1_25lookback_scan_determinismE0ES3_S9_PsNS6_17constant_iteratorIiNS6_11use_defaultESE_EENS6_10device_ptrIsEENSG_IlEEPmS8_NS6_8equal_toIsEEEE10hipError_tPvRmT2_T3_mT4_T5_T6_T7_T8_P12ihipStream_tbENKUlT_T0_E_clISt17integral_constantIbLb0EES12_IbLb1EEEEDaSY_SZ_EUlSY_E_NS1_11comp_targetILNS1_3genE3ELNS1_11target_archE908ELNS1_3gpuE7ELNS1_3repE0EEENS1_30default_config_static_selectorELNS0_4arch9wavefront6targetE1EEEvT1_: ; @_ZN7rocprim17ROCPRIM_400000_NS6detail17trampoline_kernelINS0_14default_configENS1_29reduce_by_key_config_selectorIslN6thrust23THRUST_200600_302600_NS4plusIlEEEEZZNS1_33reduce_by_key_impl_wrapped_configILNS1_25lookback_scan_determinismE0ES3_S9_PsNS6_17constant_iteratorIiNS6_11use_defaultESE_EENS6_10device_ptrIsEENSG_IlEEPmS8_NS6_8equal_toIsEEEE10hipError_tPvRmT2_T3_mT4_T5_T6_T7_T8_P12ihipStream_tbENKUlT_T0_E_clISt17integral_constantIbLb0EES12_IbLb1EEEEDaSY_SZ_EUlSY_E_NS1_11comp_targetILNS1_3genE3ELNS1_11target_archE908ELNS1_3gpuE7ELNS1_3repE0EEENS1_30default_config_static_selectorELNS0_4arch9wavefront6targetE1EEEvT1_
; %bb.0:
	.section	.rodata,"a",@progbits
	.p2align	6, 0x0
	.amdhsa_kernel _ZN7rocprim17ROCPRIM_400000_NS6detail17trampoline_kernelINS0_14default_configENS1_29reduce_by_key_config_selectorIslN6thrust23THRUST_200600_302600_NS4plusIlEEEEZZNS1_33reduce_by_key_impl_wrapped_configILNS1_25lookback_scan_determinismE0ES3_S9_PsNS6_17constant_iteratorIiNS6_11use_defaultESE_EENS6_10device_ptrIsEENSG_IlEEPmS8_NS6_8equal_toIsEEEE10hipError_tPvRmT2_T3_mT4_T5_T6_T7_T8_P12ihipStream_tbENKUlT_T0_E_clISt17integral_constantIbLb0EES12_IbLb1EEEEDaSY_SZ_EUlSY_E_NS1_11comp_targetILNS1_3genE3ELNS1_11target_archE908ELNS1_3gpuE7ELNS1_3repE0EEENS1_30default_config_static_selectorELNS0_4arch9wavefront6targetE1EEEvT1_
		.amdhsa_group_segment_fixed_size 0
		.amdhsa_private_segment_fixed_size 0
		.amdhsa_kernarg_size 144
		.amdhsa_user_sgpr_count 6
		.amdhsa_user_sgpr_private_segment_buffer 1
		.amdhsa_user_sgpr_dispatch_ptr 0
		.amdhsa_user_sgpr_queue_ptr 0
		.amdhsa_user_sgpr_kernarg_segment_ptr 1
		.amdhsa_user_sgpr_dispatch_id 0
		.amdhsa_user_sgpr_flat_scratch_init 0
		.amdhsa_user_sgpr_private_segment_size 0
		.amdhsa_uses_dynamic_stack 0
		.amdhsa_system_sgpr_private_segment_wavefront_offset 0
		.amdhsa_system_sgpr_workgroup_id_x 1
		.amdhsa_system_sgpr_workgroup_id_y 0
		.amdhsa_system_sgpr_workgroup_id_z 0
		.amdhsa_system_sgpr_workgroup_info 0
		.amdhsa_system_vgpr_workitem_id 0
		.amdhsa_next_free_vgpr 1
		.amdhsa_next_free_sgpr 0
		.amdhsa_reserve_vcc 0
		.amdhsa_reserve_flat_scratch 0
		.amdhsa_float_round_mode_32 0
		.amdhsa_float_round_mode_16_64 0
		.amdhsa_float_denorm_mode_32 3
		.amdhsa_float_denorm_mode_16_64 3
		.amdhsa_dx10_clamp 1
		.amdhsa_ieee_mode 1
		.amdhsa_fp16_overflow 0
		.amdhsa_exception_fp_ieee_invalid_op 0
		.amdhsa_exception_fp_denorm_src 0
		.amdhsa_exception_fp_ieee_div_zero 0
		.amdhsa_exception_fp_ieee_overflow 0
		.amdhsa_exception_fp_ieee_underflow 0
		.amdhsa_exception_fp_ieee_inexact 0
		.amdhsa_exception_int_div_zero 0
	.end_amdhsa_kernel
	.section	.text._ZN7rocprim17ROCPRIM_400000_NS6detail17trampoline_kernelINS0_14default_configENS1_29reduce_by_key_config_selectorIslN6thrust23THRUST_200600_302600_NS4plusIlEEEEZZNS1_33reduce_by_key_impl_wrapped_configILNS1_25lookback_scan_determinismE0ES3_S9_PsNS6_17constant_iteratorIiNS6_11use_defaultESE_EENS6_10device_ptrIsEENSG_IlEEPmS8_NS6_8equal_toIsEEEE10hipError_tPvRmT2_T3_mT4_T5_T6_T7_T8_P12ihipStream_tbENKUlT_T0_E_clISt17integral_constantIbLb0EES12_IbLb1EEEEDaSY_SZ_EUlSY_E_NS1_11comp_targetILNS1_3genE3ELNS1_11target_archE908ELNS1_3gpuE7ELNS1_3repE0EEENS1_30default_config_static_selectorELNS0_4arch9wavefront6targetE1EEEvT1_,"axG",@progbits,_ZN7rocprim17ROCPRIM_400000_NS6detail17trampoline_kernelINS0_14default_configENS1_29reduce_by_key_config_selectorIslN6thrust23THRUST_200600_302600_NS4plusIlEEEEZZNS1_33reduce_by_key_impl_wrapped_configILNS1_25lookback_scan_determinismE0ES3_S9_PsNS6_17constant_iteratorIiNS6_11use_defaultESE_EENS6_10device_ptrIsEENSG_IlEEPmS8_NS6_8equal_toIsEEEE10hipError_tPvRmT2_T3_mT4_T5_T6_T7_T8_P12ihipStream_tbENKUlT_T0_E_clISt17integral_constantIbLb0EES12_IbLb1EEEEDaSY_SZ_EUlSY_E_NS1_11comp_targetILNS1_3genE3ELNS1_11target_archE908ELNS1_3gpuE7ELNS1_3repE0EEENS1_30default_config_static_selectorELNS0_4arch9wavefront6targetE1EEEvT1_,comdat
.Lfunc_end1500:
	.size	_ZN7rocprim17ROCPRIM_400000_NS6detail17trampoline_kernelINS0_14default_configENS1_29reduce_by_key_config_selectorIslN6thrust23THRUST_200600_302600_NS4plusIlEEEEZZNS1_33reduce_by_key_impl_wrapped_configILNS1_25lookback_scan_determinismE0ES3_S9_PsNS6_17constant_iteratorIiNS6_11use_defaultESE_EENS6_10device_ptrIsEENSG_IlEEPmS8_NS6_8equal_toIsEEEE10hipError_tPvRmT2_T3_mT4_T5_T6_T7_T8_P12ihipStream_tbENKUlT_T0_E_clISt17integral_constantIbLb0EES12_IbLb1EEEEDaSY_SZ_EUlSY_E_NS1_11comp_targetILNS1_3genE3ELNS1_11target_archE908ELNS1_3gpuE7ELNS1_3repE0EEENS1_30default_config_static_selectorELNS0_4arch9wavefront6targetE1EEEvT1_, .Lfunc_end1500-_ZN7rocprim17ROCPRIM_400000_NS6detail17trampoline_kernelINS0_14default_configENS1_29reduce_by_key_config_selectorIslN6thrust23THRUST_200600_302600_NS4plusIlEEEEZZNS1_33reduce_by_key_impl_wrapped_configILNS1_25lookback_scan_determinismE0ES3_S9_PsNS6_17constant_iteratorIiNS6_11use_defaultESE_EENS6_10device_ptrIsEENSG_IlEEPmS8_NS6_8equal_toIsEEEE10hipError_tPvRmT2_T3_mT4_T5_T6_T7_T8_P12ihipStream_tbENKUlT_T0_E_clISt17integral_constantIbLb0EES12_IbLb1EEEEDaSY_SZ_EUlSY_E_NS1_11comp_targetILNS1_3genE3ELNS1_11target_archE908ELNS1_3gpuE7ELNS1_3repE0EEENS1_30default_config_static_selectorELNS0_4arch9wavefront6targetE1EEEvT1_
                                        ; -- End function
	.set _ZN7rocprim17ROCPRIM_400000_NS6detail17trampoline_kernelINS0_14default_configENS1_29reduce_by_key_config_selectorIslN6thrust23THRUST_200600_302600_NS4plusIlEEEEZZNS1_33reduce_by_key_impl_wrapped_configILNS1_25lookback_scan_determinismE0ES3_S9_PsNS6_17constant_iteratorIiNS6_11use_defaultESE_EENS6_10device_ptrIsEENSG_IlEEPmS8_NS6_8equal_toIsEEEE10hipError_tPvRmT2_T3_mT4_T5_T6_T7_T8_P12ihipStream_tbENKUlT_T0_E_clISt17integral_constantIbLb0EES12_IbLb1EEEEDaSY_SZ_EUlSY_E_NS1_11comp_targetILNS1_3genE3ELNS1_11target_archE908ELNS1_3gpuE7ELNS1_3repE0EEENS1_30default_config_static_selectorELNS0_4arch9wavefront6targetE1EEEvT1_.num_vgpr, 0
	.set _ZN7rocprim17ROCPRIM_400000_NS6detail17trampoline_kernelINS0_14default_configENS1_29reduce_by_key_config_selectorIslN6thrust23THRUST_200600_302600_NS4plusIlEEEEZZNS1_33reduce_by_key_impl_wrapped_configILNS1_25lookback_scan_determinismE0ES3_S9_PsNS6_17constant_iteratorIiNS6_11use_defaultESE_EENS6_10device_ptrIsEENSG_IlEEPmS8_NS6_8equal_toIsEEEE10hipError_tPvRmT2_T3_mT4_T5_T6_T7_T8_P12ihipStream_tbENKUlT_T0_E_clISt17integral_constantIbLb0EES12_IbLb1EEEEDaSY_SZ_EUlSY_E_NS1_11comp_targetILNS1_3genE3ELNS1_11target_archE908ELNS1_3gpuE7ELNS1_3repE0EEENS1_30default_config_static_selectorELNS0_4arch9wavefront6targetE1EEEvT1_.num_agpr, 0
	.set _ZN7rocprim17ROCPRIM_400000_NS6detail17trampoline_kernelINS0_14default_configENS1_29reduce_by_key_config_selectorIslN6thrust23THRUST_200600_302600_NS4plusIlEEEEZZNS1_33reduce_by_key_impl_wrapped_configILNS1_25lookback_scan_determinismE0ES3_S9_PsNS6_17constant_iteratorIiNS6_11use_defaultESE_EENS6_10device_ptrIsEENSG_IlEEPmS8_NS6_8equal_toIsEEEE10hipError_tPvRmT2_T3_mT4_T5_T6_T7_T8_P12ihipStream_tbENKUlT_T0_E_clISt17integral_constantIbLb0EES12_IbLb1EEEEDaSY_SZ_EUlSY_E_NS1_11comp_targetILNS1_3genE3ELNS1_11target_archE908ELNS1_3gpuE7ELNS1_3repE0EEENS1_30default_config_static_selectorELNS0_4arch9wavefront6targetE1EEEvT1_.numbered_sgpr, 0
	.set _ZN7rocprim17ROCPRIM_400000_NS6detail17trampoline_kernelINS0_14default_configENS1_29reduce_by_key_config_selectorIslN6thrust23THRUST_200600_302600_NS4plusIlEEEEZZNS1_33reduce_by_key_impl_wrapped_configILNS1_25lookback_scan_determinismE0ES3_S9_PsNS6_17constant_iteratorIiNS6_11use_defaultESE_EENS6_10device_ptrIsEENSG_IlEEPmS8_NS6_8equal_toIsEEEE10hipError_tPvRmT2_T3_mT4_T5_T6_T7_T8_P12ihipStream_tbENKUlT_T0_E_clISt17integral_constantIbLb0EES12_IbLb1EEEEDaSY_SZ_EUlSY_E_NS1_11comp_targetILNS1_3genE3ELNS1_11target_archE908ELNS1_3gpuE7ELNS1_3repE0EEENS1_30default_config_static_selectorELNS0_4arch9wavefront6targetE1EEEvT1_.num_named_barrier, 0
	.set _ZN7rocprim17ROCPRIM_400000_NS6detail17trampoline_kernelINS0_14default_configENS1_29reduce_by_key_config_selectorIslN6thrust23THRUST_200600_302600_NS4plusIlEEEEZZNS1_33reduce_by_key_impl_wrapped_configILNS1_25lookback_scan_determinismE0ES3_S9_PsNS6_17constant_iteratorIiNS6_11use_defaultESE_EENS6_10device_ptrIsEENSG_IlEEPmS8_NS6_8equal_toIsEEEE10hipError_tPvRmT2_T3_mT4_T5_T6_T7_T8_P12ihipStream_tbENKUlT_T0_E_clISt17integral_constantIbLb0EES12_IbLb1EEEEDaSY_SZ_EUlSY_E_NS1_11comp_targetILNS1_3genE3ELNS1_11target_archE908ELNS1_3gpuE7ELNS1_3repE0EEENS1_30default_config_static_selectorELNS0_4arch9wavefront6targetE1EEEvT1_.private_seg_size, 0
	.set _ZN7rocprim17ROCPRIM_400000_NS6detail17trampoline_kernelINS0_14default_configENS1_29reduce_by_key_config_selectorIslN6thrust23THRUST_200600_302600_NS4plusIlEEEEZZNS1_33reduce_by_key_impl_wrapped_configILNS1_25lookback_scan_determinismE0ES3_S9_PsNS6_17constant_iteratorIiNS6_11use_defaultESE_EENS6_10device_ptrIsEENSG_IlEEPmS8_NS6_8equal_toIsEEEE10hipError_tPvRmT2_T3_mT4_T5_T6_T7_T8_P12ihipStream_tbENKUlT_T0_E_clISt17integral_constantIbLb0EES12_IbLb1EEEEDaSY_SZ_EUlSY_E_NS1_11comp_targetILNS1_3genE3ELNS1_11target_archE908ELNS1_3gpuE7ELNS1_3repE0EEENS1_30default_config_static_selectorELNS0_4arch9wavefront6targetE1EEEvT1_.uses_vcc, 0
	.set _ZN7rocprim17ROCPRIM_400000_NS6detail17trampoline_kernelINS0_14default_configENS1_29reduce_by_key_config_selectorIslN6thrust23THRUST_200600_302600_NS4plusIlEEEEZZNS1_33reduce_by_key_impl_wrapped_configILNS1_25lookback_scan_determinismE0ES3_S9_PsNS6_17constant_iteratorIiNS6_11use_defaultESE_EENS6_10device_ptrIsEENSG_IlEEPmS8_NS6_8equal_toIsEEEE10hipError_tPvRmT2_T3_mT4_T5_T6_T7_T8_P12ihipStream_tbENKUlT_T0_E_clISt17integral_constantIbLb0EES12_IbLb1EEEEDaSY_SZ_EUlSY_E_NS1_11comp_targetILNS1_3genE3ELNS1_11target_archE908ELNS1_3gpuE7ELNS1_3repE0EEENS1_30default_config_static_selectorELNS0_4arch9wavefront6targetE1EEEvT1_.uses_flat_scratch, 0
	.set _ZN7rocprim17ROCPRIM_400000_NS6detail17trampoline_kernelINS0_14default_configENS1_29reduce_by_key_config_selectorIslN6thrust23THRUST_200600_302600_NS4plusIlEEEEZZNS1_33reduce_by_key_impl_wrapped_configILNS1_25lookback_scan_determinismE0ES3_S9_PsNS6_17constant_iteratorIiNS6_11use_defaultESE_EENS6_10device_ptrIsEENSG_IlEEPmS8_NS6_8equal_toIsEEEE10hipError_tPvRmT2_T3_mT4_T5_T6_T7_T8_P12ihipStream_tbENKUlT_T0_E_clISt17integral_constantIbLb0EES12_IbLb1EEEEDaSY_SZ_EUlSY_E_NS1_11comp_targetILNS1_3genE3ELNS1_11target_archE908ELNS1_3gpuE7ELNS1_3repE0EEENS1_30default_config_static_selectorELNS0_4arch9wavefront6targetE1EEEvT1_.has_dyn_sized_stack, 0
	.set _ZN7rocprim17ROCPRIM_400000_NS6detail17trampoline_kernelINS0_14default_configENS1_29reduce_by_key_config_selectorIslN6thrust23THRUST_200600_302600_NS4plusIlEEEEZZNS1_33reduce_by_key_impl_wrapped_configILNS1_25lookback_scan_determinismE0ES3_S9_PsNS6_17constant_iteratorIiNS6_11use_defaultESE_EENS6_10device_ptrIsEENSG_IlEEPmS8_NS6_8equal_toIsEEEE10hipError_tPvRmT2_T3_mT4_T5_T6_T7_T8_P12ihipStream_tbENKUlT_T0_E_clISt17integral_constantIbLb0EES12_IbLb1EEEEDaSY_SZ_EUlSY_E_NS1_11comp_targetILNS1_3genE3ELNS1_11target_archE908ELNS1_3gpuE7ELNS1_3repE0EEENS1_30default_config_static_selectorELNS0_4arch9wavefront6targetE1EEEvT1_.has_recursion, 0
	.set _ZN7rocprim17ROCPRIM_400000_NS6detail17trampoline_kernelINS0_14default_configENS1_29reduce_by_key_config_selectorIslN6thrust23THRUST_200600_302600_NS4plusIlEEEEZZNS1_33reduce_by_key_impl_wrapped_configILNS1_25lookback_scan_determinismE0ES3_S9_PsNS6_17constant_iteratorIiNS6_11use_defaultESE_EENS6_10device_ptrIsEENSG_IlEEPmS8_NS6_8equal_toIsEEEE10hipError_tPvRmT2_T3_mT4_T5_T6_T7_T8_P12ihipStream_tbENKUlT_T0_E_clISt17integral_constantIbLb0EES12_IbLb1EEEEDaSY_SZ_EUlSY_E_NS1_11comp_targetILNS1_3genE3ELNS1_11target_archE908ELNS1_3gpuE7ELNS1_3repE0EEENS1_30default_config_static_selectorELNS0_4arch9wavefront6targetE1EEEvT1_.has_indirect_call, 0
	.section	.AMDGPU.csdata,"",@progbits
; Kernel info:
; codeLenInByte = 0
; TotalNumSgprs: 4
; NumVgprs: 0
; ScratchSize: 0
; MemoryBound: 0
; FloatMode: 240
; IeeeMode: 1
; LDSByteSize: 0 bytes/workgroup (compile time only)
; SGPRBlocks: 0
; VGPRBlocks: 0
; NumSGPRsForWavesPerEU: 4
; NumVGPRsForWavesPerEU: 1
; Occupancy: 10
; WaveLimiterHint : 0
; COMPUTE_PGM_RSRC2:SCRATCH_EN: 0
; COMPUTE_PGM_RSRC2:USER_SGPR: 6
; COMPUTE_PGM_RSRC2:TRAP_HANDLER: 0
; COMPUTE_PGM_RSRC2:TGID_X_EN: 1
; COMPUTE_PGM_RSRC2:TGID_Y_EN: 0
; COMPUTE_PGM_RSRC2:TGID_Z_EN: 0
; COMPUTE_PGM_RSRC2:TIDIG_COMP_CNT: 0
	.section	.text._ZN7rocprim17ROCPRIM_400000_NS6detail17trampoline_kernelINS0_14default_configENS1_29reduce_by_key_config_selectorIslN6thrust23THRUST_200600_302600_NS4plusIlEEEEZZNS1_33reduce_by_key_impl_wrapped_configILNS1_25lookback_scan_determinismE0ES3_S9_PsNS6_17constant_iteratorIiNS6_11use_defaultESE_EENS6_10device_ptrIsEENSG_IlEEPmS8_NS6_8equal_toIsEEEE10hipError_tPvRmT2_T3_mT4_T5_T6_T7_T8_P12ihipStream_tbENKUlT_T0_E_clISt17integral_constantIbLb0EES12_IbLb1EEEEDaSY_SZ_EUlSY_E_NS1_11comp_targetILNS1_3genE2ELNS1_11target_archE906ELNS1_3gpuE6ELNS1_3repE0EEENS1_30default_config_static_selectorELNS0_4arch9wavefront6targetE1EEEvT1_,"axG",@progbits,_ZN7rocprim17ROCPRIM_400000_NS6detail17trampoline_kernelINS0_14default_configENS1_29reduce_by_key_config_selectorIslN6thrust23THRUST_200600_302600_NS4plusIlEEEEZZNS1_33reduce_by_key_impl_wrapped_configILNS1_25lookback_scan_determinismE0ES3_S9_PsNS6_17constant_iteratorIiNS6_11use_defaultESE_EENS6_10device_ptrIsEENSG_IlEEPmS8_NS6_8equal_toIsEEEE10hipError_tPvRmT2_T3_mT4_T5_T6_T7_T8_P12ihipStream_tbENKUlT_T0_E_clISt17integral_constantIbLb0EES12_IbLb1EEEEDaSY_SZ_EUlSY_E_NS1_11comp_targetILNS1_3genE2ELNS1_11target_archE906ELNS1_3gpuE6ELNS1_3repE0EEENS1_30default_config_static_selectorELNS0_4arch9wavefront6targetE1EEEvT1_,comdat
	.protected	_ZN7rocprim17ROCPRIM_400000_NS6detail17trampoline_kernelINS0_14default_configENS1_29reduce_by_key_config_selectorIslN6thrust23THRUST_200600_302600_NS4plusIlEEEEZZNS1_33reduce_by_key_impl_wrapped_configILNS1_25lookback_scan_determinismE0ES3_S9_PsNS6_17constant_iteratorIiNS6_11use_defaultESE_EENS6_10device_ptrIsEENSG_IlEEPmS8_NS6_8equal_toIsEEEE10hipError_tPvRmT2_T3_mT4_T5_T6_T7_T8_P12ihipStream_tbENKUlT_T0_E_clISt17integral_constantIbLb0EES12_IbLb1EEEEDaSY_SZ_EUlSY_E_NS1_11comp_targetILNS1_3genE2ELNS1_11target_archE906ELNS1_3gpuE6ELNS1_3repE0EEENS1_30default_config_static_selectorELNS0_4arch9wavefront6targetE1EEEvT1_ ; -- Begin function _ZN7rocprim17ROCPRIM_400000_NS6detail17trampoline_kernelINS0_14default_configENS1_29reduce_by_key_config_selectorIslN6thrust23THRUST_200600_302600_NS4plusIlEEEEZZNS1_33reduce_by_key_impl_wrapped_configILNS1_25lookback_scan_determinismE0ES3_S9_PsNS6_17constant_iteratorIiNS6_11use_defaultESE_EENS6_10device_ptrIsEENSG_IlEEPmS8_NS6_8equal_toIsEEEE10hipError_tPvRmT2_T3_mT4_T5_T6_T7_T8_P12ihipStream_tbENKUlT_T0_E_clISt17integral_constantIbLb0EES12_IbLb1EEEEDaSY_SZ_EUlSY_E_NS1_11comp_targetILNS1_3genE2ELNS1_11target_archE906ELNS1_3gpuE6ELNS1_3repE0EEENS1_30default_config_static_selectorELNS0_4arch9wavefront6targetE1EEEvT1_
	.globl	_ZN7rocprim17ROCPRIM_400000_NS6detail17trampoline_kernelINS0_14default_configENS1_29reduce_by_key_config_selectorIslN6thrust23THRUST_200600_302600_NS4plusIlEEEEZZNS1_33reduce_by_key_impl_wrapped_configILNS1_25lookback_scan_determinismE0ES3_S9_PsNS6_17constant_iteratorIiNS6_11use_defaultESE_EENS6_10device_ptrIsEENSG_IlEEPmS8_NS6_8equal_toIsEEEE10hipError_tPvRmT2_T3_mT4_T5_T6_T7_T8_P12ihipStream_tbENKUlT_T0_E_clISt17integral_constantIbLb0EES12_IbLb1EEEEDaSY_SZ_EUlSY_E_NS1_11comp_targetILNS1_3genE2ELNS1_11target_archE906ELNS1_3gpuE6ELNS1_3repE0EEENS1_30default_config_static_selectorELNS0_4arch9wavefront6targetE1EEEvT1_
	.p2align	8
	.type	_ZN7rocprim17ROCPRIM_400000_NS6detail17trampoline_kernelINS0_14default_configENS1_29reduce_by_key_config_selectorIslN6thrust23THRUST_200600_302600_NS4plusIlEEEEZZNS1_33reduce_by_key_impl_wrapped_configILNS1_25lookback_scan_determinismE0ES3_S9_PsNS6_17constant_iteratorIiNS6_11use_defaultESE_EENS6_10device_ptrIsEENSG_IlEEPmS8_NS6_8equal_toIsEEEE10hipError_tPvRmT2_T3_mT4_T5_T6_T7_T8_P12ihipStream_tbENKUlT_T0_E_clISt17integral_constantIbLb0EES12_IbLb1EEEEDaSY_SZ_EUlSY_E_NS1_11comp_targetILNS1_3genE2ELNS1_11target_archE906ELNS1_3gpuE6ELNS1_3repE0EEENS1_30default_config_static_selectorELNS0_4arch9wavefront6targetE1EEEvT1_,@function
_ZN7rocprim17ROCPRIM_400000_NS6detail17trampoline_kernelINS0_14default_configENS1_29reduce_by_key_config_selectorIslN6thrust23THRUST_200600_302600_NS4plusIlEEEEZZNS1_33reduce_by_key_impl_wrapped_configILNS1_25lookback_scan_determinismE0ES3_S9_PsNS6_17constant_iteratorIiNS6_11use_defaultESE_EENS6_10device_ptrIsEENSG_IlEEPmS8_NS6_8equal_toIsEEEE10hipError_tPvRmT2_T3_mT4_T5_T6_T7_T8_P12ihipStream_tbENKUlT_T0_E_clISt17integral_constantIbLb0EES12_IbLb1EEEEDaSY_SZ_EUlSY_E_NS1_11comp_targetILNS1_3genE2ELNS1_11target_archE906ELNS1_3gpuE6ELNS1_3repE0EEENS1_30default_config_static_selectorELNS0_4arch9wavefront6targetE1EEEvT1_: ; @_ZN7rocprim17ROCPRIM_400000_NS6detail17trampoline_kernelINS0_14default_configENS1_29reduce_by_key_config_selectorIslN6thrust23THRUST_200600_302600_NS4plusIlEEEEZZNS1_33reduce_by_key_impl_wrapped_configILNS1_25lookback_scan_determinismE0ES3_S9_PsNS6_17constant_iteratorIiNS6_11use_defaultESE_EENS6_10device_ptrIsEENSG_IlEEPmS8_NS6_8equal_toIsEEEE10hipError_tPvRmT2_T3_mT4_T5_T6_T7_T8_P12ihipStream_tbENKUlT_T0_E_clISt17integral_constantIbLb0EES12_IbLb1EEEEDaSY_SZ_EUlSY_E_NS1_11comp_targetILNS1_3genE2ELNS1_11target_archE906ELNS1_3gpuE6ELNS1_3repE0EEENS1_30default_config_static_selectorELNS0_4arch9wavefront6targetE1EEEvT1_
; %bb.0:
	s_load_dwordx4 s[56:59], s[4:5], 0x20
	s_load_dwordx2 s[60:61], s[4:5], 0x30
	s_load_dwordx2 s[36:37], s[4:5], 0x80
	s_add_u32 s0, s0, s7
	s_addc_u32 s1, s1, 0
	v_cmp_ne_u32_e64 s[6:7], 0, v0
	v_cmp_eq_u32_e64 s[38:39], 0, v0
	s_and_saveexec_b64 s[8:9], s[38:39]
	s_cbranch_execz .LBB1501_4
; %bb.1:
	s_mov_b64 s[12:13], exec
	v_mbcnt_lo_u32_b32 v1, s12, 0
	v_mbcnt_hi_u32_b32 v1, s13, v1
	v_cmp_eq_u32_e32 vcc, 0, v1
                                        ; implicit-def: $vgpr2
	s_and_saveexec_b64 s[10:11], vcc
	s_cbranch_execz .LBB1501_3
; %bb.2:
	s_load_dwordx2 s[14:15], s[4:5], 0x88
	s_bcnt1_i32_b64 s12, s[12:13]
	v_mov_b32_e32 v2, 0
	v_mov_b32_e32 v3, s12
	s_waitcnt lgkmcnt(0)
	global_atomic_add v2, v2, v3, s[14:15] glc
.LBB1501_3:
	s_or_b64 exec, exec, s[10:11]
	s_waitcnt vmcnt(0)
	v_readfirstlane_b32 s10, v2
	v_add_u32_e32 v1, s10, v1
	v_mov_b32_e32 v2, 0
	ds_write_b32 v2, v1
.LBB1501_4:
	s_or_b64 exec, exec, s[8:9]
	s_load_dwordx4 s[8:11], s[4:5], 0x0
	s_load_dword s12, s[4:5], 0x18
	s_load_dwordx16 s[40:55], s[4:5], 0x40
	v_mov_b32_e32 v2, 0
	s_waitcnt lgkmcnt(0)
	s_barrier
	ds_read_b32 v1, v2
	s_mul_i32 s4, s48, s47
	s_mul_hi_u32 s5, s48, s46
	s_add_i32 s4, s5, s4
	s_mul_i32 s5, s49, s46
	s_add_i32 s13, s4, s5
	s_lshl_b64 s[4:5], s[10:11], 1
	s_add_u32 s4, s8, s4
	s_movk_i32 s8, 0xf00
	s_waitcnt lgkmcnt(0)
	v_readfirstlane_b32 s64, v1
	v_mul_lo_u32 v1, v1, s8
	s_mul_i32 s14, s48, s46
	s_addc_u32 s5, s9, s5
	v_mov_b32_e32 v3, s5
	v_lshlrev_b64 v[1:2], 1, v[1:2]
	s_mov_b64 s[10:11], -1
	v_add_co_u32_e32 v36, vcc, s4, v1
	s_add_u32 s4, s14, s64
	s_addc_u32 s5, s13, 0
	s_add_u32 s14, s50, -1
	s_addc_u32 s15, s51, -1
	s_cmp_eq_u64 s[4:5], s[14:15]
	v_addc_co_u32_e32 v37, vcc, v3, v2, vcc
	s_cselect_b64 s[48:49], -1, 0
	s_cmp_lg_u64 s[4:5], s[14:15]
	s_cselect_b64 s[8:9], -1, 0
	s_mul_i32 s33, s14, 0xfffff100
	s_and_b64 vcc, exec, s[48:49]
	s_barrier
	s_cbranch_vccnz .LBB1501_6
; %bb.5:
	v_lshlrev_b32_e32 v4, 1, v0
	v_add_co_u32_e32 v1, vcc, v36, v4
	v_addc_co_u32_e32 v2, vcc, 0, v37, vcc
	v_add_co_u32_e32 v1, vcc, 0x1000, v1
	v_readfirstlane_b32 s10, v36
	v_readfirstlane_b32 s11, v37
	v_addc_co_u32_e32 v2, vcc, 0, v2, vcc
	s_nop 3
	global_load_ushort v5, v4, s[10:11]
	global_load_ushort v6, v4, s[10:11] offset:512
	global_load_ushort v7, v4, s[10:11] offset:1024
	;; [unrolled: 1-line block ×7, first 2 shown]
	global_load_ushort v13, v[1:2], off
	global_load_ushort v14, v[1:2], off offset:512
	global_load_ushort v15, v[1:2], off offset:1024
	;; [unrolled: 1-line block ×6, first 2 shown]
	v_mad_u32_u24 v20, v0, 28, v4
	s_ashr_i32 s13, s12, 31
	s_movk_i32 s10, 0xffea
	v_mov_b32_e32 v2, s12
	v_mul_u32_u24_e32 v1, 15, v0
	v_mov_b32_e32 v3, s13
	v_mad_i32_i24 v21, v0, s10, v20
	s_waitcnt vmcnt(14)
	ds_write_b16 v4, v5
	s_waitcnt vmcnt(13)
	ds_write_b16 v4, v6 offset:512
	s_waitcnt vmcnt(12)
	ds_write_b16 v4, v7 offset:1024
	;; [unrolled: 2-line block ×14, first 2 shown]
	s_waitcnt lgkmcnt(0)
	s_barrier
	ds_read_u16 v77, v20
	ds_read_b128 v[5:8], v20 offset:2
	ds_read_b96 v[33:35], v20 offset:18
	s_waitcnt lgkmcnt(0)
	s_barrier
	ds_write2st64_b64 v21, v[2:3], v[2:3] offset1:4
	ds_write2st64_b64 v21, v[2:3], v[2:3] offset0:8 offset1:12
	ds_write2st64_b64 v21, v[2:3], v[2:3] offset0:16 offset1:20
	;; [unrolled: 1-line block ×6, first 2 shown]
	ds_write_b64 v21, v[2:3] offset:28672
	s_waitcnt lgkmcnt(0)
	s_barrier
	s_add_i32 s33, s33, s52
	s_cbranch_execz .LBB1501_7
	s_branch .LBB1501_38
.LBB1501_6:
                                        ; implicit-def: $vgpr5
                                        ; implicit-def: $vgpr33
                                        ; implicit-def: $vgpr77
                                        ; implicit-def: $vgpr1
	s_andn2_b64 vcc, exec, s[10:11]
	s_add_i32 s33, s33, s52
	s_cbranch_vccnz .LBB1501_38
.LBB1501_7:
	v_cmp_gt_u32_e32 vcc, s33, v0
                                        ; implicit-def: $vgpr1
	s_and_saveexec_b64 s[10:11], vcc
	s_cbranch_execz .LBB1501_9
; %bb.8:
	v_lshlrev_b32_e32 v1, 1, v0
	v_readfirstlane_b32 s14, v36
	v_readfirstlane_b32 s15, v37
	s_nop 4
	global_load_ushort v1, v1, s[14:15]
.LBB1501_9:
	s_or_b64 exec, exec, s[10:11]
	v_or_b32_e32 v2, 0x100, v0
	v_cmp_gt_u32_e32 vcc, s33, v2
                                        ; implicit-def: $vgpr2
	s_and_saveexec_b64 s[10:11], vcc
	s_cbranch_execz .LBB1501_11
; %bb.10:
	v_lshlrev_b32_e32 v2, 1, v0
	v_readfirstlane_b32 s14, v36
	v_readfirstlane_b32 s15, v37
	s_nop 4
	global_load_ushort v2, v2, s[14:15] offset:512
.LBB1501_11:
	s_or_b64 exec, exec, s[10:11]
	v_or_b32_e32 v3, 0x200, v0
	v_cmp_gt_u32_e32 vcc, s33, v3
                                        ; implicit-def: $vgpr3
	s_and_saveexec_b64 s[10:11], vcc
	s_cbranch_execz .LBB1501_13
; %bb.12:
	v_lshlrev_b32_e32 v3, 1, v0
	v_readfirstlane_b32 s14, v36
	v_readfirstlane_b32 s15, v37
	s_nop 4
	global_load_ushort v3, v3, s[14:15] offset:1024
.LBB1501_13:
	s_or_b64 exec, exec, s[10:11]
	v_or_b32_e32 v4, 0x300, v0
	v_cmp_gt_u32_e32 vcc, s33, v4
                                        ; implicit-def: $vgpr4
	s_and_saveexec_b64 s[10:11], vcc
	s_cbranch_execz .LBB1501_15
; %bb.14:
	v_lshlrev_b32_e32 v4, 1, v0
	v_readfirstlane_b32 s14, v36
	v_readfirstlane_b32 s15, v37
	s_nop 4
	global_load_ushort v4, v4, s[14:15] offset:1536
.LBB1501_15:
	s_or_b64 exec, exec, s[10:11]
	v_or_b32_e32 v5, 0x400, v0
	v_cmp_gt_u32_e32 vcc, s33, v5
                                        ; implicit-def: $vgpr5
	s_and_saveexec_b64 s[10:11], vcc
	s_cbranch_execz .LBB1501_17
; %bb.16:
	v_lshlrev_b32_e32 v5, 1, v0
	v_readfirstlane_b32 s14, v36
	v_readfirstlane_b32 s15, v37
	s_nop 4
	global_load_ushort v5, v5, s[14:15] offset:2048
.LBB1501_17:
	s_or_b64 exec, exec, s[10:11]
	v_or_b32_e32 v6, 0x500, v0
	v_cmp_gt_u32_e32 vcc, s33, v6
                                        ; implicit-def: $vgpr6
	s_and_saveexec_b64 s[10:11], vcc
	s_cbranch_execz .LBB1501_19
; %bb.18:
	v_lshlrev_b32_e32 v6, 1, v0
	v_readfirstlane_b32 s14, v36
	v_readfirstlane_b32 s15, v37
	s_nop 4
	global_load_ushort v6, v6, s[14:15] offset:2560
.LBB1501_19:
	s_or_b64 exec, exec, s[10:11]
	v_or_b32_e32 v7, 0x600, v0
	v_cmp_gt_u32_e32 vcc, s33, v7
                                        ; implicit-def: $vgpr7
	s_and_saveexec_b64 s[10:11], vcc
	s_cbranch_execz .LBB1501_21
; %bb.20:
	v_lshlrev_b32_e32 v7, 1, v0
	v_readfirstlane_b32 s14, v36
	v_readfirstlane_b32 s15, v37
	s_nop 4
	global_load_ushort v7, v7, s[14:15] offset:3072
.LBB1501_21:
	s_or_b64 exec, exec, s[10:11]
	v_or_b32_e32 v8, 0x700, v0
	v_cmp_gt_u32_e32 vcc, s33, v8
                                        ; implicit-def: $vgpr8
	s_and_saveexec_b64 s[10:11], vcc
	s_cbranch_execz .LBB1501_23
; %bb.22:
	v_lshlrev_b32_e32 v8, 1, v0
	v_readfirstlane_b32 s14, v36
	v_readfirstlane_b32 s15, v37
	s_nop 4
	global_load_ushort v8, v8, s[14:15] offset:3584
.LBB1501_23:
	s_or_b64 exec, exec, s[10:11]
	v_or_b32_e32 v10, 0x800, v0
	v_cmp_gt_u32_e32 vcc, s33, v10
                                        ; implicit-def: $vgpr9
	s_and_saveexec_b64 s[10:11], vcc
	s_cbranch_execz .LBB1501_25
; %bb.24:
	v_lshlrev_b32_e32 v9, 1, v10
	v_readfirstlane_b32 s14, v36
	v_readfirstlane_b32 s15, v37
	s_nop 4
	global_load_ushort v9, v9, s[14:15]
.LBB1501_25:
	s_or_b64 exec, exec, s[10:11]
	v_or_b32_e32 v11, 0x900, v0
	v_cmp_gt_u32_e32 vcc, s33, v11
                                        ; implicit-def: $vgpr10
	s_and_saveexec_b64 s[10:11], vcc
	s_cbranch_execz .LBB1501_27
; %bb.26:
	v_lshlrev_b32_e32 v10, 1, v11
	v_readfirstlane_b32 s14, v36
	v_readfirstlane_b32 s15, v37
	s_nop 4
	global_load_ushort v10, v10, s[14:15]
.LBB1501_27:
	s_or_b64 exec, exec, s[10:11]
	v_or_b32_e32 v12, 0xa00, v0
	v_cmp_gt_u32_e32 vcc, s33, v12
                                        ; implicit-def: $vgpr11
	s_and_saveexec_b64 s[10:11], vcc
	s_cbranch_execz .LBB1501_29
; %bb.28:
	v_lshlrev_b32_e32 v11, 1, v12
	v_readfirstlane_b32 s14, v36
	v_readfirstlane_b32 s15, v37
	s_nop 4
	global_load_ushort v11, v11, s[14:15]
.LBB1501_29:
	s_or_b64 exec, exec, s[10:11]
	v_or_b32_e32 v13, 0xb00, v0
	v_cmp_gt_u32_e32 vcc, s33, v13
                                        ; implicit-def: $vgpr12
	s_and_saveexec_b64 s[10:11], vcc
	s_cbranch_execz .LBB1501_31
; %bb.30:
	v_lshlrev_b32_e32 v12, 1, v13
	v_readfirstlane_b32 s14, v36
	v_readfirstlane_b32 s15, v37
	s_nop 4
	global_load_ushort v12, v12, s[14:15]
.LBB1501_31:
	s_or_b64 exec, exec, s[10:11]
	v_or_b32_e32 v14, 0xc00, v0
	v_cmp_gt_u32_e32 vcc, s33, v14
                                        ; implicit-def: $vgpr13
	s_and_saveexec_b64 s[10:11], vcc
	s_cbranch_execz .LBB1501_33
; %bb.32:
	v_lshlrev_b32_e32 v13, 1, v14
	v_readfirstlane_b32 s14, v36
	v_readfirstlane_b32 s15, v37
	s_nop 4
	global_load_ushort v13, v13, s[14:15]
.LBB1501_33:
	s_or_b64 exec, exec, s[10:11]
	v_or_b32_e32 v15, 0xd00, v0
	v_cmp_gt_u32_e32 vcc, s33, v15
                                        ; implicit-def: $vgpr14
	s_and_saveexec_b64 s[10:11], vcc
	s_cbranch_execz .LBB1501_35
; %bb.34:
	v_lshlrev_b32_e32 v14, 1, v15
	v_readfirstlane_b32 s14, v36
	v_readfirstlane_b32 s15, v37
	s_nop 4
	global_load_ushort v14, v14, s[14:15]
.LBB1501_35:
	s_or_b64 exec, exec, s[10:11]
	v_or_b32_e32 v16, 0xe00, v0
	v_cmp_gt_u32_e32 vcc, s33, v16
                                        ; implicit-def: $vgpr15
	s_and_saveexec_b64 s[10:11], vcc
	s_cbranch_execz .LBB1501_37
; %bb.36:
	v_lshlrev_b32_e32 v15, 1, v16
	v_readfirstlane_b32 s14, v36
	v_readfirstlane_b32 s15, v37
	s_nop 4
	global_load_ushort v15, v15, s[14:15]
.LBB1501_37:
	s_or_b64 exec, exec, s[10:11]
	v_lshlrev_b32_e32 v16, 1, v0
	s_waitcnt vmcnt(0)
	ds_write_b16 v16, v1
	ds_write_b16 v16, v2 offset:512
	ds_write_b16 v16, v3 offset:1024
	;; [unrolled: 1-line block ×14, first 2 shown]
	v_mad_u32_u24 v2, v0, 28, v16
	s_waitcnt lgkmcnt(0)
	s_barrier
	ds_read_u16 v77, v2
	ds_read_b128 v[5:8], v2 offset:2
	ds_read_b96 v[33:35], v2 offset:18
	s_movk_i32 s10, 0xffea
	s_ashr_i32 s13, s12, 31
	v_mad_i32_i24 v4, v0, s10, v2
	v_mov_b32_e32 v2, s12
	v_mul_u32_u24_e32 v1, 15, v0
	v_mov_b32_e32 v3, s13
	s_waitcnt lgkmcnt(0)
	s_barrier
	ds_write2st64_b64 v4, v[2:3], v[2:3] offset1:4
	ds_write2st64_b64 v4, v[2:3], v[2:3] offset0:8 offset1:12
	ds_write2st64_b64 v4, v[2:3], v[2:3] offset0:16 offset1:20
	;; [unrolled: 1-line block ×6, first 2 shown]
	ds_write_b64 v4, v[2:3] offset:28672
	s_waitcnt lgkmcnt(0)
	s_barrier
.LBB1501_38:
	v_lshlrev_b32_e32 v29, 3, v1
	ds_read_b64 v[70:71], v29 offset:112
	ds_read2_b64 v[1:4], v29 offset0:12 offset1:13
	ds_read2_b64 v[9:12], v29 offset0:10 offset1:11
	;; [unrolled: 1-line block ×6, first 2 shown]
	ds_read2_b64 v[29:32], v29 offset1:1
	s_cmp_eq_u64 s[4:5], 0
	s_cselect_b64 s[50:51], -1, 0
	s_cmp_lg_u64 s[4:5], 0
	s_mov_b64 s[62:63], 0
	s_cselect_b64 s[10:11], -1, 0
	v_lshrrev_b32_e32 v81, 16, v5
	v_lshrrev_b32_e32 v80, 16, v6
	;; [unrolled: 1-line block ×7, first 2 shown]
	s_and_b64 vcc, exec, s[8:9]
	s_waitcnt lgkmcnt(0)
	s_barrier
	s_cbranch_vccz .LBB1501_43
; %bb.39:
	s_and_b64 vcc, exec, s[10:11]
	s_cbranch_vccz .LBB1501_44
; %bb.40:
	global_load_ushort v38, v[36:37], off offset:-2
	v_cmp_ne_u16_e32 vcc, v35, v74
	v_cndmask_b32_e64 v40, 0, 1, vcc
	v_cmp_ne_u16_e32 vcc, v75, v35
	buffer_store_dword v40, off, s[0:3], 0 offset:56
	v_cndmask_b32_e64 v40, 0, 1, vcc
	v_cmp_ne_u16_e32 vcc, v34, v75
	buffer_store_dword v40, off, s[0:3], 0 offset:52
	;; [unrolled: 3-line block ×12, first 2 shown]
	v_cndmask_b32_e64 v40, 0, 1, vcc
	v_cmp_ne_u16_e32 vcc, v77, v5
	v_lshlrev_b32_e32 v39, 1, v0
	buffer_store_dword v40, off, s[0:3], 0 offset:8
	v_cndmask_b32_e64 v40, 0, 1, vcc
	ds_write_b16 v39, v74
	buffer_store_dword v40, off, s[0:3], 0 offset:4
	s_waitcnt vmcnt(0) lgkmcnt(0)
	s_barrier
	s_and_saveexec_b64 s[8:9], s[6:7]
; %bb.41:
	v_add_u32_e32 v38, -2, v39
	ds_read_u16 v38, v38
; %bb.42:
	s_or_b64 exec, exec, s[8:9]
	s_waitcnt lgkmcnt(0)
	v_cmp_ne_u16_e64 s[8:9], v38, v77
	s_mov_b64 s[62:63], -1
	s_branch .LBB1501_48
.LBB1501_43:
                                        ; implicit-def: $sgpr8_sgpr9
	s_cbranch_execnz .LBB1501_49
	s_branch .LBB1501_57
.LBB1501_44:
                                        ; implicit-def: $sgpr8_sgpr9
	s_cbranch_execz .LBB1501_48
; %bb.45:
	v_cmp_ne_u16_e32 vcc, v35, v74
	v_cndmask_b32_e64 v40, 0, 1, vcc
	v_cmp_ne_u16_e32 vcc, v75, v35
	buffer_store_dword v40, off, s[0:3], 0 offset:56
	v_cndmask_b32_e64 v40, 0, 1, vcc
	v_cmp_ne_u16_e32 vcc, v34, v75
	buffer_store_dword v40, off, s[0:3], 0 offset:52
	v_cndmask_b32_e64 v40, 0, 1, vcc
	v_cmp_ne_u16_e32 vcc, v76, v34
	buffer_store_dword v40, off, s[0:3], 0 offset:48
	v_cndmask_b32_e64 v40, 0, 1, vcc
	v_cmp_ne_u16_e32 vcc, v33, v76
	buffer_store_dword v40, off, s[0:3], 0 offset:44
	v_cndmask_b32_e64 v40, 0, 1, vcc
	v_cmp_ne_u16_e32 vcc, v78, v33
	buffer_store_dword v40, off, s[0:3], 0 offset:40
	v_cndmask_b32_e64 v40, 0, 1, vcc
	v_cmp_ne_u16_e32 vcc, v8, v78
	buffer_store_dword v40, off, s[0:3], 0 offset:36
	v_cndmask_b32_e64 v40, 0, 1, vcc
	v_cmp_ne_u16_e32 vcc, v79, v8
	buffer_store_dword v40, off, s[0:3], 0 offset:32
	v_cndmask_b32_e64 v40, 0, 1, vcc
	v_cmp_ne_u16_e32 vcc, v7, v79
	buffer_store_dword v40, off, s[0:3], 0 offset:28
	v_cndmask_b32_e64 v40, 0, 1, vcc
	v_cmp_ne_u16_e32 vcc, v80, v7
	buffer_store_dword v40, off, s[0:3], 0 offset:24
	v_cndmask_b32_e64 v40, 0, 1, vcc
	v_cmp_ne_u16_e32 vcc, v6, v80
	buffer_store_dword v40, off, s[0:3], 0 offset:20
	v_cndmask_b32_e64 v40, 0, 1, vcc
	v_cmp_ne_u16_e32 vcc, v81, v6
	buffer_store_dword v40, off, s[0:3], 0 offset:16
	v_cndmask_b32_e64 v40, 0, 1, vcc
	v_cmp_ne_u16_e32 vcc, v5, v81
	buffer_store_dword v40, off, s[0:3], 0 offset:12
	v_cndmask_b32_e64 v40, 0, 1, vcc
	v_cmp_ne_u16_e32 vcc, v77, v5
	v_mov_b32_e32 v39, 1
	v_lshlrev_b32_e32 v38, 1, v0
	buffer_store_dword v40, off, s[0:3], 0 offset:8
	v_cndmask_b32_e64 v40, 0, 1, vcc
	ds_write_b16 v38, v74
	buffer_store_dword v40, off, s[0:3], 0 offset:4
	s_waitcnt vmcnt(0) lgkmcnt(0)
	s_barrier
	buffer_store_dword v39, off, s[0:3], 0
                                        ; implicit-def: $sgpr8_sgpr9
	s_and_saveexec_b64 s[12:13], s[6:7]
	s_xor_b64 s[12:13], exec, s[12:13]
	s_cbranch_execz .LBB1501_47
; %bb.46:
	v_add_u32_e32 v38, -2, v38
	ds_read_u16 v38, v38
	s_or_b64 s[62:63], s[62:63], exec
	s_waitcnt lgkmcnt(0)
	v_cmp_ne_u16_e64 s[8:9], v38, v77
.LBB1501_47:
	s_or_b64 exec, exec, s[12:13]
.LBB1501_48:
	s_branch .LBB1501_57
.LBB1501_49:
	s_mul_hi_u32 s8, s4, 0xfffff100
	s_mulk_i32 s5, 0xf100
	s_sub_i32 s8, s8, s4
	s_add_i32 s8, s8, s5
	s_mulk_i32 s4, 0xf100
	s_add_u32 s52, s4, s52
	s_addc_u32 s53, s8, s53
	s_and_b64 vcc, exec, s[10:11]
	v_cmp_ne_u16_e64 s[4:5], v35, v74
	v_cmp_ne_u16_e64 s[34:35], v75, v35
	;; [unrolled: 1-line block ×14, first 2 shown]
	v_mad_u32_u24 v38, v0, 15, 14
	v_mad_u32_u24 v64, v0, 15, 13
	;; [unrolled: 1-line block ×14, first 2 shown]
	s_cbranch_vccz .LBB1501_53
; %bb.50:
	global_load_ushort v66, v[36:37], off offset:-2
	v_mov_b32_e32 v39, 0
	v_cmp_gt_u64_e32 vcc, s[52:53], v[38:39]
	v_mov_b32_e32 v65, v39
	s_and_b64 s[4:5], vcc, s[4:5]
	v_cmp_gt_u64_e32 vcc, s[52:53], v[64:65]
	v_mov_b32_e32 v63, v39
	v_cndmask_b32_e64 v41, 0, 1, s[4:5]
	s_and_b64 s[4:5], vcc, s[34:35]
	v_cmp_gt_u64_e32 vcc, s[52:53], v[62:63]
	v_mov_b32_e32 v61, v39
	buffer_store_dword v41, off, s[0:3], 0 offset:56
	v_cndmask_b32_e64 v41, 0, 1, s[4:5]
	s_and_b64 s[4:5], vcc, s[30:31]
	v_cmp_gt_u64_e32 vcc, s[52:53], v[60:61]
	v_mov_b32_e32 v59, v39
	buffer_store_dword v41, off, s[0:3], 0 offset:52
	;; [unrolled: 5-line block ×9, first 2 shown]
	v_cndmask_b32_e64 v41, 0, 1, s[4:5]
	s_and_b64 s[4:5], vcc, s[14:15]
	v_cmp_gt_u64_e32 vcc, s[52:53], v[44:45]
	buffer_store_dword v41, off, s[0:3], 0 offset:20
	v_cndmask_b32_e64 v41, 0, 1, s[4:5]
	s_and_b64 s[4:5], vcc, s[12:13]
	v_mov_b32_e32 v43, v39
	buffer_store_dword v41, off, s[0:3], 0 offset:16
	v_cndmask_b32_e64 v41, 0, 1, s[4:5]
	v_cmp_gt_u64_e32 vcc, s[52:53], v[42:43]
	buffer_store_dword v41, off, s[0:3], 0 offset:12
	v_mov_b32_e32 v41, v39
	s_and_b64 s[4:5], vcc, s[10:11]
	v_cmp_gt_u64_e32 vcc, s[52:53], v[40:41]
	v_cndmask_b32_e64 v43, 0, 1, s[4:5]
	s_and_b64 s[4:5], vcc, s[8:9]
	v_lshlrev_b32_e32 v37, 1, v0
	v_mul_u32_u24_e32 v36, 15, v0
	v_cndmask_b32_e64 v41, 0, 1, s[4:5]
	ds_write_b16 v37, v74
	buffer_store_dword v43, off, s[0:3], 0 offset:8
	buffer_store_dword v41, off, s[0:3], 0 offset:4
	s_waitcnt vmcnt(0) lgkmcnt(0)
	s_barrier
	s_and_saveexec_b64 s[4:5], s[6:7]
; %bb.51:
	v_add_u32_e32 v37, -2, v37
	ds_read_u16 v66, v37
; %bb.52:
	s_or_b64 exec, exec, s[4:5]
	v_mov_b32_e32 v37, v39
	v_cmp_gt_u64_e32 vcc, s[52:53], v[36:37]
	s_waitcnt lgkmcnt(0)
	v_cmp_ne_u16_e64 s[4:5], v66, v77
	s_and_b64 s[8:9], vcc, s[4:5]
	s_mov_b64 s[62:63], -1
	s_branch .LBB1501_57
.LBB1501_53:
                                        ; implicit-def: $sgpr8_sgpr9
	s_cbranch_execz .LBB1501_57
; %bb.54:
	v_mov_b32_e32 v39, 0
	v_cmp_gt_u64_e32 vcc, s[52:53], v[38:39]
	v_cmp_ne_u16_e64 s[4:5], v35, v74
	v_mov_b32_e32 v65, v39
	s_and_b64 s[4:5], vcc, s[4:5]
	v_cmp_gt_u64_e32 vcc, s[52:53], v[64:65]
	v_cndmask_b32_e64 v38, 0, 1, s[4:5]
	v_cmp_ne_u16_e64 s[4:5], v75, v35
	v_mov_b32_e32 v63, v39
	s_and_b64 s[4:5], vcc, s[4:5]
	v_cmp_gt_u64_e32 vcc, s[52:53], v[62:63]
	buffer_store_dword v38, off, s[0:3], 0 offset:56
	v_cndmask_b32_e64 v38, 0, 1, s[4:5]
	v_cmp_ne_u16_e64 s[4:5], v34, v75
	v_mov_b32_e32 v61, v39
	s_and_b64 s[4:5], vcc, s[4:5]
	v_cmp_gt_u64_e32 vcc, s[52:53], v[60:61]
	buffer_store_dword v38, off, s[0:3], 0 offset:52
	;; [unrolled: 6-line block ×12, first 2 shown]
	v_cndmask_b32_e64 v38, 0, 1, s[4:5]
	v_cmp_ne_u16_e64 s[4:5], v77, v5
	s_and_b64 s[4:5], vcc, s[4:5]
	v_mov_b32_e32 v37, 1
	v_lshlrev_b32_e32 v36, 1, v0
	buffer_store_dword v38, off, s[0:3], 0 offset:8
	v_cndmask_b32_e64 v38, 0, 1, s[4:5]
	ds_write_b16 v36, v74
	buffer_store_dword v38, off, s[0:3], 0 offset:4
	s_waitcnt vmcnt(0) lgkmcnt(0)
	s_barrier
	buffer_store_dword v37, off, s[0:3], 0
                                        ; implicit-def: $sgpr8_sgpr9
	s_and_saveexec_b64 s[10:11], s[6:7]
	s_cbranch_execz .LBB1501_56
; %bb.55:
	v_add_u32_e32 v36, -2, v36
	ds_read_u16 v36, v36
	v_mul_u32_u24_e32 v38, 15, v0
	v_cmp_gt_u64_e32 vcc, s[52:53], v[38:39]
	s_or_b64 s[62:63], s[62:63], exec
	s_waitcnt lgkmcnt(0)
	v_cmp_ne_u16_e64 s[4:5], v36, v77
	s_and_b64 s[8:9], vcc, s[4:5]
.LBB1501_56:
	s_or_b64 exec, exec, s[10:11]
.LBB1501_57:
	v_mov_b32_e32 v82, 1
	s_and_saveexec_b64 s[4:5], s[62:63]
	s_cbranch_execz .LBB1501_59
; %bb.58:
	v_cndmask_b32_e64 v82, 0, 1, s[8:9]
	buffer_store_dword v82, off, s[0:3], 0
.LBB1501_59:
	s_or_b64 exec, exec, s[4:5]
	buffer_load_dword v95, off, s[0:3], 0 offset:4
	buffer_load_dword v94, off, s[0:3], 0 offset:8
	;; [unrolled: 1-line block ×14, first 2 shown]
	s_cmp_eq_u64 s[46:47], 0
	s_cselect_b64 s[46:47], -1, 0
	s_cmp_lg_u32 s64, 0
	v_mbcnt_lo_u32_b32 v97, -1, 0
	s_waitcnt vmcnt(13)
	v_cmp_eq_u32_e64 s[30:31], 0, v95
	s_waitcnt vmcnt(12)
	v_add3_u32 v36, v95, v82, v94
	v_cmp_eq_u32_e64 s[28:29], 0, v94
	s_waitcnt vmcnt(11)
	v_cmp_eq_u32_e64 s[26:27], 0, v93
	s_waitcnt vmcnt(10)
	;; [unrolled: 2-line block ×12, first 2 shown]
	v_cmp_eq_u32_e32 vcc, 0, v96
	v_add3_u32 v98, v36, v93, v83
	s_cbranch_scc0 .LBB1501_121
; %bb.60:
	v_cndmask_b32_e64 v37, 0, v29, s[30:31]
	v_cndmask_b32_e64 v36, 0, v30, s[30:31]
	v_add_co_u32_e64 v37, s[4:5], v37, v31
	v_addc_co_u32_e64 v36, s[4:5], v36, v32, s[4:5]
	v_cndmask_b32_e64 v37, 0, v37, s[28:29]
	v_cndmask_b32_e64 v36, 0, v36, s[28:29]
	v_add_co_u32_e64 v37, s[4:5], v37, v25
	v_addc_co_u32_e64 v36, s[4:5], v36, v26, s[4:5]
	;; [unrolled: 4-line block ×11, first 2 shown]
	v_cndmask_b32_e64 v37, 0, v37, s[8:9]
	v_add3_u32 v38, v98, v84, v85
	v_cndmask_b32_e64 v36, 0, v36, s[8:9]
	v_add_co_u32_e64 v37, s[4:5], v37, v1
	v_add3_u32 v38, v38, v86, v87
	v_addc_co_u32_e64 v36, s[4:5], v36, v2, s[4:5]
	v_cndmask_b32_e64 v37, 0, v37, s[6:7]
	v_add3_u32 v38, v38, v88, v89
	v_cndmask_b32_e64 v36, 0, v36, s[6:7]
	v_add_co_u32_e64 v37, s[4:5], v37, v3
	v_add3_u32 v38, v38, v90, v91
	v_addc_co_u32_e64 v36, s[4:5], v36, v4, s[4:5]
	v_cndmask_b32_e32 v37, 0, v37, vcc
	v_add3_u32 v40, v38, v92, v96
	v_cndmask_b32_e32 v36, 0, v36, vcc
	v_add_co_u32_e32 v38, vcc, v37, v70
	v_mbcnt_hi_u32_b32 v45, -1, v97
	v_addc_co_u32_e32 v39, vcc, v36, v71, vcc
	v_and_b32_e32 v36, 15, v45
	v_mov_b32_dpp v41, v40 row_shr:1 row_mask:0xf bank_mask:0xf
	v_mov_b32_dpp v37, v38 row_shr:1 row_mask:0xf bank_mask:0xf
	;; [unrolled: 1-line block ×3, first 2 shown]
	v_cmp_ne_u32_e32 vcc, 0, v36
	s_and_saveexec_b64 s[4:5], vcc
; %bb.61:
	v_cmp_eq_u32_e32 vcc, 0, v40
	v_cndmask_b32_e32 v37, 0, v37, vcc
	v_add_u32_e32 v41, v41, v40
	v_cndmask_b32_e32 v40, 0, v42, vcc
	v_add_co_u32_e32 v38, vcc, v37, v38
	v_addc_co_u32_e32 v39, vcc, v40, v39, vcc
	v_mov_b32_e32 v40, v41
; %bb.62:
	s_or_b64 exec, exec, s[4:5]
	s_nop 0
	v_mov_b32_dpp v41, v40 row_shr:2 row_mask:0xf bank_mask:0xf
	v_mov_b32_dpp v37, v38 row_shr:2 row_mask:0xf bank_mask:0xf
	v_mov_b32_dpp v42, v39 row_shr:2 row_mask:0xf bank_mask:0xf
	v_cmp_lt_u32_e32 vcc, 1, v36
	s_and_saveexec_b64 s[4:5], vcc
; %bb.63:
	v_cmp_eq_u32_e32 vcc, 0, v40
	v_cndmask_b32_e32 v37, 0, v37, vcc
	v_add_u32_e32 v41, v41, v40
	v_cndmask_b32_e32 v40, 0, v42, vcc
	v_add_co_u32_e32 v38, vcc, v37, v38
	v_addc_co_u32_e32 v39, vcc, v40, v39, vcc
	v_mov_b32_e32 v40, v41
; %bb.64:
	s_or_b64 exec, exec, s[4:5]
	s_nop 0
	v_mov_b32_dpp v41, v40 row_shr:4 row_mask:0xf bank_mask:0xf
	v_mov_b32_dpp v37, v38 row_shr:4 row_mask:0xf bank_mask:0xf
	v_mov_b32_dpp v42, v39 row_shr:4 row_mask:0xf bank_mask:0xf
	v_cmp_lt_u32_e32 vcc, 3, v36
	s_and_saveexec_b64 s[4:5], vcc
; %bb.65:
	v_cmp_eq_u32_e32 vcc, 0, v40
	v_cndmask_b32_e32 v37, 0, v37, vcc
	v_add_u32_e32 v41, v41, v40
	v_cndmask_b32_e32 v40, 0, v42, vcc
	v_add_co_u32_e32 v38, vcc, v37, v38
	v_addc_co_u32_e32 v39, vcc, v40, v39, vcc
	v_mov_b32_e32 v40, v41
; %bb.66:
	s_or_b64 exec, exec, s[4:5]
	s_nop 0
	v_mov_b32_dpp v41, v40 row_shr:8 row_mask:0xf bank_mask:0xf
	v_mov_b32_dpp v37, v38 row_shr:8 row_mask:0xf bank_mask:0xf
	v_mov_b32_dpp v42, v39 row_shr:8 row_mask:0xf bank_mask:0xf
	v_cmp_lt_u32_e32 vcc, 7, v36
	s_and_saveexec_b64 s[4:5], vcc
; %bb.67:
	v_cmp_eq_u32_e32 vcc, 0, v40
	v_cndmask_b32_e32 v37, 0, v37, vcc
	v_add_u32_e32 v36, v41, v40
	v_cndmask_b32_e32 v40, 0, v42, vcc
	v_add_co_u32_e32 v38, vcc, v37, v38
	v_addc_co_u32_e32 v39, vcc, v40, v39, vcc
	v_mov_b32_e32 v40, v36
; %bb.68:
	s_or_b64 exec, exec, s[4:5]
	v_and_b32_e32 v42, 16, v45
	v_mov_b32_dpp v37, v40 row_bcast:15 row_mask:0xf bank_mask:0xf
	v_mov_b32_dpp v36, v38 row_bcast:15 row_mask:0xf bank_mask:0xf
	;; [unrolled: 1-line block ×3, first 2 shown]
	v_cmp_ne_u32_e32 vcc, 0, v42
	s_and_saveexec_b64 s[4:5], vcc
; %bb.69:
	v_cmp_eq_u32_e32 vcc, 0, v40
	v_cndmask_b32_e32 v36, 0, v36, vcc
	v_add_u32_e32 v37, v37, v40
	v_cndmask_b32_e32 v40, 0, v41, vcc
	v_add_co_u32_e32 v38, vcc, v36, v38
	v_addc_co_u32_e32 v39, vcc, v40, v39, vcc
	v_mov_b32_e32 v40, v37
; %bb.70:
	s_or_b64 exec, exec, s[4:5]
	s_nop 0
	v_mov_b32_dpp v37, v40 row_bcast:31 row_mask:0xf bank_mask:0xf
	v_mov_b32_dpp v36, v38 row_bcast:31 row_mask:0xf bank_mask:0xf
	;; [unrolled: 1-line block ×3, first 2 shown]
	v_cmp_lt_u32_e32 vcc, 31, v45
	s_and_saveexec_b64 s[4:5], vcc
; %bb.71:
	v_cmp_eq_u32_e32 vcc, 0, v40
	v_cndmask_b32_e32 v36, 0, v36, vcc
	v_add_u32_e32 v37, v37, v40
	v_cndmask_b32_e32 v40, 0, v41, vcc
	v_add_co_u32_e32 v38, vcc, v36, v38
	v_addc_co_u32_e32 v39, vcc, v40, v39, vcc
	v_mov_b32_e32 v40, v37
; %bb.72:
	s_or_b64 exec, exec, s[4:5]
	v_lshrrev_b32_e32 v36, 6, v0
	v_or_b32_e32 v37, 63, v0
	v_cmp_eq_u32_e32 vcc, v0, v37
	v_lshlrev_b32_e32 v41, 4, v36
	s_and_saveexec_b64 s[4:5], vcc
	s_cbranch_execz .LBB1501_74
; %bb.73:
	ds_write_b32 v41, v40 offset:1056
	ds_write_b64 v41, v[38:39] offset:1064
.LBB1501_74:
	s_or_b64 exec, exec, s[4:5]
	v_cmp_gt_u32_e32 vcc, 4, v0
	s_waitcnt lgkmcnt(0)
	s_barrier
	s_and_saveexec_b64 s[4:5], vcc
	s_cbranch_execz .LBB1501_80
; %bb.75:
	v_lshlrev_b32_e32 v42, 4, v0
	ds_read_b32 v43, v42 offset:1056
	ds_read_b64 v[36:37], v42 offset:1064
	v_and_b32_e32 v44, 3, v45
	v_cmp_ne_u32_e32 vcc, 0, v44
	s_waitcnt lgkmcnt(1)
	v_mov_b32_dpp v47, v43 row_shr:1 row_mask:0xf bank_mask:0xf
	s_waitcnt lgkmcnt(0)
	v_mov_b32_dpp v46, v36 row_shr:1 row_mask:0xf bank_mask:0xf
	v_mov_b32_dpp v48, v37 row_shr:1 row_mask:0xf bank_mask:0xf
	s_and_saveexec_b64 s[34:35], vcc
; %bb.76:
	v_cmp_eq_u32_e32 vcc, 0, v43
	v_cndmask_b32_e32 v46, 0, v46, vcc
	v_add_u32_e32 v47, v47, v43
	v_cndmask_b32_e32 v43, 0, v48, vcc
	v_add_co_u32_e32 v36, vcc, v46, v36
	v_addc_co_u32_e32 v37, vcc, v43, v37, vcc
	v_mov_b32_e32 v43, v47
; %bb.77:
	s_or_b64 exec, exec, s[34:35]
	s_nop 0
	v_mov_b32_dpp v47, v43 row_shr:2 row_mask:0xf bank_mask:0xf
	v_mov_b32_dpp v46, v36 row_shr:2 row_mask:0xf bank_mask:0xf
	;; [unrolled: 1-line block ×3, first 2 shown]
	v_cmp_lt_u32_e32 vcc, 1, v44
	s_and_saveexec_b64 s[34:35], vcc
; %bb.78:
	v_cmp_eq_u32_e32 vcc, 0, v43
	v_cndmask_b32_e32 v46, 0, v46, vcc
	v_add_u32_e32 v44, v47, v43
	v_cndmask_b32_e32 v43, 0, v48, vcc
	v_add_co_u32_e32 v36, vcc, v46, v36
	v_addc_co_u32_e32 v37, vcc, v43, v37, vcc
	v_mov_b32_e32 v43, v44
; %bb.79:
	s_or_b64 exec, exec, s[34:35]
	ds_write_b32 v42, v43 offset:1056
	ds_write_b64 v42, v[36:37] offset:1064
.LBB1501_80:
	s_or_b64 exec, exec, s[4:5]
	v_mov_b32_e32 v36, 0
	v_cmp_gt_u32_e32 vcc, 64, v0
	v_cmp_lt_u32_e64 s[4:5], 63, v0
	v_mov_b32_e32 v37, 0
	v_mov_b32_e32 v48, 0
	s_waitcnt lgkmcnt(0)
	s_barrier
	s_and_saveexec_b64 s[34:35], s[4:5]
	s_cbranch_execz .LBB1501_82
; %bb.81:
	ds_read_b32 v48, v41 offset:1040
	ds_read_b64 v[36:37], v41 offset:1048
	v_cmp_eq_u32_e64 s[4:5], 0, v40
	s_waitcnt lgkmcnt(1)
	v_add_u32_e32 v41, v48, v40
	s_waitcnt lgkmcnt(0)
	v_cndmask_b32_e64 v42, 0, v36, s[4:5]
	v_cndmask_b32_e64 v40, 0, v37, s[4:5]
	v_add_co_u32_e64 v38, s[4:5], v42, v38
	v_addc_co_u32_e64 v39, s[4:5], v40, v39, s[4:5]
	v_mov_b32_e32 v40, v41
.LBB1501_82:
	s_or_b64 exec, exec, s[34:35]
	v_subrev_co_u32_e64 v41, s[34:35], 1, v45
	v_and_b32_e32 v42, 64, v45
	v_cmp_lt_i32_e64 s[4:5], v41, v42
	v_cndmask_b32_e64 v41, v41, v45, s[4:5]
	v_lshlrev_b32_e32 v41, 2, v41
	ds_bpermute_b32 v49, v41, v40
	ds_bpermute_b32 v50, v41, v38
	;; [unrolled: 1-line block ×3, first 2 shown]
	s_and_saveexec_b64 s[52:53], vcc
	s_cbranch_execz .LBB1501_126
; %bb.83:
	v_mov_b32_e32 v42, 0
	ds_read_b32 v52, v42 offset:1104
	ds_read_b64 v[38:39], v42 offset:1112
	s_and_saveexec_b64 s[4:5], s[34:35]
	s_cbranch_execz .LBB1501_85
; %bb.84:
	s_add_i32 s62, s64, 64
	s_mov_b32 s63, 0
	s_lshl_b64 s[66:67], s[62:63], 4
	s_add_u32 s66, s40, s66
	s_addc_u32 s67, s41, s67
	v_mov_b32_e32 v40, 1
	v_mov_b32_e32 v41, s62
	s_waitcnt lgkmcnt(1)
	global_store_dword v42, v52, s[66:67]
	s_waitcnt lgkmcnt(0)
	global_store_dwordx2 v42, v[38:39], s[66:67] offset:8
	s_waitcnt vmcnt(0)
	buffer_wbinvl1_vol
	global_store_byte v41, v40, s[44:45]
.LBB1501_85:
	s_or_b64 exec, exec, s[4:5]
	v_xad_u32 v40, v45, -1, s64
	v_add_u32_e32 v41, 64, v40
	global_load_ubyte v53, v41, s[44:45] glc
	s_waitcnt vmcnt(0)
	v_cmp_eq_u16_e32 vcc, 0, v53
	s_and_saveexec_b64 s[4:5], vcc
	s_cbranch_execz .LBB1501_89
; %bb.86:
	v_mov_b32_e32 v44, s45
	v_add_co_u32_e32 v43, vcc, s44, v41
	v_addc_co_u32_e32 v44, vcc, 0, v44, vcc
	s_mov_b64 s[62:63], 0
.LBB1501_87:                            ; =>This Inner Loop Header: Depth=1
	global_load_ubyte v53, v[43:44], off glc
	s_waitcnt vmcnt(0)
	v_cmp_ne_u16_e32 vcc, 0, v53
	s_or_b64 s[62:63], vcc, s[62:63]
	s_andn2_b64 exec, exec, s[62:63]
	s_cbranch_execnz .LBB1501_87
; %bb.88:
	s_or_b64 exec, exec, s[62:63]
.LBB1501_89:
	s_or_b64 exec, exec, s[4:5]
	v_mov_b32_e32 v43, s43
	v_mov_b32_e32 v44, s41
	v_cmp_eq_u16_e32 vcc, 1, v53
	v_cndmask_b32_e32 v43, v43, v44, vcc
	v_mov_b32_e32 v44, s42
	v_mov_b32_e32 v46, s40
	v_lshlrev_b64 v[41:42], 4, v[41:42]
	v_cndmask_b32_e32 v44, v44, v46, vcc
	v_add_co_u32_e32 v41, vcc, v44, v41
	v_addc_co_u32_e32 v42, vcc, v43, v42, vcc
	s_waitcnt lgkmcnt(0)
	buffer_wbinvl1_vol
	global_load_dword v68, v[41:42], off
	global_load_dwordx2 v[46:47], v[41:42], off offset:8
	v_and_b32_e32 v54, 63, v45
	v_lshlrev_b64 v[42:43], v45, -1
	v_cmp_ne_u32_e64 s[4:5], 63, v54
	v_cmp_eq_u16_e32 vcc, 2, v53
	v_addc_co_u32_e64 v41, s[4:5], 0, v45, s[4:5]
	v_and_b32_e32 v44, vcc_hi, v43
	v_lshlrev_b32_e32 v55, 2, v41
	v_or_b32_e32 v41, 0x80000000, v44
	v_and_b32_e32 v58, vcc_lo, v42
	v_ffbl_b32_e32 v41, v41
	v_add_u32_e32 v41, 32, v41
	v_ffbl_b32_e32 v58, v58
	v_min_u32_e32 v41, v58, v41
	v_cmp_lt_u32_e32 vcc, v54, v41
	s_waitcnt vmcnt(1)
	ds_bpermute_b32 v56, v55, v68
	s_waitcnt vmcnt(0)
	ds_bpermute_b32 v44, v55, v46
	ds_bpermute_b32 v57, v55, v47
	s_and_saveexec_b64 s[4:5], vcc
	s_cbranch_execz .LBB1501_91
; %bb.90:
	v_cmp_eq_u32_e32 vcc, 0, v68
	s_waitcnt lgkmcnt(1)
	v_cndmask_b32_e32 v44, 0, v44, vcc
	v_add_u32_e32 v56, v56, v68
	s_waitcnt lgkmcnt(0)
	v_cndmask_b32_e32 v57, 0, v57, vcc
	v_add_co_u32_e32 v46, vcc, v44, v46
	v_addc_co_u32_e32 v47, vcc, v57, v47, vcc
	v_mov_b32_e32 v68, v56
.LBB1501_91:
	s_or_b64 exec, exec, s[4:5]
	v_cmp_gt_u32_e32 vcc, 62, v54
	s_waitcnt lgkmcnt(1)
	v_cndmask_b32_e64 v44, 0, 2, vcc
	v_add_lshl_u32 v56, v44, v45, 2
	ds_bpermute_b32 v58, v56, v68
	ds_bpermute_b32 v44, v56, v46
	ds_bpermute_b32 v59, v56, v47
	s_waitcnt lgkmcnt(3)
	v_add_u32_e32 v57, 2, v54
	v_cmp_le_u32_e32 vcc, v57, v41
	s_and_saveexec_b64 s[4:5], vcc
	s_cbranch_execz .LBB1501_93
; %bb.92:
	v_cmp_eq_u32_e32 vcc, 0, v68
	s_waitcnt lgkmcnt(1)
	v_cndmask_b32_e32 v44, 0, v44, vcc
	v_add_u32_e32 v58, v58, v68
	s_waitcnt lgkmcnt(0)
	v_cndmask_b32_e32 v59, 0, v59, vcc
	v_add_co_u32_e32 v46, vcc, v44, v46
	v_addc_co_u32_e32 v47, vcc, v59, v47, vcc
	v_mov_b32_e32 v68, v58
.LBB1501_93:
	s_or_b64 exec, exec, s[4:5]
	v_cmp_gt_u32_e32 vcc, 60, v54
	s_waitcnt lgkmcnt(1)
	v_cndmask_b32_e64 v44, 0, 4, vcc
	v_add_lshl_u32 v58, v44, v45, 2
	ds_bpermute_b32 v60, v58, v68
	ds_bpermute_b32 v44, v58, v46
	ds_bpermute_b32 v61, v58, v47
	s_waitcnt lgkmcnt(3)
	v_add_u32_e32 v59, 4, v54
	v_cmp_le_u32_e32 vcc, v59, v41
	;; [unrolled: 24-line block ×4, first 2 shown]
	s_and_saveexec_b64 s[4:5], vcc
	s_cbranch_execz .LBB1501_99
; %bb.98:
	v_cmp_eq_u32_e32 vcc, 0, v68
	s_waitcnt lgkmcnt(1)
	v_cndmask_b32_e32 v44, 0, v44, vcc
	v_add_u32_e32 v64, v64, v68
	s_waitcnt lgkmcnt(0)
	v_cndmask_b32_e32 v65, 0, v65, vcc
	v_add_co_u32_e32 v46, vcc, v44, v46
	v_addc_co_u32_e32 v47, vcc, v65, v47, vcc
	v_mov_b32_e32 v68, v64
.LBB1501_99:
	s_or_b64 exec, exec, s[4:5]
	s_waitcnt lgkmcnt(1)
	v_mov_b32_e32 v44, 0x80
	s_waitcnt lgkmcnt(0)
	v_lshl_or_b32 v65, v45, 2, v44
	ds_bpermute_b32 v45, v65, v68
	ds_bpermute_b32 v44, v65, v46
	;; [unrolled: 1-line block ×3, first 2 shown]
	v_add_u32_e32 v66, 32, v54
	v_cmp_le_u32_e32 vcc, v66, v41
	s_and_saveexec_b64 s[4:5], vcc
	s_cbranch_execz .LBB1501_101
; %bb.100:
	v_cmp_eq_u32_e32 vcc, 0, v68
	s_waitcnt lgkmcnt(1)
	v_cndmask_b32_e32 v44, 0, v44, vcc
	v_add_u32_e32 v41, v45, v68
	s_waitcnt lgkmcnt(0)
	v_cndmask_b32_e32 v45, 0, v64, vcc
	v_add_co_u32_e32 v46, vcc, v44, v46
	v_addc_co_u32_e32 v47, vcc, v45, v47, vcc
	v_mov_b32_e32 v68, v41
.LBB1501_101:
	s_or_b64 exec, exec, s[4:5]
	v_mov_b32_e32 v41, 0
	v_mov_b32_e32 v67, 2
	s_branch .LBB1501_104
.LBB1501_102:                           ;   in Loop: Header=BB1501_104 Depth=1
	s_or_b64 exec, exec, s[4:5]
	v_cmp_eq_u32_e32 vcc, 0, v64
	v_cndmask_b32_e32 v46, 0, v46, vcc
	v_cndmask_b32_e32 v47, 0, v47, vcc
	v_add_co_u32_e32 v46, vcc, v46, v44
	v_subrev_u32_e32 v40, 64, v40
	v_add_u32_e32 v68, v69, v64
	v_addc_co_u32_e32 v47, vcc, v47, v45, vcc
	s_mov_b64 s[4:5], 0
.LBB1501_103:                           ;   in Loop: Header=BB1501_104 Depth=1
	s_and_b64 vcc, exec, s[4:5]
	s_cbranch_vccnz .LBB1501_122
.LBB1501_104:                           ; =>This Loop Header: Depth=1
                                        ;     Child Loop BB1501_107 Depth 2
	s_waitcnt lgkmcnt(1)
	v_mov_b32_e32 v44, v46
	v_cmp_ne_u16_sdwa s[4:5], v53, v67 src0_sel:BYTE_0 src1_sel:DWORD
	v_mov_b32_e32 v45, v47
	s_waitcnt lgkmcnt(0)
	v_mov_b32_e32 v64, v68
	s_cmp_lg_u64 s[4:5], exec
	s_mov_b64 s[4:5], -1
                                        ; implicit-def: $vgpr46_vgpr47
                                        ; implicit-def: $vgpr68
                                        ; implicit-def: $vgpr53
	s_cbranch_scc1 .LBB1501_103
; %bb.105:                              ;   in Loop: Header=BB1501_104 Depth=1
	global_load_ubyte v53, v40, s[44:45] glc
	s_waitcnt vmcnt(0)
	v_cmp_eq_u16_e32 vcc, 0, v53
	s_and_saveexec_b64 s[4:5], vcc
	s_cbranch_execz .LBB1501_109
; %bb.106:                              ;   in Loop: Header=BB1501_104 Depth=1
	v_mov_b32_e32 v47, s45
	v_add_co_u32_e32 v46, vcc, s44, v40
	v_addc_co_u32_e32 v47, vcc, 0, v47, vcc
	s_mov_b64 s[62:63], 0
.LBB1501_107:                           ;   Parent Loop BB1501_104 Depth=1
                                        ; =>  This Inner Loop Header: Depth=2
	global_load_ubyte v53, v[46:47], off glc
	s_waitcnt vmcnt(0)
	v_cmp_ne_u16_e32 vcc, 0, v53
	s_or_b64 s[62:63], vcc, s[62:63]
	s_andn2_b64 exec, exec, s[62:63]
	s_cbranch_execnz .LBB1501_107
; %bb.108:                              ;   in Loop: Header=BB1501_104 Depth=1
	s_or_b64 exec, exec, s[62:63]
.LBB1501_109:                           ;   in Loop: Header=BB1501_104 Depth=1
	s_or_b64 exec, exec, s[4:5]
	v_mov_b32_e32 v46, s43
	v_mov_b32_e32 v47, s41
	v_cmp_eq_u16_e32 vcc, 1, v53
	v_cndmask_b32_e32 v68, v46, v47, vcc
	v_mov_b32_e32 v46, s42
	v_mov_b32_e32 v47, s40
	v_cndmask_b32_e32 v69, v46, v47, vcc
	v_lshlrev_b64 v[46:47], 4, v[40:41]
	buffer_wbinvl1_vol
	v_add_co_u32_e32 v46, vcc, v69, v46
	v_addc_co_u32_e32 v47, vcc, v68, v47, vcc
	global_load_dword v69, v[46:47], off
	s_nop 0
	global_load_dwordx2 v[46:47], v[46:47], off offset:8
	v_cmp_eq_u16_e32 vcc, 2, v53
	v_and_b32_e32 v68, vcc_hi, v43
	v_or_b32_e32 v68, 0x80000000, v68
	v_and_b32_e32 v100, vcc_lo, v42
	v_ffbl_b32_e32 v68, v68
	v_add_u32_e32 v68, 32, v68
	v_ffbl_b32_e32 v100, v100
	v_min_u32_e32 v68, v100, v68
	v_cmp_lt_u32_e32 vcc, v54, v68
	s_waitcnt vmcnt(1)
	ds_bpermute_b32 v73, v55, v69
	s_waitcnt vmcnt(0)
	ds_bpermute_b32 v72, v55, v46
	ds_bpermute_b32 v99, v55, v47
	s_and_saveexec_b64 s[4:5], vcc
	s_cbranch_execz .LBB1501_111
; %bb.110:                              ;   in Loop: Header=BB1501_104 Depth=1
	v_cmp_eq_u32_e32 vcc, 0, v69
	s_waitcnt lgkmcnt(1)
	v_cndmask_b32_e32 v72, 0, v72, vcc
	v_add_u32_e32 v73, v73, v69
	s_waitcnt lgkmcnt(0)
	v_cndmask_b32_e32 v69, 0, v99, vcc
	v_add_co_u32_e32 v46, vcc, v72, v46
	v_addc_co_u32_e32 v47, vcc, v69, v47, vcc
	v_mov_b32_e32 v69, v73
.LBB1501_111:                           ;   in Loop: Header=BB1501_104 Depth=1
	s_or_b64 exec, exec, s[4:5]
	s_waitcnt lgkmcnt(2)
	ds_bpermute_b32 v73, v56, v69
	s_waitcnt lgkmcnt(2)
	ds_bpermute_b32 v72, v56, v46
	s_waitcnt lgkmcnt(2)
	ds_bpermute_b32 v99, v56, v47
	v_cmp_le_u32_e32 vcc, v57, v68
	s_and_saveexec_b64 s[4:5], vcc
	s_cbranch_execz .LBB1501_113
; %bb.112:                              ;   in Loop: Header=BB1501_104 Depth=1
	v_cmp_eq_u32_e32 vcc, 0, v69
	s_waitcnt lgkmcnt(1)
	v_cndmask_b32_e32 v72, 0, v72, vcc
	v_add_u32_e32 v73, v73, v69
	s_waitcnt lgkmcnt(0)
	v_cndmask_b32_e32 v69, 0, v99, vcc
	v_add_co_u32_e32 v46, vcc, v72, v46
	v_addc_co_u32_e32 v47, vcc, v69, v47, vcc
	v_mov_b32_e32 v69, v73
.LBB1501_113:                           ;   in Loop: Header=BB1501_104 Depth=1
	s_or_b64 exec, exec, s[4:5]
	s_waitcnt lgkmcnt(2)
	ds_bpermute_b32 v73, v58, v69
	s_waitcnt lgkmcnt(2)
	ds_bpermute_b32 v72, v58, v46
	s_waitcnt lgkmcnt(2)
	ds_bpermute_b32 v99, v58, v47
	v_cmp_le_u32_e32 vcc, v59, v68
	;; [unrolled: 21-line block ×5, first 2 shown]
	s_and_saveexec_b64 s[4:5], vcc
	s_cbranch_execz .LBB1501_102
; %bb.120:                              ;   in Loop: Header=BB1501_104 Depth=1
	v_cmp_eq_u32_e32 vcc, 0, v69
	s_waitcnt lgkmcnt(1)
	v_cndmask_b32_e32 v72, 0, v72, vcc
	v_add_u32_e32 v68, v73, v69
	s_waitcnt lgkmcnt(0)
	v_cndmask_b32_e32 v69, 0, v99, vcc
	v_add_co_u32_e32 v46, vcc, v72, v46
	v_addc_co_u32_e32 v47, vcc, v69, v47, vcc
	v_mov_b32_e32 v69, v68
	s_branch .LBB1501_102
.LBB1501_121:
                                        ; implicit-def: $vgpr36
                                        ; implicit-def: $vgpr38_vgpr39
                                        ; implicit-def: $vgpr40
                                        ; implicit-def: $vgpr66_vgpr67
                                        ; implicit-def: $vgpr42_vgpr43
                                        ; implicit-def: $vgpr44_vgpr45
                                        ; implicit-def: $vgpr46_vgpr47
                                        ; implicit-def: $vgpr48_vgpr49
                                        ; implicit-def: $vgpr50_vgpr51
                                        ; implicit-def: $vgpr52_vgpr53
                                        ; implicit-def: $vgpr54_vgpr55
                                        ; implicit-def: $vgpr56_vgpr57
                                        ; implicit-def: $vgpr58_vgpr59
                                        ; implicit-def: $vgpr60_vgpr61
                                        ; implicit-def: $vgpr62_vgpr63
                                        ; implicit-def: $vgpr64_vgpr65
                                        ; implicit-def: $vgpr68_vgpr69
                                        ; implicit-def: $vgpr72_vgpr73
                                        ; implicit-def: $vgpr37
	s_cbranch_execnz .LBB1501_127
	s_branch .LBB1501_154
.LBB1501_122:
	s_and_saveexec_b64 s[4:5], s[34:35]
	s_cbranch_execz .LBB1501_124
; %bb.123:
	s_mov_b32 s41, 0
	v_cmp_eq_u32_e32 vcc, 0, v52
	s_add_i32 s40, s64, 64
	v_cndmask_b32_e32 v40, 0, v44, vcc
	s_lshl_b64 s[62:63], s[40:41], 4
	v_cndmask_b32_e32 v41, 0, v45, vcc
	v_add_co_u32_e32 v40, vcc, v40, v38
	s_add_u32 s62, s42, s62
	v_add_u32_e32 v42, v64, v52
	v_addc_co_u32_e32 v41, vcc, v41, v39, vcc
	s_addc_u32 s63, s43, s63
	v_mov_b32_e32 v43, 0
	global_store_dword v43, v42, s[62:63]
	global_store_dwordx2 v43, v[40:41], s[62:63] offset:8
	v_mov_b32_e32 v40, 2
	v_mov_b32_e32 v41, s40
	s_waitcnt vmcnt(0) lgkmcnt(0)
	buffer_wbinvl1_vol
	global_store_byte v41, v40, s[44:45]
	ds_write_b32 v43, v52 offset:1024
	ds_write_b64 v43, v[38:39] offset:1032
	ds_write_b32 v43, v64 offset:1040
	ds_write_b64 v43, v[44:45] offset:1048
.LBB1501_124:
	s_or_b64 exec, exec, s[4:5]
	s_and_b64 exec, exec, s[38:39]
	s_cbranch_execz .LBB1501_126
; %bb.125:
	v_mov_b32_e32 v38, 0
	ds_write_b32 v38, v64 offset:1104
	ds_write_b64 v38, v[44:45] offset:1112
.LBB1501_126:
	s_or_b64 exec, exec, s[52:53]
	v_mov_b32_e32 v41, 0
	s_waitcnt vmcnt(0) lgkmcnt(0)
	s_barrier
	ds_read_b32 v40, v41 offset:1104
	ds_read_b64 v[38:39], v41 offset:1112
	v_cndmask_b32_e64 v42, v49, v48, s[34:35]
	v_cmp_eq_u32_e32 vcc, 0, v42
	v_cndmask_b32_e64 v36, v50, v36, s[34:35]
	v_cndmask_b32_e64 v37, v51, v37, s[34:35]
	s_waitcnt lgkmcnt(0)
	v_cndmask_b32_e32 v44, 0, v38, vcc
	v_cndmask_b32_e32 v43, 0, v39, vcc
	v_add_co_u32_e32 v36, vcc, v44, v36
	v_addc_co_u32_e32 v43, vcc, v43, v37, vcc
	v_cndmask_b32_e64 v66, v36, v38, s[38:39]
	v_cmp_eq_u32_e32 vcc, 0, v82
	v_cndmask_b32_e64 v67, v43, v39, s[38:39]
	v_cndmask_b32_e32 v38, 0, v66, vcc
	v_cndmask_b32_e64 v37, v42, 0, s[38:39]
	v_cndmask_b32_e32 v36, 0, v67, vcc
	v_add_co_u32_e32 v42, vcc, v38, v29
	v_addc_co_u32_e32 v43, vcc, v36, v30, vcc
	v_cndmask_b32_e64 v38, 0, v42, s[30:31]
	v_cndmask_b32_e64 v36, 0, v43, s[30:31]
	v_add_co_u32_e32 v44, vcc, v38, v31
	v_addc_co_u32_e32 v45, vcc, v36, v32, vcc
	v_cndmask_b32_e64 v38, 0, v44, s[28:29]
	v_cndmask_b32_e64 v36, 0, v45, s[28:29]
	;; [unrolled: 4-line block ×11, first 2 shown]
	v_add_co_u32_e32 v64, vcc, v38, v11
	v_add_u32_e32 v37, v40, v37
	v_addc_co_u32_e32 v65, vcc, v36, v12, vcc
	s_barrier
	ds_read_b32 v36, v41 offset:1024
	ds_read_b64 v[38:39], v41 offset:1032
	ds_read_b32 v40, v41 offset:1040
	ds_read_b64 v[99:100], v41 offset:1048
	v_cndmask_b32_e64 v68, 0, v64, s[8:9]
	v_cndmask_b32_e64 v69, 0, v65, s[8:9]
	v_add_co_u32_e32 v68, vcc, v68, v1
	v_addc_co_u32_e32 v69, vcc, v69, v2, vcc
	s_waitcnt lgkmcnt(3)
	v_cmp_eq_u32_e32 vcc, 0, v36
	s_waitcnt lgkmcnt(0)
	v_cndmask_b32_e32 v99, 0, v99, vcc
	v_cndmask_b32_e32 v41, 0, v100, vcc
	v_add_co_u32_e32 v38, vcc, v99, v38
	v_cndmask_b32_e64 v73, 0, v69, s[6:7]
	v_cndmask_b32_e64 v72, 0, v68, s[6:7]
	v_addc_co_u32_e32 v39, vcc, v41, v39, vcc
	s_branch .LBB1501_154
.LBB1501_127:
	s_cmp_eq_u64 s[36:37], 0
	s_cselect_b64 s[4:5], -1, 0
	s_or_b64 s[4:5], s[46:47], s[4:5]
	v_mov_b32_e32 v41, v30
	s_and_b64 vcc, exec, s[4:5]
	v_mov_b32_e32 v40, v29
	s_cbranch_vccnz .LBB1501_129
; %bb.128:
	v_mov_b32_e32 v36, 0
	global_load_dwordx2 v[40:41], v36, s[36:37]
.LBB1501_129:
	v_cmp_eq_u32_e64 s[28:29], 0, v95
	v_cndmask_b32_e64 v37, 0, v29, s[28:29]
	v_cndmask_b32_e64 v36, 0, v30, s[28:29]
	v_add_co_u32_e32 v37, vcc, v37, v31
	v_cmp_eq_u32_e64 s[26:27], 0, v94
	v_addc_co_u32_e32 v36, vcc, v36, v32, vcc
	v_cndmask_b32_e64 v37, 0, v37, s[26:27]
	v_cndmask_b32_e64 v36, 0, v36, s[26:27]
	v_add_co_u32_e32 v37, vcc, v37, v25
	v_cmp_eq_u32_e64 s[24:25], 0, v93
	v_addc_co_u32_e32 v36, vcc, v36, v26, vcc
	;; [unrolled: 5-line block ×11, first 2 shown]
	v_cndmask_b32_e64 v37, 0, v37, s[8:9]
	v_cndmask_b32_e64 v36, 0, v36, s[8:9]
	v_add_co_u32_e32 v37, vcc, v37, v1
	v_addc_co_u32_e32 v36, vcc, v36, v2, vcc
	v_cmp_eq_u32_e32 vcc, 0, v92
	v_add3_u32 v38, v98, v84, v85
	v_cndmask_b32_e32 v37, 0, v37, vcc
	v_add3_u32 v38, v38, v86, v87
	v_cndmask_b32_e32 v36, 0, v36, vcc
	v_add_co_u32_e64 v37, s[4:5], v37, v3
	v_add3_u32 v38, v38, v88, v89
	v_addc_co_u32_e64 v36, s[4:5], v36, v4, s[4:5]
	v_add3_u32 v38, v38, v90, v91
	v_cmp_eq_u32_e64 s[4:5], 0, v96
	v_add3_u32 v43, v38, v92, v96
	v_cndmask_b32_e64 v38, 0, v36, s[4:5]
	v_cndmask_b32_e64 v36, 0, v37, s[4:5]
	v_add_co_u32_e64 v36, s[4:5], v36, v70
	v_mbcnt_hi_u32_b32 v42, -1, v97
	v_addc_co_u32_e64 v37, s[4:5], v38, v71, s[4:5]
	v_and_b32_e32 v38, 15, v42
	v_mov_b32_dpp v44, v43 row_shr:1 row_mask:0xf bank_mask:0xf
	v_mov_b32_dpp v39, v36 row_shr:1 row_mask:0xf bank_mask:0xf
	;; [unrolled: 1-line block ×3, first 2 shown]
	v_cmp_ne_u32_e64 s[4:5], 0, v38
	s_and_saveexec_b64 s[30:31], s[4:5]
; %bb.130:
	v_cmp_eq_u32_e64 s[4:5], 0, v43
	v_cndmask_b32_e64 v39, 0, v39, s[4:5]
	v_add_u32_e32 v44, v44, v43
	v_cndmask_b32_e64 v43, 0, v45, s[4:5]
	v_add_co_u32_e64 v36, s[4:5], v39, v36
	v_addc_co_u32_e64 v37, s[4:5], v43, v37, s[4:5]
	v_mov_b32_e32 v43, v44
; %bb.131:
	s_or_b64 exec, exec, s[30:31]
	s_nop 0
	v_mov_b32_dpp v44, v43 row_shr:2 row_mask:0xf bank_mask:0xf
	v_mov_b32_dpp v39, v36 row_shr:2 row_mask:0xf bank_mask:0xf
	v_mov_b32_dpp v45, v37 row_shr:2 row_mask:0xf bank_mask:0xf
	v_cmp_lt_u32_e64 s[4:5], 1, v38
	s_and_saveexec_b64 s[30:31], s[4:5]
; %bb.132:
	v_cmp_eq_u32_e64 s[4:5], 0, v43
	v_cndmask_b32_e64 v39, 0, v39, s[4:5]
	v_add_u32_e32 v44, v44, v43
	v_cndmask_b32_e64 v43, 0, v45, s[4:5]
	v_add_co_u32_e64 v36, s[4:5], v39, v36
	v_addc_co_u32_e64 v37, s[4:5], v43, v37, s[4:5]
	v_mov_b32_e32 v43, v44
; %bb.133:
	s_or_b64 exec, exec, s[30:31]
	s_nop 0
	v_mov_b32_dpp v44, v43 row_shr:4 row_mask:0xf bank_mask:0xf
	v_mov_b32_dpp v39, v36 row_shr:4 row_mask:0xf bank_mask:0xf
	v_mov_b32_dpp v45, v37 row_shr:4 row_mask:0xf bank_mask:0xf
	v_cmp_lt_u32_e64 s[4:5], 3, v38
	;; [unrolled: 16-line block ×3, first 2 shown]
	s_and_saveexec_b64 s[30:31], s[4:5]
; %bb.136:
	v_cmp_eq_u32_e64 s[4:5], 0, v43
	v_cndmask_b32_e64 v39, 0, v39, s[4:5]
	v_add_u32_e32 v38, v44, v43
	v_cndmask_b32_e64 v43, 0, v45, s[4:5]
	v_add_co_u32_e64 v36, s[4:5], v39, v36
	v_addc_co_u32_e64 v37, s[4:5], v43, v37, s[4:5]
	v_mov_b32_e32 v43, v38
; %bb.137:
	s_or_b64 exec, exec, s[30:31]
	v_and_b32_e32 v45, 16, v42
	v_mov_b32_dpp v39, v43 row_bcast:15 row_mask:0xf bank_mask:0xf
	v_mov_b32_dpp v38, v36 row_bcast:15 row_mask:0xf bank_mask:0xf
	;; [unrolled: 1-line block ×3, first 2 shown]
	v_cmp_ne_u32_e64 s[4:5], 0, v45
	s_and_saveexec_b64 s[30:31], s[4:5]
; %bb.138:
	v_cmp_eq_u32_e64 s[4:5], 0, v43
	v_cndmask_b32_e64 v38, 0, v38, s[4:5]
	v_add_u32_e32 v39, v39, v43
	v_cndmask_b32_e64 v43, 0, v44, s[4:5]
	v_add_co_u32_e64 v36, s[4:5], v38, v36
	v_addc_co_u32_e64 v37, s[4:5], v43, v37, s[4:5]
	v_mov_b32_e32 v43, v39
; %bb.139:
	s_or_b64 exec, exec, s[30:31]
	s_nop 0
	v_mov_b32_dpp v39, v43 row_bcast:31 row_mask:0xf bank_mask:0xf
	v_mov_b32_dpp v38, v36 row_bcast:31 row_mask:0xf bank_mask:0xf
	;; [unrolled: 1-line block ×3, first 2 shown]
	v_cmp_lt_u32_e64 s[4:5], 31, v42
	s_and_saveexec_b64 s[30:31], s[4:5]
; %bb.140:
	v_cmp_eq_u32_e64 s[4:5], 0, v43
	v_cndmask_b32_e64 v38, 0, v38, s[4:5]
	v_add_u32_e32 v39, v39, v43
	v_cndmask_b32_e64 v43, 0, v44, s[4:5]
	v_add_co_u32_e64 v36, s[4:5], v38, v36
	v_addc_co_u32_e64 v37, s[4:5], v43, v37, s[4:5]
	v_mov_b32_e32 v43, v39
; %bb.141:
	s_or_b64 exec, exec, s[30:31]
	v_lshrrev_b32_e32 v38, 6, v0
	v_or_b32_e32 v39, 63, v0
	v_cmp_eq_u32_e64 s[4:5], v0, v39
	v_lshlrev_b32_e32 v44, 4, v38
	s_and_saveexec_b64 s[30:31], s[4:5]
	s_cbranch_execz .LBB1501_143
; %bb.142:
	ds_write_b32 v44, v43 offset:1056
	ds_write_b64 v44, v[36:37] offset:1064
.LBB1501_143:
	s_or_b64 exec, exec, s[30:31]
	v_cmp_gt_u32_e64 s[4:5], 4, v0
	s_waitcnt vmcnt(0) lgkmcnt(0)
	s_barrier
	s_and_saveexec_b64 s[30:31], s[4:5]
	s_cbranch_execz .LBB1501_149
; %bb.144:
	v_lshlrev_b32_e32 v45, 4, v0
	ds_read_b32 v46, v45 offset:1056
	ds_read_b64 v[38:39], v45 offset:1064
	v_and_b32_e32 v47, 3, v42
	v_cmp_ne_u32_e64 s[4:5], 0, v47
	s_waitcnt lgkmcnt(1)
	v_mov_b32_dpp v49, v46 row_shr:1 row_mask:0xf bank_mask:0xf
	s_waitcnt lgkmcnt(0)
	v_mov_b32_dpp v48, v38 row_shr:1 row_mask:0xf bank_mask:0xf
	v_mov_b32_dpp v50, v39 row_shr:1 row_mask:0xf bank_mask:0xf
	s_and_saveexec_b64 s[34:35], s[4:5]
; %bb.145:
	v_cmp_eq_u32_e64 s[4:5], 0, v46
	v_cndmask_b32_e64 v48, 0, v48, s[4:5]
	v_add_u32_e32 v49, v49, v46
	v_cndmask_b32_e64 v46, 0, v50, s[4:5]
	v_add_co_u32_e64 v38, s[4:5], v48, v38
	v_addc_co_u32_e64 v39, s[4:5], v46, v39, s[4:5]
	v_mov_b32_e32 v46, v49
; %bb.146:
	s_or_b64 exec, exec, s[34:35]
	s_nop 0
	v_mov_b32_dpp v49, v46 row_shr:2 row_mask:0xf bank_mask:0xf
	v_mov_b32_dpp v48, v38 row_shr:2 row_mask:0xf bank_mask:0xf
	;; [unrolled: 1-line block ×3, first 2 shown]
	v_cmp_lt_u32_e64 s[4:5], 1, v47
	s_and_saveexec_b64 s[34:35], s[4:5]
; %bb.147:
	v_cmp_eq_u32_e64 s[4:5], 0, v46
	v_cndmask_b32_e64 v48, 0, v48, s[4:5]
	v_add_u32_e32 v47, v49, v46
	v_cndmask_b32_e64 v46, 0, v50, s[4:5]
	v_add_co_u32_e64 v38, s[4:5], v48, v38
	v_addc_co_u32_e64 v39, s[4:5], v46, v39, s[4:5]
	v_mov_b32_e32 v46, v47
; %bb.148:
	s_or_b64 exec, exec, s[34:35]
	ds_write_b32 v45, v46 offset:1056
	ds_write_b64 v45, v[38:39] offset:1064
.LBB1501_149:
	s_or_b64 exec, exec, s[30:31]
	v_mov_b32_e32 v38, v40
	v_cmp_lt_u32_e64 s[4:5], 63, v0
	v_mov_b32_e32 v70, 0
	v_mov_b32_e32 v45, 0
	;; [unrolled: 1-line block ×3, first 2 shown]
	s_waitcnt lgkmcnt(0)
	s_barrier
	s_and_saveexec_b64 s[30:31], s[4:5]
	s_cbranch_execz .LBB1501_151
; %bb.150:
	ds_read_b32 v45, v44 offset:1040
	ds_read_b64 v[38:39], v44 offset:1048
	s_waitcnt lgkmcnt(1)
	v_cmp_eq_u32_e64 s[4:5], 0, v45
	v_cndmask_b32_e64 v46, 0, v40, s[4:5]
	v_cndmask_b32_e64 v44, 0, v41, s[4:5]
	s_waitcnt lgkmcnt(0)
	v_add_co_u32_e64 v38, s[4:5], v46, v38
	v_addc_co_u32_e64 v39, s[4:5], v44, v39, s[4:5]
.LBB1501_151:
	s_or_b64 exec, exec, s[30:31]
	v_cmp_eq_u32_e64 s[4:5], 0, v43
	v_cndmask_b32_e64 v46, 0, v38, s[4:5]
	v_add_u32_e32 v44, v45, v43
	v_cndmask_b32_e64 v43, 0, v39, s[4:5]
	v_add_co_u32_e64 v36, s[4:5], v46, v36
	v_addc_co_u32_e64 v37, s[4:5], v43, v37, s[4:5]
	v_subrev_co_u32_e64 v43, s[4:5], 1, v42
	v_and_b32_e32 v46, 64, v42
	v_cmp_lt_i32_e64 s[30:31], v43, v46
	v_cndmask_b32_e64 v42, v43, v42, s[30:31]
	v_lshlrev_b32_e32 v42, 2, v42
	ds_bpermute_b32 v36, v42, v36
	ds_bpermute_b32 v43, v42, v44
	;; [unrolled: 1-line block ×3, first 2 shown]
	s_waitcnt lgkmcnt(2)
	v_cndmask_b32_e64 v66, v36, v38, s[4:5]
	s_waitcnt lgkmcnt(1)
	v_cndmask_b32_e64 v37, v43, v45, s[4:5]
	;; [unrolled: 2-line block ×3, first 2 shown]
	v_cndmask_b32_e64 v36, v66, v40, s[38:39]
	v_cmp_eq_u32_e64 s[4:5], 0, v82
	v_cndmask_b32_e64 v38, v67, v41, s[38:39]
	v_cndmask_b32_e64 v36, 0, v36, s[4:5]
	;; [unrolled: 1-line block ×3, first 2 shown]
	v_add_co_u32_e64 v42, s[4:5], v36, v29
	v_addc_co_u32_e64 v43, s[4:5], v38, v30, s[4:5]
	v_cndmask_b32_e64 v30, 0, v42, s[28:29]
	v_cndmask_b32_e64 v29, 0, v43, s[28:29]
	v_add_co_u32_e64 v44, s[4:5], v30, v31
	v_addc_co_u32_e64 v45, s[4:5], v29, v32, s[4:5]
	v_cndmask_b32_e64 v30, 0, v44, s[26:27]
	v_cndmask_b32_e64 v29, 0, v45, s[26:27]
	;; [unrolled: 4-line block ×11, first 2 shown]
	v_add_co_u32_e64 v64, s[4:5], v10, v11
	v_addc_co_u32_e64 v65, s[4:5], v9, v12, s[4:5]
	v_cndmask_b32_e64 v10, 0, v64, s[8:9]
	ds_read_b32 v36, v70 offset:1104
	v_cndmask_b32_e64 v9, 0, v65, s[8:9]
	v_add_co_u32_e64 v68, s[4:5], v10, v1
	v_addc_co_u32_e64 v69, s[4:5], v9, v2, s[4:5]
	ds_read_b64 v[1:2], v70 offset:1112
	v_cndmask_b32_e32 v73, 0, v69, vcc
	v_cndmask_b32_e32 v72, 0, v68, vcc
	s_waitcnt lgkmcnt(1)
	v_cmp_eq_u32_e32 vcc, 0, v36
	v_cndmask_b32_e32 v10, 0, v40, vcc
	v_cndmask_b32_e32 v9, 0, v41, vcc
	s_waitcnt lgkmcnt(0)
	v_add_co_u32_e32 v38, vcc, v10, v1
	v_addc_co_u32_e32 v39, vcc, v9, v2, vcc
	s_and_saveexec_b64 s[4:5], s[38:39]
	s_cbranch_execz .LBB1501_153
; %bb.152:
	v_mov_b32_e32 v67, v41
	v_mov_b32_e32 v37, 0
	;; [unrolled: 1-line block ×4, first 2 shown]
	global_store_dword v37, v36, s[42:43] offset:1024
	global_store_dwordx2 v37, v[38:39], s[42:43] offset:1032
	s_waitcnt vmcnt(0)
	buffer_wbinvl1_vol
	global_store_byte v37, v1, s[44:45] offset:64
.LBB1501_153:
	s_or_b64 exec, exec, s[4:5]
	v_mov_b32_e32 v40, 0
.LBB1501_154:
	s_cmp_eq_u64 s[54:55], 0
	s_cselect_b64 s[4:5], -1, 0
	s_or_b64 s[4:5], s[46:47], s[4:5]
	v_mov_b32_e32 v9, 0
	s_and_b64 vcc, exec, s[4:5]
	v_mov_b32_e32 v10, 0
	s_waitcnt vmcnt(0)
	s_barrier
	s_cbranch_vccnz .LBB1501_156
; %bb.155:
	v_mov_b32_e32 v1, 0
	global_load_dwordx2 v[9:10], v1, s[54:55]
.LBB1501_156:
	buffer_load_dword v27, off, s[0:3], 0
	buffer_load_dword v28, off, s[0:3], 0 offset:4
	buffer_load_dword v29, off, s[0:3], 0 offset:8
	;; [unrolled: 1-line block ×13, first 2 shown]
	v_add_u32_e32 v24, v37, v82
	buffer_load_dword v82, off, s[0:3], 0 offset:56
	s_waitcnt vmcnt(15)
	v_lshlrev_b64 v[1:2], 1, v[9:10]
	v_mov_b32_e32 v41, 0
	v_mov_b32_e32 v13, s57
	v_lshlrev_b64 v[11:12], 1, v[40:41]
	v_add_co_u32_e32 v1, vcc, s56, v1
	v_addc_co_u32_e32 v2, vcc, v13, v2, vcc
	v_add_co_u32_e32 v25, vcc, v1, v11
	v_addc_co_u32_e32 v26, vcc, v2, v12, vcc
	v_add_u32_e32 v23, v24, v95
	v_add_u32_e32 v22, v23, v94
	;; [unrolled: 1-line block ×11, first 2 shown]
	s_movk_i32 s4, 0x100
	v_add_u32_e32 v12, v13, v91
	v_add_u32_e32 v11, v12, v92
	s_mov_b64 s[40:41], -1
	s_waitcnt vmcnt(14)
	v_cmp_eq_u32_e32 vcc, 0, v27
	v_cndmask_b32_e64 v1, 1, 2, vcc
	s_waitcnt vmcnt(13)
	v_cmp_eq_u32_e32 vcc, 0, v28
	v_cndmask_b32_e64 v2, 1, 2, vcc
	s_waitcnt vmcnt(12)
	v_cmp_eq_u32_e32 vcc, 0, v29
	v_cmp_ne_u32_e64 s[36:37], 0, v27
	v_cndmask_b32_e64 v27, 1, 2, vcc
	s_waitcnt vmcnt(11)
	v_cmp_eq_u32_e32 vcc, 0, v30
	v_and_b32_e32 v1, v2, v1
	v_cmp_ne_u32_e64 s[34:35], 0, v28
	v_cndmask_b32_e64 v28, 1, 2, vcc
	s_waitcnt vmcnt(10)
	v_cmp_eq_u32_e32 vcc, 0, v31
	v_and_b32_e32 v1, v1, v27
	;; [unrolled: 5-line block ×8, first 2 shown]
	v_cndmask_b32_e64 v83, 1, 2, vcc
	s_waitcnt vmcnt(3)
	v_cmp_eq_u32_e32 vcc, 0, v99
	v_and_b32_e32 v1, v1, v71
	v_cndmask_b32_e64 v84, 1, 2, vcc
	s_waitcnt vmcnt(2)
	v_cmp_eq_u32_e32 vcc, 0, v100
	v_and_b32_e32 v1, v1, v83
	v_cndmask_b32_e64 v85, 1, 2, vcc
	v_and_b32_e32 v1, v1, v84
	s_waitcnt vmcnt(1)
	v_cmp_eq_u32_e32 vcc, 0, v101
	v_and_b32_e32 v1, v1, v85
	v_cndmask_b32_e64 v2, 1, 2, vcc
	s_waitcnt vmcnt(0)
	v_cmp_eq_u32_e32 vcc, 0, v82
	v_and_b32_e32 v1, v1, v2
	v_cndmask_b32_e64 v2, 1, 2, vcc
	v_and_b32_e32 v1, v1, v2
	v_cmp_gt_u32_e32 vcc, s4, v36
	v_cmp_ne_u32_e64 s[18:19], 0, v96
	v_cmp_ne_u32_e64 s[16:17], 0, v97
	;; [unrolled: 1-line block ×7, first 2 shown]
	v_cmp_gt_i16_e64 s[4:5], 2, v1
	s_cbranch_vccz .LBB1501_163
; %bb.157:
	s_and_saveexec_b64 s[40:41], s[4:5]
	s_cbranch_execz .LBB1501_162
; %bb.158:
	v_cmp_ne_u16_e32 vcc, 1, v1
	s_mov_b64 s[42:43], 0
	s_and_saveexec_b64 s[4:5], vcc
	s_xor_b64 s[4:5], exec, s[4:5]
	s_cbranch_execnz .LBB1501_210
; %bb.159:
	s_andn2_saveexec_b64 s[4:5], s[4:5]
	s_cbranch_execnz .LBB1501_226
.LBB1501_160:
	s_or_b64 exec, exec, s[4:5]
	s_and_b64 exec, exec, s[42:43]
	s_cbranch_execz .LBB1501_162
.LBB1501_161:
	v_sub_u32_e32 v27, v11, v40
	v_mov_b32_e32 v28, 0
	v_lshlrev_b64 v[27:28], 1, v[27:28]
	v_add_co_u32_e32 v27, vcc, v25, v27
	v_addc_co_u32_e32 v28, vcc, v26, v28, vcc
	global_store_short v[27:28], v74, off
.LBB1501_162:
	s_or_b64 exec, exec, s[40:41]
	s_mov_b64 s[40:41], 0
.LBB1501_163:
	s_and_b64 vcc, exec, s[40:41]
	s_cbranch_vccz .LBB1501_185
; %bb.164:
	v_cmp_gt_i16_e32 vcc, 2, v1
	s_and_saveexec_b64 s[4:5], vcc
	s_cbranch_execz .LBB1501_169
; %bb.165:
	v_cmp_ne_u16_e32 vcc, 1, v1
	s_mov_b64 s[42:43], 0
	s_and_saveexec_b64 s[40:41], vcc
	s_xor_b64 s[40:41], exec, s[40:41]
	s_cbranch_execnz .LBB1501_227
; %bb.166:
	s_andn2_saveexec_b64 s[6:7], s[40:41]
	s_cbranch_execnz .LBB1501_243
.LBB1501_167:
	s_or_b64 exec, exec, s[6:7]
	s_and_b64 exec, exec, s[42:43]
.LBB1501_168:
	v_sub_u32_e32 v1, v11, v40
	v_lshlrev_b32_e32 v1, 1, v1
	ds_write_b16 v1, v74
.LBB1501_169:
	s_or_b64 exec, exec, s[4:5]
	v_cmp_lt_u32_e32 vcc, v0, v36
	s_waitcnt vmcnt(0) lgkmcnt(0)
	s_barrier
	s_and_saveexec_b64 s[6:7], vcc
	s_cbranch_execz .LBB1501_184
; %bb.170:
	v_xad_u32 v2, v0, -1, v36
	s_movk_i32 s4, 0x1900
	s_movk_i32 s8, 0x18ff
	v_cmp_gt_u32_e64 s[4:5], s4, v2
	v_cmp_lt_u32_e32 vcc, s8, v2
	v_mov_b32_e32 v1, v0
	s_and_saveexec_b64 s[8:9], vcc
	s_cbranch_execz .LBB1501_181
; %bb.171:
	v_sub_u32_e32 v1, v0, v36
	v_or_b32_e32 v1, 0xff, v1
	v_cmp_ge_u32_e32 vcc, v1, v0
	s_mov_b64 s[12:13], -1
	v_mov_b32_e32 v1, v0
	s_and_saveexec_b64 s[10:11], vcc
	s_cbranch_execz .LBB1501_180
; %bb.172:
	v_lshrrev_b32_e32 v7, 8, v2
	v_add_u32_e32 v2, -1, v7
	v_or_b32_e32 v1, 0x100, v0
	v_lshrrev_b32_e32 v5, 1, v2
	v_add_u32_e32 v27, 1, v5
	v_mov_b32_e32 v6, v1
	s_mov_b32 s16, 0
	v_cmp_lt_u32_e32 vcc, 13, v2
	v_mov_b32_e32 v30, 0
	v_lshlrev_b32_e32 v8, 1, v0
	v_mov_b32_e32 v5, v0
	s_and_saveexec_b64 s[12:13], vcc
	s_cbranch_execz .LBB1501_176
; %bb.173:
	v_mov_b32_e32 v6, v1
	v_and_b32_e32 v28, -8, v27
	s_mov_b64 s[14:15], 0
	v_mov_b32_e32 v2, 0
	v_mov_b32_e32 v29, v8
	;; [unrolled: 1-line block ×3, first 2 shown]
.LBB1501_174:                           ; =>This Inner Loop Header: Depth=1
	v_mov_b32_e32 v1, v5
	v_add_u32_e32 v28, -8, v28
	v_lshlrev_b64 v[80:81], 1, v[1:2]
	v_add_u32_e32 v30, 0x200, v6
	v_mov_b32_e32 v31, v2
	s_add_i32 s16, s16, 16
	v_cmp_eq_u32_e32 vcc, 0, v28
	v_lshlrev_b64 v[82:83], 1, v[30:31]
	s_or_b64 s[14:15], vcc, s[14:15]
	v_add_co_u32_e32 v80, vcc, v25, v80
	v_add_u32_e32 v32, 0x400, v6
	v_mov_b32_e32 v33, v2
	v_addc_co_u32_e32 v81, vcc, v26, v81, vcc
	v_lshlrev_b64 v[31:32], 1, v[32:33]
	v_add_co_u32_e32 v82, vcc, v25, v82
	v_add_u32_e32 v34, 0x600, v6
	v_mov_b32_e32 v35, v2
	v_addc_co_u32_e32 v83, vcc, v26, v83, vcc
	v_lshlrev_b64 v[33:34], 1, v[34:35]
	v_add_co_u32_e32 v31, vcc, v25, v31
	v_add_u32_e32 v70, 0x800, v6
	v_mov_b32_e32 v71, v2
	v_addc_co_u32_e32 v32, vcc, v26, v32, vcc
	v_lshlrev_b64 v[70:71], 1, v[70:71]
	v_add_co_u32_e32 v33, vcc, v25, v33
	v_add_u32_e32 v74, 0xa00, v6
	v_mov_b32_e32 v75, v2
	v_addc_co_u32_e32 v34, vcc, v26, v34, vcc
	v_lshlrev_b64 v[74:75], 1, v[74:75]
	v_add_co_u32_e32 v70, vcc, v25, v70
	v_add_u32_e32 v76, 0xc00, v6
	v_mov_b32_e32 v77, v2
	v_addc_co_u32_e32 v71, vcc, v26, v71, vcc
	v_lshlrev_b64 v[76:77], 1, v[76:77]
	v_add_co_u32_e32 v74, vcc, v25, v74
	v_add_u32_e32 v78, 0xe00, v6
	v_mov_b32_e32 v79, v2
	v_addc_co_u32_e32 v75, vcc, v26, v75, vcc
	v_lshlrev_b64 v[78:79], 1, v[78:79]
	v_add_co_u32_e32 v76, vcc, v25, v76
	v_mov_b32_e32 v1, v6
	v_addc_co_u32_e32 v77, vcc, v26, v77, vcc
	v_lshlrev_b64 v[84:85], 1, v[1:2]
	v_add_co_u32_e32 v78, vcc, v25, v78
	v_add_u32_e32 v1, 0x200, v5
	v_addc_co_u32_e32 v79, vcc, v26, v79, vcc
	v_lshlrev_b64 v[86:87], 1, v[1:2]
	v_add_co_u32_e32 v84, vcc, v25, v84
	v_add_u32_e32 v1, 0x400, v5
	v_addc_co_u32_e32 v85, vcc, v26, v85, vcc
	ds_read_u16 v90, v29
	ds_read_u16 v91, v29 offset:512
	ds_read_u16 v92, v29 offset:1024
	;; [unrolled: 1-line block ×15, first 2 shown]
	v_lshlrev_b64 v[88:89], 1, v[1:2]
	s_waitcnt lgkmcnt(14)
	global_store_short v[80:81], v90, off
	global_store_short v[84:85], v91, off
	v_add_co_u32_e32 v80, vcc, v25, v86
	v_add_u32_e32 v1, 0x600, v5
	v_addc_co_u32_e32 v81, vcc, v26, v87, vcc
	v_lshlrev_b64 v[84:85], 1, v[1:2]
	s_waitcnt lgkmcnt(13)
	global_store_short v[80:81], v92, off
	s_waitcnt lgkmcnt(12)
	global_store_short v[82:83], v93, off
	v_add_co_u32_e32 v80, vcc, v25, v88
	v_add_u32_e32 v1, 0x800, v5
	v_addc_co_u32_e32 v81, vcc, v26, v89, vcc
	v_lshlrev_b64 v[82:83], 1, v[1:2]
	s_waitcnt lgkmcnt(11)
	global_store_short v[80:81], v94, off
	s_waitcnt lgkmcnt(10)
	;; [unrolled: 8-line block ×5, first 2 shown]
	global_store_short v[74:75], v101, off
	v_add_co_u32_e32 v31, vcc, v25, v33
	v_addc_co_u32_e32 v32, vcc, v26, v34, vcc
	s_waitcnt lgkmcnt(3)
	global_store_short v[31:32], v102, off
	s_waitcnt lgkmcnt(2)
	global_store_short v[76:77], v103, off
	v_add_co_u32_e32 v31, vcc, v25, v70
	v_add_u32_e32 v29, 0x2000, v29
	v_add_u32_e32 v6, 0x1000, v6
	v_mov_b32_e32 v30, s16
	v_add_u32_e32 v5, 0x1000, v5
	v_addc_co_u32_e32 v32, vcc, v26, v71, vcc
	s_waitcnt lgkmcnt(1)
	global_store_short v[31:32], v104, off
	s_waitcnt lgkmcnt(0)
	global_store_short v[78:79], v105, off
	s_andn2_b64 exec, exec, s[14:15]
	s_cbranch_execnz .LBB1501_174
; %bb.175:
	s_or_b64 exec, exec, s[14:15]
.LBB1501_176:
	s_or_b64 exec, exec, s[12:13]
	v_and_b32_e32 v27, 7, v27
	v_cmp_ne_u32_e32 vcc, 0, v27
	s_and_saveexec_b64 s[12:13], vcc
	s_cbranch_execz .LBB1501_179
; %bb.177:
	v_lshl_or_b32 v8, v30, 9, v8
	s_mov_b64 s[14:15], 0
	v_mov_b32_e32 v2, 0
.LBB1501_178:                           ; =>This Inner Loop Header: Depth=1
	v_mov_b32_e32 v1, v5
	ds_read_u16 v32, v8
	ds_read_u16 v33, v8 offset:512
	v_add_u32_e32 v27, -1, v27
	v_lshlrev_b64 v[28:29], 1, v[1:2]
	v_mov_b32_e32 v1, v6
	v_cmp_eq_u32_e32 vcc, 0, v27
	v_lshlrev_b64 v[30:31], 1, v[1:2]
	s_or_b64 s[14:15], vcc, s[14:15]
	v_add_co_u32_e32 v28, vcc, v25, v28
	v_addc_co_u32_e32 v29, vcc, v26, v29, vcc
	v_add_u32_e32 v5, 0x200, v5
	v_add_u32_e32 v8, 0x400, v8
	;; [unrolled: 1-line block ×3, first 2 shown]
	v_add_co_u32_e32 v30, vcc, v25, v30
	v_addc_co_u32_e32 v31, vcc, v26, v31, vcc
	s_waitcnt lgkmcnt(1)
	global_store_short v[28:29], v32, off
	s_waitcnt lgkmcnt(0)
	global_store_short v[30:31], v33, off
	s_andn2_b64 exec, exec, s[14:15]
	s_cbranch_execnz .LBB1501_178
.LBB1501_179:
	s_or_b64 exec, exec, s[12:13]
	v_add_u32_e32 v2, 1, v7
	v_and_b32_e32 v5, 0x1fffffe, v2
	v_cmp_ne_u32_e32 vcc, v2, v5
	v_lshl_or_b32 v1, v5, 8, v0
	s_orn2_b64 s[12:13], vcc, exec
.LBB1501_180:
	s_or_b64 exec, exec, s[10:11]
	s_andn2_b64 s[4:5], s[4:5], exec
	s_and_b64 s[10:11], s[12:13], exec
	s_or_b64 s[4:5], s[4:5], s[10:11]
.LBB1501_181:
	s_or_b64 exec, exec, s[8:9]
	s_and_b64 exec, exec, s[4:5]
	s_cbranch_execz .LBB1501_184
; %bb.182:
	v_lshlrev_b32_e32 v5, 1, v1
	s_mov_b64 s[8:9], 0
	v_mov_b32_e32 v2, 0
.LBB1501_183:                           ; =>This Inner Loop Header: Depth=1
	ds_read_u16 v8, v5
	v_lshlrev_b64 v[6:7], 1, v[1:2]
	v_add_u32_e32 v1, 0x100, v1
	v_cmp_ge_u32_e32 vcc, v1, v36
	v_add_co_u32_e64 v6, s[4:5], v25, v6
	v_add_u32_e32 v5, 0x200, v5
	v_addc_co_u32_e64 v7, s[4:5], v26, v7, s[4:5]
	s_or_b64 s[8:9], vcc, s[8:9]
	s_waitcnt lgkmcnt(0)
	global_store_short v[6:7], v8, off
	s_andn2_b64 exec, exec, s[8:9]
	s_cbranch_execnz .LBB1501_183
.LBB1501_184:
	s_or_b64 exec, exec, s[6:7]
.LBB1501_185:
	s_and_b64 s[6:7], s[38:39], s[50:51]
	s_waitcnt vmcnt(0)
	s_barrier
	s_and_saveexec_b64 s[4:5], s[6:7]
	s_cbranch_execz .LBB1501_187
; %bb.186:
	v_mov_b32_e32 v1, 0
	buffer_store_dword v1, off, s[0:3], 0
.LBB1501_187:
	s_or_b64 exec, exec, s[4:5]
	s_mul_hi_u32 s4, s33, 0x88888889
	s_lshr_b32 s4, s4, 3
	v_cmp_eq_u32_e32 vcc, s4, v0
	s_and_b64 s[6:7], vcc, s[48:49]
	s_and_saveexec_b64 s[4:5], s[6:7]
	s_cbranch_execz .LBB1501_189
; %bb.188:
	s_lshl_b32 s6, s33, 2
	v_mov_b32_e32 v1, s6
	s_movk_i32 s6, 0xffc4
	v_mad_i32_i24 v1, v0, s6, v1
	v_mov_b32_e32 v2, 1
	buffer_store_dword v2, v1, s[0:3], 0 offen
.LBB1501_189:
	s_or_b64 exec, exec, s[4:5]
	buffer_load_dword v25, off, s[0:3], 0
	buffer_load_dword v26, off, s[0:3], 0 offset:4
	buffer_load_dword v27, off, s[0:3], 0 offset:8
	;; [unrolled: 1-line block ×13, first 2 shown]
	v_add_co_u32_e32 v1, vcc, v72, v3
	v_addc_co_u32_e32 v2, vcc, v73, v4, vcc
	buffer_load_dword v73, off, s[0:3], 0 offset:56
	v_lshlrev_b64 v[3:4], 3, v[9:10]
	v_mov_b32_e32 v72, s59
	v_lshlrev_b64 v[6:7], 3, v[40:41]
	v_add_co_u32_e32 v3, vcc, s58, v3
	v_addc_co_u32_e32 v4, vcc, v72, v4, vcc
	v_cndmask_b32_e64 v5, 0, 1, s[50:51]
	v_add_co_u32_e32 v3, vcc, v3, v6
	v_lshlrev_b32_e32 v75, 3, v5
	v_addc_co_u32_e32 v4, vcc, v4, v7, vcc
	v_add_co_u32_e32 v6, vcc, v3, v75
	v_addc_co_u32_e32 v7, vcc, 0, v4, vcc
	v_add_co_u32_e32 v6, vcc, -8, v6
	v_addc_co_u32_e32 v7, vcc, -1, v7, vcc
	s_cmpk_lg_i32 s33, 0xf00
	s_cselect_b64 s[4:5], -1, 0
	s_and_b64 s[4:5], s[4:5], s[48:49]
	v_sub_u32_e32 v41, v36, v5
	v_add_u32_e32 v8, v40, v5
	v_cndmask_b32_e64 v5, 0, 1, s[4:5]
	v_add_u32_e32 v5, v41, v5
	s_movk_i32 s36, 0x100
	s_mov_b64 s[38:39], -1
	s_waitcnt vmcnt(14)
	v_cmp_eq_u32_e32 vcc, 0, v25
	v_cmp_ne_u32_e64 s[34:35], 0, v25
	v_cndmask_b32_e64 v25, 1, 2, vcc
	s_waitcnt vmcnt(13)
	v_cmp_eq_u32_e32 vcc, 0, v26
	v_cmp_ne_u32_e64 s[30:31], 0, v26
	v_cndmask_b32_e64 v26, 1, 2, vcc
	;; [unrolled: 4-line block ×3, first 2 shown]
	s_waitcnt vmcnt(11)
	v_cmp_eq_u32_e32 vcc, 0, v28
	v_and_b32_e32 v25, v26, v25
	v_cmp_ne_u32_e64 s[26:27], 0, v28
	v_cndmask_b32_e64 v28, 1, 2, vcc
	s_waitcnt vmcnt(10)
	v_cmp_eq_u32_e32 vcc, 0, v29
	v_and_b32_e32 v25, v25, v27
	v_cmp_ne_u32_e64 s[24:25], 0, v29
	v_cndmask_b32_e64 v29, 1, 2, vcc
	s_waitcnt vmcnt(9)
	v_cmp_eq_u32_e32 vcc, 0, v30
	v_and_b32_e32 v25, v25, v28
	v_cmp_ne_u32_e64 s[22:23], 0, v30
	v_cndmask_b32_e64 v30, 1, 2, vcc
	s_waitcnt vmcnt(8)
	v_cmp_eq_u32_e32 vcc, 0, v31
	v_and_b32_e32 v25, v25, v29
	v_cmp_ne_u32_e64 s[20:21], 0, v31
	v_cndmask_b32_e64 v31, 1, 2, vcc
	s_waitcnt vmcnt(7)
	v_cmp_eq_u32_e32 vcc, 0, v32
	v_and_b32_e32 v25, v25, v30
	v_cmp_ne_u32_e64 s[18:19], 0, v32
	v_cndmask_b32_e64 v32, 1, 2, vcc
	s_waitcnt vmcnt(6)
	v_cmp_eq_u32_e32 vcc, 0, v33
	v_and_b32_e32 v25, v25, v31
	v_cmp_ne_u32_e64 s[16:17], 0, v33
	v_cndmask_b32_e64 v33, 1, 2, vcc
	s_waitcnt vmcnt(5)
	v_cmp_eq_u32_e32 vcc, 0, v34
	v_and_b32_e32 v25, v25, v32
	v_cmp_ne_u32_e64 s[14:15], 0, v34
	v_cndmask_b32_e64 v34, 1, 2, vcc
	s_waitcnt vmcnt(4)
	v_cmp_eq_u32_e32 vcc, 0, v35
	v_and_b32_e32 v25, v25, v33
	v_cmp_ne_u32_e64 s[12:13], 0, v35
	v_cndmask_b32_e64 v35, 1, 2, vcc
	v_and_b32_e32 v25, v25, v34
	s_waitcnt vmcnt(3)
	v_cmp_eq_u32_e32 vcc, 0, v70
	v_and_b32_e32 v25, v25, v35
	v_cndmask_b32_e64 v26, 1, 2, vcc
	s_waitcnt vmcnt(2)
	v_cmp_eq_u32_e32 vcc, 0, v71
	v_and_b32_e32 v25, v25, v26
	v_cndmask_b32_e64 v26, 1, 2, vcc
	;; [unrolled: 4-line block ×4, first 2 shown]
	v_and_b32_e32 v25, v25, v26
	v_cmp_gt_u32_e32 vcc, s36, v5
	v_cmp_ne_u32_e64 s[8:9], 0, v70
	v_cmp_ne_u32_e64 s[10:11], 0, v71
	;; [unrolled: 1-line block ×4, first 2 shown]
	v_cmp_gt_i16_e64 s[36:37], 2, v25
	s_cbranch_vccz .LBB1501_196
; %bb.190:
	s_and_saveexec_b64 s[38:39], s[36:37]
	s_cbranch_execz .LBB1501_195
; %bb.191:
	v_cmp_ne_u16_e32 vcc, 1, v25
	s_mov_b64 s[40:41], 0
	s_and_saveexec_b64 s[36:37], vcc
	s_xor_b64 s[36:37], exec, s[36:37]
	s_cbranch_execnz .LBB1501_244
; %bb.192:
	s_andn2_saveexec_b64 s[36:37], s[36:37]
	s_cbranch_execnz .LBB1501_260
.LBB1501_193:
	s_or_b64 exec, exec, s[36:37]
	s_and_b64 exec, exec, s[40:41]
	s_cbranch_execz .LBB1501_195
.LBB1501_194:
	v_sub_u32_e32 v26, v11, v8
	v_mov_b32_e32 v27, 0
	v_lshlrev_b64 v[26:27], 3, v[26:27]
	v_add_co_u32_e32 v26, vcc, v6, v26
	v_addc_co_u32_e32 v27, vcc, v7, v27, vcc
	global_store_dwordx2 v[26:27], v[1:2], off
.LBB1501_195:
	s_or_b64 exec, exec, s[38:39]
	s_mov_b64 s[38:39], 0
.LBB1501_196:
	s_and_b64 vcc, exec, s[38:39]
	s_cbranch_vccz .LBB1501_206
; %bb.197:
	v_cmp_gt_i16_e32 vcc, 2, v25
	s_and_saveexec_b64 s[36:37], vcc
	s_cbranch_execz .LBB1501_202
; %bb.198:
	v_cmp_ne_u16_e32 vcc, 1, v25
	s_mov_b64 s[40:41], 0
	s_and_saveexec_b64 s[38:39], vcc
	s_xor_b64 s[38:39], exec, s[38:39]
	s_cbranch_execnz .LBB1501_261
; %bb.199:
	s_andn2_saveexec_b64 s[4:5], s[38:39]
	s_cbranch_execnz .LBB1501_277
.LBB1501_200:
	s_or_b64 exec, exec, s[4:5]
	s_and_b64 exec, exec, s[40:41]
.LBB1501_201:
	v_sub_u32_e32 v8, v11, v8
	v_lshlrev_b32_e32 v8, 3, v8
	ds_write_b64 v8, v[1:2]
.LBB1501_202:
	s_or_b64 exec, exec, s[36:37]
	v_cmp_lt_u32_e32 vcc, v0, v5
	s_waitcnt vmcnt(0) lgkmcnt(0)
	s_barrier
	s_and_saveexec_b64 s[6:7], vcc
	s_cbranch_execz .LBB1501_205
; %bb.203:
	v_lshlrev_b32_e32 v8, 3, v0
	s_mov_b64 s[8:9], 0
	v_mov_b32_e32 v2, 0
	v_mov_b32_e32 v1, v0
.LBB1501_204:                           ; =>This Inner Loop Header: Depth=1
	ds_read_b64 v[13:14], v8
	v_lshlrev_b64 v[11:12], 3, v[1:2]
	v_add_u32_e32 v1, 0x100, v1
	v_cmp_ge_u32_e32 vcc, v1, v5
	v_add_co_u32_e64 v11, s[4:5], v6, v11
	v_add_u32_e32 v8, 0x800, v8
	v_addc_co_u32_e64 v12, s[4:5], v7, v12, s[4:5]
	s_or_b64 s[8:9], vcc, s[8:9]
	s_waitcnt lgkmcnt(0)
	global_store_dwordx2 v[11:12], v[13:14], off
	s_andn2_b64 exec, exec, s[8:9]
	s_cbranch_execnz .LBB1501_204
.LBB1501_205:
	s_or_b64 exec, exec, s[6:7]
.LBB1501_206:
	s_movk_i32 s4, 0xff
	v_cmp_eq_u32_e32 vcc, s4, v0
	s_and_b64 s[4:5], vcc, s[48:49]
	s_and_saveexec_b64 s[6:7], s[4:5]
	s_cbranch_execz .LBB1501_209
; %bb.207:
	v_add_co_u32_e32 v0, vcc, v36, v40
	v_addc_co_u32_e64 v1, s[4:5], 0, 0, vcc
	v_add_co_u32_e32 v0, vcc, v0, v9
	v_mov_b32_e32 v37, 0
	v_addc_co_u32_e32 v1, vcc, v1, v10, vcc
	s_cmpk_lg_i32 s33, 0xf00
	global_store_dwordx2 v37, v[0:1], s[60:61]
	s_cbranch_scc1 .LBB1501_209
; %bb.208:
	v_lshlrev_b64 v[0:1], 3, v[36:37]
	v_add_co_u32_e32 v0, vcc, v3, v0
	v_addc_co_u32_e32 v1, vcc, v4, v1, vcc
	global_store_dwordx2 v[0:1], v[38:39], off offset:-8
.LBB1501_209:
	s_endpgm
.LBB1501_210:
	s_and_saveexec_b64 s[42:43], s[36:37]
	s_cbranch_execnz .LBB1501_278
; %bb.211:
	s_or_b64 exec, exec, s[42:43]
	s_and_saveexec_b64 s[42:43], s[34:35]
	s_cbranch_execnz .LBB1501_279
.LBB1501_212:
	s_or_b64 exec, exec, s[42:43]
	s_and_saveexec_b64 s[42:43], s[30:31]
	s_cbranch_execnz .LBB1501_280
.LBB1501_213:
	s_or_b64 exec, exec, s[42:43]
	s_and_saveexec_b64 s[42:43], s[28:29]
	s_cbranch_execnz .LBB1501_281
.LBB1501_214:
	s_or_b64 exec, exec, s[42:43]
	s_and_saveexec_b64 s[42:43], s[26:27]
	s_cbranch_execnz .LBB1501_282
.LBB1501_215:
	s_or_b64 exec, exec, s[42:43]
	s_and_saveexec_b64 s[42:43], s[24:25]
	s_cbranch_execnz .LBB1501_283
.LBB1501_216:
	s_or_b64 exec, exec, s[42:43]
	s_and_saveexec_b64 s[42:43], s[22:23]
	s_cbranch_execnz .LBB1501_284
.LBB1501_217:
	s_or_b64 exec, exec, s[42:43]
	s_and_saveexec_b64 s[42:43], s[20:21]
	s_cbranch_execnz .LBB1501_285
.LBB1501_218:
	s_or_b64 exec, exec, s[42:43]
	s_and_saveexec_b64 s[42:43], s[18:19]
	s_cbranch_execnz .LBB1501_286
.LBB1501_219:
	s_or_b64 exec, exec, s[42:43]
	s_and_saveexec_b64 s[42:43], s[16:17]
	s_cbranch_execnz .LBB1501_287
.LBB1501_220:
	s_or_b64 exec, exec, s[42:43]
	s_and_saveexec_b64 s[42:43], s[14:15]
	s_cbranch_execnz .LBB1501_288
.LBB1501_221:
	s_or_b64 exec, exec, s[42:43]
	s_and_saveexec_b64 s[42:43], s[12:13]
	s_cbranch_execnz .LBB1501_289
.LBB1501_222:
	s_or_b64 exec, exec, s[42:43]
	s_and_saveexec_b64 s[42:43], s[10:11]
	s_cbranch_execnz .LBB1501_290
.LBB1501_223:
	s_or_b64 exec, exec, s[42:43]
	s_and_saveexec_b64 s[42:43], s[6:7]
	s_cbranch_execz .LBB1501_225
.LBB1501_224:
	v_sub_u32_e32 v27, v12, v40
	v_mov_b32_e32 v28, 0
	v_lshlrev_b64 v[27:28], 1, v[27:28]
	v_add_co_u32_e32 v27, vcc, v25, v27
	v_addc_co_u32_e32 v28, vcc, v26, v28, vcc
	global_store_short v[27:28], v35, off
.LBB1501_225:
	s_or_b64 exec, exec, s[42:43]
	s_and_b64 s[42:43], s[8:9], exec
	s_andn2_saveexec_b64 s[4:5], s[4:5]
	s_cbranch_execz .LBB1501_160
.LBB1501_226:
	v_sub_u32_e32 v27, v37, v40
	v_mov_b32_e32 v28, 0
	v_lshlrev_b64 v[29:30], 1, v[27:28]
	v_sub_u32_e32 v27, v24, v40
	v_add_co_u32_e32 v29, vcc, v25, v29
	v_addc_co_u32_e32 v30, vcc, v26, v30, vcc
	global_store_short v[29:30], v77, off
	v_lshlrev_b64 v[29:30], 1, v[27:28]
	v_sub_u32_e32 v27, v23, v40
	v_add_co_u32_e32 v29, vcc, v25, v29
	v_addc_co_u32_e32 v30, vcc, v26, v30, vcc
	global_store_short v[29:30], v5, off
	;; [unrolled: 5-line block ×12, first 2 shown]
	v_lshlrev_b64 v[29:30], 1, v[27:28]
	v_sub_u32_e32 v27, v12, v40
	v_add_co_u32_e32 v29, vcc, v25, v29
	v_lshlrev_b64 v[27:28], 1, v[27:28]
	v_addc_co_u32_e32 v30, vcc, v26, v30, vcc
	v_add_co_u32_e32 v27, vcc, v25, v27
	v_addc_co_u32_e32 v28, vcc, v26, v28, vcc
	s_or_b64 s[42:43], s[42:43], exec
	global_store_short v[29:30], v75, off
	global_store_short v[27:28], v35, off
	s_or_b64 exec, exec, s[4:5]
	s_and_b64 exec, exec, s[42:43]
	s_cbranch_execnz .LBB1501_161
	s_branch .LBB1501_162
.LBB1501_227:
	s_and_saveexec_b64 s[42:43], s[36:37]
	s_cbranch_execnz .LBB1501_291
; %bb.228:
	s_or_b64 exec, exec, s[42:43]
	s_and_saveexec_b64 s[36:37], s[34:35]
	s_cbranch_execnz .LBB1501_292
.LBB1501_229:
	s_or_b64 exec, exec, s[36:37]
	s_and_saveexec_b64 s[34:35], s[30:31]
	s_cbranch_execnz .LBB1501_293
.LBB1501_230:
	s_or_b64 exec, exec, s[34:35]
	s_and_saveexec_b64 s[30:31], s[28:29]
	s_cbranch_execnz .LBB1501_294
.LBB1501_231:
	s_or_b64 exec, exec, s[30:31]
	s_and_saveexec_b64 s[28:29], s[26:27]
	s_cbranch_execnz .LBB1501_295
.LBB1501_232:
	s_or_b64 exec, exec, s[28:29]
	s_and_saveexec_b64 s[26:27], s[24:25]
	s_cbranch_execnz .LBB1501_296
.LBB1501_233:
	s_or_b64 exec, exec, s[26:27]
	s_and_saveexec_b64 s[24:25], s[22:23]
	s_cbranch_execnz .LBB1501_297
.LBB1501_234:
	s_or_b64 exec, exec, s[24:25]
	s_and_saveexec_b64 s[22:23], s[20:21]
	s_cbranch_execnz .LBB1501_298
.LBB1501_235:
	s_or_b64 exec, exec, s[22:23]
	s_and_saveexec_b64 s[20:21], s[18:19]
	s_cbranch_execnz .LBB1501_299
.LBB1501_236:
	s_or_b64 exec, exec, s[20:21]
	s_and_saveexec_b64 s[18:19], s[16:17]
	s_cbranch_execnz .LBB1501_300
.LBB1501_237:
	s_or_b64 exec, exec, s[18:19]
	s_and_saveexec_b64 s[16:17], s[14:15]
	s_cbranch_execnz .LBB1501_301
.LBB1501_238:
	s_or_b64 exec, exec, s[16:17]
	s_and_saveexec_b64 s[14:15], s[12:13]
	s_cbranch_execnz .LBB1501_302
.LBB1501_239:
	s_or_b64 exec, exec, s[14:15]
	s_and_saveexec_b64 s[12:13], s[10:11]
	s_cbranch_execnz .LBB1501_303
.LBB1501_240:
	s_or_b64 exec, exec, s[12:13]
	s_and_saveexec_b64 s[10:11], s[6:7]
.LBB1501_241:
	v_sub_u32_e32 v1, v12, v40
	v_lshlrev_b32_e32 v1, 1, v1
	ds_write_b16 v1, v35
.LBB1501_242:
	s_or_b64 exec, exec, s[10:11]
	s_and_b64 s[42:43], s[8:9], exec
                                        ; implicit-def: $vgpr5
                                        ; implicit-def: $vgpr33
                                        ; implicit-def: $vgpr77
                                        ; implicit-def: $vgpr81
                                        ; implicit-def: $vgpr80
                                        ; implicit-def: $vgpr79
                                        ; implicit-def: $vgpr78
                                        ; implicit-def: $vgpr76
                                        ; implicit-def: $vgpr75
	s_andn2_saveexec_b64 s[6:7], s[40:41]
	s_cbranch_execz .LBB1501_167
.LBB1501_243:
	v_sub_u32_e32 v1, v37, v40
	v_lshlrev_b32_e32 v1, 1, v1
	ds_write_b16 v1, v77
	v_sub_u32_e32 v1, v24, v40
	v_lshlrev_b32_e32 v1, 1, v1
	ds_write_b16 v1, v5
	v_sub_u32_e32 v1, v23, v40
	v_lshlrev_b32_e32 v1, 1, v1
	ds_write_b16 v1, v81
	v_sub_u32_e32 v1, v22, v40
	v_lshlrev_b32_e32 v1, 1, v1
	ds_write_b16 v1, v6
	v_sub_u32_e32 v1, v21, v40
	v_lshlrev_b32_e32 v1, 1, v1
	ds_write_b16 v1, v80
	v_sub_u32_e32 v1, v20, v40
	v_lshlrev_b32_e32 v1, 1, v1
	ds_write_b16 v1, v7
	v_sub_u32_e32 v1, v19, v40
	v_lshlrev_b32_e32 v1, 1, v1
	ds_write_b16 v1, v79
	v_sub_u32_e32 v1, v18, v40
	v_lshlrev_b32_e32 v1, 1, v1
	ds_write_b16 v1, v8
	v_sub_u32_e32 v1, v17, v40
	v_lshlrev_b32_e32 v1, 1, v1
	ds_write_b16 v1, v78
	v_sub_u32_e32 v1, v16, v40
	v_lshlrev_b32_e32 v1, 1, v1
	ds_write_b16 v1, v33
	v_sub_u32_e32 v1, v15, v40
	v_lshlrev_b32_e32 v1, 1, v1
	ds_write_b16 v1, v76
	v_sub_u32_e32 v1, v14, v40
	v_lshlrev_b32_e32 v1, 1, v1
	ds_write_b16 v1, v34
	v_sub_u32_e32 v1, v13, v40
	v_lshlrev_b32_e32 v1, 1, v1
	ds_write_b16 v1, v75
	v_sub_u32_e32 v1, v12, v40
	v_lshlrev_b32_e32 v1, 1, v1
	s_or_b64 s[42:43], s[42:43], exec
	ds_write_b16 v1, v35
	s_or_b64 exec, exec, s[6:7]
	s_and_b64 exec, exec, s[42:43]
	s_cbranch_execnz .LBB1501_168
	s_branch .LBB1501_169
.LBB1501_244:
	s_and_saveexec_b64 s[40:41], s[34:35]
	s_cbranch_execnz .LBB1501_304
; %bb.245:
	s_or_b64 exec, exec, s[40:41]
	s_and_saveexec_b64 s[40:41], s[30:31]
	s_cbranch_execnz .LBB1501_305
.LBB1501_246:
	s_or_b64 exec, exec, s[40:41]
	s_and_saveexec_b64 s[40:41], s[28:29]
	s_cbranch_execnz .LBB1501_306
.LBB1501_247:
	s_or_b64 exec, exec, s[40:41]
	s_and_saveexec_b64 s[40:41], s[26:27]
	s_cbranch_execnz .LBB1501_307
.LBB1501_248:
	s_or_b64 exec, exec, s[40:41]
	s_and_saveexec_b64 s[40:41], s[24:25]
	s_cbranch_execnz .LBB1501_308
.LBB1501_249:
	s_or_b64 exec, exec, s[40:41]
	s_and_saveexec_b64 s[40:41], s[22:23]
	s_cbranch_execnz .LBB1501_309
.LBB1501_250:
	s_or_b64 exec, exec, s[40:41]
	s_and_saveexec_b64 s[40:41], s[20:21]
	s_cbranch_execnz .LBB1501_310
.LBB1501_251:
	s_or_b64 exec, exec, s[40:41]
	s_and_saveexec_b64 s[40:41], s[18:19]
	s_cbranch_execnz .LBB1501_311
.LBB1501_252:
	s_or_b64 exec, exec, s[40:41]
	s_and_saveexec_b64 s[40:41], s[16:17]
	s_cbranch_execnz .LBB1501_312
.LBB1501_253:
	s_or_b64 exec, exec, s[40:41]
	s_and_saveexec_b64 s[40:41], s[14:15]
	s_cbranch_execnz .LBB1501_313
.LBB1501_254:
	s_or_b64 exec, exec, s[40:41]
	s_and_saveexec_b64 s[40:41], s[12:13]
	s_cbranch_execnz .LBB1501_314
.LBB1501_255:
	s_or_b64 exec, exec, s[40:41]
	s_and_saveexec_b64 s[40:41], s[8:9]
	s_cbranch_execnz .LBB1501_315
.LBB1501_256:
	s_or_b64 exec, exec, s[40:41]
	s_and_saveexec_b64 s[40:41], s[10:11]
	s_cbranch_execnz .LBB1501_316
.LBB1501_257:
	s_or_b64 exec, exec, s[40:41]
	s_and_saveexec_b64 s[40:41], s[6:7]
	s_cbranch_execz .LBB1501_259
.LBB1501_258:
	v_sub_u32_e32 v26, v12, v8
	v_mov_b32_e32 v27, 0
	v_lshlrev_b64 v[26:27], 3, v[26:27]
	v_add_co_u32_e32 v26, vcc, v6, v26
	v_addc_co_u32_e32 v27, vcc, v7, v27, vcc
	global_store_dwordx2 v[26:27], v[68:69], off
.LBB1501_259:
	s_or_b64 exec, exec, s[40:41]
	s_and_b64 s[40:41], s[4:5], exec
	s_andn2_saveexec_b64 s[36:37], s[36:37]
	s_cbranch_execz .LBB1501_193
.LBB1501_260:
	v_sub_u32_e32 v26, v37, v8
	v_mov_b32_e32 v27, 0
	v_lshlrev_b64 v[28:29], 3, v[26:27]
	v_sub_u32_e32 v26, v24, v8
	v_add_co_u32_e32 v28, vcc, v6, v28
	v_addc_co_u32_e32 v29, vcc, v7, v29, vcc
	global_store_dwordx2 v[28:29], v[66:67], off
	v_lshlrev_b64 v[28:29], 3, v[26:27]
	v_sub_u32_e32 v26, v23, v8
	v_add_co_u32_e32 v28, vcc, v6, v28
	v_addc_co_u32_e32 v29, vcc, v7, v29, vcc
	global_store_dwordx2 v[28:29], v[42:43], off
	;; [unrolled: 5-line block ×12, first 2 shown]
	v_lshlrev_b64 v[28:29], 3, v[26:27]
	v_sub_u32_e32 v26, v12, v8
	v_add_co_u32_e32 v28, vcc, v6, v28
	v_lshlrev_b64 v[26:27], 3, v[26:27]
	v_addc_co_u32_e32 v29, vcc, v7, v29, vcc
	v_add_co_u32_e32 v26, vcc, v6, v26
	v_addc_co_u32_e32 v27, vcc, v7, v27, vcc
	s_or_b64 s[40:41], s[40:41], exec
	global_store_dwordx2 v[28:29], v[64:65], off
	global_store_dwordx2 v[26:27], v[68:69], off
	s_or_b64 exec, exec, s[36:37]
	s_and_b64 exec, exec, s[40:41]
	s_cbranch_execnz .LBB1501_194
	s_branch .LBB1501_195
.LBB1501_261:
	s_and_saveexec_b64 s[40:41], s[34:35]
	s_cbranch_execnz .LBB1501_317
; %bb.262:
	s_or_b64 exec, exec, s[40:41]
	s_and_saveexec_b64 s[34:35], s[30:31]
	s_cbranch_execnz .LBB1501_318
.LBB1501_263:
	s_or_b64 exec, exec, s[34:35]
	s_and_saveexec_b64 s[30:31], s[28:29]
	s_cbranch_execnz .LBB1501_319
.LBB1501_264:
	s_or_b64 exec, exec, s[30:31]
	s_and_saveexec_b64 s[28:29], s[26:27]
	s_cbranch_execnz .LBB1501_320
.LBB1501_265:
	s_or_b64 exec, exec, s[28:29]
	s_and_saveexec_b64 s[26:27], s[24:25]
	s_cbranch_execnz .LBB1501_321
.LBB1501_266:
	s_or_b64 exec, exec, s[26:27]
	s_and_saveexec_b64 s[24:25], s[22:23]
	s_cbranch_execnz .LBB1501_322
.LBB1501_267:
	s_or_b64 exec, exec, s[24:25]
	s_and_saveexec_b64 s[22:23], s[20:21]
	s_cbranch_execnz .LBB1501_323
.LBB1501_268:
	s_or_b64 exec, exec, s[22:23]
	s_and_saveexec_b64 s[20:21], s[18:19]
	s_cbranch_execnz .LBB1501_324
.LBB1501_269:
	s_or_b64 exec, exec, s[20:21]
	s_and_saveexec_b64 s[18:19], s[16:17]
	s_cbranch_execnz .LBB1501_325
.LBB1501_270:
	s_or_b64 exec, exec, s[18:19]
	s_and_saveexec_b64 s[16:17], s[14:15]
	s_cbranch_execnz .LBB1501_326
.LBB1501_271:
	s_or_b64 exec, exec, s[16:17]
	s_and_saveexec_b64 s[14:15], s[12:13]
	s_cbranch_execnz .LBB1501_327
.LBB1501_272:
	s_or_b64 exec, exec, s[14:15]
	s_and_saveexec_b64 s[12:13], s[8:9]
	s_cbranch_execnz .LBB1501_328
.LBB1501_273:
	s_or_b64 exec, exec, s[12:13]
	s_and_saveexec_b64 s[8:9], s[10:11]
	s_cbranch_execnz .LBB1501_329
.LBB1501_274:
	s_or_b64 exec, exec, s[8:9]
	s_and_saveexec_b64 s[8:9], s[6:7]
.LBB1501_275:
	v_sub_u32_e32 v12, v12, v8
	v_lshlrev_b32_e32 v12, 3, v12
	ds_write_b64 v12, v[68:69]
.LBB1501_276:
	s_or_b64 exec, exec, s[8:9]
	s_and_b64 s[40:41], s[4:5], exec
                                        ; implicit-def: $vgpr66_vgpr67
                                        ; implicit-def: $vgpr42_vgpr43
                                        ; implicit-def: $vgpr44_vgpr45
                                        ; implicit-def: $vgpr46_vgpr47
                                        ; implicit-def: $vgpr48_vgpr49
                                        ; implicit-def: $vgpr50_vgpr51
                                        ; implicit-def: $vgpr52_vgpr53
                                        ; implicit-def: $vgpr54_vgpr55
                                        ; implicit-def: $vgpr56_vgpr57
                                        ; implicit-def: $vgpr58_vgpr59
                                        ; implicit-def: $vgpr60_vgpr61
                                        ; implicit-def: $vgpr62_vgpr63
                                        ; implicit-def: $vgpr64_vgpr65
                                        ; implicit-def: $vgpr68_vgpr69
                                        ; implicit-def: $vgpr37
                                        ; implicit-def: $vgpr24
                                        ; implicit-def: $vgpr23
                                        ; implicit-def: $vgpr22
                                        ; implicit-def: $vgpr21
                                        ; implicit-def: $vgpr20
                                        ; implicit-def: $vgpr19
                                        ; implicit-def: $vgpr18
                                        ; implicit-def: $vgpr17
                                        ; implicit-def: $vgpr16
                                        ; implicit-def: $vgpr15
                                        ; implicit-def: $vgpr14
                                        ; implicit-def: $vgpr13
                                        ; implicit-def: $vgpr12
	s_andn2_saveexec_b64 s[4:5], s[38:39]
	s_cbranch_execz .LBB1501_200
.LBB1501_277:
	v_sub_u32_e32 v25, v37, v8
	v_sub_u32_e32 v24, v24, v8
	v_sub_u32_e32 v23, v23, v8
	v_sub_u32_e32 v22, v22, v8
	v_sub_u32_e32 v21, v21, v8
	v_sub_u32_e32 v20, v20, v8
	v_sub_u32_e32 v19, v19, v8
	v_sub_u32_e32 v18, v18, v8
	v_sub_u32_e32 v17, v17, v8
	v_sub_u32_e32 v16, v16, v8
	v_sub_u32_e32 v15, v15, v8
	v_sub_u32_e32 v14, v14, v8
	v_sub_u32_e32 v13, v13, v8
	v_sub_u32_e32 v12, v12, v8
	v_lshlrev_b32_e32 v25, 3, v25
	v_lshlrev_b32_e32 v24, 3, v24
	;; [unrolled: 1-line block ×14, first 2 shown]
	s_or_b64 s[40:41], s[40:41], exec
	ds_write_b64 v25, v[66:67]
	ds_write_b64 v24, v[42:43]
	;; [unrolled: 1-line block ×14, first 2 shown]
	s_or_b64 exec, exec, s[4:5]
	s_and_b64 exec, exec, s[40:41]
	s_cbranch_execnz .LBB1501_201
	s_branch .LBB1501_202
.LBB1501_278:
	v_sub_u32_e32 v27, v37, v40
	v_mov_b32_e32 v28, 0
	v_lshlrev_b64 v[27:28], 1, v[27:28]
	v_add_co_u32_e32 v27, vcc, v25, v27
	v_addc_co_u32_e32 v28, vcc, v26, v28, vcc
	global_store_short v[27:28], v77, off
	s_or_b64 exec, exec, s[42:43]
	s_and_saveexec_b64 s[42:43], s[34:35]
	s_cbranch_execz .LBB1501_212
.LBB1501_279:
	v_sub_u32_e32 v27, v24, v40
	v_mov_b32_e32 v28, 0
	v_lshlrev_b64 v[27:28], 1, v[27:28]
	v_add_co_u32_e32 v27, vcc, v25, v27
	v_addc_co_u32_e32 v28, vcc, v26, v28, vcc
	global_store_short v[27:28], v5, off
	s_or_b64 exec, exec, s[42:43]
	s_and_saveexec_b64 s[42:43], s[30:31]
	s_cbranch_execz .LBB1501_213
.LBB1501_280:
	v_sub_u32_e32 v27, v23, v40
	v_mov_b32_e32 v28, 0
	v_lshlrev_b64 v[27:28], 1, v[27:28]
	v_add_co_u32_e32 v27, vcc, v25, v27
	v_addc_co_u32_e32 v28, vcc, v26, v28, vcc
	global_store_short v[27:28], v81, off
	s_or_b64 exec, exec, s[42:43]
	s_and_saveexec_b64 s[42:43], s[28:29]
	s_cbranch_execz .LBB1501_214
.LBB1501_281:
	v_sub_u32_e32 v27, v22, v40
	v_mov_b32_e32 v28, 0
	v_lshlrev_b64 v[27:28], 1, v[27:28]
	v_add_co_u32_e32 v27, vcc, v25, v27
	v_addc_co_u32_e32 v28, vcc, v26, v28, vcc
	global_store_short v[27:28], v6, off
	s_or_b64 exec, exec, s[42:43]
	s_and_saveexec_b64 s[42:43], s[26:27]
	s_cbranch_execz .LBB1501_215
.LBB1501_282:
	v_sub_u32_e32 v27, v21, v40
	v_mov_b32_e32 v28, 0
	v_lshlrev_b64 v[27:28], 1, v[27:28]
	v_add_co_u32_e32 v27, vcc, v25, v27
	v_addc_co_u32_e32 v28, vcc, v26, v28, vcc
	global_store_short v[27:28], v80, off
	s_or_b64 exec, exec, s[42:43]
	s_and_saveexec_b64 s[42:43], s[24:25]
	s_cbranch_execz .LBB1501_216
.LBB1501_283:
	v_sub_u32_e32 v27, v20, v40
	v_mov_b32_e32 v28, 0
	v_lshlrev_b64 v[27:28], 1, v[27:28]
	v_add_co_u32_e32 v27, vcc, v25, v27
	v_addc_co_u32_e32 v28, vcc, v26, v28, vcc
	global_store_short v[27:28], v7, off
	s_or_b64 exec, exec, s[42:43]
	s_and_saveexec_b64 s[42:43], s[22:23]
	s_cbranch_execz .LBB1501_217
.LBB1501_284:
	v_sub_u32_e32 v27, v19, v40
	v_mov_b32_e32 v28, 0
	v_lshlrev_b64 v[27:28], 1, v[27:28]
	v_add_co_u32_e32 v27, vcc, v25, v27
	v_addc_co_u32_e32 v28, vcc, v26, v28, vcc
	global_store_short v[27:28], v79, off
	s_or_b64 exec, exec, s[42:43]
	s_and_saveexec_b64 s[42:43], s[20:21]
	s_cbranch_execz .LBB1501_218
.LBB1501_285:
	v_sub_u32_e32 v27, v18, v40
	v_mov_b32_e32 v28, 0
	v_lshlrev_b64 v[27:28], 1, v[27:28]
	v_add_co_u32_e32 v27, vcc, v25, v27
	v_addc_co_u32_e32 v28, vcc, v26, v28, vcc
	global_store_short v[27:28], v8, off
	s_or_b64 exec, exec, s[42:43]
	s_and_saveexec_b64 s[42:43], s[18:19]
	s_cbranch_execz .LBB1501_219
.LBB1501_286:
	v_sub_u32_e32 v27, v17, v40
	v_mov_b32_e32 v28, 0
	v_lshlrev_b64 v[27:28], 1, v[27:28]
	v_add_co_u32_e32 v27, vcc, v25, v27
	v_addc_co_u32_e32 v28, vcc, v26, v28, vcc
	global_store_short v[27:28], v78, off
	s_or_b64 exec, exec, s[42:43]
	s_and_saveexec_b64 s[42:43], s[16:17]
	s_cbranch_execz .LBB1501_220
.LBB1501_287:
	v_sub_u32_e32 v27, v16, v40
	v_mov_b32_e32 v28, 0
	v_lshlrev_b64 v[27:28], 1, v[27:28]
	v_add_co_u32_e32 v27, vcc, v25, v27
	v_addc_co_u32_e32 v28, vcc, v26, v28, vcc
	global_store_short v[27:28], v33, off
	s_or_b64 exec, exec, s[42:43]
	s_and_saveexec_b64 s[42:43], s[14:15]
	s_cbranch_execz .LBB1501_221
.LBB1501_288:
	v_sub_u32_e32 v27, v15, v40
	v_mov_b32_e32 v28, 0
	v_lshlrev_b64 v[27:28], 1, v[27:28]
	v_add_co_u32_e32 v27, vcc, v25, v27
	v_addc_co_u32_e32 v28, vcc, v26, v28, vcc
	global_store_short v[27:28], v76, off
	s_or_b64 exec, exec, s[42:43]
	s_and_saveexec_b64 s[42:43], s[12:13]
	s_cbranch_execz .LBB1501_222
.LBB1501_289:
	v_sub_u32_e32 v27, v14, v40
	v_mov_b32_e32 v28, 0
	v_lshlrev_b64 v[27:28], 1, v[27:28]
	v_add_co_u32_e32 v27, vcc, v25, v27
	v_addc_co_u32_e32 v28, vcc, v26, v28, vcc
	global_store_short v[27:28], v34, off
	s_or_b64 exec, exec, s[42:43]
	s_and_saveexec_b64 s[42:43], s[10:11]
	s_cbranch_execz .LBB1501_223
.LBB1501_290:
	v_sub_u32_e32 v27, v13, v40
	v_mov_b32_e32 v28, 0
	v_lshlrev_b64 v[27:28], 1, v[27:28]
	v_add_co_u32_e32 v27, vcc, v25, v27
	v_addc_co_u32_e32 v28, vcc, v26, v28, vcc
	global_store_short v[27:28], v75, off
	s_or_b64 exec, exec, s[42:43]
	s_and_saveexec_b64 s[42:43], s[6:7]
	s_cbranch_execnz .LBB1501_224
	s_branch .LBB1501_225
.LBB1501_291:
	v_sub_u32_e32 v1, v37, v40
	v_lshlrev_b32_e32 v1, 1, v1
	ds_write_b16 v1, v77
	s_or_b64 exec, exec, s[42:43]
	s_and_saveexec_b64 s[36:37], s[34:35]
	s_cbranch_execz .LBB1501_229
.LBB1501_292:
	v_sub_u32_e32 v1, v24, v40
	v_lshlrev_b32_e32 v1, 1, v1
	ds_write_b16 v1, v5
	s_or_b64 exec, exec, s[36:37]
	s_and_saveexec_b64 s[34:35], s[30:31]
	s_cbranch_execz .LBB1501_230
.LBB1501_293:
	v_sub_u32_e32 v1, v23, v40
	v_lshlrev_b32_e32 v1, 1, v1
	ds_write_b16 v1, v81
	s_or_b64 exec, exec, s[34:35]
	s_and_saveexec_b64 s[30:31], s[28:29]
	s_cbranch_execz .LBB1501_231
.LBB1501_294:
	v_sub_u32_e32 v1, v22, v40
	v_lshlrev_b32_e32 v1, 1, v1
	ds_write_b16 v1, v6
	s_or_b64 exec, exec, s[30:31]
	s_and_saveexec_b64 s[28:29], s[26:27]
	s_cbranch_execz .LBB1501_232
.LBB1501_295:
	v_sub_u32_e32 v1, v21, v40
	v_lshlrev_b32_e32 v1, 1, v1
	ds_write_b16 v1, v80
	s_or_b64 exec, exec, s[28:29]
	s_and_saveexec_b64 s[26:27], s[24:25]
	s_cbranch_execz .LBB1501_233
.LBB1501_296:
	v_sub_u32_e32 v1, v20, v40
	v_lshlrev_b32_e32 v1, 1, v1
	ds_write_b16 v1, v7
	s_or_b64 exec, exec, s[26:27]
	s_and_saveexec_b64 s[24:25], s[22:23]
	s_cbranch_execz .LBB1501_234
.LBB1501_297:
	v_sub_u32_e32 v1, v19, v40
	v_lshlrev_b32_e32 v1, 1, v1
	ds_write_b16 v1, v79
	s_or_b64 exec, exec, s[24:25]
	s_and_saveexec_b64 s[22:23], s[20:21]
	s_cbranch_execz .LBB1501_235
.LBB1501_298:
	v_sub_u32_e32 v1, v18, v40
	v_lshlrev_b32_e32 v1, 1, v1
	ds_write_b16 v1, v8
	s_or_b64 exec, exec, s[22:23]
	s_and_saveexec_b64 s[20:21], s[18:19]
	s_cbranch_execz .LBB1501_236
.LBB1501_299:
	v_sub_u32_e32 v1, v17, v40
	v_lshlrev_b32_e32 v1, 1, v1
	ds_write_b16 v1, v78
	s_or_b64 exec, exec, s[20:21]
	s_and_saveexec_b64 s[18:19], s[16:17]
	s_cbranch_execz .LBB1501_237
.LBB1501_300:
	v_sub_u32_e32 v1, v16, v40
	v_lshlrev_b32_e32 v1, 1, v1
	ds_write_b16 v1, v33
	s_or_b64 exec, exec, s[18:19]
	s_and_saveexec_b64 s[16:17], s[14:15]
	s_cbranch_execz .LBB1501_238
.LBB1501_301:
	v_sub_u32_e32 v1, v15, v40
	v_lshlrev_b32_e32 v1, 1, v1
	ds_write_b16 v1, v76
	s_or_b64 exec, exec, s[16:17]
	s_and_saveexec_b64 s[14:15], s[12:13]
	s_cbranch_execz .LBB1501_239
.LBB1501_302:
	v_sub_u32_e32 v1, v14, v40
	v_lshlrev_b32_e32 v1, 1, v1
	ds_write_b16 v1, v34
	s_or_b64 exec, exec, s[14:15]
	s_and_saveexec_b64 s[12:13], s[10:11]
	s_cbranch_execz .LBB1501_240
.LBB1501_303:
	v_sub_u32_e32 v1, v13, v40
	v_lshlrev_b32_e32 v1, 1, v1
	ds_write_b16 v1, v75
	s_or_b64 exec, exec, s[12:13]
	s_and_saveexec_b64 s[10:11], s[6:7]
	s_cbranch_execnz .LBB1501_241
	s_branch .LBB1501_242
.LBB1501_304:
	v_sub_u32_e32 v26, v37, v8
	v_mov_b32_e32 v27, 0
	v_lshlrev_b64 v[26:27], 3, v[26:27]
	v_add_co_u32_e32 v26, vcc, v6, v26
	v_addc_co_u32_e32 v27, vcc, v7, v27, vcc
	global_store_dwordx2 v[26:27], v[66:67], off
	s_or_b64 exec, exec, s[40:41]
	s_and_saveexec_b64 s[40:41], s[30:31]
	s_cbranch_execz .LBB1501_246
.LBB1501_305:
	v_sub_u32_e32 v26, v24, v8
	v_mov_b32_e32 v27, 0
	v_lshlrev_b64 v[26:27], 3, v[26:27]
	v_add_co_u32_e32 v26, vcc, v6, v26
	v_addc_co_u32_e32 v27, vcc, v7, v27, vcc
	global_store_dwordx2 v[26:27], v[42:43], off
	s_or_b64 exec, exec, s[40:41]
	s_and_saveexec_b64 s[40:41], s[28:29]
	s_cbranch_execz .LBB1501_247
.LBB1501_306:
	v_sub_u32_e32 v26, v23, v8
	v_mov_b32_e32 v27, 0
	v_lshlrev_b64 v[26:27], 3, v[26:27]
	v_add_co_u32_e32 v26, vcc, v6, v26
	v_addc_co_u32_e32 v27, vcc, v7, v27, vcc
	global_store_dwordx2 v[26:27], v[44:45], off
	s_or_b64 exec, exec, s[40:41]
	s_and_saveexec_b64 s[40:41], s[26:27]
	s_cbranch_execz .LBB1501_248
.LBB1501_307:
	v_sub_u32_e32 v26, v22, v8
	v_mov_b32_e32 v27, 0
	v_lshlrev_b64 v[26:27], 3, v[26:27]
	v_add_co_u32_e32 v26, vcc, v6, v26
	v_addc_co_u32_e32 v27, vcc, v7, v27, vcc
	global_store_dwordx2 v[26:27], v[46:47], off
	s_or_b64 exec, exec, s[40:41]
	s_and_saveexec_b64 s[40:41], s[24:25]
	s_cbranch_execz .LBB1501_249
.LBB1501_308:
	v_sub_u32_e32 v26, v21, v8
	v_mov_b32_e32 v27, 0
	v_lshlrev_b64 v[26:27], 3, v[26:27]
	v_add_co_u32_e32 v26, vcc, v6, v26
	v_addc_co_u32_e32 v27, vcc, v7, v27, vcc
	global_store_dwordx2 v[26:27], v[48:49], off
	s_or_b64 exec, exec, s[40:41]
	s_and_saveexec_b64 s[40:41], s[22:23]
	s_cbranch_execz .LBB1501_250
.LBB1501_309:
	v_sub_u32_e32 v26, v20, v8
	v_mov_b32_e32 v27, 0
	v_lshlrev_b64 v[26:27], 3, v[26:27]
	v_add_co_u32_e32 v26, vcc, v6, v26
	v_addc_co_u32_e32 v27, vcc, v7, v27, vcc
	global_store_dwordx2 v[26:27], v[50:51], off
	s_or_b64 exec, exec, s[40:41]
	s_and_saveexec_b64 s[40:41], s[20:21]
	s_cbranch_execz .LBB1501_251
.LBB1501_310:
	v_sub_u32_e32 v26, v19, v8
	v_mov_b32_e32 v27, 0
	v_lshlrev_b64 v[26:27], 3, v[26:27]
	v_add_co_u32_e32 v26, vcc, v6, v26
	v_addc_co_u32_e32 v27, vcc, v7, v27, vcc
	global_store_dwordx2 v[26:27], v[52:53], off
	s_or_b64 exec, exec, s[40:41]
	s_and_saveexec_b64 s[40:41], s[18:19]
	s_cbranch_execz .LBB1501_252
.LBB1501_311:
	v_sub_u32_e32 v26, v18, v8
	v_mov_b32_e32 v27, 0
	v_lshlrev_b64 v[26:27], 3, v[26:27]
	v_add_co_u32_e32 v26, vcc, v6, v26
	v_addc_co_u32_e32 v27, vcc, v7, v27, vcc
	global_store_dwordx2 v[26:27], v[54:55], off
	s_or_b64 exec, exec, s[40:41]
	s_and_saveexec_b64 s[40:41], s[16:17]
	s_cbranch_execz .LBB1501_253
.LBB1501_312:
	v_sub_u32_e32 v26, v17, v8
	v_mov_b32_e32 v27, 0
	v_lshlrev_b64 v[26:27], 3, v[26:27]
	v_add_co_u32_e32 v26, vcc, v6, v26
	v_addc_co_u32_e32 v27, vcc, v7, v27, vcc
	global_store_dwordx2 v[26:27], v[56:57], off
	s_or_b64 exec, exec, s[40:41]
	s_and_saveexec_b64 s[40:41], s[14:15]
	s_cbranch_execz .LBB1501_254
.LBB1501_313:
	v_sub_u32_e32 v26, v16, v8
	v_mov_b32_e32 v27, 0
	v_lshlrev_b64 v[26:27], 3, v[26:27]
	v_add_co_u32_e32 v26, vcc, v6, v26
	v_addc_co_u32_e32 v27, vcc, v7, v27, vcc
	global_store_dwordx2 v[26:27], v[58:59], off
	s_or_b64 exec, exec, s[40:41]
	s_and_saveexec_b64 s[40:41], s[12:13]
	s_cbranch_execz .LBB1501_255
.LBB1501_314:
	v_sub_u32_e32 v26, v15, v8
	v_mov_b32_e32 v27, 0
	v_lshlrev_b64 v[26:27], 3, v[26:27]
	v_add_co_u32_e32 v26, vcc, v6, v26
	v_addc_co_u32_e32 v27, vcc, v7, v27, vcc
	global_store_dwordx2 v[26:27], v[60:61], off
	s_or_b64 exec, exec, s[40:41]
	s_and_saveexec_b64 s[40:41], s[8:9]
	s_cbranch_execz .LBB1501_256
.LBB1501_315:
	v_sub_u32_e32 v26, v14, v8
	v_mov_b32_e32 v27, 0
	v_lshlrev_b64 v[26:27], 3, v[26:27]
	v_add_co_u32_e32 v26, vcc, v6, v26
	v_addc_co_u32_e32 v27, vcc, v7, v27, vcc
	global_store_dwordx2 v[26:27], v[62:63], off
	s_or_b64 exec, exec, s[40:41]
	s_and_saveexec_b64 s[40:41], s[10:11]
	s_cbranch_execz .LBB1501_257
.LBB1501_316:
	v_sub_u32_e32 v26, v13, v8
	v_mov_b32_e32 v27, 0
	v_lshlrev_b64 v[26:27], 3, v[26:27]
	v_add_co_u32_e32 v26, vcc, v6, v26
	v_addc_co_u32_e32 v27, vcc, v7, v27, vcc
	global_store_dwordx2 v[26:27], v[64:65], off
	s_or_b64 exec, exec, s[40:41]
	s_and_saveexec_b64 s[40:41], s[6:7]
	s_cbranch_execnz .LBB1501_258
	s_branch .LBB1501_259
.LBB1501_317:
	v_sub_u32_e32 v25, v37, v8
	v_lshlrev_b32_e32 v25, 3, v25
	ds_write_b64 v25, v[66:67]
	s_or_b64 exec, exec, s[40:41]
	s_and_saveexec_b64 s[34:35], s[30:31]
	s_cbranch_execz .LBB1501_263
.LBB1501_318:
	v_sub_u32_e32 v24, v24, v8
	v_lshlrev_b32_e32 v24, 3, v24
	ds_write_b64 v24, v[42:43]
	s_or_b64 exec, exec, s[34:35]
	s_and_saveexec_b64 s[30:31], s[28:29]
	s_cbranch_execz .LBB1501_264
.LBB1501_319:
	v_sub_u32_e32 v23, v23, v8
	v_lshlrev_b32_e32 v23, 3, v23
	ds_write_b64 v23, v[44:45]
	s_or_b64 exec, exec, s[30:31]
	s_and_saveexec_b64 s[28:29], s[26:27]
	s_cbranch_execz .LBB1501_265
.LBB1501_320:
	v_sub_u32_e32 v22, v22, v8
	v_lshlrev_b32_e32 v22, 3, v22
	ds_write_b64 v22, v[46:47]
	s_or_b64 exec, exec, s[28:29]
	s_and_saveexec_b64 s[26:27], s[24:25]
	s_cbranch_execz .LBB1501_266
.LBB1501_321:
	v_sub_u32_e32 v21, v21, v8
	v_lshlrev_b32_e32 v21, 3, v21
	ds_write_b64 v21, v[48:49]
	s_or_b64 exec, exec, s[26:27]
	s_and_saveexec_b64 s[24:25], s[22:23]
	s_cbranch_execz .LBB1501_267
.LBB1501_322:
	v_sub_u32_e32 v20, v20, v8
	v_lshlrev_b32_e32 v20, 3, v20
	ds_write_b64 v20, v[50:51]
	s_or_b64 exec, exec, s[24:25]
	s_and_saveexec_b64 s[22:23], s[20:21]
	s_cbranch_execz .LBB1501_268
.LBB1501_323:
	v_sub_u32_e32 v19, v19, v8
	v_lshlrev_b32_e32 v19, 3, v19
	ds_write_b64 v19, v[52:53]
	s_or_b64 exec, exec, s[22:23]
	s_and_saveexec_b64 s[20:21], s[18:19]
	s_cbranch_execz .LBB1501_269
.LBB1501_324:
	v_sub_u32_e32 v18, v18, v8
	v_lshlrev_b32_e32 v18, 3, v18
	ds_write_b64 v18, v[54:55]
	s_or_b64 exec, exec, s[20:21]
	s_and_saveexec_b64 s[18:19], s[16:17]
	s_cbranch_execz .LBB1501_270
.LBB1501_325:
	v_sub_u32_e32 v17, v17, v8
	v_lshlrev_b32_e32 v17, 3, v17
	ds_write_b64 v17, v[56:57]
	s_or_b64 exec, exec, s[18:19]
	s_and_saveexec_b64 s[16:17], s[14:15]
	s_cbranch_execz .LBB1501_271
.LBB1501_326:
	v_sub_u32_e32 v16, v16, v8
	v_lshlrev_b32_e32 v16, 3, v16
	ds_write_b64 v16, v[58:59]
	s_or_b64 exec, exec, s[16:17]
	s_and_saveexec_b64 s[14:15], s[12:13]
	s_cbranch_execz .LBB1501_272
.LBB1501_327:
	v_sub_u32_e32 v15, v15, v8
	v_lshlrev_b32_e32 v15, 3, v15
	ds_write_b64 v15, v[60:61]
	s_or_b64 exec, exec, s[14:15]
	s_and_saveexec_b64 s[12:13], s[8:9]
	s_cbranch_execz .LBB1501_273
.LBB1501_328:
	v_sub_u32_e32 v14, v14, v8
	v_lshlrev_b32_e32 v14, 3, v14
	ds_write_b64 v14, v[62:63]
	s_or_b64 exec, exec, s[12:13]
	s_and_saveexec_b64 s[8:9], s[10:11]
	s_cbranch_execz .LBB1501_274
.LBB1501_329:
	v_sub_u32_e32 v13, v13, v8
	v_lshlrev_b32_e32 v13, 3, v13
	ds_write_b64 v13, v[64:65]
	s_or_b64 exec, exec, s[8:9]
	s_and_saveexec_b64 s[8:9], s[6:7]
	s_cbranch_execnz .LBB1501_275
	s_branch .LBB1501_276
	.section	.rodata,"a",@progbits
	.p2align	6, 0x0
	.amdhsa_kernel _ZN7rocprim17ROCPRIM_400000_NS6detail17trampoline_kernelINS0_14default_configENS1_29reduce_by_key_config_selectorIslN6thrust23THRUST_200600_302600_NS4plusIlEEEEZZNS1_33reduce_by_key_impl_wrapped_configILNS1_25lookback_scan_determinismE0ES3_S9_PsNS6_17constant_iteratorIiNS6_11use_defaultESE_EENS6_10device_ptrIsEENSG_IlEEPmS8_NS6_8equal_toIsEEEE10hipError_tPvRmT2_T3_mT4_T5_T6_T7_T8_P12ihipStream_tbENKUlT_T0_E_clISt17integral_constantIbLb0EES12_IbLb1EEEEDaSY_SZ_EUlSY_E_NS1_11comp_targetILNS1_3genE2ELNS1_11target_archE906ELNS1_3gpuE6ELNS1_3repE0EEENS1_30default_config_static_selectorELNS0_4arch9wavefront6targetE1EEEvT1_
		.amdhsa_group_segment_fixed_size 30720
		.amdhsa_private_segment_fixed_size 64
		.amdhsa_kernarg_size 144
		.amdhsa_user_sgpr_count 6
		.amdhsa_user_sgpr_private_segment_buffer 1
		.amdhsa_user_sgpr_dispatch_ptr 0
		.amdhsa_user_sgpr_queue_ptr 0
		.amdhsa_user_sgpr_kernarg_segment_ptr 1
		.amdhsa_user_sgpr_dispatch_id 0
		.amdhsa_user_sgpr_flat_scratch_init 0
		.amdhsa_user_sgpr_private_segment_size 0
		.amdhsa_uses_dynamic_stack 0
		.amdhsa_system_sgpr_private_segment_wavefront_offset 1
		.amdhsa_system_sgpr_workgroup_id_x 1
		.amdhsa_system_sgpr_workgroup_id_y 0
		.amdhsa_system_sgpr_workgroup_id_z 0
		.amdhsa_system_sgpr_workgroup_info 0
		.amdhsa_system_vgpr_workitem_id 0
		.amdhsa_next_free_vgpr 106
		.amdhsa_next_free_sgpr 98
		.amdhsa_reserve_vcc 1
		.amdhsa_reserve_flat_scratch 0
		.amdhsa_float_round_mode_32 0
		.amdhsa_float_round_mode_16_64 0
		.amdhsa_float_denorm_mode_32 3
		.amdhsa_float_denorm_mode_16_64 3
		.amdhsa_dx10_clamp 1
		.amdhsa_ieee_mode 1
		.amdhsa_fp16_overflow 0
		.amdhsa_exception_fp_ieee_invalid_op 0
		.amdhsa_exception_fp_denorm_src 0
		.amdhsa_exception_fp_ieee_div_zero 0
		.amdhsa_exception_fp_ieee_overflow 0
		.amdhsa_exception_fp_ieee_underflow 0
		.amdhsa_exception_fp_ieee_inexact 0
		.amdhsa_exception_int_div_zero 0
	.end_amdhsa_kernel
	.section	.text._ZN7rocprim17ROCPRIM_400000_NS6detail17trampoline_kernelINS0_14default_configENS1_29reduce_by_key_config_selectorIslN6thrust23THRUST_200600_302600_NS4plusIlEEEEZZNS1_33reduce_by_key_impl_wrapped_configILNS1_25lookback_scan_determinismE0ES3_S9_PsNS6_17constant_iteratorIiNS6_11use_defaultESE_EENS6_10device_ptrIsEENSG_IlEEPmS8_NS6_8equal_toIsEEEE10hipError_tPvRmT2_T3_mT4_T5_T6_T7_T8_P12ihipStream_tbENKUlT_T0_E_clISt17integral_constantIbLb0EES12_IbLb1EEEEDaSY_SZ_EUlSY_E_NS1_11comp_targetILNS1_3genE2ELNS1_11target_archE906ELNS1_3gpuE6ELNS1_3repE0EEENS1_30default_config_static_selectorELNS0_4arch9wavefront6targetE1EEEvT1_,"axG",@progbits,_ZN7rocprim17ROCPRIM_400000_NS6detail17trampoline_kernelINS0_14default_configENS1_29reduce_by_key_config_selectorIslN6thrust23THRUST_200600_302600_NS4plusIlEEEEZZNS1_33reduce_by_key_impl_wrapped_configILNS1_25lookback_scan_determinismE0ES3_S9_PsNS6_17constant_iteratorIiNS6_11use_defaultESE_EENS6_10device_ptrIsEENSG_IlEEPmS8_NS6_8equal_toIsEEEE10hipError_tPvRmT2_T3_mT4_T5_T6_T7_T8_P12ihipStream_tbENKUlT_T0_E_clISt17integral_constantIbLb0EES12_IbLb1EEEEDaSY_SZ_EUlSY_E_NS1_11comp_targetILNS1_3genE2ELNS1_11target_archE906ELNS1_3gpuE6ELNS1_3repE0EEENS1_30default_config_static_selectorELNS0_4arch9wavefront6targetE1EEEvT1_,comdat
.Lfunc_end1501:
	.size	_ZN7rocprim17ROCPRIM_400000_NS6detail17trampoline_kernelINS0_14default_configENS1_29reduce_by_key_config_selectorIslN6thrust23THRUST_200600_302600_NS4plusIlEEEEZZNS1_33reduce_by_key_impl_wrapped_configILNS1_25lookback_scan_determinismE0ES3_S9_PsNS6_17constant_iteratorIiNS6_11use_defaultESE_EENS6_10device_ptrIsEENSG_IlEEPmS8_NS6_8equal_toIsEEEE10hipError_tPvRmT2_T3_mT4_T5_T6_T7_T8_P12ihipStream_tbENKUlT_T0_E_clISt17integral_constantIbLb0EES12_IbLb1EEEEDaSY_SZ_EUlSY_E_NS1_11comp_targetILNS1_3genE2ELNS1_11target_archE906ELNS1_3gpuE6ELNS1_3repE0EEENS1_30default_config_static_selectorELNS0_4arch9wavefront6targetE1EEEvT1_, .Lfunc_end1501-_ZN7rocprim17ROCPRIM_400000_NS6detail17trampoline_kernelINS0_14default_configENS1_29reduce_by_key_config_selectorIslN6thrust23THRUST_200600_302600_NS4plusIlEEEEZZNS1_33reduce_by_key_impl_wrapped_configILNS1_25lookback_scan_determinismE0ES3_S9_PsNS6_17constant_iteratorIiNS6_11use_defaultESE_EENS6_10device_ptrIsEENSG_IlEEPmS8_NS6_8equal_toIsEEEE10hipError_tPvRmT2_T3_mT4_T5_T6_T7_T8_P12ihipStream_tbENKUlT_T0_E_clISt17integral_constantIbLb0EES12_IbLb1EEEEDaSY_SZ_EUlSY_E_NS1_11comp_targetILNS1_3genE2ELNS1_11target_archE906ELNS1_3gpuE6ELNS1_3repE0EEENS1_30default_config_static_selectorELNS0_4arch9wavefront6targetE1EEEvT1_
                                        ; -- End function
	.set _ZN7rocprim17ROCPRIM_400000_NS6detail17trampoline_kernelINS0_14default_configENS1_29reduce_by_key_config_selectorIslN6thrust23THRUST_200600_302600_NS4plusIlEEEEZZNS1_33reduce_by_key_impl_wrapped_configILNS1_25lookback_scan_determinismE0ES3_S9_PsNS6_17constant_iteratorIiNS6_11use_defaultESE_EENS6_10device_ptrIsEENSG_IlEEPmS8_NS6_8equal_toIsEEEE10hipError_tPvRmT2_T3_mT4_T5_T6_T7_T8_P12ihipStream_tbENKUlT_T0_E_clISt17integral_constantIbLb0EES12_IbLb1EEEEDaSY_SZ_EUlSY_E_NS1_11comp_targetILNS1_3genE2ELNS1_11target_archE906ELNS1_3gpuE6ELNS1_3repE0EEENS1_30default_config_static_selectorELNS0_4arch9wavefront6targetE1EEEvT1_.num_vgpr, 106
	.set _ZN7rocprim17ROCPRIM_400000_NS6detail17trampoline_kernelINS0_14default_configENS1_29reduce_by_key_config_selectorIslN6thrust23THRUST_200600_302600_NS4plusIlEEEEZZNS1_33reduce_by_key_impl_wrapped_configILNS1_25lookback_scan_determinismE0ES3_S9_PsNS6_17constant_iteratorIiNS6_11use_defaultESE_EENS6_10device_ptrIsEENSG_IlEEPmS8_NS6_8equal_toIsEEEE10hipError_tPvRmT2_T3_mT4_T5_T6_T7_T8_P12ihipStream_tbENKUlT_T0_E_clISt17integral_constantIbLb0EES12_IbLb1EEEEDaSY_SZ_EUlSY_E_NS1_11comp_targetILNS1_3genE2ELNS1_11target_archE906ELNS1_3gpuE6ELNS1_3repE0EEENS1_30default_config_static_selectorELNS0_4arch9wavefront6targetE1EEEvT1_.num_agpr, 0
	.set _ZN7rocprim17ROCPRIM_400000_NS6detail17trampoline_kernelINS0_14default_configENS1_29reduce_by_key_config_selectorIslN6thrust23THRUST_200600_302600_NS4plusIlEEEEZZNS1_33reduce_by_key_impl_wrapped_configILNS1_25lookback_scan_determinismE0ES3_S9_PsNS6_17constant_iteratorIiNS6_11use_defaultESE_EENS6_10device_ptrIsEENSG_IlEEPmS8_NS6_8equal_toIsEEEE10hipError_tPvRmT2_T3_mT4_T5_T6_T7_T8_P12ihipStream_tbENKUlT_T0_E_clISt17integral_constantIbLb0EES12_IbLb1EEEEDaSY_SZ_EUlSY_E_NS1_11comp_targetILNS1_3genE2ELNS1_11target_archE906ELNS1_3gpuE6ELNS1_3repE0EEENS1_30default_config_static_selectorELNS0_4arch9wavefront6targetE1EEEvT1_.numbered_sgpr, 68
	.set _ZN7rocprim17ROCPRIM_400000_NS6detail17trampoline_kernelINS0_14default_configENS1_29reduce_by_key_config_selectorIslN6thrust23THRUST_200600_302600_NS4plusIlEEEEZZNS1_33reduce_by_key_impl_wrapped_configILNS1_25lookback_scan_determinismE0ES3_S9_PsNS6_17constant_iteratorIiNS6_11use_defaultESE_EENS6_10device_ptrIsEENSG_IlEEPmS8_NS6_8equal_toIsEEEE10hipError_tPvRmT2_T3_mT4_T5_T6_T7_T8_P12ihipStream_tbENKUlT_T0_E_clISt17integral_constantIbLb0EES12_IbLb1EEEEDaSY_SZ_EUlSY_E_NS1_11comp_targetILNS1_3genE2ELNS1_11target_archE906ELNS1_3gpuE6ELNS1_3repE0EEENS1_30default_config_static_selectorELNS0_4arch9wavefront6targetE1EEEvT1_.num_named_barrier, 0
	.set _ZN7rocprim17ROCPRIM_400000_NS6detail17trampoline_kernelINS0_14default_configENS1_29reduce_by_key_config_selectorIslN6thrust23THRUST_200600_302600_NS4plusIlEEEEZZNS1_33reduce_by_key_impl_wrapped_configILNS1_25lookback_scan_determinismE0ES3_S9_PsNS6_17constant_iteratorIiNS6_11use_defaultESE_EENS6_10device_ptrIsEENSG_IlEEPmS8_NS6_8equal_toIsEEEE10hipError_tPvRmT2_T3_mT4_T5_T6_T7_T8_P12ihipStream_tbENKUlT_T0_E_clISt17integral_constantIbLb0EES12_IbLb1EEEEDaSY_SZ_EUlSY_E_NS1_11comp_targetILNS1_3genE2ELNS1_11target_archE906ELNS1_3gpuE6ELNS1_3repE0EEENS1_30default_config_static_selectorELNS0_4arch9wavefront6targetE1EEEvT1_.private_seg_size, 64
	.set _ZN7rocprim17ROCPRIM_400000_NS6detail17trampoline_kernelINS0_14default_configENS1_29reduce_by_key_config_selectorIslN6thrust23THRUST_200600_302600_NS4plusIlEEEEZZNS1_33reduce_by_key_impl_wrapped_configILNS1_25lookback_scan_determinismE0ES3_S9_PsNS6_17constant_iteratorIiNS6_11use_defaultESE_EENS6_10device_ptrIsEENSG_IlEEPmS8_NS6_8equal_toIsEEEE10hipError_tPvRmT2_T3_mT4_T5_T6_T7_T8_P12ihipStream_tbENKUlT_T0_E_clISt17integral_constantIbLb0EES12_IbLb1EEEEDaSY_SZ_EUlSY_E_NS1_11comp_targetILNS1_3genE2ELNS1_11target_archE906ELNS1_3gpuE6ELNS1_3repE0EEENS1_30default_config_static_selectorELNS0_4arch9wavefront6targetE1EEEvT1_.uses_vcc, 1
	.set _ZN7rocprim17ROCPRIM_400000_NS6detail17trampoline_kernelINS0_14default_configENS1_29reduce_by_key_config_selectorIslN6thrust23THRUST_200600_302600_NS4plusIlEEEEZZNS1_33reduce_by_key_impl_wrapped_configILNS1_25lookback_scan_determinismE0ES3_S9_PsNS6_17constant_iteratorIiNS6_11use_defaultESE_EENS6_10device_ptrIsEENSG_IlEEPmS8_NS6_8equal_toIsEEEE10hipError_tPvRmT2_T3_mT4_T5_T6_T7_T8_P12ihipStream_tbENKUlT_T0_E_clISt17integral_constantIbLb0EES12_IbLb1EEEEDaSY_SZ_EUlSY_E_NS1_11comp_targetILNS1_3genE2ELNS1_11target_archE906ELNS1_3gpuE6ELNS1_3repE0EEENS1_30default_config_static_selectorELNS0_4arch9wavefront6targetE1EEEvT1_.uses_flat_scratch, 0
	.set _ZN7rocprim17ROCPRIM_400000_NS6detail17trampoline_kernelINS0_14default_configENS1_29reduce_by_key_config_selectorIslN6thrust23THRUST_200600_302600_NS4plusIlEEEEZZNS1_33reduce_by_key_impl_wrapped_configILNS1_25lookback_scan_determinismE0ES3_S9_PsNS6_17constant_iteratorIiNS6_11use_defaultESE_EENS6_10device_ptrIsEENSG_IlEEPmS8_NS6_8equal_toIsEEEE10hipError_tPvRmT2_T3_mT4_T5_T6_T7_T8_P12ihipStream_tbENKUlT_T0_E_clISt17integral_constantIbLb0EES12_IbLb1EEEEDaSY_SZ_EUlSY_E_NS1_11comp_targetILNS1_3genE2ELNS1_11target_archE906ELNS1_3gpuE6ELNS1_3repE0EEENS1_30default_config_static_selectorELNS0_4arch9wavefront6targetE1EEEvT1_.has_dyn_sized_stack, 0
	.set _ZN7rocprim17ROCPRIM_400000_NS6detail17trampoline_kernelINS0_14default_configENS1_29reduce_by_key_config_selectorIslN6thrust23THRUST_200600_302600_NS4plusIlEEEEZZNS1_33reduce_by_key_impl_wrapped_configILNS1_25lookback_scan_determinismE0ES3_S9_PsNS6_17constant_iteratorIiNS6_11use_defaultESE_EENS6_10device_ptrIsEENSG_IlEEPmS8_NS6_8equal_toIsEEEE10hipError_tPvRmT2_T3_mT4_T5_T6_T7_T8_P12ihipStream_tbENKUlT_T0_E_clISt17integral_constantIbLb0EES12_IbLb1EEEEDaSY_SZ_EUlSY_E_NS1_11comp_targetILNS1_3genE2ELNS1_11target_archE906ELNS1_3gpuE6ELNS1_3repE0EEENS1_30default_config_static_selectorELNS0_4arch9wavefront6targetE1EEEvT1_.has_recursion, 0
	.set _ZN7rocprim17ROCPRIM_400000_NS6detail17trampoline_kernelINS0_14default_configENS1_29reduce_by_key_config_selectorIslN6thrust23THRUST_200600_302600_NS4plusIlEEEEZZNS1_33reduce_by_key_impl_wrapped_configILNS1_25lookback_scan_determinismE0ES3_S9_PsNS6_17constant_iteratorIiNS6_11use_defaultESE_EENS6_10device_ptrIsEENSG_IlEEPmS8_NS6_8equal_toIsEEEE10hipError_tPvRmT2_T3_mT4_T5_T6_T7_T8_P12ihipStream_tbENKUlT_T0_E_clISt17integral_constantIbLb0EES12_IbLb1EEEEDaSY_SZ_EUlSY_E_NS1_11comp_targetILNS1_3genE2ELNS1_11target_archE906ELNS1_3gpuE6ELNS1_3repE0EEENS1_30default_config_static_selectorELNS0_4arch9wavefront6targetE1EEEvT1_.has_indirect_call, 0
	.section	.AMDGPU.csdata,"",@progbits
; Kernel info:
; codeLenInByte = 17588
; TotalNumSgprs: 72
; NumVgprs: 106
; ScratchSize: 64
; MemoryBound: 0
; FloatMode: 240
; IeeeMode: 1
; LDSByteSize: 30720 bytes/workgroup (compile time only)
; SGPRBlocks: 12
; VGPRBlocks: 26
; NumSGPRsForWavesPerEU: 102
; NumVGPRsForWavesPerEU: 106
; Occupancy: 2
; WaveLimiterHint : 1
; COMPUTE_PGM_RSRC2:SCRATCH_EN: 1
; COMPUTE_PGM_RSRC2:USER_SGPR: 6
; COMPUTE_PGM_RSRC2:TRAP_HANDLER: 0
; COMPUTE_PGM_RSRC2:TGID_X_EN: 1
; COMPUTE_PGM_RSRC2:TGID_Y_EN: 0
; COMPUTE_PGM_RSRC2:TGID_Z_EN: 0
; COMPUTE_PGM_RSRC2:TIDIG_COMP_CNT: 0
	.section	.text._ZN7rocprim17ROCPRIM_400000_NS6detail17trampoline_kernelINS0_14default_configENS1_29reduce_by_key_config_selectorIslN6thrust23THRUST_200600_302600_NS4plusIlEEEEZZNS1_33reduce_by_key_impl_wrapped_configILNS1_25lookback_scan_determinismE0ES3_S9_PsNS6_17constant_iteratorIiNS6_11use_defaultESE_EENS6_10device_ptrIsEENSG_IlEEPmS8_NS6_8equal_toIsEEEE10hipError_tPvRmT2_T3_mT4_T5_T6_T7_T8_P12ihipStream_tbENKUlT_T0_E_clISt17integral_constantIbLb0EES12_IbLb1EEEEDaSY_SZ_EUlSY_E_NS1_11comp_targetILNS1_3genE10ELNS1_11target_archE1201ELNS1_3gpuE5ELNS1_3repE0EEENS1_30default_config_static_selectorELNS0_4arch9wavefront6targetE1EEEvT1_,"axG",@progbits,_ZN7rocprim17ROCPRIM_400000_NS6detail17trampoline_kernelINS0_14default_configENS1_29reduce_by_key_config_selectorIslN6thrust23THRUST_200600_302600_NS4plusIlEEEEZZNS1_33reduce_by_key_impl_wrapped_configILNS1_25lookback_scan_determinismE0ES3_S9_PsNS6_17constant_iteratorIiNS6_11use_defaultESE_EENS6_10device_ptrIsEENSG_IlEEPmS8_NS6_8equal_toIsEEEE10hipError_tPvRmT2_T3_mT4_T5_T6_T7_T8_P12ihipStream_tbENKUlT_T0_E_clISt17integral_constantIbLb0EES12_IbLb1EEEEDaSY_SZ_EUlSY_E_NS1_11comp_targetILNS1_3genE10ELNS1_11target_archE1201ELNS1_3gpuE5ELNS1_3repE0EEENS1_30default_config_static_selectorELNS0_4arch9wavefront6targetE1EEEvT1_,comdat
	.protected	_ZN7rocprim17ROCPRIM_400000_NS6detail17trampoline_kernelINS0_14default_configENS1_29reduce_by_key_config_selectorIslN6thrust23THRUST_200600_302600_NS4plusIlEEEEZZNS1_33reduce_by_key_impl_wrapped_configILNS1_25lookback_scan_determinismE0ES3_S9_PsNS6_17constant_iteratorIiNS6_11use_defaultESE_EENS6_10device_ptrIsEENSG_IlEEPmS8_NS6_8equal_toIsEEEE10hipError_tPvRmT2_T3_mT4_T5_T6_T7_T8_P12ihipStream_tbENKUlT_T0_E_clISt17integral_constantIbLb0EES12_IbLb1EEEEDaSY_SZ_EUlSY_E_NS1_11comp_targetILNS1_3genE10ELNS1_11target_archE1201ELNS1_3gpuE5ELNS1_3repE0EEENS1_30default_config_static_selectorELNS0_4arch9wavefront6targetE1EEEvT1_ ; -- Begin function _ZN7rocprim17ROCPRIM_400000_NS6detail17trampoline_kernelINS0_14default_configENS1_29reduce_by_key_config_selectorIslN6thrust23THRUST_200600_302600_NS4plusIlEEEEZZNS1_33reduce_by_key_impl_wrapped_configILNS1_25lookback_scan_determinismE0ES3_S9_PsNS6_17constant_iteratorIiNS6_11use_defaultESE_EENS6_10device_ptrIsEENSG_IlEEPmS8_NS6_8equal_toIsEEEE10hipError_tPvRmT2_T3_mT4_T5_T6_T7_T8_P12ihipStream_tbENKUlT_T0_E_clISt17integral_constantIbLb0EES12_IbLb1EEEEDaSY_SZ_EUlSY_E_NS1_11comp_targetILNS1_3genE10ELNS1_11target_archE1201ELNS1_3gpuE5ELNS1_3repE0EEENS1_30default_config_static_selectorELNS0_4arch9wavefront6targetE1EEEvT1_
	.globl	_ZN7rocprim17ROCPRIM_400000_NS6detail17trampoline_kernelINS0_14default_configENS1_29reduce_by_key_config_selectorIslN6thrust23THRUST_200600_302600_NS4plusIlEEEEZZNS1_33reduce_by_key_impl_wrapped_configILNS1_25lookback_scan_determinismE0ES3_S9_PsNS6_17constant_iteratorIiNS6_11use_defaultESE_EENS6_10device_ptrIsEENSG_IlEEPmS8_NS6_8equal_toIsEEEE10hipError_tPvRmT2_T3_mT4_T5_T6_T7_T8_P12ihipStream_tbENKUlT_T0_E_clISt17integral_constantIbLb0EES12_IbLb1EEEEDaSY_SZ_EUlSY_E_NS1_11comp_targetILNS1_3genE10ELNS1_11target_archE1201ELNS1_3gpuE5ELNS1_3repE0EEENS1_30default_config_static_selectorELNS0_4arch9wavefront6targetE1EEEvT1_
	.p2align	8
	.type	_ZN7rocprim17ROCPRIM_400000_NS6detail17trampoline_kernelINS0_14default_configENS1_29reduce_by_key_config_selectorIslN6thrust23THRUST_200600_302600_NS4plusIlEEEEZZNS1_33reduce_by_key_impl_wrapped_configILNS1_25lookback_scan_determinismE0ES3_S9_PsNS6_17constant_iteratorIiNS6_11use_defaultESE_EENS6_10device_ptrIsEENSG_IlEEPmS8_NS6_8equal_toIsEEEE10hipError_tPvRmT2_T3_mT4_T5_T6_T7_T8_P12ihipStream_tbENKUlT_T0_E_clISt17integral_constantIbLb0EES12_IbLb1EEEEDaSY_SZ_EUlSY_E_NS1_11comp_targetILNS1_3genE10ELNS1_11target_archE1201ELNS1_3gpuE5ELNS1_3repE0EEENS1_30default_config_static_selectorELNS0_4arch9wavefront6targetE1EEEvT1_,@function
_ZN7rocprim17ROCPRIM_400000_NS6detail17trampoline_kernelINS0_14default_configENS1_29reduce_by_key_config_selectorIslN6thrust23THRUST_200600_302600_NS4plusIlEEEEZZNS1_33reduce_by_key_impl_wrapped_configILNS1_25lookback_scan_determinismE0ES3_S9_PsNS6_17constant_iteratorIiNS6_11use_defaultESE_EENS6_10device_ptrIsEENSG_IlEEPmS8_NS6_8equal_toIsEEEE10hipError_tPvRmT2_T3_mT4_T5_T6_T7_T8_P12ihipStream_tbENKUlT_T0_E_clISt17integral_constantIbLb0EES12_IbLb1EEEEDaSY_SZ_EUlSY_E_NS1_11comp_targetILNS1_3genE10ELNS1_11target_archE1201ELNS1_3gpuE5ELNS1_3repE0EEENS1_30default_config_static_selectorELNS0_4arch9wavefront6targetE1EEEvT1_: ; @_ZN7rocprim17ROCPRIM_400000_NS6detail17trampoline_kernelINS0_14default_configENS1_29reduce_by_key_config_selectorIslN6thrust23THRUST_200600_302600_NS4plusIlEEEEZZNS1_33reduce_by_key_impl_wrapped_configILNS1_25lookback_scan_determinismE0ES3_S9_PsNS6_17constant_iteratorIiNS6_11use_defaultESE_EENS6_10device_ptrIsEENSG_IlEEPmS8_NS6_8equal_toIsEEEE10hipError_tPvRmT2_T3_mT4_T5_T6_T7_T8_P12ihipStream_tbENKUlT_T0_E_clISt17integral_constantIbLb0EES12_IbLb1EEEEDaSY_SZ_EUlSY_E_NS1_11comp_targetILNS1_3genE10ELNS1_11target_archE1201ELNS1_3gpuE5ELNS1_3repE0EEENS1_30default_config_static_selectorELNS0_4arch9wavefront6targetE1EEEvT1_
; %bb.0:
	.section	.rodata,"a",@progbits
	.p2align	6, 0x0
	.amdhsa_kernel _ZN7rocprim17ROCPRIM_400000_NS6detail17trampoline_kernelINS0_14default_configENS1_29reduce_by_key_config_selectorIslN6thrust23THRUST_200600_302600_NS4plusIlEEEEZZNS1_33reduce_by_key_impl_wrapped_configILNS1_25lookback_scan_determinismE0ES3_S9_PsNS6_17constant_iteratorIiNS6_11use_defaultESE_EENS6_10device_ptrIsEENSG_IlEEPmS8_NS6_8equal_toIsEEEE10hipError_tPvRmT2_T3_mT4_T5_T6_T7_T8_P12ihipStream_tbENKUlT_T0_E_clISt17integral_constantIbLb0EES12_IbLb1EEEEDaSY_SZ_EUlSY_E_NS1_11comp_targetILNS1_3genE10ELNS1_11target_archE1201ELNS1_3gpuE5ELNS1_3repE0EEENS1_30default_config_static_selectorELNS0_4arch9wavefront6targetE1EEEvT1_
		.amdhsa_group_segment_fixed_size 0
		.amdhsa_private_segment_fixed_size 0
		.amdhsa_kernarg_size 144
		.amdhsa_user_sgpr_count 6
		.amdhsa_user_sgpr_private_segment_buffer 1
		.amdhsa_user_sgpr_dispatch_ptr 0
		.amdhsa_user_sgpr_queue_ptr 0
		.amdhsa_user_sgpr_kernarg_segment_ptr 1
		.amdhsa_user_sgpr_dispatch_id 0
		.amdhsa_user_sgpr_flat_scratch_init 0
		.amdhsa_user_sgpr_private_segment_size 0
		.amdhsa_uses_dynamic_stack 0
		.amdhsa_system_sgpr_private_segment_wavefront_offset 0
		.amdhsa_system_sgpr_workgroup_id_x 1
		.amdhsa_system_sgpr_workgroup_id_y 0
		.amdhsa_system_sgpr_workgroup_id_z 0
		.amdhsa_system_sgpr_workgroup_info 0
		.amdhsa_system_vgpr_workitem_id 0
		.amdhsa_next_free_vgpr 1
		.amdhsa_next_free_sgpr 0
		.amdhsa_reserve_vcc 0
		.amdhsa_reserve_flat_scratch 0
		.amdhsa_float_round_mode_32 0
		.amdhsa_float_round_mode_16_64 0
		.amdhsa_float_denorm_mode_32 3
		.amdhsa_float_denorm_mode_16_64 3
		.amdhsa_dx10_clamp 1
		.amdhsa_ieee_mode 1
		.amdhsa_fp16_overflow 0
		.amdhsa_exception_fp_ieee_invalid_op 0
		.amdhsa_exception_fp_denorm_src 0
		.amdhsa_exception_fp_ieee_div_zero 0
		.amdhsa_exception_fp_ieee_overflow 0
		.amdhsa_exception_fp_ieee_underflow 0
		.amdhsa_exception_fp_ieee_inexact 0
		.amdhsa_exception_int_div_zero 0
	.end_amdhsa_kernel
	.section	.text._ZN7rocprim17ROCPRIM_400000_NS6detail17trampoline_kernelINS0_14default_configENS1_29reduce_by_key_config_selectorIslN6thrust23THRUST_200600_302600_NS4plusIlEEEEZZNS1_33reduce_by_key_impl_wrapped_configILNS1_25lookback_scan_determinismE0ES3_S9_PsNS6_17constant_iteratorIiNS6_11use_defaultESE_EENS6_10device_ptrIsEENSG_IlEEPmS8_NS6_8equal_toIsEEEE10hipError_tPvRmT2_T3_mT4_T5_T6_T7_T8_P12ihipStream_tbENKUlT_T0_E_clISt17integral_constantIbLb0EES12_IbLb1EEEEDaSY_SZ_EUlSY_E_NS1_11comp_targetILNS1_3genE10ELNS1_11target_archE1201ELNS1_3gpuE5ELNS1_3repE0EEENS1_30default_config_static_selectorELNS0_4arch9wavefront6targetE1EEEvT1_,"axG",@progbits,_ZN7rocprim17ROCPRIM_400000_NS6detail17trampoline_kernelINS0_14default_configENS1_29reduce_by_key_config_selectorIslN6thrust23THRUST_200600_302600_NS4plusIlEEEEZZNS1_33reduce_by_key_impl_wrapped_configILNS1_25lookback_scan_determinismE0ES3_S9_PsNS6_17constant_iteratorIiNS6_11use_defaultESE_EENS6_10device_ptrIsEENSG_IlEEPmS8_NS6_8equal_toIsEEEE10hipError_tPvRmT2_T3_mT4_T5_T6_T7_T8_P12ihipStream_tbENKUlT_T0_E_clISt17integral_constantIbLb0EES12_IbLb1EEEEDaSY_SZ_EUlSY_E_NS1_11comp_targetILNS1_3genE10ELNS1_11target_archE1201ELNS1_3gpuE5ELNS1_3repE0EEENS1_30default_config_static_selectorELNS0_4arch9wavefront6targetE1EEEvT1_,comdat
.Lfunc_end1502:
	.size	_ZN7rocprim17ROCPRIM_400000_NS6detail17trampoline_kernelINS0_14default_configENS1_29reduce_by_key_config_selectorIslN6thrust23THRUST_200600_302600_NS4plusIlEEEEZZNS1_33reduce_by_key_impl_wrapped_configILNS1_25lookback_scan_determinismE0ES3_S9_PsNS6_17constant_iteratorIiNS6_11use_defaultESE_EENS6_10device_ptrIsEENSG_IlEEPmS8_NS6_8equal_toIsEEEE10hipError_tPvRmT2_T3_mT4_T5_T6_T7_T8_P12ihipStream_tbENKUlT_T0_E_clISt17integral_constantIbLb0EES12_IbLb1EEEEDaSY_SZ_EUlSY_E_NS1_11comp_targetILNS1_3genE10ELNS1_11target_archE1201ELNS1_3gpuE5ELNS1_3repE0EEENS1_30default_config_static_selectorELNS0_4arch9wavefront6targetE1EEEvT1_, .Lfunc_end1502-_ZN7rocprim17ROCPRIM_400000_NS6detail17trampoline_kernelINS0_14default_configENS1_29reduce_by_key_config_selectorIslN6thrust23THRUST_200600_302600_NS4plusIlEEEEZZNS1_33reduce_by_key_impl_wrapped_configILNS1_25lookback_scan_determinismE0ES3_S9_PsNS6_17constant_iteratorIiNS6_11use_defaultESE_EENS6_10device_ptrIsEENSG_IlEEPmS8_NS6_8equal_toIsEEEE10hipError_tPvRmT2_T3_mT4_T5_T6_T7_T8_P12ihipStream_tbENKUlT_T0_E_clISt17integral_constantIbLb0EES12_IbLb1EEEEDaSY_SZ_EUlSY_E_NS1_11comp_targetILNS1_3genE10ELNS1_11target_archE1201ELNS1_3gpuE5ELNS1_3repE0EEENS1_30default_config_static_selectorELNS0_4arch9wavefront6targetE1EEEvT1_
                                        ; -- End function
	.set _ZN7rocprim17ROCPRIM_400000_NS6detail17trampoline_kernelINS0_14default_configENS1_29reduce_by_key_config_selectorIslN6thrust23THRUST_200600_302600_NS4plusIlEEEEZZNS1_33reduce_by_key_impl_wrapped_configILNS1_25lookback_scan_determinismE0ES3_S9_PsNS6_17constant_iteratorIiNS6_11use_defaultESE_EENS6_10device_ptrIsEENSG_IlEEPmS8_NS6_8equal_toIsEEEE10hipError_tPvRmT2_T3_mT4_T5_T6_T7_T8_P12ihipStream_tbENKUlT_T0_E_clISt17integral_constantIbLb0EES12_IbLb1EEEEDaSY_SZ_EUlSY_E_NS1_11comp_targetILNS1_3genE10ELNS1_11target_archE1201ELNS1_3gpuE5ELNS1_3repE0EEENS1_30default_config_static_selectorELNS0_4arch9wavefront6targetE1EEEvT1_.num_vgpr, 0
	.set _ZN7rocprim17ROCPRIM_400000_NS6detail17trampoline_kernelINS0_14default_configENS1_29reduce_by_key_config_selectorIslN6thrust23THRUST_200600_302600_NS4plusIlEEEEZZNS1_33reduce_by_key_impl_wrapped_configILNS1_25lookback_scan_determinismE0ES3_S9_PsNS6_17constant_iteratorIiNS6_11use_defaultESE_EENS6_10device_ptrIsEENSG_IlEEPmS8_NS6_8equal_toIsEEEE10hipError_tPvRmT2_T3_mT4_T5_T6_T7_T8_P12ihipStream_tbENKUlT_T0_E_clISt17integral_constantIbLb0EES12_IbLb1EEEEDaSY_SZ_EUlSY_E_NS1_11comp_targetILNS1_3genE10ELNS1_11target_archE1201ELNS1_3gpuE5ELNS1_3repE0EEENS1_30default_config_static_selectorELNS0_4arch9wavefront6targetE1EEEvT1_.num_agpr, 0
	.set _ZN7rocprim17ROCPRIM_400000_NS6detail17trampoline_kernelINS0_14default_configENS1_29reduce_by_key_config_selectorIslN6thrust23THRUST_200600_302600_NS4plusIlEEEEZZNS1_33reduce_by_key_impl_wrapped_configILNS1_25lookback_scan_determinismE0ES3_S9_PsNS6_17constant_iteratorIiNS6_11use_defaultESE_EENS6_10device_ptrIsEENSG_IlEEPmS8_NS6_8equal_toIsEEEE10hipError_tPvRmT2_T3_mT4_T5_T6_T7_T8_P12ihipStream_tbENKUlT_T0_E_clISt17integral_constantIbLb0EES12_IbLb1EEEEDaSY_SZ_EUlSY_E_NS1_11comp_targetILNS1_3genE10ELNS1_11target_archE1201ELNS1_3gpuE5ELNS1_3repE0EEENS1_30default_config_static_selectorELNS0_4arch9wavefront6targetE1EEEvT1_.numbered_sgpr, 0
	.set _ZN7rocprim17ROCPRIM_400000_NS6detail17trampoline_kernelINS0_14default_configENS1_29reduce_by_key_config_selectorIslN6thrust23THRUST_200600_302600_NS4plusIlEEEEZZNS1_33reduce_by_key_impl_wrapped_configILNS1_25lookback_scan_determinismE0ES3_S9_PsNS6_17constant_iteratorIiNS6_11use_defaultESE_EENS6_10device_ptrIsEENSG_IlEEPmS8_NS6_8equal_toIsEEEE10hipError_tPvRmT2_T3_mT4_T5_T6_T7_T8_P12ihipStream_tbENKUlT_T0_E_clISt17integral_constantIbLb0EES12_IbLb1EEEEDaSY_SZ_EUlSY_E_NS1_11comp_targetILNS1_3genE10ELNS1_11target_archE1201ELNS1_3gpuE5ELNS1_3repE0EEENS1_30default_config_static_selectorELNS0_4arch9wavefront6targetE1EEEvT1_.num_named_barrier, 0
	.set _ZN7rocprim17ROCPRIM_400000_NS6detail17trampoline_kernelINS0_14default_configENS1_29reduce_by_key_config_selectorIslN6thrust23THRUST_200600_302600_NS4plusIlEEEEZZNS1_33reduce_by_key_impl_wrapped_configILNS1_25lookback_scan_determinismE0ES3_S9_PsNS6_17constant_iteratorIiNS6_11use_defaultESE_EENS6_10device_ptrIsEENSG_IlEEPmS8_NS6_8equal_toIsEEEE10hipError_tPvRmT2_T3_mT4_T5_T6_T7_T8_P12ihipStream_tbENKUlT_T0_E_clISt17integral_constantIbLb0EES12_IbLb1EEEEDaSY_SZ_EUlSY_E_NS1_11comp_targetILNS1_3genE10ELNS1_11target_archE1201ELNS1_3gpuE5ELNS1_3repE0EEENS1_30default_config_static_selectorELNS0_4arch9wavefront6targetE1EEEvT1_.private_seg_size, 0
	.set _ZN7rocprim17ROCPRIM_400000_NS6detail17trampoline_kernelINS0_14default_configENS1_29reduce_by_key_config_selectorIslN6thrust23THRUST_200600_302600_NS4plusIlEEEEZZNS1_33reduce_by_key_impl_wrapped_configILNS1_25lookback_scan_determinismE0ES3_S9_PsNS6_17constant_iteratorIiNS6_11use_defaultESE_EENS6_10device_ptrIsEENSG_IlEEPmS8_NS6_8equal_toIsEEEE10hipError_tPvRmT2_T3_mT4_T5_T6_T7_T8_P12ihipStream_tbENKUlT_T0_E_clISt17integral_constantIbLb0EES12_IbLb1EEEEDaSY_SZ_EUlSY_E_NS1_11comp_targetILNS1_3genE10ELNS1_11target_archE1201ELNS1_3gpuE5ELNS1_3repE0EEENS1_30default_config_static_selectorELNS0_4arch9wavefront6targetE1EEEvT1_.uses_vcc, 0
	.set _ZN7rocprim17ROCPRIM_400000_NS6detail17trampoline_kernelINS0_14default_configENS1_29reduce_by_key_config_selectorIslN6thrust23THRUST_200600_302600_NS4plusIlEEEEZZNS1_33reduce_by_key_impl_wrapped_configILNS1_25lookback_scan_determinismE0ES3_S9_PsNS6_17constant_iteratorIiNS6_11use_defaultESE_EENS6_10device_ptrIsEENSG_IlEEPmS8_NS6_8equal_toIsEEEE10hipError_tPvRmT2_T3_mT4_T5_T6_T7_T8_P12ihipStream_tbENKUlT_T0_E_clISt17integral_constantIbLb0EES12_IbLb1EEEEDaSY_SZ_EUlSY_E_NS1_11comp_targetILNS1_3genE10ELNS1_11target_archE1201ELNS1_3gpuE5ELNS1_3repE0EEENS1_30default_config_static_selectorELNS0_4arch9wavefront6targetE1EEEvT1_.uses_flat_scratch, 0
	.set _ZN7rocprim17ROCPRIM_400000_NS6detail17trampoline_kernelINS0_14default_configENS1_29reduce_by_key_config_selectorIslN6thrust23THRUST_200600_302600_NS4plusIlEEEEZZNS1_33reduce_by_key_impl_wrapped_configILNS1_25lookback_scan_determinismE0ES3_S9_PsNS6_17constant_iteratorIiNS6_11use_defaultESE_EENS6_10device_ptrIsEENSG_IlEEPmS8_NS6_8equal_toIsEEEE10hipError_tPvRmT2_T3_mT4_T5_T6_T7_T8_P12ihipStream_tbENKUlT_T0_E_clISt17integral_constantIbLb0EES12_IbLb1EEEEDaSY_SZ_EUlSY_E_NS1_11comp_targetILNS1_3genE10ELNS1_11target_archE1201ELNS1_3gpuE5ELNS1_3repE0EEENS1_30default_config_static_selectorELNS0_4arch9wavefront6targetE1EEEvT1_.has_dyn_sized_stack, 0
	.set _ZN7rocprim17ROCPRIM_400000_NS6detail17trampoline_kernelINS0_14default_configENS1_29reduce_by_key_config_selectorIslN6thrust23THRUST_200600_302600_NS4plusIlEEEEZZNS1_33reduce_by_key_impl_wrapped_configILNS1_25lookback_scan_determinismE0ES3_S9_PsNS6_17constant_iteratorIiNS6_11use_defaultESE_EENS6_10device_ptrIsEENSG_IlEEPmS8_NS6_8equal_toIsEEEE10hipError_tPvRmT2_T3_mT4_T5_T6_T7_T8_P12ihipStream_tbENKUlT_T0_E_clISt17integral_constantIbLb0EES12_IbLb1EEEEDaSY_SZ_EUlSY_E_NS1_11comp_targetILNS1_3genE10ELNS1_11target_archE1201ELNS1_3gpuE5ELNS1_3repE0EEENS1_30default_config_static_selectorELNS0_4arch9wavefront6targetE1EEEvT1_.has_recursion, 0
	.set _ZN7rocprim17ROCPRIM_400000_NS6detail17trampoline_kernelINS0_14default_configENS1_29reduce_by_key_config_selectorIslN6thrust23THRUST_200600_302600_NS4plusIlEEEEZZNS1_33reduce_by_key_impl_wrapped_configILNS1_25lookback_scan_determinismE0ES3_S9_PsNS6_17constant_iteratorIiNS6_11use_defaultESE_EENS6_10device_ptrIsEENSG_IlEEPmS8_NS6_8equal_toIsEEEE10hipError_tPvRmT2_T3_mT4_T5_T6_T7_T8_P12ihipStream_tbENKUlT_T0_E_clISt17integral_constantIbLb0EES12_IbLb1EEEEDaSY_SZ_EUlSY_E_NS1_11comp_targetILNS1_3genE10ELNS1_11target_archE1201ELNS1_3gpuE5ELNS1_3repE0EEENS1_30default_config_static_selectorELNS0_4arch9wavefront6targetE1EEEvT1_.has_indirect_call, 0
	.section	.AMDGPU.csdata,"",@progbits
; Kernel info:
; codeLenInByte = 0
; TotalNumSgprs: 4
; NumVgprs: 0
; ScratchSize: 0
; MemoryBound: 0
; FloatMode: 240
; IeeeMode: 1
; LDSByteSize: 0 bytes/workgroup (compile time only)
; SGPRBlocks: 0
; VGPRBlocks: 0
; NumSGPRsForWavesPerEU: 4
; NumVGPRsForWavesPerEU: 1
; Occupancy: 10
; WaveLimiterHint : 0
; COMPUTE_PGM_RSRC2:SCRATCH_EN: 0
; COMPUTE_PGM_RSRC2:USER_SGPR: 6
; COMPUTE_PGM_RSRC2:TRAP_HANDLER: 0
; COMPUTE_PGM_RSRC2:TGID_X_EN: 1
; COMPUTE_PGM_RSRC2:TGID_Y_EN: 0
; COMPUTE_PGM_RSRC2:TGID_Z_EN: 0
; COMPUTE_PGM_RSRC2:TIDIG_COMP_CNT: 0
	.section	.text._ZN7rocprim17ROCPRIM_400000_NS6detail17trampoline_kernelINS0_14default_configENS1_29reduce_by_key_config_selectorIslN6thrust23THRUST_200600_302600_NS4plusIlEEEEZZNS1_33reduce_by_key_impl_wrapped_configILNS1_25lookback_scan_determinismE0ES3_S9_PsNS6_17constant_iteratorIiNS6_11use_defaultESE_EENS6_10device_ptrIsEENSG_IlEEPmS8_NS6_8equal_toIsEEEE10hipError_tPvRmT2_T3_mT4_T5_T6_T7_T8_P12ihipStream_tbENKUlT_T0_E_clISt17integral_constantIbLb0EES12_IbLb1EEEEDaSY_SZ_EUlSY_E_NS1_11comp_targetILNS1_3genE10ELNS1_11target_archE1200ELNS1_3gpuE4ELNS1_3repE0EEENS1_30default_config_static_selectorELNS0_4arch9wavefront6targetE1EEEvT1_,"axG",@progbits,_ZN7rocprim17ROCPRIM_400000_NS6detail17trampoline_kernelINS0_14default_configENS1_29reduce_by_key_config_selectorIslN6thrust23THRUST_200600_302600_NS4plusIlEEEEZZNS1_33reduce_by_key_impl_wrapped_configILNS1_25lookback_scan_determinismE0ES3_S9_PsNS6_17constant_iteratorIiNS6_11use_defaultESE_EENS6_10device_ptrIsEENSG_IlEEPmS8_NS6_8equal_toIsEEEE10hipError_tPvRmT2_T3_mT4_T5_T6_T7_T8_P12ihipStream_tbENKUlT_T0_E_clISt17integral_constantIbLb0EES12_IbLb1EEEEDaSY_SZ_EUlSY_E_NS1_11comp_targetILNS1_3genE10ELNS1_11target_archE1200ELNS1_3gpuE4ELNS1_3repE0EEENS1_30default_config_static_selectorELNS0_4arch9wavefront6targetE1EEEvT1_,comdat
	.protected	_ZN7rocprim17ROCPRIM_400000_NS6detail17trampoline_kernelINS0_14default_configENS1_29reduce_by_key_config_selectorIslN6thrust23THRUST_200600_302600_NS4plusIlEEEEZZNS1_33reduce_by_key_impl_wrapped_configILNS1_25lookback_scan_determinismE0ES3_S9_PsNS6_17constant_iteratorIiNS6_11use_defaultESE_EENS6_10device_ptrIsEENSG_IlEEPmS8_NS6_8equal_toIsEEEE10hipError_tPvRmT2_T3_mT4_T5_T6_T7_T8_P12ihipStream_tbENKUlT_T0_E_clISt17integral_constantIbLb0EES12_IbLb1EEEEDaSY_SZ_EUlSY_E_NS1_11comp_targetILNS1_3genE10ELNS1_11target_archE1200ELNS1_3gpuE4ELNS1_3repE0EEENS1_30default_config_static_selectorELNS0_4arch9wavefront6targetE1EEEvT1_ ; -- Begin function _ZN7rocprim17ROCPRIM_400000_NS6detail17trampoline_kernelINS0_14default_configENS1_29reduce_by_key_config_selectorIslN6thrust23THRUST_200600_302600_NS4plusIlEEEEZZNS1_33reduce_by_key_impl_wrapped_configILNS1_25lookback_scan_determinismE0ES3_S9_PsNS6_17constant_iteratorIiNS6_11use_defaultESE_EENS6_10device_ptrIsEENSG_IlEEPmS8_NS6_8equal_toIsEEEE10hipError_tPvRmT2_T3_mT4_T5_T6_T7_T8_P12ihipStream_tbENKUlT_T0_E_clISt17integral_constantIbLb0EES12_IbLb1EEEEDaSY_SZ_EUlSY_E_NS1_11comp_targetILNS1_3genE10ELNS1_11target_archE1200ELNS1_3gpuE4ELNS1_3repE0EEENS1_30default_config_static_selectorELNS0_4arch9wavefront6targetE1EEEvT1_
	.globl	_ZN7rocprim17ROCPRIM_400000_NS6detail17trampoline_kernelINS0_14default_configENS1_29reduce_by_key_config_selectorIslN6thrust23THRUST_200600_302600_NS4plusIlEEEEZZNS1_33reduce_by_key_impl_wrapped_configILNS1_25lookback_scan_determinismE0ES3_S9_PsNS6_17constant_iteratorIiNS6_11use_defaultESE_EENS6_10device_ptrIsEENSG_IlEEPmS8_NS6_8equal_toIsEEEE10hipError_tPvRmT2_T3_mT4_T5_T6_T7_T8_P12ihipStream_tbENKUlT_T0_E_clISt17integral_constantIbLb0EES12_IbLb1EEEEDaSY_SZ_EUlSY_E_NS1_11comp_targetILNS1_3genE10ELNS1_11target_archE1200ELNS1_3gpuE4ELNS1_3repE0EEENS1_30default_config_static_selectorELNS0_4arch9wavefront6targetE1EEEvT1_
	.p2align	8
	.type	_ZN7rocprim17ROCPRIM_400000_NS6detail17trampoline_kernelINS0_14default_configENS1_29reduce_by_key_config_selectorIslN6thrust23THRUST_200600_302600_NS4plusIlEEEEZZNS1_33reduce_by_key_impl_wrapped_configILNS1_25lookback_scan_determinismE0ES3_S9_PsNS6_17constant_iteratorIiNS6_11use_defaultESE_EENS6_10device_ptrIsEENSG_IlEEPmS8_NS6_8equal_toIsEEEE10hipError_tPvRmT2_T3_mT4_T5_T6_T7_T8_P12ihipStream_tbENKUlT_T0_E_clISt17integral_constantIbLb0EES12_IbLb1EEEEDaSY_SZ_EUlSY_E_NS1_11comp_targetILNS1_3genE10ELNS1_11target_archE1200ELNS1_3gpuE4ELNS1_3repE0EEENS1_30default_config_static_selectorELNS0_4arch9wavefront6targetE1EEEvT1_,@function
_ZN7rocprim17ROCPRIM_400000_NS6detail17trampoline_kernelINS0_14default_configENS1_29reduce_by_key_config_selectorIslN6thrust23THRUST_200600_302600_NS4plusIlEEEEZZNS1_33reduce_by_key_impl_wrapped_configILNS1_25lookback_scan_determinismE0ES3_S9_PsNS6_17constant_iteratorIiNS6_11use_defaultESE_EENS6_10device_ptrIsEENSG_IlEEPmS8_NS6_8equal_toIsEEEE10hipError_tPvRmT2_T3_mT4_T5_T6_T7_T8_P12ihipStream_tbENKUlT_T0_E_clISt17integral_constantIbLb0EES12_IbLb1EEEEDaSY_SZ_EUlSY_E_NS1_11comp_targetILNS1_3genE10ELNS1_11target_archE1200ELNS1_3gpuE4ELNS1_3repE0EEENS1_30default_config_static_selectorELNS0_4arch9wavefront6targetE1EEEvT1_: ; @_ZN7rocprim17ROCPRIM_400000_NS6detail17trampoline_kernelINS0_14default_configENS1_29reduce_by_key_config_selectorIslN6thrust23THRUST_200600_302600_NS4plusIlEEEEZZNS1_33reduce_by_key_impl_wrapped_configILNS1_25lookback_scan_determinismE0ES3_S9_PsNS6_17constant_iteratorIiNS6_11use_defaultESE_EENS6_10device_ptrIsEENSG_IlEEPmS8_NS6_8equal_toIsEEEE10hipError_tPvRmT2_T3_mT4_T5_T6_T7_T8_P12ihipStream_tbENKUlT_T0_E_clISt17integral_constantIbLb0EES12_IbLb1EEEEDaSY_SZ_EUlSY_E_NS1_11comp_targetILNS1_3genE10ELNS1_11target_archE1200ELNS1_3gpuE4ELNS1_3repE0EEENS1_30default_config_static_selectorELNS0_4arch9wavefront6targetE1EEEvT1_
; %bb.0:
	.section	.rodata,"a",@progbits
	.p2align	6, 0x0
	.amdhsa_kernel _ZN7rocprim17ROCPRIM_400000_NS6detail17trampoline_kernelINS0_14default_configENS1_29reduce_by_key_config_selectorIslN6thrust23THRUST_200600_302600_NS4plusIlEEEEZZNS1_33reduce_by_key_impl_wrapped_configILNS1_25lookback_scan_determinismE0ES3_S9_PsNS6_17constant_iteratorIiNS6_11use_defaultESE_EENS6_10device_ptrIsEENSG_IlEEPmS8_NS6_8equal_toIsEEEE10hipError_tPvRmT2_T3_mT4_T5_T6_T7_T8_P12ihipStream_tbENKUlT_T0_E_clISt17integral_constantIbLb0EES12_IbLb1EEEEDaSY_SZ_EUlSY_E_NS1_11comp_targetILNS1_3genE10ELNS1_11target_archE1200ELNS1_3gpuE4ELNS1_3repE0EEENS1_30default_config_static_selectorELNS0_4arch9wavefront6targetE1EEEvT1_
		.amdhsa_group_segment_fixed_size 0
		.amdhsa_private_segment_fixed_size 0
		.amdhsa_kernarg_size 144
		.amdhsa_user_sgpr_count 6
		.amdhsa_user_sgpr_private_segment_buffer 1
		.amdhsa_user_sgpr_dispatch_ptr 0
		.amdhsa_user_sgpr_queue_ptr 0
		.amdhsa_user_sgpr_kernarg_segment_ptr 1
		.amdhsa_user_sgpr_dispatch_id 0
		.amdhsa_user_sgpr_flat_scratch_init 0
		.amdhsa_user_sgpr_private_segment_size 0
		.amdhsa_uses_dynamic_stack 0
		.amdhsa_system_sgpr_private_segment_wavefront_offset 0
		.amdhsa_system_sgpr_workgroup_id_x 1
		.amdhsa_system_sgpr_workgroup_id_y 0
		.amdhsa_system_sgpr_workgroup_id_z 0
		.amdhsa_system_sgpr_workgroup_info 0
		.amdhsa_system_vgpr_workitem_id 0
		.amdhsa_next_free_vgpr 1
		.amdhsa_next_free_sgpr 0
		.amdhsa_reserve_vcc 0
		.amdhsa_reserve_flat_scratch 0
		.amdhsa_float_round_mode_32 0
		.amdhsa_float_round_mode_16_64 0
		.amdhsa_float_denorm_mode_32 3
		.amdhsa_float_denorm_mode_16_64 3
		.amdhsa_dx10_clamp 1
		.amdhsa_ieee_mode 1
		.amdhsa_fp16_overflow 0
		.amdhsa_exception_fp_ieee_invalid_op 0
		.amdhsa_exception_fp_denorm_src 0
		.amdhsa_exception_fp_ieee_div_zero 0
		.amdhsa_exception_fp_ieee_overflow 0
		.amdhsa_exception_fp_ieee_underflow 0
		.amdhsa_exception_fp_ieee_inexact 0
		.amdhsa_exception_int_div_zero 0
	.end_amdhsa_kernel
	.section	.text._ZN7rocprim17ROCPRIM_400000_NS6detail17trampoline_kernelINS0_14default_configENS1_29reduce_by_key_config_selectorIslN6thrust23THRUST_200600_302600_NS4plusIlEEEEZZNS1_33reduce_by_key_impl_wrapped_configILNS1_25lookback_scan_determinismE0ES3_S9_PsNS6_17constant_iteratorIiNS6_11use_defaultESE_EENS6_10device_ptrIsEENSG_IlEEPmS8_NS6_8equal_toIsEEEE10hipError_tPvRmT2_T3_mT4_T5_T6_T7_T8_P12ihipStream_tbENKUlT_T0_E_clISt17integral_constantIbLb0EES12_IbLb1EEEEDaSY_SZ_EUlSY_E_NS1_11comp_targetILNS1_3genE10ELNS1_11target_archE1200ELNS1_3gpuE4ELNS1_3repE0EEENS1_30default_config_static_selectorELNS0_4arch9wavefront6targetE1EEEvT1_,"axG",@progbits,_ZN7rocprim17ROCPRIM_400000_NS6detail17trampoline_kernelINS0_14default_configENS1_29reduce_by_key_config_selectorIslN6thrust23THRUST_200600_302600_NS4plusIlEEEEZZNS1_33reduce_by_key_impl_wrapped_configILNS1_25lookback_scan_determinismE0ES3_S9_PsNS6_17constant_iteratorIiNS6_11use_defaultESE_EENS6_10device_ptrIsEENSG_IlEEPmS8_NS6_8equal_toIsEEEE10hipError_tPvRmT2_T3_mT4_T5_T6_T7_T8_P12ihipStream_tbENKUlT_T0_E_clISt17integral_constantIbLb0EES12_IbLb1EEEEDaSY_SZ_EUlSY_E_NS1_11comp_targetILNS1_3genE10ELNS1_11target_archE1200ELNS1_3gpuE4ELNS1_3repE0EEENS1_30default_config_static_selectorELNS0_4arch9wavefront6targetE1EEEvT1_,comdat
.Lfunc_end1503:
	.size	_ZN7rocprim17ROCPRIM_400000_NS6detail17trampoline_kernelINS0_14default_configENS1_29reduce_by_key_config_selectorIslN6thrust23THRUST_200600_302600_NS4plusIlEEEEZZNS1_33reduce_by_key_impl_wrapped_configILNS1_25lookback_scan_determinismE0ES3_S9_PsNS6_17constant_iteratorIiNS6_11use_defaultESE_EENS6_10device_ptrIsEENSG_IlEEPmS8_NS6_8equal_toIsEEEE10hipError_tPvRmT2_T3_mT4_T5_T6_T7_T8_P12ihipStream_tbENKUlT_T0_E_clISt17integral_constantIbLb0EES12_IbLb1EEEEDaSY_SZ_EUlSY_E_NS1_11comp_targetILNS1_3genE10ELNS1_11target_archE1200ELNS1_3gpuE4ELNS1_3repE0EEENS1_30default_config_static_selectorELNS0_4arch9wavefront6targetE1EEEvT1_, .Lfunc_end1503-_ZN7rocprim17ROCPRIM_400000_NS6detail17trampoline_kernelINS0_14default_configENS1_29reduce_by_key_config_selectorIslN6thrust23THRUST_200600_302600_NS4plusIlEEEEZZNS1_33reduce_by_key_impl_wrapped_configILNS1_25lookback_scan_determinismE0ES3_S9_PsNS6_17constant_iteratorIiNS6_11use_defaultESE_EENS6_10device_ptrIsEENSG_IlEEPmS8_NS6_8equal_toIsEEEE10hipError_tPvRmT2_T3_mT4_T5_T6_T7_T8_P12ihipStream_tbENKUlT_T0_E_clISt17integral_constantIbLb0EES12_IbLb1EEEEDaSY_SZ_EUlSY_E_NS1_11comp_targetILNS1_3genE10ELNS1_11target_archE1200ELNS1_3gpuE4ELNS1_3repE0EEENS1_30default_config_static_selectorELNS0_4arch9wavefront6targetE1EEEvT1_
                                        ; -- End function
	.set _ZN7rocprim17ROCPRIM_400000_NS6detail17trampoline_kernelINS0_14default_configENS1_29reduce_by_key_config_selectorIslN6thrust23THRUST_200600_302600_NS4plusIlEEEEZZNS1_33reduce_by_key_impl_wrapped_configILNS1_25lookback_scan_determinismE0ES3_S9_PsNS6_17constant_iteratorIiNS6_11use_defaultESE_EENS6_10device_ptrIsEENSG_IlEEPmS8_NS6_8equal_toIsEEEE10hipError_tPvRmT2_T3_mT4_T5_T6_T7_T8_P12ihipStream_tbENKUlT_T0_E_clISt17integral_constantIbLb0EES12_IbLb1EEEEDaSY_SZ_EUlSY_E_NS1_11comp_targetILNS1_3genE10ELNS1_11target_archE1200ELNS1_3gpuE4ELNS1_3repE0EEENS1_30default_config_static_selectorELNS0_4arch9wavefront6targetE1EEEvT1_.num_vgpr, 0
	.set _ZN7rocprim17ROCPRIM_400000_NS6detail17trampoline_kernelINS0_14default_configENS1_29reduce_by_key_config_selectorIslN6thrust23THRUST_200600_302600_NS4plusIlEEEEZZNS1_33reduce_by_key_impl_wrapped_configILNS1_25lookback_scan_determinismE0ES3_S9_PsNS6_17constant_iteratorIiNS6_11use_defaultESE_EENS6_10device_ptrIsEENSG_IlEEPmS8_NS6_8equal_toIsEEEE10hipError_tPvRmT2_T3_mT4_T5_T6_T7_T8_P12ihipStream_tbENKUlT_T0_E_clISt17integral_constantIbLb0EES12_IbLb1EEEEDaSY_SZ_EUlSY_E_NS1_11comp_targetILNS1_3genE10ELNS1_11target_archE1200ELNS1_3gpuE4ELNS1_3repE0EEENS1_30default_config_static_selectorELNS0_4arch9wavefront6targetE1EEEvT1_.num_agpr, 0
	.set _ZN7rocprim17ROCPRIM_400000_NS6detail17trampoline_kernelINS0_14default_configENS1_29reduce_by_key_config_selectorIslN6thrust23THRUST_200600_302600_NS4plusIlEEEEZZNS1_33reduce_by_key_impl_wrapped_configILNS1_25lookback_scan_determinismE0ES3_S9_PsNS6_17constant_iteratorIiNS6_11use_defaultESE_EENS6_10device_ptrIsEENSG_IlEEPmS8_NS6_8equal_toIsEEEE10hipError_tPvRmT2_T3_mT4_T5_T6_T7_T8_P12ihipStream_tbENKUlT_T0_E_clISt17integral_constantIbLb0EES12_IbLb1EEEEDaSY_SZ_EUlSY_E_NS1_11comp_targetILNS1_3genE10ELNS1_11target_archE1200ELNS1_3gpuE4ELNS1_3repE0EEENS1_30default_config_static_selectorELNS0_4arch9wavefront6targetE1EEEvT1_.numbered_sgpr, 0
	.set _ZN7rocprim17ROCPRIM_400000_NS6detail17trampoline_kernelINS0_14default_configENS1_29reduce_by_key_config_selectorIslN6thrust23THRUST_200600_302600_NS4plusIlEEEEZZNS1_33reduce_by_key_impl_wrapped_configILNS1_25lookback_scan_determinismE0ES3_S9_PsNS6_17constant_iteratorIiNS6_11use_defaultESE_EENS6_10device_ptrIsEENSG_IlEEPmS8_NS6_8equal_toIsEEEE10hipError_tPvRmT2_T3_mT4_T5_T6_T7_T8_P12ihipStream_tbENKUlT_T0_E_clISt17integral_constantIbLb0EES12_IbLb1EEEEDaSY_SZ_EUlSY_E_NS1_11comp_targetILNS1_3genE10ELNS1_11target_archE1200ELNS1_3gpuE4ELNS1_3repE0EEENS1_30default_config_static_selectorELNS0_4arch9wavefront6targetE1EEEvT1_.num_named_barrier, 0
	.set _ZN7rocprim17ROCPRIM_400000_NS6detail17trampoline_kernelINS0_14default_configENS1_29reduce_by_key_config_selectorIslN6thrust23THRUST_200600_302600_NS4plusIlEEEEZZNS1_33reduce_by_key_impl_wrapped_configILNS1_25lookback_scan_determinismE0ES3_S9_PsNS6_17constant_iteratorIiNS6_11use_defaultESE_EENS6_10device_ptrIsEENSG_IlEEPmS8_NS6_8equal_toIsEEEE10hipError_tPvRmT2_T3_mT4_T5_T6_T7_T8_P12ihipStream_tbENKUlT_T0_E_clISt17integral_constantIbLb0EES12_IbLb1EEEEDaSY_SZ_EUlSY_E_NS1_11comp_targetILNS1_3genE10ELNS1_11target_archE1200ELNS1_3gpuE4ELNS1_3repE0EEENS1_30default_config_static_selectorELNS0_4arch9wavefront6targetE1EEEvT1_.private_seg_size, 0
	.set _ZN7rocprim17ROCPRIM_400000_NS6detail17trampoline_kernelINS0_14default_configENS1_29reduce_by_key_config_selectorIslN6thrust23THRUST_200600_302600_NS4plusIlEEEEZZNS1_33reduce_by_key_impl_wrapped_configILNS1_25lookback_scan_determinismE0ES3_S9_PsNS6_17constant_iteratorIiNS6_11use_defaultESE_EENS6_10device_ptrIsEENSG_IlEEPmS8_NS6_8equal_toIsEEEE10hipError_tPvRmT2_T3_mT4_T5_T6_T7_T8_P12ihipStream_tbENKUlT_T0_E_clISt17integral_constantIbLb0EES12_IbLb1EEEEDaSY_SZ_EUlSY_E_NS1_11comp_targetILNS1_3genE10ELNS1_11target_archE1200ELNS1_3gpuE4ELNS1_3repE0EEENS1_30default_config_static_selectorELNS0_4arch9wavefront6targetE1EEEvT1_.uses_vcc, 0
	.set _ZN7rocprim17ROCPRIM_400000_NS6detail17trampoline_kernelINS0_14default_configENS1_29reduce_by_key_config_selectorIslN6thrust23THRUST_200600_302600_NS4plusIlEEEEZZNS1_33reduce_by_key_impl_wrapped_configILNS1_25lookback_scan_determinismE0ES3_S9_PsNS6_17constant_iteratorIiNS6_11use_defaultESE_EENS6_10device_ptrIsEENSG_IlEEPmS8_NS6_8equal_toIsEEEE10hipError_tPvRmT2_T3_mT4_T5_T6_T7_T8_P12ihipStream_tbENKUlT_T0_E_clISt17integral_constantIbLb0EES12_IbLb1EEEEDaSY_SZ_EUlSY_E_NS1_11comp_targetILNS1_3genE10ELNS1_11target_archE1200ELNS1_3gpuE4ELNS1_3repE0EEENS1_30default_config_static_selectorELNS0_4arch9wavefront6targetE1EEEvT1_.uses_flat_scratch, 0
	.set _ZN7rocprim17ROCPRIM_400000_NS6detail17trampoline_kernelINS0_14default_configENS1_29reduce_by_key_config_selectorIslN6thrust23THRUST_200600_302600_NS4plusIlEEEEZZNS1_33reduce_by_key_impl_wrapped_configILNS1_25lookback_scan_determinismE0ES3_S9_PsNS6_17constant_iteratorIiNS6_11use_defaultESE_EENS6_10device_ptrIsEENSG_IlEEPmS8_NS6_8equal_toIsEEEE10hipError_tPvRmT2_T3_mT4_T5_T6_T7_T8_P12ihipStream_tbENKUlT_T0_E_clISt17integral_constantIbLb0EES12_IbLb1EEEEDaSY_SZ_EUlSY_E_NS1_11comp_targetILNS1_3genE10ELNS1_11target_archE1200ELNS1_3gpuE4ELNS1_3repE0EEENS1_30default_config_static_selectorELNS0_4arch9wavefront6targetE1EEEvT1_.has_dyn_sized_stack, 0
	.set _ZN7rocprim17ROCPRIM_400000_NS6detail17trampoline_kernelINS0_14default_configENS1_29reduce_by_key_config_selectorIslN6thrust23THRUST_200600_302600_NS4plusIlEEEEZZNS1_33reduce_by_key_impl_wrapped_configILNS1_25lookback_scan_determinismE0ES3_S9_PsNS6_17constant_iteratorIiNS6_11use_defaultESE_EENS6_10device_ptrIsEENSG_IlEEPmS8_NS6_8equal_toIsEEEE10hipError_tPvRmT2_T3_mT4_T5_T6_T7_T8_P12ihipStream_tbENKUlT_T0_E_clISt17integral_constantIbLb0EES12_IbLb1EEEEDaSY_SZ_EUlSY_E_NS1_11comp_targetILNS1_3genE10ELNS1_11target_archE1200ELNS1_3gpuE4ELNS1_3repE0EEENS1_30default_config_static_selectorELNS0_4arch9wavefront6targetE1EEEvT1_.has_recursion, 0
	.set _ZN7rocprim17ROCPRIM_400000_NS6detail17trampoline_kernelINS0_14default_configENS1_29reduce_by_key_config_selectorIslN6thrust23THRUST_200600_302600_NS4plusIlEEEEZZNS1_33reduce_by_key_impl_wrapped_configILNS1_25lookback_scan_determinismE0ES3_S9_PsNS6_17constant_iteratorIiNS6_11use_defaultESE_EENS6_10device_ptrIsEENSG_IlEEPmS8_NS6_8equal_toIsEEEE10hipError_tPvRmT2_T3_mT4_T5_T6_T7_T8_P12ihipStream_tbENKUlT_T0_E_clISt17integral_constantIbLb0EES12_IbLb1EEEEDaSY_SZ_EUlSY_E_NS1_11comp_targetILNS1_3genE10ELNS1_11target_archE1200ELNS1_3gpuE4ELNS1_3repE0EEENS1_30default_config_static_selectorELNS0_4arch9wavefront6targetE1EEEvT1_.has_indirect_call, 0
	.section	.AMDGPU.csdata,"",@progbits
; Kernel info:
; codeLenInByte = 0
; TotalNumSgprs: 4
; NumVgprs: 0
; ScratchSize: 0
; MemoryBound: 0
; FloatMode: 240
; IeeeMode: 1
; LDSByteSize: 0 bytes/workgroup (compile time only)
; SGPRBlocks: 0
; VGPRBlocks: 0
; NumSGPRsForWavesPerEU: 4
; NumVGPRsForWavesPerEU: 1
; Occupancy: 10
; WaveLimiterHint : 0
; COMPUTE_PGM_RSRC2:SCRATCH_EN: 0
; COMPUTE_PGM_RSRC2:USER_SGPR: 6
; COMPUTE_PGM_RSRC2:TRAP_HANDLER: 0
; COMPUTE_PGM_RSRC2:TGID_X_EN: 1
; COMPUTE_PGM_RSRC2:TGID_Y_EN: 0
; COMPUTE_PGM_RSRC2:TGID_Z_EN: 0
; COMPUTE_PGM_RSRC2:TIDIG_COMP_CNT: 0
	.section	.text._ZN7rocprim17ROCPRIM_400000_NS6detail17trampoline_kernelINS0_14default_configENS1_29reduce_by_key_config_selectorIslN6thrust23THRUST_200600_302600_NS4plusIlEEEEZZNS1_33reduce_by_key_impl_wrapped_configILNS1_25lookback_scan_determinismE0ES3_S9_PsNS6_17constant_iteratorIiNS6_11use_defaultESE_EENS6_10device_ptrIsEENSG_IlEEPmS8_NS6_8equal_toIsEEEE10hipError_tPvRmT2_T3_mT4_T5_T6_T7_T8_P12ihipStream_tbENKUlT_T0_E_clISt17integral_constantIbLb0EES12_IbLb1EEEEDaSY_SZ_EUlSY_E_NS1_11comp_targetILNS1_3genE9ELNS1_11target_archE1100ELNS1_3gpuE3ELNS1_3repE0EEENS1_30default_config_static_selectorELNS0_4arch9wavefront6targetE1EEEvT1_,"axG",@progbits,_ZN7rocprim17ROCPRIM_400000_NS6detail17trampoline_kernelINS0_14default_configENS1_29reduce_by_key_config_selectorIslN6thrust23THRUST_200600_302600_NS4plusIlEEEEZZNS1_33reduce_by_key_impl_wrapped_configILNS1_25lookback_scan_determinismE0ES3_S9_PsNS6_17constant_iteratorIiNS6_11use_defaultESE_EENS6_10device_ptrIsEENSG_IlEEPmS8_NS6_8equal_toIsEEEE10hipError_tPvRmT2_T3_mT4_T5_T6_T7_T8_P12ihipStream_tbENKUlT_T0_E_clISt17integral_constantIbLb0EES12_IbLb1EEEEDaSY_SZ_EUlSY_E_NS1_11comp_targetILNS1_3genE9ELNS1_11target_archE1100ELNS1_3gpuE3ELNS1_3repE0EEENS1_30default_config_static_selectorELNS0_4arch9wavefront6targetE1EEEvT1_,comdat
	.protected	_ZN7rocprim17ROCPRIM_400000_NS6detail17trampoline_kernelINS0_14default_configENS1_29reduce_by_key_config_selectorIslN6thrust23THRUST_200600_302600_NS4plusIlEEEEZZNS1_33reduce_by_key_impl_wrapped_configILNS1_25lookback_scan_determinismE0ES3_S9_PsNS6_17constant_iteratorIiNS6_11use_defaultESE_EENS6_10device_ptrIsEENSG_IlEEPmS8_NS6_8equal_toIsEEEE10hipError_tPvRmT2_T3_mT4_T5_T6_T7_T8_P12ihipStream_tbENKUlT_T0_E_clISt17integral_constantIbLb0EES12_IbLb1EEEEDaSY_SZ_EUlSY_E_NS1_11comp_targetILNS1_3genE9ELNS1_11target_archE1100ELNS1_3gpuE3ELNS1_3repE0EEENS1_30default_config_static_selectorELNS0_4arch9wavefront6targetE1EEEvT1_ ; -- Begin function _ZN7rocprim17ROCPRIM_400000_NS6detail17trampoline_kernelINS0_14default_configENS1_29reduce_by_key_config_selectorIslN6thrust23THRUST_200600_302600_NS4plusIlEEEEZZNS1_33reduce_by_key_impl_wrapped_configILNS1_25lookback_scan_determinismE0ES3_S9_PsNS6_17constant_iteratorIiNS6_11use_defaultESE_EENS6_10device_ptrIsEENSG_IlEEPmS8_NS6_8equal_toIsEEEE10hipError_tPvRmT2_T3_mT4_T5_T6_T7_T8_P12ihipStream_tbENKUlT_T0_E_clISt17integral_constantIbLb0EES12_IbLb1EEEEDaSY_SZ_EUlSY_E_NS1_11comp_targetILNS1_3genE9ELNS1_11target_archE1100ELNS1_3gpuE3ELNS1_3repE0EEENS1_30default_config_static_selectorELNS0_4arch9wavefront6targetE1EEEvT1_
	.globl	_ZN7rocprim17ROCPRIM_400000_NS6detail17trampoline_kernelINS0_14default_configENS1_29reduce_by_key_config_selectorIslN6thrust23THRUST_200600_302600_NS4plusIlEEEEZZNS1_33reduce_by_key_impl_wrapped_configILNS1_25lookback_scan_determinismE0ES3_S9_PsNS6_17constant_iteratorIiNS6_11use_defaultESE_EENS6_10device_ptrIsEENSG_IlEEPmS8_NS6_8equal_toIsEEEE10hipError_tPvRmT2_T3_mT4_T5_T6_T7_T8_P12ihipStream_tbENKUlT_T0_E_clISt17integral_constantIbLb0EES12_IbLb1EEEEDaSY_SZ_EUlSY_E_NS1_11comp_targetILNS1_3genE9ELNS1_11target_archE1100ELNS1_3gpuE3ELNS1_3repE0EEENS1_30default_config_static_selectorELNS0_4arch9wavefront6targetE1EEEvT1_
	.p2align	8
	.type	_ZN7rocprim17ROCPRIM_400000_NS6detail17trampoline_kernelINS0_14default_configENS1_29reduce_by_key_config_selectorIslN6thrust23THRUST_200600_302600_NS4plusIlEEEEZZNS1_33reduce_by_key_impl_wrapped_configILNS1_25lookback_scan_determinismE0ES3_S9_PsNS6_17constant_iteratorIiNS6_11use_defaultESE_EENS6_10device_ptrIsEENSG_IlEEPmS8_NS6_8equal_toIsEEEE10hipError_tPvRmT2_T3_mT4_T5_T6_T7_T8_P12ihipStream_tbENKUlT_T0_E_clISt17integral_constantIbLb0EES12_IbLb1EEEEDaSY_SZ_EUlSY_E_NS1_11comp_targetILNS1_3genE9ELNS1_11target_archE1100ELNS1_3gpuE3ELNS1_3repE0EEENS1_30default_config_static_selectorELNS0_4arch9wavefront6targetE1EEEvT1_,@function
_ZN7rocprim17ROCPRIM_400000_NS6detail17trampoline_kernelINS0_14default_configENS1_29reduce_by_key_config_selectorIslN6thrust23THRUST_200600_302600_NS4plusIlEEEEZZNS1_33reduce_by_key_impl_wrapped_configILNS1_25lookback_scan_determinismE0ES3_S9_PsNS6_17constant_iteratorIiNS6_11use_defaultESE_EENS6_10device_ptrIsEENSG_IlEEPmS8_NS6_8equal_toIsEEEE10hipError_tPvRmT2_T3_mT4_T5_T6_T7_T8_P12ihipStream_tbENKUlT_T0_E_clISt17integral_constantIbLb0EES12_IbLb1EEEEDaSY_SZ_EUlSY_E_NS1_11comp_targetILNS1_3genE9ELNS1_11target_archE1100ELNS1_3gpuE3ELNS1_3repE0EEENS1_30default_config_static_selectorELNS0_4arch9wavefront6targetE1EEEvT1_: ; @_ZN7rocprim17ROCPRIM_400000_NS6detail17trampoline_kernelINS0_14default_configENS1_29reduce_by_key_config_selectorIslN6thrust23THRUST_200600_302600_NS4plusIlEEEEZZNS1_33reduce_by_key_impl_wrapped_configILNS1_25lookback_scan_determinismE0ES3_S9_PsNS6_17constant_iteratorIiNS6_11use_defaultESE_EENS6_10device_ptrIsEENSG_IlEEPmS8_NS6_8equal_toIsEEEE10hipError_tPvRmT2_T3_mT4_T5_T6_T7_T8_P12ihipStream_tbENKUlT_T0_E_clISt17integral_constantIbLb0EES12_IbLb1EEEEDaSY_SZ_EUlSY_E_NS1_11comp_targetILNS1_3genE9ELNS1_11target_archE1100ELNS1_3gpuE3ELNS1_3repE0EEENS1_30default_config_static_selectorELNS0_4arch9wavefront6targetE1EEEvT1_
; %bb.0:
	.section	.rodata,"a",@progbits
	.p2align	6, 0x0
	.amdhsa_kernel _ZN7rocprim17ROCPRIM_400000_NS6detail17trampoline_kernelINS0_14default_configENS1_29reduce_by_key_config_selectorIslN6thrust23THRUST_200600_302600_NS4plusIlEEEEZZNS1_33reduce_by_key_impl_wrapped_configILNS1_25lookback_scan_determinismE0ES3_S9_PsNS6_17constant_iteratorIiNS6_11use_defaultESE_EENS6_10device_ptrIsEENSG_IlEEPmS8_NS6_8equal_toIsEEEE10hipError_tPvRmT2_T3_mT4_T5_T6_T7_T8_P12ihipStream_tbENKUlT_T0_E_clISt17integral_constantIbLb0EES12_IbLb1EEEEDaSY_SZ_EUlSY_E_NS1_11comp_targetILNS1_3genE9ELNS1_11target_archE1100ELNS1_3gpuE3ELNS1_3repE0EEENS1_30default_config_static_selectorELNS0_4arch9wavefront6targetE1EEEvT1_
		.amdhsa_group_segment_fixed_size 0
		.amdhsa_private_segment_fixed_size 0
		.amdhsa_kernarg_size 144
		.amdhsa_user_sgpr_count 6
		.amdhsa_user_sgpr_private_segment_buffer 1
		.amdhsa_user_sgpr_dispatch_ptr 0
		.amdhsa_user_sgpr_queue_ptr 0
		.amdhsa_user_sgpr_kernarg_segment_ptr 1
		.amdhsa_user_sgpr_dispatch_id 0
		.amdhsa_user_sgpr_flat_scratch_init 0
		.amdhsa_user_sgpr_private_segment_size 0
		.amdhsa_uses_dynamic_stack 0
		.amdhsa_system_sgpr_private_segment_wavefront_offset 0
		.amdhsa_system_sgpr_workgroup_id_x 1
		.amdhsa_system_sgpr_workgroup_id_y 0
		.amdhsa_system_sgpr_workgroup_id_z 0
		.amdhsa_system_sgpr_workgroup_info 0
		.amdhsa_system_vgpr_workitem_id 0
		.amdhsa_next_free_vgpr 1
		.amdhsa_next_free_sgpr 0
		.amdhsa_reserve_vcc 0
		.amdhsa_reserve_flat_scratch 0
		.amdhsa_float_round_mode_32 0
		.amdhsa_float_round_mode_16_64 0
		.amdhsa_float_denorm_mode_32 3
		.amdhsa_float_denorm_mode_16_64 3
		.amdhsa_dx10_clamp 1
		.amdhsa_ieee_mode 1
		.amdhsa_fp16_overflow 0
		.amdhsa_exception_fp_ieee_invalid_op 0
		.amdhsa_exception_fp_denorm_src 0
		.amdhsa_exception_fp_ieee_div_zero 0
		.amdhsa_exception_fp_ieee_overflow 0
		.amdhsa_exception_fp_ieee_underflow 0
		.amdhsa_exception_fp_ieee_inexact 0
		.amdhsa_exception_int_div_zero 0
	.end_amdhsa_kernel
	.section	.text._ZN7rocprim17ROCPRIM_400000_NS6detail17trampoline_kernelINS0_14default_configENS1_29reduce_by_key_config_selectorIslN6thrust23THRUST_200600_302600_NS4plusIlEEEEZZNS1_33reduce_by_key_impl_wrapped_configILNS1_25lookback_scan_determinismE0ES3_S9_PsNS6_17constant_iteratorIiNS6_11use_defaultESE_EENS6_10device_ptrIsEENSG_IlEEPmS8_NS6_8equal_toIsEEEE10hipError_tPvRmT2_T3_mT4_T5_T6_T7_T8_P12ihipStream_tbENKUlT_T0_E_clISt17integral_constantIbLb0EES12_IbLb1EEEEDaSY_SZ_EUlSY_E_NS1_11comp_targetILNS1_3genE9ELNS1_11target_archE1100ELNS1_3gpuE3ELNS1_3repE0EEENS1_30default_config_static_selectorELNS0_4arch9wavefront6targetE1EEEvT1_,"axG",@progbits,_ZN7rocprim17ROCPRIM_400000_NS6detail17trampoline_kernelINS0_14default_configENS1_29reduce_by_key_config_selectorIslN6thrust23THRUST_200600_302600_NS4plusIlEEEEZZNS1_33reduce_by_key_impl_wrapped_configILNS1_25lookback_scan_determinismE0ES3_S9_PsNS6_17constant_iteratorIiNS6_11use_defaultESE_EENS6_10device_ptrIsEENSG_IlEEPmS8_NS6_8equal_toIsEEEE10hipError_tPvRmT2_T3_mT4_T5_T6_T7_T8_P12ihipStream_tbENKUlT_T0_E_clISt17integral_constantIbLb0EES12_IbLb1EEEEDaSY_SZ_EUlSY_E_NS1_11comp_targetILNS1_3genE9ELNS1_11target_archE1100ELNS1_3gpuE3ELNS1_3repE0EEENS1_30default_config_static_selectorELNS0_4arch9wavefront6targetE1EEEvT1_,comdat
.Lfunc_end1504:
	.size	_ZN7rocprim17ROCPRIM_400000_NS6detail17trampoline_kernelINS0_14default_configENS1_29reduce_by_key_config_selectorIslN6thrust23THRUST_200600_302600_NS4plusIlEEEEZZNS1_33reduce_by_key_impl_wrapped_configILNS1_25lookback_scan_determinismE0ES3_S9_PsNS6_17constant_iteratorIiNS6_11use_defaultESE_EENS6_10device_ptrIsEENSG_IlEEPmS8_NS6_8equal_toIsEEEE10hipError_tPvRmT2_T3_mT4_T5_T6_T7_T8_P12ihipStream_tbENKUlT_T0_E_clISt17integral_constantIbLb0EES12_IbLb1EEEEDaSY_SZ_EUlSY_E_NS1_11comp_targetILNS1_3genE9ELNS1_11target_archE1100ELNS1_3gpuE3ELNS1_3repE0EEENS1_30default_config_static_selectorELNS0_4arch9wavefront6targetE1EEEvT1_, .Lfunc_end1504-_ZN7rocprim17ROCPRIM_400000_NS6detail17trampoline_kernelINS0_14default_configENS1_29reduce_by_key_config_selectorIslN6thrust23THRUST_200600_302600_NS4plusIlEEEEZZNS1_33reduce_by_key_impl_wrapped_configILNS1_25lookback_scan_determinismE0ES3_S9_PsNS6_17constant_iteratorIiNS6_11use_defaultESE_EENS6_10device_ptrIsEENSG_IlEEPmS8_NS6_8equal_toIsEEEE10hipError_tPvRmT2_T3_mT4_T5_T6_T7_T8_P12ihipStream_tbENKUlT_T0_E_clISt17integral_constantIbLb0EES12_IbLb1EEEEDaSY_SZ_EUlSY_E_NS1_11comp_targetILNS1_3genE9ELNS1_11target_archE1100ELNS1_3gpuE3ELNS1_3repE0EEENS1_30default_config_static_selectorELNS0_4arch9wavefront6targetE1EEEvT1_
                                        ; -- End function
	.set _ZN7rocprim17ROCPRIM_400000_NS6detail17trampoline_kernelINS0_14default_configENS1_29reduce_by_key_config_selectorIslN6thrust23THRUST_200600_302600_NS4plusIlEEEEZZNS1_33reduce_by_key_impl_wrapped_configILNS1_25lookback_scan_determinismE0ES3_S9_PsNS6_17constant_iteratorIiNS6_11use_defaultESE_EENS6_10device_ptrIsEENSG_IlEEPmS8_NS6_8equal_toIsEEEE10hipError_tPvRmT2_T3_mT4_T5_T6_T7_T8_P12ihipStream_tbENKUlT_T0_E_clISt17integral_constantIbLb0EES12_IbLb1EEEEDaSY_SZ_EUlSY_E_NS1_11comp_targetILNS1_3genE9ELNS1_11target_archE1100ELNS1_3gpuE3ELNS1_3repE0EEENS1_30default_config_static_selectorELNS0_4arch9wavefront6targetE1EEEvT1_.num_vgpr, 0
	.set _ZN7rocprim17ROCPRIM_400000_NS6detail17trampoline_kernelINS0_14default_configENS1_29reduce_by_key_config_selectorIslN6thrust23THRUST_200600_302600_NS4plusIlEEEEZZNS1_33reduce_by_key_impl_wrapped_configILNS1_25lookback_scan_determinismE0ES3_S9_PsNS6_17constant_iteratorIiNS6_11use_defaultESE_EENS6_10device_ptrIsEENSG_IlEEPmS8_NS6_8equal_toIsEEEE10hipError_tPvRmT2_T3_mT4_T5_T6_T7_T8_P12ihipStream_tbENKUlT_T0_E_clISt17integral_constantIbLb0EES12_IbLb1EEEEDaSY_SZ_EUlSY_E_NS1_11comp_targetILNS1_3genE9ELNS1_11target_archE1100ELNS1_3gpuE3ELNS1_3repE0EEENS1_30default_config_static_selectorELNS0_4arch9wavefront6targetE1EEEvT1_.num_agpr, 0
	.set _ZN7rocprim17ROCPRIM_400000_NS6detail17trampoline_kernelINS0_14default_configENS1_29reduce_by_key_config_selectorIslN6thrust23THRUST_200600_302600_NS4plusIlEEEEZZNS1_33reduce_by_key_impl_wrapped_configILNS1_25lookback_scan_determinismE0ES3_S9_PsNS6_17constant_iteratorIiNS6_11use_defaultESE_EENS6_10device_ptrIsEENSG_IlEEPmS8_NS6_8equal_toIsEEEE10hipError_tPvRmT2_T3_mT4_T5_T6_T7_T8_P12ihipStream_tbENKUlT_T0_E_clISt17integral_constantIbLb0EES12_IbLb1EEEEDaSY_SZ_EUlSY_E_NS1_11comp_targetILNS1_3genE9ELNS1_11target_archE1100ELNS1_3gpuE3ELNS1_3repE0EEENS1_30default_config_static_selectorELNS0_4arch9wavefront6targetE1EEEvT1_.numbered_sgpr, 0
	.set _ZN7rocprim17ROCPRIM_400000_NS6detail17trampoline_kernelINS0_14default_configENS1_29reduce_by_key_config_selectorIslN6thrust23THRUST_200600_302600_NS4plusIlEEEEZZNS1_33reduce_by_key_impl_wrapped_configILNS1_25lookback_scan_determinismE0ES3_S9_PsNS6_17constant_iteratorIiNS6_11use_defaultESE_EENS6_10device_ptrIsEENSG_IlEEPmS8_NS6_8equal_toIsEEEE10hipError_tPvRmT2_T3_mT4_T5_T6_T7_T8_P12ihipStream_tbENKUlT_T0_E_clISt17integral_constantIbLb0EES12_IbLb1EEEEDaSY_SZ_EUlSY_E_NS1_11comp_targetILNS1_3genE9ELNS1_11target_archE1100ELNS1_3gpuE3ELNS1_3repE0EEENS1_30default_config_static_selectorELNS0_4arch9wavefront6targetE1EEEvT1_.num_named_barrier, 0
	.set _ZN7rocprim17ROCPRIM_400000_NS6detail17trampoline_kernelINS0_14default_configENS1_29reduce_by_key_config_selectorIslN6thrust23THRUST_200600_302600_NS4plusIlEEEEZZNS1_33reduce_by_key_impl_wrapped_configILNS1_25lookback_scan_determinismE0ES3_S9_PsNS6_17constant_iteratorIiNS6_11use_defaultESE_EENS6_10device_ptrIsEENSG_IlEEPmS8_NS6_8equal_toIsEEEE10hipError_tPvRmT2_T3_mT4_T5_T6_T7_T8_P12ihipStream_tbENKUlT_T0_E_clISt17integral_constantIbLb0EES12_IbLb1EEEEDaSY_SZ_EUlSY_E_NS1_11comp_targetILNS1_3genE9ELNS1_11target_archE1100ELNS1_3gpuE3ELNS1_3repE0EEENS1_30default_config_static_selectorELNS0_4arch9wavefront6targetE1EEEvT1_.private_seg_size, 0
	.set _ZN7rocprim17ROCPRIM_400000_NS6detail17trampoline_kernelINS0_14default_configENS1_29reduce_by_key_config_selectorIslN6thrust23THRUST_200600_302600_NS4plusIlEEEEZZNS1_33reduce_by_key_impl_wrapped_configILNS1_25lookback_scan_determinismE0ES3_S9_PsNS6_17constant_iteratorIiNS6_11use_defaultESE_EENS6_10device_ptrIsEENSG_IlEEPmS8_NS6_8equal_toIsEEEE10hipError_tPvRmT2_T3_mT4_T5_T6_T7_T8_P12ihipStream_tbENKUlT_T0_E_clISt17integral_constantIbLb0EES12_IbLb1EEEEDaSY_SZ_EUlSY_E_NS1_11comp_targetILNS1_3genE9ELNS1_11target_archE1100ELNS1_3gpuE3ELNS1_3repE0EEENS1_30default_config_static_selectorELNS0_4arch9wavefront6targetE1EEEvT1_.uses_vcc, 0
	.set _ZN7rocprim17ROCPRIM_400000_NS6detail17trampoline_kernelINS0_14default_configENS1_29reduce_by_key_config_selectorIslN6thrust23THRUST_200600_302600_NS4plusIlEEEEZZNS1_33reduce_by_key_impl_wrapped_configILNS1_25lookback_scan_determinismE0ES3_S9_PsNS6_17constant_iteratorIiNS6_11use_defaultESE_EENS6_10device_ptrIsEENSG_IlEEPmS8_NS6_8equal_toIsEEEE10hipError_tPvRmT2_T3_mT4_T5_T6_T7_T8_P12ihipStream_tbENKUlT_T0_E_clISt17integral_constantIbLb0EES12_IbLb1EEEEDaSY_SZ_EUlSY_E_NS1_11comp_targetILNS1_3genE9ELNS1_11target_archE1100ELNS1_3gpuE3ELNS1_3repE0EEENS1_30default_config_static_selectorELNS0_4arch9wavefront6targetE1EEEvT1_.uses_flat_scratch, 0
	.set _ZN7rocprim17ROCPRIM_400000_NS6detail17trampoline_kernelINS0_14default_configENS1_29reduce_by_key_config_selectorIslN6thrust23THRUST_200600_302600_NS4plusIlEEEEZZNS1_33reduce_by_key_impl_wrapped_configILNS1_25lookback_scan_determinismE0ES3_S9_PsNS6_17constant_iteratorIiNS6_11use_defaultESE_EENS6_10device_ptrIsEENSG_IlEEPmS8_NS6_8equal_toIsEEEE10hipError_tPvRmT2_T3_mT4_T5_T6_T7_T8_P12ihipStream_tbENKUlT_T0_E_clISt17integral_constantIbLb0EES12_IbLb1EEEEDaSY_SZ_EUlSY_E_NS1_11comp_targetILNS1_3genE9ELNS1_11target_archE1100ELNS1_3gpuE3ELNS1_3repE0EEENS1_30default_config_static_selectorELNS0_4arch9wavefront6targetE1EEEvT1_.has_dyn_sized_stack, 0
	.set _ZN7rocprim17ROCPRIM_400000_NS6detail17trampoline_kernelINS0_14default_configENS1_29reduce_by_key_config_selectorIslN6thrust23THRUST_200600_302600_NS4plusIlEEEEZZNS1_33reduce_by_key_impl_wrapped_configILNS1_25lookback_scan_determinismE0ES3_S9_PsNS6_17constant_iteratorIiNS6_11use_defaultESE_EENS6_10device_ptrIsEENSG_IlEEPmS8_NS6_8equal_toIsEEEE10hipError_tPvRmT2_T3_mT4_T5_T6_T7_T8_P12ihipStream_tbENKUlT_T0_E_clISt17integral_constantIbLb0EES12_IbLb1EEEEDaSY_SZ_EUlSY_E_NS1_11comp_targetILNS1_3genE9ELNS1_11target_archE1100ELNS1_3gpuE3ELNS1_3repE0EEENS1_30default_config_static_selectorELNS0_4arch9wavefront6targetE1EEEvT1_.has_recursion, 0
	.set _ZN7rocprim17ROCPRIM_400000_NS6detail17trampoline_kernelINS0_14default_configENS1_29reduce_by_key_config_selectorIslN6thrust23THRUST_200600_302600_NS4plusIlEEEEZZNS1_33reduce_by_key_impl_wrapped_configILNS1_25lookback_scan_determinismE0ES3_S9_PsNS6_17constant_iteratorIiNS6_11use_defaultESE_EENS6_10device_ptrIsEENSG_IlEEPmS8_NS6_8equal_toIsEEEE10hipError_tPvRmT2_T3_mT4_T5_T6_T7_T8_P12ihipStream_tbENKUlT_T0_E_clISt17integral_constantIbLb0EES12_IbLb1EEEEDaSY_SZ_EUlSY_E_NS1_11comp_targetILNS1_3genE9ELNS1_11target_archE1100ELNS1_3gpuE3ELNS1_3repE0EEENS1_30default_config_static_selectorELNS0_4arch9wavefront6targetE1EEEvT1_.has_indirect_call, 0
	.section	.AMDGPU.csdata,"",@progbits
; Kernel info:
; codeLenInByte = 0
; TotalNumSgprs: 4
; NumVgprs: 0
; ScratchSize: 0
; MemoryBound: 0
; FloatMode: 240
; IeeeMode: 1
; LDSByteSize: 0 bytes/workgroup (compile time only)
; SGPRBlocks: 0
; VGPRBlocks: 0
; NumSGPRsForWavesPerEU: 4
; NumVGPRsForWavesPerEU: 1
; Occupancy: 10
; WaveLimiterHint : 0
; COMPUTE_PGM_RSRC2:SCRATCH_EN: 0
; COMPUTE_PGM_RSRC2:USER_SGPR: 6
; COMPUTE_PGM_RSRC2:TRAP_HANDLER: 0
; COMPUTE_PGM_RSRC2:TGID_X_EN: 1
; COMPUTE_PGM_RSRC2:TGID_Y_EN: 0
; COMPUTE_PGM_RSRC2:TGID_Z_EN: 0
; COMPUTE_PGM_RSRC2:TIDIG_COMP_CNT: 0
	.section	.text._ZN7rocprim17ROCPRIM_400000_NS6detail17trampoline_kernelINS0_14default_configENS1_29reduce_by_key_config_selectorIslN6thrust23THRUST_200600_302600_NS4plusIlEEEEZZNS1_33reduce_by_key_impl_wrapped_configILNS1_25lookback_scan_determinismE0ES3_S9_PsNS6_17constant_iteratorIiNS6_11use_defaultESE_EENS6_10device_ptrIsEENSG_IlEEPmS8_NS6_8equal_toIsEEEE10hipError_tPvRmT2_T3_mT4_T5_T6_T7_T8_P12ihipStream_tbENKUlT_T0_E_clISt17integral_constantIbLb0EES12_IbLb1EEEEDaSY_SZ_EUlSY_E_NS1_11comp_targetILNS1_3genE8ELNS1_11target_archE1030ELNS1_3gpuE2ELNS1_3repE0EEENS1_30default_config_static_selectorELNS0_4arch9wavefront6targetE1EEEvT1_,"axG",@progbits,_ZN7rocprim17ROCPRIM_400000_NS6detail17trampoline_kernelINS0_14default_configENS1_29reduce_by_key_config_selectorIslN6thrust23THRUST_200600_302600_NS4plusIlEEEEZZNS1_33reduce_by_key_impl_wrapped_configILNS1_25lookback_scan_determinismE0ES3_S9_PsNS6_17constant_iteratorIiNS6_11use_defaultESE_EENS6_10device_ptrIsEENSG_IlEEPmS8_NS6_8equal_toIsEEEE10hipError_tPvRmT2_T3_mT4_T5_T6_T7_T8_P12ihipStream_tbENKUlT_T0_E_clISt17integral_constantIbLb0EES12_IbLb1EEEEDaSY_SZ_EUlSY_E_NS1_11comp_targetILNS1_3genE8ELNS1_11target_archE1030ELNS1_3gpuE2ELNS1_3repE0EEENS1_30default_config_static_selectorELNS0_4arch9wavefront6targetE1EEEvT1_,comdat
	.protected	_ZN7rocprim17ROCPRIM_400000_NS6detail17trampoline_kernelINS0_14default_configENS1_29reduce_by_key_config_selectorIslN6thrust23THRUST_200600_302600_NS4plusIlEEEEZZNS1_33reduce_by_key_impl_wrapped_configILNS1_25lookback_scan_determinismE0ES3_S9_PsNS6_17constant_iteratorIiNS6_11use_defaultESE_EENS6_10device_ptrIsEENSG_IlEEPmS8_NS6_8equal_toIsEEEE10hipError_tPvRmT2_T3_mT4_T5_T6_T7_T8_P12ihipStream_tbENKUlT_T0_E_clISt17integral_constantIbLb0EES12_IbLb1EEEEDaSY_SZ_EUlSY_E_NS1_11comp_targetILNS1_3genE8ELNS1_11target_archE1030ELNS1_3gpuE2ELNS1_3repE0EEENS1_30default_config_static_selectorELNS0_4arch9wavefront6targetE1EEEvT1_ ; -- Begin function _ZN7rocprim17ROCPRIM_400000_NS6detail17trampoline_kernelINS0_14default_configENS1_29reduce_by_key_config_selectorIslN6thrust23THRUST_200600_302600_NS4plusIlEEEEZZNS1_33reduce_by_key_impl_wrapped_configILNS1_25lookback_scan_determinismE0ES3_S9_PsNS6_17constant_iteratorIiNS6_11use_defaultESE_EENS6_10device_ptrIsEENSG_IlEEPmS8_NS6_8equal_toIsEEEE10hipError_tPvRmT2_T3_mT4_T5_T6_T7_T8_P12ihipStream_tbENKUlT_T0_E_clISt17integral_constantIbLb0EES12_IbLb1EEEEDaSY_SZ_EUlSY_E_NS1_11comp_targetILNS1_3genE8ELNS1_11target_archE1030ELNS1_3gpuE2ELNS1_3repE0EEENS1_30default_config_static_selectorELNS0_4arch9wavefront6targetE1EEEvT1_
	.globl	_ZN7rocprim17ROCPRIM_400000_NS6detail17trampoline_kernelINS0_14default_configENS1_29reduce_by_key_config_selectorIslN6thrust23THRUST_200600_302600_NS4plusIlEEEEZZNS1_33reduce_by_key_impl_wrapped_configILNS1_25lookback_scan_determinismE0ES3_S9_PsNS6_17constant_iteratorIiNS6_11use_defaultESE_EENS6_10device_ptrIsEENSG_IlEEPmS8_NS6_8equal_toIsEEEE10hipError_tPvRmT2_T3_mT4_T5_T6_T7_T8_P12ihipStream_tbENKUlT_T0_E_clISt17integral_constantIbLb0EES12_IbLb1EEEEDaSY_SZ_EUlSY_E_NS1_11comp_targetILNS1_3genE8ELNS1_11target_archE1030ELNS1_3gpuE2ELNS1_3repE0EEENS1_30default_config_static_selectorELNS0_4arch9wavefront6targetE1EEEvT1_
	.p2align	8
	.type	_ZN7rocprim17ROCPRIM_400000_NS6detail17trampoline_kernelINS0_14default_configENS1_29reduce_by_key_config_selectorIslN6thrust23THRUST_200600_302600_NS4plusIlEEEEZZNS1_33reduce_by_key_impl_wrapped_configILNS1_25lookback_scan_determinismE0ES3_S9_PsNS6_17constant_iteratorIiNS6_11use_defaultESE_EENS6_10device_ptrIsEENSG_IlEEPmS8_NS6_8equal_toIsEEEE10hipError_tPvRmT2_T3_mT4_T5_T6_T7_T8_P12ihipStream_tbENKUlT_T0_E_clISt17integral_constantIbLb0EES12_IbLb1EEEEDaSY_SZ_EUlSY_E_NS1_11comp_targetILNS1_3genE8ELNS1_11target_archE1030ELNS1_3gpuE2ELNS1_3repE0EEENS1_30default_config_static_selectorELNS0_4arch9wavefront6targetE1EEEvT1_,@function
_ZN7rocprim17ROCPRIM_400000_NS6detail17trampoline_kernelINS0_14default_configENS1_29reduce_by_key_config_selectorIslN6thrust23THRUST_200600_302600_NS4plusIlEEEEZZNS1_33reduce_by_key_impl_wrapped_configILNS1_25lookback_scan_determinismE0ES3_S9_PsNS6_17constant_iteratorIiNS6_11use_defaultESE_EENS6_10device_ptrIsEENSG_IlEEPmS8_NS6_8equal_toIsEEEE10hipError_tPvRmT2_T3_mT4_T5_T6_T7_T8_P12ihipStream_tbENKUlT_T0_E_clISt17integral_constantIbLb0EES12_IbLb1EEEEDaSY_SZ_EUlSY_E_NS1_11comp_targetILNS1_3genE8ELNS1_11target_archE1030ELNS1_3gpuE2ELNS1_3repE0EEENS1_30default_config_static_selectorELNS0_4arch9wavefront6targetE1EEEvT1_: ; @_ZN7rocprim17ROCPRIM_400000_NS6detail17trampoline_kernelINS0_14default_configENS1_29reduce_by_key_config_selectorIslN6thrust23THRUST_200600_302600_NS4plusIlEEEEZZNS1_33reduce_by_key_impl_wrapped_configILNS1_25lookback_scan_determinismE0ES3_S9_PsNS6_17constant_iteratorIiNS6_11use_defaultESE_EENS6_10device_ptrIsEENSG_IlEEPmS8_NS6_8equal_toIsEEEE10hipError_tPvRmT2_T3_mT4_T5_T6_T7_T8_P12ihipStream_tbENKUlT_T0_E_clISt17integral_constantIbLb0EES12_IbLb1EEEEDaSY_SZ_EUlSY_E_NS1_11comp_targetILNS1_3genE8ELNS1_11target_archE1030ELNS1_3gpuE2ELNS1_3repE0EEENS1_30default_config_static_selectorELNS0_4arch9wavefront6targetE1EEEvT1_
; %bb.0:
	.section	.rodata,"a",@progbits
	.p2align	6, 0x0
	.amdhsa_kernel _ZN7rocprim17ROCPRIM_400000_NS6detail17trampoline_kernelINS0_14default_configENS1_29reduce_by_key_config_selectorIslN6thrust23THRUST_200600_302600_NS4plusIlEEEEZZNS1_33reduce_by_key_impl_wrapped_configILNS1_25lookback_scan_determinismE0ES3_S9_PsNS6_17constant_iteratorIiNS6_11use_defaultESE_EENS6_10device_ptrIsEENSG_IlEEPmS8_NS6_8equal_toIsEEEE10hipError_tPvRmT2_T3_mT4_T5_T6_T7_T8_P12ihipStream_tbENKUlT_T0_E_clISt17integral_constantIbLb0EES12_IbLb1EEEEDaSY_SZ_EUlSY_E_NS1_11comp_targetILNS1_3genE8ELNS1_11target_archE1030ELNS1_3gpuE2ELNS1_3repE0EEENS1_30default_config_static_selectorELNS0_4arch9wavefront6targetE1EEEvT1_
		.amdhsa_group_segment_fixed_size 0
		.amdhsa_private_segment_fixed_size 0
		.amdhsa_kernarg_size 144
		.amdhsa_user_sgpr_count 6
		.amdhsa_user_sgpr_private_segment_buffer 1
		.amdhsa_user_sgpr_dispatch_ptr 0
		.amdhsa_user_sgpr_queue_ptr 0
		.amdhsa_user_sgpr_kernarg_segment_ptr 1
		.amdhsa_user_sgpr_dispatch_id 0
		.amdhsa_user_sgpr_flat_scratch_init 0
		.amdhsa_user_sgpr_private_segment_size 0
		.amdhsa_uses_dynamic_stack 0
		.amdhsa_system_sgpr_private_segment_wavefront_offset 0
		.amdhsa_system_sgpr_workgroup_id_x 1
		.amdhsa_system_sgpr_workgroup_id_y 0
		.amdhsa_system_sgpr_workgroup_id_z 0
		.amdhsa_system_sgpr_workgroup_info 0
		.amdhsa_system_vgpr_workitem_id 0
		.amdhsa_next_free_vgpr 1
		.amdhsa_next_free_sgpr 0
		.amdhsa_reserve_vcc 0
		.amdhsa_reserve_flat_scratch 0
		.amdhsa_float_round_mode_32 0
		.amdhsa_float_round_mode_16_64 0
		.amdhsa_float_denorm_mode_32 3
		.amdhsa_float_denorm_mode_16_64 3
		.amdhsa_dx10_clamp 1
		.amdhsa_ieee_mode 1
		.amdhsa_fp16_overflow 0
		.amdhsa_exception_fp_ieee_invalid_op 0
		.amdhsa_exception_fp_denorm_src 0
		.amdhsa_exception_fp_ieee_div_zero 0
		.amdhsa_exception_fp_ieee_overflow 0
		.amdhsa_exception_fp_ieee_underflow 0
		.amdhsa_exception_fp_ieee_inexact 0
		.amdhsa_exception_int_div_zero 0
	.end_amdhsa_kernel
	.section	.text._ZN7rocprim17ROCPRIM_400000_NS6detail17trampoline_kernelINS0_14default_configENS1_29reduce_by_key_config_selectorIslN6thrust23THRUST_200600_302600_NS4plusIlEEEEZZNS1_33reduce_by_key_impl_wrapped_configILNS1_25lookback_scan_determinismE0ES3_S9_PsNS6_17constant_iteratorIiNS6_11use_defaultESE_EENS6_10device_ptrIsEENSG_IlEEPmS8_NS6_8equal_toIsEEEE10hipError_tPvRmT2_T3_mT4_T5_T6_T7_T8_P12ihipStream_tbENKUlT_T0_E_clISt17integral_constantIbLb0EES12_IbLb1EEEEDaSY_SZ_EUlSY_E_NS1_11comp_targetILNS1_3genE8ELNS1_11target_archE1030ELNS1_3gpuE2ELNS1_3repE0EEENS1_30default_config_static_selectorELNS0_4arch9wavefront6targetE1EEEvT1_,"axG",@progbits,_ZN7rocprim17ROCPRIM_400000_NS6detail17trampoline_kernelINS0_14default_configENS1_29reduce_by_key_config_selectorIslN6thrust23THRUST_200600_302600_NS4plusIlEEEEZZNS1_33reduce_by_key_impl_wrapped_configILNS1_25lookback_scan_determinismE0ES3_S9_PsNS6_17constant_iteratorIiNS6_11use_defaultESE_EENS6_10device_ptrIsEENSG_IlEEPmS8_NS6_8equal_toIsEEEE10hipError_tPvRmT2_T3_mT4_T5_T6_T7_T8_P12ihipStream_tbENKUlT_T0_E_clISt17integral_constantIbLb0EES12_IbLb1EEEEDaSY_SZ_EUlSY_E_NS1_11comp_targetILNS1_3genE8ELNS1_11target_archE1030ELNS1_3gpuE2ELNS1_3repE0EEENS1_30default_config_static_selectorELNS0_4arch9wavefront6targetE1EEEvT1_,comdat
.Lfunc_end1505:
	.size	_ZN7rocprim17ROCPRIM_400000_NS6detail17trampoline_kernelINS0_14default_configENS1_29reduce_by_key_config_selectorIslN6thrust23THRUST_200600_302600_NS4plusIlEEEEZZNS1_33reduce_by_key_impl_wrapped_configILNS1_25lookback_scan_determinismE0ES3_S9_PsNS6_17constant_iteratorIiNS6_11use_defaultESE_EENS6_10device_ptrIsEENSG_IlEEPmS8_NS6_8equal_toIsEEEE10hipError_tPvRmT2_T3_mT4_T5_T6_T7_T8_P12ihipStream_tbENKUlT_T0_E_clISt17integral_constantIbLb0EES12_IbLb1EEEEDaSY_SZ_EUlSY_E_NS1_11comp_targetILNS1_3genE8ELNS1_11target_archE1030ELNS1_3gpuE2ELNS1_3repE0EEENS1_30default_config_static_selectorELNS0_4arch9wavefront6targetE1EEEvT1_, .Lfunc_end1505-_ZN7rocprim17ROCPRIM_400000_NS6detail17trampoline_kernelINS0_14default_configENS1_29reduce_by_key_config_selectorIslN6thrust23THRUST_200600_302600_NS4plusIlEEEEZZNS1_33reduce_by_key_impl_wrapped_configILNS1_25lookback_scan_determinismE0ES3_S9_PsNS6_17constant_iteratorIiNS6_11use_defaultESE_EENS6_10device_ptrIsEENSG_IlEEPmS8_NS6_8equal_toIsEEEE10hipError_tPvRmT2_T3_mT4_T5_T6_T7_T8_P12ihipStream_tbENKUlT_T0_E_clISt17integral_constantIbLb0EES12_IbLb1EEEEDaSY_SZ_EUlSY_E_NS1_11comp_targetILNS1_3genE8ELNS1_11target_archE1030ELNS1_3gpuE2ELNS1_3repE0EEENS1_30default_config_static_selectorELNS0_4arch9wavefront6targetE1EEEvT1_
                                        ; -- End function
	.set _ZN7rocprim17ROCPRIM_400000_NS6detail17trampoline_kernelINS0_14default_configENS1_29reduce_by_key_config_selectorIslN6thrust23THRUST_200600_302600_NS4plusIlEEEEZZNS1_33reduce_by_key_impl_wrapped_configILNS1_25lookback_scan_determinismE0ES3_S9_PsNS6_17constant_iteratorIiNS6_11use_defaultESE_EENS6_10device_ptrIsEENSG_IlEEPmS8_NS6_8equal_toIsEEEE10hipError_tPvRmT2_T3_mT4_T5_T6_T7_T8_P12ihipStream_tbENKUlT_T0_E_clISt17integral_constantIbLb0EES12_IbLb1EEEEDaSY_SZ_EUlSY_E_NS1_11comp_targetILNS1_3genE8ELNS1_11target_archE1030ELNS1_3gpuE2ELNS1_3repE0EEENS1_30default_config_static_selectorELNS0_4arch9wavefront6targetE1EEEvT1_.num_vgpr, 0
	.set _ZN7rocprim17ROCPRIM_400000_NS6detail17trampoline_kernelINS0_14default_configENS1_29reduce_by_key_config_selectorIslN6thrust23THRUST_200600_302600_NS4plusIlEEEEZZNS1_33reduce_by_key_impl_wrapped_configILNS1_25lookback_scan_determinismE0ES3_S9_PsNS6_17constant_iteratorIiNS6_11use_defaultESE_EENS6_10device_ptrIsEENSG_IlEEPmS8_NS6_8equal_toIsEEEE10hipError_tPvRmT2_T3_mT4_T5_T6_T7_T8_P12ihipStream_tbENKUlT_T0_E_clISt17integral_constantIbLb0EES12_IbLb1EEEEDaSY_SZ_EUlSY_E_NS1_11comp_targetILNS1_3genE8ELNS1_11target_archE1030ELNS1_3gpuE2ELNS1_3repE0EEENS1_30default_config_static_selectorELNS0_4arch9wavefront6targetE1EEEvT1_.num_agpr, 0
	.set _ZN7rocprim17ROCPRIM_400000_NS6detail17trampoline_kernelINS0_14default_configENS1_29reduce_by_key_config_selectorIslN6thrust23THRUST_200600_302600_NS4plusIlEEEEZZNS1_33reduce_by_key_impl_wrapped_configILNS1_25lookback_scan_determinismE0ES3_S9_PsNS6_17constant_iteratorIiNS6_11use_defaultESE_EENS6_10device_ptrIsEENSG_IlEEPmS8_NS6_8equal_toIsEEEE10hipError_tPvRmT2_T3_mT4_T5_T6_T7_T8_P12ihipStream_tbENKUlT_T0_E_clISt17integral_constantIbLb0EES12_IbLb1EEEEDaSY_SZ_EUlSY_E_NS1_11comp_targetILNS1_3genE8ELNS1_11target_archE1030ELNS1_3gpuE2ELNS1_3repE0EEENS1_30default_config_static_selectorELNS0_4arch9wavefront6targetE1EEEvT1_.numbered_sgpr, 0
	.set _ZN7rocprim17ROCPRIM_400000_NS6detail17trampoline_kernelINS0_14default_configENS1_29reduce_by_key_config_selectorIslN6thrust23THRUST_200600_302600_NS4plusIlEEEEZZNS1_33reduce_by_key_impl_wrapped_configILNS1_25lookback_scan_determinismE0ES3_S9_PsNS6_17constant_iteratorIiNS6_11use_defaultESE_EENS6_10device_ptrIsEENSG_IlEEPmS8_NS6_8equal_toIsEEEE10hipError_tPvRmT2_T3_mT4_T5_T6_T7_T8_P12ihipStream_tbENKUlT_T0_E_clISt17integral_constantIbLb0EES12_IbLb1EEEEDaSY_SZ_EUlSY_E_NS1_11comp_targetILNS1_3genE8ELNS1_11target_archE1030ELNS1_3gpuE2ELNS1_3repE0EEENS1_30default_config_static_selectorELNS0_4arch9wavefront6targetE1EEEvT1_.num_named_barrier, 0
	.set _ZN7rocprim17ROCPRIM_400000_NS6detail17trampoline_kernelINS0_14default_configENS1_29reduce_by_key_config_selectorIslN6thrust23THRUST_200600_302600_NS4plusIlEEEEZZNS1_33reduce_by_key_impl_wrapped_configILNS1_25lookback_scan_determinismE0ES3_S9_PsNS6_17constant_iteratorIiNS6_11use_defaultESE_EENS6_10device_ptrIsEENSG_IlEEPmS8_NS6_8equal_toIsEEEE10hipError_tPvRmT2_T3_mT4_T5_T6_T7_T8_P12ihipStream_tbENKUlT_T0_E_clISt17integral_constantIbLb0EES12_IbLb1EEEEDaSY_SZ_EUlSY_E_NS1_11comp_targetILNS1_3genE8ELNS1_11target_archE1030ELNS1_3gpuE2ELNS1_3repE0EEENS1_30default_config_static_selectorELNS0_4arch9wavefront6targetE1EEEvT1_.private_seg_size, 0
	.set _ZN7rocprim17ROCPRIM_400000_NS6detail17trampoline_kernelINS0_14default_configENS1_29reduce_by_key_config_selectorIslN6thrust23THRUST_200600_302600_NS4plusIlEEEEZZNS1_33reduce_by_key_impl_wrapped_configILNS1_25lookback_scan_determinismE0ES3_S9_PsNS6_17constant_iteratorIiNS6_11use_defaultESE_EENS6_10device_ptrIsEENSG_IlEEPmS8_NS6_8equal_toIsEEEE10hipError_tPvRmT2_T3_mT4_T5_T6_T7_T8_P12ihipStream_tbENKUlT_T0_E_clISt17integral_constantIbLb0EES12_IbLb1EEEEDaSY_SZ_EUlSY_E_NS1_11comp_targetILNS1_3genE8ELNS1_11target_archE1030ELNS1_3gpuE2ELNS1_3repE0EEENS1_30default_config_static_selectorELNS0_4arch9wavefront6targetE1EEEvT1_.uses_vcc, 0
	.set _ZN7rocprim17ROCPRIM_400000_NS6detail17trampoline_kernelINS0_14default_configENS1_29reduce_by_key_config_selectorIslN6thrust23THRUST_200600_302600_NS4plusIlEEEEZZNS1_33reduce_by_key_impl_wrapped_configILNS1_25lookback_scan_determinismE0ES3_S9_PsNS6_17constant_iteratorIiNS6_11use_defaultESE_EENS6_10device_ptrIsEENSG_IlEEPmS8_NS6_8equal_toIsEEEE10hipError_tPvRmT2_T3_mT4_T5_T6_T7_T8_P12ihipStream_tbENKUlT_T0_E_clISt17integral_constantIbLb0EES12_IbLb1EEEEDaSY_SZ_EUlSY_E_NS1_11comp_targetILNS1_3genE8ELNS1_11target_archE1030ELNS1_3gpuE2ELNS1_3repE0EEENS1_30default_config_static_selectorELNS0_4arch9wavefront6targetE1EEEvT1_.uses_flat_scratch, 0
	.set _ZN7rocprim17ROCPRIM_400000_NS6detail17trampoline_kernelINS0_14default_configENS1_29reduce_by_key_config_selectorIslN6thrust23THRUST_200600_302600_NS4plusIlEEEEZZNS1_33reduce_by_key_impl_wrapped_configILNS1_25lookback_scan_determinismE0ES3_S9_PsNS6_17constant_iteratorIiNS6_11use_defaultESE_EENS6_10device_ptrIsEENSG_IlEEPmS8_NS6_8equal_toIsEEEE10hipError_tPvRmT2_T3_mT4_T5_T6_T7_T8_P12ihipStream_tbENKUlT_T0_E_clISt17integral_constantIbLb0EES12_IbLb1EEEEDaSY_SZ_EUlSY_E_NS1_11comp_targetILNS1_3genE8ELNS1_11target_archE1030ELNS1_3gpuE2ELNS1_3repE0EEENS1_30default_config_static_selectorELNS0_4arch9wavefront6targetE1EEEvT1_.has_dyn_sized_stack, 0
	.set _ZN7rocprim17ROCPRIM_400000_NS6detail17trampoline_kernelINS0_14default_configENS1_29reduce_by_key_config_selectorIslN6thrust23THRUST_200600_302600_NS4plusIlEEEEZZNS1_33reduce_by_key_impl_wrapped_configILNS1_25lookback_scan_determinismE0ES3_S9_PsNS6_17constant_iteratorIiNS6_11use_defaultESE_EENS6_10device_ptrIsEENSG_IlEEPmS8_NS6_8equal_toIsEEEE10hipError_tPvRmT2_T3_mT4_T5_T6_T7_T8_P12ihipStream_tbENKUlT_T0_E_clISt17integral_constantIbLb0EES12_IbLb1EEEEDaSY_SZ_EUlSY_E_NS1_11comp_targetILNS1_3genE8ELNS1_11target_archE1030ELNS1_3gpuE2ELNS1_3repE0EEENS1_30default_config_static_selectorELNS0_4arch9wavefront6targetE1EEEvT1_.has_recursion, 0
	.set _ZN7rocprim17ROCPRIM_400000_NS6detail17trampoline_kernelINS0_14default_configENS1_29reduce_by_key_config_selectorIslN6thrust23THRUST_200600_302600_NS4plusIlEEEEZZNS1_33reduce_by_key_impl_wrapped_configILNS1_25lookback_scan_determinismE0ES3_S9_PsNS6_17constant_iteratorIiNS6_11use_defaultESE_EENS6_10device_ptrIsEENSG_IlEEPmS8_NS6_8equal_toIsEEEE10hipError_tPvRmT2_T3_mT4_T5_T6_T7_T8_P12ihipStream_tbENKUlT_T0_E_clISt17integral_constantIbLb0EES12_IbLb1EEEEDaSY_SZ_EUlSY_E_NS1_11comp_targetILNS1_3genE8ELNS1_11target_archE1030ELNS1_3gpuE2ELNS1_3repE0EEENS1_30default_config_static_selectorELNS0_4arch9wavefront6targetE1EEEvT1_.has_indirect_call, 0
	.section	.AMDGPU.csdata,"",@progbits
; Kernel info:
; codeLenInByte = 0
; TotalNumSgprs: 4
; NumVgprs: 0
; ScratchSize: 0
; MemoryBound: 0
; FloatMode: 240
; IeeeMode: 1
; LDSByteSize: 0 bytes/workgroup (compile time only)
; SGPRBlocks: 0
; VGPRBlocks: 0
; NumSGPRsForWavesPerEU: 4
; NumVGPRsForWavesPerEU: 1
; Occupancy: 10
; WaveLimiterHint : 0
; COMPUTE_PGM_RSRC2:SCRATCH_EN: 0
; COMPUTE_PGM_RSRC2:USER_SGPR: 6
; COMPUTE_PGM_RSRC2:TRAP_HANDLER: 0
; COMPUTE_PGM_RSRC2:TGID_X_EN: 1
; COMPUTE_PGM_RSRC2:TGID_Y_EN: 0
; COMPUTE_PGM_RSRC2:TGID_Z_EN: 0
; COMPUTE_PGM_RSRC2:TIDIG_COMP_CNT: 0
	.section	.text._ZN7rocprim17ROCPRIM_400000_NS6detail17trampoline_kernelINS0_14default_configENS1_22reduce_config_selectorIN6thrust23THRUST_200600_302600_NS5tupleIblNS6_9null_typeES8_S8_S8_S8_S8_S8_S8_EEEEZNS1_11reduce_implILb1ES3_NS6_12zip_iteratorINS7_INS6_11hip_rocprim26transform_input_iterator_tIbPsNS6_6detail10functional5actorINSH_9compositeIJNSH_27transparent_binary_operatorINS6_8equal_toIvEEEENSI_INSH_8argumentILj0EEEEENSH_5valueIsEEEEEEEEENSD_19counting_iterator_tIlEES8_S8_S8_S8_S8_S8_S8_S8_EEEEPS9_S9_NSD_9__find_if7functorIS9_EEEE10hipError_tPvRmT1_T2_T3_mT4_P12ihipStream_tbEUlT_E0_NS1_11comp_targetILNS1_3genE0ELNS1_11target_archE4294967295ELNS1_3gpuE0ELNS1_3repE0EEENS1_30default_config_static_selectorELNS0_4arch9wavefront6targetE1EEEvS17_,"axG",@progbits,_ZN7rocprim17ROCPRIM_400000_NS6detail17trampoline_kernelINS0_14default_configENS1_22reduce_config_selectorIN6thrust23THRUST_200600_302600_NS5tupleIblNS6_9null_typeES8_S8_S8_S8_S8_S8_S8_EEEEZNS1_11reduce_implILb1ES3_NS6_12zip_iteratorINS7_INS6_11hip_rocprim26transform_input_iterator_tIbPsNS6_6detail10functional5actorINSH_9compositeIJNSH_27transparent_binary_operatorINS6_8equal_toIvEEEENSI_INSH_8argumentILj0EEEEENSH_5valueIsEEEEEEEEENSD_19counting_iterator_tIlEES8_S8_S8_S8_S8_S8_S8_S8_EEEEPS9_S9_NSD_9__find_if7functorIS9_EEEE10hipError_tPvRmT1_T2_T3_mT4_P12ihipStream_tbEUlT_E0_NS1_11comp_targetILNS1_3genE0ELNS1_11target_archE4294967295ELNS1_3gpuE0ELNS1_3repE0EEENS1_30default_config_static_selectorELNS0_4arch9wavefront6targetE1EEEvS17_,comdat
	.protected	_ZN7rocprim17ROCPRIM_400000_NS6detail17trampoline_kernelINS0_14default_configENS1_22reduce_config_selectorIN6thrust23THRUST_200600_302600_NS5tupleIblNS6_9null_typeES8_S8_S8_S8_S8_S8_S8_EEEEZNS1_11reduce_implILb1ES3_NS6_12zip_iteratorINS7_INS6_11hip_rocprim26transform_input_iterator_tIbPsNS6_6detail10functional5actorINSH_9compositeIJNSH_27transparent_binary_operatorINS6_8equal_toIvEEEENSI_INSH_8argumentILj0EEEEENSH_5valueIsEEEEEEEEENSD_19counting_iterator_tIlEES8_S8_S8_S8_S8_S8_S8_S8_EEEEPS9_S9_NSD_9__find_if7functorIS9_EEEE10hipError_tPvRmT1_T2_T3_mT4_P12ihipStream_tbEUlT_E0_NS1_11comp_targetILNS1_3genE0ELNS1_11target_archE4294967295ELNS1_3gpuE0ELNS1_3repE0EEENS1_30default_config_static_selectorELNS0_4arch9wavefront6targetE1EEEvS17_ ; -- Begin function _ZN7rocprim17ROCPRIM_400000_NS6detail17trampoline_kernelINS0_14default_configENS1_22reduce_config_selectorIN6thrust23THRUST_200600_302600_NS5tupleIblNS6_9null_typeES8_S8_S8_S8_S8_S8_S8_EEEEZNS1_11reduce_implILb1ES3_NS6_12zip_iteratorINS7_INS6_11hip_rocprim26transform_input_iterator_tIbPsNS6_6detail10functional5actorINSH_9compositeIJNSH_27transparent_binary_operatorINS6_8equal_toIvEEEENSI_INSH_8argumentILj0EEEEENSH_5valueIsEEEEEEEEENSD_19counting_iterator_tIlEES8_S8_S8_S8_S8_S8_S8_S8_EEEEPS9_S9_NSD_9__find_if7functorIS9_EEEE10hipError_tPvRmT1_T2_T3_mT4_P12ihipStream_tbEUlT_E0_NS1_11comp_targetILNS1_3genE0ELNS1_11target_archE4294967295ELNS1_3gpuE0ELNS1_3repE0EEENS1_30default_config_static_selectorELNS0_4arch9wavefront6targetE1EEEvS17_
	.globl	_ZN7rocprim17ROCPRIM_400000_NS6detail17trampoline_kernelINS0_14default_configENS1_22reduce_config_selectorIN6thrust23THRUST_200600_302600_NS5tupleIblNS6_9null_typeES8_S8_S8_S8_S8_S8_S8_EEEEZNS1_11reduce_implILb1ES3_NS6_12zip_iteratorINS7_INS6_11hip_rocprim26transform_input_iterator_tIbPsNS6_6detail10functional5actorINSH_9compositeIJNSH_27transparent_binary_operatorINS6_8equal_toIvEEEENSI_INSH_8argumentILj0EEEEENSH_5valueIsEEEEEEEEENSD_19counting_iterator_tIlEES8_S8_S8_S8_S8_S8_S8_S8_EEEEPS9_S9_NSD_9__find_if7functorIS9_EEEE10hipError_tPvRmT1_T2_T3_mT4_P12ihipStream_tbEUlT_E0_NS1_11comp_targetILNS1_3genE0ELNS1_11target_archE4294967295ELNS1_3gpuE0ELNS1_3repE0EEENS1_30default_config_static_selectorELNS0_4arch9wavefront6targetE1EEEvS17_
	.p2align	8
	.type	_ZN7rocprim17ROCPRIM_400000_NS6detail17trampoline_kernelINS0_14default_configENS1_22reduce_config_selectorIN6thrust23THRUST_200600_302600_NS5tupleIblNS6_9null_typeES8_S8_S8_S8_S8_S8_S8_EEEEZNS1_11reduce_implILb1ES3_NS6_12zip_iteratorINS7_INS6_11hip_rocprim26transform_input_iterator_tIbPsNS6_6detail10functional5actorINSH_9compositeIJNSH_27transparent_binary_operatorINS6_8equal_toIvEEEENSI_INSH_8argumentILj0EEEEENSH_5valueIsEEEEEEEEENSD_19counting_iterator_tIlEES8_S8_S8_S8_S8_S8_S8_S8_EEEEPS9_S9_NSD_9__find_if7functorIS9_EEEE10hipError_tPvRmT1_T2_T3_mT4_P12ihipStream_tbEUlT_E0_NS1_11comp_targetILNS1_3genE0ELNS1_11target_archE4294967295ELNS1_3gpuE0ELNS1_3repE0EEENS1_30default_config_static_selectorELNS0_4arch9wavefront6targetE1EEEvS17_,@function
_ZN7rocprim17ROCPRIM_400000_NS6detail17trampoline_kernelINS0_14default_configENS1_22reduce_config_selectorIN6thrust23THRUST_200600_302600_NS5tupleIblNS6_9null_typeES8_S8_S8_S8_S8_S8_S8_EEEEZNS1_11reduce_implILb1ES3_NS6_12zip_iteratorINS7_INS6_11hip_rocprim26transform_input_iterator_tIbPsNS6_6detail10functional5actorINSH_9compositeIJNSH_27transparent_binary_operatorINS6_8equal_toIvEEEENSI_INSH_8argumentILj0EEEEENSH_5valueIsEEEEEEEEENSD_19counting_iterator_tIlEES8_S8_S8_S8_S8_S8_S8_S8_EEEEPS9_S9_NSD_9__find_if7functorIS9_EEEE10hipError_tPvRmT1_T2_T3_mT4_P12ihipStream_tbEUlT_E0_NS1_11comp_targetILNS1_3genE0ELNS1_11target_archE4294967295ELNS1_3gpuE0ELNS1_3repE0EEENS1_30default_config_static_selectorELNS0_4arch9wavefront6targetE1EEEvS17_: ; @_ZN7rocprim17ROCPRIM_400000_NS6detail17trampoline_kernelINS0_14default_configENS1_22reduce_config_selectorIN6thrust23THRUST_200600_302600_NS5tupleIblNS6_9null_typeES8_S8_S8_S8_S8_S8_S8_EEEEZNS1_11reduce_implILb1ES3_NS6_12zip_iteratorINS7_INS6_11hip_rocprim26transform_input_iterator_tIbPsNS6_6detail10functional5actorINSH_9compositeIJNSH_27transparent_binary_operatorINS6_8equal_toIvEEEENSI_INSH_8argumentILj0EEEEENSH_5valueIsEEEEEEEEENSD_19counting_iterator_tIlEES8_S8_S8_S8_S8_S8_S8_S8_EEEEPS9_S9_NSD_9__find_if7functorIS9_EEEE10hipError_tPvRmT1_T2_T3_mT4_P12ihipStream_tbEUlT_E0_NS1_11comp_targetILNS1_3genE0ELNS1_11target_archE4294967295ELNS1_3gpuE0ELNS1_3repE0EEENS1_30default_config_static_selectorELNS0_4arch9wavefront6targetE1EEEvS17_
; %bb.0:
	.section	.rodata,"a",@progbits
	.p2align	6, 0x0
	.amdhsa_kernel _ZN7rocprim17ROCPRIM_400000_NS6detail17trampoline_kernelINS0_14default_configENS1_22reduce_config_selectorIN6thrust23THRUST_200600_302600_NS5tupleIblNS6_9null_typeES8_S8_S8_S8_S8_S8_S8_EEEEZNS1_11reduce_implILb1ES3_NS6_12zip_iteratorINS7_INS6_11hip_rocprim26transform_input_iterator_tIbPsNS6_6detail10functional5actorINSH_9compositeIJNSH_27transparent_binary_operatorINS6_8equal_toIvEEEENSI_INSH_8argumentILj0EEEEENSH_5valueIsEEEEEEEEENSD_19counting_iterator_tIlEES8_S8_S8_S8_S8_S8_S8_S8_EEEEPS9_S9_NSD_9__find_if7functorIS9_EEEE10hipError_tPvRmT1_T2_T3_mT4_P12ihipStream_tbEUlT_E0_NS1_11comp_targetILNS1_3genE0ELNS1_11target_archE4294967295ELNS1_3gpuE0ELNS1_3repE0EEENS1_30default_config_static_selectorELNS0_4arch9wavefront6targetE1EEEvS17_
		.amdhsa_group_segment_fixed_size 0
		.amdhsa_private_segment_fixed_size 0
		.amdhsa_kernarg_size 88
		.amdhsa_user_sgpr_count 6
		.amdhsa_user_sgpr_private_segment_buffer 1
		.amdhsa_user_sgpr_dispatch_ptr 0
		.amdhsa_user_sgpr_queue_ptr 0
		.amdhsa_user_sgpr_kernarg_segment_ptr 1
		.amdhsa_user_sgpr_dispatch_id 0
		.amdhsa_user_sgpr_flat_scratch_init 0
		.amdhsa_user_sgpr_private_segment_size 0
		.amdhsa_uses_dynamic_stack 0
		.amdhsa_system_sgpr_private_segment_wavefront_offset 0
		.amdhsa_system_sgpr_workgroup_id_x 1
		.amdhsa_system_sgpr_workgroup_id_y 0
		.amdhsa_system_sgpr_workgroup_id_z 0
		.amdhsa_system_sgpr_workgroup_info 0
		.amdhsa_system_vgpr_workitem_id 0
		.amdhsa_next_free_vgpr 1
		.amdhsa_next_free_sgpr 0
		.amdhsa_reserve_vcc 0
		.amdhsa_reserve_flat_scratch 0
		.amdhsa_float_round_mode_32 0
		.amdhsa_float_round_mode_16_64 0
		.amdhsa_float_denorm_mode_32 3
		.amdhsa_float_denorm_mode_16_64 3
		.amdhsa_dx10_clamp 1
		.amdhsa_ieee_mode 1
		.amdhsa_fp16_overflow 0
		.amdhsa_exception_fp_ieee_invalid_op 0
		.amdhsa_exception_fp_denorm_src 0
		.amdhsa_exception_fp_ieee_div_zero 0
		.amdhsa_exception_fp_ieee_overflow 0
		.amdhsa_exception_fp_ieee_underflow 0
		.amdhsa_exception_fp_ieee_inexact 0
		.amdhsa_exception_int_div_zero 0
	.end_amdhsa_kernel
	.section	.text._ZN7rocprim17ROCPRIM_400000_NS6detail17trampoline_kernelINS0_14default_configENS1_22reduce_config_selectorIN6thrust23THRUST_200600_302600_NS5tupleIblNS6_9null_typeES8_S8_S8_S8_S8_S8_S8_EEEEZNS1_11reduce_implILb1ES3_NS6_12zip_iteratorINS7_INS6_11hip_rocprim26transform_input_iterator_tIbPsNS6_6detail10functional5actorINSH_9compositeIJNSH_27transparent_binary_operatorINS6_8equal_toIvEEEENSI_INSH_8argumentILj0EEEEENSH_5valueIsEEEEEEEEENSD_19counting_iterator_tIlEES8_S8_S8_S8_S8_S8_S8_S8_EEEEPS9_S9_NSD_9__find_if7functorIS9_EEEE10hipError_tPvRmT1_T2_T3_mT4_P12ihipStream_tbEUlT_E0_NS1_11comp_targetILNS1_3genE0ELNS1_11target_archE4294967295ELNS1_3gpuE0ELNS1_3repE0EEENS1_30default_config_static_selectorELNS0_4arch9wavefront6targetE1EEEvS17_,"axG",@progbits,_ZN7rocprim17ROCPRIM_400000_NS6detail17trampoline_kernelINS0_14default_configENS1_22reduce_config_selectorIN6thrust23THRUST_200600_302600_NS5tupleIblNS6_9null_typeES8_S8_S8_S8_S8_S8_S8_EEEEZNS1_11reduce_implILb1ES3_NS6_12zip_iteratorINS7_INS6_11hip_rocprim26transform_input_iterator_tIbPsNS6_6detail10functional5actorINSH_9compositeIJNSH_27transparent_binary_operatorINS6_8equal_toIvEEEENSI_INSH_8argumentILj0EEEEENSH_5valueIsEEEEEEEEENSD_19counting_iterator_tIlEES8_S8_S8_S8_S8_S8_S8_S8_EEEEPS9_S9_NSD_9__find_if7functorIS9_EEEE10hipError_tPvRmT1_T2_T3_mT4_P12ihipStream_tbEUlT_E0_NS1_11comp_targetILNS1_3genE0ELNS1_11target_archE4294967295ELNS1_3gpuE0ELNS1_3repE0EEENS1_30default_config_static_selectorELNS0_4arch9wavefront6targetE1EEEvS17_,comdat
.Lfunc_end1506:
	.size	_ZN7rocprim17ROCPRIM_400000_NS6detail17trampoline_kernelINS0_14default_configENS1_22reduce_config_selectorIN6thrust23THRUST_200600_302600_NS5tupleIblNS6_9null_typeES8_S8_S8_S8_S8_S8_S8_EEEEZNS1_11reduce_implILb1ES3_NS6_12zip_iteratorINS7_INS6_11hip_rocprim26transform_input_iterator_tIbPsNS6_6detail10functional5actorINSH_9compositeIJNSH_27transparent_binary_operatorINS6_8equal_toIvEEEENSI_INSH_8argumentILj0EEEEENSH_5valueIsEEEEEEEEENSD_19counting_iterator_tIlEES8_S8_S8_S8_S8_S8_S8_S8_EEEEPS9_S9_NSD_9__find_if7functorIS9_EEEE10hipError_tPvRmT1_T2_T3_mT4_P12ihipStream_tbEUlT_E0_NS1_11comp_targetILNS1_3genE0ELNS1_11target_archE4294967295ELNS1_3gpuE0ELNS1_3repE0EEENS1_30default_config_static_selectorELNS0_4arch9wavefront6targetE1EEEvS17_, .Lfunc_end1506-_ZN7rocprim17ROCPRIM_400000_NS6detail17trampoline_kernelINS0_14default_configENS1_22reduce_config_selectorIN6thrust23THRUST_200600_302600_NS5tupleIblNS6_9null_typeES8_S8_S8_S8_S8_S8_S8_EEEEZNS1_11reduce_implILb1ES3_NS6_12zip_iteratorINS7_INS6_11hip_rocprim26transform_input_iterator_tIbPsNS6_6detail10functional5actorINSH_9compositeIJNSH_27transparent_binary_operatorINS6_8equal_toIvEEEENSI_INSH_8argumentILj0EEEEENSH_5valueIsEEEEEEEEENSD_19counting_iterator_tIlEES8_S8_S8_S8_S8_S8_S8_S8_EEEEPS9_S9_NSD_9__find_if7functorIS9_EEEE10hipError_tPvRmT1_T2_T3_mT4_P12ihipStream_tbEUlT_E0_NS1_11comp_targetILNS1_3genE0ELNS1_11target_archE4294967295ELNS1_3gpuE0ELNS1_3repE0EEENS1_30default_config_static_selectorELNS0_4arch9wavefront6targetE1EEEvS17_
                                        ; -- End function
	.set _ZN7rocprim17ROCPRIM_400000_NS6detail17trampoline_kernelINS0_14default_configENS1_22reduce_config_selectorIN6thrust23THRUST_200600_302600_NS5tupleIblNS6_9null_typeES8_S8_S8_S8_S8_S8_S8_EEEEZNS1_11reduce_implILb1ES3_NS6_12zip_iteratorINS7_INS6_11hip_rocprim26transform_input_iterator_tIbPsNS6_6detail10functional5actorINSH_9compositeIJNSH_27transparent_binary_operatorINS6_8equal_toIvEEEENSI_INSH_8argumentILj0EEEEENSH_5valueIsEEEEEEEEENSD_19counting_iterator_tIlEES8_S8_S8_S8_S8_S8_S8_S8_EEEEPS9_S9_NSD_9__find_if7functorIS9_EEEE10hipError_tPvRmT1_T2_T3_mT4_P12ihipStream_tbEUlT_E0_NS1_11comp_targetILNS1_3genE0ELNS1_11target_archE4294967295ELNS1_3gpuE0ELNS1_3repE0EEENS1_30default_config_static_selectorELNS0_4arch9wavefront6targetE1EEEvS17_.num_vgpr, 0
	.set _ZN7rocprim17ROCPRIM_400000_NS6detail17trampoline_kernelINS0_14default_configENS1_22reduce_config_selectorIN6thrust23THRUST_200600_302600_NS5tupleIblNS6_9null_typeES8_S8_S8_S8_S8_S8_S8_EEEEZNS1_11reduce_implILb1ES3_NS6_12zip_iteratorINS7_INS6_11hip_rocprim26transform_input_iterator_tIbPsNS6_6detail10functional5actorINSH_9compositeIJNSH_27transparent_binary_operatorINS6_8equal_toIvEEEENSI_INSH_8argumentILj0EEEEENSH_5valueIsEEEEEEEEENSD_19counting_iterator_tIlEES8_S8_S8_S8_S8_S8_S8_S8_EEEEPS9_S9_NSD_9__find_if7functorIS9_EEEE10hipError_tPvRmT1_T2_T3_mT4_P12ihipStream_tbEUlT_E0_NS1_11comp_targetILNS1_3genE0ELNS1_11target_archE4294967295ELNS1_3gpuE0ELNS1_3repE0EEENS1_30default_config_static_selectorELNS0_4arch9wavefront6targetE1EEEvS17_.num_agpr, 0
	.set _ZN7rocprim17ROCPRIM_400000_NS6detail17trampoline_kernelINS0_14default_configENS1_22reduce_config_selectorIN6thrust23THRUST_200600_302600_NS5tupleIblNS6_9null_typeES8_S8_S8_S8_S8_S8_S8_EEEEZNS1_11reduce_implILb1ES3_NS6_12zip_iteratorINS7_INS6_11hip_rocprim26transform_input_iterator_tIbPsNS6_6detail10functional5actorINSH_9compositeIJNSH_27transparent_binary_operatorINS6_8equal_toIvEEEENSI_INSH_8argumentILj0EEEEENSH_5valueIsEEEEEEEEENSD_19counting_iterator_tIlEES8_S8_S8_S8_S8_S8_S8_S8_EEEEPS9_S9_NSD_9__find_if7functorIS9_EEEE10hipError_tPvRmT1_T2_T3_mT4_P12ihipStream_tbEUlT_E0_NS1_11comp_targetILNS1_3genE0ELNS1_11target_archE4294967295ELNS1_3gpuE0ELNS1_3repE0EEENS1_30default_config_static_selectorELNS0_4arch9wavefront6targetE1EEEvS17_.numbered_sgpr, 0
	.set _ZN7rocprim17ROCPRIM_400000_NS6detail17trampoline_kernelINS0_14default_configENS1_22reduce_config_selectorIN6thrust23THRUST_200600_302600_NS5tupleIblNS6_9null_typeES8_S8_S8_S8_S8_S8_S8_EEEEZNS1_11reduce_implILb1ES3_NS6_12zip_iteratorINS7_INS6_11hip_rocprim26transform_input_iterator_tIbPsNS6_6detail10functional5actorINSH_9compositeIJNSH_27transparent_binary_operatorINS6_8equal_toIvEEEENSI_INSH_8argumentILj0EEEEENSH_5valueIsEEEEEEEEENSD_19counting_iterator_tIlEES8_S8_S8_S8_S8_S8_S8_S8_EEEEPS9_S9_NSD_9__find_if7functorIS9_EEEE10hipError_tPvRmT1_T2_T3_mT4_P12ihipStream_tbEUlT_E0_NS1_11comp_targetILNS1_3genE0ELNS1_11target_archE4294967295ELNS1_3gpuE0ELNS1_3repE0EEENS1_30default_config_static_selectorELNS0_4arch9wavefront6targetE1EEEvS17_.num_named_barrier, 0
	.set _ZN7rocprim17ROCPRIM_400000_NS6detail17trampoline_kernelINS0_14default_configENS1_22reduce_config_selectorIN6thrust23THRUST_200600_302600_NS5tupleIblNS6_9null_typeES8_S8_S8_S8_S8_S8_S8_EEEEZNS1_11reduce_implILb1ES3_NS6_12zip_iteratorINS7_INS6_11hip_rocprim26transform_input_iterator_tIbPsNS6_6detail10functional5actorINSH_9compositeIJNSH_27transparent_binary_operatorINS6_8equal_toIvEEEENSI_INSH_8argumentILj0EEEEENSH_5valueIsEEEEEEEEENSD_19counting_iterator_tIlEES8_S8_S8_S8_S8_S8_S8_S8_EEEEPS9_S9_NSD_9__find_if7functorIS9_EEEE10hipError_tPvRmT1_T2_T3_mT4_P12ihipStream_tbEUlT_E0_NS1_11comp_targetILNS1_3genE0ELNS1_11target_archE4294967295ELNS1_3gpuE0ELNS1_3repE0EEENS1_30default_config_static_selectorELNS0_4arch9wavefront6targetE1EEEvS17_.private_seg_size, 0
	.set _ZN7rocprim17ROCPRIM_400000_NS6detail17trampoline_kernelINS0_14default_configENS1_22reduce_config_selectorIN6thrust23THRUST_200600_302600_NS5tupleIblNS6_9null_typeES8_S8_S8_S8_S8_S8_S8_EEEEZNS1_11reduce_implILb1ES3_NS6_12zip_iteratorINS7_INS6_11hip_rocprim26transform_input_iterator_tIbPsNS6_6detail10functional5actorINSH_9compositeIJNSH_27transparent_binary_operatorINS6_8equal_toIvEEEENSI_INSH_8argumentILj0EEEEENSH_5valueIsEEEEEEEEENSD_19counting_iterator_tIlEES8_S8_S8_S8_S8_S8_S8_S8_EEEEPS9_S9_NSD_9__find_if7functorIS9_EEEE10hipError_tPvRmT1_T2_T3_mT4_P12ihipStream_tbEUlT_E0_NS1_11comp_targetILNS1_3genE0ELNS1_11target_archE4294967295ELNS1_3gpuE0ELNS1_3repE0EEENS1_30default_config_static_selectorELNS0_4arch9wavefront6targetE1EEEvS17_.uses_vcc, 0
	.set _ZN7rocprim17ROCPRIM_400000_NS6detail17trampoline_kernelINS0_14default_configENS1_22reduce_config_selectorIN6thrust23THRUST_200600_302600_NS5tupleIblNS6_9null_typeES8_S8_S8_S8_S8_S8_S8_EEEEZNS1_11reduce_implILb1ES3_NS6_12zip_iteratorINS7_INS6_11hip_rocprim26transform_input_iterator_tIbPsNS6_6detail10functional5actorINSH_9compositeIJNSH_27transparent_binary_operatorINS6_8equal_toIvEEEENSI_INSH_8argumentILj0EEEEENSH_5valueIsEEEEEEEEENSD_19counting_iterator_tIlEES8_S8_S8_S8_S8_S8_S8_S8_EEEEPS9_S9_NSD_9__find_if7functorIS9_EEEE10hipError_tPvRmT1_T2_T3_mT4_P12ihipStream_tbEUlT_E0_NS1_11comp_targetILNS1_3genE0ELNS1_11target_archE4294967295ELNS1_3gpuE0ELNS1_3repE0EEENS1_30default_config_static_selectorELNS0_4arch9wavefront6targetE1EEEvS17_.uses_flat_scratch, 0
	.set _ZN7rocprim17ROCPRIM_400000_NS6detail17trampoline_kernelINS0_14default_configENS1_22reduce_config_selectorIN6thrust23THRUST_200600_302600_NS5tupleIblNS6_9null_typeES8_S8_S8_S8_S8_S8_S8_EEEEZNS1_11reduce_implILb1ES3_NS6_12zip_iteratorINS7_INS6_11hip_rocprim26transform_input_iterator_tIbPsNS6_6detail10functional5actorINSH_9compositeIJNSH_27transparent_binary_operatorINS6_8equal_toIvEEEENSI_INSH_8argumentILj0EEEEENSH_5valueIsEEEEEEEEENSD_19counting_iterator_tIlEES8_S8_S8_S8_S8_S8_S8_S8_EEEEPS9_S9_NSD_9__find_if7functorIS9_EEEE10hipError_tPvRmT1_T2_T3_mT4_P12ihipStream_tbEUlT_E0_NS1_11comp_targetILNS1_3genE0ELNS1_11target_archE4294967295ELNS1_3gpuE0ELNS1_3repE0EEENS1_30default_config_static_selectorELNS0_4arch9wavefront6targetE1EEEvS17_.has_dyn_sized_stack, 0
	.set _ZN7rocprim17ROCPRIM_400000_NS6detail17trampoline_kernelINS0_14default_configENS1_22reduce_config_selectorIN6thrust23THRUST_200600_302600_NS5tupleIblNS6_9null_typeES8_S8_S8_S8_S8_S8_S8_EEEEZNS1_11reduce_implILb1ES3_NS6_12zip_iteratorINS7_INS6_11hip_rocprim26transform_input_iterator_tIbPsNS6_6detail10functional5actorINSH_9compositeIJNSH_27transparent_binary_operatorINS6_8equal_toIvEEEENSI_INSH_8argumentILj0EEEEENSH_5valueIsEEEEEEEEENSD_19counting_iterator_tIlEES8_S8_S8_S8_S8_S8_S8_S8_EEEEPS9_S9_NSD_9__find_if7functorIS9_EEEE10hipError_tPvRmT1_T2_T3_mT4_P12ihipStream_tbEUlT_E0_NS1_11comp_targetILNS1_3genE0ELNS1_11target_archE4294967295ELNS1_3gpuE0ELNS1_3repE0EEENS1_30default_config_static_selectorELNS0_4arch9wavefront6targetE1EEEvS17_.has_recursion, 0
	.set _ZN7rocprim17ROCPRIM_400000_NS6detail17trampoline_kernelINS0_14default_configENS1_22reduce_config_selectorIN6thrust23THRUST_200600_302600_NS5tupleIblNS6_9null_typeES8_S8_S8_S8_S8_S8_S8_EEEEZNS1_11reduce_implILb1ES3_NS6_12zip_iteratorINS7_INS6_11hip_rocprim26transform_input_iterator_tIbPsNS6_6detail10functional5actorINSH_9compositeIJNSH_27transparent_binary_operatorINS6_8equal_toIvEEEENSI_INSH_8argumentILj0EEEEENSH_5valueIsEEEEEEEEENSD_19counting_iterator_tIlEES8_S8_S8_S8_S8_S8_S8_S8_EEEEPS9_S9_NSD_9__find_if7functorIS9_EEEE10hipError_tPvRmT1_T2_T3_mT4_P12ihipStream_tbEUlT_E0_NS1_11comp_targetILNS1_3genE0ELNS1_11target_archE4294967295ELNS1_3gpuE0ELNS1_3repE0EEENS1_30default_config_static_selectorELNS0_4arch9wavefront6targetE1EEEvS17_.has_indirect_call, 0
	.section	.AMDGPU.csdata,"",@progbits
; Kernel info:
; codeLenInByte = 0
; TotalNumSgprs: 4
; NumVgprs: 0
; ScratchSize: 0
; MemoryBound: 0
; FloatMode: 240
; IeeeMode: 1
; LDSByteSize: 0 bytes/workgroup (compile time only)
; SGPRBlocks: 0
; VGPRBlocks: 0
; NumSGPRsForWavesPerEU: 4
; NumVGPRsForWavesPerEU: 1
; Occupancy: 10
; WaveLimiterHint : 0
; COMPUTE_PGM_RSRC2:SCRATCH_EN: 0
; COMPUTE_PGM_RSRC2:USER_SGPR: 6
; COMPUTE_PGM_RSRC2:TRAP_HANDLER: 0
; COMPUTE_PGM_RSRC2:TGID_X_EN: 1
; COMPUTE_PGM_RSRC2:TGID_Y_EN: 0
; COMPUTE_PGM_RSRC2:TGID_Z_EN: 0
; COMPUTE_PGM_RSRC2:TIDIG_COMP_CNT: 0
	.section	.text._ZN7rocprim17ROCPRIM_400000_NS6detail17trampoline_kernelINS0_14default_configENS1_22reduce_config_selectorIN6thrust23THRUST_200600_302600_NS5tupleIblNS6_9null_typeES8_S8_S8_S8_S8_S8_S8_EEEEZNS1_11reduce_implILb1ES3_NS6_12zip_iteratorINS7_INS6_11hip_rocprim26transform_input_iterator_tIbPsNS6_6detail10functional5actorINSH_9compositeIJNSH_27transparent_binary_operatorINS6_8equal_toIvEEEENSI_INSH_8argumentILj0EEEEENSH_5valueIsEEEEEEEEENSD_19counting_iterator_tIlEES8_S8_S8_S8_S8_S8_S8_S8_EEEEPS9_S9_NSD_9__find_if7functorIS9_EEEE10hipError_tPvRmT1_T2_T3_mT4_P12ihipStream_tbEUlT_E0_NS1_11comp_targetILNS1_3genE5ELNS1_11target_archE942ELNS1_3gpuE9ELNS1_3repE0EEENS1_30default_config_static_selectorELNS0_4arch9wavefront6targetE1EEEvS17_,"axG",@progbits,_ZN7rocprim17ROCPRIM_400000_NS6detail17trampoline_kernelINS0_14default_configENS1_22reduce_config_selectorIN6thrust23THRUST_200600_302600_NS5tupleIblNS6_9null_typeES8_S8_S8_S8_S8_S8_S8_EEEEZNS1_11reduce_implILb1ES3_NS6_12zip_iteratorINS7_INS6_11hip_rocprim26transform_input_iterator_tIbPsNS6_6detail10functional5actorINSH_9compositeIJNSH_27transparent_binary_operatorINS6_8equal_toIvEEEENSI_INSH_8argumentILj0EEEEENSH_5valueIsEEEEEEEEENSD_19counting_iterator_tIlEES8_S8_S8_S8_S8_S8_S8_S8_EEEEPS9_S9_NSD_9__find_if7functorIS9_EEEE10hipError_tPvRmT1_T2_T3_mT4_P12ihipStream_tbEUlT_E0_NS1_11comp_targetILNS1_3genE5ELNS1_11target_archE942ELNS1_3gpuE9ELNS1_3repE0EEENS1_30default_config_static_selectorELNS0_4arch9wavefront6targetE1EEEvS17_,comdat
	.protected	_ZN7rocprim17ROCPRIM_400000_NS6detail17trampoline_kernelINS0_14default_configENS1_22reduce_config_selectorIN6thrust23THRUST_200600_302600_NS5tupleIblNS6_9null_typeES8_S8_S8_S8_S8_S8_S8_EEEEZNS1_11reduce_implILb1ES3_NS6_12zip_iteratorINS7_INS6_11hip_rocprim26transform_input_iterator_tIbPsNS6_6detail10functional5actorINSH_9compositeIJNSH_27transparent_binary_operatorINS6_8equal_toIvEEEENSI_INSH_8argumentILj0EEEEENSH_5valueIsEEEEEEEEENSD_19counting_iterator_tIlEES8_S8_S8_S8_S8_S8_S8_S8_EEEEPS9_S9_NSD_9__find_if7functorIS9_EEEE10hipError_tPvRmT1_T2_T3_mT4_P12ihipStream_tbEUlT_E0_NS1_11comp_targetILNS1_3genE5ELNS1_11target_archE942ELNS1_3gpuE9ELNS1_3repE0EEENS1_30default_config_static_selectorELNS0_4arch9wavefront6targetE1EEEvS17_ ; -- Begin function _ZN7rocprim17ROCPRIM_400000_NS6detail17trampoline_kernelINS0_14default_configENS1_22reduce_config_selectorIN6thrust23THRUST_200600_302600_NS5tupleIblNS6_9null_typeES8_S8_S8_S8_S8_S8_S8_EEEEZNS1_11reduce_implILb1ES3_NS6_12zip_iteratorINS7_INS6_11hip_rocprim26transform_input_iterator_tIbPsNS6_6detail10functional5actorINSH_9compositeIJNSH_27transparent_binary_operatorINS6_8equal_toIvEEEENSI_INSH_8argumentILj0EEEEENSH_5valueIsEEEEEEEEENSD_19counting_iterator_tIlEES8_S8_S8_S8_S8_S8_S8_S8_EEEEPS9_S9_NSD_9__find_if7functorIS9_EEEE10hipError_tPvRmT1_T2_T3_mT4_P12ihipStream_tbEUlT_E0_NS1_11comp_targetILNS1_3genE5ELNS1_11target_archE942ELNS1_3gpuE9ELNS1_3repE0EEENS1_30default_config_static_selectorELNS0_4arch9wavefront6targetE1EEEvS17_
	.globl	_ZN7rocprim17ROCPRIM_400000_NS6detail17trampoline_kernelINS0_14default_configENS1_22reduce_config_selectorIN6thrust23THRUST_200600_302600_NS5tupleIblNS6_9null_typeES8_S8_S8_S8_S8_S8_S8_EEEEZNS1_11reduce_implILb1ES3_NS6_12zip_iteratorINS7_INS6_11hip_rocprim26transform_input_iterator_tIbPsNS6_6detail10functional5actorINSH_9compositeIJNSH_27transparent_binary_operatorINS6_8equal_toIvEEEENSI_INSH_8argumentILj0EEEEENSH_5valueIsEEEEEEEEENSD_19counting_iterator_tIlEES8_S8_S8_S8_S8_S8_S8_S8_EEEEPS9_S9_NSD_9__find_if7functorIS9_EEEE10hipError_tPvRmT1_T2_T3_mT4_P12ihipStream_tbEUlT_E0_NS1_11comp_targetILNS1_3genE5ELNS1_11target_archE942ELNS1_3gpuE9ELNS1_3repE0EEENS1_30default_config_static_selectorELNS0_4arch9wavefront6targetE1EEEvS17_
	.p2align	8
	.type	_ZN7rocprim17ROCPRIM_400000_NS6detail17trampoline_kernelINS0_14default_configENS1_22reduce_config_selectorIN6thrust23THRUST_200600_302600_NS5tupleIblNS6_9null_typeES8_S8_S8_S8_S8_S8_S8_EEEEZNS1_11reduce_implILb1ES3_NS6_12zip_iteratorINS7_INS6_11hip_rocprim26transform_input_iterator_tIbPsNS6_6detail10functional5actorINSH_9compositeIJNSH_27transparent_binary_operatorINS6_8equal_toIvEEEENSI_INSH_8argumentILj0EEEEENSH_5valueIsEEEEEEEEENSD_19counting_iterator_tIlEES8_S8_S8_S8_S8_S8_S8_S8_EEEEPS9_S9_NSD_9__find_if7functorIS9_EEEE10hipError_tPvRmT1_T2_T3_mT4_P12ihipStream_tbEUlT_E0_NS1_11comp_targetILNS1_3genE5ELNS1_11target_archE942ELNS1_3gpuE9ELNS1_3repE0EEENS1_30default_config_static_selectorELNS0_4arch9wavefront6targetE1EEEvS17_,@function
_ZN7rocprim17ROCPRIM_400000_NS6detail17trampoline_kernelINS0_14default_configENS1_22reduce_config_selectorIN6thrust23THRUST_200600_302600_NS5tupleIblNS6_9null_typeES8_S8_S8_S8_S8_S8_S8_EEEEZNS1_11reduce_implILb1ES3_NS6_12zip_iteratorINS7_INS6_11hip_rocprim26transform_input_iterator_tIbPsNS6_6detail10functional5actorINSH_9compositeIJNSH_27transparent_binary_operatorINS6_8equal_toIvEEEENSI_INSH_8argumentILj0EEEEENSH_5valueIsEEEEEEEEENSD_19counting_iterator_tIlEES8_S8_S8_S8_S8_S8_S8_S8_EEEEPS9_S9_NSD_9__find_if7functorIS9_EEEE10hipError_tPvRmT1_T2_T3_mT4_P12ihipStream_tbEUlT_E0_NS1_11comp_targetILNS1_3genE5ELNS1_11target_archE942ELNS1_3gpuE9ELNS1_3repE0EEENS1_30default_config_static_selectorELNS0_4arch9wavefront6targetE1EEEvS17_: ; @_ZN7rocprim17ROCPRIM_400000_NS6detail17trampoline_kernelINS0_14default_configENS1_22reduce_config_selectorIN6thrust23THRUST_200600_302600_NS5tupleIblNS6_9null_typeES8_S8_S8_S8_S8_S8_S8_EEEEZNS1_11reduce_implILb1ES3_NS6_12zip_iteratorINS7_INS6_11hip_rocprim26transform_input_iterator_tIbPsNS6_6detail10functional5actorINSH_9compositeIJNSH_27transparent_binary_operatorINS6_8equal_toIvEEEENSI_INSH_8argumentILj0EEEEENSH_5valueIsEEEEEEEEENSD_19counting_iterator_tIlEES8_S8_S8_S8_S8_S8_S8_S8_EEEEPS9_S9_NSD_9__find_if7functorIS9_EEEE10hipError_tPvRmT1_T2_T3_mT4_P12ihipStream_tbEUlT_E0_NS1_11comp_targetILNS1_3genE5ELNS1_11target_archE942ELNS1_3gpuE9ELNS1_3repE0EEENS1_30default_config_static_selectorELNS0_4arch9wavefront6targetE1EEEvS17_
; %bb.0:
	.section	.rodata,"a",@progbits
	.p2align	6, 0x0
	.amdhsa_kernel _ZN7rocprim17ROCPRIM_400000_NS6detail17trampoline_kernelINS0_14default_configENS1_22reduce_config_selectorIN6thrust23THRUST_200600_302600_NS5tupleIblNS6_9null_typeES8_S8_S8_S8_S8_S8_S8_EEEEZNS1_11reduce_implILb1ES3_NS6_12zip_iteratorINS7_INS6_11hip_rocprim26transform_input_iterator_tIbPsNS6_6detail10functional5actorINSH_9compositeIJNSH_27transparent_binary_operatorINS6_8equal_toIvEEEENSI_INSH_8argumentILj0EEEEENSH_5valueIsEEEEEEEEENSD_19counting_iterator_tIlEES8_S8_S8_S8_S8_S8_S8_S8_EEEEPS9_S9_NSD_9__find_if7functorIS9_EEEE10hipError_tPvRmT1_T2_T3_mT4_P12ihipStream_tbEUlT_E0_NS1_11comp_targetILNS1_3genE5ELNS1_11target_archE942ELNS1_3gpuE9ELNS1_3repE0EEENS1_30default_config_static_selectorELNS0_4arch9wavefront6targetE1EEEvS17_
		.amdhsa_group_segment_fixed_size 0
		.amdhsa_private_segment_fixed_size 0
		.amdhsa_kernarg_size 88
		.amdhsa_user_sgpr_count 6
		.amdhsa_user_sgpr_private_segment_buffer 1
		.amdhsa_user_sgpr_dispatch_ptr 0
		.amdhsa_user_sgpr_queue_ptr 0
		.amdhsa_user_sgpr_kernarg_segment_ptr 1
		.amdhsa_user_sgpr_dispatch_id 0
		.amdhsa_user_sgpr_flat_scratch_init 0
		.amdhsa_user_sgpr_private_segment_size 0
		.amdhsa_uses_dynamic_stack 0
		.amdhsa_system_sgpr_private_segment_wavefront_offset 0
		.amdhsa_system_sgpr_workgroup_id_x 1
		.amdhsa_system_sgpr_workgroup_id_y 0
		.amdhsa_system_sgpr_workgroup_id_z 0
		.amdhsa_system_sgpr_workgroup_info 0
		.amdhsa_system_vgpr_workitem_id 0
		.amdhsa_next_free_vgpr 1
		.amdhsa_next_free_sgpr 0
		.amdhsa_reserve_vcc 0
		.amdhsa_reserve_flat_scratch 0
		.amdhsa_float_round_mode_32 0
		.amdhsa_float_round_mode_16_64 0
		.amdhsa_float_denorm_mode_32 3
		.amdhsa_float_denorm_mode_16_64 3
		.amdhsa_dx10_clamp 1
		.amdhsa_ieee_mode 1
		.amdhsa_fp16_overflow 0
		.amdhsa_exception_fp_ieee_invalid_op 0
		.amdhsa_exception_fp_denorm_src 0
		.amdhsa_exception_fp_ieee_div_zero 0
		.amdhsa_exception_fp_ieee_overflow 0
		.amdhsa_exception_fp_ieee_underflow 0
		.amdhsa_exception_fp_ieee_inexact 0
		.amdhsa_exception_int_div_zero 0
	.end_amdhsa_kernel
	.section	.text._ZN7rocprim17ROCPRIM_400000_NS6detail17trampoline_kernelINS0_14default_configENS1_22reduce_config_selectorIN6thrust23THRUST_200600_302600_NS5tupleIblNS6_9null_typeES8_S8_S8_S8_S8_S8_S8_EEEEZNS1_11reduce_implILb1ES3_NS6_12zip_iteratorINS7_INS6_11hip_rocprim26transform_input_iterator_tIbPsNS6_6detail10functional5actorINSH_9compositeIJNSH_27transparent_binary_operatorINS6_8equal_toIvEEEENSI_INSH_8argumentILj0EEEEENSH_5valueIsEEEEEEEEENSD_19counting_iterator_tIlEES8_S8_S8_S8_S8_S8_S8_S8_EEEEPS9_S9_NSD_9__find_if7functorIS9_EEEE10hipError_tPvRmT1_T2_T3_mT4_P12ihipStream_tbEUlT_E0_NS1_11comp_targetILNS1_3genE5ELNS1_11target_archE942ELNS1_3gpuE9ELNS1_3repE0EEENS1_30default_config_static_selectorELNS0_4arch9wavefront6targetE1EEEvS17_,"axG",@progbits,_ZN7rocprim17ROCPRIM_400000_NS6detail17trampoline_kernelINS0_14default_configENS1_22reduce_config_selectorIN6thrust23THRUST_200600_302600_NS5tupleIblNS6_9null_typeES8_S8_S8_S8_S8_S8_S8_EEEEZNS1_11reduce_implILb1ES3_NS6_12zip_iteratorINS7_INS6_11hip_rocprim26transform_input_iterator_tIbPsNS6_6detail10functional5actorINSH_9compositeIJNSH_27transparent_binary_operatorINS6_8equal_toIvEEEENSI_INSH_8argumentILj0EEEEENSH_5valueIsEEEEEEEEENSD_19counting_iterator_tIlEES8_S8_S8_S8_S8_S8_S8_S8_EEEEPS9_S9_NSD_9__find_if7functorIS9_EEEE10hipError_tPvRmT1_T2_T3_mT4_P12ihipStream_tbEUlT_E0_NS1_11comp_targetILNS1_3genE5ELNS1_11target_archE942ELNS1_3gpuE9ELNS1_3repE0EEENS1_30default_config_static_selectorELNS0_4arch9wavefront6targetE1EEEvS17_,comdat
.Lfunc_end1507:
	.size	_ZN7rocprim17ROCPRIM_400000_NS6detail17trampoline_kernelINS0_14default_configENS1_22reduce_config_selectorIN6thrust23THRUST_200600_302600_NS5tupleIblNS6_9null_typeES8_S8_S8_S8_S8_S8_S8_EEEEZNS1_11reduce_implILb1ES3_NS6_12zip_iteratorINS7_INS6_11hip_rocprim26transform_input_iterator_tIbPsNS6_6detail10functional5actorINSH_9compositeIJNSH_27transparent_binary_operatorINS6_8equal_toIvEEEENSI_INSH_8argumentILj0EEEEENSH_5valueIsEEEEEEEEENSD_19counting_iterator_tIlEES8_S8_S8_S8_S8_S8_S8_S8_EEEEPS9_S9_NSD_9__find_if7functorIS9_EEEE10hipError_tPvRmT1_T2_T3_mT4_P12ihipStream_tbEUlT_E0_NS1_11comp_targetILNS1_3genE5ELNS1_11target_archE942ELNS1_3gpuE9ELNS1_3repE0EEENS1_30default_config_static_selectorELNS0_4arch9wavefront6targetE1EEEvS17_, .Lfunc_end1507-_ZN7rocprim17ROCPRIM_400000_NS6detail17trampoline_kernelINS0_14default_configENS1_22reduce_config_selectorIN6thrust23THRUST_200600_302600_NS5tupleIblNS6_9null_typeES8_S8_S8_S8_S8_S8_S8_EEEEZNS1_11reduce_implILb1ES3_NS6_12zip_iteratorINS7_INS6_11hip_rocprim26transform_input_iterator_tIbPsNS6_6detail10functional5actorINSH_9compositeIJNSH_27transparent_binary_operatorINS6_8equal_toIvEEEENSI_INSH_8argumentILj0EEEEENSH_5valueIsEEEEEEEEENSD_19counting_iterator_tIlEES8_S8_S8_S8_S8_S8_S8_S8_EEEEPS9_S9_NSD_9__find_if7functorIS9_EEEE10hipError_tPvRmT1_T2_T3_mT4_P12ihipStream_tbEUlT_E0_NS1_11comp_targetILNS1_3genE5ELNS1_11target_archE942ELNS1_3gpuE9ELNS1_3repE0EEENS1_30default_config_static_selectorELNS0_4arch9wavefront6targetE1EEEvS17_
                                        ; -- End function
	.set _ZN7rocprim17ROCPRIM_400000_NS6detail17trampoline_kernelINS0_14default_configENS1_22reduce_config_selectorIN6thrust23THRUST_200600_302600_NS5tupleIblNS6_9null_typeES8_S8_S8_S8_S8_S8_S8_EEEEZNS1_11reduce_implILb1ES3_NS6_12zip_iteratorINS7_INS6_11hip_rocprim26transform_input_iterator_tIbPsNS6_6detail10functional5actorINSH_9compositeIJNSH_27transparent_binary_operatorINS6_8equal_toIvEEEENSI_INSH_8argumentILj0EEEEENSH_5valueIsEEEEEEEEENSD_19counting_iterator_tIlEES8_S8_S8_S8_S8_S8_S8_S8_EEEEPS9_S9_NSD_9__find_if7functorIS9_EEEE10hipError_tPvRmT1_T2_T3_mT4_P12ihipStream_tbEUlT_E0_NS1_11comp_targetILNS1_3genE5ELNS1_11target_archE942ELNS1_3gpuE9ELNS1_3repE0EEENS1_30default_config_static_selectorELNS0_4arch9wavefront6targetE1EEEvS17_.num_vgpr, 0
	.set _ZN7rocprim17ROCPRIM_400000_NS6detail17trampoline_kernelINS0_14default_configENS1_22reduce_config_selectorIN6thrust23THRUST_200600_302600_NS5tupleIblNS6_9null_typeES8_S8_S8_S8_S8_S8_S8_EEEEZNS1_11reduce_implILb1ES3_NS6_12zip_iteratorINS7_INS6_11hip_rocprim26transform_input_iterator_tIbPsNS6_6detail10functional5actorINSH_9compositeIJNSH_27transparent_binary_operatorINS6_8equal_toIvEEEENSI_INSH_8argumentILj0EEEEENSH_5valueIsEEEEEEEEENSD_19counting_iterator_tIlEES8_S8_S8_S8_S8_S8_S8_S8_EEEEPS9_S9_NSD_9__find_if7functorIS9_EEEE10hipError_tPvRmT1_T2_T3_mT4_P12ihipStream_tbEUlT_E0_NS1_11comp_targetILNS1_3genE5ELNS1_11target_archE942ELNS1_3gpuE9ELNS1_3repE0EEENS1_30default_config_static_selectorELNS0_4arch9wavefront6targetE1EEEvS17_.num_agpr, 0
	.set _ZN7rocprim17ROCPRIM_400000_NS6detail17trampoline_kernelINS0_14default_configENS1_22reduce_config_selectorIN6thrust23THRUST_200600_302600_NS5tupleIblNS6_9null_typeES8_S8_S8_S8_S8_S8_S8_EEEEZNS1_11reduce_implILb1ES3_NS6_12zip_iteratorINS7_INS6_11hip_rocprim26transform_input_iterator_tIbPsNS6_6detail10functional5actorINSH_9compositeIJNSH_27transparent_binary_operatorINS6_8equal_toIvEEEENSI_INSH_8argumentILj0EEEEENSH_5valueIsEEEEEEEEENSD_19counting_iterator_tIlEES8_S8_S8_S8_S8_S8_S8_S8_EEEEPS9_S9_NSD_9__find_if7functorIS9_EEEE10hipError_tPvRmT1_T2_T3_mT4_P12ihipStream_tbEUlT_E0_NS1_11comp_targetILNS1_3genE5ELNS1_11target_archE942ELNS1_3gpuE9ELNS1_3repE0EEENS1_30default_config_static_selectorELNS0_4arch9wavefront6targetE1EEEvS17_.numbered_sgpr, 0
	.set _ZN7rocprim17ROCPRIM_400000_NS6detail17trampoline_kernelINS0_14default_configENS1_22reduce_config_selectorIN6thrust23THRUST_200600_302600_NS5tupleIblNS6_9null_typeES8_S8_S8_S8_S8_S8_S8_EEEEZNS1_11reduce_implILb1ES3_NS6_12zip_iteratorINS7_INS6_11hip_rocprim26transform_input_iterator_tIbPsNS6_6detail10functional5actorINSH_9compositeIJNSH_27transparent_binary_operatorINS6_8equal_toIvEEEENSI_INSH_8argumentILj0EEEEENSH_5valueIsEEEEEEEEENSD_19counting_iterator_tIlEES8_S8_S8_S8_S8_S8_S8_S8_EEEEPS9_S9_NSD_9__find_if7functorIS9_EEEE10hipError_tPvRmT1_T2_T3_mT4_P12ihipStream_tbEUlT_E0_NS1_11comp_targetILNS1_3genE5ELNS1_11target_archE942ELNS1_3gpuE9ELNS1_3repE0EEENS1_30default_config_static_selectorELNS0_4arch9wavefront6targetE1EEEvS17_.num_named_barrier, 0
	.set _ZN7rocprim17ROCPRIM_400000_NS6detail17trampoline_kernelINS0_14default_configENS1_22reduce_config_selectorIN6thrust23THRUST_200600_302600_NS5tupleIblNS6_9null_typeES8_S8_S8_S8_S8_S8_S8_EEEEZNS1_11reduce_implILb1ES3_NS6_12zip_iteratorINS7_INS6_11hip_rocprim26transform_input_iterator_tIbPsNS6_6detail10functional5actorINSH_9compositeIJNSH_27transparent_binary_operatorINS6_8equal_toIvEEEENSI_INSH_8argumentILj0EEEEENSH_5valueIsEEEEEEEEENSD_19counting_iterator_tIlEES8_S8_S8_S8_S8_S8_S8_S8_EEEEPS9_S9_NSD_9__find_if7functorIS9_EEEE10hipError_tPvRmT1_T2_T3_mT4_P12ihipStream_tbEUlT_E0_NS1_11comp_targetILNS1_3genE5ELNS1_11target_archE942ELNS1_3gpuE9ELNS1_3repE0EEENS1_30default_config_static_selectorELNS0_4arch9wavefront6targetE1EEEvS17_.private_seg_size, 0
	.set _ZN7rocprim17ROCPRIM_400000_NS6detail17trampoline_kernelINS0_14default_configENS1_22reduce_config_selectorIN6thrust23THRUST_200600_302600_NS5tupleIblNS6_9null_typeES8_S8_S8_S8_S8_S8_S8_EEEEZNS1_11reduce_implILb1ES3_NS6_12zip_iteratorINS7_INS6_11hip_rocprim26transform_input_iterator_tIbPsNS6_6detail10functional5actorINSH_9compositeIJNSH_27transparent_binary_operatorINS6_8equal_toIvEEEENSI_INSH_8argumentILj0EEEEENSH_5valueIsEEEEEEEEENSD_19counting_iterator_tIlEES8_S8_S8_S8_S8_S8_S8_S8_EEEEPS9_S9_NSD_9__find_if7functorIS9_EEEE10hipError_tPvRmT1_T2_T3_mT4_P12ihipStream_tbEUlT_E0_NS1_11comp_targetILNS1_3genE5ELNS1_11target_archE942ELNS1_3gpuE9ELNS1_3repE0EEENS1_30default_config_static_selectorELNS0_4arch9wavefront6targetE1EEEvS17_.uses_vcc, 0
	.set _ZN7rocprim17ROCPRIM_400000_NS6detail17trampoline_kernelINS0_14default_configENS1_22reduce_config_selectorIN6thrust23THRUST_200600_302600_NS5tupleIblNS6_9null_typeES8_S8_S8_S8_S8_S8_S8_EEEEZNS1_11reduce_implILb1ES3_NS6_12zip_iteratorINS7_INS6_11hip_rocprim26transform_input_iterator_tIbPsNS6_6detail10functional5actorINSH_9compositeIJNSH_27transparent_binary_operatorINS6_8equal_toIvEEEENSI_INSH_8argumentILj0EEEEENSH_5valueIsEEEEEEEEENSD_19counting_iterator_tIlEES8_S8_S8_S8_S8_S8_S8_S8_EEEEPS9_S9_NSD_9__find_if7functorIS9_EEEE10hipError_tPvRmT1_T2_T3_mT4_P12ihipStream_tbEUlT_E0_NS1_11comp_targetILNS1_3genE5ELNS1_11target_archE942ELNS1_3gpuE9ELNS1_3repE0EEENS1_30default_config_static_selectorELNS0_4arch9wavefront6targetE1EEEvS17_.uses_flat_scratch, 0
	.set _ZN7rocprim17ROCPRIM_400000_NS6detail17trampoline_kernelINS0_14default_configENS1_22reduce_config_selectorIN6thrust23THRUST_200600_302600_NS5tupleIblNS6_9null_typeES8_S8_S8_S8_S8_S8_S8_EEEEZNS1_11reduce_implILb1ES3_NS6_12zip_iteratorINS7_INS6_11hip_rocprim26transform_input_iterator_tIbPsNS6_6detail10functional5actorINSH_9compositeIJNSH_27transparent_binary_operatorINS6_8equal_toIvEEEENSI_INSH_8argumentILj0EEEEENSH_5valueIsEEEEEEEEENSD_19counting_iterator_tIlEES8_S8_S8_S8_S8_S8_S8_S8_EEEEPS9_S9_NSD_9__find_if7functorIS9_EEEE10hipError_tPvRmT1_T2_T3_mT4_P12ihipStream_tbEUlT_E0_NS1_11comp_targetILNS1_3genE5ELNS1_11target_archE942ELNS1_3gpuE9ELNS1_3repE0EEENS1_30default_config_static_selectorELNS0_4arch9wavefront6targetE1EEEvS17_.has_dyn_sized_stack, 0
	.set _ZN7rocprim17ROCPRIM_400000_NS6detail17trampoline_kernelINS0_14default_configENS1_22reduce_config_selectorIN6thrust23THRUST_200600_302600_NS5tupleIblNS6_9null_typeES8_S8_S8_S8_S8_S8_S8_EEEEZNS1_11reduce_implILb1ES3_NS6_12zip_iteratorINS7_INS6_11hip_rocprim26transform_input_iterator_tIbPsNS6_6detail10functional5actorINSH_9compositeIJNSH_27transparent_binary_operatorINS6_8equal_toIvEEEENSI_INSH_8argumentILj0EEEEENSH_5valueIsEEEEEEEEENSD_19counting_iterator_tIlEES8_S8_S8_S8_S8_S8_S8_S8_EEEEPS9_S9_NSD_9__find_if7functorIS9_EEEE10hipError_tPvRmT1_T2_T3_mT4_P12ihipStream_tbEUlT_E0_NS1_11comp_targetILNS1_3genE5ELNS1_11target_archE942ELNS1_3gpuE9ELNS1_3repE0EEENS1_30default_config_static_selectorELNS0_4arch9wavefront6targetE1EEEvS17_.has_recursion, 0
	.set _ZN7rocprim17ROCPRIM_400000_NS6detail17trampoline_kernelINS0_14default_configENS1_22reduce_config_selectorIN6thrust23THRUST_200600_302600_NS5tupleIblNS6_9null_typeES8_S8_S8_S8_S8_S8_S8_EEEEZNS1_11reduce_implILb1ES3_NS6_12zip_iteratorINS7_INS6_11hip_rocprim26transform_input_iterator_tIbPsNS6_6detail10functional5actorINSH_9compositeIJNSH_27transparent_binary_operatorINS6_8equal_toIvEEEENSI_INSH_8argumentILj0EEEEENSH_5valueIsEEEEEEEEENSD_19counting_iterator_tIlEES8_S8_S8_S8_S8_S8_S8_S8_EEEEPS9_S9_NSD_9__find_if7functorIS9_EEEE10hipError_tPvRmT1_T2_T3_mT4_P12ihipStream_tbEUlT_E0_NS1_11comp_targetILNS1_3genE5ELNS1_11target_archE942ELNS1_3gpuE9ELNS1_3repE0EEENS1_30default_config_static_selectorELNS0_4arch9wavefront6targetE1EEEvS17_.has_indirect_call, 0
	.section	.AMDGPU.csdata,"",@progbits
; Kernel info:
; codeLenInByte = 0
; TotalNumSgprs: 4
; NumVgprs: 0
; ScratchSize: 0
; MemoryBound: 0
; FloatMode: 240
; IeeeMode: 1
; LDSByteSize: 0 bytes/workgroup (compile time only)
; SGPRBlocks: 0
; VGPRBlocks: 0
; NumSGPRsForWavesPerEU: 4
; NumVGPRsForWavesPerEU: 1
; Occupancy: 10
; WaveLimiterHint : 0
; COMPUTE_PGM_RSRC2:SCRATCH_EN: 0
; COMPUTE_PGM_RSRC2:USER_SGPR: 6
; COMPUTE_PGM_RSRC2:TRAP_HANDLER: 0
; COMPUTE_PGM_RSRC2:TGID_X_EN: 1
; COMPUTE_PGM_RSRC2:TGID_Y_EN: 0
; COMPUTE_PGM_RSRC2:TGID_Z_EN: 0
; COMPUTE_PGM_RSRC2:TIDIG_COMP_CNT: 0
	.section	.text._ZN7rocprim17ROCPRIM_400000_NS6detail17trampoline_kernelINS0_14default_configENS1_22reduce_config_selectorIN6thrust23THRUST_200600_302600_NS5tupleIblNS6_9null_typeES8_S8_S8_S8_S8_S8_S8_EEEEZNS1_11reduce_implILb1ES3_NS6_12zip_iteratorINS7_INS6_11hip_rocprim26transform_input_iterator_tIbPsNS6_6detail10functional5actorINSH_9compositeIJNSH_27transparent_binary_operatorINS6_8equal_toIvEEEENSI_INSH_8argumentILj0EEEEENSH_5valueIsEEEEEEEEENSD_19counting_iterator_tIlEES8_S8_S8_S8_S8_S8_S8_S8_EEEEPS9_S9_NSD_9__find_if7functorIS9_EEEE10hipError_tPvRmT1_T2_T3_mT4_P12ihipStream_tbEUlT_E0_NS1_11comp_targetILNS1_3genE4ELNS1_11target_archE910ELNS1_3gpuE8ELNS1_3repE0EEENS1_30default_config_static_selectorELNS0_4arch9wavefront6targetE1EEEvS17_,"axG",@progbits,_ZN7rocprim17ROCPRIM_400000_NS6detail17trampoline_kernelINS0_14default_configENS1_22reduce_config_selectorIN6thrust23THRUST_200600_302600_NS5tupleIblNS6_9null_typeES8_S8_S8_S8_S8_S8_S8_EEEEZNS1_11reduce_implILb1ES3_NS6_12zip_iteratorINS7_INS6_11hip_rocprim26transform_input_iterator_tIbPsNS6_6detail10functional5actorINSH_9compositeIJNSH_27transparent_binary_operatorINS6_8equal_toIvEEEENSI_INSH_8argumentILj0EEEEENSH_5valueIsEEEEEEEEENSD_19counting_iterator_tIlEES8_S8_S8_S8_S8_S8_S8_S8_EEEEPS9_S9_NSD_9__find_if7functorIS9_EEEE10hipError_tPvRmT1_T2_T3_mT4_P12ihipStream_tbEUlT_E0_NS1_11comp_targetILNS1_3genE4ELNS1_11target_archE910ELNS1_3gpuE8ELNS1_3repE0EEENS1_30default_config_static_selectorELNS0_4arch9wavefront6targetE1EEEvS17_,comdat
	.protected	_ZN7rocprim17ROCPRIM_400000_NS6detail17trampoline_kernelINS0_14default_configENS1_22reduce_config_selectorIN6thrust23THRUST_200600_302600_NS5tupleIblNS6_9null_typeES8_S8_S8_S8_S8_S8_S8_EEEEZNS1_11reduce_implILb1ES3_NS6_12zip_iteratorINS7_INS6_11hip_rocprim26transform_input_iterator_tIbPsNS6_6detail10functional5actorINSH_9compositeIJNSH_27transparent_binary_operatorINS6_8equal_toIvEEEENSI_INSH_8argumentILj0EEEEENSH_5valueIsEEEEEEEEENSD_19counting_iterator_tIlEES8_S8_S8_S8_S8_S8_S8_S8_EEEEPS9_S9_NSD_9__find_if7functorIS9_EEEE10hipError_tPvRmT1_T2_T3_mT4_P12ihipStream_tbEUlT_E0_NS1_11comp_targetILNS1_3genE4ELNS1_11target_archE910ELNS1_3gpuE8ELNS1_3repE0EEENS1_30default_config_static_selectorELNS0_4arch9wavefront6targetE1EEEvS17_ ; -- Begin function _ZN7rocprim17ROCPRIM_400000_NS6detail17trampoline_kernelINS0_14default_configENS1_22reduce_config_selectorIN6thrust23THRUST_200600_302600_NS5tupleIblNS6_9null_typeES8_S8_S8_S8_S8_S8_S8_EEEEZNS1_11reduce_implILb1ES3_NS6_12zip_iteratorINS7_INS6_11hip_rocprim26transform_input_iterator_tIbPsNS6_6detail10functional5actorINSH_9compositeIJNSH_27transparent_binary_operatorINS6_8equal_toIvEEEENSI_INSH_8argumentILj0EEEEENSH_5valueIsEEEEEEEEENSD_19counting_iterator_tIlEES8_S8_S8_S8_S8_S8_S8_S8_EEEEPS9_S9_NSD_9__find_if7functorIS9_EEEE10hipError_tPvRmT1_T2_T3_mT4_P12ihipStream_tbEUlT_E0_NS1_11comp_targetILNS1_3genE4ELNS1_11target_archE910ELNS1_3gpuE8ELNS1_3repE0EEENS1_30default_config_static_selectorELNS0_4arch9wavefront6targetE1EEEvS17_
	.globl	_ZN7rocprim17ROCPRIM_400000_NS6detail17trampoline_kernelINS0_14default_configENS1_22reduce_config_selectorIN6thrust23THRUST_200600_302600_NS5tupleIblNS6_9null_typeES8_S8_S8_S8_S8_S8_S8_EEEEZNS1_11reduce_implILb1ES3_NS6_12zip_iteratorINS7_INS6_11hip_rocprim26transform_input_iterator_tIbPsNS6_6detail10functional5actorINSH_9compositeIJNSH_27transparent_binary_operatorINS6_8equal_toIvEEEENSI_INSH_8argumentILj0EEEEENSH_5valueIsEEEEEEEEENSD_19counting_iterator_tIlEES8_S8_S8_S8_S8_S8_S8_S8_EEEEPS9_S9_NSD_9__find_if7functorIS9_EEEE10hipError_tPvRmT1_T2_T3_mT4_P12ihipStream_tbEUlT_E0_NS1_11comp_targetILNS1_3genE4ELNS1_11target_archE910ELNS1_3gpuE8ELNS1_3repE0EEENS1_30default_config_static_selectorELNS0_4arch9wavefront6targetE1EEEvS17_
	.p2align	8
	.type	_ZN7rocprim17ROCPRIM_400000_NS6detail17trampoline_kernelINS0_14default_configENS1_22reduce_config_selectorIN6thrust23THRUST_200600_302600_NS5tupleIblNS6_9null_typeES8_S8_S8_S8_S8_S8_S8_EEEEZNS1_11reduce_implILb1ES3_NS6_12zip_iteratorINS7_INS6_11hip_rocprim26transform_input_iterator_tIbPsNS6_6detail10functional5actorINSH_9compositeIJNSH_27transparent_binary_operatorINS6_8equal_toIvEEEENSI_INSH_8argumentILj0EEEEENSH_5valueIsEEEEEEEEENSD_19counting_iterator_tIlEES8_S8_S8_S8_S8_S8_S8_S8_EEEEPS9_S9_NSD_9__find_if7functorIS9_EEEE10hipError_tPvRmT1_T2_T3_mT4_P12ihipStream_tbEUlT_E0_NS1_11comp_targetILNS1_3genE4ELNS1_11target_archE910ELNS1_3gpuE8ELNS1_3repE0EEENS1_30default_config_static_selectorELNS0_4arch9wavefront6targetE1EEEvS17_,@function
_ZN7rocprim17ROCPRIM_400000_NS6detail17trampoline_kernelINS0_14default_configENS1_22reduce_config_selectorIN6thrust23THRUST_200600_302600_NS5tupleIblNS6_9null_typeES8_S8_S8_S8_S8_S8_S8_EEEEZNS1_11reduce_implILb1ES3_NS6_12zip_iteratorINS7_INS6_11hip_rocprim26transform_input_iterator_tIbPsNS6_6detail10functional5actorINSH_9compositeIJNSH_27transparent_binary_operatorINS6_8equal_toIvEEEENSI_INSH_8argumentILj0EEEEENSH_5valueIsEEEEEEEEENSD_19counting_iterator_tIlEES8_S8_S8_S8_S8_S8_S8_S8_EEEEPS9_S9_NSD_9__find_if7functorIS9_EEEE10hipError_tPvRmT1_T2_T3_mT4_P12ihipStream_tbEUlT_E0_NS1_11comp_targetILNS1_3genE4ELNS1_11target_archE910ELNS1_3gpuE8ELNS1_3repE0EEENS1_30default_config_static_selectorELNS0_4arch9wavefront6targetE1EEEvS17_: ; @_ZN7rocprim17ROCPRIM_400000_NS6detail17trampoline_kernelINS0_14default_configENS1_22reduce_config_selectorIN6thrust23THRUST_200600_302600_NS5tupleIblNS6_9null_typeES8_S8_S8_S8_S8_S8_S8_EEEEZNS1_11reduce_implILb1ES3_NS6_12zip_iteratorINS7_INS6_11hip_rocprim26transform_input_iterator_tIbPsNS6_6detail10functional5actorINSH_9compositeIJNSH_27transparent_binary_operatorINS6_8equal_toIvEEEENSI_INSH_8argumentILj0EEEEENSH_5valueIsEEEEEEEEENSD_19counting_iterator_tIlEES8_S8_S8_S8_S8_S8_S8_S8_EEEEPS9_S9_NSD_9__find_if7functorIS9_EEEE10hipError_tPvRmT1_T2_T3_mT4_P12ihipStream_tbEUlT_E0_NS1_11comp_targetILNS1_3genE4ELNS1_11target_archE910ELNS1_3gpuE8ELNS1_3repE0EEENS1_30default_config_static_selectorELNS0_4arch9wavefront6targetE1EEEvS17_
; %bb.0:
	.section	.rodata,"a",@progbits
	.p2align	6, 0x0
	.amdhsa_kernel _ZN7rocprim17ROCPRIM_400000_NS6detail17trampoline_kernelINS0_14default_configENS1_22reduce_config_selectorIN6thrust23THRUST_200600_302600_NS5tupleIblNS6_9null_typeES8_S8_S8_S8_S8_S8_S8_EEEEZNS1_11reduce_implILb1ES3_NS6_12zip_iteratorINS7_INS6_11hip_rocprim26transform_input_iterator_tIbPsNS6_6detail10functional5actorINSH_9compositeIJNSH_27transparent_binary_operatorINS6_8equal_toIvEEEENSI_INSH_8argumentILj0EEEEENSH_5valueIsEEEEEEEEENSD_19counting_iterator_tIlEES8_S8_S8_S8_S8_S8_S8_S8_EEEEPS9_S9_NSD_9__find_if7functorIS9_EEEE10hipError_tPvRmT1_T2_T3_mT4_P12ihipStream_tbEUlT_E0_NS1_11comp_targetILNS1_3genE4ELNS1_11target_archE910ELNS1_3gpuE8ELNS1_3repE0EEENS1_30default_config_static_selectorELNS0_4arch9wavefront6targetE1EEEvS17_
		.amdhsa_group_segment_fixed_size 0
		.amdhsa_private_segment_fixed_size 0
		.amdhsa_kernarg_size 88
		.amdhsa_user_sgpr_count 6
		.amdhsa_user_sgpr_private_segment_buffer 1
		.amdhsa_user_sgpr_dispatch_ptr 0
		.amdhsa_user_sgpr_queue_ptr 0
		.amdhsa_user_sgpr_kernarg_segment_ptr 1
		.amdhsa_user_sgpr_dispatch_id 0
		.amdhsa_user_sgpr_flat_scratch_init 0
		.amdhsa_user_sgpr_private_segment_size 0
		.amdhsa_uses_dynamic_stack 0
		.amdhsa_system_sgpr_private_segment_wavefront_offset 0
		.amdhsa_system_sgpr_workgroup_id_x 1
		.amdhsa_system_sgpr_workgroup_id_y 0
		.amdhsa_system_sgpr_workgroup_id_z 0
		.amdhsa_system_sgpr_workgroup_info 0
		.amdhsa_system_vgpr_workitem_id 0
		.amdhsa_next_free_vgpr 1
		.amdhsa_next_free_sgpr 0
		.amdhsa_reserve_vcc 0
		.amdhsa_reserve_flat_scratch 0
		.amdhsa_float_round_mode_32 0
		.amdhsa_float_round_mode_16_64 0
		.amdhsa_float_denorm_mode_32 3
		.amdhsa_float_denorm_mode_16_64 3
		.amdhsa_dx10_clamp 1
		.amdhsa_ieee_mode 1
		.amdhsa_fp16_overflow 0
		.amdhsa_exception_fp_ieee_invalid_op 0
		.amdhsa_exception_fp_denorm_src 0
		.amdhsa_exception_fp_ieee_div_zero 0
		.amdhsa_exception_fp_ieee_overflow 0
		.amdhsa_exception_fp_ieee_underflow 0
		.amdhsa_exception_fp_ieee_inexact 0
		.amdhsa_exception_int_div_zero 0
	.end_amdhsa_kernel
	.section	.text._ZN7rocprim17ROCPRIM_400000_NS6detail17trampoline_kernelINS0_14default_configENS1_22reduce_config_selectorIN6thrust23THRUST_200600_302600_NS5tupleIblNS6_9null_typeES8_S8_S8_S8_S8_S8_S8_EEEEZNS1_11reduce_implILb1ES3_NS6_12zip_iteratorINS7_INS6_11hip_rocprim26transform_input_iterator_tIbPsNS6_6detail10functional5actorINSH_9compositeIJNSH_27transparent_binary_operatorINS6_8equal_toIvEEEENSI_INSH_8argumentILj0EEEEENSH_5valueIsEEEEEEEEENSD_19counting_iterator_tIlEES8_S8_S8_S8_S8_S8_S8_S8_EEEEPS9_S9_NSD_9__find_if7functorIS9_EEEE10hipError_tPvRmT1_T2_T3_mT4_P12ihipStream_tbEUlT_E0_NS1_11comp_targetILNS1_3genE4ELNS1_11target_archE910ELNS1_3gpuE8ELNS1_3repE0EEENS1_30default_config_static_selectorELNS0_4arch9wavefront6targetE1EEEvS17_,"axG",@progbits,_ZN7rocprim17ROCPRIM_400000_NS6detail17trampoline_kernelINS0_14default_configENS1_22reduce_config_selectorIN6thrust23THRUST_200600_302600_NS5tupleIblNS6_9null_typeES8_S8_S8_S8_S8_S8_S8_EEEEZNS1_11reduce_implILb1ES3_NS6_12zip_iteratorINS7_INS6_11hip_rocprim26transform_input_iterator_tIbPsNS6_6detail10functional5actorINSH_9compositeIJNSH_27transparent_binary_operatorINS6_8equal_toIvEEEENSI_INSH_8argumentILj0EEEEENSH_5valueIsEEEEEEEEENSD_19counting_iterator_tIlEES8_S8_S8_S8_S8_S8_S8_S8_EEEEPS9_S9_NSD_9__find_if7functorIS9_EEEE10hipError_tPvRmT1_T2_T3_mT4_P12ihipStream_tbEUlT_E0_NS1_11comp_targetILNS1_3genE4ELNS1_11target_archE910ELNS1_3gpuE8ELNS1_3repE0EEENS1_30default_config_static_selectorELNS0_4arch9wavefront6targetE1EEEvS17_,comdat
.Lfunc_end1508:
	.size	_ZN7rocprim17ROCPRIM_400000_NS6detail17trampoline_kernelINS0_14default_configENS1_22reduce_config_selectorIN6thrust23THRUST_200600_302600_NS5tupleIblNS6_9null_typeES8_S8_S8_S8_S8_S8_S8_EEEEZNS1_11reduce_implILb1ES3_NS6_12zip_iteratorINS7_INS6_11hip_rocprim26transform_input_iterator_tIbPsNS6_6detail10functional5actorINSH_9compositeIJNSH_27transparent_binary_operatorINS6_8equal_toIvEEEENSI_INSH_8argumentILj0EEEEENSH_5valueIsEEEEEEEEENSD_19counting_iterator_tIlEES8_S8_S8_S8_S8_S8_S8_S8_EEEEPS9_S9_NSD_9__find_if7functorIS9_EEEE10hipError_tPvRmT1_T2_T3_mT4_P12ihipStream_tbEUlT_E0_NS1_11comp_targetILNS1_3genE4ELNS1_11target_archE910ELNS1_3gpuE8ELNS1_3repE0EEENS1_30default_config_static_selectorELNS0_4arch9wavefront6targetE1EEEvS17_, .Lfunc_end1508-_ZN7rocprim17ROCPRIM_400000_NS6detail17trampoline_kernelINS0_14default_configENS1_22reduce_config_selectorIN6thrust23THRUST_200600_302600_NS5tupleIblNS6_9null_typeES8_S8_S8_S8_S8_S8_S8_EEEEZNS1_11reduce_implILb1ES3_NS6_12zip_iteratorINS7_INS6_11hip_rocprim26transform_input_iterator_tIbPsNS6_6detail10functional5actorINSH_9compositeIJNSH_27transparent_binary_operatorINS6_8equal_toIvEEEENSI_INSH_8argumentILj0EEEEENSH_5valueIsEEEEEEEEENSD_19counting_iterator_tIlEES8_S8_S8_S8_S8_S8_S8_S8_EEEEPS9_S9_NSD_9__find_if7functorIS9_EEEE10hipError_tPvRmT1_T2_T3_mT4_P12ihipStream_tbEUlT_E0_NS1_11comp_targetILNS1_3genE4ELNS1_11target_archE910ELNS1_3gpuE8ELNS1_3repE0EEENS1_30default_config_static_selectorELNS0_4arch9wavefront6targetE1EEEvS17_
                                        ; -- End function
	.set _ZN7rocprim17ROCPRIM_400000_NS6detail17trampoline_kernelINS0_14default_configENS1_22reduce_config_selectorIN6thrust23THRUST_200600_302600_NS5tupleIblNS6_9null_typeES8_S8_S8_S8_S8_S8_S8_EEEEZNS1_11reduce_implILb1ES3_NS6_12zip_iteratorINS7_INS6_11hip_rocprim26transform_input_iterator_tIbPsNS6_6detail10functional5actorINSH_9compositeIJNSH_27transparent_binary_operatorINS6_8equal_toIvEEEENSI_INSH_8argumentILj0EEEEENSH_5valueIsEEEEEEEEENSD_19counting_iterator_tIlEES8_S8_S8_S8_S8_S8_S8_S8_EEEEPS9_S9_NSD_9__find_if7functorIS9_EEEE10hipError_tPvRmT1_T2_T3_mT4_P12ihipStream_tbEUlT_E0_NS1_11comp_targetILNS1_3genE4ELNS1_11target_archE910ELNS1_3gpuE8ELNS1_3repE0EEENS1_30default_config_static_selectorELNS0_4arch9wavefront6targetE1EEEvS17_.num_vgpr, 0
	.set _ZN7rocprim17ROCPRIM_400000_NS6detail17trampoline_kernelINS0_14default_configENS1_22reduce_config_selectorIN6thrust23THRUST_200600_302600_NS5tupleIblNS6_9null_typeES8_S8_S8_S8_S8_S8_S8_EEEEZNS1_11reduce_implILb1ES3_NS6_12zip_iteratorINS7_INS6_11hip_rocprim26transform_input_iterator_tIbPsNS6_6detail10functional5actorINSH_9compositeIJNSH_27transparent_binary_operatorINS6_8equal_toIvEEEENSI_INSH_8argumentILj0EEEEENSH_5valueIsEEEEEEEEENSD_19counting_iterator_tIlEES8_S8_S8_S8_S8_S8_S8_S8_EEEEPS9_S9_NSD_9__find_if7functorIS9_EEEE10hipError_tPvRmT1_T2_T3_mT4_P12ihipStream_tbEUlT_E0_NS1_11comp_targetILNS1_3genE4ELNS1_11target_archE910ELNS1_3gpuE8ELNS1_3repE0EEENS1_30default_config_static_selectorELNS0_4arch9wavefront6targetE1EEEvS17_.num_agpr, 0
	.set _ZN7rocprim17ROCPRIM_400000_NS6detail17trampoline_kernelINS0_14default_configENS1_22reduce_config_selectorIN6thrust23THRUST_200600_302600_NS5tupleIblNS6_9null_typeES8_S8_S8_S8_S8_S8_S8_EEEEZNS1_11reduce_implILb1ES3_NS6_12zip_iteratorINS7_INS6_11hip_rocprim26transform_input_iterator_tIbPsNS6_6detail10functional5actorINSH_9compositeIJNSH_27transparent_binary_operatorINS6_8equal_toIvEEEENSI_INSH_8argumentILj0EEEEENSH_5valueIsEEEEEEEEENSD_19counting_iterator_tIlEES8_S8_S8_S8_S8_S8_S8_S8_EEEEPS9_S9_NSD_9__find_if7functorIS9_EEEE10hipError_tPvRmT1_T2_T3_mT4_P12ihipStream_tbEUlT_E0_NS1_11comp_targetILNS1_3genE4ELNS1_11target_archE910ELNS1_3gpuE8ELNS1_3repE0EEENS1_30default_config_static_selectorELNS0_4arch9wavefront6targetE1EEEvS17_.numbered_sgpr, 0
	.set _ZN7rocprim17ROCPRIM_400000_NS6detail17trampoline_kernelINS0_14default_configENS1_22reduce_config_selectorIN6thrust23THRUST_200600_302600_NS5tupleIblNS6_9null_typeES8_S8_S8_S8_S8_S8_S8_EEEEZNS1_11reduce_implILb1ES3_NS6_12zip_iteratorINS7_INS6_11hip_rocprim26transform_input_iterator_tIbPsNS6_6detail10functional5actorINSH_9compositeIJNSH_27transparent_binary_operatorINS6_8equal_toIvEEEENSI_INSH_8argumentILj0EEEEENSH_5valueIsEEEEEEEEENSD_19counting_iterator_tIlEES8_S8_S8_S8_S8_S8_S8_S8_EEEEPS9_S9_NSD_9__find_if7functorIS9_EEEE10hipError_tPvRmT1_T2_T3_mT4_P12ihipStream_tbEUlT_E0_NS1_11comp_targetILNS1_3genE4ELNS1_11target_archE910ELNS1_3gpuE8ELNS1_3repE0EEENS1_30default_config_static_selectorELNS0_4arch9wavefront6targetE1EEEvS17_.num_named_barrier, 0
	.set _ZN7rocprim17ROCPRIM_400000_NS6detail17trampoline_kernelINS0_14default_configENS1_22reduce_config_selectorIN6thrust23THRUST_200600_302600_NS5tupleIblNS6_9null_typeES8_S8_S8_S8_S8_S8_S8_EEEEZNS1_11reduce_implILb1ES3_NS6_12zip_iteratorINS7_INS6_11hip_rocprim26transform_input_iterator_tIbPsNS6_6detail10functional5actorINSH_9compositeIJNSH_27transparent_binary_operatorINS6_8equal_toIvEEEENSI_INSH_8argumentILj0EEEEENSH_5valueIsEEEEEEEEENSD_19counting_iterator_tIlEES8_S8_S8_S8_S8_S8_S8_S8_EEEEPS9_S9_NSD_9__find_if7functorIS9_EEEE10hipError_tPvRmT1_T2_T3_mT4_P12ihipStream_tbEUlT_E0_NS1_11comp_targetILNS1_3genE4ELNS1_11target_archE910ELNS1_3gpuE8ELNS1_3repE0EEENS1_30default_config_static_selectorELNS0_4arch9wavefront6targetE1EEEvS17_.private_seg_size, 0
	.set _ZN7rocprim17ROCPRIM_400000_NS6detail17trampoline_kernelINS0_14default_configENS1_22reduce_config_selectorIN6thrust23THRUST_200600_302600_NS5tupleIblNS6_9null_typeES8_S8_S8_S8_S8_S8_S8_EEEEZNS1_11reduce_implILb1ES3_NS6_12zip_iteratorINS7_INS6_11hip_rocprim26transform_input_iterator_tIbPsNS6_6detail10functional5actorINSH_9compositeIJNSH_27transparent_binary_operatorINS6_8equal_toIvEEEENSI_INSH_8argumentILj0EEEEENSH_5valueIsEEEEEEEEENSD_19counting_iterator_tIlEES8_S8_S8_S8_S8_S8_S8_S8_EEEEPS9_S9_NSD_9__find_if7functorIS9_EEEE10hipError_tPvRmT1_T2_T3_mT4_P12ihipStream_tbEUlT_E0_NS1_11comp_targetILNS1_3genE4ELNS1_11target_archE910ELNS1_3gpuE8ELNS1_3repE0EEENS1_30default_config_static_selectorELNS0_4arch9wavefront6targetE1EEEvS17_.uses_vcc, 0
	.set _ZN7rocprim17ROCPRIM_400000_NS6detail17trampoline_kernelINS0_14default_configENS1_22reduce_config_selectorIN6thrust23THRUST_200600_302600_NS5tupleIblNS6_9null_typeES8_S8_S8_S8_S8_S8_S8_EEEEZNS1_11reduce_implILb1ES3_NS6_12zip_iteratorINS7_INS6_11hip_rocprim26transform_input_iterator_tIbPsNS6_6detail10functional5actorINSH_9compositeIJNSH_27transparent_binary_operatorINS6_8equal_toIvEEEENSI_INSH_8argumentILj0EEEEENSH_5valueIsEEEEEEEEENSD_19counting_iterator_tIlEES8_S8_S8_S8_S8_S8_S8_S8_EEEEPS9_S9_NSD_9__find_if7functorIS9_EEEE10hipError_tPvRmT1_T2_T3_mT4_P12ihipStream_tbEUlT_E0_NS1_11comp_targetILNS1_3genE4ELNS1_11target_archE910ELNS1_3gpuE8ELNS1_3repE0EEENS1_30default_config_static_selectorELNS0_4arch9wavefront6targetE1EEEvS17_.uses_flat_scratch, 0
	.set _ZN7rocprim17ROCPRIM_400000_NS6detail17trampoline_kernelINS0_14default_configENS1_22reduce_config_selectorIN6thrust23THRUST_200600_302600_NS5tupleIblNS6_9null_typeES8_S8_S8_S8_S8_S8_S8_EEEEZNS1_11reduce_implILb1ES3_NS6_12zip_iteratorINS7_INS6_11hip_rocprim26transform_input_iterator_tIbPsNS6_6detail10functional5actorINSH_9compositeIJNSH_27transparent_binary_operatorINS6_8equal_toIvEEEENSI_INSH_8argumentILj0EEEEENSH_5valueIsEEEEEEEEENSD_19counting_iterator_tIlEES8_S8_S8_S8_S8_S8_S8_S8_EEEEPS9_S9_NSD_9__find_if7functorIS9_EEEE10hipError_tPvRmT1_T2_T3_mT4_P12ihipStream_tbEUlT_E0_NS1_11comp_targetILNS1_3genE4ELNS1_11target_archE910ELNS1_3gpuE8ELNS1_3repE0EEENS1_30default_config_static_selectorELNS0_4arch9wavefront6targetE1EEEvS17_.has_dyn_sized_stack, 0
	.set _ZN7rocprim17ROCPRIM_400000_NS6detail17trampoline_kernelINS0_14default_configENS1_22reduce_config_selectorIN6thrust23THRUST_200600_302600_NS5tupleIblNS6_9null_typeES8_S8_S8_S8_S8_S8_S8_EEEEZNS1_11reduce_implILb1ES3_NS6_12zip_iteratorINS7_INS6_11hip_rocprim26transform_input_iterator_tIbPsNS6_6detail10functional5actorINSH_9compositeIJNSH_27transparent_binary_operatorINS6_8equal_toIvEEEENSI_INSH_8argumentILj0EEEEENSH_5valueIsEEEEEEEEENSD_19counting_iterator_tIlEES8_S8_S8_S8_S8_S8_S8_S8_EEEEPS9_S9_NSD_9__find_if7functorIS9_EEEE10hipError_tPvRmT1_T2_T3_mT4_P12ihipStream_tbEUlT_E0_NS1_11comp_targetILNS1_3genE4ELNS1_11target_archE910ELNS1_3gpuE8ELNS1_3repE0EEENS1_30default_config_static_selectorELNS0_4arch9wavefront6targetE1EEEvS17_.has_recursion, 0
	.set _ZN7rocprim17ROCPRIM_400000_NS6detail17trampoline_kernelINS0_14default_configENS1_22reduce_config_selectorIN6thrust23THRUST_200600_302600_NS5tupleIblNS6_9null_typeES8_S8_S8_S8_S8_S8_S8_EEEEZNS1_11reduce_implILb1ES3_NS6_12zip_iteratorINS7_INS6_11hip_rocprim26transform_input_iterator_tIbPsNS6_6detail10functional5actorINSH_9compositeIJNSH_27transparent_binary_operatorINS6_8equal_toIvEEEENSI_INSH_8argumentILj0EEEEENSH_5valueIsEEEEEEEEENSD_19counting_iterator_tIlEES8_S8_S8_S8_S8_S8_S8_S8_EEEEPS9_S9_NSD_9__find_if7functorIS9_EEEE10hipError_tPvRmT1_T2_T3_mT4_P12ihipStream_tbEUlT_E0_NS1_11comp_targetILNS1_3genE4ELNS1_11target_archE910ELNS1_3gpuE8ELNS1_3repE0EEENS1_30default_config_static_selectorELNS0_4arch9wavefront6targetE1EEEvS17_.has_indirect_call, 0
	.section	.AMDGPU.csdata,"",@progbits
; Kernel info:
; codeLenInByte = 0
; TotalNumSgprs: 4
; NumVgprs: 0
; ScratchSize: 0
; MemoryBound: 0
; FloatMode: 240
; IeeeMode: 1
; LDSByteSize: 0 bytes/workgroup (compile time only)
; SGPRBlocks: 0
; VGPRBlocks: 0
; NumSGPRsForWavesPerEU: 4
; NumVGPRsForWavesPerEU: 1
; Occupancy: 10
; WaveLimiterHint : 0
; COMPUTE_PGM_RSRC2:SCRATCH_EN: 0
; COMPUTE_PGM_RSRC2:USER_SGPR: 6
; COMPUTE_PGM_RSRC2:TRAP_HANDLER: 0
; COMPUTE_PGM_RSRC2:TGID_X_EN: 1
; COMPUTE_PGM_RSRC2:TGID_Y_EN: 0
; COMPUTE_PGM_RSRC2:TGID_Z_EN: 0
; COMPUTE_PGM_RSRC2:TIDIG_COMP_CNT: 0
	.section	.text._ZN7rocprim17ROCPRIM_400000_NS6detail17trampoline_kernelINS0_14default_configENS1_22reduce_config_selectorIN6thrust23THRUST_200600_302600_NS5tupleIblNS6_9null_typeES8_S8_S8_S8_S8_S8_S8_EEEEZNS1_11reduce_implILb1ES3_NS6_12zip_iteratorINS7_INS6_11hip_rocprim26transform_input_iterator_tIbPsNS6_6detail10functional5actorINSH_9compositeIJNSH_27transparent_binary_operatorINS6_8equal_toIvEEEENSI_INSH_8argumentILj0EEEEENSH_5valueIsEEEEEEEEENSD_19counting_iterator_tIlEES8_S8_S8_S8_S8_S8_S8_S8_EEEEPS9_S9_NSD_9__find_if7functorIS9_EEEE10hipError_tPvRmT1_T2_T3_mT4_P12ihipStream_tbEUlT_E0_NS1_11comp_targetILNS1_3genE3ELNS1_11target_archE908ELNS1_3gpuE7ELNS1_3repE0EEENS1_30default_config_static_selectorELNS0_4arch9wavefront6targetE1EEEvS17_,"axG",@progbits,_ZN7rocprim17ROCPRIM_400000_NS6detail17trampoline_kernelINS0_14default_configENS1_22reduce_config_selectorIN6thrust23THRUST_200600_302600_NS5tupleIblNS6_9null_typeES8_S8_S8_S8_S8_S8_S8_EEEEZNS1_11reduce_implILb1ES3_NS6_12zip_iteratorINS7_INS6_11hip_rocprim26transform_input_iterator_tIbPsNS6_6detail10functional5actorINSH_9compositeIJNSH_27transparent_binary_operatorINS6_8equal_toIvEEEENSI_INSH_8argumentILj0EEEEENSH_5valueIsEEEEEEEEENSD_19counting_iterator_tIlEES8_S8_S8_S8_S8_S8_S8_S8_EEEEPS9_S9_NSD_9__find_if7functorIS9_EEEE10hipError_tPvRmT1_T2_T3_mT4_P12ihipStream_tbEUlT_E0_NS1_11comp_targetILNS1_3genE3ELNS1_11target_archE908ELNS1_3gpuE7ELNS1_3repE0EEENS1_30default_config_static_selectorELNS0_4arch9wavefront6targetE1EEEvS17_,comdat
	.protected	_ZN7rocprim17ROCPRIM_400000_NS6detail17trampoline_kernelINS0_14default_configENS1_22reduce_config_selectorIN6thrust23THRUST_200600_302600_NS5tupleIblNS6_9null_typeES8_S8_S8_S8_S8_S8_S8_EEEEZNS1_11reduce_implILb1ES3_NS6_12zip_iteratorINS7_INS6_11hip_rocprim26transform_input_iterator_tIbPsNS6_6detail10functional5actorINSH_9compositeIJNSH_27transparent_binary_operatorINS6_8equal_toIvEEEENSI_INSH_8argumentILj0EEEEENSH_5valueIsEEEEEEEEENSD_19counting_iterator_tIlEES8_S8_S8_S8_S8_S8_S8_S8_EEEEPS9_S9_NSD_9__find_if7functorIS9_EEEE10hipError_tPvRmT1_T2_T3_mT4_P12ihipStream_tbEUlT_E0_NS1_11comp_targetILNS1_3genE3ELNS1_11target_archE908ELNS1_3gpuE7ELNS1_3repE0EEENS1_30default_config_static_selectorELNS0_4arch9wavefront6targetE1EEEvS17_ ; -- Begin function _ZN7rocprim17ROCPRIM_400000_NS6detail17trampoline_kernelINS0_14default_configENS1_22reduce_config_selectorIN6thrust23THRUST_200600_302600_NS5tupleIblNS6_9null_typeES8_S8_S8_S8_S8_S8_S8_EEEEZNS1_11reduce_implILb1ES3_NS6_12zip_iteratorINS7_INS6_11hip_rocprim26transform_input_iterator_tIbPsNS6_6detail10functional5actorINSH_9compositeIJNSH_27transparent_binary_operatorINS6_8equal_toIvEEEENSI_INSH_8argumentILj0EEEEENSH_5valueIsEEEEEEEEENSD_19counting_iterator_tIlEES8_S8_S8_S8_S8_S8_S8_S8_EEEEPS9_S9_NSD_9__find_if7functorIS9_EEEE10hipError_tPvRmT1_T2_T3_mT4_P12ihipStream_tbEUlT_E0_NS1_11comp_targetILNS1_3genE3ELNS1_11target_archE908ELNS1_3gpuE7ELNS1_3repE0EEENS1_30default_config_static_selectorELNS0_4arch9wavefront6targetE1EEEvS17_
	.globl	_ZN7rocprim17ROCPRIM_400000_NS6detail17trampoline_kernelINS0_14default_configENS1_22reduce_config_selectorIN6thrust23THRUST_200600_302600_NS5tupleIblNS6_9null_typeES8_S8_S8_S8_S8_S8_S8_EEEEZNS1_11reduce_implILb1ES3_NS6_12zip_iteratorINS7_INS6_11hip_rocprim26transform_input_iterator_tIbPsNS6_6detail10functional5actorINSH_9compositeIJNSH_27transparent_binary_operatorINS6_8equal_toIvEEEENSI_INSH_8argumentILj0EEEEENSH_5valueIsEEEEEEEEENSD_19counting_iterator_tIlEES8_S8_S8_S8_S8_S8_S8_S8_EEEEPS9_S9_NSD_9__find_if7functorIS9_EEEE10hipError_tPvRmT1_T2_T3_mT4_P12ihipStream_tbEUlT_E0_NS1_11comp_targetILNS1_3genE3ELNS1_11target_archE908ELNS1_3gpuE7ELNS1_3repE0EEENS1_30default_config_static_selectorELNS0_4arch9wavefront6targetE1EEEvS17_
	.p2align	8
	.type	_ZN7rocprim17ROCPRIM_400000_NS6detail17trampoline_kernelINS0_14default_configENS1_22reduce_config_selectorIN6thrust23THRUST_200600_302600_NS5tupleIblNS6_9null_typeES8_S8_S8_S8_S8_S8_S8_EEEEZNS1_11reduce_implILb1ES3_NS6_12zip_iteratorINS7_INS6_11hip_rocprim26transform_input_iterator_tIbPsNS6_6detail10functional5actorINSH_9compositeIJNSH_27transparent_binary_operatorINS6_8equal_toIvEEEENSI_INSH_8argumentILj0EEEEENSH_5valueIsEEEEEEEEENSD_19counting_iterator_tIlEES8_S8_S8_S8_S8_S8_S8_S8_EEEEPS9_S9_NSD_9__find_if7functorIS9_EEEE10hipError_tPvRmT1_T2_T3_mT4_P12ihipStream_tbEUlT_E0_NS1_11comp_targetILNS1_3genE3ELNS1_11target_archE908ELNS1_3gpuE7ELNS1_3repE0EEENS1_30default_config_static_selectorELNS0_4arch9wavefront6targetE1EEEvS17_,@function
_ZN7rocprim17ROCPRIM_400000_NS6detail17trampoline_kernelINS0_14default_configENS1_22reduce_config_selectorIN6thrust23THRUST_200600_302600_NS5tupleIblNS6_9null_typeES8_S8_S8_S8_S8_S8_S8_EEEEZNS1_11reduce_implILb1ES3_NS6_12zip_iteratorINS7_INS6_11hip_rocprim26transform_input_iterator_tIbPsNS6_6detail10functional5actorINSH_9compositeIJNSH_27transparent_binary_operatorINS6_8equal_toIvEEEENSI_INSH_8argumentILj0EEEEENSH_5valueIsEEEEEEEEENSD_19counting_iterator_tIlEES8_S8_S8_S8_S8_S8_S8_S8_EEEEPS9_S9_NSD_9__find_if7functorIS9_EEEE10hipError_tPvRmT1_T2_T3_mT4_P12ihipStream_tbEUlT_E0_NS1_11comp_targetILNS1_3genE3ELNS1_11target_archE908ELNS1_3gpuE7ELNS1_3repE0EEENS1_30default_config_static_selectorELNS0_4arch9wavefront6targetE1EEEvS17_: ; @_ZN7rocprim17ROCPRIM_400000_NS6detail17trampoline_kernelINS0_14default_configENS1_22reduce_config_selectorIN6thrust23THRUST_200600_302600_NS5tupleIblNS6_9null_typeES8_S8_S8_S8_S8_S8_S8_EEEEZNS1_11reduce_implILb1ES3_NS6_12zip_iteratorINS7_INS6_11hip_rocprim26transform_input_iterator_tIbPsNS6_6detail10functional5actorINSH_9compositeIJNSH_27transparent_binary_operatorINS6_8equal_toIvEEEENSI_INSH_8argumentILj0EEEEENSH_5valueIsEEEEEEEEENSD_19counting_iterator_tIlEES8_S8_S8_S8_S8_S8_S8_S8_EEEEPS9_S9_NSD_9__find_if7functorIS9_EEEE10hipError_tPvRmT1_T2_T3_mT4_P12ihipStream_tbEUlT_E0_NS1_11comp_targetILNS1_3genE3ELNS1_11target_archE908ELNS1_3gpuE7ELNS1_3repE0EEENS1_30default_config_static_selectorELNS0_4arch9wavefront6targetE1EEEvS17_
; %bb.0:
	.section	.rodata,"a",@progbits
	.p2align	6, 0x0
	.amdhsa_kernel _ZN7rocprim17ROCPRIM_400000_NS6detail17trampoline_kernelINS0_14default_configENS1_22reduce_config_selectorIN6thrust23THRUST_200600_302600_NS5tupleIblNS6_9null_typeES8_S8_S8_S8_S8_S8_S8_EEEEZNS1_11reduce_implILb1ES3_NS6_12zip_iteratorINS7_INS6_11hip_rocprim26transform_input_iterator_tIbPsNS6_6detail10functional5actorINSH_9compositeIJNSH_27transparent_binary_operatorINS6_8equal_toIvEEEENSI_INSH_8argumentILj0EEEEENSH_5valueIsEEEEEEEEENSD_19counting_iterator_tIlEES8_S8_S8_S8_S8_S8_S8_S8_EEEEPS9_S9_NSD_9__find_if7functorIS9_EEEE10hipError_tPvRmT1_T2_T3_mT4_P12ihipStream_tbEUlT_E0_NS1_11comp_targetILNS1_3genE3ELNS1_11target_archE908ELNS1_3gpuE7ELNS1_3repE0EEENS1_30default_config_static_selectorELNS0_4arch9wavefront6targetE1EEEvS17_
		.amdhsa_group_segment_fixed_size 0
		.amdhsa_private_segment_fixed_size 0
		.amdhsa_kernarg_size 88
		.amdhsa_user_sgpr_count 6
		.amdhsa_user_sgpr_private_segment_buffer 1
		.amdhsa_user_sgpr_dispatch_ptr 0
		.amdhsa_user_sgpr_queue_ptr 0
		.amdhsa_user_sgpr_kernarg_segment_ptr 1
		.amdhsa_user_sgpr_dispatch_id 0
		.amdhsa_user_sgpr_flat_scratch_init 0
		.amdhsa_user_sgpr_private_segment_size 0
		.amdhsa_uses_dynamic_stack 0
		.amdhsa_system_sgpr_private_segment_wavefront_offset 0
		.amdhsa_system_sgpr_workgroup_id_x 1
		.amdhsa_system_sgpr_workgroup_id_y 0
		.amdhsa_system_sgpr_workgroup_id_z 0
		.amdhsa_system_sgpr_workgroup_info 0
		.amdhsa_system_vgpr_workitem_id 0
		.amdhsa_next_free_vgpr 1
		.amdhsa_next_free_sgpr 0
		.amdhsa_reserve_vcc 0
		.amdhsa_reserve_flat_scratch 0
		.amdhsa_float_round_mode_32 0
		.amdhsa_float_round_mode_16_64 0
		.amdhsa_float_denorm_mode_32 3
		.amdhsa_float_denorm_mode_16_64 3
		.amdhsa_dx10_clamp 1
		.amdhsa_ieee_mode 1
		.amdhsa_fp16_overflow 0
		.amdhsa_exception_fp_ieee_invalid_op 0
		.amdhsa_exception_fp_denorm_src 0
		.amdhsa_exception_fp_ieee_div_zero 0
		.amdhsa_exception_fp_ieee_overflow 0
		.amdhsa_exception_fp_ieee_underflow 0
		.amdhsa_exception_fp_ieee_inexact 0
		.amdhsa_exception_int_div_zero 0
	.end_amdhsa_kernel
	.section	.text._ZN7rocprim17ROCPRIM_400000_NS6detail17trampoline_kernelINS0_14default_configENS1_22reduce_config_selectorIN6thrust23THRUST_200600_302600_NS5tupleIblNS6_9null_typeES8_S8_S8_S8_S8_S8_S8_EEEEZNS1_11reduce_implILb1ES3_NS6_12zip_iteratorINS7_INS6_11hip_rocprim26transform_input_iterator_tIbPsNS6_6detail10functional5actorINSH_9compositeIJNSH_27transparent_binary_operatorINS6_8equal_toIvEEEENSI_INSH_8argumentILj0EEEEENSH_5valueIsEEEEEEEEENSD_19counting_iterator_tIlEES8_S8_S8_S8_S8_S8_S8_S8_EEEEPS9_S9_NSD_9__find_if7functorIS9_EEEE10hipError_tPvRmT1_T2_T3_mT4_P12ihipStream_tbEUlT_E0_NS1_11comp_targetILNS1_3genE3ELNS1_11target_archE908ELNS1_3gpuE7ELNS1_3repE0EEENS1_30default_config_static_selectorELNS0_4arch9wavefront6targetE1EEEvS17_,"axG",@progbits,_ZN7rocprim17ROCPRIM_400000_NS6detail17trampoline_kernelINS0_14default_configENS1_22reduce_config_selectorIN6thrust23THRUST_200600_302600_NS5tupleIblNS6_9null_typeES8_S8_S8_S8_S8_S8_S8_EEEEZNS1_11reduce_implILb1ES3_NS6_12zip_iteratorINS7_INS6_11hip_rocprim26transform_input_iterator_tIbPsNS6_6detail10functional5actorINSH_9compositeIJNSH_27transparent_binary_operatorINS6_8equal_toIvEEEENSI_INSH_8argumentILj0EEEEENSH_5valueIsEEEEEEEEENSD_19counting_iterator_tIlEES8_S8_S8_S8_S8_S8_S8_S8_EEEEPS9_S9_NSD_9__find_if7functorIS9_EEEE10hipError_tPvRmT1_T2_T3_mT4_P12ihipStream_tbEUlT_E0_NS1_11comp_targetILNS1_3genE3ELNS1_11target_archE908ELNS1_3gpuE7ELNS1_3repE0EEENS1_30default_config_static_selectorELNS0_4arch9wavefront6targetE1EEEvS17_,comdat
.Lfunc_end1509:
	.size	_ZN7rocprim17ROCPRIM_400000_NS6detail17trampoline_kernelINS0_14default_configENS1_22reduce_config_selectorIN6thrust23THRUST_200600_302600_NS5tupleIblNS6_9null_typeES8_S8_S8_S8_S8_S8_S8_EEEEZNS1_11reduce_implILb1ES3_NS6_12zip_iteratorINS7_INS6_11hip_rocprim26transform_input_iterator_tIbPsNS6_6detail10functional5actorINSH_9compositeIJNSH_27transparent_binary_operatorINS6_8equal_toIvEEEENSI_INSH_8argumentILj0EEEEENSH_5valueIsEEEEEEEEENSD_19counting_iterator_tIlEES8_S8_S8_S8_S8_S8_S8_S8_EEEEPS9_S9_NSD_9__find_if7functorIS9_EEEE10hipError_tPvRmT1_T2_T3_mT4_P12ihipStream_tbEUlT_E0_NS1_11comp_targetILNS1_3genE3ELNS1_11target_archE908ELNS1_3gpuE7ELNS1_3repE0EEENS1_30default_config_static_selectorELNS0_4arch9wavefront6targetE1EEEvS17_, .Lfunc_end1509-_ZN7rocprim17ROCPRIM_400000_NS6detail17trampoline_kernelINS0_14default_configENS1_22reduce_config_selectorIN6thrust23THRUST_200600_302600_NS5tupleIblNS6_9null_typeES8_S8_S8_S8_S8_S8_S8_EEEEZNS1_11reduce_implILb1ES3_NS6_12zip_iteratorINS7_INS6_11hip_rocprim26transform_input_iterator_tIbPsNS6_6detail10functional5actorINSH_9compositeIJNSH_27transparent_binary_operatorINS6_8equal_toIvEEEENSI_INSH_8argumentILj0EEEEENSH_5valueIsEEEEEEEEENSD_19counting_iterator_tIlEES8_S8_S8_S8_S8_S8_S8_S8_EEEEPS9_S9_NSD_9__find_if7functorIS9_EEEE10hipError_tPvRmT1_T2_T3_mT4_P12ihipStream_tbEUlT_E0_NS1_11comp_targetILNS1_3genE3ELNS1_11target_archE908ELNS1_3gpuE7ELNS1_3repE0EEENS1_30default_config_static_selectorELNS0_4arch9wavefront6targetE1EEEvS17_
                                        ; -- End function
	.set _ZN7rocprim17ROCPRIM_400000_NS6detail17trampoline_kernelINS0_14default_configENS1_22reduce_config_selectorIN6thrust23THRUST_200600_302600_NS5tupleIblNS6_9null_typeES8_S8_S8_S8_S8_S8_S8_EEEEZNS1_11reduce_implILb1ES3_NS6_12zip_iteratorINS7_INS6_11hip_rocprim26transform_input_iterator_tIbPsNS6_6detail10functional5actorINSH_9compositeIJNSH_27transparent_binary_operatorINS6_8equal_toIvEEEENSI_INSH_8argumentILj0EEEEENSH_5valueIsEEEEEEEEENSD_19counting_iterator_tIlEES8_S8_S8_S8_S8_S8_S8_S8_EEEEPS9_S9_NSD_9__find_if7functorIS9_EEEE10hipError_tPvRmT1_T2_T3_mT4_P12ihipStream_tbEUlT_E0_NS1_11comp_targetILNS1_3genE3ELNS1_11target_archE908ELNS1_3gpuE7ELNS1_3repE0EEENS1_30default_config_static_selectorELNS0_4arch9wavefront6targetE1EEEvS17_.num_vgpr, 0
	.set _ZN7rocprim17ROCPRIM_400000_NS6detail17trampoline_kernelINS0_14default_configENS1_22reduce_config_selectorIN6thrust23THRUST_200600_302600_NS5tupleIblNS6_9null_typeES8_S8_S8_S8_S8_S8_S8_EEEEZNS1_11reduce_implILb1ES3_NS6_12zip_iteratorINS7_INS6_11hip_rocprim26transform_input_iterator_tIbPsNS6_6detail10functional5actorINSH_9compositeIJNSH_27transparent_binary_operatorINS6_8equal_toIvEEEENSI_INSH_8argumentILj0EEEEENSH_5valueIsEEEEEEEEENSD_19counting_iterator_tIlEES8_S8_S8_S8_S8_S8_S8_S8_EEEEPS9_S9_NSD_9__find_if7functorIS9_EEEE10hipError_tPvRmT1_T2_T3_mT4_P12ihipStream_tbEUlT_E0_NS1_11comp_targetILNS1_3genE3ELNS1_11target_archE908ELNS1_3gpuE7ELNS1_3repE0EEENS1_30default_config_static_selectorELNS0_4arch9wavefront6targetE1EEEvS17_.num_agpr, 0
	.set _ZN7rocprim17ROCPRIM_400000_NS6detail17trampoline_kernelINS0_14default_configENS1_22reduce_config_selectorIN6thrust23THRUST_200600_302600_NS5tupleIblNS6_9null_typeES8_S8_S8_S8_S8_S8_S8_EEEEZNS1_11reduce_implILb1ES3_NS6_12zip_iteratorINS7_INS6_11hip_rocprim26transform_input_iterator_tIbPsNS6_6detail10functional5actorINSH_9compositeIJNSH_27transparent_binary_operatorINS6_8equal_toIvEEEENSI_INSH_8argumentILj0EEEEENSH_5valueIsEEEEEEEEENSD_19counting_iterator_tIlEES8_S8_S8_S8_S8_S8_S8_S8_EEEEPS9_S9_NSD_9__find_if7functorIS9_EEEE10hipError_tPvRmT1_T2_T3_mT4_P12ihipStream_tbEUlT_E0_NS1_11comp_targetILNS1_3genE3ELNS1_11target_archE908ELNS1_3gpuE7ELNS1_3repE0EEENS1_30default_config_static_selectorELNS0_4arch9wavefront6targetE1EEEvS17_.numbered_sgpr, 0
	.set _ZN7rocprim17ROCPRIM_400000_NS6detail17trampoline_kernelINS0_14default_configENS1_22reduce_config_selectorIN6thrust23THRUST_200600_302600_NS5tupleIblNS6_9null_typeES8_S8_S8_S8_S8_S8_S8_EEEEZNS1_11reduce_implILb1ES3_NS6_12zip_iteratorINS7_INS6_11hip_rocprim26transform_input_iterator_tIbPsNS6_6detail10functional5actorINSH_9compositeIJNSH_27transparent_binary_operatorINS6_8equal_toIvEEEENSI_INSH_8argumentILj0EEEEENSH_5valueIsEEEEEEEEENSD_19counting_iterator_tIlEES8_S8_S8_S8_S8_S8_S8_S8_EEEEPS9_S9_NSD_9__find_if7functorIS9_EEEE10hipError_tPvRmT1_T2_T3_mT4_P12ihipStream_tbEUlT_E0_NS1_11comp_targetILNS1_3genE3ELNS1_11target_archE908ELNS1_3gpuE7ELNS1_3repE0EEENS1_30default_config_static_selectorELNS0_4arch9wavefront6targetE1EEEvS17_.num_named_barrier, 0
	.set _ZN7rocprim17ROCPRIM_400000_NS6detail17trampoline_kernelINS0_14default_configENS1_22reduce_config_selectorIN6thrust23THRUST_200600_302600_NS5tupleIblNS6_9null_typeES8_S8_S8_S8_S8_S8_S8_EEEEZNS1_11reduce_implILb1ES3_NS6_12zip_iteratorINS7_INS6_11hip_rocprim26transform_input_iterator_tIbPsNS6_6detail10functional5actorINSH_9compositeIJNSH_27transparent_binary_operatorINS6_8equal_toIvEEEENSI_INSH_8argumentILj0EEEEENSH_5valueIsEEEEEEEEENSD_19counting_iterator_tIlEES8_S8_S8_S8_S8_S8_S8_S8_EEEEPS9_S9_NSD_9__find_if7functorIS9_EEEE10hipError_tPvRmT1_T2_T3_mT4_P12ihipStream_tbEUlT_E0_NS1_11comp_targetILNS1_3genE3ELNS1_11target_archE908ELNS1_3gpuE7ELNS1_3repE0EEENS1_30default_config_static_selectorELNS0_4arch9wavefront6targetE1EEEvS17_.private_seg_size, 0
	.set _ZN7rocprim17ROCPRIM_400000_NS6detail17trampoline_kernelINS0_14default_configENS1_22reduce_config_selectorIN6thrust23THRUST_200600_302600_NS5tupleIblNS6_9null_typeES8_S8_S8_S8_S8_S8_S8_EEEEZNS1_11reduce_implILb1ES3_NS6_12zip_iteratorINS7_INS6_11hip_rocprim26transform_input_iterator_tIbPsNS6_6detail10functional5actorINSH_9compositeIJNSH_27transparent_binary_operatorINS6_8equal_toIvEEEENSI_INSH_8argumentILj0EEEEENSH_5valueIsEEEEEEEEENSD_19counting_iterator_tIlEES8_S8_S8_S8_S8_S8_S8_S8_EEEEPS9_S9_NSD_9__find_if7functorIS9_EEEE10hipError_tPvRmT1_T2_T3_mT4_P12ihipStream_tbEUlT_E0_NS1_11comp_targetILNS1_3genE3ELNS1_11target_archE908ELNS1_3gpuE7ELNS1_3repE0EEENS1_30default_config_static_selectorELNS0_4arch9wavefront6targetE1EEEvS17_.uses_vcc, 0
	.set _ZN7rocprim17ROCPRIM_400000_NS6detail17trampoline_kernelINS0_14default_configENS1_22reduce_config_selectorIN6thrust23THRUST_200600_302600_NS5tupleIblNS6_9null_typeES8_S8_S8_S8_S8_S8_S8_EEEEZNS1_11reduce_implILb1ES3_NS6_12zip_iteratorINS7_INS6_11hip_rocprim26transform_input_iterator_tIbPsNS6_6detail10functional5actorINSH_9compositeIJNSH_27transparent_binary_operatorINS6_8equal_toIvEEEENSI_INSH_8argumentILj0EEEEENSH_5valueIsEEEEEEEEENSD_19counting_iterator_tIlEES8_S8_S8_S8_S8_S8_S8_S8_EEEEPS9_S9_NSD_9__find_if7functorIS9_EEEE10hipError_tPvRmT1_T2_T3_mT4_P12ihipStream_tbEUlT_E0_NS1_11comp_targetILNS1_3genE3ELNS1_11target_archE908ELNS1_3gpuE7ELNS1_3repE0EEENS1_30default_config_static_selectorELNS0_4arch9wavefront6targetE1EEEvS17_.uses_flat_scratch, 0
	.set _ZN7rocprim17ROCPRIM_400000_NS6detail17trampoline_kernelINS0_14default_configENS1_22reduce_config_selectorIN6thrust23THRUST_200600_302600_NS5tupleIblNS6_9null_typeES8_S8_S8_S8_S8_S8_S8_EEEEZNS1_11reduce_implILb1ES3_NS6_12zip_iteratorINS7_INS6_11hip_rocprim26transform_input_iterator_tIbPsNS6_6detail10functional5actorINSH_9compositeIJNSH_27transparent_binary_operatorINS6_8equal_toIvEEEENSI_INSH_8argumentILj0EEEEENSH_5valueIsEEEEEEEEENSD_19counting_iterator_tIlEES8_S8_S8_S8_S8_S8_S8_S8_EEEEPS9_S9_NSD_9__find_if7functorIS9_EEEE10hipError_tPvRmT1_T2_T3_mT4_P12ihipStream_tbEUlT_E0_NS1_11comp_targetILNS1_3genE3ELNS1_11target_archE908ELNS1_3gpuE7ELNS1_3repE0EEENS1_30default_config_static_selectorELNS0_4arch9wavefront6targetE1EEEvS17_.has_dyn_sized_stack, 0
	.set _ZN7rocprim17ROCPRIM_400000_NS6detail17trampoline_kernelINS0_14default_configENS1_22reduce_config_selectorIN6thrust23THRUST_200600_302600_NS5tupleIblNS6_9null_typeES8_S8_S8_S8_S8_S8_S8_EEEEZNS1_11reduce_implILb1ES3_NS6_12zip_iteratorINS7_INS6_11hip_rocprim26transform_input_iterator_tIbPsNS6_6detail10functional5actorINSH_9compositeIJNSH_27transparent_binary_operatorINS6_8equal_toIvEEEENSI_INSH_8argumentILj0EEEEENSH_5valueIsEEEEEEEEENSD_19counting_iterator_tIlEES8_S8_S8_S8_S8_S8_S8_S8_EEEEPS9_S9_NSD_9__find_if7functorIS9_EEEE10hipError_tPvRmT1_T2_T3_mT4_P12ihipStream_tbEUlT_E0_NS1_11comp_targetILNS1_3genE3ELNS1_11target_archE908ELNS1_3gpuE7ELNS1_3repE0EEENS1_30default_config_static_selectorELNS0_4arch9wavefront6targetE1EEEvS17_.has_recursion, 0
	.set _ZN7rocprim17ROCPRIM_400000_NS6detail17trampoline_kernelINS0_14default_configENS1_22reduce_config_selectorIN6thrust23THRUST_200600_302600_NS5tupleIblNS6_9null_typeES8_S8_S8_S8_S8_S8_S8_EEEEZNS1_11reduce_implILb1ES3_NS6_12zip_iteratorINS7_INS6_11hip_rocprim26transform_input_iterator_tIbPsNS6_6detail10functional5actorINSH_9compositeIJNSH_27transparent_binary_operatorINS6_8equal_toIvEEEENSI_INSH_8argumentILj0EEEEENSH_5valueIsEEEEEEEEENSD_19counting_iterator_tIlEES8_S8_S8_S8_S8_S8_S8_S8_EEEEPS9_S9_NSD_9__find_if7functorIS9_EEEE10hipError_tPvRmT1_T2_T3_mT4_P12ihipStream_tbEUlT_E0_NS1_11comp_targetILNS1_3genE3ELNS1_11target_archE908ELNS1_3gpuE7ELNS1_3repE0EEENS1_30default_config_static_selectorELNS0_4arch9wavefront6targetE1EEEvS17_.has_indirect_call, 0
	.section	.AMDGPU.csdata,"",@progbits
; Kernel info:
; codeLenInByte = 0
; TotalNumSgprs: 4
; NumVgprs: 0
; ScratchSize: 0
; MemoryBound: 0
; FloatMode: 240
; IeeeMode: 1
; LDSByteSize: 0 bytes/workgroup (compile time only)
; SGPRBlocks: 0
; VGPRBlocks: 0
; NumSGPRsForWavesPerEU: 4
; NumVGPRsForWavesPerEU: 1
; Occupancy: 10
; WaveLimiterHint : 0
; COMPUTE_PGM_RSRC2:SCRATCH_EN: 0
; COMPUTE_PGM_RSRC2:USER_SGPR: 6
; COMPUTE_PGM_RSRC2:TRAP_HANDLER: 0
; COMPUTE_PGM_RSRC2:TGID_X_EN: 1
; COMPUTE_PGM_RSRC2:TGID_Y_EN: 0
; COMPUTE_PGM_RSRC2:TGID_Z_EN: 0
; COMPUTE_PGM_RSRC2:TIDIG_COMP_CNT: 0
	.section	.text._ZN7rocprim17ROCPRIM_400000_NS6detail17trampoline_kernelINS0_14default_configENS1_22reduce_config_selectorIN6thrust23THRUST_200600_302600_NS5tupleIblNS6_9null_typeES8_S8_S8_S8_S8_S8_S8_EEEEZNS1_11reduce_implILb1ES3_NS6_12zip_iteratorINS7_INS6_11hip_rocprim26transform_input_iterator_tIbPsNS6_6detail10functional5actorINSH_9compositeIJNSH_27transparent_binary_operatorINS6_8equal_toIvEEEENSI_INSH_8argumentILj0EEEEENSH_5valueIsEEEEEEEEENSD_19counting_iterator_tIlEES8_S8_S8_S8_S8_S8_S8_S8_EEEEPS9_S9_NSD_9__find_if7functorIS9_EEEE10hipError_tPvRmT1_T2_T3_mT4_P12ihipStream_tbEUlT_E0_NS1_11comp_targetILNS1_3genE2ELNS1_11target_archE906ELNS1_3gpuE6ELNS1_3repE0EEENS1_30default_config_static_selectorELNS0_4arch9wavefront6targetE1EEEvS17_,"axG",@progbits,_ZN7rocprim17ROCPRIM_400000_NS6detail17trampoline_kernelINS0_14default_configENS1_22reduce_config_selectorIN6thrust23THRUST_200600_302600_NS5tupleIblNS6_9null_typeES8_S8_S8_S8_S8_S8_S8_EEEEZNS1_11reduce_implILb1ES3_NS6_12zip_iteratorINS7_INS6_11hip_rocprim26transform_input_iterator_tIbPsNS6_6detail10functional5actorINSH_9compositeIJNSH_27transparent_binary_operatorINS6_8equal_toIvEEEENSI_INSH_8argumentILj0EEEEENSH_5valueIsEEEEEEEEENSD_19counting_iterator_tIlEES8_S8_S8_S8_S8_S8_S8_S8_EEEEPS9_S9_NSD_9__find_if7functorIS9_EEEE10hipError_tPvRmT1_T2_T3_mT4_P12ihipStream_tbEUlT_E0_NS1_11comp_targetILNS1_3genE2ELNS1_11target_archE906ELNS1_3gpuE6ELNS1_3repE0EEENS1_30default_config_static_selectorELNS0_4arch9wavefront6targetE1EEEvS17_,comdat
	.protected	_ZN7rocprim17ROCPRIM_400000_NS6detail17trampoline_kernelINS0_14default_configENS1_22reduce_config_selectorIN6thrust23THRUST_200600_302600_NS5tupleIblNS6_9null_typeES8_S8_S8_S8_S8_S8_S8_EEEEZNS1_11reduce_implILb1ES3_NS6_12zip_iteratorINS7_INS6_11hip_rocprim26transform_input_iterator_tIbPsNS6_6detail10functional5actorINSH_9compositeIJNSH_27transparent_binary_operatorINS6_8equal_toIvEEEENSI_INSH_8argumentILj0EEEEENSH_5valueIsEEEEEEEEENSD_19counting_iterator_tIlEES8_S8_S8_S8_S8_S8_S8_S8_EEEEPS9_S9_NSD_9__find_if7functorIS9_EEEE10hipError_tPvRmT1_T2_T3_mT4_P12ihipStream_tbEUlT_E0_NS1_11comp_targetILNS1_3genE2ELNS1_11target_archE906ELNS1_3gpuE6ELNS1_3repE0EEENS1_30default_config_static_selectorELNS0_4arch9wavefront6targetE1EEEvS17_ ; -- Begin function _ZN7rocprim17ROCPRIM_400000_NS6detail17trampoline_kernelINS0_14default_configENS1_22reduce_config_selectorIN6thrust23THRUST_200600_302600_NS5tupleIblNS6_9null_typeES8_S8_S8_S8_S8_S8_S8_EEEEZNS1_11reduce_implILb1ES3_NS6_12zip_iteratorINS7_INS6_11hip_rocprim26transform_input_iterator_tIbPsNS6_6detail10functional5actorINSH_9compositeIJNSH_27transparent_binary_operatorINS6_8equal_toIvEEEENSI_INSH_8argumentILj0EEEEENSH_5valueIsEEEEEEEEENSD_19counting_iterator_tIlEES8_S8_S8_S8_S8_S8_S8_S8_EEEEPS9_S9_NSD_9__find_if7functorIS9_EEEE10hipError_tPvRmT1_T2_T3_mT4_P12ihipStream_tbEUlT_E0_NS1_11comp_targetILNS1_3genE2ELNS1_11target_archE906ELNS1_3gpuE6ELNS1_3repE0EEENS1_30default_config_static_selectorELNS0_4arch9wavefront6targetE1EEEvS17_
	.globl	_ZN7rocprim17ROCPRIM_400000_NS6detail17trampoline_kernelINS0_14default_configENS1_22reduce_config_selectorIN6thrust23THRUST_200600_302600_NS5tupleIblNS6_9null_typeES8_S8_S8_S8_S8_S8_S8_EEEEZNS1_11reduce_implILb1ES3_NS6_12zip_iteratorINS7_INS6_11hip_rocprim26transform_input_iterator_tIbPsNS6_6detail10functional5actorINSH_9compositeIJNSH_27transparent_binary_operatorINS6_8equal_toIvEEEENSI_INSH_8argumentILj0EEEEENSH_5valueIsEEEEEEEEENSD_19counting_iterator_tIlEES8_S8_S8_S8_S8_S8_S8_S8_EEEEPS9_S9_NSD_9__find_if7functorIS9_EEEE10hipError_tPvRmT1_T2_T3_mT4_P12ihipStream_tbEUlT_E0_NS1_11comp_targetILNS1_3genE2ELNS1_11target_archE906ELNS1_3gpuE6ELNS1_3repE0EEENS1_30default_config_static_selectorELNS0_4arch9wavefront6targetE1EEEvS17_
	.p2align	8
	.type	_ZN7rocprim17ROCPRIM_400000_NS6detail17trampoline_kernelINS0_14default_configENS1_22reduce_config_selectorIN6thrust23THRUST_200600_302600_NS5tupleIblNS6_9null_typeES8_S8_S8_S8_S8_S8_S8_EEEEZNS1_11reduce_implILb1ES3_NS6_12zip_iteratorINS7_INS6_11hip_rocprim26transform_input_iterator_tIbPsNS6_6detail10functional5actorINSH_9compositeIJNSH_27transparent_binary_operatorINS6_8equal_toIvEEEENSI_INSH_8argumentILj0EEEEENSH_5valueIsEEEEEEEEENSD_19counting_iterator_tIlEES8_S8_S8_S8_S8_S8_S8_S8_EEEEPS9_S9_NSD_9__find_if7functorIS9_EEEE10hipError_tPvRmT1_T2_T3_mT4_P12ihipStream_tbEUlT_E0_NS1_11comp_targetILNS1_3genE2ELNS1_11target_archE906ELNS1_3gpuE6ELNS1_3repE0EEENS1_30default_config_static_selectorELNS0_4arch9wavefront6targetE1EEEvS17_,@function
_ZN7rocprim17ROCPRIM_400000_NS6detail17trampoline_kernelINS0_14default_configENS1_22reduce_config_selectorIN6thrust23THRUST_200600_302600_NS5tupleIblNS6_9null_typeES8_S8_S8_S8_S8_S8_S8_EEEEZNS1_11reduce_implILb1ES3_NS6_12zip_iteratorINS7_INS6_11hip_rocprim26transform_input_iterator_tIbPsNS6_6detail10functional5actorINSH_9compositeIJNSH_27transparent_binary_operatorINS6_8equal_toIvEEEENSI_INSH_8argumentILj0EEEEENSH_5valueIsEEEEEEEEENSD_19counting_iterator_tIlEES8_S8_S8_S8_S8_S8_S8_S8_EEEEPS9_S9_NSD_9__find_if7functorIS9_EEEE10hipError_tPvRmT1_T2_T3_mT4_P12ihipStream_tbEUlT_E0_NS1_11comp_targetILNS1_3genE2ELNS1_11target_archE906ELNS1_3gpuE6ELNS1_3repE0EEENS1_30default_config_static_selectorELNS0_4arch9wavefront6targetE1EEEvS17_: ; @_ZN7rocprim17ROCPRIM_400000_NS6detail17trampoline_kernelINS0_14default_configENS1_22reduce_config_selectorIN6thrust23THRUST_200600_302600_NS5tupleIblNS6_9null_typeES8_S8_S8_S8_S8_S8_S8_EEEEZNS1_11reduce_implILb1ES3_NS6_12zip_iteratorINS7_INS6_11hip_rocprim26transform_input_iterator_tIbPsNS6_6detail10functional5actorINSH_9compositeIJNSH_27transparent_binary_operatorINS6_8equal_toIvEEEENSI_INSH_8argumentILj0EEEEENSH_5valueIsEEEEEEEEENSD_19counting_iterator_tIlEES8_S8_S8_S8_S8_S8_S8_S8_EEEEPS9_S9_NSD_9__find_if7functorIS9_EEEE10hipError_tPvRmT1_T2_T3_mT4_P12ihipStream_tbEUlT_E0_NS1_11comp_targetILNS1_3genE2ELNS1_11target_archE906ELNS1_3gpuE6ELNS1_3repE0EEENS1_30default_config_static_selectorELNS0_4arch9wavefront6targetE1EEEvS17_
; %bb.0:
	s_load_dword s2, s[4:5], 0x8
	s_load_dwordx8 s[12:19], s[4:5], 0x10
	s_load_dwordx2 s[0:1], s[4:5], 0x0
	s_load_dwordx4 s[20:23], s[4:5], 0x30
	s_mov_b32 s27, 0
	s_waitcnt lgkmcnt(0)
	s_lshr_b32 s28, s2, 16
	s_lshl_b64 s[2:3], s[14:15], 1
	s_add_u32 s8, s0, s2
	s_addc_u32 s9, s1, s3
	s_lshl_b32 s26, s6, 8
	s_lshr_b64 s[0:1], s[16:17], 8
	s_lshl_b64 s[2:3], s[26:27], 1
	s_add_u32 s24, s8, s2
	s_addc_u32 s25, s9, s3
	s_add_u32 s2, s12, s26
	s_addc_u32 s3, s13, 0
	s_add_u32 s14, s2, s14
	s_mov_b32 s7, s27
	s_addc_u32 s15, s3, s15
	s_cmp_lg_u64 s[0:1], s[6:7]
	v_lshlrev_b32_e32 v9, 1, v0
	v_mbcnt_lo_u32_b32 v8, -1, 0
	s_cbranch_scc0 .LBB1510_10
; %bb.1:
	global_load_ushort v1, v9, s[24:25] offset:256
	global_load_ushort v2, v9, s[24:25]
	v_mov_b32_e32 v4, s15
	v_add_co_u32_e32 v6, vcc, s14, v0
	v_addc_co_u32_e32 v4, vcc, 0, v4, vcc
	v_add_co_u32_e32 v7, vcc, 0x80, v6
	v_addc_co_u32_e32 v10, vcc, 0, v4, vcc
	v_mbcnt_hi_u32_b32 v3, -1, v8
	v_lshlrev_b32_e32 v5, 2, v3
	v_or_b32_e32 v12, 0xfc, v5
	s_waitcnt vmcnt(1)
	v_cmp_eq_u16_e32 vcc, s28, v1
	s_waitcnt vmcnt(0)
	v_cmp_eq_u16_e64 s[0:1], s28, v2
	v_cndmask_b32_e64 v2, v10, v4, s[0:1]
	v_cndmask_b32_e64 v1, v7, v6, s[0:1]
	s_or_b64 s[0:1], s[0:1], vcc
	v_mov_b32_dpp v7, v2 quad_perm:[1,0,3,2] row_mask:0xf bank_mask:0xf bound_ctrl:1
	v_mov_b32_dpp v6, v1 quad_perm:[1,0,3,2] row_mask:0xf bank_mask:0xf bound_ctrl:1
	v_cndmask_b32_e64 v4, 0, 1, s[0:1]
	v_cmp_lt_i64_e32 vcc, v[1:2], v[6:7]
	s_and_b64 vcc, s[0:1], vcc
	v_mov_b32_dpp v10, v4 quad_perm:[1,0,3,2] row_mask:0xf bank_mask:0xf bound_ctrl:1
	v_and_b32_e32 v10, 1, v10
	v_cndmask_b32_e32 v6, v6, v1, vcc
	v_cndmask_b32_e32 v7, v7, v2, vcc
	v_cmp_eq_u32_e32 vcc, 1, v10
	v_cndmask_b32_e32 v2, v2, v7, vcc
	v_cndmask_b32_e32 v1, v1, v6, vcc
	v_cndmask_b32_e64 v4, v4, 1, vcc
	v_mov_b32_dpp v7, v2 quad_perm:[2,3,0,1] row_mask:0xf bank_mask:0xf bound_ctrl:1
	v_mov_b32_dpp v6, v1 quad_perm:[2,3,0,1] row_mask:0xf bank_mask:0xf bound_ctrl:1
	v_and_b32_e32 v11, 1, v4
	v_cmp_lt_i64_e64 s[0:1], v[1:2], v[6:7]
	v_mov_b32_dpp v10, v4 quad_perm:[2,3,0,1] row_mask:0xf bank_mask:0xf bound_ctrl:1
	v_cmp_eq_u32_e32 vcc, 1, v11
	v_and_b32_e32 v10, 1, v10
	s_and_b64 vcc, vcc, s[0:1]
	v_cmp_eq_u32_e64 s[2:3], 1, v10
	v_cndmask_b32_e32 v6, v6, v1, vcc
	v_cndmask_b32_e32 v7, v7, v2, vcc
	v_cndmask_b32_e64 v1, v1, v6, s[2:3]
	v_cndmask_b32_e64 v2, v2, v7, s[2:3]
	;; [unrolled: 1-line block ×3, first 2 shown]
	v_mov_b32_dpp v6, v1 row_ror:4 row_mask:0xf bank_mask:0xf bound_ctrl:1
	v_mov_b32_dpp v7, v2 row_ror:4 row_mask:0xf bank_mask:0xf bound_ctrl:1
	v_and_b32_e32 v11, 1, v4
	v_cmp_lt_i64_e64 s[2:3], v[1:2], v[6:7]
	v_mov_b32_dpp v10, v4 row_ror:4 row_mask:0xf bank_mask:0xf bound_ctrl:1
	v_cmp_eq_u32_e32 vcc, 1, v11
	v_and_b32_e32 v10, 1, v10
	s_and_b64 vcc, vcc, s[2:3]
	v_cmp_eq_u32_e64 s[0:1], 1, v10
	v_cndmask_b32_e32 v6, v6, v1, vcc
	v_cndmask_b32_e32 v7, v7, v2, vcc
	v_cndmask_b32_e64 v1, v1, v6, s[0:1]
	v_cndmask_b32_e64 v2, v2, v7, s[0:1]
	;; [unrolled: 1-line block ×3, first 2 shown]
	v_mov_b32_dpp v6, v1 row_ror:8 row_mask:0xf bank_mask:0xf bound_ctrl:1
	v_mov_b32_dpp v7, v2 row_ror:8 row_mask:0xf bank_mask:0xf bound_ctrl:1
	v_and_b32_e32 v11, 1, v4
	v_cmp_lt_i64_e64 s[2:3], v[1:2], v[6:7]
	v_mov_b32_dpp v10, v4 row_ror:8 row_mask:0xf bank_mask:0xf bound_ctrl:1
	v_cmp_eq_u32_e64 s[8:9], 1, v11
	v_and_b32_e32 v10, 1, v10
	s_and_b64 s[2:3], s[8:9], s[2:3]
	v_cmp_eq_u32_e64 s[10:11], 1, v10
	v_cndmask_b32_e64 v6, v6, v1, s[2:3]
	v_cndmask_b32_e64 v7, v7, v2, s[2:3]
	;; [unrolled: 1-line block ×5, first 2 shown]
	v_mov_b32_dpp v10, v4 row_bcast:15 row_mask:0xf bank_mask:0xf bound_ctrl:1
	v_mov_b32_dpp v6, v1 row_bcast:15 row_mask:0xf bank_mask:0xf bound_ctrl:1
	;; [unrolled: 1-line block ×3, first 2 shown]
	v_and_b32_e32 v11, 1, v4
	v_and_b32_e32 v10, 1, v10
	v_cmp_lt_i64_e64 s[2:3], v[1:2], v[6:7]
	v_cmp_eq_u32_e32 vcc, 1, v11
	v_cmp_eq_u32_e64 s[0:1], 1, v10
	v_cndmask_b32_e64 v4, v4, 1, s[0:1]
	s_and_b64 vcc, vcc, s[2:3]
	v_cndmask_b32_e32 v6, v6, v1, vcc
	v_mov_b32_dpp v10, v4 row_bcast:31 row_mask:0xf bank_mask:0xf bound_ctrl:1
	v_cndmask_b32_e32 v7, v7, v2, vcc
	v_and_b32_e32 v11, 1, v4
	v_and_b32_e32 v10, 1, v10
	v_cndmask_b32_e64 v1, v1, v6, s[0:1]
	v_cndmask_b32_e64 v2, v2, v7, s[0:1]
	v_cmp_eq_u32_e64 s[12:13], 1, v11
	v_cmp_eq_u32_e64 s[8:9], 1, v10
	v_mov_b32_dpp v10, v1 row_bcast:31 row_mask:0xf bank_mask:0xf bound_ctrl:1
	v_mov_b32_dpp v11, v2 row_bcast:31 row_mask:0xf bank_mask:0xf bound_ctrl:1
	v_cmp_lt_i64_e32 vcc, v[1:2], v[10:11]
	v_cndmask_b32_e64 v4, v4, 1, s[8:9]
	s_and_b64 vcc, s[12:13], vcc
	ds_bpermute_b32 v7, v12, v4
	v_cndmask_b32_e32 v4, v10, v1, vcc
	v_cndmask_b32_e32 v6, v11, v2, vcc
	v_cndmask_b32_e64 v1, v1, v4, s[8:9]
	v_cndmask_b32_e64 v2, v2, v6, s[8:9]
	ds_bpermute_b32 v1, v12, v1
	ds_bpermute_b32 v2, v12, v2
	v_cmp_eq_u32_e32 vcc, 0, v3
	s_and_saveexec_b64 s[0:1], vcc
	s_cbranch_execz .LBB1510_3
; %bb.2:
	v_lshrrev_b32_e32 v4, 2, v0
	v_and_b32_e32 v4, 16, v4
	s_waitcnt lgkmcnt(2)
	ds_write_b8 v4, v7
	s_waitcnt lgkmcnt(1)
	ds_write_b64 v4, v[1:2] offset:8
.LBB1510_3:
	s_or_b64 exec, exec, s[0:1]
	v_cmp_gt_u32_e32 vcc, 64, v0
	s_waitcnt lgkmcnt(0)
	s_barrier
	s_and_saveexec_b64 s[0:1], vcc
	s_cbranch_execz .LBB1510_9
; %bb.4:
	v_and_b32_e32 v1, 1, v3
	v_lshlrev_b32_e32 v1, 4, v1
	ds_read_u8 v10, v1
	ds_read_b64 v[3:4], v1 offset:8
	v_or_b32_e32 v2, 4, v5
	s_waitcnt lgkmcnt(1)
	v_and_b32_e32 v1, 0xff, v10
	ds_bpermute_b32 v11, v2, v1
	s_waitcnt lgkmcnt(1)
	ds_bpermute_b32 v5, v2, v3
	ds_bpermute_b32 v6, v2, v4
	s_waitcnt lgkmcnt(2)
	v_and_b32_e32 v1, v10, v11
	v_and_b32_e32 v1, 1, v1
	v_cmp_eq_u32_e32 vcc, 1, v1
                                        ; implicit-def: $vgpr1_vgpr2
	s_and_saveexec_b64 s[2:3], vcc
	s_xor_b64 s[2:3], exec, s[2:3]
	s_cbranch_execz .LBB1510_6
; %bb.5:
	s_waitcnt lgkmcnt(0)
	v_cmp_lt_i64_e32 vcc, v[5:6], v[3:4]
                                        ; implicit-def: $vgpr10
                                        ; implicit-def: $vgpr11
	v_cndmask_b32_e32 v2, v4, v6, vcc
	v_cndmask_b32_e32 v1, v3, v5, vcc
                                        ; implicit-def: $vgpr5_vgpr6
                                        ; implicit-def: $vgpr3_vgpr4
.LBB1510_6:
	s_or_saveexec_b64 s[2:3], s[2:3]
	v_mov_b32_e32 v7, 1
	s_xor_b64 exec, exec, s[2:3]
	s_cbranch_execz .LBB1510_8
; %bb.7:
	v_and_b32_e32 v1, 1, v10
	v_cmp_eq_u32_e32 vcc, 1, v1
	s_waitcnt lgkmcnt(0)
	v_cndmask_b32_e32 v2, v6, v4, vcc
	v_cndmask_b32_e32 v1, v5, v3, vcc
	v_cndmask_b32_e64 v7, v11, 1, vcc
.LBB1510_8:
	s_or_b64 exec, exec, s[2:3]
.LBB1510_9:
	s_or_b64 exec, exec, s[0:1]
	s_load_dword s10, s[4:5], 0x40
	s_load_dwordx2 s[8:9], s[4:5], 0x48
	s_branch .LBB1510_62
.LBB1510_10:
                                        ; implicit-def: $vgpr1_vgpr2
                                        ; implicit-def: $vgpr7
	s_load_dword s10, s[4:5], 0x40
	s_load_dwordx2 s[8:9], s[4:5], 0x48
	s_cbranch_execz .LBB1510_62
; %bb.11:
	s_sub_i32 s11, s16, s26
	v_mov_b32_e32 v3, 0
	v_mov_b32_e32 v1, 0
	v_cmp_gt_u32_e32 vcc, s11, v0
	s_waitcnt lgkmcnt(0)
	v_mov_b32_e32 v5, 0
	v_mov_b32_e32 v4, 0
	;; [unrolled: 1-line block ×4, first 2 shown]
	s_and_saveexec_b64 s[0:1], vcc
	s_cbranch_execz .LBB1510_13
; %bb.12:
	global_load_ushort v6, v9, s[24:25]
	v_mov_b32_e32 v2, s15
	v_add_co_u32_e32 v1, vcc, s14, v0
	v_addc_co_u32_e32 v2, vcc, 0, v2, vcc
	s_waitcnt vmcnt(0)
	v_cmp_eq_u16_e32 vcc, s28, v6
	v_cndmask_b32_e64 v6, 0, 1, vcc
.LBB1510_13:
	s_or_b64 exec, exec, s[0:1]
	v_or_b32_e32 v7, 0x80, v0
	v_cmp_gt_u32_e32 vcc, s11, v7
	s_and_saveexec_b64 s[2:3], vcc
	s_cbranch_execz .LBB1510_15
; %bb.14:
	global_load_ushort v5, v9, s[24:25] offset:256
	v_mov_b32_e32 v4, s15
	v_add_co_u32_e64 v3, s[0:1], s14, v7
	v_addc_co_u32_e64 v4, s[0:1], 0, v4, s[0:1]
	s_waitcnt vmcnt(0)
	v_cmp_eq_u16_e64 s[0:1], s28, v5
	v_cndmask_b32_e64 v5, 0, 1, s[0:1]
.LBB1510_15:
	s_or_b64 exec, exec, s[2:3]
	v_and_b32_e32 v9, 0xffff, v5
	v_and_b32_e32 v5, 1, v5
	v_cmp_eq_u32_e64 s[0:1], 1, v5
	v_and_b32_e32 v5, 1, v6
	v_cmp_lt_i64_e64 s[2:3], v[3:4], v[1:2]
	v_cmp_eq_u32_e64 s[4:5], 1, v5
	v_and_b32_e32 v7, 0xffff, v6
	v_cndmask_b32_e64 v5, v9, 1, s[4:5]
	s_and_b64 s[0:1], s[0:1], s[2:3]
	v_cndmask_b32_e64 v6, v2, v4, s[0:1]
	v_cndmask_b32_e64 v9, v1, v3, s[0:1]
	v_cndmask_b32_e32 v7, v7, v5, vcc
	v_mbcnt_hi_u32_b32 v5, -1, v8
	v_cndmask_b32_e64 v3, v3, v9, s[4:5]
	v_cndmask_b32_e64 v4, v4, v6, s[4:5]
	v_and_b32_e32 v6, 63, v5
	v_cndmask_b32_e32 v2, v2, v4, vcc
	v_cndmask_b32_e32 v1, v1, v3, vcc
	v_cmp_ne_u32_e32 vcc, 63, v6
	v_addc_co_u32_e32 v3, vcc, 0, v5, vcc
	v_lshlrev_b32_e32 v4, 2, v3
	ds_bpermute_b32 v9, v4, v7
	ds_bpermute_b32 v3, v4, v1
	;; [unrolled: 1-line block ×3, first 2 shown]
	s_min_u32 s4, s11, 0x80
	v_and_b32_e32 v8, 64, v0
	v_sub_u32_e64 v8, s4, v8 clamp
	v_add_u32_e32 v10, 1, v6
	v_cmp_lt_u32_e32 vcc, v10, v8
	s_and_saveexec_b64 s[0:1], vcc
	s_cbranch_execz .LBB1510_21
; %bb.16:
	s_waitcnt lgkmcnt(2)
	v_and_b32_e32 v10, v9, v7
	v_cmp_ne_u32_e32 vcc, 0, v10
	s_and_saveexec_b64 s[2:3], vcc
	s_xor_b64 s[2:3], exec, s[2:3]
	s_cbranch_execz .LBB1510_18
; %bb.17:
	s_waitcnt lgkmcnt(0)
	v_cmp_lt_i64_e32 vcc, v[3:4], v[1:2]
                                        ; implicit-def: $vgpr7
                                        ; implicit-def: $vgpr9
	v_cndmask_b32_e32 v2, v2, v4, vcc
	v_cndmask_b32_e32 v1, v1, v3, vcc
                                        ; implicit-def: $vgpr3_vgpr4
.LBB1510_18:
	s_or_saveexec_b64 s[2:3], s[2:3]
	v_mov_b32_e32 v10, 1
	s_xor_b64 exec, exec, s[2:3]
	s_cbranch_execz .LBB1510_20
; %bb.19:
	v_and_b32_e32 v7, 1, v7
	v_cmp_eq_u32_e32 vcc, 1, v7
	s_waitcnt lgkmcnt(1)
	v_cndmask_b32_e32 v1, v3, v1, vcc
	v_and_b32_e32 v3, 0xff, v9
	s_waitcnt lgkmcnt(0)
	v_cndmask_b32_e32 v2, v4, v2, vcc
	v_cndmask_b32_e64 v10, v3, 1, vcc
.LBB1510_20:
	s_or_b64 exec, exec, s[2:3]
	v_mov_b32_e32 v7, v10
.LBB1510_21:
	s_or_b64 exec, exec, s[0:1]
	v_cmp_gt_u32_e32 vcc, 62, v6
	s_waitcnt lgkmcnt(1)
	v_cndmask_b32_e64 v3, 0, 2, vcc
	s_waitcnt lgkmcnt(0)
	v_add_lshl_u32 v4, v3, v5, 2
	ds_bpermute_b32 v9, v4, v7
	ds_bpermute_b32 v3, v4, v1
	ds_bpermute_b32 v4, v4, v2
	v_add_u32_e32 v10, 2, v6
	v_cmp_lt_u32_e32 vcc, v10, v8
	s_and_saveexec_b64 s[0:1], vcc
	s_cbranch_execz .LBB1510_27
; %bb.22:
	s_waitcnt lgkmcnt(2)
	v_and_b32_e32 v10, v7, v9
	v_and_b32_e32 v10, 1, v10
	v_cmp_eq_u32_e32 vcc, 1, v10
	s_and_saveexec_b64 s[2:3], vcc
	s_xor_b64 s[2:3], exec, s[2:3]
	s_cbranch_execz .LBB1510_24
; %bb.23:
	s_waitcnt lgkmcnt(0)
	v_cmp_lt_i64_e32 vcc, v[3:4], v[1:2]
                                        ; implicit-def: $vgpr7
                                        ; implicit-def: $vgpr9
	v_cndmask_b32_e32 v2, v2, v4, vcc
	v_cndmask_b32_e32 v1, v1, v3, vcc
                                        ; implicit-def: $vgpr3_vgpr4
.LBB1510_24:
	s_or_saveexec_b64 s[2:3], s[2:3]
	v_mov_b32_e32 v10, 1
	s_xor_b64 exec, exec, s[2:3]
	s_cbranch_execz .LBB1510_26
; %bb.25:
	v_and_b32_e32 v7, 1, v7
	v_cmp_eq_u32_e32 vcc, 1, v7
	s_waitcnt lgkmcnt(1)
	v_cndmask_b32_e32 v1, v3, v1, vcc
	v_and_b32_e32 v3, 0xff, v9
	s_waitcnt lgkmcnt(0)
	v_cndmask_b32_e32 v2, v4, v2, vcc
	v_cndmask_b32_e64 v10, v3, 1, vcc
.LBB1510_26:
	s_or_b64 exec, exec, s[2:3]
	v_mov_b32_e32 v7, v10
.LBB1510_27:
	s_or_b64 exec, exec, s[0:1]
	v_cmp_gt_u32_e32 vcc, 60, v6
	s_waitcnt lgkmcnt(1)
	v_cndmask_b32_e64 v3, 0, 4, vcc
	s_waitcnt lgkmcnt(0)
	v_add_lshl_u32 v4, v3, v5, 2
	ds_bpermute_b32 v9, v4, v7
	ds_bpermute_b32 v3, v4, v1
	ds_bpermute_b32 v4, v4, v2
	v_add_u32_e32 v10, 4, v6
	v_cmp_lt_u32_e32 vcc, v10, v8
	s_and_saveexec_b64 s[0:1], vcc
	s_cbranch_execz .LBB1510_33
; %bb.28:
	s_waitcnt lgkmcnt(2)
	v_and_b32_e32 v10, v7, v9
	v_and_b32_e32 v10, 1, v10
	v_cmp_eq_u32_e32 vcc, 1, v10
	s_and_saveexec_b64 s[2:3], vcc
	s_xor_b64 s[2:3], exec, s[2:3]
	s_cbranch_execz .LBB1510_30
; %bb.29:
	s_waitcnt lgkmcnt(0)
	v_cmp_lt_i64_e32 vcc, v[3:4], v[1:2]
                                        ; implicit-def: $vgpr7
                                        ; implicit-def: $vgpr9
	v_cndmask_b32_e32 v2, v2, v4, vcc
	v_cndmask_b32_e32 v1, v1, v3, vcc
                                        ; implicit-def: $vgpr3_vgpr4
.LBB1510_30:
	s_or_saveexec_b64 s[2:3], s[2:3]
	v_mov_b32_e32 v10, 1
	s_xor_b64 exec, exec, s[2:3]
	s_cbranch_execz .LBB1510_32
; %bb.31:
	v_and_b32_e32 v7, 1, v7
	v_cmp_eq_u32_e32 vcc, 1, v7
	s_waitcnt lgkmcnt(1)
	v_cndmask_b32_e32 v1, v3, v1, vcc
	v_and_b32_e32 v3, 0xff, v9
	s_waitcnt lgkmcnt(0)
	v_cndmask_b32_e32 v2, v4, v2, vcc
	v_cndmask_b32_e64 v10, v3, 1, vcc
.LBB1510_32:
	s_or_b64 exec, exec, s[2:3]
	v_mov_b32_e32 v7, v10
.LBB1510_33:
	;; [unrolled: 47-line block ×4, first 2 shown]
	s_or_b64 exec, exec, s[0:1]
	s_waitcnt lgkmcnt(2)
	v_lshlrev_b32_e32 v9, 2, v5
	s_waitcnt lgkmcnt(0)
	v_or_b32_e32 v4, 0x80, v9
	ds_bpermute_b32 v10, v4, v7
	ds_bpermute_b32 v3, v4, v1
	ds_bpermute_b32 v4, v4, v2
	v_add_u32_e32 v6, 32, v6
	v_cmp_lt_u32_e32 vcc, v6, v8
	v_mov_b32_e32 v6, v7
	s_and_saveexec_b64 s[0:1], vcc
	s_cbranch_execz .LBB1510_51
; %bb.46:
	s_waitcnt lgkmcnt(2)
	v_and_b32_e32 v6, v7, v10
	v_and_b32_e32 v6, 1, v6
	v_cmp_eq_u32_e32 vcc, 1, v6
	s_and_saveexec_b64 s[2:3], vcc
	s_xor_b64 s[2:3], exec, s[2:3]
	s_cbranch_execz .LBB1510_48
; %bb.47:
	s_waitcnt lgkmcnt(0)
	v_cmp_lt_i64_e32 vcc, v[3:4], v[1:2]
                                        ; implicit-def: $vgpr7
                                        ; implicit-def: $vgpr10
	v_cndmask_b32_e32 v2, v2, v4, vcc
	v_cndmask_b32_e32 v1, v1, v3, vcc
                                        ; implicit-def: $vgpr3_vgpr4
.LBB1510_48:
	s_or_saveexec_b64 s[2:3], s[2:3]
	v_mov_b32_e32 v6, 1
	s_xor_b64 exec, exec, s[2:3]
	s_cbranch_execz .LBB1510_50
; %bb.49:
	v_and_b32_e32 v6, 1, v7
	v_cmp_eq_u32_e32 vcc, 1, v6
	v_cndmask_b32_e64 v6, v10, 1, vcc
	s_waitcnt lgkmcnt(0)
	v_cndmask_b32_e32 v2, v4, v2, vcc
	v_cndmask_b32_e32 v1, v3, v1, vcc
.LBB1510_50:
	s_or_b64 exec, exec, s[2:3]
	v_and_b32_e32 v7, 0xff, v6
.LBB1510_51:
	s_or_b64 exec, exec, s[0:1]
	v_cmp_eq_u32_e32 vcc, 0, v5
	s_and_saveexec_b64 s[0:1], vcc
	s_cbranch_execz .LBB1510_53
; %bb.52:
	s_waitcnt lgkmcnt(1)
	v_lshrrev_b32_e32 v3, 2, v0
	v_and_b32_e32 v3, 16, v3
	ds_write_b8 v3, v6 offset:32
	ds_write_b64 v3, v[1:2] offset:40
.LBB1510_53:
	s_or_b64 exec, exec, s[0:1]
	v_cmp_gt_u32_e32 vcc, 2, v0
	s_waitcnt lgkmcnt(0)
	s_barrier
	s_and_saveexec_b64 s[0:1], vcc
	s_cbranch_execz .LBB1510_61
; %bb.54:
	v_lshlrev_b32_e32 v1, 4, v5
	ds_read_u8 v6, v1 offset:32
	ds_read_b64 v[1:2], v1 offset:40
	v_or_b32_e32 v4, 4, v9
	s_add_i32 s4, s4, 63
	v_and_b32_e32 v5, 1, v5
	s_waitcnt lgkmcnt(1)
	v_and_b32_e32 v7, 0xff, v6
	s_waitcnt lgkmcnt(0)
	ds_bpermute_b32 v3, v4, v1
	ds_bpermute_b32 v8, v4, v7
	;; [unrolled: 1-line block ×3, first 2 shown]
	s_lshr_b32 s2, s4, 6
	v_add_u32_e32 v5, 1, v5
	v_cmp_gt_u32_e32 vcc, s2, v5
	s_and_saveexec_b64 s[2:3], vcc
	s_cbranch_execz .LBB1510_60
; %bb.55:
	s_waitcnt lgkmcnt(1)
	v_and_b32_e32 v5, v7, v8
	v_and_b32_e32 v5, 1, v5
	v_cmp_eq_u32_e32 vcc, 1, v5
	s_and_saveexec_b64 s[4:5], vcc
	s_xor_b64 s[4:5], exec, s[4:5]
	s_cbranch_execz .LBB1510_57
; %bb.56:
	s_waitcnt lgkmcnt(0)
	v_cmp_lt_i64_e32 vcc, v[3:4], v[1:2]
                                        ; implicit-def: $vgpr6
                                        ; implicit-def: $vgpr8
	v_cndmask_b32_e32 v2, v2, v4, vcc
	v_cndmask_b32_e32 v1, v1, v3, vcc
                                        ; implicit-def: $vgpr3_vgpr4
.LBB1510_57:
	s_or_saveexec_b64 s[4:5], s[4:5]
	v_mov_b32_e32 v7, 1
	s_xor_b64 exec, exec, s[4:5]
	s_cbranch_execz .LBB1510_59
; %bb.58:
	v_and_b32_e32 v5, 1, v6
	v_cmp_eq_u32_e32 vcc, 1, v5
	s_waitcnt lgkmcnt(0)
	v_cndmask_b32_e32 v2, v4, v2, vcc
	v_cndmask_b32_e32 v1, v3, v1, vcc
	v_cndmask_b32_e64 v7, v8, 1, vcc
.LBB1510_59:
	s_or_b64 exec, exec, s[4:5]
.LBB1510_60:
	s_or_b64 exec, exec, s[2:3]
.LBB1510_61:
	s_or_b64 exec, exec, s[0:1]
.LBB1510_62:
	v_cmp_eq_u32_e32 vcc, 0, v0
	s_and_saveexec_b64 s[0:1], vcc
	s_cbranch_execnz .LBB1510_64
; %bb.63:
	s_endpgm
.LBB1510_64:
	s_mul_i32 s0, s22, s21
	s_mul_hi_u32 s1, s22, s20
	s_add_i32 s0, s1, s0
	s_mul_i32 s1, s23, s20
	s_add_i32 s1, s0, s1
	s_mul_i32 s0, s22, s20
	s_lshl_b64 s[0:1], s[0:1], 4
	s_add_u32 s2, s18, s0
	s_addc_u32 s3, s19, s1
	s_cmp_eq_u64 s[16:17], 0
	s_waitcnt lgkmcnt(0)
	v_mov_b32_e32 v0, s9
	s_cselect_b64 vcc, -1, 0
	v_cndmask_b32_e32 v2, v2, v0, vcc
	v_mov_b32_e32 v0, s8
	s_lshl_b64 s[0:1], s[6:7], 4
	v_cndmask_b32_e32 v1, v1, v0, vcc
	v_mov_b32_e32 v0, s10
	s_add_u32 s0, s2, s0
	v_cndmask_b32_e32 v0, v7, v0, vcc
	s_addc_u32 s1, s3, s1
	v_mov_b32_e32 v3, 0
	global_store_byte v3, v0, s[0:1]
	global_store_dwordx2 v3, v[1:2], s[0:1] offset:8
	s_endpgm
	.section	.rodata,"a",@progbits
	.p2align	6, 0x0
	.amdhsa_kernel _ZN7rocprim17ROCPRIM_400000_NS6detail17trampoline_kernelINS0_14default_configENS1_22reduce_config_selectorIN6thrust23THRUST_200600_302600_NS5tupleIblNS6_9null_typeES8_S8_S8_S8_S8_S8_S8_EEEEZNS1_11reduce_implILb1ES3_NS6_12zip_iteratorINS7_INS6_11hip_rocprim26transform_input_iterator_tIbPsNS6_6detail10functional5actorINSH_9compositeIJNSH_27transparent_binary_operatorINS6_8equal_toIvEEEENSI_INSH_8argumentILj0EEEEENSH_5valueIsEEEEEEEEENSD_19counting_iterator_tIlEES8_S8_S8_S8_S8_S8_S8_S8_EEEEPS9_S9_NSD_9__find_if7functorIS9_EEEE10hipError_tPvRmT1_T2_T3_mT4_P12ihipStream_tbEUlT_E0_NS1_11comp_targetILNS1_3genE2ELNS1_11target_archE906ELNS1_3gpuE6ELNS1_3repE0EEENS1_30default_config_static_selectorELNS0_4arch9wavefront6targetE1EEEvS17_
		.amdhsa_group_segment_fixed_size 64
		.amdhsa_private_segment_fixed_size 0
		.amdhsa_kernarg_size 88
		.amdhsa_user_sgpr_count 6
		.amdhsa_user_sgpr_private_segment_buffer 1
		.amdhsa_user_sgpr_dispatch_ptr 0
		.amdhsa_user_sgpr_queue_ptr 0
		.amdhsa_user_sgpr_kernarg_segment_ptr 1
		.amdhsa_user_sgpr_dispatch_id 0
		.amdhsa_user_sgpr_flat_scratch_init 0
		.amdhsa_user_sgpr_private_segment_size 0
		.amdhsa_uses_dynamic_stack 0
		.amdhsa_system_sgpr_private_segment_wavefront_offset 0
		.amdhsa_system_sgpr_workgroup_id_x 1
		.amdhsa_system_sgpr_workgroup_id_y 0
		.amdhsa_system_sgpr_workgroup_id_z 0
		.amdhsa_system_sgpr_workgroup_info 0
		.amdhsa_system_vgpr_workitem_id 0
		.amdhsa_next_free_vgpr 13
		.amdhsa_next_free_sgpr 29
		.amdhsa_reserve_vcc 1
		.amdhsa_reserve_flat_scratch 0
		.amdhsa_float_round_mode_32 0
		.amdhsa_float_round_mode_16_64 0
		.amdhsa_float_denorm_mode_32 3
		.amdhsa_float_denorm_mode_16_64 3
		.amdhsa_dx10_clamp 1
		.amdhsa_ieee_mode 1
		.amdhsa_fp16_overflow 0
		.amdhsa_exception_fp_ieee_invalid_op 0
		.amdhsa_exception_fp_denorm_src 0
		.amdhsa_exception_fp_ieee_div_zero 0
		.amdhsa_exception_fp_ieee_overflow 0
		.amdhsa_exception_fp_ieee_underflow 0
		.amdhsa_exception_fp_ieee_inexact 0
		.amdhsa_exception_int_div_zero 0
	.end_amdhsa_kernel
	.section	.text._ZN7rocprim17ROCPRIM_400000_NS6detail17trampoline_kernelINS0_14default_configENS1_22reduce_config_selectorIN6thrust23THRUST_200600_302600_NS5tupleIblNS6_9null_typeES8_S8_S8_S8_S8_S8_S8_EEEEZNS1_11reduce_implILb1ES3_NS6_12zip_iteratorINS7_INS6_11hip_rocprim26transform_input_iterator_tIbPsNS6_6detail10functional5actorINSH_9compositeIJNSH_27transparent_binary_operatorINS6_8equal_toIvEEEENSI_INSH_8argumentILj0EEEEENSH_5valueIsEEEEEEEEENSD_19counting_iterator_tIlEES8_S8_S8_S8_S8_S8_S8_S8_EEEEPS9_S9_NSD_9__find_if7functorIS9_EEEE10hipError_tPvRmT1_T2_T3_mT4_P12ihipStream_tbEUlT_E0_NS1_11comp_targetILNS1_3genE2ELNS1_11target_archE906ELNS1_3gpuE6ELNS1_3repE0EEENS1_30default_config_static_selectorELNS0_4arch9wavefront6targetE1EEEvS17_,"axG",@progbits,_ZN7rocprim17ROCPRIM_400000_NS6detail17trampoline_kernelINS0_14default_configENS1_22reduce_config_selectorIN6thrust23THRUST_200600_302600_NS5tupleIblNS6_9null_typeES8_S8_S8_S8_S8_S8_S8_EEEEZNS1_11reduce_implILb1ES3_NS6_12zip_iteratorINS7_INS6_11hip_rocprim26transform_input_iterator_tIbPsNS6_6detail10functional5actorINSH_9compositeIJNSH_27transparent_binary_operatorINS6_8equal_toIvEEEENSI_INSH_8argumentILj0EEEEENSH_5valueIsEEEEEEEEENSD_19counting_iterator_tIlEES8_S8_S8_S8_S8_S8_S8_S8_EEEEPS9_S9_NSD_9__find_if7functorIS9_EEEE10hipError_tPvRmT1_T2_T3_mT4_P12ihipStream_tbEUlT_E0_NS1_11comp_targetILNS1_3genE2ELNS1_11target_archE906ELNS1_3gpuE6ELNS1_3repE0EEENS1_30default_config_static_selectorELNS0_4arch9wavefront6targetE1EEEvS17_,comdat
.Lfunc_end1510:
	.size	_ZN7rocprim17ROCPRIM_400000_NS6detail17trampoline_kernelINS0_14default_configENS1_22reduce_config_selectorIN6thrust23THRUST_200600_302600_NS5tupleIblNS6_9null_typeES8_S8_S8_S8_S8_S8_S8_EEEEZNS1_11reduce_implILb1ES3_NS6_12zip_iteratorINS7_INS6_11hip_rocprim26transform_input_iterator_tIbPsNS6_6detail10functional5actorINSH_9compositeIJNSH_27transparent_binary_operatorINS6_8equal_toIvEEEENSI_INSH_8argumentILj0EEEEENSH_5valueIsEEEEEEEEENSD_19counting_iterator_tIlEES8_S8_S8_S8_S8_S8_S8_S8_EEEEPS9_S9_NSD_9__find_if7functorIS9_EEEE10hipError_tPvRmT1_T2_T3_mT4_P12ihipStream_tbEUlT_E0_NS1_11comp_targetILNS1_3genE2ELNS1_11target_archE906ELNS1_3gpuE6ELNS1_3repE0EEENS1_30default_config_static_selectorELNS0_4arch9wavefront6targetE1EEEvS17_, .Lfunc_end1510-_ZN7rocprim17ROCPRIM_400000_NS6detail17trampoline_kernelINS0_14default_configENS1_22reduce_config_selectorIN6thrust23THRUST_200600_302600_NS5tupleIblNS6_9null_typeES8_S8_S8_S8_S8_S8_S8_EEEEZNS1_11reduce_implILb1ES3_NS6_12zip_iteratorINS7_INS6_11hip_rocprim26transform_input_iterator_tIbPsNS6_6detail10functional5actorINSH_9compositeIJNSH_27transparent_binary_operatorINS6_8equal_toIvEEEENSI_INSH_8argumentILj0EEEEENSH_5valueIsEEEEEEEEENSD_19counting_iterator_tIlEES8_S8_S8_S8_S8_S8_S8_S8_EEEEPS9_S9_NSD_9__find_if7functorIS9_EEEE10hipError_tPvRmT1_T2_T3_mT4_P12ihipStream_tbEUlT_E0_NS1_11comp_targetILNS1_3genE2ELNS1_11target_archE906ELNS1_3gpuE6ELNS1_3repE0EEENS1_30default_config_static_selectorELNS0_4arch9wavefront6targetE1EEEvS17_
                                        ; -- End function
	.set _ZN7rocprim17ROCPRIM_400000_NS6detail17trampoline_kernelINS0_14default_configENS1_22reduce_config_selectorIN6thrust23THRUST_200600_302600_NS5tupleIblNS6_9null_typeES8_S8_S8_S8_S8_S8_S8_EEEEZNS1_11reduce_implILb1ES3_NS6_12zip_iteratorINS7_INS6_11hip_rocprim26transform_input_iterator_tIbPsNS6_6detail10functional5actorINSH_9compositeIJNSH_27transparent_binary_operatorINS6_8equal_toIvEEEENSI_INSH_8argumentILj0EEEEENSH_5valueIsEEEEEEEEENSD_19counting_iterator_tIlEES8_S8_S8_S8_S8_S8_S8_S8_EEEEPS9_S9_NSD_9__find_if7functorIS9_EEEE10hipError_tPvRmT1_T2_T3_mT4_P12ihipStream_tbEUlT_E0_NS1_11comp_targetILNS1_3genE2ELNS1_11target_archE906ELNS1_3gpuE6ELNS1_3repE0EEENS1_30default_config_static_selectorELNS0_4arch9wavefront6targetE1EEEvS17_.num_vgpr, 13
	.set _ZN7rocprim17ROCPRIM_400000_NS6detail17trampoline_kernelINS0_14default_configENS1_22reduce_config_selectorIN6thrust23THRUST_200600_302600_NS5tupleIblNS6_9null_typeES8_S8_S8_S8_S8_S8_S8_EEEEZNS1_11reduce_implILb1ES3_NS6_12zip_iteratorINS7_INS6_11hip_rocprim26transform_input_iterator_tIbPsNS6_6detail10functional5actorINSH_9compositeIJNSH_27transparent_binary_operatorINS6_8equal_toIvEEEENSI_INSH_8argumentILj0EEEEENSH_5valueIsEEEEEEEEENSD_19counting_iterator_tIlEES8_S8_S8_S8_S8_S8_S8_S8_EEEEPS9_S9_NSD_9__find_if7functorIS9_EEEE10hipError_tPvRmT1_T2_T3_mT4_P12ihipStream_tbEUlT_E0_NS1_11comp_targetILNS1_3genE2ELNS1_11target_archE906ELNS1_3gpuE6ELNS1_3repE0EEENS1_30default_config_static_selectorELNS0_4arch9wavefront6targetE1EEEvS17_.num_agpr, 0
	.set _ZN7rocprim17ROCPRIM_400000_NS6detail17trampoline_kernelINS0_14default_configENS1_22reduce_config_selectorIN6thrust23THRUST_200600_302600_NS5tupleIblNS6_9null_typeES8_S8_S8_S8_S8_S8_S8_EEEEZNS1_11reduce_implILb1ES3_NS6_12zip_iteratorINS7_INS6_11hip_rocprim26transform_input_iterator_tIbPsNS6_6detail10functional5actorINSH_9compositeIJNSH_27transparent_binary_operatorINS6_8equal_toIvEEEENSI_INSH_8argumentILj0EEEEENSH_5valueIsEEEEEEEEENSD_19counting_iterator_tIlEES8_S8_S8_S8_S8_S8_S8_S8_EEEEPS9_S9_NSD_9__find_if7functorIS9_EEEE10hipError_tPvRmT1_T2_T3_mT4_P12ihipStream_tbEUlT_E0_NS1_11comp_targetILNS1_3genE2ELNS1_11target_archE906ELNS1_3gpuE6ELNS1_3repE0EEENS1_30default_config_static_selectorELNS0_4arch9wavefront6targetE1EEEvS17_.numbered_sgpr, 29
	.set _ZN7rocprim17ROCPRIM_400000_NS6detail17trampoline_kernelINS0_14default_configENS1_22reduce_config_selectorIN6thrust23THRUST_200600_302600_NS5tupleIblNS6_9null_typeES8_S8_S8_S8_S8_S8_S8_EEEEZNS1_11reduce_implILb1ES3_NS6_12zip_iteratorINS7_INS6_11hip_rocprim26transform_input_iterator_tIbPsNS6_6detail10functional5actorINSH_9compositeIJNSH_27transparent_binary_operatorINS6_8equal_toIvEEEENSI_INSH_8argumentILj0EEEEENSH_5valueIsEEEEEEEEENSD_19counting_iterator_tIlEES8_S8_S8_S8_S8_S8_S8_S8_EEEEPS9_S9_NSD_9__find_if7functorIS9_EEEE10hipError_tPvRmT1_T2_T3_mT4_P12ihipStream_tbEUlT_E0_NS1_11comp_targetILNS1_3genE2ELNS1_11target_archE906ELNS1_3gpuE6ELNS1_3repE0EEENS1_30default_config_static_selectorELNS0_4arch9wavefront6targetE1EEEvS17_.num_named_barrier, 0
	.set _ZN7rocprim17ROCPRIM_400000_NS6detail17trampoline_kernelINS0_14default_configENS1_22reduce_config_selectorIN6thrust23THRUST_200600_302600_NS5tupleIblNS6_9null_typeES8_S8_S8_S8_S8_S8_S8_EEEEZNS1_11reduce_implILb1ES3_NS6_12zip_iteratorINS7_INS6_11hip_rocprim26transform_input_iterator_tIbPsNS6_6detail10functional5actorINSH_9compositeIJNSH_27transparent_binary_operatorINS6_8equal_toIvEEEENSI_INSH_8argumentILj0EEEEENSH_5valueIsEEEEEEEEENSD_19counting_iterator_tIlEES8_S8_S8_S8_S8_S8_S8_S8_EEEEPS9_S9_NSD_9__find_if7functorIS9_EEEE10hipError_tPvRmT1_T2_T3_mT4_P12ihipStream_tbEUlT_E0_NS1_11comp_targetILNS1_3genE2ELNS1_11target_archE906ELNS1_3gpuE6ELNS1_3repE0EEENS1_30default_config_static_selectorELNS0_4arch9wavefront6targetE1EEEvS17_.private_seg_size, 0
	.set _ZN7rocprim17ROCPRIM_400000_NS6detail17trampoline_kernelINS0_14default_configENS1_22reduce_config_selectorIN6thrust23THRUST_200600_302600_NS5tupleIblNS6_9null_typeES8_S8_S8_S8_S8_S8_S8_EEEEZNS1_11reduce_implILb1ES3_NS6_12zip_iteratorINS7_INS6_11hip_rocprim26transform_input_iterator_tIbPsNS6_6detail10functional5actorINSH_9compositeIJNSH_27transparent_binary_operatorINS6_8equal_toIvEEEENSI_INSH_8argumentILj0EEEEENSH_5valueIsEEEEEEEEENSD_19counting_iterator_tIlEES8_S8_S8_S8_S8_S8_S8_S8_EEEEPS9_S9_NSD_9__find_if7functorIS9_EEEE10hipError_tPvRmT1_T2_T3_mT4_P12ihipStream_tbEUlT_E0_NS1_11comp_targetILNS1_3genE2ELNS1_11target_archE906ELNS1_3gpuE6ELNS1_3repE0EEENS1_30default_config_static_selectorELNS0_4arch9wavefront6targetE1EEEvS17_.uses_vcc, 1
	.set _ZN7rocprim17ROCPRIM_400000_NS6detail17trampoline_kernelINS0_14default_configENS1_22reduce_config_selectorIN6thrust23THRUST_200600_302600_NS5tupleIblNS6_9null_typeES8_S8_S8_S8_S8_S8_S8_EEEEZNS1_11reduce_implILb1ES3_NS6_12zip_iteratorINS7_INS6_11hip_rocprim26transform_input_iterator_tIbPsNS6_6detail10functional5actorINSH_9compositeIJNSH_27transparent_binary_operatorINS6_8equal_toIvEEEENSI_INSH_8argumentILj0EEEEENSH_5valueIsEEEEEEEEENSD_19counting_iterator_tIlEES8_S8_S8_S8_S8_S8_S8_S8_EEEEPS9_S9_NSD_9__find_if7functorIS9_EEEE10hipError_tPvRmT1_T2_T3_mT4_P12ihipStream_tbEUlT_E0_NS1_11comp_targetILNS1_3genE2ELNS1_11target_archE906ELNS1_3gpuE6ELNS1_3repE0EEENS1_30default_config_static_selectorELNS0_4arch9wavefront6targetE1EEEvS17_.uses_flat_scratch, 0
	.set _ZN7rocprim17ROCPRIM_400000_NS6detail17trampoline_kernelINS0_14default_configENS1_22reduce_config_selectorIN6thrust23THRUST_200600_302600_NS5tupleIblNS6_9null_typeES8_S8_S8_S8_S8_S8_S8_EEEEZNS1_11reduce_implILb1ES3_NS6_12zip_iteratorINS7_INS6_11hip_rocprim26transform_input_iterator_tIbPsNS6_6detail10functional5actorINSH_9compositeIJNSH_27transparent_binary_operatorINS6_8equal_toIvEEEENSI_INSH_8argumentILj0EEEEENSH_5valueIsEEEEEEEEENSD_19counting_iterator_tIlEES8_S8_S8_S8_S8_S8_S8_S8_EEEEPS9_S9_NSD_9__find_if7functorIS9_EEEE10hipError_tPvRmT1_T2_T3_mT4_P12ihipStream_tbEUlT_E0_NS1_11comp_targetILNS1_3genE2ELNS1_11target_archE906ELNS1_3gpuE6ELNS1_3repE0EEENS1_30default_config_static_selectorELNS0_4arch9wavefront6targetE1EEEvS17_.has_dyn_sized_stack, 0
	.set _ZN7rocprim17ROCPRIM_400000_NS6detail17trampoline_kernelINS0_14default_configENS1_22reduce_config_selectorIN6thrust23THRUST_200600_302600_NS5tupleIblNS6_9null_typeES8_S8_S8_S8_S8_S8_S8_EEEEZNS1_11reduce_implILb1ES3_NS6_12zip_iteratorINS7_INS6_11hip_rocprim26transform_input_iterator_tIbPsNS6_6detail10functional5actorINSH_9compositeIJNSH_27transparent_binary_operatorINS6_8equal_toIvEEEENSI_INSH_8argumentILj0EEEEENSH_5valueIsEEEEEEEEENSD_19counting_iterator_tIlEES8_S8_S8_S8_S8_S8_S8_S8_EEEEPS9_S9_NSD_9__find_if7functorIS9_EEEE10hipError_tPvRmT1_T2_T3_mT4_P12ihipStream_tbEUlT_E0_NS1_11comp_targetILNS1_3genE2ELNS1_11target_archE906ELNS1_3gpuE6ELNS1_3repE0EEENS1_30default_config_static_selectorELNS0_4arch9wavefront6targetE1EEEvS17_.has_recursion, 0
	.set _ZN7rocprim17ROCPRIM_400000_NS6detail17trampoline_kernelINS0_14default_configENS1_22reduce_config_selectorIN6thrust23THRUST_200600_302600_NS5tupleIblNS6_9null_typeES8_S8_S8_S8_S8_S8_S8_EEEEZNS1_11reduce_implILb1ES3_NS6_12zip_iteratorINS7_INS6_11hip_rocprim26transform_input_iterator_tIbPsNS6_6detail10functional5actorINSH_9compositeIJNSH_27transparent_binary_operatorINS6_8equal_toIvEEEENSI_INSH_8argumentILj0EEEEENSH_5valueIsEEEEEEEEENSD_19counting_iterator_tIlEES8_S8_S8_S8_S8_S8_S8_S8_EEEEPS9_S9_NSD_9__find_if7functorIS9_EEEE10hipError_tPvRmT1_T2_T3_mT4_P12ihipStream_tbEUlT_E0_NS1_11comp_targetILNS1_3genE2ELNS1_11target_archE906ELNS1_3gpuE6ELNS1_3repE0EEENS1_30default_config_static_selectorELNS0_4arch9wavefront6targetE1EEEvS17_.has_indirect_call, 0
	.section	.AMDGPU.csdata,"",@progbits
; Kernel info:
; codeLenInByte = 2756
; TotalNumSgprs: 33
; NumVgprs: 13
; ScratchSize: 0
; MemoryBound: 0
; FloatMode: 240
; IeeeMode: 1
; LDSByteSize: 64 bytes/workgroup (compile time only)
; SGPRBlocks: 4
; VGPRBlocks: 3
; NumSGPRsForWavesPerEU: 33
; NumVGPRsForWavesPerEU: 13
; Occupancy: 10
; WaveLimiterHint : 1
; COMPUTE_PGM_RSRC2:SCRATCH_EN: 0
; COMPUTE_PGM_RSRC2:USER_SGPR: 6
; COMPUTE_PGM_RSRC2:TRAP_HANDLER: 0
; COMPUTE_PGM_RSRC2:TGID_X_EN: 1
; COMPUTE_PGM_RSRC2:TGID_Y_EN: 0
; COMPUTE_PGM_RSRC2:TGID_Z_EN: 0
; COMPUTE_PGM_RSRC2:TIDIG_COMP_CNT: 0
	.section	.text._ZN7rocprim17ROCPRIM_400000_NS6detail17trampoline_kernelINS0_14default_configENS1_22reduce_config_selectorIN6thrust23THRUST_200600_302600_NS5tupleIblNS6_9null_typeES8_S8_S8_S8_S8_S8_S8_EEEEZNS1_11reduce_implILb1ES3_NS6_12zip_iteratorINS7_INS6_11hip_rocprim26transform_input_iterator_tIbPsNS6_6detail10functional5actorINSH_9compositeIJNSH_27transparent_binary_operatorINS6_8equal_toIvEEEENSI_INSH_8argumentILj0EEEEENSH_5valueIsEEEEEEEEENSD_19counting_iterator_tIlEES8_S8_S8_S8_S8_S8_S8_S8_EEEEPS9_S9_NSD_9__find_if7functorIS9_EEEE10hipError_tPvRmT1_T2_T3_mT4_P12ihipStream_tbEUlT_E0_NS1_11comp_targetILNS1_3genE10ELNS1_11target_archE1201ELNS1_3gpuE5ELNS1_3repE0EEENS1_30default_config_static_selectorELNS0_4arch9wavefront6targetE1EEEvS17_,"axG",@progbits,_ZN7rocprim17ROCPRIM_400000_NS6detail17trampoline_kernelINS0_14default_configENS1_22reduce_config_selectorIN6thrust23THRUST_200600_302600_NS5tupleIblNS6_9null_typeES8_S8_S8_S8_S8_S8_S8_EEEEZNS1_11reduce_implILb1ES3_NS6_12zip_iteratorINS7_INS6_11hip_rocprim26transform_input_iterator_tIbPsNS6_6detail10functional5actorINSH_9compositeIJNSH_27transparent_binary_operatorINS6_8equal_toIvEEEENSI_INSH_8argumentILj0EEEEENSH_5valueIsEEEEEEEEENSD_19counting_iterator_tIlEES8_S8_S8_S8_S8_S8_S8_S8_EEEEPS9_S9_NSD_9__find_if7functorIS9_EEEE10hipError_tPvRmT1_T2_T3_mT4_P12ihipStream_tbEUlT_E0_NS1_11comp_targetILNS1_3genE10ELNS1_11target_archE1201ELNS1_3gpuE5ELNS1_3repE0EEENS1_30default_config_static_selectorELNS0_4arch9wavefront6targetE1EEEvS17_,comdat
	.protected	_ZN7rocprim17ROCPRIM_400000_NS6detail17trampoline_kernelINS0_14default_configENS1_22reduce_config_selectorIN6thrust23THRUST_200600_302600_NS5tupleIblNS6_9null_typeES8_S8_S8_S8_S8_S8_S8_EEEEZNS1_11reduce_implILb1ES3_NS6_12zip_iteratorINS7_INS6_11hip_rocprim26transform_input_iterator_tIbPsNS6_6detail10functional5actorINSH_9compositeIJNSH_27transparent_binary_operatorINS6_8equal_toIvEEEENSI_INSH_8argumentILj0EEEEENSH_5valueIsEEEEEEEEENSD_19counting_iterator_tIlEES8_S8_S8_S8_S8_S8_S8_S8_EEEEPS9_S9_NSD_9__find_if7functorIS9_EEEE10hipError_tPvRmT1_T2_T3_mT4_P12ihipStream_tbEUlT_E0_NS1_11comp_targetILNS1_3genE10ELNS1_11target_archE1201ELNS1_3gpuE5ELNS1_3repE0EEENS1_30default_config_static_selectorELNS0_4arch9wavefront6targetE1EEEvS17_ ; -- Begin function _ZN7rocprim17ROCPRIM_400000_NS6detail17trampoline_kernelINS0_14default_configENS1_22reduce_config_selectorIN6thrust23THRUST_200600_302600_NS5tupleIblNS6_9null_typeES8_S8_S8_S8_S8_S8_S8_EEEEZNS1_11reduce_implILb1ES3_NS6_12zip_iteratorINS7_INS6_11hip_rocprim26transform_input_iterator_tIbPsNS6_6detail10functional5actorINSH_9compositeIJNSH_27transparent_binary_operatorINS6_8equal_toIvEEEENSI_INSH_8argumentILj0EEEEENSH_5valueIsEEEEEEEEENSD_19counting_iterator_tIlEES8_S8_S8_S8_S8_S8_S8_S8_EEEEPS9_S9_NSD_9__find_if7functorIS9_EEEE10hipError_tPvRmT1_T2_T3_mT4_P12ihipStream_tbEUlT_E0_NS1_11comp_targetILNS1_3genE10ELNS1_11target_archE1201ELNS1_3gpuE5ELNS1_3repE0EEENS1_30default_config_static_selectorELNS0_4arch9wavefront6targetE1EEEvS17_
	.globl	_ZN7rocprim17ROCPRIM_400000_NS6detail17trampoline_kernelINS0_14default_configENS1_22reduce_config_selectorIN6thrust23THRUST_200600_302600_NS5tupleIblNS6_9null_typeES8_S8_S8_S8_S8_S8_S8_EEEEZNS1_11reduce_implILb1ES3_NS6_12zip_iteratorINS7_INS6_11hip_rocprim26transform_input_iterator_tIbPsNS6_6detail10functional5actorINSH_9compositeIJNSH_27transparent_binary_operatorINS6_8equal_toIvEEEENSI_INSH_8argumentILj0EEEEENSH_5valueIsEEEEEEEEENSD_19counting_iterator_tIlEES8_S8_S8_S8_S8_S8_S8_S8_EEEEPS9_S9_NSD_9__find_if7functorIS9_EEEE10hipError_tPvRmT1_T2_T3_mT4_P12ihipStream_tbEUlT_E0_NS1_11comp_targetILNS1_3genE10ELNS1_11target_archE1201ELNS1_3gpuE5ELNS1_3repE0EEENS1_30default_config_static_selectorELNS0_4arch9wavefront6targetE1EEEvS17_
	.p2align	8
	.type	_ZN7rocprim17ROCPRIM_400000_NS6detail17trampoline_kernelINS0_14default_configENS1_22reduce_config_selectorIN6thrust23THRUST_200600_302600_NS5tupleIblNS6_9null_typeES8_S8_S8_S8_S8_S8_S8_EEEEZNS1_11reduce_implILb1ES3_NS6_12zip_iteratorINS7_INS6_11hip_rocprim26transform_input_iterator_tIbPsNS6_6detail10functional5actorINSH_9compositeIJNSH_27transparent_binary_operatorINS6_8equal_toIvEEEENSI_INSH_8argumentILj0EEEEENSH_5valueIsEEEEEEEEENSD_19counting_iterator_tIlEES8_S8_S8_S8_S8_S8_S8_S8_EEEEPS9_S9_NSD_9__find_if7functorIS9_EEEE10hipError_tPvRmT1_T2_T3_mT4_P12ihipStream_tbEUlT_E0_NS1_11comp_targetILNS1_3genE10ELNS1_11target_archE1201ELNS1_3gpuE5ELNS1_3repE0EEENS1_30default_config_static_selectorELNS0_4arch9wavefront6targetE1EEEvS17_,@function
_ZN7rocprim17ROCPRIM_400000_NS6detail17trampoline_kernelINS0_14default_configENS1_22reduce_config_selectorIN6thrust23THRUST_200600_302600_NS5tupleIblNS6_9null_typeES8_S8_S8_S8_S8_S8_S8_EEEEZNS1_11reduce_implILb1ES3_NS6_12zip_iteratorINS7_INS6_11hip_rocprim26transform_input_iterator_tIbPsNS6_6detail10functional5actorINSH_9compositeIJNSH_27transparent_binary_operatorINS6_8equal_toIvEEEENSI_INSH_8argumentILj0EEEEENSH_5valueIsEEEEEEEEENSD_19counting_iterator_tIlEES8_S8_S8_S8_S8_S8_S8_S8_EEEEPS9_S9_NSD_9__find_if7functorIS9_EEEE10hipError_tPvRmT1_T2_T3_mT4_P12ihipStream_tbEUlT_E0_NS1_11comp_targetILNS1_3genE10ELNS1_11target_archE1201ELNS1_3gpuE5ELNS1_3repE0EEENS1_30default_config_static_selectorELNS0_4arch9wavefront6targetE1EEEvS17_: ; @_ZN7rocprim17ROCPRIM_400000_NS6detail17trampoline_kernelINS0_14default_configENS1_22reduce_config_selectorIN6thrust23THRUST_200600_302600_NS5tupleIblNS6_9null_typeES8_S8_S8_S8_S8_S8_S8_EEEEZNS1_11reduce_implILb1ES3_NS6_12zip_iteratorINS7_INS6_11hip_rocprim26transform_input_iterator_tIbPsNS6_6detail10functional5actorINSH_9compositeIJNSH_27transparent_binary_operatorINS6_8equal_toIvEEEENSI_INSH_8argumentILj0EEEEENSH_5valueIsEEEEEEEEENSD_19counting_iterator_tIlEES8_S8_S8_S8_S8_S8_S8_S8_EEEEPS9_S9_NSD_9__find_if7functorIS9_EEEE10hipError_tPvRmT1_T2_T3_mT4_P12ihipStream_tbEUlT_E0_NS1_11comp_targetILNS1_3genE10ELNS1_11target_archE1201ELNS1_3gpuE5ELNS1_3repE0EEENS1_30default_config_static_selectorELNS0_4arch9wavefront6targetE1EEEvS17_
; %bb.0:
	.section	.rodata,"a",@progbits
	.p2align	6, 0x0
	.amdhsa_kernel _ZN7rocprim17ROCPRIM_400000_NS6detail17trampoline_kernelINS0_14default_configENS1_22reduce_config_selectorIN6thrust23THRUST_200600_302600_NS5tupleIblNS6_9null_typeES8_S8_S8_S8_S8_S8_S8_EEEEZNS1_11reduce_implILb1ES3_NS6_12zip_iteratorINS7_INS6_11hip_rocprim26transform_input_iterator_tIbPsNS6_6detail10functional5actorINSH_9compositeIJNSH_27transparent_binary_operatorINS6_8equal_toIvEEEENSI_INSH_8argumentILj0EEEEENSH_5valueIsEEEEEEEEENSD_19counting_iterator_tIlEES8_S8_S8_S8_S8_S8_S8_S8_EEEEPS9_S9_NSD_9__find_if7functorIS9_EEEE10hipError_tPvRmT1_T2_T3_mT4_P12ihipStream_tbEUlT_E0_NS1_11comp_targetILNS1_3genE10ELNS1_11target_archE1201ELNS1_3gpuE5ELNS1_3repE0EEENS1_30default_config_static_selectorELNS0_4arch9wavefront6targetE1EEEvS17_
		.amdhsa_group_segment_fixed_size 0
		.amdhsa_private_segment_fixed_size 0
		.amdhsa_kernarg_size 88
		.amdhsa_user_sgpr_count 6
		.amdhsa_user_sgpr_private_segment_buffer 1
		.amdhsa_user_sgpr_dispatch_ptr 0
		.amdhsa_user_sgpr_queue_ptr 0
		.amdhsa_user_sgpr_kernarg_segment_ptr 1
		.amdhsa_user_sgpr_dispatch_id 0
		.amdhsa_user_sgpr_flat_scratch_init 0
		.amdhsa_user_sgpr_private_segment_size 0
		.amdhsa_uses_dynamic_stack 0
		.amdhsa_system_sgpr_private_segment_wavefront_offset 0
		.amdhsa_system_sgpr_workgroup_id_x 1
		.amdhsa_system_sgpr_workgroup_id_y 0
		.amdhsa_system_sgpr_workgroup_id_z 0
		.amdhsa_system_sgpr_workgroup_info 0
		.amdhsa_system_vgpr_workitem_id 0
		.amdhsa_next_free_vgpr 1
		.amdhsa_next_free_sgpr 0
		.amdhsa_reserve_vcc 0
		.amdhsa_reserve_flat_scratch 0
		.amdhsa_float_round_mode_32 0
		.amdhsa_float_round_mode_16_64 0
		.amdhsa_float_denorm_mode_32 3
		.amdhsa_float_denorm_mode_16_64 3
		.amdhsa_dx10_clamp 1
		.amdhsa_ieee_mode 1
		.amdhsa_fp16_overflow 0
		.amdhsa_exception_fp_ieee_invalid_op 0
		.amdhsa_exception_fp_denorm_src 0
		.amdhsa_exception_fp_ieee_div_zero 0
		.amdhsa_exception_fp_ieee_overflow 0
		.amdhsa_exception_fp_ieee_underflow 0
		.amdhsa_exception_fp_ieee_inexact 0
		.amdhsa_exception_int_div_zero 0
	.end_amdhsa_kernel
	.section	.text._ZN7rocprim17ROCPRIM_400000_NS6detail17trampoline_kernelINS0_14default_configENS1_22reduce_config_selectorIN6thrust23THRUST_200600_302600_NS5tupleIblNS6_9null_typeES8_S8_S8_S8_S8_S8_S8_EEEEZNS1_11reduce_implILb1ES3_NS6_12zip_iteratorINS7_INS6_11hip_rocprim26transform_input_iterator_tIbPsNS6_6detail10functional5actorINSH_9compositeIJNSH_27transparent_binary_operatorINS6_8equal_toIvEEEENSI_INSH_8argumentILj0EEEEENSH_5valueIsEEEEEEEEENSD_19counting_iterator_tIlEES8_S8_S8_S8_S8_S8_S8_S8_EEEEPS9_S9_NSD_9__find_if7functorIS9_EEEE10hipError_tPvRmT1_T2_T3_mT4_P12ihipStream_tbEUlT_E0_NS1_11comp_targetILNS1_3genE10ELNS1_11target_archE1201ELNS1_3gpuE5ELNS1_3repE0EEENS1_30default_config_static_selectorELNS0_4arch9wavefront6targetE1EEEvS17_,"axG",@progbits,_ZN7rocprim17ROCPRIM_400000_NS6detail17trampoline_kernelINS0_14default_configENS1_22reduce_config_selectorIN6thrust23THRUST_200600_302600_NS5tupleIblNS6_9null_typeES8_S8_S8_S8_S8_S8_S8_EEEEZNS1_11reduce_implILb1ES3_NS6_12zip_iteratorINS7_INS6_11hip_rocprim26transform_input_iterator_tIbPsNS6_6detail10functional5actorINSH_9compositeIJNSH_27transparent_binary_operatorINS6_8equal_toIvEEEENSI_INSH_8argumentILj0EEEEENSH_5valueIsEEEEEEEEENSD_19counting_iterator_tIlEES8_S8_S8_S8_S8_S8_S8_S8_EEEEPS9_S9_NSD_9__find_if7functorIS9_EEEE10hipError_tPvRmT1_T2_T3_mT4_P12ihipStream_tbEUlT_E0_NS1_11comp_targetILNS1_3genE10ELNS1_11target_archE1201ELNS1_3gpuE5ELNS1_3repE0EEENS1_30default_config_static_selectorELNS0_4arch9wavefront6targetE1EEEvS17_,comdat
.Lfunc_end1511:
	.size	_ZN7rocprim17ROCPRIM_400000_NS6detail17trampoline_kernelINS0_14default_configENS1_22reduce_config_selectorIN6thrust23THRUST_200600_302600_NS5tupleIblNS6_9null_typeES8_S8_S8_S8_S8_S8_S8_EEEEZNS1_11reduce_implILb1ES3_NS6_12zip_iteratorINS7_INS6_11hip_rocprim26transform_input_iterator_tIbPsNS6_6detail10functional5actorINSH_9compositeIJNSH_27transparent_binary_operatorINS6_8equal_toIvEEEENSI_INSH_8argumentILj0EEEEENSH_5valueIsEEEEEEEEENSD_19counting_iterator_tIlEES8_S8_S8_S8_S8_S8_S8_S8_EEEEPS9_S9_NSD_9__find_if7functorIS9_EEEE10hipError_tPvRmT1_T2_T3_mT4_P12ihipStream_tbEUlT_E0_NS1_11comp_targetILNS1_3genE10ELNS1_11target_archE1201ELNS1_3gpuE5ELNS1_3repE0EEENS1_30default_config_static_selectorELNS0_4arch9wavefront6targetE1EEEvS17_, .Lfunc_end1511-_ZN7rocprim17ROCPRIM_400000_NS6detail17trampoline_kernelINS0_14default_configENS1_22reduce_config_selectorIN6thrust23THRUST_200600_302600_NS5tupleIblNS6_9null_typeES8_S8_S8_S8_S8_S8_S8_EEEEZNS1_11reduce_implILb1ES3_NS6_12zip_iteratorINS7_INS6_11hip_rocprim26transform_input_iterator_tIbPsNS6_6detail10functional5actorINSH_9compositeIJNSH_27transparent_binary_operatorINS6_8equal_toIvEEEENSI_INSH_8argumentILj0EEEEENSH_5valueIsEEEEEEEEENSD_19counting_iterator_tIlEES8_S8_S8_S8_S8_S8_S8_S8_EEEEPS9_S9_NSD_9__find_if7functorIS9_EEEE10hipError_tPvRmT1_T2_T3_mT4_P12ihipStream_tbEUlT_E0_NS1_11comp_targetILNS1_3genE10ELNS1_11target_archE1201ELNS1_3gpuE5ELNS1_3repE0EEENS1_30default_config_static_selectorELNS0_4arch9wavefront6targetE1EEEvS17_
                                        ; -- End function
	.set _ZN7rocprim17ROCPRIM_400000_NS6detail17trampoline_kernelINS0_14default_configENS1_22reduce_config_selectorIN6thrust23THRUST_200600_302600_NS5tupleIblNS6_9null_typeES8_S8_S8_S8_S8_S8_S8_EEEEZNS1_11reduce_implILb1ES3_NS6_12zip_iteratorINS7_INS6_11hip_rocprim26transform_input_iterator_tIbPsNS6_6detail10functional5actorINSH_9compositeIJNSH_27transparent_binary_operatorINS6_8equal_toIvEEEENSI_INSH_8argumentILj0EEEEENSH_5valueIsEEEEEEEEENSD_19counting_iterator_tIlEES8_S8_S8_S8_S8_S8_S8_S8_EEEEPS9_S9_NSD_9__find_if7functorIS9_EEEE10hipError_tPvRmT1_T2_T3_mT4_P12ihipStream_tbEUlT_E0_NS1_11comp_targetILNS1_3genE10ELNS1_11target_archE1201ELNS1_3gpuE5ELNS1_3repE0EEENS1_30default_config_static_selectorELNS0_4arch9wavefront6targetE1EEEvS17_.num_vgpr, 0
	.set _ZN7rocprim17ROCPRIM_400000_NS6detail17trampoline_kernelINS0_14default_configENS1_22reduce_config_selectorIN6thrust23THRUST_200600_302600_NS5tupleIblNS6_9null_typeES8_S8_S8_S8_S8_S8_S8_EEEEZNS1_11reduce_implILb1ES3_NS6_12zip_iteratorINS7_INS6_11hip_rocprim26transform_input_iterator_tIbPsNS6_6detail10functional5actorINSH_9compositeIJNSH_27transparent_binary_operatorINS6_8equal_toIvEEEENSI_INSH_8argumentILj0EEEEENSH_5valueIsEEEEEEEEENSD_19counting_iterator_tIlEES8_S8_S8_S8_S8_S8_S8_S8_EEEEPS9_S9_NSD_9__find_if7functorIS9_EEEE10hipError_tPvRmT1_T2_T3_mT4_P12ihipStream_tbEUlT_E0_NS1_11comp_targetILNS1_3genE10ELNS1_11target_archE1201ELNS1_3gpuE5ELNS1_3repE0EEENS1_30default_config_static_selectorELNS0_4arch9wavefront6targetE1EEEvS17_.num_agpr, 0
	.set _ZN7rocprim17ROCPRIM_400000_NS6detail17trampoline_kernelINS0_14default_configENS1_22reduce_config_selectorIN6thrust23THRUST_200600_302600_NS5tupleIblNS6_9null_typeES8_S8_S8_S8_S8_S8_S8_EEEEZNS1_11reduce_implILb1ES3_NS6_12zip_iteratorINS7_INS6_11hip_rocprim26transform_input_iterator_tIbPsNS6_6detail10functional5actorINSH_9compositeIJNSH_27transparent_binary_operatorINS6_8equal_toIvEEEENSI_INSH_8argumentILj0EEEEENSH_5valueIsEEEEEEEEENSD_19counting_iterator_tIlEES8_S8_S8_S8_S8_S8_S8_S8_EEEEPS9_S9_NSD_9__find_if7functorIS9_EEEE10hipError_tPvRmT1_T2_T3_mT4_P12ihipStream_tbEUlT_E0_NS1_11comp_targetILNS1_3genE10ELNS1_11target_archE1201ELNS1_3gpuE5ELNS1_3repE0EEENS1_30default_config_static_selectorELNS0_4arch9wavefront6targetE1EEEvS17_.numbered_sgpr, 0
	.set _ZN7rocprim17ROCPRIM_400000_NS6detail17trampoline_kernelINS0_14default_configENS1_22reduce_config_selectorIN6thrust23THRUST_200600_302600_NS5tupleIblNS6_9null_typeES8_S8_S8_S8_S8_S8_S8_EEEEZNS1_11reduce_implILb1ES3_NS6_12zip_iteratorINS7_INS6_11hip_rocprim26transform_input_iterator_tIbPsNS6_6detail10functional5actorINSH_9compositeIJNSH_27transparent_binary_operatorINS6_8equal_toIvEEEENSI_INSH_8argumentILj0EEEEENSH_5valueIsEEEEEEEEENSD_19counting_iterator_tIlEES8_S8_S8_S8_S8_S8_S8_S8_EEEEPS9_S9_NSD_9__find_if7functorIS9_EEEE10hipError_tPvRmT1_T2_T3_mT4_P12ihipStream_tbEUlT_E0_NS1_11comp_targetILNS1_3genE10ELNS1_11target_archE1201ELNS1_3gpuE5ELNS1_3repE0EEENS1_30default_config_static_selectorELNS0_4arch9wavefront6targetE1EEEvS17_.num_named_barrier, 0
	.set _ZN7rocprim17ROCPRIM_400000_NS6detail17trampoline_kernelINS0_14default_configENS1_22reduce_config_selectorIN6thrust23THRUST_200600_302600_NS5tupleIblNS6_9null_typeES8_S8_S8_S8_S8_S8_S8_EEEEZNS1_11reduce_implILb1ES3_NS6_12zip_iteratorINS7_INS6_11hip_rocprim26transform_input_iterator_tIbPsNS6_6detail10functional5actorINSH_9compositeIJNSH_27transparent_binary_operatorINS6_8equal_toIvEEEENSI_INSH_8argumentILj0EEEEENSH_5valueIsEEEEEEEEENSD_19counting_iterator_tIlEES8_S8_S8_S8_S8_S8_S8_S8_EEEEPS9_S9_NSD_9__find_if7functorIS9_EEEE10hipError_tPvRmT1_T2_T3_mT4_P12ihipStream_tbEUlT_E0_NS1_11comp_targetILNS1_3genE10ELNS1_11target_archE1201ELNS1_3gpuE5ELNS1_3repE0EEENS1_30default_config_static_selectorELNS0_4arch9wavefront6targetE1EEEvS17_.private_seg_size, 0
	.set _ZN7rocprim17ROCPRIM_400000_NS6detail17trampoline_kernelINS0_14default_configENS1_22reduce_config_selectorIN6thrust23THRUST_200600_302600_NS5tupleIblNS6_9null_typeES8_S8_S8_S8_S8_S8_S8_EEEEZNS1_11reduce_implILb1ES3_NS6_12zip_iteratorINS7_INS6_11hip_rocprim26transform_input_iterator_tIbPsNS6_6detail10functional5actorINSH_9compositeIJNSH_27transparent_binary_operatorINS6_8equal_toIvEEEENSI_INSH_8argumentILj0EEEEENSH_5valueIsEEEEEEEEENSD_19counting_iterator_tIlEES8_S8_S8_S8_S8_S8_S8_S8_EEEEPS9_S9_NSD_9__find_if7functorIS9_EEEE10hipError_tPvRmT1_T2_T3_mT4_P12ihipStream_tbEUlT_E0_NS1_11comp_targetILNS1_3genE10ELNS1_11target_archE1201ELNS1_3gpuE5ELNS1_3repE0EEENS1_30default_config_static_selectorELNS0_4arch9wavefront6targetE1EEEvS17_.uses_vcc, 0
	.set _ZN7rocprim17ROCPRIM_400000_NS6detail17trampoline_kernelINS0_14default_configENS1_22reduce_config_selectorIN6thrust23THRUST_200600_302600_NS5tupleIblNS6_9null_typeES8_S8_S8_S8_S8_S8_S8_EEEEZNS1_11reduce_implILb1ES3_NS6_12zip_iteratorINS7_INS6_11hip_rocprim26transform_input_iterator_tIbPsNS6_6detail10functional5actorINSH_9compositeIJNSH_27transparent_binary_operatorINS6_8equal_toIvEEEENSI_INSH_8argumentILj0EEEEENSH_5valueIsEEEEEEEEENSD_19counting_iterator_tIlEES8_S8_S8_S8_S8_S8_S8_S8_EEEEPS9_S9_NSD_9__find_if7functorIS9_EEEE10hipError_tPvRmT1_T2_T3_mT4_P12ihipStream_tbEUlT_E0_NS1_11comp_targetILNS1_3genE10ELNS1_11target_archE1201ELNS1_3gpuE5ELNS1_3repE0EEENS1_30default_config_static_selectorELNS0_4arch9wavefront6targetE1EEEvS17_.uses_flat_scratch, 0
	.set _ZN7rocprim17ROCPRIM_400000_NS6detail17trampoline_kernelINS0_14default_configENS1_22reduce_config_selectorIN6thrust23THRUST_200600_302600_NS5tupleIblNS6_9null_typeES8_S8_S8_S8_S8_S8_S8_EEEEZNS1_11reduce_implILb1ES3_NS6_12zip_iteratorINS7_INS6_11hip_rocprim26transform_input_iterator_tIbPsNS6_6detail10functional5actorINSH_9compositeIJNSH_27transparent_binary_operatorINS6_8equal_toIvEEEENSI_INSH_8argumentILj0EEEEENSH_5valueIsEEEEEEEEENSD_19counting_iterator_tIlEES8_S8_S8_S8_S8_S8_S8_S8_EEEEPS9_S9_NSD_9__find_if7functorIS9_EEEE10hipError_tPvRmT1_T2_T3_mT4_P12ihipStream_tbEUlT_E0_NS1_11comp_targetILNS1_3genE10ELNS1_11target_archE1201ELNS1_3gpuE5ELNS1_3repE0EEENS1_30default_config_static_selectorELNS0_4arch9wavefront6targetE1EEEvS17_.has_dyn_sized_stack, 0
	.set _ZN7rocprim17ROCPRIM_400000_NS6detail17trampoline_kernelINS0_14default_configENS1_22reduce_config_selectorIN6thrust23THRUST_200600_302600_NS5tupleIblNS6_9null_typeES8_S8_S8_S8_S8_S8_S8_EEEEZNS1_11reduce_implILb1ES3_NS6_12zip_iteratorINS7_INS6_11hip_rocprim26transform_input_iterator_tIbPsNS6_6detail10functional5actorINSH_9compositeIJNSH_27transparent_binary_operatorINS6_8equal_toIvEEEENSI_INSH_8argumentILj0EEEEENSH_5valueIsEEEEEEEEENSD_19counting_iterator_tIlEES8_S8_S8_S8_S8_S8_S8_S8_EEEEPS9_S9_NSD_9__find_if7functorIS9_EEEE10hipError_tPvRmT1_T2_T3_mT4_P12ihipStream_tbEUlT_E0_NS1_11comp_targetILNS1_3genE10ELNS1_11target_archE1201ELNS1_3gpuE5ELNS1_3repE0EEENS1_30default_config_static_selectorELNS0_4arch9wavefront6targetE1EEEvS17_.has_recursion, 0
	.set _ZN7rocprim17ROCPRIM_400000_NS6detail17trampoline_kernelINS0_14default_configENS1_22reduce_config_selectorIN6thrust23THRUST_200600_302600_NS5tupleIblNS6_9null_typeES8_S8_S8_S8_S8_S8_S8_EEEEZNS1_11reduce_implILb1ES3_NS6_12zip_iteratorINS7_INS6_11hip_rocprim26transform_input_iterator_tIbPsNS6_6detail10functional5actorINSH_9compositeIJNSH_27transparent_binary_operatorINS6_8equal_toIvEEEENSI_INSH_8argumentILj0EEEEENSH_5valueIsEEEEEEEEENSD_19counting_iterator_tIlEES8_S8_S8_S8_S8_S8_S8_S8_EEEEPS9_S9_NSD_9__find_if7functorIS9_EEEE10hipError_tPvRmT1_T2_T3_mT4_P12ihipStream_tbEUlT_E0_NS1_11comp_targetILNS1_3genE10ELNS1_11target_archE1201ELNS1_3gpuE5ELNS1_3repE0EEENS1_30default_config_static_selectorELNS0_4arch9wavefront6targetE1EEEvS17_.has_indirect_call, 0
	.section	.AMDGPU.csdata,"",@progbits
; Kernel info:
; codeLenInByte = 0
; TotalNumSgprs: 4
; NumVgprs: 0
; ScratchSize: 0
; MemoryBound: 0
; FloatMode: 240
; IeeeMode: 1
; LDSByteSize: 0 bytes/workgroup (compile time only)
; SGPRBlocks: 0
; VGPRBlocks: 0
; NumSGPRsForWavesPerEU: 4
; NumVGPRsForWavesPerEU: 1
; Occupancy: 10
; WaveLimiterHint : 0
; COMPUTE_PGM_RSRC2:SCRATCH_EN: 0
; COMPUTE_PGM_RSRC2:USER_SGPR: 6
; COMPUTE_PGM_RSRC2:TRAP_HANDLER: 0
; COMPUTE_PGM_RSRC2:TGID_X_EN: 1
; COMPUTE_PGM_RSRC2:TGID_Y_EN: 0
; COMPUTE_PGM_RSRC2:TGID_Z_EN: 0
; COMPUTE_PGM_RSRC2:TIDIG_COMP_CNT: 0
	.section	.text._ZN7rocprim17ROCPRIM_400000_NS6detail17trampoline_kernelINS0_14default_configENS1_22reduce_config_selectorIN6thrust23THRUST_200600_302600_NS5tupleIblNS6_9null_typeES8_S8_S8_S8_S8_S8_S8_EEEEZNS1_11reduce_implILb1ES3_NS6_12zip_iteratorINS7_INS6_11hip_rocprim26transform_input_iterator_tIbPsNS6_6detail10functional5actorINSH_9compositeIJNSH_27transparent_binary_operatorINS6_8equal_toIvEEEENSI_INSH_8argumentILj0EEEEENSH_5valueIsEEEEEEEEENSD_19counting_iterator_tIlEES8_S8_S8_S8_S8_S8_S8_S8_EEEEPS9_S9_NSD_9__find_if7functorIS9_EEEE10hipError_tPvRmT1_T2_T3_mT4_P12ihipStream_tbEUlT_E0_NS1_11comp_targetILNS1_3genE10ELNS1_11target_archE1200ELNS1_3gpuE4ELNS1_3repE0EEENS1_30default_config_static_selectorELNS0_4arch9wavefront6targetE1EEEvS17_,"axG",@progbits,_ZN7rocprim17ROCPRIM_400000_NS6detail17trampoline_kernelINS0_14default_configENS1_22reduce_config_selectorIN6thrust23THRUST_200600_302600_NS5tupleIblNS6_9null_typeES8_S8_S8_S8_S8_S8_S8_EEEEZNS1_11reduce_implILb1ES3_NS6_12zip_iteratorINS7_INS6_11hip_rocprim26transform_input_iterator_tIbPsNS6_6detail10functional5actorINSH_9compositeIJNSH_27transparent_binary_operatorINS6_8equal_toIvEEEENSI_INSH_8argumentILj0EEEEENSH_5valueIsEEEEEEEEENSD_19counting_iterator_tIlEES8_S8_S8_S8_S8_S8_S8_S8_EEEEPS9_S9_NSD_9__find_if7functorIS9_EEEE10hipError_tPvRmT1_T2_T3_mT4_P12ihipStream_tbEUlT_E0_NS1_11comp_targetILNS1_3genE10ELNS1_11target_archE1200ELNS1_3gpuE4ELNS1_3repE0EEENS1_30default_config_static_selectorELNS0_4arch9wavefront6targetE1EEEvS17_,comdat
	.protected	_ZN7rocprim17ROCPRIM_400000_NS6detail17trampoline_kernelINS0_14default_configENS1_22reduce_config_selectorIN6thrust23THRUST_200600_302600_NS5tupleIblNS6_9null_typeES8_S8_S8_S8_S8_S8_S8_EEEEZNS1_11reduce_implILb1ES3_NS6_12zip_iteratorINS7_INS6_11hip_rocprim26transform_input_iterator_tIbPsNS6_6detail10functional5actorINSH_9compositeIJNSH_27transparent_binary_operatorINS6_8equal_toIvEEEENSI_INSH_8argumentILj0EEEEENSH_5valueIsEEEEEEEEENSD_19counting_iterator_tIlEES8_S8_S8_S8_S8_S8_S8_S8_EEEEPS9_S9_NSD_9__find_if7functorIS9_EEEE10hipError_tPvRmT1_T2_T3_mT4_P12ihipStream_tbEUlT_E0_NS1_11comp_targetILNS1_3genE10ELNS1_11target_archE1200ELNS1_3gpuE4ELNS1_3repE0EEENS1_30default_config_static_selectorELNS0_4arch9wavefront6targetE1EEEvS17_ ; -- Begin function _ZN7rocprim17ROCPRIM_400000_NS6detail17trampoline_kernelINS0_14default_configENS1_22reduce_config_selectorIN6thrust23THRUST_200600_302600_NS5tupleIblNS6_9null_typeES8_S8_S8_S8_S8_S8_S8_EEEEZNS1_11reduce_implILb1ES3_NS6_12zip_iteratorINS7_INS6_11hip_rocprim26transform_input_iterator_tIbPsNS6_6detail10functional5actorINSH_9compositeIJNSH_27transparent_binary_operatorINS6_8equal_toIvEEEENSI_INSH_8argumentILj0EEEEENSH_5valueIsEEEEEEEEENSD_19counting_iterator_tIlEES8_S8_S8_S8_S8_S8_S8_S8_EEEEPS9_S9_NSD_9__find_if7functorIS9_EEEE10hipError_tPvRmT1_T2_T3_mT4_P12ihipStream_tbEUlT_E0_NS1_11comp_targetILNS1_3genE10ELNS1_11target_archE1200ELNS1_3gpuE4ELNS1_3repE0EEENS1_30default_config_static_selectorELNS0_4arch9wavefront6targetE1EEEvS17_
	.globl	_ZN7rocprim17ROCPRIM_400000_NS6detail17trampoline_kernelINS0_14default_configENS1_22reduce_config_selectorIN6thrust23THRUST_200600_302600_NS5tupleIblNS6_9null_typeES8_S8_S8_S8_S8_S8_S8_EEEEZNS1_11reduce_implILb1ES3_NS6_12zip_iteratorINS7_INS6_11hip_rocprim26transform_input_iterator_tIbPsNS6_6detail10functional5actorINSH_9compositeIJNSH_27transparent_binary_operatorINS6_8equal_toIvEEEENSI_INSH_8argumentILj0EEEEENSH_5valueIsEEEEEEEEENSD_19counting_iterator_tIlEES8_S8_S8_S8_S8_S8_S8_S8_EEEEPS9_S9_NSD_9__find_if7functorIS9_EEEE10hipError_tPvRmT1_T2_T3_mT4_P12ihipStream_tbEUlT_E0_NS1_11comp_targetILNS1_3genE10ELNS1_11target_archE1200ELNS1_3gpuE4ELNS1_3repE0EEENS1_30default_config_static_selectorELNS0_4arch9wavefront6targetE1EEEvS17_
	.p2align	8
	.type	_ZN7rocprim17ROCPRIM_400000_NS6detail17trampoline_kernelINS0_14default_configENS1_22reduce_config_selectorIN6thrust23THRUST_200600_302600_NS5tupleIblNS6_9null_typeES8_S8_S8_S8_S8_S8_S8_EEEEZNS1_11reduce_implILb1ES3_NS6_12zip_iteratorINS7_INS6_11hip_rocprim26transform_input_iterator_tIbPsNS6_6detail10functional5actorINSH_9compositeIJNSH_27transparent_binary_operatorINS6_8equal_toIvEEEENSI_INSH_8argumentILj0EEEEENSH_5valueIsEEEEEEEEENSD_19counting_iterator_tIlEES8_S8_S8_S8_S8_S8_S8_S8_EEEEPS9_S9_NSD_9__find_if7functorIS9_EEEE10hipError_tPvRmT1_T2_T3_mT4_P12ihipStream_tbEUlT_E0_NS1_11comp_targetILNS1_3genE10ELNS1_11target_archE1200ELNS1_3gpuE4ELNS1_3repE0EEENS1_30default_config_static_selectorELNS0_4arch9wavefront6targetE1EEEvS17_,@function
_ZN7rocprim17ROCPRIM_400000_NS6detail17trampoline_kernelINS0_14default_configENS1_22reduce_config_selectorIN6thrust23THRUST_200600_302600_NS5tupleIblNS6_9null_typeES8_S8_S8_S8_S8_S8_S8_EEEEZNS1_11reduce_implILb1ES3_NS6_12zip_iteratorINS7_INS6_11hip_rocprim26transform_input_iterator_tIbPsNS6_6detail10functional5actorINSH_9compositeIJNSH_27transparent_binary_operatorINS6_8equal_toIvEEEENSI_INSH_8argumentILj0EEEEENSH_5valueIsEEEEEEEEENSD_19counting_iterator_tIlEES8_S8_S8_S8_S8_S8_S8_S8_EEEEPS9_S9_NSD_9__find_if7functorIS9_EEEE10hipError_tPvRmT1_T2_T3_mT4_P12ihipStream_tbEUlT_E0_NS1_11comp_targetILNS1_3genE10ELNS1_11target_archE1200ELNS1_3gpuE4ELNS1_3repE0EEENS1_30default_config_static_selectorELNS0_4arch9wavefront6targetE1EEEvS17_: ; @_ZN7rocprim17ROCPRIM_400000_NS6detail17trampoline_kernelINS0_14default_configENS1_22reduce_config_selectorIN6thrust23THRUST_200600_302600_NS5tupleIblNS6_9null_typeES8_S8_S8_S8_S8_S8_S8_EEEEZNS1_11reduce_implILb1ES3_NS6_12zip_iteratorINS7_INS6_11hip_rocprim26transform_input_iterator_tIbPsNS6_6detail10functional5actorINSH_9compositeIJNSH_27transparent_binary_operatorINS6_8equal_toIvEEEENSI_INSH_8argumentILj0EEEEENSH_5valueIsEEEEEEEEENSD_19counting_iterator_tIlEES8_S8_S8_S8_S8_S8_S8_S8_EEEEPS9_S9_NSD_9__find_if7functorIS9_EEEE10hipError_tPvRmT1_T2_T3_mT4_P12ihipStream_tbEUlT_E0_NS1_11comp_targetILNS1_3genE10ELNS1_11target_archE1200ELNS1_3gpuE4ELNS1_3repE0EEENS1_30default_config_static_selectorELNS0_4arch9wavefront6targetE1EEEvS17_
; %bb.0:
	.section	.rodata,"a",@progbits
	.p2align	6, 0x0
	.amdhsa_kernel _ZN7rocprim17ROCPRIM_400000_NS6detail17trampoline_kernelINS0_14default_configENS1_22reduce_config_selectorIN6thrust23THRUST_200600_302600_NS5tupleIblNS6_9null_typeES8_S8_S8_S8_S8_S8_S8_EEEEZNS1_11reduce_implILb1ES3_NS6_12zip_iteratorINS7_INS6_11hip_rocprim26transform_input_iterator_tIbPsNS6_6detail10functional5actorINSH_9compositeIJNSH_27transparent_binary_operatorINS6_8equal_toIvEEEENSI_INSH_8argumentILj0EEEEENSH_5valueIsEEEEEEEEENSD_19counting_iterator_tIlEES8_S8_S8_S8_S8_S8_S8_S8_EEEEPS9_S9_NSD_9__find_if7functorIS9_EEEE10hipError_tPvRmT1_T2_T3_mT4_P12ihipStream_tbEUlT_E0_NS1_11comp_targetILNS1_3genE10ELNS1_11target_archE1200ELNS1_3gpuE4ELNS1_3repE0EEENS1_30default_config_static_selectorELNS0_4arch9wavefront6targetE1EEEvS17_
		.amdhsa_group_segment_fixed_size 0
		.amdhsa_private_segment_fixed_size 0
		.amdhsa_kernarg_size 88
		.amdhsa_user_sgpr_count 6
		.amdhsa_user_sgpr_private_segment_buffer 1
		.amdhsa_user_sgpr_dispatch_ptr 0
		.amdhsa_user_sgpr_queue_ptr 0
		.amdhsa_user_sgpr_kernarg_segment_ptr 1
		.amdhsa_user_sgpr_dispatch_id 0
		.amdhsa_user_sgpr_flat_scratch_init 0
		.amdhsa_user_sgpr_private_segment_size 0
		.amdhsa_uses_dynamic_stack 0
		.amdhsa_system_sgpr_private_segment_wavefront_offset 0
		.amdhsa_system_sgpr_workgroup_id_x 1
		.amdhsa_system_sgpr_workgroup_id_y 0
		.amdhsa_system_sgpr_workgroup_id_z 0
		.amdhsa_system_sgpr_workgroup_info 0
		.amdhsa_system_vgpr_workitem_id 0
		.amdhsa_next_free_vgpr 1
		.amdhsa_next_free_sgpr 0
		.amdhsa_reserve_vcc 0
		.amdhsa_reserve_flat_scratch 0
		.amdhsa_float_round_mode_32 0
		.amdhsa_float_round_mode_16_64 0
		.amdhsa_float_denorm_mode_32 3
		.amdhsa_float_denorm_mode_16_64 3
		.amdhsa_dx10_clamp 1
		.amdhsa_ieee_mode 1
		.amdhsa_fp16_overflow 0
		.amdhsa_exception_fp_ieee_invalid_op 0
		.amdhsa_exception_fp_denorm_src 0
		.amdhsa_exception_fp_ieee_div_zero 0
		.amdhsa_exception_fp_ieee_overflow 0
		.amdhsa_exception_fp_ieee_underflow 0
		.amdhsa_exception_fp_ieee_inexact 0
		.amdhsa_exception_int_div_zero 0
	.end_amdhsa_kernel
	.section	.text._ZN7rocprim17ROCPRIM_400000_NS6detail17trampoline_kernelINS0_14default_configENS1_22reduce_config_selectorIN6thrust23THRUST_200600_302600_NS5tupleIblNS6_9null_typeES8_S8_S8_S8_S8_S8_S8_EEEEZNS1_11reduce_implILb1ES3_NS6_12zip_iteratorINS7_INS6_11hip_rocprim26transform_input_iterator_tIbPsNS6_6detail10functional5actorINSH_9compositeIJNSH_27transparent_binary_operatorINS6_8equal_toIvEEEENSI_INSH_8argumentILj0EEEEENSH_5valueIsEEEEEEEEENSD_19counting_iterator_tIlEES8_S8_S8_S8_S8_S8_S8_S8_EEEEPS9_S9_NSD_9__find_if7functorIS9_EEEE10hipError_tPvRmT1_T2_T3_mT4_P12ihipStream_tbEUlT_E0_NS1_11comp_targetILNS1_3genE10ELNS1_11target_archE1200ELNS1_3gpuE4ELNS1_3repE0EEENS1_30default_config_static_selectorELNS0_4arch9wavefront6targetE1EEEvS17_,"axG",@progbits,_ZN7rocprim17ROCPRIM_400000_NS6detail17trampoline_kernelINS0_14default_configENS1_22reduce_config_selectorIN6thrust23THRUST_200600_302600_NS5tupleIblNS6_9null_typeES8_S8_S8_S8_S8_S8_S8_EEEEZNS1_11reduce_implILb1ES3_NS6_12zip_iteratorINS7_INS6_11hip_rocprim26transform_input_iterator_tIbPsNS6_6detail10functional5actorINSH_9compositeIJNSH_27transparent_binary_operatorINS6_8equal_toIvEEEENSI_INSH_8argumentILj0EEEEENSH_5valueIsEEEEEEEEENSD_19counting_iterator_tIlEES8_S8_S8_S8_S8_S8_S8_S8_EEEEPS9_S9_NSD_9__find_if7functorIS9_EEEE10hipError_tPvRmT1_T2_T3_mT4_P12ihipStream_tbEUlT_E0_NS1_11comp_targetILNS1_3genE10ELNS1_11target_archE1200ELNS1_3gpuE4ELNS1_3repE0EEENS1_30default_config_static_selectorELNS0_4arch9wavefront6targetE1EEEvS17_,comdat
.Lfunc_end1512:
	.size	_ZN7rocprim17ROCPRIM_400000_NS6detail17trampoline_kernelINS0_14default_configENS1_22reduce_config_selectorIN6thrust23THRUST_200600_302600_NS5tupleIblNS6_9null_typeES8_S8_S8_S8_S8_S8_S8_EEEEZNS1_11reduce_implILb1ES3_NS6_12zip_iteratorINS7_INS6_11hip_rocprim26transform_input_iterator_tIbPsNS6_6detail10functional5actorINSH_9compositeIJNSH_27transparent_binary_operatorINS6_8equal_toIvEEEENSI_INSH_8argumentILj0EEEEENSH_5valueIsEEEEEEEEENSD_19counting_iterator_tIlEES8_S8_S8_S8_S8_S8_S8_S8_EEEEPS9_S9_NSD_9__find_if7functorIS9_EEEE10hipError_tPvRmT1_T2_T3_mT4_P12ihipStream_tbEUlT_E0_NS1_11comp_targetILNS1_3genE10ELNS1_11target_archE1200ELNS1_3gpuE4ELNS1_3repE0EEENS1_30default_config_static_selectorELNS0_4arch9wavefront6targetE1EEEvS17_, .Lfunc_end1512-_ZN7rocprim17ROCPRIM_400000_NS6detail17trampoline_kernelINS0_14default_configENS1_22reduce_config_selectorIN6thrust23THRUST_200600_302600_NS5tupleIblNS6_9null_typeES8_S8_S8_S8_S8_S8_S8_EEEEZNS1_11reduce_implILb1ES3_NS6_12zip_iteratorINS7_INS6_11hip_rocprim26transform_input_iterator_tIbPsNS6_6detail10functional5actorINSH_9compositeIJNSH_27transparent_binary_operatorINS6_8equal_toIvEEEENSI_INSH_8argumentILj0EEEEENSH_5valueIsEEEEEEEEENSD_19counting_iterator_tIlEES8_S8_S8_S8_S8_S8_S8_S8_EEEEPS9_S9_NSD_9__find_if7functorIS9_EEEE10hipError_tPvRmT1_T2_T3_mT4_P12ihipStream_tbEUlT_E0_NS1_11comp_targetILNS1_3genE10ELNS1_11target_archE1200ELNS1_3gpuE4ELNS1_3repE0EEENS1_30default_config_static_selectorELNS0_4arch9wavefront6targetE1EEEvS17_
                                        ; -- End function
	.set _ZN7rocprim17ROCPRIM_400000_NS6detail17trampoline_kernelINS0_14default_configENS1_22reduce_config_selectorIN6thrust23THRUST_200600_302600_NS5tupleIblNS6_9null_typeES8_S8_S8_S8_S8_S8_S8_EEEEZNS1_11reduce_implILb1ES3_NS6_12zip_iteratorINS7_INS6_11hip_rocprim26transform_input_iterator_tIbPsNS6_6detail10functional5actorINSH_9compositeIJNSH_27transparent_binary_operatorINS6_8equal_toIvEEEENSI_INSH_8argumentILj0EEEEENSH_5valueIsEEEEEEEEENSD_19counting_iterator_tIlEES8_S8_S8_S8_S8_S8_S8_S8_EEEEPS9_S9_NSD_9__find_if7functorIS9_EEEE10hipError_tPvRmT1_T2_T3_mT4_P12ihipStream_tbEUlT_E0_NS1_11comp_targetILNS1_3genE10ELNS1_11target_archE1200ELNS1_3gpuE4ELNS1_3repE0EEENS1_30default_config_static_selectorELNS0_4arch9wavefront6targetE1EEEvS17_.num_vgpr, 0
	.set _ZN7rocprim17ROCPRIM_400000_NS6detail17trampoline_kernelINS0_14default_configENS1_22reduce_config_selectorIN6thrust23THRUST_200600_302600_NS5tupleIblNS6_9null_typeES8_S8_S8_S8_S8_S8_S8_EEEEZNS1_11reduce_implILb1ES3_NS6_12zip_iteratorINS7_INS6_11hip_rocprim26transform_input_iterator_tIbPsNS6_6detail10functional5actorINSH_9compositeIJNSH_27transparent_binary_operatorINS6_8equal_toIvEEEENSI_INSH_8argumentILj0EEEEENSH_5valueIsEEEEEEEEENSD_19counting_iterator_tIlEES8_S8_S8_S8_S8_S8_S8_S8_EEEEPS9_S9_NSD_9__find_if7functorIS9_EEEE10hipError_tPvRmT1_T2_T3_mT4_P12ihipStream_tbEUlT_E0_NS1_11comp_targetILNS1_3genE10ELNS1_11target_archE1200ELNS1_3gpuE4ELNS1_3repE0EEENS1_30default_config_static_selectorELNS0_4arch9wavefront6targetE1EEEvS17_.num_agpr, 0
	.set _ZN7rocprim17ROCPRIM_400000_NS6detail17trampoline_kernelINS0_14default_configENS1_22reduce_config_selectorIN6thrust23THRUST_200600_302600_NS5tupleIblNS6_9null_typeES8_S8_S8_S8_S8_S8_S8_EEEEZNS1_11reduce_implILb1ES3_NS6_12zip_iteratorINS7_INS6_11hip_rocprim26transform_input_iterator_tIbPsNS6_6detail10functional5actorINSH_9compositeIJNSH_27transparent_binary_operatorINS6_8equal_toIvEEEENSI_INSH_8argumentILj0EEEEENSH_5valueIsEEEEEEEEENSD_19counting_iterator_tIlEES8_S8_S8_S8_S8_S8_S8_S8_EEEEPS9_S9_NSD_9__find_if7functorIS9_EEEE10hipError_tPvRmT1_T2_T3_mT4_P12ihipStream_tbEUlT_E0_NS1_11comp_targetILNS1_3genE10ELNS1_11target_archE1200ELNS1_3gpuE4ELNS1_3repE0EEENS1_30default_config_static_selectorELNS0_4arch9wavefront6targetE1EEEvS17_.numbered_sgpr, 0
	.set _ZN7rocprim17ROCPRIM_400000_NS6detail17trampoline_kernelINS0_14default_configENS1_22reduce_config_selectorIN6thrust23THRUST_200600_302600_NS5tupleIblNS6_9null_typeES8_S8_S8_S8_S8_S8_S8_EEEEZNS1_11reduce_implILb1ES3_NS6_12zip_iteratorINS7_INS6_11hip_rocprim26transform_input_iterator_tIbPsNS6_6detail10functional5actorINSH_9compositeIJNSH_27transparent_binary_operatorINS6_8equal_toIvEEEENSI_INSH_8argumentILj0EEEEENSH_5valueIsEEEEEEEEENSD_19counting_iterator_tIlEES8_S8_S8_S8_S8_S8_S8_S8_EEEEPS9_S9_NSD_9__find_if7functorIS9_EEEE10hipError_tPvRmT1_T2_T3_mT4_P12ihipStream_tbEUlT_E0_NS1_11comp_targetILNS1_3genE10ELNS1_11target_archE1200ELNS1_3gpuE4ELNS1_3repE0EEENS1_30default_config_static_selectorELNS0_4arch9wavefront6targetE1EEEvS17_.num_named_barrier, 0
	.set _ZN7rocprim17ROCPRIM_400000_NS6detail17trampoline_kernelINS0_14default_configENS1_22reduce_config_selectorIN6thrust23THRUST_200600_302600_NS5tupleIblNS6_9null_typeES8_S8_S8_S8_S8_S8_S8_EEEEZNS1_11reduce_implILb1ES3_NS6_12zip_iteratorINS7_INS6_11hip_rocprim26transform_input_iterator_tIbPsNS6_6detail10functional5actorINSH_9compositeIJNSH_27transparent_binary_operatorINS6_8equal_toIvEEEENSI_INSH_8argumentILj0EEEEENSH_5valueIsEEEEEEEEENSD_19counting_iterator_tIlEES8_S8_S8_S8_S8_S8_S8_S8_EEEEPS9_S9_NSD_9__find_if7functorIS9_EEEE10hipError_tPvRmT1_T2_T3_mT4_P12ihipStream_tbEUlT_E0_NS1_11comp_targetILNS1_3genE10ELNS1_11target_archE1200ELNS1_3gpuE4ELNS1_3repE0EEENS1_30default_config_static_selectorELNS0_4arch9wavefront6targetE1EEEvS17_.private_seg_size, 0
	.set _ZN7rocprim17ROCPRIM_400000_NS6detail17trampoline_kernelINS0_14default_configENS1_22reduce_config_selectorIN6thrust23THRUST_200600_302600_NS5tupleIblNS6_9null_typeES8_S8_S8_S8_S8_S8_S8_EEEEZNS1_11reduce_implILb1ES3_NS6_12zip_iteratorINS7_INS6_11hip_rocprim26transform_input_iterator_tIbPsNS6_6detail10functional5actorINSH_9compositeIJNSH_27transparent_binary_operatorINS6_8equal_toIvEEEENSI_INSH_8argumentILj0EEEEENSH_5valueIsEEEEEEEEENSD_19counting_iterator_tIlEES8_S8_S8_S8_S8_S8_S8_S8_EEEEPS9_S9_NSD_9__find_if7functorIS9_EEEE10hipError_tPvRmT1_T2_T3_mT4_P12ihipStream_tbEUlT_E0_NS1_11comp_targetILNS1_3genE10ELNS1_11target_archE1200ELNS1_3gpuE4ELNS1_3repE0EEENS1_30default_config_static_selectorELNS0_4arch9wavefront6targetE1EEEvS17_.uses_vcc, 0
	.set _ZN7rocprim17ROCPRIM_400000_NS6detail17trampoline_kernelINS0_14default_configENS1_22reduce_config_selectorIN6thrust23THRUST_200600_302600_NS5tupleIblNS6_9null_typeES8_S8_S8_S8_S8_S8_S8_EEEEZNS1_11reduce_implILb1ES3_NS6_12zip_iteratorINS7_INS6_11hip_rocprim26transform_input_iterator_tIbPsNS6_6detail10functional5actorINSH_9compositeIJNSH_27transparent_binary_operatorINS6_8equal_toIvEEEENSI_INSH_8argumentILj0EEEEENSH_5valueIsEEEEEEEEENSD_19counting_iterator_tIlEES8_S8_S8_S8_S8_S8_S8_S8_EEEEPS9_S9_NSD_9__find_if7functorIS9_EEEE10hipError_tPvRmT1_T2_T3_mT4_P12ihipStream_tbEUlT_E0_NS1_11comp_targetILNS1_3genE10ELNS1_11target_archE1200ELNS1_3gpuE4ELNS1_3repE0EEENS1_30default_config_static_selectorELNS0_4arch9wavefront6targetE1EEEvS17_.uses_flat_scratch, 0
	.set _ZN7rocprim17ROCPRIM_400000_NS6detail17trampoline_kernelINS0_14default_configENS1_22reduce_config_selectorIN6thrust23THRUST_200600_302600_NS5tupleIblNS6_9null_typeES8_S8_S8_S8_S8_S8_S8_EEEEZNS1_11reduce_implILb1ES3_NS6_12zip_iteratorINS7_INS6_11hip_rocprim26transform_input_iterator_tIbPsNS6_6detail10functional5actorINSH_9compositeIJNSH_27transparent_binary_operatorINS6_8equal_toIvEEEENSI_INSH_8argumentILj0EEEEENSH_5valueIsEEEEEEEEENSD_19counting_iterator_tIlEES8_S8_S8_S8_S8_S8_S8_S8_EEEEPS9_S9_NSD_9__find_if7functorIS9_EEEE10hipError_tPvRmT1_T2_T3_mT4_P12ihipStream_tbEUlT_E0_NS1_11comp_targetILNS1_3genE10ELNS1_11target_archE1200ELNS1_3gpuE4ELNS1_3repE0EEENS1_30default_config_static_selectorELNS0_4arch9wavefront6targetE1EEEvS17_.has_dyn_sized_stack, 0
	.set _ZN7rocprim17ROCPRIM_400000_NS6detail17trampoline_kernelINS0_14default_configENS1_22reduce_config_selectorIN6thrust23THRUST_200600_302600_NS5tupleIblNS6_9null_typeES8_S8_S8_S8_S8_S8_S8_EEEEZNS1_11reduce_implILb1ES3_NS6_12zip_iteratorINS7_INS6_11hip_rocprim26transform_input_iterator_tIbPsNS6_6detail10functional5actorINSH_9compositeIJNSH_27transparent_binary_operatorINS6_8equal_toIvEEEENSI_INSH_8argumentILj0EEEEENSH_5valueIsEEEEEEEEENSD_19counting_iterator_tIlEES8_S8_S8_S8_S8_S8_S8_S8_EEEEPS9_S9_NSD_9__find_if7functorIS9_EEEE10hipError_tPvRmT1_T2_T3_mT4_P12ihipStream_tbEUlT_E0_NS1_11comp_targetILNS1_3genE10ELNS1_11target_archE1200ELNS1_3gpuE4ELNS1_3repE0EEENS1_30default_config_static_selectorELNS0_4arch9wavefront6targetE1EEEvS17_.has_recursion, 0
	.set _ZN7rocprim17ROCPRIM_400000_NS6detail17trampoline_kernelINS0_14default_configENS1_22reduce_config_selectorIN6thrust23THRUST_200600_302600_NS5tupleIblNS6_9null_typeES8_S8_S8_S8_S8_S8_S8_EEEEZNS1_11reduce_implILb1ES3_NS6_12zip_iteratorINS7_INS6_11hip_rocprim26transform_input_iterator_tIbPsNS6_6detail10functional5actorINSH_9compositeIJNSH_27transparent_binary_operatorINS6_8equal_toIvEEEENSI_INSH_8argumentILj0EEEEENSH_5valueIsEEEEEEEEENSD_19counting_iterator_tIlEES8_S8_S8_S8_S8_S8_S8_S8_EEEEPS9_S9_NSD_9__find_if7functorIS9_EEEE10hipError_tPvRmT1_T2_T3_mT4_P12ihipStream_tbEUlT_E0_NS1_11comp_targetILNS1_3genE10ELNS1_11target_archE1200ELNS1_3gpuE4ELNS1_3repE0EEENS1_30default_config_static_selectorELNS0_4arch9wavefront6targetE1EEEvS17_.has_indirect_call, 0
	.section	.AMDGPU.csdata,"",@progbits
; Kernel info:
; codeLenInByte = 0
; TotalNumSgprs: 4
; NumVgprs: 0
; ScratchSize: 0
; MemoryBound: 0
; FloatMode: 240
; IeeeMode: 1
; LDSByteSize: 0 bytes/workgroup (compile time only)
; SGPRBlocks: 0
; VGPRBlocks: 0
; NumSGPRsForWavesPerEU: 4
; NumVGPRsForWavesPerEU: 1
; Occupancy: 10
; WaveLimiterHint : 0
; COMPUTE_PGM_RSRC2:SCRATCH_EN: 0
; COMPUTE_PGM_RSRC2:USER_SGPR: 6
; COMPUTE_PGM_RSRC2:TRAP_HANDLER: 0
; COMPUTE_PGM_RSRC2:TGID_X_EN: 1
; COMPUTE_PGM_RSRC2:TGID_Y_EN: 0
; COMPUTE_PGM_RSRC2:TGID_Z_EN: 0
; COMPUTE_PGM_RSRC2:TIDIG_COMP_CNT: 0
	.section	.text._ZN7rocprim17ROCPRIM_400000_NS6detail17trampoline_kernelINS0_14default_configENS1_22reduce_config_selectorIN6thrust23THRUST_200600_302600_NS5tupleIblNS6_9null_typeES8_S8_S8_S8_S8_S8_S8_EEEEZNS1_11reduce_implILb1ES3_NS6_12zip_iteratorINS7_INS6_11hip_rocprim26transform_input_iterator_tIbPsNS6_6detail10functional5actorINSH_9compositeIJNSH_27transparent_binary_operatorINS6_8equal_toIvEEEENSI_INSH_8argumentILj0EEEEENSH_5valueIsEEEEEEEEENSD_19counting_iterator_tIlEES8_S8_S8_S8_S8_S8_S8_S8_EEEEPS9_S9_NSD_9__find_if7functorIS9_EEEE10hipError_tPvRmT1_T2_T3_mT4_P12ihipStream_tbEUlT_E0_NS1_11comp_targetILNS1_3genE9ELNS1_11target_archE1100ELNS1_3gpuE3ELNS1_3repE0EEENS1_30default_config_static_selectorELNS0_4arch9wavefront6targetE1EEEvS17_,"axG",@progbits,_ZN7rocprim17ROCPRIM_400000_NS6detail17trampoline_kernelINS0_14default_configENS1_22reduce_config_selectorIN6thrust23THRUST_200600_302600_NS5tupleIblNS6_9null_typeES8_S8_S8_S8_S8_S8_S8_EEEEZNS1_11reduce_implILb1ES3_NS6_12zip_iteratorINS7_INS6_11hip_rocprim26transform_input_iterator_tIbPsNS6_6detail10functional5actorINSH_9compositeIJNSH_27transparent_binary_operatorINS6_8equal_toIvEEEENSI_INSH_8argumentILj0EEEEENSH_5valueIsEEEEEEEEENSD_19counting_iterator_tIlEES8_S8_S8_S8_S8_S8_S8_S8_EEEEPS9_S9_NSD_9__find_if7functorIS9_EEEE10hipError_tPvRmT1_T2_T3_mT4_P12ihipStream_tbEUlT_E0_NS1_11comp_targetILNS1_3genE9ELNS1_11target_archE1100ELNS1_3gpuE3ELNS1_3repE0EEENS1_30default_config_static_selectorELNS0_4arch9wavefront6targetE1EEEvS17_,comdat
	.protected	_ZN7rocprim17ROCPRIM_400000_NS6detail17trampoline_kernelINS0_14default_configENS1_22reduce_config_selectorIN6thrust23THRUST_200600_302600_NS5tupleIblNS6_9null_typeES8_S8_S8_S8_S8_S8_S8_EEEEZNS1_11reduce_implILb1ES3_NS6_12zip_iteratorINS7_INS6_11hip_rocprim26transform_input_iterator_tIbPsNS6_6detail10functional5actorINSH_9compositeIJNSH_27transparent_binary_operatorINS6_8equal_toIvEEEENSI_INSH_8argumentILj0EEEEENSH_5valueIsEEEEEEEEENSD_19counting_iterator_tIlEES8_S8_S8_S8_S8_S8_S8_S8_EEEEPS9_S9_NSD_9__find_if7functorIS9_EEEE10hipError_tPvRmT1_T2_T3_mT4_P12ihipStream_tbEUlT_E0_NS1_11comp_targetILNS1_3genE9ELNS1_11target_archE1100ELNS1_3gpuE3ELNS1_3repE0EEENS1_30default_config_static_selectorELNS0_4arch9wavefront6targetE1EEEvS17_ ; -- Begin function _ZN7rocprim17ROCPRIM_400000_NS6detail17trampoline_kernelINS0_14default_configENS1_22reduce_config_selectorIN6thrust23THRUST_200600_302600_NS5tupleIblNS6_9null_typeES8_S8_S8_S8_S8_S8_S8_EEEEZNS1_11reduce_implILb1ES3_NS6_12zip_iteratorINS7_INS6_11hip_rocprim26transform_input_iterator_tIbPsNS6_6detail10functional5actorINSH_9compositeIJNSH_27transparent_binary_operatorINS6_8equal_toIvEEEENSI_INSH_8argumentILj0EEEEENSH_5valueIsEEEEEEEEENSD_19counting_iterator_tIlEES8_S8_S8_S8_S8_S8_S8_S8_EEEEPS9_S9_NSD_9__find_if7functorIS9_EEEE10hipError_tPvRmT1_T2_T3_mT4_P12ihipStream_tbEUlT_E0_NS1_11comp_targetILNS1_3genE9ELNS1_11target_archE1100ELNS1_3gpuE3ELNS1_3repE0EEENS1_30default_config_static_selectorELNS0_4arch9wavefront6targetE1EEEvS17_
	.globl	_ZN7rocprim17ROCPRIM_400000_NS6detail17trampoline_kernelINS0_14default_configENS1_22reduce_config_selectorIN6thrust23THRUST_200600_302600_NS5tupleIblNS6_9null_typeES8_S8_S8_S8_S8_S8_S8_EEEEZNS1_11reduce_implILb1ES3_NS6_12zip_iteratorINS7_INS6_11hip_rocprim26transform_input_iterator_tIbPsNS6_6detail10functional5actorINSH_9compositeIJNSH_27transparent_binary_operatorINS6_8equal_toIvEEEENSI_INSH_8argumentILj0EEEEENSH_5valueIsEEEEEEEEENSD_19counting_iterator_tIlEES8_S8_S8_S8_S8_S8_S8_S8_EEEEPS9_S9_NSD_9__find_if7functorIS9_EEEE10hipError_tPvRmT1_T2_T3_mT4_P12ihipStream_tbEUlT_E0_NS1_11comp_targetILNS1_3genE9ELNS1_11target_archE1100ELNS1_3gpuE3ELNS1_3repE0EEENS1_30default_config_static_selectorELNS0_4arch9wavefront6targetE1EEEvS17_
	.p2align	8
	.type	_ZN7rocprim17ROCPRIM_400000_NS6detail17trampoline_kernelINS0_14default_configENS1_22reduce_config_selectorIN6thrust23THRUST_200600_302600_NS5tupleIblNS6_9null_typeES8_S8_S8_S8_S8_S8_S8_EEEEZNS1_11reduce_implILb1ES3_NS6_12zip_iteratorINS7_INS6_11hip_rocprim26transform_input_iterator_tIbPsNS6_6detail10functional5actorINSH_9compositeIJNSH_27transparent_binary_operatorINS6_8equal_toIvEEEENSI_INSH_8argumentILj0EEEEENSH_5valueIsEEEEEEEEENSD_19counting_iterator_tIlEES8_S8_S8_S8_S8_S8_S8_S8_EEEEPS9_S9_NSD_9__find_if7functorIS9_EEEE10hipError_tPvRmT1_T2_T3_mT4_P12ihipStream_tbEUlT_E0_NS1_11comp_targetILNS1_3genE9ELNS1_11target_archE1100ELNS1_3gpuE3ELNS1_3repE0EEENS1_30default_config_static_selectorELNS0_4arch9wavefront6targetE1EEEvS17_,@function
_ZN7rocprim17ROCPRIM_400000_NS6detail17trampoline_kernelINS0_14default_configENS1_22reduce_config_selectorIN6thrust23THRUST_200600_302600_NS5tupleIblNS6_9null_typeES8_S8_S8_S8_S8_S8_S8_EEEEZNS1_11reduce_implILb1ES3_NS6_12zip_iteratorINS7_INS6_11hip_rocprim26transform_input_iterator_tIbPsNS6_6detail10functional5actorINSH_9compositeIJNSH_27transparent_binary_operatorINS6_8equal_toIvEEEENSI_INSH_8argumentILj0EEEEENSH_5valueIsEEEEEEEEENSD_19counting_iterator_tIlEES8_S8_S8_S8_S8_S8_S8_S8_EEEEPS9_S9_NSD_9__find_if7functorIS9_EEEE10hipError_tPvRmT1_T2_T3_mT4_P12ihipStream_tbEUlT_E0_NS1_11comp_targetILNS1_3genE9ELNS1_11target_archE1100ELNS1_3gpuE3ELNS1_3repE0EEENS1_30default_config_static_selectorELNS0_4arch9wavefront6targetE1EEEvS17_: ; @_ZN7rocprim17ROCPRIM_400000_NS6detail17trampoline_kernelINS0_14default_configENS1_22reduce_config_selectorIN6thrust23THRUST_200600_302600_NS5tupleIblNS6_9null_typeES8_S8_S8_S8_S8_S8_S8_EEEEZNS1_11reduce_implILb1ES3_NS6_12zip_iteratorINS7_INS6_11hip_rocprim26transform_input_iterator_tIbPsNS6_6detail10functional5actorINSH_9compositeIJNSH_27transparent_binary_operatorINS6_8equal_toIvEEEENSI_INSH_8argumentILj0EEEEENSH_5valueIsEEEEEEEEENSD_19counting_iterator_tIlEES8_S8_S8_S8_S8_S8_S8_S8_EEEEPS9_S9_NSD_9__find_if7functorIS9_EEEE10hipError_tPvRmT1_T2_T3_mT4_P12ihipStream_tbEUlT_E0_NS1_11comp_targetILNS1_3genE9ELNS1_11target_archE1100ELNS1_3gpuE3ELNS1_3repE0EEENS1_30default_config_static_selectorELNS0_4arch9wavefront6targetE1EEEvS17_
; %bb.0:
	.section	.rodata,"a",@progbits
	.p2align	6, 0x0
	.amdhsa_kernel _ZN7rocprim17ROCPRIM_400000_NS6detail17trampoline_kernelINS0_14default_configENS1_22reduce_config_selectorIN6thrust23THRUST_200600_302600_NS5tupleIblNS6_9null_typeES8_S8_S8_S8_S8_S8_S8_EEEEZNS1_11reduce_implILb1ES3_NS6_12zip_iteratorINS7_INS6_11hip_rocprim26transform_input_iterator_tIbPsNS6_6detail10functional5actorINSH_9compositeIJNSH_27transparent_binary_operatorINS6_8equal_toIvEEEENSI_INSH_8argumentILj0EEEEENSH_5valueIsEEEEEEEEENSD_19counting_iterator_tIlEES8_S8_S8_S8_S8_S8_S8_S8_EEEEPS9_S9_NSD_9__find_if7functorIS9_EEEE10hipError_tPvRmT1_T2_T3_mT4_P12ihipStream_tbEUlT_E0_NS1_11comp_targetILNS1_3genE9ELNS1_11target_archE1100ELNS1_3gpuE3ELNS1_3repE0EEENS1_30default_config_static_selectorELNS0_4arch9wavefront6targetE1EEEvS17_
		.amdhsa_group_segment_fixed_size 0
		.amdhsa_private_segment_fixed_size 0
		.amdhsa_kernarg_size 88
		.amdhsa_user_sgpr_count 6
		.amdhsa_user_sgpr_private_segment_buffer 1
		.amdhsa_user_sgpr_dispatch_ptr 0
		.amdhsa_user_sgpr_queue_ptr 0
		.amdhsa_user_sgpr_kernarg_segment_ptr 1
		.amdhsa_user_sgpr_dispatch_id 0
		.amdhsa_user_sgpr_flat_scratch_init 0
		.amdhsa_user_sgpr_private_segment_size 0
		.amdhsa_uses_dynamic_stack 0
		.amdhsa_system_sgpr_private_segment_wavefront_offset 0
		.amdhsa_system_sgpr_workgroup_id_x 1
		.amdhsa_system_sgpr_workgroup_id_y 0
		.amdhsa_system_sgpr_workgroup_id_z 0
		.amdhsa_system_sgpr_workgroup_info 0
		.amdhsa_system_vgpr_workitem_id 0
		.amdhsa_next_free_vgpr 1
		.amdhsa_next_free_sgpr 0
		.amdhsa_reserve_vcc 0
		.amdhsa_reserve_flat_scratch 0
		.amdhsa_float_round_mode_32 0
		.amdhsa_float_round_mode_16_64 0
		.amdhsa_float_denorm_mode_32 3
		.amdhsa_float_denorm_mode_16_64 3
		.amdhsa_dx10_clamp 1
		.amdhsa_ieee_mode 1
		.amdhsa_fp16_overflow 0
		.amdhsa_exception_fp_ieee_invalid_op 0
		.amdhsa_exception_fp_denorm_src 0
		.amdhsa_exception_fp_ieee_div_zero 0
		.amdhsa_exception_fp_ieee_overflow 0
		.amdhsa_exception_fp_ieee_underflow 0
		.amdhsa_exception_fp_ieee_inexact 0
		.amdhsa_exception_int_div_zero 0
	.end_amdhsa_kernel
	.section	.text._ZN7rocprim17ROCPRIM_400000_NS6detail17trampoline_kernelINS0_14default_configENS1_22reduce_config_selectorIN6thrust23THRUST_200600_302600_NS5tupleIblNS6_9null_typeES8_S8_S8_S8_S8_S8_S8_EEEEZNS1_11reduce_implILb1ES3_NS6_12zip_iteratorINS7_INS6_11hip_rocprim26transform_input_iterator_tIbPsNS6_6detail10functional5actorINSH_9compositeIJNSH_27transparent_binary_operatorINS6_8equal_toIvEEEENSI_INSH_8argumentILj0EEEEENSH_5valueIsEEEEEEEEENSD_19counting_iterator_tIlEES8_S8_S8_S8_S8_S8_S8_S8_EEEEPS9_S9_NSD_9__find_if7functorIS9_EEEE10hipError_tPvRmT1_T2_T3_mT4_P12ihipStream_tbEUlT_E0_NS1_11comp_targetILNS1_3genE9ELNS1_11target_archE1100ELNS1_3gpuE3ELNS1_3repE0EEENS1_30default_config_static_selectorELNS0_4arch9wavefront6targetE1EEEvS17_,"axG",@progbits,_ZN7rocprim17ROCPRIM_400000_NS6detail17trampoline_kernelINS0_14default_configENS1_22reduce_config_selectorIN6thrust23THRUST_200600_302600_NS5tupleIblNS6_9null_typeES8_S8_S8_S8_S8_S8_S8_EEEEZNS1_11reduce_implILb1ES3_NS6_12zip_iteratorINS7_INS6_11hip_rocprim26transform_input_iterator_tIbPsNS6_6detail10functional5actorINSH_9compositeIJNSH_27transparent_binary_operatorINS6_8equal_toIvEEEENSI_INSH_8argumentILj0EEEEENSH_5valueIsEEEEEEEEENSD_19counting_iterator_tIlEES8_S8_S8_S8_S8_S8_S8_S8_EEEEPS9_S9_NSD_9__find_if7functorIS9_EEEE10hipError_tPvRmT1_T2_T3_mT4_P12ihipStream_tbEUlT_E0_NS1_11comp_targetILNS1_3genE9ELNS1_11target_archE1100ELNS1_3gpuE3ELNS1_3repE0EEENS1_30default_config_static_selectorELNS0_4arch9wavefront6targetE1EEEvS17_,comdat
.Lfunc_end1513:
	.size	_ZN7rocprim17ROCPRIM_400000_NS6detail17trampoline_kernelINS0_14default_configENS1_22reduce_config_selectorIN6thrust23THRUST_200600_302600_NS5tupleIblNS6_9null_typeES8_S8_S8_S8_S8_S8_S8_EEEEZNS1_11reduce_implILb1ES3_NS6_12zip_iteratorINS7_INS6_11hip_rocprim26transform_input_iterator_tIbPsNS6_6detail10functional5actorINSH_9compositeIJNSH_27transparent_binary_operatorINS6_8equal_toIvEEEENSI_INSH_8argumentILj0EEEEENSH_5valueIsEEEEEEEEENSD_19counting_iterator_tIlEES8_S8_S8_S8_S8_S8_S8_S8_EEEEPS9_S9_NSD_9__find_if7functorIS9_EEEE10hipError_tPvRmT1_T2_T3_mT4_P12ihipStream_tbEUlT_E0_NS1_11comp_targetILNS1_3genE9ELNS1_11target_archE1100ELNS1_3gpuE3ELNS1_3repE0EEENS1_30default_config_static_selectorELNS0_4arch9wavefront6targetE1EEEvS17_, .Lfunc_end1513-_ZN7rocprim17ROCPRIM_400000_NS6detail17trampoline_kernelINS0_14default_configENS1_22reduce_config_selectorIN6thrust23THRUST_200600_302600_NS5tupleIblNS6_9null_typeES8_S8_S8_S8_S8_S8_S8_EEEEZNS1_11reduce_implILb1ES3_NS6_12zip_iteratorINS7_INS6_11hip_rocprim26transform_input_iterator_tIbPsNS6_6detail10functional5actorINSH_9compositeIJNSH_27transparent_binary_operatorINS6_8equal_toIvEEEENSI_INSH_8argumentILj0EEEEENSH_5valueIsEEEEEEEEENSD_19counting_iterator_tIlEES8_S8_S8_S8_S8_S8_S8_S8_EEEEPS9_S9_NSD_9__find_if7functorIS9_EEEE10hipError_tPvRmT1_T2_T3_mT4_P12ihipStream_tbEUlT_E0_NS1_11comp_targetILNS1_3genE9ELNS1_11target_archE1100ELNS1_3gpuE3ELNS1_3repE0EEENS1_30default_config_static_selectorELNS0_4arch9wavefront6targetE1EEEvS17_
                                        ; -- End function
	.set _ZN7rocprim17ROCPRIM_400000_NS6detail17trampoline_kernelINS0_14default_configENS1_22reduce_config_selectorIN6thrust23THRUST_200600_302600_NS5tupleIblNS6_9null_typeES8_S8_S8_S8_S8_S8_S8_EEEEZNS1_11reduce_implILb1ES3_NS6_12zip_iteratorINS7_INS6_11hip_rocprim26transform_input_iterator_tIbPsNS6_6detail10functional5actorINSH_9compositeIJNSH_27transparent_binary_operatorINS6_8equal_toIvEEEENSI_INSH_8argumentILj0EEEEENSH_5valueIsEEEEEEEEENSD_19counting_iterator_tIlEES8_S8_S8_S8_S8_S8_S8_S8_EEEEPS9_S9_NSD_9__find_if7functorIS9_EEEE10hipError_tPvRmT1_T2_T3_mT4_P12ihipStream_tbEUlT_E0_NS1_11comp_targetILNS1_3genE9ELNS1_11target_archE1100ELNS1_3gpuE3ELNS1_3repE0EEENS1_30default_config_static_selectorELNS0_4arch9wavefront6targetE1EEEvS17_.num_vgpr, 0
	.set _ZN7rocprim17ROCPRIM_400000_NS6detail17trampoline_kernelINS0_14default_configENS1_22reduce_config_selectorIN6thrust23THRUST_200600_302600_NS5tupleIblNS6_9null_typeES8_S8_S8_S8_S8_S8_S8_EEEEZNS1_11reduce_implILb1ES3_NS6_12zip_iteratorINS7_INS6_11hip_rocprim26transform_input_iterator_tIbPsNS6_6detail10functional5actorINSH_9compositeIJNSH_27transparent_binary_operatorINS6_8equal_toIvEEEENSI_INSH_8argumentILj0EEEEENSH_5valueIsEEEEEEEEENSD_19counting_iterator_tIlEES8_S8_S8_S8_S8_S8_S8_S8_EEEEPS9_S9_NSD_9__find_if7functorIS9_EEEE10hipError_tPvRmT1_T2_T3_mT4_P12ihipStream_tbEUlT_E0_NS1_11comp_targetILNS1_3genE9ELNS1_11target_archE1100ELNS1_3gpuE3ELNS1_3repE0EEENS1_30default_config_static_selectorELNS0_4arch9wavefront6targetE1EEEvS17_.num_agpr, 0
	.set _ZN7rocprim17ROCPRIM_400000_NS6detail17trampoline_kernelINS0_14default_configENS1_22reduce_config_selectorIN6thrust23THRUST_200600_302600_NS5tupleIblNS6_9null_typeES8_S8_S8_S8_S8_S8_S8_EEEEZNS1_11reduce_implILb1ES3_NS6_12zip_iteratorINS7_INS6_11hip_rocprim26transform_input_iterator_tIbPsNS6_6detail10functional5actorINSH_9compositeIJNSH_27transparent_binary_operatorINS6_8equal_toIvEEEENSI_INSH_8argumentILj0EEEEENSH_5valueIsEEEEEEEEENSD_19counting_iterator_tIlEES8_S8_S8_S8_S8_S8_S8_S8_EEEEPS9_S9_NSD_9__find_if7functorIS9_EEEE10hipError_tPvRmT1_T2_T3_mT4_P12ihipStream_tbEUlT_E0_NS1_11comp_targetILNS1_3genE9ELNS1_11target_archE1100ELNS1_3gpuE3ELNS1_3repE0EEENS1_30default_config_static_selectorELNS0_4arch9wavefront6targetE1EEEvS17_.numbered_sgpr, 0
	.set _ZN7rocprim17ROCPRIM_400000_NS6detail17trampoline_kernelINS0_14default_configENS1_22reduce_config_selectorIN6thrust23THRUST_200600_302600_NS5tupleIblNS6_9null_typeES8_S8_S8_S8_S8_S8_S8_EEEEZNS1_11reduce_implILb1ES3_NS6_12zip_iteratorINS7_INS6_11hip_rocprim26transform_input_iterator_tIbPsNS6_6detail10functional5actorINSH_9compositeIJNSH_27transparent_binary_operatorINS6_8equal_toIvEEEENSI_INSH_8argumentILj0EEEEENSH_5valueIsEEEEEEEEENSD_19counting_iterator_tIlEES8_S8_S8_S8_S8_S8_S8_S8_EEEEPS9_S9_NSD_9__find_if7functorIS9_EEEE10hipError_tPvRmT1_T2_T3_mT4_P12ihipStream_tbEUlT_E0_NS1_11comp_targetILNS1_3genE9ELNS1_11target_archE1100ELNS1_3gpuE3ELNS1_3repE0EEENS1_30default_config_static_selectorELNS0_4arch9wavefront6targetE1EEEvS17_.num_named_barrier, 0
	.set _ZN7rocprim17ROCPRIM_400000_NS6detail17trampoline_kernelINS0_14default_configENS1_22reduce_config_selectorIN6thrust23THRUST_200600_302600_NS5tupleIblNS6_9null_typeES8_S8_S8_S8_S8_S8_S8_EEEEZNS1_11reduce_implILb1ES3_NS6_12zip_iteratorINS7_INS6_11hip_rocprim26transform_input_iterator_tIbPsNS6_6detail10functional5actorINSH_9compositeIJNSH_27transparent_binary_operatorINS6_8equal_toIvEEEENSI_INSH_8argumentILj0EEEEENSH_5valueIsEEEEEEEEENSD_19counting_iterator_tIlEES8_S8_S8_S8_S8_S8_S8_S8_EEEEPS9_S9_NSD_9__find_if7functorIS9_EEEE10hipError_tPvRmT1_T2_T3_mT4_P12ihipStream_tbEUlT_E0_NS1_11comp_targetILNS1_3genE9ELNS1_11target_archE1100ELNS1_3gpuE3ELNS1_3repE0EEENS1_30default_config_static_selectorELNS0_4arch9wavefront6targetE1EEEvS17_.private_seg_size, 0
	.set _ZN7rocprim17ROCPRIM_400000_NS6detail17trampoline_kernelINS0_14default_configENS1_22reduce_config_selectorIN6thrust23THRUST_200600_302600_NS5tupleIblNS6_9null_typeES8_S8_S8_S8_S8_S8_S8_EEEEZNS1_11reduce_implILb1ES3_NS6_12zip_iteratorINS7_INS6_11hip_rocprim26transform_input_iterator_tIbPsNS6_6detail10functional5actorINSH_9compositeIJNSH_27transparent_binary_operatorINS6_8equal_toIvEEEENSI_INSH_8argumentILj0EEEEENSH_5valueIsEEEEEEEEENSD_19counting_iterator_tIlEES8_S8_S8_S8_S8_S8_S8_S8_EEEEPS9_S9_NSD_9__find_if7functorIS9_EEEE10hipError_tPvRmT1_T2_T3_mT4_P12ihipStream_tbEUlT_E0_NS1_11comp_targetILNS1_3genE9ELNS1_11target_archE1100ELNS1_3gpuE3ELNS1_3repE0EEENS1_30default_config_static_selectorELNS0_4arch9wavefront6targetE1EEEvS17_.uses_vcc, 0
	.set _ZN7rocprim17ROCPRIM_400000_NS6detail17trampoline_kernelINS0_14default_configENS1_22reduce_config_selectorIN6thrust23THRUST_200600_302600_NS5tupleIblNS6_9null_typeES8_S8_S8_S8_S8_S8_S8_EEEEZNS1_11reduce_implILb1ES3_NS6_12zip_iteratorINS7_INS6_11hip_rocprim26transform_input_iterator_tIbPsNS6_6detail10functional5actorINSH_9compositeIJNSH_27transparent_binary_operatorINS6_8equal_toIvEEEENSI_INSH_8argumentILj0EEEEENSH_5valueIsEEEEEEEEENSD_19counting_iterator_tIlEES8_S8_S8_S8_S8_S8_S8_S8_EEEEPS9_S9_NSD_9__find_if7functorIS9_EEEE10hipError_tPvRmT1_T2_T3_mT4_P12ihipStream_tbEUlT_E0_NS1_11comp_targetILNS1_3genE9ELNS1_11target_archE1100ELNS1_3gpuE3ELNS1_3repE0EEENS1_30default_config_static_selectorELNS0_4arch9wavefront6targetE1EEEvS17_.uses_flat_scratch, 0
	.set _ZN7rocprim17ROCPRIM_400000_NS6detail17trampoline_kernelINS0_14default_configENS1_22reduce_config_selectorIN6thrust23THRUST_200600_302600_NS5tupleIblNS6_9null_typeES8_S8_S8_S8_S8_S8_S8_EEEEZNS1_11reduce_implILb1ES3_NS6_12zip_iteratorINS7_INS6_11hip_rocprim26transform_input_iterator_tIbPsNS6_6detail10functional5actorINSH_9compositeIJNSH_27transparent_binary_operatorINS6_8equal_toIvEEEENSI_INSH_8argumentILj0EEEEENSH_5valueIsEEEEEEEEENSD_19counting_iterator_tIlEES8_S8_S8_S8_S8_S8_S8_S8_EEEEPS9_S9_NSD_9__find_if7functorIS9_EEEE10hipError_tPvRmT1_T2_T3_mT4_P12ihipStream_tbEUlT_E0_NS1_11comp_targetILNS1_3genE9ELNS1_11target_archE1100ELNS1_3gpuE3ELNS1_3repE0EEENS1_30default_config_static_selectorELNS0_4arch9wavefront6targetE1EEEvS17_.has_dyn_sized_stack, 0
	.set _ZN7rocprim17ROCPRIM_400000_NS6detail17trampoline_kernelINS0_14default_configENS1_22reduce_config_selectorIN6thrust23THRUST_200600_302600_NS5tupleIblNS6_9null_typeES8_S8_S8_S8_S8_S8_S8_EEEEZNS1_11reduce_implILb1ES3_NS6_12zip_iteratorINS7_INS6_11hip_rocprim26transform_input_iterator_tIbPsNS6_6detail10functional5actorINSH_9compositeIJNSH_27transparent_binary_operatorINS6_8equal_toIvEEEENSI_INSH_8argumentILj0EEEEENSH_5valueIsEEEEEEEEENSD_19counting_iterator_tIlEES8_S8_S8_S8_S8_S8_S8_S8_EEEEPS9_S9_NSD_9__find_if7functorIS9_EEEE10hipError_tPvRmT1_T2_T3_mT4_P12ihipStream_tbEUlT_E0_NS1_11comp_targetILNS1_3genE9ELNS1_11target_archE1100ELNS1_3gpuE3ELNS1_3repE0EEENS1_30default_config_static_selectorELNS0_4arch9wavefront6targetE1EEEvS17_.has_recursion, 0
	.set _ZN7rocprim17ROCPRIM_400000_NS6detail17trampoline_kernelINS0_14default_configENS1_22reduce_config_selectorIN6thrust23THRUST_200600_302600_NS5tupleIblNS6_9null_typeES8_S8_S8_S8_S8_S8_S8_EEEEZNS1_11reduce_implILb1ES3_NS6_12zip_iteratorINS7_INS6_11hip_rocprim26transform_input_iterator_tIbPsNS6_6detail10functional5actorINSH_9compositeIJNSH_27transparent_binary_operatorINS6_8equal_toIvEEEENSI_INSH_8argumentILj0EEEEENSH_5valueIsEEEEEEEEENSD_19counting_iterator_tIlEES8_S8_S8_S8_S8_S8_S8_S8_EEEEPS9_S9_NSD_9__find_if7functorIS9_EEEE10hipError_tPvRmT1_T2_T3_mT4_P12ihipStream_tbEUlT_E0_NS1_11comp_targetILNS1_3genE9ELNS1_11target_archE1100ELNS1_3gpuE3ELNS1_3repE0EEENS1_30default_config_static_selectorELNS0_4arch9wavefront6targetE1EEEvS17_.has_indirect_call, 0
	.section	.AMDGPU.csdata,"",@progbits
; Kernel info:
; codeLenInByte = 0
; TotalNumSgprs: 4
; NumVgprs: 0
; ScratchSize: 0
; MemoryBound: 0
; FloatMode: 240
; IeeeMode: 1
; LDSByteSize: 0 bytes/workgroup (compile time only)
; SGPRBlocks: 0
; VGPRBlocks: 0
; NumSGPRsForWavesPerEU: 4
; NumVGPRsForWavesPerEU: 1
; Occupancy: 10
; WaveLimiterHint : 0
; COMPUTE_PGM_RSRC2:SCRATCH_EN: 0
; COMPUTE_PGM_RSRC2:USER_SGPR: 6
; COMPUTE_PGM_RSRC2:TRAP_HANDLER: 0
; COMPUTE_PGM_RSRC2:TGID_X_EN: 1
; COMPUTE_PGM_RSRC2:TGID_Y_EN: 0
; COMPUTE_PGM_RSRC2:TGID_Z_EN: 0
; COMPUTE_PGM_RSRC2:TIDIG_COMP_CNT: 0
	.section	.text._ZN7rocprim17ROCPRIM_400000_NS6detail17trampoline_kernelINS0_14default_configENS1_22reduce_config_selectorIN6thrust23THRUST_200600_302600_NS5tupleIblNS6_9null_typeES8_S8_S8_S8_S8_S8_S8_EEEEZNS1_11reduce_implILb1ES3_NS6_12zip_iteratorINS7_INS6_11hip_rocprim26transform_input_iterator_tIbPsNS6_6detail10functional5actorINSH_9compositeIJNSH_27transparent_binary_operatorINS6_8equal_toIvEEEENSI_INSH_8argumentILj0EEEEENSH_5valueIsEEEEEEEEENSD_19counting_iterator_tIlEES8_S8_S8_S8_S8_S8_S8_S8_EEEEPS9_S9_NSD_9__find_if7functorIS9_EEEE10hipError_tPvRmT1_T2_T3_mT4_P12ihipStream_tbEUlT_E0_NS1_11comp_targetILNS1_3genE8ELNS1_11target_archE1030ELNS1_3gpuE2ELNS1_3repE0EEENS1_30default_config_static_selectorELNS0_4arch9wavefront6targetE1EEEvS17_,"axG",@progbits,_ZN7rocprim17ROCPRIM_400000_NS6detail17trampoline_kernelINS0_14default_configENS1_22reduce_config_selectorIN6thrust23THRUST_200600_302600_NS5tupleIblNS6_9null_typeES8_S8_S8_S8_S8_S8_S8_EEEEZNS1_11reduce_implILb1ES3_NS6_12zip_iteratorINS7_INS6_11hip_rocprim26transform_input_iterator_tIbPsNS6_6detail10functional5actorINSH_9compositeIJNSH_27transparent_binary_operatorINS6_8equal_toIvEEEENSI_INSH_8argumentILj0EEEEENSH_5valueIsEEEEEEEEENSD_19counting_iterator_tIlEES8_S8_S8_S8_S8_S8_S8_S8_EEEEPS9_S9_NSD_9__find_if7functorIS9_EEEE10hipError_tPvRmT1_T2_T3_mT4_P12ihipStream_tbEUlT_E0_NS1_11comp_targetILNS1_3genE8ELNS1_11target_archE1030ELNS1_3gpuE2ELNS1_3repE0EEENS1_30default_config_static_selectorELNS0_4arch9wavefront6targetE1EEEvS17_,comdat
	.protected	_ZN7rocprim17ROCPRIM_400000_NS6detail17trampoline_kernelINS0_14default_configENS1_22reduce_config_selectorIN6thrust23THRUST_200600_302600_NS5tupleIblNS6_9null_typeES8_S8_S8_S8_S8_S8_S8_EEEEZNS1_11reduce_implILb1ES3_NS6_12zip_iteratorINS7_INS6_11hip_rocprim26transform_input_iterator_tIbPsNS6_6detail10functional5actorINSH_9compositeIJNSH_27transparent_binary_operatorINS6_8equal_toIvEEEENSI_INSH_8argumentILj0EEEEENSH_5valueIsEEEEEEEEENSD_19counting_iterator_tIlEES8_S8_S8_S8_S8_S8_S8_S8_EEEEPS9_S9_NSD_9__find_if7functorIS9_EEEE10hipError_tPvRmT1_T2_T3_mT4_P12ihipStream_tbEUlT_E0_NS1_11comp_targetILNS1_3genE8ELNS1_11target_archE1030ELNS1_3gpuE2ELNS1_3repE0EEENS1_30default_config_static_selectorELNS0_4arch9wavefront6targetE1EEEvS17_ ; -- Begin function _ZN7rocprim17ROCPRIM_400000_NS6detail17trampoline_kernelINS0_14default_configENS1_22reduce_config_selectorIN6thrust23THRUST_200600_302600_NS5tupleIblNS6_9null_typeES8_S8_S8_S8_S8_S8_S8_EEEEZNS1_11reduce_implILb1ES3_NS6_12zip_iteratorINS7_INS6_11hip_rocprim26transform_input_iterator_tIbPsNS6_6detail10functional5actorINSH_9compositeIJNSH_27transparent_binary_operatorINS6_8equal_toIvEEEENSI_INSH_8argumentILj0EEEEENSH_5valueIsEEEEEEEEENSD_19counting_iterator_tIlEES8_S8_S8_S8_S8_S8_S8_S8_EEEEPS9_S9_NSD_9__find_if7functorIS9_EEEE10hipError_tPvRmT1_T2_T3_mT4_P12ihipStream_tbEUlT_E0_NS1_11comp_targetILNS1_3genE8ELNS1_11target_archE1030ELNS1_3gpuE2ELNS1_3repE0EEENS1_30default_config_static_selectorELNS0_4arch9wavefront6targetE1EEEvS17_
	.globl	_ZN7rocprim17ROCPRIM_400000_NS6detail17trampoline_kernelINS0_14default_configENS1_22reduce_config_selectorIN6thrust23THRUST_200600_302600_NS5tupleIblNS6_9null_typeES8_S8_S8_S8_S8_S8_S8_EEEEZNS1_11reduce_implILb1ES3_NS6_12zip_iteratorINS7_INS6_11hip_rocprim26transform_input_iterator_tIbPsNS6_6detail10functional5actorINSH_9compositeIJNSH_27transparent_binary_operatorINS6_8equal_toIvEEEENSI_INSH_8argumentILj0EEEEENSH_5valueIsEEEEEEEEENSD_19counting_iterator_tIlEES8_S8_S8_S8_S8_S8_S8_S8_EEEEPS9_S9_NSD_9__find_if7functorIS9_EEEE10hipError_tPvRmT1_T2_T3_mT4_P12ihipStream_tbEUlT_E0_NS1_11comp_targetILNS1_3genE8ELNS1_11target_archE1030ELNS1_3gpuE2ELNS1_3repE0EEENS1_30default_config_static_selectorELNS0_4arch9wavefront6targetE1EEEvS17_
	.p2align	8
	.type	_ZN7rocprim17ROCPRIM_400000_NS6detail17trampoline_kernelINS0_14default_configENS1_22reduce_config_selectorIN6thrust23THRUST_200600_302600_NS5tupleIblNS6_9null_typeES8_S8_S8_S8_S8_S8_S8_EEEEZNS1_11reduce_implILb1ES3_NS6_12zip_iteratorINS7_INS6_11hip_rocprim26transform_input_iterator_tIbPsNS6_6detail10functional5actorINSH_9compositeIJNSH_27transparent_binary_operatorINS6_8equal_toIvEEEENSI_INSH_8argumentILj0EEEEENSH_5valueIsEEEEEEEEENSD_19counting_iterator_tIlEES8_S8_S8_S8_S8_S8_S8_S8_EEEEPS9_S9_NSD_9__find_if7functorIS9_EEEE10hipError_tPvRmT1_T2_T3_mT4_P12ihipStream_tbEUlT_E0_NS1_11comp_targetILNS1_3genE8ELNS1_11target_archE1030ELNS1_3gpuE2ELNS1_3repE0EEENS1_30default_config_static_selectorELNS0_4arch9wavefront6targetE1EEEvS17_,@function
_ZN7rocprim17ROCPRIM_400000_NS6detail17trampoline_kernelINS0_14default_configENS1_22reduce_config_selectorIN6thrust23THRUST_200600_302600_NS5tupleIblNS6_9null_typeES8_S8_S8_S8_S8_S8_S8_EEEEZNS1_11reduce_implILb1ES3_NS6_12zip_iteratorINS7_INS6_11hip_rocprim26transform_input_iterator_tIbPsNS6_6detail10functional5actorINSH_9compositeIJNSH_27transparent_binary_operatorINS6_8equal_toIvEEEENSI_INSH_8argumentILj0EEEEENSH_5valueIsEEEEEEEEENSD_19counting_iterator_tIlEES8_S8_S8_S8_S8_S8_S8_S8_EEEEPS9_S9_NSD_9__find_if7functorIS9_EEEE10hipError_tPvRmT1_T2_T3_mT4_P12ihipStream_tbEUlT_E0_NS1_11comp_targetILNS1_3genE8ELNS1_11target_archE1030ELNS1_3gpuE2ELNS1_3repE0EEENS1_30default_config_static_selectorELNS0_4arch9wavefront6targetE1EEEvS17_: ; @_ZN7rocprim17ROCPRIM_400000_NS6detail17trampoline_kernelINS0_14default_configENS1_22reduce_config_selectorIN6thrust23THRUST_200600_302600_NS5tupleIblNS6_9null_typeES8_S8_S8_S8_S8_S8_S8_EEEEZNS1_11reduce_implILb1ES3_NS6_12zip_iteratorINS7_INS6_11hip_rocprim26transform_input_iterator_tIbPsNS6_6detail10functional5actorINSH_9compositeIJNSH_27transparent_binary_operatorINS6_8equal_toIvEEEENSI_INSH_8argumentILj0EEEEENSH_5valueIsEEEEEEEEENSD_19counting_iterator_tIlEES8_S8_S8_S8_S8_S8_S8_S8_EEEEPS9_S9_NSD_9__find_if7functorIS9_EEEE10hipError_tPvRmT1_T2_T3_mT4_P12ihipStream_tbEUlT_E0_NS1_11comp_targetILNS1_3genE8ELNS1_11target_archE1030ELNS1_3gpuE2ELNS1_3repE0EEENS1_30default_config_static_selectorELNS0_4arch9wavefront6targetE1EEEvS17_
; %bb.0:
	.section	.rodata,"a",@progbits
	.p2align	6, 0x0
	.amdhsa_kernel _ZN7rocprim17ROCPRIM_400000_NS6detail17trampoline_kernelINS0_14default_configENS1_22reduce_config_selectorIN6thrust23THRUST_200600_302600_NS5tupleIblNS6_9null_typeES8_S8_S8_S8_S8_S8_S8_EEEEZNS1_11reduce_implILb1ES3_NS6_12zip_iteratorINS7_INS6_11hip_rocprim26transform_input_iterator_tIbPsNS6_6detail10functional5actorINSH_9compositeIJNSH_27transparent_binary_operatorINS6_8equal_toIvEEEENSI_INSH_8argumentILj0EEEEENSH_5valueIsEEEEEEEEENSD_19counting_iterator_tIlEES8_S8_S8_S8_S8_S8_S8_S8_EEEEPS9_S9_NSD_9__find_if7functorIS9_EEEE10hipError_tPvRmT1_T2_T3_mT4_P12ihipStream_tbEUlT_E0_NS1_11comp_targetILNS1_3genE8ELNS1_11target_archE1030ELNS1_3gpuE2ELNS1_3repE0EEENS1_30default_config_static_selectorELNS0_4arch9wavefront6targetE1EEEvS17_
		.amdhsa_group_segment_fixed_size 0
		.amdhsa_private_segment_fixed_size 0
		.amdhsa_kernarg_size 88
		.amdhsa_user_sgpr_count 6
		.amdhsa_user_sgpr_private_segment_buffer 1
		.amdhsa_user_sgpr_dispatch_ptr 0
		.amdhsa_user_sgpr_queue_ptr 0
		.amdhsa_user_sgpr_kernarg_segment_ptr 1
		.amdhsa_user_sgpr_dispatch_id 0
		.amdhsa_user_sgpr_flat_scratch_init 0
		.amdhsa_user_sgpr_private_segment_size 0
		.amdhsa_uses_dynamic_stack 0
		.amdhsa_system_sgpr_private_segment_wavefront_offset 0
		.amdhsa_system_sgpr_workgroup_id_x 1
		.amdhsa_system_sgpr_workgroup_id_y 0
		.amdhsa_system_sgpr_workgroup_id_z 0
		.amdhsa_system_sgpr_workgroup_info 0
		.amdhsa_system_vgpr_workitem_id 0
		.amdhsa_next_free_vgpr 1
		.amdhsa_next_free_sgpr 0
		.amdhsa_reserve_vcc 0
		.amdhsa_reserve_flat_scratch 0
		.amdhsa_float_round_mode_32 0
		.amdhsa_float_round_mode_16_64 0
		.amdhsa_float_denorm_mode_32 3
		.amdhsa_float_denorm_mode_16_64 3
		.amdhsa_dx10_clamp 1
		.amdhsa_ieee_mode 1
		.amdhsa_fp16_overflow 0
		.amdhsa_exception_fp_ieee_invalid_op 0
		.amdhsa_exception_fp_denorm_src 0
		.amdhsa_exception_fp_ieee_div_zero 0
		.amdhsa_exception_fp_ieee_overflow 0
		.amdhsa_exception_fp_ieee_underflow 0
		.amdhsa_exception_fp_ieee_inexact 0
		.amdhsa_exception_int_div_zero 0
	.end_amdhsa_kernel
	.section	.text._ZN7rocprim17ROCPRIM_400000_NS6detail17trampoline_kernelINS0_14default_configENS1_22reduce_config_selectorIN6thrust23THRUST_200600_302600_NS5tupleIblNS6_9null_typeES8_S8_S8_S8_S8_S8_S8_EEEEZNS1_11reduce_implILb1ES3_NS6_12zip_iteratorINS7_INS6_11hip_rocprim26transform_input_iterator_tIbPsNS6_6detail10functional5actorINSH_9compositeIJNSH_27transparent_binary_operatorINS6_8equal_toIvEEEENSI_INSH_8argumentILj0EEEEENSH_5valueIsEEEEEEEEENSD_19counting_iterator_tIlEES8_S8_S8_S8_S8_S8_S8_S8_EEEEPS9_S9_NSD_9__find_if7functorIS9_EEEE10hipError_tPvRmT1_T2_T3_mT4_P12ihipStream_tbEUlT_E0_NS1_11comp_targetILNS1_3genE8ELNS1_11target_archE1030ELNS1_3gpuE2ELNS1_3repE0EEENS1_30default_config_static_selectorELNS0_4arch9wavefront6targetE1EEEvS17_,"axG",@progbits,_ZN7rocprim17ROCPRIM_400000_NS6detail17trampoline_kernelINS0_14default_configENS1_22reduce_config_selectorIN6thrust23THRUST_200600_302600_NS5tupleIblNS6_9null_typeES8_S8_S8_S8_S8_S8_S8_EEEEZNS1_11reduce_implILb1ES3_NS6_12zip_iteratorINS7_INS6_11hip_rocprim26transform_input_iterator_tIbPsNS6_6detail10functional5actorINSH_9compositeIJNSH_27transparent_binary_operatorINS6_8equal_toIvEEEENSI_INSH_8argumentILj0EEEEENSH_5valueIsEEEEEEEEENSD_19counting_iterator_tIlEES8_S8_S8_S8_S8_S8_S8_S8_EEEEPS9_S9_NSD_9__find_if7functorIS9_EEEE10hipError_tPvRmT1_T2_T3_mT4_P12ihipStream_tbEUlT_E0_NS1_11comp_targetILNS1_3genE8ELNS1_11target_archE1030ELNS1_3gpuE2ELNS1_3repE0EEENS1_30default_config_static_selectorELNS0_4arch9wavefront6targetE1EEEvS17_,comdat
.Lfunc_end1514:
	.size	_ZN7rocprim17ROCPRIM_400000_NS6detail17trampoline_kernelINS0_14default_configENS1_22reduce_config_selectorIN6thrust23THRUST_200600_302600_NS5tupleIblNS6_9null_typeES8_S8_S8_S8_S8_S8_S8_EEEEZNS1_11reduce_implILb1ES3_NS6_12zip_iteratorINS7_INS6_11hip_rocprim26transform_input_iterator_tIbPsNS6_6detail10functional5actorINSH_9compositeIJNSH_27transparent_binary_operatorINS6_8equal_toIvEEEENSI_INSH_8argumentILj0EEEEENSH_5valueIsEEEEEEEEENSD_19counting_iterator_tIlEES8_S8_S8_S8_S8_S8_S8_S8_EEEEPS9_S9_NSD_9__find_if7functorIS9_EEEE10hipError_tPvRmT1_T2_T3_mT4_P12ihipStream_tbEUlT_E0_NS1_11comp_targetILNS1_3genE8ELNS1_11target_archE1030ELNS1_3gpuE2ELNS1_3repE0EEENS1_30default_config_static_selectorELNS0_4arch9wavefront6targetE1EEEvS17_, .Lfunc_end1514-_ZN7rocprim17ROCPRIM_400000_NS6detail17trampoline_kernelINS0_14default_configENS1_22reduce_config_selectorIN6thrust23THRUST_200600_302600_NS5tupleIblNS6_9null_typeES8_S8_S8_S8_S8_S8_S8_EEEEZNS1_11reduce_implILb1ES3_NS6_12zip_iteratorINS7_INS6_11hip_rocprim26transform_input_iterator_tIbPsNS6_6detail10functional5actorINSH_9compositeIJNSH_27transparent_binary_operatorINS6_8equal_toIvEEEENSI_INSH_8argumentILj0EEEEENSH_5valueIsEEEEEEEEENSD_19counting_iterator_tIlEES8_S8_S8_S8_S8_S8_S8_S8_EEEEPS9_S9_NSD_9__find_if7functorIS9_EEEE10hipError_tPvRmT1_T2_T3_mT4_P12ihipStream_tbEUlT_E0_NS1_11comp_targetILNS1_3genE8ELNS1_11target_archE1030ELNS1_3gpuE2ELNS1_3repE0EEENS1_30default_config_static_selectorELNS0_4arch9wavefront6targetE1EEEvS17_
                                        ; -- End function
	.set _ZN7rocprim17ROCPRIM_400000_NS6detail17trampoline_kernelINS0_14default_configENS1_22reduce_config_selectorIN6thrust23THRUST_200600_302600_NS5tupleIblNS6_9null_typeES8_S8_S8_S8_S8_S8_S8_EEEEZNS1_11reduce_implILb1ES3_NS6_12zip_iteratorINS7_INS6_11hip_rocprim26transform_input_iterator_tIbPsNS6_6detail10functional5actorINSH_9compositeIJNSH_27transparent_binary_operatorINS6_8equal_toIvEEEENSI_INSH_8argumentILj0EEEEENSH_5valueIsEEEEEEEEENSD_19counting_iterator_tIlEES8_S8_S8_S8_S8_S8_S8_S8_EEEEPS9_S9_NSD_9__find_if7functorIS9_EEEE10hipError_tPvRmT1_T2_T3_mT4_P12ihipStream_tbEUlT_E0_NS1_11comp_targetILNS1_3genE8ELNS1_11target_archE1030ELNS1_3gpuE2ELNS1_3repE0EEENS1_30default_config_static_selectorELNS0_4arch9wavefront6targetE1EEEvS17_.num_vgpr, 0
	.set _ZN7rocprim17ROCPRIM_400000_NS6detail17trampoline_kernelINS0_14default_configENS1_22reduce_config_selectorIN6thrust23THRUST_200600_302600_NS5tupleIblNS6_9null_typeES8_S8_S8_S8_S8_S8_S8_EEEEZNS1_11reduce_implILb1ES3_NS6_12zip_iteratorINS7_INS6_11hip_rocprim26transform_input_iterator_tIbPsNS6_6detail10functional5actorINSH_9compositeIJNSH_27transparent_binary_operatorINS6_8equal_toIvEEEENSI_INSH_8argumentILj0EEEEENSH_5valueIsEEEEEEEEENSD_19counting_iterator_tIlEES8_S8_S8_S8_S8_S8_S8_S8_EEEEPS9_S9_NSD_9__find_if7functorIS9_EEEE10hipError_tPvRmT1_T2_T3_mT4_P12ihipStream_tbEUlT_E0_NS1_11comp_targetILNS1_3genE8ELNS1_11target_archE1030ELNS1_3gpuE2ELNS1_3repE0EEENS1_30default_config_static_selectorELNS0_4arch9wavefront6targetE1EEEvS17_.num_agpr, 0
	.set _ZN7rocprim17ROCPRIM_400000_NS6detail17trampoline_kernelINS0_14default_configENS1_22reduce_config_selectorIN6thrust23THRUST_200600_302600_NS5tupleIblNS6_9null_typeES8_S8_S8_S8_S8_S8_S8_EEEEZNS1_11reduce_implILb1ES3_NS6_12zip_iteratorINS7_INS6_11hip_rocprim26transform_input_iterator_tIbPsNS6_6detail10functional5actorINSH_9compositeIJNSH_27transparent_binary_operatorINS6_8equal_toIvEEEENSI_INSH_8argumentILj0EEEEENSH_5valueIsEEEEEEEEENSD_19counting_iterator_tIlEES8_S8_S8_S8_S8_S8_S8_S8_EEEEPS9_S9_NSD_9__find_if7functorIS9_EEEE10hipError_tPvRmT1_T2_T3_mT4_P12ihipStream_tbEUlT_E0_NS1_11comp_targetILNS1_3genE8ELNS1_11target_archE1030ELNS1_3gpuE2ELNS1_3repE0EEENS1_30default_config_static_selectorELNS0_4arch9wavefront6targetE1EEEvS17_.numbered_sgpr, 0
	.set _ZN7rocprim17ROCPRIM_400000_NS6detail17trampoline_kernelINS0_14default_configENS1_22reduce_config_selectorIN6thrust23THRUST_200600_302600_NS5tupleIblNS6_9null_typeES8_S8_S8_S8_S8_S8_S8_EEEEZNS1_11reduce_implILb1ES3_NS6_12zip_iteratorINS7_INS6_11hip_rocprim26transform_input_iterator_tIbPsNS6_6detail10functional5actorINSH_9compositeIJNSH_27transparent_binary_operatorINS6_8equal_toIvEEEENSI_INSH_8argumentILj0EEEEENSH_5valueIsEEEEEEEEENSD_19counting_iterator_tIlEES8_S8_S8_S8_S8_S8_S8_S8_EEEEPS9_S9_NSD_9__find_if7functorIS9_EEEE10hipError_tPvRmT1_T2_T3_mT4_P12ihipStream_tbEUlT_E0_NS1_11comp_targetILNS1_3genE8ELNS1_11target_archE1030ELNS1_3gpuE2ELNS1_3repE0EEENS1_30default_config_static_selectorELNS0_4arch9wavefront6targetE1EEEvS17_.num_named_barrier, 0
	.set _ZN7rocprim17ROCPRIM_400000_NS6detail17trampoline_kernelINS0_14default_configENS1_22reduce_config_selectorIN6thrust23THRUST_200600_302600_NS5tupleIblNS6_9null_typeES8_S8_S8_S8_S8_S8_S8_EEEEZNS1_11reduce_implILb1ES3_NS6_12zip_iteratorINS7_INS6_11hip_rocprim26transform_input_iterator_tIbPsNS6_6detail10functional5actorINSH_9compositeIJNSH_27transparent_binary_operatorINS6_8equal_toIvEEEENSI_INSH_8argumentILj0EEEEENSH_5valueIsEEEEEEEEENSD_19counting_iterator_tIlEES8_S8_S8_S8_S8_S8_S8_S8_EEEEPS9_S9_NSD_9__find_if7functorIS9_EEEE10hipError_tPvRmT1_T2_T3_mT4_P12ihipStream_tbEUlT_E0_NS1_11comp_targetILNS1_3genE8ELNS1_11target_archE1030ELNS1_3gpuE2ELNS1_3repE0EEENS1_30default_config_static_selectorELNS0_4arch9wavefront6targetE1EEEvS17_.private_seg_size, 0
	.set _ZN7rocprim17ROCPRIM_400000_NS6detail17trampoline_kernelINS0_14default_configENS1_22reduce_config_selectorIN6thrust23THRUST_200600_302600_NS5tupleIblNS6_9null_typeES8_S8_S8_S8_S8_S8_S8_EEEEZNS1_11reduce_implILb1ES3_NS6_12zip_iteratorINS7_INS6_11hip_rocprim26transform_input_iterator_tIbPsNS6_6detail10functional5actorINSH_9compositeIJNSH_27transparent_binary_operatorINS6_8equal_toIvEEEENSI_INSH_8argumentILj0EEEEENSH_5valueIsEEEEEEEEENSD_19counting_iterator_tIlEES8_S8_S8_S8_S8_S8_S8_S8_EEEEPS9_S9_NSD_9__find_if7functorIS9_EEEE10hipError_tPvRmT1_T2_T3_mT4_P12ihipStream_tbEUlT_E0_NS1_11comp_targetILNS1_3genE8ELNS1_11target_archE1030ELNS1_3gpuE2ELNS1_3repE0EEENS1_30default_config_static_selectorELNS0_4arch9wavefront6targetE1EEEvS17_.uses_vcc, 0
	.set _ZN7rocprim17ROCPRIM_400000_NS6detail17trampoline_kernelINS0_14default_configENS1_22reduce_config_selectorIN6thrust23THRUST_200600_302600_NS5tupleIblNS6_9null_typeES8_S8_S8_S8_S8_S8_S8_EEEEZNS1_11reduce_implILb1ES3_NS6_12zip_iteratorINS7_INS6_11hip_rocprim26transform_input_iterator_tIbPsNS6_6detail10functional5actorINSH_9compositeIJNSH_27transparent_binary_operatorINS6_8equal_toIvEEEENSI_INSH_8argumentILj0EEEEENSH_5valueIsEEEEEEEEENSD_19counting_iterator_tIlEES8_S8_S8_S8_S8_S8_S8_S8_EEEEPS9_S9_NSD_9__find_if7functorIS9_EEEE10hipError_tPvRmT1_T2_T3_mT4_P12ihipStream_tbEUlT_E0_NS1_11comp_targetILNS1_3genE8ELNS1_11target_archE1030ELNS1_3gpuE2ELNS1_3repE0EEENS1_30default_config_static_selectorELNS0_4arch9wavefront6targetE1EEEvS17_.uses_flat_scratch, 0
	.set _ZN7rocprim17ROCPRIM_400000_NS6detail17trampoline_kernelINS0_14default_configENS1_22reduce_config_selectorIN6thrust23THRUST_200600_302600_NS5tupleIblNS6_9null_typeES8_S8_S8_S8_S8_S8_S8_EEEEZNS1_11reduce_implILb1ES3_NS6_12zip_iteratorINS7_INS6_11hip_rocprim26transform_input_iterator_tIbPsNS6_6detail10functional5actorINSH_9compositeIJNSH_27transparent_binary_operatorINS6_8equal_toIvEEEENSI_INSH_8argumentILj0EEEEENSH_5valueIsEEEEEEEEENSD_19counting_iterator_tIlEES8_S8_S8_S8_S8_S8_S8_S8_EEEEPS9_S9_NSD_9__find_if7functorIS9_EEEE10hipError_tPvRmT1_T2_T3_mT4_P12ihipStream_tbEUlT_E0_NS1_11comp_targetILNS1_3genE8ELNS1_11target_archE1030ELNS1_3gpuE2ELNS1_3repE0EEENS1_30default_config_static_selectorELNS0_4arch9wavefront6targetE1EEEvS17_.has_dyn_sized_stack, 0
	.set _ZN7rocprim17ROCPRIM_400000_NS6detail17trampoline_kernelINS0_14default_configENS1_22reduce_config_selectorIN6thrust23THRUST_200600_302600_NS5tupleIblNS6_9null_typeES8_S8_S8_S8_S8_S8_S8_EEEEZNS1_11reduce_implILb1ES3_NS6_12zip_iteratorINS7_INS6_11hip_rocprim26transform_input_iterator_tIbPsNS6_6detail10functional5actorINSH_9compositeIJNSH_27transparent_binary_operatorINS6_8equal_toIvEEEENSI_INSH_8argumentILj0EEEEENSH_5valueIsEEEEEEEEENSD_19counting_iterator_tIlEES8_S8_S8_S8_S8_S8_S8_S8_EEEEPS9_S9_NSD_9__find_if7functorIS9_EEEE10hipError_tPvRmT1_T2_T3_mT4_P12ihipStream_tbEUlT_E0_NS1_11comp_targetILNS1_3genE8ELNS1_11target_archE1030ELNS1_3gpuE2ELNS1_3repE0EEENS1_30default_config_static_selectorELNS0_4arch9wavefront6targetE1EEEvS17_.has_recursion, 0
	.set _ZN7rocprim17ROCPRIM_400000_NS6detail17trampoline_kernelINS0_14default_configENS1_22reduce_config_selectorIN6thrust23THRUST_200600_302600_NS5tupleIblNS6_9null_typeES8_S8_S8_S8_S8_S8_S8_EEEEZNS1_11reduce_implILb1ES3_NS6_12zip_iteratorINS7_INS6_11hip_rocprim26transform_input_iterator_tIbPsNS6_6detail10functional5actorINSH_9compositeIJNSH_27transparent_binary_operatorINS6_8equal_toIvEEEENSI_INSH_8argumentILj0EEEEENSH_5valueIsEEEEEEEEENSD_19counting_iterator_tIlEES8_S8_S8_S8_S8_S8_S8_S8_EEEEPS9_S9_NSD_9__find_if7functorIS9_EEEE10hipError_tPvRmT1_T2_T3_mT4_P12ihipStream_tbEUlT_E0_NS1_11comp_targetILNS1_3genE8ELNS1_11target_archE1030ELNS1_3gpuE2ELNS1_3repE0EEENS1_30default_config_static_selectorELNS0_4arch9wavefront6targetE1EEEvS17_.has_indirect_call, 0
	.section	.AMDGPU.csdata,"",@progbits
; Kernel info:
; codeLenInByte = 0
; TotalNumSgprs: 4
; NumVgprs: 0
; ScratchSize: 0
; MemoryBound: 0
; FloatMode: 240
; IeeeMode: 1
; LDSByteSize: 0 bytes/workgroup (compile time only)
; SGPRBlocks: 0
; VGPRBlocks: 0
; NumSGPRsForWavesPerEU: 4
; NumVGPRsForWavesPerEU: 1
; Occupancy: 10
; WaveLimiterHint : 0
; COMPUTE_PGM_RSRC2:SCRATCH_EN: 0
; COMPUTE_PGM_RSRC2:USER_SGPR: 6
; COMPUTE_PGM_RSRC2:TRAP_HANDLER: 0
; COMPUTE_PGM_RSRC2:TGID_X_EN: 1
; COMPUTE_PGM_RSRC2:TGID_Y_EN: 0
; COMPUTE_PGM_RSRC2:TGID_Z_EN: 0
; COMPUTE_PGM_RSRC2:TIDIG_COMP_CNT: 0
	.section	.text._ZN7rocprim17ROCPRIM_400000_NS6detail17trampoline_kernelINS0_14default_configENS1_22reduce_config_selectorIN6thrust23THRUST_200600_302600_NS5tupleIblNS6_9null_typeES8_S8_S8_S8_S8_S8_S8_EEEEZNS1_11reduce_implILb1ES3_NS6_12zip_iteratorINS7_INS6_11hip_rocprim26transform_input_iterator_tIbPsNS6_6detail10functional5actorINSH_9compositeIJNSH_27transparent_binary_operatorINS6_8equal_toIvEEEENSI_INSH_8argumentILj0EEEEENSH_5valueIsEEEEEEEEENSD_19counting_iterator_tIlEES8_S8_S8_S8_S8_S8_S8_S8_EEEEPS9_S9_NSD_9__find_if7functorIS9_EEEE10hipError_tPvRmT1_T2_T3_mT4_P12ihipStream_tbEUlT_E1_NS1_11comp_targetILNS1_3genE0ELNS1_11target_archE4294967295ELNS1_3gpuE0ELNS1_3repE0EEENS1_30default_config_static_selectorELNS0_4arch9wavefront6targetE1EEEvS17_,"axG",@progbits,_ZN7rocprim17ROCPRIM_400000_NS6detail17trampoline_kernelINS0_14default_configENS1_22reduce_config_selectorIN6thrust23THRUST_200600_302600_NS5tupleIblNS6_9null_typeES8_S8_S8_S8_S8_S8_S8_EEEEZNS1_11reduce_implILb1ES3_NS6_12zip_iteratorINS7_INS6_11hip_rocprim26transform_input_iterator_tIbPsNS6_6detail10functional5actorINSH_9compositeIJNSH_27transparent_binary_operatorINS6_8equal_toIvEEEENSI_INSH_8argumentILj0EEEEENSH_5valueIsEEEEEEEEENSD_19counting_iterator_tIlEES8_S8_S8_S8_S8_S8_S8_S8_EEEEPS9_S9_NSD_9__find_if7functorIS9_EEEE10hipError_tPvRmT1_T2_T3_mT4_P12ihipStream_tbEUlT_E1_NS1_11comp_targetILNS1_3genE0ELNS1_11target_archE4294967295ELNS1_3gpuE0ELNS1_3repE0EEENS1_30default_config_static_selectorELNS0_4arch9wavefront6targetE1EEEvS17_,comdat
	.protected	_ZN7rocprim17ROCPRIM_400000_NS6detail17trampoline_kernelINS0_14default_configENS1_22reduce_config_selectorIN6thrust23THRUST_200600_302600_NS5tupleIblNS6_9null_typeES8_S8_S8_S8_S8_S8_S8_EEEEZNS1_11reduce_implILb1ES3_NS6_12zip_iteratorINS7_INS6_11hip_rocprim26transform_input_iterator_tIbPsNS6_6detail10functional5actorINSH_9compositeIJNSH_27transparent_binary_operatorINS6_8equal_toIvEEEENSI_INSH_8argumentILj0EEEEENSH_5valueIsEEEEEEEEENSD_19counting_iterator_tIlEES8_S8_S8_S8_S8_S8_S8_S8_EEEEPS9_S9_NSD_9__find_if7functorIS9_EEEE10hipError_tPvRmT1_T2_T3_mT4_P12ihipStream_tbEUlT_E1_NS1_11comp_targetILNS1_3genE0ELNS1_11target_archE4294967295ELNS1_3gpuE0ELNS1_3repE0EEENS1_30default_config_static_selectorELNS0_4arch9wavefront6targetE1EEEvS17_ ; -- Begin function _ZN7rocprim17ROCPRIM_400000_NS6detail17trampoline_kernelINS0_14default_configENS1_22reduce_config_selectorIN6thrust23THRUST_200600_302600_NS5tupleIblNS6_9null_typeES8_S8_S8_S8_S8_S8_S8_EEEEZNS1_11reduce_implILb1ES3_NS6_12zip_iteratorINS7_INS6_11hip_rocprim26transform_input_iterator_tIbPsNS6_6detail10functional5actorINSH_9compositeIJNSH_27transparent_binary_operatorINS6_8equal_toIvEEEENSI_INSH_8argumentILj0EEEEENSH_5valueIsEEEEEEEEENSD_19counting_iterator_tIlEES8_S8_S8_S8_S8_S8_S8_S8_EEEEPS9_S9_NSD_9__find_if7functorIS9_EEEE10hipError_tPvRmT1_T2_T3_mT4_P12ihipStream_tbEUlT_E1_NS1_11comp_targetILNS1_3genE0ELNS1_11target_archE4294967295ELNS1_3gpuE0ELNS1_3repE0EEENS1_30default_config_static_selectorELNS0_4arch9wavefront6targetE1EEEvS17_
	.globl	_ZN7rocprim17ROCPRIM_400000_NS6detail17trampoline_kernelINS0_14default_configENS1_22reduce_config_selectorIN6thrust23THRUST_200600_302600_NS5tupleIblNS6_9null_typeES8_S8_S8_S8_S8_S8_S8_EEEEZNS1_11reduce_implILb1ES3_NS6_12zip_iteratorINS7_INS6_11hip_rocprim26transform_input_iterator_tIbPsNS6_6detail10functional5actorINSH_9compositeIJNSH_27transparent_binary_operatorINS6_8equal_toIvEEEENSI_INSH_8argumentILj0EEEEENSH_5valueIsEEEEEEEEENSD_19counting_iterator_tIlEES8_S8_S8_S8_S8_S8_S8_S8_EEEEPS9_S9_NSD_9__find_if7functorIS9_EEEE10hipError_tPvRmT1_T2_T3_mT4_P12ihipStream_tbEUlT_E1_NS1_11comp_targetILNS1_3genE0ELNS1_11target_archE4294967295ELNS1_3gpuE0ELNS1_3repE0EEENS1_30default_config_static_selectorELNS0_4arch9wavefront6targetE1EEEvS17_
	.p2align	8
	.type	_ZN7rocprim17ROCPRIM_400000_NS6detail17trampoline_kernelINS0_14default_configENS1_22reduce_config_selectorIN6thrust23THRUST_200600_302600_NS5tupleIblNS6_9null_typeES8_S8_S8_S8_S8_S8_S8_EEEEZNS1_11reduce_implILb1ES3_NS6_12zip_iteratorINS7_INS6_11hip_rocprim26transform_input_iterator_tIbPsNS6_6detail10functional5actorINSH_9compositeIJNSH_27transparent_binary_operatorINS6_8equal_toIvEEEENSI_INSH_8argumentILj0EEEEENSH_5valueIsEEEEEEEEENSD_19counting_iterator_tIlEES8_S8_S8_S8_S8_S8_S8_S8_EEEEPS9_S9_NSD_9__find_if7functorIS9_EEEE10hipError_tPvRmT1_T2_T3_mT4_P12ihipStream_tbEUlT_E1_NS1_11comp_targetILNS1_3genE0ELNS1_11target_archE4294967295ELNS1_3gpuE0ELNS1_3repE0EEENS1_30default_config_static_selectorELNS0_4arch9wavefront6targetE1EEEvS17_,@function
_ZN7rocprim17ROCPRIM_400000_NS6detail17trampoline_kernelINS0_14default_configENS1_22reduce_config_selectorIN6thrust23THRUST_200600_302600_NS5tupleIblNS6_9null_typeES8_S8_S8_S8_S8_S8_S8_EEEEZNS1_11reduce_implILb1ES3_NS6_12zip_iteratorINS7_INS6_11hip_rocprim26transform_input_iterator_tIbPsNS6_6detail10functional5actorINSH_9compositeIJNSH_27transparent_binary_operatorINS6_8equal_toIvEEEENSI_INSH_8argumentILj0EEEEENSH_5valueIsEEEEEEEEENSD_19counting_iterator_tIlEES8_S8_S8_S8_S8_S8_S8_S8_EEEEPS9_S9_NSD_9__find_if7functorIS9_EEEE10hipError_tPvRmT1_T2_T3_mT4_P12ihipStream_tbEUlT_E1_NS1_11comp_targetILNS1_3genE0ELNS1_11target_archE4294967295ELNS1_3gpuE0ELNS1_3repE0EEENS1_30default_config_static_selectorELNS0_4arch9wavefront6targetE1EEEvS17_: ; @_ZN7rocprim17ROCPRIM_400000_NS6detail17trampoline_kernelINS0_14default_configENS1_22reduce_config_selectorIN6thrust23THRUST_200600_302600_NS5tupleIblNS6_9null_typeES8_S8_S8_S8_S8_S8_S8_EEEEZNS1_11reduce_implILb1ES3_NS6_12zip_iteratorINS7_INS6_11hip_rocprim26transform_input_iterator_tIbPsNS6_6detail10functional5actorINSH_9compositeIJNSH_27transparent_binary_operatorINS6_8equal_toIvEEEENSI_INSH_8argumentILj0EEEEENSH_5valueIsEEEEEEEEENSD_19counting_iterator_tIlEES8_S8_S8_S8_S8_S8_S8_S8_EEEEPS9_S9_NSD_9__find_if7functorIS9_EEEE10hipError_tPvRmT1_T2_T3_mT4_P12ihipStream_tbEUlT_E1_NS1_11comp_targetILNS1_3genE0ELNS1_11target_archE4294967295ELNS1_3gpuE0ELNS1_3repE0EEENS1_30default_config_static_selectorELNS0_4arch9wavefront6targetE1EEEvS17_
; %bb.0:
	.section	.rodata,"a",@progbits
	.p2align	6, 0x0
	.amdhsa_kernel _ZN7rocprim17ROCPRIM_400000_NS6detail17trampoline_kernelINS0_14default_configENS1_22reduce_config_selectorIN6thrust23THRUST_200600_302600_NS5tupleIblNS6_9null_typeES8_S8_S8_S8_S8_S8_S8_EEEEZNS1_11reduce_implILb1ES3_NS6_12zip_iteratorINS7_INS6_11hip_rocprim26transform_input_iterator_tIbPsNS6_6detail10functional5actorINSH_9compositeIJNSH_27transparent_binary_operatorINS6_8equal_toIvEEEENSI_INSH_8argumentILj0EEEEENSH_5valueIsEEEEEEEEENSD_19counting_iterator_tIlEES8_S8_S8_S8_S8_S8_S8_S8_EEEEPS9_S9_NSD_9__find_if7functorIS9_EEEE10hipError_tPvRmT1_T2_T3_mT4_P12ihipStream_tbEUlT_E1_NS1_11comp_targetILNS1_3genE0ELNS1_11target_archE4294967295ELNS1_3gpuE0ELNS1_3repE0EEENS1_30default_config_static_selectorELNS0_4arch9wavefront6targetE1EEEvS17_
		.amdhsa_group_segment_fixed_size 0
		.amdhsa_private_segment_fixed_size 0
		.amdhsa_kernarg_size 72
		.amdhsa_user_sgpr_count 6
		.amdhsa_user_sgpr_private_segment_buffer 1
		.amdhsa_user_sgpr_dispatch_ptr 0
		.amdhsa_user_sgpr_queue_ptr 0
		.amdhsa_user_sgpr_kernarg_segment_ptr 1
		.amdhsa_user_sgpr_dispatch_id 0
		.amdhsa_user_sgpr_flat_scratch_init 0
		.amdhsa_user_sgpr_private_segment_size 0
		.amdhsa_uses_dynamic_stack 0
		.amdhsa_system_sgpr_private_segment_wavefront_offset 0
		.amdhsa_system_sgpr_workgroup_id_x 1
		.amdhsa_system_sgpr_workgroup_id_y 0
		.amdhsa_system_sgpr_workgroup_id_z 0
		.amdhsa_system_sgpr_workgroup_info 0
		.amdhsa_system_vgpr_workitem_id 0
		.amdhsa_next_free_vgpr 1
		.amdhsa_next_free_sgpr 0
		.amdhsa_reserve_vcc 0
		.amdhsa_reserve_flat_scratch 0
		.amdhsa_float_round_mode_32 0
		.amdhsa_float_round_mode_16_64 0
		.amdhsa_float_denorm_mode_32 3
		.amdhsa_float_denorm_mode_16_64 3
		.amdhsa_dx10_clamp 1
		.amdhsa_ieee_mode 1
		.amdhsa_fp16_overflow 0
		.amdhsa_exception_fp_ieee_invalid_op 0
		.amdhsa_exception_fp_denorm_src 0
		.amdhsa_exception_fp_ieee_div_zero 0
		.amdhsa_exception_fp_ieee_overflow 0
		.amdhsa_exception_fp_ieee_underflow 0
		.amdhsa_exception_fp_ieee_inexact 0
		.amdhsa_exception_int_div_zero 0
	.end_amdhsa_kernel
	.section	.text._ZN7rocprim17ROCPRIM_400000_NS6detail17trampoline_kernelINS0_14default_configENS1_22reduce_config_selectorIN6thrust23THRUST_200600_302600_NS5tupleIblNS6_9null_typeES8_S8_S8_S8_S8_S8_S8_EEEEZNS1_11reduce_implILb1ES3_NS6_12zip_iteratorINS7_INS6_11hip_rocprim26transform_input_iterator_tIbPsNS6_6detail10functional5actorINSH_9compositeIJNSH_27transparent_binary_operatorINS6_8equal_toIvEEEENSI_INSH_8argumentILj0EEEEENSH_5valueIsEEEEEEEEENSD_19counting_iterator_tIlEES8_S8_S8_S8_S8_S8_S8_S8_EEEEPS9_S9_NSD_9__find_if7functorIS9_EEEE10hipError_tPvRmT1_T2_T3_mT4_P12ihipStream_tbEUlT_E1_NS1_11comp_targetILNS1_3genE0ELNS1_11target_archE4294967295ELNS1_3gpuE0ELNS1_3repE0EEENS1_30default_config_static_selectorELNS0_4arch9wavefront6targetE1EEEvS17_,"axG",@progbits,_ZN7rocprim17ROCPRIM_400000_NS6detail17trampoline_kernelINS0_14default_configENS1_22reduce_config_selectorIN6thrust23THRUST_200600_302600_NS5tupleIblNS6_9null_typeES8_S8_S8_S8_S8_S8_S8_EEEEZNS1_11reduce_implILb1ES3_NS6_12zip_iteratorINS7_INS6_11hip_rocprim26transform_input_iterator_tIbPsNS6_6detail10functional5actorINSH_9compositeIJNSH_27transparent_binary_operatorINS6_8equal_toIvEEEENSI_INSH_8argumentILj0EEEEENSH_5valueIsEEEEEEEEENSD_19counting_iterator_tIlEES8_S8_S8_S8_S8_S8_S8_S8_EEEEPS9_S9_NSD_9__find_if7functorIS9_EEEE10hipError_tPvRmT1_T2_T3_mT4_P12ihipStream_tbEUlT_E1_NS1_11comp_targetILNS1_3genE0ELNS1_11target_archE4294967295ELNS1_3gpuE0ELNS1_3repE0EEENS1_30default_config_static_selectorELNS0_4arch9wavefront6targetE1EEEvS17_,comdat
.Lfunc_end1515:
	.size	_ZN7rocprim17ROCPRIM_400000_NS6detail17trampoline_kernelINS0_14default_configENS1_22reduce_config_selectorIN6thrust23THRUST_200600_302600_NS5tupleIblNS6_9null_typeES8_S8_S8_S8_S8_S8_S8_EEEEZNS1_11reduce_implILb1ES3_NS6_12zip_iteratorINS7_INS6_11hip_rocprim26transform_input_iterator_tIbPsNS6_6detail10functional5actorINSH_9compositeIJNSH_27transparent_binary_operatorINS6_8equal_toIvEEEENSI_INSH_8argumentILj0EEEEENSH_5valueIsEEEEEEEEENSD_19counting_iterator_tIlEES8_S8_S8_S8_S8_S8_S8_S8_EEEEPS9_S9_NSD_9__find_if7functorIS9_EEEE10hipError_tPvRmT1_T2_T3_mT4_P12ihipStream_tbEUlT_E1_NS1_11comp_targetILNS1_3genE0ELNS1_11target_archE4294967295ELNS1_3gpuE0ELNS1_3repE0EEENS1_30default_config_static_selectorELNS0_4arch9wavefront6targetE1EEEvS17_, .Lfunc_end1515-_ZN7rocprim17ROCPRIM_400000_NS6detail17trampoline_kernelINS0_14default_configENS1_22reduce_config_selectorIN6thrust23THRUST_200600_302600_NS5tupleIblNS6_9null_typeES8_S8_S8_S8_S8_S8_S8_EEEEZNS1_11reduce_implILb1ES3_NS6_12zip_iteratorINS7_INS6_11hip_rocprim26transform_input_iterator_tIbPsNS6_6detail10functional5actorINSH_9compositeIJNSH_27transparent_binary_operatorINS6_8equal_toIvEEEENSI_INSH_8argumentILj0EEEEENSH_5valueIsEEEEEEEEENSD_19counting_iterator_tIlEES8_S8_S8_S8_S8_S8_S8_S8_EEEEPS9_S9_NSD_9__find_if7functorIS9_EEEE10hipError_tPvRmT1_T2_T3_mT4_P12ihipStream_tbEUlT_E1_NS1_11comp_targetILNS1_3genE0ELNS1_11target_archE4294967295ELNS1_3gpuE0ELNS1_3repE0EEENS1_30default_config_static_selectorELNS0_4arch9wavefront6targetE1EEEvS17_
                                        ; -- End function
	.set _ZN7rocprim17ROCPRIM_400000_NS6detail17trampoline_kernelINS0_14default_configENS1_22reduce_config_selectorIN6thrust23THRUST_200600_302600_NS5tupleIblNS6_9null_typeES8_S8_S8_S8_S8_S8_S8_EEEEZNS1_11reduce_implILb1ES3_NS6_12zip_iteratorINS7_INS6_11hip_rocprim26transform_input_iterator_tIbPsNS6_6detail10functional5actorINSH_9compositeIJNSH_27transparent_binary_operatorINS6_8equal_toIvEEEENSI_INSH_8argumentILj0EEEEENSH_5valueIsEEEEEEEEENSD_19counting_iterator_tIlEES8_S8_S8_S8_S8_S8_S8_S8_EEEEPS9_S9_NSD_9__find_if7functorIS9_EEEE10hipError_tPvRmT1_T2_T3_mT4_P12ihipStream_tbEUlT_E1_NS1_11comp_targetILNS1_3genE0ELNS1_11target_archE4294967295ELNS1_3gpuE0ELNS1_3repE0EEENS1_30default_config_static_selectorELNS0_4arch9wavefront6targetE1EEEvS17_.num_vgpr, 0
	.set _ZN7rocprim17ROCPRIM_400000_NS6detail17trampoline_kernelINS0_14default_configENS1_22reduce_config_selectorIN6thrust23THRUST_200600_302600_NS5tupleIblNS6_9null_typeES8_S8_S8_S8_S8_S8_S8_EEEEZNS1_11reduce_implILb1ES3_NS6_12zip_iteratorINS7_INS6_11hip_rocprim26transform_input_iterator_tIbPsNS6_6detail10functional5actorINSH_9compositeIJNSH_27transparent_binary_operatorINS6_8equal_toIvEEEENSI_INSH_8argumentILj0EEEEENSH_5valueIsEEEEEEEEENSD_19counting_iterator_tIlEES8_S8_S8_S8_S8_S8_S8_S8_EEEEPS9_S9_NSD_9__find_if7functorIS9_EEEE10hipError_tPvRmT1_T2_T3_mT4_P12ihipStream_tbEUlT_E1_NS1_11comp_targetILNS1_3genE0ELNS1_11target_archE4294967295ELNS1_3gpuE0ELNS1_3repE0EEENS1_30default_config_static_selectorELNS0_4arch9wavefront6targetE1EEEvS17_.num_agpr, 0
	.set _ZN7rocprim17ROCPRIM_400000_NS6detail17trampoline_kernelINS0_14default_configENS1_22reduce_config_selectorIN6thrust23THRUST_200600_302600_NS5tupleIblNS6_9null_typeES8_S8_S8_S8_S8_S8_S8_EEEEZNS1_11reduce_implILb1ES3_NS6_12zip_iteratorINS7_INS6_11hip_rocprim26transform_input_iterator_tIbPsNS6_6detail10functional5actorINSH_9compositeIJNSH_27transparent_binary_operatorINS6_8equal_toIvEEEENSI_INSH_8argumentILj0EEEEENSH_5valueIsEEEEEEEEENSD_19counting_iterator_tIlEES8_S8_S8_S8_S8_S8_S8_S8_EEEEPS9_S9_NSD_9__find_if7functorIS9_EEEE10hipError_tPvRmT1_T2_T3_mT4_P12ihipStream_tbEUlT_E1_NS1_11comp_targetILNS1_3genE0ELNS1_11target_archE4294967295ELNS1_3gpuE0ELNS1_3repE0EEENS1_30default_config_static_selectorELNS0_4arch9wavefront6targetE1EEEvS17_.numbered_sgpr, 0
	.set _ZN7rocprim17ROCPRIM_400000_NS6detail17trampoline_kernelINS0_14default_configENS1_22reduce_config_selectorIN6thrust23THRUST_200600_302600_NS5tupleIblNS6_9null_typeES8_S8_S8_S8_S8_S8_S8_EEEEZNS1_11reduce_implILb1ES3_NS6_12zip_iteratorINS7_INS6_11hip_rocprim26transform_input_iterator_tIbPsNS6_6detail10functional5actorINSH_9compositeIJNSH_27transparent_binary_operatorINS6_8equal_toIvEEEENSI_INSH_8argumentILj0EEEEENSH_5valueIsEEEEEEEEENSD_19counting_iterator_tIlEES8_S8_S8_S8_S8_S8_S8_S8_EEEEPS9_S9_NSD_9__find_if7functorIS9_EEEE10hipError_tPvRmT1_T2_T3_mT4_P12ihipStream_tbEUlT_E1_NS1_11comp_targetILNS1_3genE0ELNS1_11target_archE4294967295ELNS1_3gpuE0ELNS1_3repE0EEENS1_30default_config_static_selectorELNS0_4arch9wavefront6targetE1EEEvS17_.num_named_barrier, 0
	.set _ZN7rocprim17ROCPRIM_400000_NS6detail17trampoline_kernelINS0_14default_configENS1_22reduce_config_selectorIN6thrust23THRUST_200600_302600_NS5tupleIblNS6_9null_typeES8_S8_S8_S8_S8_S8_S8_EEEEZNS1_11reduce_implILb1ES3_NS6_12zip_iteratorINS7_INS6_11hip_rocprim26transform_input_iterator_tIbPsNS6_6detail10functional5actorINSH_9compositeIJNSH_27transparent_binary_operatorINS6_8equal_toIvEEEENSI_INSH_8argumentILj0EEEEENSH_5valueIsEEEEEEEEENSD_19counting_iterator_tIlEES8_S8_S8_S8_S8_S8_S8_S8_EEEEPS9_S9_NSD_9__find_if7functorIS9_EEEE10hipError_tPvRmT1_T2_T3_mT4_P12ihipStream_tbEUlT_E1_NS1_11comp_targetILNS1_3genE0ELNS1_11target_archE4294967295ELNS1_3gpuE0ELNS1_3repE0EEENS1_30default_config_static_selectorELNS0_4arch9wavefront6targetE1EEEvS17_.private_seg_size, 0
	.set _ZN7rocprim17ROCPRIM_400000_NS6detail17trampoline_kernelINS0_14default_configENS1_22reduce_config_selectorIN6thrust23THRUST_200600_302600_NS5tupleIblNS6_9null_typeES8_S8_S8_S8_S8_S8_S8_EEEEZNS1_11reduce_implILb1ES3_NS6_12zip_iteratorINS7_INS6_11hip_rocprim26transform_input_iterator_tIbPsNS6_6detail10functional5actorINSH_9compositeIJNSH_27transparent_binary_operatorINS6_8equal_toIvEEEENSI_INSH_8argumentILj0EEEEENSH_5valueIsEEEEEEEEENSD_19counting_iterator_tIlEES8_S8_S8_S8_S8_S8_S8_S8_EEEEPS9_S9_NSD_9__find_if7functorIS9_EEEE10hipError_tPvRmT1_T2_T3_mT4_P12ihipStream_tbEUlT_E1_NS1_11comp_targetILNS1_3genE0ELNS1_11target_archE4294967295ELNS1_3gpuE0ELNS1_3repE0EEENS1_30default_config_static_selectorELNS0_4arch9wavefront6targetE1EEEvS17_.uses_vcc, 0
	.set _ZN7rocprim17ROCPRIM_400000_NS6detail17trampoline_kernelINS0_14default_configENS1_22reduce_config_selectorIN6thrust23THRUST_200600_302600_NS5tupleIblNS6_9null_typeES8_S8_S8_S8_S8_S8_S8_EEEEZNS1_11reduce_implILb1ES3_NS6_12zip_iteratorINS7_INS6_11hip_rocprim26transform_input_iterator_tIbPsNS6_6detail10functional5actorINSH_9compositeIJNSH_27transparent_binary_operatorINS6_8equal_toIvEEEENSI_INSH_8argumentILj0EEEEENSH_5valueIsEEEEEEEEENSD_19counting_iterator_tIlEES8_S8_S8_S8_S8_S8_S8_S8_EEEEPS9_S9_NSD_9__find_if7functorIS9_EEEE10hipError_tPvRmT1_T2_T3_mT4_P12ihipStream_tbEUlT_E1_NS1_11comp_targetILNS1_3genE0ELNS1_11target_archE4294967295ELNS1_3gpuE0ELNS1_3repE0EEENS1_30default_config_static_selectorELNS0_4arch9wavefront6targetE1EEEvS17_.uses_flat_scratch, 0
	.set _ZN7rocprim17ROCPRIM_400000_NS6detail17trampoline_kernelINS0_14default_configENS1_22reduce_config_selectorIN6thrust23THRUST_200600_302600_NS5tupleIblNS6_9null_typeES8_S8_S8_S8_S8_S8_S8_EEEEZNS1_11reduce_implILb1ES3_NS6_12zip_iteratorINS7_INS6_11hip_rocprim26transform_input_iterator_tIbPsNS6_6detail10functional5actorINSH_9compositeIJNSH_27transparent_binary_operatorINS6_8equal_toIvEEEENSI_INSH_8argumentILj0EEEEENSH_5valueIsEEEEEEEEENSD_19counting_iterator_tIlEES8_S8_S8_S8_S8_S8_S8_S8_EEEEPS9_S9_NSD_9__find_if7functorIS9_EEEE10hipError_tPvRmT1_T2_T3_mT4_P12ihipStream_tbEUlT_E1_NS1_11comp_targetILNS1_3genE0ELNS1_11target_archE4294967295ELNS1_3gpuE0ELNS1_3repE0EEENS1_30default_config_static_selectorELNS0_4arch9wavefront6targetE1EEEvS17_.has_dyn_sized_stack, 0
	.set _ZN7rocprim17ROCPRIM_400000_NS6detail17trampoline_kernelINS0_14default_configENS1_22reduce_config_selectorIN6thrust23THRUST_200600_302600_NS5tupleIblNS6_9null_typeES8_S8_S8_S8_S8_S8_S8_EEEEZNS1_11reduce_implILb1ES3_NS6_12zip_iteratorINS7_INS6_11hip_rocprim26transform_input_iterator_tIbPsNS6_6detail10functional5actorINSH_9compositeIJNSH_27transparent_binary_operatorINS6_8equal_toIvEEEENSI_INSH_8argumentILj0EEEEENSH_5valueIsEEEEEEEEENSD_19counting_iterator_tIlEES8_S8_S8_S8_S8_S8_S8_S8_EEEEPS9_S9_NSD_9__find_if7functorIS9_EEEE10hipError_tPvRmT1_T2_T3_mT4_P12ihipStream_tbEUlT_E1_NS1_11comp_targetILNS1_3genE0ELNS1_11target_archE4294967295ELNS1_3gpuE0ELNS1_3repE0EEENS1_30default_config_static_selectorELNS0_4arch9wavefront6targetE1EEEvS17_.has_recursion, 0
	.set _ZN7rocprim17ROCPRIM_400000_NS6detail17trampoline_kernelINS0_14default_configENS1_22reduce_config_selectorIN6thrust23THRUST_200600_302600_NS5tupleIblNS6_9null_typeES8_S8_S8_S8_S8_S8_S8_EEEEZNS1_11reduce_implILb1ES3_NS6_12zip_iteratorINS7_INS6_11hip_rocprim26transform_input_iterator_tIbPsNS6_6detail10functional5actorINSH_9compositeIJNSH_27transparent_binary_operatorINS6_8equal_toIvEEEENSI_INSH_8argumentILj0EEEEENSH_5valueIsEEEEEEEEENSD_19counting_iterator_tIlEES8_S8_S8_S8_S8_S8_S8_S8_EEEEPS9_S9_NSD_9__find_if7functorIS9_EEEE10hipError_tPvRmT1_T2_T3_mT4_P12ihipStream_tbEUlT_E1_NS1_11comp_targetILNS1_3genE0ELNS1_11target_archE4294967295ELNS1_3gpuE0ELNS1_3repE0EEENS1_30default_config_static_selectorELNS0_4arch9wavefront6targetE1EEEvS17_.has_indirect_call, 0
	.section	.AMDGPU.csdata,"",@progbits
; Kernel info:
; codeLenInByte = 0
; TotalNumSgprs: 4
; NumVgprs: 0
; ScratchSize: 0
; MemoryBound: 0
; FloatMode: 240
; IeeeMode: 1
; LDSByteSize: 0 bytes/workgroup (compile time only)
; SGPRBlocks: 0
; VGPRBlocks: 0
; NumSGPRsForWavesPerEU: 4
; NumVGPRsForWavesPerEU: 1
; Occupancy: 10
; WaveLimiterHint : 0
; COMPUTE_PGM_RSRC2:SCRATCH_EN: 0
; COMPUTE_PGM_RSRC2:USER_SGPR: 6
; COMPUTE_PGM_RSRC2:TRAP_HANDLER: 0
; COMPUTE_PGM_RSRC2:TGID_X_EN: 1
; COMPUTE_PGM_RSRC2:TGID_Y_EN: 0
; COMPUTE_PGM_RSRC2:TGID_Z_EN: 0
; COMPUTE_PGM_RSRC2:TIDIG_COMP_CNT: 0
	.section	.text._ZN7rocprim17ROCPRIM_400000_NS6detail17trampoline_kernelINS0_14default_configENS1_22reduce_config_selectorIN6thrust23THRUST_200600_302600_NS5tupleIblNS6_9null_typeES8_S8_S8_S8_S8_S8_S8_EEEEZNS1_11reduce_implILb1ES3_NS6_12zip_iteratorINS7_INS6_11hip_rocprim26transform_input_iterator_tIbPsNS6_6detail10functional5actorINSH_9compositeIJNSH_27transparent_binary_operatorINS6_8equal_toIvEEEENSI_INSH_8argumentILj0EEEEENSH_5valueIsEEEEEEEEENSD_19counting_iterator_tIlEES8_S8_S8_S8_S8_S8_S8_S8_EEEEPS9_S9_NSD_9__find_if7functorIS9_EEEE10hipError_tPvRmT1_T2_T3_mT4_P12ihipStream_tbEUlT_E1_NS1_11comp_targetILNS1_3genE5ELNS1_11target_archE942ELNS1_3gpuE9ELNS1_3repE0EEENS1_30default_config_static_selectorELNS0_4arch9wavefront6targetE1EEEvS17_,"axG",@progbits,_ZN7rocprim17ROCPRIM_400000_NS6detail17trampoline_kernelINS0_14default_configENS1_22reduce_config_selectorIN6thrust23THRUST_200600_302600_NS5tupleIblNS6_9null_typeES8_S8_S8_S8_S8_S8_S8_EEEEZNS1_11reduce_implILb1ES3_NS6_12zip_iteratorINS7_INS6_11hip_rocprim26transform_input_iterator_tIbPsNS6_6detail10functional5actorINSH_9compositeIJNSH_27transparent_binary_operatorINS6_8equal_toIvEEEENSI_INSH_8argumentILj0EEEEENSH_5valueIsEEEEEEEEENSD_19counting_iterator_tIlEES8_S8_S8_S8_S8_S8_S8_S8_EEEEPS9_S9_NSD_9__find_if7functorIS9_EEEE10hipError_tPvRmT1_T2_T3_mT4_P12ihipStream_tbEUlT_E1_NS1_11comp_targetILNS1_3genE5ELNS1_11target_archE942ELNS1_3gpuE9ELNS1_3repE0EEENS1_30default_config_static_selectorELNS0_4arch9wavefront6targetE1EEEvS17_,comdat
	.protected	_ZN7rocprim17ROCPRIM_400000_NS6detail17trampoline_kernelINS0_14default_configENS1_22reduce_config_selectorIN6thrust23THRUST_200600_302600_NS5tupleIblNS6_9null_typeES8_S8_S8_S8_S8_S8_S8_EEEEZNS1_11reduce_implILb1ES3_NS6_12zip_iteratorINS7_INS6_11hip_rocprim26transform_input_iterator_tIbPsNS6_6detail10functional5actorINSH_9compositeIJNSH_27transparent_binary_operatorINS6_8equal_toIvEEEENSI_INSH_8argumentILj0EEEEENSH_5valueIsEEEEEEEEENSD_19counting_iterator_tIlEES8_S8_S8_S8_S8_S8_S8_S8_EEEEPS9_S9_NSD_9__find_if7functorIS9_EEEE10hipError_tPvRmT1_T2_T3_mT4_P12ihipStream_tbEUlT_E1_NS1_11comp_targetILNS1_3genE5ELNS1_11target_archE942ELNS1_3gpuE9ELNS1_3repE0EEENS1_30default_config_static_selectorELNS0_4arch9wavefront6targetE1EEEvS17_ ; -- Begin function _ZN7rocprim17ROCPRIM_400000_NS6detail17trampoline_kernelINS0_14default_configENS1_22reduce_config_selectorIN6thrust23THRUST_200600_302600_NS5tupleIblNS6_9null_typeES8_S8_S8_S8_S8_S8_S8_EEEEZNS1_11reduce_implILb1ES3_NS6_12zip_iteratorINS7_INS6_11hip_rocprim26transform_input_iterator_tIbPsNS6_6detail10functional5actorINSH_9compositeIJNSH_27transparent_binary_operatorINS6_8equal_toIvEEEENSI_INSH_8argumentILj0EEEEENSH_5valueIsEEEEEEEEENSD_19counting_iterator_tIlEES8_S8_S8_S8_S8_S8_S8_S8_EEEEPS9_S9_NSD_9__find_if7functorIS9_EEEE10hipError_tPvRmT1_T2_T3_mT4_P12ihipStream_tbEUlT_E1_NS1_11comp_targetILNS1_3genE5ELNS1_11target_archE942ELNS1_3gpuE9ELNS1_3repE0EEENS1_30default_config_static_selectorELNS0_4arch9wavefront6targetE1EEEvS17_
	.globl	_ZN7rocprim17ROCPRIM_400000_NS6detail17trampoline_kernelINS0_14default_configENS1_22reduce_config_selectorIN6thrust23THRUST_200600_302600_NS5tupleIblNS6_9null_typeES8_S8_S8_S8_S8_S8_S8_EEEEZNS1_11reduce_implILb1ES3_NS6_12zip_iteratorINS7_INS6_11hip_rocprim26transform_input_iterator_tIbPsNS6_6detail10functional5actorINSH_9compositeIJNSH_27transparent_binary_operatorINS6_8equal_toIvEEEENSI_INSH_8argumentILj0EEEEENSH_5valueIsEEEEEEEEENSD_19counting_iterator_tIlEES8_S8_S8_S8_S8_S8_S8_S8_EEEEPS9_S9_NSD_9__find_if7functorIS9_EEEE10hipError_tPvRmT1_T2_T3_mT4_P12ihipStream_tbEUlT_E1_NS1_11comp_targetILNS1_3genE5ELNS1_11target_archE942ELNS1_3gpuE9ELNS1_3repE0EEENS1_30default_config_static_selectorELNS0_4arch9wavefront6targetE1EEEvS17_
	.p2align	8
	.type	_ZN7rocprim17ROCPRIM_400000_NS6detail17trampoline_kernelINS0_14default_configENS1_22reduce_config_selectorIN6thrust23THRUST_200600_302600_NS5tupleIblNS6_9null_typeES8_S8_S8_S8_S8_S8_S8_EEEEZNS1_11reduce_implILb1ES3_NS6_12zip_iteratorINS7_INS6_11hip_rocprim26transform_input_iterator_tIbPsNS6_6detail10functional5actorINSH_9compositeIJNSH_27transparent_binary_operatorINS6_8equal_toIvEEEENSI_INSH_8argumentILj0EEEEENSH_5valueIsEEEEEEEEENSD_19counting_iterator_tIlEES8_S8_S8_S8_S8_S8_S8_S8_EEEEPS9_S9_NSD_9__find_if7functorIS9_EEEE10hipError_tPvRmT1_T2_T3_mT4_P12ihipStream_tbEUlT_E1_NS1_11comp_targetILNS1_3genE5ELNS1_11target_archE942ELNS1_3gpuE9ELNS1_3repE0EEENS1_30default_config_static_selectorELNS0_4arch9wavefront6targetE1EEEvS17_,@function
_ZN7rocprim17ROCPRIM_400000_NS6detail17trampoline_kernelINS0_14default_configENS1_22reduce_config_selectorIN6thrust23THRUST_200600_302600_NS5tupleIblNS6_9null_typeES8_S8_S8_S8_S8_S8_S8_EEEEZNS1_11reduce_implILb1ES3_NS6_12zip_iteratorINS7_INS6_11hip_rocprim26transform_input_iterator_tIbPsNS6_6detail10functional5actorINSH_9compositeIJNSH_27transparent_binary_operatorINS6_8equal_toIvEEEENSI_INSH_8argumentILj0EEEEENSH_5valueIsEEEEEEEEENSD_19counting_iterator_tIlEES8_S8_S8_S8_S8_S8_S8_S8_EEEEPS9_S9_NSD_9__find_if7functorIS9_EEEE10hipError_tPvRmT1_T2_T3_mT4_P12ihipStream_tbEUlT_E1_NS1_11comp_targetILNS1_3genE5ELNS1_11target_archE942ELNS1_3gpuE9ELNS1_3repE0EEENS1_30default_config_static_selectorELNS0_4arch9wavefront6targetE1EEEvS17_: ; @_ZN7rocprim17ROCPRIM_400000_NS6detail17trampoline_kernelINS0_14default_configENS1_22reduce_config_selectorIN6thrust23THRUST_200600_302600_NS5tupleIblNS6_9null_typeES8_S8_S8_S8_S8_S8_S8_EEEEZNS1_11reduce_implILb1ES3_NS6_12zip_iteratorINS7_INS6_11hip_rocprim26transform_input_iterator_tIbPsNS6_6detail10functional5actorINSH_9compositeIJNSH_27transparent_binary_operatorINS6_8equal_toIvEEEENSI_INSH_8argumentILj0EEEEENSH_5valueIsEEEEEEEEENSD_19counting_iterator_tIlEES8_S8_S8_S8_S8_S8_S8_S8_EEEEPS9_S9_NSD_9__find_if7functorIS9_EEEE10hipError_tPvRmT1_T2_T3_mT4_P12ihipStream_tbEUlT_E1_NS1_11comp_targetILNS1_3genE5ELNS1_11target_archE942ELNS1_3gpuE9ELNS1_3repE0EEENS1_30default_config_static_selectorELNS0_4arch9wavefront6targetE1EEEvS17_
; %bb.0:
	.section	.rodata,"a",@progbits
	.p2align	6, 0x0
	.amdhsa_kernel _ZN7rocprim17ROCPRIM_400000_NS6detail17trampoline_kernelINS0_14default_configENS1_22reduce_config_selectorIN6thrust23THRUST_200600_302600_NS5tupleIblNS6_9null_typeES8_S8_S8_S8_S8_S8_S8_EEEEZNS1_11reduce_implILb1ES3_NS6_12zip_iteratorINS7_INS6_11hip_rocprim26transform_input_iterator_tIbPsNS6_6detail10functional5actorINSH_9compositeIJNSH_27transparent_binary_operatorINS6_8equal_toIvEEEENSI_INSH_8argumentILj0EEEEENSH_5valueIsEEEEEEEEENSD_19counting_iterator_tIlEES8_S8_S8_S8_S8_S8_S8_S8_EEEEPS9_S9_NSD_9__find_if7functorIS9_EEEE10hipError_tPvRmT1_T2_T3_mT4_P12ihipStream_tbEUlT_E1_NS1_11comp_targetILNS1_3genE5ELNS1_11target_archE942ELNS1_3gpuE9ELNS1_3repE0EEENS1_30default_config_static_selectorELNS0_4arch9wavefront6targetE1EEEvS17_
		.amdhsa_group_segment_fixed_size 0
		.amdhsa_private_segment_fixed_size 0
		.amdhsa_kernarg_size 72
		.amdhsa_user_sgpr_count 6
		.amdhsa_user_sgpr_private_segment_buffer 1
		.amdhsa_user_sgpr_dispatch_ptr 0
		.amdhsa_user_sgpr_queue_ptr 0
		.amdhsa_user_sgpr_kernarg_segment_ptr 1
		.amdhsa_user_sgpr_dispatch_id 0
		.amdhsa_user_sgpr_flat_scratch_init 0
		.amdhsa_user_sgpr_private_segment_size 0
		.amdhsa_uses_dynamic_stack 0
		.amdhsa_system_sgpr_private_segment_wavefront_offset 0
		.amdhsa_system_sgpr_workgroup_id_x 1
		.amdhsa_system_sgpr_workgroup_id_y 0
		.amdhsa_system_sgpr_workgroup_id_z 0
		.amdhsa_system_sgpr_workgroup_info 0
		.amdhsa_system_vgpr_workitem_id 0
		.amdhsa_next_free_vgpr 1
		.amdhsa_next_free_sgpr 0
		.amdhsa_reserve_vcc 0
		.amdhsa_reserve_flat_scratch 0
		.amdhsa_float_round_mode_32 0
		.amdhsa_float_round_mode_16_64 0
		.amdhsa_float_denorm_mode_32 3
		.amdhsa_float_denorm_mode_16_64 3
		.amdhsa_dx10_clamp 1
		.amdhsa_ieee_mode 1
		.amdhsa_fp16_overflow 0
		.amdhsa_exception_fp_ieee_invalid_op 0
		.amdhsa_exception_fp_denorm_src 0
		.amdhsa_exception_fp_ieee_div_zero 0
		.amdhsa_exception_fp_ieee_overflow 0
		.amdhsa_exception_fp_ieee_underflow 0
		.amdhsa_exception_fp_ieee_inexact 0
		.amdhsa_exception_int_div_zero 0
	.end_amdhsa_kernel
	.section	.text._ZN7rocprim17ROCPRIM_400000_NS6detail17trampoline_kernelINS0_14default_configENS1_22reduce_config_selectorIN6thrust23THRUST_200600_302600_NS5tupleIblNS6_9null_typeES8_S8_S8_S8_S8_S8_S8_EEEEZNS1_11reduce_implILb1ES3_NS6_12zip_iteratorINS7_INS6_11hip_rocprim26transform_input_iterator_tIbPsNS6_6detail10functional5actorINSH_9compositeIJNSH_27transparent_binary_operatorINS6_8equal_toIvEEEENSI_INSH_8argumentILj0EEEEENSH_5valueIsEEEEEEEEENSD_19counting_iterator_tIlEES8_S8_S8_S8_S8_S8_S8_S8_EEEEPS9_S9_NSD_9__find_if7functorIS9_EEEE10hipError_tPvRmT1_T2_T3_mT4_P12ihipStream_tbEUlT_E1_NS1_11comp_targetILNS1_3genE5ELNS1_11target_archE942ELNS1_3gpuE9ELNS1_3repE0EEENS1_30default_config_static_selectorELNS0_4arch9wavefront6targetE1EEEvS17_,"axG",@progbits,_ZN7rocprim17ROCPRIM_400000_NS6detail17trampoline_kernelINS0_14default_configENS1_22reduce_config_selectorIN6thrust23THRUST_200600_302600_NS5tupleIblNS6_9null_typeES8_S8_S8_S8_S8_S8_S8_EEEEZNS1_11reduce_implILb1ES3_NS6_12zip_iteratorINS7_INS6_11hip_rocprim26transform_input_iterator_tIbPsNS6_6detail10functional5actorINSH_9compositeIJNSH_27transparent_binary_operatorINS6_8equal_toIvEEEENSI_INSH_8argumentILj0EEEEENSH_5valueIsEEEEEEEEENSD_19counting_iterator_tIlEES8_S8_S8_S8_S8_S8_S8_S8_EEEEPS9_S9_NSD_9__find_if7functorIS9_EEEE10hipError_tPvRmT1_T2_T3_mT4_P12ihipStream_tbEUlT_E1_NS1_11comp_targetILNS1_3genE5ELNS1_11target_archE942ELNS1_3gpuE9ELNS1_3repE0EEENS1_30default_config_static_selectorELNS0_4arch9wavefront6targetE1EEEvS17_,comdat
.Lfunc_end1516:
	.size	_ZN7rocprim17ROCPRIM_400000_NS6detail17trampoline_kernelINS0_14default_configENS1_22reduce_config_selectorIN6thrust23THRUST_200600_302600_NS5tupleIblNS6_9null_typeES8_S8_S8_S8_S8_S8_S8_EEEEZNS1_11reduce_implILb1ES3_NS6_12zip_iteratorINS7_INS6_11hip_rocprim26transform_input_iterator_tIbPsNS6_6detail10functional5actorINSH_9compositeIJNSH_27transparent_binary_operatorINS6_8equal_toIvEEEENSI_INSH_8argumentILj0EEEEENSH_5valueIsEEEEEEEEENSD_19counting_iterator_tIlEES8_S8_S8_S8_S8_S8_S8_S8_EEEEPS9_S9_NSD_9__find_if7functorIS9_EEEE10hipError_tPvRmT1_T2_T3_mT4_P12ihipStream_tbEUlT_E1_NS1_11comp_targetILNS1_3genE5ELNS1_11target_archE942ELNS1_3gpuE9ELNS1_3repE0EEENS1_30default_config_static_selectorELNS0_4arch9wavefront6targetE1EEEvS17_, .Lfunc_end1516-_ZN7rocprim17ROCPRIM_400000_NS6detail17trampoline_kernelINS0_14default_configENS1_22reduce_config_selectorIN6thrust23THRUST_200600_302600_NS5tupleIblNS6_9null_typeES8_S8_S8_S8_S8_S8_S8_EEEEZNS1_11reduce_implILb1ES3_NS6_12zip_iteratorINS7_INS6_11hip_rocprim26transform_input_iterator_tIbPsNS6_6detail10functional5actorINSH_9compositeIJNSH_27transparent_binary_operatorINS6_8equal_toIvEEEENSI_INSH_8argumentILj0EEEEENSH_5valueIsEEEEEEEEENSD_19counting_iterator_tIlEES8_S8_S8_S8_S8_S8_S8_S8_EEEEPS9_S9_NSD_9__find_if7functorIS9_EEEE10hipError_tPvRmT1_T2_T3_mT4_P12ihipStream_tbEUlT_E1_NS1_11comp_targetILNS1_3genE5ELNS1_11target_archE942ELNS1_3gpuE9ELNS1_3repE0EEENS1_30default_config_static_selectorELNS0_4arch9wavefront6targetE1EEEvS17_
                                        ; -- End function
	.set _ZN7rocprim17ROCPRIM_400000_NS6detail17trampoline_kernelINS0_14default_configENS1_22reduce_config_selectorIN6thrust23THRUST_200600_302600_NS5tupleIblNS6_9null_typeES8_S8_S8_S8_S8_S8_S8_EEEEZNS1_11reduce_implILb1ES3_NS6_12zip_iteratorINS7_INS6_11hip_rocprim26transform_input_iterator_tIbPsNS6_6detail10functional5actorINSH_9compositeIJNSH_27transparent_binary_operatorINS6_8equal_toIvEEEENSI_INSH_8argumentILj0EEEEENSH_5valueIsEEEEEEEEENSD_19counting_iterator_tIlEES8_S8_S8_S8_S8_S8_S8_S8_EEEEPS9_S9_NSD_9__find_if7functorIS9_EEEE10hipError_tPvRmT1_T2_T3_mT4_P12ihipStream_tbEUlT_E1_NS1_11comp_targetILNS1_3genE5ELNS1_11target_archE942ELNS1_3gpuE9ELNS1_3repE0EEENS1_30default_config_static_selectorELNS0_4arch9wavefront6targetE1EEEvS17_.num_vgpr, 0
	.set _ZN7rocprim17ROCPRIM_400000_NS6detail17trampoline_kernelINS0_14default_configENS1_22reduce_config_selectorIN6thrust23THRUST_200600_302600_NS5tupleIblNS6_9null_typeES8_S8_S8_S8_S8_S8_S8_EEEEZNS1_11reduce_implILb1ES3_NS6_12zip_iteratorINS7_INS6_11hip_rocprim26transform_input_iterator_tIbPsNS6_6detail10functional5actorINSH_9compositeIJNSH_27transparent_binary_operatorINS6_8equal_toIvEEEENSI_INSH_8argumentILj0EEEEENSH_5valueIsEEEEEEEEENSD_19counting_iterator_tIlEES8_S8_S8_S8_S8_S8_S8_S8_EEEEPS9_S9_NSD_9__find_if7functorIS9_EEEE10hipError_tPvRmT1_T2_T3_mT4_P12ihipStream_tbEUlT_E1_NS1_11comp_targetILNS1_3genE5ELNS1_11target_archE942ELNS1_3gpuE9ELNS1_3repE0EEENS1_30default_config_static_selectorELNS0_4arch9wavefront6targetE1EEEvS17_.num_agpr, 0
	.set _ZN7rocprim17ROCPRIM_400000_NS6detail17trampoline_kernelINS0_14default_configENS1_22reduce_config_selectorIN6thrust23THRUST_200600_302600_NS5tupleIblNS6_9null_typeES8_S8_S8_S8_S8_S8_S8_EEEEZNS1_11reduce_implILb1ES3_NS6_12zip_iteratorINS7_INS6_11hip_rocprim26transform_input_iterator_tIbPsNS6_6detail10functional5actorINSH_9compositeIJNSH_27transparent_binary_operatorINS6_8equal_toIvEEEENSI_INSH_8argumentILj0EEEEENSH_5valueIsEEEEEEEEENSD_19counting_iterator_tIlEES8_S8_S8_S8_S8_S8_S8_S8_EEEEPS9_S9_NSD_9__find_if7functorIS9_EEEE10hipError_tPvRmT1_T2_T3_mT4_P12ihipStream_tbEUlT_E1_NS1_11comp_targetILNS1_3genE5ELNS1_11target_archE942ELNS1_3gpuE9ELNS1_3repE0EEENS1_30default_config_static_selectorELNS0_4arch9wavefront6targetE1EEEvS17_.numbered_sgpr, 0
	.set _ZN7rocprim17ROCPRIM_400000_NS6detail17trampoline_kernelINS0_14default_configENS1_22reduce_config_selectorIN6thrust23THRUST_200600_302600_NS5tupleIblNS6_9null_typeES8_S8_S8_S8_S8_S8_S8_EEEEZNS1_11reduce_implILb1ES3_NS6_12zip_iteratorINS7_INS6_11hip_rocprim26transform_input_iterator_tIbPsNS6_6detail10functional5actorINSH_9compositeIJNSH_27transparent_binary_operatorINS6_8equal_toIvEEEENSI_INSH_8argumentILj0EEEEENSH_5valueIsEEEEEEEEENSD_19counting_iterator_tIlEES8_S8_S8_S8_S8_S8_S8_S8_EEEEPS9_S9_NSD_9__find_if7functorIS9_EEEE10hipError_tPvRmT1_T2_T3_mT4_P12ihipStream_tbEUlT_E1_NS1_11comp_targetILNS1_3genE5ELNS1_11target_archE942ELNS1_3gpuE9ELNS1_3repE0EEENS1_30default_config_static_selectorELNS0_4arch9wavefront6targetE1EEEvS17_.num_named_barrier, 0
	.set _ZN7rocprim17ROCPRIM_400000_NS6detail17trampoline_kernelINS0_14default_configENS1_22reduce_config_selectorIN6thrust23THRUST_200600_302600_NS5tupleIblNS6_9null_typeES8_S8_S8_S8_S8_S8_S8_EEEEZNS1_11reduce_implILb1ES3_NS6_12zip_iteratorINS7_INS6_11hip_rocprim26transform_input_iterator_tIbPsNS6_6detail10functional5actorINSH_9compositeIJNSH_27transparent_binary_operatorINS6_8equal_toIvEEEENSI_INSH_8argumentILj0EEEEENSH_5valueIsEEEEEEEEENSD_19counting_iterator_tIlEES8_S8_S8_S8_S8_S8_S8_S8_EEEEPS9_S9_NSD_9__find_if7functorIS9_EEEE10hipError_tPvRmT1_T2_T3_mT4_P12ihipStream_tbEUlT_E1_NS1_11comp_targetILNS1_3genE5ELNS1_11target_archE942ELNS1_3gpuE9ELNS1_3repE0EEENS1_30default_config_static_selectorELNS0_4arch9wavefront6targetE1EEEvS17_.private_seg_size, 0
	.set _ZN7rocprim17ROCPRIM_400000_NS6detail17trampoline_kernelINS0_14default_configENS1_22reduce_config_selectorIN6thrust23THRUST_200600_302600_NS5tupleIblNS6_9null_typeES8_S8_S8_S8_S8_S8_S8_EEEEZNS1_11reduce_implILb1ES3_NS6_12zip_iteratorINS7_INS6_11hip_rocprim26transform_input_iterator_tIbPsNS6_6detail10functional5actorINSH_9compositeIJNSH_27transparent_binary_operatorINS6_8equal_toIvEEEENSI_INSH_8argumentILj0EEEEENSH_5valueIsEEEEEEEEENSD_19counting_iterator_tIlEES8_S8_S8_S8_S8_S8_S8_S8_EEEEPS9_S9_NSD_9__find_if7functorIS9_EEEE10hipError_tPvRmT1_T2_T3_mT4_P12ihipStream_tbEUlT_E1_NS1_11comp_targetILNS1_3genE5ELNS1_11target_archE942ELNS1_3gpuE9ELNS1_3repE0EEENS1_30default_config_static_selectorELNS0_4arch9wavefront6targetE1EEEvS17_.uses_vcc, 0
	.set _ZN7rocprim17ROCPRIM_400000_NS6detail17trampoline_kernelINS0_14default_configENS1_22reduce_config_selectorIN6thrust23THRUST_200600_302600_NS5tupleIblNS6_9null_typeES8_S8_S8_S8_S8_S8_S8_EEEEZNS1_11reduce_implILb1ES3_NS6_12zip_iteratorINS7_INS6_11hip_rocprim26transform_input_iterator_tIbPsNS6_6detail10functional5actorINSH_9compositeIJNSH_27transparent_binary_operatorINS6_8equal_toIvEEEENSI_INSH_8argumentILj0EEEEENSH_5valueIsEEEEEEEEENSD_19counting_iterator_tIlEES8_S8_S8_S8_S8_S8_S8_S8_EEEEPS9_S9_NSD_9__find_if7functorIS9_EEEE10hipError_tPvRmT1_T2_T3_mT4_P12ihipStream_tbEUlT_E1_NS1_11comp_targetILNS1_3genE5ELNS1_11target_archE942ELNS1_3gpuE9ELNS1_3repE0EEENS1_30default_config_static_selectorELNS0_4arch9wavefront6targetE1EEEvS17_.uses_flat_scratch, 0
	.set _ZN7rocprim17ROCPRIM_400000_NS6detail17trampoline_kernelINS0_14default_configENS1_22reduce_config_selectorIN6thrust23THRUST_200600_302600_NS5tupleIblNS6_9null_typeES8_S8_S8_S8_S8_S8_S8_EEEEZNS1_11reduce_implILb1ES3_NS6_12zip_iteratorINS7_INS6_11hip_rocprim26transform_input_iterator_tIbPsNS6_6detail10functional5actorINSH_9compositeIJNSH_27transparent_binary_operatorINS6_8equal_toIvEEEENSI_INSH_8argumentILj0EEEEENSH_5valueIsEEEEEEEEENSD_19counting_iterator_tIlEES8_S8_S8_S8_S8_S8_S8_S8_EEEEPS9_S9_NSD_9__find_if7functorIS9_EEEE10hipError_tPvRmT1_T2_T3_mT4_P12ihipStream_tbEUlT_E1_NS1_11comp_targetILNS1_3genE5ELNS1_11target_archE942ELNS1_3gpuE9ELNS1_3repE0EEENS1_30default_config_static_selectorELNS0_4arch9wavefront6targetE1EEEvS17_.has_dyn_sized_stack, 0
	.set _ZN7rocprim17ROCPRIM_400000_NS6detail17trampoline_kernelINS0_14default_configENS1_22reduce_config_selectorIN6thrust23THRUST_200600_302600_NS5tupleIblNS6_9null_typeES8_S8_S8_S8_S8_S8_S8_EEEEZNS1_11reduce_implILb1ES3_NS6_12zip_iteratorINS7_INS6_11hip_rocprim26transform_input_iterator_tIbPsNS6_6detail10functional5actorINSH_9compositeIJNSH_27transparent_binary_operatorINS6_8equal_toIvEEEENSI_INSH_8argumentILj0EEEEENSH_5valueIsEEEEEEEEENSD_19counting_iterator_tIlEES8_S8_S8_S8_S8_S8_S8_S8_EEEEPS9_S9_NSD_9__find_if7functorIS9_EEEE10hipError_tPvRmT1_T2_T3_mT4_P12ihipStream_tbEUlT_E1_NS1_11comp_targetILNS1_3genE5ELNS1_11target_archE942ELNS1_3gpuE9ELNS1_3repE0EEENS1_30default_config_static_selectorELNS0_4arch9wavefront6targetE1EEEvS17_.has_recursion, 0
	.set _ZN7rocprim17ROCPRIM_400000_NS6detail17trampoline_kernelINS0_14default_configENS1_22reduce_config_selectorIN6thrust23THRUST_200600_302600_NS5tupleIblNS6_9null_typeES8_S8_S8_S8_S8_S8_S8_EEEEZNS1_11reduce_implILb1ES3_NS6_12zip_iteratorINS7_INS6_11hip_rocprim26transform_input_iterator_tIbPsNS6_6detail10functional5actorINSH_9compositeIJNSH_27transparent_binary_operatorINS6_8equal_toIvEEEENSI_INSH_8argumentILj0EEEEENSH_5valueIsEEEEEEEEENSD_19counting_iterator_tIlEES8_S8_S8_S8_S8_S8_S8_S8_EEEEPS9_S9_NSD_9__find_if7functorIS9_EEEE10hipError_tPvRmT1_T2_T3_mT4_P12ihipStream_tbEUlT_E1_NS1_11comp_targetILNS1_3genE5ELNS1_11target_archE942ELNS1_3gpuE9ELNS1_3repE0EEENS1_30default_config_static_selectorELNS0_4arch9wavefront6targetE1EEEvS17_.has_indirect_call, 0
	.section	.AMDGPU.csdata,"",@progbits
; Kernel info:
; codeLenInByte = 0
; TotalNumSgprs: 4
; NumVgprs: 0
; ScratchSize: 0
; MemoryBound: 0
; FloatMode: 240
; IeeeMode: 1
; LDSByteSize: 0 bytes/workgroup (compile time only)
; SGPRBlocks: 0
; VGPRBlocks: 0
; NumSGPRsForWavesPerEU: 4
; NumVGPRsForWavesPerEU: 1
; Occupancy: 10
; WaveLimiterHint : 0
; COMPUTE_PGM_RSRC2:SCRATCH_EN: 0
; COMPUTE_PGM_RSRC2:USER_SGPR: 6
; COMPUTE_PGM_RSRC2:TRAP_HANDLER: 0
; COMPUTE_PGM_RSRC2:TGID_X_EN: 1
; COMPUTE_PGM_RSRC2:TGID_Y_EN: 0
; COMPUTE_PGM_RSRC2:TGID_Z_EN: 0
; COMPUTE_PGM_RSRC2:TIDIG_COMP_CNT: 0
	.section	.text._ZN7rocprim17ROCPRIM_400000_NS6detail17trampoline_kernelINS0_14default_configENS1_22reduce_config_selectorIN6thrust23THRUST_200600_302600_NS5tupleIblNS6_9null_typeES8_S8_S8_S8_S8_S8_S8_EEEEZNS1_11reduce_implILb1ES3_NS6_12zip_iteratorINS7_INS6_11hip_rocprim26transform_input_iterator_tIbPsNS6_6detail10functional5actorINSH_9compositeIJNSH_27transparent_binary_operatorINS6_8equal_toIvEEEENSI_INSH_8argumentILj0EEEEENSH_5valueIsEEEEEEEEENSD_19counting_iterator_tIlEES8_S8_S8_S8_S8_S8_S8_S8_EEEEPS9_S9_NSD_9__find_if7functorIS9_EEEE10hipError_tPvRmT1_T2_T3_mT4_P12ihipStream_tbEUlT_E1_NS1_11comp_targetILNS1_3genE4ELNS1_11target_archE910ELNS1_3gpuE8ELNS1_3repE0EEENS1_30default_config_static_selectorELNS0_4arch9wavefront6targetE1EEEvS17_,"axG",@progbits,_ZN7rocprim17ROCPRIM_400000_NS6detail17trampoline_kernelINS0_14default_configENS1_22reduce_config_selectorIN6thrust23THRUST_200600_302600_NS5tupleIblNS6_9null_typeES8_S8_S8_S8_S8_S8_S8_EEEEZNS1_11reduce_implILb1ES3_NS6_12zip_iteratorINS7_INS6_11hip_rocprim26transform_input_iterator_tIbPsNS6_6detail10functional5actorINSH_9compositeIJNSH_27transparent_binary_operatorINS6_8equal_toIvEEEENSI_INSH_8argumentILj0EEEEENSH_5valueIsEEEEEEEEENSD_19counting_iterator_tIlEES8_S8_S8_S8_S8_S8_S8_S8_EEEEPS9_S9_NSD_9__find_if7functorIS9_EEEE10hipError_tPvRmT1_T2_T3_mT4_P12ihipStream_tbEUlT_E1_NS1_11comp_targetILNS1_3genE4ELNS1_11target_archE910ELNS1_3gpuE8ELNS1_3repE0EEENS1_30default_config_static_selectorELNS0_4arch9wavefront6targetE1EEEvS17_,comdat
	.protected	_ZN7rocprim17ROCPRIM_400000_NS6detail17trampoline_kernelINS0_14default_configENS1_22reduce_config_selectorIN6thrust23THRUST_200600_302600_NS5tupleIblNS6_9null_typeES8_S8_S8_S8_S8_S8_S8_EEEEZNS1_11reduce_implILb1ES3_NS6_12zip_iteratorINS7_INS6_11hip_rocprim26transform_input_iterator_tIbPsNS6_6detail10functional5actorINSH_9compositeIJNSH_27transparent_binary_operatorINS6_8equal_toIvEEEENSI_INSH_8argumentILj0EEEEENSH_5valueIsEEEEEEEEENSD_19counting_iterator_tIlEES8_S8_S8_S8_S8_S8_S8_S8_EEEEPS9_S9_NSD_9__find_if7functorIS9_EEEE10hipError_tPvRmT1_T2_T3_mT4_P12ihipStream_tbEUlT_E1_NS1_11comp_targetILNS1_3genE4ELNS1_11target_archE910ELNS1_3gpuE8ELNS1_3repE0EEENS1_30default_config_static_selectorELNS0_4arch9wavefront6targetE1EEEvS17_ ; -- Begin function _ZN7rocprim17ROCPRIM_400000_NS6detail17trampoline_kernelINS0_14default_configENS1_22reduce_config_selectorIN6thrust23THRUST_200600_302600_NS5tupleIblNS6_9null_typeES8_S8_S8_S8_S8_S8_S8_EEEEZNS1_11reduce_implILb1ES3_NS6_12zip_iteratorINS7_INS6_11hip_rocprim26transform_input_iterator_tIbPsNS6_6detail10functional5actorINSH_9compositeIJNSH_27transparent_binary_operatorINS6_8equal_toIvEEEENSI_INSH_8argumentILj0EEEEENSH_5valueIsEEEEEEEEENSD_19counting_iterator_tIlEES8_S8_S8_S8_S8_S8_S8_S8_EEEEPS9_S9_NSD_9__find_if7functorIS9_EEEE10hipError_tPvRmT1_T2_T3_mT4_P12ihipStream_tbEUlT_E1_NS1_11comp_targetILNS1_3genE4ELNS1_11target_archE910ELNS1_3gpuE8ELNS1_3repE0EEENS1_30default_config_static_selectorELNS0_4arch9wavefront6targetE1EEEvS17_
	.globl	_ZN7rocprim17ROCPRIM_400000_NS6detail17trampoline_kernelINS0_14default_configENS1_22reduce_config_selectorIN6thrust23THRUST_200600_302600_NS5tupleIblNS6_9null_typeES8_S8_S8_S8_S8_S8_S8_EEEEZNS1_11reduce_implILb1ES3_NS6_12zip_iteratorINS7_INS6_11hip_rocprim26transform_input_iterator_tIbPsNS6_6detail10functional5actorINSH_9compositeIJNSH_27transparent_binary_operatorINS6_8equal_toIvEEEENSI_INSH_8argumentILj0EEEEENSH_5valueIsEEEEEEEEENSD_19counting_iterator_tIlEES8_S8_S8_S8_S8_S8_S8_S8_EEEEPS9_S9_NSD_9__find_if7functorIS9_EEEE10hipError_tPvRmT1_T2_T3_mT4_P12ihipStream_tbEUlT_E1_NS1_11comp_targetILNS1_3genE4ELNS1_11target_archE910ELNS1_3gpuE8ELNS1_3repE0EEENS1_30default_config_static_selectorELNS0_4arch9wavefront6targetE1EEEvS17_
	.p2align	8
	.type	_ZN7rocprim17ROCPRIM_400000_NS6detail17trampoline_kernelINS0_14default_configENS1_22reduce_config_selectorIN6thrust23THRUST_200600_302600_NS5tupleIblNS6_9null_typeES8_S8_S8_S8_S8_S8_S8_EEEEZNS1_11reduce_implILb1ES3_NS6_12zip_iteratorINS7_INS6_11hip_rocprim26transform_input_iterator_tIbPsNS6_6detail10functional5actorINSH_9compositeIJNSH_27transparent_binary_operatorINS6_8equal_toIvEEEENSI_INSH_8argumentILj0EEEEENSH_5valueIsEEEEEEEEENSD_19counting_iterator_tIlEES8_S8_S8_S8_S8_S8_S8_S8_EEEEPS9_S9_NSD_9__find_if7functorIS9_EEEE10hipError_tPvRmT1_T2_T3_mT4_P12ihipStream_tbEUlT_E1_NS1_11comp_targetILNS1_3genE4ELNS1_11target_archE910ELNS1_3gpuE8ELNS1_3repE0EEENS1_30default_config_static_selectorELNS0_4arch9wavefront6targetE1EEEvS17_,@function
_ZN7rocprim17ROCPRIM_400000_NS6detail17trampoline_kernelINS0_14default_configENS1_22reduce_config_selectorIN6thrust23THRUST_200600_302600_NS5tupleIblNS6_9null_typeES8_S8_S8_S8_S8_S8_S8_EEEEZNS1_11reduce_implILb1ES3_NS6_12zip_iteratorINS7_INS6_11hip_rocprim26transform_input_iterator_tIbPsNS6_6detail10functional5actorINSH_9compositeIJNSH_27transparent_binary_operatorINS6_8equal_toIvEEEENSI_INSH_8argumentILj0EEEEENSH_5valueIsEEEEEEEEENSD_19counting_iterator_tIlEES8_S8_S8_S8_S8_S8_S8_S8_EEEEPS9_S9_NSD_9__find_if7functorIS9_EEEE10hipError_tPvRmT1_T2_T3_mT4_P12ihipStream_tbEUlT_E1_NS1_11comp_targetILNS1_3genE4ELNS1_11target_archE910ELNS1_3gpuE8ELNS1_3repE0EEENS1_30default_config_static_selectorELNS0_4arch9wavefront6targetE1EEEvS17_: ; @_ZN7rocprim17ROCPRIM_400000_NS6detail17trampoline_kernelINS0_14default_configENS1_22reduce_config_selectorIN6thrust23THRUST_200600_302600_NS5tupleIblNS6_9null_typeES8_S8_S8_S8_S8_S8_S8_EEEEZNS1_11reduce_implILb1ES3_NS6_12zip_iteratorINS7_INS6_11hip_rocprim26transform_input_iterator_tIbPsNS6_6detail10functional5actorINSH_9compositeIJNSH_27transparent_binary_operatorINS6_8equal_toIvEEEENSI_INSH_8argumentILj0EEEEENSH_5valueIsEEEEEEEEENSD_19counting_iterator_tIlEES8_S8_S8_S8_S8_S8_S8_S8_EEEEPS9_S9_NSD_9__find_if7functorIS9_EEEE10hipError_tPvRmT1_T2_T3_mT4_P12ihipStream_tbEUlT_E1_NS1_11comp_targetILNS1_3genE4ELNS1_11target_archE910ELNS1_3gpuE8ELNS1_3repE0EEENS1_30default_config_static_selectorELNS0_4arch9wavefront6targetE1EEEvS17_
; %bb.0:
	.section	.rodata,"a",@progbits
	.p2align	6, 0x0
	.amdhsa_kernel _ZN7rocprim17ROCPRIM_400000_NS6detail17trampoline_kernelINS0_14default_configENS1_22reduce_config_selectorIN6thrust23THRUST_200600_302600_NS5tupleIblNS6_9null_typeES8_S8_S8_S8_S8_S8_S8_EEEEZNS1_11reduce_implILb1ES3_NS6_12zip_iteratorINS7_INS6_11hip_rocprim26transform_input_iterator_tIbPsNS6_6detail10functional5actorINSH_9compositeIJNSH_27transparent_binary_operatorINS6_8equal_toIvEEEENSI_INSH_8argumentILj0EEEEENSH_5valueIsEEEEEEEEENSD_19counting_iterator_tIlEES8_S8_S8_S8_S8_S8_S8_S8_EEEEPS9_S9_NSD_9__find_if7functorIS9_EEEE10hipError_tPvRmT1_T2_T3_mT4_P12ihipStream_tbEUlT_E1_NS1_11comp_targetILNS1_3genE4ELNS1_11target_archE910ELNS1_3gpuE8ELNS1_3repE0EEENS1_30default_config_static_selectorELNS0_4arch9wavefront6targetE1EEEvS17_
		.amdhsa_group_segment_fixed_size 0
		.amdhsa_private_segment_fixed_size 0
		.amdhsa_kernarg_size 72
		.amdhsa_user_sgpr_count 6
		.amdhsa_user_sgpr_private_segment_buffer 1
		.amdhsa_user_sgpr_dispatch_ptr 0
		.amdhsa_user_sgpr_queue_ptr 0
		.amdhsa_user_sgpr_kernarg_segment_ptr 1
		.amdhsa_user_sgpr_dispatch_id 0
		.amdhsa_user_sgpr_flat_scratch_init 0
		.amdhsa_user_sgpr_private_segment_size 0
		.amdhsa_uses_dynamic_stack 0
		.amdhsa_system_sgpr_private_segment_wavefront_offset 0
		.amdhsa_system_sgpr_workgroup_id_x 1
		.amdhsa_system_sgpr_workgroup_id_y 0
		.amdhsa_system_sgpr_workgroup_id_z 0
		.amdhsa_system_sgpr_workgroup_info 0
		.amdhsa_system_vgpr_workitem_id 0
		.amdhsa_next_free_vgpr 1
		.amdhsa_next_free_sgpr 0
		.amdhsa_reserve_vcc 0
		.amdhsa_reserve_flat_scratch 0
		.amdhsa_float_round_mode_32 0
		.amdhsa_float_round_mode_16_64 0
		.amdhsa_float_denorm_mode_32 3
		.amdhsa_float_denorm_mode_16_64 3
		.amdhsa_dx10_clamp 1
		.amdhsa_ieee_mode 1
		.amdhsa_fp16_overflow 0
		.amdhsa_exception_fp_ieee_invalid_op 0
		.amdhsa_exception_fp_denorm_src 0
		.amdhsa_exception_fp_ieee_div_zero 0
		.amdhsa_exception_fp_ieee_overflow 0
		.amdhsa_exception_fp_ieee_underflow 0
		.amdhsa_exception_fp_ieee_inexact 0
		.amdhsa_exception_int_div_zero 0
	.end_amdhsa_kernel
	.section	.text._ZN7rocprim17ROCPRIM_400000_NS6detail17trampoline_kernelINS0_14default_configENS1_22reduce_config_selectorIN6thrust23THRUST_200600_302600_NS5tupleIblNS6_9null_typeES8_S8_S8_S8_S8_S8_S8_EEEEZNS1_11reduce_implILb1ES3_NS6_12zip_iteratorINS7_INS6_11hip_rocprim26transform_input_iterator_tIbPsNS6_6detail10functional5actorINSH_9compositeIJNSH_27transparent_binary_operatorINS6_8equal_toIvEEEENSI_INSH_8argumentILj0EEEEENSH_5valueIsEEEEEEEEENSD_19counting_iterator_tIlEES8_S8_S8_S8_S8_S8_S8_S8_EEEEPS9_S9_NSD_9__find_if7functorIS9_EEEE10hipError_tPvRmT1_T2_T3_mT4_P12ihipStream_tbEUlT_E1_NS1_11comp_targetILNS1_3genE4ELNS1_11target_archE910ELNS1_3gpuE8ELNS1_3repE0EEENS1_30default_config_static_selectorELNS0_4arch9wavefront6targetE1EEEvS17_,"axG",@progbits,_ZN7rocprim17ROCPRIM_400000_NS6detail17trampoline_kernelINS0_14default_configENS1_22reduce_config_selectorIN6thrust23THRUST_200600_302600_NS5tupleIblNS6_9null_typeES8_S8_S8_S8_S8_S8_S8_EEEEZNS1_11reduce_implILb1ES3_NS6_12zip_iteratorINS7_INS6_11hip_rocprim26transform_input_iterator_tIbPsNS6_6detail10functional5actorINSH_9compositeIJNSH_27transparent_binary_operatorINS6_8equal_toIvEEEENSI_INSH_8argumentILj0EEEEENSH_5valueIsEEEEEEEEENSD_19counting_iterator_tIlEES8_S8_S8_S8_S8_S8_S8_S8_EEEEPS9_S9_NSD_9__find_if7functorIS9_EEEE10hipError_tPvRmT1_T2_T3_mT4_P12ihipStream_tbEUlT_E1_NS1_11comp_targetILNS1_3genE4ELNS1_11target_archE910ELNS1_3gpuE8ELNS1_3repE0EEENS1_30default_config_static_selectorELNS0_4arch9wavefront6targetE1EEEvS17_,comdat
.Lfunc_end1517:
	.size	_ZN7rocprim17ROCPRIM_400000_NS6detail17trampoline_kernelINS0_14default_configENS1_22reduce_config_selectorIN6thrust23THRUST_200600_302600_NS5tupleIblNS6_9null_typeES8_S8_S8_S8_S8_S8_S8_EEEEZNS1_11reduce_implILb1ES3_NS6_12zip_iteratorINS7_INS6_11hip_rocprim26transform_input_iterator_tIbPsNS6_6detail10functional5actorINSH_9compositeIJNSH_27transparent_binary_operatorINS6_8equal_toIvEEEENSI_INSH_8argumentILj0EEEEENSH_5valueIsEEEEEEEEENSD_19counting_iterator_tIlEES8_S8_S8_S8_S8_S8_S8_S8_EEEEPS9_S9_NSD_9__find_if7functorIS9_EEEE10hipError_tPvRmT1_T2_T3_mT4_P12ihipStream_tbEUlT_E1_NS1_11comp_targetILNS1_3genE4ELNS1_11target_archE910ELNS1_3gpuE8ELNS1_3repE0EEENS1_30default_config_static_selectorELNS0_4arch9wavefront6targetE1EEEvS17_, .Lfunc_end1517-_ZN7rocprim17ROCPRIM_400000_NS6detail17trampoline_kernelINS0_14default_configENS1_22reduce_config_selectorIN6thrust23THRUST_200600_302600_NS5tupleIblNS6_9null_typeES8_S8_S8_S8_S8_S8_S8_EEEEZNS1_11reduce_implILb1ES3_NS6_12zip_iteratorINS7_INS6_11hip_rocprim26transform_input_iterator_tIbPsNS6_6detail10functional5actorINSH_9compositeIJNSH_27transparent_binary_operatorINS6_8equal_toIvEEEENSI_INSH_8argumentILj0EEEEENSH_5valueIsEEEEEEEEENSD_19counting_iterator_tIlEES8_S8_S8_S8_S8_S8_S8_S8_EEEEPS9_S9_NSD_9__find_if7functorIS9_EEEE10hipError_tPvRmT1_T2_T3_mT4_P12ihipStream_tbEUlT_E1_NS1_11comp_targetILNS1_3genE4ELNS1_11target_archE910ELNS1_3gpuE8ELNS1_3repE0EEENS1_30default_config_static_selectorELNS0_4arch9wavefront6targetE1EEEvS17_
                                        ; -- End function
	.set _ZN7rocprim17ROCPRIM_400000_NS6detail17trampoline_kernelINS0_14default_configENS1_22reduce_config_selectorIN6thrust23THRUST_200600_302600_NS5tupleIblNS6_9null_typeES8_S8_S8_S8_S8_S8_S8_EEEEZNS1_11reduce_implILb1ES3_NS6_12zip_iteratorINS7_INS6_11hip_rocprim26transform_input_iterator_tIbPsNS6_6detail10functional5actorINSH_9compositeIJNSH_27transparent_binary_operatorINS6_8equal_toIvEEEENSI_INSH_8argumentILj0EEEEENSH_5valueIsEEEEEEEEENSD_19counting_iterator_tIlEES8_S8_S8_S8_S8_S8_S8_S8_EEEEPS9_S9_NSD_9__find_if7functorIS9_EEEE10hipError_tPvRmT1_T2_T3_mT4_P12ihipStream_tbEUlT_E1_NS1_11comp_targetILNS1_3genE4ELNS1_11target_archE910ELNS1_3gpuE8ELNS1_3repE0EEENS1_30default_config_static_selectorELNS0_4arch9wavefront6targetE1EEEvS17_.num_vgpr, 0
	.set _ZN7rocprim17ROCPRIM_400000_NS6detail17trampoline_kernelINS0_14default_configENS1_22reduce_config_selectorIN6thrust23THRUST_200600_302600_NS5tupleIblNS6_9null_typeES8_S8_S8_S8_S8_S8_S8_EEEEZNS1_11reduce_implILb1ES3_NS6_12zip_iteratorINS7_INS6_11hip_rocprim26transform_input_iterator_tIbPsNS6_6detail10functional5actorINSH_9compositeIJNSH_27transparent_binary_operatorINS6_8equal_toIvEEEENSI_INSH_8argumentILj0EEEEENSH_5valueIsEEEEEEEEENSD_19counting_iterator_tIlEES8_S8_S8_S8_S8_S8_S8_S8_EEEEPS9_S9_NSD_9__find_if7functorIS9_EEEE10hipError_tPvRmT1_T2_T3_mT4_P12ihipStream_tbEUlT_E1_NS1_11comp_targetILNS1_3genE4ELNS1_11target_archE910ELNS1_3gpuE8ELNS1_3repE0EEENS1_30default_config_static_selectorELNS0_4arch9wavefront6targetE1EEEvS17_.num_agpr, 0
	.set _ZN7rocprim17ROCPRIM_400000_NS6detail17trampoline_kernelINS0_14default_configENS1_22reduce_config_selectorIN6thrust23THRUST_200600_302600_NS5tupleIblNS6_9null_typeES8_S8_S8_S8_S8_S8_S8_EEEEZNS1_11reduce_implILb1ES3_NS6_12zip_iteratorINS7_INS6_11hip_rocprim26transform_input_iterator_tIbPsNS6_6detail10functional5actorINSH_9compositeIJNSH_27transparent_binary_operatorINS6_8equal_toIvEEEENSI_INSH_8argumentILj0EEEEENSH_5valueIsEEEEEEEEENSD_19counting_iterator_tIlEES8_S8_S8_S8_S8_S8_S8_S8_EEEEPS9_S9_NSD_9__find_if7functorIS9_EEEE10hipError_tPvRmT1_T2_T3_mT4_P12ihipStream_tbEUlT_E1_NS1_11comp_targetILNS1_3genE4ELNS1_11target_archE910ELNS1_3gpuE8ELNS1_3repE0EEENS1_30default_config_static_selectorELNS0_4arch9wavefront6targetE1EEEvS17_.numbered_sgpr, 0
	.set _ZN7rocprim17ROCPRIM_400000_NS6detail17trampoline_kernelINS0_14default_configENS1_22reduce_config_selectorIN6thrust23THRUST_200600_302600_NS5tupleIblNS6_9null_typeES8_S8_S8_S8_S8_S8_S8_EEEEZNS1_11reduce_implILb1ES3_NS6_12zip_iteratorINS7_INS6_11hip_rocprim26transform_input_iterator_tIbPsNS6_6detail10functional5actorINSH_9compositeIJNSH_27transparent_binary_operatorINS6_8equal_toIvEEEENSI_INSH_8argumentILj0EEEEENSH_5valueIsEEEEEEEEENSD_19counting_iterator_tIlEES8_S8_S8_S8_S8_S8_S8_S8_EEEEPS9_S9_NSD_9__find_if7functorIS9_EEEE10hipError_tPvRmT1_T2_T3_mT4_P12ihipStream_tbEUlT_E1_NS1_11comp_targetILNS1_3genE4ELNS1_11target_archE910ELNS1_3gpuE8ELNS1_3repE0EEENS1_30default_config_static_selectorELNS0_4arch9wavefront6targetE1EEEvS17_.num_named_barrier, 0
	.set _ZN7rocprim17ROCPRIM_400000_NS6detail17trampoline_kernelINS0_14default_configENS1_22reduce_config_selectorIN6thrust23THRUST_200600_302600_NS5tupleIblNS6_9null_typeES8_S8_S8_S8_S8_S8_S8_EEEEZNS1_11reduce_implILb1ES3_NS6_12zip_iteratorINS7_INS6_11hip_rocprim26transform_input_iterator_tIbPsNS6_6detail10functional5actorINSH_9compositeIJNSH_27transparent_binary_operatorINS6_8equal_toIvEEEENSI_INSH_8argumentILj0EEEEENSH_5valueIsEEEEEEEEENSD_19counting_iterator_tIlEES8_S8_S8_S8_S8_S8_S8_S8_EEEEPS9_S9_NSD_9__find_if7functorIS9_EEEE10hipError_tPvRmT1_T2_T3_mT4_P12ihipStream_tbEUlT_E1_NS1_11comp_targetILNS1_3genE4ELNS1_11target_archE910ELNS1_3gpuE8ELNS1_3repE0EEENS1_30default_config_static_selectorELNS0_4arch9wavefront6targetE1EEEvS17_.private_seg_size, 0
	.set _ZN7rocprim17ROCPRIM_400000_NS6detail17trampoline_kernelINS0_14default_configENS1_22reduce_config_selectorIN6thrust23THRUST_200600_302600_NS5tupleIblNS6_9null_typeES8_S8_S8_S8_S8_S8_S8_EEEEZNS1_11reduce_implILb1ES3_NS6_12zip_iteratorINS7_INS6_11hip_rocprim26transform_input_iterator_tIbPsNS6_6detail10functional5actorINSH_9compositeIJNSH_27transparent_binary_operatorINS6_8equal_toIvEEEENSI_INSH_8argumentILj0EEEEENSH_5valueIsEEEEEEEEENSD_19counting_iterator_tIlEES8_S8_S8_S8_S8_S8_S8_S8_EEEEPS9_S9_NSD_9__find_if7functorIS9_EEEE10hipError_tPvRmT1_T2_T3_mT4_P12ihipStream_tbEUlT_E1_NS1_11comp_targetILNS1_3genE4ELNS1_11target_archE910ELNS1_3gpuE8ELNS1_3repE0EEENS1_30default_config_static_selectorELNS0_4arch9wavefront6targetE1EEEvS17_.uses_vcc, 0
	.set _ZN7rocprim17ROCPRIM_400000_NS6detail17trampoline_kernelINS0_14default_configENS1_22reduce_config_selectorIN6thrust23THRUST_200600_302600_NS5tupleIblNS6_9null_typeES8_S8_S8_S8_S8_S8_S8_EEEEZNS1_11reduce_implILb1ES3_NS6_12zip_iteratorINS7_INS6_11hip_rocprim26transform_input_iterator_tIbPsNS6_6detail10functional5actorINSH_9compositeIJNSH_27transparent_binary_operatorINS6_8equal_toIvEEEENSI_INSH_8argumentILj0EEEEENSH_5valueIsEEEEEEEEENSD_19counting_iterator_tIlEES8_S8_S8_S8_S8_S8_S8_S8_EEEEPS9_S9_NSD_9__find_if7functorIS9_EEEE10hipError_tPvRmT1_T2_T3_mT4_P12ihipStream_tbEUlT_E1_NS1_11comp_targetILNS1_3genE4ELNS1_11target_archE910ELNS1_3gpuE8ELNS1_3repE0EEENS1_30default_config_static_selectorELNS0_4arch9wavefront6targetE1EEEvS17_.uses_flat_scratch, 0
	.set _ZN7rocprim17ROCPRIM_400000_NS6detail17trampoline_kernelINS0_14default_configENS1_22reduce_config_selectorIN6thrust23THRUST_200600_302600_NS5tupleIblNS6_9null_typeES8_S8_S8_S8_S8_S8_S8_EEEEZNS1_11reduce_implILb1ES3_NS6_12zip_iteratorINS7_INS6_11hip_rocprim26transform_input_iterator_tIbPsNS6_6detail10functional5actorINSH_9compositeIJNSH_27transparent_binary_operatorINS6_8equal_toIvEEEENSI_INSH_8argumentILj0EEEEENSH_5valueIsEEEEEEEEENSD_19counting_iterator_tIlEES8_S8_S8_S8_S8_S8_S8_S8_EEEEPS9_S9_NSD_9__find_if7functorIS9_EEEE10hipError_tPvRmT1_T2_T3_mT4_P12ihipStream_tbEUlT_E1_NS1_11comp_targetILNS1_3genE4ELNS1_11target_archE910ELNS1_3gpuE8ELNS1_3repE0EEENS1_30default_config_static_selectorELNS0_4arch9wavefront6targetE1EEEvS17_.has_dyn_sized_stack, 0
	.set _ZN7rocprim17ROCPRIM_400000_NS6detail17trampoline_kernelINS0_14default_configENS1_22reduce_config_selectorIN6thrust23THRUST_200600_302600_NS5tupleIblNS6_9null_typeES8_S8_S8_S8_S8_S8_S8_EEEEZNS1_11reduce_implILb1ES3_NS6_12zip_iteratorINS7_INS6_11hip_rocprim26transform_input_iterator_tIbPsNS6_6detail10functional5actorINSH_9compositeIJNSH_27transparent_binary_operatorINS6_8equal_toIvEEEENSI_INSH_8argumentILj0EEEEENSH_5valueIsEEEEEEEEENSD_19counting_iterator_tIlEES8_S8_S8_S8_S8_S8_S8_S8_EEEEPS9_S9_NSD_9__find_if7functorIS9_EEEE10hipError_tPvRmT1_T2_T3_mT4_P12ihipStream_tbEUlT_E1_NS1_11comp_targetILNS1_3genE4ELNS1_11target_archE910ELNS1_3gpuE8ELNS1_3repE0EEENS1_30default_config_static_selectorELNS0_4arch9wavefront6targetE1EEEvS17_.has_recursion, 0
	.set _ZN7rocprim17ROCPRIM_400000_NS6detail17trampoline_kernelINS0_14default_configENS1_22reduce_config_selectorIN6thrust23THRUST_200600_302600_NS5tupleIblNS6_9null_typeES8_S8_S8_S8_S8_S8_S8_EEEEZNS1_11reduce_implILb1ES3_NS6_12zip_iteratorINS7_INS6_11hip_rocprim26transform_input_iterator_tIbPsNS6_6detail10functional5actorINSH_9compositeIJNSH_27transparent_binary_operatorINS6_8equal_toIvEEEENSI_INSH_8argumentILj0EEEEENSH_5valueIsEEEEEEEEENSD_19counting_iterator_tIlEES8_S8_S8_S8_S8_S8_S8_S8_EEEEPS9_S9_NSD_9__find_if7functorIS9_EEEE10hipError_tPvRmT1_T2_T3_mT4_P12ihipStream_tbEUlT_E1_NS1_11comp_targetILNS1_3genE4ELNS1_11target_archE910ELNS1_3gpuE8ELNS1_3repE0EEENS1_30default_config_static_selectorELNS0_4arch9wavefront6targetE1EEEvS17_.has_indirect_call, 0
	.section	.AMDGPU.csdata,"",@progbits
; Kernel info:
; codeLenInByte = 0
; TotalNumSgprs: 4
; NumVgprs: 0
; ScratchSize: 0
; MemoryBound: 0
; FloatMode: 240
; IeeeMode: 1
; LDSByteSize: 0 bytes/workgroup (compile time only)
; SGPRBlocks: 0
; VGPRBlocks: 0
; NumSGPRsForWavesPerEU: 4
; NumVGPRsForWavesPerEU: 1
; Occupancy: 10
; WaveLimiterHint : 0
; COMPUTE_PGM_RSRC2:SCRATCH_EN: 0
; COMPUTE_PGM_RSRC2:USER_SGPR: 6
; COMPUTE_PGM_RSRC2:TRAP_HANDLER: 0
; COMPUTE_PGM_RSRC2:TGID_X_EN: 1
; COMPUTE_PGM_RSRC2:TGID_Y_EN: 0
; COMPUTE_PGM_RSRC2:TGID_Z_EN: 0
; COMPUTE_PGM_RSRC2:TIDIG_COMP_CNT: 0
	.section	.text._ZN7rocprim17ROCPRIM_400000_NS6detail17trampoline_kernelINS0_14default_configENS1_22reduce_config_selectorIN6thrust23THRUST_200600_302600_NS5tupleIblNS6_9null_typeES8_S8_S8_S8_S8_S8_S8_EEEEZNS1_11reduce_implILb1ES3_NS6_12zip_iteratorINS7_INS6_11hip_rocprim26transform_input_iterator_tIbPsNS6_6detail10functional5actorINSH_9compositeIJNSH_27transparent_binary_operatorINS6_8equal_toIvEEEENSI_INSH_8argumentILj0EEEEENSH_5valueIsEEEEEEEEENSD_19counting_iterator_tIlEES8_S8_S8_S8_S8_S8_S8_S8_EEEEPS9_S9_NSD_9__find_if7functorIS9_EEEE10hipError_tPvRmT1_T2_T3_mT4_P12ihipStream_tbEUlT_E1_NS1_11comp_targetILNS1_3genE3ELNS1_11target_archE908ELNS1_3gpuE7ELNS1_3repE0EEENS1_30default_config_static_selectorELNS0_4arch9wavefront6targetE1EEEvS17_,"axG",@progbits,_ZN7rocprim17ROCPRIM_400000_NS6detail17trampoline_kernelINS0_14default_configENS1_22reduce_config_selectorIN6thrust23THRUST_200600_302600_NS5tupleIblNS6_9null_typeES8_S8_S8_S8_S8_S8_S8_EEEEZNS1_11reduce_implILb1ES3_NS6_12zip_iteratorINS7_INS6_11hip_rocprim26transform_input_iterator_tIbPsNS6_6detail10functional5actorINSH_9compositeIJNSH_27transparent_binary_operatorINS6_8equal_toIvEEEENSI_INSH_8argumentILj0EEEEENSH_5valueIsEEEEEEEEENSD_19counting_iterator_tIlEES8_S8_S8_S8_S8_S8_S8_S8_EEEEPS9_S9_NSD_9__find_if7functorIS9_EEEE10hipError_tPvRmT1_T2_T3_mT4_P12ihipStream_tbEUlT_E1_NS1_11comp_targetILNS1_3genE3ELNS1_11target_archE908ELNS1_3gpuE7ELNS1_3repE0EEENS1_30default_config_static_selectorELNS0_4arch9wavefront6targetE1EEEvS17_,comdat
	.protected	_ZN7rocprim17ROCPRIM_400000_NS6detail17trampoline_kernelINS0_14default_configENS1_22reduce_config_selectorIN6thrust23THRUST_200600_302600_NS5tupleIblNS6_9null_typeES8_S8_S8_S8_S8_S8_S8_EEEEZNS1_11reduce_implILb1ES3_NS6_12zip_iteratorINS7_INS6_11hip_rocprim26transform_input_iterator_tIbPsNS6_6detail10functional5actorINSH_9compositeIJNSH_27transparent_binary_operatorINS6_8equal_toIvEEEENSI_INSH_8argumentILj0EEEEENSH_5valueIsEEEEEEEEENSD_19counting_iterator_tIlEES8_S8_S8_S8_S8_S8_S8_S8_EEEEPS9_S9_NSD_9__find_if7functorIS9_EEEE10hipError_tPvRmT1_T2_T3_mT4_P12ihipStream_tbEUlT_E1_NS1_11comp_targetILNS1_3genE3ELNS1_11target_archE908ELNS1_3gpuE7ELNS1_3repE0EEENS1_30default_config_static_selectorELNS0_4arch9wavefront6targetE1EEEvS17_ ; -- Begin function _ZN7rocprim17ROCPRIM_400000_NS6detail17trampoline_kernelINS0_14default_configENS1_22reduce_config_selectorIN6thrust23THRUST_200600_302600_NS5tupleIblNS6_9null_typeES8_S8_S8_S8_S8_S8_S8_EEEEZNS1_11reduce_implILb1ES3_NS6_12zip_iteratorINS7_INS6_11hip_rocprim26transform_input_iterator_tIbPsNS6_6detail10functional5actorINSH_9compositeIJNSH_27transparent_binary_operatorINS6_8equal_toIvEEEENSI_INSH_8argumentILj0EEEEENSH_5valueIsEEEEEEEEENSD_19counting_iterator_tIlEES8_S8_S8_S8_S8_S8_S8_S8_EEEEPS9_S9_NSD_9__find_if7functorIS9_EEEE10hipError_tPvRmT1_T2_T3_mT4_P12ihipStream_tbEUlT_E1_NS1_11comp_targetILNS1_3genE3ELNS1_11target_archE908ELNS1_3gpuE7ELNS1_3repE0EEENS1_30default_config_static_selectorELNS0_4arch9wavefront6targetE1EEEvS17_
	.globl	_ZN7rocprim17ROCPRIM_400000_NS6detail17trampoline_kernelINS0_14default_configENS1_22reduce_config_selectorIN6thrust23THRUST_200600_302600_NS5tupleIblNS6_9null_typeES8_S8_S8_S8_S8_S8_S8_EEEEZNS1_11reduce_implILb1ES3_NS6_12zip_iteratorINS7_INS6_11hip_rocprim26transform_input_iterator_tIbPsNS6_6detail10functional5actorINSH_9compositeIJNSH_27transparent_binary_operatorINS6_8equal_toIvEEEENSI_INSH_8argumentILj0EEEEENSH_5valueIsEEEEEEEEENSD_19counting_iterator_tIlEES8_S8_S8_S8_S8_S8_S8_S8_EEEEPS9_S9_NSD_9__find_if7functorIS9_EEEE10hipError_tPvRmT1_T2_T3_mT4_P12ihipStream_tbEUlT_E1_NS1_11comp_targetILNS1_3genE3ELNS1_11target_archE908ELNS1_3gpuE7ELNS1_3repE0EEENS1_30default_config_static_selectorELNS0_4arch9wavefront6targetE1EEEvS17_
	.p2align	8
	.type	_ZN7rocprim17ROCPRIM_400000_NS6detail17trampoline_kernelINS0_14default_configENS1_22reduce_config_selectorIN6thrust23THRUST_200600_302600_NS5tupleIblNS6_9null_typeES8_S8_S8_S8_S8_S8_S8_EEEEZNS1_11reduce_implILb1ES3_NS6_12zip_iteratorINS7_INS6_11hip_rocprim26transform_input_iterator_tIbPsNS6_6detail10functional5actorINSH_9compositeIJNSH_27transparent_binary_operatorINS6_8equal_toIvEEEENSI_INSH_8argumentILj0EEEEENSH_5valueIsEEEEEEEEENSD_19counting_iterator_tIlEES8_S8_S8_S8_S8_S8_S8_S8_EEEEPS9_S9_NSD_9__find_if7functorIS9_EEEE10hipError_tPvRmT1_T2_T3_mT4_P12ihipStream_tbEUlT_E1_NS1_11comp_targetILNS1_3genE3ELNS1_11target_archE908ELNS1_3gpuE7ELNS1_3repE0EEENS1_30default_config_static_selectorELNS0_4arch9wavefront6targetE1EEEvS17_,@function
_ZN7rocprim17ROCPRIM_400000_NS6detail17trampoline_kernelINS0_14default_configENS1_22reduce_config_selectorIN6thrust23THRUST_200600_302600_NS5tupleIblNS6_9null_typeES8_S8_S8_S8_S8_S8_S8_EEEEZNS1_11reduce_implILb1ES3_NS6_12zip_iteratorINS7_INS6_11hip_rocprim26transform_input_iterator_tIbPsNS6_6detail10functional5actorINSH_9compositeIJNSH_27transparent_binary_operatorINS6_8equal_toIvEEEENSI_INSH_8argumentILj0EEEEENSH_5valueIsEEEEEEEEENSD_19counting_iterator_tIlEES8_S8_S8_S8_S8_S8_S8_S8_EEEEPS9_S9_NSD_9__find_if7functorIS9_EEEE10hipError_tPvRmT1_T2_T3_mT4_P12ihipStream_tbEUlT_E1_NS1_11comp_targetILNS1_3genE3ELNS1_11target_archE908ELNS1_3gpuE7ELNS1_3repE0EEENS1_30default_config_static_selectorELNS0_4arch9wavefront6targetE1EEEvS17_: ; @_ZN7rocprim17ROCPRIM_400000_NS6detail17trampoline_kernelINS0_14default_configENS1_22reduce_config_selectorIN6thrust23THRUST_200600_302600_NS5tupleIblNS6_9null_typeES8_S8_S8_S8_S8_S8_S8_EEEEZNS1_11reduce_implILb1ES3_NS6_12zip_iteratorINS7_INS6_11hip_rocprim26transform_input_iterator_tIbPsNS6_6detail10functional5actorINSH_9compositeIJNSH_27transparent_binary_operatorINS6_8equal_toIvEEEENSI_INSH_8argumentILj0EEEEENSH_5valueIsEEEEEEEEENSD_19counting_iterator_tIlEES8_S8_S8_S8_S8_S8_S8_S8_EEEEPS9_S9_NSD_9__find_if7functorIS9_EEEE10hipError_tPvRmT1_T2_T3_mT4_P12ihipStream_tbEUlT_E1_NS1_11comp_targetILNS1_3genE3ELNS1_11target_archE908ELNS1_3gpuE7ELNS1_3repE0EEENS1_30default_config_static_selectorELNS0_4arch9wavefront6targetE1EEEvS17_
; %bb.0:
	.section	.rodata,"a",@progbits
	.p2align	6, 0x0
	.amdhsa_kernel _ZN7rocprim17ROCPRIM_400000_NS6detail17trampoline_kernelINS0_14default_configENS1_22reduce_config_selectorIN6thrust23THRUST_200600_302600_NS5tupleIblNS6_9null_typeES8_S8_S8_S8_S8_S8_S8_EEEEZNS1_11reduce_implILb1ES3_NS6_12zip_iteratorINS7_INS6_11hip_rocprim26transform_input_iterator_tIbPsNS6_6detail10functional5actorINSH_9compositeIJNSH_27transparent_binary_operatorINS6_8equal_toIvEEEENSI_INSH_8argumentILj0EEEEENSH_5valueIsEEEEEEEEENSD_19counting_iterator_tIlEES8_S8_S8_S8_S8_S8_S8_S8_EEEEPS9_S9_NSD_9__find_if7functorIS9_EEEE10hipError_tPvRmT1_T2_T3_mT4_P12ihipStream_tbEUlT_E1_NS1_11comp_targetILNS1_3genE3ELNS1_11target_archE908ELNS1_3gpuE7ELNS1_3repE0EEENS1_30default_config_static_selectorELNS0_4arch9wavefront6targetE1EEEvS17_
		.amdhsa_group_segment_fixed_size 0
		.amdhsa_private_segment_fixed_size 0
		.amdhsa_kernarg_size 72
		.amdhsa_user_sgpr_count 6
		.amdhsa_user_sgpr_private_segment_buffer 1
		.amdhsa_user_sgpr_dispatch_ptr 0
		.amdhsa_user_sgpr_queue_ptr 0
		.amdhsa_user_sgpr_kernarg_segment_ptr 1
		.amdhsa_user_sgpr_dispatch_id 0
		.amdhsa_user_sgpr_flat_scratch_init 0
		.amdhsa_user_sgpr_private_segment_size 0
		.amdhsa_uses_dynamic_stack 0
		.amdhsa_system_sgpr_private_segment_wavefront_offset 0
		.amdhsa_system_sgpr_workgroup_id_x 1
		.amdhsa_system_sgpr_workgroup_id_y 0
		.amdhsa_system_sgpr_workgroup_id_z 0
		.amdhsa_system_sgpr_workgroup_info 0
		.amdhsa_system_vgpr_workitem_id 0
		.amdhsa_next_free_vgpr 1
		.amdhsa_next_free_sgpr 0
		.amdhsa_reserve_vcc 0
		.amdhsa_reserve_flat_scratch 0
		.amdhsa_float_round_mode_32 0
		.amdhsa_float_round_mode_16_64 0
		.amdhsa_float_denorm_mode_32 3
		.amdhsa_float_denorm_mode_16_64 3
		.amdhsa_dx10_clamp 1
		.amdhsa_ieee_mode 1
		.amdhsa_fp16_overflow 0
		.amdhsa_exception_fp_ieee_invalid_op 0
		.amdhsa_exception_fp_denorm_src 0
		.amdhsa_exception_fp_ieee_div_zero 0
		.amdhsa_exception_fp_ieee_overflow 0
		.amdhsa_exception_fp_ieee_underflow 0
		.amdhsa_exception_fp_ieee_inexact 0
		.amdhsa_exception_int_div_zero 0
	.end_amdhsa_kernel
	.section	.text._ZN7rocprim17ROCPRIM_400000_NS6detail17trampoline_kernelINS0_14default_configENS1_22reduce_config_selectorIN6thrust23THRUST_200600_302600_NS5tupleIblNS6_9null_typeES8_S8_S8_S8_S8_S8_S8_EEEEZNS1_11reduce_implILb1ES3_NS6_12zip_iteratorINS7_INS6_11hip_rocprim26transform_input_iterator_tIbPsNS6_6detail10functional5actorINSH_9compositeIJNSH_27transparent_binary_operatorINS6_8equal_toIvEEEENSI_INSH_8argumentILj0EEEEENSH_5valueIsEEEEEEEEENSD_19counting_iterator_tIlEES8_S8_S8_S8_S8_S8_S8_S8_EEEEPS9_S9_NSD_9__find_if7functorIS9_EEEE10hipError_tPvRmT1_T2_T3_mT4_P12ihipStream_tbEUlT_E1_NS1_11comp_targetILNS1_3genE3ELNS1_11target_archE908ELNS1_3gpuE7ELNS1_3repE0EEENS1_30default_config_static_selectorELNS0_4arch9wavefront6targetE1EEEvS17_,"axG",@progbits,_ZN7rocprim17ROCPRIM_400000_NS6detail17trampoline_kernelINS0_14default_configENS1_22reduce_config_selectorIN6thrust23THRUST_200600_302600_NS5tupleIblNS6_9null_typeES8_S8_S8_S8_S8_S8_S8_EEEEZNS1_11reduce_implILb1ES3_NS6_12zip_iteratorINS7_INS6_11hip_rocprim26transform_input_iterator_tIbPsNS6_6detail10functional5actorINSH_9compositeIJNSH_27transparent_binary_operatorINS6_8equal_toIvEEEENSI_INSH_8argumentILj0EEEEENSH_5valueIsEEEEEEEEENSD_19counting_iterator_tIlEES8_S8_S8_S8_S8_S8_S8_S8_EEEEPS9_S9_NSD_9__find_if7functorIS9_EEEE10hipError_tPvRmT1_T2_T3_mT4_P12ihipStream_tbEUlT_E1_NS1_11comp_targetILNS1_3genE3ELNS1_11target_archE908ELNS1_3gpuE7ELNS1_3repE0EEENS1_30default_config_static_selectorELNS0_4arch9wavefront6targetE1EEEvS17_,comdat
.Lfunc_end1518:
	.size	_ZN7rocprim17ROCPRIM_400000_NS6detail17trampoline_kernelINS0_14default_configENS1_22reduce_config_selectorIN6thrust23THRUST_200600_302600_NS5tupleIblNS6_9null_typeES8_S8_S8_S8_S8_S8_S8_EEEEZNS1_11reduce_implILb1ES3_NS6_12zip_iteratorINS7_INS6_11hip_rocprim26transform_input_iterator_tIbPsNS6_6detail10functional5actorINSH_9compositeIJNSH_27transparent_binary_operatorINS6_8equal_toIvEEEENSI_INSH_8argumentILj0EEEEENSH_5valueIsEEEEEEEEENSD_19counting_iterator_tIlEES8_S8_S8_S8_S8_S8_S8_S8_EEEEPS9_S9_NSD_9__find_if7functorIS9_EEEE10hipError_tPvRmT1_T2_T3_mT4_P12ihipStream_tbEUlT_E1_NS1_11comp_targetILNS1_3genE3ELNS1_11target_archE908ELNS1_3gpuE7ELNS1_3repE0EEENS1_30default_config_static_selectorELNS0_4arch9wavefront6targetE1EEEvS17_, .Lfunc_end1518-_ZN7rocprim17ROCPRIM_400000_NS6detail17trampoline_kernelINS0_14default_configENS1_22reduce_config_selectorIN6thrust23THRUST_200600_302600_NS5tupleIblNS6_9null_typeES8_S8_S8_S8_S8_S8_S8_EEEEZNS1_11reduce_implILb1ES3_NS6_12zip_iteratorINS7_INS6_11hip_rocprim26transform_input_iterator_tIbPsNS6_6detail10functional5actorINSH_9compositeIJNSH_27transparent_binary_operatorINS6_8equal_toIvEEEENSI_INSH_8argumentILj0EEEEENSH_5valueIsEEEEEEEEENSD_19counting_iterator_tIlEES8_S8_S8_S8_S8_S8_S8_S8_EEEEPS9_S9_NSD_9__find_if7functorIS9_EEEE10hipError_tPvRmT1_T2_T3_mT4_P12ihipStream_tbEUlT_E1_NS1_11comp_targetILNS1_3genE3ELNS1_11target_archE908ELNS1_3gpuE7ELNS1_3repE0EEENS1_30default_config_static_selectorELNS0_4arch9wavefront6targetE1EEEvS17_
                                        ; -- End function
	.set _ZN7rocprim17ROCPRIM_400000_NS6detail17trampoline_kernelINS0_14default_configENS1_22reduce_config_selectorIN6thrust23THRUST_200600_302600_NS5tupleIblNS6_9null_typeES8_S8_S8_S8_S8_S8_S8_EEEEZNS1_11reduce_implILb1ES3_NS6_12zip_iteratorINS7_INS6_11hip_rocprim26transform_input_iterator_tIbPsNS6_6detail10functional5actorINSH_9compositeIJNSH_27transparent_binary_operatorINS6_8equal_toIvEEEENSI_INSH_8argumentILj0EEEEENSH_5valueIsEEEEEEEEENSD_19counting_iterator_tIlEES8_S8_S8_S8_S8_S8_S8_S8_EEEEPS9_S9_NSD_9__find_if7functorIS9_EEEE10hipError_tPvRmT1_T2_T3_mT4_P12ihipStream_tbEUlT_E1_NS1_11comp_targetILNS1_3genE3ELNS1_11target_archE908ELNS1_3gpuE7ELNS1_3repE0EEENS1_30default_config_static_selectorELNS0_4arch9wavefront6targetE1EEEvS17_.num_vgpr, 0
	.set _ZN7rocprim17ROCPRIM_400000_NS6detail17trampoline_kernelINS0_14default_configENS1_22reduce_config_selectorIN6thrust23THRUST_200600_302600_NS5tupleIblNS6_9null_typeES8_S8_S8_S8_S8_S8_S8_EEEEZNS1_11reduce_implILb1ES3_NS6_12zip_iteratorINS7_INS6_11hip_rocprim26transform_input_iterator_tIbPsNS6_6detail10functional5actorINSH_9compositeIJNSH_27transparent_binary_operatorINS6_8equal_toIvEEEENSI_INSH_8argumentILj0EEEEENSH_5valueIsEEEEEEEEENSD_19counting_iterator_tIlEES8_S8_S8_S8_S8_S8_S8_S8_EEEEPS9_S9_NSD_9__find_if7functorIS9_EEEE10hipError_tPvRmT1_T2_T3_mT4_P12ihipStream_tbEUlT_E1_NS1_11comp_targetILNS1_3genE3ELNS1_11target_archE908ELNS1_3gpuE7ELNS1_3repE0EEENS1_30default_config_static_selectorELNS0_4arch9wavefront6targetE1EEEvS17_.num_agpr, 0
	.set _ZN7rocprim17ROCPRIM_400000_NS6detail17trampoline_kernelINS0_14default_configENS1_22reduce_config_selectorIN6thrust23THRUST_200600_302600_NS5tupleIblNS6_9null_typeES8_S8_S8_S8_S8_S8_S8_EEEEZNS1_11reduce_implILb1ES3_NS6_12zip_iteratorINS7_INS6_11hip_rocprim26transform_input_iterator_tIbPsNS6_6detail10functional5actorINSH_9compositeIJNSH_27transparent_binary_operatorINS6_8equal_toIvEEEENSI_INSH_8argumentILj0EEEEENSH_5valueIsEEEEEEEEENSD_19counting_iterator_tIlEES8_S8_S8_S8_S8_S8_S8_S8_EEEEPS9_S9_NSD_9__find_if7functorIS9_EEEE10hipError_tPvRmT1_T2_T3_mT4_P12ihipStream_tbEUlT_E1_NS1_11comp_targetILNS1_3genE3ELNS1_11target_archE908ELNS1_3gpuE7ELNS1_3repE0EEENS1_30default_config_static_selectorELNS0_4arch9wavefront6targetE1EEEvS17_.numbered_sgpr, 0
	.set _ZN7rocprim17ROCPRIM_400000_NS6detail17trampoline_kernelINS0_14default_configENS1_22reduce_config_selectorIN6thrust23THRUST_200600_302600_NS5tupleIblNS6_9null_typeES8_S8_S8_S8_S8_S8_S8_EEEEZNS1_11reduce_implILb1ES3_NS6_12zip_iteratorINS7_INS6_11hip_rocprim26transform_input_iterator_tIbPsNS6_6detail10functional5actorINSH_9compositeIJNSH_27transparent_binary_operatorINS6_8equal_toIvEEEENSI_INSH_8argumentILj0EEEEENSH_5valueIsEEEEEEEEENSD_19counting_iterator_tIlEES8_S8_S8_S8_S8_S8_S8_S8_EEEEPS9_S9_NSD_9__find_if7functorIS9_EEEE10hipError_tPvRmT1_T2_T3_mT4_P12ihipStream_tbEUlT_E1_NS1_11comp_targetILNS1_3genE3ELNS1_11target_archE908ELNS1_3gpuE7ELNS1_3repE0EEENS1_30default_config_static_selectorELNS0_4arch9wavefront6targetE1EEEvS17_.num_named_barrier, 0
	.set _ZN7rocprim17ROCPRIM_400000_NS6detail17trampoline_kernelINS0_14default_configENS1_22reduce_config_selectorIN6thrust23THRUST_200600_302600_NS5tupleIblNS6_9null_typeES8_S8_S8_S8_S8_S8_S8_EEEEZNS1_11reduce_implILb1ES3_NS6_12zip_iteratorINS7_INS6_11hip_rocprim26transform_input_iterator_tIbPsNS6_6detail10functional5actorINSH_9compositeIJNSH_27transparent_binary_operatorINS6_8equal_toIvEEEENSI_INSH_8argumentILj0EEEEENSH_5valueIsEEEEEEEEENSD_19counting_iterator_tIlEES8_S8_S8_S8_S8_S8_S8_S8_EEEEPS9_S9_NSD_9__find_if7functorIS9_EEEE10hipError_tPvRmT1_T2_T3_mT4_P12ihipStream_tbEUlT_E1_NS1_11comp_targetILNS1_3genE3ELNS1_11target_archE908ELNS1_3gpuE7ELNS1_3repE0EEENS1_30default_config_static_selectorELNS0_4arch9wavefront6targetE1EEEvS17_.private_seg_size, 0
	.set _ZN7rocprim17ROCPRIM_400000_NS6detail17trampoline_kernelINS0_14default_configENS1_22reduce_config_selectorIN6thrust23THRUST_200600_302600_NS5tupleIblNS6_9null_typeES8_S8_S8_S8_S8_S8_S8_EEEEZNS1_11reduce_implILb1ES3_NS6_12zip_iteratorINS7_INS6_11hip_rocprim26transform_input_iterator_tIbPsNS6_6detail10functional5actorINSH_9compositeIJNSH_27transparent_binary_operatorINS6_8equal_toIvEEEENSI_INSH_8argumentILj0EEEEENSH_5valueIsEEEEEEEEENSD_19counting_iterator_tIlEES8_S8_S8_S8_S8_S8_S8_S8_EEEEPS9_S9_NSD_9__find_if7functorIS9_EEEE10hipError_tPvRmT1_T2_T3_mT4_P12ihipStream_tbEUlT_E1_NS1_11comp_targetILNS1_3genE3ELNS1_11target_archE908ELNS1_3gpuE7ELNS1_3repE0EEENS1_30default_config_static_selectorELNS0_4arch9wavefront6targetE1EEEvS17_.uses_vcc, 0
	.set _ZN7rocprim17ROCPRIM_400000_NS6detail17trampoline_kernelINS0_14default_configENS1_22reduce_config_selectorIN6thrust23THRUST_200600_302600_NS5tupleIblNS6_9null_typeES8_S8_S8_S8_S8_S8_S8_EEEEZNS1_11reduce_implILb1ES3_NS6_12zip_iteratorINS7_INS6_11hip_rocprim26transform_input_iterator_tIbPsNS6_6detail10functional5actorINSH_9compositeIJNSH_27transparent_binary_operatorINS6_8equal_toIvEEEENSI_INSH_8argumentILj0EEEEENSH_5valueIsEEEEEEEEENSD_19counting_iterator_tIlEES8_S8_S8_S8_S8_S8_S8_S8_EEEEPS9_S9_NSD_9__find_if7functorIS9_EEEE10hipError_tPvRmT1_T2_T3_mT4_P12ihipStream_tbEUlT_E1_NS1_11comp_targetILNS1_3genE3ELNS1_11target_archE908ELNS1_3gpuE7ELNS1_3repE0EEENS1_30default_config_static_selectorELNS0_4arch9wavefront6targetE1EEEvS17_.uses_flat_scratch, 0
	.set _ZN7rocprim17ROCPRIM_400000_NS6detail17trampoline_kernelINS0_14default_configENS1_22reduce_config_selectorIN6thrust23THRUST_200600_302600_NS5tupleIblNS6_9null_typeES8_S8_S8_S8_S8_S8_S8_EEEEZNS1_11reduce_implILb1ES3_NS6_12zip_iteratorINS7_INS6_11hip_rocprim26transform_input_iterator_tIbPsNS6_6detail10functional5actorINSH_9compositeIJNSH_27transparent_binary_operatorINS6_8equal_toIvEEEENSI_INSH_8argumentILj0EEEEENSH_5valueIsEEEEEEEEENSD_19counting_iterator_tIlEES8_S8_S8_S8_S8_S8_S8_S8_EEEEPS9_S9_NSD_9__find_if7functorIS9_EEEE10hipError_tPvRmT1_T2_T3_mT4_P12ihipStream_tbEUlT_E1_NS1_11comp_targetILNS1_3genE3ELNS1_11target_archE908ELNS1_3gpuE7ELNS1_3repE0EEENS1_30default_config_static_selectorELNS0_4arch9wavefront6targetE1EEEvS17_.has_dyn_sized_stack, 0
	.set _ZN7rocprim17ROCPRIM_400000_NS6detail17trampoline_kernelINS0_14default_configENS1_22reduce_config_selectorIN6thrust23THRUST_200600_302600_NS5tupleIblNS6_9null_typeES8_S8_S8_S8_S8_S8_S8_EEEEZNS1_11reduce_implILb1ES3_NS6_12zip_iteratorINS7_INS6_11hip_rocprim26transform_input_iterator_tIbPsNS6_6detail10functional5actorINSH_9compositeIJNSH_27transparent_binary_operatorINS6_8equal_toIvEEEENSI_INSH_8argumentILj0EEEEENSH_5valueIsEEEEEEEEENSD_19counting_iterator_tIlEES8_S8_S8_S8_S8_S8_S8_S8_EEEEPS9_S9_NSD_9__find_if7functorIS9_EEEE10hipError_tPvRmT1_T2_T3_mT4_P12ihipStream_tbEUlT_E1_NS1_11comp_targetILNS1_3genE3ELNS1_11target_archE908ELNS1_3gpuE7ELNS1_3repE0EEENS1_30default_config_static_selectorELNS0_4arch9wavefront6targetE1EEEvS17_.has_recursion, 0
	.set _ZN7rocprim17ROCPRIM_400000_NS6detail17trampoline_kernelINS0_14default_configENS1_22reduce_config_selectorIN6thrust23THRUST_200600_302600_NS5tupleIblNS6_9null_typeES8_S8_S8_S8_S8_S8_S8_EEEEZNS1_11reduce_implILb1ES3_NS6_12zip_iteratorINS7_INS6_11hip_rocprim26transform_input_iterator_tIbPsNS6_6detail10functional5actorINSH_9compositeIJNSH_27transparent_binary_operatorINS6_8equal_toIvEEEENSI_INSH_8argumentILj0EEEEENSH_5valueIsEEEEEEEEENSD_19counting_iterator_tIlEES8_S8_S8_S8_S8_S8_S8_S8_EEEEPS9_S9_NSD_9__find_if7functorIS9_EEEE10hipError_tPvRmT1_T2_T3_mT4_P12ihipStream_tbEUlT_E1_NS1_11comp_targetILNS1_3genE3ELNS1_11target_archE908ELNS1_3gpuE7ELNS1_3repE0EEENS1_30default_config_static_selectorELNS0_4arch9wavefront6targetE1EEEvS17_.has_indirect_call, 0
	.section	.AMDGPU.csdata,"",@progbits
; Kernel info:
; codeLenInByte = 0
; TotalNumSgprs: 4
; NumVgprs: 0
; ScratchSize: 0
; MemoryBound: 0
; FloatMode: 240
; IeeeMode: 1
; LDSByteSize: 0 bytes/workgroup (compile time only)
; SGPRBlocks: 0
; VGPRBlocks: 0
; NumSGPRsForWavesPerEU: 4
; NumVGPRsForWavesPerEU: 1
; Occupancy: 10
; WaveLimiterHint : 0
; COMPUTE_PGM_RSRC2:SCRATCH_EN: 0
; COMPUTE_PGM_RSRC2:USER_SGPR: 6
; COMPUTE_PGM_RSRC2:TRAP_HANDLER: 0
; COMPUTE_PGM_RSRC2:TGID_X_EN: 1
; COMPUTE_PGM_RSRC2:TGID_Y_EN: 0
; COMPUTE_PGM_RSRC2:TGID_Z_EN: 0
; COMPUTE_PGM_RSRC2:TIDIG_COMP_CNT: 0
	.section	.text._ZN7rocprim17ROCPRIM_400000_NS6detail17trampoline_kernelINS0_14default_configENS1_22reduce_config_selectorIN6thrust23THRUST_200600_302600_NS5tupleIblNS6_9null_typeES8_S8_S8_S8_S8_S8_S8_EEEEZNS1_11reduce_implILb1ES3_NS6_12zip_iteratorINS7_INS6_11hip_rocprim26transform_input_iterator_tIbPsNS6_6detail10functional5actorINSH_9compositeIJNSH_27transparent_binary_operatorINS6_8equal_toIvEEEENSI_INSH_8argumentILj0EEEEENSH_5valueIsEEEEEEEEENSD_19counting_iterator_tIlEES8_S8_S8_S8_S8_S8_S8_S8_EEEEPS9_S9_NSD_9__find_if7functorIS9_EEEE10hipError_tPvRmT1_T2_T3_mT4_P12ihipStream_tbEUlT_E1_NS1_11comp_targetILNS1_3genE2ELNS1_11target_archE906ELNS1_3gpuE6ELNS1_3repE0EEENS1_30default_config_static_selectorELNS0_4arch9wavefront6targetE1EEEvS17_,"axG",@progbits,_ZN7rocprim17ROCPRIM_400000_NS6detail17trampoline_kernelINS0_14default_configENS1_22reduce_config_selectorIN6thrust23THRUST_200600_302600_NS5tupleIblNS6_9null_typeES8_S8_S8_S8_S8_S8_S8_EEEEZNS1_11reduce_implILb1ES3_NS6_12zip_iteratorINS7_INS6_11hip_rocprim26transform_input_iterator_tIbPsNS6_6detail10functional5actorINSH_9compositeIJNSH_27transparent_binary_operatorINS6_8equal_toIvEEEENSI_INSH_8argumentILj0EEEEENSH_5valueIsEEEEEEEEENSD_19counting_iterator_tIlEES8_S8_S8_S8_S8_S8_S8_S8_EEEEPS9_S9_NSD_9__find_if7functorIS9_EEEE10hipError_tPvRmT1_T2_T3_mT4_P12ihipStream_tbEUlT_E1_NS1_11comp_targetILNS1_3genE2ELNS1_11target_archE906ELNS1_3gpuE6ELNS1_3repE0EEENS1_30default_config_static_selectorELNS0_4arch9wavefront6targetE1EEEvS17_,comdat
	.protected	_ZN7rocprim17ROCPRIM_400000_NS6detail17trampoline_kernelINS0_14default_configENS1_22reduce_config_selectorIN6thrust23THRUST_200600_302600_NS5tupleIblNS6_9null_typeES8_S8_S8_S8_S8_S8_S8_EEEEZNS1_11reduce_implILb1ES3_NS6_12zip_iteratorINS7_INS6_11hip_rocprim26transform_input_iterator_tIbPsNS6_6detail10functional5actorINSH_9compositeIJNSH_27transparent_binary_operatorINS6_8equal_toIvEEEENSI_INSH_8argumentILj0EEEEENSH_5valueIsEEEEEEEEENSD_19counting_iterator_tIlEES8_S8_S8_S8_S8_S8_S8_S8_EEEEPS9_S9_NSD_9__find_if7functorIS9_EEEE10hipError_tPvRmT1_T2_T3_mT4_P12ihipStream_tbEUlT_E1_NS1_11comp_targetILNS1_3genE2ELNS1_11target_archE906ELNS1_3gpuE6ELNS1_3repE0EEENS1_30default_config_static_selectorELNS0_4arch9wavefront6targetE1EEEvS17_ ; -- Begin function _ZN7rocprim17ROCPRIM_400000_NS6detail17trampoline_kernelINS0_14default_configENS1_22reduce_config_selectorIN6thrust23THRUST_200600_302600_NS5tupleIblNS6_9null_typeES8_S8_S8_S8_S8_S8_S8_EEEEZNS1_11reduce_implILb1ES3_NS6_12zip_iteratorINS7_INS6_11hip_rocprim26transform_input_iterator_tIbPsNS6_6detail10functional5actorINSH_9compositeIJNSH_27transparent_binary_operatorINS6_8equal_toIvEEEENSI_INSH_8argumentILj0EEEEENSH_5valueIsEEEEEEEEENSD_19counting_iterator_tIlEES8_S8_S8_S8_S8_S8_S8_S8_EEEEPS9_S9_NSD_9__find_if7functorIS9_EEEE10hipError_tPvRmT1_T2_T3_mT4_P12ihipStream_tbEUlT_E1_NS1_11comp_targetILNS1_3genE2ELNS1_11target_archE906ELNS1_3gpuE6ELNS1_3repE0EEENS1_30default_config_static_selectorELNS0_4arch9wavefront6targetE1EEEvS17_
	.globl	_ZN7rocprim17ROCPRIM_400000_NS6detail17trampoline_kernelINS0_14default_configENS1_22reduce_config_selectorIN6thrust23THRUST_200600_302600_NS5tupleIblNS6_9null_typeES8_S8_S8_S8_S8_S8_S8_EEEEZNS1_11reduce_implILb1ES3_NS6_12zip_iteratorINS7_INS6_11hip_rocprim26transform_input_iterator_tIbPsNS6_6detail10functional5actorINSH_9compositeIJNSH_27transparent_binary_operatorINS6_8equal_toIvEEEENSI_INSH_8argumentILj0EEEEENSH_5valueIsEEEEEEEEENSD_19counting_iterator_tIlEES8_S8_S8_S8_S8_S8_S8_S8_EEEEPS9_S9_NSD_9__find_if7functorIS9_EEEE10hipError_tPvRmT1_T2_T3_mT4_P12ihipStream_tbEUlT_E1_NS1_11comp_targetILNS1_3genE2ELNS1_11target_archE906ELNS1_3gpuE6ELNS1_3repE0EEENS1_30default_config_static_selectorELNS0_4arch9wavefront6targetE1EEEvS17_
	.p2align	8
	.type	_ZN7rocprim17ROCPRIM_400000_NS6detail17trampoline_kernelINS0_14default_configENS1_22reduce_config_selectorIN6thrust23THRUST_200600_302600_NS5tupleIblNS6_9null_typeES8_S8_S8_S8_S8_S8_S8_EEEEZNS1_11reduce_implILb1ES3_NS6_12zip_iteratorINS7_INS6_11hip_rocprim26transform_input_iterator_tIbPsNS6_6detail10functional5actorINSH_9compositeIJNSH_27transparent_binary_operatorINS6_8equal_toIvEEEENSI_INSH_8argumentILj0EEEEENSH_5valueIsEEEEEEEEENSD_19counting_iterator_tIlEES8_S8_S8_S8_S8_S8_S8_S8_EEEEPS9_S9_NSD_9__find_if7functorIS9_EEEE10hipError_tPvRmT1_T2_T3_mT4_P12ihipStream_tbEUlT_E1_NS1_11comp_targetILNS1_3genE2ELNS1_11target_archE906ELNS1_3gpuE6ELNS1_3repE0EEENS1_30default_config_static_selectorELNS0_4arch9wavefront6targetE1EEEvS17_,@function
_ZN7rocprim17ROCPRIM_400000_NS6detail17trampoline_kernelINS0_14default_configENS1_22reduce_config_selectorIN6thrust23THRUST_200600_302600_NS5tupleIblNS6_9null_typeES8_S8_S8_S8_S8_S8_S8_EEEEZNS1_11reduce_implILb1ES3_NS6_12zip_iteratorINS7_INS6_11hip_rocprim26transform_input_iterator_tIbPsNS6_6detail10functional5actorINSH_9compositeIJNSH_27transparent_binary_operatorINS6_8equal_toIvEEEENSI_INSH_8argumentILj0EEEEENSH_5valueIsEEEEEEEEENSD_19counting_iterator_tIlEES8_S8_S8_S8_S8_S8_S8_S8_EEEEPS9_S9_NSD_9__find_if7functorIS9_EEEE10hipError_tPvRmT1_T2_T3_mT4_P12ihipStream_tbEUlT_E1_NS1_11comp_targetILNS1_3genE2ELNS1_11target_archE906ELNS1_3gpuE6ELNS1_3repE0EEENS1_30default_config_static_selectorELNS0_4arch9wavefront6targetE1EEEvS17_: ; @_ZN7rocprim17ROCPRIM_400000_NS6detail17trampoline_kernelINS0_14default_configENS1_22reduce_config_selectorIN6thrust23THRUST_200600_302600_NS5tupleIblNS6_9null_typeES8_S8_S8_S8_S8_S8_S8_EEEEZNS1_11reduce_implILb1ES3_NS6_12zip_iteratorINS7_INS6_11hip_rocprim26transform_input_iterator_tIbPsNS6_6detail10functional5actorINSH_9compositeIJNSH_27transparent_binary_operatorINS6_8equal_toIvEEEENSI_INSH_8argumentILj0EEEEENSH_5valueIsEEEEEEEEENSD_19counting_iterator_tIlEES8_S8_S8_S8_S8_S8_S8_S8_EEEEPS9_S9_NSD_9__find_if7functorIS9_EEEE10hipError_tPvRmT1_T2_T3_mT4_P12ihipStream_tbEUlT_E1_NS1_11comp_targetILNS1_3genE2ELNS1_11target_archE906ELNS1_3gpuE6ELNS1_3repE0EEENS1_30default_config_static_selectorELNS0_4arch9wavefront6targetE1EEEvS17_
; %bb.0:
	s_load_dword s35, s[4:5], 0x4
	s_load_dwordx2 s[24:25], s[4:5], 0x8
	s_load_dword s0, s[4:5], 0x10
	s_load_dwordx4 s[20:23], s[4:5], 0x18
	s_load_dword s33, s[4:5], 0x30
	s_load_dwordx2 s[18:19], s[4:5], 0x38
	s_waitcnt lgkmcnt(0)
	s_lshr_b32 s34, s0, 16
	s_cmp_lt_i32 s35, 4
	s_cbranch_scc1 .LBB1519_13
; %bb.1:
	s_cmp_gt_i32 s35, 7
	s_cbranch_scc0 .LBB1519_14
; %bb.2:
	s_cmp_eq_u32 s35, 8
	s_mov_b64 s[26:27], 0
	s_cbranch_scc0 .LBB1519_15
; %bb.3:
	s_mov_b32 s7, 0
	s_lshl_b32 s30, s6, 10
	s_mov_b32 s31, s7
	s_lshr_b64 s[0:1], s[22:23], 10
	s_lshl_b64 s[2:3], s[30:31], 1
	s_add_u32 s28, s24, s2
	s_addc_u32 s29, s25, s3
	s_add_u32 s37, s20, s30
	s_addc_u32 s38, s21, 0
	s_cmp_lg_u64 s[0:1], s[6:7]
	s_cbranch_scc0 .LBB1519_28
; %bb.4:
	v_lshlrev_b32_e32 v1, 1, v0
	global_load_ushort v2, v1, s[28:29] offset:512
	global_load_ushort v4, v1, s[28:29] offset:1024
	;; [unrolled: 1-line block ×7, first 2 shown]
	global_load_ushort v10, v1, s[28:29]
	v_mov_b32_e32 v1, s38
	v_add_co_u32_e32 v18, vcc, s37, v0
	v_mov_b32_e32 v11, 0x100
	v_mov_b32_e32 v12, 0x80
	v_addc_co_u32_e32 v19, vcc, 0, v1, vcc
	v_mov_b32_e32 v13, 0x200
	v_mov_b32_e32 v14, 0x180
	;; [unrolled: 1-line block ×5, first 2 shown]
	v_mbcnt_lo_u32_b32 v3, -1, 0
	v_mbcnt_hi_u32_b32 v3, -1, v3
	s_waitcnt vmcnt(7)
	v_cmp_eq_u16_e32 vcc, s34, v2
	s_waitcnt vmcnt(6)
	v_cmp_eq_u16_e64 s[0:1], s34, v4
	s_waitcnt vmcnt(5)
	v_cmp_eq_u16_e64 s[2:3], s34, v5
	;; [unrolled: 2-line block ×4, first 2 shown]
	v_cndmask_b32_e64 v1, v11, v12, s[10:11]
	s_waitcnt vmcnt(2)
	v_cmp_eq_u16_e64 s[12:13], s34, v8
	s_waitcnt vmcnt(0)
	v_cmp_eq_u16_e64 s[16:17], s34, v10
	s_or_b64 s[10:11], s[16:17], s[10:11]
	s_or_b64 vcc, s[10:11], vcc
	v_cndmask_b32_e64 v2, v13, v14, s[12:13]
	v_cndmask_b32_e64 v1, v1, 0, s[16:17]
	s_or_b64 s[10:11], vcc, s[12:13]
	v_cmp_eq_u16_e64 s[14:15], s34, v9
	v_cndmask_b32_e32 v1, v2, v1, vcc
	s_or_b64 vcc, s[10:11], s[0:1]
	v_cndmask_b32_e64 v4, v15, v16, s[14:15]
	s_or_b64 s[0:1], vcc, s[14:15]
	v_cndmask_b32_e32 v1, v4, v1, vcc
	s_or_b64 vcc, s[0:1], s[2:3]
	v_cndmask_b32_e32 v1, v17, v1, vcc
	v_add_co_u32_e64 v1, s[0:1], v18, v1
	v_addc_co_u32_e64 v2, s[0:1], 0, v19, s[0:1]
	s_or_b64 s[0:1], vcc, s[8:9]
	v_mov_b32_dpp v4, v1 quad_perm:[1,0,3,2] row_mask:0xf bank_mask:0xf bound_ctrl:1
	v_mov_b32_dpp v5, v2 quad_perm:[1,0,3,2] row_mask:0xf bank_mask:0xf bound_ctrl:1
	v_cndmask_b32_e64 v6, 0, 1, s[0:1]
	v_cmp_lt_i64_e32 vcc, v[1:2], v[4:5]
	s_and_b64 vcc, s[0:1], vcc
	v_mov_b32_dpp v7, v6 quad_perm:[1,0,3,2] row_mask:0xf bank_mask:0xf bound_ctrl:1
	v_and_b32_e32 v7, 1, v7
	v_cndmask_b32_e32 v4, v4, v1, vcc
	v_cndmask_b32_e32 v5, v5, v2, vcc
	v_cmp_eq_u32_e32 vcc, 1, v7
	v_cndmask_b32_e32 v2, v2, v5, vcc
	v_cndmask_b32_e32 v1, v1, v4, vcc
	v_cndmask_b32_e64 v6, v6, 1, vcc
	v_mov_b32_dpp v5, v2 quad_perm:[2,3,0,1] row_mask:0xf bank_mask:0xf bound_ctrl:1
	v_mov_b32_dpp v4, v1 quad_perm:[2,3,0,1] row_mask:0xf bank_mask:0xf bound_ctrl:1
	v_and_b32_e32 v8, 1, v6
	v_cmp_lt_i64_e64 s[0:1], v[1:2], v[4:5]
	v_mov_b32_dpp v7, v6 quad_perm:[2,3,0,1] row_mask:0xf bank_mask:0xf bound_ctrl:1
	v_cmp_eq_u32_e32 vcc, 1, v8
	v_and_b32_e32 v7, 1, v7
	s_and_b64 vcc, vcc, s[0:1]
	v_cmp_eq_u32_e64 s[2:3], 1, v7
	v_cndmask_b32_e32 v4, v4, v1, vcc
	v_cndmask_b32_e32 v5, v5, v2, vcc
	v_cndmask_b32_e64 v1, v1, v4, s[2:3]
	v_cndmask_b32_e64 v2, v2, v5, s[2:3]
	;; [unrolled: 1-line block ×3, first 2 shown]
	v_mov_b32_dpp v4, v1 row_ror:4 row_mask:0xf bank_mask:0xf bound_ctrl:1
	v_mov_b32_dpp v5, v2 row_ror:4 row_mask:0xf bank_mask:0xf bound_ctrl:1
	v_and_b32_e32 v8, 1, v6
	v_cmp_lt_i64_e64 s[2:3], v[1:2], v[4:5]
	v_mov_b32_dpp v7, v6 row_ror:4 row_mask:0xf bank_mask:0xf bound_ctrl:1
	v_cmp_eq_u32_e32 vcc, 1, v8
	v_and_b32_e32 v7, 1, v7
	s_and_b64 vcc, vcc, s[2:3]
	v_cmp_eq_u32_e64 s[0:1], 1, v7
	v_cndmask_b32_e32 v4, v4, v1, vcc
	v_cndmask_b32_e32 v5, v5, v2, vcc
	v_cndmask_b32_e64 v1, v1, v4, s[0:1]
	v_cndmask_b32_e64 v2, v2, v5, s[0:1]
	;; [unrolled: 1-line block ×3, first 2 shown]
	v_mov_b32_dpp v4, v1 row_ror:8 row_mask:0xf bank_mask:0xf bound_ctrl:1
	v_mov_b32_dpp v5, v2 row_ror:8 row_mask:0xf bank_mask:0xf bound_ctrl:1
	v_and_b32_e32 v8, 1, v6
	v_cmp_lt_i64_e64 s[0:1], v[1:2], v[4:5]
	v_mov_b32_dpp v7, v6 row_ror:8 row_mask:0xf bank_mask:0xf bound_ctrl:1
	v_cmp_eq_u32_e64 s[8:9], 1, v8
	v_and_b32_e32 v7, 1, v7
	s_and_b64 s[0:1], s[8:9], s[0:1]
	v_cmp_eq_u32_e64 s[10:11], 1, v7
	v_cndmask_b32_e64 v4, v4, v1, s[0:1]
	v_cndmask_b32_e64 v5, v5, v2, s[0:1]
	;; [unrolled: 1-line block ×5, first 2 shown]
	v_mov_b32_dpp v4, v1 row_bcast:15 row_mask:0xf bank_mask:0xf bound_ctrl:1
	v_mov_b32_dpp v5, v2 row_bcast:15 row_mask:0xf bank_mask:0xf bound_ctrl:1
	v_and_b32_e32 v8, 1, v6
	v_cmp_lt_i64_e64 s[0:1], v[1:2], v[4:5]
	v_mov_b32_dpp v7, v6 row_bcast:15 row_mask:0xf bank_mask:0xf bound_ctrl:1
	v_cmp_eq_u32_e32 vcc, 1, v8
	v_and_b32_e32 v7, 1, v7
	s_and_b64 vcc, vcc, s[0:1]
	v_cmp_eq_u32_e64 s[2:3], 1, v7
	v_cndmask_b32_e32 v4, v4, v1, vcc
	v_cndmask_b32_e32 v5, v5, v2, vcc
	v_cndmask_b32_e64 v1, v1, v4, s[2:3]
	v_cndmask_b32_e64 v2, v2, v5, s[2:3]
	;; [unrolled: 1-line block ×3, first 2 shown]
	v_mov_b32_dpp v4, v1 row_bcast:31 row_mask:0xf bank_mask:0xf bound_ctrl:1
	v_mov_b32_dpp v5, v2 row_bcast:31 row_mask:0xf bank_mask:0xf bound_ctrl:1
	v_and_b32_e32 v8, 1, v6
	v_cmp_lt_i64_e64 s[0:1], v[1:2], v[4:5]
	v_mov_b32_dpp v7, v6 row_bcast:31 row_mask:0xf bank_mask:0xf bound_ctrl:1
	v_cmp_eq_u32_e32 vcc, 1, v8
	v_and_b32_e32 v7, 1, v7
	s_and_b64 vcc, vcc, s[0:1]
	v_cmp_eq_u32_e64 s[2:3], 1, v7
	v_cndmask_b32_e32 v5, v5, v2, vcc
	v_cndmask_b32_e32 v4, v4, v1, vcc
	v_cndmask_b32_e64 v2, v2, v5, s[2:3]
	v_lshlrev_b32_e32 v5, 2, v3
	v_cndmask_b32_e64 v6, v6, 1, s[2:3]
	v_cndmask_b32_e64 v1, v1, v4, s[2:3]
	v_or_b32_e32 v4, 0xfc, v5
	ds_bpermute_b32 v17, v4, v6
	ds_bpermute_b32 v1, v4, v1
	;; [unrolled: 1-line block ×3, first 2 shown]
	v_cmp_eq_u32_e32 vcc, 0, v3
	s_and_saveexec_b64 s[0:1], vcc
	s_cbranch_execz .LBB1519_6
; %bb.5:
	v_lshrrev_b32_e32 v4, 2, v0
	v_and_b32_e32 v4, 16, v4
	s_waitcnt lgkmcnt(2)
	ds_write_b8 v4, v17 offset:96
	s_waitcnt lgkmcnt(1)
	ds_write_b64 v4, v[1:2] offset:104
.LBB1519_6:
	s_or_b64 exec, exec, s[0:1]
	v_cmp_gt_u32_e32 vcc, 64, v0
	s_waitcnt lgkmcnt(0)
	s_barrier
	s_and_saveexec_b64 s[0:1], vcc
	s_cbranch_execz .LBB1519_12
; %bb.7:
	v_and_b32_e32 v1, 1, v3
	v_lshlrev_b32_e32 v1, 4, v1
	ds_read_u8 v7, v1 offset:96
	ds_read_b64 v[3:4], v1 offset:104
	v_or_b32_e32 v2, 4, v5
	s_waitcnt lgkmcnt(1)
	v_and_b32_e32 v1, 0xff, v7
	ds_bpermute_b32 v8, v2, v1
	s_waitcnt lgkmcnt(1)
	ds_bpermute_b32 v5, v2, v3
	ds_bpermute_b32 v6, v2, v4
	s_waitcnt lgkmcnt(2)
	v_and_b32_e32 v1, v7, v8
	v_and_b32_e32 v1, 1, v1
	v_cmp_eq_u32_e32 vcc, 1, v1
                                        ; implicit-def: $vgpr1_vgpr2
	s_and_saveexec_b64 s[2:3], vcc
	s_xor_b64 s[2:3], exec, s[2:3]
	s_cbranch_execz .LBB1519_9
; %bb.8:
	s_waitcnt lgkmcnt(0)
	v_cmp_lt_i64_e32 vcc, v[5:6], v[3:4]
                                        ; implicit-def: $vgpr7
                                        ; implicit-def: $vgpr8
	v_cndmask_b32_e32 v2, v4, v6, vcc
	v_cndmask_b32_e32 v1, v3, v5, vcc
                                        ; implicit-def: $vgpr5_vgpr6
                                        ; implicit-def: $vgpr3_vgpr4
.LBB1519_9:
	s_or_saveexec_b64 s[2:3], s[2:3]
	v_mov_b32_e32 v17, 1
	s_xor_b64 exec, exec, s[2:3]
	s_cbranch_execz .LBB1519_11
; %bb.10:
	v_and_b32_e32 v1, 1, v7
	v_cmp_eq_u32_e32 vcc, 1, v1
	s_waitcnt lgkmcnt(0)
	v_cndmask_b32_e32 v2, v6, v4, vcc
	v_cndmask_b32_e32 v1, v5, v3, vcc
	v_cndmask_b32_e64 v17, v8, 1, vcc
.LBB1519_11:
	s_or_b64 exec, exec, s[2:3]
.LBB1519_12:
	s_or_b64 exec, exec, s[0:1]
	s_branch .LBB1519_145
.LBB1519_13:
	s_mov_b64 s[14:15], 0
                                        ; implicit-def: $vgpr3_vgpr4
                                        ; implicit-def: $vgpr5
                                        ; implicit-def: $vgpr1_vgpr2
	s_cbranch_execnz .LBB1519_219
	s_branch .LBB1519_306
.LBB1519_14:
	s_mov_b64 s[26:27], -1
.LBB1519_15:
	s_mov_b64 s[14:15], 0
                                        ; implicit-def: $vgpr3_vgpr4
                                        ; implicit-def: $vgpr5
                                        ; implicit-def: $vgpr1_vgpr2
	s_and_b64 vcc, exec, s[26:27]
	s_cbranch_vccz .LBB1519_150
.LBB1519_16:
	s_cmp_eq_u32 s35, 4
	s_cbranch_scc0 .LBB1519_27
; %bb.17:
	s_mov_b32 s7, 0
	s_lshl_b32 s26, s6, 9
	s_mov_b32 s27, s7
	s_lshr_b64 s[0:1], s[22:23], 9
	s_lshl_b64 s[2:3], s[26:27], 1
	s_add_u32 s16, s24, s2
	s_addc_u32 s17, s25, s3
	s_add_u32 s27, s20, s26
	s_addc_u32 s28, s21, 0
	s_cmp_lg_u64 s[0:1], s[6:7]
	s_cbranch_scc0 .LBB1519_51
; %bb.18:
	v_lshlrev_b32_e32 v1, 1, v0
	global_load_ushort v2, v1, s[16:17] offset:512
	s_waitcnt lgkmcnt(0)
	global_load_ushort v4, v1, s[16:17] offset:768
	global_load_ushort v6, v1, s[16:17] offset:256
	global_load_ushort v7, v1, s[16:17]
	v_mov_b32_e32 v1, s28
	v_add_co_u32_e32 v11, vcc, s27, v0
	v_mov_b32_e32 v8, 0x100
	v_mov_b32_e32 v9, 0x80
	v_addc_co_u32_e32 v12, vcc, 0, v1, vcc
	v_mov_b32_e32 v10, 0x180
	v_mbcnt_lo_u32_b32 v3, -1, 0
	v_mbcnt_hi_u32_b32 v3, -1, v3
	v_lshlrev_b32_e32 v5, 2, v3
	v_or_b32_e32 v13, 0xfc, v5
	s_waitcnt vmcnt(3)
	v_cmp_eq_u16_e32 vcc, s34, v2
	s_waitcnt vmcnt(2)
	v_cmp_eq_u16_e64 s[0:1], s34, v4
	s_waitcnt vmcnt(1)
	v_cmp_eq_u16_e64 s[2:3], s34, v6
	;; [unrolled: 2-line block ×3, first 2 shown]
	v_cndmask_b32_e64 v1, v8, v9, s[2:3]
	s_or_b64 s[2:3], s[8:9], s[2:3]
	v_cndmask_b32_e64 v1, v1, 0, s[8:9]
	s_or_b64 vcc, s[2:3], vcc
	v_cndmask_b32_e32 v1, v10, v1, vcc
	v_add_co_u32_e64 v1, s[2:3], v11, v1
	v_addc_co_u32_e64 v2, s[2:3], 0, v12, s[2:3]
	s_or_b64 s[0:1], vcc, s[0:1]
	v_mov_b32_dpp v6, v1 quad_perm:[1,0,3,2] row_mask:0xf bank_mask:0xf bound_ctrl:1
	v_mov_b32_dpp v7, v2 quad_perm:[1,0,3,2] row_mask:0xf bank_mask:0xf bound_ctrl:1
	v_cndmask_b32_e64 v4, 0, 1, s[0:1]
	v_cmp_lt_i64_e32 vcc, v[1:2], v[6:7]
	s_and_b64 vcc, s[0:1], vcc
	v_mov_b32_dpp v8, v4 quad_perm:[1,0,3,2] row_mask:0xf bank_mask:0xf bound_ctrl:1
	v_and_b32_e32 v8, 1, v8
	v_cndmask_b32_e32 v6, v6, v1, vcc
	v_cndmask_b32_e32 v7, v7, v2, vcc
	v_cmp_eq_u32_e32 vcc, 1, v8
	v_cndmask_b32_e32 v2, v2, v7, vcc
	v_cndmask_b32_e32 v1, v1, v6, vcc
	v_cndmask_b32_e64 v4, v4, 1, vcc
	v_mov_b32_dpp v7, v2 quad_perm:[2,3,0,1] row_mask:0xf bank_mask:0xf bound_ctrl:1
	v_mov_b32_dpp v6, v1 quad_perm:[2,3,0,1] row_mask:0xf bank_mask:0xf bound_ctrl:1
	v_and_b32_e32 v9, 1, v4
	v_cmp_lt_i64_e64 s[0:1], v[1:2], v[6:7]
	v_mov_b32_dpp v8, v4 quad_perm:[2,3,0,1] row_mask:0xf bank_mask:0xf bound_ctrl:1
	v_cmp_eq_u32_e32 vcc, 1, v9
	v_and_b32_e32 v8, 1, v8
	s_and_b64 vcc, vcc, s[0:1]
	v_cmp_eq_u32_e64 s[2:3], 1, v8
	v_cndmask_b32_e32 v6, v6, v1, vcc
	v_cndmask_b32_e32 v7, v7, v2, vcc
	v_cndmask_b32_e64 v1, v1, v6, s[2:3]
	v_cndmask_b32_e64 v2, v2, v7, s[2:3]
	;; [unrolled: 1-line block ×3, first 2 shown]
	v_mov_b32_dpp v6, v1 row_ror:4 row_mask:0xf bank_mask:0xf bound_ctrl:1
	v_mov_b32_dpp v7, v2 row_ror:4 row_mask:0xf bank_mask:0xf bound_ctrl:1
	v_and_b32_e32 v9, 1, v4
	v_cmp_lt_i64_e64 s[2:3], v[1:2], v[6:7]
	v_mov_b32_dpp v8, v4 row_ror:4 row_mask:0xf bank_mask:0xf bound_ctrl:1
	v_cmp_eq_u32_e32 vcc, 1, v9
	v_and_b32_e32 v8, 1, v8
	s_and_b64 vcc, vcc, s[2:3]
	v_cmp_eq_u32_e64 s[0:1], 1, v8
	v_cndmask_b32_e32 v6, v6, v1, vcc
	v_cndmask_b32_e32 v7, v7, v2, vcc
	v_cndmask_b32_e64 v1, v1, v6, s[0:1]
	v_cndmask_b32_e64 v2, v2, v7, s[0:1]
	v_cndmask_b32_e64 v4, v4, 1, s[0:1]
	v_mov_b32_dpp v6, v1 row_ror:8 row_mask:0xf bank_mask:0xf bound_ctrl:1
	v_mov_b32_dpp v7, v2 row_ror:8 row_mask:0xf bank_mask:0xf bound_ctrl:1
	v_and_b32_e32 v9, 1, v4
	v_cmp_lt_i64_e64 s[2:3], v[1:2], v[6:7]
	v_mov_b32_dpp v8, v4 row_ror:8 row_mask:0xf bank_mask:0xf bound_ctrl:1
	v_cmp_eq_u32_e64 s[8:9], 1, v9
	v_and_b32_e32 v8, 1, v8
	s_and_b64 s[2:3], s[8:9], s[2:3]
	v_cmp_eq_u32_e64 s[10:11], 1, v8
	v_cndmask_b32_e64 v6, v6, v1, s[2:3]
	v_cndmask_b32_e64 v7, v7, v2, s[2:3]
	;; [unrolled: 1-line block ×5, first 2 shown]
	v_mov_b32_dpp v6, v1 row_bcast:15 row_mask:0xf bank_mask:0xf bound_ctrl:1
	v_mov_b32_dpp v7, v2 row_bcast:15 row_mask:0xf bank_mask:0xf bound_ctrl:1
	v_and_b32_e32 v9, 1, v4
	v_cmp_lt_i64_e64 s[2:3], v[1:2], v[6:7]
	v_mov_b32_dpp v8, v4 row_bcast:15 row_mask:0xf bank_mask:0xf bound_ctrl:1
	v_cmp_eq_u32_e32 vcc, 1, v9
	v_and_b32_e32 v8, 1, v8
	s_and_b64 vcc, vcc, s[2:3]
	v_cmp_eq_u32_e64 s[0:1], 1, v8
	v_cndmask_b32_e32 v6, v6, v1, vcc
	v_cndmask_b32_e32 v7, v7, v2, vcc
	v_cndmask_b32_e64 v4, v4, 1, s[0:1]
	v_cndmask_b32_e64 v1, v1, v6, s[0:1]
	v_cndmask_b32_e64 v2, v2, v7, s[0:1]
	v_mov_b32_dpp v8, v4 row_bcast:31 row_mask:0xf bank_mask:0xf bound_ctrl:1
	v_mov_b32_dpp v6, v1 row_bcast:31 row_mask:0xf bank_mask:0xf bound_ctrl:1
	;; [unrolled: 1-line block ×3, first 2 shown]
	v_and_b32_e32 v9, 1, v4
	v_and_b32_e32 v8, 1, v8
	v_cmp_lt_i64_e32 vcc, v[1:2], v[6:7]
	v_cmp_eq_u32_e64 s[12:13], 1, v9
	v_cmp_eq_u32_e64 s[8:9], 1, v8
	v_cndmask_b32_e64 v4, v4, 1, s[8:9]
	s_and_b64 vcc, s[12:13], vcc
	ds_bpermute_b32 v9, v13, v4
	v_cndmask_b32_e32 v4, v6, v1, vcc
	v_cndmask_b32_e32 v6, v7, v2, vcc
	v_cndmask_b32_e64 v1, v1, v4, s[8:9]
	v_cndmask_b32_e64 v2, v2, v6, s[8:9]
	ds_bpermute_b32 v1, v13, v1
	ds_bpermute_b32 v2, v13, v2
	v_cmp_eq_u32_e32 vcc, 0, v3
	s_and_saveexec_b64 s[0:1], vcc
	s_cbranch_execz .LBB1519_20
; %bb.19:
	v_lshrrev_b32_e32 v4, 2, v0
	v_and_b32_e32 v4, 16, v4
	s_waitcnt lgkmcnt(2)
	ds_write_b8 v4, v9 offset:64
	s_waitcnt lgkmcnt(1)
	ds_write_b64 v4, v[1:2] offset:72
.LBB1519_20:
	s_or_b64 exec, exec, s[0:1]
	v_cmp_gt_u32_e32 vcc, 64, v0
	s_waitcnt lgkmcnt(0)
	s_barrier
	s_and_saveexec_b64 s[0:1], vcc
	s_cbranch_execz .LBB1519_26
; %bb.21:
	v_and_b32_e32 v1, 1, v3
	v_lshlrev_b32_e32 v1, 4, v1
	ds_read_u8 v7, v1 offset:64
	ds_read_b64 v[3:4], v1 offset:72
	v_or_b32_e32 v2, 4, v5
	s_waitcnt lgkmcnt(1)
	v_and_b32_e32 v1, 0xff, v7
	ds_bpermute_b32 v8, v2, v1
	s_waitcnt lgkmcnt(1)
	ds_bpermute_b32 v5, v2, v3
	ds_bpermute_b32 v6, v2, v4
	s_waitcnt lgkmcnt(2)
	v_and_b32_e32 v1, v7, v8
	v_and_b32_e32 v1, 1, v1
	v_cmp_eq_u32_e32 vcc, 1, v1
                                        ; implicit-def: $vgpr1_vgpr2
	s_and_saveexec_b64 s[2:3], vcc
	s_xor_b64 s[2:3], exec, s[2:3]
	s_cbranch_execz .LBB1519_23
; %bb.22:
	s_waitcnt lgkmcnt(0)
	v_cmp_lt_i64_e32 vcc, v[5:6], v[3:4]
                                        ; implicit-def: $vgpr7
                                        ; implicit-def: $vgpr8
	v_cndmask_b32_e32 v2, v4, v6, vcc
	v_cndmask_b32_e32 v1, v3, v5, vcc
                                        ; implicit-def: $vgpr5_vgpr6
                                        ; implicit-def: $vgpr3_vgpr4
.LBB1519_23:
	s_or_saveexec_b64 s[2:3], s[2:3]
	v_mov_b32_e32 v9, 1
	s_xor_b64 exec, exec, s[2:3]
	s_cbranch_execz .LBB1519_25
; %bb.24:
	v_and_b32_e32 v1, 1, v7
	v_cmp_eq_u32_e32 vcc, 1, v1
	s_waitcnt lgkmcnt(0)
	v_cndmask_b32_e32 v2, v6, v4, vcc
	v_cndmask_b32_e32 v1, v5, v3, vcc
	v_cndmask_b32_e64 v9, v8, 1, vcc
.LBB1519_25:
	s_or_b64 exec, exec, s[2:3]
.LBB1519_26:
	s_or_b64 exec, exec, s[0:1]
	s_branch .LBB1519_214
.LBB1519_27:
                                        ; implicit-def: $vgpr3_vgpr4
                                        ; implicit-def: $vgpr5
                                        ; implicit-def: $vgpr1_vgpr2
	s_branch .LBB1519_306
.LBB1519_28:
                                        ; implicit-def: $vgpr1_vgpr2
                                        ; implicit-def: $vgpr17
	s_cbranch_execz .LBB1519_145
; %bb.29:
	s_sub_i32 s36, s22, s30
	v_mov_b32_e32 v15, 0
	v_mov_b32_e32 v1, 0
	v_cmp_gt_u32_e32 vcc, s36, v0
	v_mov_b32_e32 v24, 0
	v_mov_b32_e32 v16, 0
	;; [unrolled: 1-line block ×4, first 2 shown]
	s_and_saveexec_b64 s[0:1], vcc
	s_cbranch_execz .LBB1519_31
; %bb.30:
	v_lshlrev_b32_e32 v1, 1, v0
	global_load_ushort v3, v1, s[28:29]
	v_mov_b32_e32 v2, s38
	v_add_co_u32_e32 v1, vcc, s37, v0
	v_addc_co_u32_e32 v2, vcc, 0, v2, vcc
	s_waitcnt vmcnt(0)
	v_cmp_eq_u16_e32 vcc, s34, v3
	v_cndmask_b32_e64 v17, 0, 1, vcc
.LBB1519_31:
	s_or_b64 exec, exec, s[0:1]
	v_or_b32_e32 v3, 0x80, v0
	v_cmp_gt_u32_e64 s[14:15], s36, v3
	s_and_saveexec_b64 s[0:1], s[14:15]
	s_cbranch_execz .LBB1519_33
; %bb.32:
	v_lshlrev_b32_e32 v4, 1, v0
	global_load_ushort v4, v4, s[28:29] offset:256
	s_waitcnt lgkmcnt(1)
	v_mov_b32_e32 v5, s38
	v_add_co_u32_e32 v15, vcc, s37, v3
	v_addc_co_u32_e32 v16, vcc, 0, v5, vcc
	s_waitcnt vmcnt(0)
	v_cmp_eq_u16_e32 vcc, s34, v4
	v_cndmask_b32_e64 v24, 0, 1, vcc
.LBB1519_33:
	s_or_b64 exec, exec, s[0:1]
	v_or_b32_e32 v3, 0x100, v0
	v_mov_b32_e32 v11, 0
	v_mov_b32_e32 v13, 0
	v_cmp_gt_u32_e64 s[12:13], s36, v3
	v_mov_b32_e32 v22, 0
	v_mov_b32_e32 v12, 0
	v_mov_b32_e32 v14, 0
	v_mov_b32_e32 v23, 0
	s_and_saveexec_b64 s[0:1], s[12:13]
	s_cbranch_execz .LBB1519_35
; %bb.34:
	v_lshlrev_b32_e32 v4, 1, v0
	global_load_ushort v4, v4, s[28:29] offset:512
	s_waitcnt lgkmcnt(1)
	v_mov_b32_e32 v5, s38
	v_add_co_u32_e32 v13, vcc, s37, v3
	v_addc_co_u32_e32 v14, vcc, 0, v5, vcc
	s_waitcnt vmcnt(0)
	v_cmp_eq_u16_e32 vcc, s34, v4
	v_cndmask_b32_e64 v23, 0, 1, vcc
.LBB1519_35:
	s_or_b64 exec, exec, s[0:1]
	v_or_b32_e32 v3, 0x180, v0
	v_cmp_gt_u32_e64 s[10:11], s36, v3
	s_and_saveexec_b64 s[0:1], s[10:11]
	s_cbranch_execz .LBB1519_37
; %bb.36:
	v_lshlrev_b32_e32 v4, 1, v0
	global_load_ushort v4, v4, s[28:29] offset:768
	s_waitcnt lgkmcnt(1)
	v_mov_b32_e32 v5, s38
	v_add_co_u32_e32 v11, vcc, s37, v3
	v_addc_co_u32_e32 v12, vcc, 0, v5, vcc
	s_waitcnt vmcnt(0)
	v_cmp_eq_u16_e32 vcc, s34, v4
	v_cndmask_b32_e64 v22, 0, 1, vcc
.LBB1519_37:
	s_or_b64 exec, exec, s[0:1]
	v_or_b32_e32 v3, 0x200, v0
	v_mov_b32_e32 v7, 0
	v_mov_b32_e32 v9, 0
	v_cmp_gt_u32_e64 s[8:9], s36, v3
	v_mov_b32_e32 v20, 0
	v_mov_b32_e32 v8, 0
	;; [unrolled: 1-line block ×4, first 2 shown]
	s_and_saveexec_b64 s[0:1], s[8:9]
	s_cbranch_execz .LBB1519_39
; %bb.38:
	v_lshlrev_b32_e32 v4, 1, v0
	global_load_ushort v4, v4, s[28:29] offset:1024
	s_waitcnt lgkmcnt(1)
	v_mov_b32_e32 v5, s38
	v_add_co_u32_e32 v9, vcc, s37, v3
	v_addc_co_u32_e32 v10, vcc, 0, v5, vcc
	s_waitcnt vmcnt(0)
	v_cmp_eq_u16_e32 vcc, s34, v4
	v_cndmask_b32_e64 v21, 0, 1, vcc
.LBB1519_39:
	s_or_b64 exec, exec, s[0:1]
	v_or_b32_e32 v3, 0x280, v0
	v_cmp_gt_u32_e64 s[2:3], s36, v3
	s_and_saveexec_b64 s[0:1], s[2:3]
	s_cbranch_execz .LBB1519_41
; %bb.40:
	v_lshlrev_b32_e32 v4, 1, v0
	global_load_ushort v4, v4, s[28:29] offset:1280
	s_waitcnt lgkmcnt(1)
	v_mov_b32_e32 v5, s38
	v_add_co_u32_e32 v7, vcc, s37, v3
	v_addc_co_u32_e32 v8, vcc, 0, v5, vcc
	s_waitcnt vmcnt(0)
	v_cmp_eq_u16_e32 vcc, s34, v4
	v_cndmask_b32_e64 v20, 0, 1, vcc
.LBB1519_41:
	s_or_b64 exec, exec, s[0:1]
	v_or_b32_e32 v25, 0x300, v0
	v_mov_b32_e32 v3, 0
	s_waitcnt lgkmcnt(0)
	v_mov_b32_e32 v5, 0
	v_cmp_gt_u32_e64 s[0:1], s36, v25
	v_mov_b32_e32 v4, 0
	v_mov_b32_e32 v18, 0
	;; [unrolled: 1-line block ×4, first 2 shown]
	s_and_saveexec_b64 s[16:17], s[0:1]
	s_cbranch_execz .LBB1519_43
; %bb.42:
	v_lshlrev_b32_e32 v5, 1, v0
	global_load_ushort v19, v5, s[28:29] offset:1536
	v_mov_b32_e32 v6, s38
	v_add_co_u32_e32 v5, vcc, s37, v25
	v_addc_co_u32_e32 v6, vcc, 0, v6, vcc
	s_waitcnt vmcnt(0)
	v_cmp_eq_u16_e32 vcc, s34, v19
	v_cndmask_b32_e64 v19, 0, 1, vcc
.LBB1519_43:
	s_or_b64 exec, exec, s[16:17]
	v_or_b32_e32 v25, 0x380, v0
	v_cmp_gt_u32_e32 vcc, s36, v25
	s_and_saveexec_b64 s[30:31], vcc
	s_cbranch_execnz .LBB1519_62
; %bb.44:
	s_or_b64 exec, exec, s[30:31]
	s_and_saveexec_b64 s[28:29], s[14:15]
	s_cbranch_execnz .LBB1519_63
.LBB1519_45:
	s_or_b64 exec, exec, s[28:29]
	s_and_saveexec_b64 s[16:17], s[12:13]
	s_cbranch_execnz .LBB1519_68
.LBB1519_46:
	s_or_b64 exec, exec, s[16:17]
	s_and_saveexec_b64 s[14:15], s[10:11]
	s_cbranch_execnz .LBB1519_73
.LBB1519_47:
	s_or_b64 exec, exec, s[14:15]
	s_and_saveexec_b64 s[12:13], s[8:9]
	s_cbranch_execnz .LBB1519_78
.LBB1519_48:
	s_or_b64 exec, exec, s[12:13]
	s_and_saveexec_b64 s[10:11], s[2:3]
	s_cbranch_execnz .LBB1519_83
.LBB1519_49:
	s_or_b64 exec, exec, s[10:11]
	s_and_saveexec_b64 s[8:9], s[0:1]
	s_cbranch_execnz .LBB1519_88
.LBB1519_50:
	s_or_b64 exec, exec, s[8:9]
	s_and_saveexec_b64 s[2:3], vcc
	s_cbranch_execnz .LBB1519_93
	s_branch .LBB1519_98
.LBB1519_51:
                                        ; implicit-def: $vgpr1_vgpr2
                                        ; implicit-def: $vgpr9
	s_cbranch_execz .LBB1519_214
; %bb.52:
	s_sub_i32 s12, s22, s26
	s_waitcnt lgkmcnt(1)
	v_mov_b32_e32 v7, 0
	v_mov_b32_e32 v1, 0
	v_cmp_gt_u32_e32 vcc, s12, v0
	v_mov_b32_e32 v12, 0
	v_mov_b32_e32 v8, 0
	;; [unrolled: 1-line block ×4, first 2 shown]
	s_and_saveexec_b64 s[0:1], vcc
	s_cbranch_execz .LBB1519_54
; %bb.53:
	v_lshlrev_b32_e32 v1, 1, v0
	global_load_ushort v3, v1, s[16:17]
	v_mov_b32_e32 v2, s28
	v_add_co_u32_e32 v1, vcc, s27, v0
	v_addc_co_u32_e32 v2, vcc, 0, v2, vcc
	s_waitcnt vmcnt(0)
	v_cmp_eq_u16_e32 vcc, s34, v3
	v_cndmask_b32_e64 v9, 0, 1, vcc
.LBB1519_54:
	s_or_b64 exec, exec, s[0:1]
	v_or_b32_e32 v3, 0x80, v0
	v_cmp_gt_u32_e64 s[2:3], s12, v3
	s_and_saveexec_b64 s[0:1], s[2:3]
	s_cbranch_execz .LBB1519_56
; %bb.55:
	s_waitcnt lgkmcnt(0)
	v_lshlrev_b32_e32 v4, 1, v0
	global_load_ushort v4, v4, s[16:17] offset:256
	v_mov_b32_e32 v5, s28
	v_add_co_u32_e32 v7, vcc, s27, v3
	v_addc_co_u32_e32 v8, vcc, 0, v5, vcc
	s_waitcnt vmcnt(0)
	v_cmp_eq_u16_e32 vcc, s34, v4
	v_cndmask_b32_e64 v12, 0, 1, vcc
.LBB1519_56:
	s_or_b64 exec, exec, s[0:1]
	v_or_b32_e32 v13, 0x100, v0
	s_waitcnt lgkmcnt(0)
	v_mov_b32_e32 v3, 0
	v_mov_b32_e32 v5, 0
	v_cmp_gt_u32_e64 s[0:1], s12, v13
	v_mov_b32_e32 v10, 0
	v_mov_b32_e32 v4, 0
	v_mov_b32_e32 v6, 0
	v_mov_b32_e32 v11, 0
	s_and_saveexec_b64 s[8:9], s[0:1]
	s_cbranch_execz .LBB1519_58
; %bb.57:
	v_lshlrev_b32_e32 v5, 1, v0
	global_load_ushort v11, v5, s[16:17] offset:512
	v_mov_b32_e32 v6, s28
	v_add_co_u32_e32 v5, vcc, s27, v13
	v_addc_co_u32_e32 v6, vcc, 0, v6, vcc
	s_waitcnt vmcnt(0)
	v_cmp_eq_u16_e32 vcc, s34, v11
	v_cndmask_b32_e64 v11, 0, 1, vcc
.LBB1519_58:
	s_or_b64 exec, exec, s[8:9]
	v_or_b32_e32 v13, 0x180, v0
	v_cmp_gt_u32_e32 vcc, s12, v13
	s_and_saveexec_b64 s[10:11], vcc
	s_cbranch_execnz .LBB1519_151
; %bb.59:
	s_or_b64 exec, exec, s[10:11]
	s_and_saveexec_b64 s[10:11], s[2:3]
	s_cbranch_execnz .LBB1519_152
.LBB1519_60:
	s_or_b64 exec, exec, s[10:11]
	s_and_saveexec_b64 s[8:9], s[0:1]
	s_cbranch_execnz .LBB1519_157
.LBB1519_61:
	s_or_b64 exec, exec, s[8:9]
	s_and_saveexec_b64 s[2:3], vcc
	s_cbranch_execnz .LBB1519_162
	s_branch .LBB1519_167
.LBB1519_62:
	v_lshlrev_b32_e32 v3, 1, v0
	global_load_ushort v18, v3, s[28:29] offset:1792
	v_mov_b32_e32 v4, s38
	v_add_co_u32_e64 v3, s[16:17], s37, v25
	v_addc_co_u32_e64 v4, s[16:17], 0, v4, s[16:17]
	s_waitcnt vmcnt(0)
	v_cmp_eq_u16_e64 s[16:17], s34, v18
	v_cndmask_b32_e64 v18, 0, 1, s[16:17]
	s_or_b64 exec, exec, s[30:31]
	s_and_saveexec_b64 s[28:29], s[14:15]
	s_cbranch_execz .LBB1519_45
.LBB1519_63:
	v_and_b32_e32 v17, 1, v17
	v_cmp_eq_u32_e64 s[14:15], 1, v17
	v_and_b32_e32 v17, 1, v24
	v_cmp_eq_u32_e64 s[16:17], 1, v17
	s_and_b64 s[16:17], s[14:15], s[16:17]
	s_xor_b64 s[16:17], s[16:17], -1
                                        ; implicit-def: $vgpr17
	s_and_saveexec_b64 s[30:31], s[16:17]
	s_xor_b64 s[16:17], exec, s[30:31]
; %bb.64:
	v_and_b32_e32 v17, 0xffff, v24
	v_cndmask_b32_e64 v17, v17, 1, s[14:15]
	v_cndmask_b32_e64 v2, v16, v2, s[14:15]
	;; [unrolled: 1-line block ×3, first 2 shown]
                                        ; implicit-def: $vgpr15_vgpr16
; %bb.65:
	s_andn2_saveexec_b64 s[16:17], s[16:17]
; %bb.66:
	v_cmp_lt_i64_e64 s[14:15], v[15:16], v[1:2]
	v_mov_b32_e32 v17, 1
	v_cndmask_b32_e64 v2, v2, v16, s[14:15]
	v_cndmask_b32_e64 v1, v1, v15, s[14:15]
; %bb.67:
	s_or_b64 exec, exec, s[16:17]
	s_or_b64 exec, exec, s[28:29]
	s_and_saveexec_b64 s[16:17], s[12:13]
	s_cbranch_execz .LBB1519_46
.LBB1519_68:
	v_and_b32_e32 v15, 1, v17
	v_cmp_eq_u32_e64 s[12:13], 1, v15
	v_and_b32_e32 v15, 1, v23
	v_cmp_eq_u32_e64 s[14:15], 1, v15
	s_and_b64 s[14:15], s[12:13], s[14:15]
	s_xor_b64 s[14:15], s[14:15], -1
                                        ; implicit-def: $vgpr17
	s_and_saveexec_b64 s[28:29], s[14:15]
	s_xor_b64 s[14:15], exec, s[28:29]
; %bb.69:
	v_and_b32_e32 v15, 0xffff, v23
	v_cndmask_b32_e64 v17, v15, 1, s[12:13]
	v_cndmask_b32_e64 v2, v14, v2, s[12:13]
	;; [unrolled: 1-line block ×3, first 2 shown]
                                        ; implicit-def: $vgpr13_vgpr14
; %bb.70:
	s_andn2_saveexec_b64 s[14:15], s[14:15]
; %bb.71:
	v_cmp_lt_i64_e64 s[12:13], v[13:14], v[1:2]
	v_mov_b32_e32 v17, 1
	v_cndmask_b32_e64 v2, v2, v14, s[12:13]
	v_cndmask_b32_e64 v1, v1, v13, s[12:13]
; %bb.72:
	s_or_b64 exec, exec, s[14:15]
	s_or_b64 exec, exec, s[16:17]
	s_and_saveexec_b64 s[14:15], s[10:11]
	s_cbranch_execz .LBB1519_47
.LBB1519_73:
	v_and_b32_e32 v13, 1, v17
	v_cmp_eq_u32_e64 s[10:11], 1, v13
	v_and_b32_e32 v13, 1, v22
	v_cmp_eq_u32_e64 s[12:13], 1, v13
	s_and_b64 s[12:13], s[10:11], s[12:13]
	s_xor_b64 s[12:13], s[12:13], -1
                                        ; implicit-def: $vgpr17
	s_and_saveexec_b64 s[16:17], s[12:13]
	s_xor_b64 s[12:13], exec, s[16:17]
; %bb.74:
	v_and_b32_e32 v13, 0xffff, v22
	v_cndmask_b32_e64 v17, v13, 1, s[10:11]
	v_cndmask_b32_e64 v2, v12, v2, s[10:11]
	;; [unrolled: 1-line block ×3, first 2 shown]
                                        ; implicit-def: $vgpr11_vgpr12
; %bb.75:
	s_andn2_saveexec_b64 s[12:13], s[12:13]
; %bb.76:
	v_cmp_lt_i64_e64 s[10:11], v[11:12], v[1:2]
	v_mov_b32_e32 v17, 1
	v_cndmask_b32_e64 v2, v2, v12, s[10:11]
	v_cndmask_b32_e64 v1, v1, v11, s[10:11]
; %bb.77:
	s_or_b64 exec, exec, s[12:13]
	s_or_b64 exec, exec, s[14:15]
	s_and_saveexec_b64 s[12:13], s[8:9]
	s_cbranch_execz .LBB1519_48
.LBB1519_78:
	v_and_b32_e32 v11, 1, v17
	v_cmp_eq_u32_e64 s[8:9], 1, v11
	v_and_b32_e32 v11, 1, v21
	v_cmp_eq_u32_e64 s[10:11], 1, v11
	s_and_b64 s[10:11], s[8:9], s[10:11]
	s_xor_b64 s[10:11], s[10:11], -1
                                        ; implicit-def: $vgpr17
	s_and_saveexec_b64 s[14:15], s[10:11]
	s_xor_b64 s[10:11], exec, s[14:15]
; %bb.79:
	v_and_b32_e32 v11, 0xffff, v21
	v_cndmask_b32_e64 v17, v11, 1, s[8:9]
	v_cndmask_b32_e64 v2, v10, v2, s[8:9]
	;; [unrolled: 1-line block ×3, first 2 shown]
                                        ; implicit-def: $vgpr9_vgpr10
; %bb.80:
	s_andn2_saveexec_b64 s[10:11], s[10:11]
; %bb.81:
	v_cmp_lt_i64_e64 s[8:9], v[9:10], v[1:2]
	v_mov_b32_e32 v17, 1
	v_cndmask_b32_e64 v2, v2, v10, s[8:9]
	v_cndmask_b32_e64 v1, v1, v9, s[8:9]
; %bb.82:
	s_or_b64 exec, exec, s[10:11]
	s_or_b64 exec, exec, s[12:13]
	s_and_saveexec_b64 s[10:11], s[2:3]
	s_cbranch_execz .LBB1519_49
.LBB1519_83:
	v_and_b32_e32 v9, 1, v17
	v_cmp_eq_u32_e64 s[2:3], 1, v9
	v_and_b32_e32 v9, 1, v20
	v_cmp_eq_u32_e64 s[8:9], 1, v9
	s_and_b64 s[8:9], s[2:3], s[8:9]
	s_xor_b64 s[8:9], s[8:9], -1
                                        ; implicit-def: $vgpr17
	s_and_saveexec_b64 s[12:13], s[8:9]
	s_xor_b64 s[8:9], exec, s[12:13]
; %bb.84:
	v_and_b32_e32 v9, 0xffff, v20
	v_cndmask_b32_e64 v17, v9, 1, s[2:3]
	v_cndmask_b32_e64 v2, v8, v2, s[2:3]
	v_cndmask_b32_e64 v1, v7, v1, s[2:3]
                                        ; implicit-def: $vgpr7_vgpr8
; %bb.85:
	s_andn2_saveexec_b64 s[8:9], s[8:9]
; %bb.86:
	v_cmp_lt_i64_e64 s[2:3], v[7:8], v[1:2]
	v_mov_b32_e32 v17, 1
	v_cndmask_b32_e64 v2, v2, v8, s[2:3]
	v_cndmask_b32_e64 v1, v1, v7, s[2:3]
; %bb.87:
	s_or_b64 exec, exec, s[8:9]
	s_or_b64 exec, exec, s[10:11]
	s_and_saveexec_b64 s[8:9], s[0:1]
	s_cbranch_execz .LBB1519_50
.LBB1519_88:
	v_and_b32_e32 v7, 1, v17
	v_cmp_eq_u32_e64 s[0:1], 1, v7
	v_and_b32_e32 v7, 1, v19
	v_cmp_eq_u32_e64 s[2:3], 1, v7
	s_and_b64 s[2:3], s[0:1], s[2:3]
	s_xor_b64 s[2:3], s[2:3], -1
                                        ; implicit-def: $vgpr17
	s_and_saveexec_b64 s[10:11], s[2:3]
	s_xor_b64 s[2:3], exec, s[10:11]
; %bb.89:
	v_and_b32_e32 v7, 0xffff, v19
	v_cndmask_b32_e64 v17, v7, 1, s[0:1]
	v_cndmask_b32_e64 v2, v6, v2, s[0:1]
	;; [unrolled: 1-line block ×3, first 2 shown]
                                        ; implicit-def: $vgpr5_vgpr6
; %bb.90:
	s_andn2_saveexec_b64 s[2:3], s[2:3]
; %bb.91:
	v_cmp_lt_i64_e64 s[0:1], v[5:6], v[1:2]
	v_mov_b32_e32 v17, 1
	v_cndmask_b32_e64 v2, v2, v6, s[0:1]
	v_cndmask_b32_e64 v1, v1, v5, s[0:1]
; %bb.92:
	s_or_b64 exec, exec, s[2:3]
	s_or_b64 exec, exec, s[8:9]
	s_and_saveexec_b64 s[2:3], vcc
	s_cbranch_execz .LBB1519_98
.LBB1519_93:
	v_and_b32_e32 v5, 1, v17
	v_cmp_eq_u32_e32 vcc, 1, v5
	v_and_b32_e32 v5, 1, v18
	v_cmp_eq_u32_e64 s[0:1], 1, v5
	s_and_b64 s[0:1], vcc, s[0:1]
	s_xor_b64 s[0:1], s[0:1], -1
                                        ; implicit-def: $vgpr17
	s_and_saveexec_b64 s[8:9], s[0:1]
	s_xor_b64 s[0:1], exec, s[8:9]
; %bb.94:
	v_and_b32_e32 v5, 0xffff, v18
	v_cndmask_b32_e64 v17, v5, 1, vcc
	v_cndmask_b32_e32 v2, v4, v2, vcc
	v_cndmask_b32_e32 v1, v3, v1, vcc
                                        ; implicit-def: $vgpr3_vgpr4
; %bb.95:
	s_andn2_saveexec_b64 s[0:1], s[0:1]
; %bb.96:
	v_cmp_lt_i64_e32 vcc, v[3:4], v[1:2]
	v_mov_b32_e32 v17, 1
	v_cndmask_b32_e32 v2, v2, v4, vcc
	v_cndmask_b32_e32 v1, v1, v3, vcc
; %bb.97:
	s_or_b64 exec, exec, s[0:1]
.LBB1519_98:
	s_or_b64 exec, exec, s[2:3]
	v_mbcnt_lo_u32_b32 v3, -1, 0
	v_mbcnt_hi_u32_b32 v5, -1, v3
	v_and_b32_e32 v6, 63, v5
	v_cmp_ne_u32_e32 vcc, 63, v6
	v_addc_co_u32_e32 v3, vcc, 0, v5, vcc
	v_lshlrev_b32_e32 v4, 2, v3
	ds_bpermute_b32 v8, v4, v17
	ds_bpermute_b32 v3, v4, v1
	;; [unrolled: 1-line block ×3, first 2 shown]
	s_min_u32 s8, s36, 0x80
	v_and_b32_e32 v7, 64, v0
	v_sub_u32_e64 v7, s8, v7 clamp
	v_add_u32_e32 v9, 1, v6
	v_cmp_lt_u32_e32 vcc, v9, v7
	s_and_saveexec_b64 s[0:1], vcc
	s_xor_b64 s[0:1], exec, s[0:1]
	s_cbranch_execz .LBB1519_104
; %bb.99:
	s_waitcnt lgkmcnt(2)
	v_and_b32_e32 v9, v8, v17
	v_cmp_ne_u32_e32 vcc, 0, v9
	s_and_saveexec_b64 s[2:3], vcc
	s_xor_b64 s[2:3], exec, s[2:3]
	s_cbranch_execz .LBB1519_101
; %bb.100:
	s_waitcnt lgkmcnt(0)
	v_cmp_lt_i64_e32 vcc, v[3:4], v[1:2]
                                        ; implicit-def: $vgpr17
                                        ; implicit-def: $vgpr8
	v_cndmask_b32_e32 v2, v2, v4, vcc
	v_cndmask_b32_e32 v1, v1, v3, vcc
                                        ; implicit-def: $vgpr3_vgpr4
.LBB1519_101:
	s_or_saveexec_b64 s[2:3], s[2:3]
	v_mov_b32_e32 v9, 1
	s_xor_b64 exec, exec, s[2:3]
	s_cbranch_execz .LBB1519_103
; %bb.102:
	v_and_b32_e32 v9, 1, v17
	v_cmp_eq_u32_e32 vcc, 1, v9
	s_waitcnt lgkmcnt(1)
	v_cndmask_b32_e32 v1, v3, v1, vcc
	v_and_b32_e32 v3, 0xff, v8
	s_waitcnt lgkmcnt(0)
	v_cndmask_b32_e32 v2, v4, v2, vcc
	v_cndmask_b32_e64 v9, v3, 1, vcc
.LBB1519_103:
	s_or_b64 exec, exec, s[2:3]
	v_mov_b32_e32 v17, v9
.LBB1519_104:
	s_or_b64 exec, exec, s[0:1]
	v_cmp_gt_u32_e32 vcc, 62, v6
	s_waitcnt lgkmcnt(1)
	v_cndmask_b32_e64 v3, 0, 2, vcc
	s_waitcnt lgkmcnt(0)
	v_add_lshl_u32 v4, v3, v5, 2
	ds_bpermute_b32 v8, v4, v17
	ds_bpermute_b32 v3, v4, v1
	ds_bpermute_b32 v4, v4, v2
	v_add_u32_e32 v9, 2, v6
	v_cmp_lt_u32_e32 vcc, v9, v7
	s_and_saveexec_b64 s[0:1], vcc
	s_cbranch_execz .LBB1519_110
; %bb.105:
	s_waitcnt lgkmcnt(2)
	v_and_b32_e32 v9, v17, v8
	v_and_b32_e32 v9, 1, v9
	v_cmp_eq_u32_e32 vcc, 1, v9
	s_and_saveexec_b64 s[2:3], vcc
	s_xor_b64 s[2:3], exec, s[2:3]
	s_cbranch_execz .LBB1519_107
; %bb.106:
	s_waitcnt lgkmcnt(0)
	v_cmp_lt_i64_e32 vcc, v[3:4], v[1:2]
                                        ; implicit-def: $vgpr17
                                        ; implicit-def: $vgpr8
	v_cndmask_b32_e32 v2, v2, v4, vcc
	v_cndmask_b32_e32 v1, v1, v3, vcc
                                        ; implicit-def: $vgpr3_vgpr4
.LBB1519_107:
	s_or_saveexec_b64 s[2:3], s[2:3]
	v_mov_b32_e32 v9, 1
	s_xor_b64 exec, exec, s[2:3]
	s_cbranch_execz .LBB1519_109
; %bb.108:
	v_and_b32_e32 v9, 1, v17
	v_cmp_eq_u32_e32 vcc, 1, v9
	s_waitcnt lgkmcnt(1)
	v_cndmask_b32_e32 v1, v3, v1, vcc
	v_and_b32_e32 v3, 0xff, v8
	s_waitcnt lgkmcnt(0)
	v_cndmask_b32_e32 v2, v4, v2, vcc
	v_cndmask_b32_e64 v9, v3, 1, vcc
.LBB1519_109:
	s_or_b64 exec, exec, s[2:3]
	v_mov_b32_e32 v17, v9
.LBB1519_110:
	s_or_b64 exec, exec, s[0:1]
	v_cmp_gt_u32_e32 vcc, 60, v6
	s_waitcnt lgkmcnt(1)
	v_cndmask_b32_e64 v3, 0, 4, vcc
	s_waitcnt lgkmcnt(0)
	v_add_lshl_u32 v4, v3, v5, 2
	ds_bpermute_b32 v8, v4, v17
	ds_bpermute_b32 v3, v4, v1
	ds_bpermute_b32 v4, v4, v2
	v_add_u32_e32 v9, 4, v6
	v_cmp_lt_u32_e32 vcc, v9, v7
	s_and_saveexec_b64 s[0:1], vcc
	s_cbranch_execz .LBB1519_116
; %bb.111:
	s_waitcnt lgkmcnt(2)
	v_and_b32_e32 v9, v17, v8
	v_and_b32_e32 v9, 1, v9
	v_cmp_eq_u32_e32 vcc, 1, v9
	s_and_saveexec_b64 s[2:3], vcc
	s_xor_b64 s[2:3], exec, s[2:3]
	s_cbranch_execz .LBB1519_113
; %bb.112:
	s_waitcnt lgkmcnt(0)
	v_cmp_lt_i64_e32 vcc, v[3:4], v[1:2]
                                        ; implicit-def: $vgpr17
                                        ; implicit-def: $vgpr8
	v_cndmask_b32_e32 v2, v2, v4, vcc
	v_cndmask_b32_e32 v1, v1, v3, vcc
                                        ; implicit-def: $vgpr3_vgpr4
.LBB1519_113:
	s_or_saveexec_b64 s[2:3], s[2:3]
	v_mov_b32_e32 v9, 1
	s_xor_b64 exec, exec, s[2:3]
	s_cbranch_execz .LBB1519_115
; %bb.114:
	v_and_b32_e32 v9, 1, v17
	v_cmp_eq_u32_e32 vcc, 1, v9
	s_waitcnt lgkmcnt(1)
	v_cndmask_b32_e32 v1, v3, v1, vcc
	v_and_b32_e32 v3, 0xff, v8
	s_waitcnt lgkmcnt(0)
	v_cndmask_b32_e32 v2, v4, v2, vcc
	v_cndmask_b32_e64 v9, v3, 1, vcc
.LBB1519_115:
	s_or_b64 exec, exec, s[2:3]
	v_mov_b32_e32 v17, v9
.LBB1519_116:
	;; [unrolled: 47-line block ×4, first 2 shown]
	s_or_b64 exec, exec, s[0:1]
	s_waitcnt lgkmcnt(2)
	v_lshlrev_b32_e32 v8, 2, v5
	s_waitcnt lgkmcnt(0)
	v_or_b32_e32 v4, 0x80, v8
	ds_bpermute_b32 v9, v4, v17
	ds_bpermute_b32 v3, v4, v1
	;; [unrolled: 1-line block ×3, first 2 shown]
	v_add_u32_e32 v6, 32, v6
	v_cmp_lt_u32_e32 vcc, v6, v7
	v_mov_b32_e32 v6, v17
	s_and_saveexec_b64 s[0:1], vcc
	s_cbranch_execz .LBB1519_134
; %bb.129:
	s_waitcnt lgkmcnt(2)
	v_and_b32_e32 v6, v17, v9
	v_and_b32_e32 v6, 1, v6
	v_cmp_eq_u32_e32 vcc, 1, v6
	s_and_saveexec_b64 s[2:3], vcc
	s_xor_b64 s[2:3], exec, s[2:3]
	s_cbranch_execz .LBB1519_131
; %bb.130:
	s_waitcnt lgkmcnt(0)
	v_cmp_lt_i64_e32 vcc, v[3:4], v[1:2]
                                        ; implicit-def: $vgpr17
                                        ; implicit-def: $vgpr9
	v_cndmask_b32_e32 v2, v2, v4, vcc
	v_cndmask_b32_e32 v1, v1, v3, vcc
                                        ; implicit-def: $vgpr3_vgpr4
.LBB1519_131:
	s_or_saveexec_b64 s[2:3], s[2:3]
	v_mov_b32_e32 v6, 1
	s_xor_b64 exec, exec, s[2:3]
	s_cbranch_execz .LBB1519_133
; %bb.132:
	v_and_b32_e32 v6, 1, v17
	v_cmp_eq_u32_e32 vcc, 1, v6
	v_cndmask_b32_e64 v6, v9, 1, vcc
	s_waitcnt lgkmcnt(0)
	v_cndmask_b32_e32 v2, v4, v2, vcc
	v_cndmask_b32_e32 v1, v3, v1, vcc
.LBB1519_133:
	s_or_b64 exec, exec, s[2:3]
	v_and_b32_e32 v17, 0xff, v6
.LBB1519_134:
	s_or_b64 exec, exec, s[0:1]
	v_cmp_eq_u32_e32 vcc, 0, v5
	s_and_saveexec_b64 s[0:1], vcc
	s_cbranch_execz .LBB1519_136
; %bb.135:
	s_waitcnt lgkmcnt(1)
	v_lshrrev_b32_e32 v3, 2, v0
	v_and_b32_e32 v3, 16, v3
	ds_write_b8 v3, v6 offset:128
	ds_write_b64 v3, v[1:2] offset:136
.LBB1519_136:
	s_or_b64 exec, exec, s[0:1]
	v_cmp_gt_u32_e32 vcc, 2, v0
	s_waitcnt lgkmcnt(0)
	s_barrier
	s_and_saveexec_b64 s[0:1], vcc
	s_cbranch_execz .LBB1519_144
; %bb.137:
	v_lshlrev_b32_e32 v1, 4, v5
	ds_read_u8 v6, v1 offset:128
	ds_read_b64 v[1:2], v1 offset:136
	v_or_b32_e32 v4, 4, v8
	s_add_i32 s8, s8, 63
	v_and_b32_e32 v5, 1, v5
	s_waitcnt lgkmcnt(1)
	v_and_b32_e32 v17, 0xff, v6
	s_waitcnt lgkmcnt(0)
	ds_bpermute_b32 v3, v4, v1
	ds_bpermute_b32 v7, v4, v17
	;; [unrolled: 1-line block ×3, first 2 shown]
	s_lshr_b32 s2, s8, 6
	v_add_u32_e32 v5, 1, v5
	v_cmp_gt_u32_e32 vcc, s2, v5
	s_and_saveexec_b64 s[2:3], vcc
	s_cbranch_execz .LBB1519_143
; %bb.138:
	s_waitcnt lgkmcnt(1)
	v_and_b32_e32 v5, v17, v7
	v_and_b32_e32 v5, 1, v5
	v_cmp_eq_u32_e32 vcc, 1, v5
	s_and_saveexec_b64 s[8:9], vcc
	s_xor_b64 s[8:9], exec, s[8:9]
	s_cbranch_execz .LBB1519_140
; %bb.139:
	s_waitcnt lgkmcnt(0)
	v_cmp_lt_i64_e32 vcc, v[3:4], v[1:2]
                                        ; implicit-def: $vgpr6
                                        ; implicit-def: $vgpr7
	v_cndmask_b32_e32 v2, v2, v4, vcc
	v_cndmask_b32_e32 v1, v1, v3, vcc
                                        ; implicit-def: $vgpr3_vgpr4
.LBB1519_140:
	s_or_saveexec_b64 s[8:9], s[8:9]
	v_mov_b32_e32 v17, 1
	s_xor_b64 exec, exec, s[8:9]
	s_cbranch_execz .LBB1519_142
; %bb.141:
	v_and_b32_e32 v5, 1, v6
	v_cmp_eq_u32_e32 vcc, 1, v5
	s_waitcnt lgkmcnt(0)
	v_cndmask_b32_e32 v2, v4, v2, vcc
	v_cndmask_b32_e32 v1, v3, v1, vcc
	v_cndmask_b32_e64 v17, v7, 1, vcc
.LBB1519_142:
	s_or_b64 exec, exec, s[8:9]
.LBB1519_143:
	s_or_b64 exec, exec, s[2:3]
.LBB1519_144:
	s_or_b64 exec, exec, s[0:1]
.LBB1519_145:
	v_cmp_eq_u32_e32 vcc, 0, v0
	s_mov_b64 s[14:15], 0
                                        ; implicit-def: $vgpr3_vgpr4
                                        ; implicit-def: $vgpr5
	s_and_saveexec_b64 s[0:1], vcc
	s_xor_b64 s[8:9], exec, s[0:1]
	s_cbranch_execz .LBB1519_149
; %bb.146:
	s_waitcnt lgkmcnt(0)
	v_mov_b32_e32 v3, s18
	s_cmp_eq_u64 s[22:23], 0
	v_mov_b32_e32 v4, s19
	v_mov_b32_e32 v5, s33
	s_cbranch_scc1 .LBB1519_148
; %bb.147:
	v_and_b32_e32 v3, 1, v17
	v_cmp_gt_i64_e64 s[0:1], s[18:19], v[1:2]
	s_bitcmp1_b32 s33, 0
	v_cmp_eq_u32_e32 vcc, 1, v3
	s_cselect_b64 s[2:3], -1, 0
	v_mov_b32_e32 v3, s18
	s_and_b64 vcc, vcc, s[0:1]
	v_mov_b32_e32 v4, s19
	v_cndmask_b32_e32 v3, v3, v1, vcc
	v_cndmask_b32_e32 v4, v4, v2, vcc
	v_cndmask_b32_e64 v5, v17, 1, s[2:3]
	v_cndmask_b32_e64 v4, v2, v4, s[2:3]
	;; [unrolled: 1-line block ×3, first 2 shown]
.LBB1519_148:
	s_mov_b64 s[14:15], exec
.LBB1519_149:
	s_or_b64 exec, exec, s[8:9]
	v_mov_b32_e32 v1, s6
	v_mov_b32_e32 v2, s7
	s_and_b64 vcc, exec, s[26:27]
	s_cbranch_vccnz .LBB1519_16
.LBB1519_150:
	s_branch .LBB1519_306
.LBB1519_151:
	v_lshlrev_b32_e32 v3, 1, v0
	global_load_ushort v10, v3, s[16:17] offset:768
	v_mov_b32_e32 v4, s28
	v_add_co_u32_e64 v3, s[8:9], s27, v13
	v_addc_co_u32_e64 v4, s[8:9], 0, v4, s[8:9]
	s_waitcnt vmcnt(0)
	v_cmp_eq_u16_e64 s[8:9], s34, v10
	v_cndmask_b32_e64 v10, 0, 1, s[8:9]
	s_or_b64 exec, exec, s[10:11]
	s_and_saveexec_b64 s[10:11], s[2:3]
	s_cbranch_execz .LBB1519_60
.LBB1519_152:
	v_and_b32_e32 v9, 1, v9
	v_cmp_eq_u32_e64 s[2:3], 1, v9
	v_and_b32_e32 v9, 1, v12
	v_cmp_eq_u32_e64 s[8:9], 1, v9
	s_and_b64 s[8:9], s[2:3], s[8:9]
	s_xor_b64 s[8:9], s[8:9], -1
                                        ; implicit-def: $vgpr9
	s_and_saveexec_b64 s[16:17], s[8:9]
	s_xor_b64 s[8:9], exec, s[16:17]
; %bb.153:
	v_and_b32_e32 v9, 0xffff, v12
	v_cndmask_b32_e64 v9, v9, 1, s[2:3]
	v_cndmask_b32_e64 v2, v8, v2, s[2:3]
	v_cndmask_b32_e64 v1, v7, v1, s[2:3]
                                        ; implicit-def: $vgpr7_vgpr8
; %bb.154:
	s_andn2_saveexec_b64 s[8:9], s[8:9]
; %bb.155:
	v_cmp_lt_i64_e64 s[2:3], v[7:8], v[1:2]
	v_mov_b32_e32 v9, 1
	v_cndmask_b32_e64 v2, v2, v8, s[2:3]
	v_cndmask_b32_e64 v1, v1, v7, s[2:3]
; %bb.156:
	s_or_b64 exec, exec, s[8:9]
	s_or_b64 exec, exec, s[10:11]
	s_and_saveexec_b64 s[8:9], s[0:1]
	s_cbranch_execz .LBB1519_61
.LBB1519_157:
	v_and_b32_e32 v7, 1, v9
	v_cmp_eq_u32_e64 s[0:1], 1, v7
	v_and_b32_e32 v7, 1, v11
	v_cmp_eq_u32_e64 s[2:3], 1, v7
	s_and_b64 s[2:3], s[0:1], s[2:3]
	s_xor_b64 s[2:3], s[2:3], -1
                                        ; implicit-def: $vgpr9
	s_and_saveexec_b64 s[10:11], s[2:3]
	s_xor_b64 s[2:3], exec, s[10:11]
; %bb.158:
	v_and_b32_e32 v7, 0xffff, v11
	v_cndmask_b32_e64 v9, v7, 1, s[0:1]
	v_cndmask_b32_e64 v2, v6, v2, s[0:1]
	;; [unrolled: 1-line block ×3, first 2 shown]
                                        ; implicit-def: $vgpr5_vgpr6
; %bb.159:
	s_andn2_saveexec_b64 s[2:3], s[2:3]
; %bb.160:
	v_cmp_lt_i64_e64 s[0:1], v[5:6], v[1:2]
	v_mov_b32_e32 v9, 1
	v_cndmask_b32_e64 v2, v2, v6, s[0:1]
	v_cndmask_b32_e64 v1, v1, v5, s[0:1]
; %bb.161:
	s_or_b64 exec, exec, s[2:3]
	s_or_b64 exec, exec, s[8:9]
	s_and_saveexec_b64 s[2:3], vcc
	s_cbranch_execz .LBB1519_167
.LBB1519_162:
	v_and_b32_e32 v5, 1, v9
	v_cmp_eq_u32_e32 vcc, 1, v5
	v_and_b32_e32 v5, 1, v10
	v_cmp_eq_u32_e64 s[0:1], 1, v5
	s_and_b64 s[0:1], vcc, s[0:1]
	s_xor_b64 s[0:1], s[0:1], -1
                                        ; implicit-def: $vgpr9
	s_and_saveexec_b64 s[8:9], s[0:1]
	s_xor_b64 s[0:1], exec, s[8:9]
; %bb.163:
	v_and_b32_e32 v5, 0xffff, v10
	v_cndmask_b32_e64 v9, v5, 1, vcc
	v_cndmask_b32_e32 v2, v4, v2, vcc
	v_cndmask_b32_e32 v1, v3, v1, vcc
                                        ; implicit-def: $vgpr3_vgpr4
; %bb.164:
	s_andn2_saveexec_b64 s[0:1], s[0:1]
; %bb.165:
	v_cmp_lt_i64_e32 vcc, v[3:4], v[1:2]
	v_mov_b32_e32 v9, 1
	v_cndmask_b32_e32 v2, v2, v4, vcc
	v_cndmask_b32_e32 v1, v1, v3, vcc
; %bb.166:
	s_or_b64 exec, exec, s[0:1]
.LBB1519_167:
	s_or_b64 exec, exec, s[2:3]
	v_mbcnt_lo_u32_b32 v3, -1, 0
	v_mbcnt_hi_u32_b32 v5, -1, v3
	v_and_b32_e32 v6, 63, v5
	v_cmp_ne_u32_e32 vcc, 63, v6
	v_addc_co_u32_e32 v3, vcc, 0, v5, vcc
	v_lshlrev_b32_e32 v4, 2, v3
	ds_bpermute_b32 v8, v4, v9
	ds_bpermute_b32 v3, v4, v1
	;; [unrolled: 1-line block ×3, first 2 shown]
	s_min_u32 s8, s12, 0x80
	v_and_b32_e32 v7, 64, v0
	v_sub_u32_e64 v7, s8, v7 clamp
	v_add_u32_e32 v10, 1, v6
	v_cmp_lt_u32_e32 vcc, v10, v7
	s_and_saveexec_b64 s[0:1], vcc
	s_xor_b64 s[0:1], exec, s[0:1]
	s_cbranch_execz .LBB1519_173
; %bb.168:
	s_waitcnt lgkmcnt(2)
	v_and_b32_e32 v10, v8, v9
	v_cmp_ne_u32_e32 vcc, 0, v10
	s_and_saveexec_b64 s[2:3], vcc
	s_xor_b64 s[2:3], exec, s[2:3]
	s_cbranch_execz .LBB1519_170
; %bb.169:
	s_waitcnt lgkmcnt(0)
	v_cmp_lt_i64_e32 vcc, v[3:4], v[1:2]
                                        ; implicit-def: $vgpr9
                                        ; implicit-def: $vgpr8
	v_cndmask_b32_e32 v2, v2, v4, vcc
	v_cndmask_b32_e32 v1, v1, v3, vcc
                                        ; implicit-def: $vgpr3_vgpr4
.LBB1519_170:
	s_or_saveexec_b64 s[2:3], s[2:3]
	v_mov_b32_e32 v10, 1
	s_xor_b64 exec, exec, s[2:3]
	s_cbranch_execz .LBB1519_172
; %bb.171:
	v_and_b32_e32 v9, 1, v9
	v_cmp_eq_u32_e32 vcc, 1, v9
	s_waitcnt lgkmcnt(1)
	v_cndmask_b32_e32 v1, v3, v1, vcc
	v_and_b32_e32 v3, 0xff, v8
	s_waitcnt lgkmcnt(0)
	v_cndmask_b32_e32 v2, v4, v2, vcc
	v_cndmask_b32_e64 v10, v3, 1, vcc
.LBB1519_172:
	s_or_b64 exec, exec, s[2:3]
	v_mov_b32_e32 v9, v10
.LBB1519_173:
	s_or_b64 exec, exec, s[0:1]
	v_cmp_gt_u32_e32 vcc, 62, v6
	s_waitcnt lgkmcnt(1)
	v_cndmask_b32_e64 v3, 0, 2, vcc
	s_waitcnt lgkmcnt(0)
	v_add_lshl_u32 v4, v3, v5, 2
	ds_bpermute_b32 v8, v4, v9
	ds_bpermute_b32 v3, v4, v1
	ds_bpermute_b32 v4, v4, v2
	v_add_u32_e32 v10, 2, v6
	v_cmp_lt_u32_e32 vcc, v10, v7
	s_and_saveexec_b64 s[0:1], vcc
	s_cbranch_execz .LBB1519_179
; %bb.174:
	s_waitcnt lgkmcnt(2)
	v_and_b32_e32 v10, v9, v8
	v_and_b32_e32 v10, 1, v10
	v_cmp_eq_u32_e32 vcc, 1, v10
	s_and_saveexec_b64 s[2:3], vcc
	s_xor_b64 s[2:3], exec, s[2:3]
	s_cbranch_execz .LBB1519_176
; %bb.175:
	s_waitcnt lgkmcnt(0)
	v_cmp_lt_i64_e32 vcc, v[3:4], v[1:2]
                                        ; implicit-def: $vgpr9
                                        ; implicit-def: $vgpr8
	v_cndmask_b32_e32 v2, v2, v4, vcc
	v_cndmask_b32_e32 v1, v1, v3, vcc
                                        ; implicit-def: $vgpr3_vgpr4
.LBB1519_176:
	s_or_saveexec_b64 s[2:3], s[2:3]
	v_mov_b32_e32 v10, 1
	s_xor_b64 exec, exec, s[2:3]
	s_cbranch_execz .LBB1519_178
; %bb.177:
	v_and_b32_e32 v9, 1, v9
	v_cmp_eq_u32_e32 vcc, 1, v9
	s_waitcnt lgkmcnt(1)
	v_cndmask_b32_e32 v1, v3, v1, vcc
	v_and_b32_e32 v3, 0xff, v8
	s_waitcnt lgkmcnt(0)
	v_cndmask_b32_e32 v2, v4, v2, vcc
	v_cndmask_b32_e64 v10, v3, 1, vcc
.LBB1519_178:
	s_or_b64 exec, exec, s[2:3]
	v_mov_b32_e32 v9, v10
.LBB1519_179:
	s_or_b64 exec, exec, s[0:1]
	v_cmp_gt_u32_e32 vcc, 60, v6
	s_waitcnt lgkmcnt(1)
	v_cndmask_b32_e64 v3, 0, 4, vcc
	s_waitcnt lgkmcnt(0)
	v_add_lshl_u32 v4, v3, v5, 2
	ds_bpermute_b32 v8, v4, v9
	ds_bpermute_b32 v3, v4, v1
	ds_bpermute_b32 v4, v4, v2
	v_add_u32_e32 v10, 4, v6
	v_cmp_lt_u32_e32 vcc, v10, v7
	s_and_saveexec_b64 s[0:1], vcc
	s_cbranch_execz .LBB1519_185
; %bb.180:
	s_waitcnt lgkmcnt(2)
	v_and_b32_e32 v10, v9, v8
	v_and_b32_e32 v10, 1, v10
	v_cmp_eq_u32_e32 vcc, 1, v10
	s_and_saveexec_b64 s[2:3], vcc
	s_xor_b64 s[2:3], exec, s[2:3]
	s_cbranch_execz .LBB1519_182
; %bb.181:
	s_waitcnt lgkmcnt(0)
	v_cmp_lt_i64_e32 vcc, v[3:4], v[1:2]
                                        ; implicit-def: $vgpr9
                                        ; implicit-def: $vgpr8
	v_cndmask_b32_e32 v2, v2, v4, vcc
	v_cndmask_b32_e32 v1, v1, v3, vcc
                                        ; implicit-def: $vgpr3_vgpr4
.LBB1519_182:
	s_or_saveexec_b64 s[2:3], s[2:3]
	v_mov_b32_e32 v10, 1
	s_xor_b64 exec, exec, s[2:3]
	s_cbranch_execz .LBB1519_184
; %bb.183:
	v_and_b32_e32 v9, 1, v9
	v_cmp_eq_u32_e32 vcc, 1, v9
	s_waitcnt lgkmcnt(1)
	v_cndmask_b32_e32 v1, v3, v1, vcc
	v_and_b32_e32 v3, 0xff, v8
	s_waitcnt lgkmcnt(0)
	v_cndmask_b32_e32 v2, v4, v2, vcc
	v_cndmask_b32_e64 v10, v3, 1, vcc
.LBB1519_184:
	s_or_b64 exec, exec, s[2:3]
	v_mov_b32_e32 v9, v10
.LBB1519_185:
	;; [unrolled: 47-line block ×4, first 2 shown]
	s_or_b64 exec, exec, s[0:1]
	s_waitcnt lgkmcnt(2)
	v_lshlrev_b32_e32 v8, 2, v5
	s_waitcnt lgkmcnt(0)
	v_or_b32_e32 v4, 0x80, v8
	ds_bpermute_b32 v10, v4, v9
	ds_bpermute_b32 v3, v4, v1
	ds_bpermute_b32 v4, v4, v2
	v_add_u32_e32 v6, 32, v6
	v_cmp_lt_u32_e32 vcc, v6, v7
	v_mov_b32_e32 v6, v9
	s_and_saveexec_b64 s[0:1], vcc
	s_cbranch_execz .LBB1519_203
; %bb.198:
	s_waitcnt lgkmcnt(2)
	v_and_b32_e32 v6, v9, v10
	v_and_b32_e32 v6, 1, v6
	v_cmp_eq_u32_e32 vcc, 1, v6
	s_and_saveexec_b64 s[2:3], vcc
	s_xor_b64 s[2:3], exec, s[2:3]
	s_cbranch_execz .LBB1519_200
; %bb.199:
	s_waitcnt lgkmcnt(0)
	v_cmp_lt_i64_e32 vcc, v[3:4], v[1:2]
                                        ; implicit-def: $vgpr9
                                        ; implicit-def: $vgpr10
	v_cndmask_b32_e32 v2, v2, v4, vcc
	v_cndmask_b32_e32 v1, v1, v3, vcc
                                        ; implicit-def: $vgpr3_vgpr4
.LBB1519_200:
	s_or_saveexec_b64 s[2:3], s[2:3]
	v_mov_b32_e32 v6, 1
	s_xor_b64 exec, exec, s[2:3]
	s_cbranch_execz .LBB1519_202
; %bb.201:
	v_and_b32_e32 v6, 1, v9
	v_cmp_eq_u32_e32 vcc, 1, v6
	v_cndmask_b32_e64 v6, v10, 1, vcc
	s_waitcnt lgkmcnt(0)
	v_cndmask_b32_e32 v2, v4, v2, vcc
	v_cndmask_b32_e32 v1, v3, v1, vcc
.LBB1519_202:
	s_or_b64 exec, exec, s[2:3]
	v_and_b32_e32 v9, 0xff, v6
.LBB1519_203:
	s_or_b64 exec, exec, s[0:1]
	v_cmp_eq_u32_e32 vcc, 0, v5
	s_and_saveexec_b64 s[0:1], vcc
	s_cbranch_execz .LBB1519_205
; %bb.204:
	s_waitcnt lgkmcnt(1)
	v_lshrrev_b32_e32 v3, 2, v0
	v_and_b32_e32 v3, 16, v3
	ds_write_b8 v3, v6 offset:128
	ds_write_b64 v3, v[1:2] offset:136
.LBB1519_205:
	s_or_b64 exec, exec, s[0:1]
	v_cmp_gt_u32_e32 vcc, 2, v0
	s_waitcnt lgkmcnt(0)
	s_barrier
	s_and_saveexec_b64 s[0:1], vcc
	s_cbranch_execz .LBB1519_213
; %bb.206:
	v_lshlrev_b32_e32 v1, 4, v5
	ds_read_u8 v6, v1 offset:128
	ds_read_b64 v[1:2], v1 offset:136
	v_or_b32_e32 v4, 4, v8
	s_add_i32 s8, s8, 63
	v_and_b32_e32 v5, 1, v5
	s_waitcnt lgkmcnt(1)
	v_and_b32_e32 v9, 0xff, v6
	s_waitcnt lgkmcnt(0)
	ds_bpermute_b32 v3, v4, v1
	ds_bpermute_b32 v7, v4, v9
	;; [unrolled: 1-line block ×3, first 2 shown]
	s_lshr_b32 s2, s8, 6
	v_add_u32_e32 v5, 1, v5
	v_cmp_gt_u32_e32 vcc, s2, v5
	s_and_saveexec_b64 s[2:3], vcc
	s_cbranch_execz .LBB1519_212
; %bb.207:
	s_waitcnt lgkmcnt(1)
	v_and_b32_e32 v5, v9, v7
	v_and_b32_e32 v5, 1, v5
	v_cmp_eq_u32_e32 vcc, 1, v5
	s_and_saveexec_b64 s[8:9], vcc
	s_xor_b64 s[8:9], exec, s[8:9]
	s_cbranch_execz .LBB1519_209
; %bb.208:
	s_waitcnt lgkmcnt(0)
	v_cmp_lt_i64_e32 vcc, v[3:4], v[1:2]
                                        ; implicit-def: $vgpr6
                                        ; implicit-def: $vgpr7
	v_cndmask_b32_e32 v2, v2, v4, vcc
	v_cndmask_b32_e32 v1, v1, v3, vcc
                                        ; implicit-def: $vgpr3_vgpr4
.LBB1519_209:
	s_or_saveexec_b64 s[8:9], s[8:9]
	v_mov_b32_e32 v9, 1
	s_xor_b64 exec, exec, s[8:9]
	s_cbranch_execz .LBB1519_211
; %bb.210:
	v_and_b32_e32 v5, 1, v6
	v_cmp_eq_u32_e32 vcc, 1, v5
	s_waitcnt lgkmcnt(0)
	v_cndmask_b32_e32 v2, v4, v2, vcc
	v_cndmask_b32_e32 v1, v3, v1, vcc
	v_cndmask_b32_e64 v9, v7, 1, vcc
.LBB1519_211:
	s_or_b64 exec, exec, s[8:9]
.LBB1519_212:
	s_or_b64 exec, exec, s[2:3]
.LBB1519_213:
	s_or_b64 exec, exec, s[0:1]
.LBB1519_214:
	v_cmp_eq_u32_e32 vcc, 0, v0
                                        ; implicit-def: $vgpr3_vgpr4
                                        ; implicit-def: $vgpr5
	s_and_saveexec_b64 s[0:1], vcc
	s_xor_b64 s[8:9], exec, s[0:1]
	s_cbranch_execz .LBB1519_218
; %bb.215:
	s_waitcnt lgkmcnt(0)
	v_mov_b32_e32 v3, s18
	s_cmp_eq_u64 s[22:23], 0
	v_mov_b32_e32 v4, s19
	v_mov_b32_e32 v5, s33
	s_cbranch_scc1 .LBB1519_217
; %bb.216:
	v_and_b32_e32 v3, 1, v9
	v_cmp_gt_i64_e64 s[0:1], s[18:19], v[1:2]
	s_bitcmp1_b32 s33, 0
	v_cmp_eq_u32_e32 vcc, 1, v3
	s_cselect_b64 s[2:3], -1, 0
	v_mov_b32_e32 v3, s18
	s_and_b64 vcc, vcc, s[0:1]
	v_mov_b32_e32 v4, s19
	v_cndmask_b32_e32 v3, v3, v1, vcc
	v_cndmask_b32_e32 v4, v4, v2, vcc
	v_cndmask_b32_e64 v5, v9, 1, s[2:3]
	v_cndmask_b32_e64 v4, v2, v4, s[2:3]
	;; [unrolled: 1-line block ×3, first 2 shown]
.LBB1519_217:
	s_or_b64 s[14:15], s[14:15], exec
.LBB1519_218:
	s_or_b64 exec, exec, s[8:9]
	v_mov_b32_e32 v1, s6
	v_mov_b32_e32 v2, s7
	s_branch .LBB1519_306
.LBB1519_219:
	s_cmp_gt_i32 s35, 1
	s_cbranch_scc0 .LBB1519_231
; %bb.220:
	s_cmp_eq_u32 s35, 2
	s_cbranch_scc0 .LBB1519_232
; %bb.221:
	s_mov_b32 s7, 0
	s_lshl_b32 s26, s6, 8
	s_mov_b32 s27, s7
	s_lshr_b64 s[0:1], s[22:23], 8
	s_lshl_b64 s[2:3], s[26:27], 1
	s_add_u32 s16, s24, s2
	s_addc_u32 s17, s25, s3
	s_add_u32 s27, s20, s26
	s_addc_u32 s28, s21, 0
	s_cmp_lg_u64 s[0:1], s[6:7]
	s_cbranch_scc0 .LBB1519_233
; %bb.222:
	v_lshlrev_b32_e32 v1, 1, v0
	global_load_ushort v2, v1, s[16:17] offset:256
	s_waitcnt lgkmcnt(0)
	global_load_ushort v4, v1, s[16:17]
	v_mov_b32_e32 v1, s28
	v_add_co_u32_e32 v6, vcc, s27, v0
	v_addc_co_u32_e32 v1, vcc, 0, v1, vcc
	v_add_co_u32_e32 v7, vcc, 0x80, v6
	v_addc_co_u32_e32 v8, vcc, 0, v1, vcc
	v_mbcnt_lo_u32_b32 v3, -1, 0
	v_mbcnt_hi_u32_b32 v3, -1, v3
	v_lshlrev_b32_e32 v5, 2, v3
	v_or_b32_e32 v10, 0xfc, v5
	s_waitcnt vmcnt(1)
	v_cmp_eq_u16_e32 vcc, s34, v2
	s_waitcnt vmcnt(0)
	v_cmp_eq_u16_e64 s[0:1], s34, v4
	v_cndmask_b32_e64 v2, v8, v1, s[0:1]
	v_cndmask_b32_e64 v1, v7, v6, s[0:1]
	s_or_b64 s[0:1], s[0:1], vcc
	v_mov_b32_dpp v7, v2 quad_perm:[1,0,3,2] row_mask:0xf bank_mask:0xf bound_ctrl:1
	v_mov_b32_dpp v6, v1 quad_perm:[1,0,3,2] row_mask:0xf bank_mask:0xf bound_ctrl:1
	v_cndmask_b32_e64 v4, 0, 1, s[0:1]
	v_cmp_lt_i64_e32 vcc, v[1:2], v[6:7]
	s_and_b64 vcc, s[0:1], vcc
	v_mov_b32_dpp v8, v4 quad_perm:[1,0,3,2] row_mask:0xf bank_mask:0xf bound_ctrl:1
	v_and_b32_e32 v8, 1, v8
	v_cndmask_b32_e32 v6, v6, v1, vcc
	v_cndmask_b32_e32 v7, v7, v2, vcc
	v_cmp_eq_u32_e32 vcc, 1, v8
	v_cndmask_b32_e32 v2, v2, v7, vcc
	v_cndmask_b32_e32 v1, v1, v6, vcc
	v_cndmask_b32_e64 v4, v4, 1, vcc
	v_mov_b32_dpp v7, v2 quad_perm:[2,3,0,1] row_mask:0xf bank_mask:0xf bound_ctrl:1
	v_mov_b32_dpp v6, v1 quad_perm:[2,3,0,1] row_mask:0xf bank_mask:0xf bound_ctrl:1
	v_and_b32_e32 v9, 1, v4
	v_cmp_lt_i64_e64 s[0:1], v[1:2], v[6:7]
	v_mov_b32_dpp v8, v4 quad_perm:[2,3,0,1] row_mask:0xf bank_mask:0xf bound_ctrl:1
	v_cmp_eq_u32_e32 vcc, 1, v9
	v_and_b32_e32 v8, 1, v8
	s_and_b64 vcc, vcc, s[0:1]
	v_cmp_eq_u32_e64 s[2:3], 1, v8
	v_cndmask_b32_e32 v6, v6, v1, vcc
	v_cndmask_b32_e32 v7, v7, v2, vcc
	v_cndmask_b32_e64 v1, v1, v6, s[2:3]
	v_cndmask_b32_e64 v2, v2, v7, s[2:3]
	;; [unrolled: 1-line block ×3, first 2 shown]
	v_mov_b32_dpp v6, v1 row_ror:4 row_mask:0xf bank_mask:0xf bound_ctrl:1
	v_mov_b32_dpp v7, v2 row_ror:4 row_mask:0xf bank_mask:0xf bound_ctrl:1
	v_and_b32_e32 v9, 1, v4
	v_cmp_lt_i64_e64 s[2:3], v[1:2], v[6:7]
	v_mov_b32_dpp v8, v4 row_ror:4 row_mask:0xf bank_mask:0xf bound_ctrl:1
	v_cmp_eq_u32_e32 vcc, 1, v9
	v_and_b32_e32 v8, 1, v8
	s_and_b64 vcc, vcc, s[2:3]
	v_cmp_eq_u32_e64 s[0:1], 1, v8
	v_cndmask_b32_e32 v6, v6, v1, vcc
	v_cndmask_b32_e32 v7, v7, v2, vcc
	v_cndmask_b32_e64 v1, v1, v6, s[0:1]
	v_cndmask_b32_e64 v2, v2, v7, s[0:1]
	;; [unrolled: 1-line block ×3, first 2 shown]
	v_mov_b32_dpp v6, v1 row_ror:8 row_mask:0xf bank_mask:0xf bound_ctrl:1
	v_mov_b32_dpp v7, v2 row_ror:8 row_mask:0xf bank_mask:0xf bound_ctrl:1
	v_and_b32_e32 v9, 1, v4
	v_cmp_lt_i64_e64 s[2:3], v[1:2], v[6:7]
	v_mov_b32_dpp v8, v4 row_ror:8 row_mask:0xf bank_mask:0xf bound_ctrl:1
	v_cmp_eq_u32_e64 s[8:9], 1, v9
	v_and_b32_e32 v8, 1, v8
	s_and_b64 s[2:3], s[8:9], s[2:3]
	v_cmp_eq_u32_e64 s[10:11], 1, v8
	v_cndmask_b32_e64 v6, v6, v1, s[2:3]
	v_cndmask_b32_e64 v7, v7, v2, s[2:3]
	;; [unrolled: 1-line block ×5, first 2 shown]
	v_mov_b32_dpp v8, v4 row_bcast:15 row_mask:0xf bank_mask:0xf bound_ctrl:1
	v_mov_b32_dpp v6, v1 row_bcast:15 row_mask:0xf bank_mask:0xf bound_ctrl:1
	;; [unrolled: 1-line block ×3, first 2 shown]
	v_and_b32_e32 v9, 1, v4
	v_and_b32_e32 v8, 1, v8
	v_cmp_lt_i64_e64 s[2:3], v[1:2], v[6:7]
	v_cmp_eq_u32_e32 vcc, 1, v9
	v_cmp_eq_u32_e64 s[0:1], 1, v8
	v_cndmask_b32_e64 v4, v4, 1, s[0:1]
	s_and_b64 vcc, vcc, s[2:3]
	v_cndmask_b32_e32 v6, v6, v1, vcc
	v_mov_b32_dpp v8, v4 row_bcast:31 row_mask:0xf bank_mask:0xf bound_ctrl:1
	v_cndmask_b32_e32 v7, v7, v2, vcc
	v_and_b32_e32 v9, 1, v4
	v_and_b32_e32 v8, 1, v8
	v_cndmask_b32_e64 v1, v1, v6, s[0:1]
	v_cndmask_b32_e64 v2, v2, v7, s[0:1]
	v_cmp_eq_u32_e64 s[12:13], 1, v9
	v_cmp_eq_u32_e64 s[8:9], 1, v8
	v_mov_b32_dpp v8, v1 row_bcast:31 row_mask:0xf bank_mask:0xf bound_ctrl:1
	v_mov_b32_dpp v9, v2 row_bcast:31 row_mask:0xf bank_mask:0xf bound_ctrl:1
	v_cmp_lt_i64_e32 vcc, v[1:2], v[8:9]
	v_cndmask_b32_e64 v4, v4, 1, s[8:9]
	s_and_b64 vcc, s[12:13], vcc
	ds_bpermute_b32 v7, v10, v4
	v_cndmask_b32_e32 v4, v8, v1, vcc
	v_cndmask_b32_e32 v6, v9, v2, vcc
	v_cndmask_b32_e64 v1, v1, v4, s[8:9]
	v_cndmask_b32_e64 v2, v2, v6, s[8:9]
	ds_bpermute_b32 v1, v10, v1
	ds_bpermute_b32 v2, v10, v2
	v_cmp_eq_u32_e32 vcc, 0, v3
	s_and_saveexec_b64 s[0:1], vcc
	s_cbranch_execz .LBB1519_224
; %bb.223:
	v_lshrrev_b32_e32 v4, 2, v0
	v_and_b32_e32 v4, 16, v4
	s_waitcnt lgkmcnt(2)
	ds_write_b8 v4, v7 offset:32
	s_waitcnt lgkmcnt(1)
	ds_write_b64 v4, v[1:2] offset:40
.LBB1519_224:
	s_or_b64 exec, exec, s[0:1]
	v_cmp_gt_u32_e32 vcc, 64, v0
	s_waitcnt lgkmcnt(0)
	s_barrier
	s_and_saveexec_b64 s[0:1], vcc
	s_cbranch_execz .LBB1519_230
; %bb.225:
	v_and_b32_e32 v1, 1, v3
	v_lshlrev_b32_e32 v1, 4, v1
	ds_read_u8 v8, v1 offset:32
	ds_read_b64 v[3:4], v1 offset:40
	v_or_b32_e32 v2, 4, v5
	s_waitcnt lgkmcnt(1)
	v_and_b32_e32 v1, 0xff, v8
	ds_bpermute_b32 v9, v2, v1
	s_waitcnt lgkmcnt(1)
	ds_bpermute_b32 v5, v2, v3
	ds_bpermute_b32 v6, v2, v4
	s_waitcnt lgkmcnt(2)
	v_and_b32_e32 v1, v8, v9
	v_and_b32_e32 v1, 1, v1
	v_cmp_eq_u32_e32 vcc, 1, v1
                                        ; implicit-def: $vgpr1_vgpr2
	s_and_saveexec_b64 s[2:3], vcc
	s_xor_b64 s[2:3], exec, s[2:3]
	s_cbranch_execz .LBB1519_227
; %bb.226:
	s_waitcnt lgkmcnt(0)
	v_cmp_lt_i64_e32 vcc, v[5:6], v[3:4]
                                        ; implicit-def: $vgpr8
                                        ; implicit-def: $vgpr9
	v_cndmask_b32_e32 v2, v4, v6, vcc
	v_cndmask_b32_e32 v1, v3, v5, vcc
                                        ; implicit-def: $vgpr5_vgpr6
                                        ; implicit-def: $vgpr3_vgpr4
.LBB1519_227:
	s_or_saveexec_b64 s[2:3], s[2:3]
	v_mov_b32_e32 v7, 1
	s_xor_b64 exec, exec, s[2:3]
	s_cbranch_execz .LBB1519_229
; %bb.228:
	v_and_b32_e32 v1, 1, v8
	v_cmp_eq_u32_e32 vcc, 1, v1
	s_waitcnt lgkmcnt(0)
	v_cndmask_b32_e32 v2, v6, v4, vcc
	v_cndmask_b32_e32 v1, v5, v3, vcc
	v_cndmask_b32_e64 v7, v9, 1, vcc
.LBB1519_229:
	s_or_b64 exec, exec, s[2:3]
.LBB1519_230:
	s_or_b64 exec, exec, s[0:1]
	s_branch .LBB1519_285
.LBB1519_231:
                                        ; implicit-def: $vgpr3_vgpr4
                                        ; implicit-def: $vgpr5
                                        ; implicit-def: $vgpr1_vgpr2
	s_cbranch_execnz .LBB1519_290
	s_branch .LBB1519_306
.LBB1519_232:
                                        ; implicit-def: $vgpr3_vgpr4
                                        ; implicit-def: $vgpr5
                                        ; implicit-def: $vgpr1_vgpr2
	s_branch .LBB1519_306
.LBB1519_233:
                                        ; implicit-def: $vgpr1_vgpr2
                                        ; implicit-def: $vgpr7
	s_cbranch_execz .LBB1519_285
; %bb.234:
	s_sub_i32 s10, s22, s26
	s_waitcnt lgkmcnt(0)
	v_mov_b32_e32 v3, 0
	v_mov_b32_e32 v1, 0
	v_cmp_gt_u32_e32 vcc, s10, v0
	v_mov_b32_e32 v5, 0
	v_mov_b32_e32 v4, 0
	;; [unrolled: 1-line block ×4, first 2 shown]
	s_and_saveexec_b64 s[0:1], vcc
	s_cbranch_execz .LBB1519_236
; %bb.235:
	v_lshlrev_b32_e32 v1, 1, v0
	global_load_ushort v6, v1, s[16:17]
	v_mov_b32_e32 v2, s28
	v_add_co_u32_e32 v1, vcc, s27, v0
	v_addc_co_u32_e32 v2, vcc, 0, v2, vcc
	s_waitcnt vmcnt(0)
	v_cmp_eq_u16_e32 vcc, s34, v6
	v_cndmask_b32_e64 v6, 0, 1, vcc
.LBB1519_236:
	s_or_b64 exec, exec, s[0:1]
	v_or_b32_e32 v7, 0x80, v0
	v_cmp_gt_u32_e32 vcc, s10, v7
	s_and_saveexec_b64 s[2:3], vcc
	s_cbranch_execz .LBB1519_238
; %bb.237:
	v_lshlrev_b32_e32 v3, 1, v0
	global_load_ushort v5, v3, s[16:17] offset:256
	v_mov_b32_e32 v4, s28
	v_add_co_u32_e64 v3, s[0:1], s27, v7
	v_addc_co_u32_e64 v4, s[0:1], 0, v4, s[0:1]
	s_waitcnt vmcnt(0)
	v_cmp_eq_u16_e64 s[0:1], s34, v5
	v_cndmask_b32_e64 v5, 0, 1, s[0:1]
.LBB1519_238:
	s_or_b64 exec, exec, s[2:3]
	v_and_b32_e32 v8, 0xffff, v5
	v_and_b32_e32 v5, 1, v5
	v_cmp_lt_i64_e64 s[2:3], v[3:4], v[1:2]
	v_cmp_eq_u32_e64 s[0:1], 1, v5
	v_and_b32_e32 v5, 1, v6
	v_cmp_eq_u32_e64 s[8:9], 1, v5
	s_and_b64 s[0:1], s[0:1], s[2:3]
	v_cndmask_b32_e64 v5, v8, 1, s[8:9]
	v_cndmask_b32_e64 v8, v1, v3, s[0:1]
	;; [unrolled: 1-line block ×3, first 2 shown]
	v_and_b32_e32 v7, 0xffff, v6
	v_cndmask_b32_e32 v1, v1, v3, vcc
	v_mbcnt_lo_u32_b32 v3, -1, 0
	v_cndmask_b32_e64 v6, v2, v4, s[0:1]
	v_cndmask_b32_e32 v7, v7, v5, vcc
	v_mbcnt_hi_u32_b32 v5, -1, v3
	v_cndmask_b32_e64 v4, v4, v6, s[8:9]
	v_and_b32_e32 v6, 63, v5
	v_cndmask_b32_e32 v2, v2, v4, vcc
	v_cmp_ne_u32_e32 vcc, 63, v6
	v_addc_co_u32_e32 v3, vcc, 0, v5, vcc
	v_lshlrev_b32_e32 v4, 2, v3
	ds_bpermute_b32 v9, v4, v7
	ds_bpermute_b32 v3, v4, v1
	;; [unrolled: 1-line block ×3, first 2 shown]
	s_min_u32 s8, s10, 0x80
	v_and_b32_e32 v8, 64, v0
	v_sub_u32_e64 v8, s8, v8 clamp
	v_add_u32_e32 v10, 1, v6
	v_cmp_lt_u32_e32 vcc, v10, v8
	s_and_saveexec_b64 s[0:1], vcc
	s_cbranch_execz .LBB1519_244
; %bb.239:
	s_waitcnt lgkmcnt(2)
	v_and_b32_e32 v10, v9, v7
	v_cmp_ne_u32_e32 vcc, 0, v10
	s_and_saveexec_b64 s[2:3], vcc
	s_xor_b64 s[2:3], exec, s[2:3]
	s_cbranch_execz .LBB1519_241
; %bb.240:
	s_waitcnt lgkmcnt(0)
	v_cmp_lt_i64_e32 vcc, v[3:4], v[1:2]
                                        ; implicit-def: $vgpr7
                                        ; implicit-def: $vgpr9
	v_cndmask_b32_e32 v2, v2, v4, vcc
	v_cndmask_b32_e32 v1, v1, v3, vcc
                                        ; implicit-def: $vgpr3_vgpr4
.LBB1519_241:
	s_or_saveexec_b64 s[2:3], s[2:3]
	v_mov_b32_e32 v10, 1
	s_xor_b64 exec, exec, s[2:3]
	s_cbranch_execz .LBB1519_243
; %bb.242:
	v_and_b32_e32 v7, 1, v7
	v_cmp_eq_u32_e32 vcc, 1, v7
	s_waitcnt lgkmcnt(1)
	v_cndmask_b32_e32 v1, v3, v1, vcc
	v_and_b32_e32 v3, 0xff, v9
	s_waitcnt lgkmcnt(0)
	v_cndmask_b32_e32 v2, v4, v2, vcc
	v_cndmask_b32_e64 v10, v3, 1, vcc
.LBB1519_243:
	s_or_b64 exec, exec, s[2:3]
	v_mov_b32_e32 v7, v10
.LBB1519_244:
	s_or_b64 exec, exec, s[0:1]
	v_cmp_gt_u32_e32 vcc, 62, v6
	s_waitcnt lgkmcnt(1)
	v_cndmask_b32_e64 v3, 0, 2, vcc
	s_waitcnt lgkmcnt(0)
	v_add_lshl_u32 v4, v3, v5, 2
	ds_bpermute_b32 v9, v4, v7
	ds_bpermute_b32 v3, v4, v1
	ds_bpermute_b32 v4, v4, v2
	v_add_u32_e32 v10, 2, v6
	v_cmp_lt_u32_e32 vcc, v10, v8
	s_and_saveexec_b64 s[0:1], vcc
	s_cbranch_execz .LBB1519_250
; %bb.245:
	s_waitcnt lgkmcnt(2)
	v_and_b32_e32 v10, v7, v9
	v_and_b32_e32 v10, 1, v10
	v_cmp_eq_u32_e32 vcc, 1, v10
	s_and_saveexec_b64 s[2:3], vcc
	s_xor_b64 s[2:3], exec, s[2:3]
	s_cbranch_execz .LBB1519_247
; %bb.246:
	s_waitcnt lgkmcnt(0)
	v_cmp_lt_i64_e32 vcc, v[3:4], v[1:2]
                                        ; implicit-def: $vgpr7
                                        ; implicit-def: $vgpr9
	v_cndmask_b32_e32 v2, v2, v4, vcc
	v_cndmask_b32_e32 v1, v1, v3, vcc
                                        ; implicit-def: $vgpr3_vgpr4
.LBB1519_247:
	s_or_saveexec_b64 s[2:3], s[2:3]
	v_mov_b32_e32 v10, 1
	s_xor_b64 exec, exec, s[2:3]
	s_cbranch_execz .LBB1519_249
; %bb.248:
	v_and_b32_e32 v7, 1, v7
	v_cmp_eq_u32_e32 vcc, 1, v7
	s_waitcnt lgkmcnt(1)
	v_cndmask_b32_e32 v1, v3, v1, vcc
	v_and_b32_e32 v3, 0xff, v9
	s_waitcnt lgkmcnt(0)
	v_cndmask_b32_e32 v2, v4, v2, vcc
	v_cndmask_b32_e64 v10, v3, 1, vcc
.LBB1519_249:
	s_or_b64 exec, exec, s[2:3]
	v_mov_b32_e32 v7, v10
.LBB1519_250:
	s_or_b64 exec, exec, s[0:1]
	v_cmp_gt_u32_e32 vcc, 60, v6
	s_waitcnt lgkmcnt(1)
	v_cndmask_b32_e64 v3, 0, 4, vcc
	s_waitcnt lgkmcnt(0)
	v_add_lshl_u32 v4, v3, v5, 2
	ds_bpermute_b32 v9, v4, v7
	ds_bpermute_b32 v3, v4, v1
	ds_bpermute_b32 v4, v4, v2
	v_add_u32_e32 v10, 4, v6
	v_cmp_lt_u32_e32 vcc, v10, v8
	s_and_saveexec_b64 s[0:1], vcc
	s_cbranch_execz .LBB1519_256
; %bb.251:
	s_waitcnt lgkmcnt(2)
	v_and_b32_e32 v10, v7, v9
	v_and_b32_e32 v10, 1, v10
	v_cmp_eq_u32_e32 vcc, 1, v10
	s_and_saveexec_b64 s[2:3], vcc
	s_xor_b64 s[2:3], exec, s[2:3]
	s_cbranch_execz .LBB1519_253
; %bb.252:
	s_waitcnt lgkmcnt(0)
	v_cmp_lt_i64_e32 vcc, v[3:4], v[1:2]
                                        ; implicit-def: $vgpr7
                                        ; implicit-def: $vgpr9
	v_cndmask_b32_e32 v2, v2, v4, vcc
	v_cndmask_b32_e32 v1, v1, v3, vcc
                                        ; implicit-def: $vgpr3_vgpr4
.LBB1519_253:
	s_or_saveexec_b64 s[2:3], s[2:3]
	v_mov_b32_e32 v10, 1
	s_xor_b64 exec, exec, s[2:3]
	s_cbranch_execz .LBB1519_255
; %bb.254:
	v_and_b32_e32 v7, 1, v7
	v_cmp_eq_u32_e32 vcc, 1, v7
	s_waitcnt lgkmcnt(1)
	v_cndmask_b32_e32 v1, v3, v1, vcc
	v_and_b32_e32 v3, 0xff, v9
	s_waitcnt lgkmcnt(0)
	v_cndmask_b32_e32 v2, v4, v2, vcc
	v_cndmask_b32_e64 v10, v3, 1, vcc
.LBB1519_255:
	s_or_b64 exec, exec, s[2:3]
	v_mov_b32_e32 v7, v10
.LBB1519_256:
	;; [unrolled: 47-line block ×4, first 2 shown]
	s_or_b64 exec, exec, s[0:1]
	s_waitcnt lgkmcnt(2)
	v_lshlrev_b32_e32 v9, 2, v5
	s_waitcnt lgkmcnt(0)
	v_or_b32_e32 v4, 0x80, v9
	ds_bpermute_b32 v10, v4, v7
	ds_bpermute_b32 v3, v4, v1
	;; [unrolled: 1-line block ×3, first 2 shown]
	v_add_u32_e32 v6, 32, v6
	v_cmp_lt_u32_e32 vcc, v6, v8
	v_mov_b32_e32 v6, v7
	s_and_saveexec_b64 s[0:1], vcc
	s_cbranch_execz .LBB1519_274
; %bb.269:
	s_waitcnt lgkmcnt(2)
	v_and_b32_e32 v6, v7, v10
	v_and_b32_e32 v6, 1, v6
	v_cmp_eq_u32_e32 vcc, 1, v6
	s_and_saveexec_b64 s[2:3], vcc
	s_xor_b64 s[2:3], exec, s[2:3]
	s_cbranch_execz .LBB1519_271
; %bb.270:
	s_waitcnt lgkmcnt(0)
	v_cmp_lt_i64_e32 vcc, v[3:4], v[1:2]
                                        ; implicit-def: $vgpr7
                                        ; implicit-def: $vgpr10
	v_cndmask_b32_e32 v2, v2, v4, vcc
	v_cndmask_b32_e32 v1, v1, v3, vcc
                                        ; implicit-def: $vgpr3_vgpr4
.LBB1519_271:
	s_or_saveexec_b64 s[2:3], s[2:3]
	v_mov_b32_e32 v6, 1
	s_xor_b64 exec, exec, s[2:3]
	s_cbranch_execz .LBB1519_273
; %bb.272:
	v_and_b32_e32 v6, 1, v7
	v_cmp_eq_u32_e32 vcc, 1, v6
	v_cndmask_b32_e64 v6, v10, 1, vcc
	s_waitcnt lgkmcnt(0)
	v_cndmask_b32_e32 v2, v4, v2, vcc
	v_cndmask_b32_e32 v1, v3, v1, vcc
.LBB1519_273:
	s_or_b64 exec, exec, s[2:3]
	v_and_b32_e32 v7, 0xff, v6
.LBB1519_274:
	s_or_b64 exec, exec, s[0:1]
	v_cmp_eq_u32_e32 vcc, 0, v5
	s_and_saveexec_b64 s[0:1], vcc
	s_cbranch_execz .LBB1519_276
; %bb.275:
	s_waitcnt lgkmcnt(1)
	v_lshrrev_b32_e32 v3, 2, v0
	v_and_b32_e32 v3, 16, v3
	ds_write_b8 v3, v6 offset:128
	ds_write_b64 v3, v[1:2] offset:136
.LBB1519_276:
	s_or_b64 exec, exec, s[0:1]
	v_cmp_gt_u32_e32 vcc, 2, v0
	s_waitcnt lgkmcnt(0)
	s_barrier
	s_and_saveexec_b64 s[0:1], vcc
	s_cbranch_execz .LBB1519_284
; %bb.277:
	v_lshlrev_b32_e32 v1, 4, v5
	ds_read_u8 v6, v1 offset:128
	ds_read_b64 v[1:2], v1 offset:136
	v_or_b32_e32 v4, 4, v9
	s_add_i32 s8, s8, 63
	v_and_b32_e32 v5, 1, v5
	s_waitcnt lgkmcnt(1)
	v_and_b32_e32 v7, 0xff, v6
	s_waitcnt lgkmcnt(0)
	ds_bpermute_b32 v3, v4, v1
	ds_bpermute_b32 v8, v4, v7
	;; [unrolled: 1-line block ×3, first 2 shown]
	s_lshr_b32 s2, s8, 6
	v_add_u32_e32 v5, 1, v5
	v_cmp_gt_u32_e32 vcc, s2, v5
	s_and_saveexec_b64 s[2:3], vcc
	s_cbranch_execz .LBB1519_283
; %bb.278:
	s_waitcnt lgkmcnt(1)
	v_and_b32_e32 v5, v7, v8
	v_and_b32_e32 v5, 1, v5
	v_cmp_eq_u32_e32 vcc, 1, v5
	s_and_saveexec_b64 s[8:9], vcc
	s_xor_b64 s[8:9], exec, s[8:9]
	s_cbranch_execz .LBB1519_280
; %bb.279:
	s_waitcnt lgkmcnt(0)
	v_cmp_lt_i64_e32 vcc, v[3:4], v[1:2]
                                        ; implicit-def: $vgpr6
                                        ; implicit-def: $vgpr8
	v_cndmask_b32_e32 v2, v2, v4, vcc
	v_cndmask_b32_e32 v1, v1, v3, vcc
                                        ; implicit-def: $vgpr3_vgpr4
.LBB1519_280:
	s_or_saveexec_b64 s[8:9], s[8:9]
	v_mov_b32_e32 v7, 1
	s_xor_b64 exec, exec, s[8:9]
	s_cbranch_execz .LBB1519_282
; %bb.281:
	v_and_b32_e32 v5, 1, v6
	v_cmp_eq_u32_e32 vcc, 1, v5
	s_waitcnt lgkmcnt(0)
	v_cndmask_b32_e32 v2, v4, v2, vcc
	v_cndmask_b32_e32 v1, v3, v1, vcc
	v_cndmask_b32_e64 v7, v8, 1, vcc
.LBB1519_282:
	s_or_b64 exec, exec, s[8:9]
.LBB1519_283:
	s_or_b64 exec, exec, s[2:3]
.LBB1519_284:
	s_or_b64 exec, exec, s[0:1]
.LBB1519_285:
	v_cmp_eq_u32_e32 vcc, 0, v0
                                        ; implicit-def: $vgpr3_vgpr4
                                        ; implicit-def: $vgpr5
	s_and_saveexec_b64 s[0:1], vcc
	s_xor_b64 s[8:9], exec, s[0:1]
	s_cbranch_execz .LBB1519_289
; %bb.286:
	s_waitcnt lgkmcnt(0)
	v_mov_b32_e32 v3, s18
	s_cmp_eq_u64 s[22:23], 0
	v_mov_b32_e32 v4, s19
	v_mov_b32_e32 v5, s33
	s_cbranch_scc1 .LBB1519_288
; %bb.287:
	v_and_b32_e32 v3, 1, v7
	v_cmp_gt_i64_e64 s[0:1], s[18:19], v[1:2]
	s_bitcmp1_b32 s33, 0
	v_cmp_eq_u32_e32 vcc, 1, v3
	s_cselect_b64 s[2:3], -1, 0
	v_mov_b32_e32 v3, s18
	s_and_b64 vcc, vcc, s[0:1]
	v_mov_b32_e32 v4, s19
	v_cndmask_b32_e32 v3, v3, v1, vcc
	v_cndmask_b32_e32 v4, v4, v2, vcc
	v_cndmask_b32_e64 v5, v7, 1, s[2:3]
	v_cndmask_b32_e64 v4, v2, v4, s[2:3]
	;; [unrolled: 1-line block ×3, first 2 shown]
.LBB1519_288:
	s_or_b64 s[14:15], s[14:15], exec
.LBB1519_289:
	s_or_b64 exec, exec, s[8:9]
	v_mov_b32_e32 v1, s6
	v_mov_b32_e32 v2, s7
	s_branch .LBB1519_306
.LBB1519_290:
	s_cmp_eq_u32 s35, 1
	s_cbranch_scc0 .LBB1519_305
; %bb.291:
	s_mov_b32 s9, 0
	s_lshl_b32 s8, s6, 7
	s_mov_b32 s7, s9
	s_lshr_b64 s[0:1], s[22:23], 7
	s_cmp_lg_u64 s[0:1], s[6:7]
	s_cbranch_scc0 .LBB1519_309
; %bb.292:
	s_lshl_b64 s[0:1], s[8:9], 1
	s_add_u32 s0, s24, s0
	s_addc_u32 s1, s25, s1
	v_lshlrev_b32_e32 v1, 1, v0
	s_waitcnt lgkmcnt(1)
	global_load_ushort v5, v1, s[0:1]
	s_add_u32 s0, s20, s8
	s_addc_u32 s1, s21, 0
	v_mov_b32_e32 v2, s1
	v_add_co_u32_e32 v1, vcc, s0, v0
	v_addc_co_u32_e32 v2, vcc, 0, v2, vcc
	s_nop 0
	v_mov_b32_dpp v3, v1 quad_perm:[1,0,3,2] row_mask:0xf bank_mask:0xf bound_ctrl:1
	s_waitcnt lgkmcnt(0)
	v_mov_b32_dpp v4, v2 quad_perm:[1,0,3,2] row_mask:0xf bank_mask:0xf bound_ctrl:1
	v_cmp_lt_i64_e32 vcc, v[1:2], v[3:4]
                                        ; implicit-def: $vgpr7
	s_waitcnt vmcnt(0)
	v_cmp_eq_u16_e64 s[0:1], s34, v5
	v_cndmask_b32_e64 v5, 0, 1, s[0:1]
	s_and_b64 vcc, s[0:1], vcc
	v_cndmask_b32_e32 v3, v3, v1, vcc
	v_mov_b32_dpp v5, v5 quad_perm:[1,0,3,2] row_mask:0xf bank_mask:0xf bound_ctrl:1
	v_and_b32_e32 v5, 1, v5
	v_cndmask_b32_e32 v4, v4, v2, vcc
	v_cmp_eq_u32_e32 vcc, 1, v5
	s_or_b64 s[0:1], vcc, s[0:1]
	v_cndmask_b32_e32 v3, v1, v3, vcc
	v_cndmask_b32_e64 v1, 0, 1, s[0:1]
	v_cndmask_b32_e32 v4, v2, v4, vcc
	v_mov_b32_dpp v5, v3 quad_perm:[2,3,0,1] row_mask:0xf bank_mask:0xf bound_ctrl:1
	v_mov_b32_dpp v1, v1 quad_perm:[2,3,0,1] row_mask:0xf bank_mask:0xf bound_ctrl:1
	v_and_b32_e32 v1, 1, v1
	v_cmp_eq_u32_e32 vcc, 1, v1
	s_and_b64 s[2:3], vcc, s[0:1]
	v_mov_b32_dpp v6, v4 quad_perm:[2,3,0,1] row_mask:0xf bank_mask:0xf bound_ctrl:1
	s_xor_b64 s[2:3], s[2:3], -1
                                        ; implicit-def: $vgpr1_vgpr2
	s_and_saveexec_b64 s[10:11], s[2:3]
	s_xor_b64 s[2:3], exec, s[10:11]
; %bb.293:
	s_or_b64 s[0:1], vcc, s[0:1]
	v_cndmask_b32_e32 v2, v4, v6, vcc
	v_cndmask_b32_e32 v1, v3, v5, vcc
	v_cndmask_b32_e64 v7, 0, 1, s[0:1]
                                        ; implicit-def: $vgpr3_vgpr4
                                        ; implicit-def: $vgpr5_vgpr6
; %bb.294:
	s_andn2_saveexec_b64 s[0:1], s[2:3]
; %bb.295:
	v_cmp_lt_i64_e32 vcc, v[3:4], v[5:6]
	v_mov_b32_e32 v7, 1
	v_cndmask_b32_e32 v2, v6, v4, vcc
	v_cndmask_b32_e32 v1, v5, v3, vcc
; %bb.296:
	s_or_b64 exec, exec, s[0:1]
	s_nop 0
	v_mov_b32_dpp v4, v1 row_ror:4 row_mask:0xf bank_mask:0xf bound_ctrl:1
	v_mov_b32_dpp v5, v2 row_ror:4 row_mask:0xf bank_mask:0xf bound_ctrl:1
	v_and_b32_e32 v8, 1, v7
	v_cmp_lt_i64_e64 s[0:1], v[1:2], v[4:5]
	v_mov_b32_dpp v6, v7 row_ror:4 row_mask:0xf bank_mask:0xf bound_ctrl:1
	v_cmp_eq_u32_e32 vcc, 1, v8
	v_and_b32_e32 v6, 1, v6
	s_and_b64 vcc, vcc, s[0:1]
	v_cmp_eq_u32_e64 s[2:3], 1, v6
	v_cndmask_b32_e32 v4, v4, v1, vcc
	v_cndmask_b32_e32 v5, v5, v2, vcc
	v_cndmask_b32_e64 v2, v2, v5, s[2:3]
	v_cndmask_b32_e64 v1, v1, v4, s[2:3]
	;; [unrolled: 1-line block ×3, first 2 shown]
	v_mov_b32_dpp v5, v2 row_ror:8 row_mask:0xf bank_mask:0xf bound_ctrl:1
	v_mov_b32_dpp v4, v1 row_ror:8 row_mask:0xf bank_mask:0xf bound_ctrl:1
	v_and_b32_e32 v8, 1, v6
	v_cmp_lt_i64_e64 s[0:1], v[1:2], v[4:5]
	v_mov_b32_dpp v7, v6 row_ror:8 row_mask:0xf bank_mask:0xf bound_ctrl:1
	v_cmp_eq_u32_e32 vcc, 1, v8
	v_and_b32_e32 v7, 1, v7
	s_and_b64 vcc, vcc, s[0:1]
	v_cmp_eq_u32_e64 s[2:3], 1, v7
	v_cndmask_b32_e32 v4, v4, v1, vcc
	v_cndmask_b32_e32 v5, v5, v2, vcc
	v_cndmask_b32_e64 v2, v2, v5, s[2:3]
	v_cndmask_b32_e64 v1, v1, v4, s[2:3]
	;; [unrolled: 1-line block ×3, first 2 shown]
	v_mov_b32_dpp v5, v2 row_bcast:15 row_mask:0xf bank_mask:0xf bound_ctrl:1
	v_mov_b32_dpp v4, v1 row_bcast:15 row_mask:0xf bank_mask:0xf bound_ctrl:1
	v_and_b32_e32 v8, 1, v6
	v_cmp_lt_i64_e64 s[0:1], v[1:2], v[4:5]
	v_mov_b32_dpp v7, v6 row_bcast:15 row_mask:0xf bank_mask:0xf bound_ctrl:1
	v_cmp_eq_u32_e32 vcc, 1, v8
	v_and_b32_e32 v7, 1, v7
	s_and_b64 vcc, vcc, s[0:1]
	v_cmp_eq_u32_e64 s[2:3], 1, v7
	v_cndmask_b32_e32 v4, v4, v1, vcc
	v_cndmask_b32_e32 v5, v5, v2, vcc
	v_cndmask_b32_e64 v2, v2, v5, s[2:3]
	v_cndmask_b32_e64 v1, v1, v4, s[2:3]
	;; [unrolled: 1-line block ×3, first 2 shown]
	v_mov_b32_dpp v5, v2 row_bcast:31 row_mask:0xf bank_mask:0xf bound_ctrl:1
	v_mov_b32_dpp v4, v1 row_bcast:31 row_mask:0xf bank_mask:0xf bound_ctrl:1
	v_and_b32_e32 v8, 1, v6
	v_cmp_lt_i64_e64 s[0:1], v[1:2], v[4:5]
	v_mov_b32_dpp v7, v6 row_bcast:31 row_mask:0xf bank_mask:0xf bound_ctrl:1
	v_cmp_eq_u32_e32 vcc, 1, v8
	v_mbcnt_lo_u32_b32 v3, -1, 0
	v_and_b32_e32 v7, 1, v7
	s_and_b64 vcc, vcc, s[0:1]
	v_mbcnt_hi_u32_b32 v3, -1, v3
	v_cmp_eq_u32_e64 s[2:3], 1, v7
	v_cndmask_b32_e32 v5, v5, v2, vcc
	v_cndmask_b32_e32 v4, v4, v1, vcc
	v_cndmask_b32_e64 v2, v2, v5, s[2:3]
	v_lshlrev_b32_e32 v5, 2, v3
	v_cndmask_b32_e64 v6, v6, 1, s[2:3]
	v_cndmask_b32_e64 v1, v1, v4, s[2:3]
	v_or_b32_e32 v4, 0xfc, v5
	ds_bpermute_b32 v7, v4, v6
	ds_bpermute_b32 v1, v4, v1
	;; [unrolled: 1-line block ×3, first 2 shown]
	v_cmp_eq_u32_e32 vcc, 0, v3
	s_and_saveexec_b64 s[0:1], vcc
	s_cbranch_execz .LBB1519_298
; %bb.297:
	v_lshrrev_b32_e32 v4, 2, v0
	v_and_b32_e32 v4, 16, v4
	s_waitcnt lgkmcnt(2)
	ds_write_b8 v4, v7
	s_waitcnt lgkmcnt(1)
	ds_write_b64 v4, v[1:2] offset:8
.LBB1519_298:
	s_or_b64 exec, exec, s[0:1]
	v_cmp_gt_u32_e32 vcc, 64, v0
	s_waitcnt lgkmcnt(0)
	s_barrier
	s_and_saveexec_b64 s[0:1], vcc
	s_cbranch_execz .LBB1519_304
; %bb.299:
	v_and_b32_e32 v1, 1, v3
	v_lshlrev_b32_e32 v1, 4, v1
	ds_read_u8 v8, v1
	ds_read_b64 v[3:4], v1 offset:8
	v_or_b32_e32 v2, 4, v5
	s_waitcnt lgkmcnt(1)
	v_and_b32_e32 v1, 0xff, v8
	ds_bpermute_b32 v9, v2, v1
	s_waitcnt lgkmcnt(1)
	ds_bpermute_b32 v5, v2, v3
	ds_bpermute_b32 v6, v2, v4
	s_waitcnt lgkmcnt(2)
	v_and_b32_e32 v1, v8, v9
	v_and_b32_e32 v1, 1, v1
	v_cmp_eq_u32_e32 vcc, 1, v1
                                        ; implicit-def: $vgpr1_vgpr2
	s_and_saveexec_b64 s[2:3], vcc
	s_xor_b64 s[2:3], exec, s[2:3]
	s_cbranch_execz .LBB1519_301
; %bb.300:
	s_waitcnt lgkmcnt(0)
	v_cmp_lt_i64_e32 vcc, v[5:6], v[3:4]
                                        ; implicit-def: $vgpr8
                                        ; implicit-def: $vgpr9
	v_cndmask_b32_e32 v2, v4, v6, vcc
	v_cndmask_b32_e32 v1, v3, v5, vcc
                                        ; implicit-def: $vgpr5_vgpr6
                                        ; implicit-def: $vgpr3_vgpr4
.LBB1519_301:
	s_or_saveexec_b64 s[2:3], s[2:3]
	v_mov_b32_e32 v7, 1
	s_xor_b64 exec, exec, s[2:3]
	s_cbranch_execz .LBB1519_303
; %bb.302:
	v_and_b32_e32 v1, 1, v8
	v_cmp_eq_u32_e32 vcc, 1, v1
	s_waitcnt lgkmcnt(0)
	v_cndmask_b32_e32 v2, v6, v4, vcc
	v_cndmask_b32_e32 v1, v5, v3, vcc
	v_cndmask_b32_e64 v7, v9, 1, vcc
.LBB1519_303:
	s_or_b64 exec, exec, s[2:3]
.LBB1519_304:
	s_or_b64 exec, exec, s[0:1]
	s_branch .LBB1519_359
.LBB1519_305:
                                        ; implicit-def: $vgpr3_vgpr4
                                        ; implicit-def: $vgpr5
                                        ; implicit-def: $vgpr1_vgpr2
.LBB1519_306:
	s_and_saveexec_b64 s[0:1], s[14:15]
	s_cbranch_execz .LBB1519_308
.LBB1519_307:
	s_load_dwordx2 s[0:1], s[4:5], 0x28
	v_lshlrev_b64 v[0:1], 4, v[1:2]
	s_waitcnt lgkmcnt(0)
	v_mov_b32_e32 v2, s1
	v_add_co_u32_e32 v0, vcc, s0, v0
	v_addc_co_u32_e32 v1, vcc, v2, v1, vcc
	global_store_byte v[0:1], v5, off
	global_store_dwordx2 v[0:1], v[3:4], off offset:8
.LBB1519_308:
	s_endpgm
.LBB1519_309:
                                        ; implicit-def: $vgpr1_vgpr2
                                        ; implicit-def: $vgpr7
	s_cbranch_execz .LBB1519_359
; %bb.310:
	s_sub_i32 s2, s22, s8
	v_mov_b32_e32 v1, 0
	v_cmp_gt_u32_e32 vcc, s2, v0
	v_mov_b32_e32 v2, 0
	v_mov_b32_e32 v9, 0
	s_and_saveexec_b64 s[0:1], vcc
	s_cbranch_execz .LBB1519_312
; %bb.311:
	s_lshl_b64 s[10:11], s[8:9], 1
	s_add_u32 s10, s24, s10
	s_addc_u32 s11, s25, s11
	v_lshlrev_b32_e32 v1, 1, v0
	s_waitcnt lgkmcnt(2)
	global_load_ushort v3, v1, s[10:11]
	s_add_u32 s3, s20, s8
	s_addc_u32 s8, s21, 0
	v_mov_b32_e32 v2, s8
	v_add_co_u32_e32 v1, vcc, s3, v0
	v_addc_co_u32_e32 v2, vcc, 0, v2, vcc
	s_waitcnt vmcnt(0)
	v_cmp_eq_u16_e32 vcc, s34, v3
	v_cndmask_b32_e64 v9, 0, 1, vcc
.LBB1519_312:
	s_or_b64 exec, exec, s[0:1]
	s_waitcnt lgkmcnt(2)
	v_mbcnt_lo_u32_b32 v3, -1, 0
	s_waitcnt lgkmcnt(1)
	v_mbcnt_hi_u32_b32 v5, -1, v3
	s_waitcnt lgkmcnt(0)
	v_and_b32_e32 v6, 63, v5
	v_cmp_ne_u32_e32 vcc, 63, v6
	v_addc_co_u32_e32 v3, vcc, 0, v5, vcc
	v_and_b32_e32 v7, 0xffff, v9
	v_lshlrev_b32_e32 v4, 2, v3
	ds_bpermute_b32 v10, v4, v7
	ds_bpermute_b32 v3, v4, v1
	;; [unrolled: 1-line block ×3, first 2 shown]
	s_min_u32 s8, s2, 0x80
	v_and_b32_e32 v8, 64, v0
	v_sub_u32_e64 v8, s8, v8 clamp
	v_add_u32_e32 v11, 1, v6
	v_cmp_lt_u32_e32 vcc, v11, v8
	s_and_saveexec_b64 s[0:1], vcc
	s_cbranch_execz .LBB1519_318
; %bb.313:
	s_waitcnt lgkmcnt(2)
	v_and_b32_e32 v7, v10, v7
	v_and_b32_e32 v7, 1, v7
	v_cmp_eq_u32_e32 vcc, 1, v7
	s_and_saveexec_b64 s[2:3], vcc
	s_xor_b64 s[2:3], exec, s[2:3]
	s_cbranch_execz .LBB1519_315
; %bb.314:
	s_waitcnt lgkmcnt(0)
	v_cmp_lt_i64_e32 vcc, v[3:4], v[1:2]
                                        ; implicit-def: $vgpr9
                                        ; implicit-def: $vgpr10
	v_cndmask_b32_e32 v2, v2, v4, vcc
	v_cndmask_b32_e32 v1, v1, v3, vcc
                                        ; implicit-def: $vgpr3_vgpr4
.LBB1519_315:
	s_or_saveexec_b64 s[2:3], s[2:3]
	v_mov_b32_e32 v7, 1
	s_xor_b64 exec, exec, s[2:3]
	s_cbranch_execz .LBB1519_317
; %bb.316:
	v_and_b32_e32 v7, 1, v9
	v_cmp_eq_u32_e32 vcc, 1, v7
	s_waitcnt lgkmcnt(1)
	v_cndmask_b32_e32 v1, v3, v1, vcc
	v_and_b32_e32 v3, 0xff, v10
	s_waitcnt lgkmcnt(0)
	v_cndmask_b32_e32 v2, v4, v2, vcc
	v_cndmask_b32_e64 v7, v3, 1, vcc
.LBB1519_317:
	s_or_b64 exec, exec, s[2:3]
.LBB1519_318:
	s_or_b64 exec, exec, s[0:1]
	v_cmp_gt_u32_e32 vcc, 62, v6
	s_waitcnt lgkmcnt(1)
	v_cndmask_b32_e64 v3, 0, 2, vcc
	s_waitcnt lgkmcnt(0)
	v_add_lshl_u32 v4, v3, v5, 2
	ds_bpermute_b32 v9, v4, v7
	ds_bpermute_b32 v3, v4, v1
	ds_bpermute_b32 v4, v4, v2
	v_add_u32_e32 v10, 2, v6
	v_cmp_lt_u32_e32 vcc, v10, v8
	s_and_saveexec_b64 s[0:1], vcc
	s_cbranch_execz .LBB1519_324
; %bb.319:
	s_waitcnt lgkmcnt(2)
	v_and_b32_e32 v10, v7, v9
	v_and_b32_e32 v10, 1, v10
	v_cmp_eq_u32_e32 vcc, 1, v10
	s_and_saveexec_b64 s[2:3], vcc
	s_xor_b64 s[2:3], exec, s[2:3]
	s_cbranch_execz .LBB1519_321
; %bb.320:
	s_waitcnt lgkmcnt(0)
	v_cmp_lt_i64_e32 vcc, v[3:4], v[1:2]
                                        ; implicit-def: $vgpr7
                                        ; implicit-def: $vgpr9
	v_cndmask_b32_e32 v2, v2, v4, vcc
	v_cndmask_b32_e32 v1, v1, v3, vcc
                                        ; implicit-def: $vgpr3_vgpr4
.LBB1519_321:
	s_or_saveexec_b64 s[2:3], s[2:3]
	v_mov_b32_e32 v10, 1
	s_xor_b64 exec, exec, s[2:3]
	s_cbranch_execz .LBB1519_323
; %bb.322:
	v_and_b32_e32 v7, 1, v7
	v_cmp_eq_u32_e32 vcc, 1, v7
	s_waitcnt lgkmcnt(1)
	v_cndmask_b32_e32 v1, v3, v1, vcc
	v_and_b32_e32 v3, 0xff, v9
	s_waitcnt lgkmcnt(0)
	v_cndmask_b32_e32 v2, v4, v2, vcc
	v_cndmask_b32_e64 v10, v3, 1, vcc
.LBB1519_323:
	s_or_b64 exec, exec, s[2:3]
	v_mov_b32_e32 v7, v10
.LBB1519_324:
	s_or_b64 exec, exec, s[0:1]
	v_cmp_gt_u32_e32 vcc, 60, v6
	s_waitcnt lgkmcnt(1)
	v_cndmask_b32_e64 v3, 0, 4, vcc
	s_waitcnt lgkmcnt(0)
	v_add_lshl_u32 v4, v3, v5, 2
	ds_bpermute_b32 v9, v4, v7
	ds_bpermute_b32 v3, v4, v1
	ds_bpermute_b32 v4, v4, v2
	v_add_u32_e32 v10, 4, v6
	v_cmp_lt_u32_e32 vcc, v10, v8
	s_and_saveexec_b64 s[0:1], vcc
	s_cbranch_execz .LBB1519_330
; %bb.325:
	s_waitcnt lgkmcnt(2)
	v_and_b32_e32 v10, v7, v9
	v_and_b32_e32 v10, 1, v10
	v_cmp_eq_u32_e32 vcc, 1, v10
	s_and_saveexec_b64 s[2:3], vcc
	s_xor_b64 s[2:3], exec, s[2:3]
	s_cbranch_execz .LBB1519_327
; %bb.326:
	s_waitcnt lgkmcnt(0)
	v_cmp_lt_i64_e32 vcc, v[3:4], v[1:2]
                                        ; implicit-def: $vgpr7
                                        ; implicit-def: $vgpr9
	v_cndmask_b32_e32 v2, v2, v4, vcc
	v_cndmask_b32_e32 v1, v1, v3, vcc
                                        ; implicit-def: $vgpr3_vgpr4
.LBB1519_327:
	s_or_saveexec_b64 s[2:3], s[2:3]
	v_mov_b32_e32 v10, 1
	s_xor_b64 exec, exec, s[2:3]
	s_cbranch_execz .LBB1519_329
; %bb.328:
	v_and_b32_e32 v7, 1, v7
	v_cmp_eq_u32_e32 vcc, 1, v7
	s_waitcnt lgkmcnt(1)
	v_cndmask_b32_e32 v1, v3, v1, vcc
	v_and_b32_e32 v3, 0xff, v9
	s_waitcnt lgkmcnt(0)
	v_cndmask_b32_e32 v2, v4, v2, vcc
	v_cndmask_b32_e64 v10, v3, 1, vcc
.LBB1519_329:
	s_or_b64 exec, exec, s[2:3]
	v_mov_b32_e32 v7, v10
.LBB1519_330:
	;; [unrolled: 47-line block ×4, first 2 shown]
	s_or_b64 exec, exec, s[0:1]
	s_waitcnt lgkmcnt(2)
	v_lshlrev_b32_e32 v9, 2, v5
	s_waitcnt lgkmcnt(0)
	v_or_b32_e32 v4, 0x80, v9
	ds_bpermute_b32 v10, v4, v7
	ds_bpermute_b32 v3, v4, v1
	;; [unrolled: 1-line block ×3, first 2 shown]
	v_add_u32_e32 v6, 32, v6
	v_cmp_lt_u32_e32 vcc, v6, v8
	v_mov_b32_e32 v6, v7
	s_and_saveexec_b64 s[0:1], vcc
	s_cbranch_execz .LBB1519_348
; %bb.343:
	s_waitcnt lgkmcnt(2)
	v_and_b32_e32 v6, v7, v10
	v_and_b32_e32 v6, 1, v6
	v_cmp_eq_u32_e32 vcc, 1, v6
	s_and_saveexec_b64 s[2:3], vcc
	s_xor_b64 s[2:3], exec, s[2:3]
	s_cbranch_execz .LBB1519_345
; %bb.344:
	s_waitcnt lgkmcnt(0)
	v_cmp_lt_i64_e32 vcc, v[3:4], v[1:2]
                                        ; implicit-def: $vgpr7
                                        ; implicit-def: $vgpr10
	v_cndmask_b32_e32 v2, v2, v4, vcc
	v_cndmask_b32_e32 v1, v1, v3, vcc
                                        ; implicit-def: $vgpr3_vgpr4
.LBB1519_345:
	s_or_saveexec_b64 s[2:3], s[2:3]
	v_mov_b32_e32 v6, 1
	s_xor_b64 exec, exec, s[2:3]
	s_cbranch_execz .LBB1519_347
; %bb.346:
	v_and_b32_e32 v6, 1, v7
	v_cmp_eq_u32_e32 vcc, 1, v6
	v_cndmask_b32_e64 v6, v10, 1, vcc
	s_waitcnt lgkmcnt(0)
	v_cndmask_b32_e32 v2, v4, v2, vcc
	v_cndmask_b32_e32 v1, v3, v1, vcc
.LBB1519_347:
	s_or_b64 exec, exec, s[2:3]
	v_and_b32_e32 v7, 0xff, v6
.LBB1519_348:
	s_or_b64 exec, exec, s[0:1]
	v_cmp_eq_u32_e32 vcc, 0, v5
	s_and_saveexec_b64 s[0:1], vcc
	s_cbranch_execz .LBB1519_350
; %bb.349:
	s_waitcnt lgkmcnt(1)
	v_lshrrev_b32_e32 v3, 2, v0
	v_and_b32_e32 v3, 16, v3
	ds_write_b8 v3, v6 offset:128
	ds_write_b64 v3, v[1:2] offset:136
.LBB1519_350:
	s_or_b64 exec, exec, s[0:1]
	v_cmp_gt_u32_e32 vcc, 2, v0
	s_waitcnt lgkmcnt(0)
	s_barrier
	s_and_saveexec_b64 s[0:1], vcc
	s_cbranch_execz .LBB1519_358
; %bb.351:
	v_lshlrev_b32_e32 v1, 4, v5
	ds_read_u8 v6, v1 offset:128
	ds_read_b64 v[1:2], v1 offset:136
	v_or_b32_e32 v4, 4, v9
	s_add_i32 s8, s8, 63
	v_and_b32_e32 v5, 1, v5
	s_waitcnt lgkmcnt(1)
	v_and_b32_e32 v7, 0xff, v6
	s_waitcnt lgkmcnt(0)
	ds_bpermute_b32 v3, v4, v1
	ds_bpermute_b32 v8, v4, v7
	;; [unrolled: 1-line block ×3, first 2 shown]
	s_lshr_b32 s2, s8, 6
	v_add_u32_e32 v5, 1, v5
	v_cmp_gt_u32_e32 vcc, s2, v5
	s_and_saveexec_b64 s[2:3], vcc
	s_cbranch_execz .LBB1519_357
; %bb.352:
	s_waitcnt lgkmcnt(1)
	v_and_b32_e32 v5, v7, v8
	v_and_b32_e32 v5, 1, v5
	v_cmp_eq_u32_e32 vcc, 1, v5
	s_and_saveexec_b64 s[8:9], vcc
	s_xor_b64 s[8:9], exec, s[8:9]
	s_cbranch_execz .LBB1519_354
; %bb.353:
	s_waitcnt lgkmcnt(0)
	v_cmp_lt_i64_e32 vcc, v[3:4], v[1:2]
                                        ; implicit-def: $vgpr6
                                        ; implicit-def: $vgpr8
	v_cndmask_b32_e32 v2, v2, v4, vcc
	v_cndmask_b32_e32 v1, v1, v3, vcc
                                        ; implicit-def: $vgpr3_vgpr4
.LBB1519_354:
	s_or_saveexec_b64 s[8:9], s[8:9]
	v_mov_b32_e32 v7, 1
	s_xor_b64 exec, exec, s[8:9]
	s_cbranch_execz .LBB1519_356
; %bb.355:
	v_and_b32_e32 v5, 1, v6
	v_cmp_eq_u32_e32 vcc, 1, v5
	s_waitcnt lgkmcnt(0)
	v_cndmask_b32_e32 v2, v4, v2, vcc
	v_cndmask_b32_e32 v1, v3, v1, vcc
	v_cndmask_b32_e64 v7, v8, 1, vcc
.LBB1519_356:
	s_or_b64 exec, exec, s[8:9]
.LBB1519_357:
	s_or_b64 exec, exec, s[2:3]
.LBB1519_358:
	s_or_b64 exec, exec, s[0:1]
.LBB1519_359:
	v_cmp_eq_u32_e32 vcc, 0, v0
                                        ; implicit-def: $vgpr3_vgpr4
                                        ; implicit-def: $vgpr5
	s_and_saveexec_b64 s[8:9], vcc
	s_cbranch_execz .LBB1519_363
; %bb.360:
	s_waitcnt lgkmcnt(0)
	v_mov_b32_e32 v3, s18
	s_cmp_eq_u64 s[22:23], 0
	v_mov_b32_e32 v4, s19
	v_mov_b32_e32 v5, s33
	s_cbranch_scc1 .LBB1519_362
; %bb.361:
	v_and_b32_e32 v0, 1, v7
	v_cmp_gt_i64_e64 s[0:1], s[18:19], v[1:2]
	s_bitcmp1_b32 s33, 0
	v_cmp_eq_u32_e32 vcc, 1, v0
	s_cselect_b64 s[2:3], -1, 0
	v_mov_b32_e32 v0, s18
	s_and_b64 vcc, vcc, s[0:1]
	v_mov_b32_e32 v3, s19
	v_cndmask_b32_e32 v0, v0, v1, vcc
	v_cndmask_b32_e32 v3, v3, v2, vcc
	v_cndmask_b32_e64 v5, v7, 1, s[2:3]
	v_cndmask_b32_e64 v4, v2, v3, s[2:3]
	;; [unrolled: 1-line block ×3, first 2 shown]
.LBB1519_362:
	s_or_b64 s[14:15], s[14:15], exec
.LBB1519_363:
	s_or_b64 exec, exec, s[8:9]
	v_mov_b32_e32 v1, s6
	v_mov_b32_e32 v2, s7
	s_and_saveexec_b64 s[0:1], s[14:15]
	s_cbranch_execnz .LBB1519_307
	s_branch .LBB1519_308
	.section	.rodata,"a",@progbits
	.p2align	6, 0x0
	.amdhsa_kernel _ZN7rocprim17ROCPRIM_400000_NS6detail17trampoline_kernelINS0_14default_configENS1_22reduce_config_selectorIN6thrust23THRUST_200600_302600_NS5tupleIblNS6_9null_typeES8_S8_S8_S8_S8_S8_S8_EEEEZNS1_11reduce_implILb1ES3_NS6_12zip_iteratorINS7_INS6_11hip_rocprim26transform_input_iterator_tIbPsNS6_6detail10functional5actorINSH_9compositeIJNSH_27transparent_binary_operatorINS6_8equal_toIvEEEENSI_INSH_8argumentILj0EEEEENSH_5valueIsEEEEEEEEENSD_19counting_iterator_tIlEES8_S8_S8_S8_S8_S8_S8_S8_EEEEPS9_S9_NSD_9__find_if7functorIS9_EEEE10hipError_tPvRmT1_T2_T3_mT4_P12ihipStream_tbEUlT_E1_NS1_11comp_targetILNS1_3genE2ELNS1_11target_archE906ELNS1_3gpuE6ELNS1_3repE0EEENS1_30default_config_static_selectorELNS0_4arch9wavefront6targetE1EEEvS17_
		.amdhsa_group_segment_fixed_size 160
		.amdhsa_private_segment_fixed_size 0
		.amdhsa_kernarg_size 72
		.amdhsa_user_sgpr_count 6
		.amdhsa_user_sgpr_private_segment_buffer 1
		.amdhsa_user_sgpr_dispatch_ptr 0
		.amdhsa_user_sgpr_queue_ptr 0
		.amdhsa_user_sgpr_kernarg_segment_ptr 1
		.amdhsa_user_sgpr_dispatch_id 0
		.amdhsa_user_sgpr_flat_scratch_init 0
		.amdhsa_user_sgpr_private_segment_size 0
		.amdhsa_uses_dynamic_stack 0
		.amdhsa_system_sgpr_private_segment_wavefront_offset 0
		.amdhsa_system_sgpr_workgroup_id_x 1
		.amdhsa_system_sgpr_workgroup_id_y 0
		.amdhsa_system_sgpr_workgroup_id_z 0
		.amdhsa_system_sgpr_workgroup_info 0
		.amdhsa_system_vgpr_workitem_id 0
		.amdhsa_next_free_vgpr 26
		.amdhsa_next_free_sgpr 39
		.amdhsa_reserve_vcc 1
		.amdhsa_reserve_flat_scratch 0
		.amdhsa_float_round_mode_32 0
		.amdhsa_float_round_mode_16_64 0
		.amdhsa_float_denorm_mode_32 3
		.amdhsa_float_denorm_mode_16_64 3
		.amdhsa_dx10_clamp 1
		.amdhsa_ieee_mode 1
		.amdhsa_fp16_overflow 0
		.amdhsa_exception_fp_ieee_invalid_op 0
		.amdhsa_exception_fp_denorm_src 0
		.amdhsa_exception_fp_ieee_div_zero 0
		.amdhsa_exception_fp_ieee_overflow 0
		.amdhsa_exception_fp_ieee_underflow 0
		.amdhsa_exception_fp_ieee_inexact 0
		.amdhsa_exception_int_div_zero 0
	.end_amdhsa_kernel
	.section	.text._ZN7rocprim17ROCPRIM_400000_NS6detail17trampoline_kernelINS0_14default_configENS1_22reduce_config_selectorIN6thrust23THRUST_200600_302600_NS5tupleIblNS6_9null_typeES8_S8_S8_S8_S8_S8_S8_EEEEZNS1_11reduce_implILb1ES3_NS6_12zip_iteratorINS7_INS6_11hip_rocprim26transform_input_iterator_tIbPsNS6_6detail10functional5actorINSH_9compositeIJNSH_27transparent_binary_operatorINS6_8equal_toIvEEEENSI_INSH_8argumentILj0EEEEENSH_5valueIsEEEEEEEEENSD_19counting_iterator_tIlEES8_S8_S8_S8_S8_S8_S8_S8_EEEEPS9_S9_NSD_9__find_if7functorIS9_EEEE10hipError_tPvRmT1_T2_T3_mT4_P12ihipStream_tbEUlT_E1_NS1_11comp_targetILNS1_3genE2ELNS1_11target_archE906ELNS1_3gpuE6ELNS1_3repE0EEENS1_30default_config_static_selectorELNS0_4arch9wavefront6targetE1EEEvS17_,"axG",@progbits,_ZN7rocprim17ROCPRIM_400000_NS6detail17trampoline_kernelINS0_14default_configENS1_22reduce_config_selectorIN6thrust23THRUST_200600_302600_NS5tupleIblNS6_9null_typeES8_S8_S8_S8_S8_S8_S8_EEEEZNS1_11reduce_implILb1ES3_NS6_12zip_iteratorINS7_INS6_11hip_rocprim26transform_input_iterator_tIbPsNS6_6detail10functional5actorINSH_9compositeIJNSH_27transparent_binary_operatorINS6_8equal_toIvEEEENSI_INSH_8argumentILj0EEEEENSH_5valueIsEEEEEEEEENSD_19counting_iterator_tIlEES8_S8_S8_S8_S8_S8_S8_S8_EEEEPS9_S9_NSD_9__find_if7functorIS9_EEEE10hipError_tPvRmT1_T2_T3_mT4_P12ihipStream_tbEUlT_E1_NS1_11comp_targetILNS1_3genE2ELNS1_11target_archE906ELNS1_3gpuE6ELNS1_3repE0EEENS1_30default_config_static_selectorELNS0_4arch9wavefront6targetE1EEEvS17_,comdat
.Lfunc_end1519:
	.size	_ZN7rocprim17ROCPRIM_400000_NS6detail17trampoline_kernelINS0_14default_configENS1_22reduce_config_selectorIN6thrust23THRUST_200600_302600_NS5tupleIblNS6_9null_typeES8_S8_S8_S8_S8_S8_S8_EEEEZNS1_11reduce_implILb1ES3_NS6_12zip_iteratorINS7_INS6_11hip_rocprim26transform_input_iterator_tIbPsNS6_6detail10functional5actorINSH_9compositeIJNSH_27transparent_binary_operatorINS6_8equal_toIvEEEENSI_INSH_8argumentILj0EEEEENSH_5valueIsEEEEEEEEENSD_19counting_iterator_tIlEES8_S8_S8_S8_S8_S8_S8_S8_EEEEPS9_S9_NSD_9__find_if7functorIS9_EEEE10hipError_tPvRmT1_T2_T3_mT4_P12ihipStream_tbEUlT_E1_NS1_11comp_targetILNS1_3genE2ELNS1_11target_archE906ELNS1_3gpuE6ELNS1_3repE0EEENS1_30default_config_static_selectorELNS0_4arch9wavefront6targetE1EEEvS17_, .Lfunc_end1519-_ZN7rocprim17ROCPRIM_400000_NS6detail17trampoline_kernelINS0_14default_configENS1_22reduce_config_selectorIN6thrust23THRUST_200600_302600_NS5tupleIblNS6_9null_typeES8_S8_S8_S8_S8_S8_S8_EEEEZNS1_11reduce_implILb1ES3_NS6_12zip_iteratorINS7_INS6_11hip_rocprim26transform_input_iterator_tIbPsNS6_6detail10functional5actorINSH_9compositeIJNSH_27transparent_binary_operatorINS6_8equal_toIvEEEENSI_INSH_8argumentILj0EEEEENSH_5valueIsEEEEEEEEENSD_19counting_iterator_tIlEES8_S8_S8_S8_S8_S8_S8_S8_EEEEPS9_S9_NSD_9__find_if7functorIS9_EEEE10hipError_tPvRmT1_T2_T3_mT4_P12ihipStream_tbEUlT_E1_NS1_11comp_targetILNS1_3genE2ELNS1_11target_archE906ELNS1_3gpuE6ELNS1_3repE0EEENS1_30default_config_static_selectorELNS0_4arch9wavefront6targetE1EEEvS17_
                                        ; -- End function
	.set _ZN7rocprim17ROCPRIM_400000_NS6detail17trampoline_kernelINS0_14default_configENS1_22reduce_config_selectorIN6thrust23THRUST_200600_302600_NS5tupleIblNS6_9null_typeES8_S8_S8_S8_S8_S8_S8_EEEEZNS1_11reduce_implILb1ES3_NS6_12zip_iteratorINS7_INS6_11hip_rocprim26transform_input_iterator_tIbPsNS6_6detail10functional5actorINSH_9compositeIJNSH_27transparent_binary_operatorINS6_8equal_toIvEEEENSI_INSH_8argumentILj0EEEEENSH_5valueIsEEEEEEEEENSD_19counting_iterator_tIlEES8_S8_S8_S8_S8_S8_S8_S8_EEEEPS9_S9_NSD_9__find_if7functorIS9_EEEE10hipError_tPvRmT1_T2_T3_mT4_P12ihipStream_tbEUlT_E1_NS1_11comp_targetILNS1_3genE2ELNS1_11target_archE906ELNS1_3gpuE6ELNS1_3repE0EEENS1_30default_config_static_selectorELNS0_4arch9wavefront6targetE1EEEvS17_.num_vgpr, 26
	.set _ZN7rocprim17ROCPRIM_400000_NS6detail17trampoline_kernelINS0_14default_configENS1_22reduce_config_selectorIN6thrust23THRUST_200600_302600_NS5tupleIblNS6_9null_typeES8_S8_S8_S8_S8_S8_S8_EEEEZNS1_11reduce_implILb1ES3_NS6_12zip_iteratorINS7_INS6_11hip_rocprim26transform_input_iterator_tIbPsNS6_6detail10functional5actorINSH_9compositeIJNSH_27transparent_binary_operatorINS6_8equal_toIvEEEENSI_INSH_8argumentILj0EEEEENSH_5valueIsEEEEEEEEENSD_19counting_iterator_tIlEES8_S8_S8_S8_S8_S8_S8_S8_EEEEPS9_S9_NSD_9__find_if7functorIS9_EEEE10hipError_tPvRmT1_T2_T3_mT4_P12ihipStream_tbEUlT_E1_NS1_11comp_targetILNS1_3genE2ELNS1_11target_archE906ELNS1_3gpuE6ELNS1_3repE0EEENS1_30default_config_static_selectorELNS0_4arch9wavefront6targetE1EEEvS17_.num_agpr, 0
	.set _ZN7rocprim17ROCPRIM_400000_NS6detail17trampoline_kernelINS0_14default_configENS1_22reduce_config_selectorIN6thrust23THRUST_200600_302600_NS5tupleIblNS6_9null_typeES8_S8_S8_S8_S8_S8_S8_EEEEZNS1_11reduce_implILb1ES3_NS6_12zip_iteratorINS7_INS6_11hip_rocprim26transform_input_iterator_tIbPsNS6_6detail10functional5actorINSH_9compositeIJNSH_27transparent_binary_operatorINS6_8equal_toIvEEEENSI_INSH_8argumentILj0EEEEENSH_5valueIsEEEEEEEEENSD_19counting_iterator_tIlEES8_S8_S8_S8_S8_S8_S8_S8_EEEEPS9_S9_NSD_9__find_if7functorIS9_EEEE10hipError_tPvRmT1_T2_T3_mT4_P12ihipStream_tbEUlT_E1_NS1_11comp_targetILNS1_3genE2ELNS1_11target_archE906ELNS1_3gpuE6ELNS1_3repE0EEENS1_30default_config_static_selectorELNS0_4arch9wavefront6targetE1EEEvS17_.numbered_sgpr, 39
	.set _ZN7rocprim17ROCPRIM_400000_NS6detail17trampoline_kernelINS0_14default_configENS1_22reduce_config_selectorIN6thrust23THRUST_200600_302600_NS5tupleIblNS6_9null_typeES8_S8_S8_S8_S8_S8_S8_EEEEZNS1_11reduce_implILb1ES3_NS6_12zip_iteratorINS7_INS6_11hip_rocprim26transform_input_iterator_tIbPsNS6_6detail10functional5actorINSH_9compositeIJNSH_27transparent_binary_operatorINS6_8equal_toIvEEEENSI_INSH_8argumentILj0EEEEENSH_5valueIsEEEEEEEEENSD_19counting_iterator_tIlEES8_S8_S8_S8_S8_S8_S8_S8_EEEEPS9_S9_NSD_9__find_if7functorIS9_EEEE10hipError_tPvRmT1_T2_T3_mT4_P12ihipStream_tbEUlT_E1_NS1_11comp_targetILNS1_3genE2ELNS1_11target_archE906ELNS1_3gpuE6ELNS1_3repE0EEENS1_30default_config_static_selectorELNS0_4arch9wavefront6targetE1EEEvS17_.num_named_barrier, 0
	.set _ZN7rocprim17ROCPRIM_400000_NS6detail17trampoline_kernelINS0_14default_configENS1_22reduce_config_selectorIN6thrust23THRUST_200600_302600_NS5tupleIblNS6_9null_typeES8_S8_S8_S8_S8_S8_S8_EEEEZNS1_11reduce_implILb1ES3_NS6_12zip_iteratorINS7_INS6_11hip_rocprim26transform_input_iterator_tIbPsNS6_6detail10functional5actorINSH_9compositeIJNSH_27transparent_binary_operatorINS6_8equal_toIvEEEENSI_INSH_8argumentILj0EEEEENSH_5valueIsEEEEEEEEENSD_19counting_iterator_tIlEES8_S8_S8_S8_S8_S8_S8_S8_EEEEPS9_S9_NSD_9__find_if7functorIS9_EEEE10hipError_tPvRmT1_T2_T3_mT4_P12ihipStream_tbEUlT_E1_NS1_11comp_targetILNS1_3genE2ELNS1_11target_archE906ELNS1_3gpuE6ELNS1_3repE0EEENS1_30default_config_static_selectorELNS0_4arch9wavefront6targetE1EEEvS17_.private_seg_size, 0
	.set _ZN7rocprim17ROCPRIM_400000_NS6detail17trampoline_kernelINS0_14default_configENS1_22reduce_config_selectorIN6thrust23THRUST_200600_302600_NS5tupleIblNS6_9null_typeES8_S8_S8_S8_S8_S8_S8_EEEEZNS1_11reduce_implILb1ES3_NS6_12zip_iteratorINS7_INS6_11hip_rocprim26transform_input_iterator_tIbPsNS6_6detail10functional5actorINSH_9compositeIJNSH_27transparent_binary_operatorINS6_8equal_toIvEEEENSI_INSH_8argumentILj0EEEEENSH_5valueIsEEEEEEEEENSD_19counting_iterator_tIlEES8_S8_S8_S8_S8_S8_S8_S8_EEEEPS9_S9_NSD_9__find_if7functorIS9_EEEE10hipError_tPvRmT1_T2_T3_mT4_P12ihipStream_tbEUlT_E1_NS1_11comp_targetILNS1_3genE2ELNS1_11target_archE906ELNS1_3gpuE6ELNS1_3repE0EEENS1_30default_config_static_selectorELNS0_4arch9wavefront6targetE1EEEvS17_.uses_vcc, 1
	.set _ZN7rocprim17ROCPRIM_400000_NS6detail17trampoline_kernelINS0_14default_configENS1_22reduce_config_selectorIN6thrust23THRUST_200600_302600_NS5tupleIblNS6_9null_typeES8_S8_S8_S8_S8_S8_S8_EEEEZNS1_11reduce_implILb1ES3_NS6_12zip_iteratorINS7_INS6_11hip_rocprim26transform_input_iterator_tIbPsNS6_6detail10functional5actorINSH_9compositeIJNSH_27transparent_binary_operatorINS6_8equal_toIvEEEENSI_INSH_8argumentILj0EEEEENSH_5valueIsEEEEEEEEENSD_19counting_iterator_tIlEES8_S8_S8_S8_S8_S8_S8_S8_EEEEPS9_S9_NSD_9__find_if7functorIS9_EEEE10hipError_tPvRmT1_T2_T3_mT4_P12ihipStream_tbEUlT_E1_NS1_11comp_targetILNS1_3genE2ELNS1_11target_archE906ELNS1_3gpuE6ELNS1_3repE0EEENS1_30default_config_static_selectorELNS0_4arch9wavefront6targetE1EEEvS17_.uses_flat_scratch, 0
	.set _ZN7rocprim17ROCPRIM_400000_NS6detail17trampoline_kernelINS0_14default_configENS1_22reduce_config_selectorIN6thrust23THRUST_200600_302600_NS5tupleIblNS6_9null_typeES8_S8_S8_S8_S8_S8_S8_EEEEZNS1_11reduce_implILb1ES3_NS6_12zip_iteratorINS7_INS6_11hip_rocprim26transform_input_iterator_tIbPsNS6_6detail10functional5actorINSH_9compositeIJNSH_27transparent_binary_operatorINS6_8equal_toIvEEEENSI_INSH_8argumentILj0EEEEENSH_5valueIsEEEEEEEEENSD_19counting_iterator_tIlEES8_S8_S8_S8_S8_S8_S8_S8_EEEEPS9_S9_NSD_9__find_if7functorIS9_EEEE10hipError_tPvRmT1_T2_T3_mT4_P12ihipStream_tbEUlT_E1_NS1_11comp_targetILNS1_3genE2ELNS1_11target_archE906ELNS1_3gpuE6ELNS1_3repE0EEENS1_30default_config_static_selectorELNS0_4arch9wavefront6targetE1EEEvS17_.has_dyn_sized_stack, 0
	.set _ZN7rocprim17ROCPRIM_400000_NS6detail17trampoline_kernelINS0_14default_configENS1_22reduce_config_selectorIN6thrust23THRUST_200600_302600_NS5tupleIblNS6_9null_typeES8_S8_S8_S8_S8_S8_S8_EEEEZNS1_11reduce_implILb1ES3_NS6_12zip_iteratorINS7_INS6_11hip_rocprim26transform_input_iterator_tIbPsNS6_6detail10functional5actorINSH_9compositeIJNSH_27transparent_binary_operatorINS6_8equal_toIvEEEENSI_INSH_8argumentILj0EEEEENSH_5valueIsEEEEEEEEENSD_19counting_iterator_tIlEES8_S8_S8_S8_S8_S8_S8_S8_EEEEPS9_S9_NSD_9__find_if7functorIS9_EEEE10hipError_tPvRmT1_T2_T3_mT4_P12ihipStream_tbEUlT_E1_NS1_11comp_targetILNS1_3genE2ELNS1_11target_archE906ELNS1_3gpuE6ELNS1_3repE0EEENS1_30default_config_static_selectorELNS0_4arch9wavefront6targetE1EEEvS17_.has_recursion, 0
	.set _ZN7rocprim17ROCPRIM_400000_NS6detail17trampoline_kernelINS0_14default_configENS1_22reduce_config_selectorIN6thrust23THRUST_200600_302600_NS5tupleIblNS6_9null_typeES8_S8_S8_S8_S8_S8_S8_EEEEZNS1_11reduce_implILb1ES3_NS6_12zip_iteratorINS7_INS6_11hip_rocprim26transform_input_iterator_tIbPsNS6_6detail10functional5actorINSH_9compositeIJNSH_27transparent_binary_operatorINS6_8equal_toIvEEEENSI_INSH_8argumentILj0EEEEENSH_5valueIsEEEEEEEEENSD_19counting_iterator_tIlEES8_S8_S8_S8_S8_S8_S8_S8_EEEEPS9_S9_NSD_9__find_if7functorIS9_EEEE10hipError_tPvRmT1_T2_T3_mT4_P12ihipStream_tbEUlT_E1_NS1_11comp_targetILNS1_3genE2ELNS1_11target_archE906ELNS1_3gpuE6ELNS1_3repE0EEENS1_30default_config_static_selectorELNS0_4arch9wavefront6targetE1EEEvS17_.has_indirect_call, 0
	.section	.AMDGPU.csdata,"",@progbits
; Kernel info:
; codeLenInByte = 12848
; TotalNumSgprs: 43
; NumVgprs: 26
; ScratchSize: 0
; MemoryBound: 0
; FloatMode: 240
; IeeeMode: 1
; LDSByteSize: 160 bytes/workgroup (compile time only)
; SGPRBlocks: 5
; VGPRBlocks: 6
; NumSGPRsForWavesPerEU: 43
; NumVGPRsForWavesPerEU: 26
; Occupancy: 9
; WaveLimiterHint : 1
; COMPUTE_PGM_RSRC2:SCRATCH_EN: 0
; COMPUTE_PGM_RSRC2:USER_SGPR: 6
; COMPUTE_PGM_RSRC2:TRAP_HANDLER: 0
; COMPUTE_PGM_RSRC2:TGID_X_EN: 1
; COMPUTE_PGM_RSRC2:TGID_Y_EN: 0
; COMPUTE_PGM_RSRC2:TGID_Z_EN: 0
; COMPUTE_PGM_RSRC2:TIDIG_COMP_CNT: 0
	.section	.text._ZN7rocprim17ROCPRIM_400000_NS6detail17trampoline_kernelINS0_14default_configENS1_22reduce_config_selectorIN6thrust23THRUST_200600_302600_NS5tupleIblNS6_9null_typeES8_S8_S8_S8_S8_S8_S8_EEEEZNS1_11reduce_implILb1ES3_NS6_12zip_iteratorINS7_INS6_11hip_rocprim26transform_input_iterator_tIbPsNS6_6detail10functional5actorINSH_9compositeIJNSH_27transparent_binary_operatorINS6_8equal_toIvEEEENSI_INSH_8argumentILj0EEEEENSH_5valueIsEEEEEEEEENSD_19counting_iterator_tIlEES8_S8_S8_S8_S8_S8_S8_S8_EEEEPS9_S9_NSD_9__find_if7functorIS9_EEEE10hipError_tPvRmT1_T2_T3_mT4_P12ihipStream_tbEUlT_E1_NS1_11comp_targetILNS1_3genE10ELNS1_11target_archE1201ELNS1_3gpuE5ELNS1_3repE0EEENS1_30default_config_static_selectorELNS0_4arch9wavefront6targetE1EEEvS17_,"axG",@progbits,_ZN7rocprim17ROCPRIM_400000_NS6detail17trampoline_kernelINS0_14default_configENS1_22reduce_config_selectorIN6thrust23THRUST_200600_302600_NS5tupleIblNS6_9null_typeES8_S8_S8_S8_S8_S8_S8_EEEEZNS1_11reduce_implILb1ES3_NS6_12zip_iteratorINS7_INS6_11hip_rocprim26transform_input_iterator_tIbPsNS6_6detail10functional5actorINSH_9compositeIJNSH_27transparent_binary_operatorINS6_8equal_toIvEEEENSI_INSH_8argumentILj0EEEEENSH_5valueIsEEEEEEEEENSD_19counting_iterator_tIlEES8_S8_S8_S8_S8_S8_S8_S8_EEEEPS9_S9_NSD_9__find_if7functorIS9_EEEE10hipError_tPvRmT1_T2_T3_mT4_P12ihipStream_tbEUlT_E1_NS1_11comp_targetILNS1_3genE10ELNS1_11target_archE1201ELNS1_3gpuE5ELNS1_3repE0EEENS1_30default_config_static_selectorELNS0_4arch9wavefront6targetE1EEEvS17_,comdat
	.protected	_ZN7rocprim17ROCPRIM_400000_NS6detail17trampoline_kernelINS0_14default_configENS1_22reduce_config_selectorIN6thrust23THRUST_200600_302600_NS5tupleIblNS6_9null_typeES8_S8_S8_S8_S8_S8_S8_EEEEZNS1_11reduce_implILb1ES3_NS6_12zip_iteratorINS7_INS6_11hip_rocprim26transform_input_iterator_tIbPsNS6_6detail10functional5actorINSH_9compositeIJNSH_27transparent_binary_operatorINS6_8equal_toIvEEEENSI_INSH_8argumentILj0EEEEENSH_5valueIsEEEEEEEEENSD_19counting_iterator_tIlEES8_S8_S8_S8_S8_S8_S8_S8_EEEEPS9_S9_NSD_9__find_if7functorIS9_EEEE10hipError_tPvRmT1_T2_T3_mT4_P12ihipStream_tbEUlT_E1_NS1_11comp_targetILNS1_3genE10ELNS1_11target_archE1201ELNS1_3gpuE5ELNS1_3repE0EEENS1_30default_config_static_selectorELNS0_4arch9wavefront6targetE1EEEvS17_ ; -- Begin function _ZN7rocprim17ROCPRIM_400000_NS6detail17trampoline_kernelINS0_14default_configENS1_22reduce_config_selectorIN6thrust23THRUST_200600_302600_NS5tupleIblNS6_9null_typeES8_S8_S8_S8_S8_S8_S8_EEEEZNS1_11reduce_implILb1ES3_NS6_12zip_iteratorINS7_INS6_11hip_rocprim26transform_input_iterator_tIbPsNS6_6detail10functional5actorINSH_9compositeIJNSH_27transparent_binary_operatorINS6_8equal_toIvEEEENSI_INSH_8argumentILj0EEEEENSH_5valueIsEEEEEEEEENSD_19counting_iterator_tIlEES8_S8_S8_S8_S8_S8_S8_S8_EEEEPS9_S9_NSD_9__find_if7functorIS9_EEEE10hipError_tPvRmT1_T2_T3_mT4_P12ihipStream_tbEUlT_E1_NS1_11comp_targetILNS1_3genE10ELNS1_11target_archE1201ELNS1_3gpuE5ELNS1_3repE0EEENS1_30default_config_static_selectorELNS0_4arch9wavefront6targetE1EEEvS17_
	.globl	_ZN7rocprim17ROCPRIM_400000_NS6detail17trampoline_kernelINS0_14default_configENS1_22reduce_config_selectorIN6thrust23THRUST_200600_302600_NS5tupleIblNS6_9null_typeES8_S8_S8_S8_S8_S8_S8_EEEEZNS1_11reduce_implILb1ES3_NS6_12zip_iteratorINS7_INS6_11hip_rocprim26transform_input_iterator_tIbPsNS6_6detail10functional5actorINSH_9compositeIJNSH_27transparent_binary_operatorINS6_8equal_toIvEEEENSI_INSH_8argumentILj0EEEEENSH_5valueIsEEEEEEEEENSD_19counting_iterator_tIlEES8_S8_S8_S8_S8_S8_S8_S8_EEEEPS9_S9_NSD_9__find_if7functorIS9_EEEE10hipError_tPvRmT1_T2_T3_mT4_P12ihipStream_tbEUlT_E1_NS1_11comp_targetILNS1_3genE10ELNS1_11target_archE1201ELNS1_3gpuE5ELNS1_3repE0EEENS1_30default_config_static_selectorELNS0_4arch9wavefront6targetE1EEEvS17_
	.p2align	8
	.type	_ZN7rocprim17ROCPRIM_400000_NS6detail17trampoline_kernelINS0_14default_configENS1_22reduce_config_selectorIN6thrust23THRUST_200600_302600_NS5tupleIblNS6_9null_typeES8_S8_S8_S8_S8_S8_S8_EEEEZNS1_11reduce_implILb1ES3_NS6_12zip_iteratorINS7_INS6_11hip_rocprim26transform_input_iterator_tIbPsNS6_6detail10functional5actorINSH_9compositeIJNSH_27transparent_binary_operatorINS6_8equal_toIvEEEENSI_INSH_8argumentILj0EEEEENSH_5valueIsEEEEEEEEENSD_19counting_iterator_tIlEES8_S8_S8_S8_S8_S8_S8_S8_EEEEPS9_S9_NSD_9__find_if7functorIS9_EEEE10hipError_tPvRmT1_T2_T3_mT4_P12ihipStream_tbEUlT_E1_NS1_11comp_targetILNS1_3genE10ELNS1_11target_archE1201ELNS1_3gpuE5ELNS1_3repE0EEENS1_30default_config_static_selectorELNS0_4arch9wavefront6targetE1EEEvS17_,@function
_ZN7rocprim17ROCPRIM_400000_NS6detail17trampoline_kernelINS0_14default_configENS1_22reduce_config_selectorIN6thrust23THRUST_200600_302600_NS5tupleIblNS6_9null_typeES8_S8_S8_S8_S8_S8_S8_EEEEZNS1_11reduce_implILb1ES3_NS6_12zip_iteratorINS7_INS6_11hip_rocprim26transform_input_iterator_tIbPsNS6_6detail10functional5actorINSH_9compositeIJNSH_27transparent_binary_operatorINS6_8equal_toIvEEEENSI_INSH_8argumentILj0EEEEENSH_5valueIsEEEEEEEEENSD_19counting_iterator_tIlEES8_S8_S8_S8_S8_S8_S8_S8_EEEEPS9_S9_NSD_9__find_if7functorIS9_EEEE10hipError_tPvRmT1_T2_T3_mT4_P12ihipStream_tbEUlT_E1_NS1_11comp_targetILNS1_3genE10ELNS1_11target_archE1201ELNS1_3gpuE5ELNS1_3repE0EEENS1_30default_config_static_selectorELNS0_4arch9wavefront6targetE1EEEvS17_: ; @_ZN7rocprim17ROCPRIM_400000_NS6detail17trampoline_kernelINS0_14default_configENS1_22reduce_config_selectorIN6thrust23THRUST_200600_302600_NS5tupleIblNS6_9null_typeES8_S8_S8_S8_S8_S8_S8_EEEEZNS1_11reduce_implILb1ES3_NS6_12zip_iteratorINS7_INS6_11hip_rocprim26transform_input_iterator_tIbPsNS6_6detail10functional5actorINSH_9compositeIJNSH_27transparent_binary_operatorINS6_8equal_toIvEEEENSI_INSH_8argumentILj0EEEEENSH_5valueIsEEEEEEEEENSD_19counting_iterator_tIlEES8_S8_S8_S8_S8_S8_S8_S8_EEEEPS9_S9_NSD_9__find_if7functorIS9_EEEE10hipError_tPvRmT1_T2_T3_mT4_P12ihipStream_tbEUlT_E1_NS1_11comp_targetILNS1_3genE10ELNS1_11target_archE1201ELNS1_3gpuE5ELNS1_3repE0EEENS1_30default_config_static_selectorELNS0_4arch9wavefront6targetE1EEEvS17_
; %bb.0:
	.section	.rodata,"a",@progbits
	.p2align	6, 0x0
	.amdhsa_kernel _ZN7rocprim17ROCPRIM_400000_NS6detail17trampoline_kernelINS0_14default_configENS1_22reduce_config_selectorIN6thrust23THRUST_200600_302600_NS5tupleIblNS6_9null_typeES8_S8_S8_S8_S8_S8_S8_EEEEZNS1_11reduce_implILb1ES3_NS6_12zip_iteratorINS7_INS6_11hip_rocprim26transform_input_iterator_tIbPsNS6_6detail10functional5actorINSH_9compositeIJNSH_27transparent_binary_operatorINS6_8equal_toIvEEEENSI_INSH_8argumentILj0EEEEENSH_5valueIsEEEEEEEEENSD_19counting_iterator_tIlEES8_S8_S8_S8_S8_S8_S8_S8_EEEEPS9_S9_NSD_9__find_if7functorIS9_EEEE10hipError_tPvRmT1_T2_T3_mT4_P12ihipStream_tbEUlT_E1_NS1_11comp_targetILNS1_3genE10ELNS1_11target_archE1201ELNS1_3gpuE5ELNS1_3repE0EEENS1_30default_config_static_selectorELNS0_4arch9wavefront6targetE1EEEvS17_
		.amdhsa_group_segment_fixed_size 0
		.amdhsa_private_segment_fixed_size 0
		.amdhsa_kernarg_size 72
		.amdhsa_user_sgpr_count 6
		.amdhsa_user_sgpr_private_segment_buffer 1
		.amdhsa_user_sgpr_dispatch_ptr 0
		.amdhsa_user_sgpr_queue_ptr 0
		.amdhsa_user_sgpr_kernarg_segment_ptr 1
		.amdhsa_user_sgpr_dispatch_id 0
		.amdhsa_user_sgpr_flat_scratch_init 0
		.amdhsa_user_sgpr_private_segment_size 0
		.amdhsa_uses_dynamic_stack 0
		.amdhsa_system_sgpr_private_segment_wavefront_offset 0
		.amdhsa_system_sgpr_workgroup_id_x 1
		.amdhsa_system_sgpr_workgroup_id_y 0
		.amdhsa_system_sgpr_workgroup_id_z 0
		.amdhsa_system_sgpr_workgroup_info 0
		.amdhsa_system_vgpr_workitem_id 0
		.amdhsa_next_free_vgpr 1
		.amdhsa_next_free_sgpr 0
		.amdhsa_reserve_vcc 0
		.amdhsa_reserve_flat_scratch 0
		.amdhsa_float_round_mode_32 0
		.amdhsa_float_round_mode_16_64 0
		.amdhsa_float_denorm_mode_32 3
		.amdhsa_float_denorm_mode_16_64 3
		.amdhsa_dx10_clamp 1
		.amdhsa_ieee_mode 1
		.amdhsa_fp16_overflow 0
		.amdhsa_exception_fp_ieee_invalid_op 0
		.amdhsa_exception_fp_denorm_src 0
		.amdhsa_exception_fp_ieee_div_zero 0
		.amdhsa_exception_fp_ieee_overflow 0
		.amdhsa_exception_fp_ieee_underflow 0
		.amdhsa_exception_fp_ieee_inexact 0
		.amdhsa_exception_int_div_zero 0
	.end_amdhsa_kernel
	.section	.text._ZN7rocprim17ROCPRIM_400000_NS6detail17trampoline_kernelINS0_14default_configENS1_22reduce_config_selectorIN6thrust23THRUST_200600_302600_NS5tupleIblNS6_9null_typeES8_S8_S8_S8_S8_S8_S8_EEEEZNS1_11reduce_implILb1ES3_NS6_12zip_iteratorINS7_INS6_11hip_rocprim26transform_input_iterator_tIbPsNS6_6detail10functional5actorINSH_9compositeIJNSH_27transparent_binary_operatorINS6_8equal_toIvEEEENSI_INSH_8argumentILj0EEEEENSH_5valueIsEEEEEEEEENSD_19counting_iterator_tIlEES8_S8_S8_S8_S8_S8_S8_S8_EEEEPS9_S9_NSD_9__find_if7functorIS9_EEEE10hipError_tPvRmT1_T2_T3_mT4_P12ihipStream_tbEUlT_E1_NS1_11comp_targetILNS1_3genE10ELNS1_11target_archE1201ELNS1_3gpuE5ELNS1_3repE0EEENS1_30default_config_static_selectorELNS0_4arch9wavefront6targetE1EEEvS17_,"axG",@progbits,_ZN7rocprim17ROCPRIM_400000_NS6detail17trampoline_kernelINS0_14default_configENS1_22reduce_config_selectorIN6thrust23THRUST_200600_302600_NS5tupleIblNS6_9null_typeES8_S8_S8_S8_S8_S8_S8_EEEEZNS1_11reduce_implILb1ES3_NS6_12zip_iteratorINS7_INS6_11hip_rocprim26transform_input_iterator_tIbPsNS6_6detail10functional5actorINSH_9compositeIJNSH_27transparent_binary_operatorINS6_8equal_toIvEEEENSI_INSH_8argumentILj0EEEEENSH_5valueIsEEEEEEEEENSD_19counting_iterator_tIlEES8_S8_S8_S8_S8_S8_S8_S8_EEEEPS9_S9_NSD_9__find_if7functorIS9_EEEE10hipError_tPvRmT1_T2_T3_mT4_P12ihipStream_tbEUlT_E1_NS1_11comp_targetILNS1_3genE10ELNS1_11target_archE1201ELNS1_3gpuE5ELNS1_3repE0EEENS1_30default_config_static_selectorELNS0_4arch9wavefront6targetE1EEEvS17_,comdat
.Lfunc_end1520:
	.size	_ZN7rocprim17ROCPRIM_400000_NS6detail17trampoline_kernelINS0_14default_configENS1_22reduce_config_selectorIN6thrust23THRUST_200600_302600_NS5tupleIblNS6_9null_typeES8_S8_S8_S8_S8_S8_S8_EEEEZNS1_11reduce_implILb1ES3_NS6_12zip_iteratorINS7_INS6_11hip_rocprim26transform_input_iterator_tIbPsNS6_6detail10functional5actorINSH_9compositeIJNSH_27transparent_binary_operatorINS6_8equal_toIvEEEENSI_INSH_8argumentILj0EEEEENSH_5valueIsEEEEEEEEENSD_19counting_iterator_tIlEES8_S8_S8_S8_S8_S8_S8_S8_EEEEPS9_S9_NSD_9__find_if7functorIS9_EEEE10hipError_tPvRmT1_T2_T3_mT4_P12ihipStream_tbEUlT_E1_NS1_11comp_targetILNS1_3genE10ELNS1_11target_archE1201ELNS1_3gpuE5ELNS1_3repE0EEENS1_30default_config_static_selectorELNS0_4arch9wavefront6targetE1EEEvS17_, .Lfunc_end1520-_ZN7rocprim17ROCPRIM_400000_NS6detail17trampoline_kernelINS0_14default_configENS1_22reduce_config_selectorIN6thrust23THRUST_200600_302600_NS5tupleIblNS6_9null_typeES8_S8_S8_S8_S8_S8_S8_EEEEZNS1_11reduce_implILb1ES3_NS6_12zip_iteratorINS7_INS6_11hip_rocprim26transform_input_iterator_tIbPsNS6_6detail10functional5actorINSH_9compositeIJNSH_27transparent_binary_operatorINS6_8equal_toIvEEEENSI_INSH_8argumentILj0EEEEENSH_5valueIsEEEEEEEEENSD_19counting_iterator_tIlEES8_S8_S8_S8_S8_S8_S8_S8_EEEEPS9_S9_NSD_9__find_if7functorIS9_EEEE10hipError_tPvRmT1_T2_T3_mT4_P12ihipStream_tbEUlT_E1_NS1_11comp_targetILNS1_3genE10ELNS1_11target_archE1201ELNS1_3gpuE5ELNS1_3repE0EEENS1_30default_config_static_selectorELNS0_4arch9wavefront6targetE1EEEvS17_
                                        ; -- End function
	.set _ZN7rocprim17ROCPRIM_400000_NS6detail17trampoline_kernelINS0_14default_configENS1_22reduce_config_selectorIN6thrust23THRUST_200600_302600_NS5tupleIblNS6_9null_typeES8_S8_S8_S8_S8_S8_S8_EEEEZNS1_11reduce_implILb1ES3_NS6_12zip_iteratorINS7_INS6_11hip_rocprim26transform_input_iterator_tIbPsNS6_6detail10functional5actorINSH_9compositeIJNSH_27transparent_binary_operatorINS6_8equal_toIvEEEENSI_INSH_8argumentILj0EEEEENSH_5valueIsEEEEEEEEENSD_19counting_iterator_tIlEES8_S8_S8_S8_S8_S8_S8_S8_EEEEPS9_S9_NSD_9__find_if7functorIS9_EEEE10hipError_tPvRmT1_T2_T3_mT4_P12ihipStream_tbEUlT_E1_NS1_11comp_targetILNS1_3genE10ELNS1_11target_archE1201ELNS1_3gpuE5ELNS1_3repE0EEENS1_30default_config_static_selectorELNS0_4arch9wavefront6targetE1EEEvS17_.num_vgpr, 0
	.set _ZN7rocprim17ROCPRIM_400000_NS6detail17trampoline_kernelINS0_14default_configENS1_22reduce_config_selectorIN6thrust23THRUST_200600_302600_NS5tupleIblNS6_9null_typeES8_S8_S8_S8_S8_S8_S8_EEEEZNS1_11reduce_implILb1ES3_NS6_12zip_iteratorINS7_INS6_11hip_rocprim26transform_input_iterator_tIbPsNS6_6detail10functional5actorINSH_9compositeIJNSH_27transparent_binary_operatorINS6_8equal_toIvEEEENSI_INSH_8argumentILj0EEEEENSH_5valueIsEEEEEEEEENSD_19counting_iterator_tIlEES8_S8_S8_S8_S8_S8_S8_S8_EEEEPS9_S9_NSD_9__find_if7functorIS9_EEEE10hipError_tPvRmT1_T2_T3_mT4_P12ihipStream_tbEUlT_E1_NS1_11comp_targetILNS1_3genE10ELNS1_11target_archE1201ELNS1_3gpuE5ELNS1_3repE0EEENS1_30default_config_static_selectorELNS0_4arch9wavefront6targetE1EEEvS17_.num_agpr, 0
	.set _ZN7rocprim17ROCPRIM_400000_NS6detail17trampoline_kernelINS0_14default_configENS1_22reduce_config_selectorIN6thrust23THRUST_200600_302600_NS5tupleIblNS6_9null_typeES8_S8_S8_S8_S8_S8_S8_EEEEZNS1_11reduce_implILb1ES3_NS6_12zip_iteratorINS7_INS6_11hip_rocprim26transform_input_iterator_tIbPsNS6_6detail10functional5actorINSH_9compositeIJNSH_27transparent_binary_operatorINS6_8equal_toIvEEEENSI_INSH_8argumentILj0EEEEENSH_5valueIsEEEEEEEEENSD_19counting_iterator_tIlEES8_S8_S8_S8_S8_S8_S8_S8_EEEEPS9_S9_NSD_9__find_if7functorIS9_EEEE10hipError_tPvRmT1_T2_T3_mT4_P12ihipStream_tbEUlT_E1_NS1_11comp_targetILNS1_3genE10ELNS1_11target_archE1201ELNS1_3gpuE5ELNS1_3repE0EEENS1_30default_config_static_selectorELNS0_4arch9wavefront6targetE1EEEvS17_.numbered_sgpr, 0
	.set _ZN7rocprim17ROCPRIM_400000_NS6detail17trampoline_kernelINS0_14default_configENS1_22reduce_config_selectorIN6thrust23THRUST_200600_302600_NS5tupleIblNS6_9null_typeES8_S8_S8_S8_S8_S8_S8_EEEEZNS1_11reduce_implILb1ES3_NS6_12zip_iteratorINS7_INS6_11hip_rocprim26transform_input_iterator_tIbPsNS6_6detail10functional5actorINSH_9compositeIJNSH_27transparent_binary_operatorINS6_8equal_toIvEEEENSI_INSH_8argumentILj0EEEEENSH_5valueIsEEEEEEEEENSD_19counting_iterator_tIlEES8_S8_S8_S8_S8_S8_S8_S8_EEEEPS9_S9_NSD_9__find_if7functorIS9_EEEE10hipError_tPvRmT1_T2_T3_mT4_P12ihipStream_tbEUlT_E1_NS1_11comp_targetILNS1_3genE10ELNS1_11target_archE1201ELNS1_3gpuE5ELNS1_3repE0EEENS1_30default_config_static_selectorELNS0_4arch9wavefront6targetE1EEEvS17_.num_named_barrier, 0
	.set _ZN7rocprim17ROCPRIM_400000_NS6detail17trampoline_kernelINS0_14default_configENS1_22reduce_config_selectorIN6thrust23THRUST_200600_302600_NS5tupleIblNS6_9null_typeES8_S8_S8_S8_S8_S8_S8_EEEEZNS1_11reduce_implILb1ES3_NS6_12zip_iteratorINS7_INS6_11hip_rocprim26transform_input_iterator_tIbPsNS6_6detail10functional5actorINSH_9compositeIJNSH_27transparent_binary_operatorINS6_8equal_toIvEEEENSI_INSH_8argumentILj0EEEEENSH_5valueIsEEEEEEEEENSD_19counting_iterator_tIlEES8_S8_S8_S8_S8_S8_S8_S8_EEEEPS9_S9_NSD_9__find_if7functorIS9_EEEE10hipError_tPvRmT1_T2_T3_mT4_P12ihipStream_tbEUlT_E1_NS1_11comp_targetILNS1_3genE10ELNS1_11target_archE1201ELNS1_3gpuE5ELNS1_3repE0EEENS1_30default_config_static_selectorELNS0_4arch9wavefront6targetE1EEEvS17_.private_seg_size, 0
	.set _ZN7rocprim17ROCPRIM_400000_NS6detail17trampoline_kernelINS0_14default_configENS1_22reduce_config_selectorIN6thrust23THRUST_200600_302600_NS5tupleIblNS6_9null_typeES8_S8_S8_S8_S8_S8_S8_EEEEZNS1_11reduce_implILb1ES3_NS6_12zip_iteratorINS7_INS6_11hip_rocprim26transform_input_iterator_tIbPsNS6_6detail10functional5actorINSH_9compositeIJNSH_27transparent_binary_operatorINS6_8equal_toIvEEEENSI_INSH_8argumentILj0EEEEENSH_5valueIsEEEEEEEEENSD_19counting_iterator_tIlEES8_S8_S8_S8_S8_S8_S8_S8_EEEEPS9_S9_NSD_9__find_if7functorIS9_EEEE10hipError_tPvRmT1_T2_T3_mT4_P12ihipStream_tbEUlT_E1_NS1_11comp_targetILNS1_3genE10ELNS1_11target_archE1201ELNS1_3gpuE5ELNS1_3repE0EEENS1_30default_config_static_selectorELNS0_4arch9wavefront6targetE1EEEvS17_.uses_vcc, 0
	.set _ZN7rocprim17ROCPRIM_400000_NS6detail17trampoline_kernelINS0_14default_configENS1_22reduce_config_selectorIN6thrust23THRUST_200600_302600_NS5tupleIblNS6_9null_typeES8_S8_S8_S8_S8_S8_S8_EEEEZNS1_11reduce_implILb1ES3_NS6_12zip_iteratorINS7_INS6_11hip_rocprim26transform_input_iterator_tIbPsNS6_6detail10functional5actorINSH_9compositeIJNSH_27transparent_binary_operatorINS6_8equal_toIvEEEENSI_INSH_8argumentILj0EEEEENSH_5valueIsEEEEEEEEENSD_19counting_iterator_tIlEES8_S8_S8_S8_S8_S8_S8_S8_EEEEPS9_S9_NSD_9__find_if7functorIS9_EEEE10hipError_tPvRmT1_T2_T3_mT4_P12ihipStream_tbEUlT_E1_NS1_11comp_targetILNS1_3genE10ELNS1_11target_archE1201ELNS1_3gpuE5ELNS1_3repE0EEENS1_30default_config_static_selectorELNS0_4arch9wavefront6targetE1EEEvS17_.uses_flat_scratch, 0
	.set _ZN7rocprim17ROCPRIM_400000_NS6detail17trampoline_kernelINS0_14default_configENS1_22reduce_config_selectorIN6thrust23THRUST_200600_302600_NS5tupleIblNS6_9null_typeES8_S8_S8_S8_S8_S8_S8_EEEEZNS1_11reduce_implILb1ES3_NS6_12zip_iteratorINS7_INS6_11hip_rocprim26transform_input_iterator_tIbPsNS6_6detail10functional5actorINSH_9compositeIJNSH_27transparent_binary_operatorINS6_8equal_toIvEEEENSI_INSH_8argumentILj0EEEEENSH_5valueIsEEEEEEEEENSD_19counting_iterator_tIlEES8_S8_S8_S8_S8_S8_S8_S8_EEEEPS9_S9_NSD_9__find_if7functorIS9_EEEE10hipError_tPvRmT1_T2_T3_mT4_P12ihipStream_tbEUlT_E1_NS1_11comp_targetILNS1_3genE10ELNS1_11target_archE1201ELNS1_3gpuE5ELNS1_3repE0EEENS1_30default_config_static_selectorELNS0_4arch9wavefront6targetE1EEEvS17_.has_dyn_sized_stack, 0
	.set _ZN7rocprim17ROCPRIM_400000_NS6detail17trampoline_kernelINS0_14default_configENS1_22reduce_config_selectorIN6thrust23THRUST_200600_302600_NS5tupleIblNS6_9null_typeES8_S8_S8_S8_S8_S8_S8_EEEEZNS1_11reduce_implILb1ES3_NS6_12zip_iteratorINS7_INS6_11hip_rocprim26transform_input_iterator_tIbPsNS6_6detail10functional5actorINSH_9compositeIJNSH_27transparent_binary_operatorINS6_8equal_toIvEEEENSI_INSH_8argumentILj0EEEEENSH_5valueIsEEEEEEEEENSD_19counting_iterator_tIlEES8_S8_S8_S8_S8_S8_S8_S8_EEEEPS9_S9_NSD_9__find_if7functorIS9_EEEE10hipError_tPvRmT1_T2_T3_mT4_P12ihipStream_tbEUlT_E1_NS1_11comp_targetILNS1_3genE10ELNS1_11target_archE1201ELNS1_3gpuE5ELNS1_3repE0EEENS1_30default_config_static_selectorELNS0_4arch9wavefront6targetE1EEEvS17_.has_recursion, 0
	.set _ZN7rocprim17ROCPRIM_400000_NS6detail17trampoline_kernelINS0_14default_configENS1_22reduce_config_selectorIN6thrust23THRUST_200600_302600_NS5tupleIblNS6_9null_typeES8_S8_S8_S8_S8_S8_S8_EEEEZNS1_11reduce_implILb1ES3_NS6_12zip_iteratorINS7_INS6_11hip_rocprim26transform_input_iterator_tIbPsNS6_6detail10functional5actorINSH_9compositeIJNSH_27transparent_binary_operatorINS6_8equal_toIvEEEENSI_INSH_8argumentILj0EEEEENSH_5valueIsEEEEEEEEENSD_19counting_iterator_tIlEES8_S8_S8_S8_S8_S8_S8_S8_EEEEPS9_S9_NSD_9__find_if7functorIS9_EEEE10hipError_tPvRmT1_T2_T3_mT4_P12ihipStream_tbEUlT_E1_NS1_11comp_targetILNS1_3genE10ELNS1_11target_archE1201ELNS1_3gpuE5ELNS1_3repE0EEENS1_30default_config_static_selectorELNS0_4arch9wavefront6targetE1EEEvS17_.has_indirect_call, 0
	.section	.AMDGPU.csdata,"",@progbits
; Kernel info:
; codeLenInByte = 0
; TotalNumSgprs: 4
; NumVgprs: 0
; ScratchSize: 0
; MemoryBound: 0
; FloatMode: 240
; IeeeMode: 1
; LDSByteSize: 0 bytes/workgroup (compile time only)
; SGPRBlocks: 0
; VGPRBlocks: 0
; NumSGPRsForWavesPerEU: 4
; NumVGPRsForWavesPerEU: 1
; Occupancy: 10
; WaveLimiterHint : 0
; COMPUTE_PGM_RSRC2:SCRATCH_EN: 0
; COMPUTE_PGM_RSRC2:USER_SGPR: 6
; COMPUTE_PGM_RSRC2:TRAP_HANDLER: 0
; COMPUTE_PGM_RSRC2:TGID_X_EN: 1
; COMPUTE_PGM_RSRC2:TGID_Y_EN: 0
; COMPUTE_PGM_RSRC2:TGID_Z_EN: 0
; COMPUTE_PGM_RSRC2:TIDIG_COMP_CNT: 0
	.section	.text._ZN7rocprim17ROCPRIM_400000_NS6detail17trampoline_kernelINS0_14default_configENS1_22reduce_config_selectorIN6thrust23THRUST_200600_302600_NS5tupleIblNS6_9null_typeES8_S8_S8_S8_S8_S8_S8_EEEEZNS1_11reduce_implILb1ES3_NS6_12zip_iteratorINS7_INS6_11hip_rocprim26transform_input_iterator_tIbPsNS6_6detail10functional5actorINSH_9compositeIJNSH_27transparent_binary_operatorINS6_8equal_toIvEEEENSI_INSH_8argumentILj0EEEEENSH_5valueIsEEEEEEEEENSD_19counting_iterator_tIlEES8_S8_S8_S8_S8_S8_S8_S8_EEEEPS9_S9_NSD_9__find_if7functorIS9_EEEE10hipError_tPvRmT1_T2_T3_mT4_P12ihipStream_tbEUlT_E1_NS1_11comp_targetILNS1_3genE10ELNS1_11target_archE1200ELNS1_3gpuE4ELNS1_3repE0EEENS1_30default_config_static_selectorELNS0_4arch9wavefront6targetE1EEEvS17_,"axG",@progbits,_ZN7rocprim17ROCPRIM_400000_NS6detail17trampoline_kernelINS0_14default_configENS1_22reduce_config_selectorIN6thrust23THRUST_200600_302600_NS5tupleIblNS6_9null_typeES8_S8_S8_S8_S8_S8_S8_EEEEZNS1_11reduce_implILb1ES3_NS6_12zip_iteratorINS7_INS6_11hip_rocprim26transform_input_iterator_tIbPsNS6_6detail10functional5actorINSH_9compositeIJNSH_27transparent_binary_operatorINS6_8equal_toIvEEEENSI_INSH_8argumentILj0EEEEENSH_5valueIsEEEEEEEEENSD_19counting_iterator_tIlEES8_S8_S8_S8_S8_S8_S8_S8_EEEEPS9_S9_NSD_9__find_if7functorIS9_EEEE10hipError_tPvRmT1_T2_T3_mT4_P12ihipStream_tbEUlT_E1_NS1_11comp_targetILNS1_3genE10ELNS1_11target_archE1200ELNS1_3gpuE4ELNS1_3repE0EEENS1_30default_config_static_selectorELNS0_4arch9wavefront6targetE1EEEvS17_,comdat
	.protected	_ZN7rocprim17ROCPRIM_400000_NS6detail17trampoline_kernelINS0_14default_configENS1_22reduce_config_selectorIN6thrust23THRUST_200600_302600_NS5tupleIblNS6_9null_typeES8_S8_S8_S8_S8_S8_S8_EEEEZNS1_11reduce_implILb1ES3_NS6_12zip_iteratorINS7_INS6_11hip_rocprim26transform_input_iterator_tIbPsNS6_6detail10functional5actorINSH_9compositeIJNSH_27transparent_binary_operatorINS6_8equal_toIvEEEENSI_INSH_8argumentILj0EEEEENSH_5valueIsEEEEEEEEENSD_19counting_iterator_tIlEES8_S8_S8_S8_S8_S8_S8_S8_EEEEPS9_S9_NSD_9__find_if7functorIS9_EEEE10hipError_tPvRmT1_T2_T3_mT4_P12ihipStream_tbEUlT_E1_NS1_11comp_targetILNS1_3genE10ELNS1_11target_archE1200ELNS1_3gpuE4ELNS1_3repE0EEENS1_30default_config_static_selectorELNS0_4arch9wavefront6targetE1EEEvS17_ ; -- Begin function _ZN7rocprim17ROCPRIM_400000_NS6detail17trampoline_kernelINS0_14default_configENS1_22reduce_config_selectorIN6thrust23THRUST_200600_302600_NS5tupleIblNS6_9null_typeES8_S8_S8_S8_S8_S8_S8_EEEEZNS1_11reduce_implILb1ES3_NS6_12zip_iteratorINS7_INS6_11hip_rocprim26transform_input_iterator_tIbPsNS6_6detail10functional5actorINSH_9compositeIJNSH_27transparent_binary_operatorINS6_8equal_toIvEEEENSI_INSH_8argumentILj0EEEEENSH_5valueIsEEEEEEEEENSD_19counting_iterator_tIlEES8_S8_S8_S8_S8_S8_S8_S8_EEEEPS9_S9_NSD_9__find_if7functorIS9_EEEE10hipError_tPvRmT1_T2_T3_mT4_P12ihipStream_tbEUlT_E1_NS1_11comp_targetILNS1_3genE10ELNS1_11target_archE1200ELNS1_3gpuE4ELNS1_3repE0EEENS1_30default_config_static_selectorELNS0_4arch9wavefront6targetE1EEEvS17_
	.globl	_ZN7rocprim17ROCPRIM_400000_NS6detail17trampoline_kernelINS0_14default_configENS1_22reduce_config_selectorIN6thrust23THRUST_200600_302600_NS5tupleIblNS6_9null_typeES8_S8_S8_S8_S8_S8_S8_EEEEZNS1_11reduce_implILb1ES3_NS6_12zip_iteratorINS7_INS6_11hip_rocprim26transform_input_iterator_tIbPsNS6_6detail10functional5actorINSH_9compositeIJNSH_27transparent_binary_operatorINS6_8equal_toIvEEEENSI_INSH_8argumentILj0EEEEENSH_5valueIsEEEEEEEEENSD_19counting_iterator_tIlEES8_S8_S8_S8_S8_S8_S8_S8_EEEEPS9_S9_NSD_9__find_if7functorIS9_EEEE10hipError_tPvRmT1_T2_T3_mT4_P12ihipStream_tbEUlT_E1_NS1_11comp_targetILNS1_3genE10ELNS1_11target_archE1200ELNS1_3gpuE4ELNS1_3repE0EEENS1_30default_config_static_selectorELNS0_4arch9wavefront6targetE1EEEvS17_
	.p2align	8
	.type	_ZN7rocprim17ROCPRIM_400000_NS6detail17trampoline_kernelINS0_14default_configENS1_22reduce_config_selectorIN6thrust23THRUST_200600_302600_NS5tupleIblNS6_9null_typeES8_S8_S8_S8_S8_S8_S8_EEEEZNS1_11reduce_implILb1ES3_NS6_12zip_iteratorINS7_INS6_11hip_rocprim26transform_input_iterator_tIbPsNS6_6detail10functional5actorINSH_9compositeIJNSH_27transparent_binary_operatorINS6_8equal_toIvEEEENSI_INSH_8argumentILj0EEEEENSH_5valueIsEEEEEEEEENSD_19counting_iterator_tIlEES8_S8_S8_S8_S8_S8_S8_S8_EEEEPS9_S9_NSD_9__find_if7functorIS9_EEEE10hipError_tPvRmT1_T2_T3_mT4_P12ihipStream_tbEUlT_E1_NS1_11comp_targetILNS1_3genE10ELNS1_11target_archE1200ELNS1_3gpuE4ELNS1_3repE0EEENS1_30default_config_static_selectorELNS0_4arch9wavefront6targetE1EEEvS17_,@function
_ZN7rocprim17ROCPRIM_400000_NS6detail17trampoline_kernelINS0_14default_configENS1_22reduce_config_selectorIN6thrust23THRUST_200600_302600_NS5tupleIblNS6_9null_typeES8_S8_S8_S8_S8_S8_S8_EEEEZNS1_11reduce_implILb1ES3_NS6_12zip_iteratorINS7_INS6_11hip_rocprim26transform_input_iterator_tIbPsNS6_6detail10functional5actorINSH_9compositeIJNSH_27transparent_binary_operatorINS6_8equal_toIvEEEENSI_INSH_8argumentILj0EEEEENSH_5valueIsEEEEEEEEENSD_19counting_iterator_tIlEES8_S8_S8_S8_S8_S8_S8_S8_EEEEPS9_S9_NSD_9__find_if7functorIS9_EEEE10hipError_tPvRmT1_T2_T3_mT4_P12ihipStream_tbEUlT_E1_NS1_11comp_targetILNS1_3genE10ELNS1_11target_archE1200ELNS1_3gpuE4ELNS1_3repE0EEENS1_30default_config_static_selectorELNS0_4arch9wavefront6targetE1EEEvS17_: ; @_ZN7rocprim17ROCPRIM_400000_NS6detail17trampoline_kernelINS0_14default_configENS1_22reduce_config_selectorIN6thrust23THRUST_200600_302600_NS5tupleIblNS6_9null_typeES8_S8_S8_S8_S8_S8_S8_EEEEZNS1_11reduce_implILb1ES3_NS6_12zip_iteratorINS7_INS6_11hip_rocprim26transform_input_iterator_tIbPsNS6_6detail10functional5actorINSH_9compositeIJNSH_27transparent_binary_operatorINS6_8equal_toIvEEEENSI_INSH_8argumentILj0EEEEENSH_5valueIsEEEEEEEEENSD_19counting_iterator_tIlEES8_S8_S8_S8_S8_S8_S8_S8_EEEEPS9_S9_NSD_9__find_if7functorIS9_EEEE10hipError_tPvRmT1_T2_T3_mT4_P12ihipStream_tbEUlT_E1_NS1_11comp_targetILNS1_3genE10ELNS1_11target_archE1200ELNS1_3gpuE4ELNS1_3repE0EEENS1_30default_config_static_selectorELNS0_4arch9wavefront6targetE1EEEvS17_
; %bb.0:
	.section	.rodata,"a",@progbits
	.p2align	6, 0x0
	.amdhsa_kernel _ZN7rocprim17ROCPRIM_400000_NS6detail17trampoline_kernelINS0_14default_configENS1_22reduce_config_selectorIN6thrust23THRUST_200600_302600_NS5tupleIblNS6_9null_typeES8_S8_S8_S8_S8_S8_S8_EEEEZNS1_11reduce_implILb1ES3_NS6_12zip_iteratorINS7_INS6_11hip_rocprim26transform_input_iterator_tIbPsNS6_6detail10functional5actorINSH_9compositeIJNSH_27transparent_binary_operatorINS6_8equal_toIvEEEENSI_INSH_8argumentILj0EEEEENSH_5valueIsEEEEEEEEENSD_19counting_iterator_tIlEES8_S8_S8_S8_S8_S8_S8_S8_EEEEPS9_S9_NSD_9__find_if7functorIS9_EEEE10hipError_tPvRmT1_T2_T3_mT4_P12ihipStream_tbEUlT_E1_NS1_11comp_targetILNS1_3genE10ELNS1_11target_archE1200ELNS1_3gpuE4ELNS1_3repE0EEENS1_30default_config_static_selectorELNS0_4arch9wavefront6targetE1EEEvS17_
		.amdhsa_group_segment_fixed_size 0
		.amdhsa_private_segment_fixed_size 0
		.amdhsa_kernarg_size 72
		.amdhsa_user_sgpr_count 6
		.amdhsa_user_sgpr_private_segment_buffer 1
		.amdhsa_user_sgpr_dispatch_ptr 0
		.amdhsa_user_sgpr_queue_ptr 0
		.amdhsa_user_sgpr_kernarg_segment_ptr 1
		.amdhsa_user_sgpr_dispatch_id 0
		.amdhsa_user_sgpr_flat_scratch_init 0
		.amdhsa_user_sgpr_private_segment_size 0
		.amdhsa_uses_dynamic_stack 0
		.amdhsa_system_sgpr_private_segment_wavefront_offset 0
		.amdhsa_system_sgpr_workgroup_id_x 1
		.amdhsa_system_sgpr_workgroup_id_y 0
		.amdhsa_system_sgpr_workgroup_id_z 0
		.amdhsa_system_sgpr_workgroup_info 0
		.amdhsa_system_vgpr_workitem_id 0
		.amdhsa_next_free_vgpr 1
		.amdhsa_next_free_sgpr 0
		.amdhsa_reserve_vcc 0
		.amdhsa_reserve_flat_scratch 0
		.amdhsa_float_round_mode_32 0
		.amdhsa_float_round_mode_16_64 0
		.amdhsa_float_denorm_mode_32 3
		.amdhsa_float_denorm_mode_16_64 3
		.amdhsa_dx10_clamp 1
		.amdhsa_ieee_mode 1
		.amdhsa_fp16_overflow 0
		.amdhsa_exception_fp_ieee_invalid_op 0
		.amdhsa_exception_fp_denorm_src 0
		.amdhsa_exception_fp_ieee_div_zero 0
		.amdhsa_exception_fp_ieee_overflow 0
		.amdhsa_exception_fp_ieee_underflow 0
		.amdhsa_exception_fp_ieee_inexact 0
		.amdhsa_exception_int_div_zero 0
	.end_amdhsa_kernel
	.section	.text._ZN7rocprim17ROCPRIM_400000_NS6detail17trampoline_kernelINS0_14default_configENS1_22reduce_config_selectorIN6thrust23THRUST_200600_302600_NS5tupleIblNS6_9null_typeES8_S8_S8_S8_S8_S8_S8_EEEEZNS1_11reduce_implILb1ES3_NS6_12zip_iteratorINS7_INS6_11hip_rocprim26transform_input_iterator_tIbPsNS6_6detail10functional5actorINSH_9compositeIJNSH_27transparent_binary_operatorINS6_8equal_toIvEEEENSI_INSH_8argumentILj0EEEEENSH_5valueIsEEEEEEEEENSD_19counting_iterator_tIlEES8_S8_S8_S8_S8_S8_S8_S8_EEEEPS9_S9_NSD_9__find_if7functorIS9_EEEE10hipError_tPvRmT1_T2_T3_mT4_P12ihipStream_tbEUlT_E1_NS1_11comp_targetILNS1_3genE10ELNS1_11target_archE1200ELNS1_3gpuE4ELNS1_3repE0EEENS1_30default_config_static_selectorELNS0_4arch9wavefront6targetE1EEEvS17_,"axG",@progbits,_ZN7rocprim17ROCPRIM_400000_NS6detail17trampoline_kernelINS0_14default_configENS1_22reduce_config_selectorIN6thrust23THRUST_200600_302600_NS5tupleIblNS6_9null_typeES8_S8_S8_S8_S8_S8_S8_EEEEZNS1_11reduce_implILb1ES3_NS6_12zip_iteratorINS7_INS6_11hip_rocprim26transform_input_iterator_tIbPsNS6_6detail10functional5actorINSH_9compositeIJNSH_27transparent_binary_operatorINS6_8equal_toIvEEEENSI_INSH_8argumentILj0EEEEENSH_5valueIsEEEEEEEEENSD_19counting_iterator_tIlEES8_S8_S8_S8_S8_S8_S8_S8_EEEEPS9_S9_NSD_9__find_if7functorIS9_EEEE10hipError_tPvRmT1_T2_T3_mT4_P12ihipStream_tbEUlT_E1_NS1_11comp_targetILNS1_3genE10ELNS1_11target_archE1200ELNS1_3gpuE4ELNS1_3repE0EEENS1_30default_config_static_selectorELNS0_4arch9wavefront6targetE1EEEvS17_,comdat
.Lfunc_end1521:
	.size	_ZN7rocprim17ROCPRIM_400000_NS6detail17trampoline_kernelINS0_14default_configENS1_22reduce_config_selectorIN6thrust23THRUST_200600_302600_NS5tupleIblNS6_9null_typeES8_S8_S8_S8_S8_S8_S8_EEEEZNS1_11reduce_implILb1ES3_NS6_12zip_iteratorINS7_INS6_11hip_rocprim26transform_input_iterator_tIbPsNS6_6detail10functional5actorINSH_9compositeIJNSH_27transparent_binary_operatorINS6_8equal_toIvEEEENSI_INSH_8argumentILj0EEEEENSH_5valueIsEEEEEEEEENSD_19counting_iterator_tIlEES8_S8_S8_S8_S8_S8_S8_S8_EEEEPS9_S9_NSD_9__find_if7functorIS9_EEEE10hipError_tPvRmT1_T2_T3_mT4_P12ihipStream_tbEUlT_E1_NS1_11comp_targetILNS1_3genE10ELNS1_11target_archE1200ELNS1_3gpuE4ELNS1_3repE0EEENS1_30default_config_static_selectorELNS0_4arch9wavefront6targetE1EEEvS17_, .Lfunc_end1521-_ZN7rocprim17ROCPRIM_400000_NS6detail17trampoline_kernelINS0_14default_configENS1_22reduce_config_selectorIN6thrust23THRUST_200600_302600_NS5tupleIblNS6_9null_typeES8_S8_S8_S8_S8_S8_S8_EEEEZNS1_11reduce_implILb1ES3_NS6_12zip_iteratorINS7_INS6_11hip_rocprim26transform_input_iterator_tIbPsNS6_6detail10functional5actorINSH_9compositeIJNSH_27transparent_binary_operatorINS6_8equal_toIvEEEENSI_INSH_8argumentILj0EEEEENSH_5valueIsEEEEEEEEENSD_19counting_iterator_tIlEES8_S8_S8_S8_S8_S8_S8_S8_EEEEPS9_S9_NSD_9__find_if7functorIS9_EEEE10hipError_tPvRmT1_T2_T3_mT4_P12ihipStream_tbEUlT_E1_NS1_11comp_targetILNS1_3genE10ELNS1_11target_archE1200ELNS1_3gpuE4ELNS1_3repE0EEENS1_30default_config_static_selectorELNS0_4arch9wavefront6targetE1EEEvS17_
                                        ; -- End function
	.set _ZN7rocprim17ROCPRIM_400000_NS6detail17trampoline_kernelINS0_14default_configENS1_22reduce_config_selectorIN6thrust23THRUST_200600_302600_NS5tupleIblNS6_9null_typeES8_S8_S8_S8_S8_S8_S8_EEEEZNS1_11reduce_implILb1ES3_NS6_12zip_iteratorINS7_INS6_11hip_rocprim26transform_input_iterator_tIbPsNS6_6detail10functional5actorINSH_9compositeIJNSH_27transparent_binary_operatorINS6_8equal_toIvEEEENSI_INSH_8argumentILj0EEEEENSH_5valueIsEEEEEEEEENSD_19counting_iterator_tIlEES8_S8_S8_S8_S8_S8_S8_S8_EEEEPS9_S9_NSD_9__find_if7functorIS9_EEEE10hipError_tPvRmT1_T2_T3_mT4_P12ihipStream_tbEUlT_E1_NS1_11comp_targetILNS1_3genE10ELNS1_11target_archE1200ELNS1_3gpuE4ELNS1_3repE0EEENS1_30default_config_static_selectorELNS0_4arch9wavefront6targetE1EEEvS17_.num_vgpr, 0
	.set _ZN7rocprim17ROCPRIM_400000_NS6detail17trampoline_kernelINS0_14default_configENS1_22reduce_config_selectorIN6thrust23THRUST_200600_302600_NS5tupleIblNS6_9null_typeES8_S8_S8_S8_S8_S8_S8_EEEEZNS1_11reduce_implILb1ES3_NS6_12zip_iteratorINS7_INS6_11hip_rocprim26transform_input_iterator_tIbPsNS6_6detail10functional5actorINSH_9compositeIJNSH_27transparent_binary_operatorINS6_8equal_toIvEEEENSI_INSH_8argumentILj0EEEEENSH_5valueIsEEEEEEEEENSD_19counting_iterator_tIlEES8_S8_S8_S8_S8_S8_S8_S8_EEEEPS9_S9_NSD_9__find_if7functorIS9_EEEE10hipError_tPvRmT1_T2_T3_mT4_P12ihipStream_tbEUlT_E1_NS1_11comp_targetILNS1_3genE10ELNS1_11target_archE1200ELNS1_3gpuE4ELNS1_3repE0EEENS1_30default_config_static_selectorELNS0_4arch9wavefront6targetE1EEEvS17_.num_agpr, 0
	.set _ZN7rocprim17ROCPRIM_400000_NS6detail17trampoline_kernelINS0_14default_configENS1_22reduce_config_selectorIN6thrust23THRUST_200600_302600_NS5tupleIblNS6_9null_typeES8_S8_S8_S8_S8_S8_S8_EEEEZNS1_11reduce_implILb1ES3_NS6_12zip_iteratorINS7_INS6_11hip_rocprim26transform_input_iterator_tIbPsNS6_6detail10functional5actorINSH_9compositeIJNSH_27transparent_binary_operatorINS6_8equal_toIvEEEENSI_INSH_8argumentILj0EEEEENSH_5valueIsEEEEEEEEENSD_19counting_iterator_tIlEES8_S8_S8_S8_S8_S8_S8_S8_EEEEPS9_S9_NSD_9__find_if7functorIS9_EEEE10hipError_tPvRmT1_T2_T3_mT4_P12ihipStream_tbEUlT_E1_NS1_11comp_targetILNS1_3genE10ELNS1_11target_archE1200ELNS1_3gpuE4ELNS1_3repE0EEENS1_30default_config_static_selectorELNS0_4arch9wavefront6targetE1EEEvS17_.numbered_sgpr, 0
	.set _ZN7rocprim17ROCPRIM_400000_NS6detail17trampoline_kernelINS0_14default_configENS1_22reduce_config_selectorIN6thrust23THRUST_200600_302600_NS5tupleIblNS6_9null_typeES8_S8_S8_S8_S8_S8_S8_EEEEZNS1_11reduce_implILb1ES3_NS6_12zip_iteratorINS7_INS6_11hip_rocprim26transform_input_iterator_tIbPsNS6_6detail10functional5actorINSH_9compositeIJNSH_27transparent_binary_operatorINS6_8equal_toIvEEEENSI_INSH_8argumentILj0EEEEENSH_5valueIsEEEEEEEEENSD_19counting_iterator_tIlEES8_S8_S8_S8_S8_S8_S8_S8_EEEEPS9_S9_NSD_9__find_if7functorIS9_EEEE10hipError_tPvRmT1_T2_T3_mT4_P12ihipStream_tbEUlT_E1_NS1_11comp_targetILNS1_3genE10ELNS1_11target_archE1200ELNS1_3gpuE4ELNS1_3repE0EEENS1_30default_config_static_selectorELNS0_4arch9wavefront6targetE1EEEvS17_.num_named_barrier, 0
	.set _ZN7rocprim17ROCPRIM_400000_NS6detail17trampoline_kernelINS0_14default_configENS1_22reduce_config_selectorIN6thrust23THRUST_200600_302600_NS5tupleIblNS6_9null_typeES8_S8_S8_S8_S8_S8_S8_EEEEZNS1_11reduce_implILb1ES3_NS6_12zip_iteratorINS7_INS6_11hip_rocprim26transform_input_iterator_tIbPsNS6_6detail10functional5actorINSH_9compositeIJNSH_27transparent_binary_operatorINS6_8equal_toIvEEEENSI_INSH_8argumentILj0EEEEENSH_5valueIsEEEEEEEEENSD_19counting_iterator_tIlEES8_S8_S8_S8_S8_S8_S8_S8_EEEEPS9_S9_NSD_9__find_if7functorIS9_EEEE10hipError_tPvRmT1_T2_T3_mT4_P12ihipStream_tbEUlT_E1_NS1_11comp_targetILNS1_3genE10ELNS1_11target_archE1200ELNS1_3gpuE4ELNS1_3repE0EEENS1_30default_config_static_selectorELNS0_4arch9wavefront6targetE1EEEvS17_.private_seg_size, 0
	.set _ZN7rocprim17ROCPRIM_400000_NS6detail17trampoline_kernelINS0_14default_configENS1_22reduce_config_selectorIN6thrust23THRUST_200600_302600_NS5tupleIblNS6_9null_typeES8_S8_S8_S8_S8_S8_S8_EEEEZNS1_11reduce_implILb1ES3_NS6_12zip_iteratorINS7_INS6_11hip_rocprim26transform_input_iterator_tIbPsNS6_6detail10functional5actorINSH_9compositeIJNSH_27transparent_binary_operatorINS6_8equal_toIvEEEENSI_INSH_8argumentILj0EEEEENSH_5valueIsEEEEEEEEENSD_19counting_iterator_tIlEES8_S8_S8_S8_S8_S8_S8_S8_EEEEPS9_S9_NSD_9__find_if7functorIS9_EEEE10hipError_tPvRmT1_T2_T3_mT4_P12ihipStream_tbEUlT_E1_NS1_11comp_targetILNS1_3genE10ELNS1_11target_archE1200ELNS1_3gpuE4ELNS1_3repE0EEENS1_30default_config_static_selectorELNS0_4arch9wavefront6targetE1EEEvS17_.uses_vcc, 0
	.set _ZN7rocprim17ROCPRIM_400000_NS6detail17trampoline_kernelINS0_14default_configENS1_22reduce_config_selectorIN6thrust23THRUST_200600_302600_NS5tupleIblNS6_9null_typeES8_S8_S8_S8_S8_S8_S8_EEEEZNS1_11reduce_implILb1ES3_NS6_12zip_iteratorINS7_INS6_11hip_rocprim26transform_input_iterator_tIbPsNS6_6detail10functional5actorINSH_9compositeIJNSH_27transparent_binary_operatorINS6_8equal_toIvEEEENSI_INSH_8argumentILj0EEEEENSH_5valueIsEEEEEEEEENSD_19counting_iterator_tIlEES8_S8_S8_S8_S8_S8_S8_S8_EEEEPS9_S9_NSD_9__find_if7functorIS9_EEEE10hipError_tPvRmT1_T2_T3_mT4_P12ihipStream_tbEUlT_E1_NS1_11comp_targetILNS1_3genE10ELNS1_11target_archE1200ELNS1_3gpuE4ELNS1_3repE0EEENS1_30default_config_static_selectorELNS0_4arch9wavefront6targetE1EEEvS17_.uses_flat_scratch, 0
	.set _ZN7rocprim17ROCPRIM_400000_NS6detail17trampoline_kernelINS0_14default_configENS1_22reduce_config_selectorIN6thrust23THRUST_200600_302600_NS5tupleIblNS6_9null_typeES8_S8_S8_S8_S8_S8_S8_EEEEZNS1_11reduce_implILb1ES3_NS6_12zip_iteratorINS7_INS6_11hip_rocprim26transform_input_iterator_tIbPsNS6_6detail10functional5actorINSH_9compositeIJNSH_27transparent_binary_operatorINS6_8equal_toIvEEEENSI_INSH_8argumentILj0EEEEENSH_5valueIsEEEEEEEEENSD_19counting_iterator_tIlEES8_S8_S8_S8_S8_S8_S8_S8_EEEEPS9_S9_NSD_9__find_if7functorIS9_EEEE10hipError_tPvRmT1_T2_T3_mT4_P12ihipStream_tbEUlT_E1_NS1_11comp_targetILNS1_3genE10ELNS1_11target_archE1200ELNS1_3gpuE4ELNS1_3repE0EEENS1_30default_config_static_selectorELNS0_4arch9wavefront6targetE1EEEvS17_.has_dyn_sized_stack, 0
	.set _ZN7rocprim17ROCPRIM_400000_NS6detail17trampoline_kernelINS0_14default_configENS1_22reduce_config_selectorIN6thrust23THRUST_200600_302600_NS5tupleIblNS6_9null_typeES8_S8_S8_S8_S8_S8_S8_EEEEZNS1_11reduce_implILb1ES3_NS6_12zip_iteratorINS7_INS6_11hip_rocprim26transform_input_iterator_tIbPsNS6_6detail10functional5actorINSH_9compositeIJNSH_27transparent_binary_operatorINS6_8equal_toIvEEEENSI_INSH_8argumentILj0EEEEENSH_5valueIsEEEEEEEEENSD_19counting_iterator_tIlEES8_S8_S8_S8_S8_S8_S8_S8_EEEEPS9_S9_NSD_9__find_if7functorIS9_EEEE10hipError_tPvRmT1_T2_T3_mT4_P12ihipStream_tbEUlT_E1_NS1_11comp_targetILNS1_3genE10ELNS1_11target_archE1200ELNS1_3gpuE4ELNS1_3repE0EEENS1_30default_config_static_selectorELNS0_4arch9wavefront6targetE1EEEvS17_.has_recursion, 0
	.set _ZN7rocprim17ROCPRIM_400000_NS6detail17trampoline_kernelINS0_14default_configENS1_22reduce_config_selectorIN6thrust23THRUST_200600_302600_NS5tupleIblNS6_9null_typeES8_S8_S8_S8_S8_S8_S8_EEEEZNS1_11reduce_implILb1ES3_NS6_12zip_iteratorINS7_INS6_11hip_rocprim26transform_input_iterator_tIbPsNS6_6detail10functional5actorINSH_9compositeIJNSH_27transparent_binary_operatorINS6_8equal_toIvEEEENSI_INSH_8argumentILj0EEEEENSH_5valueIsEEEEEEEEENSD_19counting_iterator_tIlEES8_S8_S8_S8_S8_S8_S8_S8_EEEEPS9_S9_NSD_9__find_if7functorIS9_EEEE10hipError_tPvRmT1_T2_T3_mT4_P12ihipStream_tbEUlT_E1_NS1_11comp_targetILNS1_3genE10ELNS1_11target_archE1200ELNS1_3gpuE4ELNS1_3repE0EEENS1_30default_config_static_selectorELNS0_4arch9wavefront6targetE1EEEvS17_.has_indirect_call, 0
	.section	.AMDGPU.csdata,"",@progbits
; Kernel info:
; codeLenInByte = 0
; TotalNumSgprs: 4
; NumVgprs: 0
; ScratchSize: 0
; MemoryBound: 0
; FloatMode: 240
; IeeeMode: 1
; LDSByteSize: 0 bytes/workgroup (compile time only)
; SGPRBlocks: 0
; VGPRBlocks: 0
; NumSGPRsForWavesPerEU: 4
; NumVGPRsForWavesPerEU: 1
; Occupancy: 10
; WaveLimiterHint : 0
; COMPUTE_PGM_RSRC2:SCRATCH_EN: 0
; COMPUTE_PGM_RSRC2:USER_SGPR: 6
; COMPUTE_PGM_RSRC2:TRAP_HANDLER: 0
; COMPUTE_PGM_RSRC2:TGID_X_EN: 1
; COMPUTE_PGM_RSRC2:TGID_Y_EN: 0
; COMPUTE_PGM_RSRC2:TGID_Z_EN: 0
; COMPUTE_PGM_RSRC2:TIDIG_COMP_CNT: 0
	.section	.text._ZN7rocprim17ROCPRIM_400000_NS6detail17trampoline_kernelINS0_14default_configENS1_22reduce_config_selectorIN6thrust23THRUST_200600_302600_NS5tupleIblNS6_9null_typeES8_S8_S8_S8_S8_S8_S8_EEEEZNS1_11reduce_implILb1ES3_NS6_12zip_iteratorINS7_INS6_11hip_rocprim26transform_input_iterator_tIbPsNS6_6detail10functional5actorINSH_9compositeIJNSH_27transparent_binary_operatorINS6_8equal_toIvEEEENSI_INSH_8argumentILj0EEEEENSH_5valueIsEEEEEEEEENSD_19counting_iterator_tIlEES8_S8_S8_S8_S8_S8_S8_S8_EEEEPS9_S9_NSD_9__find_if7functorIS9_EEEE10hipError_tPvRmT1_T2_T3_mT4_P12ihipStream_tbEUlT_E1_NS1_11comp_targetILNS1_3genE9ELNS1_11target_archE1100ELNS1_3gpuE3ELNS1_3repE0EEENS1_30default_config_static_selectorELNS0_4arch9wavefront6targetE1EEEvS17_,"axG",@progbits,_ZN7rocprim17ROCPRIM_400000_NS6detail17trampoline_kernelINS0_14default_configENS1_22reduce_config_selectorIN6thrust23THRUST_200600_302600_NS5tupleIblNS6_9null_typeES8_S8_S8_S8_S8_S8_S8_EEEEZNS1_11reduce_implILb1ES3_NS6_12zip_iteratorINS7_INS6_11hip_rocprim26transform_input_iterator_tIbPsNS6_6detail10functional5actorINSH_9compositeIJNSH_27transparent_binary_operatorINS6_8equal_toIvEEEENSI_INSH_8argumentILj0EEEEENSH_5valueIsEEEEEEEEENSD_19counting_iterator_tIlEES8_S8_S8_S8_S8_S8_S8_S8_EEEEPS9_S9_NSD_9__find_if7functorIS9_EEEE10hipError_tPvRmT1_T2_T3_mT4_P12ihipStream_tbEUlT_E1_NS1_11comp_targetILNS1_3genE9ELNS1_11target_archE1100ELNS1_3gpuE3ELNS1_3repE0EEENS1_30default_config_static_selectorELNS0_4arch9wavefront6targetE1EEEvS17_,comdat
	.protected	_ZN7rocprim17ROCPRIM_400000_NS6detail17trampoline_kernelINS0_14default_configENS1_22reduce_config_selectorIN6thrust23THRUST_200600_302600_NS5tupleIblNS6_9null_typeES8_S8_S8_S8_S8_S8_S8_EEEEZNS1_11reduce_implILb1ES3_NS6_12zip_iteratorINS7_INS6_11hip_rocprim26transform_input_iterator_tIbPsNS6_6detail10functional5actorINSH_9compositeIJNSH_27transparent_binary_operatorINS6_8equal_toIvEEEENSI_INSH_8argumentILj0EEEEENSH_5valueIsEEEEEEEEENSD_19counting_iterator_tIlEES8_S8_S8_S8_S8_S8_S8_S8_EEEEPS9_S9_NSD_9__find_if7functorIS9_EEEE10hipError_tPvRmT1_T2_T3_mT4_P12ihipStream_tbEUlT_E1_NS1_11comp_targetILNS1_3genE9ELNS1_11target_archE1100ELNS1_3gpuE3ELNS1_3repE0EEENS1_30default_config_static_selectorELNS0_4arch9wavefront6targetE1EEEvS17_ ; -- Begin function _ZN7rocprim17ROCPRIM_400000_NS6detail17trampoline_kernelINS0_14default_configENS1_22reduce_config_selectorIN6thrust23THRUST_200600_302600_NS5tupleIblNS6_9null_typeES8_S8_S8_S8_S8_S8_S8_EEEEZNS1_11reduce_implILb1ES3_NS6_12zip_iteratorINS7_INS6_11hip_rocprim26transform_input_iterator_tIbPsNS6_6detail10functional5actorINSH_9compositeIJNSH_27transparent_binary_operatorINS6_8equal_toIvEEEENSI_INSH_8argumentILj0EEEEENSH_5valueIsEEEEEEEEENSD_19counting_iterator_tIlEES8_S8_S8_S8_S8_S8_S8_S8_EEEEPS9_S9_NSD_9__find_if7functorIS9_EEEE10hipError_tPvRmT1_T2_T3_mT4_P12ihipStream_tbEUlT_E1_NS1_11comp_targetILNS1_3genE9ELNS1_11target_archE1100ELNS1_3gpuE3ELNS1_3repE0EEENS1_30default_config_static_selectorELNS0_4arch9wavefront6targetE1EEEvS17_
	.globl	_ZN7rocprim17ROCPRIM_400000_NS6detail17trampoline_kernelINS0_14default_configENS1_22reduce_config_selectorIN6thrust23THRUST_200600_302600_NS5tupleIblNS6_9null_typeES8_S8_S8_S8_S8_S8_S8_EEEEZNS1_11reduce_implILb1ES3_NS6_12zip_iteratorINS7_INS6_11hip_rocprim26transform_input_iterator_tIbPsNS6_6detail10functional5actorINSH_9compositeIJNSH_27transparent_binary_operatorINS6_8equal_toIvEEEENSI_INSH_8argumentILj0EEEEENSH_5valueIsEEEEEEEEENSD_19counting_iterator_tIlEES8_S8_S8_S8_S8_S8_S8_S8_EEEEPS9_S9_NSD_9__find_if7functorIS9_EEEE10hipError_tPvRmT1_T2_T3_mT4_P12ihipStream_tbEUlT_E1_NS1_11comp_targetILNS1_3genE9ELNS1_11target_archE1100ELNS1_3gpuE3ELNS1_3repE0EEENS1_30default_config_static_selectorELNS0_4arch9wavefront6targetE1EEEvS17_
	.p2align	8
	.type	_ZN7rocprim17ROCPRIM_400000_NS6detail17trampoline_kernelINS0_14default_configENS1_22reduce_config_selectorIN6thrust23THRUST_200600_302600_NS5tupleIblNS6_9null_typeES8_S8_S8_S8_S8_S8_S8_EEEEZNS1_11reduce_implILb1ES3_NS6_12zip_iteratorINS7_INS6_11hip_rocprim26transform_input_iterator_tIbPsNS6_6detail10functional5actorINSH_9compositeIJNSH_27transparent_binary_operatorINS6_8equal_toIvEEEENSI_INSH_8argumentILj0EEEEENSH_5valueIsEEEEEEEEENSD_19counting_iterator_tIlEES8_S8_S8_S8_S8_S8_S8_S8_EEEEPS9_S9_NSD_9__find_if7functorIS9_EEEE10hipError_tPvRmT1_T2_T3_mT4_P12ihipStream_tbEUlT_E1_NS1_11comp_targetILNS1_3genE9ELNS1_11target_archE1100ELNS1_3gpuE3ELNS1_3repE0EEENS1_30default_config_static_selectorELNS0_4arch9wavefront6targetE1EEEvS17_,@function
_ZN7rocprim17ROCPRIM_400000_NS6detail17trampoline_kernelINS0_14default_configENS1_22reduce_config_selectorIN6thrust23THRUST_200600_302600_NS5tupleIblNS6_9null_typeES8_S8_S8_S8_S8_S8_S8_EEEEZNS1_11reduce_implILb1ES3_NS6_12zip_iteratorINS7_INS6_11hip_rocprim26transform_input_iterator_tIbPsNS6_6detail10functional5actorINSH_9compositeIJNSH_27transparent_binary_operatorINS6_8equal_toIvEEEENSI_INSH_8argumentILj0EEEEENSH_5valueIsEEEEEEEEENSD_19counting_iterator_tIlEES8_S8_S8_S8_S8_S8_S8_S8_EEEEPS9_S9_NSD_9__find_if7functorIS9_EEEE10hipError_tPvRmT1_T2_T3_mT4_P12ihipStream_tbEUlT_E1_NS1_11comp_targetILNS1_3genE9ELNS1_11target_archE1100ELNS1_3gpuE3ELNS1_3repE0EEENS1_30default_config_static_selectorELNS0_4arch9wavefront6targetE1EEEvS17_: ; @_ZN7rocprim17ROCPRIM_400000_NS6detail17trampoline_kernelINS0_14default_configENS1_22reduce_config_selectorIN6thrust23THRUST_200600_302600_NS5tupleIblNS6_9null_typeES8_S8_S8_S8_S8_S8_S8_EEEEZNS1_11reduce_implILb1ES3_NS6_12zip_iteratorINS7_INS6_11hip_rocprim26transform_input_iterator_tIbPsNS6_6detail10functional5actorINSH_9compositeIJNSH_27transparent_binary_operatorINS6_8equal_toIvEEEENSI_INSH_8argumentILj0EEEEENSH_5valueIsEEEEEEEEENSD_19counting_iterator_tIlEES8_S8_S8_S8_S8_S8_S8_S8_EEEEPS9_S9_NSD_9__find_if7functorIS9_EEEE10hipError_tPvRmT1_T2_T3_mT4_P12ihipStream_tbEUlT_E1_NS1_11comp_targetILNS1_3genE9ELNS1_11target_archE1100ELNS1_3gpuE3ELNS1_3repE0EEENS1_30default_config_static_selectorELNS0_4arch9wavefront6targetE1EEEvS17_
; %bb.0:
	.section	.rodata,"a",@progbits
	.p2align	6, 0x0
	.amdhsa_kernel _ZN7rocprim17ROCPRIM_400000_NS6detail17trampoline_kernelINS0_14default_configENS1_22reduce_config_selectorIN6thrust23THRUST_200600_302600_NS5tupleIblNS6_9null_typeES8_S8_S8_S8_S8_S8_S8_EEEEZNS1_11reduce_implILb1ES3_NS6_12zip_iteratorINS7_INS6_11hip_rocprim26transform_input_iterator_tIbPsNS6_6detail10functional5actorINSH_9compositeIJNSH_27transparent_binary_operatorINS6_8equal_toIvEEEENSI_INSH_8argumentILj0EEEEENSH_5valueIsEEEEEEEEENSD_19counting_iterator_tIlEES8_S8_S8_S8_S8_S8_S8_S8_EEEEPS9_S9_NSD_9__find_if7functorIS9_EEEE10hipError_tPvRmT1_T2_T3_mT4_P12ihipStream_tbEUlT_E1_NS1_11comp_targetILNS1_3genE9ELNS1_11target_archE1100ELNS1_3gpuE3ELNS1_3repE0EEENS1_30default_config_static_selectorELNS0_4arch9wavefront6targetE1EEEvS17_
		.amdhsa_group_segment_fixed_size 0
		.amdhsa_private_segment_fixed_size 0
		.amdhsa_kernarg_size 72
		.amdhsa_user_sgpr_count 6
		.amdhsa_user_sgpr_private_segment_buffer 1
		.amdhsa_user_sgpr_dispatch_ptr 0
		.amdhsa_user_sgpr_queue_ptr 0
		.amdhsa_user_sgpr_kernarg_segment_ptr 1
		.amdhsa_user_sgpr_dispatch_id 0
		.amdhsa_user_sgpr_flat_scratch_init 0
		.amdhsa_user_sgpr_private_segment_size 0
		.amdhsa_uses_dynamic_stack 0
		.amdhsa_system_sgpr_private_segment_wavefront_offset 0
		.amdhsa_system_sgpr_workgroup_id_x 1
		.amdhsa_system_sgpr_workgroup_id_y 0
		.amdhsa_system_sgpr_workgroup_id_z 0
		.amdhsa_system_sgpr_workgroup_info 0
		.amdhsa_system_vgpr_workitem_id 0
		.amdhsa_next_free_vgpr 1
		.amdhsa_next_free_sgpr 0
		.amdhsa_reserve_vcc 0
		.amdhsa_reserve_flat_scratch 0
		.amdhsa_float_round_mode_32 0
		.amdhsa_float_round_mode_16_64 0
		.amdhsa_float_denorm_mode_32 3
		.amdhsa_float_denorm_mode_16_64 3
		.amdhsa_dx10_clamp 1
		.amdhsa_ieee_mode 1
		.amdhsa_fp16_overflow 0
		.amdhsa_exception_fp_ieee_invalid_op 0
		.amdhsa_exception_fp_denorm_src 0
		.amdhsa_exception_fp_ieee_div_zero 0
		.amdhsa_exception_fp_ieee_overflow 0
		.amdhsa_exception_fp_ieee_underflow 0
		.amdhsa_exception_fp_ieee_inexact 0
		.amdhsa_exception_int_div_zero 0
	.end_amdhsa_kernel
	.section	.text._ZN7rocprim17ROCPRIM_400000_NS6detail17trampoline_kernelINS0_14default_configENS1_22reduce_config_selectorIN6thrust23THRUST_200600_302600_NS5tupleIblNS6_9null_typeES8_S8_S8_S8_S8_S8_S8_EEEEZNS1_11reduce_implILb1ES3_NS6_12zip_iteratorINS7_INS6_11hip_rocprim26transform_input_iterator_tIbPsNS6_6detail10functional5actorINSH_9compositeIJNSH_27transparent_binary_operatorINS6_8equal_toIvEEEENSI_INSH_8argumentILj0EEEEENSH_5valueIsEEEEEEEEENSD_19counting_iterator_tIlEES8_S8_S8_S8_S8_S8_S8_S8_EEEEPS9_S9_NSD_9__find_if7functorIS9_EEEE10hipError_tPvRmT1_T2_T3_mT4_P12ihipStream_tbEUlT_E1_NS1_11comp_targetILNS1_3genE9ELNS1_11target_archE1100ELNS1_3gpuE3ELNS1_3repE0EEENS1_30default_config_static_selectorELNS0_4arch9wavefront6targetE1EEEvS17_,"axG",@progbits,_ZN7rocprim17ROCPRIM_400000_NS6detail17trampoline_kernelINS0_14default_configENS1_22reduce_config_selectorIN6thrust23THRUST_200600_302600_NS5tupleIblNS6_9null_typeES8_S8_S8_S8_S8_S8_S8_EEEEZNS1_11reduce_implILb1ES3_NS6_12zip_iteratorINS7_INS6_11hip_rocprim26transform_input_iterator_tIbPsNS6_6detail10functional5actorINSH_9compositeIJNSH_27transparent_binary_operatorINS6_8equal_toIvEEEENSI_INSH_8argumentILj0EEEEENSH_5valueIsEEEEEEEEENSD_19counting_iterator_tIlEES8_S8_S8_S8_S8_S8_S8_S8_EEEEPS9_S9_NSD_9__find_if7functorIS9_EEEE10hipError_tPvRmT1_T2_T3_mT4_P12ihipStream_tbEUlT_E1_NS1_11comp_targetILNS1_3genE9ELNS1_11target_archE1100ELNS1_3gpuE3ELNS1_3repE0EEENS1_30default_config_static_selectorELNS0_4arch9wavefront6targetE1EEEvS17_,comdat
.Lfunc_end1522:
	.size	_ZN7rocprim17ROCPRIM_400000_NS6detail17trampoline_kernelINS0_14default_configENS1_22reduce_config_selectorIN6thrust23THRUST_200600_302600_NS5tupleIblNS6_9null_typeES8_S8_S8_S8_S8_S8_S8_EEEEZNS1_11reduce_implILb1ES3_NS6_12zip_iteratorINS7_INS6_11hip_rocprim26transform_input_iterator_tIbPsNS6_6detail10functional5actorINSH_9compositeIJNSH_27transparent_binary_operatorINS6_8equal_toIvEEEENSI_INSH_8argumentILj0EEEEENSH_5valueIsEEEEEEEEENSD_19counting_iterator_tIlEES8_S8_S8_S8_S8_S8_S8_S8_EEEEPS9_S9_NSD_9__find_if7functorIS9_EEEE10hipError_tPvRmT1_T2_T3_mT4_P12ihipStream_tbEUlT_E1_NS1_11comp_targetILNS1_3genE9ELNS1_11target_archE1100ELNS1_3gpuE3ELNS1_3repE0EEENS1_30default_config_static_selectorELNS0_4arch9wavefront6targetE1EEEvS17_, .Lfunc_end1522-_ZN7rocprim17ROCPRIM_400000_NS6detail17trampoline_kernelINS0_14default_configENS1_22reduce_config_selectorIN6thrust23THRUST_200600_302600_NS5tupleIblNS6_9null_typeES8_S8_S8_S8_S8_S8_S8_EEEEZNS1_11reduce_implILb1ES3_NS6_12zip_iteratorINS7_INS6_11hip_rocprim26transform_input_iterator_tIbPsNS6_6detail10functional5actorINSH_9compositeIJNSH_27transparent_binary_operatorINS6_8equal_toIvEEEENSI_INSH_8argumentILj0EEEEENSH_5valueIsEEEEEEEEENSD_19counting_iterator_tIlEES8_S8_S8_S8_S8_S8_S8_S8_EEEEPS9_S9_NSD_9__find_if7functorIS9_EEEE10hipError_tPvRmT1_T2_T3_mT4_P12ihipStream_tbEUlT_E1_NS1_11comp_targetILNS1_3genE9ELNS1_11target_archE1100ELNS1_3gpuE3ELNS1_3repE0EEENS1_30default_config_static_selectorELNS0_4arch9wavefront6targetE1EEEvS17_
                                        ; -- End function
	.set _ZN7rocprim17ROCPRIM_400000_NS6detail17trampoline_kernelINS0_14default_configENS1_22reduce_config_selectorIN6thrust23THRUST_200600_302600_NS5tupleIblNS6_9null_typeES8_S8_S8_S8_S8_S8_S8_EEEEZNS1_11reduce_implILb1ES3_NS6_12zip_iteratorINS7_INS6_11hip_rocprim26transform_input_iterator_tIbPsNS6_6detail10functional5actorINSH_9compositeIJNSH_27transparent_binary_operatorINS6_8equal_toIvEEEENSI_INSH_8argumentILj0EEEEENSH_5valueIsEEEEEEEEENSD_19counting_iterator_tIlEES8_S8_S8_S8_S8_S8_S8_S8_EEEEPS9_S9_NSD_9__find_if7functorIS9_EEEE10hipError_tPvRmT1_T2_T3_mT4_P12ihipStream_tbEUlT_E1_NS1_11comp_targetILNS1_3genE9ELNS1_11target_archE1100ELNS1_3gpuE3ELNS1_3repE0EEENS1_30default_config_static_selectorELNS0_4arch9wavefront6targetE1EEEvS17_.num_vgpr, 0
	.set _ZN7rocprim17ROCPRIM_400000_NS6detail17trampoline_kernelINS0_14default_configENS1_22reduce_config_selectorIN6thrust23THRUST_200600_302600_NS5tupleIblNS6_9null_typeES8_S8_S8_S8_S8_S8_S8_EEEEZNS1_11reduce_implILb1ES3_NS6_12zip_iteratorINS7_INS6_11hip_rocprim26transform_input_iterator_tIbPsNS6_6detail10functional5actorINSH_9compositeIJNSH_27transparent_binary_operatorINS6_8equal_toIvEEEENSI_INSH_8argumentILj0EEEEENSH_5valueIsEEEEEEEEENSD_19counting_iterator_tIlEES8_S8_S8_S8_S8_S8_S8_S8_EEEEPS9_S9_NSD_9__find_if7functorIS9_EEEE10hipError_tPvRmT1_T2_T3_mT4_P12ihipStream_tbEUlT_E1_NS1_11comp_targetILNS1_3genE9ELNS1_11target_archE1100ELNS1_3gpuE3ELNS1_3repE0EEENS1_30default_config_static_selectorELNS0_4arch9wavefront6targetE1EEEvS17_.num_agpr, 0
	.set _ZN7rocprim17ROCPRIM_400000_NS6detail17trampoline_kernelINS0_14default_configENS1_22reduce_config_selectorIN6thrust23THRUST_200600_302600_NS5tupleIblNS6_9null_typeES8_S8_S8_S8_S8_S8_S8_EEEEZNS1_11reduce_implILb1ES3_NS6_12zip_iteratorINS7_INS6_11hip_rocprim26transform_input_iterator_tIbPsNS6_6detail10functional5actorINSH_9compositeIJNSH_27transparent_binary_operatorINS6_8equal_toIvEEEENSI_INSH_8argumentILj0EEEEENSH_5valueIsEEEEEEEEENSD_19counting_iterator_tIlEES8_S8_S8_S8_S8_S8_S8_S8_EEEEPS9_S9_NSD_9__find_if7functorIS9_EEEE10hipError_tPvRmT1_T2_T3_mT4_P12ihipStream_tbEUlT_E1_NS1_11comp_targetILNS1_3genE9ELNS1_11target_archE1100ELNS1_3gpuE3ELNS1_3repE0EEENS1_30default_config_static_selectorELNS0_4arch9wavefront6targetE1EEEvS17_.numbered_sgpr, 0
	.set _ZN7rocprim17ROCPRIM_400000_NS6detail17trampoline_kernelINS0_14default_configENS1_22reduce_config_selectorIN6thrust23THRUST_200600_302600_NS5tupleIblNS6_9null_typeES8_S8_S8_S8_S8_S8_S8_EEEEZNS1_11reduce_implILb1ES3_NS6_12zip_iteratorINS7_INS6_11hip_rocprim26transform_input_iterator_tIbPsNS6_6detail10functional5actorINSH_9compositeIJNSH_27transparent_binary_operatorINS6_8equal_toIvEEEENSI_INSH_8argumentILj0EEEEENSH_5valueIsEEEEEEEEENSD_19counting_iterator_tIlEES8_S8_S8_S8_S8_S8_S8_S8_EEEEPS9_S9_NSD_9__find_if7functorIS9_EEEE10hipError_tPvRmT1_T2_T3_mT4_P12ihipStream_tbEUlT_E1_NS1_11comp_targetILNS1_3genE9ELNS1_11target_archE1100ELNS1_3gpuE3ELNS1_3repE0EEENS1_30default_config_static_selectorELNS0_4arch9wavefront6targetE1EEEvS17_.num_named_barrier, 0
	.set _ZN7rocprim17ROCPRIM_400000_NS6detail17trampoline_kernelINS0_14default_configENS1_22reduce_config_selectorIN6thrust23THRUST_200600_302600_NS5tupleIblNS6_9null_typeES8_S8_S8_S8_S8_S8_S8_EEEEZNS1_11reduce_implILb1ES3_NS6_12zip_iteratorINS7_INS6_11hip_rocprim26transform_input_iterator_tIbPsNS6_6detail10functional5actorINSH_9compositeIJNSH_27transparent_binary_operatorINS6_8equal_toIvEEEENSI_INSH_8argumentILj0EEEEENSH_5valueIsEEEEEEEEENSD_19counting_iterator_tIlEES8_S8_S8_S8_S8_S8_S8_S8_EEEEPS9_S9_NSD_9__find_if7functorIS9_EEEE10hipError_tPvRmT1_T2_T3_mT4_P12ihipStream_tbEUlT_E1_NS1_11comp_targetILNS1_3genE9ELNS1_11target_archE1100ELNS1_3gpuE3ELNS1_3repE0EEENS1_30default_config_static_selectorELNS0_4arch9wavefront6targetE1EEEvS17_.private_seg_size, 0
	.set _ZN7rocprim17ROCPRIM_400000_NS6detail17trampoline_kernelINS0_14default_configENS1_22reduce_config_selectorIN6thrust23THRUST_200600_302600_NS5tupleIblNS6_9null_typeES8_S8_S8_S8_S8_S8_S8_EEEEZNS1_11reduce_implILb1ES3_NS6_12zip_iteratorINS7_INS6_11hip_rocprim26transform_input_iterator_tIbPsNS6_6detail10functional5actorINSH_9compositeIJNSH_27transparent_binary_operatorINS6_8equal_toIvEEEENSI_INSH_8argumentILj0EEEEENSH_5valueIsEEEEEEEEENSD_19counting_iterator_tIlEES8_S8_S8_S8_S8_S8_S8_S8_EEEEPS9_S9_NSD_9__find_if7functorIS9_EEEE10hipError_tPvRmT1_T2_T3_mT4_P12ihipStream_tbEUlT_E1_NS1_11comp_targetILNS1_3genE9ELNS1_11target_archE1100ELNS1_3gpuE3ELNS1_3repE0EEENS1_30default_config_static_selectorELNS0_4arch9wavefront6targetE1EEEvS17_.uses_vcc, 0
	.set _ZN7rocprim17ROCPRIM_400000_NS6detail17trampoline_kernelINS0_14default_configENS1_22reduce_config_selectorIN6thrust23THRUST_200600_302600_NS5tupleIblNS6_9null_typeES8_S8_S8_S8_S8_S8_S8_EEEEZNS1_11reduce_implILb1ES3_NS6_12zip_iteratorINS7_INS6_11hip_rocprim26transform_input_iterator_tIbPsNS6_6detail10functional5actorINSH_9compositeIJNSH_27transparent_binary_operatorINS6_8equal_toIvEEEENSI_INSH_8argumentILj0EEEEENSH_5valueIsEEEEEEEEENSD_19counting_iterator_tIlEES8_S8_S8_S8_S8_S8_S8_S8_EEEEPS9_S9_NSD_9__find_if7functorIS9_EEEE10hipError_tPvRmT1_T2_T3_mT4_P12ihipStream_tbEUlT_E1_NS1_11comp_targetILNS1_3genE9ELNS1_11target_archE1100ELNS1_3gpuE3ELNS1_3repE0EEENS1_30default_config_static_selectorELNS0_4arch9wavefront6targetE1EEEvS17_.uses_flat_scratch, 0
	.set _ZN7rocprim17ROCPRIM_400000_NS6detail17trampoline_kernelINS0_14default_configENS1_22reduce_config_selectorIN6thrust23THRUST_200600_302600_NS5tupleIblNS6_9null_typeES8_S8_S8_S8_S8_S8_S8_EEEEZNS1_11reduce_implILb1ES3_NS6_12zip_iteratorINS7_INS6_11hip_rocprim26transform_input_iterator_tIbPsNS6_6detail10functional5actorINSH_9compositeIJNSH_27transparent_binary_operatorINS6_8equal_toIvEEEENSI_INSH_8argumentILj0EEEEENSH_5valueIsEEEEEEEEENSD_19counting_iterator_tIlEES8_S8_S8_S8_S8_S8_S8_S8_EEEEPS9_S9_NSD_9__find_if7functorIS9_EEEE10hipError_tPvRmT1_T2_T3_mT4_P12ihipStream_tbEUlT_E1_NS1_11comp_targetILNS1_3genE9ELNS1_11target_archE1100ELNS1_3gpuE3ELNS1_3repE0EEENS1_30default_config_static_selectorELNS0_4arch9wavefront6targetE1EEEvS17_.has_dyn_sized_stack, 0
	.set _ZN7rocprim17ROCPRIM_400000_NS6detail17trampoline_kernelINS0_14default_configENS1_22reduce_config_selectorIN6thrust23THRUST_200600_302600_NS5tupleIblNS6_9null_typeES8_S8_S8_S8_S8_S8_S8_EEEEZNS1_11reduce_implILb1ES3_NS6_12zip_iteratorINS7_INS6_11hip_rocprim26transform_input_iterator_tIbPsNS6_6detail10functional5actorINSH_9compositeIJNSH_27transparent_binary_operatorINS6_8equal_toIvEEEENSI_INSH_8argumentILj0EEEEENSH_5valueIsEEEEEEEEENSD_19counting_iterator_tIlEES8_S8_S8_S8_S8_S8_S8_S8_EEEEPS9_S9_NSD_9__find_if7functorIS9_EEEE10hipError_tPvRmT1_T2_T3_mT4_P12ihipStream_tbEUlT_E1_NS1_11comp_targetILNS1_3genE9ELNS1_11target_archE1100ELNS1_3gpuE3ELNS1_3repE0EEENS1_30default_config_static_selectorELNS0_4arch9wavefront6targetE1EEEvS17_.has_recursion, 0
	.set _ZN7rocprim17ROCPRIM_400000_NS6detail17trampoline_kernelINS0_14default_configENS1_22reduce_config_selectorIN6thrust23THRUST_200600_302600_NS5tupleIblNS6_9null_typeES8_S8_S8_S8_S8_S8_S8_EEEEZNS1_11reduce_implILb1ES3_NS6_12zip_iteratorINS7_INS6_11hip_rocprim26transform_input_iterator_tIbPsNS6_6detail10functional5actorINSH_9compositeIJNSH_27transparent_binary_operatorINS6_8equal_toIvEEEENSI_INSH_8argumentILj0EEEEENSH_5valueIsEEEEEEEEENSD_19counting_iterator_tIlEES8_S8_S8_S8_S8_S8_S8_S8_EEEEPS9_S9_NSD_9__find_if7functorIS9_EEEE10hipError_tPvRmT1_T2_T3_mT4_P12ihipStream_tbEUlT_E1_NS1_11comp_targetILNS1_3genE9ELNS1_11target_archE1100ELNS1_3gpuE3ELNS1_3repE0EEENS1_30default_config_static_selectorELNS0_4arch9wavefront6targetE1EEEvS17_.has_indirect_call, 0
	.section	.AMDGPU.csdata,"",@progbits
; Kernel info:
; codeLenInByte = 0
; TotalNumSgprs: 4
; NumVgprs: 0
; ScratchSize: 0
; MemoryBound: 0
; FloatMode: 240
; IeeeMode: 1
; LDSByteSize: 0 bytes/workgroup (compile time only)
; SGPRBlocks: 0
; VGPRBlocks: 0
; NumSGPRsForWavesPerEU: 4
; NumVGPRsForWavesPerEU: 1
; Occupancy: 10
; WaveLimiterHint : 0
; COMPUTE_PGM_RSRC2:SCRATCH_EN: 0
; COMPUTE_PGM_RSRC2:USER_SGPR: 6
; COMPUTE_PGM_RSRC2:TRAP_HANDLER: 0
; COMPUTE_PGM_RSRC2:TGID_X_EN: 1
; COMPUTE_PGM_RSRC2:TGID_Y_EN: 0
; COMPUTE_PGM_RSRC2:TGID_Z_EN: 0
; COMPUTE_PGM_RSRC2:TIDIG_COMP_CNT: 0
	.section	.text._ZN7rocprim17ROCPRIM_400000_NS6detail17trampoline_kernelINS0_14default_configENS1_22reduce_config_selectorIN6thrust23THRUST_200600_302600_NS5tupleIblNS6_9null_typeES8_S8_S8_S8_S8_S8_S8_EEEEZNS1_11reduce_implILb1ES3_NS6_12zip_iteratorINS7_INS6_11hip_rocprim26transform_input_iterator_tIbPsNS6_6detail10functional5actorINSH_9compositeIJNSH_27transparent_binary_operatorINS6_8equal_toIvEEEENSI_INSH_8argumentILj0EEEEENSH_5valueIsEEEEEEEEENSD_19counting_iterator_tIlEES8_S8_S8_S8_S8_S8_S8_S8_EEEEPS9_S9_NSD_9__find_if7functorIS9_EEEE10hipError_tPvRmT1_T2_T3_mT4_P12ihipStream_tbEUlT_E1_NS1_11comp_targetILNS1_3genE8ELNS1_11target_archE1030ELNS1_3gpuE2ELNS1_3repE0EEENS1_30default_config_static_selectorELNS0_4arch9wavefront6targetE1EEEvS17_,"axG",@progbits,_ZN7rocprim17ROCPRIM_400000_NS6detail17trampoline_kernelINS0_14default_configENS1_22reduce_config_selectorIN6thrust23THRUST_200600_302600_NS5tupleIblNS6_9null_typeES8_S8_S8_S8_S8_S8_S8_EEEEZNS1_11reduce_implILb1ES3_NS6_12zip_iteratorINS7_INS6_11hip_rocprim26transform_input_iterator_tIbPsNS6_6detail10functional5actorINSH_9compositeIJNSH_27transparent_binary_operatorINS6_8equal_toIvEEEENSI_INSH_8argumentILj0EEEEENSH_5valueIsEEEEEEEEENSD_19counting_iterator_tIlEES8_S8_S8_S8_S8_S8_S8_S8_EEEEPS9_S9_NSD_9__find_if7functorIS9_EEEE10hipError_tPvRmT1_T2_T3_mT4_P12ihipStream_tbEUlT_E1_NS1_11comp_targetILNS1_3genE8ELNS1_11target_archE1030ELNS1_3gpuE2ELNS1_3repE0EEENS1_30default_config_static_selectorELNS0_4arch9wavefront6targetE1EEEvS17_,comdat
	.protected	_ZN7rocprim17ROCPRIM_400000_NS6detail17trampoline_kernelINS0_14default_configENS1_22reduce_config_selectorIN6thrust23THRUST_200600_302600_NS5tupleIblNS6_9null_typeES8_S8_S8_S8_S8_S8_S8_EEEEZNS1_11reduce_implILb1ES3_NS6_12zip_iteratorINS7_INS6_11hip_rocprim26transform_input_iterator_tIbPsNS6_6detail10functional5actorINSH_9compositeIJNSH_27transparent_binary_operatorINS6_8equal_toIvEEEENSI_INSH_8argumentILj0EEEEENSH_5valueIsEEEEEEEEENSD_19counting_iterator_tIlEES8_S8_S8_S8_S8_S8_S8_S8_EEEEPS9_S9_NSD_9__find_if7functorIS9_EEEE10hipError_tPvRmT1_T2_T3_mT4_P12ihipStream_tbEUlT_E1_NS1_11comp_targetILNS1_3genE8ELNS1_11target_archE1030ELNS1_3gpuE2ELNS1_3repE0EEENS1_30default_config_static_selectorELNS0_4arch9wavefront6targetE1EEEvS17_ ; -- Begin function _ZN7rocprim17ROCPRIM_400000_NS6detail17trampoline_kernelINS0_14default_configENS1_22reduce_config_selectorIN6thrust23THRUST_200600_302600_NS5tupleIblNS6_9null_typeES8_S8_S8_S8_S8_S8_S8_EEEEZNS1_11reduce_implILb1ES3_NS6_12zip_iteratorINS7_INS6_11hip_rocprim26transform_input_iterator_tIbPsNS6_6detail10functional5actorINSH_9compositeIJNSH_27transparent_binary_operatorINS6_8equal_toIvEEEENSI_INSH_8argumentILj0EEEEENSH_5valueIsEEEEEEEEENSD_19counting_iterator_tIlEES8_S8_S8_S8_S8_S8_S8_S8_EEEEPS9_S9_NSD_9__find_if7functorIS9_EEEE10hipError_tPvRmT1_T2_T3_mT4_P12ihipStream_tbEUlT_E1_NS1_11comp_targetILNS1_3genE8ELNS1_11target_archE1030ELNS1_3gpuE2ELNS1_3repE0EEENS1_30default_config_static_selectorELNS0_4arch9wavefront6targetE1EEEvS17_
	.globl	_ZN7rocprim17ROCPRIM_400000_NS6detail17trampoline_kernelINS0_14default_configENS1_22reduce_config_selectorIN6thrust23THRUST_200600_302600_NS5tupleIblNS6_9null_typeES8_S8_S8_S8_S8_S8_S8_EEEEZNS1_11reduce_implILb1ES3_NS6_12zip_iteratorINS7_INS6_11hip_rocprim26transform_input_iterator_tIbPsNS6_6detail10functional5actorINSH_9compositeIJNSH_27transparent_binary_operatorINS6_8equal_toIvEEEENSI_INSH_8argumentILj0EEEEENSH_5valueIsEEEEEEEEENSD_19counting_iterator_tIlEES8_S8_S8_S8_S8_S8_S8_S8_EEEEPS9_S9_NSD_9__find_if7functorIS9_EEEE10hipError_tPvRmT1_T2_T3_mT4_P12ihipStream_tbEUlT_E1_NS1_11comp_targetILNS1_3genE8ELNS1_11target_archE1030ELNS1_3gpuE2ELNS1_3repE0EEENS1_30default_config_static_selectorELNS0_4arch9wavefront6targetE1EEEvS17_
	.p2align	8
	.type	_ZN7rocprim17ROCPRIM_400000_NS6detail17trampoline_kernelINS0_14default_configENS1_22reduce_config_selectorIN6thrust23THRUST_200600_302600_NS5tupleIblNS6_9null_typeES8_S8_S8_S8_S8_S8_S8_EEEEZNS1_11reduce_implILb1ES3_NS6_12zip_iteratorINS7_INS6_11hip_rocprim26transform_input_iterator_tIbPsNS6_6detail10functional5actorINSH_9compositeIJNSH_27transparent_binary_operatorINS6_8equal_toIvEEEENSI_INSH_8argumentILj0EEEEENSH_5valueIsEEEEEEEEENSD_19counting_iterator_tIlEES8_S8_S8_S8_S8_S8_S8_S8_EEEEPS9_S9_NSD_9__find_if7functorIS9_EEEE10hipError_tPvRmT1_T2_T3_mT4_P12ihipStream_tbEUlT_E1_NS1_11comp_targetILNS1_3genE8ELNS1_11target_archE1030ELNS1_3gpuE2ELNS1_3repE0EEENS1_30default_config_static_selectorELNS0_4arch9wavefront6targetE1EEEvS17_,@function
_ZN7rocprim17ROCPRIM_400000_NS6detail17trampoline_kernelINS0_14default_configENS1_22reduce_config_selectorIN6thrust23THRUST_200600_302600_NS5tupleIblNS6_9null_typeES8_S8_S8_S8_S8_S8_S8_EEEEZNS1_11reduce_implILb1ES3_NS6_12zip_iteratorINS7_INS6_11hip_rocprim26transform_input_iterator_tIbPsNS6_6detail10functional5actorINSH_9compositeIJNSH_27transparent_binary_operatorINS6_8equal_toIvEEEENSI_INSH_8argumentILj0EEEEENSH_5valueIsEEEEEEEEENSD_19counting_iterator_tIlEES8_S8_S8_S8_S8_S8_S8_S8_EEEEPS9_S9_NSD_9__find_if7functorIS9_EEEE10hipError_tPvRmT1_T2_T3_mT4_P12ihipStream_tbEUlT_E1_NS1_11comp_targetILNS1_3genE8ELNS1_11target_archE1030ELNS1_3gpuE2ELNS1_3repE0EEENS1_30default_config_static_selectorELNS0_4arch9wavefront6targetE1EEEvS17_: ; @_ZN7rocprim17ROCPRIM_400000_NS6detail17trampoline_kernelINS0_14default_configENS1_22reduce_config_selectorIN6thrust23THRUST_200600_302600_NS5tupleIblNS6_9null_typeES8_S8_S8_S8_S8_S8_S8_EEEEZNS1_11reduce_implILb1ES3_NS6_12zip_iteratorINS7_INS6_11hip_rocprim26transform_input_iterator_tIbPsNS6_6detail10functional5actorINSH_9compositeIJNSH_27transparent_binary_operatorINS6_8equal_toIvEEEENSI_INSH_8argumentILj0EEEEENSH_5valueIsEEEEEEEEENSD_19counting_iterator_tIlEES8_S8_S8_S8_S8_S8_S8_S8_EEEEPS9_S9_NSD_9__find_if7functorIS9_EEEE10hipError_tPvRmT1_T2_T3_mT4_P12ihipStream_tbEUlT_E1_NS1_11comp_targetILNS1_3genE8ELNS1_11target_archE1030ELNS1_3gpuE2ELNS1_3repE0EEENS1_30default_config_static_selectorELNS0_4arch9wavefront6targetE1EEEvS17_
; %bb.0:
	.section	.rodata,"a",@progbits
	.p2align	6, 0x0
	.amdhsa_kernel _ZN7rocprim17ROCPRIM_400000_NS6detail17trampoline_kernelINS0_14default_configENS1_22reduce_config_selectorIN6thrust23THRUST_200600_302600_NS5tupleIblNS6_9null_typeES8_S8_S8_S8_S8_S8_S8_EEEEZNS1_11reduce_implILb1ES3_NS6_12zip_iteratorINS7_INS6_11hip_rocprim26transform_input_iterator_tIbPsNS6_6detail10functional5actorINSH_9compositeIJNSH_27transparent_binary_operatorINS6_8equal_toIvEEEENSI_INSH_8argumentILj0EEEEENSH_5valueIsEEEEEEEEENSD_19counting_iterator_tIlEES8_S8_S8_S8_S8_S8_S8_S8_EEEEPS9_S9_NSD_9__find_if7functorIS9_EEEE10hipError_tPvRmT1_T2_T3_mT4_P12ihipStream_tbEUlT_E1_NS1_11comp_targetILNS1_3genE8ELNS1_11target_archE1030ELNS1_3gpuE2ELNS1_3repE0EEENS1_30default_config_static_selectorELNS0_4arch9wavefront6targetE1EEEvS17_
		.amdhsa_group_segment_fixed_size 0
		.amdhsa_private_segment_fixed_size 0
		.amdhsa_kernarg_size 72
		.amdhsa_user_sgpr_count 6
		.amdhsa_user_sgpr_private_segment_buffer 1
		.amdhsa_user_sgpr_dispatch_ptr 0
		.amdhsa_user_sgpr_queue_ptr 0
		.amdhsa_user_sgpr_kernarg_segment_ptr 1
		.amdhsa_user_sgpr_dispatch_id 0
		.amdhsa_user_sgpr_flat_scratch_init 0
		.amdhsa_user_sgpr_private_segment_size 0
		.amdhsa_uses_dynamic_stack 0
		.amdhsa_system_sgpr_private_segment_wavefront_offset 0
		.amdhsa_system_sgpr_workgroup_id_x 1
		.amdhsa_system_sgpr_workgroup_id_y 0
		.amdhsa_system_sgpr_workgroup_id_z 0
		.amdhsa_system_sgpr_workgroup_info 0
		.amdhsa_system_vgpr_workitem_id 0
		.amdhsa_next_free_vgpr 1
		.amdhsa_next_free_sgpr 0
		.amdhsa_reserve_vcc 0
		.amdhsa_reserve_flat_scratch 0
		.amdhsa_float_round_mode_32 0
		.amdhsa_float_round_mode_16_64 0
		.amdhsa_float_denorm_mode_32 3
		.amdhsa_float_denorm_mode_16_64 3
		.amdhsa_dx10_clamp 1
		.amdhsa_ieee_mode 1
		.amdhsa_fp16_overflow 0
		.amdhsa_exception_fp_ieee_invalid_op 0
		.amdhsa_exception_fp_denorm_src 0
		.amdhsa_exception_fp_ieee_div_zero 0
		.amdhsa_exception_fp_ieee_overflow 0
		.amdhsa_exception_fp_ieee_underflow 0
		.amdhsa_exception_fp_ieee_inexact 0
		.amdhsa_exception_int_div_zero 0
	.end_amdhsa_kernel
	.section	.text._ZN7rocprim17ROCPRIM_400000_NS6detail17trampoline_kernelINS0_14default_configENS1_22reduce_config_selectorIN6thrust23THRUST_200600_302600_NS5tupleIblNS6_9null_typeES8_S8_S8_S8_S8_S8_S8_EEEEZNS1_11reduce_implILb1ES3_NS6_12zip_iteratorINS7_INS6_11hip_rocprim26transform_input_iterator_tIbPsNS6_6detail10functional5actorINSH_9compositeIJNSH_27transparent_binary_operatorINS6_8equal_toIvEEEENSI_INSH_8argumentILj0EEEEENSH_5valueIsEEEEEEEEENSD_19counting_iterator_tIlEES8_S8_S8_S8_S8_S8_S8_S8_EEEEPS9_S9_NSD_9__find_if7functorIS9_EEEE10hipError_tPvRmT1_T2_T3_mT4_P12ihipStream_tbEUlT_E1_NS1_11comp_targetILNS1_3genE8ELNS1_11target_archE1030ELNS1_3gpuE2ELNS1_3repE0EEENS1_30default_config_static_selectorELNS0_4arch9wavefront6targetE1EEEvS17_,"axG",@progbits,_ZN7rocprim17ROCPRIM_400000_NS6detail17trampoline_kernelINS0_14default_configENS1_22reduce_config_selectorIN6thrust23THRUST_200600_302600_NS5tupleIblNS6_9null_typeES8_S8_S8_S8_S8_S8_S8_EEEEZNS1_11reduce_implILb1ES3_NS6_12zip_iteratorINS7_INS6_11hip_rocprim26transform_input_iterator_tIbPsNS6_6detail10functional5actorINSH_9compositeIJNSH_27transparent_binary_operatorINS6_8equal_toIvEEEENSI_INSH_8argumentILj0EEEEENSH_5valueIsEEEEEEEEENSD_19counting_iterator_tIlEES8_S8_S8_S8_S8_S8_S8_S8_EEEEPS9_S9_NSD_9__find_if7functorIS9_EEEE10hipError_tPvRmT1_T2_T3_mT4_P12ihipStream_tbEUlT_E1_NS1_11comp_targetILNS1_3genE8ELNS1_11target_archE1030ELNS1_3gpuE2ELNS1_3repE0EEENS1_30default_config_static_selectorELNS0_4arch9wavefront6targetE1EEEvS17_,comdat
.Lfunc_end1523:
	.size	_ZN7rocprim17ROCPRIM_400000_NS6detail17trampoline_kernelINS0_14default_configENS1_22reduce_config_selectorIN6thrust23THRUST_200600_302600_NS5tupleIblNS6_9null_typeES8_S8_S8_S8_S8_S8_S8_EEEEZNS1_11reduce_implILb1ES3_NS6_12zip_iteratorINS7_INS6_11hip_rocprim26transform_input_iterator_tIbPsNS6_6detail10functional5actorINSH_9compositeIJNSH_27transparent_binary_operatorINS6_8equal_toIvEEEENSI_INSH_8argumentILj0EEEEENSH_5valueIsEEEEEEEEENSD_19counting_iterator_tIlEES8_S8_S8_S8_S8_S8_S8_S8_EEEEPS9_S9_NSD_9__find_if7functorIS9_EEEE10hipError_tPvRmT1_T2_T3_mT4_P12ihipStream_tbEUlT_E1_NS1_11comp_targetILNS1_3genE8ELNS1_11target_archE1030ELNS1_3gpuE2ELNS1_3repE0EEENS1_30default_config_static_selectorELNS0_4arch9wavefront6targetE1EEEvS17_, .Lfunc_end1523-_ZN7rocprim17ROCPRIM_400000_NS6detail17trampoline_kernelINS0_14default_configENS1_22reduce_config_selectorIN6thrust23THRUST_200600_302600_NS5tupleIblNS6_9null_typeES8_S8_S8_S8_S8_S8_S8_EEEEZNS1_11reduce_implILb1ES3_NS6_12zip_iteratorINS7_INS6_11hip_rocprim26transform_input_iterator_tIbPsNS6_6detail10functional5actorINSH_9compositeIJNSH_27transparent_binary_operatorINS6_8equal_toIvEEEENSI_INSH_8argumentILj0EEEEENSH_5valueIsEEEEEEEEENSD_19counting_iterator_tIlEES8_S8_S8_S8_S8_S8_S8_S8_EEEEPS9_S9_NSD_9__find_if7functorIS9_EEEE10hipError_tPvRmT1_T2_T3_mT4_P12ihipStream_tbEUlT_E1_NS1_11comp_targetILNS1_3genE8ELNS1_11target_archE1030ELNS1_3gpuE2ELNS1_3repE0EEENS1_30default_config_static_selectorELNS0_4arch9wavefront6targetE1EEEvS17_
                                        ; -- End function
	.set _ZN7rocprim17ROCPRIM_400000_NS6detail17trampoline_kernelINS0_14default_configENS1_22reduce_config_selectorIN6thrust23THRUST_200600_302600_NS5tupleIblNS6_9null_typeES8_S8_S8_S8_S8_S8_S8_EEEEZNS1_11reduce_implILb1ES3_NS6_12zip_iteratorINS7_INS6_11hip_rocprim26transform_input_iterator_tIbPsNS6_6detail10functional5actorINSH_9compositeIJNSH_27transparent_binary_operatorINS6_8equal_toIvEEEENSI_INSH_8argumentILj0EEEEENSH_5valueIsEEEEEEEEENSD_19counting_iterator_tIlEES8_S8_S8_S8_S8_S8_S8_S8_EEEEPS9_S9_NSD_9__find_if7functorIS9_EEEE10hipError_tPvRmT1_T2_T3_mT4_P12ihipStream_tbEUlT_E1_NS1_11comp_targetILNS1_3genE8ELNS1_11target_archE1030ELNS1_3gpuE2ELNS1_3repE0EEENS1_30default_config_static_selectorELNS0_4arch9wavefront6targetE1EEEvS17_.num_vgpr, 0
	.set _ZN7rocprim17ROCPRIM_400000_NS6detail17trampoline_kernelINS0_14default_configENS1_22reduce_config_selectorIN6thrust23THRUST_200600_302600_NS5tupleIblNS6_9null_typeES8_S8_S8_S8_S8_S8_S8_EEEEZNS1_11reduce_implILb1ES3_NS6_12zip_iteratorINS7_INS6_11hip_rocprim26transform_input_iterator_tIbPsNS6_6detail10functional5actorINSH_9compositeIJNSH_27transparent_binary_operatorINS6_8equal_toIvEEEENSI_INSH_8argumentILj0EEEEENSH_5valueIsEEEEEEEEENSD_19counting_iterator_tIlEES8_S8_S8_S8_S8_S8_S8_S8_EEEEPS9_S9_NSD_9__find_if7functorIS9_EEEE10hipError_tPvRmT1_T2_T3_mT4_P12ihipStream_tbEUlT_E1_NS1_11comp_targetILNS1_3genE8ELNS1_11target_archE1030ELNS1_3gpuE2ELNS1_3repE0EEENS1_30default_config_static_selectorELNS0_4arch9wavefront6targetE1EEEvS17_.num_agpr, 0
	.set _ZN7rocprim17ROCPRIM_400000_NS6detail17trampoline_kernelINS0_14default_configENS1_22reduce_config_selectorIN6thrust23THRUST_200600_302600_NS5tupleIblNS6_9null_typeES8_S8_S8_S8_S8_S8_S8_EEEEZNS1_11reduce_implILb1ES3_NS6_12zip_iteratorINS7_INS6_11hip_rocprim26transform_input_iterator_tIbPsNS6_6detail10functional5actorINSH_9compositeIJNSH_27transparent_binary_operatorINS6_8equal_toIvEEEENSI_INSH_8argumentILj0EEEEENSH_5valueIsEEEEEEEEENSD_19counting_iterator_tIlEES8_S8_S8_S8_S8_S8_S8_S8_EEEEPS9_S9_NSD_9__find_if7functorIS9_EEEE10hipError_tPvRmT1_T2_T3_mT4_P12ihipStream_tbEUlT_E1_NS1_11comp_targetILNS1_3genE8ELNS1_11target_archE1030ELNS1_3gpuE2ELNS1_3repE0EEENS1_30default_config_static_selectorELNS0_4arch9wavefront6targetE1EEEvS17_.numbered_sgpr, 0
	.set _ZN7rocprim17ROCPRIM_400000_NS6detail17trampoline_kernelINS0_14default_configENS1_22reduce_config_selectorIN6thrust23THRUST_200600_302600_NS5tupleIblNS6_9null_typeES8_S8_S8_S8_S8_S8_S8_EEEEZNS1_11reduce_implILb1ES3_NS6_12zip_iteratorINS7_INS6_11hip_rocprim26transform_input_iterator_tIbPsNS6_6detail10functional5actorINSH_9compositeIJNSH_27transparent_binary_operatorINS6_8equal_toIvEEEENSI_INSH_8argumentILj0EEEEENSH_5valueIsEEEEEEEEENSD_19counting_iterator_tIlEES8_S8_S8_S8_S8_S8_S8_S8_EEEEPS9_S9_NSD_9__find_if7functorIS9_EEEE10hipError_tPvRmT1_T2_T3_mT4_P12ihipStream_tbEUlT_E1_NS1_11comp_targetILNS1_3genE8ELNS1_11target_archE1030ELNS1_3gpuE2ELNS1_3repE0EEENS1_30default_config_static_selectorELNS0_4arch9wavefront6targetE1EEEvS17_.num_named_barrier, 0
	.set _ZN7rocprim17ROCPRIM_400000_NS6detail17trampoline_kernelINS0_14default_configENS1_22reduce_config_selectorIN6thrust23THRUST_200600_302600_NS5tupleIblNS6_9null_typeES8_S8_S8_S8_S8_S8_S8_EEEEZNS1_11reduce_implILb1ES3_NS6_12zip_iteratorINS7_INS6_11hip_rocprim26transform_input_iterator_tIbPsNS6_6detail10functional5actorINSH_9compositeIJNSH_27transparent_binary_operatorINS6_8equal_toIvEEEENSI_INSH_8argumentILj0EEEEENSH_5valueIsEEEEEEEEENSD_19counting_iterator_tIlEES8_S8_S8_S8_S8_S8_S8_S8_EEEEPS9_S9_NSD_9__find_if7functorIS9_EEEE10hipError_tPvRmT1_T2_T3_mT4_P12ihipStream_tbEUlT_E1_NS1_11comp_targetILNS1_3genE8ELNS1_11target_archE1030ELNS1_3gpuE2ELNS1_3repE0EEENS1_30default_config_static_selectorELNS0_4arch9wavefront6targetE1EEEvS17_.private_seg_size, 0
	.set _ZN7rocprim17ROCPRIM_400000_NS6detail17trampoline_kernelINS0_14default_configENS1_22reduce_config_selectorIN6thrust23THRUST_200600_302600_NS5tupleIblNS6_9null_typeES8_S8_S8_S8_S8_S8_S8_EEEEZNS1_11reduce_implILb1ES3_NS6_12zip_iteratorINS7_INS6_11hip_rocprim26transform_input_iterator_tIbPsNS6_6detail10functional5actorINSH_9compositeIJNSH_27transparent_binary_operatorINS6_8equal_toIvEEEENSI_INSH_8argumentILj0EEEEENSH_5valueIsEEEEEEEEENSD_19counting_iterator_tIlEES8_S8_S8_S8_S8_S8_S8_S8_EEEEPS9_S9_NSD_9__find_if7functorIS9_EEEE10hipError_tPvRmT1_T2_T3_mT4_P12ihipStream_tbEUlT_E1_NS1_11comp_targetILNS1_3genE8ELNS1_11target_archE1030ELNS1_3gpuE2ELNS1_3repE0EEENS1_30default_config_static_selectorELNS0_4arch9wavefront6targetE1EEEvS17_.uses_vcc, 0
	.set _ZN7rocprim17ROCPRIM_400000_NS6detail17trampoline_kernelINS0_14default_configENS1_22reduce_config_selectorIN6thrust23THRUST_200600_302600_NS5tupleIblNS6_9null_typeES8_S8_S8_S8_S8_S8_S8_EEEEZNS1_11reduce_implILb1ES3_NS6_12zip_iteratorINS7_INS6_11hip_rocprim26transform_input_iterator_tIbPsNS6_6detail10functional5actorINSH_9compositeIJNSH_27transparent_binary_operatorINS6_8equal_toIvEEEENSI_INSH_8argumentILj0EEEEENSH_5valueIsEEEEEEEEENSD_19counting_iterator_tIlEES8_S8_S8_S8_S8_S8_S8_S8_EEEEPS9_S9_NSD_9__find_if7functorIS9_EEEE10hipError_tPvRmT1_T2_T3_mT4_P12ihipStream_tbEUlT_E1_NS1_11comp_targetILNS1_3genE8ELNS1_11target_archE1030ELNS1_3gpuE2ELNS1_3repE0EEENS1_30default_config_static_selectorELNS0_4arch9wavefront6targetE1EEEvS17_.uses_flat_scratch, 0
	.set _ZN7rocprim17ROCPRIM_400000_NS6detail17trampoline_kernelINS0_14default_configENS1_22reduce_config_selectorIN6thrust23THRUST_200600_302600_NS5tupleIblNS6_9null_typeES8_S8_S8_S8_S8_S8_S8_EEEEZNS1_11reduce_implILb1ES3_NS6_12zip_iteratorINS7_INS6_11hip_rocprim26transform_input_iterator_tIbPsNS6_6detail10functional5actorINSH_9compositeIJNSH_27transparent_binary_operatorINS6_8equal_toIvEEEENSI_INSH_8argumentILj0EEEEENSH_5valueIsEEEEEEEEENSD_19counting_iterator_tIlEES8_S8_S8_S8_S8_S8_S8_S8_EEEEPS9_S9_NSD_9__find_if7functorIS9_EEEE10hipError_tPvRmT1_T2_T3_mT4_P12ihipStream_tbEUlT_E1_NS1_11comp_targetILNS1_3genE8ELNS1_11target_archE1030ELNS1_3gpuE2ELNS1_3repE0EEENS1_30default_config_static_selectorELNS0_4arch9wavefront6targetE1EEEvS17_.has_dyn_sized_stack, 0
	.set _ZN7rocprim17ROCPRIM_400000_NS6detail17trampoline_kernelINS0_14default_configENS1_22reduce_config_selectorIN6thrust23THRUST_200600_302600_NS5tupleIblNS6_9null_typeES8_S8_S8_S8_S8_S8_S8_EEEEZNS1_11reduce_implILb1ES3_NS6_12zip_iteratorINS7_INS6_11hip_rocprim26transform_input_iterator_tIbPsNS6_6detail10functional5actorINSH_9compositeIJNSH_27transparent_binary_operatorINS6_8equal_toIvEEEENSI_INSH_8argumentILj0EEEEENSH_5valueIsEEEEEEEEENSD_19counting_iterator_tIlEES8_S8_S8_S8_S8_S8_S8_S8_EEEEPS9_S9_NSD_9__find_if7functorIS9_EEEE10hipError_tPvRmT1_T2_T3_mT4_P12ihipStream_tbEUlT_E1_NS1_11comp_targetILNS1_3genE8ELNS1_11target_archE1030ELNS1_3gpuE2ELNS1_3repE0EEENS1_30default_config_static_selectorELNS0_4arch9wavefront6targetE1EEEvS17_.has_recursion, 0
	.set _ZN7rocprim17ROCPRIM_400000_NS6detail17trampoline_kernelINS0_14default_configENS1_22reduce_config_selectorIN6thrust23THRUST_200600_302600_NS5tupleIblNS6_9null_typeES8_S8_S8_S8_S8_S8_S8_EEEEZNS1_11reduce_implILb1ES3_NS6_12zip_iteratorINS7_INS6_11hip_rocprim26transform_input_iterator_tIbPsNS6_6detail10functional5actorINSH_9compositeIJNSH_27transparent_binary_operatorINS6_8equal_toIvEEEENSI_INSH_8argumentILj0EEEEENSH_5valueIsEEEEEEEEENSD_19counting_iterator_tIlEES8_S8_S8_S8_S8_S8_S8_S8_EEEEPS9_S9_NSD_9__find_if7functorIS9_EEEE10hipError_tPvRmT1_T2_T3_mT4_P12ihipStream_tbEUlT_E1_NS1_11comp_targetILNS1_3genE8ELNS1_11target_archE1030ELNS1_3gpuE2ELNS1_3repE0EEENS1_30default_config_static_selectorELNS0_4arch9wavefront6targetE1EEEvS17_.has_indirect_call, 0
	.section	.AMDGPU.csdata,"",@progbits
; Kernel info:
; codeLenInByte = 0
; TotalNumSgprs: 4
; NumVgprs: 0
; ScratchSize: 0
; MemoryBound: 0
; FloatMode: 240
; IeeeMode: 1
; LDSByteSize: 0 bytes/workgroup (compile time only)
; SGPRBlocks: 0
; VGPRBlocks: 0
; NumSGPRsForWavesPerEU: 4
; NumVGPRsForWavesPerEU: 1
; Occupancy: 10
; WaveLimiterHint : 0
; COMPUTE_PGM_RSRC2:SCRATCH_EN: 0
; COMPUTE_PGM_RSRC2:USER_SGPR: 6
; COMPUTE_PGM_RSRC2:TRAP_HANDLER: 0
; COMPUTE_PGM_RSRC2:TGID_X_EN: 1
; COMPUTE_PGM_RSRC2:TGID_Y_EN: 0
; COMPUTE_PGM_RSRC2:TGID_Z_EN: 0
; COMPUTE_PGM_RSRC2:TIDIG_COMP_CNT: 0
	.section	.text._ZN7rocprim17ROCPRIM_400000_NS6detail17trampoline_kernelINS0_13kernel_configILj256ELj4ELj4294967295EEENS1_37radix_sort_block_sort_config_selectorIdlEEZNS1_21radix_sort_block_sortIS4_Lb0EPdS8_N6thrust23THRUST_200600_302600_NS10device_ptrIlEESC_NS0_19identity_decomposerEEE10hipError_tT1_T2_T3_T4_jRjT5_jjP12ihipStream_tbEUlT_E_NS1_11comp_targetILNS1_3genE0ELNS1_11target_archE4294967295ELNS1_3gpuE0ELNS1_3repE0EEENS1_44radix_sort_block_sort_config_static_selectorELNS0_4arch9wavefront6targetE1EEEvSF_,"axG",@progbits,_ZN7rocprim17ROCPRIM_400000_NS6detail17trampoline_kernelINS0_13kernel_configILj256ELj4ELj4294967295EEENS1_37radix_sort_block_sort_config_selectorIdlEEZNS1_21radix_sort_block_sortIS4_Lb0EPdS8_N6thrust23THRUST_200600_302600_NS10device_ptrIlEESC_NS0_19identity_decomposerEEE10hipError_tT1_T2_T3_T4_jRjT5_jjP12ihipStream_tbEUlT_E_NS1_11comp_targetILNS1_3genE0ELNS1_11target_archE4294967295ELNS1_3gpuE0ELNS1_3repE0EEENS1_44radix_sort_block_sort_config_static_selectorELNS0_4arch9wavefront6targetE1EEEvSF_,comdat
	.protected	_ZN7rocprim17ROCPRIM_400000_NS6detail17trampoline_kernelINS0_13kernel_configILj256ELj4ELj4294967295EEENS1_37radix_sort_block_sort_config_selectorIdlEEZNS1_21radix_sort_block_sortIS4_Lb0EPdS8_N6thrust23THRUST_200600_302600_NS10device_ptrIlEESC_NS0_19identity_decomposerEEE10hipError_tT1_T2_T3_T4_jRjT5_jjP12ihipStream_tbEUlT_E_NS1_11comp_targetILNS1_3genE0ELNS1_11target_archE4294967295ELNS1_3gpuE0ELNS1_3repE0EEENS1_44radix_sort_block_sort_config_static_selectorELNS0_4arch9wavefront6targetE1EEEvSF_ ; -- Begin function _ZN7rocprim17ROCPRIM_400000_NS6detail17trampoline_kernelINS0_13kernel_configILj256ELj4ELj4294967295EEENS1_37radix_sort_block_sort_config_selectorIdlEEZNS1_21radix_sort_block_sortIS4_Lb0EPdS8_N6thrust23THRUST_200600_302600_NS10device_ptrIlEESC_NS0_19identity_decomposerEEE10hipError_tT1_T2_T3_T4_jRjT5_jjP12ihipStream_tbEUlT_E_NS1_11comp_targetILNS1_3genE0ELNS1_11target_archE4294967295ELNS1_3gpuE0ELNS1_3repE0EEENS1_44radix_sort_block_sort_config_static_selectorELNS0_4arch9wavefront6targetE1EEEvSF_
	.globl	_ZN7rocprim17ROCPRIM_400000_NS6detail17trampoline_kernelINS0_13kernel_configILj256ELj4ELj4294967295EEENS1_37radix_sort_block_sort_config_selectorIdlEEZNS1_21radix_sort_block_sortIS4_Lb0EPdS8_N6thrust23THRUST_200600_302600_NS10device_ptrIlEESC_NS0_19identity_decomposerEEE10hipError_tT1_T2_T3_T4_jRjT5_jjP12ihipStream_tbEUlT_E_NS1_11comp_targetILNS1_3genE0ELNS1_11target_archE4294967295ELNS1_3gpuE0ELNS1_3repE0EEENS1_44radix_sort_block_sort_config_static_selectorELNS0_4arch9wavefront6targetE1EEEvSF_
	.p2align	8
	.type	_ZN7rocprim17ROCPRIM_400000_NS6detail17trampoline_kernelINS0_13kernel_configILj256ELj4ELj4294967295EEENS1_37radix_sort_block_sort_config_selectorIdlEEZNS1_21radix_sort_block_sortIS4_Lb0EPdS8_N6thrust23THRUST_200600_302600_NS10device_ptrIlEESC_NS0_19identity_decomposerEEE10hipError_tT1_T2_T3_T4_jRjT5_jjP12ihipStream_tbEUlT_E_NS1_11comp_targetILNS1_3genE0ELNS1_11target_archE4294967295ELNS1_3gpuE0ELNS1_3repE0EEENS1_44radix_sort_block_sort_config_static_selectorELNS0_4arch9wavefront6targetE1EEEvSF_,@function
_ZN7rocprim17ROCPRIM_400000_NS6detail17trampoline_kernelINS0_13kernel_configILj256ELj4ELj4294967295EEENS1_37radix_sort_block_sort_config_selectorIdlEEZNS1_21radix_sort_block_sortIS4_Lb0EPdS8_N6thrust23THRUST_200600_302600_NS10device_ptrIlEESC_NS0_19identity_decomposerEEE10hipError_tT1_T2_T3_T4_jRjT5_jjP12ihipStream_tbEUlT_E_NS1_11comp_targetILNS1_3genE0ELNS1_11target_archE4294967295ELNS1_3gpuE0ELNS1_3repE0EEENS1_44radix_sort_block_sort_config_static_selectorELNS0_4arch9wavefront6targetE1EEEvSF_: ; @_ZN7rocprim17ROCPRIM_400000_NS6detail17trampoline_kernelINS0_13kernel_configILj256ELj4ELj4294967295EEENS1_37radix_sort_block_sort_config_selectorIdlEEZNS1_21radix_sort_block_sortIS4_Lb0EPdS8_N6thrust23THRUST_200600_302600_NS10device_ptrIlEESC_NS0_19identity_decomposerEEE10hipError_tT1_T2_T3_T4_jRjT5_jjP12ihipStream_tbEUlT_E_NS1_11comp_targetILNS1_3genE0ELNS1_11target_archE4294967295ELNS1_3gpuE0ELNS1_3repE0EEENS1_44radix_sort_block_sort_config_static_selectorELNS0_4arch9wavefront6targetE1EEEvSF_
; %bb.0:
	.section	.rodata,"a",@progbits
	.p2align	6, 0x0
	.amdhsa_kernel _ZN7rocprim17ROCPRIM_400000_NS6detail17trampoline_kernelINS0_13kernel_configILj256ELj4ELj4294967295EEENS1_37radix_sort_block_sort_config_selectorIdlEEZNS1_21radix_sort_block_sortIS4_Lb0EPdS8_N6thrust23THRUST_200600_302600_NS10device_ptrIlEESC_NS0_19identity_decomposerEEE10hipError_tT1_T2_T3_T4_jRjT5_jjP12ihipStream_tbEUlT_E_NS1_11comp_targetILNS1_3genE0ELNS1_11target_archE4294967295ELNS1_3gpuE0ELNS1_3repE0EEENS1_44radix_sort_block_sort_config_static_selectorELNS0_4arch9wavefront6targetE1EEEvSF_
		.amdhsa_group_segment_fixed_size 0
		.amdhsa_private_segment_fixed_size 0
		.amdhsa_kernarg_size 48
		.amdhsa_user_sgpr_count 6
		.amdhsa_user_sgpr_private_segment_buffer 1
		.amdhsa_user_sgpr_dispatch_ptr 0
		.amdhsa_user_sgpr_queue_ptr 0
		.amdhsa_user_sgpr_kernarg_segment_ptr 1
		.amdhsa_user_sgpr_dispatch_id 0
		.amdhsa_user_sgpr_flat_scratch_init 0
		.amdhsa_user_sgpr_private_segment_size 0
		.amdhsa_uses_dynamic_stack 0
		.amdhsa_system_sgpr_private_segment_wavefront_offset 0
		.amdhsa_system_sgpr_workgroup_id_x 1
		.amdhsa_system_sgpr_workgroup_id_y 0
		.amdhsa_system_sgpr_workgroup_id_z 0
		.amdhsa_system_sgpr_workgroup_info 0
		.amdhsa_system_vgpr_workitem_id 0
		.amdhsa_next_free_vgpr 1
		.amdhsa_next_free_sgpr 0
		.amdhsa_reserve_vcc 0
		.amdhsa_reserve_flat_scratch 0
		.amdhsa_float_round_mode_32 0
		.amdhsa_float_round_mode_16_64 0
		.amdhsa_float_denorm_mode_32 3
		.amdhsa_float_denorm_mode_16_64 3
		.amdhsa_dx10_clamp 1
		.amdhsa_ieee_mode 1
		.amdhsa_fp16_overflow 0
		.amdhsa_exception_fp_ieee_invalid_op 0
		.amdhsa_exception_fp_denorm_src 0
		.amdhsa_exception_fp_ieee_div_zero 0
		.amdhsa_exception_fp_ieee_overflow 0
		.amdhsa_exception_fp_ieee_underflow 0
		.amdhsa_exception_fp_ieee_inexact 0
		.amdhsa_exception_int_div_zero 0
	.end_amdhsa_kernel
	.section	.text._ZN7rocprim17ROCPRIM_400000_NS6detail17trampoline_kernelINS0_13kernel_configILj256ELj4ELj4294967295EEENS1_37radix_sort_block_sort_config_selectorIdlEEZNS1_21radix_sort_block_sortIS4_Lb0EPdS8_N6thrust23THRUST_200600_302600_NS10device_ptrIlEESC_NS0_19identity_decomposerEEE10hipError_tT1_T2_T3_T4_jRjT5_jjP12ihipStream_tbEUlT_E_NS1_11comp_targetILNS1_3genE0ELNS1_11target_archE4294967295ELNS1_3gpuE0ELNS1_3repE0EEENS1_44radix_sort_block_sort_config_static_selectorELNS0_4arch9wavefront6targetE1EEEvSF_,"axG",@progbits,_ZN7rocprim17ROCPRIM_400000_NS6detail17trampoline_kernelINS0_13kernel_configILj256ELj4ELj4294967295EEENS1_37radix_sort_block_sort_config_selectorIdlEEZNS1_21radix_sort_block_sortIS4_Lb0EPdS8_N6thrust23THRUST_200600_302600_NS10device_ptrIlEESC_NS0_19identity_decomposerEEE10hipError_tT1_T2_T3_T4_jRjT5_jjP12ihipStream_tbEUlT_E_NS1_11comp_targetILNS1_3genE0ELNS1_11target_archE4294967295ELNS1_3gpuE0ELNS1_3repE0EEENS1_44radix_sort_block_sort_config_static_selectorELNS0_4arch9wavefront6targetE1EEEvSF_,comdat
.Lfunc_end1524:
	.size	_ZN7rocprim17ROCPRIM_400000_NS6detail17trampoline_kernelINS0_13kernel_configILj256ELj4ELj4294967295EEENS1_37radix_sort_block_sort_config_selectorIdlEEZNS1_21radix_sort_block_sortIS4_Lb0EPdS8_N6thrust23THRUST_200600_302600_NS10device_ptrIlEESC_NS0_19identity_decomposerEEE10hipError_tT1_T2_T3_T4_jRjT5_jjP12ihipStream_tbEUlT_E_NS1_11comp_targetILNS1_3genE0ELNS1_11target_archE4294967295ELNS1_3gpuE0ELNS1_3repE0EEENS1_44radix_sort_block_sort_config_static_selectorELNS0_4arch9wavefront6targetE1EEEvSF_, .Lfunc_end1524-_ZN7rocprim17ROCPRIM_400000_NS6detail17trampoline_kernelINS0_13kernel_configILj256ELj4ELj4294967295EEENS1_37radix_sort_block_sort_config_selectorIdlEEZNS1_21radix_sort_block_sortIS4_Lb0EPdS8_N6thrust23THRUST_200600_302600_NS10device_ptrIlEESC_NS0_19identity_decomposerEEE10hipError_tT1_T2_T3_T4_jRjT5_jjP12ihipStream_tbEUlT_E_NS1_11comp_targetILNS1_3genE0ELNS1_11target_archE4294967295ELNS1_3gpuE0ELNS1_3repE0EEENS1_44radix_sort_block_sort_config_static_selectorELNS0_4arch9wavefront6targetE1EEEvSF_
                                        ; -- End function
	.set _ZN7rocprim17ROCPRIM_400000_NS6detail17trampoline_kernelINS0_13kernel_configILj256ELj4ELj4294967295EEENS1_37radix_sort_block_sort_config_selectorIdlEEZNS1_21radix_sort_block_sortIS4_Lb0EPdS8_N6thrust23THRUST_200600_302600_NS10device_ptrIlEESC_NS0_19identity_decomposerEEE10hipError_tT1_T2_T3_T4_jRjT5_jjP12ihipStream_tbEUlT_E_NS1_11comp_targetILNS1_3genE0ELNS1_11target_archE4294967295ELNS1_3gpuE0ELNS1_3repE0EEENS1_44radix_sort_block_sort_config_static_selectorELNS0_4arch9wavefront6targetE1EEEvSF_.num_vgpr, 0
	.set _ZN7rocprim17ROCPRIM_400000_NS6detail17trampoline_kernelINS0_13kernel_configILj256ELj4ELj4294967295EEENS1_37radix_sort_block_sort_config_selectorIdlEEZNS1_21radix_sort_block_sortIS4_Lb0EPdS8_N6thrust23THRUST_200600_302600_NS10device_ptrIlEESC_NS0_19identity_decomposerEEE10hipError_tT1_T2_T3_T4_jRjT5_jjP12ihipStream_tbEUlT_E_NS1_11comp_targetILNS1_3genE0ELNS1_11target_archE4294967295ELNS1_3gpuE0ELNS1_3repE0EEENS1_44radix_sort_block_sort_config_static_selectorELNS0_4arch9wavefront6targetE1EEEvSF_.num_agpr, 0
	.set _ZN7rocprim17ROCPRIM_400000_NS6detail17trampoline_kernelINS0_13kernel_configILj256ELj4ELj4294967295EEENS1_37radix_sort_block_sort_config_selectorIdlEEZNS1_21radix_sort_block_sortIS4_Lb0EPdS8_N6thrust23THRUST_200600_302600_NS10device_ptrIlEESC_NS0_19identity_decomposerEEE10hipError_tT1_T2_T3_T4_jRjT5_jjP12ihipStream_tbEUlT_E_NS1_11comp_targetILNS1_3genE0ELNS1_11target_archE4294967295ELNS1_3gpuE0ELNS1_3repE0EEENS1_44radix_sort_block_sort_config_static_selectorELNS0_4arch9wavefront6targetE1EEEvSF_.numbered_sgpr, 0
	.set _ZN7rocprim17ROCPRIM_400000_NS6detail17trampoline_kernelINS0_13kernel_configILj256ELj4ELj4294967295EEENS1_37radix_sort_block_sort_config_selectorIdlEEZNS1_21radix_sort_block_sortIS4_Lb0EPdS8_N6thrust23THRUST_200600_302600_NS10device_ptrIlEESC_NS0_19identity_decomposerEEE10hipError_tT1_T2_T3_T4_jRjT5_jjP12ihipStream_tbEUlT_E_NS1_11comp_targetILNS1_3genE0ELNS1_11target_archE4294967295ELNS1_3gpuE0ELNS1_3repE0EEENS1_44radix_sort_block_sort_config_static_selectorELNS0_4arch9wavefront6targetE1EEEvSF_.num_named_barrier, 0
	.set _ZN7rocprim17ROCPRIM_400000_NS6detail17trampoline_kernelINS0_13kernel_configILj256ELj4ELj4294967295EEENS1_37radix_sort_block_sort_config_selectorIdlEEZNS1_21radix_sort_block_sortIS4_Lb0EPdS8_N6thrust23THRUST_200600_302600_NS10device_ptrIlEESC_NS0_19identity_decomposerEEE10hipError_tT1_T2_T3_T4_jRjT5_jjP12ihipStream_tbEUlT_E_NS1_11comp_targetILNS1_3genE0ELNS1_11target_archE4294967295ELNS1_3gpuE0ELNS1_3repE0EEENS1_44radix_sort_block_sort_config_static_selectorELNS0_4arch9wavefront6targetE1EEEvSF_.private_seg_size, 0
	.set _ZN7rocprim17ROCPRIM_400000_NS6detail17trampoline_kernelINS0_13kernel_configILj256ELj4ELj4294967295EEENS1_37radix_sort_block_sort_config_selectorIdlEEZNS1_21radix_sort_block_sortIS4_Lb0EPdS8_N6thrust23THRUST_200600_302600_NS10device_ptrIlEESC_NS0_19identity_decomposerEEE10hipError_tT1_T2_T3_T4_jRjT5_jjP12ihipStream_tbEUlT_E_NS1_11comp_targetILNS1_3genE0ELNS1_11target_archE4294967295ELNS1_3gpuE0ELNS1_3repE0EEENS1_44radix_sort_block_sort_config_static_selectorELNS0_4arch9wavefront6targetE1EEEvSF_.uses_vcc, 0
	.set _ZN7rocprim17ROCPRIM_400000_NS6detail17trampoline_kernelINS0_13kernel_configILj256ELj4ELj4294967295EEENS1_37radix_sort_block_sort_config_selectorIdlEEZNS1_21radix_sort_block_sortIS4_Lb0EPdS8_N6thrust23THRUST_200600_302600_NS10device_ptrIlEESC_NS0_19identity_decomposerEEE10hipError_tT1_T2_T3_T4_jRjT5_jjP12ihipStream_tbEUlT_E_NS1_11comp_targetILNS1_3genE0ELNS1_11target_archE4294967295ELNS1_3gpuE0ELNS1_3repE0EEENS1_44radix_sort_block_sort_config_static_selectorELNS0_4arch9wavefront6targetE1EEEvSF_.uses_flat_scratch, 0
	.set _ZN7rocprim17ROCPRIM_400000_NS6detail17trampoline_kernelINS0_13kernel_configILj256ELj4ELj4294967295EEENS1_37radix_sort_block_sort_config_selectorIdlEEZNS1_21radix_sort_block_sortIS4_Lb0EPdS8_N6thrust23THRUST_200600_302600_NS10device_ptrIlEESC_NS0_19identity_decomposerEEE10hipError_tT1_T2_T3_T4_jRjT5_jjP12ihipStream_tbEUlT_E_NS1_11comp_targetILNS1_3genE0ELNS1_11target_archE4294967295ELNS1_3gpuE0ELNS1_3repE0EEENS1_44radix_sort_block_sort_config_static_selectorELNS0_4arch9wavefront6targetE1EEEvSF_.has_dyn_sized_stack, 0
	.set _ZN7rocprim17ROCPRIM_400000_NS6detail17trampoline_kernelINS0_13kernel_configILj256ELj4ELj4294967295EEENS1_37radix_sort_block_sort_config_selectorIdlEEZNS1_21radix_sort_block_sortIS4_Lb0EPdS8_N6thrust23THRUST_200600_302600_NS10device_ptrIlEESC_NS0_19identity_decomposerEEE10hipError_tT1_T2_T3_T4_jRjT5_jjP12ihipStream_tbEUlT_E_NS1_11comp_targetILNS1_3genE0ELNS1_11target_archE4294967295ELNS1_3gpuE0ELNS1_3repE0EEENS1_44radix_sort_block_sort_config_static_selectorELNS0_4arch9wavefront6targetE1EEEvSF_.has_recursion, 0
	.set _ZN7rocprim17ROCPRIM_400000_NS6detail17trampoline_kernelINS0_13kernel_configILj256ELj4ELj4294967295EEENS1_37radix_sort_block_sort_config_selectorIdlEEZNS1_21radix_sort_block_sortIS4_Lb0EPdS8_N6thrust23THRUST_200600_302600_NS10device_ptrIlEESC_NS0_19identity_decomposerEEE10hipError_tT1_T2_T3_T4_jRjT5_jjP12ihipStream_tbEUlT_E_NS1_11comp_targetILNS1_3genE0ELNS1_11target_archE4294967295ELNS1_3gpuE0ELNS1_3repE0EEENS1_44radix_sort_block_sort_config_static_selectorELNS0_4arch9wavefront6targetE1EEEvSF_.has_indirect_call, 0
	.section	.AMDGPU.csdata,"",@progbits
; Kernel info:
; codeLenInByte = 0
; TotalNumSgprs: 4
; NumVgprs: 0
; ScratchSize: 0
; MemoryBound: 0
; FloatMode: 240
; IeeeMode: 1
; LDSByteSize: 0 bytes/workgroup (compile time only)
; SGPRBlocks: 0
; VGPRBlocks: 0
; NumSGPRsForWavesPerEU: 4
; NumVGPRsForWavesPerEU: 1
; Occupancy: 10
; WaveLimiterHint : 0
; COMPUTE_PGM_RSRC2:SCRATCH_EN: 0
; COMPUTE_PGM_RSRC2:USER_SGPR: 6
; COMPUTE_PGM_RSRC2:TRAP_HANDLER: 0
; COMPUTE_PGM_RSRC2:TGID_X_EN: 1
; COMPUTE_PGM_RSRC2:TGID_Y_EN: 0
; COMPUTE_PGM_RSRC2:TGID_Z_EN: 0
; COMPUTE_PGM_RSRC2:TIDIG_COMP_CNT: 0
	.section	.text._ZN7rocprim17ROCPRIM_400000_NS6detail17trampoline_kernelINS0_13kernel_configILj256ELj4ELj4294967295EEENS1_37radix_sort_block_sort_config_selectorIdlEEZNS1_21radix_sort_block_sortIS4_Lb0EPdS8_N6thrust23THRUST_200600_302600_NS10device_ptrIlEESC_NS0_19identity_decomposerEEE10hipError_tT1_T2_T3_T4_jRjT5_jjP12ihipStream_tbEUlT_E_NS1_11comp_targetILNS1_3genE5ELNS1_11target_archE942ELNS1_3gpuE9ELNS1_3repE0EEENS1_44radix_sort_block_sort_config_static_selectorELNS0_4arch9wavefront6targetE1EEEvSF_,"axG",@progbits,_ZN7rocprim17ROCPRIM_400000_NS6detail17trampoline_kernelINS0_13kernel_configILj256ELj4ELj4294967295EEENS1_37radix_sort_block_sort_config_selectorIdlEEZNS1_21radix_sort_block_sortIS4_Lb0EPdS8_N6thrust23THRUST_200600_302600_NS10device_ptrIlEESC_NS0_19identity_decomposerEEE10hipError_tT1_T2_T3_T4_jRjT5_jjP12ihipStream_tbEUlT_E_NS1_11comp_targetILNS1_3genE5ELNS1_11target_archE942ELNS1_3gpuE9ELNS1_3repE0EEENS1_44radix_sort_block_sort_config_static_selectorELNS0_4arch9wavefront6targetE1EEEvSF_,comdat
	.protected	_ZN7rocprim17ROCPRIM_400000_NS6detail17trampoline_kernelINS0_13kernel_configILj256ELj4ELj4294967295EEENS1_37radix_sort_block_sort_config_selectorIdlEEZNS1_21radix_sort_block_sortIS4_Lb0EPdS8_N6thrust23THRUST_200600_302600_NS10device_ptrIlEESC_NS0_19identity_decomposerEEE10hipError_tT1_T2_T3_T4_jRjT5_jjP12ihipStream_tbEUlT_E_NS1_11comp_targetILNS1_3genE5ELNS1_11target_archE942ELNS1_3gpuE9ELNS1_3repE0EEENS1_44radix_sort_block_sort_config_static_selectorELNS0_4arch9wavefront6targetE1EEEvSF_ ; -- Begin function _ZN7rocprim17ROCPRIM_400000_NS6detail17trampoline_kernelINS0_13kernel_configILj256ELj4ELj4294967295EEENS1_37radix_sort_block_sort_config_selectorIdlEEZNS1_21radix_sort_block_sortIS4_Lb0EPdS8_N6thrust23THRUST_200600_302600_NS10device_ptrIlEESC_NS0_19identity_decomposerEEE10hipError_tT1_T2_T3_T4_jRjT5_jjP12ihipStream_tbEUlT_E_NS1_11comp_targetILNS1_3genE5ELNS1_11target_archE942ELNS1_3gpuE9ELNS1_3repE0EEENS1_44radix_sort_block_sort_config_static_selectorELNS0_4arch9wavefront6targetE1EEEvSF_
	.globl	_ZN7rocprim17ROCPRIM_400000_NS6detail17trampoline_kernelINS0_13kernel_configILj256ELj4ELj4294967295EEENS1_37radix_sort_block_sort_config_selectorIdlEEZNS1_21radix_sort_block_sortIS4_Lb0EPdS8_N6thrust23THRUST_200600_302600_NS10device_ptrIlEESC_NS0_19identity_decomposerEEE10hipError_tT1_T2_T3_T4_jRjT5_jjP12ihipStream_tbEUlT_E_NS1_11comp_targetILNS1_3genE5ELNS1_11target_archE942ELNS1_3gpuE9ELNS1_3repE0EEENS1_44radix_sort_block_sort_config_static_selectorELNS0_4arch9wavefront6targetE1EEEvSF_
	.p2align	8
	.type	_ZN7rocprim17ROCPRIM_400000_NS6detail17trampoline_kernelINS0_13kernel_configILj256ELj4ELj4294967295EEENS1_37radix_sort_block_sort_config_selectorIdlEEZNS1_21radix_sort_block_sortIS4_Lb0EPdS8_N6thrust23THRUST_200600_302600_NS10device_ptrIlEESC_NS0_19identity_decomposerEEE10hipError_tT1_T2_T3_T4_jRjT5_jjP12ihipStream_tbEUlT_E_NS1_11comp_targetILNS1_3genE5ELNS1_11target_archE942ELNS1_3gpuE9ELNS1_3repE0EEENS1_44radix_sort_block_sort_config_static_selectorELNS0_4arch9wavefront6targetE1EEEvSF_,@function
_ZN7rocprim17ROCPRIM_400000_NS6detail17trampoline_kernelINS0_13kernel_configILj256ELj4ELj4294967295EEENS1_37radix_sort_block_sort_config_selectorIdlEEZNS1_21radix_sort_block_sortIS4_Lb0EPdS8_N6thrust23THRUST_200600_302600_NS10device_ptrIlEESC_NS0_19identity_decomposerEEE10hipError_tT1_T2_T3_T4_jRjT5_jjP12ihipStream_tbEUlT_E_NS1_11comp_targetILNS1_3genE5ELNS1_11target_archE942ELNS1_3gpuE9ELNS1_3repE0EEENS1_44radix_sort_block_sort_config_static_selectorELNS0_4arch9wavefront6targetE1EEEvSF_: ; @_ZN7rocprim17ROCPRIM_400000_NS6detail17trampoline_kernelINS0_13kernel_configILj256ELj4ELj4294967295EEENS1_37radix_sort_block_sort_config_selectorIdlEEZNS1_21radix_sort_block_sortIS4_Lb0EPdS8_N6thrust23THRUST_200600_302600_NS10device_ptrIlEESC_NS0_19identity_decomposerEEE10hipError_tT1_T2_T3_T4_jRjT5_jjP12ihipStream_tbEUlT_E_NS1_11comp_targetILNS1_3genE5ELNS1_11target_archE942ELNS1_3gpuE9ELNS1_3repE0EEENS1_44radix_sort_block_sort_config_static_selectorELNS0_4arch9wavefront6targetE1EEEvSF_
; %bb.0:
	.section	.rodata,"a",@progbits
	.p2align	6, 0x0
	.amdhsa_kernel _ZN7rocprim17ROCPRIM_400000_NS6detail17trampoline_kernelINS0_13kernel_configILj256ELj4ELj4294967295EEENS1_37radix_sort_block_sort_config_selectorIdlEEZNS1_21radix_sort_block_sortIS4_Lb0EPdS8_N6thrust23THRUST_200600_302600_NS10device_ptrIlEESC_NS0_19identity_decomposerEEE10hipError_tT1_T2_T3_T4_jRjT5_jjP12ihipStream_tbEUlT_E_NS1_11comp_targetILNS1_3genE5ELNS1_11target_archE942ELNS1_3gpuE9ELNS1_3repE0EEENS1_44radix_sort_block_sort_config_static_selectorELNS0_4arch9wavefront6targetE1EEEvSF_
		.amdhsa_group_segment_fixed_size 0
		.amdhsa_private_segment_fixed_size 0
		.amdhsa_kernarg_size 48
		.amdhsa_user_sgpr_count 6
		.amdhsa_user_sgpr_private_segment_buffer 1
		.amdhsa_user_sgpr_dispatch_ptr 0
		.amdhsa_user_sgpr_queue_ptr 0
		.amdhsa_user_sgpr_kernarg_segment_ptr 1
		.amdhsa_user_sgpr_dispatch_id 0
		.amdhsa_user_sgpr_flat_scratch_init 0
		.amdhsa_user_sgpr_private_segment_size 0
		.amdhsa_uses_dynamic_stack 0
		.amdhsa_system_sgpr_private_segment_wavefront_offset 0
		.amdhsa_system_sgpr_workgroup_id_x 1
		.amdhsa_system_sgpr_workgroup_id_y 0
		.amdhsa_system_sgpr_workgroup_id_z 0
		.amdhsa_system_sgpr_workgroup_info 0
		.amdhsa_system_vgpr_workitem_id 0
		.amdhsa_next_free_vgpr 1
		.amdhsa_next_free_sgpr 0
		.amdhsa_reserve_vcc 0
		.amdhsa_reserve_flat_scratch 0
		.amdhsa_float_round_mode_32 0
		.amdhsa_float_round_mode_16_64 0
		.amdhsa_float_denorm_mode_32 3
		.amdhsa_float_denorm_mode_16_64 3
		.amdhsa_dx10_clamp 1
		.amdhsa_ieee_mode 1
		.amdhsa_fp16_overflow 0
		.amdhsa_exception_fp_ieee_invalid_op 0
		.amdhsa_exception_fp_denorm_src 0
		.amdhsa_exception_fp_ieee_div_zero 0
		.amdhsa_exception_fp_ieee_overflow 0
		.amdhsa_exception_fp_ieee_underflow 0
		.amdhsa_exception_fp_ieee_inexact 0
		.amdhsa_exception_int_div_zero 0
	.end_amdhsa_kernel
	.section	.text._ZN7rocprim17ROCPRIM_400000_NS6detail17trampoline_kernelINS0_13kernel_configILj256ELj4ELj4294967295EEENS1_37radix_sort_block_sort_config_selectorIdlEEZNS1_21radix_sort_block_sortIS4_Lb0EPdS8_N6thrust23THRUST_200600_302600_NS10device_ptrIlEESC_NS0_19identity_decomposerEEE10hipError_tT1_T2_T3_T4_jRjT5_jjP12ihipStream_tbEUlT_E_NS1_11comp_targetILNS1_3genE5ELNS1_11target_archE942ELNS1_3gpuE9ELNS1_3repE0EEENS1_44radix_sort_block_sort_config_static_selectorELNS0_4arch9wavefront6targetE1EEEvSF_,"axG",@progbits,_ZN7rocprim17ROCPRIM_400000_NS6detail17trampoline_kernelINS0_13kernel_configILj256ELj4ELj4294967295EEENS1_37radix_sort_block_sort_config_selectorIdlEEZNS1_21radix_sort_block_sortIS4_Lb0EPdS8_N6thrust23THRUST_200600_302600_NS10device_ptrIlEESC_NS0_19identity_decomposerEEE10hipError_tT1_T2_T3_T4_jRjT5_jjP12ihipStream_tbEUlT_E_NS1_11comp_targetILNS1_3genE5ELNS1_11target_archE942ELNS1_3gpuE9ELNS1_3repE0EEENS1_44radix_sort_block_sort_config_static_selectorELNS0_4arch9wavefront6targetE1EEEvSF_,comdat
.Lfunc_end1525:
	.size	_ZN7rocprim17ROCPRIM_400000_NS6detail17trampoline_kernelINS0_13kernel_configILj256ELj4ELj4294967295EEENS1_37radix_sort_block_sort_config_selectorIdlEEZNS1_21radix_sort_block_sortIS4_Lb0EPdS8_N6thrust23THRUST_200600_302600_NS10device_ptrIlEESC_NS0_19identity_decomposerEEE10hipError_tT1_T2_T3_T4_jRjT5_jjP12ihipStream_tbEUlT_E_NS1_11comp_targetILNS1_3genE5ELNS1_11target_archE942ELNS1_3gpuE9ELNS1_3repE0EEENS1_44radix_sort_block_sort_config_static_selectorELNS0_4arch9wavefront6targetE1EEEvSF_, .Lfunc_end1525-_ZN7rocprim17ROCPRIM_400000_NS6detail17trampoline_kernelINS0_13kernel_configILj256ELj4ELj4294967295EEENS1_37radix_sort_block_sort_config_selectorIdlEEZNS1_21radix_sort_block_sortIS4_Lb0EPdS8_N6thrust23THRUST_200600_302600_NS10device_ptrIlEESC_NS0_19identity_decomposerEEE10hipError_tT1_T2_T3_T4_jRjT5_jjP12ihipStream_tbEUlT_E_NS1_11comp_targetILNS1_3genE5ELNS1_11target_archE942ELNS1_3gpuE9ELNS1_3repE0EEENS1_44radix_sort_block_sort_config_static_selectorELNS0_4arch9wavefront6targetE1EEEvSF_
                                        ; -- End function
	.set _ZN7rocprim17ROCPRIM_400000_NS6detail17trampoline_kernelINS0_13kernel_configILj256ELj4ELj4294967295EEENS1_37radix_sort_block_sort_config_selectorIdlEEZNS1_21radix_sort_block_sortIS4_Lb0EPdS8_N6thrust23THRUST_200600_302600_NS10device_ptrIlEESC_NS0_19identity_decomposerEEE10hipError_tT1_T2_T3_T4_jRjT5_jjP12ihipStream_tbEUlT_E_NS1_11comp_targetILNS1_3genE5ELNS1_11target_archE942ELNS1_3gpuE9ELNS1_3repE0EEENS1_44radix_sort_block_sort_config_static_selectorELNS0_4arch9wavefront6targetE1EEEvSF_.num_vgpr, 0
	.set _ZN7rocprim17ROCPRIM_400000_NS6detail17trampoline_kernelINS0_13kernel_configILj256ELj4ELj4294967295EEENS1_37radix_sort_block_sort_config_selectorIdlEEZNS1_21radix_sort_block_sortIS4_Lb0EPdS8_N6thrust23THRUST_200600_302600_NS10device_ptrIlEESC_NS0_19identity_decomposerEEE10hipError_tT1_T2_T3_T4_jRjT5_jjP12ihipStream_tbEUlT_E_NS1_11comp_targetILNS1_3genE5ELNS1_11target_archE942ELNS1_3gpuE9ELNS1_3repE0EEENS1_44radix_sort_block_sort_config_static_selectorELNS0_4arch9wavefront6targetE1EEEvSF_.num_agpr, 0
	.set _ZN7rocprim17ROCPRIM_400000_NS6detail17trampoline_kernelINS0_13kernel_configILj256ELj4ELj4294967295EEENS1_37radix_sort_block_sort_config_selectorIdlEEZNS1_21radix_sort_block_sortIS4_Lb0EPdS8_N6thrust23THRUST_200600_302600_NS10device_ptrIlEESC_NS0_19identity_decomposerEEE10hipError_tT1_T2_T3_T4_jRjT5_jjP12ihipStream_tbEUlT_E_NS1_11comp_targetILNS1_3genE5ELNS1_11target_archE942ELNS1_3gpuE9ELNS1_3repE0EEENS1_44radix_sort_block_sort_config_static_selectorELNS0_4arch9wavefront6targetE1EEEvSF_.numbered_sgpr, 0
	.set _ZN7rocprim17ROCPRIM_400000_NS6detail17trampoline_kernelINS0_13kernel_configILj256ELj4ELj4294967295EEENS1_37radix_sort_block_sort_config_selectorIdlEEZNS1_21radix_sort_block_sortIS4_Lb0EPdS8_N6thrust23THRUST_200600_302600_NS10device_ptrIlEESC_NS0_19identity_decomposerEEE10hipError_tT1_T2_T3_T4_jRjT5_jjP12ihipStream_tbEUlT_E_NS1_11comp_targetILNS1_3genE5ELNS1_11target_archE942ELNS1_3gpuE9ELNS1_3repE0EEENS1_44radix_sort_block_sort_config_static_selectorELNS0_4arch9wavefront6targetE1EEEvSF_.num_named_barrier, 0
	.set _ZN7rocprim17ROCPRIM_400000_NS6detail17trampoline_kernelINS0_13kernel_configILj256ELj4ELj4294967295EEENS1_37radix_sort_block_sort_config_selectorIdlEEZNS1_21radix_sort_block_sortIS4_Lb0EPdS8_N6thrust23THRUST_200600_302600_NS10device_ptrIlEESC_NS0_19identity_decomposerEEE10hipError_tT1_T2_T3_T4_jRjT5_jjP12ihipStream_tbEUlT_E_NS1_11comp_targetILNS1_3genE5ELNS1_11target_archE942ELNS1_3gpuE9ELNS1_3repE0EEENS1_44radix_sort_block_sort_config_static_selectorELNS0_4arch9wavefront6targetE1EEEvSF_.private_seg_size, 0
	.set _ZN7rocprim17ROCPRIM_400000_NS6detail17trampoline_kernelINS0_13kernel_configILj256ELj4ELj4294967295EEENS1_37radix_sort_block_sort_config_selectorIdlEEZNS1_21radix_sort_block_sortIS4_Lb0EPdS8_N6thrust23THRUST_200600_302600_NS10device_ptrIlEESC_NS0_19identity_decomposerEEE10hipError_tT1_T2_T3_T4_jRjT5_jjP12ihipStream_tbEUlT_E_NS1_11comp_targetILNS1_3genE5ELNS1_11target_archE942ELNS1_3gpuE9ELNS1_3repE0EEENS1_44radix_sort_block_sort_config_static_selectorELNS0_4arch9wavefront6targetE1EEEvSF_.uses_vcc, 0
	.set _ZN7rocprim17ROCPRIM_400000_NS6detail17trampoline_kernelINS0_13kernel_configILj256ELj4ELj4294967295EEENS1_37radix_sort_block_sort_config_selectorIdlEEZNS1_21radix_sort_block_sortIS4_Lb0EPdS8_N6thrust23THRUST_200600_302600_NS10device_ptrIlEESC_NS0_19identity_decomposerEEE10hipError_tT1_T2_T3_T4_jRjT5_jjP12ihipStream_tbEUlT_E_NS1_11comp_targetILNS1_3genE5ELNS1_11target_archE942ELNS1_3gpuE9ELNS1_3repE0EEENS1_44radix_sort_block_sort_config_static_selectorELNS0_4arch9wavefront6targetE1EEEvSF_.uses_flat_scratch, 0
	.set _ZN7rocprim17ROCPRIM_400000_NS6detail17trampoline_kernelINS0_13kernel_configILj256ELj4ELj4294967295EEENS1_37radix_sort_block_sort_config_selectorIdlEEZNS1_21radix_sort_block_sortIS4_Lb0EPdS8_N6thrust23THRUST_200600_302600_NS10device_ptrIlEESC_NS0_19identity_decomposerEEE10hipError_tT1_T2_T3_T4_jRjT5_jjP12ihipStream_tbEUlT_E_NS1_11comp_targetILNS1_3genE5ELNS1_11target_archE942ELNS1_3gpuE9ELNS1_3repE0EEENS1_44radix_sort_block_sort_config_static_selectorELNS0_4arch9wavefront6targetE1EEEvSF_.has_dyn_sized_stack, 0
	.set _ZN7rocprim17ROCPRIM_400000_NS6detail17trampoline_kernelINS0_13kernel_configILj256ELj4ELj4294967295EEENS1_37radix_sort_block_sort_config_selectorIdlEEZNS1_21radix_sort_block_sortIS4_Lb0EPdS8_N6thrust23THRUST_200600_302600_NS10device_ptrIlEESC_NS0_19identity_decomposerEEE10hipError_tT1_T2_T3_T4_jRjT5_jjP12ihipStream_tbEUlT_E_NS1_11comp_targetILNS1_3genE5ELNS1_11target_archE942ELNS1_3gpuE9ELNS1_3repE0EEENS1_44radix_sort_block_sort_config_static_selectorELNS0_4arch9wavefront6targetE1EEEvSF_.has_recursion, 0
	.set _ZN7rocprim17ROCPRIM_400000_NS6detail17trampoline_kernelINS0_13kernel_configILj256ELj4ELj4294967295EEENS1_37radix_sort_block_sort_config_selectorIdlEEZNS1_21radix_sort_block_sortIS4_Lb0EPdS8_N6thrust23THRUST_200600_302600_NS10device_ptrIlEESC_NS0_19identity_decomposerEEE10hipError_tT1_T2_T3_T4_jRjT5_jjP12ihipStream_tbEUlT_E_NS1_11comp_targetILNS1_3genE5ELNS1_11target_archE942ELNS1_3gpuE9ELNS1_3repE0EEENS1_44radix_sort_block_sort_config_static_selectorELNS0_4arch9wavefront6targetE1EEEvSF_.has_indirect_call, 0
	.section	.AMDGPU.csdata,"",@progbits
; Kernel info:
; codeLenInByte = 0
; TotalNumSgprs: 4
; NumVgprs: 0
; ScratchSize: 0
; MemoryBound: 0
; FloatMode: 240
; IeeeMode: 1
; LDSByteSize: 0 bytes/workgroup (compile time only)
; SGPRBlocks: 0
; VGPRBlocks: 0
; NumSGPRsForWavesPerEU: 4
; NumVGPRsForWavesPerEU: 1
; Occupancy: 10
; WaveLimiterHint : 0
; COMPUTE_PGM_RSRC2:SCRATCH_EN: 0
; COMPUTE_PGM_RSRC2:USER_SGPR: 6
; COMPUTE_PGM_RSRC2:TRAP_HANDLER: 0
; COMPUTE_PGM_RSRC2:TGID_X_EN: 1
; COMPUTE_PGM_RSRC2:TGID_Y_EN: 0
; COMPUTE_PGM_RSRC2:TGID_Z_EN: 0
; COMPUTE_PGM_RSRC2:TIDIG_COMP_CNT: 0
	.section	.text._ZN7rocprim17ROCPRIM_400000_NS6detail17trampoline_kernelINS0_13kernel_configILj256ELj4ELj4294967295EEENS1_37radix_sort_block_sort_config_selectorIdlEEZNS1_21radix_sort_block_sortIS4_Lb0EPdS8_N6thrust23THRUST_200600_302600_NS10device_ptrIlEESC_NS0_19identity_decomposerEEE10hipError_tT1_T2_T3_T4_jRjT5_jjP12ihipStream_tbEUlT_E_NS1_11comp_targetILNS1_3genE4ELNS1_11target_archE910ELNS1_3gpuE8ELNS1_3repE0EEENS1_44radix_sort_block_sort_config_static_selectorELNS0_4arch9wavefront6targetE1EEEvSF_,"axG",@progbits,_ZN7rocprim17ROCPRIM_400000_NS6detail17trampoline_kernelINS0_13kernel_configILj256ELj4ELj4294967295EEENS1_37radix_sort_block_sort_config_selectorIdlEEZNS1_21radix_sort_block_sortIS4_Lb0EPdS8_N6thrust23THRUST_200600_302600_NS10device_ptrIlEESC_NS0_19identity_decomposerEEE10hipError_tT1_T2_T3_T4_jRjT5_jjP12ihipStream_tbEUlT_E_NS1_11comp_targetILNS1_3genE4ELNS1_11target_archE910ELNS1_3gpuE8ELNS1_3repE0EEENS1_44radix_sort_block_sort_config_static_selectorELNS0_4arch9wavefront6targetE1EEEvSF_,comdat
	.protected	_ZN7rocprim17ROCPRIM_400000_NS6detail17trampoline_kernelINS0_13kernel_configILj256ELj4ELj4294967295EEENS1_37radix_sort_block_sort_config_selectorIdlEEZNS1_21radix_sort_block_sortIS4_Lb0EPdS8_N6thrust23THRUST_200600_302600_NS10device_ptrIlEESC_NS0_19identity_decomposerEEE10hipError_tT1_T2_T3_T4_jRjT5_jjP12ihipStream_tbEUlT_E_NS1_11comp_targetILNS1_3genE4ELNS1_11target_archE910ELNS1_3gpuE8ELNS1_3repE0EEENS1_44radix_sort_block_sort_config_static_selectorELNS0_4arch9wavefront6targetE1EEEvSF_ ; -- Begin function _ZN7rocprim17ROCPRIM_400000_NS6detail17trampoline_kernelINS0_13kernel_configILj256ELj4ELj4294967295EEENS1_37radix_sort_block_sort_config_selectorIdlEEZNS1_21radix_sort_block_sortIS4_Lb0EPdS8_N6thrust23THRUST_200600_302600_NS10device_ptrIlEESC_NS0_19identity_decomposerEEE10hipError_tT1_T2_T3_T4_jRjT5_jjP12ihipStream_tbEUlT_E_NS1_11comp_targetILNS1_3genE4ELNS1_11target_archE910ELNS1_3gpuE8ELNS1_3repE0EEENS1_44radix_sort_block_sort_config_static_selectorELNS0_4arch9wavefront6targetE1EEEvSF_
	.globl	_ZN7rocprim17ROCPRIM_400000_NS6detail17trampoline_kernelINS0_13kernel_configILj256ELj4ELj4294967295EEENS1_37radix_sort_block_sort_config_selectorIdlEEZNS1_21radix_sort_block_sortIS4_Lb0EPdS8_N6thrust23THRUST_200600_302600_NS10device_ptrIlEESC_NS0_19identity_decomposerEEE10hipError_tT1_T2_T3_T4_jRjT5_jjP12ihipStream_tbEUlT_E_NS1_11comp_targetILNS1_3genE4ELNS1_11target_archE910ELNS1_3gpuE8ELNS1_3repE0EEENS1_44radix_sort_block_sort_config_static_selectorELNS0_4arch9wavefront6targetE1EEEvSF_
	.p2align	8
	.type	_ZN7rocprim17ROCPRIM_400000_NS6detail17trampoline_kernelINS0_13kernel_configILj256ELj4ELj4294967295EEENS1_37radix_sort_block_sort_config_selectorIdlEEZNS1_21radix_sort_block_sortIS4_Lb0EPdS8_N6thrust23THRUST_200600_302600_NS10device_ptrIlEESC_NS0_19identity_decomposerEEE10hipError_tT1_T2_T3_T4_jRjT5_jjP12ihipStream_tbEUlT_E_NS1_11comp_targetILNS1_3genE4ELNS1_11target_archE910ELNS1_3gpuE8ELNS1_3repE0EEENS1_44radix_sort_block_sort_config_static_selectorELNS0_4arch9wavefront6targetE1EEEvSF_,@function
_ZN7rocprim17ROCPRIM_400000_NS6detail17trampoline_kernelINS0_13kernel_configILj256ELj4ELj4294967295EEENS1_37radix_sort_block_sort_config_selectorIdlEEZNS1_21radix_sort_block_sortIS4_Lb0EPdS8_N6thrust23THRUST_200600_302600_NS10device_ptrIlEESC_NS0_19identity_decomposerEEE10hipError_tT1_T2_T3_T4_jRjT5_jjP12ihipStream_tbEUlT_E_NS1_11comp_targetILNS1_3genE4ELNS1_11target_archE910ELNS1_3gpuE8ELNS1_3repE0EEENS1_44radix_sort_block_sort_config_static_selectorELNS0_4arch9wavefront6targetE1EEEvSF_: ; @_ZN7rocprim17ROCPRIM_400000_NS6detail17trampoline_kernelINS0_13kernel_configILj256ELj4ELj4294967295EEENS1_37radix_sort_block_sort_config_selectorIdlEEZNS1_21radix_sort_block_sortIS4_Lb0EPdS8_N6thrust23THRUST_200600_302600_NS10device_ptrIlEESC_NS0_19identity_decomposerEEE10hipError_tT1_T2_T3_T4_jRjT5_jjP12ihipStream_tbEUlT_E_NS1_11comp_targetILNS1_3genE4ELNS1_11target_archE910ELNS1_3gpuE8ELNS1_3repE0EEENS1_44radix_sort_block_sort_config_static_selectorELNS0_4arch9wavefront6targetE1EEEvSF_
; %bb.0:
	.section	.rodata,"a",@progbits
	.p2align	6, 0x0
	.amdhsa_kernel _ZN7rocprim17ROCPRIM_400000_NS6detail17trampoline_kernelINS0_13kernel_configILj256ELj4ELj4294967295EEENS1_37radix_sort_block_sort_config_selectorIdlEEZNS1_21radix_sort_block_sortIS4_Lb0EPdS8_N6thrust23THRUST_200600_302600_NS10device_ptrIlEESC_NS0_19identity_decomposerEEE10hipError_tT1_T2_T3_T4_jRjT5_jjP12ihipStream_tbEUlT_E_NS1_11comp_targetILNS1_3genE4ELNS1_11target_archE910ELNS1_3gpuE8ELNS1_3repE0EEENS1_44radix_sort_block_sort_config_static_selectorELNS0_4arch9wavefront6targetE1EEEvSF_
		.amdhsa_group_segment_fixed_size 0
		.amdhsa_private_segment_fixed_size 0
		.amdhsa_kernarg_size 48
		.amdhsa_user_sgpr_count 6
		.amdhsa_user_sgpr_private_segment_buffer 1
		.amdhsa_user_sgpr_dispatch_ptr 0
		.amdhsa_user_sgpr_queue_ptr 0
		.amdhsa_user_sgpr_kernarg_segment_ptr 1
		.amdhsa_user_sgpr_dispatch_id 0
		.amdhsa_user_sgpr_flat_scratch_init 0
		.amdhsa_user_sgpr_private_segment_size 0
		.amdhsa_uses_dynamic_stack 0
		.amdhsa_system_sgpr_private_segment_wavefront_offset 0
		.amdhsa_system_sgpr_workgroup_id_x 1
		.amdhsa_system_sgpr_workgroup_id_y 0
		.amdhsa_system_sgpr_workgroup_id_z 0
		.amdhsa_system_sgpr_workgroup_info 0
		.amdhsa_system_vgpr_workitem_id 0
		.amdhsa_next_free_vgpr 1
		.amdhsa_next_free_sgpr 0
		.amdhsa_reserve_vcc 0
		.amdhsa_reserve_flat_scratch 0
		.amdhsa_float_round_mode_32 0
		.amdhsa_float_round_mode_16_64 0
		.amdhsa_float_denorm_mode_32 3
		.amdhsa_float_denorm_mode_16_64 3
		.amdhsa_dx10_clamp 1
		.amdhsa_ieee_mode 1
		.amdhsa_fp16_overflow 0
		.amdhsa_exception_fp_ieee_invalid_op 0
		.amdhsa_exception_fp_denorm_src 0
		.amdhsa_exception_fp_ieee_div_zero 0
		.amdhsa_exception_fp_ieee_overflow 0
		.amdhsa_exception_fp_ieee_underflow 0
		.amdhsa_exception_fp_ieee_inexact 0
		.amdhsa_exception_int_div_zero 0
	.end_amdhsa_kernel
	.section	.text._ZN7rocprim17ROCPRIM_400000_NS6detail17trampoline_kernelINS0_13kernel_configILj256ELj4ELj4294967295EEENS1_37radix_sort_block_sort_config_selectorIdlEEZNS1_21radix_sort_block_sortIS4_Lb0EPdS8_N6thrust23THRUST_200600_302600_NS10device_ptrIlEESC_NS0_19identity_decomposerEEE10hipError_tT1_T2_T3_T4_jRjT5_jjP12ihipStream_tbEUlT_E_NS1_11comp_targetILNS1_3genE4ELNS1_11target_archE910ELNS1_3gpuE8ELNS1_3repE0EEENS1_44radix_sort_block_sort_config_static_selectorELNS0_4arch9wavefront6targetE1EEEvSF_,"axG",@progbits,_ZN7rocprim17ROCPRIM_400000_NS6detail17trampoline_kernelINS0_13kernel_configILj256ELj4ELj4294967295EEENS1_37radix_sort_block_sort_config_selectorIdlEEZNS1_21radix_sort_block_sortIS4_Lb0EPdS8_N6thrust23THRUST_200600_302600_NS10device_ptrIlEESC_NS0_19identity_decomposerEEE10hipError_tT1_T2_T3_T4_jRjT5_jjP12ihipStream_tbEUlT_E_NS1_11comp_targetILNS1_3genE4ELNS1_11target_archE910ELNS1_3gpuE8ELNS1_3repE0EEENS1_44radix_sort_block_sort_config_static_selectorELNS0_4arch9wavefront6targetE1EEEvSF_,comdat
.Lfunc_end1526:
	.size	_ZN7rocprim17ROCPRIM_400000_NS6detail17trampoline_kernelINS0_13kernel_configILj256ELj4ELj4294967295EEENS1_37radix_sort_block_sort_config_selectorIdlEEZNS1_21radix_sort_block_sortIS4_Lb0EPdS8_N6thrust23THRUST_200600_302600_NS10device_ptrIlEESC_NS0_19identity_decomposerEEE10hipError_tT1_T2_T3_T4_jRjT5_jjP12ihipStream_tbEUlT_E_NS1_11comp_targetILNS1_3genE4ELNS1_11target_archE910ELNS1_3gpuE8ELNS1_3repE0EEENS1_44radix_sort_block_sort_config_static_selectorELNS0_4arch9wavefront6targetE1EEEvSF_, .Lfunc_end1526-_ZN7rocprim17ROCPRIM_400000_NS6detail17trampoline_kernelINS0_13kernel_configILj256ELj4ELj4294967295EEENS1_37radix_sort_block_sort_config_selectorIdlEEZNS1_21radix_sort_block_sortIS4_Lb0EPdS8_N6thrust23THRUST_200600_302600_NS10device_ptrIlEESC_NS0_19identity_decomposerEEE10hipError_tT1_T2_T3_T4_jRjT5_jjP12ihipStream_tbEUlT_E_NS1_11comp_targetILNS1_3genE4ELNS1_11target_archE910ELNS1_3gpuE8ELNS1_3repE0EEENS1_44radix_sort_block_sort_config_static_selectorELNS0_4arch9wavefront6targetE1EEEvSF_
                                        ; -- End function
	.set _ZN7rocprim17ROCPRIM_400000_NS6detail17trampoline_kernelINS0_13kernel_configILj256ELj4ELj4294967295EEENS1_37radix_sort_block_sort_config_selectorIdlEEZNS1_21radix_sort_block_sortIS4_Lb0EPdS8_N6thrust23THRUST_200600_302600_NS10device_ptrIlEESC_NS0_19identity_decomposerEEE10hipError_tT1_T2_T3_T4_jRjT5_jjP12ihipStream_tbEUlT_E_NS1_11comp_targetILNS1_3genE4ELNS1_11target_archE910ELNS1_3gpuE8ELNS1_3repE0EEENS1_44radix_sort_block_sort_config_static_selectorELNS0_4arch9wavefront6targetE1EEEvSF_.num_vgpr, 0
	.set _ZN7rocprim17ROCPRIM_400000_NS6detail17trampoline_kernelINS0_13kernel_configILj256ELj4ELj4294967295EEENS1_37radix_sort_block_sort_config_selectorIdlEEZNS1_21radix_sort_block_sortIS4_Lb0EPdS8_N6thrust23THRUST_200600_302600_NS10device_ptrIlEESC_NS0_19identity_decomposerEEE10hipError_tT1_T2_T3_T4_jRjT5_jjP12ihipStream_tbEUlT_E_NS1_11comp_targetILNS1_3genE4ELNS1_11target_archE910ELNS1_3gpuE8ELNS1_3repE0EEENS1_44radix_sort_block_sort_config_static_selectorELNS0_4arch9wavefront6targetE1EEEvSF_.num_agpr, 0
	.set _ZN7rocprim17ROCPRIM_400000_NS6detail17trampoline_kernelINS0_13kernel_configILj256ELj4ELj4294967295EEENS1_37radix_sort_block_sort_config_selectorIdlEEZNS1_21radix_sort_block_sortIS4_Lb0EPdS8_N6thrust23THRUST_200600_302600_NS10device_ptrIlEESC_NS0_19identity_decomposerEEE10hipError_tT1_T2_T3_T4_jRjT5_jjP12ihipStream_tbEUlT_E_NS1_11comp_targetILNS1_3genE4ELNS1_11target_archE910ELNS1_3gpuE8ELNS1_3repE0EEENS1_44radix_sort_block_sort_config_static_selectorELNS0_4arch9wavefront6targetE1EEEvSF_.numbered_sgpr, 0
	.set _ZN7rocprim17ROCPRIM_400000_NS6detail17trampoline_kernelINS0_13kernel_configILj256ELj4ELj4294967295EEENS1_37radix_sort_block_sort_config_selectorIdlEEZNS1_21radix_sort_block_sortIS4_Lb0EPdS8_N6thrust23THRUST_200600_302600_NS10device_ptrIlEESC_NS0_19identity_decomposerEEE10hipError_tT1_T2_T3_T4_jRjT5_jjP12ihipStream_tbEUlT_E_NS1_11comp_targetILNS1_3genE4ELNS1_11target_archE910ELNS1_3gpuE8ELNS1_3repE0EEENS1_44radix_sort_block_sort_config_static_selectorELNS0_4arch9wavefront6targetE1EEEvSF_.num_named_barrier, 0
	.set _ZN7rocprim17ROCPRIM_400000_NS6detail17trampoline_kernelINS0_13kernel_configILj256ELj4ELj4294967295EEENS1_37radix_sort_block_sort_config_selectorIdlEEZNS1_21radix_sort_block_sortIS4_Lb0EPdS8_N6thrust23THRUST_200600_302600_NS10device_ptrIlEESC_NS0_19identity_decomposerEEE10hipError_tT1_T2_T3_T4_jRjT5_jjP12ihipStream_tbEUlT_E_NS1_11comp_targetILNS1_3genE4ELNS1_11target_archE910ELNS1_3gpuE8ELNS1_3repE0EEENS1_44radix_sort_block_sort_config_static_selectorELNS0_4arch9wavefront6targetE1EEEvSF_.private_seg_size, 0
	.set _ZN7rocprim17ROCPRIM_400000_NS6detail17trampoline_kernelINS0_13kernel_configILj256ELj4ELj4294967295EEENS1_37radix_sort_block_sort_config_selectorIdlEEZNS1_21radix_sort_block_sortIS4_Lb0EPdS8_N6thrust23THRUST_200600_302600_NS10device_ptrIlEESC_NS0_19identity_decomposerEEE10hipError_tT1_T2_T3_T4_jRjT5_jjP12ihipStream_tbEUlT_E_NS1_11comp_targetILNS1_3genE4ELNS1_11target_archE910ELNS1_3gpuE8ELNS1_3repE0EEENS1_44radix_sort_block_sort_config_static_selectorELNS0_4arch9wavefront6targetE1EEEvSF_.uses_vcc, 0
	.set _ZN7rocprim17ROCPRIM_400000_NS6detail17trampoline_kernelINS0_13kernel_configILj256ELj4ELj4294967295EEENS1_37radix_sort_block_sort_config_selectorIdlEEZNS1_21radix_sort_block_sortIS4_Lb0EPdS8_N6thrust23THRUST_200600_302600_NS10device_ptrIlEESC_NS0_19identity_decomposerEEE10hipError_tT1_T2_T3_T4_jRjT5_jjP12ihipStream_tbEUlT_E_NS1_11comp_targetILNS1_3genE4ELNS1_11target_archE910ELNS1_3gpuE8ELNS1_3repE0EEENS1_44radix_sort_block_sort_config_static_selectorELNS0_4arch9wavefront6targetE1EEEvSF_.uses_flat_scratch, 0
	.set _ZN7rocprim17ROCPRIM_400000_NS6detail17trampoline_kernelINS0_13kernel_configILj256ELj4ELj4294967295EEENS1_37radix_sort_block_sort_config_selectorIdlEEZNS1_21radix_sort_block_sortIS4_Lb0EPdS8_N6thrust23THRUST_200600_302600_NS10device_ptrIlEESC_NS0_19identity_decomposerEEE10hipError_tT1_T2_T3_T4_jRjT5_jjP12ihipStream_tbEUlT_E_NS1_11comp_targetILNS1_3genE4ELNS1_11target_archE910ELNS1_3gpuE8ELNS1_3repE0EEENS1_44radix_sort_block_sort_config_static_selectorELNS0_4arch9wavefront6targetE1EEEvSF_.has_dyn_sized_stack, 0
	.set _ZN7rocprim17ROCPRIM_400000_NS6detail17trampoline_kernelINS0_13kernel_configILj256ELj4ELj4294967295EEENS1_37radix_sort_block_sort_config_selectorIdlEEZNS1_21radix_sort_block_sortIS4_Lb0EPdS8_N6thrust23THRUST_200600_302600_NS10device_ptrIlEESC_NS0_19identity_decomposerEEE10hipError_tT1_T2_T3_T4_jRjT5_jjP12ihipStream_tbEUlT_E_NS1_11comp_targetILNS1_3genE4ELNS1_11target_archE910ELNS1_3gpuE8ELNS1_3repE0EEENS1_44radix_sort_block_sort_config_static_selectorELNS0_4arch9wavefront6targetE1EEEvSF_.has_recursion, 0
	.set _ZN7rocprim17ROCPRIM_400000_NS6detail17trampoline_kernelINS0_13kernel_configILj256ELj4ELj4294967295EEENS1_37radix_sort_block_sort_config_selectorIdlEEZNS1_21radix_sort_block_sortIS4_Lb0EPdS8_N6thrust23THRUST_200600_302600_NS10device_ptrIlEESC_NS0_19identity_decomposerEEE10hipError_tT1_T2_T3_T4_jRjT5_jjP12ihipStream_tbEUlT_E_NS1_11comp_targetILNS1_3genE4ELNS1_11target_archE910ELNS1_3gpuE8ELNS1_3repE0EEENS1_44radix_sort_block_sort_config_static_selectorELNS0_4arch9wavefront6targetE1EEEvSF_.has_indirect_call, 0
	.section	.AMDGPU.csdata,"",@progbits
; Kernel info:
; codeLenInByte = 0
; TotalNumSgprs: 4
; NumVgprs: 0
; ScratchSize: 0
; MemoryBound: 0
; FloatMode: 240
; IeeeMode: 1
; LDSByteSize: 0 bytes/workgroup (compile time only)
; SGPRBlocks: 0
; VGPRBlocks: 0
; NumSGPRsForWavesPerEU: 4
; NumVGPRsForWavesPerEU: 1
; Occupancy: 10
; WaveLimiterHint : 0
; COMPUTE_PGM_RSRC2:SCRATCH_EN: 0
; COMPUTE_PGM_RSRC2:USER_SGPR: 6
; COMPUTE_PGM_RSRC2:TRAP_HANDLER: 0
; COMPUTE_PGM_RSRC2:TGID_X_EN: 1
; COMPUTE_PGM_RSRC2:TGID_Y_EN: 0
; COMPUTE_PGM_RSRC2:TGID_Z_EN: 0
; COMPUTE_PGM_RSRC2:TIDIG_COMP_CNT: 0
	.section	.text._ZN7rocprim17ROCPRIM_400000_NS6detail17trampoline_kernelINS0_13kernel_configILj256ELj4ELj4294967295EEENS1_37radix_sort_block_sort_config_selectorIdlEEZNS1_21radix_sort_block_sortIS4_Lb0EPdS8_N6thrust23THRUST_200600_302600_NS10device_ptrIlEESC_NS0_19identity_decomposerEEE10hipError_tT1_T2_T3_T4_jRjT5_jjP12ihipStream_tbEUlT_E_NS1_11comp_targetILNS1_3genE3ELNS1_11target_archE908ELNS1_3gpuE7ELNS1_3repE0EEENS1_44radix_sort_block_sort_config_static_selectorELNS0_4arch9wavefront6targetE1EEEvSF_,"axG",@progbits,_ZN7rocprim17ROCPRIM_400000_NS6detail17trampoline_kernelINS0_13kernel_configILj256ELj4ELj4294967295EEENS1_37radix_sort_block_sort_config_selectorIdlEEZNS1_21radix_sort_block_sortIS4_Lb0EPdS8_N6thrust23THRUST_200600_302600_NS10device_ptrIlEESC_NS0_19identity_decomposerEEE10hipError_tT1_T2_T3_T4_jRjT5_jjP12ihipStream_tbEUlT_E_NS1_11comp_targetILNS1_3genE3ELNS1_11target_archE908ELNS1_3gpuE7ELNS1_3repE0EEENS1_44radix_sort_block_sort_config_static_selectorELNS0_4arch9wavefront6targetE1EEEvSF_,comdat
	.protected	_ZN7rocprim17ROCPRIM_400000_NS6detail17trampoline_kernelINS0_13kernel_configILj256ELj4ELj4294967295EEENS1_37radix_sort_block_sort_config_selectorIdlEEZNS1_21radix_sort_block_sortIS4_Lb0EPdS8_N6thrust23THRUST_200600_302600_NS10device_ptrIlEESC_NS0_19identity_decomposerEEE10hipError_tT1_T2_T3_T4_jRjT5_jjP12ihipStream_tbEUlT_E_NS1_11comp_targetILNS1_3genE3ELNS1_11target_archE908ELNS1_3gpuE7ELNS1_3repE0EEENS1_44radix_sort_block_sort_config_static_selectorELNS0_4arch9wavefront6targetE1EEEvSF_ ; -- Begin function _ZN7rocprim17ROCPRIM_400000_NS6detail17trampoline_kernelINS0_13kernel_configILj256ELj4ELj4294967295EEENS1_37radix_sort_block_sort_config_selectorIdlEEZNS1_21radix_sort_block_sortIS4_Lb0EPdS8_N6thrust23THRUST_200600_302600_NS10device_ptrIlEESC_NS0_19identity_decomposerEEE10hipError_tT1_T2_T3_T4_jRjT5_jjP12ihipStream_tbEUlT_E_NS1_11comp_targetILNS1_3genE3ELNS1_11target_archE908ELNS1_3gpuE7ELNS1_3repE0EEENS1_44radix_sort_block_sort_config_static_selectorELNS0_4arch9wavefront6targetE1EEEvSF_
	.globl	_ZN7rocprim17ROCPRIM_400000_NS6detail17trampoline_kernelINS0_13kernel_configILj256ELj4ELj4294967295EEENS1_37radix_sort_block_sort_config_selectorIdlEEZNS1_21radix_sort_block_sortIS4_Lb0EPdS8_N6thrust23THRUST_200600_302600_NS10device_ptrIlEESC_NS0_19identity_decomposerEEE10hipError_tT1_T2_T3_T4_jRjT5_jjP12ihipStream_tbEUlT_E_NS1_11comp_targetILNS1_3genE3ELNS1_11target_archE908ELNS1_3gpuE7ELNS1_3repE0EEENS1_44radix_sort_block_sort_config_static_selectorELNS0_4arch9wavefront6targetE1EEEvSF_
	.p2align	8
	.type	_ZN7rocprim17ROCPRIM_400000_NS6detail17trampoline_kernelINS0_13kernel_configILj256ELj4ELj4294967295EEENS1_37radix_sort_block_sort_config_selectorIdlEEZNS1_21radix_sort_block_sortIS4_Lb0EPdS8_N6thrust23THRUST_200600_302600_NS10device_ptrIlEESC_NS0_19identity_decomposerEEE10hipError_tT1_T2_T3_T4_jRjT5_jjP12ihipStream_tbEUlT_E_NS1_11comp_targetILNS1_3genE3ELNS1_11target_archE908ELNS1_3gpuE7ELNS1_3repE0EEENS1_44radix_sort_block_sort_config_static_selectorELNS0_4arch9wavefront6targetE1EEEvSF_,@function
_ZN7rocprim17ROCPRIM_400000_NS6detail17trampoline_kernelINS0_13kernel_configILj256ELj4ELj4294967295EEENS1_37radix_sort_block_sort_config_selectorIdlEEZNS1_21radix_sort_block_sortIS4_Lb0EPdS8_N6thrust23THRUST_200600_302600_NS10device_ptrIlEESC_NS0_19identity_decomposerEEE10hipError_tT1_T2_T3_T4_jRjT5_jjP12ihipStream_tbEUlT_E_NS1_11comp_targetILNS1_3genE3ELNS1_11target_archE908ELNS1_3gpuE7ELNS1_3repE0EEENS1_44radix_sort_block_sort_config_static_selectorELNS0_4arch9wavefront6targetE1EEEvSF_: ; @_ZN7rocprim17ROCPRIM_400000_NS6detail17trampoline_kernelINS0_13kernel_configILj256ELj4ELj4294967295EEENS1_37radix_sort_block_sort_config_selectorIdlEEZNS1_21radix_sort_block_sortIS4_Lb0EPdS8_N6thrust23THRUST_200600_302600_NS10device_ptrIlEESC_NS0_19identity_decomposerEEE10hipError_tT1_T2_T3_T4_jRjT5_jjP12ihipStream_tbEUlT_E_NS1_11comp_targetILNS1_3genE3ELNS1_11target_archE908ELNS1_3gpuE7ELNS1_3repE0EEENS1_44radix_sort_block_sort_config_static_selectorELNS0_4arch9wavefront6targetE1EEEvSF_
; %bb.0:
	.section	.rodata,"a",@progbits
	.p2align	6, 0x0
	.amdhsa_kernel _ZN7rocprim17ROCPRIM_400000_NS6detail17trampoline_kernelINS0_13kernel_configILj256ELj4ELj4294967295EEENS1_37radix_sort_block_sort_config_selectorIdlEEZNS1_21radix_sort_block_sortIS4_Lb0EPdS8_N6thrust23THRUST_200600_302600_NS10device_ptrIlEESC_NS0_19identity_decomposerEEE10hipError_tT1_T2_T3_T4_jRjT5_jjP12ihipStream_tbEUlT_E_NS1_11comp_targetILNS1_3genE3ELNS1_11target_archE908ELNS1_3gpuE7ELNS1_3repE0EEENS1_44radix_sort_block_sort_config_static_selectorELNS0_4arch9wavefront6targetE1EEEvSF_
		.amdhsa_group_segment_fixed_size 0
		.amdhsa_private_segment_fixed_size 0
		.amdhsa_kernarg_size 48
		.amdhsa_user_sgpr_count 6
		.amdhsa_user_sgpr_private_segment_buffer 1
		.amdhsa_user_sgpr_dispatch_ptr 0
		.amdhsa_user_sgpr_queue_ptr 0
		.amdhsa_user_sgpr_kernarg_segment_ptr 1
		.amdhsa_user_sgpr_dispatch_id 0
		.amdhsa_user_sgpr_flat_scratch_init 0
		.amdhsa_user_sgpr_private_segment_size 0
		.amdhsa_uses_dynamic_stack 0
		.amdhsa_system_sgpr_private_segment_wavefront_offset 0
		.amdhsa_system_sgpr_workgroup_id_x 1
		.amdhsa_system_sgpr_workgroup_id_y 0
		.amdhsa_system_sgpr_workgroup_id_z 0
		.amdhsa_system_sgpr_workgroup_info 0
		.amdhsa_system_vgpr_workitem_id 0
		.amdhsa_next_free_vgpr 1
		.amdhsa_next_free_sgpr 0
		.amdhsa_reserve_vcc 0
		.amdhsa_reserve_flat_scratch 0
		.amdhsa_float_round_mode_32 0
		.amdhsa_float_round_mode_16_64 0
		.amdhsa_float_denorm_mode_32 3
		.amdhsa_float_denorm_mode_16_64 3
		.amdhsa_dx10_clamp 1
		.amdhsa_ieee_mode 1
		.amdhsa_fp16_overflow 0
		.amdhsa_exception_fp_ieee_invalid_op 0
		.amdhsa_exception_fp_denorm_src 0
		.amdhsa_exception_fp_ieee_div_zero 0
		.amdhsa_exception_fp_ieee_overflow 0
		.amdhsa_exception_fp_ieee_underflow 0
		.amdhsa_exception_fp_ieee_inexact 0
		.amdhsa_exception_int_div_zero 0
	.end_amdhsa_kernel
	.section	.text._ZN7rocprim17ROCPRIM_400000_NS6detail17trampoline_kernelINS0_13kernel_configILj256ELj4ELj4294967295EEENS1_37radix_sort_block_sort_config_selectorIdlEEZNS1_21radix_sort_block_sortIS4_Lb0EPdS8_N6thrust23THRUST_200600_302600_NS10device_ptrIlEESC_NS0_19identity_decomposerEEE10hipError_tT1_T2_T3_T4_jRjT5_jjP12ihipStream_tbEUlT_E_NS1_11comp_targetILNS1_3genE3ELNS1_11target_archE908ELNS1_3gpuE7ELNS1_3repE0EEENS1_44radix_sort_block_sort_config_static_selectorELNS0_4arch9wavefront6targetE1EEEvSF_,"axG",@progbits,_ZN7rocprim17ROCPRIM_400000_NS6detail17trampoline_kernelINS0_13kernel_configILj256ELj4ELj4294967295EEENS1_37radix_sort_block_sort_config_selectorIdlEEZNS1_21radix_sort_block_sortIS4_Lb0EPdS8_N6thrust23THRUST_200600_302600_NS10device_ptrIlEESC_NS0_19identity_decomposerEEE10hipError_tT1_T2_T3_T4_jRjT5_jjP12ihipStream_tbEUlT_E_NS1_11comp_targetILNS1_3genE3ELNS1_11target_archE908ELNS1_3gpuE7ELNS1_3repE0EEENS1_44radix_sort_block_sort_config_static_selectorELNS0_4arch9wavefront6targetE1EEEvSF_,comdat
.Lfunc_end1527:
	.size	_ZN7rocprim17ROCPRIM_400000_NS6detail17trampoline_kernelINS0_13kernel_configILj256ELj4ELj4294967295EEENS1_37radix_sort_block_sort_config_selectorIdlEEZNS1_21radix_sort_block_sortIS4_Lb0EPdS8_N6thrust23THRUST_200600_302600_NS10device_ptrIlEESC_NS0_19identity_decomposerEEE10hipError_tT1_T2_T3_T4_jRjT5_jjP12ihipStream_tbEUlT_E_NS1_11comp_targetILNS1_3genE3ELNS1_11target_archE908ELNS1_3gpuE7ELNS1_3repE0EEENS1_44radix_sort_block_sort_config_static_selectorELNS0_4arch9wavefront6targetE1EEEvSF_, .Lfunc_end1527-_ZN7rocprim17ROCPRIM_400000_NS6detail17trampoline_kernelINS0_13kernel_configILj256ELj4ELj4294967295EEENS1_37radix_sort_block_sort_config_selectorIdlEEZNS1_21radix_sort_block_sortIS4_Lb0EPdS8_N6thrust23THRUST_200600_302600_NS10device_ptrIlEESC_NS0_19identity_decomposerEEE10hipError_tT1_T2_T3_T4_jRjT5_jjP12ihipStream_tbEUlT_E_NS1_11comp_targetILNS1_3genE3ELNS1_11target_archE908ELNS1_3gpuE7ELNS1_3repE0EEENS1_44radix_sort_block_sort_config_static_selectorELNS0_4arch9wavefront6targetE1EEEvSF_
                                        ; -- End function
	.set _ZN7rocprim17ROCPRIM_400000_NS6detail17trampoline_kernelINS0_13kernel_configILj256ELj4ELj4294967295EEENS1_37radix_sort_block_sort_config_selectorIdlEEZNS1_21radix_sort_block_sortIS4_Lb0EPdS8_N6thrust23THRUST_200600_302600_NS10device_ptrIlEESC_NS0_19identity_decomposerEEE10hipError_tT1_T2_T3_T4_jRjT5_jjP12ihipStream_tbEUlT_E_NS1_11comp_targetILNS1_3genE3ELNS1_11target_archE908ELNS1_3gpuE7ELNS1_3repE0EEENS1_44radix_sort_block_sort_config_static_selectorELNS0_4arch9wavefront6targetE1EEEvSF_.num_vgpr, 0
	.set _ZN7rocprim17ROCPRIM_400000_NS6detail17trampoline_kernelINS0_13kernel_configILj256ELj4ELj4294967295EEENS1_37radix_sort_block_sort_config_selectorIdlEEZNS1_21radix_sort_block_sortIS4_Lb0EPdS8_N6thrust23THRUST_200600_302600_NS10device_ptrIlEESC_NS0_19identity_decomposerEEE10hipError_tT1_T2_T3_T4_jRjT5_jjP12ihipStream_tbEUlT_E_NS1_11comp_targetILNS1_3genE3ELNS1_11target_archE908ELNS1_3gpuE7ELNS1_3repE0EEENS1_44radix_sort_block_sort_config_static_selectorELNS0_4arch9wavefront6targetE1EEEvSF_.num_agpr, 0
	.set _ZN7rocprim17ROCPRIM_400000_NS6detail17trampoline_kernelINS0_13kernel_configILj256ELj4ELj4294967295EEENS1_37radix_sort_block_sort_config_selectorIdlEEZNS1_21radix_sort_block_sortIS4_Lb0EPdS8_N6thrust23THRUST_200600_302600_NS10device_ptrIlEESC_NS0_19identity_decomposerEEE10hipError_tT1_T2_T3_T4_jRjT5_jjP12ihipStream_tbEUlT_E_NS1_11comp_targetILNS1_3genE3ELNS1_11target_archE908ELNS1_3gpuE7ELNS1_3repE0EEENS1_44radix_sort_block_sort_config_static_selectorELNS0_4arch9wavefront6targetE1EEEvSF_.numbered_sgpr, 0
	.set _ZN7rocprim17ROCPRIM_400000_NS6detail17trampoline_kernelINS0_13kernel_configILj256ELj4ELj4294967295EEENS1_37radix_sort_block_sort_config_selectorIdlEEZNS1_21radix_sort_block_sortIS4_Lb0EPdS8_N6thrust23THRUST_200600_302600_NS10device_ptrIlEESC_NS0_19identity_decomposerEEE10hipError_tT1_T2_T3_T4_jRjT5_jjP12ihipStream_tbEUlT_E_NS1_11comp_targetILNS1_3genE3ELNS1_11target_archE908ELNS1_3gpuE7ELNS1_3repE0EEENS1_44radix_sort_block_sort_config_static_selectorELNS0_4arch9wavefront6targetE1EEEvSF_.num_named_barrier, 0
	.set _ZN7rocprim17ROCPRIM_400000_NS6detail17trampoline_kernelINS0_13kernel_configILj256ELj4ELj4294967295EEENS1_37radix_sort_block_sort_config_selectorIdlEEZNS1_21radix_sort_block_sortIS4_Lb0EPdS8_N6thrust23THRUST_200600_302600_NS10device_ptrIlEESC_NS0_19identity_decomposerEEE10hipError_tT1_T2_T3_T4_jRjT5_jjP12ihipStream_tbEUlT_E_NS1_11comp_targetILNS1_3genE3ELNS1_11target_archE908ELNS1_3gpuE7ELNS1_3repE0EEENS1_44radix_sort_block_sort_config_static_selectorELNS0_4arch9wavefront6targetE1EEEvSF_.private_seg_size, 0
	.set _ZN7rocprim17ROCPRIM_400000_NS6detail17trampoline_kernelINS0_13kernel_configILj256ELj4ELj4294967295EEENS1_37radix_sort_block_sort_config_selectorIdlEEZNS1_21radix_sort_block_sortIS4_Lb0EPdS8_N6thrust23THRUST_200600_302600_NS10device_ptrIlEESC_NS0_19identity_decomposerEEE10hipError_tT1_T2_T3_T4_jRjT5_jjP12ihipStream_tbEUlT_E_NS1_11comp_targetILNS1_3genE3ELNS1_11target_archE908ELNS1_3gpuE7ELNS1_3repE0EEENS1_44radix_sort_block_sort_config_static_selectorELNS0_4arch9wavefront6targetE1EEEvSF_.uses_vcc, 0
	.set _ZN7rocprim17ROCPRIM_400000_NS6detail17trampoline_kernelINS0_13kernel_configILj256ELj4ELj4294967295EEENS1_37radix_sort_block_sort_config_selectorIdlEEZNS1_21radix_sort_block_sortIS4_Lb0EPdS8_N6thrust23THRUST_200600_302600_NS10device_ptrIlEESC_NS0_19identity_decomposerEEE10hipError_tT1_T2_T3_T4_jRjT5_jjP12ihipStream_tbEUlT_E_NS1_11comp_targetILNS1_3genE3ELNS1_11target_archE908ELNS1_3gpuE7ELNS1_3repE0EEENS1_44radix_sort_block_sort_config_static_selectorELNS0_4arch9wavefront6targetE1EEEvSF_.uses_flat_scratch, 0
	.set _ZN7rocprim17ROCPRIM_400000_NS6detail17trampoline_kernelINS0_13kernel_configILj256ELj4ELj4294967295EEENS1_37radix_sort_block_sort_config_selectorIdlEEZNS1_21radix_sort_block_sortIS4_Lb0EPdS8_N6thrust23THRUST_200600_302600_NS10device_ptrIlEESC_NS0_19identity_decomposerEEE10hipError_tT1_T2_T3_T4_jRjT5_jjP12ihipStream_tbEUlT_E_NS1_11comp_targetILNS1_3genE3ELNS1_11target_archE908ELNS1_3gpuE7ELNS1_3repE0EEENS1_44radix_sort_block_sort_config_static_selectorELNS0_4arch9wavefront6targetE1EEEvSF_.has_dyn_sized_stack, 0
	.set _ZN7rocprim17ROCPRIM_400000_NS6detail17trampoline_kernelINS0_13kernel_configILj256ELj4ELj4294967295EEENS1_37radix_sort_block_sort_config_selectorIdlEEZNS1_21radix_sort_block_sortIS4_Lb0EPdS8_N6thrust23THRUST_200600_302600_NS10device_ptrIlEESC_NS0_19identity_decomposerEEE10hipError_tT1_T2_T3_T4_jRjT5_jjP12ihipStream_tbEUlT_E_NS1_11comp_targetILNS1_3genE3ELNS1_11target_archE908ELNS1_3gpuE7ELNS1_3repE0EEENS1_44radix_sort_block_sort_config_static_selectorELNS0_4arch9wavefront6targetE1EEEvSF_.has_recursion, 0
	.set _ZN7rocprim17ROCPRIM_400000_NS6detail17trampoline_kernelINS0_13kernel_configILj256ELj4ELj4294967295EEENS1_37radix_sort_block_sort_config_selectorIdlEEZNS1_21radix_sort_block_sortIS4_Lb0EPdS8_N6thrust23THRUST_200600_302600_NS10device_ptrIlEESC_NS0_19identity_decomposerEEE10hipError_tT1_T2_T3_T4_jRjT5_jjP12ihipStream_tbEUlT_E_NS1_11comp_targetILNS1_3genE3ELNS1_11target_archE908ELNS1_3gpuE7ELNS1_3repE0EEENS1_44radix_sort_block_sort_config_static_selectorELNS0_4arch9wavefront6targetE1EEEvSF_.has_indirect_call, 0
	.section	.AMDGPU.csdata,"",@progbits
; Kernel info:
; codeLenInByte = 0
; TotalNumSgprs: 4
; NumVgprs: 0
; ScratchSize: 0
; MemoryBound: 0
; FloatMode: 240
; IeeeMode: 1
; LDSByteSize: 0 bytes/workgroup (compile time only)
; SGPRBlocks: 0
; VGPRBlocks: 0
; NumSGPRsForWavesPerEU: 4
; NumVGPRsForWavesPerEU: 1
; Occupancy: 10
; WaveLimiterHint : 0
; COMPUTE_PGM_RSRC2:SCRATCH_EN: 0
; COMPUTE_PGM_RSRC2:USER_SGPR: 6
; COMPUTE_PGM_RSRC2:TRAP_HANDLER: 0
; COMPUTE_PGM_RSRC2:TGID_X_EN: 1
; COMPUTE_PGM_RSRC2:TGID_Y_EN: 0
; COMPUTE_PGM_RSRC2:TGID_Z_EN: 0
; COMPUTE_PGM_RSRC2:TIDIG_COMP_CNT: 0
	.section	.text._ZN7rocprim17ROCPRIM_400000_NS6detail17trampoline_kernelINS0_13kernel_configILj256ELj4ELj4294967295EEENS1_37radix_sort_block_sort_config_selectorIdlEEZNS1_21radix_sort_block_sortIS4_Lb0EPdS8_N6thrust23THRUST_200600_302600_NS10device_ptrIlEESC_NS0_19identity_decomposerEEE10hipError_tT1_T2_T3_T4_jRjT5_jjP12ihipStream_tbEUlT_E_NS1_11comp_targetILNS1_3genE2ELNS1_11target_archE906ELNS1_3gpuE6ELNS1_3repE0EEENS1_44radix_sort_block_sort_config_static_selectorELNS0_4arch9wavefront6targetE1EEEvSF_,"axG",@progbits,_ZN7rocprim17ROCPRIM_400000_NS6detail17trampoline_kernelINS0_13kernel_configILj256ELj4ELj4294967295EEENS1_37radix_sort_block_sort_config_selectorIdlEEZNS1_21radix_sort_block_sortIS4_Lb0EPdS8_N6thrust23THRUST_200600_302600_NS10device_ptrIlEESC_NS0_19identity_decomposerEEE10hipError_tT1_T2_T3_T4_jRjT5_jjP12ihipStream_tbEUlT_E_NS1_11comp_targetILNS1_3genE2ELNS1_11target_archE906ELNS1_3gpuE6ELNS1_3repE0EEENS1_44radix_sort_block_sort_config_static_selectorELNS0_4arch9wavefront6targetE1EEEvSF_,comdat
	.protected	_ZN7rocprim17ROCPRIM_400000_NS6detail17trampoline_kernelINS0_13kernel_configILj256ELj4ELj4294967295EEENS1_37radix_sort_block_sort_config_selectorIdlEEZNS1_21radix_sort_block_sortIS4_Lb0EPdS8_N6thrust23THRUST_200600_302600_NS10device_ptrIlEESC_NS0_19identity_decomposerEEE10hipError_tT1_T2_T3_T4_jRjT5_jjP12ihipStream_tbEUlT_E_NS1_11comp_targetILNS1_3genE2ELNS1_11target_archE906ELNS1_3gpuE6ELNS1_3repE0EEENS1_44radix_sort_block_sort_config_static_selectorELNS0_4arch9wavefront6targetE1EEEvSF_ ; -- Begin function _ZN7rocprim17ROCPRIM_400000_NS6detail17trampoline_kernelINS0_13kernel_configILj256ELj4ELj4294967295EEENS1_37radix_sort_block_sort_config_selectorIdlEEZNS1_21radix_sort_block_sortIS4_Lb0EPdS8_N6thrust23THRUST_200600_302600_NS10device_ptrIlEESC_NS0_19identity_decomposerEEE10hipError_tT1_T2_T3_T4_jRjT5_jjP12ihipStream_tbEUlT_E_NS1_11comp_targetILNS1_3genE2ELNS1_11target_archE906ELNS1_3gpuE6ELNS1_3repE0EEENS1_44radix_sort_block_sort_config_static_selectorELNS0_4arch9wavefront6targetE1EEEvSF_
	.globl	_ZN7rocprim17ROCPRIM_400000_NS6detail17trampoline_kernelINS0_13kernel_configILj256ELj4ELj4294967295EEENS1_37radix_sort_block_sort_config_selectorIdlEEZNS1_21radix_sort_block_sortIS4_Lb0EPdS8_N6thrust23THRUST_200600_302600_NS10device_ptrIlEESC_NS0_19identity_decomposerEEE10hipError_tT1_T2_T3_T4_jRjT5_jjP12ihipStream_tbEUlT_E_NS1_11comp_targetILNS1_3genE2ELNS1_11target_archE906ELNS1_3gpuE6ELNS1_3repE0EEENS1_44radix_sort_block_sort_config_static_selectorELNS0_4arch9wavefront6targetE1EEEvSF_
	.p2align	8
	.type	_ZN7rocprim17ROCPRIM_400000_NS6detail17trampoline_kernelINS0_13kernel_configILj256ELj4ELj4294967295EEENS1_37radix_sort_block_sort_config_selectorIdlEEZNS1_21radix_sort_block_sortIS4_Lb0EPdS8_N6thrust23THRUST_200600_302600_NS10device_ptrIlEESC_NS0_19identity_decomposerEEE10hipError_tT1_T2_T3_T4_jRjT5_jjP12ihipStream_tbEUlT_E_NS1_11comp_targetILNS1_3genE2ELNS1_11target_archE906ELNS1_3gpuE6ELNS1_3repE0EEENS1_44radix_sort_block_sort_config_static_selectorELNS0_4arch9wavefront6targetE1EEEvSF_,@function
_ZN7rocprim17ROCPRIM_400000_NS6detail17trampoline_kernelINS0_13kernel_configILj256ELj4ELj4294967295EEENS1_37radix_sort_block_sort_config_selectorIdlEEZNS1_21radix_sort_block_sortIS4_Lb0EPdS8_N6thrust23THRUST_200600_302600_NS10device_ptrIlEESC_NS0_19identity_decomposerEEE10hipError_tT1_T2_T3_T4_jRjT5_jjP12ihipStream_tbEUlT_E_NS1_11comp_targetILNS1_3genE2ELNS1_11target_archE906ELNS1_3gpuE6ELNS1_3repE0EEENS1_44radix_sort_block_sort_config_static_selectorELNS0_4arch9wavefront6targetE1EEEvSF_: ; @_ZN7rocprim17ROCPRIM_400000_NS6detail17trampoline_kernelINS0_13kernel_configILj256ELj4ELj4294967295EEENS1_37radix_sort_block_sort_config_selectorIdlEEZNS1_21radix_sort_block_sortIS4_Lb0EPdS8_N6thrust23THRUST_200600_302600_NS10device_ptrIlEESC_NS0_19identity_decomposerEEE10hipError_tT1_T2_T3_T4_jRjT5_jjP12ihipStream_tbEUlT_E_NS1_11comp_targetILNS1_3genE2ELNS1_11target_archE906ELNS1_3gpuE6ELNS1_3repE0EEENS1_44radix_sort_block_sort_config_static_selectorELNS0_4arch9wavefront6targetE1EEEvSF_
; %bb.0:
	s_load_dword s7, s[4:5], 0x20
	s_load_dwordx8 s[36:43], s[4:5], 0x0
	s_lshl_b32 s0, s6, 10
	s_mov_b32 s1, 0
	v_mbcnt_lo_u32_b32 v3, -1, 0
	s_waitcnt lgkmcnt(0)
	s_lshr_b32 s2, s7, 10
	s_cmp_lg_u32 s6, s2
	s_cselect_b64 s[30:31], -1, 0
	s_lshl_b64 s[28:29], s[0:1], 3
	v_mbcnt_hi_u32_b32 v20, -1, v3
	s_add_u32 s1, s36, s28
	v_and_b32_e32 v23, 63, v20
	s_addc_u32 s3, s37, s29
	v_lshlrev_b32_e32 v3, 2, v0
	v_lshlrev_b32_e32 v21, 3, v23
	v_and_b32_e32 v19, 0x300, v3
	v_mov_b32_e32 v3, s3
	v_add_co_u32_e32 v4, vcc, s1, v21
	v_addc_co_u32_e32 v3, vcc, 0, v3, vcc
	v_lshlrev_b32_e32 v22, 3, v19
	v_add_co_u32_e32 v17, vcc, v4, v22
	s_cmp_eq_u32 s6, s2
	v_addc_co_u32_e32 v18, vcc, 0, v3, vcc
	s_cbranch_scc1 .LBB1528_2
; %bb.1:
	s_add_u32 s1, s40, s28
	s_addc_u32 s2, s41, s29
	v_mov_b32_e32 v11, s2
	v_add_co_u32_e32 v12, vcc, s1, v21
	v_addc_co_u32_e32 v11, vcc, 0, v11, vcc
	v_add_co_u32_e32 v24, vcc, v12, v22
	global_load_dwordx2 v[3:4], v[17:18], off
	global_load_dwordx2 v[5:6], v[17:18], off offset:512
	global_load_dwordx2 v[7:8], v[17:18], off offset:1024
	;; [unrolled: 1-line block ×3, first 2 shown]
	v_addc_co_u32_e32 v25, vcc, 0, v11, vcc
	global_load_dwordx2 v[11:12], v[24:25], off
	global_load_dwordx2 v[13:14], v[24:25], off offset:512
	global_load_dwordx2 v[15:16], v[24:25], off offset:1024
	s_mov_b64 s[8:9], -1
	s_load_dwordx2 s[34:35], s[4:5], 0x28
	s_sub_i32 s33, s7, s0
	s_cbranch_execz .LBB1528_3
	s_branch .LBB1528_16
.LBB1528_2:
	s_mov_b64 s[8:9], 0
                                        ; implicit-def: $vgpr3_vgpr4_vgpr5_vgpr6_vgpr7_vgpr8_vgpr9_vgpr10
                                        ; implicit-def: $vgpr11_vgpr12
                                        ; implicit-def: $vgpr15_vgpr16
	s_load_dwordx2 s[34:35], s[4:5], 0x28
	s_sub_i32 s33, s7, s0
.LBB1528_3:
	s_waitcnt vmcnt(2)
	v_or_b32_e32 v11, v23, v19
	v_mov_b32_e32 v3, -1
	v_bfrev_b32_e32 v4, -2
	v_cmp_gt_u32_e32 vcc, s33, v11
	v_mov_b32_e32 v5, v3
	v_mov_b32_e32 v6, v4
	v_mov_b32_e32 v7, v3
	v_mov_b32_e32 v8, v4
	v_mov_b32_e32 v9, v3
	v_mov_b32_e32 v10, v4
	s_and_saveexec_b64 s[0:1], vcc
	s_cbranch_execz .LBB1528_5
; %bb.4:
	global_load_dwordx2 v[23:24], v[17:18], off
	v_mov_b32_e32 v25, v3
	v_mov_b32_e32 v26, v4
	;; [unrolled: 1-line block ×6, first 2 shown]
	s_waitcnt vmcnt(0)
	v_mov_b32_e32 v3, v23
	v_mov_b32_e32 v4, v24
	;; [unrolled: 1-line block ×8, first 2 shown]
.LBB1528_5:
	s_or_b64 exec, exec, s[0:1]
	v_or_b32_e32 v12, 64, v11
	v_cmp_gt_u32_e64 s[0:1], s33, v12
	s_and_saveexec_b64 s[2:3], s[0:1]
	s_cbranch_execz .LBB1528_7
; %bb.6:
	global_load_dwordx2 v[5:6], v[17:18], off offset:512
.LBB1528_7:
	s_or_b64 exec, exec, s[2:3]
	v_or_b32_e32 v12, 0x80, v11
	v_cmp_gt_u32_e64 s[2:3], s33, v12
	s_and_saveexec_b64 s[6:7], s[2:3]
	s_cbranch_execz .LBB1528_9
; %bb.8:
	global_load_dwordx2 v[7:8], v[17:18], off offset:1024
.LBB1528_9:
	;; [unrolled: 8-line block ×3, first 2 shown]
	s_or_b64 exec, exec, s[6:7]
	s_add_u32 s6, s40, s28
	s_addc_u32 s7, s41, s29
	v_mov_b32_e32 v11, s7
	v_add_co_u32_e64 v12, s[6:7], s6, v21
	v_addc_co_u32_e64 v11, s[6:7], 0, v11, s[6:7]
	v_add_co_u32_e64 v17, s[6:7], v12, v22
	v_addc_co_u32_e64 v18, s[6:7], 0, v11, s[6:7]
                                        ; implicit-def: $vgpr11_vgpr12
	s_and_saveexec_b64 s[6:7], vcc
	s_cbranch_execnz .LBB1528_55
; %bb.12:
	s_or_b64 exec, exec, s[6:7]
	s_and_saveexec_b64 s[6:7], s[0:1]
	s_cbranch_execnz .LBB1528_56
.LBB1528_13:
	s_or_b64 exec, exec, s[6:7]
                                        ; implicit-def: $vgpr15_vgpr16
	s_and_saveexec_b64 s[0:1], s[2:3]
	s_cbranch_execz .LBB1528_15
.LBB1528_14:
	global_load_dwordx2 v[15:16], v[17:18], off offset:1024
.LBB1528_15:
	s_or_b64 exec, exec, s[0:1]
.LBB1528_16:
	s_and_saveexec_b64 s[0:1], s[8:9]
	s_cbranch_execz .LBB1528_18
; %bb.17:
	s_add_u32 s2, s40, s28
	s_addc_u32 s3, s41, s29
	v_mov_b32_e32 v17, s3
	v_add_co_u32_e32 v18, vcc, s2, v21
	v_addc_co_u32_e32 v23, vcc, 0, v17, vcc
	v_add_co_u32_e32 v17, vcc, v18, v22
	v_addc_co_u32_e32 v18, vcc, 0, v23, vcc
	global_load_dwordx2 v[17:18], v[17:18], off offset:1536
.LBB1528_18:
	s_or_b64 exec, exec, s[0:1]
	s_load_dword s0, s[4:5], 0x3c
	s_waitcnt vmcnt(6)
	v_cmp_lt_i64_e32 vcc, -1, v[3:4]
	v_bfrev_b32_e32 v41, 1
	v_cndmask_b32_e32 v22, -1, v41, vcc
	s_waitcnt vmcnt(0)
	v_cmp_lt_i64_e32 vcc, -1, v[5:6]
	s_waitcnt lgkmcnt(0)
	s_lshr_b32 s1, s0, 16
	s_and_b32 s0, s0, 0xffff
	v_mad_u32_u24 v1, v2, s1, v1
	v_mad_u64_u32 v[1:2], s[0:1], v1, s0, v[0:1]
	s_add_i32 s40, s35, s34
	v_ashrrev_i32_e32 v23, 31, v4
	v_lshrrev_b32_e32 v1, 4, v1
	v_xor_b32_e32 v4, v22, v4
	v_cndmask_b32_e32 v22, -1, v41, vcc
	v_cmp_lt_i64_e32 vcc, -1, v[7:8]
	s_getpc_b64 s[0:1]
	s_add_u32 s0, s0, _ZN7rocprim17ROCPRIM_400000_NS16block_radix_sortIdLj256ELj4ElLj1ELj1ELj0ELNS0_26block_radix_rank_algorithmE1ELNS0_18block_padding_hintE2ELNS0_4arch9wavefront6targetE1EE19radix_bits_per_passE@rel32@lo+4
	s_addc_u32 s1, s1, _ZN7rocprim17ROCPRIM_400000_NS16block_radix_sortIdLj256ELj4ElLj1ELj1ELj0ELNS0_26block_radix_rank_algorithmE1ELNS0_18block_padding_hintE2ELNS0_4arch9wavefront6targetE1EE19radix_bits_per_passE@rel32@hi+12
	v_and_b32_e32 v43, 0xffffffc, v1
	v_and_b32_e32 v1, 15, v20
	s_load_dword s41, s[0:1], 0x0
	v_cmp_eq_u32_e64 s[0:1], 0, v1
	v_cmp_lt_u32_e64 s[2:3], 1, v1
	v_cmp_lt_u32_e64 s[4:5], 3, v1
	;; [unrolled: 1-line block ×3, first 2 shown]
	v_and_b32_e32 v1, 16, v20
	v_xor_b32_e32 v3, v23, v3
	v_ashrrev_i32_e32 v23, 31, v6
	v_xor_b32_e32 v6, v22, v6
	v_cndmask_b32_e32 v22, -1, v41, vcc
	v_cmp_lt_i64_e32 vcc, -1, v[9:10]
	v_cmp_eq_u32_e64 s[8:9], 0, v1
	v_or_b32_e32 v1, 63, v0
	v_cmp_eq_u32_e64 s[12:13], v0, v1
	v_subrev_co_u32_e64 v1, s[18:19], 1, v20
	v_and_b32_e32 v2, 64, v20
	v_xor_b32_e32 v5, v23, v5
	v_ashrrev_i32_e32 v23, 31, v8
	v_xor_b32_e32 v8, v22, v8
	v_cndmask_b32_e32 v22, -1, v41, vcc
	v_cmp_lt_i32_e32 vcc, v1, v2
	s_mov_b32 s26, 0
	v_cndmask_b32_e32 v1, v1, v20, vcc
	v_lshlrev_b32_e32 v44, 2, v1
	v_lshrrev_b32_e32 v1, 4, v0
	s_mov_b32 s44, s26
	s_mov_b32 s36, -1
	v_xor_b32_e32 v7, v23, v7
	v_ashrrev_i32_e32 v23, 31, v10
	v_xor_b32_e32 v10, v22, v10
	v_lshlrev_b32_e32 v42, 4, v0
	v_cmp_lt_u32_e64 s[10:11], 31, v20
	v_and_b32_e32 v45, 12, v1
	v_mul_i32_i24_e32 v1, -12, v0
	v_and_b32_e32 v2, 3, v20
	v_lshl_add_u32 v47, v19, 3, v21
	s_mov_b32 s27, s26
	s_mov_b32 s45, s26
	v_mov_b32_e32 v19, s26
	v_mov_b32_e32 v21, s44
	s_brev_b32 s37, -2
	v_xor_b32_e32 v9, v23, v9
	v_cmp_gt_u32_e64 s[14:15], 4, v0
	v_cmp_lt_u32_e64 s[16:17], 63, v0
	v_cmp_eq_u32_e64 s[20:21], 0, v0
	v_cmp_eq_u32_e64 s[22:23], 0, v2
	v_cmp_lt_u32_e64 s[24:25], 1, v2
	v_add_u32_e32 v46, -4, v45
	v_mov_b32_e32 v20, s27
	v_mov_b32_e32 v22, s45
	v_mov_b32_e32 v31, 0
	v_add_u32_e32 v48, v42, v1
	s_branch .LBB1528_20
.LBB1528_19:                            ;   in Loop: Header=BB1528_20 Depth=1
	s_andn2_b64 vcc, exec, s[26:27]
	s_cbranch_vccz .LBB1528_36
.LBB1528_20:                            ; =>This Inner Loop Header: Depth=1
	v_mov_b32_e32 v40, v4
	v_mov_b32_e32 v39, v3
	v_cmp_ne_u64_e32 vcc, s[36:37], v[39:40]
	s_waitcnt lgkmcnt(0)
	s_min_u32 s26, s41, s35
	v_cndmask_b32_e32 v2, v41, v40, vcc
	v_cndmask_b32_e32 v1, 0, v39, vcc
	s_lshl_b32 s26, -1, s26
	v_lshrrev_b64 v[1:2], s34, v[1:2]
	s_not_b32 s44, s26
	v_and_b32_e32 v3, s44, v1
	v_and_b32_e32 v1, 1, v3
	v_cmp_ne_u32_e32 vcc, 0, v1
	v_add_co_u32_e64 v1, s[26:27], -1, v1
	v_addc_co_u32_e64 v2, s[26:27], 0, -1, s[26:27]
	v_lshlrev_b32_e32 v32, 30, v3
	v_cmp_gt_i64_e64 s[26:27], 0, v[31:32]
	v_not_b32_e32 v4, v32
	v_mov_b32_e32 v38, v6
	v_ashrrev_i32_e32 v4, 31, v4
	v_xor_b32_e32 v1, vcc_lo, v1
	v_mov_b32_e32 v37, v5
	v_xor_b32_e32 v5, s27, v4
	v_and_b32_e32 v1, exec_lo, v1
	v_xor_b32_e32 v4, s26, v4
	v_lshlrev_b32_e32 v32, 29, v3
	v_xor_b32_e32 v2, vcc_hi, v2
	v_and_b32_e32 v1, v1, v4
	v_cmp_gt_i64_e32 vcc, 0, v[31:32]
	v_not_b32_e32 v4, v32
	v_and_b32_e32 v2, exec_hi, v2
	v_ashrrev_i32_e32 v4, 31, v4
	v_and_b32_e32 v2, v2, v5
	v_xor_b32_e32 v5, vcc_hi, v4
	v_xor_b32_e32 v4, vcc_lo, v4
	v_lshlrev_b32_e32 v32, 28, v3
	v_and_b32_e32 v1, v1, v4
	v_cmp_gt_i64_e32 vcc, 0, v[31:32]
	v_not_b32_e32 v4, v32
	v_ashrrev_i32_e32 v4, 31, v4
	v_and_b32_e32 v2, v2, v5
	v_xor_b32_e32 v5, vcc_hi, v4
	v_xor_b32_e32 v4, vcc_lo, v4
	v_lshlrev_b32_e32 v32, 27, v3
	v_and_b32_e32 v1, v1, v4
	v_cmp_gt_i64_e32 vcc, 0, v[31:32]
	v_not_b32_e32 v4, v32
	;; [unrolled: 8-line block ×5, first 2 shown]
	v_ashrrev_i32_e32 v4, 31, v4
	v_and_b32_e32 v2, v2, v5
	v_xor_b32_e32 v5, vcc_hi, v4
	v_xor_b32_e32 v4, vcc_lo, v4
	v_and_b32_e32 v1, v1, v4
	v_and_b32_e32 v2, v2, v5
	v_mbcnt_lo_u32_b32 v4, v1, 0
	v_mbcnt_hi_u32_b32 v5, v2, v4
	v_cmp_ne_u64_e32 vcc, 0, v[1:2]
	v_mov_b32_e32 v34, v10
	v_mov_b32_e32 v36, v8
	;; [unrolled: 1-line block ×6, first 2 shown]
	v_lshlrev_b32_e32 v3, 4, v3
	v_cmp_eq_u32_e64 s[26:27], 0, v5
	v_mov_b32_e32 v33, v9
	v_mov_b32_e32 v35, v7
	;; [unrolled: 1-line block ×6, first 2 shown]
	s_and_b64 s[46:47], vcc, s[26:27]
	v_add_u32_e32 v6, v43, v3
	ds_write2_b64 v42, v[19:20], v[21:22] offset0:2 offset1:3
	s_waitcnt lgkmcnt(0)
	s_barrier
	; wave barrier
	s_and_saveexec_b64 s[26:27], s[46:47]
; %bb.21:                               ;   in Loop: Header=BB1528_20 Depth=1
	v_bcnt_u32_b32 v1, v1, 0
	v_bcnt_u32_b32 v1, v2, v1
	ds_write_b32 v6, v1 offset:16
; %bb.22:                               ;   in Loop: Header=BB1528_20 Depth=1
	s_or_b64 exec, exec, s[26:27]
	v_cmp_ne_u64_e32 vcc, s[36:37], v[37:38]
	v_cndmask_b32_e32 v2, v41, v38, vcc
	v_cndmask_b32_e32 v1, 0, v37, vcc
	v_lshrrev_b64 v[1:2], s34, v[1:2]
	; wave barrier
	v_and_b32_e32 v1, s44, v1
	v_lshlrev_b32_e32 v2, 4, v1
	v_add_u32_e32 v8, v43, v2
	v_and_b32_e32 v2, 1, v1
	v_add_co_u32_e32 v3, vcc, -1, v2
	v_addc_co_u32_e64 v4, s[26:27], 0, -1, vcc
	v_cmp_ne_u32_e32 vcc, 0, v2
	v_lshlrev_b32_e32 v32, 30, v1
	v_xor_b32_e32 v2, vcc_hi, v4
	v_xor_b32_e32 v3, vcc_lo, v3
	v_cmp_gt_i64_e32 vcc, 0, v[31:32]
	v_not_b32_e32 v4, v32
	v_ashrrev_i32_e32 v4, 31, v4
	v_and_b32_e32 v3, exec_lo, v3
	v_xor_b32_e32 v9, vcc_hi, v4
	v_xor_b32_e32 v4, vcc_lo, v4
	v_lshlrev_b32_e32 v32, 29, v1
	v_and_b32_e32 v3, v3, v4
	v_cmp_gt_i64_e32 vcc, 0, v[31:32]
	v_not_b32_e32 v4, v32
	v_and_b32_e32 v2, exec_hi, v2
	v_ashrrev_i32_e32 v4, 31, v4
	v_and_b32_e32 v2, v2, v9
	v_xor_b32_e32 v9, vcc_hi, v4
	v_xor_b32_e32 v4, vcc_lo, v4
	v_lshlrev_b32_e32 v32, 28, v1
	v_and_b32_e32 v3, v3, v4
	v_cmp_gt_i64_e32 vcc, 0, v[31:32]
	v_not_b32_e32 v4, v32
	v_ashrrev_i32_e32 v4, 31, v4
	v_and_b32_e32 v2, v2, v9
	v_xor_b32_e32 v9, vcc_hi, v4
	v_xor_b32_e32 v4, vcc_lo, v4
	v_lshlrev_b32_e32 v32, 27, v1
	v_and_b32_e32 v3, v3, v4
	v_cmp_gt_i64_e32 vcc, 0, v[31:32]
	v_not_b32_e32 v4, v32
	;; [unrolled: 8-line block ×4, first 2 shown]
	v_ashrrev_i32_e32 v4, 31, v4
	v_lshlrev_b32_e32 v32, 24, v1
	v_and_b32_e32 v2, v2, v9
	v_xor_b32_e32 v9, vcc_hi, v4
	v_xor_b32_e32 v4, vcc_lo, v4
	v_cmp_gt_i64_e32 vcc, 0, v[31:32]
	v_not_b32_e32 v1, v32
	v_ashrrev_i32_e32 v1, 31, v1
	v_and_b32_e32 v3, v3, v4
	v_xor_b32_e32 v4, vcc_hi, v1
	v_xor_b32_e32 v1, vcc_lo, v1
	ds_read_b32 v7, v8 offset:16
	v_and_b32_e32 v2, v2, v9
	v_and_b32_e32 v1, v3, v1
	;; [unrolled: 1-line block ×3, first 2 shown]
	v_mbcnt_lo_u32_b32 v3, v1, 0
	v_mbcnt_hi_u32_b32 v9, v2, v3
	v_cmp_ne_u64_e32 vcc, 0, v[1:2]
	v_cmp_eq_u32_e64 s[26:27], 0, v9
	s_and_b64 s[46:47], vcc, s[26:27]
	; wave barrier
	s_and_saveexec_b64 s[26:27], s[46:47]
	s_cbranch_execz .LBB1528_24
; %bb.23:                               ;   in Loop: Header=BB1528_20 Depth=1
	v_bcnt_u32_b32 v1, v1, 0
	v_bcnt_u32_b32 v1, v2, v1
	s_waitcnt lgkmcnt(0)
	v_add_u32_e32 v1, v7, v1
	ds_write_b32 v8, v1 offset:16
.LBB1528_24:                            ;   in Loop: Header=BB1528_20 Depth=1
	s_or_b64 exec, exec, s[26:27]
	v_cmp_ne_u64_e32 vcc, s[36:37], v[35:36]
	v_cndmask_b32_e32 v2, v41, v36, vcc
	v_cndmask_b32_e32 v1, 0, v35, vcc
	v_lshrrev_b64 v[1:2], s34, v[1:2]
	; wave barrier
	v_and_b32_e32 v1, s44, v1
	v_lshlrev_b32_e32 v2, 4, v1
	v_add_u32_e32 v11, v43, v2
	v_and_b32_e32 v2, 1, v1
	v_add_co_u32_e32 v3, vcc, -1, v2
	v_addc_co_u32_e64 v4, s[26:27], 0, -1, vcc
	v_cmp_ne_u32_e32 vcc, 0, v2
	v_lshlrev_b32_e32 v32, 30, v1
	v_xor_b32_e32 v2, vcc_hi, v4
	v_xor_b32_e32 v3, vcc_lo, v3
	v_cmp_gt_i64_e32 vcc, 0, v[31:32]
	v_not_b32_e32 v4, v32
	v_ashrrev_i32_e32 v4, 31, v4
	v_and_b32_e32 v3, exec_lo, v3
	v_xor_b32_e32 v12, vcc_hi, v4
	v_xor_b32_e32 v4, vcc_lo, v4
	v_lshlrev_b32_e32 v32, 29, v1
	v_and_b32_e32 v3, v3, v4
	v_cmp_gt_i64_e32 vcc, 0, v[31:32]
	v_not_b32_e32 v4, v32
	v_and_b32_e32 v2, exec_hi, v2
	v_ashrrev_i32_e32 v4, 31, v4
	v_and_b32_e32 v2, v2, v12
	v_xor_b32_e32 v12, vcc_hi, v4
	v_xor_b32_e32 v4, vcc_lo, v4
	v_lshlrev_b32_e32 v32, 28, v1
	v_and_b32_e32 v3, v3, v4
	v_cmp_gt_i64_e32 vcc, 0, v[31:32]
	v_not_b32_e32 v4, v32
	v_ashrrev_i32_e32 v4, 31, v4
	v_and_b32_e32 v2, v2, v12
	v_xor_b32_e32 v12, vcc_hi, v4
	v_xor_b32_e32 v4, vcc_lo, v4
	v_lshlrev_b32_e32 v32, 27, v1
	v_and_b32_e32 v3, v3, v4
	v_cmp_gt_i64_e32 vcc, 0, v[31:32]
	v_not_b32_e32 v4, v32
	;; [unrolled: 8-line block ×4, first 2 shown]
	v_ashrrev_i32_e32 v4, 31, v4
	v_lshlrev_b32_e32 v32, 24, v1
	v_and_b32_e32 v2, v2, v12
	v_xor_b32_e32 v12, vcc_hi, v4
	v_xor_b32_e32 v4, vcc_lo, v4
	v_cmp_gt_i64_e32 vcc, 0, v[31:32]
	v_not_b32_e32 v1, v32
	v_ashrrev_i32_e32 v1, 31, v1
	v_and_b32_e32 v3, v3, v4
	v_xor_b32_e32 v4, vcc_hi, v1
	v_xor_b32_e32 v1, vcc_lo, v1
	ds_read_b32 v10, v11 offset:16
	v_and_b32_e32 v2, v2, v12
	v_and_b32_e32 v1, v3, v1
	;; [unrolled: 1-line block ×3, first 2 shown]
	v_mbcnt_lo_u32_b32 v3, v1, 0
	v_mbcnt_hi_u32_b32 v12, v2, v3
	v_cmp_ne_u64_e32 vcc, 0, v[1:2]
	v_cmp_eq_u32_e64 s[26:27], 0, v12
	s_and_b64 s[46:47], vcc, s[26:27]
	; wave barrier
	s_and_saveexec_b64 s[26:27], s[46:47]
	s_cbranch_execz .LBB1528_26
; %bb.25:                               ;   in Loop: Header=BB1528_20 Depth=1
	v_bcnt_u32_b32 v1, v1, 0
	v_bcnt_u32_b32 v1, v2, v1
	s_waitcnt lgkmcnt(0)
	v_add_u32_e32 v1, v10, v1
	ds_write_b32 v11, v1 offset:16
.LBB1528_26:                            ;   in Loop: Header=BB1528_20 Depth=1
	s_or_b64 exec, exec, s[26:27]
	v_cmp_ne_u64_e32 vcc, s[36:37], v[33:34]
	v_cndmask_b32_e32 v2, v41, v34, vcc
	v_cndmask_b32_e32 v1, 0, v33, vcc
	v_lshrrev_b64 v[1:2], s34, v[1:2]
	; wave barrier
	v_and_b32_e32 v1, s44, v1
	v_lshlrev_b32_e32 v2, 4, v1
	v_add_u32_e32 v14, v43, v2
	v_and_b32_e32 v2, 1, v1
	v_add_co_u32_e32 v3, vcc, -1, v2
	v_addc_co_u32_e64 v4, s[26:27], 0, -1, vcc
	v_cmp_ne_u32_e32 vcc, 0, v2
	v_lshlrev_b32_e32 v32, 30, v1
	v_xor_b32_e32 v2, vcc_hi, v4
	v_xor_b32_e32 v3, vcc_lo, v3
	v_cmp_gt_i64_e32 vcc, 0, v[31:32]
	v_not_b32_e32 v4, v32
	v_ashrrev_i32_e32 v4, 31, v4
	v_and_b32_e32 v3, exec_lo, v3
	v_xor_b32_e32 v15, vcc_hi, v4
	v_xor_b32_e32 v4, vcc_lo, v4
	v_lshlrev_b32_e32 v32, 29, v1
	v_and_b32_e32 v3, v3, v4
	v_cmp_gt_i64_e32 vcc, 0, v[31:32]
	v_not_b32_e32 v4, v32
	v_and_b32_e32 v2, exec_hi, v2
	v_ashrrev_i32_e32 v4, 31, v4
	v_and_b32_e32 v2, v2, v15
	v_xor_b32_e32 v15, vcc_hi, v4
	v_xor_b32_e32 v4, vcc_lo, v4
	v_lshlrev_b32_e32 v32, 28, v1
	v_and_b32_e32 v3, v3, v4
	v_cmp_gt_i64_e32 vcc, 0, v[31:32]
	v_not_b32_e32 v4, v32
	v_ashrrev_i32_e32 v4, 31, v4
	v_and_b32_e32 v2, v2, v15
	v_xor_b32_e32 v15, vcc_hi, v4
	v_xor_b32_e32 v4, vcc_lo, v4
	v_lshlrev_b32_e32 v32, 27, v1
	v_and_b32_e32 v3, v3, v4
	v_cmp_gt_i64_e32 vcc, 0, v[31:32]
	v_not_b32_e32 v4, v32
	;; [unrolled: 8-line block ×4, first 2 shown]
	v_ashrrev_i32_e32 v4, 31, v4
	v_lshlrev_b32_e32 v32, 24, v1
	v_and_b32_e32 v2, v2, v15
	v_xor_b32_e32 v15, vcc_hi, v4
	v_xor_b32_e32 v4, vcc_lo, v4
	v_cmp_gt_i64_e32 vcc, 0, v[31:32]
	v_not_b32_e32 v1, v32
	v_ashrrev_i32_e32 v1, 31, v1
	v_and_b32_e32 v3, v3, v4
	v_xor_b32_e32 v4, vcc_hi, v1
	v_xor_b32_e32 v1, vcc_lo, v1
	ds_read_b32 v13, v14 offset:16
	v_and_b32_e32 v2, v2, v15
	v_and_b32_e32 v1, v3, v1
	;; [unrolled: 1-line block ×3, first 2 shown]
	v_mbcnt_lo_u32_b32 v3, v1, 0
	v_mbcnt_hi_u32_b32 v15, v2, v3
	v_cmp_ne_u64_e32 vcc, 0, v[1:2]
	v_cmp_eq_u32_e64 s[26:27], 0, v15
	s_and_b64 s[44:45], vcc, s[26:27]
	; wave barrier
	s_and_saveexec_b64 s[26:27], s[44:45]
	s_cbranch_execz .LBB1528_28
; %bb.27:                               ;   in Loop: Header=BB1528_20 Depth=1
	v_bcnt_u32_b32 v1, v1, 0
	v_bcnt_u32_b32 v1, v2, v1
	s_waitcnt lgkmcnt(0)
	v_add_u32_e32 v1, v13, v1
	ds_write_b32 v14, v1 offset:16
.LBB1528_28:                            ;   in Loop: Header=BB1528_20 Depth=1
	s_or_b64 exec, exec, s[26:27]
	; wave barrier
	s_waitcnt lgkmcnt(0)
	s_barrier
	ds_read2_b64 v[1:4], v42 offset0:2 offset1:3
	s_waitcnt lgkmcnt(0)
	v_add_u32_e32 v16, v2, v1
	v_add3_u32 v4, v16, v3, v4
	s_nop 1
	v_mov_b32_dpp v16, v4 row_shr:1 row_mask:0xf bank_mask:0xf
	v_cndmask_b32_e64 v16, v16, 0, s[0:1]
	v_add_u32_e32 v4, v16, v4
	s_nop 1
	v_mov_b32_dpp v16, v4 row_shr:2 row_mask:0xf bank_mask:0xf
	v_cndmask_b32_e64 v16, 0, v16, s[2:3]
	v_add_u32_e32 v4, v4, v16
	;; [unrolled: 4-line block ×4, first 2 shown]
	s_nop 1
	v_mov_b32_dpp v16, v4 row_bcast:15 row_mask:0xf bank_mask:0xf
	v_cndmask_b32_e64 v16, v16, 0, s[8:9]
	v_add_u32_e32 v4, v4, v16
	s_nop 1
	v_mov_b32_dpp v16, v4 row_bcast:31 row_mask:0xf bank_mask:0xf
	v_cndmask_b32_e64 v16, 0, v16, s[10:11]
	v_add_u32_e32 v4, v4, v16
	s_and_saveexec_b64 s[26:27], s[12:13]
; %bb.29:                               ;   in Loop: Header=BB1528_20 Depth=1
	ds_write_b32 v45, v4
; %bb.30:                               ;   in Loop: Header=BB1528_20 Depth=1
	s_or_b64 exec, exec, s[26:27]
	s_waitcnt lgkmcnt(0)
	s_barrier
	s_and_saveexec_b64 s[26:27], s[14:15]
	s_cbranch_execz .LBB1528_32
; %bb.31:                               ;   in Loop: Header=BB1528_20 Depth=1
	ds_read_b32 v16, v48
	s_waitcnt lgkmcnt(0)
	s_nop 0
	v_mov_b32_dpp v17, v16 row_shr:1 row_mask:0xf bank_mask:0xf
	v_cndmask_b32_e64 v17, v17, 0, s[22:23]
	v_add_u32_e32 v16, v17, v16
	s_nop 1
	v_mov_b32_dpp v17, v16 row_shr:2 row_mask:0xf bank_mask:0xf
	v_cndmask_b32_e64 v17, 0, v17, s[24:25]
	v_add_u32_e32 v16, v16, v17
	ds_write_b32 v48, v16
.LBB1528_32:                            ;   in Loop: Header=BB1528_20 Depth=1
	s_or_b64 exec, exec, s[26:27]
	v_mov_b32_e32 v16, 0
	s_waitcnt lgkmcnt(0)
	s_barrier
	s_and_saveexec_b64 s[26:27], s[16:17]
; %bb.33:                               ;   in Loop: Header=BB1528_20 Depth=1
	ds_read_b32 v16, v46
; %bb.34:                               ;   in Loop: Header=BB1528_20 Depth=1
	s_or_b64 exec, exec, s[26:27]
	s_waitcnt lgkmcnt(0)
	v_add_u32_e32 v4, v16, v4
	ds_bpermute_b32 v4, v44, v4
	v_lshlrev_b32_e32 v5, 3, v5
	s_add_i32 s34, s34, 8
	s_cmp_ge_u32 s34, s40
	s_mov_b64 s[26:27], -1
	s_waitcnt lgkmcnt(0)
	v_cndmask_b32_e64 v4, v4, v16, s[18:19]
	v_cndmask_b32_e64 v16, v4, 0, s[20:21]
	v_add_u32_e32 v17, v16, v1
	v_add_u32_e32 v1, v17, v2
	;; [unrolled: 1-line block ×3, first 2 shown]
	ds_write2_b64 v42, v[16:17], v[1:2] offset0:2 offset1:3
	s_waitcnt lgkmcnt(0)
	s_barrier
	ds_read_b32 v1, v6 offset:16
	ds_read_b32 v2, v8 offset:16
	;; [unrolled: 1-line block ×4, first 2 shown]
	v_lshlrev_b32_e32 v6, 3, v7
	s_waitcnt lgkmcnt(3)
	v_lshl_add_u32 v1, v1, 3, v5
	v_lshlrev_b32_e32 v5, 3, v9
	s_waitcnt lgkmcnt(2)
	v_lshlrev_b32_e32 v2, 3, v2
	v_add3_u32 v2, v5, v6, v2
	v_lshlrev_b32_e32 v5, 3, v12
	v_lshlrev_b32_e32 v6, 3, v10
	s_waitcnt lgkmcnt(1)
	v_lshlrev_b32_e32 v3, 3, v3
	v_add3_u32 v32, v5, v6, v3
	v_lshlrev_b32_e32 v3, 3, v15
	v_lshlrev_b32_e32 v5, 3, v13
	s_waitcnt lgkmcnt(0)
	v_lshlrev_b32_e32 v4, 3, v4
	v_add3_u32 v49, v3, v5, v4
                                        ; implicit-def: $vgpr9_vgpr10
                                        ; implicit-def: $vgpr5_vgpr6
                                        ; implicit-def: $vgpr11_vgpr12
                                        ; implicit-def: $vgpr15_vgpr16
	s_cbranch_scc1 .LBB1528_19
; %bb.35:                               ;   in Loop: Header=BB1528_20 Depth=1
	s_barrier
	ds_write_b64 v1, v[39:40]
	ds_write_b64 v2, v[37:38]
	ds_write_b64 v32, v[35:36]
	ds_write_b64 v49, v[33:34]
	s_waitcnt lgkmcnt(0)
	s_barrier
	ds_read2st64_b64 v[3:6], v47 offset1:1
	ds_read2st64_b64 v[7:10], v47 offset0:2 offset1:3
	s_waitcnt lgkmcnt(0)
	s_barrier
	ds_write_b64 v1, v[29:30]
	ds_write_b64 v2, v[27:28]
	;; [unrolled: 1-line block ×4, first 2 shown]
	s_waitcnt lgkmcnt(0)
	s_barrier
	ds_read2st64_b64 v[11:14], v47 offset1:1
	ds_read2st64_b64 v[15:18], v47 offset0:2 offset1:3
	s_add_i32 s35, s35, -8
	s_mov_b64 s[26:27], 0
	s_waitcnt lgkmcnt(0)
	s_barrier
	s_branch .LBB1528_19
.LBB1528_36:
	v_lshlrev_b32_e32 v19, 3, v0
	s_barrier
	ds_write_b64 v1, v[39:40]
	ds_write_b64 v2, v[37:38]
	;; [unrolled: 1-line block ×4, first 2 shown]
	s_waitcnt lgkmcnt(0)
	s_barrier
	ds_read2st64_b64 v[9:12], v19 offset1:4
	ds_read2st64_b64 v[33:36], v19 offset0:8 offset1:12
	v_bfrev_b32_e32 v13, 1
	s_waitcnt lgkmcnt(0)
	s_barrier
	v_cmp_lt_i64_e32 vcc, -1, v[9:10]
	v_ashrrev_i32_e32 v15, 31, v10
	v_cndmask_b32_e64 v14, v13, -1, vcc
	v_cmp_lt_i64_e32 vcc, -1, v[11:12]
	v_not_b32_e32 v15, v15
	v_xor_b32_e32 v18, v14, v10
	v_ashrrev_i32_e32 v10, 31, v12
	v_xor_b32_e32 v17, v15, v9
	v_cndmask_b32_e64 v9, v13, -1, vcc
	v_not_b32_e32 v10, v10
	v_cmp_lt_i64_e32 vcc, -1, v[33:34]
	v_xor_b32_e32 v15, v10, v11
	v_ashrrev_i32_e32 v10, 31, v34
	v_xor_b32_e32 v16, v9, v12
	v_cndmask_b32_e64 v9, v13, -1, vcc
	v_not_b32_e32 v10, v10
	v_cmp_lt_i64_e32 vcc, -1, v[35:36]
	ds_write_b64 v1, v[29:30]
	ds_write_b64 v2, v[27:28]
	;; [unrolled: 1-line block ×4, first 2 shown]
	s_waitcnt lgkmcnt(0)
	s_barrier
	ds_read2st64_b64 v[5:8], v19 offset1:4
	ds_read2st64_b64 v[1:4], v19 offset0:8 offset1:12
	v_xor_b32_e32 v11, v10, v33
	v_ashrrev_i32_e32 v10, 31, v36
	s_add_u32 s2, s38, s28
	v_xor_b32_e32 v12, v9, v34
	v_cndmask_b32_e64 v9, v13, -1, vcc
	v_not_b32_e32 v13, v10
	s_addc_u32 s3, s39, s29
	v_xor_b32_e32 v10, v9, v36
	v_xor_b32_e32 v9, v13, v35
	v_mov_b32_e32 v14, s3
	v_add_co_u32_e32 v13, vcc, s2, v19
	v_addc_co_u32_e32 v14, vcc, 0, v14, vcc
	s_mov_b64 s[0:1], -1
	s_andn2_b64 vcc, exec, s[30:31]
	s_mov_b64 s[6:7], 0
	s_cbranch_vccz .LBB1528_40
; %bb.37:
	s_andn2_b64 vcc, exec, s[0:1]
	s_cbranch_vccz .LBB1528_41
.LBB1528_38:
	s_and_saveexec_b64 s[0:1], s[6:7]
	s_cbranch_execnz .LBB1528_54
.LBB1528_39:
	s_endpgm
.LBB1528_40:
	v_add_co_u32_e32 v20, vcc, 0x1000, v13
	s_add_u32 s0, s42, s28
	v_addc_co_u32_e32 v21, vcc, 0, v14, vcc
	s_addc_u32 s1, s43, s29
	global_store_dwordx2 v[13:14], v[17:18], off
	global_store_dwordx2 v[13:14], v[15:16], off offset:2048
	global_store_dwordx2 v[20:21], v[11:12], off
	global_store_dwordx2 v[20:21], v[9:10], off offset:2048
	v_mov_b32_e32 v20, s1
	v_add_co_u32_e32 v21, vcc, s0, v19
	v_addc_co_u32_e32 v22, vcc, 0, v20, vcc
	v_add_co_u32_e32 v20, vcc, 0x1000, v21
	s_waitcnt lgkmcnt(1)
	global_store_dwordx2 v19, v[5:6], s[0:1]
	global_store_dwordx2 v19, v[7:8], s[0:1] offset:2048
	v_addc_co_u32_e32 v21, vcc, 0, v22, vcc
	s_mov_b64 s[6:7], -1
	s_waitcnt lgkmcnt(0)
	global_store_dwordx2 v[20:21], v[1:2], off
	s_cbranch_execnz .LBB1528_38
.LBB1528_41:
	v_cmp_gt_u32_e64 s[0:1], s33, v0
	s_and_saveexec_b64 s[2:3], s[0:1]
	s_cbranch_execz .LBB1528_43
; %bb.42:
	global_store_dwordx2 v[13:14], v[17:18], off
.LBB1528_43:
	s_or_b64 exec, exec, s[2:3]
	v_or_b32_e32 v17, 0x100, v0
	v_cmp_gt_u32_e64 s[2:3], s33, v17
	s_and_saveexec_b64 s[4:5], s[2:3]
	s_cbranch_execz .LBB1528_45
; %bb.44:
	global_store_dwordx2 v[13:14], v[15:16], off offset:2048
.LBB1528_45:
	s_or_b64 exec, exec, s[4:5]
	v_or_b32_e32 v15, 0x200, v0
	v_cmp_gt_u32_e64 s[4:5], s33, v15
	s_and_saveexec_b64 s[6:7], s[4:5]
	s_cbranch_execz .LBB1528_47
; %bb.46:
	v_add_co_u32_e32 v15, vcc, 0x1000, v13
	v_addc_co_u32_e32 v16, vcc, 0, v14, vcc
	global_store_dwordx2 v[15:16], v[11:12], off
.LBB1528_47:
	s_or_b64 exec, exec, s[6:7]
	v_or_b32_e32 v0, 0x300, v0
	v_cmp_gt_u32_e64 s[6:7], s33, v0
	s_and_saveexec_b64 s[8:9], s[6:7]
	s_cbranch_execz .LBB1528_49
; %bb.48:
	v_add_co_u32_e32 v11, vcc, 0x1000, v13
	v_addc_co_u32_e32 v12, vcc, 0, v14, vcc
	global_store_dwordx2 v[11:12], v[9:10], off offset:2048
.LBB1528_49:
	s_or_b64 exec, exec, s[8:9]
	s_add_u32 s8, s42, s28
	s_addc_u32 s9, s43, s29
	v_mov_b32_e32 v0, s9
	v_add_co_u32_e32 v9, vcc, s8, v19
	v_addc_co_u32_e32 v10, vcc, 0, v0, vcc
	s_and_saveexec_b64 s[8:9], s[0:1]
	s_cbranch_execnz .LBB1528_57
; %bb.50:
	s_or_b64 exec, exec, s[8:9]
	s_and_saveexec_b64 s[0:1], s[2:3]
	s_cbranch_execnz .LBB1528_58
.LBB1528_51:
	s_or_b64 exec, exec, s[0:1]
	s_and_saveexec_b64 s[0:1], s[4:5]
	s_cbranch_execz .LBB1528_53
.LBB1528_52:
	s_waitcnt lgkmcnt(1)
	v_add_co_u32_e32 v5, vcc, 0x1000, v9
	v_addc_co_u32_e32 v6, vcc, 0, v10, vcc
	s_waitcnt lgkmcnt(0)
	global_store_dwordx2 v[5:6], v[1:2], off
.LBB1528_53:
	s_or_b64 exec, exec, s[0:1]
	s_and_saveexec_b64 s[0:1], s[6:7]
	s_cbranch_execz .LBB1528_39
.LBB1528_54:
	s_add_u32 s0, s42, s28
	s_addc_u32 s1, s43, s29
	v_mov_b32_e32 v0, s1
	s_waitcnt lgkmcnt(0)
	v_add_co_u32_e32 v1, vcc, s0, v19
	v_addc_co_u32_e32 v2, vcc, 0, v0, vcc
	v_add_co_u32_e32 v0, vcc, 0x1000, v1
	v_addc_co_u32_e32 v1, vcc, 0, v2, vcc
	global_store_dwordx2 v[0:1], v[3:4], off offset:2048
	s_endpgm
.LBB1528_55:
	global_load_dwordx2 v[11:12], v[17:18], off
	s_or_b64 exec, exec, s[6:7]
	s_and_saveexec_b64 s[6:7], s[0:1]
	s_cbranch_execz .LBB1528_13
.LBB1528_56:
	global_load_dwordx2 v[13:14], v[17:18], off offset:512
	s_or_b64 exec, exec, s[6:7]
                                        ; implicit-def: $vgpr15_vgpr16
	s_and_saveexec_b64 s[0:1], s[2:3]
	s_cbranch_execnz .LBB1528_14
	s_branch .LBB1528_15
.LBB1528_57:
	s_waitcnt lgkmcnt(1)
	global_store_dwordx2 v[9:10], v[5:6], off
	s_or_b64 exec, exec, s[8:9]
	s_and_saveexec_b64 s[0:1], s[2:3]
	s_cbranch_execz .LBB1528_51
.LBB1528_58:
	s_waitcnt lgkmcnt(1)
	global_store_dwordx2 v[9:10], v[7:8], off offset:2048
	s_or_b64 exec, exec, s[0:1]
	s_and_saveexec_b64 s[0:1], s[4:5]
	s_cbranch_execnz .LBB1528_52
	s_branch .LBB1528_53
	.section	.rodata,"a",@progbits
	.p2align	6, 0x0
	.amdhsa_kernel _ZN7rocprim17ROCPRIM_400000_NS6detail17trampoline_kernelINS0_13kernel_configILj256ELj4ELj4294967295EEENS1_37radix_sort_block_sort_config_selectorIdlEEZNS1_21radix_sort_block_sortIS4_Lb0EPdS8_N6thrust23THRUST_200600_302600_NS10device_ptrIlEESC_NS0_19identity_decomposerEEE10hipError_tT1_T2_T3_T4_jRjT5_jjP12ihipStream_tbEUlT_E_NS1_11comp_targetILNS1_3genE2ELNS1_11target_archE906ELNS1_3gpuE6ELNS1_3repE0EEENS1_44radix_sort_block_sort_config_static_selectorELNS0_4arch9wavefront6targetE1EEEvSF_
		.amdhsa_group_segment_fixed_size 8192
		.amdhsa_private_segment_fixed_size 0
		.amdhsa_kernarg_size 304
		.amdhsa_user_sgpr_count 6
		.amdhsa_user_sgpr_private_segment_buffer 1
		.amdhsa_user_sgpr_dispatch_ptr 0
		.amdhsa_user_sgpr_queue_ptr 0
		.amdhsa_user_sgpr_kernarg_segment_ptr 1
		.amdhsa_user_sgpr_dispatch_id 0
		.amdhsa_user_sgpr_flat_scratch_init 0
		.amdhsa_user_sgpr_private_segment_size 0
		.amdhsa_uses_dynamic_stack 0
		.amdhsa_system_sgpr_private_segment_wavefront_offset 0
		.amdhsa_system_sgpr_workgroup_id_x 1
		.amdhsa_system_sgpr_workgroup_id_y 0
		.amdhsa_system_sgpr_workgroup_id_z 0
		.amdhsa_system_sgpr_workgroup_info 0
		.amdhsa_system_vgpr_workitem_id 2
		.amdhsa_next_free_vgpr 50
		.amdhsa_next_free_sgpr 61
		.amdhsa_reserve_vcc 1
		.amdhsa_reserve_flat_scratch 0
		.amdhsa_float_round_mode_32 0
		.amdhsa_float_round_mode_16_64 0
		.amdhsa_float_denorm_mode_32 3
		.amdhsa_float_denorm_mode_16_64 3
		.amdhsa_dx10_clamp 1
		.amdhsa_ieee_mode 1
		.amdhsa_fp16_overflow 0
		.amdhsa_exception_fp_ieee_invalid_op 0
		.amdhsa_exception_fp_denorm_src 0
		.amdhsa_exception_fp_ieee_div_zero 0
		.amdhsa_exception_fp_ieee_overflow 0
		.amdhsa_exception_fp_ieee_underflow 0
		.amdhsa_exception_fp_ieee_inexact 0
		.amdhsa_exception_int_div_zero 0
	.end_amdhsa_kernel
	.section	.text._ZN7rocprim17ROCPRIM_400000_NS6detail17trampoline_kernelINS0_13kernel_configILj256ELj4ELj4294967295EEENS1_37radix_sort_block_sort_config_selectorIdlEEZNS1_21radix_sort_block_sortIS4_Lb0EPdS8_N6thrust23THRUST_200600_302600_NS10device_ptrIlEESC_NS0_19identity_decomposerEEE10hipError_tT1_T2_T3_T4_jRjT5_jjP12ihipStream_tbEUlT_E_NS1_11comp_targetILNS1_3genE2ELNS1_11target_archE906ELNS1_3gpuE6ELNS1_3repE0EEENS1_44radix_sort_block_sort_config_static_selectorELNS0_4arch9wavefront6targetE1EEEvSF_,"axG",@progbits,_ZN7rocprim17ROCPRIM_400000_NS6detail17trampoline_kernelINS0_13kernel_configILj256ELj4ELj4294967295EEENS1_37radix_sort_block_sort_config_selectorIdlEEZNS1_21radix_sort_block_sortIS4_Lb0EPdS8_N6thrust23THRUST_200600_302600_NS10device_ptrIlEESC_NS0_19identity_decomposerEEE10hipError_tT1_T2_T3_T4_jRjT5_jjP12ihipStream_tbEUlT_E_NS1_11comp_targetILNS1_3genE2ELNS1_11target_archE906ELNS1_3gpuE6ELNS1_3repE0EEENS1_44radix_sort_block_sort_config_static_selectorELNS0_4arch9wavefront6targetE1EEEvSF_,comdat
.Lfunc_end1528:
	.size	_ZN7rocprim17ROCPRIM_400000_NS6detail17trampoline_kernelINS0_13kernel_configILj256ELj4ELj4294967295EEENS1_37radix_sort_block_sort_config_selectorIdlEEZNS1_21radix_sort_block_sortIS4_Lb0EPdS8_N6thrust23THRUST_200600_302600_NS10device_ptrIlEESC_NS0_19identity_decomposerEEE10hipError_tT1_T2_T3_T4_jRjT5_jjP12ihipStream_tbEUlT_E_NS1_11comp_targetILNS1_3genE2ELNS1_11target_archE906ELNS1_3gpuE6ELNS1_3repE0EEENS1_44radix_sort_block_sort_config_static_selectorELNS0_4arch9wavefront6targetE1EEEvSF_, .Lfunc_end1528-_ZN7rocprim17ROCPRIM_400000_NS6detail17trampoline_kernelINS0_13kernel_configILj256ELj4ELj4294967295EEENS1_37radix_sort_block_sort_config_selectorIdlEEZNS1_21radix_sort_block_sortIS4_Lb0EPdS8_N6thrust23THRUST_200600_302600_NS10device_ptrIlEESC_NS0_19identity_decomposerEEE10hipError_tT1_T2_T3_T4_jRjT5_jjP12ihipStream_tbEUlT_E_NS1_11comp_targetILNS1_3genE2ELNS1_11target_archE906ELNS1_3gpuE6ELNS1_3repE0EEENS1_44radix_sort_block_sort_config_static_selectorELNS0_4arch9wavefront6targetE1EEEvSF_
                                        ; -- End function
	.set _ZN7rocprim17ROCPRIM_400000_NS6detail17trampoline_kernelINS0_13kernel_configILj256ELj4ELj4294967295EEENS1_37radix_sort_block_sort_config_selectorIdlEEZNS1_21radix_sort_block_sortIS4_Lb0EPdS8_N6thrust23THRUST_200600_302600_NS10device_ptrIlEESC_NS0_19identity_decomposerEEE10hipError_tT1_T2_T3_T4_jRjT5_jjP12ihipStream_tbEUlT_E_NS1_11comp_targetILNS1_3genE2ELNS1_11target_archE906ELNS1_3gpuE6ELNS1_3repE0EEENS1_44radix_sort_block_sort_config_static_selectorELNS0_4arch9wavefront6targetE1EEEvSF_.num_vgpr, 50
	.set _ZN7rocprim17ROCPRIM_400000_NS6detail17trampoline_kernelINS0_13kernel_configILj256ELj4ELj4294967295EEENS1_37radix_sort_block_sort_config_selectorIdlEEZNS1_21radix_sort_block_sortIS4_Lb0EPdS8_N6thrust23THRUST_200600_302600_NS10device_ptrIlEESC_NS0_19identity_decomposerEEE10hipError_tT1_T2_T3_T4_jRjT5_jjP12ihipStream_tbEUlT_E_NS1_11comp_targetILNS1_3genE2ELNS1_11target_archE906ELNS1_3gpuE6ELNS1_3repE0EEENS1_44radix_sort_block_sort_config_static_selectorELNS0_4arch9wavefront6targetE1EEEvSF_.num_agpr, 0
	.set _ZN7rocprim17ROCPRIM_400000_NS6detail17trampoline_kernelINS0_13kernel_configILj256ELj4ELj4294967295EEENS1_37radix_sort_block_sort_config_selectorIdlEEZNS1_21radix_sort_block_sortIS4_Lb0EPdS8_N6thrust23THRUST_200600_302600_NS10device_ptrIlEESC_NS0_19identity_decomposerEEE10hipError_tT1_T2_T3_T4_jRjT5_jjP12ihipStream_tbEUlT_E_NS1_11comp_targetILNS1_3genE2ELNS1_11target_archE906ELNS1_3gpuE6ELNS1_3repE0EEENS1_44radix_sort_block_sort_config_static_selectorELNS0_4arch9wavefront6targetE1EEEvSF_.numbered_sgpr, 48
	.set _ZN7rocprim17ROCPRIM_400000_NS6detail17trampoline_kernelINS0_13kernel_configILj256ELj4ELj4294967295EEENS1_37radix_sort_block_sort_config_selectorIdlEEZNS1_21radix_sort_block_sortIS4_Lb0EPdS8_N6thrust23THRUST_200600_302600_NS10device_ptrIlEESC_NS0_19identity_decomposerEEE10hipError_tT1_T2_T3_T4_jRjT5_jjP12ihipStream_tbEUlT_E_NS1_11comp_targetILNS1_3genE2ELNS1_11target_archE906ELNS1_3gpuE6ELNS1_3repE0EEENS1_44radix_sort_block_sort_config_static_selectorELNS0_4arch9wavefront6targetE1EEEvSF_.num_named_barrier, 0
	.set _ZN7rocprim17ROCPRIM_400000_NS6detail17trampoline_kernelINS0_13kernel_configILj256ELj4ELj4294967295EEENS1_37radix_sort_block_sort_config_selectorIdlEEZNS1_21radix_sort_block_sortIS4_Lb0EPdS8_N6thrust23THRUST_200600_302600_NS10device_ptrIlEESC_NS0_19identity_decomposerEEE10hipError_tT1_T2_T3_T4_jRjT5_jjP12ihipStream_tbEUlT_E_NS1_11comp_targetILNS1_3genE2ELNS1_11target_archE906ELNS1_3gpuE6ELNS1_3repE0EEENS1_44radix_sort_block_sort_config_static_selectorELNS0_4arch9wavefront6targetE1EEEvSF_.private_seg_size, 0
	.set _ZN7rocprim17ROCPRIM_400000_NS6detail17trampoline_kernelINS0_13kernel_configILj256ELj4ELj4294967295EEENS1_37radix_sort_block_sort_config_selectorIdlEEZNS1_21radix_sort_block_sortIS4_Lb0EPdS8_N6thrust23THRUST_200600_302600_NS10device_ptrIlEESC_NS0_19identity_decomposerEEE10hipError_tT1_T2_T3_T4_jRjT5_jjP12ihipStream_tbEUlT_E_NS1_11comp_targetILNS1_3genE2ELNS1_11target_archE906ELNS1_3gpuE6ELNS1_3repE0EEENS1_44radix_sort_block_sort_config_static_selectorELNS0_4arch9wavefront6targetE1EEEvSF_.uses_vcc, 1
	.set _ZN7rocprim17ROCPRIM_400000_NS6detail17trampoline_kernelINS0_13kernel_configILj256ELj4ELj4294967295EEENS1_37radix_sort_block_sort_config_selectorIdlEEZNS1_21radix_sort_block_sortIS4_Lb0EPdS8_N6thrust23THRUST_200600_302600_NS10device_ptrIlEESC_NS0_19identity_decomposerEEE10hipError_tT1_T2_T3_T4_jRjT5_jjP12ihipStream_tbEUlT_E_NS1_11comp_targetILNS1_3genE2ELNS1_11target_archE906ELNS1_3gpuE6ELNS1_3repE0EEENS1_44radix_sort_block_sort_config_static_selectorELNS0_4arch9wavefront6targetE1EEEvSF_.uses_flat_scratch, 0
	.set _ZN7rocprim17ROCPRIM_400000_NS6detail17trampoline_kernelINS0_13kernel_configILj256ELj4ELj4294967295EEENS1_37radix_sort_block_sort_config_selectorIdlEEZNS1_21radix_sort_block_sortIS4_Lb0EPdS8_N6thrust23THRUST_200600_302600_NS10device_ptrIlEESC_NS0_19identity_decomposerEEE10hipError_tT1_T2_T3_T4_jRjT5_jjP12ihipStream_tbEUlT_E_NS1_11comp_targetILNS1_3genE2ELNS1_11target_archE906ELNS1_3gpuE6ELNS1_3repE0EEENS1_44radix_sort_block_sort_config_static_selectorELNS0_4arch9wavefront6targetE1EEEvSF_.has_dyn_sized_stack, 0
	.set _ZN7rocprim17ROCPRIM_400000_NS6detail17trampoline_kernelINS0_13kernel_configILj256ELj4ELj4294967295EEENS1_37radix_sort_block_sort_config_selectorIdlEEZNS1_21radix_sort_block_sortIS4_Lb0EPdS8_N6thrust23THRUST_200600_302600_NS10device_ptrIlEESC_NS0_19identity_decomposerEEE10hipError_tT1_T2_T3_T4_jRjT5_jjP12ihipStream_tbEUlT_E_NS1_11comp_targetILNS1_3genE2ELNS1_11target_archE906ELNS1_3gpuE6ELNS1_3repE0EEENS1_44radix_sort_block_sort_config_static_selectorELNS0_4arch9wavefront6targetE1EEEvSF_.has_recursion, 0
	.set _ZN7rocprim17ROCPRIM_400000_NS6detail17trampoline_kernelINS0_13kernel_configILj256ELj4ELj4294967295EEENS1_37radix_sort_block_sort_config_selectorIdlEEZNS1_21radix_sort_block_sortIS4_Lb0EPdS8_N6thrust23THRUST_200600_302600_NS10device_ptrIlEESC_NS0_19identity_decomposerEEE10hipError_tT1_T2_T3_T4_jRjT5_jjP12ihipStream_tbEUlT_E_NS1_11comp_targetILNS1_3genE2ELNS1_11target_archE906ELNS1_3gpuE6ELNS1_3repE0EEENS1_44radix_sort_block_sort_config_static_selectorELNS0_4arch9wavefront6targetE1EEEvSF_.has_indirect_call, 0
	.section	.AMDGPU.csdata,"",@progbits
; Kernel info:
; codeLenInByte = 4060
; TotalNumSgprs: 52
; NumVgprs: 50
; ScratchSize: 0
; MemoryBound: 1
; FloatMode: 240
; IeeeMode: 1
; LDSByteSize: 8192 bytes/workgroup (compile time only)
; SGPRBlocks: 8
; VGPRBlocks: 12
; NumSGPRsForWavesPerEU: 65
; NumVGPRsForWavesPerEU: 50
; Occupancy: 4
; WaveLimiterHint : 1
; COMPUTE_PGM_RSRC2:SCRATCH_EN: 0
; COMPUTE_PGM_RSRC2:USER_SGPR: 6
; COMPUTE_PGM_RSRC2:TRAP_HANDLER: 0
; COMPUTE_PGM_RSRC2:TGID_X_EN: 1
; COMPUTE_PGM_RSRC2:TGID_Y_EN: 0
; COMPUTE_PGM_RSRC2:TGID_Z_EN: 0
; COMPUTE_PGM_RSRC2:TIDIG_COMP_CNT: 2
	.section	.text._ZN7rocprim17ROCPRIM_400000_NS6detail17trampoline_kernelINS0_13kernel_configILj256ELj4ELj4294967295EEENS1_37radix_sort_block_sort_config_selectorIdlEEZNS1_21radix_sort_block_sortIS4_Lb0EPdS8_N6thrust23THRUST_200600_302600_NS10device_ptrIlEESC_NS0_19identity_decomposerEEE10hipError_tT1_T2_T3_T4_jRjT5_jjP12ihipStream_tbEUlT_E_NS1_11comp_targetILNS1_3genE10ELNS1_11target_archE1201ELNS1_3gpuE5ELNS1_3repE0EEENS1_44radix_sort_block_sort_config_static_selectorELNS0_4arch9wavefront6targetE1EEEvSF_,"axG",@progbits,_ZN7rocprim17ROCPRIM_400000_NS6detail17trampoline_kernelINS0_13kernel_configILj256ELj4ELj4294967295EEENS1_37radix_sort_block_sort_config_selectorIdlEEZNS1_21radix_sort_block_sortIS4_Lb0EPdS8_N6thrust23THRUST_200600_302600_NS10device_ptrIlEESC_NS0_19identity_decomposerEEE10hipError_tT1_T2_T3_T4_jRjT5_jjP12ihipStream_tbEUlT_E_NS1_11comp_targetILNS1_3genE10ELNS1_11target_archE1201ELNS1_3gpuE5ELNS1_3repE0EEENS1_44radix_sort_block_sort_config_static_selectorELNS0_4arch9wavefront6targetE1EEEvSF_,comdat
	.protected	_ZN7rocprim17ROCPRIM_400000_NS6detail17trampoline_kernelINS0_13kernel_configILj256ELj4ELj4294967295EEENS1_37radix_sort_block_sort_config_selectorIdlEEZNS1_21radix_sort_block_sortIS4_Lb0EPdS8_N6thrust23THRUST_200600_302600_NS10device_ptrIlEESC_NS0_19identity_decomposerEEE10hipError_tT1_T2_T3_T4_jRjT5_jjP12ihipStream_tbEUlT_E_NS1_11comp_targetILNS1_3genE10ELNS1_11target_archE1201ELNS1_3gpuE5ELNS1_3repE0EEENS1_44radix_sort_block_sort_config_static_selectorELNS0_4arch9wavefront6targetE1EEEvSF_ ; -- Begin function _ZN7rocprim17ROCPRIM_400000_NS6detail17trampoline_kernelINS0_13kernel_configILj256ELj4ELj4294967295EEENS1_37radix_sort_block_sort_config_selectorIdlEEZNS1_21radix_sort_block_sortIS4_Lb0EPdS8_N6thrust23THRUST_200600_302600_NS10device_ptrIlEESC_NS0_19identity_decomposerEEE10hipError_tT1_T2_T3_T4_jRjT5_jjP12ihipStream_tbEUlT_E_NS1_11comp_targetILNS1_3genE10ELNS1_11target_archE1201ELNS1_3gpuE5ELNS1_3repE0EEENS1_44radix_sort_block_sort_config_static_selectorELNS0_4arch9wavefront6targetE1EEEvSF_
	.globl	_ZN7rocprim17ROCPRIM_400000_NS6detail17trampoline_kernelINS0_13kernel_configILj256ELj4ELj4294967295EEENS1_37radix_sort_block_sort_config_selectorIdlEEZNS1_21radix_sort_block_sortIS4_Lb0EPdS8_N6thrust23THRUST_200600_302600_NS10device_ptrIlEESC_NS0_19identity_decomposerEEE10hipError_tT1_T2_T3_T4_jRjT5_jjP12ihipStream_tbEUlT_E_NS1_11comp_targetILNS1_3genE10ELNS1_11target_archE1201ELNS1_3gpuE5ELNS1_3repE0EEENS1_44radix_sort_block_sort_config_static_selectorELNS0_4arch9wavefront6targetE1EEEvSF_
	.p2align	8
	.type	_ZN7rocprim17ROCPRIM_400000_NS6detail17trampoline_kernelINS0_13kernel_configILj256ELj4ELj4294967295EEENS1_37radix_sort_block_sort_config_selectorIdlEEZNS1_21radix_sort_block_sortIS4_Lb0EPdS8_N6thrust23THRUST_200600_302600_NS10device_ptrIlEESC_NS0_19identity_decomposerEEE10hipError_tT1_T2_T3_T4_jRjT5_jjP12ihipStream_tbEUlT_E_NS1_11comp_targetILNS1_3genE10ELNS1_11target_archE1201ELNS1_3gpuE5ELNS1_3repE0EEENS1_44radix_sort_block_sort_config_static_selectorELNS0_4arch9wavefront6targetE1EEEvSF_,@function
_ZN7rocprim17ROCPRIM_400000_NS6detail17trampoline_kernelINS0_13kernel_configILj256ELj4ELj4294967295EEENS1_37radix_sort_block_sort_config_selectorIdlEEZNS1_21radix_sort_block_sortIS4_Lb0EPdS8_N6thrust23THRUST_200600_302600_NS10device_ptrIlEESC_NS0_19identity_decomposerEEE10hipError_tT1_T2_T3_T4_jRjT5_jjP12ihipStream_tbEUlT_E_NS1_11comp_targetILNS1_3genE10ELNS1_11target_archE1201ELNS1_3gpuE5ELNS1_3repE0EEENS1_44radix_sort_block_sort_config_static_selectorELNS0_4arch9wavefront6targetE1EEEvSF_: ; @_ZN7rocprim17ROCPRIM_400000_NS6detail17trampoline_kernelINS0_13kernel_configILj256ELj4ELj4294967295EEENS1_37radix_sort_block_sort_config_selectorIdlEEZNS1_21radix_sort_block_sortIS4_Lb0EPdS8_N6thrust23THRUST_200600_302600_NS10device_ptrIlEESC_NS0_19identity_decomposerEEE10hipError_tT1_T2_T3_T4_jRjT5_jjP12ihipStream_tbEUlT_E_NS1_11comp_targetILNS1_3genE10ELNS1_11target_archE1201ELNS1_3gpuE5ELNS1_3repE0EEENS1_44radix_sort_block_sort_config_static_selectorELNS0_4arch9wavefront6targetE1EEEvSF_
; %bb.0:
	.section	.rodata,"a",@progbits
	.p2align	6, 0x0
	.amdhsa_kernel _ZN7rocprim17ROCPRIM_400000_NS6detail17trampoline_kernelINS0_13kernel_configILj256ELj4ELj4294967295EEENS1_37radix_sort_block_sort_config_selectorIdlEEZNS1_21radix_sort_block_sortIS4_Lb0EPdS8_N6thrust23THRUST_200600_302600_NS10device_ptrIlEESC_NS0_19identity_decomposerEEE10hipError_tT1_T2_T3_T4_jRjT5_jjP12ihipStream_tbEUlT_E_NS1_11comp_targetILNS1_3genE10ELNS1_11target_archE1201ELNS1_3gpuE5ELNS1_3repE0EEENS1_44radix_sort_block_sort_config_static_selectorELNS0_4arch9wavefront6targetE1EEEvSF_
		.amdhsa_group_segment_fixed_size 0
		.amdhsa_private_segment_fixed_size 0
		.amdhsa_kernarg_size 48
		.amdhsa_user_sgpr_count 6
		.amdhsa_user_sgpr_private_segment_buffer 1
		.amdhsa_user_sgpr_dispatch_ptr 0
		.amdhsa_user_sgpr_queue_ptr 0
		.amdhsa_user_sgpr_kernarg_segment_ptr 1
		.amdhsa_user_sgpr_dispatch_id 0
		.amdhsa_user_sgpr_flat_scratch_init 0
		.amdhsa_user_sgpr_private_segment_size 0
		.amdhsa_uses_dynamic_stack 0
		.amdhsa_system_sgpr_private_segment_wavefront_offset 0
		.amdhsa_system_sgpr_workgroup_id_x 1
		.amdhsa_system_sgpr_workgroup_id_y 0
		.amdhsa_system_sgpr_workgroup_id_z 0
		.amdhsa_system_sgpr_workgroup_info 0
		.amdhsa_system_vgpr_workitem_id 0
		.amdhsa_next_free_vgpr 1
		.amdhsa_next_free_sgpr 0
		.amdhsa_reserve_vcc 0
		.amdhsa_reserve_flat_scratch 0
		.amdhsa_float_round_mode_32 0
		.amdhsa_float_round_mode_16_64 0
		.amdhsa_float_denorm_mode_32 3
		.amdhsa_float_denorm_mode_16_64 3
		.amdhsa_dx10_clamp 1
		.amdhsa_ieee_mode 1
		.amdhsa_fp16_overflow 0
		.amdhsa_exception_fp_ieee_invalid_op 0
		.amdhsa_exception_fp_denorm_src 0
		.amdhsa_exception_fp_ieee_div_zero 0
		.amdhsa_exception_fp_ieee_overflow 0
		.amdhsa_exception_fp_ieee_underflow 0
		.amdhsa_exception_fp_ieee_inexact 0
		.amdhsa_exception_int_div_zero 0
	.end_amdhsa_kernel
	.section	.text._ZN7rocprim17ROCPRIM_400000_NS6detail17trampoline_kernelINS0_13kernel_configILj256ELj4ELj4294967295EEENS1_37radix_sort_block_sort_config_selectorIdlEEZNS1_21radix_sort_block_sortIS4_Lb0EPdS8_N6thrust23THRUST_200600_302600_NS10device_ptrIlEESC_NS0_19identity_decomposerEEE10hipError_tT1_T2_T3_T4_jRjT5_jjP12ihipStream_tbEUlT_E_NS1_11comp_targetILNS1_3genE10ELNS1_11target_archE1201ELNS1_3gpuE5ELNS1_3repE0EEENS1_44radix_sort_block_sort_config_static_selectorELNS0_4arch9wavefront6targetE1EEEvSF_,"axG",@progbits,_ZN7rocprim17ROCPRIM_400000_NS6detail17trampoline_kernelINS0_13kernel_configILj256ELj4ELj4294967295EEENS1_37radix_sort_block_sort_config_selectorIdlEEZNS1_21radix_sort_block_sortIS4_Lb0EPdS8_N6thrust23THRUST_200600_302600_NS10device_ptrIlEESC_NS0_19identity_decomposerEEE10hipError_tT1_T2_T3_T4_jRjT5_jjP12ihipStream_tbEUlT_E_NS1_11comp_targetILNS1_3genE10ELNS1_11target_archE1201ELNS1_3gpuE5ELNS1_3repE0EEENS1_44radix_sort_block_sort_config_static_selectorELNS0_4arch9wavefront6targetE1EEEvSF_,comdat
.Lfunc_end1529:
	.size	_ZN7rocprim17ROCPRIM_400000_NS6detail17trampoline_kernelINS0_13kernel_configILj256ELj4ELj4294967295EEENS1_37radix_sort_block_sort_config_selectorIdlEEZNS1_21radix_sort_block_sortIS4_Lb0EPdS8_N6thrust23THRUST_200600_302600_NS10device_ptrIlEESC_NS0_19identity_decomposerEEE10hipError_tT1_T2_T3_T4_jRjT5_jjP12ihipStream_tbEUlT_E_NS1_11comp_targetILNS1_3genE10ELNS1_11target_archE1201ELNS1_3gpuE5ELNS1_3repE0EEENS1_44radix_sort_block_sort_config_static_selectorELNS0_4arch9wavefront6targetE1EEEvSF_, .Lfunc_end1529-_ZN7rocprim17ROCPRIM_400000_NS6detail17trampoline_kernelINS0_13kernel_configILj256ELj4ELj4294967295EEENS1_37radix_sort_block_sort_config_selectorIdlEEZNS1_21radix_sort_block_sortIS4_Lb0EPdS8_N6thrust23THRUST_200600_302600_NS10device_ptrIlEESC_NS0_19identity_decomposerEEE10hipError_tT1_T2_T3_T4_jRjT5_jjP12ihipStream_tbEUlT_E_NS1_11comp_targetILNS1_3genE10ELNS1_11target_archE1201ELNS1_3gpuE5ELNS1_3repE0EEENS1_44radix_sort_block_sort_config_static_selectorELNS0_4arch9wavefront6targetE1EEEvSF_
                                        ; -- End function
	.set _ZN7rocprim17ROCPRIM_400000_NS6detail17trampoline_kernelINS0_13kernel_configILj256ELj4ELj4294967295EEENS1_37radix_sort_block_sort_config_selectorIdlEEZNS1_21radix_sort_block_sortIS4_Lb0EPdS8_N6thrust23THRUST_200600_302600_NS10device_ptrIlEESC_NS0_19identity_decomposerEEE10hipError_tT1_T2_T3_T4_jRjT5_jjP12ihipStream_tbEUlT_E_NS1_11comp_targetILNS1_3genE10ELNS1_11target_archE1201ELNS1_3gpuE5ELNS1_3repE0EEENS1_44radix_sort_block_sort_config_static_selectorELNS0_4arch9wavefront6targetE1EEEvSF_.num_vgpr, 0
	.set _ZN7rocprim17ROCPRIM_400000_NS6detail17trampoline_kernelINS0_13kernel_configILj256ELj4ELj4294967295EEENS1_37radix_sort_block_sort_config_selectorIdlEEZNS1_21radix_sort_block_sortIS4_Lb0EPdS8_N6thrust23THRUST_200600_302600_NS10device_ptrIlEESC_NS0_19identity_decomposerEEE10hipError_tT1_T2_T3_T4_jRjT5_jjP12ihipStream_tbEUlT_E_NS1_11comp_targetILNS1_3genE10ELNS1_11target_archE1201ELNS1_3gpuE5ELNS1_3repE0EEENS1_44radix_sort_block_sort_config_static_selectorELNS0_4arch9wavefront6targetE1EEEvSF_.num_agpr, 0
	.set _ZN7rocprim17ROCPRIM_400000_NS6detail17trampoline_kernelINS0_13kernel_configILj256ELj4ELj4294967295EEENS1_37radix_sort_block_sort_config_selectorIdlEEZNS1_21radix_sort_block_sortIS4_Lb0EPdS8_N6thrust23THRUST_200600_302600_NS10device_ptrIlEESC_NS0_19identity_decomposerEEE10hipError_tT1_T2_T3_T4_jRjT5_jjP12ihipStream_tbEUlT_E_NS1_11comp_targetILNS1_3genE10ELNS1_11target_archE1201ELNS1_3gpuE5ELNS1_3repE0EEENS1_44radix_sort_block_sort_config_static_selectorELNS0_4arch9wavefront6targetE1EEEvSF_.numbered_sgpr, 0
	.set _ZN7rocprim17ROCPRIM_400000_NS6detail17trampoline_kernelINS0_13kernel_configILj256ELj4ELj4294967295EEENS1_37radix_sort_block_sort_config_selectorIdlEEZNS1_21radix_sort_block_sortIS4_Lb0EPdS8_N6thrust23THRUST_200600_302600_NS10device_ptrIlEESC_NS0_19identity_decomposerEEE10hipError_tT1_T2_T3_T4_jRjT5_jjP12ihipStream_tbEUlT_E_NS1_11comp_targetILNS1_3genE10ELNS1_11target_archE1201ELNS1_3gpuE5ELNS1_3repE0EEENS1_44radix_sort_block_sort_config_static_selectorELNS0_4arch9wavefront6targetE1EEEvSF_.num_named_barrier, 0
	.set _ZN7rocprim17ROCPRIM_400000_NS6detail17trampoline_kernelINS0_13kernel_configILj256ELj4ELj4294967295EEENS1_37radix_sort_block_sort_config_selectorIdlEEZNS1_21radix_sort_block_sortIS4_Lb0EPdS8_N6thrust23THRUST_200600_302600_NS10device_ptrIlEESC_NS0_19identity_decomposerEEE10hipError_tT1_T2_T3_T4_jRjT5_jjP12ihipStream_tbEUlT_E_NS1_11comp_targetILNS1_3genE10ELNS1_11target_archE1201ELNS1_3gpuE5ELNS1_3repE0EEENS1_44radix_sort_block_sort_config_static_selectorELNS0_4arch9wavefront6targetE1EEEvSF_.private_seg_size, 0
	.set _ZN7rocprim17ROCPRIM_400000_NS6detail17trampoline_kernelINS0_13kernel_configILj256ELj4ELj4294967295EEENS1_37radix_sort_block_sort_config_selectorIdlEEZNS1_21radix_sort_block_sortIS4_Lb0EPdS8_N6thrust23THRUST_200600_302600_NS10device_ptrIlEESC_NS0_19identity_decomposerEEE10hipError_tT1_T2_T3_T4_jRjT5_jjP12ihipStream_tbEUlT_E_NS1_11comp_targetILNS1_3genE10ELNS1_11target_archE1201ELNS1_3gpuE5ELNS1_3repE0EEENS1_44radix_sort_block_sort_config_static_selectorELNS0_4arch9wavefront6targetE1EEEvSF_.uses_vcc, 0
	.set _ZN7rocprim17ROCPRIM_400000_NS6detail17trampoline_kernelINS0_13kernel_configILj256ELj4ELj4294967295EEENS1_37radix_sort_block_sort_config_selectorIdlEEZNS1_21radix_sort_block_sortIS4_Lb0EPdS8_N6thrust23THRUST_200600_302600_NS10device_ptrIlEESC_NS0_19identity_decomposerEEE10hipError_tT1_T2_T3_T4_jRjT5_jjP12ihipStream_tbEUlT_E_NS1_11comp_targetILNS1_3genE10ELNS1_11target_archE1201ELNS1_3gpuE5ELNS1_3repE0EEENS1_44radix_sort_block_sort_config_static_selectorELNS0_4arch9wavefront6targetE1EEEvSF_.uses_flat_scratch, 0
	.set _ZN7rocprim17ROCPRIM_400000_NS6detail17trampoline_kernelINS0_13kernel_configILj256ELj4ELj4294967295EEENS1_37radix_sort_block_sort_config_selectorIdlEEZNS1_21radix_sort_block_sortIS4_Lb0EPdS8_N6thrust23THRUST_200600_302600_NS10device_ptrIlEESC_NS0_19identity_decomposerEEE10hipError_tT1_T2_T3_T4_jRjT5_jjP12ihipStream_tbEUlT_E_NS1_11comp_targetILNS1_3genE10ELNS1_11target_archE1201ELNS1_3gpuE5ELNS1_3repE0EEENS1_44radix_sort_block_sort_config_static_selectorELNS0_4arch9wavefront6targetE1EEEvSF_.has_dyn_sized_stack, 0
	.set _ZN7rocprim17ROCPRIM_400000_NS6detail17trampoline_kernelINS0_13kernel_configILj256ELj4ELj4294967295EEENS1_37radix_sort_block_sort_config_selectorIdlEEZNS1_21radix_sort_block_sortIS4_Lb0EPdS8_N6thrust23THRUST_200600_302600_NS10device_ptrIlEESC_NS0_19identity_decomposerEEE10hipError_tT1_T2_T3_T4_jRjT5_jjP12ihipStream_tbEUlT_E_NS1_11comp_targetILNS1_3genE10ELNS1_11target_archE1201ELNS1_3gpuE5ELNS1_3repE0EEENS1_44radix_sort_block_sort_config_static_selectorELNS0_4arch9wavefront6targetE1EEEvSF_.has_recursion, 0
	.set _ZN7rocprim17ROCPRIM_400000_NS6detail17trampoline_kernelINS0_13kernel_configILj256ELj4ELj4294967295EEENS1_37radix_sort_block_sort_config_selectorIdlEEZNS1_21radix_sort_block_sortIS4_Lb0EPdS8_N6thrust23THRUST_200600_302600_NS10device_ptrIlEESC_NS0_19identity_decomposerEEE10hipError_tT1_T2_T3_T4_jRjT5_jjP12ihipStream_tbEUlT_E_NS1_11comp_targetILNS1_3genE10ELNS1_11target_archE1201ELNS1_3gpuE5ELNS1_3repE0EEENS1_44radix_sort_block_sort_config_static_selectorELNS0_4arch9wavefront6targetE1EEEvSF_.has_indirect_call, 0
	.section	.AMDGPU.csdata,"",@progbits
; Kernel info:
; codeLenInByte = 0
; TotalNumSgprs: 4
; NumVgprs: 0
; ScratchSize: 0
; MemoryBound: 0
; FloatMode: 240
; IeeeMode: 1
; LDSByteSize: 0 bytes/workgroup (compile time only)
; SGPRBlocks: 0
; VGPRBlocks: 0
; NumSGPRsForWavesPerEU: 4
; NumVGPRsForWavesPerEU: 1
; Occupancy: 10
; WaveLimiterHint : 0
; COMPUTE_PGM_RSRC2:SCRATCH_EN: 0
; COMPUTE_PGM_RSRC2:USER_SGPR: 6
; COMPUTE_PGM_RSRC2:TRAP_HANDLER: 0
; COMPUTE_PGM_RSRC2:TGID_X_EN: 1
; COMPUTE_PGM_RSRC2:TGID_Y_EN: 0
; COMPUTE_PGM_RSRC2:TGID_Z_EN: 0
; COMPUTE_PGM_RSRC2:TIDIG_COMP_CNT: 0
	.section	.text._ZN7rocprim17ROCPRIM_400000_NS6detail17trampoline_kernelINS0_13kernel_configILj256ELj4ELj4294967295EEENS1_37radix_sort_block_sort_config_selectorIdlEEZNS1_21radix_sort_block_sortIS4_Lb0EPdS8_N6thrust23THRUST_200600_302600_NS10device_ptrIlEESC_NS0_19identity_decomposerEEE10hipError_tT1_T2_T3_T4_jRjT5_jjP12ihipStream_tbEUlT_E_NS1_11comp_targetILNS1_3genE10ELNS1_11target_archE1200ELNS1_3gpuE4ELNS1_3repE0EEENS1_44radix_sort_block_sort_config_static_selectorELNS0_4arch9wavefront6targetE1EEEvSF_,"axG",@progbits,_ZN7rocprim17ROCPRIM_400000_NS6detail17trampoline_kernelINS0_13kernel_configILj256ELj4ELj4294967295EEENS1_37radix_sort_block_sort_config_selectorIdlEEZNS1_21radix_sort_block_sortIS4_Lb0EPdS8_N6thrust23THRUST_200600_302600_NS10device_ptrIlEESC_NS0_19identity_decomposerEEE10hipError_tT1_T2_T3_T4_jRjT5_jjP12ihipStream_tbEUlT_E_NS1_11comp_targetILNS1_3genE10ELNS1_11target_archE1200ELNS1_3gpuE4ELNS1_3repE0EEENS1_44radix_sort_block_sort_config_static_selectorELNS0_4arch9wavefront6targetE1EEEvSF_,comdat
	.protected	_ZN7rocprim17ROCPRIM_400000_NS6detail17trampoline_kernelINS0_13kernel_configILj256ELj4ELj4294967295EEENS1_37radix_sort_block_sort_config_selectorIdlEEZNS1_21radix_sort_block_sortIS4_Lb0EPdS8_N6thrust23THRUST_200600_302600_NS10device_ptrIlEESC_NS0_19identity_decomposerEEE10hipError_tT1_T2_T3_T4_jRjT5_jjP12ihipStream_tbEUlT_E_NS1_11comp_targetILNS1_3genE10ELNS1_11target_archE1200ELNS1_3gpuE4ELNS1_3repE0EEENS1_44radix_sort_block_sort_config_static_selectorELNS0_4arch9wavefront6targetE1EEEvSF_ ; -- Begin function _ZN7rocprim17ROCPRIM_400000_NS6detail17trampoline_kernelINS0_13kernel_configILj256ELj4ELj4294967295EEENS1_37radix_sort_block_sort_config_selectorIdlEEZNS1_21radix_sort_block_sortIS4_Lb0EPdS8_N6thrust23THRUST_200600_302600_NS10device_ptrIlEESC_NS0_19identity_decomposerEEE10hipError_tT1_T2_T3_T4_jRjT5_jjP12ihipStream_tbEUlT_E_NS1_11comp_targetILNS1_3genE10ELNS1_11target_archE1200ELNS1_3gpuE4ELNS1_3repE0EEENS1_44radix_sort_block_sort_config_static_selectorELNS0_4arch9wavefront6targetE1EEEvSF_
	.globl	_ZN7rocprim17ROCPRIM_400000_NS6detail17trampoline_kernelINS0_13kernel_configILj256ELj4ELj4294967295EEENS1_37radix_sort_block_sort_config_selectorIdlEEZNS1_21radix_sort_block_sortIS4_Lb0EPdS8_N6thrust23THRUST_200600_302600_NS10device_ptrIlEESC_NS0_19identity_decomposerEEE10hipError_tT1_T2_T3_T4_jRjT5_jjP12ihipStream_tbEUlT_E_NS1_11comp_targetILNS1_3genE10ELNS1_11target_archE1200ELNS1_3gpuE4ELNS1_3repE0EEENS1_44radix_sort_block_sort_config_static_selectorELNS0_4arch9wavefront6targetE1EEEvSF_
	.p2align	8
	.type	_ZN7rocprim17ROCPRIM_400000_NS6detail17trampoline_kernelINS0_13kernel_configILj256ELj4ELj4294967295EEENS1_37radix_sort_block_sort_config_selectorIdlEEZNS1_21radix_sort_block_sortIS4_Lb0EPdS8_N6thrust23THRUST_200600_302600_NS10device_ptrIlEESC_NS0_19identity_decomposerEEE10hipError_tT1_T2_T3_T4_jRjT5_jjP12ihipStream_tbEUlT_E_NS1_11comp_targetILNS1_3genE10ELNS1_11target_archE1200ELNS1_3gpuE4ELNS1_3repE0EEENS1_44radix_sort_block_sort_config_static_selectorELNS0_4arch9wavefront6targetE1EEEvSF_,@function
_ZN7rocprim17ROCPRIM_400000_NS6detail17trampoline_kernelINS0_13kernel_configILj256ELj4ELj4294967295EEENS1_37radix_sort_block_sort_config_selectorIdlEEZNS1_21radix_sort_block_sortIS4_Lb0EPdS8_N6thrust23THRUST_200600_302600_NS10device_ptrIlEESC_NS0_19identity_decomposerEEE10hipError_tT1_T2_T3_T4_jRjT5_jjP12ihipStream_tbEUlT_E_NS1_11comp_targetILNS1_3genE10ELNS1_11target_archE1200ELNS1_3gpuE4ELNS1_3repE0EEENS1_44radix_sort_block_sort_config_static_selectorELNS0_4arch9wavefront6targetE1EEEvSF_: ; @_ZN7rocprim17ROCPRIM_400000_NS6detail17trampoline_kernelINS0_13kernel_configILj256ELj4ELj4294967295EEENS1_37radix_sort_block_sort_config_selectorIdlEEZNS1_21radix_sort_block_sortIS4_Lb0EPdS8_N6thrust23THRUST_200600_302600_NS10device_ptrIlEESC_NS0_19identity_decomposerEEE10hipError_tT1_T2_T3_T4_jRjT5_jjP12ihipStream_tbEUlT_E_NS1_11comp_targetILNS1_3genE10ELNS1_11target_archE1200ELNS1_3gpuE4ELNS1_3repE0EEENS1_44radix_sort_block_sort_config_static_selectorELNS0_4arch9wavefront6targetE1EEEvSF_
; %bb.0:
	.section	.rodata,"a",@progbits
	.p2align	6, 0x0
	.amdhsa_kernel _ZN7rocprim17ROCPRIM_400000_NS6detail17trampoline_kernelINS0_13kernel_configILj256ELj4ELj4294967295EEENS1_37radix_sort_block_sort_config_selectorIdlEEZNS1_21radix_sort_block_sortIS4_Lb0EPdS8_N6thrust23THRUST_200600_302600_NS10device_ptrIlEESC_NS0_19identity_decomposerEEE10hipError_tT1_T2_T3_T4_jRjT5_jjP12ihipStream_tbEUlT_E_NS1_11comp_targetILNS1_3genE10ELNS1_11target_archE1200ELNS1_3gpuE4ELNS1_3repE0EEENS1_44radix_sort_block_sort_config_static_selectorELNS0_4arch9wavefront6targetE1EEEvSF_
		.amdhsa_group_segment_fixed_size 0
		.amdhsa_private_segment_fixed_size 0
		.amdhsa_kernarg_size 48
		.amdhsa_user_sgpr_count 6
		.amdhsa_user_sgpr_private_segment_buffer 1
		.amdhsa_user_sgpr_dispatch_ptr 0
		.amdhsa_user_sgpr_queue_ptr 0
		.amdhsa_user_sgpr_kernarg_segment_ptr 1
		.amdhsa_user_sgpr_dispatch_id 0
		.amdhsa_user_sgpr_flat_scratch_init 0
		.amdhsa_user_sgpr_private_segment_size 0
		.amdhsa_uses_dynamic_stack 0
		.amdhsa_system_sgpr_private_segment_wavefront_offset 0
		.amdhsa_system_sgpr_workgroup_id_x 1
		.amdhsa_system_sgpr_workgroup_id_y 0
		.amdhsa_system_sgpr_workgroup_id_z 0
		.amdhsa_system_sgpr_workgroup_info 0
		.amdhsa_system_vgpr_workitem_id 0
		.amdhsa_next_free_vgpr 1
		.amdhsa_next_free_sgpr 0
		.amdhsa_reserve_vcc 0
		.amdhsa_reserve_flat_scratch 0
		.amdhsa_float_round_mode_32 0
		.amdhsa_float_round_mode_16_64 0
		.amdhsa_float_denorm_mode_32 3
		.amdhsa_float_denorm_mode_16_64 3
		.amdhsa_dx10_clamp 1
		.amdhsa_ieee_mode 1
		.amdhsa_fp16_overflow 0
		.amdhsa_exception_fp_ieee_invalid_op 0
		.amdhsa_exception_fp_denorm_src 0
		.amdhsa_exception_fp_ieee_div_zero 0
		.amdhsa_exception_fp_ieee_overflow 0
		.amdhsa_exception_fp_ieee_underflow 0
		.amdhsa_exception_fp_ieee_inexact 0
		.amdhsa_exception_int_div_zero 0
	.end_amdhsa_kernel
	.section	.text._ZN7rocprim17ROCPRIM_400000_NS6detail17trampoline_kernelINS0_13kernel_configILj256ELj4ELj4294967295EEENS1_37radix_sort_block_sort_config_selectorIdlEEZNS1_21radix_sort_block_sortIS4_Lb0EPdS8_N6thrust23THRUST_200600_302600_NS10device_ptrIlEESC_NS0_19identity_decomposerEEE10hipError_tT1_T2_T3_T4_jRjT5_jjP12ihipStream_tbEUlT_E_NS1_11comp_targetILNS1_3genE10ELNS1_11target_archE1200ELNS1_3gpuE4ELNS1_3repE0EEENS1_44radix_sort_block_sort_config_static_selectorELNS0_4arch9wavefront6targetE1EEEvSF_,"axG",@progbits,_ZN7rocprim17ROCPRIM_400000_NS6detail17trampoline_kernelINS0_13kernel_configILj256ELj4ELj4294967295EEENS1_37radix_sort_block_sort_config_selectorIdlEEZNS1_21radix_sort_block_sortIS4_Lb0EPdS8_N6thrust23THRUST_200600_302600_NS10device_ptrIlEESC_NS0_19identity_decomposerEEE10hipError_tT1_T2_T3_T4_jRjT5_jjP12ihipStream_tbEUlT_E_NS1_11comp_targetILNS1_3genE10ELNS1_11target_archE1200ELNS1_3gpuE4ELNS1_3repE0EEENS1_44radix_sort_block_sort_config_static_selectorELNS0_4arch9wavefront6targetE1EEEvSF_,comdat
.Lfunc_end1530:
	.size	_ZN7rocprim17ROCPRIM_400000_NS6detail17trampoline_kernelINS0_13kernel_configILj256ELj4ELj4294967295EEENS1_37radix_sort_block_sort_config_selectorIdlEEZNS1_21radix_sort_block_sortIS4_Lb0EPdS8_N6thrust23THRUST_200600_302600_NS10device_ptrIlEESC_NS0_19identity_decomposerEEE10hipError_tT1_T2_T3_T4_jRjT5_jjP12ihipStream_tbEUlT_E_NS1_11comp_targetILNS1_3genE10ELNS1_11target_archE1200ELNS1_3gpuE4ELNS1_3repE0EEENS1_44radix_sort_block_sort_config_static_selectorELNS0_4arch9wavefront6targetE1EEEvSF_, .Lfunc_end1530-_ZN7rocprim17ROCPRIM_400000_NS6detail17trampoline_kernelINS0_13kernel_configILj256ELj4ELj4294967295EEENS1_37radix_sort_block_sort_config_selectorIdlEEZNS1_21radix_sort_block_sortIS4_Lb0EPdS8_N6thrust23THRUST_200600_302600_NS10device_ptrIlEESC_NS0_19identity_decomposerEEE10hipError_tT1_T2_T3_T4_jRjT5_jjP12ihipStream_tbEUlT_E_NS1_11comp_targetILNS1_3genE10ELNS1_11target_archE1200ELNS1_3gpuE4ELNS1_3repE0EEENS1_44radix_sort_block_sort_config_static_selectorELNS0_4arch9wavefront6targetE1EEEvSF_
                                        ; -- End function
	.set _ZN7rocprim17ROCPRIM_400000_NS6detail17trampoline_kernelINS0_13kernel_configILj256ELj4ELj4294967295EEENS1_37radix_sort_block_sort_config_selectorIdlEEZNS1_21radix_sort_block_sortIS4_Lb0EPdS8_N6thrust23THRUST_200600_302600_NS10device_ptrIlEESC_NS0_19identity_decomposerEEE10hipError_tT1_T2_T3_T4_jRjT5_jjP12ihipStream_tbEUlT_E_NS1_11comp_targetILNS1_3genE10ELNS1_11target_archE1200ELNS1_3gpuE4ELNS1_3repE0EEENS1_44radix_sort_block_sort_config_static_selectorELNS0_4arch9wavefront6targetE1EEEvSF_.num_vgpr, 0
	.set _ZN7rocprim17ROCPRIM_400000_NS6detail17trampoline_kernelINS0_13kernel_configILj256ELj4ELj4294967295EEENS1_37radix_sort_block_sort_config_selectorIdlEEZNS1_21radix_sort_block_sortIS4_Lb0EPdS8_N6thrust23THRUST_200600_302600_NS10device_ptrIlEESC_NS0_19identity_decomposerEEE10hipError_tT1_T2_T3_T4_jRjT5_jjP12ihipStream_tbEUlT_E_NS1_11comp_targetILNS1_3genE10ELNS1_11target_archE1200ELNS1_3gpuE4ELNS1_3repE0EEENS1_44radix_sort_block_sort_config_static_selectorELNS0_4arch9wavefront6targetE1EEEvSF_.num_agpr, 0
	.set _ZN7rocprim17ROCPRIM_400000_NS6detail17trampoline_kernelINS0_13kernel_configILj256ELj4ELj4294967295EEENS1_37radix_sort_block_sort_config_selectorIdlEEZNS1_21radix_sort_block_sortIS4_Lb0EPdS8_N6thrust23THRUST_200600_302600_NS10device_ptrIlEESC_NS0_19identity_decomposerEEE10hipError_tT1_T2_T3_T4_jRjT5_jjP12ihipStream_tbEUlT_E_NS1_11comp_targetILNS1_3genE10ELNS1_11target_archE1200ELNS1_3gpuE4ELNS1_3repE0EEENS1_44radix_sort_block_sort_config_static_selectorELNS0_4arch9wavefront6targetE1EEEvSF_.numbered_sgpr, 0
	.set _ZN7rocprim17ROCPRIM_400000_NS6detail17trampoline_kernelINS0_13kernel_configILj256ELj4ELj4294967295EEENS1_37radix_sort_block_sort_config_selectorIdlEEZNS1_21radix_sort_block_sortIS4_Lb0EPdS8_N6thrust23THRUST_200600_302600_NS10device_ptrIlEESC_NS0_19identity_decomposerEEE10hipError_tT1_T2_T3_T4_jRjT5_jjP12ihipStream_tbEUlT_E_NS1_11comp_targetILNS1_3genE10ELNS1_11target_archE1200ELNS1_3gpuE4ELNS1_3repE0EEENS1_44radix_sort_block_sort_config_static_selectorELNS0_4arch9wavefront6targetE1EEEvSF_.num_named_barrier, 0
	.set _ZN7rocprim17ROCPRIM_400000_NS6detail17trampoline_kernelINS0_13kernel_configILj256ELj4ELj4294967295EEENS1_37radix_sort_block_sort_config_selectorIdlEEZNS1_21radix_sort_block_sortIS4_Lb0EPdS8_N6thrust23THRUST_200600_302600_NS10device_ptrIlEESC_NS0_19identity_decomposerEEE10hipError_tT1_T2_T3_T4_jRjT5_jjP12ihipStream_tbEUlT_E_NS1_11comp_targetILNS1_3genE10ELNS1_11target_archE1200ELNS1_3gpuE4ELNS1_3repE0EEENS1_44radix_sort_block_sort_config_static_selectorELNS0_4arch9wavefront6targetE1EEEvSF_.private_seg_size, 0
	.set _ZN7rocprim17ROCPRIM_400000_NS6detail17trampoline_kernelINS0_13kernel_configILj256ELj4ELj4294967295EEENS1_37radix_sort_block_sort_config_selectorIdlEEZNS1_21radix_sort_block_sortIS4_Lb0EPdS8_N6thrust23THRUST_200600_302600_NS10device_ptrIlEESC_NS0_19identity_decomposerEEE10hipError_tT1_T2_T3_T4_jRjT5_jjP12ihipStream_tbEUlT_E_NS1_11comp_targetILNS1_3genE10ELNS1_11target_archE1200ELNS1_3gpuE4ELNS1_3repE0EEENS1_44radix_sort_block_sort_config_static_selectorELNS0_4arch9wavefront6targetE1EEEvSF_.uses_vcc, 0
	.set _ZN7rocprim17ROCPRIM_400000_NS6detail17trampoline_kernelINS0_13kernel_configILj256ELj4ELj4294967295EEENS1_37radix_sort_block_sort_config_selectorIdlEEZNS1_21radix_sort_block_sortIS4_Lb0EPdS8_N6thrust23THRUST_200600_302600_NS10device_ptrIlEESC_NS0_19identity_decomposerEEE10hipError_tT1_T2_T3_T4_jRjT5_jjP12ihipStream_tbEUlT_E_NS1_11comp_targetILNS1_3genE10ELNS1_11target_archE1200ELNS1_3gpuE4ELNS1_3repE0EEENS1_44radix_sort_block_sort_config_static_selectorELNS0_4arch9wavefront6targetE1EEEvSF_.uses_flat_scratch, 0
	.set _ZN7rocprim17ROCPRIM_400000_NS6detail17trampoline_kernelINS0_13kernel_configILj256ELj4ELj4294967295EEENS1_37radix_sort_block_sort_config_selectorIdlEEZNS1_21radix_sort_block_sortIS4_Lb0EPdS8_N6thrust23THRUST_200600_302600_NS10device_ptrIlEESC_NS0_19identity_decomposerEEE10hipError_tT1_T2_T3_T4_jRjT5_jjP12ihipStream_tbEUlT_E_NS1_11comp_targetILNS1_3genE10ELNS1_11target_archE1200ELNS1_3gpuE4ELNS1_3repE0EEENS1_44radix_sort_block_sort_config_static_selectorELNS0_4arch9wavefront6targetE1EEEvSF_.has_dyn_sized_stack, 0
	.set _ZN7rocprim17ROCPRIM_400000_NS6detail17trampoline_kernelINS0_13kernel_configILj256ELj4ELj4294967295EEENS1_37radix_sort_block_sort_config_selectorIdlEEZNS1_21radix_sort_block_sortIS4_Lb0EPdS8_N6thrust23THRUST_200600_302600_NS10device_ptrIlEESC_NS0_19identity_decomposerEEE10hipError_tT1_T2_T3_T4_jRjT5_jjP12ihipStream_tbEUlT_E_NS1_11comp_targetILNS1_3genE10ELNS1_11target_archE1200ELNS1_3gpuE4ELNS1_3repE0EEENS1_44radix_sort_block_sort_config_static_selectorELNS0_4arch9wavefront6targetE1EEEvSF_.has_recursion, 0
	.set _ZN7rocprim17ROCPRIM_400000_NS6detail17trampoline_kernelINS0_13kernel_configILj256ELj4ELj4294967295EEENS1_37radix_sort_block_sort_config_selectorIdlEEZNS1_21radix_sort_block_sortIS4_Lb0EPdS8_N6thrust23THRUST_200600_302600_NS10device_ptrIlEESC_NS0_19identity_decomposerEEE10hipError_tT1_T2_T3_T4_jRjT5_jjP12ihipStream_tbEUlT_E_NS1_11comp_targetILNS1_3genE10ELNS1_11target_archE1200ELNS1_3gpuE4ELNS1_3repE0EEENS1_44radix_sort_block_sort_config_static_selectorELNS0_4arch9wavefront6targetE1EEEvSF_.has_indirect_call, 0
	.section	.AMDGPU.csdata,"",@progbits
; Kernel info:
; codeLenInByte = 0
; TotalNumSgprs: 4
; NumVgprs: 0
; ScratchSize: 0
; MemoryBound: 0
; FloatMode: 240
; IeeeMode: 1
; LDSByteSize: 0 bytes/workgroup (compile time only)
; SGPRBlocks: 0
; VGPRBlocks: 0
; NumSGPRsForWavesPerEU: 4
; NumVGPRsForWavesPerEU: 1
; Occupancy: 10
; WaveLimiterHint : 0
; COMPUTE_PGM_RSRC2:SCRATCH_EN: 0
; COMPUTE_PGM_RSRC2:USER_SGPR: 6
; COMPUTE_PGM_RSRC2:TRAP_HANDLER: 0
; COMPUTE_PGM_RSRC2:TGID_X_EN: 1
; COMPUTE_PGM_RSRC2:TGID_Y_EN: 0
; COMPUTE_PGM_RSRC2:TGID_Z_EN: 0
; COMPUTE_PGM_RSRC2:TIDIG_COMP_CNT: 0
	.section	.text._ZN7rocprim17ROCPRIM_400000_NS6detail17trampoline_kernelINS0_13kernel_configILj256ELj4ELj4294967295EEENS1_37radix_sort_block_sort_config_selectorIdlEEZNS1_21radix_sort_block_sortIS4_Lb0EPdS8_N6thrust23THRUST_200600_302600_NS10device_ptrIlEESC_NS0_19identity_decomposerEEE10hipError_tT1_T2_T3_T4_jRjT5_jjP12ihipStream_tbEUlT_E_NS1_11comp_targetILNS1_3genE9ELNS1_11target_archE1100ELNS1_3gpuE3ELNS1_3repE0EEENS1_44radix_sort_block_sort_config_static_selectorELNS0_4arch9wavefront6targetE1EEEvSF_,"axG",@progbits,_ZN7rocprim17ROCPRIM_400000_NS6detail17trampoline_kernelINS0_13kernel_configILj256ELj4ELj4294967295EEENS1_37radix_sort_block_sort_config_selectorIdlEEZNS1_21radix_sort_block_sortIS4_Lb0EPdS8_N6thrust23THRUST_200600_302600_NS10device_ptrIlEESC_NS0_19identity_decomposerEEE10hipError_tT1_T2_T3_T4_jRjT5_jjP12ihipStream_tbEUlT_E_NS1_11comp_targetILNS1_3genE9ELNS1_11target_archE1100ELNS1_3gpuE3ELNS1_3repE0EEENS1_44radix_sort_block_sort_config_static_selectorELNS0_4arch9wavefront6targetE1EEEvSF_,comdat
	.protected	_ZN7rocprim17ROCPRIM_400000_NS6detail17trampoline_kernelINS0_13kernel_configILj256ELj4ELj4294967295EEENS1_37radix_sort_block_sort_config_selectorIdlEEZNS1_21radix_sort_block_sortIS4_Lb0EPdS8_N6thrust23THRUST_200600_302600_NS10device_ptrIlEESC_NS0_19identity_decomposerEEE10hipError_tT1_T2_T3_T4_jRjT5_jjP12ihipStream_tbEUlT_E_NS1_11comp_targetILNS1_3genE9ELNS1_11target_archE1100ELNS1_3gpuE3ELNS1_3repE0EEENS1_44radix_sort_block_sort_config_static_selectorELNS0_4arch9wavefront6targetE1EEEvSF_ ; -- Begin function _ZN7rocprim17ROCPRIM_400000_NS6detail17trampoline_kernelINS0_13kernel_configILj256ELj4ELj4294967295EEENS1_37radix_sort_block_sort_config_selectorIdlEEZNS1_21radix_sort_block_sortIS4_Lb0EPdS8_N6thrust23THRUST_200600_302600_NS10device_ptrIlEESC_NS0_19identity_decomposerEEE10hipError_tT1_T2_T3_T4_jRjT5_jjP12ihipStream_tbEUlT_E_NS1_11comp_targetILNS1_3genE9ELNS1_11target_archE1100ELNS1_3gpuE3ELNS1_3repE0EEENS1_44radix_sort_block_sort_config_static_selectorELNS0_4arch9wavefront6targetE1EEEvSF_
	.globl	_ZN7rocprim17ROCPRIM_400000_NS6detail17trampoline_kernelINS0_13kernel_configILj256ELj4ELj4294967295EEENS1_37radix_sort_block_sort_config_selectorIdlEEZNS1_21radix_sort_block_sortIS4_Lb0EPdS8_N6thrust23THRUST_200600_302600_NS10device_ptrIlEESC_NS0_19identity_decomposerEEE10hipError_tT1_T2_T3_T4_jRjT5_jjP12ihipStream_tbEUlT_E_NS1_11comp_targetILNS1_3genE9ELNS1_11target_archE1100ELNS1_3gpuE3ELNS1_3repE0EEENS1_44radix_sort_block_sort_config_static_selectorELNS0_4arch9wavefront6targetE1EEEvSF_
	.p2align	8
	.type	_ZN7rocprim17ROCPRIM_400000_NS6detail17trampoline_kernelINS0_13kernel_configILj256ELj4ELj4294967295EEENS1_37radix_sort_block_sort_config_selectorIdlEEZNS1_21radix_sort_block_sortIS4_Lb0EPdS8_N6thrust23THRUST_200600_302600_NS10device_ptrIlEESC_NS0_19identity_decomposerEEE10hipError_tT1_T2_T3_T4_jRjT5_jjP12ihipStream_tbEUlT_E_NS1_11comp_targetILNS1_3genE9ELNS1_11target_archE1100ELNS1_3gpuE3ELNS1_3repE0EEENS1_44radix_sort_block_sort_config_static_selectorELNS0_4arch9wavefront6targetE1EEEvSF_,@function
_ZN7rocprim17ROCPRIM_400000_NS6detail17trampoline_kernelINS0_13kernel_configILj256ELj4ELj4294967295EEENS1_37radix_sort_block_sort_config_selectorIdlEEZNS1_21radix_sort_block_sortIS4_Lb0EPdS8_N6thrust23THRUST_200600_302600_NS10device_ptrIlEESC_NS0_19identity_decomposerEEE10hipError_tT1_T2_T3_T4_jRjT5_jjP12ihipStream_tbEUlT_E_NS1_11comp_targetILNS1_3genE9ELNS1_11target_archE1100ELNS1_3gpuE3ELNS1_3repE0EEENS1_44radix_sort_block_sort_config_static_selectorELNS0_4arch9wavefront6targetE1EEEvSF_: ; @_ZN7rocprim17ROCPRIM_400000_NS6detail17trampoline_kernelINS0_13kernel_configILj256ELj4ELj4294967295EEENS1_37radix_sort_block_sort_config_selectorIdlEEZNS1_21radix_sort_block_sortIS4_Lb0EPdS8_N6thrust23THRUST_200600_302600_NS10device_ptrIlEESC_NS0_19identity_decomposerEEE10hipError_tT1_T2_T3_T4_jRjT5_jjP12ihipStream_tbEUlT_E_NS1_11comp_targetILNS1_3genE9ELNS1_11target_archE1100ELNS1_3gpuE3ELNS1_3repE0EEENS1_44radix_sort_block_sort_config_static_selectorELNS0_4arch9wavefront6targetE1EEEvSF_
; %bb.0:
	.section	.rodata,"a",@progbits
	.p2align	6, 0x0
	.amdhsa_kernel _ZN7rocprim17ROCPRIM_400000_NS6detail17trampoline_kernelINS0_13kernel_configILj256ELj4ELj4294967295EEENS1_37radix_sort_block_sort_config_selectorIdlEEZNS1_21radix_sort_block_sortIS4_Lb0EPdS8_N6thrust23THRUST_200600_302600_NS10device_ptrIlEESC_NS0_19identity_decomposerEEE10hipError_tT1_T2_T3_T4_jRjT5_jjP12ihipStream_tbEUlT_E_NS1_11comp_targetILNS1_3genE9ELNS1_11target_archE1100ELNS1_3gpuE3ELNS1_3repE0EEENS1_44radix_sort_block_sort_config_static_selectorELNS0_4arch9wavefront6targetE1EEEvSF_
		.amdhsa_group_segment_fixed_size 0
		.amdhsa_private_segment_fixed_size 0
		.amdhsa_kernarg_size 48
		.amdhsa_user_sgpr_count 6
		.amdhsa_user_sgpr_private_segment_buffer 1
		.amdhsa_user_sgpr_dispatch_ptr 0
		.amdhsa_user_sgpr_queue_ptr 0
		.amdhsa_user_sgpr_kernarg_segment_ptr 1
		.amdhsa_user_sgpr_dispatch_id 0
		.amdhsa_user_sgpr_flat_scratch_init 0
		.amdhsa_user_sgpr_private_segment_size 0
		.amdhsa_uses_dynamic_stack 0
		.amdhsa_system_sgpr_private_segment_wavefront_offset 0
		.amdhsa_system_sgpr_workgroup_id_x 1
		.amdhsa_system_sgpr_workgroup_id_y 0
		.amdhsa_system_sgpr_workgroup_id_z 0
		.amdhsa_system_sgpr_workgroup_info 0
		.amdhsa_system_vgpr_workitem_id 0
		.amdhsa_next_free_vgpr 1
		.amdhsa_next_free_sgpr 0
		.amdhsa_reserve_vcc 0
		.amdhsa_reserve_flat_scratch 0
		.amdhsa_float_round_mode_32 0
		.amdhsa_float_round_mode_16_64 0
		.amdhsa_float_denorm_mode_32 3
		.amdhsa_float_denorm_mode_16_64 3
		.amdhsa_dx10_clamp 1
		.amdhsa_ieee_mode 1
		.amdhsa_fp16_overflow 0
		.amdhsa_exception_fp_ieee_invalid_op 0
		.amdhsa_exception_fp_denorm_src 0
		.amdhsa_exception_fp_ieee_div_zero 0
		.amdhsa_exception_fp_ieee_overflow 0
		.amdhsa_exception_fp_ieee_underflow 0
		.amdhsa_exception_fp_ieee_inexact 0
		.amdhsa_exception_int_div_zero 0
	.end_amdhsa_kernel
	.section	.text._ZN7rocprim17ROCPRIM_400000_NS6detail17trampoline_kernelINS0_13kernel_configILj256ELj4ELj4294967295EEENS1_37radix_sort_block_sort_config_selectorIdlEEZNS1_21radix_sort_block_sortIS4_Lb0EPdS8_N6thrust23THRUST_200600_302600_NS10device_ptrIlEESC_NS0_19identity_decomposerEEE10hipError_tT1_T2_T3_T4_jRjT5_jjP12ihipStream_tbEUlT_E_NS1_11comp_targetILNS1_3genE9ELNS1_11target_archE1100ELNS1_3gpuE3ELNS1_3repE0EEENS1_44radix_sort_block_sort_config_static_selectorELNS0_4arch9wavefront6targetE1EEEvSF_,"axG",@progbits,_ZN7rocprim17ROCPRIM_400000_NS6detail17trampoline_kernelINS0_13kernel_configILj256ELj4ELj4294967295EEENS1_37radix_sort_block_sort_config_selectorIdlEEZNS1_21radix_sort_block_sortIS4_Lb0EPdS8_N6thrust23THRUST_200600_302600_NS10device_ptrIlEESC_NS0_19identity_decomposerEEE10hipError_tT1_T2_T3_T4_jRjT5_jjP12ihipStream_tbEUlT_E_NS1_11comp_targetILNS1_3genE9ELNS1_11target_archE1100ELNS1_3gpuE3ELNS1_3repE0EEENS1_44radix_sort_block_sort_config_static_selectorELNS0_4arch9wavefront6targetE1EEEvSF_,comdat
.Lfunc_end1531:
	.size	_ZN7rocprim17ROCPRIM_400000_NS6detail17trampoline_kernelINS0_13kernel_configILj256ELj4ELj4294967295EEENS1_37radix_sort_block_sort_config_selectorIdlEEZNS1_21radix_sort_block_sortIS4_Lb0EPdS8_N6thrust23THRUST_200600_302600_NS10device_ptrIlEESC_NS0_19identity_decomposerEEE10hipError_tT1_T2_T3_T4_jRjT5_jjP12ihipStream_tbEUlT_E_NS1_11comp_targetILNS1_3genE9ELNS1_11target_archE1100ELNS1_3gpuE3ELNS1_3repE0EEENS1_44radix_sort_block_sort_config_static_selectorELNS0_4arch9wavefront6targetE1EEEvSF_, .Lfunc_end1531-_ZN7rocprim17ROCPRIM_400000_NS6detail17trampoline_kernelINS0_13kernel_configILj256ELj4ELj4294967295EEENS1_37radix_sort_block_sort_config_selectorIdlEEZNS1_21radix_sort_block_sortIS4_Lb0EPdS8_N6thrust23THRUST_200600_302600_NS10device_ptrIlEESC_NS0_19identity_decomposerEEE10hipError_tT1_T2_T3_T4_jRjT5_jjP12ihipStream_tbEUlT_E_NS1_11comp_targetILNS1_3genE9ELNS1_11target_archE1100ELNS1_3gpuE3ELNS1_3repE0EEENS1_44radix_sort_block_sort_config_static_selectorELNS0_4arch9wavefront6targetE1EEEvSF_
                                        ; -- End function
	.set _ZN7rocprim17ROCPRIM_400000_NS6detail17trampoline_kernelINS0_13kernel_configILj256ELj4ELj4294967295EEENS1_37radix_sort_block_sort_config_selectorIdlEEZNS1_21radix_sort_block_sortIS4_Lb0EPdS8_N6thrust23THRUST_200600_302600_NS10device_ptrIlEESC_NS0_19identity_decomposerEEE10hipError_tT1_T2_T3_T4_jRjT5_jjP12ihipStream_tbEUlT_E_NS1_11comp_targetILNS1_3genE9ELNS1_11target_archE1100ELNS1_3gpuE3ELNS1_3repE0EEENS1_44radix_sort_block_sort_config_static_selectorELNS0_4arch9wavefront6targetE1EEEvSF_.num_vgpr, 0
	.set _ZN7rocprim17ROCPRIM_400000_NS6detail17trampoline_kernelINS0_13kernel_configILj256ELj4ELj4294967295EEENS1_37radix_sort_block_sort_config_selectorIdlEEZNS1_21radix_sort_block_sortIS4_Lb0EPdS8_N6thrust23THRUST_200600_302600_NS10device_ptrIlEESC_NS0_19identity_decomposerEEE10hipError_tT1_T2_T3_T4_jRjT5_jjP12ihipStream_tbEUlT_E_NS1_11comp_targetILNS1_3genE9ELNS1_11target_archE1100ELNS1_3gpuE3ELNS1_3repE0EEENS1_44radix_sort_block_sort_config_static_selectorELNS0_4arch9wavefront6targetE1EEEvSF_.num_agpr, 0
	.set _ZN7rocprim17ROCPRIM_400000_NS6detail17trampoline_kernelINS0_13kernel_configILj256ELj4ELj4294967295EEENS1_37radix_sort_block_sort_config_selectorIdlEEZNS1_21radix_sort_block_sortIS4_Lb0EPdS8_N6thrust23THRUST_200600_302600_NS10device_ptrIlEESC_NS0_19identity_decomposerEEE10hipError_tT1_T2_T3_T4_jRjT5_jjP12ihipStream_tbEUlT_E_NS1_11comp_targetILNS1_3genE9ELNS1_11target_archE1100ELNS1_3gpuE3ELNS1_3repE0EEENS1_44radix_sort_block_sort_config_static_selectorELNS0_4arch9wavefront6targetE1EEEvSF_.numbered_sgpr, 0
	.set _ZN7rocprim17ROCPRIM_400000_NS6detail17trampoline_kernelINS0_13kernel_configILj256ELj4ELj4294967295EEENS1_37radix_sort_block_sort_config_selectorIdlEEZNS1_21radix_sort_block_sortIS4_Lb0EPdS8_N6thrust23THRUST_200600_302600_NS10device_ptrIlEESC_NS0_19identity_decomposerEEE10hipError_tT1_T2_T3_T4_jRjT5_jjP12ihipStream_tbEUlT_E_NS1_11comp_targetILNS1_3genE9ELNS1_11target_archE1100ELNS1_3gpuE3ELNS1_3repE0EEENS1_44radix_sort_block_sort_config_static_selectorELNS0_4arch9wavefront6targetE1EEEvSF_.num_named_barrier, 0
	.set _ZN7rocprim17ROCPRIM_400000_NS6detail17trampoline_kernelINS0_13kernel_configILj256ELj4ELj4294967295EEENS1_37radix_sort_block_sort_config_selectorIdlEEZNS1_21radix_sort_block_sortIS4_Lb0EPdS8_N6thrust23THRUST_200600_302600_NS10device_ptrIlEESC_NS0_19identity_decomposerEEE10hipError_tT1_T2_T3_T4_jRjT5_jjP12ihipStream_tbEUlT_E_NS1_11comp_targetILNS1_3genE9ELNS1_11target_archE1100ELNS1_3gpuE3ELNS1_3repE0EEENS1_44radix_sort_block_sort_config_static_selectorELNS0_4arch9wavefront6targetE1EEEvSF_.private_seg_size, 0
	.set _ZN7rocprim17ROCPRIM_400000_NS6detail17trampoline_kernelINS0_13kernel_configILj256ELj4ELj4294967295EEENS1_37radix_sort_block_sort_config_selectorIdlEEZNS1_21radix_sort_block_sortIS4_Lb0EPdS8_N6thrust23THRUST_200600_302600_NS10device_ptrIlEESC_NS0_19identity_decomposerEEE10hipError_tT1_T2_T3_T4_jRjT5_jjP12ihipStream_tbEUlT_E_NS1_11comp_targetILNS1_3genE9ELNS1_11target_archE1100ELNS1_3gpuE3ELNS1_3repE0EEENS1_44radix_sort_block_sort_config_static_selectorELNS0_4arch9wavefront6targetE1EEEvSF_.uses_vcc, 0
	.set _ZN7rocprim17ROCPRIM_400000_NS6detail17trampoline_kernelINS0_13kernel_configILj256ELj4ELj4294967295EEENS1_37radix_sort_block_sort_config_selectorIdlEEZNS1_21radix_sort_block_sortIS4_Lb0EPdS8_N6thrust23THRUST_200600_302600_NS10device_ptrIlEESC_NS0_19identity_decomposerEEE10hipError_tT1_T2_T3_T4_jRjT5_jjP12ihipStream_tbEUlT_E_NS1_11comp_targetILNS1_3genE9ELNS1_11target_archE1100ELNS1_3gpuE3ELNS1_3repE0EEENS1_44radix_sort_block_sort_config_static_selectorELNS0_4arch9wavefront6targetE1EEEvSF_.uses_flat_scratch, 0
	.set _ZN7rocprim17ROCPRIM_400000_NS6detail17trampoline_kernelINS0_13kernel_configILj256ELj4ELj4294967295EEENS1_37radix_sort_block_sort_config_selectorIdlEEZNS1_21radix_sort_block_sortIS4_Lb0EPdS8_N6thrust23THRUST_200600_302600_NS10device_ptrIlEESC_NS0_19identity_decomposerEEE10hipError_tT1_T2_T3_T4_jRjT5_jjP12ihipStream_tbEUlT_E_NS1_11comp_targetILNS1_3genE9ELNS1_11target_archE1100ELNS1_3gpuE3ELNS1_3repE0EEENS1_44radix_sort_block_sort_config_static_selectorELNS0_4arch9wavefront6targetE1EEEvSF_.has_dyn_sized_stack, 0
	.set _ZN7rocprim17ROCPRIM_400000_NS6detail17trampoline_kernelINS0_13kernel_configILj256ELj4ELj4294967295EEENS1_37radix_sort_block_sort_config_selectorIdlEEZNS1_21radix_sort_block_sortIS4_Lb0EPdS8_N6thrust23THRUST_200600_302600_NS10device_ptrIlEESC_NS0_19identity_decomposerEEE10hipError_tT1_T2_T3_T4_jRjT5_jjP12ihipStream_tbEUlT_E_NS1_11comp_targetILNS1_3genE9ELNS1_11target_archE1100ELNS1_3gpuE3ELNS1_3repE0EEENS1_44radix_sort_block_sort_config_static_selectorELNS0_4arch9wavefront6targetE1EEEvSF_.has_recursion, 0
	.set _ZN7rocprim17ROCPRIM_400000_NS6detail17trampoline_kernelINS0_13kernel_configILj256ELj4ELj4294967295EEENS1_37radix_sort_block_sort_config_selectorIdlEEZNS1_21radix_sort_block_sortIS4_Lb0EPdS8_N6thrust23THRUST_200600_302600_NS10device_ptrIlEESC_NS0_19identity_decomposerEEE10hipError_tT1_T2_T3_T4_jRjT5_jjP12ihipStream_tbEUlT_E_NS1_11comp_targetILNS1_3genE9ELNS1_11target_archE1100ELNS1_3gpuE3ELNS1_3repE0EEENS1_44radix_sort_block_sort_config_static_selectorELNS0_4arch9wavefront6targetE1EEEvSF_.has_indirect_call, 0
	.section	.AMDGPU.csdata,"",@progbits
; Kernel info:
; codeLenInByte = 0
; TotalNumSgprs: 4
; NumVgprs: 0
; ScratchSize: 0
; MemoryBound: 0
; FloatMode: 240
; IeeeMode: 1
; LDSByteSize: 0 bytes/workgroup (compile time only)
; SGPRBlocks: 0
; VGPRBlocks: 0
; NumSGPRsForWavesPerEU: 4
; NumVGPRsForWavesPerEU: 1
; Occupancy: 10
; WaveLimiterHint : 0
; COMPUTE_PGM_RSRC2:SCRATCH_EN: 0
; COMPUTE_PGM_RSRC2:USER_SGPR: 6
; COMPUTE_PGM_RSRC2:TRAP_HANDLER: 0
; COMPUTE_PGM_RSRC2:TGID_X_EN: 1
; COMPUTE_PGM_RSRC2:TGID_Y_EN: 0
; COMPUTE_PGM_RSRC2:TGID_Z_EN: 0
; COMPUTE_PGM_RSRC2:TIDIG_COMP_CNT: 0
	.section	.text._ZN7rocprim17ROCPRIM_400000_NS6detail17trampoline_kernelINS0_13kernel_configILj256ELj4ELj4294967295EEENS1_37radix_sort_block_sort_config_selectorIdlEEZNS1_21radix_sort_block_sortIS4_Lb0EPdS8_N6thrust23THRUST_200600_302600_NS10device_ptrIlEESC_NS0_19identity_decomposerEEE10hipError_tT1_T2_T3_T4_jRjT5_jjP12ihipStream_tbEUlT_E_NS1_11comp_targetILNS1_3genE8ELNS1_11target_archE1030ELNS1_3gpuE2ELNS1_3repE0EEENS1_44radix_sort_block_sort_config_static_selectorELNS0_4arch9wavefront6targetE1EEEvSF_,"axG",@progbits,_ZN7rocprim17ROCPRIM_400000_NS6detail17trampoline_kernelINS0_13kernel_configILj256ELj4ELj4294967295EEENS1_37radix_sort_block_sort_config_selectorIdlEEZNS1_21radix_sort_block_sortIS4_Lb0EPdS8_N6thrust23THRUST_200600_302600_NS10device_ptrIlEESC_NS0_19identity_decomposerEEE10hipError_tT1_T2_T3_T4_jRjT5_jjP12ihipStream_tbEUlT_E_NS1_11comp_targetILNS1_3genE8ELNS1_11target_archE1030ELNS1_3gpuE2ELNS1_3repE0EEENS1_44radix_sort_block_sort_config_static_selectorELNS0_4arch9wavefront6targetE1EEEvSF_,comdat
	.protected	_ZN7rocprim17ROCPRIM_400000_NS6detail17trampoline_kernelINS0_13kernel_configILj256ELj4ELj4294967295EEENS1_37radix_sort_block_sort_config_selectorIdlEEZNS1_21radix_sort_block_sortIS4_Lb0EPdS8_N6thrust23THRUST_200600_302600_NS10device_ptrIlEESC_NS0_19identity_decomposerEEE10hipError_tT1_T2_T3_T4_jRjT5_jjP12ihipStream_tbEUlT_E_NS1_11comp_targetILNS1_3genE8ELNS1_11target_archE1030ELNS1_3gpuE2ELNS1_3repE0EEENS1_44radix_sort_block_sort_config_static_selectorELNS0_4arch9wavefront6targetE1EEEvSF_ ; -- Begin function _ZN7rocprim17ROCPRIM_400000_NS6detail17trampoline_kernelINS0_13kernel_configILj256ELj4ELj4294967295EEENS1_37radix_sort_block_sort_config_selectorIdlEEZNS1_21radix_sort_block_sortIS4_Lb0EPdS8_N6thrust23THRUST_200600_302600_NS10device_ptrIlEESC_NS0_19identity_decomposerEEE10hipError_tT1_T2_T3_T4_jRjT5_jjP12ihipStream_tbEUlT_E_NS1_11comp_targetILNS1_3genE8ELNS1_11target_archE1030ELNS1_3gpuE2ELNS1_3repE0EEENS1_44radix_sort_block_sort_config_static_selectorELNS0_4arch9wavefront6targetE1EEEvSF_
	.globl	_ZN7rocprim17ROCPRIM_400000_NS6detail17trampoline_kernelINS0_13kernel_configILj256ELj4ELj4294967295EEENS1_37radix_sort_block_sort_config_selectorIdlEEZNS1_21radix_sort_block_sortIS4_Lb0EPdS8_N6thrust23THRUST_200600_302600_NS10device_ptrIlEESC_NS0_19identity_decomposerEEE10hipError_tT1_T2_T3_T4_jRjT5_jjP12ihipStream_tbEUlT_E_NS1_11comp_targetILNS1_3genE8ELNS1_11target_archE1030ELNS1_3gpuE2ELNS1_3repE0EEENS1_44radix_sort_block_sort_config_static_selectorELNS0_4arch9wavefront6targetE1EEEvSF_
	.p2align	8
	.type	_ZN7rocprim17ROCPRIM_400000_NS6detail17trampoline_kernelINS0_13kernel_configILj256ELj4ELj4294967295EEENS1_37radix_sort_block_sort_config_selectorIdlEEZNS1_21radix_sort_block_sortIS4_Lb0EPdS8_N6thrust23THRUST_200600_302600_NS10device_ptrIlEESC_NS0_19identity_decomposerEEE10hipError_tT1_T2_T3_T4_jRjT5_jjP12ihipStream_tbEUlT_E_NS1_11comp_targetILNS1_3genE8ELNS1_11target_archE1030ELNS1_3gpuE2ELNS1_3repE0EEENS1_44radix_sort_block_sort_config_static_selectorELNS0_4arch9wavefront6targetE1EEEvSF_,@function
_ZN7rocprim17ROCPRIM_400000_NS6detail17trampoline_kernelINS0_13kernel_configILj256ELj4ELj4294967295EEENS1_37radix_sort_block_sort_config_selectorIdlEEZNS1_21radix_sort_block_sortIS4_Lb0EPdS8_N6thrust23THRUST_200600_302600_NS10device_ptrIlEESC_NS0_19identity_decomposerEEE10hipError_tT1_T2_T3_T4_jRjT5_jjP12ihipStream_tbEUlT_E_NS1_11comp_targetILNS1_3genE8ELNS1_11target_archE1030ELNS1_3gpuE2ELNS1_3repE0EEENS1_44radix_sort_block_sort_config_static_selectorELNS0_4arch9wavefront6targetE1EEEvSF_: ; @_ZN7rocprim17ROCPRIM_400000_NS6detail17trampoline_kernelINS0_13kernel_configILj256ELj4ELj4294967295EEENS1_37radix_sort_block_sort_config_selectorIdlEEZNS1_21radix_sort_block_sortIS4_Lb0EPdS8_N6thrust23THRUST_200600_302600_NS10device_ptrIlEESC_NS0_19identity_decomposerEEE10hipError_tT1_T2_T3_T4_jRjT5_jjP12ihipStream_tbEUlT_E_NS1_11comp_targetILNS1_3genE8ELNS1_11target_archE1030ELNS1_3gpuE2ELNS1_3repE0EEENS1_44radix_sort_block_sort_config_static_selectorELNS0_4arch9wavefront6targetE1EEEvSF_
; %bb.0:
	.section	.rodata,"a",@progbits
	.p2align	6, 0x0
	.amdhsa_kernel _ZN7rocprim17ROCPRIM_400000_NS6detail17trampoline_kernelINS0_13kernel_configILj256ELj4ELj4294967295EEENS1_37radix_sort_block_sort_config_selectorIdlEEZNS1_21radix_sort_block_sortIS4_Lb0EPdS8_N6thrust23THRUST_200600_302600_NS10device_ptrIlEESC_NS0_19identity_decomposerEEE10hipError_tT1_T2_T3_T4_jRjT5_jjP12ihipStream_tbEUlT_E_NS1_11comp_targetILNS1_3genE8ELNS1_11target_archE1030ELNS1_3gpuE2ELNS1_3repE0EEENS1_44radix_sort_block_sort_config_static_selectorELNS0_4arch9wavefront6targetE1EEEvSF_
		.amdhsa_group_segment_fixed_size 0
		.amdhsa_private_segment_fixed_size 0
		.amdhsa_kernarg_size 48
		.amdhsa_user_sgpr_count 6
		.amdhsa_user_sgpr_private_segment_buffer 1
		.amdhsa_user_sgpr_dispatch_ptr 0
		.amdhsa_user_sgpr_queue_ptr 0
		.amdhsa_user_sgpr_kernarg_segment_ptr 1
		.amdhsa_user_sgpr_dispatch_id 0
		.amdhsa_user_sgpr_flat_scratch_init 0
		.amdhsa_user_sgpr_private_segment_size 0
		.amdhsa_uses_dynamic_stack 0
		.amdhsa_system_sgpr_private_segment_wavefront_offset 0
		.amdhsa_system_sgpr_workgroup_id_x 1
		.amdhsa_system_sgpr_workgroup_id_y 0
		.amdhsa_system_sgpr_workgroup_id_z 0
		.amdhsa_system_sgpr_workgroup_info 0
		.amdhsa_system_vgpr_workitem_id 0
		.amdhsa_next_free_vgpr 1
		.amdhsa_next_free_sgpr 0
		.amdhsa_reserve_vcc 0
		.amdhsa_reserve_flat_scratch 0
		.amdhsa_float_round_mode_32 0
		.amdhsa_float_round_mode_16_64 0
		.amdhsa_float_denorm_mode_32 3
		.amdhsa_float_denorm_mode_16_64 3
		.amdhsa_dx10_clamp 1
		.amdhsa_ieee_mode 1
		.amdhsa_fp16_overflow 0
		.amdhsa_exception_fp_ieee_invalid_op 0
		.amdhsa_exception_fp_denorm_src 0
		.amdhsa_exception_fp_ieee_div_zero 0
		.amdhsa_exception_fp_ieee_overflow 0
		.amdhsa_exception_fp_ieee_underflow 0
		.amdhsa_exception_fp_ieee_inexact 0
		.amdhsa_exception_int_div_zero 0
	.end_amdhsa_kernel
	.section	.text._ZN7rocprim17ROCPRIM_400000_NS6detail17trampoline_kernelINS0_13kernel_configILj256ELj4ELj4294967295EEENS1_37radix_sort_block_sort_config_selectorIdlEEZNS1_21radix_sort_block_sortIS4_Lb0EPdS8_N6thrust23THRUST_200600_302600_NS10device_ptrIlEESC_NS0_19identity_decomposerEEE10hipError_tT1_T2_T3_T4_jRjT5_jjP12ihipStream_tbEUlT_E_NS1_11comp_targetILNS1_3genE8ELNS1_11target_archE1030ELNS1_3gpuE2ELNS1_3repE0EEENS1_44radix_sort_block_sort_config_static_selectorELNS0_4arch9wavefront6targetE1EEEvSF_,"axG",@progbits,_ZN7rocprim17ROCPRIM_400000_NS6detail17trampoline_kernelINS0_13kernel_configILj256ELj4ELj4294967295EEENS1_37radix_sort_block_sort_config_selectorIdlEEZNS1_21radix_sort_block_sortIS4_Lb0EPdS8_N6thrust23THRUST_200600_302600_NS10device_ptrIlEESC_NS0_19identity_decomposerEEE10hipError_tT1_T2_T3_T4_jRjT5_jjP12ihipStream_tbEUlT_E_NS1_11comp_targetILNS1_3genE8ELNS1_11target_archE1030ELNS1_3gpuE2ELNS1_3repE0EEENS1_44radix_sort_block_sort_config_static_selectorELNS0_4arch9wavefront6targetE1EEEvSF_,comdat
.Lfunc_end1532:
	.size	_ZN7rocprim17ROCPRIM_400000_NS6detail17trampoline_kernelINS0_13kernel_configILj256ELj4ELj4294967295EEENS1_37radix_sort_block_sort_config_selectorIdlEEZNS1_21radix_sort_block_sortIS4_Lb0EPdS8_N6thrust23THRUST_200600_302600_NS10device_ptrIlEESC_NS0_19identity_decomposerEEE10hipError_tT1_T2_T3_T4_jRjT5_jjP12ihipStream_tbEUlT_E_NS1_11comp_targetILNS1_3genE8ELNS1_11target_archE1030ELNS1_3gpuE2ELNS1_3repE0EEENS1_44radix_sort_block_sort_config_static_selectorELNS0_4arch9wavefront6targetE1EEEvSF_, .Lfunc_end1532-_ZN7rocprim17ROCPRIM_400000_NS6detail17trampoline_kernelINS0_13kernel_configILj256ELj4ELj4294967295EEENS1_37radix_sort_block_sort_config_selectorIdlEEZNS1_21radix_sort_block_sortIS4_Lb0EPdS8_N6thrust23THRUST_200600_302600_NS10device_ptrIlEESC_NS0_19identity_decomposerEEE10hipError_tT1_T2_T3_T4_jRjT5_jjP12ihipStream_tbEUlT_E_NS1_11comp_targetILNS1_3genE8ELNS1_11target_archE1030ELNS1_3gpuE2ELNS1_3repE0EEENS1_44radix_sort_block_sort_config_static_selectorELNS0_4arch9wavefront6targetE1EEEvSF_
                                        ; -- End function
	.set _ZN7rocprim17ROCPRIM_400000_NS6detail17trampoline_kernelINS0_13kernel_configILj256ELj4ELj4294967295EEENS1_37radix_sort_block_sort_config_selectorIdlEEZNS1_21radix_sort_block_sortIS4_Lb0EPdS8_N6thrust23THRUST_200600_302600_NS10device_ptrIlEESC_NS0_19identity_decomposerEEE10hipError_tT1_T2_T3_T4_jRjT5_jjP12ihipStream_tbEUlT_E_NS1_11comp_targetILNS1_3genE8ELNS1_11target_archE1030ELNS1_3gpuE2ELNS1_3repE0EEENS1_44radix_sort_block_sort_config_static_selectorELNS0_4arch9wavefront6targetE1EEEvSF_.num_vgpr, 0
	.set _ZN7rocprim17ROCPRIM_400000_NS6detail17trampoline_kernelINS0_13kernel_configILj256ELj4ELj4294967295EEENS1_37radix_sort_block_sort_config_selectorIdlEEZNS1_21radix_sort_block_sortIS4_Lb0EPdS8_N6thrust23THRUST_200600_302600_NS10device_ptrIlEESC_NS0_19identity_decomposerEEE10hipError_tT1_T2_T3_T4_jRjT5_jjP12ihipStream_tbEUlT_E_NS1_11comp_targetILNS1_3genE8ELNS1_11target_archE1030ELNS1_3gpuE2ELNS1_3repE0EEENS1_44radix_sort_block_sort_config_static_selectorELNS0_4arch9wavefront6targetE1EEEvSF_.num_agpr, 0
	.set _ZN7rocprim17ROCPRIM_400000_NS6detail17trampoline_kernelINS0_13kernel_configILj256ELj4ELj4294967295EEENS1_37radix_sort_block_sort_config_selectorIdlEEZNS1_21radix_sort_block_sortIS4_Lb0EPdS8_N6thrust23THRUST_200600_302600_NS10device_ptrIlEESC_NS0_19identity_decomposerEEE10hipError_tT1_T2_T3_T4_jRjT5_jjP12ihipStream_tbEUlT_E_NS1_11comp_targetILNS1_3genE8ELNS1_11target_archE1030ELNS1_3gpuE2ELNS1_3repE0EEENS1_44radix_sort_block_sort_config_static_selectorELNS0_4arch9wavefront6targetE1EEEvSF_.numbered_sgpr, 0
	.set _ZN7rocprim17ROCPRIM_400000_NS6detail17trampoline_kernelINS0_13kernel_configILj256ELj4ELj4294967295EEENS1_37radix_sort_block_sort_config_selectorIdlEEZNS1_21radix_sort_block_sortIS4_Lb0EPdS8_N6thrust23THRUST_200600_302600_NS10device_ptrIlEESC_NS0_19identity_decomposerEEE10hipError_tT1_T2_T3_T4_jRjT5_jjP12ihipStream_tbEUlT_E_NS1_11comp_targetILNS1_3genE8ELNS1_11target_archE1030ELNS1_3gpuE2ELNS1_3repE0EEENS1_44radix_sort_block_sort_config_static_selectorELNS0_4arch9wavefront6targetE1EEEvSF_.num_named_barrier, 0
	.set _ZN7rocprim17ROCPRIM_400000_NS6detail17trampoline_kernelINS0_13kernel_configILj256ELj4ELj4294967295EEENS1_37radix_sort_block_sort_config_selectorIdlEEZNS1_21radix_sort_block_sortIS4_Lb0EPdS8_N6thrust23THRUST_200600_302600_NS10device_ptrIlEESC_NS0_19identity_decomposerEEE10hipError_tT1_T2_T3_T4_jRjT5_jjP12ihipStream_tbEUlT_E_NS1_11comp_targetILNS1_3genE8ELNS1_11target_archE1030ELNS1_3gpuE2ELNS1_3repE0EEENS1_44radix_sort_block_sort_config_static_selectorELNS0_4arch9wavefront6targetE1EEEvSF_.private_seg_size, 0
	.set _ZN7rocprim17ROCPRIM_400000_NS6detail17trampoline_kernelINS0_13kernel_configILj256ELj4ELj4294967295EEENS1_37radix_sort_block_sort_config_selectorIdlEEZNS1_21radix_sort_block_sortIS4_Lb0EPdS8_N6thrust23THRUST_200600_302600_NS10device_ptrIlEESC_NS0_19identity_decomposerEEE10hipError_tT1_T2_T3_T4_jRjT5_jjP12ihipStream_tbEUlT_E_NS1_11comp_targetILNS1_3genE8ELNS1_11target_archE1030ELNS1_3gpuE2ELNS1_3repE0EEENS1_44radix_sort_block_sort_config_static_selectorELNS0_4arch9wavefront6targetE1EEEvSF_.uses_vcc, 0
	.set _ZN7rocprim17ROCPRIM_400000_NS6detail17trampoline_kernelINS0_13kernel_configILj256ELj4ELj4294967295EEENS1_37radix_sort_block_sort_config_selectorIdlEEZNS1_21radix_sort_block_sortIS4_Lb0EPdS8_N6thrust23THRUST_200600_302600_NS10device_ptrIlEESC_NS0_19identity_decomposerEEE10hipError_tT1_T2_T3_T4_jRjT5_jjP12ihipStream_tbEUlT_E_NS1_11comp_targetILNS1_3genE8ELNS1_11target_archE1030ELNS1_3gpuE2ELNS1_3repE0EEENS1_44radix_sort_block_sort_config_static_selectorELNS0_4arch9wavefront6targetE1EEEvSF_.uses_flat_scratch, 0
	.set _ZN7rocprim17ROCPRIM_400000_NS6detail17trampoline_kernelINS0_13kernel_configILj256ELj4ELj4294967295EEENS1_37radix_sort_block_sort_config_selectorIdlEEZNS1_21radix_sort_block_sortIS4_Lb0EPdS8_N6thrust23THRUST_200600_302600_NS10device_ptrIlEESC_NS0_19identity_decomposerEEE10hipError_tT1_T2_T3_T4_jRjT5_jjP12ihipStream_tbEUlT_E_NS1_11comp_targetILNS1_3genE8ELNS1_11target_archE1030ELNS1_3gpuE2ELNS1_3repE0EEENS1_44radix_sort_block_sort_config_static_selectorELNS0_4arch9wavefront6targetE1EEEvSF_.has_dyn_sized_stack, 0
	.set _ZN7rocprim17ROCPRIM_400000_NS6detail17trampoline_kernelINS0_13kernel_configILj256ELj4ELj4294967295EEENS1_37radix_sort_block_sort_config_selectorIdlEEZNS1_21radix_sort_block_sortIS4_Lb0EPdS8_N6thrust23THRUST_200600_302600_NS10device_ptrIlEESC_NS0_19identity_decomposerEEE10hipError_tT1_T2_T3_T4_jRjT5_jjP12ihipStream_tbEUlT_E_NS1_11comp_targetILNS1_3genE8ELNS1_11target_archE1030ELNS1_3gpuE2ELNS1_3repE0EEENS1_44radix_sort_block_sort_config_static_selectorELNS0_4arch9wavefront6targetE1EEEvSF_.has_recursion, 0
	.set _ZN7rocprim17ROCPRIM_400000_NS6detail17trampoline_kernelINS0_13kernel_configILj256ELj4ELj4294967295EEENS1_37radix_sort_block_sort_config_selectorIdlEEZNS1_21radix_sort_block_sortIS4_Lb0EPdS8_N6thrust23THRUST_200600_302600_NS10device_ptrIlEESC_NS0_19identity_decomposerEEE10hipError_tT1_T2_T3_T4_jRjT5_jjP12ihipStream_tbEUlT_E_NS1_11comp_targetILNS1_3genE8ELNS1_11target_archE1030ELNS1_3gpuE2ELNS1_3repE0EEENS1_44radix_sort_block_sort_config_static_selectorELNS0_4arch9wavefront6targetE1EEEvSF_.has_indirect_call, 0
	.section	.AMDGPU.csdata,"",@progbits
; Kernel info:
; codeLenInByte = 0
; TotalNumSgprs: 4
; NumVgprs: 0
; ScratchSize: 0
; MemoryBound: 0
; FloatMode: 240
; IeeeMode: 1
; LDSByteSize: 0 bytes/workgroup (compile time only)
; SGPRBlocks: 0
; VGPRBlocks: 0
; NumSGPRsForWavesPerEU: 4
; NumVGPRsForWavesPerEU: 1
; Occupancy: 10
; WaveLimiterHint : 0
; COMPUTE_PGM_RSRC2:SCRATCH_EN: 0
; COMPUTE_PGM_RSRC2:USER_SGPR: 6
; COMPUTE_PGM_RSRC2:TRAP_HANDLER: 0
; COMPUTE_PGM_RSRC2:TGID_X_EN: 1
; COMPUTE_PGM_RSRC2:TGID_Y_EN: 0
; COMPUTE_PGM_RSRC2:TGID_Z_EN: 0
; COMPUTE_PGM_RSRC2:TIDIG_COMP_CNT: 0
	.section	.text._ZN7rocprim17ROCPRIM_400000_NS6detail44device_merge_sort_compile_time_verifier_archINS1_11comp_targetILNS1_3genE0ELNS1_11target_archE4294967295ELNS1_3gpuE0ELNS1_3repE0EEES8_NS1_28merge_sort_block_sort_configILj256ELj4ELNS0_20block_sort_algorithmE0EEENS0_14default_configENS1_37merge_sort_block_sort_config_selectorIdlEENS1_38merge_sort_block_merge_config_selectorIdlEEEEvv,"axG",@progbits,_ZN7rocprim17ROCPRIM_400000_NS6detail44device_merge_sort_compile_time_verifier_archINS1_11comp_targetILNS1_3genE0ELNS1_11target_archE4294967295ELNS1_3gpuE0ELNS1_3repE0EEES8_NS1_28merge_sort_block_sort_configILj256ELj4ELNS0_20block_sort_algorithmE0EEENS0_14default_configENS1_37merge_sort_block_sort_config_selectorIdlEENS1_38merge_sort_block_merge_config_selectorIdlEEEEvv,comdat
	.protected	_ZN7rocprim17ROCPRIM_400000_NS6detail44device_merge_sort_compile_time_verifier_archINS1_11comp_targetILNS1_3genE0ELNS1_11target_archE4294967295ELNS1_3gpuE0ELNS1_3repE0EEES8_NS1_28merge_sort_block_sort_configILj256ELj4ELNS0_20block_sort_algorithmE0EEENS0_14default_configENS1_37merge_sort_block_sort_config_selectorIdlEENS1_38merge_sort_block_merge_config_selectorIdlEEEEvv ; -- Begin function _ZN7rocprim17ROCPRIM_400000_NS6detail44device_merge_sort_compile_time_verifier_archINS1_11comp_targetILNS1_3genE0ELNS1_11target_archE4294967295ELNS1_3gpuE0ELNS1_3repE0EEES8_NS1_28merge_sort_block_sort_configILj256ELj4ELNS0_20block_sort_algorithmE0EEENS0_14default_configENS1_37merge_sort_block_sort_config_selectorIdlEENS1_38merge_sort_block_merge_config_selectorIdlEEEEvv
	.globl	_ZN7rocprim17ROCPRIM_400000_NS6detail44device_merge_sort_compile_time_verifier_archINS1_11comp_targetILNS1_3genE0ELNS1_11target_archE4294967295ELNS1_3gpuE0ELNS1_3repE0EEES8_NS1_28merge_sort_block_sort_configILj256ELj4ELNS0_20block_sort_algorithmE0EEENS0_14default_configENS1_37merge_sort_block_sort_config_selectorIdlEENS1_38merge_sort_block_merge_config_selectorIdlEEEEvv
	.p2align	8
	.type	_ZN7rocprim17ROCPRIM_400000_NS6detail44device_merge_sort_compile_time_verifier_archINS1_11comp_targetILNS1_3genE0ELNS1_11target_archE4294967295ELNS1_3gpuE0ELNS1_3repE0EEES8_NS1_28merge_sort_block_sort_configILj256ELj4ELNS0_20block_sort_algorithmE0EEENS0_14default_configENS1_37merge_sort_block_sort_config_selectorIdlEENS1_38merge_sort_block_merge_config_selectorIdlEEEEvv,@function
_ZN7rocprim17ROCPRIM_400000_NS6detail44device_merge_sort_compile_time_verifier_archINS1_11comp_targetILNS1_3genE0ELNS1_11target_archE4294967295ELNS1_3gpuE0ELNS1_3repE0EEES8_NS1_28merge_sort_block_sort_configILj256ELj4ELNS0_20block_sort_algorithmE0EEENS0_14default_configENS1_37merge_sort_block_sort_config_selectorIdlEENS1_38merge_sort_block_merge_config_selectorIdlEEEEvv: ; @_ZN7rocprim17ROCPRIM_400000_NS6detail44device_merge_sort_compile_time_verifier_archINS1_11comp_targetILNS1_3genE0ELNS1_11target_archE4294967295ELNS1_3gpuE0ELNS1_3repE0EEES8_NS1_28merge_sort_block_sort_configILj256ELj4ELNS0_20block_sort_algorithmE0EEENS0_14default_configENS1_37merge_sort_block_sort_config_selectorIdlEENS1_38merge_sort_block_merge_config_selectorIdlEEEEvv
; %bb.0:
	s_endpgm
	.section	.rodata,"a",@progbits
	.p2align	6, 0x0
	.amdhsa_kernel _ZN7rocprim17ROCPRIM_400000_NS6detail44device_merge_sort_compile_time_verifier_archINS1_11comp_targetILNS1_3genE0ELNS1_11target_archE4294967295ELNS1_3gpuE0ELNS1_3repE0EEES8_NS1_28merge_sort_block_sort_configILj256ELj4ELNS0_20block_sort_algorithmE0EEENS0_14default_configENS1_37merge_sort_block_sort_config_selectorIdlEENS1_38merge_sort_block_merge_config_selectorIdlEEEEvv
		.amdhsa_group_segment_fixed_size 0
		.amdhsa_private_segment_fixed_size 0
		.amdhsa_kernarg_size 0
		.amdhsa_user_sgpr_count 4
		.amdhsa_user_sgpr_private_segment_buffer 1
		.amdhsa_user_sgpr_dispatch_ptr 0
		.amdhsa_user_sgpr_queue_ptr 0
		.amdhsa_user_sgpr_kernarg_segment_ptr 0
		.amdhsa_user_sgpr_dispatch_id 0
		.amdhsa_user_sgpr_flat_scratch_init 0
		.amdhsa_user_sgpr_private_segment_size 0
		.amdhsa_uses_dynamic_stack 0
		.amdhsa_system_sgpr_private_segment_wavefront_offset 0
		.amdhsa_system_sgpr_workgroup_id_x 1
		.amdhsa_system_sgpr_workgroup_id_y 0
		.amdhsa_system_sgpr_workgroup_id_z 0
		.amdhsa_system_sgpr_workgroup_info 0
		.amdhsa_system_vgpr_workitem_id 0
		.amdhsa_next_free_vgpr 1
		.amdhsa_next_free_sgpr 0
		.amdhsa_reserve_vcc 0
		.amdhsa_reserve_flat_scratch 0
		.amdhsa_float_round_mode_32 0
		.amdhsa_float_round_mode_16_64 0
		.amdhsa_float_denorm_mode_32 3
		.amdhsa_float_denorm_mode_16_64 3
		.amdhsa_dx10_clamp 1
		.amdhsa_ieee_mode 1
		.amdhsa_fp16_overflow 0
		.amdhsa_exception_fp_ieee_invalid_op 0
		.amdhsa_exception_fp_denorm_src 0
		.amdhsa_exception_fp_ieee_div_zero 0
		.amdhsa_exception_fp_ieee_overflow 0
		.amdhsa_exception_fp_ieee_underflow 0
		.amdhsa_exception_fp_ieee_inexact 0
		.amdhsa_exception_int_div_zero 0
	.end_amdhsa_kernel
	.section	.text._ZN7rocprim17ROCPRIM_400000_NS6detail44device_merge_sort_compile_time_verifier_archINS1_11comp_targetILNS1_3genE0ELNS1_11target_archE4294967295ELNS1_3gpuE0ELNS1_3repE0EEES8_NS1_28merge_sort_block_sort_configILj256ELj4ELNS0_20block_sort_algorithmE0EEENS0_14default_configENS1_37merge_sort_block_sort_config_selectorIdlEENS1_38merge_sort_block_merge_config_selectorIdlEEEEvv,"axG",@progbits,_ZN7rocprim17ROCPRIM_400000_NS6detail44device_merge_sort_compile_time_verifier_archINS1_11comp_targetILNS1_3genE0ELNS1_11target_archE4294967295ELNS1_3gpuE0ELNS1_3repE0EEES8_NS1_28merge_sort_block_sort_configILj256ELj4ELNS0_20block_sort_algorithmE0EEENS0_14default_configENS1_37merge_sort_block_sort_config_selectorIdlEENS1_38merge_sort_block_merge_config_selectorIdlEEEEvv,comdat
.Lfunc_end1533:
	.size	_ZN7rocprim17ROCPRIM_400000_NS6detail44device_merge_sort_compile_time_verifier_archINS1_11comp_targetILNS1_3genE0ELNS1_11target_archE4294967295ELNS1_3gpuE0ELNS1_3repE0EEES8_NS1_28merge_sort_block_sort_configILj256ELj4ELNS0_20block_sort_algorithmE0EEENS0_14default_configENS1_37merge_sort_block_sort_config_selectorIdlEENS1_38merge_sort_block_merge_config_selectorIdlEEEEvv, .Lfunc_end1533-_ZN7rocprim17ROCPRIM_400000_NS6detail44device_merge_sort_compile_time_verifier_archINS1_11comp_targetILNS1_3genE0ELNS1_11target_archE4294967295ELNS1_3gpuE0ELNS1_3repE0EEES8_NS1_28merge_sort_block_sort_configILj256ELj4ELNS0_20block_sort_algorithmE0EEENS0_14default_configENS1_37merge_sort_block_sort_config_selectorIdlEENS1_38merge_sort_block_merge_config_selectorIdlEEEEvv
                                        ; -- End function
	.set _ZN7rocprim17ROCPRIM_400000_NS6detail44device_merge_sort_compile_time_verifier_archINS1_11comp_targetILNS1_3genE0ELNS1_11target_archE4294967295ELNS1_3gpuE0ELNS1_3repE0EEES8_NS1_28merge_sort_block_sort_configILj256ELj4ELNS0_20block_sort_algorithmE0EEENS0_14default_configENS1_37merge_sort_block_sort_config_selectorIdlEENS1_38merge_sort_block_merge_config_selectorIdlEEEEvv.num_vgpr, 0
	.set _ZN7rocprim17ROCPRIM_400000_NS6detail44device_merge_sort_compile_time_verifier_archINS1_11comp_targetILNS1_3genE0ELNS1_11target_archE4294967295ELNS1_3gpuE0ELNS1_3repE0EEES8_NS1_28merge_sort_block_sort_configILj256ELj4ELNS0_20block_sort_algorithmE0EEENS0_14default_configENS1_37merge_sort_block_sort_config_selectorIdlEENS1_38merge_sort_block_merge_config_selectorIdlEEEEvv.num_agpr, 0
	.set _ZN7rocprim17ROCPRIM_400000_NS6detail44device_merge_sort_compile_time_verifier_archINS1_11comp_targetILNS1_3genE0ELNS1_11target_archE4294967295ELNS1_3gpuE0ELNS1_3repE0EEES8_NS1_28merge_sort_block_sort_configILj256ELj4ELNS0_20block_sort_algorithmE0EEENS0_14default_configENS1_37merge_sort_block_sort_config_selectorIdlEENS1_38merge_sort_block_merge_config_selectorIdlEEEEvv.numbered_sgpr, 0
	.set _ZN7rocprim17ROCPRIM_400000_NS6detail44device_merge_sort_compile_time_verifier_archINS1_11comp_targetILNS1_3genE0ELNS1_11target_archE4294967295ELNS1_3gpuE0ELNS1_3repE0EEES8_NS1_28merge_sort_block_sort_configILj256ELj4ELNS0_20block_sort_algorithmE0EEENS0_14default_configENS1_37merge_sort_block_sort_config_selectorIdlEENS1_38merge_sort_block_merge_config_selectorIdlEEEEvv.num_named_barrier, 0
	.set _ZN7rocprim17ROCPRIM_400000_NS6detail44device_merge_sort_compile_time_verifier_archINS1_11comp_targetILNS1_3genE0ELNS1_11target_archE4294967295ELNS1_3gpuE0ELNS1_3repE0EEES8_NS1_28merge_sort_block_sort_configILj256ELj4ELNS0_20block_sort_algorithmE0EEENS0_14default_configENS1_37merge_sort_block_sort_config_selectorIdlEENS1_38merge_sort_block_merge_config_selectorIdlEEEEvv.private_seg_size, 0
	.set _ZN7rocprim17ROCPRIM_400000_NS6detail44device_merge_sort_compile_time_verifier_archINS1_11comp_targetILNS1_3genE0ELNS1_11target_archE4294967295ELNS1_3gpuE0ELNS1_3repE0EEES8_NS1_28merge_sort_block_sort_configILj256ELj4ELNS0_20block_sort_algorithmE0EEENS0_14default_configENS1_37merge_sort_block_sort_config_selectorIdlEENS1_38merge_sort_block_merge_config_selectorIdlEEEEvv.uses_vcc, 0
	.set _ZN7rocprim17ROCPRIM_400000_NS6detail44device_merge_sort_compile_time_verifier_archINS1_11comp_targetILNS1_3genE0ELNS1_11target_archE4294967295ELNS1_3gpuE0ELNS1_3repE0EEES8_NS1_28merge_sort_block_sort_configILj256ELj4ELNS0_20block_sort_algorithmE0EEENS0_14default_configENS1_37merge_sort_block_sort_config_selectorIdlEENS1_38merge_sort_block_merge_config_selectorIdlEEEEvv.uses_flat_scratch, 0
	.set _ZN7rocprim17ROCPRIM_400000_NS6detail44device_merge_sort_compile_time_verifier_archINS1_11comp_targetILNS1_3genE0ELNS1_11target_archE4294967295ELNS1_3gpuE0ELNS1_3repE0EEES8_NS1_28merge_sort_block_sort_configILj256ELj4ELNS0_20block_sort_algorithmE0EEENS0_14default_configENS1_37merge_sort_block_sort_config_selectorIdlEENS1_38merge_sort_block_merge_config_selectorIdlEEEEvv.has_dyn_sized_stack, 0
	.set _ZN7rocprim17ROCPRIM_400000_NS6detail44device_merge_sort_compile_time_verifier_archINS1_11comp_targetILNS1_3genE0ELNS1_11target_archE4294967295ELNS1_3gpuE0ELNS1_3repE0EEES8_NS1_28merge_sort_block_sort_configILj256ELj4ELNS0_20block_sort_algorithmE0EEENS0_14default_configENS1_37merge_sort_block_sort_config_selectorIdlEENS1_38merge_sort_block_merge_config_selectorIdlEEEEvv.has_recursion, 0
	.set _ZN7rocprim17ROCPRIM_400000_NS6detail44device_merge_sort_compile_time_verifier_archINS1_11comp_targetILNS1_3genE0ELNS1_11target_archE4294967295ELNS1_3gpuE0ELNS1_3repE0EEES8_NS1_28merge_sort_block_sort_configILj256ELj4ELNS0_20block_sort_algorithmE0EEENS0_14default_configENS1_37merge_sort_block_sort_config_selectorIdlEENS1_38merge_sort_block_merge_config_selectorIdlEEEEvv.has_indirect_call, 0
	.section	.AMDGPU.csdata,"",@progbits
; Kernel info:
; codeLenInByte = 4
; TotalNumSgprs: 4
; NumVgprs: 0
; ScratchSize: 0
; MemoryBound: 0
; FloatMode: 240
; IeeeMode: 1
; LDSByteSize: 0 bytes/workgroup (compile time only)
; SGPRBlocks: 0
; VGPRBlocks: 0
; NumSGPRsForWavesPerEU: 4
; NumVGPRsForWavesPerEU: 1
; Occupancy: 10
; WaveLimiterHint : 0
; COMPUTE_PGM_RSRC2:SCRATCH_EN: 0
; COMPUTE_PGM_RSRC2:USER_SGPR: 4
; COMPUTE_PGM_RSRC2:TRAP_HANDLER: 0
; COMPUTE_PGM_RSRC2:TGID_X_EN: 1
; COMPUTE_PGM_RSRC2:TGID_Y_EN: 0
; COMPUTE_PGM_RSRC2:TGID_Z_EN: 0
; COMPUTE_PGM_RSRC2:TIDIG_COMP_CNT: 0
	.section	.text._ZN7rocprim17ROCPRIM_400000_NS6detail44device_merge_sort_compile_time_verifier_archINS1_11comp_targetILNS1_3genE5ELNS1_11target_archE942ELNS1_3gpuE9ELNS1_3repE0EEES8_NS1_28merge_sort_block_sort_configILj256ELj4ELNS0_20block_sort_algorithmE0EEENS0_14default_configENS1_37merge_sort_block_sort_config_selectorIdlEENS1_38merge_sort_block_merge_config_selectorIdlEEEEvv,"axG",@progbits,_ZN7rocprim17ROCPRIM_400000_NS6detail44device_merge_sort_compile_time_verifier_archINS1_11comp_targetILNS1_3genE5ELNS1_11target_archE942ELNS1_3gpuE9ELNS1_3repE0EEES8_NS1_28merge_sort_block_sort_configILj256ELj4ELNS0_20block_sort_algorithmE0EEENS0_14default_configENS1_37merge_sort_block_sort_config_selectorIdlEENS1_38merge_sort_block_merge_config_selectorIdlEEEEvv,comdat
	.protected	_ZN7rocprim17ROCPRIM_400000_NS6detail44device_merge_sort_compile_time_verifier_archINS1_11comp_targetILNS1_3genE5ELNS1_11target_archE942ELNS1_3gpuE9ELNS1_3repE0EEES8_NS1_28merge_sort_block_sort_configILj256ELj4ELNS0_20block_sort_algorithmE0EEENS0_14default_configENS1_37merge_sort_block_sort_config_selectorIdlEENS1_38merge_sort_block_merge_config_selectorIdlEEEEvv ; -- Begin function _ZN7rocprim17ROCPRIM_400000_NS6detail44device_merge_sort_compile_time_verifier_archINS1_11comp_targetILNS1_3genE5ELNS1_11target_archE942ELNS1_3gpuE9ELNS1_3repE0EEES8_NS1_28merge_sort_block_sort_configILj256ELj4ELNS0_20block_sort_algorithmE0EEENS0_14default_configENS1_37merge_sort_block_sort_config_selectorIdlEENS1_38merge_sort_block_merge_config_selectorIdlEEEEvv
	.globl	_ZN7rocprim17ROCPRIM_400000_NS6detail44device_merge_sort_compile_time_verifier_archINS1_11comp_targetILNS1_3genE5ELNS1_11target_archE942ELNS1_3gpuE9ELNS1_3repE0EEES8_NS1_28merge_sort_block_sort_configILj256ELj4ELNS0_20block_sort_algorithmE0EEENS0_14default_configENS1_37merge_sort_block_sort_config_selectorIdlEENS1_38merge_sort_block_merge_config_selectorIdlEEEEvv
	.p2align	8
	.type	_ZN7rocprim17ROCPRIM_400000_NS6detail44device_merge_sort_compile_time_verifier_archINS1_11comp_targetILNS1_3genE5ELNS1_11target_archE942ELNS1_3gpuE9ELNS1_3repE0EEES8_NS1_28merge_sort_block_sort_configILj256ELj4ELNS0_20block_sort_algorithmE0EEENS0_14default_configENS1_37merge_sort_block_sort_config_selectorIdlEENS1_38merge_sort_block_merge_config_selectorIdlEEEEvv,@function
_ZN7rocprim17ROCPRIM_400000_NS6detail44device_merge_sort_compile_time_verifier_archINS1_11comp_targetILNS1_3genE5ELNS1_11target_archE942ELNS1_3gpuE9ELNS1_3repE0EEES8_NS1_28merge_sort_block_sort_configILj256ELj4ELNS0_20block_sort_algorithmE0EEENS0_14default_configENS1_37merge_sort_block_sort_config_selectorIdlEENS1_38merge_sort_block_merge_config_selectorIdlEEEEvv: ; @_ZN7rocprim17ROCPRIM_400000_NS6detail44device_merge_sort_compile_time_verifier_archINS1_11comp_targetILNS1_3genE5ELNS1_11target_archE942ELNS1_3gpuE9ELNS1_3repE0EEES8_NS1_28merge_sort_block_sort_configILj256ELj4ELNS0_20block_sort_algorithmE0EEENS0_14default_configENS1_37merge_sort_block_sort_config_selectorIdlEENS1_38merge_sort_block_merge_config_selectorIdlEEEEvv
; %bb.0:
	s_endpgm
	.section	.rodata,"a",@progbits
	.p2align	6, 0x0
	.amdhsa_kernel _ZN7rocprim17ROCPRIM_400000_NS6detail44device_merge_sort_compile_time_verifier_archINS1_11comp_targetILNS1_3genE5ELNS1_11target_archE942ELNS1_3gpuE9ELNS1_3repE0EEES8_NS1_28merge_sort_block_sort_configILj256ELj4ELNS0_20block_sort_algorithmE0EEENS0_14default_configENS1_37merge_sort_block_sort_config_selectorIdlEENS1_38merge_sort_block_merge_config_selectorIdlEEEEvv
		.amdhsa_group_segment_fixed_size 0
		.amdhsa_private_segment_fixed_size 0
		.amdhsa_kernarg_size 0
		.amdhsa_user_sgpr_count 4
		.amdhsa_user_sgpr_private_segment_buffer 1
		.amdhsa_user_sgpr_dispatch_ptr 0
		.amdhsa_user_sgpr_queue_ptr 0
		.amdhsa_user_sgpr_kernarg_segment_ptr 0
		.amdhsa_user_sgpr_dispatch_id 0
		.amdhsa_user_sgpr_flat_scratch_init 0
		.amdhsa_user_sgpr_private_segment_size 0
		.amdhsa_uses_dynamic_stack 0
		.amdhsa_system_sgpr_private_segment_wavefront_offset 0
		.amdhsa_system_sgpr_workgroup_id_x 1
		.amdhsa_system_sgpr_workgroup_id_y 0
		.amdhsa_system_sgpr_workgroup_id_z 0
		.amdhsa_system_sgpr_workgroup_info 0
		.amdhsa_system_vgpr_workitem_id 0
		.amdhsa_next_free_vgpr 1
		.amdhsa_next_free_sgpr 0
		.amdhsa_reserve_vcc 0
		.amdhsa_reserve_flat_scratch 0
		.amdhsa_float_round_mode_32 0
		.amdhsa_float_round_mode_16_64 0
		.amdhsa_float_denorm_mode_32 3
		.amdhsa_float_denorm_mode_16_64 3
		.amdhsa_dx10_clamp 1
		.amdhsa_ieee_mode 1
		.amdhsa_fp16_overflow 0
		.amdhsa_exception_fp_ieee_invalid_op 0
		.amdhsa_exception_fp_denorm_src 0
		.amdhsa_exception_fp_ieee_div_zero 0
		.amdhsa_exception_fp_ieee_overflow 0
		.amdhsa_exception_fp_ieee_underflow 0
		.amdhsa_exception_fp_ieee_inexact 0
		.amdhsa_exception_int_div_zero 0
	.end_amdhsa_kernel
	.section	.text._ZN7rocprim17ROCPRIM_400000_NS6detail44device_merge_sort_compile_time_verifier_archINS1_11comp_targetILNS1_3genE5ELNS1_11target_archE942ELNS1_3gpuE9ELNS1_3repE0EEES8_NS1_28merge_sort_block_sort_configILj256ELj4ELNS0_20block_sort_algorithmE0EEENS0_14default_configENS1_37merge_sort_block_sort_config_selectorIdlEENS1_38merge_sort_block_merge_config_selectorIdlEEEEvv,"axG",@progbits,_ZN7rocprim17ROCPRIM_400000_NS6detail44device_merge_sort_compile_time_verifier_archINS1_11comp_targetILNS1_3genE5ELNS1_11target_archE942ELNS1_3gpuE9ELNS1_3repE0EEES8_NS1_28merge_sort_block_sort_configILj256ELj4ELNS0_20block_sort_algorithmE0EEENS0_14default_configENS1_37merge_sort_block_sort_config_selectorIdlEENS1_38merge_sort_block_merge_config_selectorIdlEEEEvv,comdat
.Lfunc_end1534:
	.size	_ZN7rocprim17ROCPRIM_400000_NS6detail44device_merge_sort_compile_time_verifier_archINS1_11comp_targetILNS1_3genE5ELNS1_11target_archE942ELNS1_3gpuE9ELNS1_3repE0EEES8_NS1_28merge_sort_block_sort_configILj256ELj4ELNS0_20block_sort_algorithmE0EEENS0_14default_configENS1_37merge_sort_block_sort_config_selectorIdlEENS1_38merge_sort_block_merge_config_selectorIdlEEEEvv, .Lfunc_end1534-_ZN7rocprim17ROCPRIM_400000_NS6detail44device_merge_sort_compile_time_verifier_archINS1_11comp_targetILNS1_3genE5ELNS1_11target_archE942ELNS1_3gpuE9ELNS1_3repE0EEES8_NS1_28merge_sort_block_sort_configILj256ELj4ELNS0_20block_sort_algorithmE0EEENS0_14default_configENS1_37merge_sort_block_sort_config_selectorIdlEENS1_38merge_sort_block_merge_config_selectorIdlEEEEvv
                                        ; -- End function
	.set _ZN7rocprim17ROCPRIM_400000_NS6detail44device_merge_sort_compile_time_verifier_archINS1_11comp_targetILNS1_3genE5ELNS1_11target_archE942ELNS1_3gpuE9ELNS1_3repE0EEES8_NS1_28merge_sort_block_sort_configILj256ELj4ELNS0_20block_sort_algorithmE0EEENS0_14default_configENS1_37merge_sort_block_sort_config_selectorIdlEENS1_38merge_sort_block_merge_config_selectorIdlEEEEvv.num_vgpr, 0
	.set _ZN7rocprim17ROCPRIM_400000_NS6detail44device_merge_sort_compile_time_verifier_archINS1_11comp_targetILNS1_3genE5ELNS1_11target_archE942ELNS1_3gpuE9ELNS1_3repE0EEES8_NS1_28merge_sort_block_sort_configILj256ELj4ELNS0_20block_sort_algorithmE0EEENS0_14default_configENS1_37merge_sort_block_sort_config_selectorIdlEENS1_38merge_sort_block_merge_config_selectorIdlEEEEvv.num_agpr, 0
	.set _ZN7rocprim17ROCPRIM_400000_NS6detail44device_merge_sort_compile_time_verifier_archINS1_11comp_targetILNS1_3genE5ELNS1_11target_archE942ELNS1_3gpuE9ELNS1_3repE0EEES8_NS1_28merge_sort_block_sort_configILj256ELj4ELNS0_20block_sort_algorithmE0EEENS0_14default_configENS1_37merge_sort_block_sort_config_selectorIdlEENS1_38merge_sort_block_merge_config_selectorIdlEEEEvv.numbered_sgpr, 0
	.set _ZN7rocprim17ROCPRIM_400000_NS6detail44device_merge_sort_compile_time_verifier_archINS1_11comp_targetILNS1_3genE5ELNS1_11target_archE942ELNS1_3gpuE9ELNS1_3repE0EEES8_NS1_28merge_sort_block_sort_configILj256ELj4ELNS0_20block_sort_algorithmE0EEENS0_14default_configENS1_37merge_sort_block_sort_config_selectorIdlEENS1_38merge_sort_block_merge_config_selectorIdlEEEEvv.num_named_barrier, 0
	.set _ZN7rocprim17ROCPRIM_400000_NS6detail44device_merge_sort_compile_time_verifier_archINS1_11comp_targetILNS1_3genE5ELNS1_11target_archE942ELNS1_3gpuE9ELNS1_3repE0EEES8_NS1_28merge_sort_block_sort_configILj256ELj4ELNS0_20block_sort_algorithmE0EEENS0_14default_configENS1_37merge_sort_block_sort_config_selectorIdlEENS1_38merge_sort_block_merge_config_selectorIdlEEEEvv.private_seg_size, 0
	.set _ZN7rocprim17ROCPRIM_400000_NS6detail44device_merge_sort_compile_time_verifier_archINS1_11comp_targetILNS1_3genE5ELNS1_11target_archE942ELNS1_3gpuE9ELNS1_3repE0EEES8_NS1_28merge_sort_block_sort_configILj256ELj4ELNS0_20block_sort_algorithmE0EEENS0_14default_configENS1_37merge_sort_block_sort_config_selectorIdlEENS1_38merge_sort_block_merge_config_selectorIdlEEEEvv.uses_vcc, 0
	.set _ZN7rocprim17ROCPRIM_400000_NS6detail44device_merge_sort_compile_time_verifier_archINS1_11comp_targetILNS1_3genE5ELNS1_11target_archE942ELNS1_3gpuE9ELNS1_3repE0EEES8_NS1_28merge_sort_block_sort_configILj256ELj4ELNS0_20block_sort_algorithmE0EEENS0_14default_configENS1_37merge_sort_block_sort_config_selectorIdlEENS1_38merge_sort_block_merge_config_selectorIdlEEEEvv.uses_flat_scratch, 0
	.set _ZN7rocprim17ROCPRIM_400000_NS6detail44device_merge_sort_compile_time_verifier_archINS1_11comp_targetILNS1_3genE5ELNS1_11target_archE942ELNS1_3gpuE9ELNS1_3repE0EEES8_NS1_28merge_sort_block_sort_configILj256ELj4ELNS0_20block_sort_algorithmE0EEENS0_14default_configENS1_37merge_sort_block_sort_config_selectorIdlEENS1_38merge_sort_block_merge_config_selectorIdlEEEEvv.has_dyn_sized_stack, 0
	.set _ZN7rocprim17ROCPRIM_400000_NS6detail44device_merge_sort_compile_time_verifier_archINS1_11comp_targetILNS1_3genE5ELNS1_11target_archE942ELNS1_3gpuE9ELNS1_3repE0EEES8_NS1_28merge_sort_block_sort_configILj256ELj4ELNS0_20block_sort_algorithmE0EEENS0_14default_configENS1_37merge_sort_block_sort_config_selectorIdlEENS1_38merge_sort_block_merge_config_selectorIdlEEEEvv.has_recursion, 0
	.set _ZN7rocprim17ROCPRIM_400000_NS6detail44device_merge_sort_compile_time_verifier_archINS1_11comp_targetILNS1_3genE5ELNS1_11target_archE942ELNS1_3gpuE9ELNS1_3repE0EEES8_NS1_28merge_sort_block_sort_configILj256ELj4ELNS0_20block_sort_algorithmE0EEENS0_14default_configENS1_37merge_sort_block_sort_config_selectorIdlEENS1_38merge_sort_block_merge_config_selectorIdlEEEEvv.has_indirect_call, 0
	.section	.AMDGPU.csdata,"",@progbits
; Kernel info:
; codeLenInByte = 4
; TotalNumSgprs: 4
; NumVgprs: 0
; ScratchSize: 0
; MemoryBound: 0
; FloatMode: 240
; IeeeMode: 1
; LDSByteSize: 0 bytes/workgroup (compile time only)
; SGPRBlocks: 0
; VGPRBlocks: 0
; NumSGPRsForWavesPerEU: 4
; NumVGPRsForWavesPerEU: 1
; Occupancy: 10
; WaveLimiterHint : 0
; COMPUTE_PGM_RSRC2:SCRATCH_EN: 0
; COMPUTE_PGM_RSRC2:USER_SGPR: 4
; COMPUTE_PGM_RSRC2:TRAP_HANDLER: 0
; COMPUTE_PGM_RSRC2:TGID_X_EN: 1
; COMPUTE_PGM_RSRC2:TGID_Y_EN: 0
; COMPUTE_PGM_RSRC2:TGID_Z_EN: 0
; COMPUTE_PGM_RSRC2:TIDIG_COMP_CNT: 0
	.section	.text._ZN7rocprim17ROCPRIM_400000_NS6detail44device_merge_sort_compile_time_verifier_archINS1_11comp_targetILNS1_3genE4ELNS1_11target_archE910ELNS1_3gpuE8ELNS1_3repE0EEES8_NS1_28merge_sort_block_sort_configILj256ELj4ELNS0_20block_sort_algorithmE0EEENS0_14default_configENS1_37merge_sort_block_sort_config_selectorIdlEENS1_38merge_sort_block_merge_config_selectorIdlEEEEvv,"axG",@progbits,_ZN7rocprim17ROCPRIM_400000_NS6detail44device_merge_sort_compile_time_verifier_archINS1_11comp_targetILNS1_3genE4ELNS1_11target_archE910ELNS1_3gpuE8ELNS1_3repE0EEES8_NS1_28merge_sort_block_sort_configILj256ELj4ELNS0_20block_sort_algorithmE0EEENS0_14default_configENS1_37merge_sort_block_sort_config_selectorIdlEENS1_38merge_sort_block_merge_config_selectorIdlEEEEvv,comdat
	.protected	_ZN7rocprim17ROCPRIM_400000_NS6detail44device_merge_sort_compile_time_verifier_archINS1_11comp_targetILNS1_3genE4ELNS1_11target_archE910ELNS1_3gpuE8ELNS1_3repE0EEES8_NS1_28merge_sort_block_sort_configILj256ELj4ELNS0_20block_sort_algorithmE0EEENS0_14default_configENS1_37merge_sort_block_sort_config_selectorIdlEENS1_38merge_sort_block_merge_config_selectorIdlEEEEvv ; -- Begin function _ZN7rocprim17ROCPRIM_400000_NS6detail44device_merge_sort_compile_time_verifier_archINS1_11comp_targetILNS1_3genE4ELNS1_11target_archE910ELNS1_3gpuE8ELNS1_3repE0EEES8_NS1_28merge_sort_block_sort_configILj256ELj4ELNS0_20block_sort_algorithmE0EEENS0_14default_configENS1_37merge_sort_block_sort_config_selectorIdlEENS1_38merge_sort_block_merge_config_selectorIdlEEEEvv
	.globl	_ZN7rocprim17ROCPRIM_400000_NS6detail44device_merge_sort_compile_time_verifier_archINS1_11comp_targetILNS1_3genE4ELNS1_11target_archE910ELNS1_3gpuE8ELNS1_3repE0EEES8_NS1_28merge_sort_block_sort_configILj256ELj4ELNS0_20block_sort_algorithmE0EEENS0_14default_configENS1_37merge_sort_block_sort_config_selectorIdlEENS1_38merge_sort_block_merge_config_selectorIdlEEEEvv
	.p2align	8
	.type	_ZN7rocprim17ROCPRIM_400000_NS6detail44device_merge_sort_compile_time_verifier_archINS1_11comp_targetILNS1_3genE4ELNS1_11target_archE910ELNS1_3gpuE8ELNS1_3repE0EEES8_NS1_28merge_sort_block_sort_configILj256ELj4ELNS0_20block_sort_algorithmE0EEENS0_14default_configENS1_37merge_sort_block_sort_config_selectorIdlEENS1_38merge_sort_block_merge_config_selectorIdlEEEEvv,@function
_ZN7rocprim17ROCPRIM_400000_NS6detail44device_merge_sort_compile_time_verifier_archINS1_11comp_targetILNS1_3genE4ELNS1_11target_archE910ELNS1_3gpuE8ELNS1_3repE0EEES8_NS1_28merge_sort_block_sort_configILj256ELj4ELNS0_20block_sort_algorithmE0EEENS0_14default_configENS1_37merge_sort_block_sort_config_selectorIdlEENS1_38merge_sort_block_merge_config_selectorIdlEEEEvv: ; @_ZN7rocprim17ROCPRIM_400000_NS6detail44device_merge_sort_compile_time_verifier_archINS1_11comp_targetILNS1_3genE4ELNS1_11target_archE910ELNS1_3gpuE8ELNS1_3repE0EEES8_NS1_28merge_sort_block_sort_configILj256ELj4ELNS0_20block_sort_algorithmE0EEENS0_14default_configENS1_37merge_sort_block_sort_config_selectorIdlEENS1_38merge_sort_block_merge_config_selectorIdlEEEEvv
; %bb.0:
	s_endpgm
	.section	.rodata,"a",@progbits
	.p2align	6, 0x0
	.amdhsa_kernel _ZN7rocprim17ROCPRIM_400000_NS6detail44device_merge_sort_compile_time_verifier_archINS1_11comp_targetILNS1_3genE4ELNS1_11target_archE910ELNS1_3gpuE8ELNS1_3repE0EEES8_NS1_28merge_sort_block_sort_configILj256ELj4ELNS0_20block_sort_algorithmE0EEENS0_14default_configENS1_37merge_sort_block_sort_config_selectorIdlEENS1_38merge_sort_block_merge_config_selectorIdlEEEEvv
		.amdhsa_group_segment_fixed_size 0
		.amdhsa_private_segment_fixed_size 0
		.amdhsa_kernarg_size 0
		.amdhsa_user_sgpr_count 4
		.amdhsa_user_sgpr_private_segment_buffer 1
		.amdhsa_user_sgpr_dispatch_ptr 0
		.amdhsa_user_sgpr_queue_ptr 0
		.amdhsa_user_sgpr_kernarg_segment_ptr 0
		.amdhsa_user_sgpr_dispatch_id 0
		.amdhsa_user_sgpr_flat_scratch_init 0
		.amdhsa_user_sgpr_private_segment_size 0
		.amdhsa_uses_dynamic_stack 0
		.amdhsa_system_sgpr_private_segment_wavefront_offset 0
		.amdhsa_system_sgpr_workgroup_id_x 1
		.amdhsa_system_sgpr_workgroup_id_y 0
		.amdhsa_system_sgpr_workgroup_id_z 0
		.amdhsa_system_sgpr_workgroup_info 0
		.amdhsa_system_vgpr_workitem_id 0
		.amdhsa_next_free_vgpr 1
		.amdhsa_next_free_sgpr 0
		.amdhsa_reserve_vcc 0
		.amdhsa_reserve_flat_scratch 0
		.amdhsa_float_round_mode_32 0
		.amdhsa_float_round_mode_16_64 0
		.amdhsa_float_denorm_mode_32 3
		.amdhsa_float_denorm_mode_16_64 3
		.amdhsa_dx10_clamp 1
		.amdhsa_ieee_mode 1
		.amdhsa_fp16_overflow 0
		.amdhsa_exception_fp_ieee_invalid_op 0
		.amdhsa_exception_fp_denorm_src 0
		.amdhsa_exception_fp_ieee_div_zero 0
		.amdhsa_exception_fp_ieee_overflow 0
		.amdhsa_exception_fp_ieee_underflow 0
		.amdhsa_exception_fp_ieee_inexact 0
		.amdhsa_exception_int_div_zero 0
	.end_amdhsa_kernel
	.section	.text._ZN7rocprim17ROCPRIM_400000_NS6detail44device_merge_sort_compile_time_verifier_archINS1_11comp_targetILNS1_3genE4ELNS1_11target_archE910ELNS1_3gpuE8ELNS1_3repE0EEES8_NS1_28merge_sort_block_sort_configILj256ELj4ELNS0_20block_sort_algorithmE0EEENS0_14default_configENS1_37merge_sort_block_sort_config_selectorIdlEENS1_38merge_sort_block_merge_config_selectorIdlEEEEvv,"axG",@progbits,_ZN7rocprim17ROCPRIM_400000_NS6detail44device_merge_sort_compile_time_verifier_archINS1_11comp_targetILNS1_3genE4ELNS1_11target_archE910ELNS1_3gpuE8ELNS1_3repE0EEES8_NS1_28merge_sort_block_sort_configILj256ELj4ELNS0_20block_sort_algorithmE0EEENS0_14default_configENS1_37merge_sort_block_sort_config_selectorIdlEENS1_38merge_sort_block_merge_config_selectorIdlEEEEvv,comdat
.Lfunc_end1535:
	.size	_ZN7rocprim17ROCPRIM_400000_NS6detail44device_merge_sort_compile_time_verifier_archINS1_11comp_targetILNS1_3genE4ELNS1_11target_archE910ELNS1_3gpuE8ELNS1_3repE0EEES8_NS1_28merge_sort_block_sort_configILj256ELj4ELNS0_20block_sort_algorithmE0EEENS0_14default_configENS1_37merge_sort_block_sort_config_selectorIdlEENS1_38merge_sort_block_merge_config_selectorIdlEEEEvv, .Lfunc_end1535-_ZN7rocprim17ROCPRIM_400000_NS6detail44device_merge_sort_compile_time_verifier_archINS1_11comp_targetILNS1_3genE4ELNS1_11target_archE910ELNS1_3gpuE8ELNS1_3repE0EEES8_NS1_28merge_sort_block_sort_configILj256ELj4ELNS0_20block_sort_algorithmE0EEENS0_14default_configENS1_37merge_sort_block_sort_config_selectorIdlEENS1_38merge_sort_block_merge_config_selectorIdlEEEEvv
                                        ; -- End function
	.set _ZN7rocprim17ROCPRIM_400000_NS6detail44device_merge_sort_compile_time_verifier_archINS1_11comp_targetILNS1_3genE4ELNS1_11target_archE910ELNS1_3gpuE8ELNS1_3repE0EEES8_NS1_28merge_sort_block_sort_configILj256ELj4ELNS0_20block_sort_algorithmE0EEENS0_14default_configENS1_37merge_sort_block_sort_config_selectorIdlEENS1_38merge_sort_block_merge_config_selectorIdlEEEEvv.num_vgpr, 0
	.set _ZN7rocprim17ROCPRIM_400000_NS6detail44device_merge_sort_compile_time_verifier_archINS1_11comp_targetILNS1_3genE4ELNS1_11target_archE910ELNS1_3gpuE8ELNS1_3repE0EEES8_NS1_28merge_sort_block_sort_configILj256ELj4ELNS0_20block_sort_algorithmE0EEENS0_14default_configENS1_37merge_sort_block_sort_config_selectorIdlEENS1_38merge_sort_block_merge_config_selectorIdlEEEEvv.num_agpr, 0
	.set _ZN7rocprim17ROCPRIM_400000_NS6detail44device_merge_sort_compile_time_verifier_archINS1_11comp_targetILNS1_3genE4ELNS1_11target_archE910ELNS1_3gpuE8ELNS1_3repE0EEES8_NS1_28merge_sort_block_sort_configILj256ELj4ELNS0_20block_sort_algorithmE0EEENS0_14default_configENS1_37merge_sort_block_sort_config_selectorIdlEENS1_38merge_sort_block_merge_config_selectorIdlEEEEvv.numbered_sgpr, 0
	.set _ZN7rocprim17ROCPRIM_400000_NS6detail44device_merge_sort_compile_time_verifier_archINS1_11comp_targetILNS1_3genE4ELNS1_11target_archE910ELNS1_3gpuE8ELNS1_3repE0EEES8_NS1_28merge_sort_block_sort_configILj256ELj4ELNS0_20block_sort_algorithmE0EEENS0_14default_configENS1_37merge_sort_block_sort_config_selectorIdlEENS1_38merge_sort_block_merge_config_selectorIdlEEEEvv.num_named_barrier, 0
	.set _ZN7rocprim17ROCPRIM_400000_NS6detail44device_merge_sort_compile_time_verifier_archINS1_11comp_targetILNS1_3genE4ELNS1_11target_archE910ELNS1_3gpuE8ELNS1_3repE0EEES8_NS1_28merge_sort_block_sort_configILj256ELj4ELNS0_20block_sort_algorithmE0EEENS0_14default_configENS1_37merge_sort_block_sort_config_selectorIdlEENS1_38merge_sort_block_merge_config_selectorIdlEEEEvv.private_seg_size, 0
	.set _ZN7rocprim17ROCPRIM_400000_NS6detail44device_merge_sort_compile_time_verifier_archINS1_11comp_targetILNS1_3genE4ELNS1_11target_archE910ELNS1_3gpuE8ELNS1_3repE0EEES8_NS1_28merge_sort_block_sort_configILj256ELj4ELNS0_20block_sort_algorithmE0EEENS0_14default_configENS1_37merge_sort_block_sort_config_selectorIdlEENS1_38merge_sort_block_merge_config_selectorIdlEEEEvv.uses_vcc, 0
	.set _ZN7rocprim17ROCPRIM_400000_NS6detail44device_merge_sort_compile_time_verifier_archINS1_11comp_targetILNS1_3genE4ELNS1_11target_archE910ELNS1_3gpuE8ELNS1_3repE0EEES8_NS1_28merge_sort_block_sort_configILj256ELj4ELNS0_20block_sort_algorithmE0EEENS0_14default_configENS1_37merge_sort_block_sort_config_selectorIdlEENS1_38merge_sort_block_merge_config_selectorIdlEEEEvv.uses_flat_scratch, 0
	.set _ZN7rocprim17ROCPRIM_400000_NS6detail44device_merge_sort_compile_time_verifier_archINS1_11comp_targetILNS1_3genE4ELNS1_11target_archE910ELNS1_3gpuE8ELNS1_3repE0EEES8_NS1_28merge_sort_block_sort_configILj256ELj4ELNS0_20block_sort_algorithmE0EEENS0_14default_configENS1_37merge_sort_block_sort_config_selectorIdlEENS1_38merge_sort_block_merge_config_selectorIdlEEEEvv.has_dyn_sized_stack, 0
	.set _ZN7rocprim17ROCPRIM_400000_NS6detail44device_merge_sort_compile_time_verifier_archINS1_11comp_targetILNS1_3genE4ELNS1_11target_archE910ELNS1_3gpuE8ELNS1_3repE0EEES8_NS1_28merge_sort_block_sort_configILj256ELj4ELNS0_20block_sort_algorithmE0EEENS0_14default_configENS1_37merge_sort_block_sort_config_selectorIdlEENS1_38merge_sort_block_merge_config_selectorIdlEEEEvv.has_recursion, 0
	.set _ZN7rocprim17ROCPRIM_400000_NS6detail44device_merge_sort_compile_time_verifier_archINS1_11comp_targetILNS1_3genE4ELNS1_11target_archE910ELNS1_3gpuE8ELNS1_3repE0EEES8_NS1_28merge_sort_block_sort_configILj256ELj4ELNS0_20block_sort_algorithmE0EEENS0_14default_configENS1_37merge_sort_block_sort_config_selectorIdlEENS1_38merge_sort_block_merge_config_selectorIdlEEEEvv.has_indirect_call, 0
	.section	.AMDGPU.csdata,"",@progbits
; Kernel info:
; codeLenInByte = 4
; TotalNumSgprs: 4
; NumVgprs: 0
; ScratchSize: 0
; MemoryBound: 0
; FloatMode: 240
; IeeeMode: 1
; LDSByteSize: 0 bytes/workgroup (compile time only)
; SGPRBlocks: 0
; VGPRBlocks: 0
; NumSGPRsForWavesPerEU: 4
; NumVGPRsForWavesPerEU: 1
; Occupancy: 10
; WaveLimiterHint : 0
; COMPUTE_PGM_RSRC2:SCRATCH_EN: 0
; COMPUTE_PGM_RSRC2:USER_SGPR: 4
; COMPUTE_PGM_RSRC2:TRAP_HANDLER: 0
; COMPUTE_PGM_RSRC2:TGID_X_EN: 1
; COMPUTE_PGM_RSRC2:TGID_Y_EN: 0
; COMPUTE_PGM_RSRC2:TGID_Z_EN: 0
; COMPUTE_PGM_RSRC2:TIDIG_COMP_CNT: 0
	.section	.text._ZN7rocprim17ROCPRIM_400000_NS6detail44device_merge_sort_compile_time_verifier_archINS1_11comp_targetILNS1_3genE3ELNS1_11target_archE908ELNS1_3gpuE7ELNS1_3repE0EEES8_NS1_28merge_sort_block_sort_configILj256ELj4ELNS0_20block_sort_algorithmE0EEENS0_14default_configENS1_37merge_sort_block_sort_config_selectorIdlEENS1_38merge_sort_block_merge_config_selectorIdlEEEEvv,"axG",@progbits,_ZN7rocprim17ROCPRIM_400000_NS6detail44device_merge_sort_compile_time_verifier_archINS1_11comp_targetILNS1_3genE3ELNS1_11target_archE908ELNS1_3gpuE7ELNS1_3repE0EEES8_NS1_28merge_sort_block_sort_configILj256ELj4ELNS0_20block_sort_algorithmE0EEENS0_14default_configENS1_37merge_sort_block_sort_config_selectorIdlEENS1_38merge_sort_block_merge_config_selectorIdlEEEEvv,comdat
	.protected	_ZN7rocprim17ROCPRIM_400000_NS6detail44device_merge_sort_compile_time_verifier_archINS1_11comp_targetILNS1_3genE3ELNS1_11target_archE908ELNS1_3gpuE7ELNS1_3repE0EEES8_NS1_28merge_sort_block_sort_configILj256ELj4ELNS0_20block_sort_algorithmE0EEENS0_14default_configENS1_37merge_sort_block_sort_config_selectorIdlEENS1_38merge_sort_block_merge_config_selectorIdlEEEEvv ; -- Begin function _ZN7rocprim17ROCPRIM_400000_NS6detail44device_merge_sort_compile_time_verifier_archINS1_11comp_targetILNS1_3genE3ELNS1_11target_archE908ELNS1_3gpuE7ELNS1_3repE0EEES8_NS1_28merge_sort_block_sort_configILj256ELj4ELNS0_20block_sort_algorithmE0EEENS0_14default_configENS1_37merge_sort_block_sort_config_selectorIdlEENS1_38merge_sort_block_merge_config_selectorIdlEEEEvv
	.globl	_ZN7rocprim17ROCPRIM_400000_NS6detail44device_merge_sort_compile_time_verifier_archINS1_11comp_targetILNS1_3genE3ELNS1_11target_archE908ELNS1_3gpuE7ELNS1_3repE0EEES8_NS1_28merge_sort_block_sort_configILj256ELj4ELNS0_20block_sort_algorithmE0EEENS0_14default_configENS1_37merge_sort_block_sort_config_selectorIdlEENS1_38merge_sort_block_merge_config_selectorIdlEEEEvv
	.p2align	8
	.type	_ZN7rocprim17ROCPRIM_400000_NS6detail44device_merge_sort_compile_time_verifier_archINS1_11comp_targetILNS1_3genE3ELNS1_11target_archE908ELNS1_3gpuE7ELNS1_3repE0EEES8_NS1_28merge_sort_block_sort_configILj256ELj4ELNS0_20block_sort_algorithmE0EEENS0_14default_configENS1_37merge_sort_block_sort_config_selectorIdlEENS1_38merge_sort_block_merge_config_selectorIdlEEEEvv,@function
_ZN7rocprim17ROCPRIM_400000_NS6detail44device_merge_sort_compile_time_verifier_archINS1_11comp_targetILNS1_3genE3ELNS1_11target_archE908ELNS1_3gpuE7ELNS1_3repE0EEES8_NS1_28merge_sort_block_sort_configILj256ELj4ELNS0_20block_sort_algorithmE0EEENS0_14default_configENS1_37merge_sort_block_sort_config_selectorIdlEENS1_38merge_sort_block_merge_config_selectorIdlEEEEvv: ; @_ZN7rocprim17ROCPRIM_400000_NS6detail44device_merge_sort_compile_time_verifier_archINS1_11comp_targetILNS1_3genE3ELNS1_11target_archE908ELNS1_3gpuE7ELNS1_3repE0EEES8_NS1_28merge_sort_block_sort_configILj256ELj4ELNS0_20block_sort_algorithmE0EEENS0_14default_configENS1_37merge_sort_block_sort_config_selectorIdlEENS1_38merge_sort_block_merge_config_selectorIdlEEEEvv
; %bb.0:
	s_endpgm
	.section	.rodata,"a",@progbits
	.p2align	6, 0x0
	.amdhsa_kernel _ZN7rocprim17ROCPRIM_400000_NS6detail44device_merge_sort_compile_time_verifier_archINS1_11comp_targetILNS1_3genE3ELNS1_11target_archE908ELNS1_3gpuE7ELNS1_3repE0EEES8_NS1_28merge_sort_block_sort_configILj256ELj4ELNS0_20block_sort_algorithmE0EEENS0_14default_configENS1_37merge_sort_block_sort_config_selectorIdlEENS1_38merge_sort_block_merge_config_selectorIdlEEEEvv
		.amdhsa_group_segment_fixed_size 0
		.amdhsa_private_segment_fixed_size 0
		.amdhsa_kernarg_size 0
		.amdhsa_user_sgpr_count 4
		.amdhsa_user_sgpr_private_segment_buffer 1
		.amdhsa_user_sgpr_dispatch_ptr 0
		.amdhsa_user_sgpr_queue_ptr 0
		.amdhsa_user_sgpr_kernarg_segment_ptr 0
		.amdhsa_user_sgpr_dispatch_id 0
		.amdhsa_user_sgpr_flat_scratch_init 0
		.amdhsa_user_sgpr_private_segment_size 0
		.amdhsa_uses_dynamic_stack 0
		.amdhsa_system_sgpr_private_segment_wavefront_offset 0
		.amdhsa_system_sgpr_workgroup_id_x 1
		.amdhsa_system_sgpr_workgroup_id_y 0
		.amdhsa_system_sgpr_workgroup_id_z 0
		.amdhsa_system_sgpr_workgroup_info 0
		.amdhsa_system_vgpr_workitem_id 0
		.amdhsa_next_free_vgpr 1
		.amdhsa_next_free_sgpr 0
		.amdhsa_reserve_vcc 0
		.amdhsa_reserve_flat_scratch 0
		.amdhsa_float_round_mode_32 0
		.amdhsa_float_round_mode_16_64 0
		.amdhsa_float_denorm_mode_32 3
		.amdhsa_float_denorm_mode_16_64 3
		.amdhsa_dx10_clamp 1
		.amdhsa_ieee_mode 1
		.amdhsa_fp16_overflow 0
		.amdhsa_exception_fp_ieee_invalid_op 0
		.amdhsa_exception_fp_denorm_src 0
		.amdhsa_exception_fp_ieee_div_zero 0
		.amdhsa_exception_fp_ieee_overflow 0
		.amdhsa_exception_fp_ieee_underflow 0
		.amdhsa_exception_fp_ieee_inexact 0
		.amdhsa_exception_int_div_zero 0
	.end_amdhsa_kernel
	.section	.text._ZN7rocprim17ROCPRIM_400000_NS6detail44device_merge_sort_compile_time_verifier_archINS1_11comp_targetILNS1_3genE3ELNS1_11target_archE908ELNS1_3gpuE7ELNS1_3repE0EEES8_NS1_28merge_sort_block_sort_configILj256ELj4ELNS0_20block_sort_algorithmE0EEENS0_14default_configENS1_37merge_sort_block_sort_config_selectorIdlEENS1_38merge_sort_block_merge_config_selectorIdlEEEEvv,"axG",@progbits,_ZN7rocprim17ROCPRIM_400000_NS6detail44device_merge_sort_compile_time_verifier_archINS1_11comp_targetILNS1_3genE3ELNS1_11target_archE908ELNS1_3gpuE7ELNS1_3repE0EEES8_NS1_28merge_sort_block_sort_configILj256ELj4ELNS0_20block_sort_algorithmE0EEENS0_14default_configENS1_37merge_sort_block_sort_config_selectorIdlEENS1_38merge_sort_block_merge_config_selectorIdlEEEEvv,comdat
.Lfunc_end1536:
	.size	_ZN7rocprim17ROCPRIM_400000_NS6detail44device_merge_sort_compile_time_verifier_archINS1_11comp_targetILNS1_3genE3ELNS1_11target_archE908ELNS1_3gpuE7ELNS1_3repE0EEES8_NS1_28merge_sort_block_sort_configILj256ELj4ELNS0_20block_sort_algorithmE0EEENS0_14default_configENS1_37merge_sort_block_sort_config_selectorIdlEENS1_38merge_sort_block_merge_config_selectorIdlEEEEvv, .Lfunc_end1536-_ZN7rocprim17ROCPRIM_400000_NS6detail44device_merge_sort_compile_time_verifier_archINS1_11comp_targetILNS1_3genE3ELNS1_11target_archE908ELNS1_3gpuE7ELNS1_3repE0EEES8_NS1_28merge_sort_block_sort_configILj256ELj4ELNS0_20block_sort_algorithmE0EEENS0_14default_configENS1_37merge_sort_block_sort_config_selectorIdlEENS1_38merge_sort_block_merge_config_selectorIdlEEEEvv
                                        ; -- End function
	.set _ZN7rocprim17ROCPRIM_400000_NS6detail44device_merge_sort_compile_time_verifier_archINS1_11comp_targetILNS1_3genE3ELNS1_11target_archE908ELNS1_3gpuE7ELNS1_3repE0EEES8_NS1_28merge_sort_block_sort_configILj256ELj4ELNS0_20block_sort_algorithmE0EEENS0_14default_configENS1_37merge_sort_block_sort_config_selectorIdlEENS1_38merge_sort_block_merge_config_selectorIdlEEEEvv.num_vgpr, 0
	.set _ZN7rocprim17ROCPRIM_400000_NS6detail44device_merge_sort_compile_time_verifier_archINS1_11comp_targetILNS1_3genE3ELNS1_11target_archE908ELNS1_3gpuE7ELNS1_3repE0EEES8_NS1_28merge_sort_block_sort_configILj256ELj4ELNS0_20block_sort_algorithmE0EEENS0_14default_configENS1_37merge_sort_block_sort_config_selectorIdlEENS1_38merge_sort_block_merge_config_selectorIdlEEEEvv.num_agpr, 0
	.set _ZN7rocprim17ROCPRIM_400000_NS6detail44device_merge_sort_compile_time_verifier_archINS1_11comp_targetILNS1_3genE3ELNS1_11target_archE908ELNS1_3gpuE7ELNS1_3repE0EEES8_NS1_28merge_sort_block_sort_configILj256ELj4ELNS0_20block_sort_algorithmE0EEENS0_14default_configENS1_37merge_sort_block_sort_config_selectorIdlEENS1_38merge_sort_block_merge_config_selectorIdlEEEEvv.numbered_sgpr, 0
	.set _ZN7rocprim17ROCPRIM_400000_NS6detail44device_merge_sort_compile_time_verifier_archINS1_11comp_targetILNS1_3genE3ELNS1_11target_archE908ELNS1_3gpuE7ELNS1_3repE0EEES8_NS1_28merge_sort_block_sort_configILj256ELj4ELNS0_20block_sort_algorithmE0EEENS0_14default_configENS1_37merge_sort_block_sort_config_selectorIdlEENS1_38merge_sort_block_merge_config_selectorIdlEEEEvv.num_named_barrier, 0
	.set _ZN7rocprim17ROCPRIM_400000_NS6detail44device_merge_sort_compile_time_verifier_archINS1_11comp_targetILNS1_3genE3ELNS1_11target_archE908ELNS1_3gpuE7ELNS1_3repE0EEES8_NS1_28merge_sort_block_sort_configILj256ELj4ELNS0_20block_sort_algorithmE0EEENS0_14default_configENS1_37merge_sort_block_sort_config_selectorIdlEENS1_38merge_sort_block_merge_config_selectorIdlEEEEvv.private_seg_size, 0
	.set _ZN7rocprim17ROCPRIM_400000_NS6detail44device_merge_sort_compile_time_verifier_archINS1_11comp_targetILNS1_3genE3ELNS1_11target_archE908ELNS1_3gpuE7ELNS1_3repE0EEES8_NS1_28merge_sort_block_sort_configILj256ELj4ELNS0_20block_sort_algorithmE0EEENS0_14default_configENS1_37merge_sort_block_sort_config_selectorIdlEENS1_38merge_sort_block_merge_config_selectorIdlEEEEvv.uses_vcc, 0
	.set _ZN7rocprim17ROCPRIM_400000_NS6detail44device_merge_sort_compile_time_verifier_archINS1_11comp_targetILNS1_3genE3ELNS1_11target_archE908ELNS1_3gpuE7ELNS1_3repE0EEES8_NS1_28merge_sort_block_sort_configILj256ELj4ELNS0_20block_sort_algorithmE0EEENS0_14default_configENS1_37merge_sort_block_sort_config_selectorIdlEENS1_38merge_sort_block_merge_config_selectorIdlEEEEvv.uses_flat_scratch, 0
	.set _ZN7rocprim17ROCPRIM_400000_NS6detail44device_merge_sort_compile_time_verifier_archINS1_11comp_targetILNS1_3genE3ELNS1_11target_archE908ELNS1_3gpuE7ELNS1_3repE0EEES8_NS1_28merge_sort_block_sort_configILj256ELj4ELNS0_20block_sort_algorithmE0EEENS0_14default_configENS1_37merge_sort_block_sort_config_selectorIdlEENS1_38merge_sort_block_merge_config_selectorIdlEEEEvv.has_dyn_sized_stack, 0
	.set _ZN7rocprim17ROCPRIM_400000_NS6detail44device_merge_sort_compile_time_verifier_archINS1_11comp_targetILNS1_3genE3ELNS1_11target_archE908ELNS1_3gpuE7ELNS1_3repE0EEES8_NS1_28merge_sort_block_sort_configILj256ELj4ELNS0_20block_sort_algorithmE0EEENS0_14default_configENS1_37merge_sort_block_sort_config_selectorIdlEENS1_38merge_sort_block_merge_config_selectorIdlEEEEvv.has_recursion, 0
	.set _ZN7rocprim17ROCPRIM_400000_NS6detail44device_merge_sort_compile_time_verifier_archINS1_11comp_targetILNS1_3genE3ELNS1_11target_archE908ELNS1_3gpuE7ELNS1_3repE0EEES8_NS1_28merge_sort_block_sort_configILj256ELj4ELNS0_20block_sort_algorithmE0EEENS0_14default_configENS1_37merge_sort_block_sort_config_selectorIdlEENS1_38merge_sort_block_merge_config_selectorIdlEEEEvv.has_indirect_call, 0
	.section	.AMDGPU.csdata,"",@progbits
; Kernel info:
; codeLenInByte = 4
; TotalNumSgprs: 4
; NumVgprs: 0
; ScratchSize: 0
; MemoryBound: 0
; FloatMode: 240
; IeeeMode: 1
; LDSByteSize: 0 bytes/workgroup (compile time only)
; SGPRBlocks: 0
; VGPRBlocks: 0
; NumSGPRsForWavesPerEU: 4
; NumVGPRsForWavesPerEU: 1
; Occupancy: 10
; WaveLimiterHint : 0
; COMPUTE_PGM_RSRC2:SCRATCH_EN: 0
; COMPUTE_PGM_RSRC2:USER_SGPR: 4
; COMPUTE_PGM_RSRC2:TRAP_HANDLER: 0
; COMPUTE_PGM_RSRC2:TGID_X_EN: 1
; COMPUTE_PGM_RSRC2:TGID_Y_EN: 0
; COMPUTE_PGM_RSRC2:TGID_Z_EN: 0
; COMPUTE_PGM_RSRC2:TIDIG_COMP_CNT: 0
	.section	.text._ZN7rocprim17ROCPRIM_400000_NS6detail44device_merge_sort_compile_time_verifier_archINS1_11comp_targetILNS1_3genE2ELNS1_11target_archE906ELNS1_3gpuE6ELNS1_3repE0EEES8_NS1_28merge_sort_block_sort_configILj256ELj4ELNS0_20block_sort_algorithmE0EEENS0_14default_configENS1_37merge_sort_block_sort_config_selectorIdlEENS1_38merge_sort_block_merge_config_selectorIdlEEEEvv,"axG",@progbits,_ZN7rocprim17ROCPRIM_400000_NS6detail44device_merge_sort_compile_time_verifier_archINS1_11comp_targetILNS1_3genE2ELNS1_11target_archE906ELNS1_3gpuE6ELNS1_3repE0EEES8_NS1_28merge_sort_block_sort_configILj256ELj4ELNS0_20block_sort_algorithmE0EEENS0_14default_configENS1_37merge_sort_block_sort_config_selectorIdlEENS1_38merge_sort_block_merge_config_selectorIdlEEEEvv,comdat
	.protected	_ZN7rocprim17ROCPRIM_400000_NS6detail44device_merge_sort_compile_time_verifier_archINS1_11comp_targetILNS1_3genE2ELNS1_11target_archE906ELNS1_3gpuE6ELNS1_3repE0EEES8_NS1_28merge_sort_block_sort_configILj256ELj4ELNS0_20block_sort_algorithmE0EEENS0_14default_configENS1_37merge_sort_block_sort_config_selectorIdlEENS1_38merge_sort_block_merge_config_selectorIdlEEEEvv ; -- Begin function _ZN7rocprim17ROCPRIM_400000_NS6detail44device_merge_sort_compile_time_verifier_archINS1_11comp_targetILNS1_3genE2ELNS1_11target_archE906ELNS1_3gpuE6ELNS1_3repE0EEES8_NS1_28merge_sort_block_sort_configILj256ELj4ELNS0_20block_sort_algorithmE0EEENS0_14default_configENS1_37merge_sort_block_sort_config_selectorIdlEENS1_38merge_sort_block_merge_config_selectorIdlEEEEvv
	.globl	_ZN7rocprim17ROCPRIM_400000_NS6detail44device_merge_sort_compile_time_verifier_archINS1_11comp_targetILNS1_3genE2ELNS1_11target_archE906ELNS1_3gpuE6ELNS1_3repE0EEES8_NS1_28merge_sort_block_sort_configILj256ELj4ELNS0_20block_sort_algorithmE0EEENS0_14default_configENS1_37merge_sort_block_sort_config_selectorIdlEENS1_38merge_sort_block_merge_config_selectorIdlEEEEvv
	.p2align	8
	.type	_ZN7rocprim17ROCPRIM_400000_NS6detail44device_merge_sort_compile_time_verifier_archINS1_11comp_targetILNS1_3genE2ELNS1_11target_archE906ELNS1_3gpuE6ELNS1_3repE0EEES8_NS1_28merge_sort_block_sort_configILj256ELj4ELNS0_20block_sort_algorithmE0EEENS0_14default_configENS1_37merge_sort_block_sort_config_selectorIdlEENS1_38merge_sort_block_merge_config_selectorIdlEEEEvv,@function
_ZN7rocprim17ROCPRIM_400000_NS6detail44device_merge_sort_compile_time_verifier_archINS1_11comp_targetILNS1_3genE2ELNS1_11target_archE906ELNS1_3gpuE6ELNS1_3repE0EEES8_NS1_28merge_sort_block_sort_configILj256ELj4ELNS0_20block_sort_algorithmE0EEENS0_14default_configENS1_37merge_sort_block_sort_config_selectorIdlEENS1_38merge_sort_block_merge_config_selectorIdlEEEEvv: ; @_ZN7rocprim17ROCPRIM_400000_NS6detail44device_merge_sort_compile_time_verifier_archINS1_11comp_targetILNS1_3genE2ELNS1_11target_archE906ELNS1_3gpuE6ELNS1_3repE0EEES8_NS1_28merge_sort_block_sort_configILj256ELj4ELNS0_20block_sort_algorithmE0EEENS0_14default_configENS1_37merge_sort_block_sort_config_selectorIdlEENS1_38merge_sort_block_merge_config_selectorIdlEEEEvv
; %bb.0:
	s_endpgm
	.section	.rodata,"a",@progbits
	.p2align	6, 0x0
	.amdhsa_kernel _ZN7rocprim17ROCPRIM_400000_NS6detail44device_merge_sort_compile_time_verifier_archINS1_11comp_targetILNS1_3genE2ELNS1_11target_archE906ELNS1_3gpuE6ELNS1_3repE0EEES8_NS1_28merge_sort_block_sort_configILj256ELj4ELNS0_20block_sort_algorithmE0EEENS0_14default_configENS1_37merge_sort_block_sort_config_selectorIdlEENS1_38merge_sort_block_merge_config_selectorIdlEEEEvv
		.amdhsa_group_segment_fixed_size 0
		.amdhsa_private_segment_fixed_size 0
		.amdhsa_kernarg_size 0
		.amdhsa_user_sgpr_count 4
		.amdhsa_user_sgpr_private_segment_buffer 1
		.amdhsa_user_sgpr_dispatch_ptr 0
		.amdhsa_user_sgpr_queue_ptr 0
		.amdhsa_user_sgpr_kernarg_segment_ptr 0
		.amdhsa_user_sgpr_dispatch_id 0
		.amdhsa_user_sgpr_flat_scratch_init 0
		.amdhsa_user_sgpr_private_segment_size 0
		.amdhsa_uses_dynamic_stack 0
		.amdhsa_system_sgpr_private_segment_wavefront_offset 0
		.amdhsa_system_sgpr_workgroup_id_x 1
		.amdhsa_system_sgpr_workgroup_id_y 0
		.amdhsa_system_sgpr_workgroup_id_z 0
		.amdhsa_system_sgpr_workgroup_info 0
		.amdhsa_system_vgpr_workitem_id 0
		.amdhsa_next_free_vgpr 1
		.amdhsa_next_free_sgpr 0
		.amdhsa_reserve_vcc 0
		.amdhsa_reserve_flat_scratch 0
		.amdhsa_float_round_mode_32 0
		.amdhsa_float_round_mode_16_64 0
		.amdhsa_float_denorm_mode_32 3
		.amdhsa_float_denorm_mode_16_64 3
		.amdhsa_dx10_clamp 1
		.amdhsa_ieee_mode 1
		.amdhsa_fp16_overflow 0
		.amdhsa_exception_fp_ieee_invalid_op 0
		.amdhsa_exception_fp_denorm_src 0
		.amdhsa_exception_fp_ieee_div_zero 0
		.amdhsa_exception_fp_ieee_overflow 0
		.amdhsa_exception_fp_ieee_underflow 0
		.amdhsa_exception_fp_ieee_inexact 0
		.amdhsa_exception_int_div_zero 0
	.end_amdhsa_kernel
	.section	.text._ZN7rocprim17ROCPRIM_400000_NS6detail44device_merge_sort_compile_time_verifier_archINS1_11comp_targetILNS1_3genE2ELNS1_11target_archE906ELNS1_3gpuE6ELNS1_3repE0EEES8_NS1_28merge_sort_block_sort_configILj256ELj4ELNS0_20block_sort_algorithmE0EEENS0_14default_configENS1_37merge_sort_block_sort_config_selectorIdlEENS1_38merge_sort_block_merge_config_selectorIdlEEEEvv,"axG",@progbits,_ZN7rocprim17ROCPRIM_400000_NS6detail44device_merge_sort_compile_time_verifier_archINS1_11comp_targetILNS1_3genE2ELNS1_11target_archE906ELNS1_3gpuE6ELNS1_3repE0EEES8_NS1_28merge_sort_block_sort_configILj256ELj4ELNS0_20block_sort_algorithmE0EEENS0_14default_configENS1_37merge_sort_block_sort_config_selectorIdlEENS1_38merge_sort_block_merge_config_selectorIdlEEEEvv,comdat
.Lfunc_end1537:
	.size	_ZN7rocprim17ROCPRIM_400000_NS6detail44device_merge_sort_compile_time_verifier_archINS1_11comp_targetILNS1_3genE2ELNS1_11target_archE906ELNS1_3gpuE6ELNS1_3repE0EEES8_NS1_28merge_sort_block_sort_configILj256ELj4ELNS0_20block_sort_algorithmE0EEENS0_14default_configENS1_37merge_sort_block_sort_config_selectorIdlEENS1_38merge_sort_block_merge_config_selectorIdlEEEEvv, .Lfunc_end1537-_ZN7rocprim17ROCPRIM_400000_NS6detail44device_merge_sort_compile_time_verifier_archINS1_11comp_targetILNS1_3genE2ELNS1_11target_archE906ELNS1_3gpuE6ELNS1_3repE0EEES8_NS1_28merge_sort_block_sort_configILj256ELj4ELNS0_20block_sort_algorithmE0EEENS0_14default_configENS1_37merge_sort_block_sort_config_selectorIdlEENS1_38merge_sort_block_merge_config_selectorIdlEEEEvv
                                        ; -- End function
	.set _ZN7rocprim17ROCPRIM_400000_NS6detail44device_merge_sort_compile_time_verifier_archINS1_11comp_targetILNS1_3genE2ELNS1_11target_archE906ELNS1_3gpuE6ELNS1_3repE0EEES8_NS1_28merge_sort_block_sort_configILj256ELj4ELNS0_20block_sort_algorithmE0EEENS0_14default_configENS1_37merge_sort_block_sort_config_selectorIdlEENS1_38merge_sort_block_merge_config_selectorIdlEEEEvv.num_vgpr, 0
	.set _ZN7rocprim17ROCPRIM_400000_NS6detail44device_merge_sort_compile_time_verifier_archINS1_11comp_targetILNS1_3genE2ELNS1_11target_archE906ELNS1_3gpuE6ELNS1_3repE0EEES8_NS1_28merge_sort_block_sort_configILj256ELj4ELNS0_20block_sort_algorithmE0EEENS0_14default_configENS1_37merge_sort_block_sort_config_selectorIdlEENS1_38merge_sort_block_merge_config_selectorIdlEEEEvv.num_agpr, 0
	.set _ZN7rocprim17ROCPRIM_400000_NS6detail44device_merge_sort_compile_time_verifier_archINS1_11comp_targetILNS1_3genE2ELNS1_11target_archE906ELNS1_3gpuE6ELNS1_3repE0EEES8_NS1_28merge_sort_block_sort_configILj256ELj4ELNS0_20block_sort_algorithmE0EEENS0_14default_configENS1_37merge_sort_block_sort_config_selectorIdlEENS1_38merge_sort_block_merge_config_selectorIdlEEEEvv.numbered_sgpr, 0
	.set _ZN7rocprim17ROCPRIM_400000_NS6detail44device_merge_sort_compile_time_verifier_archINS1_11comp_targetILNS1_3genE2ELNS1_11target_archE906ELNS1_3gpuE6ELNS1_3repE0EEES8_NS1_28merge_sort_block_sort_configILj256ELj4ELNS0_20block_sort_algorithmE0EEENS0_14default_configENS1_37merge_sort_block_sort_config_selectorIdlEENS1_38merge_sort_block_merge_config_selectorIdlEEEEvv.num_named_barrier, 0
	.set _ZN7rocprim17ROCPRIM_400000_NS6detail44device_merge_sort_compile_time_verifier_archINS1_11comp_targetILNS1_3genE2ELNS1_11target_archE906ELNS1_3gpuE6ELNS1_3repE0EEES8_NS1_28merge_sort_block_sort_configILj256ELj4ELNS0_20block_sort_algorithmE0EEENS0_14default_configENS1_37merge_sort_block_sort_config_selectorIdlEENS1_38merge_sort_block_merge_config_selectorIdlEEEEvv.private_seg_size, 0
	.set _ZN7rocprim17ROCPRIM_400000_NS6detail44device_merge_sort_compile_time_verifier_archINS1_11comp_targetILNS1_3genE2ELNS1_11target_archE906ELNS1_3gpuE6ELNS1_3repE0EEES8_NS1_28merge_sort_block_sort_configILj256ELj4ELNS0_20block_sort_algorithmE0EEENS0_14default_configENS1_37merge_sort_block_sort_config_selectorIdlEENS1_38merge_sort_block_merge_config_selectorIdlEEEEvv.uses_vcc, 0
	.set _ZN7rocprim17ROCPRIM_400000_NS6detail44device_merge_sort_compile_time_verifier_archINS1_11comp_targetILNS1_3genE2ELNS1_11target_archE906ELNS1_3gpuE6ELNS1_3repE0EEES8_NS1_28merge_sort_block_sort_configILj256ELj4ELNS0_20block_sort_algorithmE0EEENS0_14default_configENS1_37merge_sort_block_sort_config_selectorIdlEENS1_38merge_sort_block_merge_config_selectorIdlEEEEvv.uses_flat_scratch, 0
	.set _ZN7rocprim17ROCPRIM_400000_NS6detail44device_merge_sort_compile_time_verifier_archINS1_11comp_targetILNS1_3genE2ELNS1_11target_archE906ELNS1_3gpuE6ELNS1_3repE0EEES8_NS1_28merge_sort_block_sort_configILj256ELj4ELNS0_20block_sort_algorithmE0EEENS0_14default_configENS1_37merge_sort_block_sort_config_selectorIdlEENS1_38merge_sort_block_merge_config_selectorIdlEEEEvv.has_dyn_sized_stack, 0
	.set _ZN7rocprim17ROCPRIM_400000_NS6detail44device_merge_sort_compile_time_verifier_archINS1_11comp_targetILNS1_3genE2ELNS1_11target_archE906ELNS1_3gpuE6ELNS1_3repE0EEES8_NS1_28merge_sort_block_sort_configILj256ELj4ELNS0_20block_sort_algorithmE0EEENS0_14default_configENS1_37merge_sort_block_sort_config_selectorIdlEENS1_38merge_sort_block_merge_config_selectorIdlEEEEvv.has_recursion, 0
	.set _ZN7rocprim17ROCPRIM_400000_NS6detail44device_merge_sort_compile_time_verifier_archINS1_11comp_targetILNS1_3genE2ELNS1_11target_archE906ELNS1_3gpuE6ELNS1_3repE0EEES8_NS1_28merge_sort_block_sort_configILj256ELj4ELNS0_20block_sort_algorithmE0EEENS0_14default_configENS1_37merge_sort_block_sort_config_selectorIdlEENS1_38merge_sort_block_merge_config_selectorIdlEEEEvv.has_indirect_call, 0
	.section	.AMDGPU.csdata,"",@progbits
; Kernel info:
; codeLenInByte = 4
; TotalNumSgprs: 4
; NumVgprs: 0
; ScratchSize: 0
; MemoryBound: 0
; FloatMode: 240
; IeeeMode: 1
; LDSByteSize: 0 bytes/workgroup (compile time only)
; SGPRBlocks: 0
; VGPRBlocks: 0
; NumSGPRsForWavesPerEU: 4
; NumVGPRsForWavesPerEU: 1
; Occupancy: 10
; WaveLimiterHint : 0
; COMPUTE_PGM_RSRC2:SCRATCH_EN: 0
; COMPUTE_PGM_RSRC2:USER_SGPR: 4
; COMPUTE_PGM_RSRC2:TRAP_HANDLER: 0
; COMPUTE_PGM_RSRC2:TGID_X_EN: 1
; COMPUTE_PGM_RSRC2:TGID_Y_EN: 0
; COMPUTE_PGM_RSRC2:TGID_Z_EN: 0
; COMPUTE_PGM_RSRC2:TIDIG_COMP_CNT: 0
	.section	.text._ZN7rocprim17ROCPRIM_400000_NS6detail44device_merge_sort_compile_time_verifier_archINS1_11comp_targetILNS1_3genE10ELNS1_11target_archE1201ELNS1_3gpuE5ELNS1_3repE0EEES8_NS1_28merge_sort_block_sort_configILj256ELj4ELNS0_20block_sort_algorithmE0EEENS0_14default_configENS1_37merge_sort_block_sort_config_selectorIdlEENS1_38merge_sort_block_merge_config_selectorIdlEEEEvv,"axG",@progbits,_ZN7rocprim17ROCPRIM_400000_NS6detail44device_merge_sort_compile_time_verifier_archINS1_11comp_targetILNS1_3genE10ELNS1_11target_archE1201ELNS1_3gpuE5ELNS1_3repE0EEES8_NS1_28merge_sort_block_sort_configILj256ELj4ELNS0_20block_sort_algorithmE0EEENS0_14default_configENS1_37merge_sort_block_sort_config_selectorIdlEENS1_38merge_sort_block_merge_config_selectorIdlEEEEvv,comdat
	.protected	_ZN7rocprim17ROCPRIM_400000_NS6detail44device_merge_sort_compile_time_verifier_archINS1_11comp_targetILNS1_3genE10ELNS1_11target_archE1201ELNS1_3gpuE5ELNS1_3repE0EEES8_NS1_28merge_sort_block_sort_configILj256ELj4ELNS0_20block_sort_algorithmE0EEENS0_14default_configENS1_37merge_sort_block_sort_config_selectorIdlEENS1_38merge_sort_block_merge_config_selectorIdlEEEEvv ; -- Begin function _ZN7rocprim17ROCPRIM_400000_NS6detail44device_merge_sort_compile_time_verifier_archINS1_11comp_targetILNS1_3genE10ELNS1_11target_archE1201ELNS1_3gpuE5ELNS1_3repE0EEES8_NS1_28merge_sort_block_sort_configILj256ELj4ELNS0_20block_sort_algorithmE0EEENS0_14default_configENS1_37merge_sort_block_sort_config_selectorIdlEENS1_38merge_sort_block_merge_config_selectorIdlEEEEvv
	.globl	_ZN7rocprim17ROCPRIM_400000_NS6detail44device_merge_sort_compile_time_verifier_archINS1_11comp_targetILNS1_3genE10ELNS1_11target_archE1201ELNS1_3gpuE5ELNS1_3repE0EEES8_NS1_28merge_sort_block_sort_configILj256ELj4ELNS0_20block_sort_algorithmE0EEENS0_14default_configENS1_37merge_sort_block_sort_config_selectorIdlEENS1_38merge_sort_block_merge_config_selectorIdlEEEEvv
	.p2align	8
	.type	_ZN7rocprim17ROCPRIM_400000_NS6detail44device_merge_sort_compile_time_verifier_archINS1_11comp_targetILNS1_3genE10ELNS1_11target_archE1201ELNS1_3gpuE5ELNS1_3repE0EEES8_NS1_28merge_sort_block_sort_configILj256ELj4ELNS0_20block_sort_algorithmE0EEENS0_14default_configENS1_37merge_sort_block_sort_config_selectorIdlEENS1_38merge_sort_block_merge_config_selectorIdlEEEEvv,@function
_ZN7rocprim17ROCPRIM_400000_NS6detail44device_merge_sort_compile_time_verifier_archINS1_11comp_targetILNS1_3genE10ELNS1_11target_archE1201ELNS1_3gpuE5ELNS1_3repE0EEES8_NS1_28merge_sort_block_sort_configILj256ELj4ELNS0_20block_sort_algorithmE0EEENS0_14default_configENS1_37merge_sort_block_sort_config_selectorIdlEENS1_38merge_sort_block_merge_config_selectorIdlEEEEvv: ; @_ZN7rocprim17ROCPRIM_400000_NS6detail44device_merge_sort_compile_time_verifier_archINS1_11comp_targetILNS1_3genE10ELNS1_11target_archE1201ELNS1_3gpuE5ELNS1_3repE0EEES8_NS1_28merge_sort_block_sort_configILj256ELj4ELNS0_20block_sort_algorithmE0EEENS0_14default_configENS1_37merge_sort_block_sort_config_selectorIdlEENS1_38merge_sort_block_merge_config_selectorIdlEEEEvv
; %bb.0:
	s_endpgm
	.section	.rodata,"a",@progbits
	.p2align	6, 0x0
	.amdhsa_kernel _ZN7rocprim17ROCPRIM_400000_NS6detail44device_merge_sort_compile_time_verifier_archINS1_11comp_targetILNS1_3genE10ELNS1_11target_archE1201ELNS1_3gpuE5ELNS1_3repE0EEES8_NS1_28merge_sort_block_sort_configILj256ELj4ELNS0_20block_sort_algorithmE0EEENS0_14default_configENS1_37merge_sort_block_sort_config_selectorIdlEENS1_38merge_sort_block_merge_config_selectorIdlEEEEvv
		.amdhsa_group_segment_fixed_size 0
		.amdhsa_private_segment_fixed_size 0
		.amdhsa_kernarg_size 0
		.amdhsa_user_sgpr_count 4
		.amdhsa_user_sgpr_private_segment_buffer 1
		.amdhsa_user_sgpr_dispatch_ptr 0
		.amdhsa_user_sgpr_queue_ptr 0
		.amdhsa_user_sgpr_kernarg_segment_ptr 0
		.amdhsa_user_sgpr_dispatch_id 0
		.amdhsa_user_sgpr_flat_scratch_init 0
		.amdhsa_user_sgpr_private_segment_size 0
		.amdhsa_uses_dynamic_stack 0
		.amdhsa_system_sgpr_private_segment_wavefront_offset 0
		.amdhsa_system_sgpr_workgroup_id_x 1
		.amdhsa_system_sgpr_workgroup_id_y 0
		.amdhsa_system_sgpr_workgroup_id_z 0
		.amdhsa_system_sgpr_workgroup_info 0
		.amdhsa_system_vgpr_workitem_id 0
		.amdhsa_next_free_vgpr 1
		.amdhsa_next_free_sgpr 0
		.amdhsa_reserve_vcc 0
		.amdhsa_reserve_flat_scratch 0
		.amdhsa_float_round_mode_32 0
		.amdhsa_float_round_mode_16_64 0
		.amdhsa_float_denorm_mode_32 3
		.amdhsa_float_denorm_mode_16_64 3
		.amdhsa_dx10_clamp 1
		.amdhsa_ieee_mode 1
		.amdhsa_fp16_overflow 0
		.amdhsa_exception_fp_ieee_invalid_op 0
		.amdhsa_exception_fp_denorm_src 0
		.amdhsa_exception_fp_ieee_div_zero 0
		.amdhsa_exception_fp_ieee_overflow 0
		.amdhsa_exception_fp_ieee_underflow 0
		.amdhsa_exception_fp_ieee_inexact 0
		.amdhsa_exception_int_div_zero 0
	.end_amdhsa_kernel
	.section	.text._ZN7rocprim17ROCPRIM_400000_NS6detail44device_merge_sort_compile_time_verifier_archINS1_11comp_targetILNS1_3genE10ELNS1_11target_archE1201ELNS1_3gpuE5ELNS1_3repE0EEES8_NS1_28merge_sort_block_sort_configILj256ELj4ELNS0_20block_sort_algorithmE0EEENS0_14default_configENS1_37merge_sort_block_sort_config_selectorIdlEENS1_38merge_sort_block_merge_config_selectorIdlEEEEvv,"axG",@progbits,_ZN7rocprim17ROCPRIM_400000_NS6detail44device_merge_sort_compile_time_verifier_archINS1_11comp_targetILNS1_3genE10ELNS1_11target_archE1201ELNS1_3gpuE5ELNS1_3repE0EEES8_NS1_28merge_sort_block_sort_configILj256ELj4ELNS0_20block_sort_algorithmE0EEENS0_14default_configENS1_37merge_sort_block_sort_config_selectorIdlEENS1_38merge_sort_block_merge_config_selectorIdlEEEEvv,comdat
.Lfunc_end1538:
	.size	_ZN7rocprim17ROCPRIM_400000_NS6detail44device_merge_sort_compile_time_verifier_archINS1_11comp_targetILNS1_3genE10ELNS1_11target_archE1201ELNS1_3gpuE5ELNS1_3repE0EEES8_NS1_28merge_sort_block_sort_configILj256ELj4ELNS0_20block_sort_algorithmE0EEENS0_14default_configENS1_37merge_sort_block_sort_config_selectorIdlEENS1_38merge_sort_block_merge_config_selectorIdlEEEEvv, .Lfunc_end1538-_ZN7rocprim17ROCPRIM_400000_NS6detail44device_merge_sort_compile_time_verifier_archINS1_11comp_targetILNS1_3genE10ELNS1_11target_archE1201ELNS1_3gpuE5ELNS1_3repE0EEES8_NS1_28merge_sort_block_sort_configILj256ELj4ELNS0_20block_sort_algorithmE0EEENS0_14default_configENS1_37merge_sort_block_sort_config_selectorIdlEENS1_38merge_sort_block_merge_config_selectorIdlEEEEvv
                                        ; -- End function
	.set _ZN7rocprim17ROCPRIM_400000_NS6detail44device_merge_sort_compile_time_verifier_archINS1_11comp_targetILNS1_3genE10ELNS1_11target_archE1201ELNS1_3gpuE5ELNS1_3repE0EEES8_NS1_28merge_sort_block_sort_configILj256ELj4ELNS0_20block_sort_algorithmE0EEENS0_14default_configENS1_37merge_sort_block_sort_config_selectorIdlEENS1_38merge_sort_block_merge_config_selectorIdlEEEEvv.num_vgpr, 0
	.set _ZN7rocprim17ROCPRIM_400000_NS6detail44device_merge_sort_compile_time_verifier_archINS1_11comp_targetILNS1_3genE10ELNS1_11target_archE1201ELNS1_3gpuE5ELNS1_3repE0EEES8_NS1_28merge_sort_block_sort_configILj256ELj4ELNS0_20block_sort_algorithmE0EEENS0_14default_configENS1_37merge_sort_block_sort_config_selectorIdlEENS1_38merge_sort_block_merge_config_selectorIdlEEEEvv.num_agpr, 0
	.set _ZN7rocprim17ROCPRIM_400000_NS6detail44device_merge_sort_compile_time_verifier_archINS1_11comp_targetILNS1_3genE10ELNS1_11target_archE1201ELNS1_3gpuE5ELNS1_3repE0EEES8_NS1_28merge_sort_block_sort_configILj256ELj4ELNS0_20block_sort_algorithmE0EEENS0_14default_configENS1_37merge_sort_block_sort_config_selectorIdlEENS1_38merge_sort_block_merge_config_selectorIdlEEEEvv.numbered_sgpr, 0
	.set _ZN7rocprim17ROCPRIM_400000_NS6detail44device_merge_sort_compile_time_verifier_archINS1_11comp_targetILNS1_3genE10ELNS1_11target_archE1201ELNS1_3gpuE5ELNS1_3repE0EEES8_NS1_28merge_sort_block_sort_configILj256ELj4ELNS0_20block_sort_algorithmE0EEENS0_14default_configENS1_37merge_sort_block_sort_config_selectorIdlEENS1_38merge_sort_block_merge_config_selectorIdlEEEEvv.num_named_barrier, 0
	.set _ZN7rocprim17ROCPRIM_400000_NS6detail44device_merge_sort_compile_time_verifier_archINS1_11comp_targetILNS1_3genE10ELNS1_11target_archE1201ELNS1_3gpuE5ELNS1_3repE0EEES8_NS1_28merge_sort_block_sort_configILj256ELj4ELNS0_20block_sort_algorithmE0EEENS0_14default_configENS1_37merge_sort_block_sort_config_selectorIdlEENS1_38merge_sort_block_merge_config_selectorIdlEEEEvv.private_seg_size, 0
	.set _ZN7rocprim17ROCPRIM_400000_NS6detail44device_merge_sort_compile_time_verifier_archINS1_11comp_targetILNS1_3genE10ELNS1_11target_archE1201ELNS1_3gpuE5ELNS1_3repE0EEES8_NS1_28merge_sort_block_sort_configILj256ELj4ELNS0_20block_sort_algorithmE0EEENS0_14default_configENS1_37merge_sort_block_sort_config_selectorIdlEENS1_38merge_sort_block_merge_config_selectorIdlEEEEvv.uses_vcc, 0
	.set _ZN7rocprim17ROCPRIM_400000_NS6detail44device_merge_sort_compile_time_verifier_archINS1_11comp_targetILNS1_3genE10ELNS1_11target_archE1201ELNS1_3gpuE5ELNS1_3repE0EEES8_NS1_28merge_sort_block_sort_configILj256ELj4ELNS0_20block_sort_algorithmE0EEENS0_14default_configENS1_37merge_sort_block_sort_config_selectorIdlEENS1_38merge_sort_block_merge_config_selectorIdlEEEEvv.uses_flat_scratch, 0
	.set _ZN7rocprim17ROCPRIM_400000_NS6detail44device_merge_sort_compile_time_verifier_archINS1_11comp_targetILNS1_3genE10ELNS1_11target_archE1201ELNS1_3gpuE5ELNS1_3repE0EEES8_NS1_28merge_sort_block_sort_configILj256ELj4ELNS0_20block_sort_algorithmE0EEENS0_14default_configENS1_37merge_sort_block_sort_config_selectorIdlEENS1_38merge_sort_block_merge_config_selectorIdlEEEEvv.has_dyn_sized_stack, 0
	.set _ZN7rocprim17ROCPRIM_400000_NS6detail44device_merge_sort_compile_time_verifier_archINS1_11comp_targetILNS1_3genE10ELNS1_11target_archE1201ELNS1_3gpuE5ELNS1_3repE0EEES8_NS1_28merge_sort_block_sort_configILj256ELj4ELNS0_20block_sort_algorithmE0EEENS0_14default_configENS1_37merge_sort_block_sort_config_selectorIdlEENS1_38merge_sort_block_merge_config_selectorIdlEEEEvv.has_recursion, 0
	.set _ZN7rocprim17ROCPRIM_400000_NS6detail44device_merge_sort_compile_time_verifier_archINS1_11comp_targetILNS1_3genE10ELNS1_11target_archE1201ELNS1_3gpuE5ELNS1_3repE0EEES8_NS1_28merge_sort_block_sort_configILj256ELj4ELNS0_20block_sort_algorithmE0EEENS0_14default_configENS1_37merge_sort_block_sort_config_selectorIdlEENS1_38merge_sort_block_merge_config_selectorIdlEEEEvv.has_indirect_call, 0
	.section	.AMDGPU.csdata,"",@progbits
; Kernel info:
; codeLenInByte = 4
; TotalNumSgprs: 4
; NumVgprs: 0
; ScratchSize: 0
; MemoryBound: 0
; FloatMode: 240
; IeeeMode: 1
; LDSByteSize: 0 bytes/workgroup (compile time only)
; SGPRBlocks: 0
; VGPRBlocks: 0
; NumSGPRsForWavesPerEU: 4
; NumVGPRsForWavesPerEU: 1
; Occupancy: 10
; WaveLimiterHint : 0
; COMPUTE_PGM_RSRC2:SCRATCH_EN: 0
; COMPUTE_PGM_RSRC2:USER_SGPR: 4
; COMPUTE_PGM_RSRC2:TRAP_HANDLER: 0
; COMPUTE_PGM_RSRC2:TGID_X_EN: 1
; COMPUTE_PGM_RSRC2:TGID_Y_EN: 0
; COMPUTE_PGM_RSRC2:TGID_Z_EN: 0
; COMPUTE_PGM_RSRC2:TIDIG_COMP_CNT: 0
	.section	.text._ZN7rocprim17ROCPRIM_400000_NS6detail44device_merge_sort_compile_time_verifier_archINS1_11comp_targetILNS1_3genE10ELNS1_11target_archE1200ELNS1_3gpuE4ELNS1_3repE0EEENS3_ILS4_10ELS5_1201ELS6_5ELS7_0EEENS1_28merge_sort_block_sort_configILj256ELj4ELNS0_20block_sort_algorithmE0EEENS0_14default_configENS1_37merge_sort_block_sort_config_selectorIdlEENS1_38merge_sort_block_merge_config_selectorIdlEEEEvv,"axG",@progbits,_ZN7rocprim17ROCPRIM_400000_NS6detail44device_merge_sort_compile_time_verifier_archINS1_11comp_targetILNS1_3genE10ELNS1_11target_archE1200ELNS1_3gpuE4ELNS1_3repE0EEENS3_ILS4_10ELS5_1201ELS6_5ELS7_0EEENS1_28merge_sort_block_sort_configILj256ELj4ELNS0_20block_sort_algorithmE0EEENS0_14default_configENS1_37merge_sort_block_sort_config_selectorIdlEENS1_38merge_sort_block_merge_config_selectorIdlEEEEvv,comdat
	.protected	_ZN7rocprim17ROCPRIM_400000_NS6detail44device_merge_sort_compile_time_verifier_archINS1_11comp_targetILNS1_3genE10ELNS1_11target_archE1200ELNS1_3gpuE4ELNS1_3repE0EEENS3_ILS4_10ELS5_1201ELS6_5ELS7_0EEENS1_28merge_sort_block_sort_configILj256ELj4ELNS0_20block_sort_algorithmE0EEENS0_14default_configENS1_37merge_sort_block_sort_config_selectorIdlEENS1_38merge_sort_block_merge_config_selectorIdlEEEEvv ; -- Begin function _ZN7rocprim17ROCPRIM_400000_NS6detail44device_merge_sort_compile_time_verifier_archINS1_11comp_targetILNS1_3genE10ELNS1_11target_archE1200ELNS1_3gpuE4ELNS1_3repE0EEENS3_ILS4_10ELS5_1201ELS6_5ELS7_0EEENS1_28merge_sort_block_sort_configILj256ELj4ELNS0_20block_sort_algorithmE0EEENS0_14default_configENS1_37merge_sort_block_sort_config_selectorIdlEENS1_38merge_sort_block_merge_config_selectorIdlEEEEvv
	.globl	_ZN7rocprim17ROCPRIM_400000_NS6detail44device_merge_sort_compile_time_verifier_archINS1_11comp_targetILNS1_3genE10ELNS1_11target_archE1200ELNS1_3gpuE4ELNS1_3repE0EEENS3_ILS4_10ELS5_1201ELS6_5ELS7_0EEENS1_28merge_sort_block_sort_configILj256ELj4ELNS0_20block_sort_algorithmE0EEENS0_14default_configENS1_37merge_sort_block_sort_config_selectorIdlEENS1_38merge_sort_block_merge_config_selectorIdlEEEEvv
	.p2align	8
	.type	_ZN7rocprim17ROCPRIM_400000_NS6detail44device_merge_sort_compile_time_verifier_archINS1_11comp_targetILNS1_3genE10ELNS1_11target_archE1200ELNS1_3gpuE4ELNS1_3repE0EEENS3_ILS4_10ELS5_1201ELS6_5ELS7_0EEENS1_28merge_sort_block_sort_configILj256ELj4ELNS0_20block_sort_algorithmE0EEENS0_14default_configENS1_37merge_sort_block_sort_config_selectorIdlEENS1_38merge_sort_block_merge_config_selectorIdlEEEEvv,@function
_ZN7rocprim17ROCPRIM_400000_NS6detail44device_merge_sort_compile_time_verifier_archINS1_11comp_targetILNS1_3genE10ELNS1_11target_archE1200ELNS1_3gpuE4ELNS1_3repE0EEENS3_ILS4_10ELS5_1201ELS6_5ELS7_0EEENS1_28merge_sort_block_sort_configILj256ELj4ELNS0_20block_sort_algorithmE0EEENS0_14default_configENS1_37merge_sort_block_sort_config_selectorIdlEENS1_38merge_sort_block_merge_config_selectorIdlEEEEvv: ; @_ZN7rocprim17ROCPRIM_400000_NS6detail44device_merge_sort_compile_time_verifier_archINS1_11comp_targetILNS1_3genE10ELNS1_11target_archE1200ELNS1_3gpuE4ELNS1_3repE0EEENS3_ILS4_10ELS5_1201ELS6_5ELS7_0EEENS1_28merge_sort_block_sort_configILj256ELj4ELNS0_20block_sort_algorithmE0EEENS0_14default_configENS1_37merge_sort_block_sort_config_selectorIdlEENS1_38merge_sort_block_merge_config_selectorIdlEEEEvv
; %bb.0:
	s_endpgm
	.section	.rodata,"a",@progbits
	.p2align	6, 0x0
	.amdhsa_kernel _ZN7rocprim17ROCPRIM_400000_NS6detail44device_merge_sort_compile_time_verifier_archINS1_11comp_targetILNS1_3genE10ELNS1_11target_archE1200ELNS1_3gpuE4ELNS1_3repE0EEENS3_ILS4_10ELS5_1201ELS6_5ELS7_0EEENS1_28merge_sort_block_sort_configILj256ELj4ELNS0_20block_sort_algorithmE0EEENS0_14default_configENS1_37merge_sort_block_sort_config_selectorIdlEENS1_38merge_sort_block_merge_config_selectorIdlEEEEvv
		.amdhsa_group_segment_fixed_size 0
		.amdhsa_private_segment_fixed_size 0
		.amdhsa_kernarg_size 0
		.amdhsa_user_sgpr_count 4
		.amdhsa_user_sgpr_private_segment_buffer 1
		.amdhsa_user_sgpr_dispatch_ptr 0
		.amdhsa_user_sgpr_queue_ptr 0
		.amdhsa_user_sgpr_kernarg_segment_ptr 0
		.amdhsa_user_sgpr_dispatch_id 0
		.amdhsa_user_sgpr_flat_scratch_init 0
		.amdhsa_user_sgpr_private_segment_size 0
		.amdhsa_uses_dynamic_stack 0
		.amdhsa_system_sgpr_private_segment_wavefront_offset 0
		.amdhsa_system_sgpr_workgroup_id_x 1
		.amdhsa_system_sgpr_workgroup_id_y 0
		.amdhsa_system_sgpr_workgroup_id_z 0
		.amdhsa_system_sgpr_workgroup_info 0
		.amdhsa_system_vgpr_workitem_id 0
		.amdhsa_next_free_vgpr 1
		.amdhsa_next_free_sgpr 0
		.amdhsa_reserve_vcc 0
		.amdhsa_reserve_flat_scratch 0
		.amdhsa_float_round_mode_32 0
		.amdhsa_float_round_mode_16_64 0
		.amdhsa_float_denorm_mode_32 3
		.amdhsa_float_denorm_mode_16_64 3
		.amdhsa_dx10_clamp 1
		.amdhsa_ieee_mode 1
		.amdhsa_fp16_overflow 0
		.amdhsa_exception_fp_ieee_invalid_op 0
		.amdhsa_exception_fp_denorm_src 0
		.amdhsa_exception_fp_ieee_div_zero 0
		.amdhsa_exception_fp_ieee_overflow 0
		.amdhsa_exception_fp_ieee_underflow 0
		.amdhsa_exception_fp_ieee_inexact 0
		.amdhsa_exception_int_div_zero 0
	.end_amdhsa_kernel
	.section	.text._ZN7rocprim17ROCPRIM_400000_NS6detail44device_merge_sort_compile_time_verifier_archINS1_11comp_targetILNS1_3genE10ELNS1_11target_archE1200ELNS1_3gpuE4ELNS1_3repE0EEENS3_ILS4_10ELS5_1201ELS6_5ELS7_0EEENS1_28merge_sort_block_sort_configILj256ELj4ELNS0_20block_sort_algorithmE0EEENS0_14default_configENS1_37merge_sort_block_sort_config_selectorIdlEENS1_38merge_sort_block_merge_config_selectorIdlEEEEvv,"axG",@progbits,_ZN7rocprim17ROCPRIM_400000_NS6detail44device_merge_sort_compile_time_verifier_archINS1_11comp_targetILNS1_3genE10ELNS1_11target_archE1200ELNS1_3gpuE4ELNS1_3repE0EEENS3_ILS4_10ELS5_1201ELS6_5ELS7_0EEENS1_28merge_sort_block_sort_configILj256ELj4ELNS0_20block_sort_algorithmE0EEENS0_14default_configENS1_37merge_sort_block_sort_config_selectorIdlEENS1_38merge_sort_block_merge_config_selectorIdlEEEEvv,comdat
.Lfunc_end1539:
	.size	_ZN7rocprim17ROCPRIM_400000_NS6detail44device_merge_sort_compile_time_verifier_archINS1_11comp_targetILNS1_3genE10ELNS1_11target_archE1200ELNS1_3gpuE4ELNS1_3repE0EEENS3_ILS4_10ELS5_1201ELS6_5ELS7_0EEENS1_28merge_sort_block_sort_configILj256ELj4ELNS0_20block_sort_algorithmE0EEENS0_14default_configENS1_37merge_sort_block_sort_config_selectorIdlEENS1_38merge_sort_block_merge_config_selectorIdlEEEEvv, .Lfunc_end1539-_ZN7rocprim17ROCPRIM_400000_NS6detail44device_merge_sort_compile_time_verifier_archINS1_11comp_targetILNS1_3genE10ELNS1_11target_archE1200ELNS1_3gpuE4ELNS1_3repE0EEENS3_ILS4_10ELS5_1201ELS6_5ELS7_0EEENS1_28merge_sort_block_sort_configILj256ELj4ELNS0_20block_sort_algorithmE0EEENS0_14default_configENS1_37merge_sort_block_sort_config_selectorIdlEENS1_38merge_sort_block_merge_config_selectorIdlEEEEvv
                                        ; -- End function
	.set _ZN7rocprim17ROCPRIM_400000_NS6detail44device_merge_sort_compile_time_verifier_archINS1_11comp_targetILNS1_3genE10ELNS1_11target_archE1200ELNS1_3gpuE4ELNS1_3repE0EEENS3_ILS4_10ELS5_1201ELS6_5ELS7_0EEENS1_28merge_sort_block_sort_configILj256ELj4ELNS0_20block_sort_algorithmE0EEENS0_14default_configENS1_37merge_sort_block_sort_config_selectorIdlEENS1_38merge_sort_block_merge_config_selectorIdlEEEEvv.num_vgpr, 0
	.set _ZN7rocprim17ROCPRIM_400000_NS6detail44device_merge_sort_compile_time_verifier_archINS1_11comp_targetILNS1_3genE10ELNS1_11target_archE1200ELNS1_3gpuE4ELNS1_3repE0EEENS3_ILS4_10ELS5_1201ELS6_5ELS7_0EEENS1_28merge_sort_block_sort_configILj256ELj4ELNS0_20block_sort_algorithmE0EEENS0_14default_configENS1_37merge_sort_block_sort_config_selectorIdlEENS1_38merge_sort_block_merge_config_selectorIdlEEEEvv.num_agpr, 0
	.set _ZN7rocprim17ROCPRIM_400000_NS6detail44device_merge_sort_compile_time_verifier_archINS1_11comp_targetILNS1_3genE10ELNS1_11target_archE1200ELNS1_3gpuE4ELNS1_3repE0EEENS3_ILS4_10ELS5_1201ELS6_5ELS7_0EEENS1_28merge_sort_block_sort_configILj256ELj4ELNS0_20block_sort_algorithmE0EEENS0_14default_configENS1_37merge_sort_block_sort_config_selectorIdlEENS1_38merge_sort_block_merge_config_selectorIdlEEEEvv.numbered_sgpr, 0
	.set _ZN7rocprim17ROCPRIM_400000_NS6detail44device_merge_sort_compile_time_verifier_archINS1_11comp_targetILNS1_3genE10ELNS1_11target_archE1200ELNS1_3gpuE4ELNS1_3repE0EEENS3_ILS4_10ELS5_1201ELS6_5ELS7_0EEENS1_28merge_sort_block_sort_configILj256ELj4ELNS0_20block_sort_algorithmE0EEENS0_14default_configENS1_37merge_sort_block_sort_config_selectorIdlEENS1_38merge_sort_block_merge_config_selectorIdlEEEEvv.num_named_barrier, 0
	.set _ZN7rocprim17ROCPRIM_400000_NS6detail44device_merge_sort_compile_time_verifier_archINS1_11comp_targetILNS1_3genE10ELNS1_11target_archE1200ELNS1_3gpuE4ELNS1_3repE0EEENS3_ILS4_10ELS5_1201ELS6_5ELS7_0EEENS1_28merge_sort_block_sort_configILj256ELj4ELNS0_20block_sort_algorithmE0EEENS0_14default_configENS1_37merge_sort_block_sort_config_selectorIdlEENS1_38merge_sort_block_merge_config_selectorIdlEEEEvv.private_seg_size, 0
	.set _ZN7rocprim17ROCPRIM_400000_NS6detail44device_merge_sort_compile_time_verifier_archINS1_11comp_targetILNS1_3genE10ELNS1_11target_archE1200ELNS1_3gpuE4ELNS1_3repE0EEENS3_ILS4_10ELS5_1201ELS6_5ELS7_0EEENS1_28merge_sort_block_sort_configILj256ELj4ELNS0_20block_sort_algorithmE0EEENS0_14default_configENS1_37merge_sort_block_sort_config_selectorIdlEENS1_38merge_sort_block_merge_config_selectorIdlEEEEvv.uses_vcc, 0
	.set _ZN7rocprim17ROCPRIM_400000_NS6detail44device_merge_sort_compile_time_verifier_archINS1_11comp_targetILNS1_3genE10ELNS1_11target_archE1200ELNS1_3gpuE4ELNS1_3repE0EEENS3_ILS4_10ELS5_1201ELS6_5ELS7_0EEENS1_28merge_sort_block_sort_configILj256ELj4ELNS0_20block_sort_algorithmE0EEENS0_14default_configENS1_37merge_sort_block_sort_config_selectorIdlEENS1_38merge_sort_block_merge_config_selectorIdlEEEEvv.uses_flat_scratch, 0
	.set _ZN7rocprim17ROCPRIM_400000_NS6detail44device_merge_sort_compile_time_verifier_archINS1_11comp_targetILNS1_3genE10ELNS1_11target_archE1200ELNS1_3gpuE4ELNS1_3repE0EEENS3_ILS4_10ELS5_1201ELS6_5ELS7_0EEENS1_28merge_sort_block_sort_configILj256ELj4ELNS0_20block_sort_algorithmE0EEENS0_14default_configENS1_37merge_sort_block_sort_config_selectorIdlEENS1_38merge_sort_block_merge_config_selectorIdlEEEEvv.has_dyn_sized_stack, 0
	.set _ZN7rocprim17ROCPRIM_400000_NS6detail44device_merge_sort_compile_time_verifier_archINS1_11comp_targetILNS1_3genE10ELNS1_11target_archE1200ELNS1_3gpuE4ELNS1_3repE0EEENS3_ILS4_10ELS5_1201ELS6_5ELS7_0EEENS1_28merge_sort_block_sort_configILj256ELj4ELNS0_20block_sort_algorithmE0EEENS0_14default_configENS1_37merge_sort_block_sort_config_selectorIdlEENS1_38merge_sort_block_merge_config_selectorIdlEEEEvv.has_recursion, 0
	.set _ZN7rocprim17ROCPRIM_400000_NS6detail44device_merge_sort_compile_time_verifier_archINS1_11comp_targetILNS1_3genE10ELNS1_11target_archE1200ELNS1_3gpuE4ELNS1_3repE0EEENS3_ILS4_10ELS5_1201ELS6_5ELS7_0EEENS1_28merge_sort_block_sort_configILj256ELj4ELNS0_20block_sort_algorithmE0EEENS0_14default_configENS1_37merge_sort_block_sort_config_selectorIdlEENS1_38merge_sort_block_merge_config_selectorIdlEEEEvv.has_indirect_call, 0
	.section	.AMDGPU.csdata,"",@progbits
; Kernel info:
; codeLenInByte = 4
; TotalNumSgprs: 4
; NumVgprs: 0
; ScratchSize: 0
; MemoryBound: 0
; FloatMode: 240
; IeeeMode: 1
; LDSByteSize: 0 bytes/workgroup (compile time only)
; SGPRBlocks: 0
; VGPRBlocks: 0
; NumSGPRsForWavesPerEU: 4
; NumVGPRsForWavesPerEU: 1
; Occupancy: 10
; WaveLimiterHint : 0
; COMPUTE_PGM_RSRC2:SCRATCH_EN: 0
; COMPUTE_PGM_RSRC2:USER_SGPR: 4
; COMPUTE_PGM_RSRC2:TRAP_HANDLER: 0
; COMPUTE_PGM_RSRC2:TGID_X_EN: 1
; COMPUTE_PGM_RSRC2:TGID_Y_EN: 0
; COMPUTE_PGM_RSRC2:TGID_Z_EN: 0
; COMPUTE_PGM_RSRC2:TIDIG_COMP_CNT: 0
	.section	.text._ZN7rocprim17ROCPRIM_400000_NS6detail44device_merge_sort_compile_time_verifier_archINS1_11comp_targetILNS1_3genE9ELNS1_11target_archE1100ELNS1_3gpuE3ELNS1_3repE0EEES8_NS1_28merge_sort_block_sort_configILj256ELj4ELNS0_20block_sort_algorithmE0EEENS0_14default_configENS1_37merge_sort_block_sort_config_selectorIdlEENS1_38merge_sort_block_merge_config_selectorIdlEEEEvv,"axG",@progbits,_ZN7rocprim17ROCPRIM_400000_NS6detail44device_merge_sort_compile_time_verifier_archINS1_11comp_targetILNS1_3genE9ELNS1_11target_archE1100ELNS1_3gpuE3ELNS1_3repE0EEES8_NS1_28merge_sort_block_sort_configILj256ELj4ELNS0_20block_sort_algorithmE0EEENS0_14default_configENS1_37merge_sort_block_sort_config_selectorIdlEENS1_38merge_sort_block_merge_config_selectorIdlEEEEvv,comdat
	.protected	_ZN7rocprim17ROCPRIM_400000_NS6detail44device_merge_sort_compile_time_verifier_archINS1_11comp_targetILNS1_3genE9ELNS1_11target_archE1100ELNS1_3gpuE3ELNS1_3repE0EEES8_NS1_28merge_sort_block_sort_configILj256ELj4ELNS0_20block_sort_algorithmE0EEENS0_14default_configENS1_37merge_sort_block_sort_config_selectorIdlEENS1_38merge_sort_block_merge_config_selectorIdlEEEEvv ; -- Begin function _ZN7rocprim17ROCPRIM_400000_NS6detail44device_merge_sort_compile_time_verifier_archINS1_11comp_targetILNS1_3genE9ELNS1_11target_archE1100ELNS1_3gpuE3ELNS1_3repE0EEES8_NS1_28merge_sort_block_sort_configILj256ELj4ELNS0_20block_sort_algorithmE0EEENS0_14default_configENS1_37merge_sort_block_sort_config_selectorIdlEENS1_38merge_sort_block_merge_config_selectorIdlEEEEvv
	.globl	_ZN7rocprim17ROCPRIM_400000_NS6detail44device_merge_sort_compile_time_verifier_archINS1_11comp_targetILNS1_3genE9ELNS1_11target_archE1100ELNS1_3gpuE3ELNS1_3repE0EEES8_NS1_28merge_sort_block_sort_configILj256ELj4ELNS0_20block_sort_algorithmE0EEENS0_14default_configENS1_37merge_sort_block_sort_config_selectorIdlEENS1_38merge_sort_block_merge_config_selectorIdlEEEEvv
	.p2align	8
	.type	_ZN7rocprim17ROCPRIM_400000_NS6detail44device_merge_sort_compile_time_verifier_archINS1_11comp_targetILNS1_3genE9ELNS1_11target_archE1100ELNS1_3gpuE3ELNS1_3repE0EEES8_NS1_28merge_sort_block_sort_configILj256ELj4ELNS0_20block_sort_algorithmE0EEENS0_14default_configENS1_37merge_sort_block_sort_config_selectorIdlEENS1_38merge_sort_block_merge_config_selectorIdlEEEEvv,@function
_ZN7rocprim17ROCPRIM_400000_NS6detail44device_merge_sort_compile_time_verifier_archINS1_11comp_targetILNS1_3genE9ELNS1_11target_archE1100ELNS1_3gpuE3ELNS1_3repE0EEES8_NS1_28merge_sort_block_sort_configILj256ELj4ELNS0_20block_sort_algorithmE0EEENS0_14default_configENS1_37merge_sort_block_sort_config_selectorIdlEENS1_38merge_sort_block_merge_config_selectorIdlEEEEvv: ; @_ZN7rocprim17ROCPRIM_400000_NS6detail44device_merge_sort_compile_time_verifier_archINS1_11comp_targetILNS1_3genE9ELNS1_11target_archE1100ELNS1_3gpuE3ELNS1_3repE0EEES8_NS1_28merge_sort_block_sort_configILj256ELj4ELNS0_20block_sort_algorithmE0EEENS0_14default_configENS1_37merge_sort_block_sort_config_selectorIdlEENS1_38merge_sort_block_merge_config_selectorIdlEEEEvv
; %bb.0:
	s_endpgm
	.section	.rodata,"a",@progbits
	.p2align	6, 0x0
	.amdhsa_kernel _ZN7rocprim17ROCPRIM_400000_NS6detail44device_merge_sort_compile_time_verifier_archINS1_11comp_targetILNS1_3genE9ELNS1_11target_archE1100ELNS1_3gpuE3ELNS1_3repE0EEES8_NS1_28merge_sort_block_sort_configILj256ELj4ELNS0_20block_sort_algorithmE0EEENS0_14default_configENS1_37merge_sort_block_sort_config_selectorIdlEENS1_38merge_sort_block_merge_config_selectorIdlEEEEvv
		.amdhsa_group_segment_fixed_size 0
		.amdhsa_private_segment_fixed_size 0
		.amdhsa_kernarg_size 0
		.amdhsa_user_sgpr_count 4
		.amdhsa_user_sgpr_private_segment_buffer 1
		.amdhsa_user_sgpr_dispatch_ptr 0
		.amdhsa_user_sgpr_queue_ptr 0
		.amdhsa_user_sgpr_kernarg_segment_ptr 0
		.amdhsa_user_sgpr_dispatch_id 0
		.amdhsa_user_sgpr_flat_scratch_init 0
		.amdhsa_user_sgpr_private_segment_size 0
		.amdhsa_uses_dynamic_stack 0
		.amdhsa_system_sgpr_private_segment_wavefront_offset 0
		.amdhsa_system_sgpr_workgroup_id_x 1
		.amdhsa_system_sgpr_workgroup_id_y 0
		.amdhsa_system_sgpr_workgroup_id_z 0
		.amdhsa_system_sgpr_workgroup_info 0
		.amdhsa_system_vgpr_workitem_id 0
		.amdhsa_next_free_vgpr 1
		.amdhsa_next_free_sgpr 0
		.amdhsa_reserve_vcc 0
		.amdhsa_reserve_flat_scratch 0
		.amdhsa_float_round_mode_32 0
		.amdhsa_float_round_mode_16_64 0
		.amdhsa_float_denorm_mode_32 3
		.amdhsa_float_denorm_mode_16_64 3
		.amdhsa_dx10_clamp 1
		.amdhsa_ieee_mode 1
		.amdhsa_fp16_overflow 0
		.amdhsa_exception_fp_ieee_invalid_op 0
		.amdhsa_exception_fp_denorm_src 0
		.amdhsa_exception_fp_ieee_div_zero 0
		.amdhsa_exception_fp_ieee_overflow 0
		.amdhsa_exception_fp_ieee_underflow 0
		.amdhsa_exception_fp_ieee_inexact 0
		.amdhsa_exception_int_div_zero 0
	.end_amdhsa_kernel
	.section	.text._ZN7rocprim17ROCPRIM_400000_NS6detail44device_merge_sort_compile_time_verifier_archINS1_11comp_targetILNS1_3genE9ELNS1_11target_archE1100ELNS1_3gpuE3ELNS1_3repE0EEES8_NS1_28merge_sort_block_sort_configILj256ELj4ELNS0_20block_sort_algorithmE0EEENS0_14default_configENS1_37merge_sort_block_sort_config_selectorIdlEENS1_38merge_sort_block_merge_config_selectorIdlEEEEvv,"axG",@progbits,_ZN7rocprim17ROCPRIM_400000_NS6detail44device_merge_sort_compile_time_verifier_archINS1_11comp_targetILNS1_3genE9ELNS1_11target_archE1100ELNS1_3gpuE3ELNS1_3repE0EEES8_NS1_28merge_sort_block_sort_configILj256ELj4ELNS0_20block_sort_algorithmE0EEENS0_14default_configENS1_37merge_sort_block_sort_config_selectorIdlEENS1_38merge_sort_block_merge_config_selectorIdlEEEEvv,comdat
.Lfunc_end1540:
	.size	_ZN7rocprim17ROCPRIM_400000_NS6detail44device_merge_sort_compile_time_verifier_archINS1_11comp_targetILNS1_3genE9ELNS1_11target_archE1100ELNS1_3gpuE3ELNS1_3repE0EEES8_NS1_28merge_sort_block_sort_configILj256ELj4ELNS0_20block_sort_algorithmE0EEENS0_14default_configENS1_37merge_sort_block_sort_config_selectorIdlEENS1_38merge_sort_block_merge_config_selectorIdlEEEEvv, .Lfunc_end1540-_ZN7rocprim17ROCPRIM_400000_NS6detail44device_merge_sort_compile_time_verifier_archINS1_11comp_targetILNS1_3genE9ELNS1_11target_archE1100ELNS1_3gpuE3ELNS1_3repE0EEES8_NS1_28merge_sort_block_sort_configILj256ELj4ELNS0_20block_sort_algorithmE0EEENS0_14default_configENS1_37merge_sort_block_sort_config_selectorIdlEENS1_38merge_sort_block_merge_config_selectorIdlEEEEvv
                                        ; -- End function
	.set _ZN7rocprim17ROCPRIM_400000_NS6detail44device_merge_sort_compile_time_verifier_archINS1_11comp_targetILNS1_3genE9ELNS1_11target_archE1100ELNS1_3gpuE3ELNS1_3repE0EEES8_NS1_28merge_sort_block_sort_configILj256ELj4ELNS0_20block_sort_algorithmE0EEENS0_14default_configENS1_37merge_sort_block_sort_config_selectorIdlEENS1_38merge_sort_block_merge_config_selectorIdlEEEEvv.num_vgpr, 0
	.set _ZN7rocprim17ROCPRIM_400000_NS6detail44device_merge_sort_compile_time_verifier_archINS1_11comp_targetILNS1_3genE9ELNS1_11target_archE1100ELNS1_3gpuE3ELNS1_3repE0EEES8_NS1_28merge_sort_block_sort_configILj256ELj4ELNS0_20block_sort_algorithmE0EEENS0_14default_configENS1_37merge_sort_block_sort_config_selectorIdlEENS1_38merge_sort_block_merge_config_selectorIdlEEEEvv.num_agpr, 0
	.set _ZN7rocprim17ROCPRIM_400000_NS6detail44device_merge_sort_compile_time_verifier_archINS1_11comp_targetILNS1_3genE9ELNS1_11target_archE1100ELNS1_3gpuE3ELNS1_3repE0EEES8_NS1_28merge_sort_block_sort_configILj256ELj4ELNS0_20block_sort_algorithmE0EEENS0_14default_configENS1_37merge_sort_block_sort_config_selectorIdlEENS1_38merge_sort_block_merge_config_selectorIdlEEEEvv.numbered_sgpr, 0
	.set _ZN7rocprim17ROCPRIM_400000_NS6detail44device_merge_sort_compile_time_verifier_archINS1_11comp_targetILNS1_3genE9ELNS1_11target_archE1100ELNS1_3gpuE3ELNS1_3repE0EEES8_NS1_28merge_sort_block_sort_configILj256ELj4ELNS0_20block_sort_algorithmE0EEENS0_14default_configENS1_37merge_sort_block_sort_config_selectorIdlEENS1_38merge_sort_block_merge_config_selectorIdlEEEEvv.num_named_barrier, 0
	.set _ZN7rocprim17ROCPRIM_400000_NS6detail44device_merge_sort_compile_time_verifier_archINS1_11comp_targetILNS1_3genE9ELNS1_11target_archE1100ELNS1_3gpuE3ELNS1_3repE0EEES8_NS1_28merge_sort_block_sort_configILj256ELj4ELNS0_20block_sort_algorithmE0EEENS0_14default_configENS1_37merge_sort_block_sort_config_selectorIdlEENS1_38merge_sort_block_merge_config_selectorIdlEEEEvv.private_seg_size, 0
	.set _ZN7rocprim17ROCPRIM_400000_NS6detail44device_merge_sort_compile_time_verifier_archINS1_11comp_targetILNS1_3genE9ELNS1_11target_archE1100ELNS1_3gpuE3ELNS1_3repE0EEES8_NS1_28merge_sort_block_sort_configILj256ELj4ELNS0_20block_sort_algorithmE0EEENS0_14default_configENS1_37merge_sort_block_sort_config_selectorIdlEENS1_38merge_sort_block_merge_config_selectorIdlEEEEvv.uses_vcc, 0
	.set _ZN7rocprim17ROCPRIM_400000_NS6detail44device_merge_sort_compile_time_verifier_archINS1_11comp_targetILNS1_3genE9ELNS1_11target_archE1100ELNS1_3gpuE3ELNS1_3repE0EEES8_NS1_28merge_sort_block_sort_configILj256ELj4ELNS0_20block_sort_algorithmE0EEENS0_14default_configENS1_37merge_sort_block_sort_config_selectorIdlEENS1_38merge_sort_block_merge_config_selectorIdlEEEEvv.uses_flat_scratch, 0
	.set _ZN7rocprim17ROCPRIM_400000_NS6detail44device_merge_sort_compile_time_verifier_archINS1_11comp_targetILNS1_3genE9ELNS1_11target_archE1100ELNS1_3gpuE3ELNS1_3repE0EEES8_NS1_28merge_sort_block_sort_configILj256ELj4ELNS0_20block_sort_algorithmE0EEENS0_14default_configENS1_37merge_sort_block_sort_config_selectorIdlEENS1_38merge_sort_block_merge_config_selectorIdlEEEEvv.has_dyn_sized_stack, 0
	.set _ZN7rocprim17ROCPRIM_400000_NS6detail44device_merge_sort_compile_time_verifier_archINS1_11comp_targetILNS1_3genE9ELNS1_11target_archE1100ELNS1_3gpuE3ELNS1_3repE0EEES8_NS1_28merge_sort_block_sort_configILj256ELj4ELNS0_20block_sort_algorithmE0EEENS0_14default_configENS1_37merge_sort_block_sort_config_selectorIdlEENS1_38merge_sort_block_merge_config_selectorIdlEEEEvv.has_recursion, 0
	.set _ZN7rocprim17ROCPRIM_400000_NS6detail44device_merge_sort_compile_time_verifier_archINS1_11comp_targetILNS1_3genE9ELNS1_11target_archE1100ELNS1_3gpuE3ELNS1_3repE0EEES8_NS1_28merge_sort_block_sort_configILj256ELj4ELNS0_20block_sort_algorithmE0EEENS0_14default_configENS1_37merge_sort_block_sort_config_selectorIdlEENS1_38merge_sort_block_merge_config_selectorIdlEEEEvv.has_indirect_call, 0
	.section	.AMDGPU.csdata,"",@progbits
; Kernel info:
; codeLenInByte = 4
; TotalNumSgprs: 4
; NumVgprs: 0
; ScratchSize: 0
; MemoryBound: 0
; FloatMode: 240
; IeeeMode: 1
; LDSByteSize: 0 bytes/workgroup (compile time only)
; SGPRBlocks: 0
; VGPRBlocks: 0
; NumSGPRsForWavesPerEU: 4
; NumVGPRsForWavesPerEU: 1
; Occupancy: 10
; WaveLimiterHint : 0
; COMPUTE_PGM_RSRC2:SCRATCH_EN: 0
; COMPUTE_PGM_RSRC2:USER_SGPR: 4
; COMPUTE_PGM_RSRC2:TRAP_HANDLER: 0
; COMPUTE_PGM_RSRC2:TGID_X_EN: 1
; COMPUTE_PGM_RSRC2:TGID_Y_EN: 0
; COMPUTE_PGM_RSRC2:TGID_Z_EN: 0
; COMPUTE_PGM_RSRC2:TIDIG_COMP_CNT: 0
	.section	.text._ZN7rocprim17ROCPRIM_400000_NS6detail44device_merge_sort_compile_time_verifier_archINS1_11comp_targetILNS1_3genE8ELNS1_11target_archE1030ELNS1_3gpuE2ELNS1_3repE0EEES8_NS1_28merge_sort_block_sort_configILj256ELj4ELNS0_20block_sort_algorithmE0EEENS0_14default_configENS1_37merge_sort_block_sort_config_selectorIdlEENS1_38merge_sort_block_merge_config_selectorIdlEEEEvv,"axG",@progbits,_ZN7rocprim17ROCPRIM_400000_NS6detail44device_merge_sort_compile_time_verifier_archINS1_11comp_targetILNS1_3genE8ELNS1_11target_archE1030ELNS1_3gpuE2ELNS1_3repE0EEES8_NS1_28merge_sort_block_sort_configILj256ELj4ELNS0_20block_sort_algorithmE0EEENS0_14default_configENS1_37merge_sort_block_sort_config_selectorIdlEENS1_38merge_sort_block_merge_config_selectorIdlEEEEvv,comdat
	.protected	_ZN7rocprim17ROCPRIM_400000_NS6detail44device_merge_sort_compile_time_verifier_archINS1_11comp_targetILNS1_3genE8ELNS1_11target_archE1030ELNS1_3gpuE2ELNS1_3repE0EEES8_NS1_28merge_sort_block_sort_configILj256ELj4ELNS0_20block_sort_algorithmE0EEENS0_14default_configENS1_37merge_sort_block_sort_config_selectorIdlEENS1_38merge_sort_block_merge_config_selectorIdlEEEEvv ; -- Begin function _ZN7rocprim17ROCPRIM_400000_NS6detail44device_merge_sort_compile_time_verifier_archINS1_11comp_targetILNS1_3genE8ELNS1_11target_archE1030ELNS1_3gpuE2ELNS1_3repE0EEES8_NS1_28merge_sort_block_sort_configILj256ELj4ELNS0_20block_sort_algorithmE0EEENS0_14default_configENS1_37merge_sort_block_sort_config_selectorIdlEENS1_38merge_sort_block_merge_config_selectorIdlEEEEvv
	.globl	_ZN7rocprim17ROCPRIM_400000_NS6detail44device_merge_sort_compile_time_verifier_archINS1_11comp_targetILNS1_3genE8ELNS1_11target_archE1030ELNS1_3gpuE2ELNS1_3repE0EEES8_NS1_28merge_sort_block_sort_configILj256ELj4ELNS0_20block_sort_algorithmE0EEENS0_14default_configENS1_37merge_sort_block_sort_config_selectorIdlEENS1_38merge_sort_block_merge_config_selectorIdlEEEEvv
	.p2align	8
	.type	_ZN7rocprim17ROCPRIM_400000_NS6detail44device_merge_sort_compile_time_verifier_archINS1_11comp_targetILNS1_3genE8ELNS1_11target_archE1030ELNS1_3gpuE2ELNS1_3repE0EEES8_NS1_28merge_sort_block_sort_configILj256ELj4ELNS0_20block_sort_algorithmE0EEENS0_14default_configENS1_37merge_sort_block_sort_config_selectorIdlEENS1_38merge_sort_block_merge_config_selectorIdlEEEEvv,@function
_ZN7rocprim17ROCPRIM_400000_NS6detail44device_merge_sort_compile_time_verifier_archINS1_11comp_targetILNS1_3genE8ELNS1_11target_archE1030ELNS1_3gpuE2ELNS1_3repE0EEES8_NS1_28merge_sort_block_sort_configILj256ELj4ELNS0_20block_sort_algorithmE0EEENS0_14default_configENS1_37merge_sort_block_sort_config_selectorIdlEENS1_38merge_sort_block_merge_config_selectorIdlEEEEvv: ; @_ZN7rocprim17ROCPRIM_400000_NS6detail44device_merge_sort_compile_time_verifier_archINS1_11comp_targetILNS1_3genE8ELNS1_11target_archE1030ELNS1_3gpuE2ELNS1_3repE0EEES8_NS1_28merge_sort_block_sort_configILj256ELj4ELNS0_20block_sort_algorithmE0EEENS0_14default_configENS1_37merge_sort_block_sort_config_selectorIdlEENS1_38merge_sort_block_merge_config_selectorIdlEEEEvv
; %bb.0:
	s_endpgm
	.section	.rodata,"a",@progbits
	.p2align	6, 0x0
	.amdhsa_kernel _ZN7rocprim17ROCPRIM_400000_NS6detail44device_merge_sort_compile_time_verifier_archINS1_11comp_targetILNS1_3genE8ELNS1_11target_archE1030ELNS1_3gpuE2ELNS1_3repE0EEES8_NS1_28merge_sort_block_sort_configILj256ELj4ELNS0_20block_sort_algorithmE0EEENS0_14default_configENS1_37merge_sort_block_sort_config_selectorIdlEENS1_38merge_sort_block_merge_config_selectorIdlEEEEvv
		.amdhsa_group_segment_fixed_size 0
		.amdhsa_private_segment_fixed_size 0
		.amdhsa_kernarg_size 0
		.amdhsa_user_sgpr_count 4
		.amdhsa_user_sgpr_private_segment_buffer 1
		.amdhsa_user_sgpr_dispatch_ptr 0
		.amdhsa_user_sgpr_queue_ptr 0
		.amdhsa_user_sgpr_kernarg_segment_ptr 0
		.amdhsa_user_sgpr_dispatch_id 0
		.amdhsa_user_sgpr_flat_scratch_init 0
		.amdhsa_user_sgpr_private_segment_size 0
		.amdhsa_uses_dynamic_stack 0
		.amdhsa_system_sgpr_private_segment_wavefront_offset 0
		.amdhsa_system_sgpr_workgroup_id_x 1
		.amdhsa_system_sgpr_workgroup_id_y 0
		.amdhsa_system_sgpr_workgroup_id_z 0
		.amdhsa_system_sgpr_workgroup_info 0
		.amdhsa_system_vgpr_workitem_id 0
		.amdhsa_next_free_vgpr 1
		.amdhsa_next_free_sgpr 0
		.amdhsa_reserve_vcc 0
		.amdhsa_reserve_flat_scratch 0
		.amdhsa_float_round_mode_32 0
		.amdhsa_float_round_mode_16_64 0
		.amdhsa_float_denorm_mode_32 3
		.amdhsa_float_denorm_mode_16_64 3
		.amdhsa_dx10_clamp 1
		.amdhsa_ieee_mode 1
		.amdhsa_fp16_overflow 0
		.amdhsa_exception_fp_ieee_invalid_op 0
		.amdhsa_exception_fp_denorm_src 0
		.amdhsa_exception_fp_ieee_div_zero 0
		.amdhsa_exception_fp_ieee_overflow 0
		.amdhsa_exception_fp_ieee_underflow 0
		.amdhsa_exception_fp_ieee_inexact 0
		.amdhsa_exception_int_div_zero 0
	.end_amdhsa_kernel
	.section	.text._ZN7rocprim17ROCPRIM_400000_NS6detail44device_merge_sort_compile_time_verifier_archINS1_11comp_targetILNS1_3genE8ELNS1_11target_archE1030ELNS1_3gpuE2ELNS1_3repE0EEES8_NS1_28merge_sort_block_sort_configILj256ELj4ELNS0_20block_sort_algorithmE0EEENS0_14default_configENS1_37merge_sort_block_sort_config_selectorIdlEENS1_38merge_sort_block_merge_config_selectorIdlEEEEvv,"axG",@progbits,_ZN7rocprim17ROCPRIM_400000_NS6detail44device_merge_sort_compile_time_verifier_archINS1_11comp_targetILNS1_3genE8ELNS1_11target_archE1030ELNS1_3gpuE2ELNS1_3repE0EEES8_NS1_28merge_sort_block_sort_configILj256ELj4ELNS0_20block_sort_algorithmE0EEENS0_14default_configENS1_37merge_sort_block_sort_config_selectorIdlEENS1_38merge_sort_block_merge_config_selectorIdlEEEEvv,comdat
.Lfunc_end1541:
	.size	_ZN7rocprim17ROCPRIM_400000_NS6detail44device_merge_sort_compile_time_verifier_archINS1_11comp_targetILNS1_3genE8ELNS1_11target_archE1030ELNS1_3gpuE2ELNS1_3repE0EEES8_NS1_28merge_sort_block_sort_configILj256ELj4ELNS0_20block_sort_algorithmE0EEENS0_14default_configENS1_37merge_sort_block_sort_config_selectorIdlEENS1_38merge_sort_block_merge_config_selectorIdlEEEEvv, .Lfunc_end1541-_ZN7rocprim17ROCPRIM_400000_NS6detail44device_merge_sort_compile_time_verifier_archINS1_11comp_targetILNS1_3genE8ELNS1_11target_archE1030ELNS1_3gpuE2ELNS1_3repE0EEES8_NS1_28merge_sort_block_sort_configILj256ELj4ELNS0_20block_sort_algorithmE0EEENS0_14default_configENS1_37merge_sort_block_sort_config_selectorIdlEENS1_38merge_sort_block_merge_config_selectorIdlEEEEvv
                                        ; -- End function
	.set _ZN7rocprim17ROCPRIM_400000_NS6detail44device_merge_sort_compile_time_verifier_archINS1_11comp_targetILNS1_3genE8ELNS1_11target_archE1030ELNS1_3gpuE2ELNS1_3repE0EEES8_NS1_28merge_sort_block_sort_configILj256ELj4ELNS0_20block_sort_algorithmE0EEENS0_14default_configENS1_37merge_sort_block_sort_config_selectorIdlEENS1_38merge_sort_block_merge_config_selectorIdlEEEEvv.num_vgpr, 0
	.set _ZN7rocprim17ROCPRIM_400000_NS6detail44device_merge_sort_compile_time_verifier_archINS1_11comp_targetILNS1_3genE8ELNS1_11target_archE1030ELNS1_3gpuE2ELNS1_3repE0EEES8_NS1_28merge_sort_block_sort_configILj256ELj4ELNS0_20block_sort_algorithmE0EEENS0_14default_configENS1_37merge_sort_block_sort_config_selectorIdlEENS1_38merge_sort_block_merge_config_selectorIdlEEEEvv.num_agpr, 0
	.set _ZN7rocprim17ROCPRIM_400000_NS6detail44device_merge_sort_compile_time_verifier_archINS1_11comp_targetILNS1_3genE8ELNS1_11target_archE1030ELNS1_3gpuE2ELNS1_3repE0EEES8_NS1_28merge_sort_block_sort_configILj256ELj4ELNS0_20block_sort_algorithmE0EEENS0_14default_configENS1_37merge_sort_block_sort_config_selectorIdlEENS1_38merge_sort_block_merge_config_selectorIdlEEEEvv.numbered_sgpr, 0
	.set _ZN7rocprim17ROCPRIM_400000_NS6detail44device_merge_sort_compile_time_verifier_archINS1_11comp_targetILNS1_3genE8ELNS1_11target_archE1030ELNS1_3gpuE2ELNS1_3repE0EEES8_NS1_28merge_sort_block_sort_configILj256ELj4ELNS0_20block_sort_algorithmE0EEENS0_14default_configENS1_37merge_sort_block_sort_config_selectorIdlEENS1_38merge_sort_block_merge_config_selectorIdlEEEEvv.num_named_barrier, 0
	.set _ZN7rocprim17ROCPRIM_400000_NS6detail44device_merge_sort_compile_time_verifier_archINS1_11comp_targetILNS1_3genE8ELNS1_11target_archE1030ELNS1_3gpuE2ELNS1_3repE0EEES8_NS1_28merge_sort_block_sort_configILj256ELj4ELNS0_20block_sort_algorithmE0EEENS0_14default_configENS1_37merge_sort_block_sort_config_selectorIdlEENS1_38merge_sort_block_merge_config_selectorIdlEEEEvv.private_seg_size, 0
	.set _ZN7rocprim17ROCPRIM_400000_NS6detail44device_merge_sort_compile_time_verifier_archINS1_11comp_targetILNS1_3genE8ELNS1_11target_archE1030ELNS1_3gpuE2ELNS1_3repE0EEES8_NS1_28merge_sort_block_sort_configILj256ELj4ELNS0_20block_sort_algorithmE0EEENS0_14default_configENS1_37merge_sort_block_sort_config_selectorIdlEENS1_38merge_sort_block_merge_config_selectorIdlEEEEvv.uses_vcc, 0
	.set _ZN7rocprim17ROCPRIM_400000_NS6detail44device_merge_sort_compile_time_verifier_archINS1_11comp_targetILNS1_3genE8ELNS1_11target_archE1030ELNS1_3gpuE2ELNS1_3repE0EEES8_NS1_28merge_sort_block_sort_configILj256ELj4ELNS0_20block_sort_algorithmE0EEENS0_14default_configENS1_37merge_sort_block_sort_config_selectorIdlEENS1_38merge_sort_block_merge_config_selectorIdlEEEEvv.uses_flat_scratch, 0
	.set _ZN7rocprim17ROCPRIM_400000_NS6detail44device_merge_sort_compile_time_verifier_archINS1_11comp_targetILNS1_3genE8ELNS1_11target_archE1030ELNS1_3gpuE2ELNS1_3repE0EEES8_NS1_28merge_sort_block_sort_configILj256ELj4ELNS0_20block_sort_algorithmE0EEENS0_14default_configENS1_37merge_sort_block_sort_config_selectorIdlEENS1_38merge_sort_block_merge_config_selectorIdlEEEEvv.has_dyn_sized_stack, 0
	.set _ZN7rocprim17ROCPRIM_400000_NS6detail44device_merge_sort_compile_time_verifier_archINS1_11comp_targetILNS1_3genE8ELNS1_11target_archE1030ELNS1_3gpuE2ELNS1_3repE0EEES8_NS1_28merge_sort_block_sort_configILj256ELj4ELNS0_20block_sort_algorithmE0EEENS0_14default_configENS1_37merge_sort_block_sort_config_selectorIdlEENS1_38merge_sort_block_merge_config_selectorIdlEEEEvv.has_recursion, 0
	.set _ZN7rocprim17ROCPRIM_400000_NS6detail44device_merge_sort_compile_time_verifier_archINS1_11comp_targetILNS1_3genE8ELNS1_11target_archE1030ELNS1_3gpuE2ELNS1_3repE0EEES8_NS1_28merge_sort_block_sort_configILj256ELj4ELNS0_20block_sort_algorithmE0EEENS0_14default_configENS1_37merge_sort_block_sort_config_selectorIdlEENS1_38merge_sort_block_merge_config_selectorIdlEEEEvv.has_indirect_call, 0
	.section	.AMDGPU.csdata,"",@progbits
; Kernel info:
; codeLenInByte = 4
; TotalNumSgprs: 4
; NumVgprs: 0
; ScratchSize: 0
; MemoryBound: 0
; FloatMode: 240
; IeeeMode: 1
; LDSByteSize: 0 bytes/workgroup (compile time only)
; SGPRBlocks: 0
; VGPRBlocks: 0
; NumSGPRsForWavesPerEU: 4
; NumVGPRsForWavesPerEU: 1
; Occupancy: 10
; WaveLimiterHint : 0
; COMPUTE_PGM_RSRC2:SCRATCH_EN: 0
; COMPUTE_PGM_RSRC2:USER_SGPR: 4
; COMPUTE_PGM_RSRC2:TRAP_HANDLER: 0
; COMPUTE_PGM_RSRC2:TGID_X_EN: 1
; COMPUTE_PGM_RSRC2:TGID_Y_EN: 0
; COMPUTE_PGM_RSRC2:TGID_Z_EN: 0
; COMPUTE_PGM_RSRC2:TIDIG_COMP_CNT: 0
	.section	.text._ZN7rocprim17ROCPRIM_400000_NS6detail17trampoline_kernelINS0_14default_configENS1_38merge_sort_block_merge_config_selectorIdlEEZZNS1_27merge_sort_block_merge_implIS3_PdN6thrust23THRUST_200600_302600_NS10device_ptrIlEEjNS1_19radix_merge_compareILb0ELb0EdNS0_19identity_decomposerEEEEE10hipError_tT0_T1_T2_jT3_P12ihipStream_tbPNSt15iterator_traitsISG_E10value_typeEPNSM_ISH_E10value_typeEPSI_NS1_7vsmem_tEENKUlT_SG_SH_SI_E_clIS7_S7_PlSB_EESF_SV_SG_SH_SI_EUlSV_E_NS1_11comp_targetILNS1_3genE0ELNS1_11target_archE4294967295ELNS1_3gpuE0ELNS1_3repE0EEENS1_48merge_mergepath_partition_config_static_selectorELNS0_4arch9wavefront6targetE1EEEvSH_,"axG",@progbits,_ZN7rocprim17ROCPRIM_400000_NS6detail17trampoline_kernelINS0_14default_configENS1_38merge_sort_block_merge_config_selectorIdlEEZZNS1_27merge_sort_block_merge_implIS3_PdN6thrust23THRUST_200600_302600_NS10device_ptrIlEEjNS1_19radix_merge_compareILb0ELb0EdNS0_19identity_decomposerEEEEE10hipError_tT0_T1_T2_jT3_P12ihipStream_tbPNSt15iterator_traitsISG_E10value_typeEPNSM_ISH_E10value_typeEPSI_NS1_7vsmem_tEENKUlT_SG_SH_SI_E_clIS7_S7_PlSB_EESF_SV_SG_SH_SI_EUlSV_E_NS1_11comp_targetILNS1_3genE0ELNS1_11target_archE4294967295ELNS1_3gpuE0ELNS1_3repE0EEENS1_48merge_mergepath_partition_config_static_selectorELNS0_4arch9wavefront6targetE1EEEvSH_,comdat
	.protected	_ZN7rocprim17ROCPRIM_400000_NS6detail17trampoline_kernelINS0_14default_configENS1_38merge_sort_block_merge_config_selectorIdlEEZZNS1_27merge_sort_block_merge_implIS3_PdN6thrust23THRUST_200600_302600_NS10device_ptrIlEEjNS1_19radix_merge_compareILb0ELb0EdNS0_19identity_decomposerEEEEE10hipError_tT0_T1_T2_jT3_P12ihipStream_tbPNSt15iterator_traitsISG_E10value_typeEPNSM_ISH_E10value_typeEPSI_NS1_7vsmem_tEENKUlT_SG_SH_SI_E_clIS7_S7_PlSB_EESF_SV_SG_SH_SI_EUlSV_E_NS1_11comp_targetILNS1_3genE0ELNS1_11target_archE4294967295ELNS1_3gpuE0ELNS1_3repE0EEENS1_48merge_mergepath_partition_config_static_selectorELNS0_4arch9wavefront6targetE1EEEvSH_ ; -- Begin function _ZN7rocprim17ROCPRIM_400000_NS6detail17trampoline_kernelINS0_14default_configENS1_38merge_sort_block_merge_config_selectorIdlEEZZNS1_27merge_sort_block_merge_implIS3_PdN6thrust23THRUST_200600_302600_NS10device_ptrIlEEjNS1_19radix_merge_compareILb0ELb0EdNS0_19identity_decomposerEEEEE10hipError_tT0_T1_T2_jT3_P12ihipStream_tbPNSt15iterator_traitsISG_E10value_typeEPNSM_ISH_E10value_typeEPSI_NS1_7vsmem_tEENKUlT_SG_SH_SI_E_clIS7_S7_PlSB_EESF_SV_SG_SH_SI_EUlSV_E_NS1_11comp_targetILNS1_3genE0ELNS1_11target_archE4294967295ELNS1_3gpuE0ELNS1_3repE0EEENS1_48merge_mergepath_partition_config_static_selectorELNS0_4arch9wavefront6targetE1EEEvSH_
	.globl	_ZN7rocprim17ROCPRIM_400000_NS6detail17trampoline_kernelINS0_14default_configENS1_38merge_sort_block_merge_config_selectorIdlEEZZNS1_27merge_sort_block_merge_implIS3_PdN6thrust23THRUST_200600_302600_NS10device_ptrIlEEjNS1_19radix_merge_compareILb0ELb0EdNS0_19identity_decomposerEEEEE10hipError_tT0_T1_T2_jT3_P12ihipStream_tbPNSt15iterator_traitsISG_E10value_typeEPNSM_ISH_E10value_typeEPSI_NS1_7vsmem_tEENKUlT_SG_SH_SI_E_clIS7_S7_PlSB_EESF_SV_SG_SH_SI_EUlSV_E_NS1_11comp_targetILNS1_3genE0ELNS1_11target_archE4294967295ELNS1_3gpuE0ELNS1_3repE0EEENS1_48merge_mergepath_partition_config_static_selectorELNS0_4arch9wavefront6targetE1EEEvSH_
	.p2align	8
	.type	_ZN7rocprim17ROCPRIM_400000_NS6detail17trampoline_kernelINS0_14default_configENS1_38merge_sort_block_merge_config_selectorIdlEEZZNS1_27merge_sort_block_merge_implIS3_PdN6thrust23THRUST_200600_302600_NS10device_ptrIlEEjNS1_19radix_merge_compareILb0ELb0EdNS0_19identity_decomposerEEEEE10hipError_tT0_T1_T2_jT3_P12ihipStream_tbPNSt15iterator_traitsISG_E10value_typeEPNSM_ISH_E10value_typeEPSI_NS1_7vsmem_tEENKUlT_SG_SH_SI_E_clIS7_S7_PlSB_EESF_SV_SG_SH_SI_EUlSV_E_NS1_11comp_targetILNS1_3genE0ELNS1_11target_archE4294967295ELNS1_3gpuE0ELNS1_3repE0EEENS1_48merge_mergepath_partition_config_static_selectorELNS0_4arch9wavefront6targetE1EEEvSH_,@function
_ZN7rocprim17ROCPRIM_400000_NS6detail17trampoline_kernelINS0_14default_configENS1_38merge_sort_block_merge_config_selectorIdlEEZZNS1_27merge_sort_block_merge_implIS3_PdN6thrust23THRUST_200600_302600_NS10device_ptrIlEEjNS1_19radix_merge_compareILb0ELb0EdNS0_19identity_decomposerEEEEE10hipError_tT0_T1_T2_jT3_P12ihipStream_tbPNSt15iterator_traitsISG_E10value_typeEPNSM_ISH_E10value_typeEPSI_NS1_7vsmem_tEENKUlT_SG_SH_SI_E_clIS7_S7_PlSB_EESF_SV_SG_SH_SI_EUlSV_E_NS1_11comp_targetILNS1_3genE0ELNS1_11target_archE4294967295ELNS1_3gpuE0ELNS1_3repE0EEENS1_48merge_mergepath_partition_config_static_selectorELNS0_4arch9wavefront6targetE1EEEvSH_: ; @_ZN7rocprim17ROCPRIM_400000_NS6detail17trampoline_kernelINS0_14default_configENS1_38merge_sort_block_merge_config_selectorIdlEEZZNS1_27merge_sort_block_merge_implIS3_PdN6thrust23THRUST_200600_302600_NS10device_ptrIlEEjNS1_19radix_merge_compareILb0ELb0EdNS0_19identity_decomposerEEEEE10hipError_tT0_T1_T2_jT3_P12ihipStream_tbPNSt15iterator_traitsISG_E10value_typeEPNSM_ISH_E10value_typeEPSI_NS1_7vsmem_tEENKUlT_SG_SH_SI_E_clIS7_S7_PlSB_EESF_SV_SG_SH_SI_EUlSV_E_NS1_11comp_targetILNS1_3genE0ELNS1_11target_archE4294967295ELNS1_3gpuE0ELNS1_3repE0EEENS1_48merge_mergepath_partition_config_static_selectorELNS0_4arch9wavefront6targetE1EEEvSH_
; %bb.0:
	.section	.rodata,"a",@progbits
	.p2align	6, 0x0
	.amdhsa_kernel _ZN7rocprim17ROCPRIM_400000_NS6detail17trampoline_kernelINS0_14default_configENS1_38merge_sort_block_merge_config_selectorIdlEEZZNS1_27merge_sort_block_merge_implIS3_PdN6thrust23THRUST_200600_302600_NS10device_ptrIlEEjNS1_19radix_merge_compareILb0ELb0EdNS0_19identity_decomposerEEEEE10hipError_tT0_T1_T2_jT3_P12ihipStream_tbPNSt15iterator_traitsISG_E10value_typeEPNSM_ISH_E10value_typeEPSI_NS1_7vsmem_tEENKUlT_SG_SH_SI_E_clIS7_S7_PlSB_EESF_SV_SG_SH_SI_EUlSV_E_NS1_11comp_targetILNS1_3genE0ELNS1_11target_archE4294967295ELNS1_3gpuE0ELNS1_3repE0EEENS1_48merge_mergepath_partition_config_static_selectorELNS0_4arch9wavefront6targetE1EEEvSH_
		.amdhsa_group_segment_fixed_size 0
		.amdhsa_private_segment_fixed_size 0
		.amdhsa_kernarg_size 40
		.amdhsa_user_sgpr_count 6
		.amdhsa_user_sgpr_private_segment_buffer 1
		.amdhsa_user_sgpr_dispatch_ptr 0
		.amdhsa_user_sgpr_queue_ptr 0
		.amdhsa_user_sgpr_kernarg_segment_ptr 1
		.amdhsa_user_sgpr_dispatch_id 0
		.amdhsa_user_sgpr_flat_scratch_init 0
		.amdhsa_user_sgpr_private_segment_size 0
		.amdhsa_uses_dynamic_stack 0
		.amdhsa_system_sgpr_private_segment_wavefront_offset 0
		.amdhsa_system_sgpr_workgroup_id_x 1
		.amdhsa_system_sgpr_workgroup_id_y 0
		.amdhsa_system_sgpr_workgroup_id_z 0
		.amdhsa_system_sgpr_workgroup_info 0
		.amdhsa_system_vgpr_workitem_id 0
		.amdhsa_next_free_vgpr 1
		.amdhsa_next_free_sgpr 0
		.amdhsa_reserve_vcc 0
		.amdhsa_reserve_flat_scratch 0
		.amdhsa_float_round_mode_32 0
		.amdhsa_float_round_mode_16_64 0
		.amdhsa_float_denorm_mode_32 3
		.amdhsa_float_denorm_mode_16_64 3
		.amdhsa_dx10_clamp 1
		.amdhsa_ieee_mode 1
		.amdhsa_fp16_overflow 0
		.amdhsa_exception_fp_ieee_invalid_op 0
		.amdhsa_exception_fp_denorm_src 0
		.amdhsa_exception_fp_ieee_div_zero 0
		.amdhsa_exception_fp_ieee_overflow 0
		.amdhsa_exception_fp_ieee_underflow 0
		.amdhsa_exception_fp_ieee_inexact 0
		.amdhsa_exception_int_div_zero 0
	.end_amdhsa_kernel
	.section	.text._ZN7rocprim17ROCPRIM_400000_NS6detail17trampoline_kernelINS0_14default_configENS1_38merge_sort_block_merge_config_selectorIdlEEZZNS1_27merge_sort_block_merge_implIS3_PdN6thrust23THRUST_200600_302600_NS10device_ptrIlEEjNS1_19radix_merge_compareILb0ELb0EdNS0_19identity_decomposerEEEEE10hipError_tT0_T1_T2_jT3_P12ihipStream_tbPNSt15iterator_traitsISG_E10value_typeEPNSM_ISH_E10value_typeEPSI_NS1_7vsmem_tEENKUlT_SG_SH_SI_E_clIS7_S7_PlSB_EESF_SV_SG_SH_SI_EUlSV_E_NS1_11comp_targetILNS1_3genE0ELNS1_11target_archE4294967295ELNS1_3gpuE0ELNS1_3repE0EEENS1_48merge_mergepath_partition_config_static_selectorELNS0_4arch9wavefront6targetE1EEEvSH_,"axG",@progbits,_ZN7rocprim17ROCPRIM_400000_NS6detail17trampoline_kernelINS0_14default_configENS1_38merge_sort_block_merge_config_selectorIdlEEZZNS1_27merge_sort_block_merge_implIS3_PdN6thrust23THRUST_200600_302600_NS10device_ptrIlEEjNS1_19radix_merge_compareILb0ELb0EdNS0_19identity_decomposerEEEEE10hipError_tT0_T1_T2_jT3_P12ihipStream_tbPNSt15iterator_traitsISG_E10value_typeEPNSM_ISH_E10value_typeEPSI_NS1_7vsmem_tEENKUlT_SG_SH_SI_E_clIS7_S7_PlSB_EESF_SV_SG_SH_SI_EUlSV_E_NS1_11comp_targetILNS1_3genE0ELNS1_11target_archE4294967295ELNS1_3gpuE0ELNS1_3repE0EEENS1_48merge_mergepath_partition_config_static_selectorELNS0_4arch9wavefront6targetE1EEEvSH_,comdat
.Lfunc_end1542:
	.size	_ZN7rocprim17ROCPRIM_400000_NS6detail17trampoline_kernelINS0_14default_configENS1_38merge_sort_block_merge_config_selectorIdlEEZZNS1_27merge_sort_block_merge_implIS3_PdN6thrust23THRUST_200600_302600_NS10device_ptrIlEEjNS1_19radix_merge_compareILb0ELb0EdNS0_19identity_decomposerEEEEE10hipError_tT0_T1_T2_jT3_P12ihipStream_tbPNSt15iterator_traitsISG_E10value_typeEPNSM_ISH_E10value_typeEPSI_NS1_7vsmem_tEENKUlT_SG_SH_SI_E_clIS7_S7_PlSB_EESF_SV_SG_SH_SI_EUlSV_E_NS1_11comp_targetILNS1_3genE0ELNS1_11target_archE4294967295ELNS1_3gpuE0ELNS1_3repE0EEENS1_48merge_mergepath_partition_config_static_selectorELNS0_4arch9wavefront6targetE1EEEvSH_, .Lfunc_end1542-_ZN7rocprim17ROCPRIM_400000_NS6detail17trampoline_kernelINS0_14default_configENS1_38merge_sort_block_merge_config_selectorIdlEEZZNS1_27merge_sort_block_merge_implIS3_PdN6thrust23THRUST_200600_302600_NS10device_ptrIlEEjNS1_19radix_merge_compareILb0ELb0EdNS0_19identity_decomposerEEEEE10hipError_tT0_T1_T2_jT3_P12ihipStream_tbPNSt15iterator_traitsISG_E10value_typeEPNSM_ISH_E10value_typeEPSI_NS1_7vsmem_tEENKUlT_SG_SH_SI_E_clIS7_S7_PlSB_EESF_SV_SG_SH_SI_EUlSV_E_NS1_11comp_targetILNS1_3genE0ELNS1_11target_archE4294967295ELNS1_3gpuE0ELNS1_3repE0EEENS1_48merge_mergepath_partition_config_static_selectorELNS0_4arch9wavefront6targetE1EEEvSH_
                                        ; -- End function
	.set _ZN7rocprim17ROCPRIM_400000_NS6detail17trampoline_kernelINS0_14default_configENS1_38merge_sort_block_merge_config_selectorIdlEEZZNS1_27merge_sort_block_merge_implIS3_PdN6thrust23THRUST_200600_302600_NS10device_ptrIlEEjNS1_19radix_merge_compareILb0ELb0EdNS0_19identity_decomposerEEEEE10hipError_tT0_T1_T2_jT3_P12ihipStream_tbPNSt15iterator_traitsISG_E10value_typeEPNSM_ISH_E10value_typeEPSI_NS1_7vsmem_tEENKUlT_SG_SH_SI_E_clIS7_S7_PlSB_EESF_SV_SG_SH_SI_EUlSV_E_NS1_11comp_targetILNS1_3genE0ELNS1_11target_archE4294967295ELNS1_3gpuE0ELNS1_3repE0EEENS1_48merge_mergepath_partition_config_static_selectorELNS0_4arch9wavefront6targetE1EEEvSH_.num_vgpr, 0
	.set _ZN7rocprim17ROCPRIM_400000_NS6detail17trampoline_kernelINS0_14default_configENS1_38merge_sort_block_merge_config_selectorIdlEEZZNS1_27merge_sort_block_merge_implIS3_PdN6thrust23THRUST_200600_302600_NS10device_ptrIlEEjNS1_19radix_merge_compareILb0ELb0EdNS0_19identity_decomposerEEEEE10hipError_tT0_T1_T2_jT3_P12ihipStream_tbPNSt15iterator_traitsISG_E10value_typeEPNSM_ISH_E10value_typeEPSI_NS1_7vsmem_tEENKUlT_SG_SH_SI_E_clIS7_S7_PlSB_EESF_SV_SG_SH_SI_EUlSV_E_NS1_11comp_targetILNS1_3genE0ELNS1_11target_archE4294967295ELNS1_3gpuE0ELNS1_3repE0EEENS1_48merge_mergepath_partition_config_static_selectorELNS0_4arch9wavefront6targetE1EEEvSH_.num_agpr, 0
	.set _ZN7rocprim17ROCPRIM_400000_NS6detail17trampoline_kernelINS0_14default_configENS1_38merge_sort_block_merge_config_selectorIdlEEZZNS1_27merge_sort_block_merge_implIS3_PdN6thrust23THRUST_200600_302600_NS10device_ptrIlEEjNS1_19radix_merge_compareILb0ELb0EdNS0_19identity_decomposerEEEEE10hipError_tT0_T1_T2_jT3_P12ihipStream_tbPNSt15iterator_traitsISG_E10value_typeEPNSM_ISH_E10value_typeEPSI_NS1_7vsmem_tEENKUlT_SG_SH_SI_E_clIS7_S7_PlSB_EESF_SV_SG_SH_SI_EUlSV_E_NS1_11comp_targetILNS1_3genE0ELNS1_11target_archE4294967295ELNS1_3gpuE0ELNS1_3repE0EEENS1_48merge_mergepath_partition_config_static_selectorELNS0_4arch9wavefront6targetE1EEEvSH_.numbered_sgpr, 0
	.set _ZN7rocprim17ROCPRIM_400000_NS6detail17trampoline_kernelINS0_14default_configENS1_38merge_sort_block_merge_config_selectorIdlEEZZNS1_27merge_sort_block_merge_implIS3_PdN6thrust23THRUST_200600_302600_NS10device_ptrIlEEjNS1_19radix_merge_compareILb0ELb0EdNS0_19identity_decomposerEEEEE10hipError_tT0_T1_T2_jT3_P12ihipStream_tbPNSt15iterator_traitsISG_E10value_typeEPNSM_ISH_E10value_typeEPSI_NS1_7vsmem_tEENKUlT_SG_SH_SI_E_clIS7_S7_PlSB_EESF_SV_SG_SH_SI_EUlSV_E_NS1_11comp_targetILNS1_3genE0ELNS1_11target_archE4294967295ELNS1_3gpuE0ELNS1_3repE0EEENS1_48merge_mergepath_partition_config_static_selectorELNS0_4arch9wavefront6targetE1EEEvSH_.num_named_barrier, 0
	.set _ZN7rocprim17ROCPRIM_400000_NS6detail17trampoline_kernelINS0_14default_configENS1_38merge_sort_block_merge_config_selectorIdlEEZZNS1_27merge_sort_block_merge_implIS3_PdN6thrust23THRUST_200600_302600_NS10device_ptrIlEEjNS1_19radix_merge_compareILb0ELb0EdNS0_19identity_decomposerEEEEE10hipError_tT0_T1_T2_jT3_P12ihipStream_tbPNSt15iterator_traitsISG_E10value_typeEPNSM_ISH_E10value_typeEPSI_NS1_7vsmem_tEENKUlT_SG_SH_SI_E_clIS7_S7_PlSB_EESF_SV_SG_SH_SI_EUlSV_E_NS1_11comp_targetILNS1_3genE0ELNS1_11target_archE4294967295ELNS1_3gpuE0ELNS1_3repE0EEENS1_48merge_mergepath_partition_config_static_selectorELNS0_4arch9wavefront6targetE1EEEvSH_.private_seg_size, 0
	.set _ZN7rocprim17ROCPRIM_400000_NS6detail17trampoline_kernelINS0_14default_configENS1_38merge_sort_block_merge_config_selectorIdlEEZZNS1_27merge_sort_block_merge_implIS3_PdN6thrust23THRUST_200600_302600_NS10device_ptrIlEEjNS1_19radix_merge_compareILb0ELb0EdNS0_19identity_decomposerEEEEE10hipError_tT0_T1_T2_jT3_P12ihipStream_tbPNSt15iterator_traitsISG_E10value_typeEPNSM_ISH_E10value_typeEPSI_NS1_7vsmem_tEENKUlT_SG_SH_SI_E_clIS7_S7_PlSB_EESF_SV_SG_SH_SI_EUlSV_E_NS1_11comp_targetILNS1_3genE0ELNS1_11target_archE4294967295ELNS1_3gpuE0ELNS1_3repE0EEENS1_48merge_mergepath_partition_config_static_selectorELNS0_4arch9wavefront6targetE1EEEvSH_.uses_vcc, 0
	.set _ZN7rocprim17ROCPRIM_400000_NS6detail17trampoline_kernelINS0_14default_configENS1_38merge_sort_block_merge_config_selectorIdlEEZZNS1_27merge_sort_block_merge_implIS3_PdN6thrust23THRUST_200600_302600_NS10device_ptrIlEEjNS1_19radix_merge_compareILb0ELb0EdNS0_19identity_decomposerEEEEE10hipError_tT0_T1_T2_jT3_P12ihipStream_tbPNSt15iterator_traitsISG_E10value_typeEPNSM_ISH_E10value_typeEPSI_NS1_7vsmem_tEENKUlT_SG_SH_SI_E_clIS7_S7_PlSB_EESF_SV_SG_SH_SI_EUlSV_E_NS1_11comp_targetILNS1_3genE0ELNS1_11target_archE4294967295ELNS1_3gpuE0ELNS1_3repE0EEENS1_48merge_mergepath_partition_config_static_selectorELNS0_4arch9wavefront6targetE1EEEvSH_.uses_flat_scratch, 0
	.set _ZN7rocprim17ROCPRIM_400000_NS6detail17trampoline_kernelINS0_14default_configENS1_38merge_sort_block_merge_config_selectorIdlEEZZNS1_27merge_sort_block_merge_implIS3_PdN6thrust23THRUST_200600_302600_NS10device_ptrIlEEjNS1_19radix_merge_compareILb0ELb0EdNS0_19identity_decomposerEEEEE10hipError_tT0_T1_T2_jT3_P12ihipStream_tbPNSt15iterator_traitsISG_E10value_typeEPNSM_ISH_E10value_typeEPSI_NS1_7vsmem_tEENKUlT_SG_SH_SI_E_clIS7_S7_PlSB_EESF_SV_SG_SH_SI_EUlSV_E_NS1_11comp_targetILNS1_3genE0ELNS1_11target_archE4294967295ELNS1_3gpuE0ELNS1_3repE0EEENS1_48merge_mergepath_partition_config_static_selectorELNS0_4arch9wavefront6targetE1EEEvSH_.has_dyn_sized_stack, 0
	.set _ZN7rocprim17ROCPRIM_400000_NS6detail17trampoline_kernelINS0_14default_configENS1_38merge_sort_block_merge_config_selectorIdlEEZZNS1_27merge_sort_block_merge_implIS3_PdN6thrust23THRUST_200600_302600_NS10device_ptrIlEEjNS1_19radix_merge_compareILb0ELb0EdNS0_19identity_decomposerEEEEE10hipError_tT0_T1_T2_jT3_P12ihipStream_tbPNSt15iterator_traitsISG_E10value_typeEPNSM_ISH_E10value_typeEPSI_NS1_7vsmem_tEENKUlT_SG_SH_SI_E_clIS7_S7_PlSB_EESF_SV_SG_SH_SI_EUlSV_E_NS1_11comp_targetILNS1_3genE0ELNS1_11target_archE4294967295ELNS1_3gpuE0ELNS1_3repE0EEENS1_48merge_mergepath_partition_config_static_selectorELNS0_4arch9wavefront6targetE1EEEvSH_.has_recursion, 0
	.set _ZN7rocprim17ROCPRIM_400000_NS6detail17trampoline_kernelINS0_14default_configENS1_38merge_sort_block_merge_config_selectorIdlEEZZNS1_27merge_sort_block_merge_implIS3_PdN6thrust23THRUST_200600_302600_NS10device_ptrIlEEjNS1_19radix_merge_compareILb0ELb0EdNS0_19identity_decomposerEEEEE10hipError_tT0_T1_T2_jT3_P12ihipStream_tbPNSt15iterator_traitsISG_E10value_typeEPNSM_ISH_E10value_typeEPSI_NS1_7vsmem_tEENKUlT_SG_SH_SI_E_clIS7_S7_PlSB_EESF_SV_SG_SH_SI_EUlSV_E_NS1_11comp_targetILNS1_3genE0ELNS1_11target_archE4294967295ELNS1_3gpuE0ELNS1_3repE0EEENS1_48merge_mergepath_partition_config_static_selectorELNS0_4arch9wavefront6targetE1EEEvSH_.has_indirect_call, 0
	.section	.AMDGPU.csdata,"",@progbits
; Kernel info:
; codeLenInByte = 0
; TotalNumSgprs: 4
; NumVgprs: 0
; ScratchSize: 0
; MemoryBound: 0
; FloatMode: 240
; IeeeMode: 1
; LDSByteSize: 0 bytes/workgroup (compile time only)
; SGPRBlocks: 0
; VGPRBlocks: 0
; NumSGPRsForWavesPerEU: 4
; NumVGPRsForWavesPerEU: 1
; Occupancy: 10
; WaveLimiterHint : 0
; COMPUTE_PGM_RSRC2:SCRATCH_EN: 0
; COMPUTE_PGM_RSRC2:USER_SGPR: 6
; COMPUTE_PGM_RSRC2:TRAP_HANDLER: 0
; COMPUTE_PGM_RSRC2:TGID_X_EN: 1
; COMPUTE_PGM_RSRC2:TGID_Y_EN: 0
; COMPUTE_PGM_RSRC2:TGID_Z_EN: 0
; COMPUTE_PGM_RSRC2:TIDIG_COMP_CNT: 0
	.section	.text._ZN7rocprim17ROCPRIM_400000_NS6detail17trampoline_kernelINS0_14default_configENS1_38merge_sort_block_merge_config_selectorIdlEEZZNS1_27merge_sort_block_merge_implIS3_PdN6thrust23THRUST_200600_302600_NS10device_ptrIlEEjNS1_19radix_merge_compareILb0ELb0EdNS0_19identity_decomposerEEEEE10hipError_tT0_T1_T2_jT3_P12ihipStream_tbPNSt15iterator_traitsISG_E10value_typeEPNSM_ISH_E10value_typeEPSI_NS1_7vsmem_tEENKUlT_SG_SH_SI_E_clIS7_S7_PlSB_EESF_SV_SG_SH_SI_EUlSV_E_NS1_11comp_targetILNS1_3genE10ELNS1_11target_archE1201ELNS1_3gpuE5ELNS1_3repE0EEENS1_48merge_mergepath_partition_config_static_selectorELNS0_4arch9wavefront6targetE1EEEvSH_,"axG",@progbits,_ZN7rocprim17ROCPRIM_400000_NS6detail17trampoline_kernelINS0_14default_configENS1_38merge_sort_block_merge_config_selectorIdlEEZZNS1_27merge_sort_block_merge_implIS3_PdN6thrust23THRUST_200600_302600_NS10device_ptrIlEEjNS1_19radix_merge_compareILb0ELb0EdNS0_19identity_decomposerEEEEE10hipError_tT0_T1_T2_jT3_P12ihipStream_tbPNSt15iterator_traitsISG_E10value_typeEPNSM_ISH_E10value_typeEPSI_NS1_7vsmem_tEENKUlT_SG_SH_SI_E_clIS7_S7_PlSB_EESF_SV_SG_SH_SI_EUlSV_E_NS1_11comp_targetILNS1_3genE10ELNS1_11target_archE1201ELNS1_3gpuE5ELNS1_3repE0EEENS1_48merge_mergepath_partition_config_static_selectorELNS0_4arch9wavefront6targetE1EEEvSH_,comdat
	.protected	_ZN7rocprim17ROCPRIM_400000_NS6detail17trampoline_kernelINS0_14default_configENS1_38merge_sort_block_merge_config_selectorIdlEEZZNS1_27merge_sort_block_merge_implIS3_PdN6thrust23THRUST_200600_302600_NS10device_ptrIlEEjNS1_19radix_merge_compareILb0ELb0EdNS0_19identity_decomposerEEEEE10hipError_tT0_T1_T2_jT3_P12ihipStream_tbPNSt15iterator_traitsISG_E10value_typeEPNSM_ISH_E10value_typeEPSI_NS1_7vsmem_tEENKUlT_SG_SH_SI_E_clIS7_S7_PlSB_EESF_SV_SG_SH_SI_EUlSV_E_NS1_11comp_targetILNS1_3genE10ELNS1_11target_archE1201ELNS1_3gpuE5ELNS1_3repE0EEENS1_48merge_mergepath_partition_config_static_selectorELNS0_4arch9wavefront6targetE1EEEvSH_ ; -- Begin function _ZN7rocprim17ROCPRIM_400000_NS6detail17trampoline_kernelINS0_14default_configENS1_38merge_sort_block_merge_config_selectorIdlEEZZNS1_27merge_sort_block_merge_implIS3_PdN6thrust23THRUST_200600_302600_NS10device_ptrIlEEjNS1_19radix_merge_compareILb0ELb0EdNS0_19identity_decomposerEEEEE10hipError_tT0_T1_T2_jT3_P12ihipStream_tbPNSt15iterator_traitsISG_E10value_typeEPNSM_ISH_E10value_typeEPSI_NS1_7vsmem_tEENKUlT_SG_SH_SI_E_clIS7_S7_PlSB_EESF_SV_SG_SH_SI_EUlSV_E_NS1_11comp_targetILNS1_3genE10ELNS1_11target_archE1201ELNS1_3gpuE5ELNS1_3repE0EEENS1_48merge_mergepath_partition_config_static_selectorELNS0_4arch9wavefront6targetE1EEEvSH_
	.globl	_ZN7rocprim17ROCPRIM_400000_NS6detail17trampoline_kernelINS0_14default_configENS1_38merge_sort_block_merge_config_selectorIdlEEZZNS1_27merge_sort_block_merge_implIS3_PdN6thrust23THRUST_200600_302600_NS10device_ptrIlEEjNS1_19radix_merge_compareILb0ELb0EdNS0_19identity_decomposerEEEEE10hipError_tT0_T1_T2_jT3_P12ihipStream_tbPNSt15iterator_traitsISG_E10value_typeEPNSM_ISH_E10value_typeEPSI_NS1_7vsmem_tEENKUlT_SG_SH_SI_E_clIS7_S7_PlSB_EESF_SV_SG_SH_SI_EUlSV_E_NS1_11comp_targetILNS1_3genE10ELNS1_11target_archE1201ELNS1_3gpuE5ELNS1_3repE0EEENS1_48merge_mergepath_partition_config_static_selectorELNS0_4arch9wavefront6targetE1EEEvSH_
	.p2align	8
	.type	_ZN7rocprim17ROCPRIM_400000_NS6detail17trampoline_kernelINS0_14default_configENS1_38merge_sort_block_merge_config_selectorIdlEEZZNS1_27merge_sort_block_merge_implIS3_PdN6thrust23THRUST_200600_302600_NS10device_ptrIlEEjNS1_19radix_merge_compareILb0ELb0EdNS0_19identity_decomposerEEEEE10hipError_tT0_T1_T2_jT3_P12ihipStream_tbPNSt15iterator_traitsISG_E10value_typeEPNSM_ISH_E10value_typeEPSI_NS1_7vsmem_tEENKUlT_SG_SH_SI_E_clIS7_S7_PlSB_EESF_SV_SG_SH_SI_EUlSV_E_NS1_11comp_targetILNS1_3genE10ELNS1_11target_archE1201ELNS1_3gpuE5ELNS1_3repE0EEENS1_48merge_mergepath_partition_config_static_selectorELNS0_4arch9wavefront6targetE1EEEvSH_,@function
_ZN7rocprim17ROCPRIM_400000_NS6detail17trampoline_kernelINS0_14default_configENS1_38merge_sort_block_merge_config_selectorIdlEEZZNS1_27merge_sort_block_merge_implIS3_PdN6thrust23THRUST_200600_302600_NS10device_ptrIlEEjNS1_19radix_merge_compareILb0ELb0EdNS0_19identity_decomposerEEEEE10hipError_tT0_T1_T2_jT3_P12ihipStream_tbPNSt15iterator_traitsISG_E10value_typeEPNSM_ISH_E10value_typeEPSI_NS1_7vsmem_tEENKUlT_SG_SH_SI_E_clIS7_S7_PlSB_EESF_SV_SG_SH_SI_EUlSV_E_NS1_11comp_targetILNS1_3genE10ELNS1_11target_archE1201ELNS1_3gpuE5ELNS1_3repE0EEENS1_48merge_mergepath_partition_config_static_selectorELNS0_4arch9wavefront6targetE1EEEvSH_: ; @_ZN7rocprim17ROCPRIM_400000_NS6detail17trampoline_kernelINS0_14default_configENS1_38merge_sort_block_merge_config_selectorIdlEEZZNS1_27merge_sort_block_merge_implIS3_PdN6thrust23THRUST_200600_302600_NS10device_ptrIlEEjNS1_19radix_merge_compareILb0ELb0EdNS0_19identity_decomposerEEEEE10hipError_tT0_T1_T2_jT3_P12ihipStream_tbPNSt15iterator_traitsISG_E10value_typeEPNSM_ISH_E10value_typeEPSI_NS1_7vsmem_tEENKUlT_SG_SH_SI_E_clIS7_S7_PlSB_EESF_SV_SG_SH_SI_EUlSV_E_NS1_11comp_targetILNS1_3genE10ELNS1_11target_archE1201ELNS1_3gpuE5ELNS1_3repE0EEENS1_48merge_mergepath_partition_config_static_selectorELNS0_4arch9wavefront6targetE1EEEvSH_
; %bb.0:
	.section	.rodata,"a",@progbits
	.p2align	6, 0x0
	.amdhsa_kernel _ZN7rocprim17ROCPRIM_400000_NS6detail17trampoline_kernelINS0_14default_configENS1_38merge_sort_block_merge_config_selectorIdlEEZZNS1_27merge_sort_block_merge_implIS3_PdN6thrust23THRUST_200600_302600_NS10device_ptrIlEEjNS1_19radix_merge_compareILb0ELb0EdNS0_19identity_decomposerEEEEE10hipError_tT0_T1_T2_jT3_P12ihipStream_tbPNSt15iterator_traitsISG_E10value_typeEPNSM_ISH_E10value_typeEPSI_NS1_7vsmem_tEENKUlT_SG_SH_SI_E_clIS7_S7_PlSB_EESF_SV_SG_SH_SI_EUlSV_E_NS1_11comp_targetILNS1_3genE10ELNS1_11target_archE1201ELNS1_3gpuE5ELNS1_3repE0EEENS1_48merge_mergepath_partition_config_static_selectorELNS0_4arch9wavefront6targetE1EEEvSH_
		.amdhsa_group_segment_fixed_size 0
		.amdhsa_private_segment_fixed_size 0
		.amdhsa_kernarg_size 40
		.amdhsa_user_sgpr_count 6
		.amdhsa_user_sgpr_private_segment_buffer 1
		.amdhsa_user_sgpr_dispatch_ptr 0
		.amdhsa_user_sgpr_queue_ptr 0
		.amdhsa_user_sgpr_kernarg_segment_ptr 1
		.amdhsa_user_sgpr_dispatch_id 0
		.amdhsa_user_sgpr_flat_scratch_init 0
		.amdhsa_user_sgpr_private_segment_size 0
		.amdhsa_uses_dynamic_stack 0
		.amdhsa_system_sgpr_private_segment_wavefront_offset 0
		.amdhsa_system_sgpr_workgroup_id_x 1
		.amdhsa_system_sgpr_workgroup_id_y 0
		.amdhsa_system_sgpr_workgroup_id_z 0
		.amdhsa_system_sgpr_workgroup_info 0
		.amdhsa_system_vgpr_workitem_id 0
		.amdhsa_next_free_vgpr 1
		.amdhsa_next_free_sgpr 0
		.amdhsa_reserve_vcc 0
		.amdhsa_reserve_flat_scratch 0
		.amdhsa_float_round_mode_32 0
		.amdhsa_float_round_mode_16_64 0
		.amdhsa_float_denorm_mode_32 3
		.amdhsa_float_denorm_mode_16_64 3
		.amdhsa_dx10_clamp 1
		.amdhsa_ieee_mode 1
		.amdhsa_fp16_overflow 0
		.amdhsa_exception_fp_ieee_invalid_op 0
		.amdhsa_exception_fp_denorm_src 0
		.amdhsa_exception_fp_ieee_div_zero 0
		.amdhsa_exception_fp_ieee_overflow 0
		.amdhsa_exception_fp_ieee_underflow 0
		.amdhsa_exception_fp_ieee_inexact 0
		.amdhsa_exception_int_div_zero 0
	.end_amdhsa_kernel
	.section	.text._ZN7rocprim17ROCPRIM_400000_NS6detail17trampoline_kernelINS0_14default_configENS1_38merge_sort_block_merge_config_selectorIdlEEZZNS1_27merge_sort_block_merge_implIS3_PdN6thrust23THRUST_200600_302600_NS10device_ptrIlEEjNS1_19radix_merge_compareILb0ELb0EdNS0_19identity_decomposerEEEEE10hipError_tT0_T1_T2_jT3_P12ihipStream_tbPNSt15iterator_traitsISG_E10value_typeEPNSM_ISH_E10value_typeEPSI_NS1_7vsmem_tEENKUlT_SG_SH_SI_E_clIS7_S7_PlSB_EESF_SV_SG_SH_SI_EUlSV_E_NS1_11comp_targetILNS1_3genE10ELNS1_11target_archE1201ELNS1_3gpuE5ELNS1_3repE0EEENS1_48merge_mergepath_partition_config_static_selectorELNS0_4arch9wavefront6targetE1EEEvSH_,"axG",@progbits,_ZN7rocprim17ROCPRIM_400000_NS6detail17trampoline_kernelINS0_14default_configENS1_38merge_sort_block_merge_config_selectorIdlEEZZNS1_27merge_sort_block_merge_implIS3_PdN6thrust23THRUST_200600_302600_NS10device_ptrIlEEjNS1_19radix_merge_compareILb0ELb0EdNS0_19identity_decomposerEEEEE10hipError_tT0_T1_T2_jT3_P12ihipStream_tbPNSt15iterator_traitsISG_E10value_typeEPNSM_ISH_E10value_typeEPSI_NS1_7vsmem_tEENKUlT_SG_SH_SI_E_clIS7_S7_PlSB_EESF_SV_SG_SH_SI_EUlSV_E_NS1_11comp_targetILNS1_3genE10ELNS1_11target_archE1201ELNS1_3gpuE5ELNS1_3repE0EEENS1_48merge_mergepath_partition_config_static_selectorELNS0_4arch9wavefront6targetE1EEEvSH_,comdat
.Lfunc_end1543:
	.size	_ZN7rocprim17ROCPRIM_400000_NS6detail17trampoline_kernelINS0_14default_configENS1_38merge_sort_block_merge_config_selectorIdlEEZZNS1_27merge_sort_block_merge_implIS3_PdN6thrust23THRUST_200600_302600_NS10device_ptrIlEEjNS1_19radix_merge_compareILb0ELb0EdNS0_19identity_decomposerEEEEE10hipError_tT0_T1_T2_jT3_P12ihipStream_tbPNSt15iterator_traitsISG_E10value_typeEPNSM_ISH_E10value_typeEPSI_NS1_7vsmem_tEENKUlT_SG_SH_SI_E_clIS7_S7_PlSB_EESF_SV_SG_SH_SI_EUlSV_E_NS1_11comp_targetILNS1_3genE10ELNS1_11target_archE1201ELNS1_3gpuE5ELNS1_3repE0EEENS1_48merge_mergepath_partition_config_static_selectorELNS0_4arch9wavefront6targetE1EEEvSH_, .Lfunc_end1543-_ZN7rocprim17ROCPRIM_400000_NS6detail17trampoline_kernelINS0_14default_configENS1_38merge_sort_block_merge_config_selectorIdlEEZZNS1_27merge_sort_block_merge_implIS3_PdN6thrust23THRUST_200600_302600_NS10device_ptrIlEEjNS1_19radix_merge_compareILb0ELb0EdNS0_19identity_decomposerEEEEE10hipError_tT0_T1_T2_jT3_P12ihipStream_tbPNSt15iterator_traitsISG_E10value_typeEPNSM_ISH_E10value_typeEPSI_NS1_7vsmem_tEENKUlT_SG_SH_SI_E_clIS7_S7_PlSB_EESF_SV_SG_SH_SI_EUlSV_E_NS1_11comp_targetILNS1_3genE10ELNS1_11target_archE1201ELNS1_3gpuE5ELNS1_3repE0EEENS1_48merge_mergepath_partition_config_static_selectorELNS0_4arch9wavefront6targetE1EEEvSH_
                                        ; -- End function
	.set _ZN7rocprim17ROCPRIM_400000_NS6detail17trampoline_kernelINS0_14default_configENS1_38merge_sort_block_merge_config_selectorIdlEEZZNS1_27merge_sort_block_merge_implIS3_PdN6thrust23THRUST_200600_302600_NS10device_ptrIlEEjNS1_19radix_merge_compareILb0ELb0EdNS0_19identity_decomposerEEEEE10hipError_tT0_T1_T2_jT3_P12ihipStream_tbPNSt15iterator_traitsISG_E10value_typeEPNSM_ISH_E10value_typeEPSI_NS1_7vsmem_tEENKUlT_SG_SH_SI_E_clIS7_S7_PlSB_EESF_SV_SG_SH_SI_EUlSV_E_NS1_11comp_targetILNS1_3genE10ELNS1_11target_archE1201ELNS1_3gpuE5ELNS1_3repE0EEENS1_48merge_mergepath_partition_config_static_selectorELNS0_4arch9wavefront6targetE1EEEvSH_.num_vgpr, 0
	.set _ZN7rocprim17ROCPRIM_400000_NS6detail17trampoline_kernelINS0_14default_configENS1_38merge_sort_block_merge_config_selectorIdlEEZZNS1_27merge_sort_block_merge_implIS3_PdN6thrust23THRUST_200600_302600_NS10device_ptrIlEEjNS1_19radix_merge_compareILb0ELb0EdNS0_19identity_decomposerEEEEE10hipError_tT0_T1_T2_jT3_P12ihipStream_tbPNSt15iterator_traitsISG_E10value_typeEPNSM_ISH_E10value_typeEPSI_NS1_7vsmem_tEENKUlT_SG_SH_SI_E_clIS7_S7_PlSB_EESF_SV_SG_SH_SI_EUlSV_E_NS1_11comp_targetILNS1_3genE10ELNS1_11target_archE1201ELNS1_3gpuE5ELNS1_3repE0EEENS1_48merge_mergepath_partition_config_static_selectorELNS0_4arch9wavefront6targetE1EEEvSH_.num_agpr, 0
	.set _ZN7rocprim17ROCPRIM_400000_NS6detail17trampoline_kernelINS0_14default_configENS1_38merge_sort_block_merge_config_selectorIdlEEZZNS1_27merge_sort_block_merge_implIS3_PdN6thrust23THRUST_200600_302600_NS10device_ptrIlEEjNS1_19radix_merge_compareILb0ELb0EdNS0_19identity_decomposerEEEEE10hipError_tT0_T1_T2_jT3_P12ihipStream_tbPNSt15iterator_traitsISG_E10value_typeEPNSM_ISH_E10value_typeEPSI_NS1_7vsmem_tEENKUlT_SG_SH_SI_E_clIS7_S7_PlSB_EESF_SV_SG_SH_SI_EUlSV_E_NS1_11comp_targetILNS1_3genE10ELNS1_11target_archE1201ELNS1_3gpuE5ELNS1_3repE0EEENS1_48merge_mergepath_partition_config_static_selectorELNS0_4arch9wavefront6targetE1EEEvSH_.numbered_sgpr, 0
	.set _ZN7rocprim17ROCPRIM_400000_NS6detail17trampoline_kernelINS0_14default_configENS1_38merge_sort_block_merge_config_selectorIdlEEZZNS1_27merge_sort_block_merge_implIS3_PdN6thrust23THRUST_200600_302600_NS10device_ptrIlEEjNS1_19radix_merge_compareILb0ELb0EdNS0_19identity_decomposerEEEEE10hipError_tT0_T1_T2_jT3_P12ihipStream_tbPNSt15iterator_traitsISG_E10value_typeEPNSM_ISH_E10value_typeEPSI_NS1_7vsmem_tEENKUlT_SG_SH_SI_E_clIS7_S7_PlSB_EESF_SV_SG_SH_SI_EUlSV_E_NS1_11comp_targetILNS1_3genE10ELNS1_11target_archE1201ELNS1_3gpuE5ELNS1_3repE0EEENS1_48merge_mergepath_partition_config_static_selectorELNS0_4arch9wavefront6targetE1EEEvSH_.num_named_barrier, 0
	.set _ZN7rocprim17ROCPRIM_400000_NS6detail17trampoline_kernelINS0_14default_configENS1_38merge_sort_block_merge_config_selectorIdlEEZZNS1_27merge_sort_block_merge_implIS3_PdN6thrust23THRUST_200600_302600_NS10device_ptrIlEEjNS1_19radix_merge_compareILb0ELb0EdNS0_19identity_decomposerEEEEE10hipError_tT0_T1_T2_jT3_P12ihipStream_tbPNSt15iterator_traitsISG_E10value_typeEPNSM_ISH_E10value_typeEPSI_NS1_7vsmem_tEENKUlT_SG_SH_SI_E_clIS7_S7_PlSB_EESF_SV_SG_SH_SI_EUlSV_E_NS1_11comp_targetILNS1_3genE10ELNS1_11target_archE1201ELNS1_3gpuE5ELNS1_3repE0EEENS1_48merge_mergepath_partition_config_static_selectorELNS0_4arch9wavefront6targetE1EEEvSH_.private_seg_size, 0
	.set _ZN7rocprim17ROCPRIM_400000_NS6detail17trampoline_kernelINS0_14default_configENS1_38merge_sort_block_merge_config_selectorIdlEEZZNS1_27merge_sort_block_merge_implIS3_PdN6thrust23THRUST_200600_302600_NS10device_ptrIlEEjNS1_19radix_merge_compareILb0ELb0EdNS0_19identity_decomposerEEEEE10hipError_tT0_T1_T2_jT3_P12ihipStream_tbPNSt15iterator_traitsISG_E10value_typeEPNSM_ISH_E10value_typeEPSI_NS1_7vsmem_tEENKUlT_SG_SH_SI_E_clIS7_S7_PlSB_EESF_SV_SG_SH_SI_EUlSV_E_NS1_11comp_targetILNS1_3genE10ELNS1_11target_archE1201ELNS1_3gpuE5ELNS1_3repE0EEENS1_48merge_mergepath_partition_config_static_selectorELNS0_4arch9wavefront6targetE1EEEvSH_.uses_vcc, 0
	.set _ZN7rocprim17ROCPRIM_400000_NS6detail17trampoline_kernelINS0_14default_configENS1_38merge_sort_block_merge_config_selectorIdlEEZZNS1_27merge_sort_block_merge_implIS3_PdN6thrust23THRUST_200600_302600_NS10device_ptrIlEEjNS1_19radix_merge_compareILb0ELb0EdNS0_19identity_decomposerEEEEE10hipError_tT0_T1_T2_jT3_P12ihipStream_tbPNSt15iterator_traitsISG_E10value_typeEPNSM_ISH_E10value_typeEPSI_NS1_7vsmem_tEENKUlT_SG_SH_SI_E_clIS7_S7_PlSB_EESF_SV_SG_SH_SI_EUlSV_E_NS1_11comp_targetILNS1_3genE10ELNS1_11target_archE1201ELNS1_3gpuE5ELNS1_3repE0EEENS1_48merge_mergepath_partition_config_static_selectorELNS0_4arch9wavefront6targetE1EEEvSH_.uses_flat_scratch, 0
	.set _ZN7rocprim17ROCPRIM_400000_NS6detail17trampoline_kernelINS0_14default_configENS1_38merge_sort_block_merge_config_selectorIdlEEZZNS1_27merge_sort_block_merge_implIS3_PdN6thrust23THRUST_200600_302600_NS10device_ptrIlEEjNS1_19radix_merge_compareILb0ELb0EdNS0_19identity_decomposerEEEEE10hipError_tT0_T1_T2_jT3_P12ihipStream_tbPNSt15iterator_traitsISG_E10value_typeEPNSM_ISH_E10value_typeEPSI_NS1_7vsmem_tEENKUlT_SG_SH_SI_E_clIS7_S7_PlSB_EESF_SV_SG_SH_SI_EUlSV_E_NS1_11comp_targetILNS1_3genE10ELNS1_11target_archE1201ELNS1_3gpuE5ELNS1_3repE0EEENS1_48merge_mergepath_partition_config_static_selectorELNS0_4arch9wavefront6targetE1EEEvSH_.has_dyn_sized_stack, 0
	.set _ZN7rocprim17ROCPRIM_400000_NS6detail17trampoline_kernelINS0_14default_configENS1_38merge_sort_block_merge_config_selectorIdlEEZZNS1_27merge_sort_block_merge_implIS3_PdN6thrust23THRUST_200600_302600_NS10device_ptrIlEEjNS1_19radix_merge_compareILb0ELb0EdNS0_19identity_decomposerEEEEE10hipError_tT0_T1_T2_jT3_P12ihipStream_tbPNSt15iterator_traitsISG_E10value_typeEPNSM_ISH_E10value_typeEPSI_NS1_7vsmem_tEENKUlT_SG_SH_SI_E_clIS7_S7_PlSB_EESF_SV_SG_SH_SI_EUlSV_E_NS1_11comp_targetILNS1_3genE10ELNS1_11target_archE1201ELNS1_3gpuE5ELNS1_3repE0EEENS1_48merge_mergepath_partition_config_static_selectorELNS0_4arch9wavefront6targetE1EEEvSH_.has_recursion, 0
	.set _ZN7rocprim17ROCPRIM_400000_NS6detail17trampoline_kernelINS0_14default_configENS1_38merge_sort_block_merge_config_selectorIdlEEZZNS1_27merge_sort_block_merge_implIS3_PdN6thrust23THRUST_200600_302600_NS10device_ptrIlEEjNS1_19radix_merge_compareILb0ELb0EdNS0_19identity_decomposerEEEEE10hipError_tT0_T1_T2_jT3_P12ihipStream_tbPNSt15iterator_traitsISG_E10value_typeEPNSM_ISH_E10value_typeEPSI_NS1_7vsmem_tEENKUlT_SG_SH_SI_E_clIS7_S7_PlSB_EESF_SV_SG_SH_SI_EUlSV_E_NS1_11comp_targetILNS1_3genE10ELNS1_11target_archE1201ELNS1_3gpuE5ELNS1_3repE0EEENS1_48merge_mergepath_partition_config_static_selectorELNS0_4arch9wavefront6targetE1EEEvSH_.has_indirect_call, 0
	.section	.AMDGPU.csdata,"",@progbits
; Kernel info:
; codeLenInByte = 0
; TotalNumSgprs: 4
; NumVgprs: 0
; ScratchSize: 0
; MemoryBound: 0
; FloatMode: 240
; IeeeMode: 1
; LDSByteSize: 0 bytes/workgroup (compile time only)
; SGPRBlocks: 0
; VGPRBlocks: 0
; NumSGPRsForWavesPerEU: 4
; NumVGPRsForWavesPerEU: 1
; Occupancy: 10
; WaveLimiterHint : 0
; COMPUTE_PGM_RSRC2:SCRATCH_EN: 0
; COMPUTE_PGM_RSRC2:USER_SGPR: 6
; COMPUTE_PGM_RSRC2:TRAP_HANDLER: 0
; COMPUTE_PGM_RSRC2:TGID_X_EN: 1
; COMPUTE_PGM_RSRC2:TGID_Y_EN: 0
; COMPUTE_PGM_RSRC2:TGID_Z_EN: 0
; COMPUTE_PGM_RSRC2:TIDIG_COMP_CNT: 0
	.section	.text._ZN7rocprim17ROCPRIM_400000_NS6detail17trampoline_kernelINS0_14default_configENS1_38merge_sort_block_merge_config_selectorIdlEEZZNS1_27merge_sort_block_merge_implIS3_PdN6thrust23THRUST_200600_302600_NS10device_ptrIlEEjNS1_19radix_merge_compareILb0ELb0EdNS0_19identity_decomposerEEEEE10hipError_tT0_T1_T2_jT3_P12ihipStream_tbPNSt15iterator_traitsISG_E10value_typeEPNSM_ISH_E10value_typeEPSI_NS1_7vsmem_tEENKUlT_SG_SH_SI_E_clIS7_S7_PlSB_EESF_SV_SG_SH_SI_EUlSV_E_NS1_11comp_targetILNS1_3genE5ELNS1_11target_archE942ELNS1_3gpuE9ELNS1_3repE0EEENS1_48merge_mergepath_partition_config_static_selectorELNS0_4arch9wavefront6targetE1EEEvSH_,"axG",@progbits,_ZN7rocprim17ROCPRIM_400000_NS6detail17trampoline_kernelINS0_14default_configENS1_38merge_sort_block_merge_config_selectorIdlEEZZNS1_27merge_sort_block_merge_implIS3_PdN6thrust23THRUST_200600_302600_NS10device_ptrIlEEjNS1_19radix_merge_compareILb0ELb0EdNS0_19identity_decomposerEEEEE10hipError_tT0_T1_T2_jT3_P12ihipStream_tbPNSt15iterator_traitsISG_E10value_typeEPNSM_ISH_E10value_typeEPSI_NS1_7vsmem_tEENKUlT_SG_SH_SI_E_clIS7_S7_PlSB_EESF_SV_SG_SH_SI_EUlSV_E_NS1_11comp_targetILNS1_3genE5ELNS1_11target_archE942ELNS1_3gpuE9ELNS1_3repE0EEENS1_48merge_mergepath_partition_config_static_selectorELNS0_4arch9wavefront6targetE1EEEvSH_,comdat
	.protected	_ZN7rocprim17ROCPRIM_400000_NS6detail17trampoline_kernelINS0_14default_configENS1_38merge_sort_block_merge_config_selectorIdlEEZZNS1_27merge_sort_block_merge_implIS3_PdN6thrust23THRUST_200600_302600_NS10device_ptrIlEEjNS1_19radix_merge_compareILb0ELb0EdNS0_19identity_decomposerEEEEE10hipError_tT0_T1_T2_jT3_P12ihipStream_tbPNSt15iterator_traitsISG_E10value_typeEPNSM_ISH_E10value_typeEPSI_NS1_7vsmem_tEENKUlT_SG_SH_SI_E_clIS7_S7_PlSB_EESF_SV_SG_SH_SI_EUlSV_E_NS1_11comp_targetILNS1_3genE5ELNS1_11target_archE942ELNS1_3gpuE9ELNS1_3repE0EEENS1_48merge_mergepath_partition_config_static_selectorELNS0_4arch9wavefront6targetE1EEEvSH_ ; -- Begin function _ZN7rocprim17ROCPRIM_400000_NS6detail17trampoline_kernelINS0_14default_configENS1_38merge_sort_block_merge_config_selectorIdlEEZZNS1_27merge_sort_block_merge_implIS3_PdN6thrust23THRUST_200600_302600_NS10device_ptrIlEEjNS1_19radix_merge_compareILb0ELb0EdNS0_19identity_decomposerEEEEE10hipError_tT0_T1_T2_jT3_P12ihipStream_tbPNSt15iterator_traitsISG_E10value_typeEPNSM_ISH_E10value_typeEPSI_NS1_7vsmem_tEENKUlT_SG_SH_SI_E_clIS7_S7_PlSB_EESF_SV_SG_SH_SI_EUlSV_E_NS1_11comp_targetILNS1_3genE5ELNS1_11target_archE942ELNS1_3gpuE9ELNS1_3repE0EEENS1_48merge_mergepath_partition_config_static_selectorELNS0_4arch9wavefront6targetE1EEEvSH_
	.globl	_ZN7rocprim17ROCPRIM_400000_NS6detail17trampoline_kernelINS0_14default_configENS1_38merge_sort_block_merge_config_selectorIdlEEZZNS1_27merge_sort_block_merge_implIS3_PdN6thrust23THRUST_200600_302600_NS10device_ptrIlEEjNS1_19radix_merge_compareILb0ELb0EdNS0_19identity_decomposerEEEEE10hipError_tT0_T1_T2_jT3_P12ihipStream_tbPNSt15iterator_traitsISG_E10value_typeEPNSM_ISH_E10value_typeEPSI_NS1_7vsmem_tEENKUlT_SG_SH_SI_E_clIS7_S7_PlSB_EESF_SV_SG_SH_SI_EUlSV_E_NS1_11comp_targetILNS1_3genE5ELNS1_11target_archE942ELNS1_3gpuE9ELNS1_3repE0EEENS1_48merge_mergepath_partition_config_static_selectorELNS0_4arch9wavefront6targetE1EEEvSH_
	.p2align	8
	.type	_ZN7rocprim17ROCPRIM_400000_NS6detail17trampoline_kernelINS0_14default_configENS1_38merge_sort_block_merge_config_selectorIdlEEZZNS1_27merge_sort_block_merge_implIS3_PdN6thrust23THRUST_200600_302600_NS10device_ptrIlEEjNS1_19radix_merge_compareILb0ELb0EdNS0_19identity_decomposerEEEEE10hipError_tT0_T1_T2_jT3_P12ihipStream_tbPNSt15iterator_traitsISG_E10value_typeEPNSM_ISH_E10value_typeEPSI_NS1_7vsmem_tEENKUlT_SG_SH_SI_E_clIS7_S7_PlSB_EESF_SV_SG_SH_SI_EUlSV_E_NS1_11comp_targetILNS1_3genE5ELNS1_11target_archE942ELNS1_3gpuE9ELNS1_3repE0EEENS1_48merge_mergepath_partition_config_static_selectorELNS0_4arch9wavefront6targetE1EEEvSH_,@function
_ZN7rocprim17ROCPRIM_400000_NS6detail17trampoline_kernelINS0_14default_configENS1_38merge_sort_block_merge_config_selectorIdlEEZZNS1_27merge_sort_block_merge_implIS3_PdN6thrust23THRUST_200600_302600_NS10device_ptrIlEEjNS1_19radix_merge_compareILb0ELb0EdNS0_19identity_decomposerEEEEE10hipError_tT0_T1_T2_jT3_P12ihipStream_tbPNSt15iterator_traitsISG_E10value_typeEPNSM_ISH_E10value_typeEPSI_NS1_7vsmem_tEENKUlT_SG_SH_SI_E_clIS7_S7_PlSB_EESF_SV_SG_SH_SI_EUlSV_E_NS1_11comp_targetILNS1_3genE5ELNS1_11target_archE942ELNS1_3gpuE9ELNS1_3repE0EEENS1_48merge_mergepath_partition_config_static_selectorELNS0_4arch9wavefront6targetE1EEEvSH_: ; @_ZN7rocprim17ROCPRIM_400000_NS6detail17trampoline_kernelINS0_14default_configENS1_38merge_sort_block_merge_config_selectorIdlEEZZNS1_27merge_sort_block_merge_implIS3_PdN6thrust23THRUST_200600_302600_NS10device_ptrIlEEjNS1_19radix_merge_compareILb0ELb0EdNS0_19identity_decomposerEEEEE10hipError_tT0_T1_T2_jT3_P12ihipStream_tbPNSt15iterator_traitsISG_E10value_typeEPNSM_ISH_E10value_typeEPSI_NS1_7vsmem_tEENKUlT_SG_SH_SI_E_clIS7_S7_PlSB_EESF_SV_SG_SH_SI_EUlSV_E_NS1_11comp_targetILNS1_3genE5ELNS1_11target_archE942ELNS1_3gpuE9ELNS1_3repE0EEENS1_48merge_mergepath_partition_config_static_selectorELNS0_4arch9wavefront6targetE1EEEvSH_
; %bb.0:
	.section	.rodata,"a",@progbits
	.p2align	6, 0x0
	.amdhsa_kernel _ZN7rocprim17ROCPRIM_400000_NS6detail17trampoline_kernelINS0_14default_configENS1_38merge_sort_block_merge_config_selectorIdlEEZZNS1_27merge_sort_block_merge_implIS3_PdN6thrust23THRUST_200600_302600_NS10device_ptrIlEEjNS1_19radix_merge_compareILb0ELb0EdNS0_19identity_decomposerEEEEE10hipError_tT0_T1_T2_jT3_P12ihipStream_tbPNSt15iterator_traitsISG_E10value_typeEPNSM_ISH_E10value_typeEPSI_NS1_7vsmem_tEENKUlT_SG_SH_SI_E_clIS7_S7_PlSB_EESF_SV_SG_SH_SI_EUlSV_E_NS1_11comp_targetILNS1_3genE5ELNS1_11target_archE942ELNS1_3gpuE9ELNS1_3repE0EEENS1_48merge_mergepath_partition_config_static_selectorELNS0_4arch9wavefront6targetE1EEEvSH_
		.amdhsa_group_segment_fixed_size 0
		.amdhsa_private_segment_fixed_size 0
		.amdhsa_kernarg_size 40
		.amdhsa_user_sgpr_count 6
		.amdhsa_user_sgpr_private_segment_buffer 1
		.amdhsa_user_sgpr_dispatch_ptr 0
		.amdhsa_user_sgpr_queue_ptr 0
		.amdhsa_user_sgpr_kernarg_segment_ptr 1
		.amdhsa_user_sgpr_dispatch_id 0
		.amdhsa_user_sgpr_flat_scratch_init 0
		.amdhsa_user_sgpr_private_segment_size 0
		.amdhsa_uses_dynamic_stack 0
		.amdhsa_system_sgpr_private_segment_wavefront_offset 0
		.amdhsa_system_sgpr_workgroup_id_x 1
		.amdhsa_system_sgpr_workgroup_id_y 0
		.amdhsa_system_sgpr_workgroup_id_z 0
		.amdhsa_system_sgpr_workgroup_info 0
		.amdhsa_system_vgpr_workitem_id 0
		.amdhsa_next_free_vgpr 1
		.amdhsa_next_free_sgpr 0
		.amdhsa_reserve_vcc 0
		.amdhsa_reserve_flat_scratch 0
		.amdhsa_float_round_mode_32 0
		.amdhsa_float_round_mode_16_64 0
		.amdhsa_float_denorm_mode_32 3
		.amdhsa_float_denorm_mode_16_64 3
		.amdhsa_dx10_clamp 1
		.amdhsa_ieee_mode 1
		.amdhsa_fp16_overflow 0
		.amdhsa_exception_fp_ieee_invalid_op 0
		.amdhsa_exception_fp_denorm_src 0
		.amdhsa_exception_fp_ieee_div_zero 0
		.amdhsa_exception_fp_ieee_overflow 0
		.amdhsa_exception_fp_ieee_underflow 0
		.amdhsa_exception_fp_ieee_inexact 0
		.amdhsa_exception_int_div_zero 0
	.end_amdhsa_kernel
	.section	.text._ZN7rocprim17ROCPRIM_400000_NS6detail17trampoline_kernelINS0_14default_configENS1_38merge_sort_block_merge_config_selectorIdlEEZZNS1_27merge_sort_block_merge_implIS3_PdN6thrust23THRUST_200600_302600_NS10device_ptrIlEEjNS1_19radix_merge_compareILb0ELb0EdNS0_19identity_decomposerEEEEE10hipError_tT0_T1_T2_jT3_P12ihipStream_tbPNSt15iterator_traitsISG_E10value_typeEPNSM_ISH_E10value_typeEPSI_NS1_7vsmem_tEENKUlT_SG_SH_SI_E_clIS7_S7_PlSB_EESF_SV_SG_SH_SI_EUlSV_E_NS1_11comp_targetILNS1_3genE5ELNS1_11target_archE942ELNS1_3gpuE9ELNS1_3repE0EEENS1_48merge_mergepath_partition_config_static_selectorELNS0_4arch9wavefront6targetE1EEEvSH_,"axG",@progbits,_ZN7rocprim17ROCPRIM_400000_NS6detail17trampoline_kernelINS0_14default_configENS1_38merge_sort_block_merge_config_selectorIdlEEZZNS1_27merge_sort_block_merge_implIS3_PdN6thrust23THRUST_200600_302600_NS10device_ptrIlEEjNS1_19radix_merge_compareILb0ELb0EdNS0_19identity_decomposerEEEEE10hipError_tT0_T1_T2_jT3_P12ihipStream_tbPNSt15iterator_traitsISG_E10value_typeEPNSM_ISH_E10value_typeEPSI_NS1_7vsmem_tEENKUlT_SG_SH_SI_E_clIS7_S7_PlSB_EESF_SV_SG_SH_SI_EUlSV_E_NS1_11comp_targetILNS1_3genE5ELNS1_11target_archE942ELNS1_3gpuE9ELNS1_3repE0EEENS1_48merge_mergepath_partition_config_static_selectorELNS0_4arch9wavefront6targetE1EEEvSH_,comdat
.Lfunc_end1544:
	.size	_ZN7rocprim17ROCPRIM_400000_NS6detail17trampoline_kernelINS0_14default_configENS1_38merge_sort_block_merge_config_selectorIdlEEZZNS1_27merge_sort_block_merge_implIS3_PdN6thrust23THRUST_200600_302600_NS10device_ptrIlEEjNS1_19radix_merge_compareILb0ELb0EdNS0_19identity_decomposerEEEEE10hipError_tT0_T1_T2_jT3_P12ihipStream_tbPNSt15iterator_traitsISG_E10value_typeEPNSM_ISH_E10value_typeEPSI_NS1_7vsmem_tEENKUlT_SG_SH_SI_E_clIS7_S7_PlSB_EESF_SV_SG_SH_SI_EUlSV_E_NS1_11comp_targetILNS1_3genE5ELNS1_11target_archE942ELNS1_3gpuE9ELNS1_3repE0EEENS1_48merge_mergepath_partition_config_static_selectorELNS0_4arch9wavefront6targetE1EEEvSH_, .Lfunc_end1544-_ZN7rocprim17ROCPRIM_400000_NS6detail17trampoline_kernelINS0_14default_configENS1_38merge_sort_block_merge_config_selectorIdlEEZZNS1_27merge_sort_block_merge_implIS3_PdN6thrust23THRUST_200600_302600_NS10device_ptrIlEEjNS1_19radix_merge_compareILb0ELb0EdNS0_19identity_decomposerEEEEE10hipError_tT0_T1_T2_jT3_P12ihipStream_tbPNSt15iterator_traitsISG_E10value_typeEPNSM_ISH_E10value_typeEPSI_NS1_7vsmem_tEENKUlT_SG_SH_SI_E_clIS7_S7_PlSB_EESF_SV_SG_SH_SI_EUlSV_E_NS1_11comp_targetILNS1_3genE5ELNS1_11target_archE942ELNS1_3gpuE9ELNS1_3repE0EEENS1_48merge_mergepath_partition_config_static_selectorELNS0_4arch9wavefront6targetE1EEEvSH_
                                        ; -- End function
	.set _ZN7rocprim17ROCPRIM_400000_NS6detail17trampoline_kernelINS0_14default_configENS1_38merge_sort_block_merge_config_selectorIdlEEZZNS1_27merge_sort_block_merge_implIS3_PdN6thrust23THRUST_200600_302600_NS10device_ptrIlEEjNS1_19radix_merge_compareILb0ELb0EdNS0_19identity_decomposerEEEEE10hipError_tT0_T1_T2_jT3_P12ihipStream_tbPNSt15iterator_traitsISG_E10value_typeEPNSM_ISH_E10value_typeEPSI_NS1_7vsmem_tEENKUlT_SG_SH_SI_E_clIS7_S7_PlSB_EESF_SV_SG_SH_SI_EUlSV_E_NS1_11comp_targetILNS1_3genE5ELNS1_11target_archE942ELNS1_3gpuE9ELNS1_3repE0EEENS1_48merge_mergepath_partition_config_static_selectorELNS0_4arch9wavefront6targetE1EEEvSH_.num_vgpr, 0
	.set _ZN7rocprim17ROCPRIM_400000_NS6detail17trampoline_kernelINS0_14default_configENS1_38merge_sort_block_merge_config_selectorIdlEEZZNS1_27merge_sort_block_merge_implIS3_PdN6thrust23THRUST_200600_302600_NS10device_ptrIlEEjNS1_19radix_merge_compareILb0ELb0EdNS0_19identity_decomposerEEEEE10hipError_tT0_T1_T2_jT3_P12ihipStream_tbPNSt15iterator_traitsISG_E10value_typeEPNSM_ISH_E10value_typeEPSI_NS1_7vsmem_tEENKUlT_SG_SH_SI_E_clIS7_S7_PlSB_EESF_SV_SG_SH_SI_EUlSV_E_NS1_11comp_targetILNS1_3genE5ELNS1_11target_archE942ELNS1_3gpuE9ELNS1_3repE0EEENS1_48merge_mergepath_partition_config_static_selectorELNS0_4arch9wavefront6targetE1EEEvSH_.num_agpr, 0
	.set _ZN7rocprim17ROCPRIM_400000_NS6detail17trampoline_kernelINS0_14default_configENS1_38merge_sort_block_merge_config_selectorIdlEEZZNS1_27merge_sort_block_merge_implIS3_PdN6thrust23THRUST_200600_302600_NS10device_ptrIlEEjNS1_19radix_merge_compareILb0ELb0EdNS0_19identity_decomposerEEEEE10hipError_tT0_T1_T2_jT3_P12ihipStream_tbPNSt15iterator_traitsISG_E10value_typeEPNSM_ISH_E10value_typeEPSI_NS1_7vsmem_tEENKUlT_SG_SH_SI_E_clIS7_S7_PlSB_EESF_SV_SG_SH_SI_EUlSV_E_NS1_11comp_targetILNS1_3genE5ELNS1_11target_archE942ELNS1_3gpuE9ELNS1_3repE0EEENS1_48merge_mergepath_partition_config_static_selectorELNS0_4arch9wavefront6targetE1EEEvSH_.numbered_sgpr, 0
	.set _ZN7rocprim17ROCPRIM_400000_NS6detail17trampoline_kernelINS0_14default_configENS1_38merge_sort_block_merge_config_selectorIdlEEZZNS1_27merge_sort_block_merge_implIS3_PdN6thrust23THRUST_200600_302600_NS10device_ptrIlEEjNS1_19radix_merge_compareILb0ELb0EdNS0_19identity_decomposerEEEEE10hipError_tT0_T1_T2_jT3_P12ihipStream_tbPNSt15iterator_traitsISG_E10value_typeEPNSM_ISH_E10value_typeEPSI_NS1_7vsmem_tEENKUlT_SG_SH_SI_E_clIS7_S7_PlSB_EESF_SV_SG_SH_SI_EUlSV_E_NS1_11comp_targetILNS1_3genE5ELNS1_11target_archE942ELNS1_3gpuE9ELNS1_3repE0EEENS1_48merge_mergepath_partition_config_static_selectorELNS0_4arch9wavefront6targetE1EEEvSH_.num_named_barrier, 0
	.set _ZN7rocprim17ROCPRIM_400000_NS6detail17trampoline_kernelINS0_14default_configENS1_38merge_sort_block_merge_config_selectorIdlEEZZNS1_27merge_sort_block_merge_implIS3_PdN6thrust23THRUST_200600_302600_NS10device_ptrIlEEjNS1_19radix_merge_compareILb0ELb0EdNS0_19identity_decomposerEEEEE10hipError_tT0_T1_T2_jT3_P12ihipStream_tbPNSt15iterator_traitsISG_E10value_typeEPNSM_ISH_E10value_typeEPSI_NS1_7vsmem_tEENKUlT_SG_SH_SI_E_clIS7_S7_PlSB_EESF_SV_SG_SH_SI_EUlSV_E_NS1_11comp_targetILNS1_3genE5ELNS1_11target_archE942ELNS1_3gpuE9ELNS1_3repE0EEENS1_48merge_mergepath_partition_config_static_selectorELNS0_4arch9wavefront6targetE1EEEvSH_.private_seg_size, 0
	.set _ZN7rocprim17ROCPRIM_400000_NS6detail17trampoline_kernelINS0_14default_configENS1_38merge_sort_block_merge_config_selectorIdlEEZZNS1_27merge_sort_block_merge_implIS3_PdN6thrust23THRUST_200600_302600_NS10device_ptrIlEEjNS1_19radix_merge_compareILb0ELb0EdNS0_19identity_decomposerEEEEE10hipError_tT0_T1_T2_jT3_P12ihipStream_tbPNSt15iterator_traitsISG_E10value_typeEPNSM_ISH_E10value_typeEPSI_NS1_7vsmem_tEENKUlT_SG_SH_SI_E_clIS7_S7_PlSB_EESF_SV_SG_SH_SI_EUlSV_E_NS1_11comp_targetILNS1_3genE5ELNS1_11target_archE942ELNS1_3gpuE9ELNS1_3repE0EEENS1_48merge_mergepath_partition_config_static_selectorELNS0_4arch9wavefront6targetE1EEEvSH_.uses_vcc, 0
	.set _ZN7rocprim17ROCPRIM_400000_NS6detail17trampoline_kernelINS0_14default_configENS1_38merge_sort_block_merge_config_selectorIdlEEZZNS1_27merge_sort_block_merge_implIS3_PdN6thrust23THRUST_200600_302600_NS10device_ptrIlEEjNS1_19radix_merge_compareILb0ELb0EdNS0_19identity_decomposerEEEEE10hipError_tT0_T1_T2_jT3_P12ihipStream_tbPNSt15iterator_traitsISG_E10value_typeEPNSM_ISH_E10value_typeEPSI_NS1_7vsmem_tEENKUlT_SG_SH_SI_E_clIS7_S7_PlSB_EESF_SV_SG_SH_SI_EUlSV_E_NS1_11comp_targetILNS1_3genE5ELNS1_11target_archE942ELNS1_3gpuE9ELNS1_3repE0EEENS1_48merge_mergepath_partition_config_static_selectorELNS0_4arch9wavefront6targetE1EEEvSH_.uses_flat_scratch, 0
	.set _ZN7rocprim17ROCPRIM_400000_NS6detail17trampoline_kernelINS0_14default_configENS1_38merge_sort_block_merge_config_selectorIdlEEZZNS1_27merge_sort_block_merge_implIS3_PdN6thrust23THRUST_200600_302600_NS10device_ptrIlEEjNS1_19radix_merge_compareILb0ELb0EdNS0_19identity_decomposerEEEEE10hipError_tT0_T1_T2_jT3_P12ihipStream_tbPNSt15iterator_traitsISG_E10value_typeEPNSM_ISH_E10value_typeEPSI_NS1_7vsmem_tEENKUlT_SG_SH_SI_E_clIS7_S7_PlSB_EESF_SV_SG_SH_SI_EUlSV_E_NS1_11comp_targetILNS1_3genE5ELNS1_11target_archE942ELNS1_3gpuE9ELNS1_3repE0EEENS1_48merge_mergepath_partition_config_static_selectorELNS0_4arch9wavefront6targetE1EEEvSH_.has_dyn_sized_stack, 0
	.set _ZN7rocprim17ROCPRIM_400000_NS6detail17trampoline_kernelINS0_14default_configENS1_38merge_sort_block_merge_config_selectorIdlEEZZNS1_27merge_sort_block_merge_implIS3_PdN6thrust23THRUST_200600_302600_NS10device_ptrIlEEjNS1_19radix_merge_compareILb0ELb0EdNS0_19identity_decomposerEEEEE10hipError_tT0_T1_T2_jT3_P12ihipStream_tbPNSt15iterator_traitsISG_E10value_typeEPNSM_ISH_E10value_typeEPSI_NS1_7vsmem_tEENKUlT_SG_SH_SI_E_clIS7_S7_PlSB_EESF_SV_SG_SH_SI_EUlSV_E_NS1_11comp_targetILNS1_3genE5ELNS1_11target_archE942ELNS1_3gpuE9ELNS1_3repE0EEENS1_48merge_mergepath_partition_config_static_selectorELNS0_4arch9wavefront6targetE1EEEvSH_.has_recursion, 0
	.set _ZN7rocprim17ROCPRIM_400000_NS6detail17trampoline_kernelINS0_14default_configENS1_38merge_sort_block_merge_config_selectorIdlEEZZNS1_27merge_sort_block_merge_implIS3_PdN6thrust23THRUST_200600_302600_NS10device_ptrIlEEjNS1_19radix_merge_compareILb0ELb0EdNS0_19identity_decomposerEEEEE10hipError_tT0_T1_T2_jT3_P12ihipStream_tbPNSt15iterator_traitsISG_E10value_typeEPNSM_ISH_E10value_typeEPSI_NS1_7vsmem_tEENKUlT_SG_SH_SI_E_clIS7_S7_PlSB_EESF_SV_SG_SH_SI_EUlSV_E_NS1_11comp_targetILNS1_3genE5ELNS1_11target_archE942ELNS1_3gpuE9ELNS1_3repE0EEENS1_48merge_mergepath_partition_config_static_selectorELNS0_4arch9wavefront6targetE1EEEvSH_.has_indirect_call, 0
	.section	.AMDGPU.csdata,"",@progbits
; Kernel info:
; codeLenInByte = 0
; TotalNumSgprs: 4
; NumVgprs: 0
; ScratchSize: 0
; MemoryBound: 0
; FloatMode: 240
; IeeeMode: 1
; LDSByteSize: 0 bytes/workgroup (compile time only)
; SGPRBlocks: 0
; VGPRBlocks: 0
; NumSGPRsForWavesPerEU: 4
; NumVGPRsForWavesPerEU: 1
; Occupancy: 10
; WaveLimiterHint : 0
; COMPUTE_PGM_RSRC2:SCRATCH_EN: 0
; COMPUTE_PGM_RSRC2:USER_SGPR: 6
; COMPUTE_PGM_RSRC2:TRAP_HANDLER: 0
; COMPUTE_PGM_RSRC2:TGID_X_EN: 1
; COMPUTE_PGM_RSRC2:TGID_Y_EN: 0
; COMPUTE_PGM_RSRC2:TGID_Z_EN: 0
; COMPUTE_PGM_RSRC2:TIDIG_COMP_CNT: 0
	.section	.text._ZN7rocprim17ROCPRIM_400000_NS6detail17trampoline_kernelINS0_14default_configENS1_38merge_sort_block_merge_config_selectorIdlEEZZNS1_27merge_sort_block_merge_implIS3_PdN6thrust23THRUST_200600_302600_NS10device_ptrIlEEjNS1_19radix_merge_compareILb0ELb0EdNS0_19identity_decomposerEEEEE10hipError_tT0_T1_T2_jT3_P12ihipStream_tbPNSt15iterator_traitsISG_E10value_typeEPNSM_ISH_E10value_typeEPSI_NS1_7vsmem_tEENKUlT_SG_SH_SI_E_clIS7_S7_PlSB_EESF_SV_SG_SH_SI_EUlSV_E_NS1_11comp_targetILNS1_3genE4ELNS1_11target_archE910ELNS1_3gpuE8ELNS1_3repE0EEENS1_48merge_mergepath_partition_config_static_selectorELNS0_4arch9wavefront6targetE1EEEvSH_,"axG",@progbits,_ZN7rocprim17ROCPRIM_400000_NS6detail17trampoline_kernelINS0_14default_configENS1_38merge_sort_block_merge_config_selectorIdlEEZZNS1_27merge_sort_block_merge_implIS3_PdN6thrust23THRUST_200600_302600_NS10device_ptrIlEEjNS1_19radix_merge_compareILb0ELb0EdNS0_19identity_decomposerEEEEE10hipError_tT0_T1_T2_jT3_P12ihipStream_tbPNSt15iterator_traitsISG_E10value_typeEPNSM_ISH_E10value_typeEPSI_NS1_7vsmem_tEENKUlT_SG_SH_SI_E_clIS7_S7_PlSB_EESF_SV_SG_SH_SI_EUlSV_E_NS1_11comp_targetILNS1_3genE4ELNS1_11target_archE910ELNS1_3gpuE8ELNS1_3repE0EEENS1_48merge_mergepath_partition_config_static_selectorELNS0_4arch9wavefront6targetE1EEEvSH_,comdat
	.protected	_ZN7rocprim17ROCPRIM_400000_NS6detail17trampoline_kernelINS0_14default_configENS1_38merge_sort_block_merge_config_selectorIdlEEZZNS1_27merge_sort_block_merge_implIS3_PdN6thrust23THRUST_200600_302600_NS10device_ptrIlEEjNS1_19radix_merge_compareILb0ELb0EdNS0_19identity_decomposerEEEEE10hipError_tT0_T1_T2_jT3_P12ihipStream_tbPNSt15iterator_traitsISG_E10value_typeEPNSM_ISH_E10value_typeEPSI_NS1_7vsmem_tEENKUlT_SG_SH_SI_E_clIS7_S7_PlSB_EESF_SV_SG_SH_SI_EUlSV_E_NS1_11comp_targetILNS1_3genE4ELNS1_11target_archE910ELNS1_3gpuE8ELNS1_3repE0EEENS1_48merge_mergepath_partition_config_static_selectorELNS0_4arch9wavefront6targetE1EEEvSH_ ; -- Begin function _ZN7rocprim17ROCPRIM_400000_NS6detail17trampoline_kernelINS0_14default_configENS1_38merge_sort_block_merge_config_selectorIdlEEZZNS1_27merge_sort_block_merge_implIS3_PdN6thrust23THRUST_200600_302600_NS10device_ptrIlEEjNS1_19radix_merge_compareILb0ELb0EdNS0_19identity_decomposerEEEEE10hipError_tT0_T1_T2_jT3_P12ihipStream_tbPNSt15iterator_traitsISG_E10value_typeEPNSM_ISH_E10value_typeEPSI_NS1_7vsmem_tEENKUlT_SG_SH_SI_E_clIS7_S7_PlSB_EESF_SV_SG_SH_SI_EUlSV_E_NS1_11comp_targetILNS1_3genE4ELNS1_11target_archE910ELNS1_3gpuE8ELNS1_3repE0EEENS1_48merge_mergepath_partition_config_static_selectorELNS0_4arch9wavefront6targetE1EEEvSH_
	.globl	_ZN7rocprim17ROCPRIM_400000_NS6detail17trampoline_kernelINS0_14default_configENS1_38merge_sort_block_merge_config_selectorIdlEEZZNS1_27merge_sort_block_merge_implIS3_PdN6thrust23THRUST_200600_302600_NS10device_ptrIlEEjNS1_19radix_merge_compareILb0ELb0EdNS0_19identity_decomposerEEEEE10hipError_tT0_T1_T2_jT3_P12ihipStream_tbPNSt15iterator_traitsISG_E10value_typeEPNSM_ISH_E10value_typeEPSI_NS1_7vsmem_tEENKUlT_SG_SH_SI_E_clIS7_S7_PlSB_EESF_SV_SG_SH_SI_EUlSV_E_NS1_11comp_targetILNS1_3genE4ELNS1_11target_archE910ELNS1_3gpuE8ELNS1_3repE0EEENS1_48merge_mergepath_partition_config_static_selectorELNS0_4arch9wavefront6targetE1EEEvSH_
	.p2align	8
	.type	_ZN7rocprim17ROCPRIM_400000_NS6detail17trampoline_kernelINS0_14default_configENS1_38merge_sort_block_merge_config_selectorIdlEEZZNS1_27merge_sort_block_merge_implIS3_PdN6thrust23THRUST_200600_302600_NS10device_ptrIlEEjNS1_19radix_merge_compareILb0ELb0EdNS0_19identity_decomposerEEEEE10hipError_tT0_T1_T2_jT3_P12ihipStream_tbPNSt15iterator_traitsISG_E10value_typeEPNSM_ISH_E10value_typeEPSI_NS1_7vsmem_tEENKUlT_SG_SH_SI_E_clIS7_S7_PlSB_EESF_SV_SG_SH_SI_EUlSV_E_NS1_11comp_targetILNS1_3genE4ELNS1_11target_archE910ELNS1_3gpuE8ELNS1_3repE0EEENS1_48merge_mergepath_partition_config_static_selectorELNS0_4arch9wavefront6targetE1EEEvSH_,@function
_ZN7rocprim17ROCPRIM_400000_NS6detail17trampoline_kernelINS0_14default_configENS1_38merge_sort_block_merge_config_selectorIdlEEZZNS1_27merge_sort_block_merge_implIS3_PdN6thrust23THRUST_200600_302600_NS10device_ptrIlEEjNS1_19radix_merge_compareILb0ELb0EdNS0_19identity_decomposerEEEEE10hipError_tT0_T1_T2_jT3_P12ihipStream_tbPNSt15iterator_traitsISG_E10value_typeEPNSM_ISH_E10value_typeEPSI_NS1_7vsmem_tEENKUlT_SG_SH_SI_E_clIS7_S7_PlSB_EESF_SV_SG_SH_SI_EUlSV_E_NS1_11comp_targetILNS1_3genE4ELNS1_11target_archE910ELNS1_3gpuE8ELNS1_3repE0EEENS1_48merge_mergepath_partition_config_static_selectorELNS0_4arch9wavefront6targetE1EEEvSH_: ; @_ZN7rocprim17ROCPRIM_400000_NS6detail17trampoline_kernelINS0_14default_configENS1_38merge_sort_block_merge_config_selectorIdlEEZZNS1_27merge_sort_block_merge_implIS3_PdN6thrust23THRUST_200600_302600_NS10device_ptrIlEEjNS1_19radix_merge_compareILb0ELb0EdNS0_19identity_decomposerEEEEE10hipError_tT0_T1_T2_jT3_P12ihipStream_tbPNSt15iterator_traitsISG_E10value_typeEPNSM_ISH_E10value_typeEPSI_NS1_7vsmem_tEENKUlT_SG_SH_SI_E_clIS7_S7_PlSB_EESF_SV_SG_SH_SI_EUlSV_E_NS1_11comp_targetILNS1_3genE4ELNS1_11target_archE910ELNS1_3gpuE8ELNS1_3repE0EEENS1_48merge_mergepath_partition_config_static_selectorELNS0_4arch9wavefront6targetE1EEEvSH_
; %bb.0:
	.section	.rodata,"a",@progbits
	.p2align	6, 0x0
	.amdhsa_kernel _ZN7rocprim17ROCPRIM_400000_NS6detail17trampoline_kernelINS0_14default_configENS1_38merge_sort_block_merge_config_selectorIdlEEZZNS1_27merge_sort_block_merge_implIS3_PdN6thrust23THRUST_200600_302600_NS10device_ptrIlEEjNS1_19radix_merge_compareILb0ELb0EdNS0_19identity_decomposerEEEEE10hipError_tT0_T1_T2_jT3_P12ihipStream_tbPNSt15iterator_traitsISG_E10value_typeEPNSM_ISH_E10value_typeEPSI_NS1_7vsmem_tEENKUlT_SG_SH_SI_E_clIS7_S7_PlSB_EESF_SV_SG_SH_SI_EUlSV_E_NS1_11comp_targetILNS1_3genE4ELNS1_11target_archE910ELNS1_3gpuE8ELNS1_3repE0EEENS1_48merge_mergepath_partition_config_static_selectorELNS0_4arch9wavefront6targetE1EEEvSH_
		.amdhsa_group_segment_fixed_size 0
		.amdhsa_private_segment_fixed_size 0
		.amdhsa_kernarg_size 40
		.amdhsa_user_sgpr_count 6
		.amdhsa_user_sgpr_private_segment_buffer 1
		.amdhsa_user_sgpr_dispatch_ptr 0
		.amdhsa_user_sgpr_queue_ptr 0
		.amdhsa_user_sgpr_kernarg_segment_ptr 1
		.amdhsa_user_sgpr_dispatch_id 0
		.amdhsa_user_sgpr_flat_scratch_init 0
		.amdhsa_user_sgpr_private_segment_size 0
		.amdhsa_uses_dynamic_stack 0
		.amdhsa_system_sgpr_private_segment_wavefront_offset 0
		.amdhsa_system_sgpr_workgroup_id_x 1
		.amdhsa_system_sgpr_workgroup_id_y 0
		.amdhsa_system_sgpr_workgroup_id_z 0
		.amdhsa_system_sgpr_workgroup_info 0
		.amdhsa_system_vgpr_workitem_id 0
		.amdhsa_next_free_vgpr 1
		.amdhsa_next_free_sgpr 0
		.amdhsa_reserve_vcc 0
		.amdhsa_reserve_flat_scratch 0
		.amdhsa_float_round_mode_32 0
		.amdhsa_float_round_mode_16_64 0
		.amdhsa_float_denorm_mode_32 3
		.amdhsa_float_denorm_mode_16_64 3
		.amdhsa_dx10_clamp 1
		.amdhsa_ieee_mode 1
		.amdhsa_fp16_overflow 0
		.amdhsa_exception_fp_ieee_invalid_op 0
		.amdhsa_exception_fp_denorm_src 0
		.amdhsa_exception_fp_ieee_div_zero 0
		.amdhsa_exception_fp_ieee_overflow 0
		.amdhsa_exception_fp_ieee_underflow 0
		.amdhsa_exception_fp_ieee_inexact 0
		.amdhsa_exception_int_div_zero 0
	.end_amdhsa_kernel
	.section	.text._ZN7rocprim17ROCPRIM_400000_NS6detail17trampoline_kernelINS0_14default_configENS1_38merge_sort_block_merge_config_selectorIdlEEZZNS1_27merge_sort_block_merge_implIS3_PdN6thrust23THRUST_200600_302600_NS10device_ptrIlEEjNS1_19radix_merge_compareILb0ELb0EdNS0_19identity_decomposerEEEEE10hipError_tT0_T1_T2_jT3_P12ihipStream_tbPNSt15iterator_traitsISG_E10value_typeEPNSM_ISH_E10value_typeEPSI_NS1_7vsmem_tEENKUlT_SG_SH_SI_E_clIS7_S7_PlSB_EESF_SV_SG_SH_SI_EUlSV_E_NS1_11comp_targetILNS1_3genE4ELNS1_11target_archE910ELNS1_3gpuE8ELNS1_3repE0EEENS1_48merge_mergepath_partition_config_static_selectorELNS0_4arch9wavefront6targetE1EEEvSH_,"axG",@progbits,_ZN7rocprim17ROCPRIM_400000_NS6detail17trampoline_kernelINS0_14default_configENS1_38merge_sort_block_merge_config_selectorIdlEEZZNS1_27merge_sort_block_merge_implIS3_PdN6thrust23THRUST_200600_302600_NS10device_ptrIlEEjNS1_19radix_merge_compareILb0ELb0EdNS0_19identity_decomposerEEEEE10hipError_tT0_T1_T2_jT3_P12ihipStream_tbPNSt15iterator_traitsISG_E10value_typeEPNSM_ISH_E10value_typeEPSI_NS1_7vsmem_tEENKUlT_SG_SH_SI_E_clIS7_S7_PlSB_EESF_SV_SG_SH_SI_EUlSV_E_NS1_11comp_targetILNS1_3genE4ELNS1_11target_archE910ELNS1_3gpuE8ELNS1_3repE0EEENS1_48merge_mergepath_partition_config_static_selectorELNS0_4arch9wavefront6targetE1EEEvSH_,comdat
.Lfunc_end1545:
	.size	_ZN7rocprim17ROCPRIM_400000_NS6detail17trampoline_kernelINS0_14default_configENS1_38merge_sort_block_merge_config_selectorIdlEEZZNS1_27merge_sort_block_merge_implIS3_PdN6thrust23THRUST_200600_302600_NS10device_ptrIlEEjNS1_19radix_merge_compareILb0ELb0EdNS0_19identity_decomposerEEEEE10hipError_tT0_T1_T2_jT3_P12ihipStream_tbPNSt15iterator_traitsISG_E10value_typeEPNSM_ISH_E10value_typeEPSI_NS1_7vsmem_tEENKUlT_SG_SH_SI_E_clIS7_S7_PlSB_EESF_SV_SG_SH_SI_EUlSV_E_NS1_11comp_targetILNS1_3genE4ELNS1_11target_archE910ELNS1_3gpuE8ELNS1_3repE0EEENS1_48merge_mergepath_partition_config_static_selectorELNS0_4arch9wavefront6targetE1EEEvSH_, .Lfunc_end1545-_ZN7rocprim17ROCPRIM_400000_NS6detail17trampoline_kernelINS0_14default_configENS1_38merge_sort_block_merge_config_selectorIdlEEZZNS1_27merge_sort_block_merge_implIS3_PdN6thrust23THRUST_200600_302600_NS10device_ptrIlEEjNS1_19radix_merge_compareILb0ELb0EdNS0_19identity_decomposerEEEEE10hipError_tT0_T1_T2_jT3_P12ihipStream_tbPNSt15iterator_traitsISG_E10value_typeEPNSM_ISH_E10value_typeEPSI_NS1_7vsmem_tEENKUlT_SG_SH_SI_E_clIS7_S7_PlSB_EESF_SV_SG_SH_SI_EUlSV_E_NS1_11comp_targetILNS1_3genE4ELNS1_11target_archE910ELNS1_3gpuE8ELNS1_3repE0EEENS1_48merge_mergepath_partition_config_static_selectorELNS0_4arch9wavefront6targetE1EEEvSH_
                                        ; -- End function
	.set _ZN7rocprim17ROCPRIM_400000_NS6detail17trampoline_kernelINS0_14default_configENS1_38merge_sort_block_merge_config_selectorIdlEEZZNS1_27merge_sort_block_merge_implIS3_PdN6thrust23THRUST_200600_302600_NS10device_ptrIlEEjNS1_19radix_merge_compareILb0ELb0EdNS0_19identity_decomposerEEEEE10hipError_tT0_T1_T2_jT3_P12ihipStream_tbPNSt15iterator_traitsISG_E10value_typeEPNSM_ISH_E10value_typeEPSI_NS1_7vsmem_tEENKUlT_SG_SH_SI_E_clIS7_S7_PlSB_EESF_SV_SG_SH_SI_EUlSV_E_NS1_11comp_targetILNS1_3genE4ELNS1_11target_archE910ELNS1_3gpuE8ELNS1_3repE0EEENS1_48merge_mergepath_partition_config_static_selectorELNS0_4arch9wavefront6targetE1EEEvSH_.num_vgpr, 0
	.set _ZN7rocprim17ROCPRIM_400000_NS6detail17trampoline_kernelINS0_14default_configENS1_38merge_sort_block_merge_config_selectorIdlEEZZNS1_27merge_sort_block_merge_implIS3_PdN6thrust23THRUST_200600_302600_NS10device_ptrIlEEjNS1_19radix_merge_compareILb0ELb0EdNS0_19identity_decomposerEEEEE10hipError_tT0_T1_T2_jT3_P12ihipStream_tbPNSt15iterator_traitsISG_E10value_typeEPNSM_ISH_E10value_typeEPSI_NS1_7vsmem_tEENKUlT_SG_SH_SI_E_clIS7_S7_PlSB_EESF_SV_SG_SH_SI_EUlSV_E_NS1_11comp_targetILNS1_3genE4ELNS1_11target_archE910ELNS1_3gpuE8ELNS1_3repE0EEENS1_48merge_mergepath_partition_config_static_selectorELNS0_4arch9wavefront6targetE1EEEvSH_.num_agpr, 0
	.set _ZN7rocprim17ROCPRIM_400000_NS6detail17trampoline_kernelINS0_14default_configENS1_38merge_sort_block_merge_config_selectorIdlEEZZNS1_27merge_sort_block_merge_implIS3_PdN6thrust23THRUST_200600_302600_NS10device_ptrIlEEjNS1_19radix_merge_compareILb0ELb0EdNS0_19identity_decomposerEEEEE10hipError_tT0_T1_T2_jT3_P12ihipStream_tbPNSt15iterator_traitsISG_E10value_typeEPNSM_ISH_E10value_typeEPSI_NS1_7vsmem_tEENKUlT_SG_SH_SI_E_clIS7_S7_PlSB_EESF_SV_SG_SH_SI_EUlSV_E_NS1_11comp_targetILNS1_3genE4ELNS1_11target_archE910ELNS1_3gpuE8ELNS1_3repE0EEENS1_48merge_mergepath_partition_config_static_selectorELNS0_4arch9wavefront6targetE1EEEvSH_.numbered_sgpr, 0
	.set _ZN7rocprim17ROCPRIM_400000_NS6detail17trampoline_kernelINS0_14default_configENS1_38merge_sort_block_merge_config_selectorIdlEEZZNS1_27merge_sort_block_merge_implIS3_PdN6thrust23THRUST_200600_302600_NS10device_ptrIlEEjNS1_19radix_merge_compareILb0ELb0EdNS0_19identity_decomposerEEEEE10hipError_tT0_T1_T2_jT3_P12ihipStream_tbPNSt15iterator_traitsISG_E10value_typeEPNSM_ISH_E10value_typeEPSI_NS1_7vsmem_tEENKUlT_SG_SH_SI_E_clIS7_S7_PlSB_EESF_SV_SG_SH_SI_EUlSV_E_NS1_11comp_targetILNS1_3genE4ELNS1_11target_archE910ELNS1_3gpuE8ELNS1_3repE0EEENS1_48merge_mergepath_partition_config_static_selectorELNS0_4arch9wavefront6targetE1EEEvSH_.num_named_barrier, 0
	.set _ZN7rocprim17ROCPRIM_400000_NS6detail17trampoline_kernelINS0_14default_configENS1_38merge_sort_block_merge_config_selectorIdlEEZZNS1_27merge_sort_block_merge_implIS3_PdN6thrust23THRUST_200600_302600_NS10device_ptrIlEEjNS1_19radix_merge_compareILb0ELb0EdNS0_19identity_decomposerEEEEE10hipError_tT0_T1_T2_jT3_P12ihipStream_tbPNSt15iterator_traitsISG_E10value_typeEPNSM_ISH_E10value_typeEPSI_NS1_7vsmem_tEENKUlT_SG_SH_SI_E_clIS7_S7_PlSB_EESF_SV_SG_SH_SI_EUlSV_E_NS1_11comp_targetILNS1_3genE4ELNS1_11target_archE910ELNS1_3gpuE8ELNS1_3repE0EEENS1_48merge_mergepath_partition_config_static_selectorELNS0_4arch9wavefront6targetE1EEEvSH_.private_seg_size, 0
	.set _ZN7rocprim17ROCPRIM_400000_NS6detail17trampoline_kernelINS0_14default_configENS1_38merge_sort_block_merge_config_selectorIdlEEZZNS1_27merge_sort_block_merge_implIS3_PdN6thrust23THRUST_200600_302600_NS10device_ptrIlEEjNS1_19radix_merge_compareILb0ELb0EdNS0_19identity_decomposerEEEEE10hipError_tT0_T1_T2_jT3_P12ihipStream_tbPNSt15iterator_traitsISG_E10value_typeEPNSM_ISH_E10value_typeEPSI_NS1_7vsmem_tEENKUlT_SG_SH_SI_E_clIS7_S7_PlSB_EESF_SV_SG_SH_SI_EUlSV_E_NS1_11comp_targetILNS1_3genE4ELNS1_11target_archE910ELNS1_3gpuE8ELNS1_3repE0EEENS1_48merge_mergepath_partition_config_static_selectorELNS0_4arch9wavefront6targetE1EEEvSH_.uses_vcc, 0
	.set _ZN7rocprim17ROCPRIM_400000_NS6detail17trampoline_kernelINS0_14default_configENS1_38merge_sort_block_merge_config_selectorIdlEEZZNS1_27merge_sort_block_merge_implIS3_PdN6thrust23THRUST_200600_302600_NS10device_ptrIlEEjNS1_19radix_merge_compareILb0ELb0EdNS0_19identity_decomposerEEEEE10hipError_tT0_T1_T2_jT3_P12ihipStream_tbPNSt15iterator_traitsISG_E10value_typeEPNSM_ISH_E10value_typeEPSI_NS1_7vsmem_tEENKUlT_SG_SH_SI_E_clIS7_S7_PlSB_EESF_SV_SG_SH_SI_EUlSV_E_NS1_11comp_targetILNS1_3genE4ELNS1_11target_archE910ELNS1_3gpuE8ELNS1_3repE0EEENS1_48merge_mergepath_partition_config_static_selectorELNS0_4arch9wavefront6targetE1EEEvSH_.uses_flat_scratch, 0
	.set _ZN7rocprim17ROCPRIM_400000_NS6detail17trampoline_kernelINS0_14default_configENS1_38merge_sort_block_merge_config_selectorIdlEEZZNS1_27merge_sort_block_merge_implIS3_PdN6thrust23THRUST_200600_302600_NS10device_ptrIlEEjNS1_19radix_merge_compareILb0ELb0EdNS0_19identity_decomposerEEEEE10hipError_tT0_T1_T2_jT3_P12ihipStream_tbPNSt15iterator_traitsISG_E10value_typeEPNSM_ISH_E10value_typeEPSI_NS1_7vsmem_tEENKUlT_SG_SH_SI_E_clIS7_S7_PlSB_EESF_SV_SG_SH_SI_EUlSV_E_NS1_11comp_targetILNS1_3genE4ELNS1_11target_archE910ELNS1_3gpuE8ELNS1_3repE0EEENS1_48merge_mergepath_partition_config_static_selectorELNS0_4arch9wavefront6targetE1EEEvSH_.has_dyn_sized_stack, 0
	.set _ZN7rocprim17ROCPRIM_400000_NS6detail17trampoline_kernelINS0_14default_configENS1_38merge_sort_block_merge_config_selectorIdlEEZZNS1_27merge_sort_block_merge_implIS3_PdN6thrust23THRUST_200600_302600_NS10device_ptrIlEEjNS1_19radix_merge_compareILb0ELb0EdNS0_19identity_decomposerEEEEE10hipError_tT0_T1_T2_jT3_P12ihipStream_tbPNSt15iterator_traitsISG_E10value_typeEPNSM_ISH_E10value_typeEPSI_NS1_7vsmem_tEENKUlT_SG_SH_SI_E_clIS7_S7_PlSB_EESF_SV_SG_SH_SI_EUlSV_E_NS1_11comp_targetILNS1_3genE4ELNS1_11target_archE910ELNS1_3gpuE8ELNS1_3repE0EEENS1_48merge_mergepath_partition_config_static_selectorELNS0_4arch9wavefront6targetE1EEEvSH_.has_recursion, 0
	.set _ZN7rocprim17ROCPRIM_400000_NS6detail17trampoline_kernelINS0_14default_configENS1_38merge_sort_block_merge_config_selectorIdlEEZZNS1_27merge_sort_block_merge_implIS3_PdN6thrust23THRUST_200600_302600_NS10device_ptrIlEEjNS1_19radix_merge_compareILb0ELb0EdNS0_19identity_decomposerEEEEE10hipError_tT0_T1_T2_jT3_P12ihipStream_tbPNSt15iterator_traitsISG_E10value_typeEPNSM_ISH_E10value_typeEPSI_NS1_7vsmem_tEENKUlT_SG_SH_SI_E_clIS7_S7_PlSB_EESF_SV_SG_SH_SI_EUlSV_E_NS1_11comp_targetILNS1_3genE4ELNS1_11target_archE910ELNS1_3gpuE8ELNS1_3repE0EEENS1_48merge_mergepath_partition_config_static_selectorELNS0_4arch9wavefront6targetE1EEEvSH_.has_indirect_call, 0
	.section	.AMDGPU.csdata,"",@progbits
; Kernel info:
; codeLenInByte = 0
; TotalNumSgprs: 4
; NumVgprs: 0
; ScratchSize: 0
; MemoryBound: 0
; FloatMode: 240
; IeeeMode: 1
; LDSByteSize: 0 bytes/workgroup (compile time only)
; SGPRBlocks: 0
; VGPRBlocks: 0
; NumSGPRsForWavesPerEU: 4
; NumVGPRsForWavesPerEU: 1
; Occupancy: 10
; WaveLimiterHint : 0
; COMPUTE_PGM_RSRC2:SCRATCH_EN: 0
; COMPUTE_PGM_RSRC2:USER_SGPR: 6
; COMPUTE_PGM_RSRC2:TRAP_HANDLER: 0
; COMPUTE_PGM_RSRC2:TGID_X_EN: 1
; COMPUTE_PGM_RSRC2:TGID_Y_EN: 0
; COMPUTE_PGM_RSRC2:TGID_Z_EN: 0
; COMPUTE_PGM_RSRC2:TIDIG_COMP_CNT: 0
	.section	.text._ZN7rocprim17ROCPRIM_400000_NS6detail17trampoline_kernelINS0_14default_configENS1_38merge_sort_block_merge_config_selectorIdlEEZZNS1_27merge_sort_block_merge_implIS3_PdN6thrust23THRUST_200600_302600_NS10device_ptrIlEEjNS1_19radix_merge_compareILb0ELb0EdNS0_19identity_decomposerEEEEE10hipError_tT0_T1_T2_jT3_P12ihipStream_tbPNSt15iterator_traitsISG_E10value_typeEPNSM_ISH_E10value_typeEPSI_NS1_7vsmem_tEENKUlT_SG_SH_SI_E_clIS7_S7_PlSB_EESF_SV_SG_SH_SI_EUlSV_E_NS1_11comp_targetILNS1_3genE3ELNS1_11target_archE908ELNS1_3gpuE7ELNS1_3repE0EEENS1_48merge_mergepath_partition_config_static_selectorELNS0_4arch9wavefront6targetE1EEEvSH_,"axG",@progbits,_ZN7rocprim17ROCPRIM_400000_NS6detail17trampoline_kernelINS0_14default_configENS1_38merge_sort_block_merge_config_selectorIdlEEZZNS1_27merge_sort_block_merge_implIS3_PdN6thrust23THRUST_200600_302600_NS10device_ptrIlEEjNS1_19radix_merge_compareILb0ELb0EdNS0_19identity_decomposerEEEEE10hipError_tT0_T1_T2_jT3_P12ihipStream_tbPNSt15iterator_traitsISG_E10value_typeEPNSM_ISH_E10value_typeEPSI_NS1_7vsmem_tEENKUlT_SG_SH_SI_E_clIS7_S7_PlSB_EESF_SV_SG_SH_SI_EUlSV_E_NS1_11comp_targetILNS1_3genE3ELNS1_11target_archE908ELNS1_3gpuE7ELNS1_3repE0EEENS1_48merge_mergepath_partition_config_static_selectorELNS0_4arch9wavefront6targetE1EEEvSH_,comdat
	.protected	_ZN7rocprim17ROCPRIM_400000_NS6detail17trampoline_kernelINS0_14default_configENS1_38merge_sort_block_merge_config_selectorIdlEEZZNS1_27merge_sort_block_merge_implIS3_PdN6thrust23THRUST_200600_302600_NS10device_ptrIlEEjNS1_19radix_merge_compareILb0ELb0EdNS0_19identity_decomposerEEEEE10hipError_tT0_T1_T2_jT3_P12ihipStream_tbPNSt15iterator_traitsISG_E10value_typeEPNSM_ISH_E10value_typeEPSI_NS1_7vsmem_tEENKUlT_SG_SH_SI_E_clIS7_S7_PlSB_EESF_SV_SG_SH_SI_EUlSV_E_NS1_11comp_targetILNS1_3genE3ELNS1_11target_archE908ELNS1_3gpuE7ELNS1_3repE0EEENS1_48merge_mergepath_partition_config_static_selectorELNS0_4arch9wavefront6targetE1EEEvSH_ ; -- Begin function _ZN7rocprim17ROCPRIM_400000_NS6detail17trampoline_kernelINS0_14default_configENS1_38merge_sort_block_merge_config_selectorIdlEEZZNS1_27merge_sort_block_merge_implIS3_PdN6thrust23THRUST_200600_302600_NS10device_ptrIlEEjNS1_19radix_merge_compareILb0ELb0EdNS0_19identity_decomposerEEEEE10hipError_tT0_T1_T2_jT3_P12ihipStream_tbPNSt15iterator_traitsISG_E10value_typeEPNSM_ISH_E10value_typeEPSI_NS1_7vsmem_tEENKUlT_SG_SH_SI_E_clIS7_S7_PlSB_EESF_SV_SG_SH_SI_EUlSV_E_NS1_11comp_targetILNS1_3genE3ELNS1_11target_archE908ELNS1_3gpuE7ELNS1_3repE0EEENS1_48merge_mergepath_partition_config_static_selectorELNS0_4arch9wavefront6targetE1EEEvSH_
	.globl	_ZN7rocprim17ROCPRIM_400000_NS6detail17trampoline_kernelINS0_14default_configENS1_38merge_sort_block_merge_config_selectorIdlEEZZNS1_27merge_sort_block_merge_implIS3_PdN6thrust23THRUST_200600_302600_NS10device_ptrIlEEjNS1_19radix_merge_compareILb0ELb0EdNS0_19identity_decomposerEEEEE10hipError_tT0_T1_T2_jT3_P12ihipStream_tbPNSt15iterator_traitsISG_E10value_typeEPNSM_ISH_E10value_typeEPSI_NS1_7vsmem_tEENKUlT_SG_SH_SI_E_clIS7_S7_PlSB_EESF_SV_SG_SH_SI_EUlSV_E_NS1_11comp_targetILNS1_3genE3ELNS1_11target_archE908ELNS1_3gpuE7ELNS1_3repE0EEENS1_48merge_mergepath_partition_config_static_selectorELNS0_4arch9wavefront6targetE1EEEvSH_
	.p2align	8
	.type	_ZN7rocprim17ROCPRIM_400000_NS6detail17trampoline_kernelINS0_14default_configENS1_38merge_sort_block_merge_config_selectorIdlEEZZNS1_27merge_sort_block_merge_implIS3_PdN6thrust23THRUST_200600_302600_NS10device_ptrIlEEjNS1_19radix_merge_compareILb0ELb0EdNS0_19identity_decomposerEEEEE10hipError_tT0_T1_T2_jT3_P12ihipStream_tbPNSt15iterator_traitsISG_E10value_typeEPNSM_ISH_E10value_typeEPSI_NS1_7vsmem_tEENKUlT_SG_SH_SI_E_clIS7_S7_PlSB_EESF_SV_SG_SH_SI_EUlSV_E_NS1_11comp_targetILNS1_3genE3ELNS1_11target_archE908ELNS1_3gpuE7ELNS1_3repE0EEENS1_48merge_mergepath_partition_config_static_selectorELNS0_4arch9wavefront6targetE1EEEvSH_,@function
_ZN7rocprim17ROCPRIM_400000_NS6detail17trampoline_kernelINS0_14default_configENS1_38merge_sort_block_merge_config_selectorIdlEEZZNS1_27merge_sort_block_merge_implIS3_PdN6thrust23THRUST_200600_302600_NS10device_ptrIlEEjNS1_19radix_merge_compareILb0ELb0EdNS0_19identity_decomposerEEEEE10hipError_tT0_T1_T2_jT3_P12ihipStream_tbPNSt15iterator_traitsISG_E10value_typeEPNSM_ISH_E10value_typeEPSI_NS1_7vsmem_tEENKUlT_SG_SH_SI_E_clIS7_S7_PlSB_EESF_SV_SG_SH_SI_EUlSV_E_NS1_11comp_targetILNS1_3genE3ELNS1_11target_archE908ELNS1_3gpuE7ELNS1_3repE0EEENS1_48merge_mergepath_partition_config_static_selectorELNS0_4arch9wavefront6targetE1EEEvSH_: ; @_ZN7rocprim17ROCPRIM_400000_NS6detail17trampoline_kernelINS0_14default_configENS1_38merge_sort_block_merge_config_selectorIdlEEZZNS1_27merge_sort_block_merge_implIS3_PdN6thrust23THRUST_200600_302600_NS10device_ptrIlEEjNS1_19radix_merge_compareILb0ELb0EdNS0_19identity_decomposerEEEEE10hipError_tT0_T1_T2_jT3_P12ihipStream_tbPNSt15iterator_traitsISG_E10value_typeEPNSM_ISH_E10value_typeEPSI_NS1_7vsmem_tEENKUlT_SG_SH_SI_E_clIS7_S7_PlSB_EESF_SV_SG_SH_SI_EUlSV_E_NS1_11comp_targetILNS1_3genE3ELNS1_11target_archE908ELNS1_3gpuE7ELNS1_3repE0EEENS1_48merge_mergepath_partition_config_static_selectorELNS0_4arch9wavefront6targetE1EEEvSH_
; %bb.0:
	.section	.rodata,"a",@progbits
	.p2align	6, 0x0
	.amdhsa_kernel _ZN7rocprim17ROCPRIM_400000_NS6detail17trampoline_kernelINS0_14default_configENS1_38merge_sort_block_merge_config_selectorIdlEEZZNS1_27merge_sort_block_merge_implIS3_PdN6thrust23THRUST_200600_302600_NS10device_ptrIlEEjNS1_19radix_merge_compareILb0ELb0EdNS0_19identity_decomposerEEEEE10hipError_tT0_T1_T2_jT3_P12ihipStream_tbPNSt15iterator_traitsISG_E10value_typeEPNSM_ISH_E10value_typeEPSI_NS1_7vsmem_tEENKUlT_SG_SH_SI_E_clIS7_S7_PlSB_EESF_SV_SG_SH_SI_EUlSV_E_NS1_11comp_targetILNS1_3genE3ELNS1_11target_archE908ELNS1_3gpuE7ELNS1_3repE0EEENS1_48merge_mergepath_partition_config_static_selectorELNS0_4arch9wavefront6targetE1EEEvSH_
		.amdhsa_group_segment_fixed_size 0
		.amdhsa_private_segment_fixed_size 0
		.amdhsa_kernarg_size 40
		.amdhsa_user_sgpr_count 6
		.amdhsa_user_sgpr_private_segment_buffer 1
		.amdhsa_user_sgpr_dispatch_ptr 0
		.amdhsa_user_sgpr_queue_ptr 0
		.amdhsa_user_sgpr_kernarg_segment_ptr 1
		.amdhsa_user_sgpr_dispatch_id 0
		.amdhsa_user_sgpr_flat_scratch_init 0
		.amdhsa_user_sgpr_private_segment_size 0
		.amdhsa_uses_dynamic_stack 0
		.amdhsa_system_sgpr_private_segment_wavefront_offset 0
		.amdhsa_system_sgpr_workgroup_id_x 1
		.amdhsa_system_sgpr_workgroup_id_y 0
		.amdhsa_system_sgpr_workgroup_id_z 0
		.amdhsa_system_sgpr_workgroup_info 0
		.amdhsa_system_vgpr_workitem_id 0
		.amdhsa_next_free_vgpr 1
		.amdhsa_next_free_sgpr 0
		.amdhsa_reserve_vcc 0
		.amdhsa_reserve_flat_scratch 0
		.amdhsa_float_round_mode_32 0
		.amdhsa_float_round_mode_16_64 0
		.amdhsa_float_denorm_mode_32 3
		.amdhsa_float_denorm_mode_16_64 3
		.amdhsa_dx10_clamp 1
		.amdhsa_ieee_mode 1
		.amdhsa_fp16_overflow 0
		.amdhsa_exception_fp_ieee_invalid_op 0
		.amdhsa_exception_fp_denorm_src 0
		.amdhsa_exception_fp_ieee_div_zero 0
		.amdhsa_exception_fp_ieee_overflow 0
		.amdhsa_exception_fp_ieee_underflow 0
		.amdhsa_exception_fp_ieee_inexact 0
		.amdhsa_exception_int_div_zero 0
	.end_amdhsa_kernel
	.section	.text._ZN7rocprim17ROCPRIM_400000_NS6detail17trampoline_kernelINS0_14default_configENS1_38merge_sort_block_merge_config_selectorIdlEEZZNS1_27merge_sort_block_merge_implIS3_PdN6thrust23THRUST_200600_302600_NS10device_ptrIlEEjNS1_19radix_merge_compareILb0ELb0EdNS0_19identity_decomposerEEEEE10hipError_tT0_T1_T2_jT3_P12ihipStream_tbPNSt15iterator_traitsISG_E10value_typeEPNSM_ISH_E10value_typeEPSI_NS1_7vsmem_tEENKUlT_SG_SH_SI_E_clIS7_S7_PlSB_EESF_SV_SG_SH_SI_EUlSV_E_NS1_11comp_targetILNS1_3genE3ELNS1_11target_archE908ELNS1_3gpuE7ELNS1_3repE0EEENS1_48merge_mergepath_partition_config_static_selectorELNS0_4arch9wavefront6targetE1EEEvSH_,"axG",@progbits,_ZN7rocprim17ROCPRIM_400000_NS6detail17trampoline_kernelINS0_14default_configENS1_38merge_sort_block_merge_config_selectorIdlEEZZNS1_27merge_sort_block_merge_implIS3_PdN6thrust23THRUST_200600_302600_NS10device_ptrIlEEjNS1_19radix_merge_compareILb0ELb0EdNS0_19identity_decomposerEEEEE10hipError_tT0_T1_T2_jT3_P12ihipStream_tbPNSt15iterator_traitsISG_E10value_typeEPNSM_ISH_E10value_typeEPSI_NS1_7vsmem_tEENKUlT_SG_SH_SI_E_clIS7_S7_PlSB_EESF_SV_SG_SH_SI_EUlSV_E_NS1_11comp_targetILNS1_3genE3ELNS1_11target_archE908ELNS1_3gpuE7ELNS1_3repE0EEENS1_48merge_mergepath_partition_config_static_selectorELNS0_4arch9wavefront6targetE1EEEvSH_,comdat
.Lfunc_end1546:
	.size	_ZN7rocprim17ROCPRIM_400000_NS6detail17trampoline_kernelINS0_14default_configENS1_38merge_sort_block_merge_config_selectorIdlEEZZNS1_27merge_sort_block_merge_implIS3_PdN6thrust23THRUST_200600_302600_NS10device_ptrIlEEjNS1_19radix_merge_compareILb0ELb0EdNS0_19identity_decomposerEEEEE10hipError_tT0_T1_T2_jT3_P12ihipStream_tbPNSt15iterator_traitsISG_E10value_typeEPNSM_ISH_E10value_typeEPSI_NS1_7vsmem_tEENKUlT_SG_SH_SI_E_clIS7_S7_PlSB_EESF_SV_SG_SH_SI_EUlSV_E_NS1_11comp_targetILNS1_3genE3ELNS1_11target_archE908ELNS1_3gpuE7ELNS1_3repE0EEENS1_48merge_mergepath_partition_config_static_selectorELNS0_4arch9wavefront6targetE1EEEvSH_, .Lfunc_end1546-_ZN7rocprim17ROCPRIM_400000_NS6detail17trampoline_kernelINS0_14default_configENS1_38merge_sort_block_merge_config_selectorIdlEEZZNS1_27merge_sort_block_merge_implIS3_PdN6thrust23THRUST_200600_302600_NS10device_ptrIlEEjNS1_19radix_merge_compareILb0ELb0EdNS0_19identity_decomposerEEEEE10hipError_tT0_T1_T2_jT3_P12ihipStream_tbPNSt15iterator_traitsISG_E10value_typeEPNSM_ISH_E10value_typeEPSI_NS1_7vsmem_tEENKUlT_SG_SH_SI_E_clIS7_S7_PlSB_EESF_SV_SG_SH_SI_EUlSV_E_NS1_11comp_targetILNS1_3genE3ELNS1_11target_archE908ELNS1_3gpuE7ELNS1_3repE0EEENS1_48merge_mergepath_partition_config_static_selectorELNS0_4arch9wavefront6targetE1EEEvSH_
                                        ; -- End function
	.set _ZN7rocprim17ROCPRIM_400000_NS6detail17trampoline_kernelINS0_14default_configENS1_38merge_sort_block_merge_config_selectorIdlEEZZNS1_27merge_sort_block_merge_implIS3_PdN6thrust23THRUST_200600_302600_NS10device_ptrIlEEjNS1_19radix_merge_compareILb0ELb0EdNS0_19identity_decomposerEEEEE10hipError_tT0_T1_T2_jT3_P12ihipStream_tbPNSt15iterator_traitsISG_E10value_typeEPNSM_ISH_E10value_typeEPSI_NS1_7vsmem_tEENKUlT_SG_SH_SI_E_clIS7_S7_PlSB_EESF_SV_SG_SH_SI_EUlSV_E_NS1_11comp_targetILNS1_3genE3ELNS1_11target_archE908ELNS1_3gpuE7ELNS1_3repE0EEENS1_48merge_mergepath_partition_config_static_selectorELNS0_4arch9wavefront6targetE1EEEvSH_.num_vgpr, 0
	.set _ZN7rocprim17ROCPRIM_400000_NS6detail17trampoline_kernelINS0_14default_configENS1_38merge_sort_block_merge_config_selectorIdlEEZZNS1_27merge_sort_block_merge_implIS3_PdN6thrust23THRUST_200600_302600_NS10device_ptrIlEEjNS1_19radix_merge_compareILb0ELb0EdNS0_19identity_decomposerEEEEE10hipError_tT0_T1_T2_jT3_P12ihipStream_tbPNSt15iterator_traitsISG_E10value_typeEPNSM_ISH_E10value_typeEPSI_NS1_7vsmem_tEENKUlT_SG_SH_SI_E_clIS7_S7_PlSB_EESF_SV_SG_SH_SI_EUlSV_E_NS1_11comp_targetILNS1_3genE3ELNS1_11target_archE908ELNS1_3gpuE7ELNS1_3repE0EEENS1_48merge_mergepath_partition_config_static_selectorELNS0_4arch9wavefront6targetE1EEEvSH_.num_agpr, 0
	.set _ZN7rocprim17ROCPRIM_400000_NS6detail17trampoline_kernelINS0_14default_configENS1_38merge_sort_block_merge_config_selectorIdlEEZZNS1_27merge_sort_block_merge_implIS3_PdN6thrust23THRUST_200600_302600_NS10device_ptrIlEEjNS1_19radix_merge_compareILb0ELb0EdNS0_19identity_decomposerEEEEE10hipError_tT0_T1_T2_jT3_P12ihipStream_tbPNSt15iterator_traitsISG_E10value_typeEPNSM_ISH_E10value_typeEPSI_NS1_7vsmem_tEENKUlT_SG_SH_SI_E_clIS7_S7_PlSB_EESF_SV_SG_SH_SI_EUlSV_E_NS1_11comp_targetILNS1_3genE3ELNS1_11target_archE908ELNS1_3gpuE7ELNS1_3repE0EEENS1_48merge_mergepath_partition_config_static_selectorELNS0_4arch9wavefront6targetE1EEEvSH_.numbered_sgpr, 0
	.set _ZN7rocprim17ROCPRIM_400000_NS6detail17trampoline_kernelINS0_14default_configENS1_38merge_sort_block_merge_config_selectorIdlEEZZNS1_27merge_sort_block_merge_implIS3_PdN6thrust23THRUST_200600_302600_NS10device_ptrIlEEjNS1_19radix_merge_compareILb0ELb0EdNS0_19identity_decomposerEEEEE10hipError_tT0_T1_T2_jT3_P12ihipStream_tbPNSt15iterator_traitsISG_E10value_typeEPNSM_ISH_E10value_typeEPSI_NS1_7vsmem_tEENKUlT_SG_SH_SI_E_clIS7_S7_PlSB_EESF_SV_SG_SH_SI_EUlSV_E_NS1_11comp_targetILNS1_3genE3ELNS1_11target_archE908ELNS1_3gpuE7ELNS1_3repE0EEENS1_48merge_mergepath_partition_config_static_selectorELNS0_4arch9wavefront6targetE1EEEvSH_.num_named_barrier, 0
	.set _ZN7rocprim17ROCPRIM_400000_NS6detail17trampoline_kernelINS0_14default_configENS1_38merge_sort_block_merge_config_selectorIdlEEZZNS1_27merge_sort_block_merge_implIS3_PdN6thrust23THRUST_200600_302600_NS10device_ptrIlEEjNS1_19radix_merge_compareILb0ELb0EdNS0_19identity_decomposerEEEEE10hipError_tT0_T1_T2_jT3_P12ihipStream_tbPNSt15iterator_traitsISG_E10value_typeEPNSM_ISH_E10value_typeEPSI_NS1_7vsmem_tEENKUlT_SG_SH_SI_E_clIS7_S7_PlSB_EESF_SV_SG_SH_SI_EUlSV_E_NS1_11comp_targetILNS1_3genE3ELNS1_11target_archE908ELNS1_3gpuE7ELNS1_3repE0EEENS1_48merge_mergepath_partition_config_static_selectorELNS0_4arch9wavefront6targetE1EEEvSH_.private_seg_size, 0
	.set _ZN7rocprim17ROCPRIM_400000_NS6detail17trampoline_kernelINS0_14default_configENS1_38merge_sort_block_merge_config_selectorIdlEEZZNS1_27merge_sort_block_merge_implIS3_PdN6thrust23THRUST_200600_302600_NS10device_ptrIlEEjNS1_19radix_merge_compareILb0ELb0EdNS0_19identity_decomposerEEEEE10hipError_tT0_T1_T2_jT3_P12ihipStream_tbPNSt15iterator_traitsISG_E10value_typeEPNSM_ISH_E10value_typeEPSI_NS1_7vsmem_tEENKUlT_SG_SH_SI_E_clIS7_S7_PlSB_EESF_SV_SG_SH_SI_EUlSV_E_NS1_11comp_targetILNS1_3genE3ELNS1_11target_archE908ELNS1_3gpuE7ELNS1_3repE0EEENS1_48merge_mergepath_partition_config_static_selectorELNS0_4arch9wavefront6targetE1EEEvSH_.uses_vcc, 0
	.set _ZN7rocprim17ROCPRIM_400000_NS6detail17trampoline_kernelINS0_14default_configENS1_38merge_sort_block_merge_config_selectorIdlEEZZNS1_27merge_sort_block_merge_implIS3_PdN6thrust23THRUST_200600_302600_NS10device_ptrIlEEjNS1_19radix_merge_compareILb0ELb0EdNS0_19identity_decomposerEEEEE10hipError_tT0_T1_T2_jT3_P12ihipStream_tbPNSt15iterator_traitsISG_E10value_typeEPNSM_ISH_E10value_typeEPSI_NS1_7vsmem_tEENKUlT_SG_SH_SI_E_clIS7_S7_PlSB_EESF_SV_SG_SH_SI_EUlSV_E_NS1_11comp_targetILNS1_3genE3ELNS1_11target_archE908ELNS1_3gpuE7ELNS1_3repE0EEENS1_48merge_mergepath_partition_config_static_selectorELNS0_4arch9wavefront6targetE1EEEvSH_.uses_flat_scratch, 0
	.set _ZN7rocprim17ROCPRIM_400000_NS6detail17trampoline_kernelINS0_14default_configENS1_38merge_sort_block_merge_config_selectorIdlEEZZNS1_27merge_sort_block_merge_implIS3_PdN6thrust23THRUST_200600_302600_NS10device_ptrIlEEjNS1_19radix_merge_compareILb0ELb0EdNS0_19identity_decomposerEEEEE10hipError_tT0_T1_T2_jT3_P12ihipStream_tbPNSt15iterator_traitsISG_E10value_typeEPNSM_ISH_E10value_typeEPSI_NS1_7vsmem_tEENKUlT_SG_SH_SI_E_clIS7_S7_PlSB_EESF_SV_SG_SH_SI_EUlSV_E_NS1_11comp_targetILNS1_3genE3ELNS1_11target_archE908ELNS1_3gpuE7ELNS1_3repE0EEENS1_48merge_mergepath_partition_config_static_selectorELNS0_4arch9wavefront6targetE1EEEvSH_.has_dyn_sized_stack, 0
	.set _ZN7rocprim17ROCPRIM_400000_NS6detail17trampoline_kernelINS0_14default_configENS1_38merge_sort_block_merge_config_selectorIdlEEZZNS1_27merge_sort_block_merge_implIS3_PdN6thrust23THRUST_200600_302600_NS10device_ptrIlEEjNS1_19radix_merge_compareILb0ELb0EdNS0_19identity_decomposerEEEEE10hipError_tT0_T1_T2_jT3_P12ihipStream_tbPNSt15iterator_traitsISG_E10value_typeEPNSM_ISH_E10value_typeEPSI_NS1_7vsmem_tEENKUlT_SG_SH_SI_E_clIS7_S7_PlSB_EESF_SV_SG_SH_SI_EUlSV_E_NS1_11comp_targetILNS1_3genE3ELNS1_11target_archE908ELNS1_3gpuE7ELNS1_3repE0EEENS1_48merge_mergepath_partition_config_static_selectorELNS0_4arch9wavefront6targetE1EEEvSH_.has_recursion, 0
	.set _ZN7rocprim17ROCPRIM_400000_NS6detail17trampoline_kernelINS0_14default_configENS1_38merge_sort_block_merge_config_selectorIdlEEZZNS1_27merge_sort_block_merge_implIS3_PdN6thrust23THRUST_200600_302600_NS10device_ptrIlEEjNS1_19radix_merge_compareILb0ELb0EdNS0_19identity_decomposerEEEEE10hipError_tT0_T1_T2_jT3_P12ihipStream_tbPNSt15iterator_traitsISG_E10value_typeEPNSM_ISH_E10value_typeEPSI_NS1_7vsmem_tEENKUlT_SG_SH_SI_E_clIS7_S7_PlSB_EESF_SV_SG_SH_SI_EUlSV_E_NS1_11comp_targetILNS1_3genE3ELNS1_11target_archE908ELNS1_3gpuE7ELNS1_3repE0EEENS1_48merge_mergepath_partition_config_static_selectorELNS0_4arch9wavefront6targetE1EEEvSH_.has_indirect_call, 0
	.section	.AMDGPU.csdata,"",@progbits
; Kernel info:
; codeLenInByte = 0
; TotalNumSgprs: 4
; NumVgprs: 0
; ScratchSize: 0
; MemoryBound: 0
; FloatMode: 240
; IeeeMode: 1
; LDSByteSize: 0 bytes/workgroup (compile time only)
; SGPRBlocks: 0
; VGPRBlocks: 0
; NumSGPRsForWavesPerEU: 4
; NumVGPRsForWavesPerEU: 1
; Occupancy: 10
; WaveLimiterHint : 0
; COMPUTE_PGM_RSRC2:SCRATCH_EN: 0
; COMPUTE_PGM_RSRC2:USER_SGPR: 6
; COMPUTE_PGM_RSRC2:TRAP_HANDLER: 0
; COMPUTE_PGM_RSRC2:TGID_X_EN: 1
; COMPUTE_PGM_RSRC2:TGID_Y_EN: 0
; COMPUTE_PGM_RSRC2:TGID_Z_EN: 0
; COMPUTE_PGM_RSRC2:TIDIG_COMP_CNT: 0
	.section	.text._ZN7rocprim17ROCPRIM_400000_NS6detail17trampoline_kernelINS0_14default_configENS1_38merge_sort_block_merge_config_selectorIdlEEZZNS1_27merge_sort_block_merge_implIS3_PdN6thrust23THRUST_200600_302600_NS10device_ptrIlEEjNS1_19radix_merge_compareILb0ELb0EdNS0_19identity_decomposerEEEEE10hipError_tT0_T1_T2_jT3_P12ihipStream_tbPNSt15iterator_traitsISG_E10value_typeEPNSM_ISH_E10value_typeEPSI_NS1_7vsmem_tEENKUlT_SG_SH_SI_E_clIS7_S7_PlSB_EESF_SV_SG_SH_SI_EUlSV_E_NS1_11comp_targetILNS1_3genE2ELNS1_11target_archE906ELNS1_3gpuE6ELNS1_3repE0EEENS1_48merge_mergepath_partition_config_static_selectorELNS0_4arch9wavefront6targetE1EEEvSH_,"axG",@progbits,_ZN7rocprim17ROCPRIM_400000_NS6detail17trampoline_kernelINS0_14default_configENS1_38merge_sort_block_merge_config_selectorIdlEEZZNS1_27merge_sort_block_merge_implIS3_PdN6thrust23THRUST_200600_302600_NS10device_ptrIlEEjNS1_19radix_merge_compareILb0ELb0EdNS0_19identity_decomposerEEEEE10hipError_tT0_T1_T2_jT3_P12ihipStream_tbPNSt15iterator_traitsISG_E10value_typeEPNSM_ISH_E10value_typeEPSI_NS1_7vsmem_tEENKUlT_SG_SH_SI_E_clIS7_S7_PlSB_EESF_SV_SG_SH_SI_EUlSV_E_NS1_11comp_targetILNS1_3genE2ELNS1_11target_archE906ELNS1_3gpuE6ELNS1_3repE0EEENS1_48merge_mergepath_partition_config_static_selectorELNS0_4arch9wavefront6targetE1EEEvSH_,comdat
	.protected	_ZN7rocprim17ROCPRIM_400000_NS6detail17trampoline_kernelINS0_14default_configENS1_38merge_sort_block_merge_config_selectorIdlEEZZNS1_27merge_sort_block_merge_implIS3_PdN6thrust23THRUST_200600_302600_NS10device_ptrIlEEjNS1_19radix_merge_compareILb0ELb0EdNS0_19identity_decomposerEEEEE10hipError_tT0_T1_T2_jT3_P12ihipStream_tbPNSt15iterator_traitsISG_E10value_typeEPNSM_ISH_E10value_typeEPSI_NS1_7vsmem_tEENKUlT_SG_SH_SI_E_clIS7_S7_PlSB_EESF_SV_SG_SH_SI_EUlSV_E_NS1_11comp_targetILNS1_3genE2ELNS1_11target_archE906ELNS1_3gpuE6ELNS1_3repE0EEENS1_48merge_mergepath_partition_config_static_selectorELNS0_4arch9wavefront6targetE1EEEvSH_ ; -- Begin function _ZN7rocprim17ROCPRIM_400000_NS6detail17trampoline_kernelINS0_14default_configENS1_38merge_sort_block_merge_config_selectorIdlEEZZNS1_27merge_sort_block_merge_implIS3_PdN6thrust23THRUST_200600_302600_NS10device_ptrIlEEjNS1_19radix_merge_compareILb0ELb0EdNS0_19identity_decomposerEEEEE10hipError_tT0_T1_T2_jT3_P12ihipStream_tbPNSt15iterator_traitsISG_E10value_typeEPNSM_ISH_E10value_typeEPSI_NS1_7vsmem_tEENKUlT_SG_SH_SI_E_clIS7_S7_PlSB_EESF_SV_SG_SH_SI_EUlSV_E_NS1_11comp_targetILNS1_3genE2ELNS1_11target_archE906ELNS1_3gpuE6ELNS1_3repE0EEENS1_48merge_mergepath_partition_config_static_selectorELNS0_4arch9wavefront6targetE1EEEvSH_
	.globl	_ZN7rocprim17ROCPRIM_400000_NS6detail17trampoline_kernelINS0_14default_configENS1_38merge_sort_block_merge_config_selectorIdlEEZZNS1_27merge_sort_block_merge_implIS3_PdN6thrust23THRUST_200600_302600_NS10device_ptrIlEEjNS1_19radix_merge_compareILb0ELb0EdNS0_19identity_decomposerEEEEE10hipError_tT0_T1_T2_jT3_P12ihipStream_tbPNSt15iterator_traitsISG_E10value_typeEPNSM_ISH_E10value_typeEPSI_NS1_7vsmem_tEENKUlT_SG_SH_SI_E_clIS7_S7_PlSB_EESF_SV_SG_SH_SI_EUlSV_E_NS1_11comp_targetILNS1_3genE2ELNS1_11target_archE906ELNS1_3gpuE6ELNS1_3repE0EEENS1_48merge_mergepath_partition_config_static_selectorELNS0_4arch9wavefront6targetE1EEEvSH_
	.p2align	8
	.type	_ZN7rocprim17ROCPRIM_400000_NS6detail17trampoline_kernelINS0_14default_configENS1_38merge_sort_block_merge_config_selectorIdlEEZZNS1_27merge_sort_block_merge_implIS3_PdN6thrust23THRUST_200600_302600_NS10device_ptrIlEEjNS1_19radix_merge_compareILb0ELb0EdNS0_19identity_decomposerEEEEE10hipError_tT0_T1_T2_jT3_P12ihipStream_tbPNSt15iterator_traitsISG_E10value_typeEPNSM_ISH_E10value_typeEPSI_NS1_7vsmem_tEENKUlT_SG_SH_SI_E_clIS7_S7_PlSB_EESF_SV_SG_SH_SI_EUlSV_E_NS1_11comp_targetILNS1_3genE2ELNS1_11target_archE906ELNS1_3gpuE6ELNS1_3repE0EEENS1_48merge_mergepath_partition_config_static_selectorELNS0_4arch9wavefront6targetE1EEEvSH_,@function
_ZN7rocprim17ROCPRIM_400000_NS6detail17trampoline_kernelINS0_14default_configENS1_38merge_sort_block_merge_config_selectorIdlEEZZNS1_27merge_sort_block_merge_implIS3_PdN6thrust23THRUST_200600_302600_NS10device_ptrIlEEjNS1_19radix_merge_compareILb0ELb0EdNS0_19identity_decomposerEEEEE10hipError_tT0_T1_T2_jT3_P12ihipStream_tbPNSt15iterator_traitsISG_E10value_typeEPNSM_ISH_E10value_typeEPSI_NS1_7vsmem_tEENKUlT_SG_SH_SI_E_clIS7_S7_PlSB_EESF_SV_SG_SH_SI_EUlSV_E_NS1_11comp_targetILNS1_3genE2ELNS1_11target_archE906ELNS1_3gpuE6ELNS1_3repE0EEENS1_48merge_mergepath_partition_config_static_selectorELNS0_4arch9wavefront6targetE1EEEvSH_: ; @_ZN7rocprim17ROCPRIM_400000_NS6detail17trampoline_kernelINS0_14default_configENS1_38merge_sort_block_merge_config_selectorIdlEEZZNS1_27merge_sort_block_merge_implIS3_PdN6thrust23THRUST_200600_302600_NS10device_ptrIlEEjNS1_19radix_merge_compareILb0ELb0EdNS0_19identity_decomposerEEEEE10hipError_tT0_T1_T2_jT3_P12ihipStream_tbPNSt15iterator_traitsISG_E10value_typeEPNSM_ISH_E10value_typeEPSI_NS1_7vsmem_tEENKUlT_SG_SH_SI_E_clIS7_S7_PlSB_EESF_SV_SG_SH_SI_EUlSV_E_NS1_11comp_targetILNS1_3genE2ELNS1_11target_archE906ELNS1_3gpuE6ELNS1_3repE0EEENS1_48merge_mergepath_partition_config_static_selectorELNS0_4arch9wavefront6targetE1EEEvSH_
; %bb.0:
	s_load_dword s0, s[4:5], 0x0
	v_lshl_or_b32 v0, s6, 7, v0
	s_waitcnt lgkmcnt(0)
	v_cmp_gt_u32_e32 vcc, s0, v0
	s_and_saveexec_b64 s[0:1], vcc
	s_cbranch_execz .LBB1547_6
; %bb.1:
	s_load_dwordx2 s[2:3], s[4:5], 0x4
	s_load_dwordx2 s[0:1], s[4:5], 0x20
	s_waitcnt lgkmcnt(0)
	s_lshr_b32 s6, s2, 9
	s_and_b32 s6, s6, 0x7ffffe
	s_add_i32 s7, s6, -1
	s_sub_i32 s6, 0, s6
	v_and_b32_e32 v1, s6, v0
	v_lshlrev_b32_e32 v3, 10, v1
	v_min_u32_e32 v1, s3, v3
	v_add_u32_e32 v3, s2, v3
	v_min_u32_e32 v3, s3, v3
	v_add_u32_e32 v4, s2, v3
	v_and_b32_e32 v2, s7, v0
	v_min_u32_e32 v4, s3, v4
	v_sub_u32_e32 v5, v4, v1
	v_lshlrev_b32_e32 v2, 10, v2
	v_min_u32_e32 v6, v5, v2
	v_sub_u32_e32 v2, v3, v1
	v_sub_u32_e32 v4, v4, v3
	v_sub_u32_e64 v5, v6, v4 clamp
	v_min_u32_e32 v7, v6, v2
	v_cmp_lt_u32_e32 vcc, v5, v7
	s_and_saveexec_b64 s[2:3], vcc
	s_cbranch_execz .LBB1547_5
; %bb.2:
	s_load_dwordx2 s[4:5], s[4:5], 0x10
	v_mov_b32_e32 v4, 0
	v_mov_b32_e32 v2, v4
	v_lshlrev_b64 v[8:9], 3, v[1:2]
	s_waitcnt lgkmcnt(0)
	v_mov_b32_e32 v11, s5
	v_add_co_u32_e32 v2, vcc, s4, v8
	v_addc_co_u32_e32 v8, vcc, v11, v9, vcc
	v_lshlrev_b64 v[9:10], 3, v[3:4]
	v_add_co_u32_e32 v9, vcc, s4, v9
	v_addc_co_u32_e32 v10, vcc, v11, v10, vcc
	s_mov_b64 s[4:5], 0
.LBB1547_3:                             ; =>This Inner Loop Header: Depth=1
	v_add_u32_e32 v3, v7, v5
	v_lshrrev_b32_e32 v3, 1, v3
	v_lshlrev_b64 v[13:14], 3, v[3:4]
	v_mov_b32_e32 v12, v4
	v_xad_u32 v11, v3, -1, v6
	v_lshlrev_b64 v[11:12], 3, v[11:12]
	v_add_co_u32_e32 v13, vcc, v2, v13
	v_addc_co_u32_e32 v14, vcc, v8, v14, vcc
	v_add_co_u32_e32 v11, vcc, v9, v11
	global_load_dwordx2 v[13:14], v[13:14], off
	v_addc_co_u32_e32 v12, vcc, v10, v12, vcc
	global_load_dwordx2 v[11:12], v[11:12], off
	v_add_u32_e32 v15, 1, v3
	s_waitcnt vmcnt(1)
	v_add_f64 v[13:14], v[13:14], 0
	s_waitcnt vmcnt(0)
	v_add_f64 v[11:12], v[11:12], 0
	v_ashrrev_i32_e32 v16, 31, v14
	v_or_b32_e32 v17, 0x80000000, v16
	v_xor_b32_e32 v13, v16, v13
	v_ashrrev_i32_e32 v16, 31, v12
	v_xor_b32_e32 v14, v17, v14
	v_or_b32_e32 v17, 0x80000000, v16
	v_xor_b32_e32 v11, v16, v11
	v_xor_b32_e32 v12, v17, v12
	v_cmp_gt_u64_e32 vcc, v[13:14], v[11:12]
	v_cndmask_b32_e32 v7, v7, v3, vcc
	v_cndmask_b32_e32 v5, v15, v5, vcc
	v_cmp_ge_u32_e32 vcc, v5, v7
	s_or_b64 s[4:5], vcc, s[4:5]
	s_andn2_b64 exec, exec, s[4:5]
	s_cbranch_execnz .LBB1547_3
; %bb.4:
	s_or_b64 exec, exec, s[4:5]
.LBB1547_5:
	s_or_b64 exec, exec, s[2:3]
	v_add_u32_e32 v2, v5, v1
	v_mov_b32_e32 v1, 0
	v_lshlrev_b64 v[0:1], 2, v[0:1]
	v_mov_b32_e32 v3, s1
	v_add_co_u32_e32 v0, vcc, s0, v0
	v_addc_co_u32_e32 v1, vcc, v3, v1, vcc
	global_store_dword v[0:1], v2, off
.LBB1547_6:
	s_endpgm
	.section	.rodata,"a",@progbits
	.p2align	6, 0x0
	.amdhsa_kernel _ZN7rocprim17ROCPRIM_400000_NS6detail17trampoline_kernelINS0_14default_configENS1_38merge_sort_block_merge_config_selectorIdlEEZZNS1_27merge_sort_block_merge_implIS3_PdN6thrust23THRUST_200600_302600_NS10device_ptrIlEEjNS1_19radix_merge_compareILb0ELb0EdNS0_19identity_decomposerEEEEE10hipError_tT0_T1_T2_jT3_P12ihipStream_tbPNSt15iterator_traitsISG_E10value_typeEPNSM_ISH_E10value_typeEPSI_NS1_7vsmem_tEENKUlT_SG_SH_SI_E_clIS7_S7_PlSB_EESF_SV_SG_SH_SI_EUlSV_E_NS1_11comp_targetILNS1_3genE2ELNS1_11target_archE906ELNS1_3gpuE6ELNS1_3repE0EEENS1_48merge_mergepath_partition_config_static_selectorELNS0_4arch9wavefront6targetE1EEEvSH_
		.amdhsa_group_segment_fixed_size 0
		.amdhsa_private_segment_fixed_size 0
		.amdhsa_kernarg_size 40
		.amdhsa_user_sgpr_count 6
		.amdhsa_user_sgpr_private_segment_buffer 1
		.amdhsa_user_sgpr_dispatch_ptr 0
		.amdhsa_user_sgpr_queue_ptr 0
		.amdhsa_user_sgpr_kernarg_segment_ptr 1
		.amdhsa_user_sgpr_dispatch_id 0
		.amdhsa_user_sgpr_flat_scratch_init 0
		.amdhsa_user_sgpr_private_segment_size 0
		.amdhsa_uses_dynamic_stack 0
		.amdhsa_system_sgpr_private_segment_wavefront_offset 0
		.amdhsa_system_sgpr_workgroup_id_x 1
		.amdhsa_system_sgpr_workgroup_id_y 0
		.amdhsa_system_sgpr_workgroup_id_z 0
		.amdhsa_system_sgpr_workgroup_info 0
		.amdhsa_system_vgpr_workitem_id 0
		.amdhsa_next_free_vgpr 18
		.amdhsa_next_free_sgpr 8
		.amdhsa_reserve_vcc 1
		.amdhsa_reserve_flat_scratch 0
		.amdhsa_float_round_mode_32 0
		.amdhsa_float_round_mode_16_64 0
		.amdhsa_float_denorm_mode_32 3
		.amdhsa_float_denorm_mode_16_64 3
		.amdhsa_dx10_clamp 1
		.amdhsa_ieee_mode 1
		.amdhsa_fp16_overflow 0
		.amdhsa_exception_fp_ieee_invalid_op 0
		.amdhsa_exception_fp_denorm_src 0
		.amdhsa_exception_fp_ieee_div_zero 0
		.amdhsa_exception_fp_ieee_overflow 0
		.amdhsa_exception_fp_ieee_underflow 0
		.amdhsa_exception_fp_ieee_inexact 0
		.amdhsa_exception_int_div_zero 0
	.end_amdhsa_kernel
	.section	.text._ZN7rocprim17ROCPRIM_400000_NS6detail17trampoline_kernelINS0_14default_configENS1_38merge_sort_block_merge_config_selectorIdlEEZZNS1_27merge_sort_block_merge_implIS3_PdN6thrust23THRUST_200600_302600_NS10device_ptrIlEEjNS1_19radix_merge_compareILb0ELb0EdNS0_19identity_decomposerEEEEE10hipError_tT0_T1_T2_jT3_P12ihipStream_tbPNSt15iterator_traitsISG_E10value_typeEPNSM_ISH_E10value_typeEPSI_NS1_7vsmem_tEENKUlT_SG_SH_SI_E_clIS7_S7_PlSB_EESF_SV_SG_SH_SI_EUlSV_E_NS1_11comp_targetILNS1_3genE2ELNS1_11target_archE906ELNS1_3gpuE6ELNS1_3repE0EEENS1_48merge_mergepath_partition_config_static_selectorELNS0_4arch9wavefront6targetE1EEEvSH_,"axG",@progbits,_ZN7rocprim17ROCPRIM_400000_NS6detail17trampoline_kernelINS0_14default_configENS1_38merge_sort_block_merge_config_selectorIdlEEZZNS1_27merge_sort_block_merge_implIS3_PdN6thrust23THRUST_200600_302600_NS10device_ptrIlEEjNS1_19radix_merge_compareILb0ELb0EdNS0_19identity_decomposerEEEEE10hipError_tT0_T1_T2_jT3_P12ihipStream_tbPNSt15iterator_traitsISG_E10value_typeEPNSM_ISH_E10value_typeEPSI_NS1_7vsmem_tEENKUlT_SG_SH_SI_E_clIS7_S7_PlSB_EESF_SV_SG_SH_SI_EUlSV_E_NS1_11comp_targetILNS1_3genE2ELNS1_11target_archE906ELNS1_3gpuE6ELNS1_3repE0EEENS1_48merge_mergepath_partition_config_static_selectorELNS0_4arch9wavefront6targetE1EEEvSH_,comdat
.Lfunc_end1547:
	.size	_ZN7rocprim17ROCPRIM_400000_NS6detail17trampoline_kernelINS0_14default_configENS1_38merge_sort_block_merge_config_selectorIdlEEZZNS1_27merge_sort_block_merge_implIS3_PdN6thrust23THRUST_200600_302600_NS10device_ptrIlEEjNS1_19radix_merge_compareILb0ELb0EdNS0_19identity_decomposerEEEEE10hipError_tT0_T1_T2_jT3_P12ihipStream_tbPNSt15iterator_traitsISG_E10value_typeEPNSM_ISH_E10value_typeEPSI_NS1_7vsmem_tEENKUlT_SG_SH_SI_E_clIS7_S7_PlSB_EESF_SV_SG_SH_SI_EUlSV_E_NS1_11comp_targetILNS1_3genE2ELNS1_11target_archE906ELNS1_3gpuE6ELNS1_3repE0EEENS1_48merge_mergepath_partition_config_static_selectorELNS0_4arch9wavefront6targetE1EEEvSH_, .Lfunc_end1547-_ZN7rocprim17ROCPRIM_400000_NS6detail17trampoline_kernelINS0_14default_configENS1_38merge_sort_block_merge_config_selectorIdlEEZZNS1_27merge_sort_block_merge_implIS3_PdN6thrust23THRUST_200600_302600_NS10device_ptrIlEEjNS1_19radix_merge_compareILb0ELb0EdNS0_19identity_decomposerEEEEE10hipError_tT0_T1_T2_jT3_P12ihipStream_tbPNSt15iterator_traitsISG_E10value_typeEPNSM_ISH_E10value_typeEPSI_NS1_7vsmem_tEENKUlT_SG_SH_SI_E_clIS7_S7_PlSB_EESF_SV_SG_SH_SI_EUlSV_E_NS1_11comp_targetILNS1_3genE2ELNS1_11target_archE906ELNS1_3gpuE6ELNS1_3repE0EEENS1_48merge_mergepath_partition_config_static_selectorELNS0_4arch9wavefront6targetE1EEEvSH_
                                        ; -- End function
	.set _ZN7rocprim17ROCPRIM_400000_NS6detail17trampoline_kernelINS0_14default_configENS1_38merge_sort_block_merge_config_selectorIdlEEZZNS1_27merge_sort_block_merge_implIS3_PdN6thrust23THRUST_200600_302600_NS10device_ptrIlEEjNS1_19radix_merge_compareILb0ELb0EdNS0_19identity_decomposerEEEEE10hipError_tT0_T1_T2_jT3_P12ihipStream_tbPNSt15iterator_traitsISG_E10value_typeEPNSM_ISH_E10value_typeEPSI_NS1_7vsmem_tEENKUlT_SG_SH_SI_E_clIS7_S7_PlSB_EESF_SV_SG_SH_SI_EUlSV_E_NS1_11comp_targetILNS1_3genE2ELNS1_11target_archE906ELNS1_3gpuE6ELNS1_3repE0EEENS1_48merge_mergepath_partition_config_static_selectorELNS0_4arch9wavefront6targetE1EEEvSH_.num_vgpr, 18
	.set _ZN7rocprim17ROCPRIM_400000_NS6detail17trampoline_kernelINS0_14default_configENS1_38merge_sort_block_merge_config_selectorIdlEEZZNS1_27merge_sort_block_merge_implIS3_PdN6thrust23THRUST_200600_302600_NS10device_ptrIlEEjNS1_19radix_merge_compareILb0ELb0EdNS0_19identity_decomposerEEEEE10hipError_tT0_T1_T2_jT3_P12ihipStream_tbPNSt15iterator_traitsISG_E10value_typeEPNSM_ISH_E10value_typeEPSI_NS1_7vsmem_tEENKUlT_SG_SH_SI_E_clIS7_S7_PlSB_EESF_SV_SG_SH_SI_EUlSV_E_NS1_11comp_targetILNS1_3genE2ELNS1_11target_archE906ELNS1_3gpuE6ELNS1_3repE0EEENS1_48merge_mergepath_partition_config_static_selectorELNS0_4arch9wavefront6targetE1EEEvSH_.num_agpr, 0
	.set _ZN7rocprim17ROCPRIM_400000_NS6detail17trampoline_kernelINS0_14default_configENS1_38merge_sort_block_merge_config_selectorIdlEEZZNS1_27merge_sort_block_merge_implIS3_PdN6thrust23THRUST_200600_302600_NS10device_ptrIlEEjNS1_19radix_merge_compareILb0ELb0EdNS0_19identity_decomposerEEEEE10hipError_tT0_T1_T2_jT3_P12ihipStream_tbPNSt15iterator_traitsISG_E10value_typeEPNSM_ISH_E10value_typeEPSI_NS1_7vsmem_tEENKUlT_SG_SH_SI_E_clIS7_S7_PlSB_EESF_SV_SG_SH_SI_EUlSV_E_NS1_11comp_targetILNS1_3genE2ELNS1_11target_archE906ELNS1_3gpuE6ELNS1_3repE0EEENS1_48merge_mergepath_partition_config_static_selectorELNS0_4arch9wavefront6targetE1EEEvSH_.numbered_sgpr, 8
	.set _ZN7rocprim17ROCPRIM_400000_NS6detail17trampoline_kernelINS0_14default_configENS1_38merge_sort_block_merge_config_selectorIdlEEZZNS1_27merge_sort_block_merge_implIS3_PdN6thrust23THRUST_200600_302600_NS10device_ptrIlEEjNS1_19radix_merge_compareILb0ELb0EdNS0_19identity_decomposerEEEEE10hipError_tT0_T1_T2_jT3_P12ihipStream_tbPNSt15iterator_traitsISG_E10value_typeEPNSM_ISH_E10value_typeEPSI_NS1_7vsmem_tEENKUlT_SG_SH_SI_E_clIS7_S7_PlSB_EESF_SV_SG_SH_SI_EUlSV_E_NS1_11comp_targetILNS1_3genE2ELNS1_11target_archE906ELNS1_3gpuE6ELNS1_3repE0EEENS1_48merge_mergepath_partition_config_static_selectorELNS0_4arch9wavefront6targetE1EEEvSH_.num_named_barrier, 0
	.set _ZN7rocprim17ROCPRIM_400000_NS6detail17trampoline_kernelINS0_14default_configENS1_38merge_sort_block_merge_config_selectorIdlEEZZNS1_27merge_sort_block_merge_implIS3_PdN6thrust23THRUST_200600_302600_NS10device_ptrIlEEjNS1_19radix_merge_compareILb0ELb0EdNS0_19identity_decomposerEEEEE10hipError_tT0_T1_T2_jT3_P12ihipStream_tbPNSt15iterator_traitsISG_E10value_typeEPNSM_ISH_E10value_typeEPSI_NS1_7vsmem_tEENKUlT_SG_SH_SI_E_clIS7_S7_PlSB_EESF_SV_SG_SH_SI_EUlSV_E_NS1_11comp_targetILNS1_3genE2ELNS1_11target_archE906ELNS1_3gpuE6ELNS1_3repE0EEENS1_48merge_mergepath_partition_config_static_selectorELNS0_4arch9wavefront6targetE1EEEvSH_.private_seg_size, 0
	.set _ZN7rocprim17ROCPRIM_400000_NS6detail17trampoline_kernelINS0_14default_configENS1_38merge_sort_block_merge_config_selectorIdlEEZZNS1_27merge_sort_block_merge_implIS3_PdN6thrust23THRUST_200600_302600_NS10device_ptrIlEEjNS1_19radix_merge_compareILb0ELb0EdNS0_19identity_decomposerEEEEE10hipError_tT0_T1_T2_jT3_P12ihipStream_tbPNSt15iterator_traitsISG_E10value_typeEPNSM_ISH_E10value_typeEPSI_NS1_7vsmem_tEENKUlT_SG_SH_SI_E_clIS7_S7_PlSB_EESF_SV_SG_SH_SI_EUlSV_E_NS1_11comp_targetILNS1_3genE2ELNS1_11target_archE906ELNS1_3gpuE6ELNS1_3repE0EEENS1_48merge_mergepath_partition_config_static_selectorELNS0_4arch9wavefront6targetE1EEEvSH_.uses_vcc, 1
	.set _ZN7rocprim17ROCPRIM_400000_NS6detail17trampoline_kernelINS0_14default_configENS1_38merge_sort_block_merge_config_selectorIdlEEZZNS1_27merge_sort_block_merge_implIS3_PdN6thrust23THRUST_200600_302600_NS10device_ptrIlEEjNS1_19radix_merge_compareILb0ELb0EdNS0_19identity_decomposerEEEEE10hipError_tT0_T1_T2_jT3_P12ihipStream_tbPNSt15iterator_traitsISG_E10value_typeEPNSM_ISH_E10value_typeEPSI_NS1_7vsmem_tEENKUlT_SG_SH_SI_E_clIS7_S7_PlSB_EESF_SV_SG_SH_SI_EUlSV_E_NS1_11comp_targetILNS1_3genE2ELNS1_11target_archE906ELNS1_3gpuE6ELNS1_3repE0EEENS1_48merge_mergepath_partition_config_static_selectorELNS0_4arch9wavefront6targetE1EEEvSH_.uses_flat_scratch, 0
	.set _ZN7rocprim17ROCPRIM_400000_NS6detail17trampoline_kernelINS0_14default_configENS1_38merge_sort_block_merge_config_selectorIdlEEZZNS1_27merge_sort_block_merge_implIS3_PdN6thrust23THRUST_200600_302600_NS10device_ptrIlEEjNS1_19radix_merge_compareILb0ELb0EdNS0_19identity_decomposerEEEEE10hipError_tT0_T1_T2_jT3_P12ihipStream_tbPNSt15iterator_traitsISG_E10value_typeEPNSM_ISH_E10value_typeEPSI_NS1_7vsmem_tEENKUlT_SG_SH_SI_E_clIS7_S7_PlSB_EESF_SV_SG_SH_SI_EUlSV_E_NS1_11comp_targetILNS1_3genE2ELNS1_11target_archE906ELNS1_3gpuE6ELNS1_3repE0EEENS1_48merge_mergepath_partition_config_static_selectorELNS0_4arch9wavefront6targetE1EEEvSH_.has_dyn_sized_stack, 0
	.set _ZN7rocprim17ROCPRIM_400000_NS6detail17trampoline_kernelINS0_14default_configENS1_38merge_sort_block_merge_config_selectorIdlEEZZNS1_27merge_sort_block_merge_implIS3_PdN6thrust23THRUST_200600_302600_NS10device_ptrIlEEjNS1_19radix_merge_compareILb0ELb0EdNS0_19identity_decomposerEEEEE10hipError_tT0_T1_T2_jT3_P12ihipStream_tbPNSt15iterator_traitsISG_E10value_typeEPNSM_ISH_E10value_typeEPSI_NS1_7vsmem_tEENKUlT_SG_SH_SI_E_clIS7_S7_PlSB_EESF_SV_SG_SH_SI_EUlSV_E_NS1_11comp_targetILNS1_3genE2ELNS1_11target_archE906ELNS1_3gpuE6ELNS1_3repE0EEENS1_48merge_mergepath_partition_config_static_selectorELNS0_4arch9wavefront6targetE1EEEvSH_.has_recursion, 0
	.set _ZN7rocprim17ROCPRIM_400000_NS6detail17trampoline_kernelINS0_14default_configENS1_38merge_sort_block_merge_config_selectorIdlEEZZNS1_27merge_sort_block_merge_implIS3_PdN6thrust23THRUST_200600_302600_NS10device_ptrIlEEjNS1_19radix_merge_compareILb0ELb0EdNS0_19identity_decomposerEEEEE10hipError_tT0_T1_T2_jT3_P12ihipStream_tbPNSt15iterator_traitsISG_E10value_typeEPNSM_ISH_E10value_typeEPSI_NS1_7vsmem_tEENKUlT_SG_SH_SI_E_clIS7_S7_PlSB_EESF_SV_SG_SH_SI_EUlSV_E_NS1_11comp_targetILNS1_3genE2ELNS1_11target_archE906ELNS1_3gpuE6ELNS1_3repE0EEENS1_48merge_mergepath_partition_config_static_selectorELNS0_4arch9wavefront6targetE1EEEvSH_.has_indirect_call, 0
	.section	.AMDGPU.csdata,"",@progbits
; Kernel info:
; codeLenInByte = 420
; TotalNumSgprs: 12
; NumVgprs: 18
; ScratchSize: 0
; MemoryBound: 0
; FloatMode: 240
; IeeeMode: 1
; LDSByteSize: 0 bytes/workgroup (compile time only)
; SGPRBlocks: 1
; VGPRBlocks: 4
; NumSGPRsForWavesPerEU: 12
; NumVGPRsForWavesPerEU: 18
; Occupancy: 10
; WaveLimiterHint : 0
; COMPUTE_PGM_RSRC2:SCRATCH_EN: 0
; COMPUTE_PGM_RSRC2:USER_SGPR: 6
; COMPUTE_PGM_RSRC2:TRAP_HANDLER: 0
; COMPUTE_PGM_RSRC2:TGID_X_EN: 1
; COMPUTE_PGM_RSRC2:TGID_Y_EN: 0
; COMPUTE_PGM_RSRC2:TGID_Z_EN: 0
; COMPUTE_PGM_RSRC2:TIDIG_COMP_CNT: 0
	.section	.text._ZN7rocprim17ROCPRIM_400000_NS6detail17trampoline_kernelINS0_14default_configENS1_38merge_sort_block_merge_config_selectorIdlEEZZNS1_27merge_sort_block_merge_implIS3_PdN6thrust23THRUST_200600_302600_NS10device_ptrIlEEjNS1_19radix_merge_compareILb0ELb0EdNS0_19identity_decomposerEEEEE10hipError_tT0_T1_T2_jT3_P12ihipStream_tbPNSt15iterator_traitsISG_E10value_typeEPNSM_ISH_E10value_typeEPSI_NS1_7vsmem_tEENKUlT_SG_SH_SI_E_clIS7_S7_PlSB_EESF_SV_SG_SH_SI_EUlSV_E_NS1_11comp_targetILNS1_3genE9ELNS1_11target_archE1100ELNS1_3gpuE3ELNS1_3repE0EEENS1_48merge_mergepath_partition_config_static_selectorELNS0_4arch9wavefront6targetE1EEEvSH_,"axG",@progbits,_ZN7rocprim17ROCPRIM_400000_NS6detail17trampoline_kernelINS0_14default_configENS1_38merge_sort_block_merge_config_selectorIdlEEZZNS1_27merge_sort_block_merge_implIS3_PdN6thrust23THRUST_200600_302600_NS10device_ptrIlEEjNS1_19radix_merge_compareILb0ELb0EdNS0_19identity_decomposerEEEEE10hipError_tT0_T1_T2_jT3_P12ihipStream_tbPNSt15iterator_traitsISG_E10value_typeEPNSM_ISH_E10value_typeEPSI_NS1_7vsmem_tEENKUlT_SG_SH_SI_E_clIS7_S7_PlSB_EESF_SV_SG_SH_SI_EUlSV_E_NS1_11comp_targetILNS1_3genE9ELNS1_11target_archE1100ELNS1_3gpuE3ELNS1_3repE0EEENS1_48merge_mergepath_partition_config_static_selectorELNS0_4arch9wavefront6targetE1EEEvSH_,comdat
	.protected	_ZN7rocprim17ROCPRIM_400000_NS6detail17trampoline_kernelINS0_14default_configENS1_38merge_sort_block_merge_config_selectorIdlEEZZNS1_27merge_sort_block_merge_implIS3_PdN6thrust23THRUST_200600_302600_NS10device_ptrIlEEjNS1_19radix_merge_compareILb0ELb0EdNS0_19identity_decomposerEEEEE10hipError_tT0_T1_T2_jT3_P12ihipStream_tbPNSt15iterator_traitsISG_E10value_typeEPNSM_ISH_E10value_typeEPSI_NS1_7vsmem_tEENKUlT_SG_SH_SI_E_clIS7_S7_PlSB_EESF_SV_SG_SH_SI_EUlSV_E_NS1_11comp_targetILNS1_3genE9ELNS1_11target_archE1100ELNS1_3gpuE3ELNS1_3repE0EEENS1_48merge_mergepath_partition_config_static_selectorELNS0_4arch9wavefront6targetE1EEEvSH_ ; -- Begin function _ZN7rocprim17ROCPRIM_400000_NS6detail17trampoline_kernelINS0_14default_configENS1_38merge_sort_block_merge_config_selectorIdlEEZZNS1_27merge_sort_block_merge_implIS3_PdN6thrust23THRUST_200600_302600_NS10device_ptrIlEEjNS1_19radix_merge_compareILb0ELb0EdNS0_19identity_decomposerEEEEE10hipError_tT0_T1_T2_jT3_P12ihipStream_tbPNSt15iterator_traitsISG_E10value_typeEPNSM_ISH_E10value_typeEPSI_NS1_7vsmem_tEENKUlT_SG_SH_SI_E_clIS7_S7_PlSB_EESF_SV_SG_SH_SI_EUlSV_E_NS1_11comp_targetILNS1_3genE9ELNS1_11target_archE1100ELNS1_3gpuE3ELNS1_3repE0EEENS1_48merge_mergepath_partition_config_static_selectorELNS0_4arch9wavefront6targetE1EEEvSH_
	.globl	_ZN7rocprim17ROCPRIM_400000_NS6detail17trampoline_kernelINS0_14default_configENS1_38merge_sort_block_merge_config_selectorIdlEEZZNS1_27merge_sort_block_merge_implIS3_PdN6thrust23THRUST_200600_302600_NS10device_ptrIlEEjNS1_19radix_merge_compareILb0ELb0EdNS0_19identity_decomposerEEEEE10hipError_tT0_T1_T2_jT3_P12ihipStream_tbPNSt15iterator_traitsISG_E10value_typeEPNSM_ISH_E10value_typeEPSI_NS1_7vsmem_tEENKUlT_SG_SH_SI_E_clIS7_S7_PlSB_EESF_SV_SG_SH_SI_EUlSV_E_NS1_11comp_targetILNS1_3genE9ELNS1_11target_archE1100ELNS1_3gpuE3ELNS1_3repE0EEENS1_48merge_mergepath_partition_config_static_selectorELNS0_4arch9wavefront6targetE1EEEvSH_
	.p2align	8
	.type	_ZN7rocprim17ROCPRIM_400000_NS6detail17trampoline_kernelINS0_14default_configENS1_38merge_sort_block_merge_config_selectorIdlEEZZNS1_27merge_sort_block_merge_implIS3_PdN6thrust23THRUST_200600_302600_NS10device_ptrIlEEjNS1_19radix_merge_compareILb0ELb0EdNS0_19identity_decomposerEEEEE10hipError_tT0_T1_T2_jT3_P12ihipStream_tbPNSt15iterator_traitsISG_E10value_typeEPNSM_ISH_E10value_typeEPSI_NS1_7vsmem_tEENKUlT_SG_SH_SI_E_clIS7_S7_PlSB_EESF_SV_SG_SH_SI_EUlSV_E_NS1_11comp_targetILNS1_3genE9ELNS1_11target_archE1100ELNS1_3gpuE3ELNS1_3repE0EEENS1_48merge_mergepath_partition_config_static_selectorELNS0_4arch9wavefront6targetE1EEEvSH_,@function
_ZN7rocprim17ROCPRIM_400000_NS6detail17trampoline_kernelINS0_14default_configENS1_38merge_sort_block_merge_config_selectorIdlEEZZNS1_27merge_sort_block_merge_implIS3_PdN6thrust23THRUST_200600_302600_NS10device_ptrIlEEjNS1_19radix_merge_compareILb0ELb0EdNS0_19identity_decomposerEEEEE10hipError_tT0_T1_T2_jT3_P12ihipStream_tbPNSt15iterator_traitsISG_E10value_typeEPNSM_ISH_E10value_typeEPSI_NS1_7vsmem_tEENKUlT_SG_SH_SI_E_clIS7_S7_PlSB_EESF_SV_SG_SH_SI_EUlSV_E_NS1_11comp_targetILNS1_3genE9ELNS1_11target_archE1100ELNS1_3gpuE3ELNS1_3repE0EEENS1_48merge_mergepath_partition_config_static_selectorELNS0_4arch9wavefront6targetE1EEEvSH_: ; @_ZN7rocprim17ROCPRIM_400000_NS6detail17trampoline_kernelINS0_14default_configENS1_38merge_sort_block_merge_config_selectorIdlEEZZNS1_27merge_sort_block_merge_implIS3_PdN6thrust23THRUST_200600_302600_NS10device_ptrIlEEjNS1_19radix_merge_compareILb0ELb0EdNS0_19identity_decomposerEEEEE10hipError_tT0_T1_T2_jT3_P12ihipStream_tbPNSt15iterator_traitsISG_E10value_typeEPNSM_ISH_E10value_typeEPSI_NS1_7vsmem_tEENKUlT_SG_SH_SI_E_clIS7_S7_PlSB_EESF_SV_SG_SH_SI_EUlSV_E_NS1_11comp_targetILNS1_3genE9ELNS1_11target_archE1100ELNS1_3gpuE3ELNS1_3repE0EEENS1_48merge_mergepath_partition_config_static_selectorELNS0_4arch9wavefront6targetE1EEEvSH_
; %bb.0:
	.section	.rodata,"a",@progbits
	.p2align	6, 0x0
	.amdhsa_kernel _ZN7rocprim17ROCPRIM_400000_NS6detail17trampoline_kernelINS0_14default_configENS1_38merge_sort_block_merge_config_selectorIdlEEZZNS1_27merge_sort_block_merge_implIS3_PdN6thrust23THRUST_200600_302600_NS10device_ptrIlEEjNS1_19radix_merge_compareILb0ELb0EdNS0_19identity_decomposerEEEEE10hipError_tT0_T1_T2_jT3_P12ihipStream_tbPNSt15iterator_traitsISG_E10value_typeEPNSM_ISH_E10value_typeEPSI_NS1_7vsmem_tEENKUlT_SG_SH_SI_E_clIS7_S7_PlSB_EESF_SV_SG_SH_SI_EUlSV_E_NS1_11comp_targetILNS1_3genE9ELNS1_11target_archE1100ELNS1_3gpuE3ELNS1_3repE0EEENS1_48merge_mergepath_partition_config_static_selectorELNS0_4arch9wavefront6targetE1EEEvSH_
		.amdhsa_group_segment_fixed_size 0
		.amdhsa_private_segment_fixed_size 0
		.amdhsa_kernarg_size 40
		.amdhsa_user_sgpr_count 6
		.amdhsa_user_sgpr_private_segment_buffer 1
		.amdhsa_user_sgpr_dispatch_ptr 0
		.amdhsa_user_sgpr_queue_ptr 0
		.amdhsa_user_sgpr_kernarg_segment_ptr 1
		.amdhsa_user_sgpr_dispatch_id 0
		.amdhsa_user_sgpr_flat_scratch_init 0
		.amdhsa_user_sgpr_private_segment_size 0
		.amdhsa_uses_dynamic_stack 0
		.amdhsa_system_sgpr_private_segment_wavefront_offset 0
		.amdhsa_system_sgpr_workgroup_id_x 1
		.amdhsa_system_sgpr_workgroup_id_y 0
		.amdhsa_system_sgpr_workgroup_id_z 0
		.amdhsa_system_sgpr_workgroup_info 0
		.amdhsa_system_vgpr_workitem_id 0
		.amdhsa_next_free_vgpr 1
		.amdhsa_next_free_sgpr 0
		.amdhsa_reserve_vcc 0
		.amdhsa_reserve_flat_scratch 0
		.amdhsa_float_round_mode_32 0
		.amdhsa_float_round_mode_16_64 0
		.amdhsa_float_denorm_mode_32 3
		.amdhsa_float_denorm_mode_16_64 3
		.amdhsa_dx10_clamp 1
		.amdhsa_ieee_mode 1
		.amdhsa_fp16_overflow 0
		.amdhsa_exception_fp_ieee_invalid_op 0
		.amdhsa_exception_fp_denorm_src 0
		.amdhsa_exception_fp_ieee_div_zero 0
		.amdhsa_exception_fp_ieee_overflow 0
		.amdhsa_exception_fp_ieee_underflow 0
		.amdhsa_exception_fp_ieee_inexact 0
		.amdhsa_exception_int_div_zero 0
	.end_amdhsa_kernel
	.section	.text._ZN7rocprim17ROCPRIM_400000_NS6detail17trampoline_kernelINS0_14default_configENS1_38merge_sort_block_merge_config_selectorIdlEEZZNS1_27merge_sort_block_merge_implIS3_PdN6thrust23THRUST_200600_302600_NS10device_ptrIlEEjNS1_19radix_merge_compareILb0ELb0EdNS0_19identity_decomposerEEEEE10hipError_tT0_T1_T2_jT3_P12ihipStream_tbPNSt15iterator_traitsISG_E10value_typeEPNSM_ISH_E10value_typeEPSI_NS1_7vsmem_tEENKUlT_SG_SH_SI_E_clIS7_S7_PlSB_EESF_SV_SG_SH_SI_EUlSV_E_NS1_11comp_targetILNS1_3genE9ELNS1_11target_archE1100ELNS1_3gpuE3ELNS1_3repE0EEENS1_48merge_mergepath_partition_config_static_selectorELNS0_4arch9wavefront6targetE1EEEvSH_,"axG",@progbits,_ZN7rocprim17ROCPRIM_400000_NS6detail17trampoline_kernelINS0_14default_configENS1_38merge_sort_block_merge_config_selectorIdlEEZZNS1_27merge_sort_block_merge_implIS3_PdN6thrust23THRUST_200600_302600_NS10device_ptrIlEEjNS1_19radix_merge_compareILb0ELb0EdNS0_19identity_decomposerEEEEE10hipError_tT0_T1_T2_jT3_P12ihipStream_tbPNSt15iterator_traitsISG_E10value_typeEPNSM_ISH_E10value_typeEPSI_NS1_7vsmem_tEENKUlT_SG_SH_SI_E_clIS7_S7_PlSB_EESF_SV_SG_SH_SI_EUlSV_E_NS1_11comp_targetILNS1_3genE9ELNS1_11target_archE1100ELNS1_3gpuE3ELNS1_3repE0EEENS1_48merge_mergepath_partition_config_static_selectorELNS0_4arch9wavefront6targetE1EEEvSH_,comdat
.Lfunc_end1548:
	.size	_ZN7rocprim17ROCPRIM_400000_NS6detail17trampoline_kernelINS0_14default_configENS1_38merge_sort_block_merge_config_selectorIdlEEZZNS1_27merge_sort_block_merge_implIS3_PdN6thrust23THRUST_200600_302600_NS10device_ptrIlEEjNS1_19radix_merge_compareILb0ELb0EdNS0_19identity_decomposerEEEEE10hipError_tT0_T1_T2_jT3_P12ihipStream_tbPNSt15iterator_traitsISG_E10value_typeEPNSM_ISH_E10value_typeEPSI_NS1_7vsmem_tEENKUlT_SG_SH_SI_E_clIS7_S7_PlSB_EESF_SV_SG_SH_SI_EUlSV_E_NS1_11comp_targetILNS1_3genE9ELNS1_11target_archE1100ELNS1_3gpuE3ELNS1_3repE0EEENS1_48merge_mergepath_partition_config_static_selectorELNS0_4arch9wavefront6targetE1EEEvSH_, .Lfunc_end1548-_ZN7rocprim17ROCPRIM_400000_NS6detail17trampoline_kernelINS0_14default_configENS1_38merge_sort_block_merge_config_selectorIdlEEZZNS1_27merge_sort_block_merge_implIS3_PdN6thrust23THRUST_200600_302600_NS10device_ptrIlEEjNS1_19radix_merge_compareILb0ELb0EdNS0_19identity_decomposerEEEEE10hipError_tT0_T1_T2_jT3_P12ihipStream_tbPNSt15iterator_traitsISG_E10value_typeEPNSM_ISH_E10value_typeEPSI_NS1_7vsmem_tEENKUlT_SG_SH_SI_E_clIS7_S7_PlSB_EESF_SV_SG_SH_SI_EUlSV_E_NS1_11comp_targetILNS1_3genE9ELNS1_11target_archE1100ELNS1_3gpuE3ELNS1_3repE0EEENS1_48merge_mergepath_partition_config_static_selectorELNS0_4arch9wavefront6targetE1EEEvSH_
                                        ; -- End function
	.set _ZN7rocprim17ROCPRIM_400000_NS6detail17trampoline_kernelINS0_14default_configENS1_38merge_sort_block_merge_config_selectorIdlEEZZNS1_27merge_sort_block_merge_implIS3_PdN6thrust23THRUST_200600_302600_NS10device_ptrIlEEjNS1_19radix_merge_compareILb0ELb0EdNS0_19identity_decomposerEEEEE10hipError_tT0_T1_T2_jT3_P12ihipStream_tbPNSt15iterator_traitsISG_E10value_typeEPNSM_ISH_E10value_typeEPSI_NS1_7vsmem_tEENKUlT_SG_SH_SI_E_clIS7_S7_PlSB_EESF_SV_SG_SH_SI_EUlSV_E_NS1_11comp_targetILNS1_3genE9ELNS1_11target_archE1100ELNS1_3gpuE3ELNS1_3repE0EEENS1_48merge_mergepath_partition_config_static_selectorELNS0_4arch9wavefront6targetE1EEEvSH_.num_vgpr, 0
	.set _ZN7rocprim17ROCPRIM_400000_NS6detail17trampoline_kernelINS0_14default_configENS1_38merge_sort_block_merge_config_selectorIdlEEZZNS1_27merge_sort_block_merge_implIS3_PdN6thrust23THRUST_200600_302600_NS10device_ptrIlEEjNS1_19radix_merge_compareILb0ELb0EdNS0_19identity_decomposerEEEEE10hipError_tT0_T1_T2_jT3_P12ihipStream_tbPNSt15iterator_traitsISG_E10value_typeEPNSM_ISH_E10value_typeEPSI_NS1_7vsmem_tEENKUlT_SG_SH_SI_E_clIS7_S7_PlSB_EESF_SV_SG_SH_SI_EUlSV_E_NS1_11comp_targetILNS1_3genE9ELNS1_11target_archE1100ELNS1_3gpuE3ELNS1_3repE0EEENS1_48merge_mergepath_partition_config_static_selectorELNS0_4arch9wavefront6targetE1EEEvSH_.num_agpr, 0
	.set _ZN7rocprim17ROCPRIM_400000_NS6detail17trampoline_kernelINS0_14default_configENS1_38merge_sort_block_merge_config_selectorIdlEEZZNS1_27merge_sort_block_merge_implIS3_PdN6thrust23THRUST_200600_302600_NS10device_ptrIlEEjNS1_19radix_merge_compareILb0ELb0EdNS0_19identity_decomposerEEEEE10hipError_tT0_T1_T2_jT3_P12ihipStream_tbPNSt15iterator_traitsISG_E10value_typeEPNSM_ISH_E10value_typeEPSI_NS1_7vsmem_tEENKUlT_SG_SH_SI_E_clIS7_S7_PlSB_EESF_SV_SG_SH_SI_EUlSV_E_NS1_11comp_targetILNS1_3genE9ELNS1_11target_archE1100ELNS1_3gpuE3ELNS1_3repE0EEENS1_48merge_mergepath_partition_config_static_selectorELNS0_4arch9wavefront6targetE1EEEvSH_.numbered_sgpr, 0
	.set _ZN7rocprim17ROCPRIM_400000_NS6detail17trampoline_kernelINS0_14default_configENS1_38merge_sort_block_merge_config_selectorIdlEEZZNS1_27merge_sort_block_merge_implIS3_PdN6thrust23THRUST_200600_302600_NS10device_ptrIlEEjNS1_19radix_merge_compareILb0ELb0EdNS0_19identity_decomposerEEEEE10hipError_tT0_T1_T2_jT3_P12ihipStream_tbPNSt15iterator_traitsISG_E10value_typeEPNSM_ISH_E10value_typeEPSI_NS1_7vsmem_tEENKUlT_SG_SH_SI_E_clIS7_S7_PlSB_EESF_SV_SG_SH_SI_EUlSV_E_NS1_11comp_targetILNS1_3genE9ELNS1_11target_archE1100ELNS1_3gpuE3ELNS1_3repE0EEENS1_48merge_mergepath_partition_config_static_selectorELNS0_4arch9wavefront6targetE1EEEvSH_.num_named_barrier, 0
	.set _ZN7rocprim17ROCPRIM_400000_NS6detail17trampoline_kernelINS0_14default_configENS1_38merge_sort_block_merge_config_selectorIdlEEZZNS1_27merge_sort_block_merge_implIS3_PdN6thrust23THRUST_200600_302600_NS10device_ptrIlEEjNS1_19radix_merge_compareILb0ELb0EdNS0_19identity_decomposerEEEEE10hipError_tT0_T1_T2_jT3_P12ihipStream_tbPNSt15iterator_traitsISG_E10value_typeEPNSM_ISH_E10value_typeEPSI_NS1_7vsmem_tEENKUlT_SG_SH_SI_E_clIS7_S7_PlSB_EESF_SV_SG_SH_SI_EUlSV_E_NS1_11comp_targetILNS1_3genE9ELNS1_11target_archE1100ELNS1_3gpuE3ELNS1_3repE0EEENS1_48merge_mergepath_partition_config_static_selectorELNS0_4arch9wavefront6targetE1EEEvSH_.private_seg_size, 0
	.set _ZN7rocprim17ROCPRIM_400000_NS6detail17trampoline_kernelINS0_14default_configENS1_38merge_sort_block_merge_config_selectorIdlEEZZNS1_27merge_sort_block_merge_implIS3_PdN6thrust23THRUST_200600_302600_NS10device_ptrIlEEjNS1_19radix_merge_compareILb0ELb0EdNS0_19identity_decomposerEEEEE10hipError_tT0_T1_T2_jT3_P12ihipStream_tbPNSt15iterator_traitsISG_E10value_typeEPNSM_ISH_E10value_typeEPSI_NS1_7vsmem_tEENKUlT_SG_SH_SI_E_clIS7_S7_PlSB_EESF_SV_SG_SH_SI_EUlSV_E_NS1_11comp_targetILNS1_3genE9ELNS1_11target_archE1100ELNS1_3gpuE3ELNS1_3repE0EEENS1_48merge_mergepath_partition_config_static_selectorELNS0_4arch9wavefront6targetE1EEEvSH_.uses_vcc, 0
	.set _ZN7rocprim17ROCPRIM_400000_NS6detail17trampoline_kernelINS0_14default_configENS1_38merge_sort_block_merge_config_selectorIdlEEZZNS1_27merge_sort_block_merge_implIS3_PdN6thrust23THRUST_200600_302600_NS10device_ptrIlEEjNS1_19radix_merge_compareILb0ELb0EdNS0_19identity_decomposerEEEEE10hipError_tT0_T1_T2_jT3_P12ihipStream_tbPNSt15iterator_traitsISG_E10value_typeEPNSM_ISH_E10value_typeEPSI_NS1_7vsmem_tEENKUlT_SG_SH_SI_E_clIS7_S7_PlSB_EESF_SV_SG_SH_SI_EUlSV_E_NS1_11comp_targetILNS1_3genE9ELNS1_11target_archE1100ELNS1_3gpuE3ELNS1_3repE0EEENS1_48merge_mergepath_partition_config_static_selectorELNS0_4arch9wavefront6targetE1EEEvSH_.uses_flat_scratch, 0
	.set _ZN7rocprim17ROCPRIM_400000_NS6detail17trampoline_kernelINS0_14default_configENS1_38merge_sort_block_merge_config_selectorIdlEEZZNS1_27merge_sort_block_merge_implIS3_PdN6thrust23THRUST_200600_302600_NS10device_ptrIlEEjNS1_19radix_merge_compareILb0ELb0EdNS0_19identity_decomposerEEEEE10hipError_tT0_T1_T2_jT3_P12ihipStream_tbPNSt15iterator_traitsISG_E10value_typeEPNSM_ISH_E10value_typeEPSI_NS1_7vsmem_tEENKUlT_SG_SH_SI_E_clIS7_S7_PlSB_EESF_SV_SG_SH_SI_EUlSV_E_NS1_11comp_targetILNS1_3genE9ELNS1_11target_archE1100ELNS1_3gpuE3ELNS1_3repE0EEENS1_48merge_mergepath_partition_config_static_selectorELNS0_4arch9wavefront6targetE1EEEvSH_.has_dyn_sized_stack, 0
	.set _ZN7rocprim17ROCPRIM_400000_NS6detail17trampoline_kernelINS0_14default_configENS1_38merge_sort_block_merge_config_selectorIdlEEZZNS1_27merge_sort_block_merge_implIS3_PdN6thrust23THRUST_200600_302600_NS10device_ptrIlEEjNS1_19radix_merge_compareILb0ELb0EdNS0_19identity_decomposerEEEEE10hipError_tT0_T1_T2_jT3_P12ihipStream_tbPNSt15iterator_traitsISG_E10value_typeEPNSM_ISH_E10value_typeEPSI_NS1_7vsmem_tEENKUlT_SG_SH_SI_E_clIS7_S7_PlSB_EESF_SV_SG_SH_SI_EUlSV_E_NS1_11comp_targetILNS1_3genE9ELNS1_11target_archE1100ELNS1_3gpuE3ELNS1_3repE0EEENS1_48merge_mergepath_partition_config_static_selectorELNS0_4arch9wavefront6targetE1EEEvSH_.has_recursion, 0
	.set _ZN7rocprim17ROCPRIM_400000_NS6detail17trampoline_kernelINS0_14default_configENS1_38merge_sort_block_merge_config_selectorIdlEEZZNS1_27merge_sort_block_merge_implIS3_PdN6thrust23THRUST_200600_302600_NS10device_ptrIlEEjNS1_19radix_merge_compareILb0ELb0EdNS0_19identity_decomposerEEEEE10hipError_tT0_T1_T2_jT3_P12ihipStream_tbPNSt15iterator_traitsISG_E10value_typeEPNSM_ISH_E10value_typeEPSI_NS1_7vsmem_tEENKUlT_SG_SH_SI_E_clIS7_S7_PlSB_EESF_SV_SG_SH_SI_EUlSV_E_NS1_11comp_targetILNS1_3genE9ELNS1_11target_archE1100ELNS1_3gpuE3ELNS1_3repE0EEENS1_48merge_mergepath_partition_config_static_selectorELNS0_4arch9wavefront6targetE1EEEvSH_.has_indirect_call, 0
	.section	.AMDGPU.csdata,"",@progbits
; Kernel info:
; codeLenInByte = 0
; TotalNumSgprs: 4
; NumVgprs: 0
; ScratchSize: 0
; MemoryBound: 0
; FloatMode: 240
; IeeeMode: 1
; LDSByteSize: 0 bytes/workgroup (compile time only)
; SGPRBlocks: 0
; VGPRBlocks: 0
; NumSGPRsForWavesPerEU: 4
; NumVGPRsForWavesPerEU: 1
; Occupancy: 10
; WaveLimiterHint : 0
; COMPUTE_PGM_RSRC2:SCRATCH_EN: 0
; COMPUTE_PGM_RSRC2:USER_SGPR: 6
; COMPUTE_PGM_RSRC2:TRAP_HANDLER: 0
; COMPUTE_PGM_RSRC2:TGID_X_EN: 1
; COMPUTE_PGM_RSRC2:TGID_Y_EN: 0
; COMPUTE_PGM_RSRC2:TGID_Z_EN: 0
; COMPUTE_PGM_RSRC2:TIDIG_COMP_CNT: 0
	.section	.text._ZN7rocprim17ROCPRIM_400000_NS6detail17trampoline_kernelINS0_14default_configENS1_38merge_sort_block_merge_config_selectorIdlEEZZNS1_27merge_sort_block_merge_implIS3_PdN6thrust23THRUST_200600_302600_NS10device_ptrIlEEjNS1_19radix_merge_compareILb0ELb0EdNS0_19identity_decomposerEEEEE10hipError_tT0_T1_T2_jT3_P12ihipStream_tbPNSt15iterator_traitsISG_E10value_typeEPNSM_ISH_E10value_typeEPSI_NS1_7vsmem_tEENKUlT_SG_SH_SI_E_clIS7_S7_PlSB_EESF_SV_SG_SH_SI_EUlSV_E_NS1_11comp_targetILNS1_3genE8ELNS1_11target_archE1030ELNS1_3gpuE2ELNS1_3repE0EEENS1_48merge_mergepath_partition_config_static_selectorELNS0_4arch9wavefront6targetE1EEEvSH_,"axG",@progbits,_ZN7rocprim17ROCPRIM_400000_NS6detail17trampoline_kernelINS0_14default_configENS1_38merge_sort_block_merge_config_selectorIdlEEZZNS1_27merge_sort_block_merge_implIS3_PdN6thrust23THRUST_200600_302600_NS10device_ptrIlEEjNS1_19radix_merge_compareILb0ELb0EdNS0_19identity_decomposerEEEEE10hipError_tT0_T1_T2_jT3_P12ihipStream_tbPNSt15iterator_traitsISG_E10value_typeEPNSM_ISH_E10value_typeEPSI_NS1_7vsmem_tEENKUlT_SG_SH_SI_E_clIS7_S7_PlSB_EESF_SV_SG_SH_SI_EUlSV_E_NS1_11comp_targetILNS1_3genE8ELNS1_11target_archE1030ELNS1_3gpuE2ELNS1_3repE0EEENS1_48merge_mergepath_partition_config_static_selectorELNS0_4arch9wavefront6targetE1EEEvSH_,comdat
	.protected	_ZN7rocprim17ROCPRIM_400000_NS6detail17trampoline_kernelINS0_14default_configENS1_38merge_sort_block_merge_config_selectorIdlEEZZNS1_27merge_sort_block_merge_implIS3_PdN6thrust23THRUST_200600_302600_NS10device_ptrIlEEjNS1_19radix_merge_compareILb0ELb0EdNS0_19identity_decomposerEEEEE10hipError_tT0_T1_T2_jT3_P12ihipStream_tbPNSt15iterator_traitsISG_E10value_typeEPNSM_ISH_E10value_typeEPSI_NS1_7vsmem_tEENKUlT_SG_SH_SI_E_clIS7_S7_PlSB_EESF_SV_SG_SH_SI_EUlSV_E_NS1_11comp_targetILNS1_3genE8ELNS1_11target_archE1030ELNS1_3gpuE2ELNS1_3repE0EEENS1_48merge_mergepath_partition_config_static_selectorELNS0_4arch9wavefront6targetE1EEEvSH_ ; -- Begin function _ZN7rocprim17ROCPRIM_400000_NS6detail17trampoline_kernelINS0_14default_configENS1_38merge_sort_block_merge_config_selectorIdlEEZZNS1_27merge_sort_block_merge_implIS3_PdN6thrust23THRUST_200600_302600_NS10device_ptrIlEEjNS1_19radix_merge_compareILb0ELb0EdNS0_19identity_decomposerEEEEE10hipError_tT0_T1_T2_jT3_P12ihipStream_tbPNSt15iterator_traitsISG_E10value_typeEPNSM_ISH_E10value_typeEPSI_NS1_7vsmem_tEENKUlT_SG_SH_SI_E_clIS7_S7_PlSB_EESF_SV_SG_SH_SI_EUlSV_E_NS1_11comp_targetILNS1_3genE8ELNS1_11target_archE1030ELNS1_3gpuE2ELNS1_3repE0EEENS1_48merge_mergepath_partition_config_static_selectorELNS0_4arch9wavefront6targetE1EEEvSH_
	.globl	_ZN7rocprim17ROCPRIM_400000_NS6detail17trampoline_kernelINS0_14default_configENS1_38merge_sort_block_merge_config_selectorIdlEEZZNS1_27merge_sort_block_merge_implIS3_PdN6thrust23THRUST_200600_302600_NS10device_ptrIlEEjNS1_19radix_merge_compareILb0ELb0EdNS0_19identity_decomposerEEEEE10hipError_tT0_T1_T2_jT3_P12ihipStream_tbPNSt15iterator_traitsISG_E10value_typeEPNSM_ISH_E10value_typeEPSI_NS1_7vsmem_tEENKUlT_SG_SH_SI_E_clIS7_S7_PlSB_EESF_SV_SG_SH_SI_EUlSV_E_NS1_11comp_targetILNS1_3genE8ELNS1_11target_archE1030ELNS1_3gpuE2ELNS1_3repE0EEENS1_48merge_mergepath_partition_config_static_selectorELNS0_4arch9wavefront6targetE1EEEvSH_
	.p2align	8
	.type	_ZN7rocprim17ROCPRIM_400000_NS6detail17trampoline_kernelINS0_14default_configENS1_38merge_sort_block_merge_config_selectorIdlEEZZNS1_27merge_sort_block_merge_implIS3_PdN6thrust23THRUST_200600_302600_NS10device_ptrIlEEjNS1_19radix_merge_compareILb0ELb0EdNS0_19identity_decomposerEEEEE10hipError_tT0_T1_T2_jT3_P12ihipStream_tbPNSt15iterator_traitsISG_E10value_typeEPNSM_ISH_E10value_typeEPSI_NS1_7vsmem_tEENKUlT_SG_SH_SI_E_clIS7_S7_PlSB_EESF_SV_SG_SH_SI_EUlSV_E_NS1_11comp_targetILNS1_3genE8ELNS1_11target_archE1030ELNS1_3gpuE2ELNS1_3repE0EEENS1_48merge_mergepath_partition_config_static_selectorELNS0_4arch9wavefront6targetE1EEEvSH_,@function
_ZN7rocprim17ROCPRIM_400000_NS6detail17trampoline_kernelINS0_14default_configENS1_38merge_sort_block_merge_config_selectorIdlEEZZNS1_27merge_sort_block_merge_implIS3_PdN6thrust23THRUST_200600_302600_NS10device_ptrIlEEjNS1_19radix_merge_compareILb0ELb0EdNS0_19identity_decomposerEEEEE10hipError_tT0_T1_T2_jT3_P12ihipStream_tbPNSt15iterator_traitsISG_E10value_typeEPNSM_ISH_E10value_typeEPSI_NS1_7vsmem_tEENKUlT_SG_SH_SI_E_clIS7_S7_PlSB_EESF_SV_SG_SH_SI_EUlSV_E_NS1_11comp_targetILNS1_3genE8ELNS1_11target_archE1030ELNS1_3gpuE2ELNS1_3repE0EEENS1_48merge_mergepath_partition_config_static_selectorELNS0_4arch9wavefront6targetE1EEEvSH_: ; @_ZN7rocprim17ROCPRIM_400000_NS6detail17trampoline_kernelINS0_14default_configENS1_38merge_sort_block_merge_config_selectorIdlEEZZNS1_27merge_sort_block_merge_implIS3_PdN6thrust23THRUST_200600_302600_NS10device_ptrIlEEjNS1_19radix_merge_compareILb0ELb0EdNS0_19identity_decomposerEEEEE10hipError_tT0_T1_T2_jT3_P12ihipStream_tbPNSt15iterator_traitsISG_E10value_typeEPNSM_ISH_E10value_typeEPSI_NS1_7vsmem_tEENKUlT_SG_SH_SI_E_clIS7_S7_PlSB_EESF_SV_SG_SH_SI_EUlSV_E_NS1_11comp_targetILNS1_3genE8ELNS1_11target_archE1030ELNS1_3gpuE2ELNS1_3repE0EEENS1_48merge_mergepath_partition_config_static_selectorELNS0_4arch9wavefront6targetE1EEEvSH_
; %bb.0:
	.section	.rodata,"a",@progbits
	.p2align	6, 0x0
	.amdhsa_kernel _ZN7rocprim17ROCPRIM_400000_NS6detail17trampoline_kernelINS0_14default_configENS1_38merge_sort_block_merge_config_selectorIdlEEZZNS1_27merge_sort_block_merge_implIS3_PdN6thrust23THRUST_200600_302600_NS10device_ptrIlEEjNS1_19radix_merge_compareILb0ELb0EdNS0_19identity_decomposerEEEEE10hipError_tT0_T1_T2_jT3_P12ihipStream_tbPNSt15iterator_traitsISG_E10value_typeEPNSM_ISH_E10value_typeEPSI_NS1_7vsmem_tEENKUlT_SG_SH_SI_E_clIS7_S7_PlSB_EESF_SV_SG_SH_SI_EUlSV_E_NS1_11comp_targetILNS1_3genE8ELNS1_11target_archE1030ELNS1_3gpuE2ELNS1_3repE0EEENS1_48merge_mergepath_partition_config_static_selectorELNS0_4arch9wavefront6targetE1EEEvSH_
		.amdhsa_group_segment_fixed_size 0
		.amdhsa_private_segment_fixed_size 0
		.amdhsa_kernarg_size 40
		.amdhsa_user_sgpr_count 6
		.amdhsa_user_sgpr_private_segment_buffer 1
		.amdhsa_user_sgpr_dispatch_ptr 0
		.amdhsa_user_sgpr_queue_ptr 0
		.amdhsa_user_sgpr_kernarg_segment_ptr 1
		.amdhsa_user_sgpr_dispatch_id 0
		.amdhsa_user_sgpr_flat_scratch_init 0
		.amdhsa_user_sgpr_private_segment_size 0
		.amdhsa_uses_dynamic_stack 0
		.amdhsa_system_sgpr_private_segment_wavefront_offset 0
		.amdhsa_system_sgpr_workgroup_id_x 1
		.amdhsa_system_sgpr_workgroup_id_y 0
		.amdhsa_system_sgpr_workgroup_id_z 0
		.amdhsa_system_sgpr_workgroup_info 0
		.amdhsa_system_vgpr_workitem_id 0
		.amdhsa_next_free_vgpr 1
		.amdhsa_next_free_sgpr 0
		.amdhsa_reserve_vcc 0
		.amdhsa_reserve_flat_scratch 0
		.amdhsa_float_round_mode_32 0
		.amdhsa_float_round_mode_16_64 0
		.amdhsa_float_denorm_mode_32 3
		.amdhsa_float_denorm_mode_16_64 3
		.amdhsa_dx10_clamp 1
		.amdhsa_ieee_mode 1
		.amdhsa_fp16_overflow 0
		.amdhsa_exception_fp_ieee_invalid_op 0
		.amdhsa_exception_fp_denorm_src 0
		.amdhsa_exception_fp_ieee_div_zero 0
		.amdhsa_exception_fp_ieee_overflow 0
		.amdhsa_exception_fp_ieee_underflow 0
		.amdhsa_exception_fp_ieee_inexact 0
		.amdhsa_exception_int_div_zero 0
	.end_amdhsa_kernel
	.section	.text._ZN7rocprim17ROCPRIM_400000_NS6detail17trampoline_kernelINS0_14default_configENS1_38merge_sort_block_merge_config_selectorIdlEEZZNS1_27merge_sort_block_merge_implIS3_PdN6thrust23THRUST_200600_302600_NS10device_ptrIlEEjNS1_19radix_merge_compareILb0ELb0EdNS0_19identity_decomposerEEEEE10hipError_tT0_T1_T2_jT3_P12ihipStream_tbPNSt15iterator_traitsISG_E10value_typeEPNSM_ISH_E10value_typeEPSI_NS1_7vsmem_tEENKUlT_SG_SH_SI_E_clIS7_S7_PlSB_EESF_SV_SG_SH_SI_EUlSV_E_NS1_11comp_targetILNS1_3genE8ELNS1_11target_archE1030ELNS1_3gpuE2ELNS1_3repE0EEENS1_48merge_mergepath_partition_config_static_selectorELNS0_4arch9wavefront6targetE1EEEvSH_,"axG",@progbits,_ZN7rocprim17ROCPRIM_400000_NS6detail17trampoline_kernelINS0_14default_configENS1_38merge_sort_block_merge_config_selectorIdlEEZZNS1_27merge_sort_block_merge_implIS3_PdN6thrust23THRUST_200600_302600_NS10device_ptrIlEEjNS1_19radix_merge_compareILb0ELb0EdNS0_19identity_decomposerEEEEE10hipError_tT0_T1_T2_jT3_P12ihipStream_tbPNSt15iterator_traitsISG_E10value_typeEPNSM_ISH_E10value_typeEPSI_NS1_7vsmem_tEENKUlT_SG_SH_SI_E_clIS7_S7_PlSB_EESF_SV_SG_SH_SI_EUlSV_E_NS1_11comp_targetILNS1_3genE8ELNS1_11target_archE1030ELNS1_3gpuE2ELNS1_3repE0EEENS1_48merge_mergepath_partition_config_static_selectorELNS0_4arch9wavefront6targetE1EEEvSH_,comdat
.Lfunc_end1549:
	.size	_ZN7rocprim17ROCPRIM_400000_NS6detail17trampoline_kernelINS0_14default_configENS1_38merge_sort_block_merge_config_selectorIdlEEZZNS1_27merge_sort_block_merge_implIS3_PdN6thrust23THRUST_200600_302600_NS10device_ptrIlEEjNS1_19radix_merge_compareILb0ELb0EdNS0_19identity_decomposerEEEEE10hipError_tT0_T1_T2_jT3_P12ihipStream_tbPNSt15iterator_traitsISG_E10value_typeEPNSM_ISH_E10value_typeEPSI_NS1_7vsmem_tEENKUlT_SG_SH_SI_E_clIS7_S7_PlSB_EESF_SV_SG_SH_SI_EUlSV_E_NS1_11comp_targetILNS1_3genE8ELNS1_11target_archE1030ELNS1_3gpuE2ELNS1_3repE0EEENS1_48merge_mergepath_partition_config_static_selectorELNS0_4arch9wavefront6targetE1EEEvSH_, .Lfunc_end1549-_ZN7rocprim17ROCPRIM_400000_NS6detail17trampoline_kernelINS0_14default_configENS1_38merge_sort_block_merge_config_selectorIdlEEZZNS1_27merge_sort_block_merge_implIS3_PdN6thrust23THRUST_200600_302600_NS10device_ptrIlEEjNS1_19radix_merge_compareILb0ELb0EdNS0_19identity_decomposerEEEEE10hipError_tT0_T1_T2_jT3_P12ihipStream_tbPNSt15iterator_traitsISG_E10value_typeEPNSM_ISH_E10value_typeEPSI_NS1_7vsmem_tEENKUlT_SG_SH_SI_E_clIS7_S7_PlSB_EESF_SV_SG_SH_SI_EUlSV_E_NS1_11comp_targetILNS1_3genE8ELNS1_11target_archE1030ELNS1_3gpuE2ELNS1_3repE0EEENS1_48merge_mergepath_partition_config_static_selectorELNS0_4arch9wavefront6targetE1EEEvSH_
                                        ; -- End function
	.set _ZN7rocprim17ROCPRIM_400000_NS6detail17trampoline_kernelINS0_14default_configENS1_38merge_sort_block_merge_config_selectorIdlEEZZNS1_27merge_sort_block_merge_implIS3_PdN6thrust23THRUST_200600_302600_NS10device_ptrIlEEjNS1_19radix_merge_compareILb0ELb0EdNS0_19identity_decomposerEEEEE10hipError_tT0_T1_T2_jT3_P12ihipStream_tbPNSt15iterator_traitsISG_E10value_typeEPNSM_ISH_E10value_typeEPSI_NS1_7vsmem_tEENKUlT_SG_SH_SI_E_clIS7_S7_PlSB_EESF_SV_SG_SH_SI_EUlSV_E_NS1_11comp_targetILNS1_3genE8ELNS1_11target_archE1030ELNS1_3gpuE2ELNS1_3repE0EEENS1_48merge_mergepath_partition_config_static_selectorELNS0_4arch9wavefront6targetE1EEEvSH_.num_vgpr, 0
	.set _ZN7rocprim17ROCPRIM_400000_NS6detail17trampoline_kernelINS0_14default_configENS1_38merge_sort_block_merge_config_selectorIdlEEZZNS1_27merge_sort_block_merge_implIS3_PdN6thrust23THRUST_200600_302600_NS10device_ptrIlEEjNS1_19radix_merge_compareILb0ELb0EdNS0_19identity_decomposerEEEEE10hipError_tT0_T1_T2_jT3_P12ihipStream_tbPNSt15iterator_traitsISG_E10value_typeEPNSM_ISH_E10value_typeEPSI_NS1_7vsmem_tEENKUlT_SG_SH_SI_E_clIS7_S7_PlSB_EESF_SV_SG_SH_SI_EUlSV_E_NS1_11comp_targetILNS1_3genE8ELNS1_11target_archE1030ELNS1_3gpuE2ELNS1_3repE0EEENS1_48merge_mergepath_partition_config_static_selectorELNS0_4arch9wavefront6targetE1EEEvSH_.num_agpr, 0
	.set _ZN7rocprim17ROCPRIM_400000_NS6detail17trampoline_kernelINS0_14default_configENS1_38merge_sort_block_merge_config_selectorIdlEEZZNS1_27merge_sort_block_merge_implIS3_PdN6thrust23THRUST_200600_302600_NS10device_ptrIlEEjNS1_19radix_merge_compareILb0ELb0EdNS0_19identity_decomposerEEEEE10hipError_tT0_T1_T2_jT3_P12ihipStream_tbPNSt15iterator_traitsISG_E10value_typeEPNSM_ISH_E10value_typeEPSI_NS1_7vsmem_tEENKUlT_SG_SH_SI_E_clIS7_S7_PlSB_EESF_SV_SG_SH_SI_EUlSV_E_NS1_11comp_targetILNS1_3genE8ELNS1_11target_archE1030ELNS1_3gpuE2ELNS1_3repE0EEENS1_48merge_mergepath_partition_config_static_selectorELNS0_4arch9wavefront6targetE1EEEvSH_.numbered_sgpr, 0
	.set _ZN7rocprim17ROCPRIM_400000_NS6detail17trampoline_kernelINS0_14default_configENS1_38merge_sort_block_merge_config_selectorIdlEEZZNS1_27merge_sort_block_merge_implIS3_PdN6thrust23THRUST_200600_302600_NS10device_ptrIlEEjNS1_19radix_merge_compareILb0ELb0EdNS0_19identity_decomposerEEEEE10hipError_tT0_T1_T2_jT3_P12ihipStream_tbPNSt15iterator_traitsISG_E10value_typeEPNSM_ISH_E10value_typeEPSI_NS1_7vsmem_tEENKUlT_SG_SH_SI_E_clIS7_S7_PlSB_EESF_SV_SG_SH_SI_EUlSV_E_NS1_11comp_targetILNS1_3genE8ELNS1_11target_archE1030ELNS1_3gpuE2ELNS1_3repE0EEENS1_48merge_mergepath_partition_config_static_selectorELNS0_4arch9wavefront6targetE1EEEvSH_.num_named_barrier, 0
	.set _ZN7rocprim17ROCPRIM_400000_NS6detail17trampoline_kernelINS0_14default_configENS1_38merge_sort_block_merge_config_selectorIdlEEZZNS1_27merge_sort_block_merge_implIS3_PdN6thrust23THRUST_200600_302600_NS10device_ptrIlEEjNS1_19radix_merge_compareILb0ELb0EdNS0_19identity_decomposerEEEEE10hipError_tT0_T1_T2_jT3_P12ihipStream_tbPNSt15iterator_traitsISG_E10value_typeEPNSM_ISH_E10value_typeEPSI_NS1_7vsmem_tEENKUlT_SG_SH_SI_E_clIS7_S7_PlSB_EESF_SV_SG_SH_SI_EUlSV_E_NS1_11comp_targetILNS1_3genE8ELNS1_11target_archE1030ELNS1_3gpuE2ELNS1_3repE0EEENS1_48merge_mergepath_partition_config_static_selectorELNS0_4arch9wavefront6targetE1EEEvSH_.private_seg_size, 0
	.set _ZN7rocprim17ROCPRIM_400000_NS6detail17trampoline_kernelINS0_14default_configENS1_38merge_sort_block_merge_config_selectorIdlEEZZNS1_27merge_sort_block_merge_implIS3_PdN6thrust23THRUST_200600_302600_NS10device_ptrIlEEjNS1_19radix_merge_compareILb0ELb0EdNS0_19identity_decomposerEEEEE10hipError_tT0_T1_T2_jT3_P12ihipStream_tbPNSt15iterator_traitsISG_E10value_typeEPNSM_ISH_E10value_typeEPSI_NS1_7vsmem_tEENKUlT_SG_SH_SI_E_clIS7_S7_PlSB_EESF_SV_SG_SH_SI_EUlSV_E_NS1_11comp_targetILNS1_3genE8ELNS1_11target_archE1030ELNS1_3gpuE2ELNS1_3repE0EEENS1_48merge_mergepath_partition_config_static_selectorELNS0_4arch9wavefront6targetE1EEEvSH_.uses_vcc, 0
	.set _ZN7rocprim17ROCPRIM_400000_NS6detail17trampoline_kernelINS0_14default_configENS1_38merge_sort_block_merge_config_selectorIdlEEZZNS1_27merge_sort_block_merge_implIS3_PdN6thrust23THRUST_200600_302600_NS10device_ptrIlEEjNS1_19radix_merge_compareILb0ELb0EdNS0_19identity_decomposerEEEEE10hipError_tT0_T1_T2_jT3_P12ihipStream_tbPNSt15iterator_traitsISG_E10value_typeEPNSM_ISH_E10value_typeEPSI_NS1_7vsmem_tEENKUlT_SG_SH_SI_E_clIS7_S7_PlSB_EESF_SV_SG_SH_SI_EUlSV_E_NS1_11comp_targetILNS1_3genE8ELNS1_11target_archE1030ELNS1_3gpuE2ELNS1_3repE0EEENS1_48merge_mergepath_partition_config_static_selectorELNS0_4arch9wavefront6targetE1EEEvSH_.uses_flat_scratch, 0
	.set _ZN7rocprim17ROCPRIM_400000_NS6detail17trampoline_kernelINS0_14default_configENS1_38merge_sort_block_merge_config_selectorIdlEEZZNS1_27merge_sort_block_merge_implIS3_PdN6thrust23THRUST_200600_302600_NS10device_ptrIlEEjNS1_19radix_merge_compareILb0ELb0EdNS0_19identity_decomposerEEEEE10hipError_tT0_T1_T2_jT3_P12ihipStream_tbPNSt15iterator_traitsISG_E10value_typeEPNSM_ISH_E10value_typeEPSI_NS1_7vsmem_tEENKUlT_SG_SH_SI_E_clIS7_S7_PlSB_EESF_SV_SG_SH_SI_EUlSV_E_NS1_11comp_targetILNS1_3genE8ELNS1_11target_archE1030ELNS1_3gpuE2ELNS1_3repE0EEENS1_48merge_mergepath_partition_config_static_selectorELNS0_4arch9wavefront6targetE1EEEvSH_.has_dyn_sized_stack, 0
	.set _ZN7rocprim17ROCPRIM_400000_NS6detail17trampoline_kernelINS0_14default_configENS1_38merge_sort_block_merge_config_selectorIdlEEZZNS1_27merge_sort_block_merge_implIS3_PdN6thrust23THRUST_200600_302600_NS10device_ptrIlEEjNS1_19radix_merge_compareILb0ELb0EdNS0_19identity_decomposerEEEEE10hipError_tT0_T1_T2_jT3_P12ihipStream_tbPNSt15iterator_traitsISG_E10value_typeEPNSM_ISH_E10value_typeEPSI_NS1_7vsmem_tEENKUlT_SG_SH_SI_E_clIS7_S7_PlSB_EESF_SV_SG_SH_SI_EUlSV_E_NS1_11comp_targetILNS1_3genE8ELNS1_11target_archE1030ELNS1_3gpuE2ELNS1_3repE0EEENS1_48merge_mergepath_partition_config_static_selectorELNS0_4arch9wavefront6targetE1EEEvSH_.has_recursion, 0
	.set _ZN7rocprim17ROCPRIM_400000_NS6detail17trampoline_kernelINS0_14default_configENS1_38merge_sort_block_merge_config_selectorIdlEEZZNS1_27merge_sort_block_merge_implIS3_PdN6thrust23THRUST_200600_302600_NS10device_ptrIlEEjNS1_19radix_merge_compareILb0ELb0EdNS0_19identity_decomposerEEEEE10hipError_tT0_T1_T2_jT3_P12ihipStream_tbPNSt15iterator_traitsISG_E10value_typeEPNSM_ISH_E10value_typeEPSI_NS1_7vsmem_tEENKUlT_SG_SH_SI_E_clIS7_S7_PlSB_EESF_SV_SG_SH_SI_EUlSV_E_NS1_11comp_targetILNS1_3genE8ELNS1_11target_archE1030ELNS1_3gpuE2ELNS1_3repE0EEENS1_48merge_mergepath_partition_config_static_selectorELNS0_4arch9wavefront6targetE1EEEvSH_.has_indirect_call, 0
	.section	.AMDGPU.csdata,"",@progbits
; Kernel info:
; codeLenInByte = 0
; TotalNumSgprs: 4
; NumVgprs: 0
; ScratchSize: 0
; MemoryBound: 0
; FloatMode: 240
; IeeeMode: 1
; LDSByteSize: 0 bytes/workgroup (compile time only)
; SGPRBlocks: 0
; VGPRBlocks: 0
; NumSGPRsForWavesPerEU: 4
; NumVGPRsForWavesPerEU: 1
; Occupancy: 10
; WaveLimiterHint : 0
; COMPUTE_PGM_RSRC2:SCRATCH_EN: 0
; COMPUTE_PGM_RSRC2:USER_SGPR: 6
; COMPUTE_PGM_RSRC2:TRAP_HANDLER: 0
; COMPUTE_PGM_RSRC2:TGID_X_EN: 1
; COMPUTE_PGM_RSRC2:TGID_Y_EN: 0
; COMPUTE_PGM_RSRC2:TGID_Z_EN: 0
; COMPUTE_PGM_RSRC2:TIDIG_COMP_CNT: 0
	.section	.text._ZN7rocprim17ROCPRIM_400000_NS6detail17trampoline_kernelINS0_14default_configENS1_38merge_sort_block_merge_config_selectorIdlEEZZNS1_27merge_sort_block_merge_implIS3_PdN6thrust23THRUST_200600_302600_NS10device_ptrIlEEjNS1_19radix_merge_compareILb0ELb0EdNS0_19identity_decomposerEEEEE10hipError_tT0_T1_T2_jT3_P12ihipStream_tbPNSt15iterator_traitsISG_E10value_typeEPNSM_ISH_E10value_typeEPSI_NS1_7vsmem_tEENKUlT_SG_SH_SI_E_clIS7_S7_PlSB_EESF_SV_SG_SH_SI_EUlSV_E0_NS1_11comp_targetILNS1_3genE0ELNS1_11target_archE4294967295ELNS1_3gpuE0ELNS1_3repE0EEENS1_38merge_mergepath_config_static_selectorELNS0_4arch9wavefront6targetE1EEEvSH_,"axG",@progbits,_ZN7rocprim17ROCPRIM_400000_NS6detail17trampoline_kernelINS0_14default_configENS1_38merge_sort_block_merge_config_selectorIdlEEZZNS1_27merge_sort_block_merge_implIS3_PdN6thrust23THRUST_200600_302600_NS10device_ptrIlEEjNS1_19radix_merge_compareILb0ELb0EdNS0_19identity_decomposerEEEEE10hipError_tT0_T1_T2_jT3_P12ihipStream_tbPNSt15iterator_traitsISG_E10value_typeEPNSM_ISH_E10value_typeEPSI_NS1_7vsmem_tEENKUlT_SG_SH_SI_E_clIS7_S7_PlSB_EESF_SV_SG_SH_SI_EUlSV_E0_NS1_11comp_targetILNS1_3genE0ELNS1_11target_archE4294967295ELNS1_3gpuE0ELNS1_3repE0EEENS1_38merge_mergepath_config_static_selectorELNS0_4arch9wavefront6targetE1EEEvSH_,comdat
	.protected	_ZN7rocprim17ROCPRIM_400000_NS6detail17trampoline_kernelINS0_14default_configENS1_38merge_sort_block_merge_config_selectorIdlEEZZNS1_27merge_sort_block_merge_implIS3_PdN6thrust23THRUST_200600_302600_NS10device_ptrIlEEjNS1_19radix_merge_compareILb0ELb0EdNS0_19identity_decomposerEEEEE10hipError_tT0_T1_T2_jT3_P12ihipStream_tbPNSt15iterator_traitsISG_E10value_typeEPNSM_ISH_E10value_typeEPSI_NS1_7vsmem_tEENKUlT_SG_SH_SI_E_clIS7_S7_PlSB_EESF_SV_SG_SH_SI_EUlSV_E0_NS1_11comp_targetILNS1_3genE0ELNS1_11target_archE4294967295ELNS1_3gpuE0ELNS1_3repE0EEENS1_38merge_mergepath_config_static_selectorELNS0_4arch9wavefront6targetE1EEEvSH_ ; -- Begin function _ZN7rocprim17ROCPRIM_400000_NS6detail17trampoline_kernelINS0_14default_configENS1_38merge_sort_block_merge_config_selectorIdlEEZZNS1_27merge_sort_block_merge_implIS3_PdN6thrust23THRUST_200600_302600_NS10device_ptrIlEEjNS1_19radix_merge_compareILb0ELb0EdNS0_19identity_decomposerEEEEE10hipError_tT0_T1_T2_jT3_P12ihipStream_tbPNSt15iterator_traitsISG_E10value_typeEPNSM_ISH_E10value_typeEPSI_NS1_7vsmem_tEENKUlT_SG_SH_SI_E_clIS7_S7_PlSB_EESF_SV_SG_SH_SI_EUlSV_E0_NS1_11comp_targetILNS1_3genE0ELNS1_11target_archE4294967295ELNS1_3gpuE0ELNS1_3repE0EEENS1_38merge_mergepath_config_static_selectorELNS0_4arch9wavefront6targetE1EEEvSH_
	.globl	_ZN7rocprim17ROCPRIM_400000_NS6detail17trampoline_kernelINS0_14default_configENS1_38merge_sort_block_merge_config_selectorIdlEEZZNS1_27merge_sort_block_merge_implIS3_PdN6thrust23THRUST_200600_302600_NS10device_ptrIlEEjNS1_19radix_merge_compareILb0ELb0EdNS0_19identity_decomposerEEEEE10hipError_tT0_T1_T2_jT3_P12ihipStream_tbPNSt15iterator_traitsISG_E10value_typeEPNSM_ISH_E10value_typeEPSI_NS1_7vsmem_tEENKUlT_SG_SH_SI_E_clIS7_S7_PlSB_EESF_SV_SG_SH_SI_EUlSV_E0_NS1_11comp_targetILNS1_3genE0ELNS1_11target_archE4294967295ELNS1_3gpuE0ELNS1_3repE0EEENS1_38merge_mergepath_config_static_selectorELNS0_4arch9wavefront6targetE1EEEvSH_
	.p2align	8
	.type	_ZN7rocprim17ROCPRIM_400000_NS6detail17trampoline_kernelINS0_14default_configENS1_38merge_sort_block_merge_config_selectorIdlEEZZNS1_27merge_sort_block_merge_implIS3_PdN6thrust23THRUST_200600_302600_NS10device_ptrIlEEjNS1_19radix_merge_compareILb0ELb0EdNS0_19identity_decomposerEEEEE10hipError_tT0_T1_T2_jT3_P12ihipStream_tbPNSt15iterator_traitsISG_E10value_typeEPNSM_ISH_E10value_typeEPSI_NS1_7vsmem_tEENKUlT_SG_SH_SI_E_clIS7_S7_PlSB_EESF_SV_SG_SH_SI_EUlSV_E0_NS1_11comp_targetILNS1_3genE0ELNS1_11target_archE4294967295ELNS1_3gpuE0ELNS1_3repE0EEENS1_38merge_mergepath_config_static_selectorELNS0_4arch9wavefront6targetE1EEEvSH_,@function
_ZN7rocprim17ROCPRIM_400000_NS6detail17trampoline_kernelINS0_14default_configENS1_38merge_sort_block_merge_config_selectorIdlEEZZNS1_27merge_sort_block_merge_implIS3_PdN6thrust23THRUST_200600_302600_NS10device_ptrIlEEjNS1_19radix_merge_compareILb0ELb0EdNS0_19identity_decomposerEEEEE10hipError_tT0_T1_T2_jT3_P12ihipStream_tbPNSt15iterator_traitsISG_E10value_typeEPNSM_ISH_E10value_typeEPSI_NS1_7vsmem_tEENKUlT_SG_SH_SI_E_clIS7_S7_PlSB_EESF_SV_SG_SH_SI_EUlSV_E0_NS1_11comp_targetILNS1_3genE0ELNS1_11target_archE4294967295ELNS1_3gpuE0ELNS1_3repE0EEENS1_38merge_mergepath_config_static_selectorELNS0_4arch9wavefront6targetE1EEEvSH_: ; @_ZN7rocprim17ROCPRIM_400000_NS6detail17trampoline_kernelINS0_14default_configENS1_38merge_sort_block_merge_config_selectorIdlEEZZNS1_27merge_sort_block_merge_implIS3_PdN6thrust23THRUST_200600_302600_NS10device_ptrIlEEjNS1_19radix_merge_compareILb0ELb0EdNS0_19identity_decomposerEEEEE10hipError_tT0_T1_T2_jT3_P12ihipStream_tbPNSt15iterator_traitsISG_E10value_typeEPNSM_ISH_E10value_typeEPSI_NS1_7vsmem_tEENKUlT_SG_SH_SI_E_clIS7_S7_PlSB_EESF_SV_SG_SH_SI_EUlSV_E0_NS1_11comp_targetILNS1_3genE0ELNS1_11target_archE4294967295ELNS1_3gpuE0ELNS1_3repE0EEENS1_38merge_mergepath_config_static_selectorELNS0_4arch9wavefront6targetE1EEEvSH_
; %bb.0:
	.section	.rodata,"a",@progbits
	.p2align	6, 0x0
	.amdhsa_kernel _ZN7rocprim17ROCPRIM_400000_NS6detail17trampoline_kernelINS0_14default_configENS1_38merge_sort_block_merge_config_selectorIdlEEZZNS1_27merge_sort_block_merge_implIS3_PdN6thrust23THRUST_200600_302600_NS10device_ptrIlEEjNS1_19radix_merge_compareILb0ELb0EdNS0_19identity_decomposerEEEEE10hipError_tT0_T1_T2_jT3_P12ihipStream_tbPNSt15iterator_traitsISG_E10value_typeEPNSM_ISH_E10value_typeEPSI_NS1_7vsmem_tEENKUlT_SG_SH_SI_E_clIS7_S7_PlSB_EESF_SV_SG_SH_SI_EUlSV_E0_NS1_11comp_targetILNS1_3genE0ELNS1_11target_archE4294967295ELNS1_3gpuE0ELNS1_3repE0EEENS1_38merge_mergepath_config_static_selectorELNS0_4arch9wavefront6targetE1EEEvSH_
		.amdhsa_group_segment_fixed_size 0
		.amdhsa_private_segment_fixed_size 0
		.amdhsa_kernarg_size 64
		.amdhsa_user_sgpr_count 6
		.amdhsa_user_sgpr_private_segment_buffer 1
		.amdhsa_user_sgpr_dispatch_ptr 0
		.amdhsa_user_sgpr_queue_ptr 0
		.amdhsa_user_sgpr_kernarg_segment_ptr 1
		.amdhsa_user_sgpr_dispatch_id 0
		.amdhsa_user_sgpr_flat_scratch_init 0
		.amdhsa_user_sgpr_private_segment_size 0
		.amdhsa_uses_dynamic_stack 0
		.amdhsa_system_sgpr_private_segment_wavefront_offset 0
		.amdhsa_system_sgpr_workgroup_id_x 1
		.amdhsa_system_sgpr_workgroup_id_y 0
		.amdhsa_system_sgpr_workgroup_id_z 0
		.amdhsa_system_sgpr_workgroup_info 0
		.amdhsa_system_vgpr_workitem_id 0
		.amdhsa_next_free_vgpr 1
		.amdhsa_next_free_sgpr 0
		.amdhsa_reserve_vcc 0
		.amdhsa_reserve_flat_scratch 0
		.amdhsa_float_round_mode_32 0
		.amdhsa_float_round_mode_16_64 0
		.amdhsa_float_denorm_mode_32 3
		.amdhsa_float_denorm_mode_16_64 3
		.amdhsa_dx10_clamp 1
		.amdhsa_ieee_mode 1
		.amdhsa_fp16_overflow 0
		.amdhsa_exception_fp_ieee_invalid_op 0
		.amdhsa_exception_fp_denorm_src 0
		.amdhsa_exception_fp_ieee_div_zero 0
		.amdhsa_exception_fp_ieee_overflow 0
		.amdhsa_exception_fp_ieee_underflow 0
		.amdhsa_exception_fp_ieee_inexact 0
		.amdhsa_exception_int_div_zero 0
	.end_amdhsa_kernel
	.section	.text._ZN7rocprim17ROCPRIM_400000_NS6detail17trampoline_kernelINS0_14default_configENS1_38merge_sort_block_merge_config_selectorIdlEEZZNS1_27merge_sort_block_merge_implIS3_PdN6thrust23THRUST_200600_302600_NS10device_ptrIlEEjNS1_19radix_merge_compareILb0ELb0EdNS0_19identity_decomposerEEEEE10hipError_tT0_T1_T2_jT3_P12ihipStream_tbPNSt15iterator_traitsISG_E10value_typeEPNSM_ISH_E10value_typeEPSI_NS1_7vsmem_tEENKUlT_SG_SH_SI_E_clIS7_S7_PlSB_EESF_SV_SG_SH_SI_EUlSV_E0_NS1_11comp_targetILNS1_3genE0ELNS1_11target_archE4294967295ELNS1_3gpuE0ELNS1_3repE0EEENS1_38merge_mergepath_config_static_selectorELNS0_4arch9wavefront6targetE1EEEvSH_,"axG",@progbits,_ZN7rocprim17ROCPRIM_400000_NS6detail17trampoline_kernelINS0_14default_configENS1_38merge_sort_block_merge_config_selectorIdlEEZZNS1_27merge_sort_block_merge_implIS3_PdN6thrust23THRUST_200600_302600_NS10device_ptrIlEEjNS1_19radix_merge_compareILb0ELb0EdNS0_19identity_decomposerEEEEE10hipError_tT0_T1_T2_jT3_P12ihipStream_tbPNSt15iterator_traitsISG_E10value_typeEPNSM_ISH_E10value_typeEPSI_NS1_7vsmem_tEENKUlT_SG_SH_SI_E_clIS7_S7_PlSB_EESF_SV_SG_SH_SI_EUlSV_E0_NS1_11comp_targetILNS1_3genE0ELNS1_11target_archE4294967295ELNS1_3gpuE0ELNS1_3repE0EEENS1_38merge_mergepath_config_static_selectorELNS0_4arch9wavefront6targetE1EEEvSH_,comdat
.Lfunc_end1550:
	.size	_ZN7rocprim17ROCPRIM_400000_NS6detail17trampoline_kernelINS0_14default_configENS1_38merge_sort_block_merge_config_selectorIdlEEZZNS1_27merge_sort_block_merge_implIS3_PdN6thrust23THRUST_200600_302600_NS10device_ptrIlEEjNS1_19radix_merge_compareILb0ELb0EdNS0_19identity_decomposerEEEEE10hipError_tT0_T1_T2_jT3_P12ihipStream_tbPNSt15iterator_traitsISG_E10value_typeEPNSM_ISH_E10value_typeEPSI_NS1_7vsmem_tEENKUlT_SG_SH_SI_E_clIS7_S7_PlSB_EESF_SV_SG_SH_SI_EUlSV_E0_NS1_11comp_targetILNS1_3genE0ELNS1_11target_archE4294967295ELNS1_3gpuE0ELNS1_3repE0EEENS1_38merge_mergepath_config_static_selectorELNS0_4arch9wavefront6targetE1EEEvSH_, .Lfunc_end1550-_ZN7rocprim17ROCPRIM_400000_NS6detail17trampoline_kernelINS0_14default_configENS1_38merge_sort_block_merge_config_selectorIdlEEZZNS1_27merge_sort_block_merge_implIS3_PdN6thrust23THRUST_200600_302600_NS10device_ptrIlEEjNS1_19radix_merge_compareILb0ELb0EdNS0_19identity_decomposerEEEEE10hipError_tT0_T1_T2_jT3_P12ihipStream_tbPNSt15iterator_traitsISG_E10value_typeEPNSM_ISH_E10value_typeEPSI_NS1_7vsmem_tEENKUlT_SG_SH_SI_E_clIS7_S7_PlSB_EESF_SV_SG_SH_SI_EUlSV_E0_NS1_11comp_targetILNS1_3genE0ELNS1_11target_archE4294967295ELNS1_3gpuE0ELNS1_3repE0EEENS1_38merge_mergepath_config_static_selectorELNS0_4arch9wavefront6targetE1EEEvSH_
                                        ; -- End function
	.set _ZN7rocprim17ROCPRIM_400000_NS6detail17trampoline_kernelINS0_14default_configENS1_38merge_sort_block_merge_config_selectorIdlEEZZNS1_27merge_sort_block_merge_implIS3_PdN6thrust23THRUST_200600_302600_NS10device_ptrIlEEjNS1_19radix_merge_compareILb0ELb0EdNS0_19identity_decomposerEEEEE10hipError_tT0_T1_T2_jT3_P12ihipStream_tbPNSt15iterator_traitsISG_E10value_typeEPNSM_ISH_E10value_typeEPSI_NS1_7vsmem_tEENKUlT_SG_SH_SI_E_clIS7_S7_PlSB_EESF_SV_SG_SH_SI_EUlSV_E0_NS1_11comp_targetILNS1_3genE0ELNS1_11target_archE4294967295ELNS1_3gpuE0ELNS1_3repE0EEENS1_38merge_mergepath_config_static_selectorELNS0_4arch9wavefront6targetE1EEEvSH_.num_vgpr, 0
	.set _ZN7rocprim17ROCPRIM_400000_NS6detail17trampoline_kernelINS0_14default_configENS1_38merge_sort_block_merge_config_selectorIdlEEZZNS1_27merge_sort_block_merge_implIS3_PdN6thrust23THRUST_200600_302600_NS10device_ptrIlEEjNS1_19radix_merge_compareILb0ELb0EdNS0_19identity_decomposerEEEEE10hipError_tT0_T1_T2_jT3_P12ihipStream_tbPNSt15iterator_traitsISG_E10value_typeEPNSM_ISH_E10value_typeEPSI_NS1_7vsmem_tEENKUlT_SG_SH_SI_E_clIS7_S7_PlSB_EESF_SV_SG_SH_SI_EUlSV_E0_NS1_11comp_targetILNS1_3genE0ELNS1_11target_archE4294967295ELNS1_3gpuE0ELNS1_3repE0EEENS1_38merge_mergepath_config_static_selectorELNS0_4arch9wavefront6targetE1EEEvSH_.num_agpr, 0
	.set _ZN7rocprim17ROCPRIM_400000_NS6detail17trampoline_kernelINS0_14default_configENS1_38merge_sort_block_merge_config_selectorIdlEEZZNS1_27merge_sort_block_merge_implIS3_PdN6thrust23THRUST_200600_302600_NS10device_ptrIlEEjNS1_19radix_merge_compareILb0ELb0EdNS0_19identity_decomposerEEEEE10hipError_tT0_T1_T2_jT3_P12ihipStream_tbPNSt15iterator_traitsISG_E10value_typeEPNSM_ISH_E10value_typeEPSI_NS1_7vsmem_tEENKUlT_SG_SH_SI_E_clIS7_S7_PlSB_EESF_SV_SG_SH_SI_EUlSV_E0_NS1_11comp_targetILNS1_3genE0ELNS1_11target_archE4294967295ELNS1_3gpuE0ELNS1_3repE0EEENS1_38merge_mergepath_config_static_selectorELNS0_4arch9wavefront6targetE1EEEvSH_.numbered_sgpr, 0
	.set _ZN7rocprim17ROCPRIM_400000_NS6detail17trampoline_kernelINS0_14default_configENS1_38merge_sort_block_merge_config_selectorIdlEEZZNS1_27merge_sort_block_merge_implIS3_PdN6thrust23THRUST_200600_302600_NS10device_ptrIlEEjNS1_19radix_merge_compareILb0ELb0EdNS0_19identity_decomposerEEEEE10hipError_tT0_T1_T2_jT3_P12ihipStream_tbPNSt15iterator_traitsISG_E10value_typeEPNSM_ISH_E10value_typeEPSI_NS1_7vsmem_tEENKUlT_SG_SH_SI_E_clIS7_S7_PlSB_EESF_SV_SG_SH_SI_EUlSV_E0_NS1_11comp_targetILNS1_3genE0ELNS1_11target_archE4294967295ELNS1_3gpuE0ELNS1_3repE0EEENS1_38merge_mergepath_config_static_selectorELNS0_4arch9wavefront6targetE1EEEvSH_.num_named_barrier, 0
	.set _ZN7rocprim17ROCPRIM_400000_NS6detail17trampoline_kernelINS0_14default_configENS1_38merge_sort_block_merge_config_selectorIdlEEZZNS1_27merge_sort_block_merge_implIS3_PdN6thrust23THRUST_200600_302600_NS10device_ptrIlEEjNS1_19radix_merge_compareILb0ELb0EdNS0_19identity_decomposerEEEEE10hipError_tT0_T1_T2_jT3_P12ihipStream_tbPNSt15iterator_traitsISG_E10value_typeEPNSM_ISH_E10value_typeEPSI_NS1_7vsmem_tEENKUlT_SG_SH_SI_E_clIS7_S7_PlSB_EESF_SV_SG_SH_SI_EUlSV_E0_NS1_11comp_targetILNS1_3genE0ELNS1_11target_archE4294967295ELNS1_3gpuE0ELNS1_3repE0EEENS1_38merge_mergepath_config_static_selectorELNS0_4arch9wavefront6targetE1EEEvSH_.private_seg_size, 0
	.set _ZN7rocprim17ROCPRIM_400000_NS6detail17trampoline_kernelINS0_14default_configENS1_38merge_sort_block_merge_config_selectorIdlEEZZNS1_27merge_sort_block_merge_implIS3_PdN6thrust23THRUST_200600_302600_NS10device_ptrIlEEjNS1_19radix_merge_compareILb0ELb0EdNS0_19identity_decomposerEEEEE10hipError_tT0_T1_T2_jT3_P12ihipStream_tbPNSt15iterator_traitsISG_E10value_typeEPNSM_ISH_E10value_typeEPSI_NS1_7vsmem_tEENKUlT_SG_SH_SI_E_clIS7_S7_PlSB_EESF_SV_SG_SH_SI_EUlSV_E0_NS1_11comp_targetILNS1_3genE0ELNS1_11target_archE4294967295ELNS1_3gpuE0ELNS1_3repE0EEENS1_38merge_mergepath_config_static_selectorELNS0_4arch9wavefront6targetE1EEEvSH_.uses_vcc, 0
	.set _ZN7rocprim17ROCPRIM_400000_NS6detail17trampoline_kernelINS0_14default_configENS1_38merge_sort_block_merge_config_selectorIdlEEZZNS1_27merge_sort_block_merge_implIS3_PdN6thrust23THRUST_200600_302600_NS10device_ptrIlEEjNS1_19radix_merge_compareILb0ELb0EdNS0_19identity_decomposerEEEEE10hipError_tT0_T1_T2_jT3_P12ihipStream_tbPNSt15iterator_traitsISG_E10value_typeEPNSM_ISH_E10value_typeEPSI_NS1_7vsmem_tEENKUlT_SG_SH_SI_E_clIS7_S7_PlSB_EESF_SV_SG_SH_SI_EUlSV_E0_NS1_11comp_targetILNS1_3genE0ELNS1_11target_archE4294967295ELNS1_3gpuE0ELNS1_3repE0EEENS1_38merge_mergepath_config_static_selectorELNS0_4arch9wavefront6targetE1EEEvSH_.uses_flat_scratch, 0
	.set _ZN7rocprim17ROCPRIM_400000_NS6detail17trampoline_kernelINS0_14default_configENS1_38merge_sort_block_merge_config_selectorIdlEEZZNS1_27merge_sort_block_merge_implIS3_PdN6thrust23THRUST_200600_302600_NS10device_ptrIlEEjNS1_19radix_merge_compareILb0ELb0EdNS0_19identity_decomposerEEEEE10hipError_tT0_T1_T2_jT3_P12ihipStream_tbPNSt15iterator_traitsISG_E10value_typeEPNSM_ISH_E10value_typeEPSI_NS1_7vsmem_tEENKUlT_SG_SH_SI_E_clIS7_S7_PlSB_EESF_SV_SG_SH_SI_EUlSV_E0_NS1_11comp_targetILNS1_3genE0ELNS1_11target_archE4294967295ELNS1_3gpuE0ELNS1_3repE0EEENS1_38merge_mergepath_config_static_selectorELNS0_4arch9wavefront6targetE1EEEvSH_.has_dyn_sized_stack, 0
	.set _ZN7rocprim17ROCPRIM_400000_NS6detail17trampoline_kernelINS0_14default_configENS1_38merge_sort_block_merge_config_selectorIdlEEZZNS1_27merge_sort_block_merge_implIS3_PdN6thrust23THRUST_200600_302600_NS10device_ptrIlEEjNS1_19radix_merge_compareILb0ELb0EdNS0_19identity_decomposerEEEEE10hipError_tT0_T1_T2_jT3_P12ihipStream_tbPNSt15iterator_traitsISG_E10value_typeEPNSM_ISH_E10value_typeEPSI_NS1_7vsmem_tEENKUlT_SG_SH_SI_E_clIS7_S7_PlSB_EESF_SV_SG_SH_SI_EUlSV_E0_NS1_11comp_targetILNS1_3genE0ELNS1_11target_archE4294967295ELNS1_3gpuE0ELNS1_3repE0EEENS1_38merge_mergepath_config_static_selectorELNS0_4arch9wavefront6targetE1EEEvSH_.has_recursion, 0
	.set _ZN7rocprim17ROCPRIM_400000_NS6detail17trampoline_kernelINS0_14default_configENS1_38merge_sort_block_merge_config_selectorIdlEEZZNS1_27merge_sort_block_merge_implIS3_PdN6thrust23THRUST_200600_302600_NS10device_ptrIlEEjNS1_19radix_merge_compareILb0ELb0EdNS0_19identity_decomposerEEEEE10hipError_tT0_T1_T2_jT3_P12ihipStream_tbPNSt15iterator_traitsISG_E10value_typeEPNSM_ISH_E10value_typeEPSI_NS1_7vsmem_tEENKUlT_SG_SH_SI_E_clIS7_S7_PlSB_EESF_SV_SG_SH_SI_EUlSV_E0_NS1_11comp_targetILNS1_3genE0ELNS1_11target_archE4294967295ELNS1_3gpuE0ELNS1_3repE0EEENS1_38merge_mergepath_config_static_selectorELNS0_4arch9wavefront6targetE1EEEvSH_.has_indirect_call, 0
	.section	.AMDGPU.csdata,"",@progbits
; Kernel info:
; codeLenInByte = 0
; TotalNumSgprs: 4
; NumVgprs: 0
; ScratchSize: 0
; MemoryBound: 0
; FloatMode: 240
; IeeeMode: 1
; LDSByteSize: 0 bytes/workgroup (compile time only)
; SGPRBlocks: 0
; VGPRBlocks: 0
; NumSGPRsForWavesPerEU: 4
; NumVGPRsForWavesPerEU: 1
; Occupancy: 10
; WaveLimiterHint : 0
; COMPUTE_PGM_RSRC2:SCRATCH_EN: 0
; COMPUTE_PGM_RSRC2:USER_SGPR: 6
; COMPUTE_PGM_RSRC2:TRAP_HANDLER: 0
; COMPUTE_PGM_RSRC2:TGID_X_EN: 1
; COMPUTE_PGM_RSRC2:TGID_Y_EN: 0
; COMPUTE_PGM_RSRC2:TGID_Z_EN: 0
; COMPUTE_PGM_RSRC2:TIDIG_COMP_CNT: 0
	.section	.text._ZN7rocprim17ROCPRIM_400000_NS6detail17trampoline_kernelINS0_14default_configENS1_38merge_sort_block_merge_config_selectorIdlEEZZNS1_27merge_sort_block_merge_implIS3_PdN6thrust23THRUST_200600_302600_NS10device_ptrIlEEjNS1_19radix_merge_compareILb0ELb0EdNS0_19identity_decomposerEEEEE10hipError_tT0_T1_T2_jT3_P12ihipStream_tbPNSt15iterator_traitsISG_E10value_typeEPNSM_ISH_E10value_typeEPSI_NS1_7vsmem_tEENKUlT_SG_SH_SI_E_clIS7_S7_PlSB_EESF_SV_SG_SH_SI_EUlSV_E0_NS1_11comp_targetILNS1_3genE10ELNS1_11target_archE1201ELNS1_3gpuE5ELNS1_3repE0EEENS1_38merge_mergepath_config_static_selectorELNS0_4arch9wavefront6targetE1EEEvSH_,"axG",@progbits,_ZN7rocprim17ROCPRIM_400000_NS6detail17trampoline_kernelINS0_14default_configENS1_38merge_sort_block_merge_config_selectorIdlEEZZNS1_27merge_sort_block_merge_implIS3_PdN6thrust23THRUST_200600_302600_NS10device_ptrIlEEjNS1_19radix_merge_compareILb0ELb0EdNS0_19identity_decomposerEEEEE10hipError_tT0_T1_T2_jT3_P12ihipStream_tbPNSt15iterator_traitsISG_E10value_typeEPNSM_ISH_E10value_typeEPSI_NS1_7vsmem_tEENKUlT_SG_SH_SI_E_clIS7_S7_PlSB_EESF_SV_SG_SH_SI_EUlSV_E0_NS1_11comp_targetILNS1_3genE10ELNS1_11target_archE1201ELNS1_3gpuE5ELNS1_3repE0EEENS1_38merge_mergepath_config_static_selectorELNS0_4arch9wavefront6targetE1EEEvSH_,comdat
	.protected	_ZN7rocprim17ROCPRIM_400000_NS6detail17trampoline_kernelINS0_14default_configENS1_38merge_sort_block_merge_config_selectorIdlEEZZNS1_27merge_sort_block_merge_implIS3_PdN6thrust23THRUST_200600_302600_NS10device_ptrIlEEjNS1_19radix_merge_compareILb0ELb0EdNS0_19identity_decomposerEEEEE10hipError_tT0_T1_T2_jT3_P12ihipStream_tbPNSt15iterator_traitsISG_E10value_typeEPNSM_ISH_E10value_typeEPSI_NS1_7vsmem_tEENKUlT_SG_SH_SI_E_clIS7_S7_PlSB_EESF_SV_SG_SH_SI_EUlSV_E0_NS1_11comp_targetILNS1_3genE10ELNS1_11target_archE1201ELNS1_3gpuE5ELNS1_3repE0EEENS1_38merge_mergepath_config_static_selectorELNS0_4arch9wavefront6targetE1EEEvSH_ ; -- Begin function _ZN7rocprim17ROCPRIM_400000_NS6detail17trampoline_kernelINS0_14default_configENS1_38merge_sort_block_merge_config_selectorIdlEEZZNS1_27merge_sort_block_merge_implIS3_PdN6thrust23THRUST_200600_302600_NS10device_ptrIlEEjNS1_19radix_merge_compareILb0ELb0EdNS0_19identity_decomposerEEEEE10hipError_tT0_T1_T2_jT3_P12ihipStream_tbPNSt15iterator_traitsISG_E10value_typeEPNSM_ISH_E10value_typeEPSI_NS1_7vsmem_tEENKUlT_SG_SH_SI_E_clIS7_S7_PlSB_EESF_SV_SG_SH_SI_EUlSV_E0_NS1_11comp_targetILNS1_3genE10ELNS1_11target_archE1201ELNS1_3gpuE5ELNS1_3repE0EEENS1_38merge_mergepath_config_static_selectorELNS0_4arch9wavefront6targetE1EEEvSH_
	.globl	_ZN7rocprim17ROCPRIM_400000_NS6detail17trampoline_kernelINS0_14default_configENS1_38merge_sort_block_merge_config_selectorIdlEEZZNS1_27merge_sort_block_merge_implIS3_PdN6thrust23THRUST_200600_302600_NS10device_ptrIlEEjNS1_19radix_merge_compareILb0ELb0EdNS0_19identity_decomposerEEEEE10hipError_tT0_T1_T2_jT3_P12ihipStream_tbPNSt15iterator_traitsISG_E10value_typeEPNSM_ISH_E10value_typeEPSI_NS1_7vsmem_tEENKUlT_SG_SH_SI_E_clIS7_S7_PlSB_EESF_SV_SG_SH_SI_EUlSV_E0_NS1_11comp_targetILNS1_3genE10ELNS1_11target_archE1201ELNS1_3gpuE5ELNS1_3repE0EEENS1_38merge_mergepath_config_static_selectorELNS0_4arch9wavefront6targetE1EEEvSH_
	.p2align	8
	.type	_ZN7rocprim17ROCPRIM_400000_NS6detail17trampoline_kernelINS0_14default_configENS1_38merge_sort_block_merge_config_selectorIdlEEZZNS1_27merge_sort_block_merge_implIS3_PdN6thrust23THRUST_200600_302600_NS10device_ptrIlEEjNS1_19radix_merge_compareILb0ELb0EdNS0_19identity_decomposerEEEEE10hipError_tT0_T1_T2_jT3_P12ihipStream_tbPNSt15iterator_traitsISG_E10value_typeEPNSM_ISH_E10value_typeEPSI_NS1_7vsmem_tEENKUlT_SG_SH_SI_E_clIS7_S7_PlSB_EESF_SV_SG_SH_SI_EUlSV_E0_NS1_11comp_targetILNS1_3genE10ELNS1_11target_archE1201ELNS1_3gpuE5ELNS1_3repE0EEENS1_38merge_mergepath_config_static_selectorELNS0_4arch9wavefront6targetE1EEEvSH_,@function
_ZN7rocprim17ROCPRIM_400000_NS6detail17trampoline_kernelINS0_14default_configENS1_38merge_sort_block_merge_config_selectorIdlEEZZNS1_27merge_sort_block_merge_implIS3_PdN6thrust23THRUST_200600_302600_NS10device_ptrIlEEjNS1_19radix_merge_compareILb0ELb0EdNS0_19identity_decomposerEEEEE10hipError_tT0_T1_T2_jT3_P12ihipStream_tbPNSt15iterator_traitsISG_E10value_typeEPNSM_ISH_E10value_typeEPSI_NS1_7vsmem_tEENKUlT_SG_SH_SI_E_clIS7_S7_PlSB_EESF_SV_SG_SH_SI_EUlSV_E0_NS1_11comp_targetILNS1_3genE10ELNS1_11target_archE1201ELNS1_3gpuE5ELNS1_3repE0EEENS1_38merge_mergepath_config_static_selectorELNS0_4arch9wavefront6targetE1EEEvSH_: ; @_ZN7rocprim17ROCPRIM_400000_NS6detail17trampoline_kernelINS0_14default_configENS1_38merge_sort_block_merge_config_selectorIdlEEZZNS1_27merge_sort_block_merge_implIS3_PdN6thrust23THRUST_200600_302600_NS10device_ptrIlEEjNS1_19radix_merge_compareILb0ELb0EdNS0_19identity_decomposerEEEEE10hipError_tT0_T1_T2_jT3_P12ihipStream_tbPNSt15iterator_traitsISG_E10value_typeEPNSM_ISH_E10value_typeEPSI_NS1_7vsmem_tEENKUlT_SG_SH_SI_E_clIS7_S7_PlSB_EESF_SV_SG_SH_SI_EUlSV_E0_NS1_11comp_targetILNS1_3genE10ELNS1_11target_archE1201ELNS1_3gpuE5ELNS1_3repE0EEENS1_38merge_mergepath_config_static_selectorELNS0_4arch9wavefront6targetE1EEEvSH_
; %bb.0:
	.section	.rodata,"a",@progbits
	.p2align	6, 0x0
	.amdhsa_kernel _ZN7rocprim17ROCPRIM_400000_NS6detail17trampoline_kernelINS0_14default_configENS1_38merge_sort_block_merge_config_selectorIdlEEZZNS1_27merge_sort_block_merge_implIS3_PdN6thrust23THRUST_200600_302600_NS10device_ptrIlEEjNS1_19radix_merge_compareILb0ELb0EdNS0_19identity_decomposerEEEEE10hipError_tT0_T1_T2_jT3_P12ihipStream_tbPNSt15iterator_traitsISG_E10value_typeEPNSM_ISH_E10value_typeEPSI_NS1_7vsmem_tEENKUlT_SG_SH_SI_E_clIS7_S7_PlSB_EESF_SV_SG_SH_SI_EUlSV_E0_NS1_11comp_targetILNS1_3genE10ELNS1_11target_archE1201ELNS1_3gpuE5ELNS1_3repE0EEENS1_38merge_mergepath_config_static_selectorELNS0_4arch9wavefront6targetE1EEEvSH_
		.amdhsa_group_segment_fixed_size 0
		.amdhsa_private_segment_fixed_size 0
		.amdhsa_kernarg_size 64
		.amdhsa_user_sgpr_count 6
		.amdhsa_user_sgpr_private_segment_buffer 1
		.amdhsa_user_sgpr_dispatch_ptr 0
		.amdhsa_user_sgpr_queue_ptr 0
		.amdhsa_user_sgpr_kernarg_segment_ptr 1
		.amdhsa_user_sgpr_dispatch_id 0
		.amdhsa_user_sgpr_flat_scratch_init 0
		.amdhsa_user_sgpr_private_segment_size 0
		.amdhsa_uses_dynamic_stack 0
		.amdhsa_system_sgpr_private_segment_wavefront_offset 0
		.amdhsa_system_sgpr_workgroup_id_x 1
		.amdhsa_system_sgpr_workgroup_id_y 0
		.amdhsa_system_sgpr_workgroup_id_z 0
		.amdhsa_system_sgpr_workgroup_info 0
		.amdhsa_system_vgpr_workitem_id 0
		.amdhsa_next_free_vgpr 1
		.amdhsa_next_free_sgpr 0
		.amdhsa_reserve_vcc 0
		.amdhsa_reserve_flat_scratch 0
		.amdhsa_float_round_mode_32 0
		.amdhsa_float_round_mode_16_64 0
		.amdhsa_float_denorm_mode_32 3
		.amdhsa_float_denorm_mode_16_64 3
		.amdhsa_dx10_clamp 1
		.amdhsa_ieee_mode 1
		.amdhsa_fp16_overflow 0
		.amdhsa_exception_fp_ieee_invalid_op 0
		.amdhsa_exception_fp_denorm_src 0
		.amdhsa_exception_fp_ieee_div_zero 0
		.amdhsa_exception_fp_ieee_overflow 0
		.amdhsa_exception_fp_ieee_underflow 0
		.amdhsa_exception_fp_ieee_inexact 0
		.amdhsa_exception_int_div_zero 0
	.end_amdhsa_kernel
	.section	.text._ZN7rocprim17ROCPRIM_400000_NS6detail17trampoline_kernelINS0_14default_configENS1_38merge_sort_block_merge_config_selectorIdlEEZZNS1_27merge_sort_block_merge_implIS3_PdN6thrust23THRUST_200600_302600_NS10device_ptrIlEEjNS1_19radix_merge_compareILb0ELb0EdNS0_19identity_decomposerEEEEE10hipError_tT0_T1_T2_jT3_P12ihipStream_tbPNSt15iterator_traitsISG_E10value_typeEPNSM_ISH_E10value_typeEPSI_NS1_7vsmem_tEENKUlT_SG_SH_SI_E_clIS7_S7_PlSB_EESF_SV_SG_SH_SI_EUlSV_E0_NS1_11comp_targetILNS1_3genE10ELNS1_11target_archE1201ELNS1_3gpuE5ELNS1_3repE0EEENS1_38merge_mergepath_config_static_selectorELNS0_4arch9wavefront6targetE1EEEvSH_,"axG",@progbits,_ZN7rocprim17ROCPRIM_400000_NS6detail17trampoline_kernelINS0_14default_configENS1_38merge_sort_block_merge_config_selectorIdlEEZZNS1_27merge_sort_block_merge_implIS3_PdN6thrust23THRUST_200600_302600_NS10device_ptrIlEEjNS1_19radix_merge_compareILb0ELb0EdNS0_19identity_decomposerEEEEE10hipError_tT0_T1_T2_jT3_P12ihipStream_tbPNSt15iterator_traitsISG_E10value_typeEPNSM_ISH_E10value_typeEPSI_NS1_7vsmem_tEENKUlT_SG_SH_SI_E_clIS7_S7_PlSB_EESF_SV_SG_SH_SI_EUlSV_E0_NS1_11comp_targetILNS1_3genE10ELNS1_11target_archE1201ELNS1_3gpuE5ELNS1_3repE0EEENS1_38merge_mergepath_config_static_selectorELNS0_4arch9wavefront6targetE1EEEvSH_,comdat
.Lfunc_end1551:
	.size	_ZN7rocprim17ROCPRIM_400000_NS6detail17trampoline_kernelINS0_14default_configENS1_38merge_sort_block_merge_config_selectorIdlEEZZNS1_27merge_sort_block_merge_implIS3_PdN6thrust23THRUST_200600_302600_NS10device_ptrIlEEjNS1_19radix_merge_compareILb0ELb0EdNS0_19identity_decomposerEEEEE10hipError_tT0_T1_T2_jT3_P12ihipStream_tbPNSt15iterator_traitsISG_E10value_typeEPNSM_ISH_E10value_typeEPSI_NS1_7vsmem_tEENKUlT_SG_SH_SI_E_clIS7_S7_PlSB_EESF_SV_SG_SH_SI_EUlSV_E0_NS1_11comp_targetILNS1_3genE10ELNS1_11target_archE1201ELNS1_3gpuE5ELNS1_3repE0EEENS1_38merge_mergepath_config_static_selectorELNS0_4arch9wavefront6targetE1EEEvSH_, .Lfunc_end1551-_ZN7rocprim17ROCPRIM_400000_NS6detail17trampoline_kernelINS0_14default_configENS1_38merge_sort_block_merge_config_selectorIdlEEZZNS1_27merge_sort_block_merge_implIS3_PdN6thrust23THRUST_200600_302600_NS10device_ptrIlEEjNS1_19radix_merge_compareILb0ELb0EdNS0_19identity_decomposerEEEEE10hipError_tT0_T1_T2_jT3_P12ihipStream_tbPNSt15iterator_traitsISG_E10value_typeEPNSM_ISH_E10value_typeEPSI_NS1_7vsmem_tEENKUlT_SG_SH_SI_E_clIS7_S7_PlSB_EESF_SV_SG_SH_SI_EUlSV_E0_NS1_11comp_targetILNS1_3genE10ELNS1_11target_archE1201ELNS1_3gpuE5ELNS1_3repE0EEENS1_38merge_mergepath_config_static_selectorELNS0_4arch9wavefront6targetE1EEEvSH_
                                        ; -- End function
	.set _ZN7rocprim17ROCPRIM_400000_NS6detail17trampoline_kernelINS0_14default_configENS1_38merge_sort_block_merge_config_selectorIdlEEZZNS1_27merge_sort_block_merge_implIS3_PdN6thrust23THRUST_200600_302600_NS10device_ptrIlEEjNS1_19radix_merge_compareILb0ELb0EdNS0_19identity_decomposerEEEEE10hipError_tT0_T1_T2_jT3_P12ihipStream_tbPNSt15iterator_traitsISG_E10value_typeEPNSM_ISH_E10value_typeEPSI_NS1_7vsmem_tEENKUlT_SG_SH_SI_E_clIS7_S7_PlSB_EESF_SV_SG_SH_SI_EUlSV_E0_NS1_11comp_targetILNS1_3genE10ELNS1_11target_archE1201ELNS1_3gpuE5ELNS1_3repE0EEENS1_38merge_mergepath_config_static_selectorELNS0_4arch9wavefront6targetE1EEEvSH_.num_vgpr, 0
	.set _ZN7rocprim17ROCPRIM_400000_NS6detail17trampoline_kernelINS0_14default_configENS1_38merge_sort_block_merge_config_selectorIdlEEZZNS1_27merge_sort_block_merge_implIS3_PdN6thrust23THRUST_200600_302600_NS10device_ptrIlEEjNS1_19radix_merge_compareILb0ELb0EdNS0_19identity_decomposerEEEEE10hipError_tT0_T1_T2_jT3_P12ihipStream_tbPNSt15iterator_traitsISG_E10value_typeEPNSM_ISH_E10value_typeEPSI_NS1_7vsmem_tEENKUlT_SG_SH_SI_E_clIS7_S7_PlSB_EESF_SV_SG_SH_SI_EUlSV_E0_NS1_11comp_targetILNS1_3genE10ELNS1_11target_archE1201ELNS1_3gpuE5ELNS1_3repE0EEENS1_38merge_mergepath_config_static_selectorELNS0_4arch9wavefront6targetE1EEEvSH_.num_agpr, 0
	.set _ZN7rocprim17ROCPRIM_400000_NS6detail17trampoline_kernelINS0_14default_configENS1_38merge_sort_block_merge_config_selectorIdlEEZZNS1_27merge_sort_block_merge_implIS3_PdN6thrust23THRUST_200600_302600_NS10device_ptrIlEEjNS1_19radix_merge_compareILb0ELb0EdNS0_19identity_decomposerEEEEE10hipError_tT0_T1_T2_jT3_P12ihipStream_tbPNSt15iterator_traitsISG_E10value_typeEPNSM_ISH_E10value_typeEPSI_NS1_7vsmem_tEENKUlT_SG_SH_SI_E_clIS7_S7_PlSB_EESF_SV_SG_SH_SI_EUlSV_E0_NS1_11comp_targetILNS1_3genE10ELNS1_11target_archE1201ELNS1_3gpuE5ELNS1_3repE0EEENS1_38merge_mergepath_config_static_selectorELNS0_4arch9wavefront6targetE1EEEvSH_.numbered_sgpr, 0
	.set _ZN7rocprim17ROCPRIM_400000_NS6detail17trampoline_kernelINS0_14default_configENS1_38merge_sort_block_merge_config_selectorIdlEEZZNS1_27merge_sort_block_merge_implIS3_PdN6thrust23THRUST_200600_302600_NS10device_ptrIlEEjNS1_19radix_merge_compareILb0ELb0EdNS0_19identity_decomposerEEEEE10hipError_tT0_T1_T2_jT3_P12ihipStream_tbPNSt15iterator_traitsISG_E10value_typeEPNSM_ISH_E10value_typeEPSI_NS1_7vsmem_tEENKUlT_SG_SH_SI_E_clIS7_S7_PlSB_EESF_SV_SG_SH_SI_EUlSV_E0_NS1_11comp_targetILNS1_3genE10ELNS1_11target_archE1201ELNS1_3gpuE5ELNS1_3repE0EEENS1_38merge_mergepath_config_static_selectorELNS0_4arch9wavefront6targetE1EEEvSH_.num_named_barrier, 0
	.set _ZN7rocprim17ROCPRIM_400000_NS6detail17trampoline_kernelINS0_14default_configENS1_38merge_sort_block_merge_config_selectorIdlEEZZNS1_27merge_sort_block_merge_implIS3_PdN6thrust23THRUST_200600_302600_NS10device_ptrIlEEjNS1_19radix_merge_compareILb0ELb0EdNS0_19identity_decomposerEEEEE10hipError_tT0_T1_T2_jT3_P12ihipStream_tbPNSt15iterator_traitsISG_E10value_typeEPNSM_ISH_E10value_typeEPSI_NS1_7vsmem_tEENKUlT_SG_SH_SI_E_clIS7_S7_PlSB_EESF_SV_SG_SH_SI_EUlSV_E0_NS1_11comp_targetILNS1_3genE10ELNS1_11target_archE1201ELNS1_3gpuE5ELNS1_3repE0EEENS1_38merge_mergepath_config_static_selectorELNS0_4arch9wavefront6targetE1EEEvSH_.private_seg_size, 0
	.set _ZN7rocprim17ROCPRIM_400000_NS6detail17trampoline_kernelINS0_14default_configENS1_38merge_sort_block_merge_config_selectorIdlEEZZNS1_27merge_sort_block_merge_implIS3_PdN6thrust23THRUST_200600_302600_NS10device_ptrIlEEjNS1_19radix_merge_compareILb0ELb0EdNS0_19identity_decomposerEEEEE10hipError_tT0_T1_T2_jT3_P12ihipStream_tbPNSt15iterator_traitsISG_E10value_typeEPNSM_ISH_E10value_typeEPSI_NS1_7vsmem_tEENKUlT_SG_SH_SI_E_clIS7_S7_PlSB_EESF_SV_SG_SH_SI_EUlSV_E0_NS1_11comp_targetILNS1_3genE10ELNS1_11target_archE1201ELNS1_3gpuE5ELNS1_3repE0EEENS1_38merge_mergepath_config_static_selectorELNS0_4arch9wavefront6targetE1EEEvSH_.uses_vcc, 0
	.set _ZN7rocprim17ROCPRIM_400000_NS6detail17trampoline_kernelINS0_14default_configENS1_38merge_sort_block_merge_config_selectorIdlEEZZNS1_27merge_sort_block_merge_implIS3_PdN6thrust23THRUST_200600_302600_NS10device_ptrIlEEjNS1_19radix_merge_compareILb0ELb0EdNS0_19identity_decomposerEEEEE10hipError_tT0_T1_T2_jT3_P12ihipStream_tbPNSt15iterator_traitsISG_E10value_typeEPNSM_ISH_E10value_typeEPSI_NS1_7vsmem_tEENKUlT_SG_SH_SI_E_clIS7_S7_PlSB_EESF_SV_SG_SH_SI_EUlSV_E0_NS1_11comp_targetILNS1_3genE10ELNS1_11target_archE1201ELNS1_3gpuE5ELNS1_3repE0EEENS1_38merge_mergepath_config_static_selectorELNS0_4arch9wavefront6targetE1EEEvSH_.uses_flat_scratch, 0
	.set _ZN7rocprim17ROCPRIM_400000_NS6detail17trampoline_kernelINS0_14default_configENS1_38merge_sort_block_merge_config_selectorIdlEEZZNS1_27merge_sort_block_merge_implIS3_PdN6thrust23THRUST_200600_302600_NS10device_ptrIlEEjNS1_19radix_merge_compareILb0ELb0EdNS0_19identity_decomposerEEEEE10hipError_tT0_T1_T2_jT3_P12ihipStream_tbPNSt15iterator_traitsISG_E10value_typeEPNSM_ISH_E10value_typeEPSI_NS1_7vsmem_tEENKUlT_SG_SH_SI_E_clIS7_S7_PlSB_EESF_SV_SG_SH_SI_EUlSV_E0_NS1_11comp_targetILNS1_3genE10ELNS1_11target_archE1201ELNS1_3gpuE5ELNS1_3repE0EEENS1_38merge_mergepath_config_static_selectorELNS0_4arch9wavefront6targetE1EEEvSH_.has_dyn_sized_stack, 0
	.set _ZN7rocprim17ROCPRIM_400000_NS6detail17trampoline_kernelINS0_14default_configENS1_38merge_sort_block_merge_config_selectorIdlEEZZNS1_27merge_sort_block_merge_implIS3_PdN6thrust23THRUST_200600_302600_NS10device_ptrIlEEjNS1_19radix_merge_compareILb0ELb0EdNS0_19identity_decomposerEEEEE10hipError_tT0_T1_T2_jT3_P12ihipStream_tbPNSt15iterator_traitsISG_E10value_typeEPNSM_ISH_E10value_typeEPSI_NS1_7vsmem_tEENKUlT_SG_SH_SI_E_clIS7_S7_PlSB_EESF_SV_SG_SH_SI_EUlSV_E0_NS1_11comp_targetILNS1_3genE10ELNS1_11target_archE1201ELNS1_3gpuE5ELNS1_3repE0EEENS1_38merge_mergepath_config_static_selectorELNS0_4arch9wavefront6targetE1EEEvSH_.has_recursion, 0
	.set _ZN7rocprim17ROCPRIM_400000_NS6detail17trampoline_kernelINS0_14default_configENS1_38merge_sort_block_merge_config_selectorIdlEEZZNS1_27merge_sort_block_merge_implIS3_PdN6thrust23THRUST_200600_302600_NS10device_ptrIlEEjNS1_19radix_merge_compareILb0ELb0EdNS0_19identity_decomposerEEEEE10hipError_tT0_T1_T2_jT3_P12ihipStream_tbPNSt15iterator_traitsISG_E10value_typeEPNSM_ISH_E10value_typeEPSI_NS1_7vsmem_tEENKUlT_SG_SH_SI_E_clIS7_S7_PlSB_EESF_SV_SG_SH_SI_EUlSV_E0_NS1_11comp_targetILNS1_3genE10ELNS1_11target_archE1201ELNS1_3gpuE5ELNS1_3repE0EEENS1_38merge_mergepath_config_static_selectorELNS0_4arch9wavefront6targetE1EEEvSH_.has_indirect_call, 0
	.section	.AMDGPU.csdata,"",@progbits
; Kernel info:
; codeLenInByte = 0
; TotalNumSgprs: 4
; NumVgprs: 0
; ScratchSize: 0
; MemoryBound: 0
; FloatMode: 240
; IeeeMode: 1
; LDSByteSize: 0 bytes/workgroup (compile time only)
; SGPRBlocks: 0
; VGPRBlocks: 0
; NumSGPRsForWavesPerEU: 4
; NumVGPRsForWavesPerEU: 1
; Occupancy: 10
; WaveLimiterHint : 0
; COMPUTE_PGM_RSRC2:SCRATCH_EN: 0
; COMPUTE_PGM_RSRC2:USER_SGPR: 6
; COMPUTE_PGM_RSRC2:TRAP_HANDLER: 0
; COMPUTE_PGM_RSRC2:TGID_X_EN: 1
; COMPUTE_PGM_RSRC2:TGID_Y_EN: 0
; COMPUTE_PGM_RSRC2:TGID_Z_EN: 0
; COMPUTE_PGM_RSRC2:TIDIG_COMP_CNT: 0
	.section	.text._ZN7rocprim17ROCPRIM_400000_NS6detail17trampoline_kernelINS0_14default_configENS1_38merge_sort_block_merge_config_selectorIdlEEZZNS1_27merge_sort_block_merge_implIS3_PdN6thrust23THRUST_200600_302600_NS10device_ptrIlEEjNS1_19radix_merge_compareILb0ELb0EdNS0_19identity_decomposerEEEEE10hipError_tT0_T1_T2_jT3_P12ihipStream_tbPNSt15iterator_traitsISG_E10value_typeEPNSM_ISH_E10value_typeEPSI_NS1_7vsmem_tEENKUlT_SG_SH_SI_E_clIS7_S7_PlSB_EESF_SV_SG_SH_SI_EUlSV_E0_NS1_11comp_targetILNS1_3genE5ELNS1_11target_archE942ELNS1_3gpuE9ELNS1_3repE0EEENS1_38merge_mergepath_config_static_selectorELNS0_4arch9wavefront6targetE1EEEvSH_,"axG",@progbits,_ZN7rocprim17ROCPRIM_400000_NS6detail17trampoline_kernelINS0_14default_configENS1_38merge_sort_block_merge_config_selectorIdlEEZZNS1_27merge_sort_block_merge_implIS3_PdN6thrust23THRUST_200600_302600_NS10device_ptrIlEEjNS1_19radix_merge_compareILb0ELb0EdNS0_19identity_decomposerEEEEE10hipError_tT0_T1_T2_jT3_P12ihipStream_tbPNSt15iterator_traitsISG_E10value_typeEPNSM_ISH_E10value_typeEPSI_NS1_7vsmem_tEENKUlT_SG_SH_SI_E_clIS7_S7_PlSB_EESF_SV_SG_SH_SI_EUlSV_E0_NS1_11comp_targetILNS1_3genE5ELNS1_11target_archE942ELNS1_3gpuE9ELNS1_3repE0EEENS1_38merge_mergepath_config_static_selectorELNS0_4arch9wavefront6targetE1EEEvSH_,comdat
	.protected	_ZN7rocprim17ROCPRIM_400000_NS6detail17trampoline_kernelINS0_14default_configENS1_38merge_sort_block_merge_config_selectorIdlEEZZNS1_27merge_sort_block_merge_implIS3_PdN6thrust23THRUST_200600_302600_NS10device_ptrIlEEjNS1_19radix_merge_compareILb0ELb0EdNS0_19identity_decomposerEEEEE10hipError_tT0_T1_T2_jT3_P12ihipStream_tbPNSt15iterator_traitsISG_E10value_typeEPNSM_ISH_E10value_typeEPSI_NS1_7vsmem_tEENKUlT_SG_SH_SI_E_clIS7_S7_PlSB_EESF_SV_SG_SH_SI_EUlSV_E0_NS1_11comp_targetILNS1_3genE5ELNS1_11target_archE942ELNS1_3gpuE9ELNS1_3repE0EEENS1_38merge_mergepath_config_static_selectorELNS0_4arch9wavefront6targetE1EEEvSH_ ; -- Begin function _ZN7rocprim17ROCPRIM_400000_NS6detail17trampoline_kernelINS0_14default_configENS1_38merge_sort_block_merge_config_selectorIdlEEZZNS1_27merge_sort_block_merge_implIS3_PdN6thrust23THRUST_200600_302600_NS10device_ptrIlEEjNS1_19radix_merge_compareILb0ELb0EdNS0_19identity_decomposerEEEEE10hipError_tT0_T1_T2_jT3_P12ihipStream_tbPNSt15iterator_traitsISG_E10value_typeEPNSM_ISH_E10value_typeEPSI_NS1_7vsmem_tEENKUlT_SG_SH_SI_E_clIS7_S7_PlSB_EESF_SV_SG_SH_SI_EUlSV_E0_NS1_11comp_targetILNS1_3genE5ELNS1_11target_archE942ELNS1_3gpuE9ELNS1_3repE0EEENS1_38merge_mergepath_config_static_selectorELNS0_4arch9wavefront6targetE1EEEvSH_
	.globl	_ZN7rocprim17ROCPRIM_400000_NS6detail17trampoline_kernelINS0_14default_configENS1_38merge_sort_block_merge_config_selectorIdlEEZZNS1_27merge_sort_block_merge_implIS3_PdN6thrust23THRUST_200600_302600_NS10device_ptrIlEEjNS1_19radix_merge_compareILb0ELb0EdNS0_19identity_decomposerEEEEE10hipError_tT0_T1_T2_jT3_P12ihipStream_tbPNSt15iterator_traitsISG_E10value_typeEPNSM_ISH_E10value_typeEPSI_NS1_7vsmem_tEENKUlT_SG_SH_SI_E_clIS7_S7_PlSB_EESF_SV_SG_SH_SI_EUlSV_E0_NS1_11comp_targetILNS1_3genE5ELNS1_11target_archE942ELNS1_3gpuE9ELNS1_3repE0EEENS1_38merge_mergepath_config_static_selectorELNS0_4arch9wavefront6targetE1EEEvSH_
	.p2align	8
	.type	_ZN7rocprim17ROCPRIM_400000_NS6detail17trampoline_kernelINS0_14default_configENS1_38merge_sort_block_merge_config_selectorIdlEEZZNS1_27merge_sort_block_merge_implIS3_PdN6thrust23THRUST_200600_302600_NS10device_ptrIlEEjNS1_19radix_merge_compareILb0ELb0EdNS0_19identity_decomposerEEEEE10hipError_tT0_T1_T2_jT3_P12ihipStream_tbPNSt15iterator_traitsISG_E10value_typeEPNSM_ISH_E10value_typeEPSI_NS1_7vsmem_tEENKUlT_SG_SH_SI_E_clIS7_S7_PlSB_EESF_SV_SG_SH_SI_EUlSV_E0_NS1_11comp_targetILNS1_3genE5ELNS1_11target_archE942ELNS1_3gpuE9ELNS1_3repE0EEENS1_38merge_mergepath_config_static_selectorELNS0_4arch9wavefront6targetE1EEEvSH_,@function
_ZN7rocprim17ROCPRIM_400000_NS6detail17trampoline_kernelINS0_14default_configENS1_38merge_sort_block_merge_config_selectorIdlEEZZNS1_27merge_sort_block_merge_implIS3_PdN6thrust23THRUST_200600_302600_NS10device_ptrIlEEjNS1_19radix_merge_compareILb0ELb0EdNS0_19identity_decomposerEEEEE10hipError_tT0_T1_T2_jT3_P12ihipStream_tbPNSt15iterator_traitsISG_E10value_typeEPNSM_ISH_E10value_typeEPSI_NS1_7vsmem_tEENKUlT_SG_SH_SI_E_clIS7_S7_PlSB_EESF_SV_SG_SH_SI_EUlSV_E0_NS1_11comp_targetILNS1_3genE5ELNS1_11target_archE942ELNS1_3gpuE9ELNS1_3repE0EEENS1_38merge_mergepath_config_static_selectorELNS0_4arch9wavefront6targetE1EEEvSH_: ; @_ZN7rocprim17ROCPRIM_400000_NS6detail17trampoline_kernelINS0_14default_configENS1_38merge_sort_block_merge_config_selectorIdlEEZZNS1_27merge_sort_block_merge_implIS3_PdN6thrust23THRUST_200600_302600_NS10device_ptrIlEEjNS1_19radix_merge_compareILb0ELb0EdNS0_19identity_decomposerEEEEE10hipError_tT0_T1_T2_jT3_P12ihipStream_tbPNSt15iterator_traitsISG_E10value_typeEPNSM_ISH_E10value_typeEPSI_NS1_7vsmem_tEENKUlT_SG_SH_SI_E_clIS7_S7_PlSB_EESF_SV_SG_SH_SI_EUlSV_E0_NS1_11comp_targetILNS1_3genE5ELNS1_11target_archE942ELNS1_3gpuE9ELNS1_3repE0EEENS1_38merge_mergepath_config_static_selectorELNS0_4arch9wavefront6targetE1EEEvSH_
; %bb.0:
	.section	.rodata,"a",@progbits
	.p2align	6, 0x0
	.amdhsa_kernel _ZN7rocprim17ROCPRIM_400000_NS6detail17trampoline_kernelINS0_14default_configENS1_38merge_sort_block_merge_config_selectorIdlEEZZNS1_27merge_sort_block_merge_implIS3_PdN6thrust23THRUST_200600_302600_NS10device_ptrIlEEjNS1_19radix_merge_compareILb0ELb0EdNS0_19identity_decomposerEEEEE10hipError_tT0_T1_T2_jT3_P12ihipStream_tbPNSt15iterator_traitsISG_E10value_typeEPNSM_ISH_E10value_typeEPSI_NS1_7vsmem_tEENKUlT_SG_SH_SI_E_clIS7_S7_PlSB_EESF_SV_SG_SH_SI_EUlSV_E0_NS1_11comp_targetILNS1_3genE5ELNS1_11target_archE942ELNS1_3gpuE9ELNS1_3repE0EEENS1_38merge_mergepath_config_static_selectorELNS0_4arch9wavefront6targetE1EEEvSH_
		.amdhsa_group_segment_fixed_size 0
		.amdhsa_private_segment_fixed_size 0
		.amdhsa_kernarg_size 64
		.amdhsa_user_sgpr_count 6
		.amdhsa_user_sgpr_private_segment_buffer 1
		.amdhsa_user_sgpr_dispatch_ptr 0
		.amdhsa_user_sgpr_queue_ptr 0
		.amdhsa_user_sgpr_kernarg_segment_ptr 1
		.amdhsa_user_sgpr_dispatch_id 0
		.amdhsa_user_sgpr_flat_scratch_init 0
		.amdhsa_user_sgpr_private_segment_size 0
		.amdhsa_uses_dynamic_stack 0
		.amdhsa_system_sgpr_private_segment_wavefront_offset 0
		.amdhsa_system_sgpr_workgroup_id_x 1
		.amdhsa_system_sgpr_workgroup_id_y 0
		.amdhsa_system_sgpr_workgroup_id_z 0
		.amdhsa_system_sgpr_workgroup_info 0
		.amdhsa_system_vgpr_workitem_id 0
		.amdhsa_next_free_vgpr 1
		.amdhsa_next_free_sgpr 0
		.amdhsa_reserve_vcc 0
		.amdhsa_reserve_flat_scratch 0
		.amdhsa_float_round_mode_32 0
		.amdhsa_float_round_mode_16_64 0
		.amdhsa_float_denorm_mode_32 3
		.amdhsa_float_denorm_mode_16_64 3
		.amdhsa_dx10_clamp 1
		.amdhsa_ieee_mode 1
		.amdhsa_fp16_overflow 0
		.amdhsa_exception_fp_ieee_invalid_op 0
		.amdhsa_exception_fp_denorm_src 0
		.amdhsa_exception_fp_ieee_div_zero 0
		.amdhsa_exception_fp_ieee_overflow 0
		.amdhsa_exception_fp_ieee_underflow 0
		.amdhsa_exception_fp_ieee_inexact 0
		.amdhsa_exception_int_div_zero 0
	.end_amdhsa_kernel
	.section	.text._ZN7rocprim17ROCPRIM_400000_NS6detail17trampoline_kernelINS0_14default_configENS1_38merge_sort_block_merge_config_selectorIdlEEZZNS1_27merge_sort_block_merge_implIS3_PdN6thrust23THRUST_200600_302600_NS10device_ptrIlEEjNS1_19radix_merge_compareILb0ELb0EdNS0_19identity_decomposerEEEEE10hipError_tT0_T1_T2_jT3_P12ihipStream_tbPNSt15iterator_traitsISG_E10value_typeEPNSM_ISH_E10value_typeEPSI_NS1_7vsmem_tEENKUlT_SG_SH_SI_E_clIS7_S7_PlSB_EESF_SV_SG_SH_SI_EUlSV_E0_NS1_11comp_targetILNS1_3genE5ELNS1_11target_archE942ELNS1_3gpuE9ELNS1_3repE0EEENS1_38merge_mergepath_config_static_selectorELNS0_4arch9wavefront6targetE1EEEvSH_,"axG",@progbits,_ZN7rocprim17ROCPRIM_400000_NS6detail17trampoline_kernelINS0_14default_configENS1_38merge_sort_block_merge_config_selectorIdlEEZZNS1_27merge_sort_block_merge_implIS3_PdN6thrust23THRUST_200600_302600_NS10device_ptrIlEEjNS1_19radix_merge_compareILb0ELb0EdNS0_19identity_decomposerEEEEE10hipError_tT0_T1_T2_jT3_P12ihipStream_tbPNSt15iterator_traitsISG_E10value_typeEPNSM_ISH_E10value_typeEPSI_NS1_7vsmem_tEENKUlT_SG_SH_SI_E_clIS7_S7_PlSB_EESF_SV_SG_SH_SI_EUlSV_E0_NS1_11comp_targetILNS1_3genE5ELNS1_11target_archE942ELNS1_3gpuE9ELNS1_3repE0EEENS1_38merge_mergepath_config_static_selectorELNS0_4arch9wavefront6targetE1EEEvSH_,comdat
.Lfunc_end1552:
	.size	_ZN7rocprim17ROCPRIM_400000_NS6detail17trampoline_kernelINS0_14default_configENS1_38merge_sort_block_merge_config_selectorIdlEEZZNS1_27merge_sort_block_merge_implIS3_PdN6thrust23THRUST_200600_302600_NS10device_ptrIlEEjNS1_19radix_merge_compareILb0ELb0EdNS0_19identity_decomposerEEEEE10hipError_tT0_T1_T2_jT3_P12ihipStream_tbPNSt15iterator_traitsISG_E10value_typeEPNSM_ISH_E10value_typeEPSI_NS1_7vsmem_tEENKUlT_SG_SH_SI_E_clIS7_S7_PlSB_EESF_SV_SG_SH_SI_EUlSV_E0_NS1_11comp_targetILNS1_3genE5ELNS1_11target_archE942ELNS1_3gpuE9ELNS1_3repE0EEENS1_38merge_mergepath_config_static_selectorELNS0_4arch9wavefront6targetE1EEEvSH_, .Lfunc_end1552-_ZN7rocprim17ROCPRIM_400000_NS6detail17trampoline_kernelINS0_14default_configENS1_38merge_sort_block_merge_config_selectorIdlEEZZNS1_27merge_sort_block_merge_implIS3_PdN6thrust23THRUST_200600_302600_NS10device_ptrIlEEjNS1_19radix_merge_compareILb0ELb0EdNS0_19identity_decomposerEEEEE10hipError_tT0_T1_T2_jT3_P12ihipStream_tbPNSt15iterator_traitsISG_E10value_typeEPNSM_ISH_E10value_typeEPSI_NS1_7vsmem_tEENKUlT_SG_SH_SI_E_clIS7_S7_PlSB_EESF_SV_SG_SH_SI_EUlSV_E0_NS1_11comp_targetILNS1_3genE5ELNS1_11target_archE942ELNS1_3gpuE9ELNS1_3repE0EEENS1_38merge_mergepath_config_static_selectorELNS0_4arch9wavefront6targetE1EEEvSH_
                                        ; -- End function
	.set _ZN7rocprim17ROCPRIM_400000_NS6detail17trampoline_kernelINS0_14default_configENS1_38merge_sort_block_merge_config_selectorIdlEEZZNS1_27merge_sort_block_merge_implIS3_PdN6thrust23THRUST_200600_302600_NS10device_ptrIlEEjNS1_19radix_merge_compareILb0ELb0EdNS0_19identity_decomposerEEEEE10hipError_tT0_T1_T2_jT3_P12ihipStream_tbPNSt15iterator_traitsISG_E10value_typeEPNSM_ISH_E10value_typeEPSI_NS1_7vsmem_tEENKUlT_SG_SH_SI_E_clIS7_S7_PlSB_EESF_SV_SG_SH_SI_EUlSV_E0_NS1_11comp_targetILNS1_3genE5ELNS1_11target_archE942ELNS1_3gpuE9ELNS1_3repE0EEENS1_38merge_mergepath_config_static_selectorELNS0_4arch9wavefront6targetE1EEEvSH_.num_vgpr, 0
	.set _ZN7rocprim17ROCPRIM_400000_NS6detail17trampoline_kernelINS0_14default_configENS1_38merge_sort_block_merge_config_selectorIdlEEZZNS1_27merge_sort_block_merge_implIS3_PdN6thrust23THRUST_200600_302600_NS10device_ptrIlEEjNS1_19radix_merge_compareILb0ELb0EdNS0_19identity_decomposerEEEEE10hipError_tT0_T1_T2_jT3_P12ihipStream_tbPNSt15iterator_traitsISG_E10value_typeEPNSM_ISH_E10value_typeEPSI_NS1_7vsmem_tEENKUlT_SG_SH_SI_E_clIS7_S7_PlSB_EESF_SV_SG_SH_SI_EUlSV_E0_NS1_11comp_targetILNS1_3genE5ELNS1_11target_archE942ELNS1_3gpuE9ELNS1_3repE0EEENS1_38merge_mergepath_config_static_selectorELNS0_4arch9wavefront6targetE1EEEvSH_.num_agpr, 0
	.set _ZN7rocprim17ROCPRIM_400000_NS6detail17trampoline_kernelINS0_14default_configENS1_38merge_sort_block_merge_config_selectorIdlEEZZNS1_27merge_sort_block_merge_implIS3_PdN6thrust23THRUST_200600_302600_NS10device_ptrIlEEjNS1_19radix_merge_compareILb0ELb0EdNS0_19identity_decomposerEEEEE10hipError_tT0_T1_T2_jT3_P12ihipStream_tbPNSt15iterator_traitsISG_E10value_typeEPNSM_ISH_E10value_typeEPSI_NS1_7vsmem_tEENKUlT_SG_SH_SI_E_clIS7_S7_PlSB_EESF_SV_SG_SH_SI_EUlSV_E0_NS1_11comp_targetILNS1_3genE5ELNS1_11target_archE942ELNS1_3gpuE9ELNS1_3repE0EEENS1_38merge_mergepath_config_static_selectorELNS0_4arch9wavefront6targetE1EEEvSH_.numbered_sgpr, 0
	.set _ZN7rocprim17ROCPRIM_400000_NS6detail17trampoline_kernelINS0_14default_configENS1_38merge_sort_block_merge_config_selectorIdlEEZZNS1_27merge_sort_block_merge_implIS3_PdN6thrust23THRUST_200600_302600_NS10device_ptrIlEEjNS1_19radix_merge_compareILb0ELb0EdNS0_19identity_decomposerEEEEE10hipError_tT0_T1_T2_jT3_P12ihipStream_tbPNSt15iterator_traitsISG_E10value_typeEPNSM_ISH_E10value_typeEPSI_NS1_7vsmem_tEENKUlT_SG_SH_SI_E_clIS7_S7_PlSB_EESF_SV_SG_SH_SI_EUlSV_E0_NS1_11comp_targetILNS1_3genE5ELNS1_11target_archE942ELNS1_3gpuE9ELNS1_3repE0EEENS1_38merge_mergepath_config_static_selectorELNS0_4arch9wavefront6targetE1EEEvSH_.num_named_barrier, 0
	.set _ZN7rocprim17ROCPRIM_400000_NS6detail17trampoline_kernelINS0_14default_configENS1_38merge_sort_block_merge_config_selectorIdlEEZZNS1_27merge_sort_block_merge_implIS3_PdN6thrust23THRUST_200600_302600_NS10device_ptrIlEEjNS1_19radix_merge_compareILb0ELb0EdNS0_19identity_decomposerEEEEE10hipError_tT0_T1_T2_jT3_P12ihipStream_tbPNSt15iterator_traitsISG_E10value_typeEPNSM_ISH_E10value_typeEPSI_NS1_7vsmem_tEENKUlT_SG_SH_SI_E_clIS7_S7_PlSB_EESF_SV_SG_SH_SI_EUlSV_E0_NS1_11comp_targetILNS1_3genE5ELNS1_11target_archE942ELNS1_3gpuE9ELNS1_3repE0EEENS1_38merge_mergepath_config_static_selectorELNS0_4arch9wavefront6targetE1EEEvSH_.private_seg_size, 0
	.set _ZN7rocprim17ROCPRIM_400000_NS6detail17trampoline_kernelINS0_14default_configENS1_38merge_sort_block_merge_config_selectorIdlEEZZNS1_27merge_sort_block_merge_implIS3_PdN6thrust23THRUST_200600_302600_NS10device_ptrIlEEjNS1_19radix_merge_compareILb0ELb0EdNS0_19identity_decomposerEEEEE10hipError_tT0_T1_T2_jT3_P12ihipStream_tbPNSt15iterator_traitsISG_E10value_typeEPNSM_ISH_E10value_typeEPSI_NS1_7vsmem_tEENKUlT_SG_SH_SI_E_clIS7_S7_PlSB_EESF_SV_SG_SH_SI_EUlSV_E0_NS1_11comp_targetILNS1_3genE5ELNS1_11target_archE942ELNS1_3gpuE9ELNS1_3repE0EEENS1_38merge_mergepath_config_static_selectorELNS0_4arch9wavefront6targetE1EEEvSH_.uses_vcc, 0
	.set _ZN7rocprim17ROCPRIM_400000_NS6detail17trampoline_kernelINS0_14default_configENS1_38merge_sort_block_merge_config_selectorIdlEEZZNS1_27merge_sort_block_merge_implIS3_PdN6thrust23THRUST_200600_302600_NS10device_ptrIlEEjNS1_19radix_merge_compareILb0ELb0EdNS0_19identity_decomposerEEEEE10hipError_tT0_T1_T2_jT3_P12ihipStream_tbPNSt15iterator_traitsISG_E10value_typeEPNSM_ISH_E10value_typeEPSI_NS1_7vsmem_tEENKUlT_SG_SH_SI_E_clIS7_S7_PlSB_EESF_SV_SG_SH_SI_EUlSV_E0_NS1_11comp_targetILNS1_3genE5ELNS1_11target_archE942ELNS1_3gpuE9ELNS1_3repE0EEENS1_38merge_mergepath_config_static_selectorELNS0_4arch9wavefront6targetE1EEEvSH_.uses_flat_scratch, 0
	.set _ZN7rocprim17ROCPRIM_400000_NS6detail17trampoline_kernelINS0_14default_configENS1_38merge_sort_block_merge_config_selectorIdlEEZZNS1_27merge_sort_block_merge_implIS3_PdN6thrust23THRUST_200600_302600_NS10device_ptrIlEEjNS1_19radix_merge_compareILb0ELb0EdNS0_19identity_decomposerEEEEE10hipError_tT0_T1_T2_jT3_P12ihipStream_tbPNSt15iterator_traitsISG_E10value_typeEPNSM_ISH_E10value_typeEPSI_NS1_7vsmem_tEENKUlT_SG_SH_SI_E_clIS7_S7_PlSB_EESF_SV_SG_SH_SI_EUlSV_E0_NS1_11comp_targetILNS1_3genE5ELNS1_11target_archE942ELNS1_3gpuE9ELNS1_3repE0EEENS1_38merge_mergepath_config_static_selectorELNS0_4arch9wavefront6targetE1EEEvSH_.has_dyn_sized_stack, 0
	.set _ZN7rocprim17ROCPRIM_400000_NS6detail17trampoline_kernelINS0_14default_configENS1_38merge_sort_block_merge_config_selectorIdlEEZZNS1_27merge_sort_block_merge_implIS3_PdN6thrust23THRUST_200600_302600_NS10device_ptrIlEEjNS1_19radix_merge_compareILb0ELb0EdNS0_19identity_decomposerEEEEE10hipError_tT0_T1_T2_jT3_P12ihipStream_tbPNSt15iterator_traitsISG_E10value_typeEPNSM_ISH_E10value_typeEPSI_NS1_7vsmem_tEENKUlT_SG_SH_SI_E_clIS7_S7_PlSB_EESF_SV_SG_SH_SI_EUlSV_E0_NS1_11comp_targetILNS1_3genE5ELNS1_11target_archE942ELNS1_3gpuE9ELNS1_3repE0EEENS1_38merge_mergepath_config_static_selectorELNS0_4arch9wavefront6targetE1EEEvSH_.has_recursion, 0
	.set _ZN7rocprim17ROCPRIM_400000_NS6detail17trampoline_kernelINS0_14default_configENS1_38merge_sort_block_merge_config_selectorIdlEEZZNS1_27merge_sort_block_merge_implIS3_PdN6thrust23THRUST_200600_302600_NS10device_ptrIlEEjNS1_19radix_merge_compareILb0ELb0EdNS0_19identity_decomposerEEEEE10hipError_tT0_T1_T2_jT3_P12ihipStream_tbPNSt15iterator_traitsISG_E10value_typeEPNSM_ISH_E10value_typeEPSI_NS1_7vsmem_tEENKUlT_SG_SH_SI_E_clIS7_S7_PlSB_EESF_SV_SG_SH_SI_EUlSV_E0_NS1_11comp_targetILNS1_3genE5ELNS1_11target_archE942ELNS1_3gpuE9ELNS1_3repE0EEENS1_38merge_mergepath_config_static_selectorELNS0_4arch9wavefront6targetE1EEEvSH_.has_indirect_call, 0
	.section	.AMDGPU.csdata,"",@progbits
; Kernel info:
; codeLenInByte = 0
; TotalNumSgprs: 4
; NumVgprs: 0
; ScratchSize: 0
; MemoryBound: 0
; FloatMode: 240
; IeeeMode: 1
; LDSByteSize: 0 bytes/workgroup (compile time only)
; SGPRBlocks: 0
; VGPRBlocks: 0
; NumSGPRsForWavesPerEU: 4
; NumVGPRsForWavesPerEU: 1
; Occupancy: 10
; WaveLimiterHint : 0
; COMPUTE_PGM_RSRC2:SCRATCH_EN: 0
; COMPUTE_PGM_RSRC2:USER_SGPR: 6
; COMPUTE_PGM_RSRC2:TRAP_HANDLER: 0
; COMPUTE_PGM_RSRC2:TGID_X_EN: 1
; COMPUTE_PGM_RSRC2:TGID_Y_EN: 0
; COMPUTE_PGM_RSRC2:TGID_Z_EN: 0
; COMPUTE_PGM_RSRC2:TIDIG_COMP_CNT: 0
	.section	.text._ZN7rocprim17ROCPRIM_400000_NS6detail17trampoline_kernelINS0_14default_configENS1_38merge_sort_block_merge_config_selectorIdlEEZZNS1_27merge_sort_block_merge_implIS3_PdN6thrust23THRUST_200600_302600_NS10device_ptrIlEEjNS1_19radix_merge_compareILb0ELb0EdNS0_19identity_decomposerEEEEE10hipError_tT0_T1_T2_jT3_P12ihipStream_tbPNSt15iterator_traitsISG_E10value_typeEPNSM_ISH_E10value_typeEPSI_NS1_7vsmem_tEENKUlT_SG_SH_SI_E_clIS7_S7_PlSB_EESF_SV_SG_SH_SI_EUlSV_E0_NS1_11comp_targetILNS1_3genE4ELNS1_11target_archE910ELNS1_3gpuE8ELNS1_3repE0EEENS1_38merge_mergepath_config_static_selectorELNS0_4arch9wavefront6targetE1EEEvSH_,"axG",@progbits,_ZN7rocprim17ROCPRIM_400000_NS6detail17trampoline_kernelINS0_14default_configENS1_38merge_sort_block_merge_config_selectorIdlEEZZNS1_27merge_sort_block_merge_implIS3_PdN6thrust23THRUST_200600_302600_NS10device_ptrIlEEjNS1_19radix_merge_compareILb0ELb0EdNS0_19identity_decomposerEEEEE10hipError_tT0_T1_T2_jT3_P12ihipStream_tbPNSt15iterator_traitsISG_E10value_typeEPNSM_ISH_E10value_typeEPSI_NS1_7vsmem_tEENKUlT_SG_SH_SI_E_clIS7_S7_PlSB_EESF_SV_SG_SH_SI_EUlSV_E0_NS1_11comp_targetILNS1_3genE4ELNS1_11target_archE910ELNS1_3gpuE8ELNS1_3repE0EEENS1_38merge_mergepath_config_static_selectorELNS0_4arch9wavefront6targetE1EEEvSH_,comdat
	.protected	_ZN7rocprim17ROCPRIM_400000_NS6detail17trampoline_kernelINS0_14default_configENS1_38merge_sort_block_merge_config_selectorIdlEEZZNS1_27merge_sort_block_merge_implIS3_PdN6thrust23THRUST_200600_302600_NS10device_ptrIlEEjNS1_19radix_merge_compareILb0ELb0EdNS0_19identity_decomposerEEEEE10hipError_tT0_T1_T2_jT3_P12ihipStream_tbPNSt15iterator_traitsISG_E10value_typeEPNSM_ISH_E10value_typeEPSI_NS1_7vsmem_tEENKUlT_SG_SH_SI_E_clIS7_S7_PlSB_EESF_SV_SG_SH_SI_EUlSV_E0_NS1_11comp_targetILNS1_3genE4ELNS1_11target_archE910ELNS1_3gpuE8ELNS1_3repE0EEENS1_38merge_mergepath_config_static_selectorELNS0_4arch9wavefront6targetE1EEEvSH_ ; -- Begin function _ZN7rocprim17ROCPRIM_400000_NS6detail17trampoline_kernelINS0_14default_configENS1_38merge_sort_block_merge_config_selectorIdlEEZZNS1_27merge_sort_block_merge_implIS3_PdN6thrust23THRUST_200600_302600_NS10device_ptrIlEEjNS1_19radix_merge_compareILb0ELb0EdNS0_19identity_decomposerEEEEE10hipError_tT0_T1_T2_jT3_P12ihipStream_tbPNSt15iterator_traitsISG_E10value_typeEPNSM_ISH_E10value_typeEPSI_NS1_7vsmem_tEENKUlT_SG_SH_SI_E_clIS7_S7_PlSB_EESF_SV_SG_SH_SI_EUlSV_E0_NS1_11comp_targetILNS1_3genE4ELNS1_11target_archE910ELNS1_3gpuE8ELNS1_3repE0EEENS1_38merge_mergepath_config_static_selectorELNS0_4arch9wavefront6targetE1EEEvSH_
	.globl	_ZN7rocprim17ROCPRIM_400000_NS6detail17trampoline_kernelINS0_14default_configENS1_38merge_sort_block_merge_config_selectorIdlEEZZNS1_27merge_sort_block_merge_implIS3_PdN6thrust23THRUST_200600_302600_NS10device_ptrIlEEjNS1_19radix_merge_compareILb0ELb0EdNS0_19identity_decomposerEEEEE10hipError_tT0_T1_T2_jT3_P12ihipStream_tbPNSt15iterator_traitsISG_E10value_typeEPNSM_ISH_E10value_typeEPSI_NS1_7vsmem_tEENKUlT_SG_SH_SI_E_clIS7_S7_PlSB_EESF_SV_SG_SH_SI_EUlSV_E0_NS1_11comp_targetILNS1_3genE4ELNS1_11target_archE910ELNS1_3gpuE8ELNS1_3repE0EEENS1_38merge_mergepath_config_static_selectorELNS0_4arch9wavefront6targetE1EEEvSH_
	.p2align	8
	.type	_ZN7rocprim17ROCPRIM_400000_NS6detail17trampoline_kernelINS0_14default_configENS1_38merge_sort_block_merge_config_selectorIdlEEZZNS1_27merge_sort_block_merge_implIS3_PdN6thrust23THRUST_200600_302600_NS10device_ptrIlEEjNS1_19radix_merge_compareILb0ELb0EdNS0_19identity_decomposerEEEEE10hipError_tT0_T1_T2_jT3_P12ihipStream_tbPNSt15iterator_traitsISG_E10value_typeEPNSM_ISH_E10value_typeEPSI_NS1_7vsmem_tEENKUlT_SG_SH_SI_E_clIS7_S7_PlSB_EESF_SV_SG_SH_SI_EUlSV_E0_NS1_11comp_targetILNS1_3genE4ELNS1_11target_archE910ELNS1_3gpuE8ELNS1_3repE0EEENS1_38merge_mergepath_config_static_selectorELNS0_4arch9wavefront6targetE1EEEvSH_,@function
_ZN7rocprim17ROCPRIM_400000_NS6detail17trampoline_kernelINS0_14default_configENS1_38merge_sort_block_merge_config_selectorIdlEEZZNS1_27merge_sort_block_merge_implIS3_PdN6thrust23THRUST_200600_302600_NS10device_ptrIlEEjNS1_19radix_merge_compareILb0ELb0EdNS0_19identity_decomposerEEEEE10hipError_tT0_T1_T2_jT3_P12ihipStream_tbPNSt15iterator_traitsISG_E10value_typeEPNSM_ISH_E10value_typeEPSI_NS1_7vsmem_tEENKUlT_SG_SH_SI_E_clIS7_S7_PlSB_EESF_SV_SG_SH_SI_EUlSV_E0_NS1_11comp_targetILNS1_3genE4ELNS1_11target_archE910ELNS1_3gpuE8ELNS1_3repE0EEENS1_38merge_mergepath_config_static_selectorELNS0_4arch9wavefront6targetE1EEEvSH_: ; @_ZN7rocprim17ROCPRIM_400000_NS6detail17trampoline_kernelINS0_14default_configENS1_38merge_sort_block_merge_config_selectorIdlEEZZNS1_27merge_sort_block_merge_implIS3_PdN6thrust23THRUST_200600_302600_NS10device_ptrIlEEjNS1_19radix_merge_compareILb0ELb0EdNS0_19identity_decomposerEEEEE10hipError_tT0_T1_T2_jT3_P12ihipStream_tbPNSt15iterator_traitsISG_E10value_typeEPNSM_ISH_E10value_typeEPSI_NS1_7vsmem_tEENKUlT_SG_SH_SI_E_clIS7_S7_PlSB_EESF_SV_SG_SH_SI_EUlSV_E0_NS1_11comp_targetILNS1_3genE4ELNS1_11target_archE910ELNS1_3gpuE8ELNS1_3repE0EEENS1_38merge_mergepath_config_static_selectorELNS0_4arch9wavefront6targetE1EEEvSH_
; %bb.0:
	.section	.rodata,"a",@progbits
	.p2align	6, 0x0
	.amdhsa_kernel _ZN7rocprim17ROCPRIM_400000_NS6detail17trampoline_kernelINS0_14default_configENS1_38merge_sort_block_merge_config_selectorIdlEEZZNS1_27merge_sort_block_merge_implIS3_PdN6thrust23THRUST_200600_302600_NS10device_ptrIlEEjNS1_19radix_merge_compareILb0ELb0EdNS0_19identity_decomposerEEEEE10hipError_tT0_T1_T2_jT3_P12ihipStream_tbPNSt15iterator_traitsISG_E10value_typeEPNSM_ISH_E10value_typeEPSI_NS1_7vsmem_tEENKUlT_SG_SH_SI_E_clIS7_S7_PlSB_EESF_SV_SG_SH_SI_EUlSV_E0_NS1_11comp_targetILNS1_3genE4ELNS1_11target_archE910ELNS1_3gpuE8ELNS1_3repE0EEENS1_38merge_mergepath_config_static_selectorELNS0_4arch9wavefront6targetE1EEEvSH_
		.amdhsa_group_segment_fixed_size 0
		.amdhsa_private_segment_fixed_size 0
		.amdhsa_kernarg_size 64
		.amdhsa_user_sgpr_count 6
		.amdhsa_user_sgpr_private_segment_buffer 1
		.amdhsa_user_sgpr_dispatch_ptr 0
		.amdhsa_user_sgpr_queue_ptr 0
		.amdhsa_user_sgpr_kernarg_segment_ptr 1
		.amdhsa_user_sgpr_dispatch_id 0
		.amdhsa_user_sgpr_flat_scratch_init 0
		.amdhsa_user_sgpr_private_segment_size 0
		.amdhsa_uses_dynamic_stack 0
		.amdhsa_system_sgpr_private_segment_wavefront_offset 0
		.amdhsa_system_sgpr_workgroup_id_x 1
		.amdhsa_system_sgpr_workgroup_id_y 0
		.amdhsa_system_sgpr_workgroup_id_z 0
		.amdhsa_system_sgpr_workgroup_info 0
		.amdhsa_system_vgpr_workitem_id 0
		.amdhsa_next_free_vgpr 1
		.amdhsa_next_free_sgpr 0
		.amdhsa_reserve_vcc 0
		.amdhsa_reserve_flat_scratch 0
		.amdhsa_float_round_mode_32 0
		.amdhsa_float_round_mode_16_64 0
		.amdhsa_float_denorm_mode_32 3
		.amdhsa_float_denorm_mode_16_64 3
		.amdhsa_dx10_clamp 1
		.amdhsa_ieee_mode 1
		.amdhsa_fp16_overflow 0
		.amdhsa_exception_fp_ieee_invalid_op 0
		.amdhsa_exception_fp_denorm_src 0
		.amdhsa_exception_fp_ieee_div_zero 0
		.amdhsa_exception_fp_ieee_overflow 0
		.amdhsa_exception_fp_ieee_underflow 0
		.amdhsa_exception_fp_ieee_inexact 0
		.amdhsa_exception_int_div_zero 0
	.end_amdhsa_kernel
	.section	.text._ZN7rocprim17ROCPRIM_400000_NS6detail17trampoline_kernelINS0_14default_configENS1_38merge_sort_block_merge_config_selectorIdlEEZZNS1_27merge_sort_block_merge_implIS3_PdN6thrust23THRUST_200600_302600_NS10device_ptrIlEEjNS1_19radix_merge_compareILb0ELb0EdNS0_19identity_decomposerEEEEE10hipError_tT0_T1_T2_jT3_P12ihipStream_tbPNSt15iterator_traitsISG_E10value_typeEPNSM_ISH_E10value_typeEPSI_NS1_7vsmem_tEENKUlT_SG_SH_SI_E_clIS7_S7_PlSB_EESF_SV_SG_SH_SI_EUlSV_E0_NS1_11comp_targetILNS1_3genE4ELNS1_11target_archE910ELNS1_3gpuE8ELNS1_3repE0EEENS1_38merge_mergepath_config_static_selectorELNS0_4arch9wavefront6targetE1EEEvSH_,"axG",@progbits,_ZN7rocprim17ROCPRIM_400000_NS6detail17trampoline_kernelINS0_14default_configENS1_38merge_sort_block_merge_config_selectorIdlEEZZNS1_27merge_sort_block_merge_implIS3_PdN6thrust23THRUST_200600_302600_NS10device_ptrIlEEjNS1_19radix_merge_compareILb0ELb0EdNS0_19identity_decomposerEEEEE10hipError_tT0_T1_T2_jT3_P12ihipStream_tbPNSt15iterator_traitsISG_E10value_typeEPNSM_ISH_E10value_typeEPSI_NS1_7vsmem_tEENKUlT_SG_SH_SI_E_clIS7_S7_PlSB_EESF_SV_SG_SH_SI_EUlSV_E0_NS1_11comp_targetILNS1_3genE4ELNS1_11target_archE910ELNS1_3gpuE8ELNS1_3repE0EEENS1_38merge_mergepath_config_static_selectorELNS0_4arch9wavefront6targetE1EEEvSH_,comdat
.Lfunc_end1553:
	.size	_ZN7rocprim17ROCPRIM_400000_NS6detail17trampoline_kernelINS0_14default_configENS1_38merge_sort_block_merge_config_selectorIdlEEZZNS1_27merge_sort_block_merge_implIS3_PdN6thrust23THRUST_200600_302600_NS10device_ptrIlEEjNS1_19radix_merge_compareILb0ELb0EdNS0_19identity_decomposerEEEEE10hipError_tT0_T1_T2_jT3_P12ihipStream_tbPNSt15iterator_traitsISG_E10value_typeEPNSM_ISH_E10value_typeEPSI_NS1_7vsmem_tEENKUlT_SG_SH_SI_E_clIS7_S7_PlSB_EESF_SV_SG_SH_SI_EUlSV_E0_NS1_11comp_targetILNS1_3genE4ELNS1_11target_archE910ELNS1_3gpuE8ELNS1_3repE0EEENS1_38merge_mergepath_config_static_selectorELNS0_4arch9wavefront6targetE1EEEvSH_, .Lfunc_end1553-_ZN7rocprim17ROCPRIM_400000_NS6detail17trampoline_kernelINS0_14default_configENS1_38merge_sort_block_merge_config_selectorIdlEEZZNS1_27merge_sort_block_merge_implIS3_PdN6thrust23THRUST_200600_302600_NS10device_ptrIlEEjNS1_19radix_merge_compareILb0ELb0EdNS0_19identity_decomposerEEEEE10hipError_tT0_T1_T2_jT3_P12ihipStream_tbPNSt15iterator_traitsISG_E10value_typeEPNSM_ISH_E10value_typeEPSI_NS1_7vsmem_tEENKUlT_SG_SH_SI_E_clIS7_S7_PlSB_EESF_SV_SG_SH_SI_EUlSV_E0_NS1_11comp_targetILNS1_3genE4ELNS1_11target_archE910ELNS1_3gpuE8ELNS1_3repE0EEENS1_38merge_mergepath_config_static_selectorELNS0_4arch9wavefront6targetE1EEEvSH_
                                        ; -- End function
	.set _ZN7rocprim17ROCPRIM_400000_NS6detail17trampoline_kernelINS0_14default_configENS1_38merge_sort_block_merge_config_selectorIdlEEZZNS1_27merge_sort_block_merge_implIS3_PdN6thrust23THRUST_200600_302600_NS10device_ptrIlEEjNS1_19radix_merge_compareILb0ELb0EdNS0_19identity_decomposerEEEEE10hipError_tT0_T1_T2_jT3_P12ihipStream_tbPNSt15iterator_traitsISG_E10value_typeEPNSM_ISH_E10value_typeEPSI_NS1_7vsmem_tEENKUlT_SG_SH_SI_E_clIS7_S7_PlSB_EESF_SV_SG_SH_SI_EUlSV_E0_NS1_11comp_targetILNS1_3genE4ELNS1_11target_archE910ELNS1_3gpuE8ELNS1_3repE0EEENS1_38merge_mergepath_config_static_selectorELNS0_4arch9wavefront6targetE1EEEvSH_.num_vgpr, 0
	.set _ZN7rocprim17ROCPRIM_400000_NS6detail17trampoline_kernelINS0_14default_configENS1_38merge_sort_block_merge_config_selectorIdlEEZZNS1_27merge_sort_block_merge_implIS3_PdN6thrust23THRUST_200600_302600_NS10device_ptrIlEEjNS1_19radix_merge_compareILb0ELb0EdNS0_19identity_decomposerEEEEE10hipError_tT0_T1_T2_jT3_P12ihipStream_tbPNSt15iterator_traitsISG_E10value_typeEPNSM_ISH_E10value_typeEPSI_NS1_7vsmem_tEENKUlT_SG_SH_SI_E_clIS7_S7_PlSB_EESF_SV_SG_SH_SI_EUlSV_E0_NS1_11comp_targetILNS1_3genE4ELNS1_11target_archE910ELNS1_3gpuE8ELNS1_3repE0EEENS1_38merge_mergepath_config_static_selectorELNS0_4arch9wavefront6targetE1EEEvSH_.num_agpr, 0
	.set _ZN7rocprim17ROCPRIM_400000_NS6detail17trampoline_kernelINS0_14default_configENS1_38merge_sort_block_merge_config_selectorIdlEEZZNS1_27merge_sort_block_merge_implIS3_PdN6thrust23THRUST_200600_302600_NS10device_ptrIlEEjNS1_19radix_merge_compareILb0ELb0EdNS0_19identity_decomposerEEEEE10hipError_tT0_T1_T2_jT3_P12ihipStream_tbPNSt15iterator_traitsISG_E10value_typeEPNSM_ISH_E10value_typeEPSI_NS1_7vsmem_tEENKUlT_SG_SH_SI_E_clIS7_S7_PlSB_EESF_SV_SG_SH_SI_EUlSV_E0_NS1_11comp_targetILNS1_3genE4ELNS1_11target_archE910ELNS1_3gpuE8ELNS1_3repE0EEENS1_38merge_mergepath_config_static_selectorELNS0_4arch9wavefront6targetE1EEEvSH_.numbered_sgpr, 0
	.set _ZN7rocprim17ROCPRIM_400000_NS6detail17trampoline_kernelINS0_14default_configENS1_38merge_sort_block_merge_config_selectorIdlEEZZNS1_27merge_sort_block_merge_implIS3_PdN6thrust23THRUST_200600_302600_NS10device_ptrIlEEjNS1_19radix_merge_compareILb0ELb0EdNS0_19identity_decomposerEEEEE10hipError_tT0_T1_T2_jT3_P12ihipStream_tbPNSt15iterator_traitsISG_E10value_typeEPNSM_ISH_E10value_typeEPSI_NS1_7vsmem_tEENKUlT_SG_SH_SI_E_clIS7_S7_PlSB_EESF_SV_SG_SH_SI_EUlSV_E0_NS1_11comp_targetILNS1_3genE4ELNS1_11target_archE910ELNS1_3gpuE8ELNS1_3repE0EEENS1_38merge_mergepath_config_static_selectorELNS0_4arch9wavefront6targetE1EEEvSH_.num_named_barrier, 0
	.set _ZN7rocprim17ROCPRIM_400000_NS6detail17trampoline_kernelINS0_14default_configENS1_38merge_sort_block_merge_config_selectorIdlEEZZNS1_27merge_sort_block_merge_implIS3_PdN6thrust23THRUST_200600_302600_NS10device_ptrIlEEjNS1_19radix_merge_compareILb0ELb0EdNS0_19identity_decomposerEEEEE10hipError_tT0_T1_T2_jT3_P12ihipStream_tbPNSt15iterator_traitsISG_E10value_typeEPNSM_ISH_E10value_typeEPSI_NS1_7vsmem_tEENKUlT_SG_SH_SI_E_clIS7_S7_PlSB_EESF_SV_SG_SH_SI_EUlSV_E0_NS1_11comp_targetILNS1_3genE4ELNS1_11target_archE910ELNS1_3gpuE8ELNS1_3repE0EEENS1_38merge_mergepath_config_static_selectorELNS0_4arch9wavefront6targetE1EEEvSH_.private_seg_size, 0
	.set _ZN7rocprim17ROCPRIM_400000_NS6detail17trampoline_kernelINS0_14default_configENS1_38merge_sort_block_merge_config_selectorIdlEEZZNS1_27merge_sort_block_merge_implIS3_PdN6thrust23THRUST_200600_302600_NS10device_ptrIlEEjNS1_19radix_merge_compareILb0ELb0EdNS0_19identity_decomposerEEEEE10hipError_tT0_T1_T2_jT3_P12ihipStream_tbPNSt15iterator_traitsISG_E10value_typeEPNSM_ISH_E10value_typeEPSI_NS1_7vsmem_tEENKUlT_SG_SH_SI_E_clIS7_S7_PlSB_EESF_SV_SG_SH_SI_EUlSV_E0_NS1_11comp_targetILNS1_3genE4ELNS1_11target_archE910ELNS1_3gpuE8ELNS1_3repE0EEENS1_38merge_mergepath_config_static_selectorELNS0_4arch9wavefront6targetE1EEEvSH_.uses_vcc, 0
	.set _ZN7rocprim17ROCPRIM_400000_NS6detail17trampoline_kernelINS0_14default_configENS1_38merge_sort_block_merge_config_selectorIdlEEZZNS1_27merge_sort_block_merge_implIS3_PdN6thrust23THRUST_200600_302600_NS10device_ptrIlEEjNS1_19radix_merge_compareILb0ELb0EdNS0_19identity_decomposerEEEEE10hipError_tT0_T1_T2_jT3_P12ihipStream_tbPNSt15iterator_traitsISG_E10value_typeEPNSM_ISH_E10value_typeEPSI_NS1_7vsmem_tEENKUlT_SG_SH_SI_E_clIS7_S7_PlSB_EESF_SV_SG_SH_SI_EUlSV_E0_NS1_11comp_targetILNS1_3genE4ELNS1_11target_archE910ELNS1_3gpuE8ELNS1_3repE0EEENS1_38merge_mergepath_config_static_selectorELNS0_4arch9wavefront6targetE1EEEvSH_.uses_flat_scratch, 0
	.set _ZN7rocprim17ROCPRIM_400000_NS6detail17trampoline_kernelINS0_14default_configENS1_38merge_sort_block_merge_config_selectorIdlEEZZNS1_27merge_sort_block_merge_implIS3_PdN6thrust23THRUST_200600_302600_NS10device_ptrIlEEjNS1_19radix_merge_compareILb0ELb0EdNS0_19identity_decomposerEEEEE10hipError_tT0_T1_T2_jT3_P12ihipStream_tbPNSt15iterator_traitsISG_E10value_typeEPNSM_ISH_E10value_typeEPSI_NS1_7vsmem_tEENKUlT_SG_SH_SI_E_clIS7_S7_PlSB_EESF_SV_SG_SH_SI_EUlSV_E0_NS1_11comp_targetILNS1_3genE4ELNS1_11target_archE910ELNS1_3gpuE8ELNS1_3repE0EEENS1_38merge_mergepath_config_static_selectorELNS0_4arch9wavefront6targetE1EEEvSH_.has_dyn_sized_stack, 0
	.set _ZN7rocprim17ROCPRIM_400000_NS6detail17trampoline_kernelINS0_14default_configENS1_38merge_sort_block_merge_config_selectorIdlEEZZNS1_27merge_sort_block_merge_implIS3_PdN6thrust23THRUST_200600_302600_NS10device_ptrIlEEjNS1_19radix_merge_compareILb0ELb0EdNS0_19identity_decomposerEEEEE10hipError_tT0_T1_T2_jT3_P12ihipStream_tbPNSt15iterator_traitsISG_E10value_typeEPNSM_ISH_E10value_typeEPSI_NS1_7vsmem_tEENKUlT_SG_SH_SI_E_clIS7_S7_PlSB_EESF_SV_SG_SH_SI_EUlSV_E0_NS1_11comp_targetILNS1_3genE4ELNS1_11target_archE910ELNS1_3gpuE8ELNS1_3repE0EEENS1_38merge_mergepath_config_static_selectorELNS0_4arch9wavefront6targetE1EEEvSH_.has_recursion, 0
	.set _ZN7rocprim17ROCPRIM_400000_NS6detail17trampoline_kernelINS0_14default_configENS1_38merge_sort_block_merge_config_selectorIdlEEZZNS1_27merge_sort_block_merge_implIS3_PdN6thrust23THRUST_200600_302600_NS10device_ptrIlEEjNS1_19radix_merge_compareILb0ELb0EdNS0_19identity_decomposerEEEEE10hipError_tT0_T1_T2_jT3_P12ihipStream_tbPNSt15iterator_traitsISG_E10value_typeEPNSM_ISH_E10value_typeEPSI_NS1_7vsmem_tEENKUlT_SG_SH_SI_E_clIS7_S7_PlSB_EESF_SV_SG_SH_SI_EUlSV_E0_NS1_11comp_targetILNS1_3genE4ELNS1_11target_archE910ELNS1_3gpuE8ELNS1_3repE0EEENS1_38merge_mergepath_config_static_selectorELNS0_4arch9wavefront6targetE1EEEvSH_.has_indirect_call, 0
	.section	.AMDGPU.csdata,"",@progbits
; Kernel info:
; codeLenInByte = 0
; TotalNumSgprs: 4
; NumVgprs: 0
; ScratchSize: 0
; MemoryBound: 0
; FloatMode: 240
; IeeeMode: 1
; LDSByteSize: 0 bytes/workgroup (compile time only)
; SGPRBlocks: 0
; VGPRBlocks: 0
; NumSGPRsForWavesPerEU: 4
; NumVGPRsForWavesPerEU: 1
; Occupancy: 10
; WaveLimiterHint : 0
; COMPUTE_PGM_RSRC2:SCRATCH_EN: 0
; COMPUTE_PGM_RSRC2:USER_SGPR: 6
; COMPUTE_PGM_RSRC2:TRAP_HANDLER: 0
; COMPUTE_PGM_RSRC2:TGID_X_EN: 1
; COMPUTE_PGM_RSRC2:TGID_Y_EN: 0
; COMPUTE_PGM_RSRC2:TGID_Z_EN: 0
; COMPUTE_PGM_RSRC2:TIDIG_COMP_CNT: 0
	.section	.text._ZN7rocprim17ROCPRIM_400000_NS6detail17trampoline_kernelINS0_14default_configENS1_38merge_sort_block_merge_config_selectorIdlEEZZNS1_27merge_sort_block_merge_implIS3_PdN6thrust23THRUST_200600_302600_NS10device_ptrIlEEjNS1_19radix_merge_compareILb0ELb0EdNS0_19identity_decomposerEEEEE10hipError_tT0_T1_T2_jT3_P12ihipStream_tbPNSt15iterator_traitsISG_E10value_typeEPNSM_ISH_E10value_typeEPSI_NS1_7vsmem_tEENKUlT_SG_SH_SI_E_clIS7_S7_PlSB_EESF_SV_SG_SH_SI_EUlSV_E0_NS1_11comp_targetILNS1_3genE3ELNS1_11target_archE908ELNS1_3gpuE7ELNS1_3repE0EEENS1_38merge_mergepath_config_static_selectorELNS0_4arch9wavefront6targetE1EEEvSH_,"axG",@progbits,_ZN7rocprim17ROCPRIM_400000_NS6detail17trampoline_kernelINS0_14default_configENS1_38merge_sort_block_merge_config_selectorIdlEEZZNS1_27merge_sort_block_merge_implIS3_PdN6thrust23THRUST_200600_302600_NS10device_ptrIlEEjNS1_19radix_merge_compareILb0ELb0EdNS0_19identity_decomposerEEEEE10hipError_tT0_T1_T2_jT3_P12ihipStream_tbPNSt15iterator_traitsISG_E10value_typeEPNSM_ISH_E10value_typeEPSI_NS1_7vsmem_tEENKUlT_SG_SH_SI_E_clIS7_S7_PlSB_EESF_SV_SG_SH_SI_EUlSV_E0_NS1_11comp_targetILNS1_3genE3ELNS1_11target_archE908ELNS1_3gpuE7ELNS1_3repE0EEENS1_38merge_mergepath_config_static_selectorELNS0_4arch9wavefront6targetE1EEEvSH_,comdat
	.protected	_ZN7rocprim17ROCPRIM_400000_NS6detail17trampoline_kernelINS0_14default_configENS1_38merge_sort_block_merge_config_selectorIdlEEZZNS1_27merge_sort_block_merge_implIS3_PdN6thrust23THRUST_200600_302600_NS10device_ptrIlEEjNS1_19radix_merge_compareILb0ELb0EdNS0_19identity_decomposerEEEEE10hipError_tT0_T1_T2_jT3_P12ihipStream_tbPNSt15iterator_traitsISG_E10value_typeEPNSM_ISH_E10value_typeEPSI_NS1_7vsmem_tEENKUlT_SG_SH_SI_E_clIS7_S7_PlSB_EESF_SV_SG_SH_SI_EUlSV_E0_NS1_11comp_targetILNS1_3genE3ELNS1_11target_archE908ELNS1_3gpuE7ELNS1_3repE0EEENS1_38merge_mergepath_config_static_selectorELNS0_4arch9wavefront6targetE1EEEvSH_ ; -- Begin function _ZN7rocprim17ROCPRIM_400000_NS6detail17trampoline_kernelINS0_14default_configENS1_38merge_sort_block_merge_config_selectorIdlEEZZNS1_27merge_sort_block_merge_implIS3_PdN6thrust23THRUST_200600_302600_NS10device_ptrIlEEjNS1_19radix_merge_compareILb0ELb0EdNS0_19identity_decomposerEEEEE10hipError_tT0_T1_T2_jT3_P12ihipStream_tbPNSt15iterator_traitsISG_E10value_typeEPNSM_ISH_E10value_typeEPSI_NS1_7vsmem_tEENKUlT_SG_SH_SI_E_clIS7_S7_PlSB_EESF_SV_SG_SH_SI_EUlSV_E0_NS1_11comp_targetILNS1_3genE3ELNS1_11target_archE908ELNS1_3gpuE7ELNS1_3repE0EEENS1_38merge_mergepath_config_static_selectorELNS0_4arch9wavefront6targetE1EEEvSH_
	.globl	_ZN7rocprim17ROCPRIM_400000_NS6detail17trampoline_kernelINS0_14default_configENS1_38merge_sort_block_merge_config_selectorIdlEEZZNS1_27merge_sort_block_merge_implIS3_PdN6thrust23THRUST_200600_302600_NS10device_ptrIlEEjNS1_19radix_merge_compareILb0ELb0EdNS0_19identity_decomposerEEEEE10hipError_tT0_T1_T2_jT3_P12ihipStream_tbPNSt15iterator_traitsISG_E10value_typeEPNSM_ISH_E10value_typeEPSI_NS1_7vsmem_tEENKUlT_SG_SH_SI_E_clIS7_S7_PlSB_EESF_SV_SG_SH_SI_EUlSV_E0_NS1_11comp_targetILNS1_3genE3ELNS1_11target_archE908ELNS1_3gpuE7ELNS1_3repE0EEENS1_38merge_mergepath_config_static_selectorELNS0_4arch9wavefront6targetE1EEEvSH_
	.p2align	8
	.type	_ZN7rocprim17ROCPRIM_400000_NS6detail17trampoline_kernelINS0_14default_configENS1_38merge_sort_block_merge_config_selectorIdlEEZZNS1_27merge_sort_block_merge_implIS3_PdN6thrust23THRUST_200600_302600_NS10device_ptrIlEEjNS1_19radix_merge_compareILb0ELb0EdNS0_19identity_decomposerEEEEE10hipError_tT0_T1_T2_jT3_P12ihipStream_tbPNSt15iterator_traitsISG_E10value_typeEPNSM_ISH_E10value_typeEPSI_NS1_7vsmem_tEENKUlT_SG_SH_SI_E_clIS7_S7_PlSB_EESF_SV_SG_SH_SI_EUlSV_E0_NS1_11comp_targetILNS1_3genE3ELNS1_11target_archE908ELNS1_3gpuE7ELNS1_3repE0EEENS1_38merge_mergepath_config_static_selectorELNS0_4arch9wavefront6targetE1EEEvSH_,@function
_ZN7rocprim17ROCPRIM_400000_NS6detail17trampoline_kernelINS0_14default_configENS1_38merge_sort_block_merge_config_selectorIdlEEZZNS1_27merge_sort_block_merge_implIS3_PdN6thrust23THRUST_200600_302600_NS10device_ptrIlEEjNS1_19radix_merge_compareILb0ELb0EdNS0_19identity_decomposerEEEEE10hipError_tT0_T1_T2_jT3_P12ihipStream_tbPNSt15iterator_traitsISG_E10value_typeEPNSM_ISH_E10value_typeEPSI_NS1_7vsmem_tEENKUlT_SG_SH_SI_E_clIS7_S7_PlSB_EESF_SV_SG_SH_SI_EUlSV_E0_NS1_11comp_targetILNS1_3genE3ELNS1_11target_archE908ELNS1_3gpuE7ELNS1_3repE0EEENS1_38merge_mergepath_config_static_selectorELNS0_4arch9wavefront6targetE1EEEvSH_: ; @_ZN7rocprim17ROCPRIM_400000_NS6detail17trampoline_kernelINS0_14default_configENS1_38merge_sort_block_merge_config_selectorIdlEEZZNS1_27merge_sort_block_merge_implIS3_PdN6thrust23THRUST_200600_302600_NS10device_ptrIlEEjNS1_19radix_merge_compareILb0ELb0EdNS0_19identity_decomposerEEEEE10hipError_tT0_T1_T2_jT3_P12ihipStream_tbPNSt15iterator_traitsISG_E10value_typeEPNSM_ISH_E10value_typeEPSI_NS1_7vsmem_tEENKUlT_SG_SH_SI_E_clIS7_S7_PlSB_EESF_SV_SG_SH_SI_EUlSV_E0_NS1_11comp_targetILNS1_3genE3ELNS1_11target_archE908ELNS1_3gpuE7ELNS1_3repE0EEENS1_38merge_mergepath_config_static_selectorELNS0_4arch9wavefront6targetE1EEEvSH_
; %bb.0:
	.section	.rodata,"a",@progbits
	.p2align	6, 0x0
	.amdhsa_kernel _ZN7rocprim17ROCPRIM_400000_NS6detail17trampoline_kernelINS0_14default_configENS1_38merge_sort_block_merge_config_selectorIdlEEZZNS1_27merge_sort_block_merge_implIS3_PdN6thrust23THRUST_200600_302600_NS10device_ptrIlEEjNS1_19radix_merge_compareILb0ELb0EdNS0_19identity_decomposerEEEEE10hipError_tT0_T1_T2_jT3_P12ihipStream_tbPNSt15iterator_traitsISG_E10value_typeEPNSM_ISH_E10value_typeEPSI_NS1_7vsmem_tEENKUlT_SG_SH_SI_E_clIS7_S7_PlSB_EESF_SV_SG_SH_SI_EUlSV_E0_NS1_11comp_targetILNS1_3genE3ELNS1_11target_archE908ELNS1_3gpuE7ELNS1_3repE0EEENS1_38merge_mergepath_config_static_selectorELNS0_4arch9wavefront6targetE1EEEvSH_
		.amdhsa_group_segment_fixed_size 0
		.amdhsa_private_segment_fixed_size 0
		.amdhsa_kernarg_size 64
		.amdhsa_user_sgpr_count 6
		.amdhsa_user_sgpr_private_segment_buffer 1
		.amdhsa_user_sgpr_dispatch_ptr 0
		.amdhsa_user_sgpr_queue_ptr 0
		.amdhsa_user_sgpr_kernarg_segment_ptr 1
		.amdhsa_user_sgpr_dispatch_id 0
		.amdhsa_user_sgpr_flat_scratch_init 0
		.amdhsa_user_sgpr_private_segment_size 0
		.amdhsa_uses_dynamic_stack 0
		.amdhsa_system_sgpr_private_segment_wavefront_offset 0
		.amdhsa_system_sgpr_workgroup_id_x 1
		.amdhsa_system_sgpr_workgroup_id_y 0
		.amdhsa_system_sgpr_workgroup_id_z 0
		.amdhsa_system_sgpr_workgroup_info 0
		.amdhsa_system_vgpr_workitem_id 0
		.amdhsa_next_free_vgpr 1
		.amdhsa_next_free_sgpr 0
		.amdhsa_reserve_vcc 0
		.amdhsa_reserve_flat_scratch 0
		.amdhsa_float_round_mode_32 0
		.amdhsa_float_round_mode_16_64 0
		.amdhsa_float_denorm_mode_32 3
		.amdhsa_float_denorm_mode_16_64 3
		.amdhsa_dx10_clamp 1
		.amdhsa_ieee_mode 1
		.amdhsa_fp16_overflow 0
		.amdhsa_exception_fp_ieee_invalid_op 0
		.amdhsa_exception_fp_denorm_src 0
		.amdhsa_exception_fp_ieee_div_zero 0
		.amdhsa_exception_fp_ieee_overflow 0
		.amdhsa_exception_fp_ieee_underflow 0
		.amdhsa_exception_fp_ieee_inexact 0
		.amdhsa_exception_int_div_zero 0
	.end_amdhsa_kernel
	.section	.text._ZN7rocprim17ROCPRIM_400000_NS6detail17trampoline_kernelINS0_14default_configENS1_38merge_sort_block_merge_config_selectorIdlEEZZNS1_27merge_sort_block_merge_implIS3_PdN6thrust23THRUST_200600_302600_NS10device_ptrIlEEjNS1_19radix_merge_compareILb0ELb0EdNS0_19identity_decomposerEEEEE10hipError_tT0_T1_T2_jT3_P12ihipStream_tbPNSt15iterator_traitsISG_E10value_typeEPNSM_ISH_E10value_typeEPSI_NS1_7vsmem_tEENKUlT_SG_SH_SI_E_clIS7_S7_PlSB_EESF_SV_SG_SH_SI_EUlSV_E0_NS1_11comp_targetILNS1_3genE3ELNS1_11target_archE908ELNS1_3gpuE7ELNS1_3repE0EEENS1_38merge_mergepath_config_static_selectorELNS0_4arch9wavefront6targetE1EEEvSH_,"axG",@progbits,_ZN7rocprim17ROCPRIM_400000_NS6detail17trampoline_kernelINS0_14default_configENS1_38merge_sort_block_merge_config_selectorIdlEEZZNS1_27merge_sort_block_merge_implIS3_PdN6thrust23THRUST_200600_302600_NS10device_ptrIlEEjNS1_19radix_merge_compareILb0ELb0EdNS0_19identity_decomposerEEEEE10hipError_tT0_T1_T2_jT3_P12ihipStream_tbPNSt15iterator_traitsISG_E10value_typeEPNSM_ISH_E10value_typeEPSI_NS1_7vsmem_tEENKUlT_SG_SH_SI_E_clIS7_S7_PlSB_EESF_SV_SG_SH_SI_EUlSV_E0_NS1_11comp_targetILNS1_3genE3ELNS1_11target_archE908ELNS1_3gpuE7ELNS1_3repE0EEENS1_38merge_mergepath_config_static_selectorELNS0_4arch9wavefront6targetE1EEEvSH_,comdat
.Lfunc_end1554:
	.size	_ZN7rocprim17ROCPRIM_400000_NS6detail17trampoline_kernelINS0_14default_configENS1_38merge_sort_block_merge_config_selectorIdlEEZZNS1_27merge_sort_block_merge_implIS3_PdN6thrust23THRUST_200600_302600_NS10device_ptrIlEEjNS1_19radix_merge_compareILb0ELb0EdNS0_19identity_decomposerEEEEE10hipError_tT0_T1_T2_jT3_P12ihipStream_tbPNSt15iterator_traitsISG_E10value_typeEPNSM_ISH_E10value_typeEPSI_NS1_7vsmem_tEENKUlT_SG_SH_SI_E_clIS7_S7_PlSB_EESF_SV_SG_SH_SI_EUlSV_E0_NS1_11comp_targetILNS1_3genE3ELNS1_11target_archE908ELNS1_3gpuE7ELNS1_3repE0EEENS1_38merge_mergepath_config_static_selectorELNS0_4arch9wavefront6targetE1EEEvSH_, .Lfunc_end1554-_ZN7rocprim17ROCPRIM_400000_NS6detail17trampoline_kernelINS0_14default_configENS1_38merge_sort_block_merge_config_selectorIdlEEZZNS1_27merge_sort_block_merge_implIS3_PdN6thrust23THRUST_200600_302600_NS10device_ptrIlEEjNS1_19radix_merge_compareILb0ELb0EdNS0_19identity_decomposerEEEEE10hipError_tT0_T1_T2_jT3_P12ihipStream_tbPNSt15iterator_traitsISG_E10value_typeEPNSM_ISH_E10value_typeEPSI_NS1_7vsmem_tEENKUlT_SG_SH_SI_E_clIS7_S7_PlSB_EESF_SV_SG_SH_SI_EUlSV_E0_NS1_11comp_targetILNS1_3genE3ELNS1_11target_archE908ELNS1_3gpuE7ELNS1_3repE0EEENS1_38merge_mergepath_config_static_selectorELNS0_4arch9wavefront6targetE1EEEvSH_
                                        ; -- End function
	.set _ZN7rocprim17ROCPRIM_400000_NS6detail17trampoline_kernelINS0_14default_configENS1_38merge_sort_block_merge_config_selectorIdlEEZZNS1_27merge_sort_block_merge_implIS3_PdN6thrust23THRUST_200600_302600_NS10device_ptrIlEEjNS1_19radix_merge_compareILb0ELb0EdNS0_19identity_decomposerEEEEE10hipError_tT0_T1_T2_jT3_P12ihipStream_tbPNSt15iterator_traitsISG_E10value_typeEPNSM_ISH_E10value_typeEPSI_NS1_7vsmem_tEENKUlT_SG_SH_SI_E_clIS7_S7_PlSB_EESF_SV_SG_SH_SI_EUlSV_E0_NS1_11comp_targetILNS1_3genE3ELNS1_11target_archE908ELNS1_3gpuE7ELNS1_3repE0EEENS1_38merge_mergepath_config_static_selectorELNS0_4arch9wavefront6targetE1EEEvSH_.num_vgpr, 0
	.set _ZN7rocprim17ROCPRIM_400000_NS6detail17trampoline_kernelINS0_14default_configENS1_38merge_sort_block_merge_config_selectorIdlEEZZNS1_27merge_sort_block_merge_implIS3_PdN6thrust23THRUST_200600_302600_NS10device_ptrIlEEjNS1_19radix_merge_compareILb0ELb0EdNS0_19identity_decomposerEEEEE10hipError_tT0_T1_T2_jT3_P12ihipStream_tbPNSt15iterator_traitsISG_E10value_typeEPNSM_ISH_E10value_typeEPSI_NS1_7vsmem_tEENKUlT_SG_SH_SI_E_clIS7_S7_PlSB_EESF_SV_SG_SH_SI_EUlSV_E0_NS1_11comp_targetILNS1_3genE3ELNS1_11target_archE908ELNS1_3gpuE7ELNS1_3repE0EEENS1_38merge_mergepath_config_static_selectorELNS0_4arch9wavefront6targetE1EEEvSH_.num_agpr, 0
	.set _ZN7rocprim17ROCPRIM_400000_NS6detail17trampoline_kernelINS0_14default_configENS1_38merge_sort_block_merge_config_selectorIdlEEZZNS1_27merge_sort_block_merge_implIS3_PdN6thrust23THRUST_200600_302600_NS10device_ptrIlEEjNS1_19radix_merge_compareILb0ELb0EdNS0_19identity_decomposerEEEEE10hipError_tT0_T1_T2_jT3_P12ihipStream_tbPNSt15iterator_traitsISG_E10value_typeEPNSM_ISH_E10value_typeEPSI_NS1_7vsmem_tEENKUlT_SG_SH_SI_E_clIS7_S7_PlSB_EESF_SV_SG_SH_SI_EUlSV_E0_NS1_11comp_targetILNS1_3genE3ELNS1_11target_archE908ELNS1_3gpuE7ELNS1_3repE0EEENS1_38merge_mergepath_config_static_selectorELNS0_4arch9wavefront6targetE1EEEvSH_.numbered_sgpr, 0
	.set _ZN7rocprim17ROCPRIM_400000_NS6detail17trampoline_kernelINS0_14default_configENS1_38merge_sort_block_merge_config_selectorIdlEEZZNS1_27merge_sort_block_merge_implIS3_PdN6thrust23THRUST_200600_302600_NS10device_ptrIlEEjNS1_19radix_merge_compareILb0ELb0EdNS0_19identity_decomposerEEEEE10hipError_tT0_T1_T2_jT3_P12ihipStream_tbPNSt15iterator_traitsISG_E10value_typeEPNSM_ISH_E10value_typeEPSI_NS1_7vsmem_tEENKUlT_SG_SH_SI_E_clIS7_S7_PlSB_EESF_SV_SG_SH_SI_EUlSV_E0_NS1_11comp_targetILNS1_3genE3ELNS1_11target_archE908ELNS1_3gpuE7ELNS1_3repE0EEENS1_38merge_mergepath_config_static_selectorELNS0_4arch9wavefront6targetE1EEEvSH_.num_named_barrier, 0
	.set _ZN7rocprim17ROCPRIM_400000_NS6detail17trampoline_kernelINS0_14default_configENS1_38merge_sort_block_merge_config_selectorIdlEEZZNS1_27merge_sort_block_merge_implIS3_PdN6thrust23THRUST_200600_302600_NS10device_ptrIlEEjNS1_19radix_merge_compareILb0ELb0EdNS0_19identity_decomposerEEEEE10hipError_tT0_T1_T2_jT3_P12ihipStream_tbPNSt15iterator_traitsISG_E10value_typeEPNSM_ISH_E10value_typeEPSI_NS1_7vsmem_tEENKUlT_SG_SH_SI_E_clIS7_S7_PlSB_EESF_SV_SG_SH_SI_EUlSV_E0_NS1_11comp_targetILNS1_3genE3ELNS1_11target_archE908ELNS1_3gpuE7ELNS1_3repE0EEENS1_38merge_mergepath_config_static_selectorELNS0_4arch9wavefront6targetE1EEEvSH_.private_seg_size, 0
	.set _ZN7rocprim17ROCPRIM_400000_NS6detail17trampoline_kernelINS0_14default_configENS1_38merge_sort_block_merge_config_selectorIdlEEZZNS1_27merge_sort_block_merge_implIS3_PdN6thrust23THRUST_200600_302600_NS10device_ptrIlEEjNS1_19radix_merge_compareILb0ELb0EdNS0_19identity_decomposerEEEEE10hipError_tT0_T1_T2_jT3_P12ihipStream_tbPNSt15iterator_traitsISG_E10value_typeEPNSM_ISH_E10value_typeEPSI_NS1_7vsmem_tEENKUlT_SG_SH_SI_E_clIS7_S7_PlSB_EESF_SV_SG_SH_SI_EUlSV_E0_NS1_11comp_targetILNS1_3genE3ELNS1_11target_archE908ELNS1_3gpuE7ELNS1_3repE0EEENS1_38merge_mergepath_config_static_selectorELNS0_4arch9wavefront6targetE1EEEvSH_.uses_vcc, 0
	.set _ZN7rocprim17ROCPRIM_400000_NS6detail17trampoline_kernelINS0_14default_configENS1_38merge_sort_block_merge_config_selectorIdlEEZZNS1_27merge_sort_block_merge_implIS3_PdN6thrust23THRUST_200600_302600_NS10device_ptrIlEEjNS1_19radix_merge_compareILb0ELb0EdNS0_19identity_decomposerEEEEE10hipError_tT0_T1_T2_jT3_P12ihipStream_tbPNSt15iterator_traitsISG_E10value_typeEPNSM_ISH_E10value_typeEPSI_NS1_7vsmem_tEENKUlT_SG_SH_SI_E_clIS7_S7_PlSB_EESF_SV_SG_SH_SI_EUlSV_E0_NS1_11comp_targetILNS1_3genE3ELNS1_11target_archE908ELNS1_3gpuE7ELNS1_3repE0EEENS1_38merge_mergepath_config_static_selectorELNS0_4arch9wavefront6targetE1EEEvSH_.uses_flat_scratch, 0
	.set _ZN7rocprim17ROCPRIM_400000_NS6detail17trampoline_kernelINS0_14default_configENS1_38merge_sort_block_merge_config_selectorIdlEEZZNS1_27merge_sort_block_merge_implIS3_PdN6thrust23THRUST_200600_302600_NS10device_ptrIlEEjNS1_19radix_merge_compareILb0ELb0EdNS0_19identity_decomposerEEEEE10hipError_tT0_T1_T2_jT3_P12ihipStream_tbPNSt15iterator_traitsISG_E10value_typeEPNSM_ISH_E10value_typeEPSI_NS1_7vsmem_tEENKUlT_SG_SH_SI_E_clIS7_S7_PlSB_EESF_SV_SG_SH_SI_EUlSV_E0_NS1_11comp_targetILNS1_3genE3ELNS1_11target_archE908ELNS1_3gpuE7ELNS1_3repE0EEENS1_38merge_mergepath_config_static_selectorELNS0_4arch9wavefront6targetE1EEEvSH_.has_dyn_sized_stack, 0
	.set _ZN7rocprim17ROCPRIM_400000_NS6detail17trampoline_kernelINS0_14default_configENS1_38merge_sort_block_merge_config_selectorIdlEEZZNS1_27merge_sort_block_merge_implIS3_PdN6thrust23THRUST_200600_302600_NS10device_ptrIlEEjNS1_19radix_merge_compareILb0ELb0EdNS0_19identity_decomposerEEEEE10hipError_tT0_T1_T2_jT3_P12ihipStream_tbPNSt15iterator_traitsISG_E10value_typeEPNSM_ISH_E10value_typeEPSI_NS1_7vsmem_tEENKUlT_SG_SH_SI_E_clIS7_S7_PlSB_EESF_SV_SG_SH_SI_EUlSV_E0_NS1_11comp_targetILNS1_3genE3ELNS1_11target_archE908ELNS1_3gpuE7ELNS1_3repE0EEENS1_38merge_mergepath_config_static_selectorELNS0_4arch9wavefront6targetE1EEEvSH_.has_recursion, 0
	.set _ZN7rocprim17ROCPRIM_400000_NS6detail17trampoline_kernelINS0_14default_configENS1_38merge_sort_block_merge_config_selectorIdlEEZZNS1_27merge_sort_block_merge_implIS3_PdN6thrust23THRUST_200600_302600_NS10device_ptrIlEEjNS1_19radix_merge_compareILb0ELb0EdNS0_19identity_decomposerEEEEE10hipError_tT0_T1_T2_jT3_P12ihipStream_tbPNSt15iterator_traitsISG_E10value_typeEPNSM_ISH_E10value_typeEPSI_NS1_7vsmem_tEENKUlT_SG_SH_SI_E_clIS7_S7_PlSB_EESF_SV_SG_SH_SI_EUlSV_E0_NS1_11comp_targetILNS1_3genE3ELNS1_11target_archE908ELNS1_3gpuE7ELNS1_3repE0EEENS1_38merge_mergepath_config_static_selectorELNS0_4arch9wavefront6targetE1EEEvSH_.has_indirect_call, 0
	.section	.AMDGPU.csdata,"",@progbits
; Kernel info:
; codeLenInByte = 0
; TotalNumSgprs: 4
; NumVgprs: 0
; ScratchSize: 0
; MemoryBound: 0
; FloatMode: 240
; IeeeMode: 1
; LDSByteSize: 0 bytes/workgroup (compile time only)
; SGPRBlocks: 0
; VGPRBlocks: 0
; NumSGPRsForWavesPerEU: 4
; NumVGPRsForWavesPerEU: 1
; Occupancy: 10
; WaveLimiterHint : 0
; COMPUTE_PGM_RSRC2:SCRATCH_EN: 0
; COMPUTE_PGM_RSRC2:USER_SGPR: 6
; COMPUTE_PGM_RSRC2:TRAP_HANDLER: 0
; COMPUTE_PGM_RSRC2:TGID_X_EN: 1
; COMPUTE_PGM_RSRC2:TGID_Y_EN: 0
; COMPUTE_PGM_RSRC2:TGID_Z_EN: 0
; COMPUTE_PGM_RSRC2:TIDIG_COMP_CNT: 0
	.section	.text._ZN7rocprim17ROCPRIM_400000_NS6detail17trampoline_kernelINS0_14default_configENS1_38merge_sort_block_merge_config_selectorIdlEEZZNS1_27merge_sort_block_merge_implIS3_PdN6thrust23THRUST_200600_302600_NS10device_ptrIlEEjNS1_19radix_merge_compareILb0ELb0EdNS0_19identity_decomposerEEEEE10hipError_tT0_T1_T2_jT3_P12ihipStream_tbPNSt15iterator_traitsISG_E10value_typeEPNSM_ISH_E10value_typeEPSI_NS1_7vsmem_tEENKUlT_SG_SH_SI_E_clIS7_S7_PlSB_EESF_SV_SG_SH_SI_EUlSV_E0_NS1_11comp_targetILNS1_3genE2ELNS1_11target_archE906ELNS1_3gpuE6ELNS1_3repE0EEENS1_38merge_mergepath_config_static_selectorELNS0_4arch9wavefront6targetE1EEEvSH_,"axG",@progbits,_ZN7rocprim17ROCPRIM_400000_NS6detail17trampoline_kernelINS0_14default_configENS1_38merge_sort_block_merge_config_selectorIdlEEZZNS1_27merge_sort_block_merge_implIS3_PdN6thrust23THRUST_200600_302600_NS10device_ptrIlEEjNS1_19radix_merge_compareILb0ELb0EdNS0_19identity_decomposerEEEEE10hipError_tT0_T1_T2_jT3_P12ihipStream_tbPNSt15iterator_traitsISG_E10value_typeEPNSM_ISH_E10value_typeEPSI_NS1_7vsmem_tEENKUlT_SG_SH_SI_E_clIS7_S7_PlSB_EESF_SV_SG_SH_SI_EUlSV_E0_NS1_11comp_targetILNS1_3genE2ELNS1_11target_archE906ELNS1_3gpuE6ELNS1_3repE0EEENS1_38merge_mergepath_config_static_selectorELNS0_4arch9wavefront6targetE1EEEvSH_,comdat
	.protected	_ZN7rocprim17ROCPRIM_400000_NS6detail17trampoline_kernelINS0_14default_configENS1_38merge_sort_block_merge_config_selectorIdlEEZZNS1_27merge_sort_block_merge_implIS3_PdN6thrust23THRUST_200600_302600_NS10device_ptrIlEEjNS1_19radix_merge_compareILb0ELb0EdNS0_19identity_decomposerEEEEE10hipError_tT0_T1_T2_jT3_P12ihipStream_tbPNSt15iterator_traitsISG_E10value_typeEPNSM_ISH_E10value_typeEPSI_NS1_7vsmem_tEENKUlT_SG_SH_SI_E_clIS7_S7_PlSB_EESF_SV_SG_SH_SI_EUlSV_E0_NS1_11comp_targetILNS1_3genE2ELNS1_11target_archE906ELNS1_3gpuE6ELNS1_3repE0EEENS1_38merge_mergepath_config_static_selectorELNS0_4arch9wavefront6targetE1EEEvSH_ ; -- Begin function _ZN7rocprim17ROCPRIM_400000_NS6detail17trampoline_kernelINS0_14default_configENS1_38merge_sort_block_merge_config_selectorIdlEEZZNS1_27merge_sort_block_merge_implIS3_PdN6thrust23THRUST_200600_302600_NS10device_ptrIlEEjNS1_19radix_merge_compareILb0ELb0EdNS0_19identity_decomposerEEEEE10hipError_tT0_T1_T2_jT3_P12ihipStream_tbPNSt15iterator_traitsISG_E10value_typeEPNSM_ISH_E10value_typeEPSI_NS1_7vsmem_tEENKUlT_SG_SH_SI_E_clIS7_S7_PlSB_EESF_SV_SG_SH_SI_EUlSV_E0_NS1_11comp_targetILNS1_3genE2ELNS1_11target_archE906ELNS1_3gpuE6ELNS1_3repE0EEENS1_38merge_mergepath_config_static_selectorELNS0_4arch9wavefront6targetE1EEEvSH_
	.globl	_ZN7rocprim17ROCPRIM_400000_NS6detail17trampoline_kernelINS0_14default_configENS1_38merge_sort_block_merge_config_selectorIdlEEZZNS1_27merge_sort_block_merge_implIS3_PdN6thrust23THRUST_200600_302600_NS10device_ptrIlEEjNS1_19radix_merge_compareILb0ELb0EdNS0_19identity_decomposerEEEEE10hipError_tT0_T1_T2_jT3_P12ihipStream_tbPNSt15iterator_traitsISG_E10value_typeEPNSM_ISH_E10value_typeEPSI_NS1_7vsmem_tEENKUlT_SG_SH_SI_E_clIS7_S7_PlSB_EESF_SV_SG_SH_SI_EUlSV_E0_NS1_11comp_targetILNS1_3genE2ELNS1_11target_archE906ELNS1_3gpuE6ELNS1_3repE0EEENS1_38merge_mergepath_config_static_selectorELNS0_4arch9wavefront6targetE1EEEvSH_
	.p2align	8
	.type	_ZN7rocprim17ROCPRIM_400000_NS6detail17trampoline_kernelINS0_14default_configENS1_38merge_sort_block_merge_config_selectorIdlEEZZNS1_27merge_sort_block_merge_implIS3_PdN6thrust23THRUST_200600_302600_NS10device_ptrIlEEjNS1_19radix_merge_compareILb0ELb0EdNS0_19identity_decomposerEEEEE10hipError_tT0_T1_T2_jT3_P12ihipStream_tbPNSt15iterator_traitsISG_E10value_typeEPNSM_ISH_E10value_typeEPSI_NS1_7vsmem_tEENKUlT_SG_SH_SI_E_clIS7_S7_PlSB_EESF_SV_SG_SH_SI_EUlSV_E0_NS1_11comp_targetILNS1_3genE2ELNS1_11target_archE906ELNS1_3gpuE6ELNS1_3repE0EEENS1_38merge_mergepath_config_static_selectorELNS0_4arch9wavefront6targetE1EEEvSH_,@function
_ZN7rocprim17ROCPRIM_400000_NS6detail17trampoline_kernelINS0_14default_configENS1_38merge_sort_block_merge_config_selectorIdlEEZZNS1_27merge_sort_block_merge_implIS3_PdN6thrust23THRUST_200600_302600_NS10device_ptrIlEEjNS1_19radix_merge_compareILb0ELb0EdNS0_19identity_decomposerEEEEE10hipError_tT0_T1_T2_jT3_P12ihipStream_tbPNSt15iterator_traitsISG_E10value_typeEPNSM_ISH_E10value_typeEPSI_NS1_7vsmem_tEENKUlT_SG_SH_SI_E_clIS7_S7_PlSB_EESF_SV_SG_SH_SI_EUlSV_E0_NS1_11comp_targetILNS1_3genE2ELNS1_11target_archE906ELNS1_3gpuE6ELNS1_3repE0EEENS1_38merge_mergepath_config_static_selectorELNS0_4arch9wavefront6targetE1EEEvSH_: ; @_ZN7rocprim17ROCPRIM_400000_NS6detail17trampoline_kernelINS0_14default_configENS1_38merge_sort_block_merge_config_selectorIdlEEZZNS1_27merge_sort_block_merge_implIS3_PdN6thrust23THRUST_200600_302600_NS10device_ptrIlEEjNS1_19radix_merge_compareILb0ELb0EdNS0_19identity_decomposerEEEEE10hipError_tT0_T1_T2_jT3_P12ihipStream_tbPNSt15iterator_traitsISG_E10value_typeEPNSM_ISH_E10value_typeEPSI_NS1_7vsmem_tEENKUlT_SG_SH_SI_E_clIS7_S7_PlSB_EESF_SV_SG_SH_SI_EUlSV_E0_NS1_11comp_targetILNS1_3genE2ELNS1_11target_archE906ELNS1_3gpuE6ELNS1_3repE0EEENS1_38merge_mergepath_config_static_selectorELNS0_4arch9wavefront6targetE1EEEvSH_
; %bb.0:
	s_load_dwordx2 s[24:25], s[4:5], 0x40
	s_load_dword s1, s[4:5], 0x30
	s_add_u32 s22, s4, 64
	s_addc_u32 s23, s5, 0
	s_waitcnt lgkmcnt(0)
	s_mul_i32 s0, s25, s8
	s_add_i32 s0, s0, s7
	s_mul_i32 s0, s0, s24
	s_add_i32 s0, s0, s6
	s_cmp_ge_u32 s0, s1
	s_cbranch_scc1 .LBB1555_60
; %bb.1:
	s_load_dwordx8 s[8:15], s[4:5], 0x10
	s_load_dwordx2 s[28:29], s[4:5], 0x8
	s_load_dwordx2 s[2:3], s[4:5], 0x38
	s_mov_b32 s1, 0
	s_mov_b32 s21, s1
	s_waitcnt lgkmcnt(0)
	s_lshr_b32 s30, s14, 10
	s_cmp_lg_u32 s0, s30
	s_cselect_b64 s[4:5], -1, 0
	s_lshl_b64 s[16:17], s[0:1], 2
	s_add_u32 s2, s2, s16
	s_addc_u32 s3, s3, s17
	s_load_dwordx2 s[16:17], s[2:3], 0x0
	s_lshr_b32 s2, s15, 9
	s_and_b32 s2, s2, 0x7ffffe
	s_sub_i32 s3, 0, s2
	s_and_b32 s7, s0, s3
	s_lshl_b32 s18, s7, 10
	s_lshl_b32 s2, s0, 10
	;; [unrolled: 1-line block ×3, first 2 shown]
	s_sub_i32 s19, s2, s18
	s_add_i32 s7, s7, s15
	s_add_i32 s19, s7, s19
	s_waitcnt lgkmcnt(0)
	s_sub_i32 s20, s19, s16
	s_sub_i32 s19, s19, s17
	;; [unrolled: 1-line block ×3, first 2 shown]
	s_min_u32 s20, s14, s20
	s_addk_i32 s19, 0x400
	s_or_b32 s3, s0, s3
	s_min_u32 s18, s14, s7
	s_add_i32 s7, s7, s15
	s_cmp_eq_u32 s3, -1
	s_cselect_b32 s3, s7, s19
	s_cselect_b32 s7, s18, s17
	s_mov_b32 s17, s1
	s_min_u32 s27, s3, s14
	s_sub_i32 s3, s7, s16
	s_lshl_b64 s[16:17], s[16:17], 3
	s_add_u32 s25, s28, s16
	s_addc_u32 s26, s29, s17
	s_lshl_b64 s[18:19], s[20:21], 3
	s_add_u32 s15, s28, s18
	v_mov_b32_e32 v6, 0
	global_load_dword v1, v6, s[22:23] offset:14
	s_addc_u32 s21, s29, s19
	s_cmp_lt_u32 s6, s24
	s_cselect_b32 s1, 12, 18
	s_add_u32 s6, s22, s1
	s_addc_u32 s7, s23, 0
	global_load_ushort v2, v6, s[6:7]
	s_cmp_eq_u32 s0, s30
	v_lshlrev_b32_e32 v25, 3, v0
	s_waitcnt vmcnt(1)
	v_lshrrev_b32_e32 v3, 16, v1
	v_and_b32_e32 v1, 0xffff, v1
	v_mul_lo_u32 v1, v1, v3
	s_waitcnt vmcnt(0)
	v_mul_lo_u32 v21, v1, v2
	v_add_u32_e32 v19, v21, v0
	v_add_u32_e32 v17, v19, v21
	s_cbranch_scc1 .LBB1555_3
; %bb.2:
	v_mov_b32_e32 v1, s26
	v_add_co_u32_e32 v3, vcc, s25, v25
	v_addc_co_u32_e32 v4, vcc, 0, v1, vcc
	v_subrev_co_u32_e32 v5, vcc, s3, v0
	v_lshlrev_b64 v[1:2], 3, v[5:6]
	v_mov_b32_e32 v5, s21
	v_add_co_u32_e64 v1, s[0:1], s15, v1
	v_addc_co_u32_e64 v2, s[0:1], v5, v2, s[0:1]
	v_mov_b32_e32 v20, v6
	v_cndmask_b32_e32 v2, v2, v4, vcc
	v_cndmask_b32_e32 v1, v1, v3, vcc
	v_lshlrev_b64 v[3:4], 3, v[19:20]
	global_load_dwordx2 v[1:2], v[1:2], off
	v_mov_b32_e32 v5, s26
	v_add_co_u32_e32 v7, vcc, s25, v3
	v_addc_co_u32_e32 v8, vcc, v5, v4, vcc
	v_subrev_co_u32_e32 v5, vcc, s3, v19
	v_lshlrev_b64 v[3:4], 3, v[5:6]
	v_mov_b32_e32 v5, s21
	v_add_co_u32_e64 v3, s[0:1], s15, v3
	v_addc_co_u32_e64 v4, s[0:1], v5, v4, s[0:1]
	v_mov_b32_e32 v18, v6
	v_cndmask_b32_e32 v4, v4, v8, vcc
	v_cndmask_b32_e32 v3, v3, v7, vcc
	v_lshlrev_b64 v[7:8], 3, v[17:18]
	v_mov_b32_e32 v5, s26
	v_add_co_u32_e32 v7, vcc, s25, v7
	v_addc_co_u32_e32 v8, vcc, v5, v8, vcc
	v_subrev_co_u32_e32 v5, vcc, s3, v17
	v_lshlrev_b64 v[5:6], 3, v[5:6]
	v_mov_b32_e32 v9, s21
	v_add_co_u32_e64 v5, s[0:1], s15, v5
	v_addc_co_u32_e64 v6, s[0:1], v9, v6, s[0:1]
	v_cndmask_b32_e32 v6, v6, v8, vcc
	v_cndmask_b32_e32 v5, v5, v7, vcc
	global_load_dwordx2 v[3:4], v[3:4], off
	v_add_u32_e32 v9, v17, v21
	global_load_dwordx2 v[5:6], v[5:6], off
	s_mov_b64 s[0:1], -1
	s_sub_i32 s20, s27, s20
	s_cbranch_execz .LBB1555_4
	s_branch .LBB1555_9
.LBB1555_3:
	s_mov_b64 s[0:1], 0
                                        ; implicit-def: $vgpr9
                                        ; implicit-def: $vgpr1_vgpr2_vgpr3_vgpr4_vgpr5_vgpr6_vgpr7_vgpr8
	s_sub_i32 s20, s27, s20
.LBB1555_4:
	s_add_i32 s22, s20, s3
	s_waitcnt vmcnt(2)
	v_mov_b32_e32 v1, 0
	v_cmp_gt_u32_e32 vcc, s22, v0
	v_mov_b32_e32 v2, v1
	s_waitcnt vmcnt(1)
	v_mov_b32_e32 v3, v1
	v_mov_b32_e32 v4, v1
	s_waitcnt vmcnt(0)
	v_mov_b32_e32 v5, v1
	v_mov_b32_e32 v6, v1
	;; [unrolled: 1-line block ×4, first 2 shown]
	s_and_saveexec_b64 s[6:7], vcc
	s_cbranch_execnz .LBB1555_61
; %bb.5:
	s_or_b64 exec, exec, s[6:7]
	v_cmp_gt_u32_e32 vcc, s22, v19
	s_and_saveexec_b64 s[6:7], vcc
	s_cbranch_execnz .LBB1555_62
.LBB1555_6:
	s_or_b64 exec, exec, s[6:7]
	v_cmp_gt_u32_e32 vcc, s22, v17
	s_and_saveexec_b64 s[6:7], vcc
	s_cbranch_execz .LBB1555_8
.LBB1555_7:
	v_mov_b32_e32 v18, 0
	v_lshlrev_b64 v[5:6], 3, v[17:18]
	v_mov_b32_e32 v9, s26
	v_add_co_u32_e32 v10, vcc, s25, v5
	v_addc_co_u32_e32 v9, vcc, v9, v6, vcc
	v_subrev_co_u32_e32 v5, vcc, s3, v17
	v_mov_b32_e32 v6, v18
	v_lshlrev_b64 v[5:6], 3, v[5:6]
	v_mov_b32_e32 v11, s21
	v_add_co_u32_e64 v5, s[0:1], s15, v5
	v_addc_co_u32_e64 v6, s[0:1], v11, v6, s[0:1]
	v_cndmask_b32_e32 v6, v6, v9, vcc
	v_cndmask_b32_e32 v5, v5, v10, vcc
	global_load_dwordx2 v[5:6], v[5:6], off
.LBB1555_8:
	s_or_b64 exec, exec, s[6:7]
	v_add_u32_e32 v9, v17, v21
	v_cmp_gt_u32_e64 s[0:1], s22, v9
.LBB1555_9:
	s_and_saveexec_b64 s[6:7], s[0:1]
	s_cbranch_execz .LBB1555_11
; %bb.10:
	v_mov_b32_e32 v10, 0
	v_lshlrev_b64 v[7:8], 3, v[9:10]
	v_mov_b32_e32 v11, s26
	v_add_co_u32_e32 v12, vcc, s25, v7
	v_addc_co_u32_e32 v11, vcc, v11, v8, vcc
	v_subrev_co_u32_e32 v9, vcc, s3, v9
	v_lshlrev_b64 v[7:8], 3, v[9:10]
	v_mov_b32_e32 v9, s21
	v_add_co_u32_e64 v7, s[0:1], s15, v7
	v_addc_co_u32_e64 v8, s[0:1], v9, v8, s[0:1]
	v_cndmask_b32_e32 v8, v8, v11, vcc
	v_cndmask_b32_e32 v7, v7, v12, vcc
	global_load_dwordx2 v[7:8], v[7:8], off
.LBB1555_11:
	s_or_b64 exec, exec, s[6:7]
	s_add_u32 s16, s10, s16
	s_addc_u32 s17, s11, s17
	s_add_u32 s10, s10, s18
	v_mov_b32_e32 v16, 0
	s_addc_u32 s11, s11, s19
	s_andn2_b64 vcc, exec, s[4:5]
	s_waitcnt vmcnt(0)
	ds_write2st64_b64 v25, v[1:2], v[3:4] offset1:4
	ds_write2st64_b64 v25, v[5:6], v[7:8] offset0:8 offset1:12
	s_cbranch_vccnz .LBB1555_13
; %bb.12:
	v_mov_b32_e32 v9, s17
	v_add_co_u32_e32 v11, vcc, s16, v25
	v_addc_co_u32_e32 v12, vcc, 0, v9, vcc
	v_subrev_co_u32_e32 v15, vcc, s3, v0
	v_lshlrev_b64 v[9:10], 3, v[15:16]
	v_mov_b32_e32 v13, s11
	v_add_co_u32_e64 v9, s[0:1], s10, v9
	v_addc_co_u32_e64 v10, s[0:1], v13, v10, s[0:1]
	v_mov_b32_e32 v20, v16
	v_cndmask_b32_e32 v10, v10, v12, vcc
	v_cndmask_b32_e32 v9, v9, v11, vcc
	v_lshlrev_b64 v[11:12], 3, v[19:20]
	v_mov_b32_e32 v13, s17
	v_add_co_u32_e32 v14, vcc, s16, v11
	v_addc_co_u32_e32 v13, vcc, v13, v12, vcc
	v_subrev_co_u32_e32 v15, vcc, s3, v19
	v_lshlrev_b64 v[11:12], 3, v[15:16]
	v_mov_b32_e32 v15, s11
	v_add_co_u32_e64 v11, s[0:1], s10, v11
	v_addc_co_u32_e64 v12, s[0:1], v15, v12, s[0:1]
	v_mov_b32_e32 v18, v16
	v_cndmask_b32_e32 v12, v12, v13, vcc
	v_cndmask_b32_e32 v11, v11, v14, vcc
	v_lshlrev_b64 v[13:14], 3, v[17:18]
	v_mov_b32_e32 v15, s17
	v_add_co_u32_e32 v18, vcc, s16, v13
	v_addc_co_u32_e32 v20, vcc, v15, v14, vcc
	v_subrev_co_u32_e32 v15, vcc, s3, v17
	v_lshlrev_b64 v[13:14], 3, v[15:16]
	v_mov_b32_e32 v15, s11
	v_add_co_u32_e64 v13, s[0:1], s10, v13
	v_addc_co_u32_e64 v14, s[0:1], v15, v14, s[0:1]
	v_add_u32_e32 v15, v17, v21
	v_lshlrev_b64 v[22:23], 3, v[15:16]
	v_cndmask_b32_e32 v14, v14, v20, vcc
	v_cndmask_b32_e32 v13, v13, v18, vcc
	v_mov_b32_e32 v18, s17
	v_add_co_u32_e32 v20, vcc, s16, v22
	v_addc_co_u32_e32 v18, vcc, v18, v23, vcc
	v_subrev_co_u32_e32 v15, vcc, s3, v15
	v_lshlrev_b64 v[15:16], 3, v[15:16]
	v_mov_b32_e32 v22, s11
	v_add_co_u32_e64 v15, s[0:1], s10, v15
	v_addc_co_u32_e64 v16, s[0:1], v22, v16, s[0:1]
	v_cndmask_b32_e32 v16, v16, v18, vcc
	v_cndmask_b32_e32 v15, v15, v20, vcc
	global_load_dwordx2 v[9:10], v[9:10], off
	s_add_i32 s15, s20, s3
	global_load_dwordx2 v[11:12], v[11:12], off
	s_nop 0
	global_load_dwordx2 v[13:14], v[13:14], off
	s_nop 0
	global_load_dwordx2 v[15:16], v[15:16], off
	s_cbranch_execz .LBB1555_14
	s_branch .LBB1555_21
.LBB1555_13:
                                        ; implicit-def: $vgpr9_vgpr10_vgpr11_vgpr12_vgpr13_vgpr14_vgpr15_vgpr16
                                        ; implicit-def: $sgpr15
.LBB1555_14:
	s_add_i32 s15, s20, s3
	s_waitcnt vmcnt(3)
	v_mov_b32_e32 v9, 0
	v_cmp_gt_u32_e32 vcc, s15, v0
	v_mov_b32_e32 v10, v9
	s_waitcnt vmcnt(2)
	v_mov_b32_e32 v11, v9
	v_mov_b32_e32 v12, v9
	s_waitcnt vmcnt(1)
	v_mov_b32_e32 v13, v9
	;; [unrolled: 3-line block ×3, first 2 shown]
	v_mov_b32_e32 v16, v9
	s_and_saveexec_b64 s[6:7], vcc
	s_cbranch_execnz .LBB1555_63
; %bb.15:
	s_or_b64 exec, exec, s[6:7]
	v_cmp_gt_u32_e32 vcc, s15, v19
	s_and_saveexec_b64 s[6:7], vcc
	s_cbranch_execnz .LBB1555_64
.LBB1555_16:
	s_or_b64 exec, exec, s[6:7]
	v_cmp_gt_u32_e32 vcc, s15, v17
	s_and_saveexec_b64 s[6:7], vcc
	s_cbranch_execz .LBB1555_18
.LBB1555_17:
	v_mov_b32_e32 v18, 0
	v_lshlrev_b64 v[13:14], 3, v[17:18]
	v_mov_b32_e32 v19, s17
	v_add_co_u32_e32 v20, vcc, s16, v13
	v_addc_co_u32_e32 v19, vcc, v19, v14, vcc
	v_subrev_co_u32_e32 v13, vcc, s3, v17
	v_mov_b32_e32 v14, v18
	v_lshlrev_b64 v[13:14], 3, v[13:14]
	v_mov_b32_e32 v18, s11
	v_add_co_u32_e64 v13, s[0:1], s10, v13
	v_addc_co_u32_e64 v14, s[0:1], v18, v14, s[0:1]
	v_cndmask_b32_e32 v14, v14, v19, vcc
	v_cndmask_b32_e32 v13, v13, v20, vcc
	global_load_dwordx2 v[13:14], v[13:14], off
.LBB1555_18:
	s_or_b64 exec, exec, s[6:7]
	v_add_u32_e32 v17, v17, v21
	v_cmp_gt_u32_e32 vcc, s15, v17
	s_and_saveexec_b64 s[6:7], vcc
	s_cbranch_execz .LBB1555_20
; %bb.19:
	v_mov_b32_e32 v18, 0
	v_lshlrev_b64 v[15:16], 3, v[17:18]
	v_mov_b32_e32 v19, s17
	v_add_co_u32_e32 v20, vcc, s16, v15
	v_addc_co_u32_e32 v19, vcc, v19, v16, vcc
	v_subrev_co_u32_e32 v17, vcc, s3, v17
	v_lshlrev_b64 v[15:16], 3, v[17:18]
	v_mov_b32_e32 v17, s11
	v_add_co_u32_e64 v15, s[0:1], s10, v15
	v_addc_co_u32_e64 v16, s[0:1], v17, v16, s[0:1]
	v_cndmask_b32_e32 v16, v16, v19, vcc
	v_cndmask_b32_e32 v15, v15, v20, vcc
	global_load_dwordx2 v[15:16], v[15:16], off
.LBB1555_20:
	s_or_b64 exec, exec, s[6:7]
.LBB1555_21:
	v_lshlrev_b32_e32 v26, 2, v0
	v_min_u32_e32 v17, s15, v26
	v_sub_u32_e64 v19, v17, s20 clamp
	v_min_u32_e32 v18, s3, v17
	v_cmp_lt_u32_e32 vcc, v19, v18
	s_waitcnt vmcnt(0) lgkmcnt(0)
	s_barrier
	s_and_saveexec_b64 s[0:1], vcc
	s_cbranch_execz .LBB1555_25
; %bb.22:
	v_lshlrev_b32_e32 v20, 3, v17
	v_lshl_add_u32 v20, s3, 3, v20
	s_mov_b64 s[6:7], 0
.LBB1555_23:                            ; =>This Inner Loop Header: Depth=1
	v_add_u32_e32 v21, v18, v19
	v_lshrrev_b32_e32 v27, 1, v21
	v_not_b32_e32 v23, v27
	v_lshlrev_b32_e32 v21, 3, v27
	ds_read_b64 v[21:22], v21
	v_lshl_add_u32 v23, v23, 3, v20
	ds_read_b64 v[23:24], v23
	v_add_u32_e32 v28, 1, v27
	s_waitcnt lgkmcnt(1)
	v_add_f64 v[21:22], v[21:22], 0
	s_waitcnt lgkmcnt(0)
	v_add_f64 v[23:24], v[23:24], 0
	v_ashrrev_i32_e32 v29, 31, v22
	v_or_b32_e32 v30, 0x80000000, v29
	v_xor_b32_e32 v21, v29, v21
	v_ashrrev_i32_e32 v29, 31, v24
	v_xor_b32_e32 v22, v30, v22
	v_or_b32_e32 v30, 0x80000000, v29
	v_xor_b32_e32 v23, v29, v23
	v_xor_b32_e32 v24, v30, v24
	v_cmp_gt_u64_e32 vcc, v[21:22], v[23:24]
	v_cndmask_b32_e32 v18, v18, v27, vcc
	v_cndmask_b32_e32 v19, v28, v19, vcc
	v_cmp_ge_u32_e32 vcc, v19, v18
	s_or_b64 s[6:7], vcc, s[6:7]
	s_andn2_b64 exec, exec, s[6:7]
	s_cbranch_execnz .LBB1555_23
; %bb.24:
	s_or_b64 exec, exec, s[6:7]
.LBB1555_25:
	s_or_b64 exec, exec, s[0:1]
	v_sub_u32_e32 v17, v17, v19
	v_add_u32_e32 v20, s3, v17
	v_cmp_ge_u32_e32 vcc, s3, v19
	v_cmp_ge_u32_e64 s[0:1], s15, v20
	s_or_b64 s[0:1], vcc, s[0:1]
	v_mov_b32_e32 v27, 0
	v_mov_b32_e32 v28, 0
	;; [unrolled: 1-line block ×4, first 2 shown]
	s_and_saveexec_b64 s[6:7], s[0:1]
	s_cbranch_execz .LBB1555_45
; %bb.26:
	v_cmp_le_u32_e32 vcc, s3, v19
	v_cmp_gt_u32_e64 s[0:1], s3, v19
                                        ; implicit-def: $vgpr1_vgpr2
	s_and_saveexec_b64 s[10:11], s[0:1]
; %bb.27:
	v_lshlrev_b32_e32 v1, 3, v19
	ds_read_b64 v[1:2], v1
; %bb.28:
	s_or_b64 exec, exec, s[10:11]
	v_cmp_le_u32_e64 s[10:11], s15, v20
	v_cmp_gt_u32_e64 s[0:1], s15, v20
                                        ; implicit-def: $vgpr7_vgpr8
	s_and_saveexec_b64 s[16:17], s[0:1]
; %bb.29:
	v_lshlrev_b32_e32 v3, 3, v20
	ds_read_b64 v[7:8], v3
; %bb.30:
	s_or_b64 exec, exec, s[16:17]
	s_nor_b64 s[16:17], vcc, s[10:11]
	s_and_saveexec_b64 s[0:1], s[16:17]
	s_cbranch_execz .LBB1555_32
; %bb.31:
	s_waitcnt lgkmcnt(0)
	v_add_f64 v[3:4], v[1:2], 0
	v_add_f64 v[5:6], v[7:8], 0
	s_andn2_b64 s[10:11], s[10:11], exec
	v_ashrrev_i32_e32 v17, 31, v4
	v_ashrrev_i32_e32 v18, 31, v6
	v_or_b32_e32 v21, 0x80000000, v17
	v_xor_b32_e32 v3, v17, v3
	v_or_b32_e32 v17, 0x80000000, v18
	v_xor_b32_e32 v4, v21, v4
	v_xor_b32_e32 v6, v17, v6
	;; [unrolled: 1-line block ×3, first 2 shown]
	v_cmp_le_u64_e32 vcc, v[3:4], v[5:6]
	s_and_b64 s[16:17], vcc, exec
	s_or_b64 s[10:11], s[10:11], s[16:17]
.LBB1555_32:
	s_or_b64 exec, exec, s[0:1]
	v_mov_b32_e32 v3, s15
	v_mov_b32_e32 v4, s3
	v_cndmask_b32_e64 v27, v20, v19, s[10:11]
	v_cndmask_b32_e64 v3, v3, v4, s[10:11]
	v_add_u32_e32 v22, 1, v27
	v_add_u32_e32 v3, -1, v3
	v_min_u32_e32 v3, v22, v3
	v_lshlrev_b32_e32 v3, 3, v3
	ds_read_b64 v[5:6], v3
	v_cndmask_b32_e64 v21, v22, v20, s[10:11]
	v_cndmask_b32_e64 v22, v19, v22, s[10:11]
	v_cmp_gt_u32_e32 vcc, s15, v21
	s_mov_b64 s[16:17], -1
	s_waitcnt lgkmcnt(0)
	v_cndmask_b32_e64 v4, v6, v8, s[10:11]
	v_cndmask_b32_e64 v3, v5, v7, s[10:11]
	;; [unrolled: 1-line block ×4, first 2 shown]
	s_mov_b64 s[0:1], -1
	s_and_saveexec_b64 s[18:19], vcc
	s_cbranch_execz .LBB1555_36
; %bb.33:
	v_cmp_gt_u32_e32 vcc, s3, v22
	s_mov_b64 s[20:21], 0
	s_and_saveexec_b64 s[0:1], vcc
	s_cbranch_execz .LBB1555_35
; %bb.34:
	v_add_f64 v[5:6], v[17:18], 0
	v_add_f64 v[19:20], v[3:4], 0
	v_ashrrev_i32_e32 v23, 31, v6
	v_ashrrev_i32_e32 v24, 31, v20
	v_or_b32_e32 v28, 0x80000000, v23
	v_xor_b32_e32 v5, v23, v5
	v_or_b32_e32 v23, 0x80000000, v24
	v_xor_b32_e32 v6, v28, v6
	v_xor_b32_e32 v20, v23, v20
	;; [unrolled: 1-line block ×3, first 2 shown]
	v_cmp_le_u64_e32 vcc, v[5:6], v[19:20]
	s_and_b64 s[20:21], vcc, exec
.LBB1555_35:
	s_or_b64 exec, exec, s[0:1]
	s_orn2_b64 s[0:1], s[20:21], exec
.LBB1555_36:
	s_or_b64 exec, exec, s[18:19]
	v_mov_b32_e32 v5, s15
	v_mov_b32_e32 v6, s3
	v_cndmask_b32_e64 v28, v21, v22, s[0:1]
	v_cndmask_b32_e64 v5, v5, v6, s[0:1]
	v_add_u32_e32 v23, 1, v28
	v_add_u32_e32 v5, -1, v5
	v_min_u32_e32 v5, v23, v5
	v_lshlrev_b32_e32 v5, 3, v5
	ds_read_b64 v[19:20], v5
	v_cndmask_b32_e64 v30, v23, v21, s[0:1]
	v_cndmask_b32_e64 v31, v22, v23, s[0:1]
	v_cmp_gt_u32_e32 vcc, s15, v30
	s_waitcnt lgkmcnt(0)
	v_cndmask_b32_e64 v6, v20, v4, s[0:1]
	v_cndmask_b32_e64 v5, v19, v3, s[0:1]
	v_cndmask_b32_e64 v20, v18, v20, s[0:1]
	v_cndmask_b32_e64 v19, v17, v19, s[0:1]
	s_and_saveexec_b64 s[18:19], vcc
	s_cbranch_execz .LBB1555_40
; %bb.37:
	v_cmp_gt_u32_e32 vcc, s3, v31
	s_mov_b64 s[20:21], 0
	s_and_saveexec_b64 s[16:17], vcc
	s_cbranch_execz .LBB1555_39
; %bb.38:
	v_add_f64 v[21:22], v[19:20], 0
	v_add_f64 v[23:24], v[5:6], 0
	v_ashrrev_i32_e32 v29, 31, v22
	v_ashrrev_i32_e32 v32, 31, v24
	v_or_b32_e32 v33, 0x80000000, v29
	v_xor_b32_e32 v21, v29, v21
	v_or_b32_e32 v29, 0x80000000, v32
	v_xor_b32_e32 v22, v33, v22
	v_xor_b32_e32 v24, v29, v24
	;; [unrolled: 1-line block ×3, first 2 shown]
	v_cmp_le_u64_e32 vcc, v[21:22], v[23:24]
	s_and_b64 s[20:21], vcc, exec
.LBB1555_39:
	s_or_b64 exec, exec, s[16:17]
	s_orn2_b64 s[16:17], s[20:21], exec
.LBB1555_40:
	s_or_b64 exec, exec, s[18:19]
	v_mov_b32_e32 v21, s15
	v_mov_b32_e32 v22, s3
	v_cndmask_b32_e64 v29, v30, v31, s[16:17]
	v_cndmask_b32_e64 v21, v21, v22, s[16:17]
	v_add_u32_e32 v32, 1, v29
	v_add_u32_e32 v21, -1, v21
	v_min_u32_e32 v21, v32, v21
	v_lshlrev_b32_e32 v21, 3, v21
	ds_read_b64 v[23:24], v21
	v_cndmask_b32_e64 v30, v32, v30, s[16:17]
	v_cndmask_b32_e64 v31, v31, v32, s[16:17]
	v_cmp_gt_u32_e32 vcc, s15, v30
	s_mov_b64 s[20:21], -1
	s_waitcnt lgkmcnt(0)
	v_cndmask_b32_e64 v22, v24, v6, s[16:17]
	v_cndmask_b32_e64 v21, v23, v5, s[16:17]
	;; [unrolled: 1-line block ×4, first 2 shown]
	s_and_saveexec_b64 s[18:19], vcc
	s_cbranch_execz .LBB1555_44
; %bb.41:
	v_cmp_gt_u32_e32 vcc, s3, v31
	s_mov_b64 s[22:23], 0
	s_and_saveexec_b64 s[20:21], vcc
	s_cbranch_execz .LBB1555_43
; %bb.42:
	v_add_f64 v[32:33], v[23:24], 0
	v_add_f64 v[34:35], v[21:22], 0
	v_ashrrev_i32_e32 v36, 31, v33
	v_ashrrev_i32_e32 v37, 31, v35
	v_or_b32_e32 v38, 0x80000000, v36
	v_xor_b32_e32 v32, v36, v32
	v_or_b32_e32 v36, 0x80000000, v37
	v_xor_b32_e32 v33, v38, v33
	v_xor_b32_e32 v35, v36, v35
	;; [unrolled: 1-line block ×3, first 2 shown]
	v_cmp_le_u64_e32 vcc, v[32:33], v[34:35]
	s_and_b64 s[22:23], vcc, exec
.LBB1555_43:
	s_or_b64 exec, exec, s[20:21]
	s_orn2_b64 s[20:21], s[22:23], exec
.LBB1555_44:
	s_or_b64 exec, exec, s[18:19]
	v_cndmask_b32_e64 v6, v6, v20, s[16:17]
	v_cndmask_b32_e64 v5, v5, v19, s[16:17]
	;; [unrolled: 1-line block ×9, first 2 shown]
.LBB1555_45:
	s_or_b64 exec, exec, s[6:7]
	s_barrier
	ds_write2st64_b64 v25, v[9:10], v[11:12] offset1:4
	ds_write2st64_b64 v25, v[13:14], v[15:16] offset0:8 offset1:12
	v_lshlrev_b32_e32 v12, 3, v17
	v_and_b32_e32 v17, 0xf8, v0
	v_lshlrev_b32_e32 v9, 3, v27
	v_lshlrev_b32_e32 v10, 3, v28
	v_lshlrev_b32_e32 v11, 3, v29
	v_lshl_add_u32 v18, v26, 3, v17
	s_waitcnt lgkmcnt(0)
	s_barrier
	ds_read_b64 v[13:14], v9
	ds_read_b64 v[15:16], v10
	;; [unrolled: 1-line block ×4, first 2 shown]
	s_waitcnt lgkmcnt(0)
	s_barrier
	s_barrier
	ds_write2_b64 v18, v[1:2], v[3:4] offset1:1
	ds_write2_b64 v18, v[5:6], v[7:8] offset0:2 offset1:3
	v_lshrrev_b32_e32 v1, 2, v0
	v_and_b32_e32 v1, 56, v1
	v_or_b32_e32 v24, 0x100, v0
	v_add_u32_e32 v17, v1, v25
	v_lshrrev_b32_e32 v1, 2, v24
	v_and_b32_e32 v1, 0x78, v1
	v_or_b32_e32 v23, 0x200, v0
	s_mov_b32 s3, 0
	v_add_u32_e32 v19, v1, v25
	v_lshrrev_b32_e32 v1, 2, v23
	s_lshl_b64 s[6:7], s[2:3], 3
	v_and_b32_e32 v1, 0xb8, v1
	v_or_b32_e32 v22, 0x300, v0
	s_add_u32 s0, s8, s6
	v_add_u32_e32 v20, v1, v25
	v_lshrrev_b32_e32 v1, 2, v22
	s_addc_u32 s1, s9, s7
	v_and_b32_e32 v1, 0xf8, v1
	v_add_u32_e32 v21, v1, v25
	v_mov_b32_e32 v2, s1
	v_add_co_u32_e32 v1, vcc, s0, v25
	v_addc_co_u32_e32 v2, vcc, 0, v2, vcc
	s_and_b64 vcc, exec, s[4:5]
	s_waitcnt lgkmcnt(0)
	s_cbranch_vccz .LBB1555_47
; %bb.46:
	s_barrier
	ds_read_b64 v[3:4], v17
	ds_read_b64 v[5:6], v19 offset:2048
	ds_read_b64 v[7:8], v20 offset:4096
	;; [unrolled: 1-line block ×3, first 2 shown]
	s_waitcnt lgkmcnt(3)
	global_store_dwordx2 v[1:2], v[3:4], off
	s_waitcnt lgkmcnt(2)
	global_store_dwordx2 v[1:2], v[5:6], off offset:2048
	v_add_co_u32_e32 v3, vcc, 0x1000, v1
	v_addc_co_u32_e32 v4, vcc, 0, v2, vcc
	s_add_u32 s0, s12, s6
	s_waitcnt lgkmcnt(1)
	global_store_dwordx2 v[3:4], v[7:8], off
	s_waitcnt lgkmcnt(0)
	global_store_dwordx2 v[3:4], v[26:27], off offset:2048
	s_waitcnt vmcnt(0)
	s_barrier
	s_addc_u32 s1, s13, s7
	ds_write2_b64 v18, v[13:14], v[15:16] offset1:1
	ds_write2_b64 v18, v[9:10], v[11:12] offset0:2 offset1:3
	s_waitcnt lgkmcnt(0)
	s_barrier
	ds_read_b64 v[5:6], v17
	ds_read_b64 v[7:8], v19 offset:2048
	ds_read_b64 v[26:27], v20 offset:4096
	;; [unrolled: 1-line block ×3, first 2 shown]
	v_mov_b32_e32 v28, s1
	v_add_co_u32_e32 v29, vcc, s0, v25
	v_addc_co_u32_e32 v28, vcc, 0, v28, vcc
	s_waitcnt lgkmcnt(3)
	global_store_dwordx2 v25, v[5:6], s[0:1]
	s_waitcnt lgkmcnt(2)
	global_store_dwordx2 v25, v[7:8], s[0:1] offset:2048
	v_add_co_u32_e32 v5, vcc, 0x1000, v29
	v_addc_co_u32_e32 v6, vcc, 0, v28, vcc
	s_waitcnt lgkmcnt(1)
	global_store_dwordx2 v[5:6], v[26:27], off
	s_mov_b64 s[8:9], -1
	s_cbranch_execz .LBB1555_48
	s_branch .LBB1555_58
.LBB1555_47:
	s_mov_b64 s[8:9], 0
                                        ; implicit-def: $vgpr3_vgpr4
.LBB1555_48:
	s_waitcnt vmcnt(0) lgkmcnt(0)
	s_barrier
	ds_read_b64 v[7:8], v19 offset:2048
	ds_read_b64 v[5:6], v20 offset:4096
	;; [unrolled: 1-line block ×3, first 2 shown]
	s_sub_i32 s10, s14, s2
	v_cmp_gt_u32_e64 s[0:1], s10, v0
	s_and_saveexec_b64 s[2:3], s[0:1]
	s_cbranch_execnz .LBB1555_65
; %bb.49:
	s_or_b64 exec, exec, s[2:3]
	v_cmp_gt_u32_e64 s[2:3], s10, v24
	s_and_saveexec_b64 s[4:5], s[2:3]
	s_cbranch_execnz .LBB1555_66
.LBB1555_50:
	s_or_b64 exec, exec, s[4:5]
	v_cmp_gt_u32_e64 s[4:5], s10, v23
	s_and_saveexec_b64 s[8:9], s[4:5]
	s_cbranch_execnz .LBB1555_67
.LBB1555_51:
	s_or_b64 exec, exec, s[8:9]
	v_cmp_gt_u32_e64 s[8:9], s10, v22
	s_and_saveexec_b64 s[10:11], s[8:9]
	s_cbranch_execz .LBB1555_53
.LBB1555_52:
	v_add_co_u32_e32 v0, vcc, 0x1000, v1
	v_addc_co_u32_e32 v1, vcc, 0, v2, vcc
	s_waitcnt lgkmcnt(0)
	global_store_dwordx2 v[0:1], v[3:4], off offset:2048
.LBB1555_53:
	s_or_b64 exec, exec, s[10:11]
	s_waitcnt vmcnt(0) lgkmcnt(0)
	s_barrier
	ds_write2_b64 v18, v[13:14], v[15:16] offset1:1
	ds_write2_b64 v18, v[9:10], v[11:12] offset0:2 offset1:3
	s_waitcnt lgkmcnt(0)
	s_barrier
	ds_read_b64 v[7:8], v19 offset:2048
	ds_read_b64 v[0:1], v20 offset:4096
	;; [unrolled: 1-line block ×3, first 2 shown]
	s_add_u32 s10, s12, s6
	s_addc_u32 s11, s13, s7
	v_mov_b32_e32 v2, s11
	v_add_co_u32_e32 v5, vcc, s10, v25
	v_addc_co_u32_e32 v6, vcc, 0, v2, vcc
	s_and_saveexec_b64 s[10:11], s[0:1]
	s_cbranch_execnz .LBB1555_68
; %bb.54:
	s_or_b64 exec, exec, s[10:11]
	s_and_saveexec_b64 s[0:1], s[2:3]
	s_cbranch_execnz .LBB1555_69
.LBB1555_55:
	s_or_b64 exec, exec, s[0:1]
	s_and_saveexec_b64 s[0:1], s[4:5]
	s_cbranch_execz .LBB1555_57
.LBB1555_56:
	v_add_co_u32_e32 v5, vcc, 0x1000, v5
	v_addc_co_u32_e32 v6, vcc, 0, v6, vcc
	s_waitcnt lgkmcnt(1)
	global_store_dwordx2 v[5:6], v[0:1], off
.LBB1555_57:
	s_or_b64 exec, exec, s[0:1]
.LBB1555_58:
	s_and_saveexec_b64 s[0:1], s[8:9]
	s_cbranch_execz .LBB1555_60
; %bb.59:
	s_add_u32 s0, s12, s6
	s_addc_u32 s1, s13, s7
	s_waitcnt lgkmcnt(1)
	v_mov_b32_e32 v0, s1
	v_add_co_u32_e32 v1, vcc, s0, v25
	v_addc_co_u32_e32 v2, vcc, 0, v0, vcc
	v_add_co_u32_e32 v0, vcc, 0x1000, v1
	v_addc_co_u32_e32 v1, vcc, 0, v2, vcc
	s_waitcnt lgkmcnt(0)
	global_store_dwordx2 v[0:1], v[3:4], off offset:2048
.LBB1555_60:
	s_endpgm
.LBB1555_61:
	v_mov_b32_e32 v2, s26
	v_add_co_u32_e32 v4, vcc, s25, v25
	v_addc_co_u32_e32 v5, vcc, 0, v2, vcc
	v_subrev_co_u32_e32 v2, vcc, s3, v0
	v_mov_b32_e32 v3, v1
	v_lshlrev_b64 v[2:3], 3, v[2:3]
	v_mov_b32_e32 v6, s21
	v_add_co_u32_e64 v2, s[0:1], s15, v2
	v_addc_co_u32_e64 v3, s[0:1], v6, v3, s[0:1]
	v_cndmask_b32_e32 v3, v3, v5, vcc
	v_cndmask_b32_e32 v2, v2, v4, vcc
	global_load_dwordx2 v[2:3], v[2:3], off
	v_mov_b32_e32 v4, v1
	v_mov_b32_e32 v5, v1
	;; [unrolled: 1-line block ×6, first 2 shown]
	s_waitcnt vmcnt(0)
	v_mov_b32_e32 v1, v2
	v_mov_b32_e32 v2, v3
	;; [unrolled: 1-line block ×8, first 2 shown]
	s_or_b64 exec, exec, s[6:7]
	v_cmp_gt_u32_e32 vcc, s22, v19
	s_and_saveexec_b64 s[6:7], vcc
	s_cbranch_execz .LBB1555_6
.LBB1555_62:
	v_mov_b32_e32 v20, 0
	v_lshlrev_b64 v[3:4], 3, v[19:20]
	v_mov_b32_e32 v9, s26
	v_add_co_u32_e32 v10, vcc, s25, v3
	v_addc_co_u32_e32 v9, vcc, v9, v4, vcc
	v_subrev_co_u32_e32 v3, vcc, s3, v19
	v_mov_b32_e32 v4, v20
	v_lshlrev_b64 v[3:4], 3, v[3:4]
	v_mov_b32_e32 v11, s21
	v_add_co_u32_e64 v3, s[0:1], s15, v3
	v_addc_co_u32_e64 v4, s[0:1], v11, v4, s[0:1]
	v_cndmask_b32_e32 v4, v4, v9, vcc
	v_cndmask_b32_e32 v3, v3, v10, vcc
	global_load_dwordx2 v[3:4], v[3:4], off
	s_or_b64 exec, exec, s[6:7]
	v_cmp_gt_u32_e32 vcc, s22, v17
	s_and_saveexec_b64 s[6:7], vcc
	s_cbranch_execnz .LBB1555_7
	s_branch .LBB1555_8
.LBB1555_63:
	v_mov_b32_e32 v10, s17
	v_add_co_u32_e32 v12, vcc, s16, v25
	v_addc_co_u32_e32 v13, vcc, 0, v10, vcc
	v_subrev_co_u32_e32 v10, vcc, s3, v0
	v_mov_b32_e32 v11, v9
	v_lshlrev_b64 v[10:11], 3, v[10:11]
	v_mov_b32_e32 v14, s11
	v_add_co_u32_e64 v10, s[0:1], s10, v10
	v_addc_co_u32_e64 v11, s[0:1], v14, v11, s[0:1]
	v_cndmask_b32_e32 v11, v11, v13, vcc
	v_cndmask_b32_e32 v10, v10, v12, vcc
	global_load_dwordx2 v[26:27], v[10:11], off
	v_mov_b32_e32 v28, v9
	v_mov_b32_e32 v29, v9
	;; [unrolled: 1-line block ×6, first 2 shown]
	s_waitcnt vmcnt(0)
	v_mov_b32_e32 v9, v26
	v_mov_b32_e32 v10, v27
	;; [unrolled: 1-line block ×8, first 2 shown]
	s_or_b64 exec, exec, s[6:7]
	v_cmp_gt_u32_e32 vcc, s15, v19
	s_and_saveexec_b64 s[6:7], vcc
	s_cbranch_execz .LBB1555_16
.LBB1555_64:
	v_mov_b32_e32 v20, 0
	v_lshlrev_b64 v[11:12], 3, v[19:20]
	v_mov_b32_e32 v18, s17
	v_add_co_u32_e32 v22, vcc, s16, v11
	v_addc_co_u32_e32 v18, vcc, v18, v12, vcc
	v_subrev_co_u32_e32 v19, vcc, s3, v19
	v_lshlrev_b64 v[11:12], 3, v[19:20]
	v_mov_b32_e32 v19, s11
	v_add_co_u32_e64 v11, s[0:1], s10, v11
	v_addc_co_u32_e64 v12, s[0:1], v19, v12, s[0:1]
	v_cndmask_b32_e32 v12, v12, v18, vcc
	v_cndmask_b32_e32 v11, v11, v22, vcc
	global_load_dwordx2 v[11:12], v[11:12], off
	s_or_b64 exec, exec, s[6:7]
	v_cmp_gt_u32_e32 vcc, s15, v17
	s_and_saveexec_b64 s[6:7], vcc
	s_cbranch_execnz .LBB1555_17
	s_branch .LBB1555_18
.LBB1555_65:
	ds_read_b64 v[26:27], v17
	s_waitcnt lgkmcnt(0)
	global_store_dwordx2 v[1:2], v[26:27], off
	s_or_b64 exec, exec, s[2:3]
	v_cmp_gt_u32_e64 s[2:3], s10, v24
	s_and_saveexec_b64 s[4:5], s[2:3]
	s_cbranch_execz .LBB1555_50
.LBB1555_66:
	s_waitcnt lgkmcnt(2)
	global_store_dwordx2 v[1:2], v[7:8], off offset:2048
	s_or_b64 exec, exec, s[4:5]
	v_cmp_gt_u32_e64 s[4:5], s10, v23
	s_and_saveexec_b64 s[8:9], s[4:5]
	s_cbranch_execz .LBB1555_51
.LBB1555_67:
	s_waitcnt lgkmcnt(2)
	v_add_co_u32_e32 v7, vcc, 0x1000, v1
	v_addc_co_u32_e32 v8, vcc, 0, v2, vcc
	s_waitcnt lgkmcnt(1)
	global_store_dwordx2 v[7:8], v[5:6], off
	s_or_b64 exec, exec, s[8:9]
	v_cmp_gt_u32_e64 s[8:9], s10, v22
	s_and_saveexec_b64 s[10:11], s[8:9]
	s_cbranch_execnz .LBB1555_52
	s_branch .LBB1555_53
.LBB1555_68:
	ds_read_b64 v[9:10], v17
	s_waitcnt lgkmcnt(0)
	global_store_dwordx2 v[5:6], v[9:10], off
	s_or_b64 exec, exec, s[10:11]
	s_and_saveexec_b64 s[0:1], s[2:3]
	s_cbranch_execz .LBB1555_55
.LBB1555_69:
	s_waitcnt lgkmcnt(2)
	global_store_dwordx2 v[5:6], v[7:8], off offset:2048
	s_or_b64 exec, exec, s[0:1]
	s_and_saveexec_b64 s[0:1], s[4:5]
	s_cbranch_execnz .LBB1555_56
	s_branch .LBB1555_57
	.section	.rodata,"a",@progbits
	.p2align	6, 0x0
	.amdhsa_kernel _ZN7rocprim17ROCPRIM_400000_NS6detail17trampoline_kernelINS0_14default_configENS1_38merge_sort_block_merge_config_selectorIdlEEZZNS1_27merge_sort_block_merge_implIS3_PdN6thrust23THRUST_200600_302600_NS10device_ptrIlEEjNS1_19radix_merge_compareILb0ELb0EdNS0_19identity_decomposerEEEEE10hipError_tT0_T1_T2_jT3_P12ihipStream_tbPNSt15iterator_traitsISG_E10value_typeEPNSM_ISH_E10value_typeEPSI_NS1_7vsmem_tEENKUlT_SG_SH_SI_E_clIS7_S7_PlSB_EESF_SV_SG_SH_SI_EUlSV_E0_NS1_11comp_targetILNS1_3genE2ELNS1_11target_archE906ELNS1_3gpuE6ELNS1_3repE0EEENS1_38merge_mergepath_config_static_selectorELNS0_4arch9wavefront6targetE1EEEvSH_
		.amdhsa_group_segment_fixed_size 8448
		.amdhsa_private_segment_fixed_size 0
		.amdhsa_kernarg_size 320
		.amdhsa_user_sgpr_count 6
		.amdhsa_user_sgpr_private_segment_buffer 1
		.amdhsa_user_sgpr_dispatch_ptr 0
		.amdhsa_user_sgpr_queue_ptr 0
		.amdhsa_user_sgpr_kernarg_segment_ptr 1
		.amdhsa_user_sgpr_dispatch_id 0
		.amdhsa_user_sgpr_flat_scratch_init 0
		.amdhsa_user_sgpr_private_segment_size 0
		.amdhsa_uses_dynamic_stack 0
		.amdhsa_system_sgpr_private_segment_wavefront_offset 0
		.amdhsa_system_sgpr_workgroup_id_x 1
		.amdhsa_system_sgpr_workgroup_id_y 1
		.amdhsa_system_sgpr_workgroup_id_z 1
		.amdhsa_system_sgpr_workgroup_info 0
		.amdhsa_system_vgpr_workitem_id 0
		.amdhsa_next_free_vgpr 39
		.amdhsa_next_free_sgpr 77
		.amdhsa_reserve_vcc 1
		.amdhsa_reserve_flat_scratch 0
		.amdhsa_float_round_mode_32 0
		.amdhsa_float_round_mode_16_64 0
		.amdhsa_float_denorm_mode_32 3
		.amdhsa_float_denorm_mode_16_64 3
		.amdhsa_dx10_clamp 1
		.amdhsa_ieee_mode 1
		.amdhsa_fp16_overflow 0
		.amdhsa_exception_fp_ieee_invalid_op 0
		.amdhsa_exception_fp_denorm_src 0
		.amdhsa_exception_fp_ieee_div_zero 0
		.amdhsa_exception_fp_ieee_overflow 0
		.amdhsa_exception_fp_ieee_underflow 0
		.amdhsa_exception_fp_ieee_inexact 0
		.amdhsa_exception_int_div_zero 0
	.end_amdhsa_kernel
	.section	.text._ZN7rocprim17ROCPRIM_400000_NS6detail17trampoline_kernelINS0_14default_configENS1_38merge_sort_block_merge_config_selectorIdlEEZZNS1_27merge_sort_block_merge_implIS3_PdN6thrust23THRUST_200600_302600_NS10device_ptrIlEEjNS1_19radix_merge_compareILb0ELb0EdNS0_19identity_decomposerEEEEE10hipError_tT0_T1_T2_jT3_P12ihipStream_tbPNSt15iterator_traitsISG_E10value_typeEPNSM_ISH_E10value_typeEPSI_NS1_7vsmem_tEENKUlT_SG_SH_SI_E_clIS7_S7_PlSB_EESF_SV_SG_SH_SI_EUlSV_E0_NS1_11comp_targetILNS1_3genE2ELNS1_11target_archE906ELNS1_3gpuE6ELNS1_3repE0EEENS1_38merge_mergepath_config_static_selectorELNS0_4arch9wavefront6targetE1EEEvSH_,"axG",@progbits,_ZN7rocprim17ROCPRIM_400000_NS6detail17trampoline_kernelINS0_14default_configENS1_38merge_sort_block_merge_config_selectorIdlEEZZNS1_27merge_sort_block_merge_implIS3_PdN6thrust23THRUST_200600_302600_NS10device_ptrIlEEjNS1_19radix_merge_compareILb0ELb0EdNS0_19identity_decomposerEEEEE10hipError_tT0_T1_T2_jT3_P12ihipStream_tbPNSt15iterator_traitsISG_E10value_typeEPNSM_ISH_E10value_typeEPSI_NS1_7vsmem_tEENKUlT_SG_SH_SI_E_clIS7_S7_PlSB_EESF_SV_SG_SH_SI_EUlSV_E0_NS1_11comp_targetILNS1_3genE2ELNS1_11target_archE906ELNS1_3gpuE6ELNS1_3repE0EEENS1_38merge_mergepath_config_static_selectorELNS0_4arch9wavefront6targetE1EEEvSH_,comdat
.Lfunc_end1555:
	.size	_ZN7rocprim17ROCPRIM_400000_NS6detail17trampoline_kernelINS0_14default_configENS1_38merge_sort_block_merge_config_selectorIdlEEZZNS1_27merge_sort_block_merge_implIS3_PdN6thrust23THRUST_200600_302600_NS10device_ptrIlEEjNS1_19radix_merge_compareILb0ELb0EdNS0_19identity_decomposerEEEEE10hipError_tT0_T1_T2_jT3_P12ihipStream_tbPNSt15iterator_traitsISG_E10value_typeEPNSM_ISH_E10value_typeEPSI_NS1_7vsmem_tEENKUlT_SG_SH_SI_E_clIS7_S7_PlSB_EESF_SV_SG_SH_SI_EUlSV_E0_NS1_11comp_targetILNS1_3genE2ELNS1_11target_archE906ELNS1_3gpuE6ELNS1_3repE0EEENS1_38merge_mergepath_config_static_selectorELNS0_4arch9wavefront6targetE1EEEvSH_, .Lfunc_end1555-_ZN7rocprim17ROCPRIM_400000_NS6detail17trampoline_kernelINS0_14default_configENS1_38merge_sort_block_merge_config_selectorIdlEEZZNS1_27merge_sort_block_merge_implIS3_PdN6thrust23THRUST_200600_302600_NS10device_ptrIlEEjNS1_19radix_merge_compareILb0ELb0EdNS0_19identity_decomposerEEEEE10hipError_tT0_T1_T2_jT3_P12ihipStream_tbPNSt15iterator_traitsISG_E10value_typeEPNSM_ISH_E10value_typeEPSI_NS1_7vsmem_tEENKUlT_SG_SH_SI_E_clIS7_S7_PlSB_EESF_SV_SG_SH_SI_EUlSV_E0_NS1_11comp_targetILNS1_3genE2ELNS1_11target_archE906ELNS1_3gpuE6ELNS1_3repE0EEENS1_38merge_mergepath_config_static_selectorELNS0_4arch9wavefront6targetE1EEEvSH_
                                        ; -- End function
	.set _ZN7rocprim17ROCPRIM_400000_NS6detail17trampoline_kernelINS0_14default_configENS1_38merge_sort_block_merge_config_selectorIdlEEZZNS1_27merge_sort_block_merge_implIS3_PdN6thrust23THRUST_200600_302600_NS10device_ptrIlEEjNS1_19radix_merge_compareILb0ELb0EdNS0_19identity_decomposerEEEEE10hipError_tT0_T1_T2_jT3_P12ihipStream_tbPNSt15iterator_traitsISG_E10value_typeEPNSM_ISH_E10value_typeEPSI_NS1_7vsmem_tEENKUlT_SG_SH_SI_E_clIS7_S7_PlSB_EESF_SV_SG_SH_SI_EUlSV_E0_NS1_11comp_targetILNS1_3genE2ELNS1_11target_archE906ELNS1_3gpuE6ELNS1_3repE0EEENS1_38merge_mergepath_config_static_selectorELNS0_4arch9wavefront6targetE1EEEvSH_.num_vgpr, 39
	.set _ZN7rocprim17ROCPRIM_400000_NS6detail17trampoline_kernelINS0_14default_configENS1_38merge_sort_block_merge_config_selectorIdlEEZZNS1_27merge_sort_block_merge_implIS3_PdN6thrust23THRUST_200600_302600_NS10device_ptrIlEEjNS1_19radix_merge_compareILb0ELb0EdNS0_19identity_decomposerEEEEE10hipError_tT0_T1_T2_jT3_P12ihipStream_tbPNSt15iterator_traitsISG_E10value_typeEPNSM_ISH_E10value_typeEPSI_NS1_7vsmem_tEENKUlT_SG_SH_SI_E_clIS7_S7_PlSB_EESF_SV_SG_SH_SI_EUlSV_E0_NS1_11comp_targetILNS1_3genE2ELNS1_11target_archE906ELNS1_3gpuE6ELNS1_3repE0EEENS1_38merge_mergepath_config_static_selectorELNS0_4arch9wavefront6targetE1EEEvSH_.num_agpr, 0
	.set _ZN7rocprim17ROCPRIM_400000_NS6detail17trampoline_kernelINS0_14default_configENS1_38merge_sort_block_merge_config_selectorIdlEEZZNS1_27merge_sort_block_merge_implIS3_PdN6thrust23THRUST_200600_302600_NS10device_ptrIlEEjNS1_19radix_merge_compareILb0ELb0EdNS0_19identity_decomposerEEEEE10hipError_tT0_T1_T2_jT3_P12ihipStream_tbPNSt15iterator_traitsISG_E10value_typeEPNSM_ISH_E10value_typeEPSI_NS1_7vsmem_tEENKUlT_SG_SH_SI_E_clIS7_S7_PlSB_EESF_SV_SG_SH_SI_EUlSV_E0_NS1_11comp_targetILNS1_3genE2ELNS1_11target_archE906ELNS1_3gpuE6ELNS1_3repE0EEENS1_38merge_mergepath_config_static_selectorELNS0_4arch9wavefront6targetE1EEEvSH_.numbered_sgpr, 31
	.set _ZN7rocprim17ROCPRIM_400000_NS6detail17trampoline_kernelINS0_14default_configENS1_38merge_sort_block_merge_config_selectorIdlEEZZNS1_27merge_sort_block_merge_implIS3_PdN6thrust23THRUST_200600_302600_NS10device_ptrIlEEjNS1_19radix_merge_compareILb0ELb0EdNS0_19identity_decomposerEEEEE10hipError_tT0_T1_T2_jT3_P12ihipStream_tbPNSt15iterator_traitsISG_E10value_typeEPNSM_ISH_E10value_typeEPSI_NS1_7vsmem_tEENKUlT_SG_SH_SI_E_clIS7_S7_PlSB_EESF_SV_SG_SH_SI_EUlSV_E0_NS1_11comp_targetILNS1_3genE2ELNS1_11target_archE906ELNS1_3gpuE6ELNS1_3repE0EEENS1_38merge_mergepath_config_static_selectorELNS0_4arch9wavefront6targetE1EEEvSH_.num_named_barrier, 0
	.set _ZN7rocprim17ROCPRIM_400000_NS6detail17trampoline_kernelINS0_14default_configENS1_38merge_sort_block_merge_config_selectorIdlEEZZNS1_27merge_sort_block_merge_implIS3_PdN6thrust23THRUST_200600_302600_NS10device_ptrIlEEjNS1_19radix_merge_compareILb0ELb0EdNS0_19identity_decomposerEEEEE10hipError_tT0_T1_T2_jT3_P12ihipStream_tbPNSt15iterator_traitsISG_E10value_typeEPNSM_ISH_E10value_typeEPSI_NS1_7vsmem_tEENKUlT_SG_SH_SI_E_clIS7_S7_PlSB_EESF_SV_SG_SH_SI_EUlSV_E0_NS1_11comp_targetILNS1_3genE2ELNS1_11target_archE906ELNS1_3gpuE6ELNS1_3repE0EEENS1_38merge_mergepath_config_static_selectorELNS0_4arch9wavefront6targetE1EEEvSH_.private_seg_size, 0
	.set _ZN7rocprim17ROCPRIM_400000_NS6detail17trampoline_kernelINS0_14default_configENS1_38merge_sort_block_merge_config_selectorIdlEEZZNS1_27merge_sort_block_merge_implIS3_PdN6thrust23THRUST_200600_302600_NS10device_ptrIlEEjNS1_19radix_merge_compareILb0ELb0EdNS0_19identity_decomposerEEEEE10hipError_tT0_T1_T2_jT3_P12ihipStream_tbPNSt15iterator_traitsISG_E10value_typeEPNSM_ISH_E10value_typeEPSI_NS1_7vsmem_tEENKUlT_SG_SH_SI_E_clIS7_S7_PlSB_EESF_SV_SG_SH_SI_EUlSV_E0_NS1_11comp_targetILNS1_3genE2ELNS1_11target_archE906ELNS1_3gpuE6ELNS1_3repE0EEENS1_38merge_mergepath_config_static_selectorELNS0_4arch9wavefront6targetE1EEEvSH_.uses_vcc, 1
	.set _ZN7rocprim17ROCPRIM_400000_NS6detail17trampoline_kernelINS0_14default_configENS1_38merge_sort_block_merge_config_selectorIdlEEZZNS1_27merge_sort_block_merge_implIS3_PdN6thrust23THRUST_200600_302600_NS10device_ptrIlEEjNS1_19radix_merge_compareILb0ELb0EdNS0_19identity_decomposerEEEEE10hipError_tT0_T1_T2_jT3_P12ihipStream_tbPNSt15iterator_traitsISG_E10value_typeEPNSM_ISH_E10value_typeEPSI_NS1_7vsmem_tEENKUlT_SG_SH_SI_E_clIS7_S7_PlSB_EESF_SV_SG_SH_SI_EUlSV_E0_NS1_11comp_targetILNS1_3genE2ELNS1_11target_archE906ELNS1_3gpuE6ELNS1_3repE0EEENS1_38merge_mergepath_config_static_selectorELNS0_4arch9wavefront6targetE1EEEvSH_.uses_flat_scratch, 0
	.set _ZN7rocprim17ROCPRIM_400000_NS6detail17trampoline_kernelINS0_14default_configENS1_38merge_sort_block_merge_config_selectorIdlEEZZNS1_27merge_sort_block_merge_implIS3_PdN6thrust23THRUST_200600_302600_NS10device_ptrIlEEjNS1_19radix_merge_compareILb0ELb0EdNS0_19identity_decomposerEEEEE10hipError_tT0_T1_T2_jT3_P12ihipStream_tbPNSt15iterator_traitsISG_E10value_typeEPNSM_ISH_E10value_typeEPSI_NS1_7vsmem_tEENKUlT_SG_SH_SI_E_clIS7_S7_PlSB_EESF_SV_SG_SH_SI_EUlSV_E0_NS1_11comp_targetILNS1_3genE2ELNS1_11target_archE906ELNS1_3gpuE6ELNS1_3repE0EEENS1_38merge_mergepath_config_static_selectorELNS0_4arch9wavefront6targetE1EEEvSH_.has_dyn_sized_stack, 0
	.set _ZN7rocprim17ROCPRIM_400000_NS6detail17trampoline_kernelINS0_14default_configENS1_38merge_sort_block_merge_config_selectorIdlEEZZNS1_27merge_sort_block_merge_implIS3_PdN6thrust23THRUST_200600_302600_NS10device_ptrIlEEjNS1_19radix_merge_compareILb0ELb0EdNS0_19identity_decomposerEEEEE10hipError_tT0_T1_T2_jT3_P12ihipStream_tbPNSt15iterator_traitsISG_E10value_typeEPNSM_ISH_E10value_typeEPSI_NS1_7vsmem_tEENKUlT_SG_SH_SI_E_clIS7_S7_PlSB_EESF_SV_SG_SH_SI_EUlSV_E0_NS1_11comp_targetILNS1_3genE2ELNS1_11target_archE906ELNS1_3gpuE6ELNS1_3repE0EEENS1_38merge_mergepath_config_static_selectorELNS0_4arch9wavefront6targetE1EEEvSH_.has_recursion, 0
	.set _ZN7rocprim17ROCPRIM_400000_NS6detail17trampoline_kernelINS0_14default_configENS1_38merge_sort_block_merge_config_selectorIdlEEZZNS1_27merge_sort_block_merge_implIS3_PdN6thrust23THRUST_200600_302600_NS10device_ptrIlEEjNS1_19radix_merge_compareILb0ELb0EdNS0_19identity_decomposerEEEEE10hipError_tT0_T1_T2_jT3_P12ihipStream_tbPNSt15iterator_traitsISG_E10value_typeEPNSM_ISH_E10value_typeEPSI_NS1_7vsmem_tEENKUlT_SG_SH_SI_E_clIS7_S7_PlSB_EESF_SV_SG_SH_SI_EUlSV_E0_NS1_11comp_targetILNS1_3genE2ELNS1_11target_archE906ELNS1_3gpuE6ELNS1_3repE0EEENS1_38merge_mergepath_config_static_selectorELNS0_4arch9wavefront6targetE1EEEvSH_.has_indirect_call, 0
	.section	.AMDGPU.csdata,"",@progbits
; Kernel info:
; codeLenInByte = 4036
; TotalNumSgprs: 35
; NumVgprs: 39
; ScratchSize: 0
; MemoryBound: 0
; FloatMode: 240
; IeeeMode: 1
; LDSByteSize: 8448 bytes/workgroup (compile time only)
; SGPRBlocks: 10
; VGPRBlocks: 9
; NumSGPRsForWavesPerEU: 81
; NumVGPRsForWavesPerEU: 39
; Occupancy: 6
; WaveLimiterHint : 1
; COMPUTE_PGM_RSRC2:SCRATCH_EN: 0
; COMPUTE_PGM_RSRC2:USER_SGPR: 6
; COMPUTE_PGM_RSRC2:TRAP_HANDLER: 0
; COMPUTE_PGM_RSRC2:TGID_X_EN: 1
; COMPUTE_PGM_RSRC2:TGID_Y_EN: 1
; COMPUTE_PGM_RSRC2:TGID_Z_EN: 1
; COMPUTE_PGM_RSRC2:TIDIG_COMP_CNT: 0
	.section	.text._ZN7rocprim17ROCPRIM_400000_NS6detail17trampoline_kernelINS0_14default_configENS1_38merge_sort_block_merge_config_selectorIdlEEZZNS1_27merge_sort_block_merge_implIS3_PdN6thrust23THRUST_200600_302600_NS10device_ptrIlEEjNS1_19radix_merge_compareILb0ELb0EdNS0_19identity_decomposerEEEEE10hipError_tT0_T1_T2_jT3_P12ihipStream_tbPNSt15iterator_traitsISG_E10value_typeEPNSM_ISH_E10value_typeEPSI_NS1_7vsmem_tEENKUlT_SG_SH_SI_E_clIS7_S7_PlSB_EESF_SV_SG_SH_SI_EUlSV_E0_NS1_11comp_targetILNS1_3genE9ELNS1_11target_archE1100ELNS1_3gpuE3ELNS1_3repE0EEENS1_38merge_mergepath_config_static_selectorELNS0_4arch9wavefront6targetE1EEEvSH_,"axG",@progbits,_ZN7rocprim17ROCPRIM_400000_NS6detail17trampoline_kernelINS0_14default_configENS1_38merge_sort_block_merge_config_selectorIdlEEZZNS1_27merge_sort_block_merge_implIS3_PdN6thrust23THRUST_200600_302600_NS10device_ptrIlEEjNS1_19radix_merge_compareILb0ELb0EdNS0_19identity_decomposerEEEEE10hipError_tT0_T1_T2_jT3_P12ihipStream_tbPNSt15iterator_traitsISG_E10value_typeEPNSM_ISH_E10value_typeEPSI_NS1_7vsmem_tEENKUlT_SG_SH_SI_E_clIS7_S7_PlSB_EESF_SV_SG_SH_SI_EUlSV_E0_NS1_11comp_targetILNS1_3genE9ELNS1_11target_archE1100ELNS1_3gpuE3ELNS1_3repE0EEENS1_38merge_mergepath_config_static_selectorELNS0_4arch9wavefront6targetE1EEEvSH_,comdat
	.protected	_ZN7rocprim17ROCPRIM_400000_NS6detail17trampoline_kernelINS0_14default_configENS1_38merge_sort_block_merge_config_selectorIdlEEZZNS1_27merge_sort_block_merge_implIS3_PdN6thrust23THRUST_200600_302600_NS10device_ptrIlEEjNS1_19radix_merge_compareILb0ELb0EdNS0_19identity_decomposerEEEEE10hipError_tT0_T1_T2_jT3_P12ihipStream_tbPNSt15iterator_traitsISG_E10value_typeEPNSM_ISH_E10value_typeEPSI_NS1_7vsmem_tEENKUlT_SG_SH_SI_E_clIS7_S7_PlSB_EESF_SV_SG_SH_SI_EUlSV_E0_NS1_11comp_targetILNS1_3genE9ELNS1_11target_archE1100ELNS1_3gpuE3ELNS1_3repE0EEENS1_38merge_mergepath_config_static_selectorELNS0_4arch9wavefront6targetE1EEEvSH_ ; -- Begin function _ZN7rocprim17ROCPRIM_400000_NS6detail17trampoline_kernelINS0_14default_configENS1_38merge_sort_block_merge_config_selectorIdlEEZZNS1_27merge_sort_block_merge_implIS3_PdN6thrust23THRUST_200600_302600_NS10device_ptrIlEEjNS1_19radix_merge_compareILb0ELb0EdNS0_19identity_decomposerEEEEE10hipError_tT0_T1_T2_jT3_P12ihipStream_tbPNSt15iterator_traitsISG_E10value_typeEPNSM_ISH_E10value_typeEPSI_NS1_7vsmem_tEENKUlT_SG_SH_SI_E_clIS7_S7_PlSB_EESF_SV_SG_SH_SI_EUlSV_E0_NS1_11comp_targetILNS1_3genE9ELNS1_11target_archE1100ELNS1_3gpuE3ELNS1_3repE0EEENS1_38merge_mergepath_config_static_selectorELNS0_4arch9wavefront6targetE1EEEvSH_
	.globl	_ZN7rocprim17ROCPRIM_400000_NS6detail17trampoline_kernelINS0_14default_configENS1_38merge_sort_block_merge_config_selectorIdlEEZZNS1_27merge_sort_block_merge_implIS3_PdN6thrust23THRUST_200600_302600_NS10device_ptrIlEEjNS1_19radix_merge_compareILb0ELb0EdNS0_19identity_decomposerEEEEE10hipError_tT0_T1_T2_jT3_P12ihipStream_tbPNSt15iterator_traitsISG_E10value_typeEPNSM_ISH_E10value_typeEPSI_NS1_7vsmem_tEENKUlT_SG_SH_SI_E_clIS7_S7_PlSB_EESF_SV_SG_SH_SI_EUlSV_E0_NS1_11comp_targetILNS1_3genE9ELNS1_11target_archE1100ELNS1_3gpuE3ELNS1_3repE0EEENS1_38merge_mergepath_config_static_selectorELNS0_4arch9wavefront6targetE1EEEvSH_
	.p2align	8
	.type	_ZN7rocprim17ROCPRIM_400000_NS6detail17trampoline_kernelINS0_14default_configENS1_38merge_sort_block_merge_config_selectorIdlEEZZNS1_27merge_sort_block_merge_implIS3_PdN6thrust23THRUST_200600_302600_NS10device_ptrIlEEjNS1_19radix_merge_compareILb0ELb0EdNS0_19identity_decomposerEEEEE10hipError_tT0_T1_T2_jT3_P12ihipStream_tbPNSt15iterator_traitsISG_E10value_typeEPNSM_ISH_E10value_typeEPSI_NS1_7vsmem_tEENKUlT_SG_SH_SI_E_clIS7_S7_PlSB_EESF_SV_SG_SH_SI_EUlSV_E0_NS1_11comp_targetILNS1_3genE9ELNS1_11target_archE1100ELNS1_3gpuE3ELNS1_3repE0EEENS1_38merge_mergepath_config_static_selectorELNS0_4arch9wavefront6targetE1EEEvSH_,@function
_ZN7rocprim17ROCPRIM_400000_NS6detail17trampoline_kernelINS0_14default_configENS1_38merge_sort_block_merge_config_selectorIdlEEZZNS1_27merge_sort_block_merge_implIS3_PdN6thrust23THRUST_200600_302600_NS10device_ptrIlEEjNS1_19radix_merge_compareILb0ELb0EdNS0_19identity_decomposerEEEEE10hipError_tT0_T1_T2_jT3_P12ihipStream_tbPNSt15iterator_traitsISG_E10value_typeEPNSM_ISH_E10value_typeEPSI_NS1_7vsmem_tEENKUlT_SG_SH_SI_E_clIS7_S7_PlSB_EESF_SV_SG_SH_SI_EUlSV_E0_NS1_11comp_targetILNS1_3genE9ELNS1_11target_archE1100ELNS1_3gpuE3ELNS1_3repE0EEENS1_38merge_mergepath_config_static_selectorELNS0_4arch9wavefront6targetE1EEEvSH_: ; @_ZN7rocprim17ROCPRIM_400000_NS6detail17trampoline_kernelINS0_14default_configENS1_38merge_sort_block_merge_config_selectorIdlEEZZNS1_27merge_sort_block_merge_implIS3_PdN6thrust23THRUST_200600_302600_NS10device_ptrIlEEjNS1_19radix_merge_compareILb0ELb0EdNS0_19identity_decomposerEEEEE10hipError_tT0_T1_T2_jT3_P12ihipStream_tbPNSt15iterator_traitsISG_E10value_typeEPNSM_ISH_E10value_typeEPSI_NS1_7vsmem_tEENKUlT_SG_SH_SI_E_clIS7_S7_PlSB_EESF_SV_SG_SH_SI_EUlSV_E0_NS1_11comp_targetILNS1_3genE9ELNS1_11target_archE1100ELNS1_3gpuE3ELNS1_3repE0EEENS1_38merge_mergepath_config_static_selectorELNS0_4arch9wavefront6targetE1EEEvSH_
; %bb.0:
	.section	.rodata,"a",@progbits
	.p2align	6, 0x0
	.amdhsa_kernel _ZN7rocprim17ROCPRIM_400000_NS6detail17trampoline_kernelINS0_14default_configENS1_38merge_sort_block_merge_config_selectorIdlEEZZNS1_27merge_sort_block_merge_implIS3_PdN6thrust23THRUST_200600_302600_NS10device_ptrIlEEjNS1_19radix_merge_compareILb0ELb0EdNS0_19identity_decomposerEEEEE10hipError_tT0_T1_T2_jT3_P12ihipStream_tbPNSt15iterator_traitsISG_E10value_typeEPNSM_ISH_E10value_typeEPSI_NS1_7vsmem_tEENKUlT_SG_SH_SI_E_clIS7_S7_PlSB_EESF_SV_SG_SH_SI_EUlSV_E0_NS1_11comp_targetILNS1_3genE9ELNS1_11target_archE1100ELNS1_3gpuE3ELNS1_3repE0EEENS1_38merge_mergepath_config_static_selectorELNS0_4arch9wavefront6targetE1EEEvSH_
		.amdhsa_group_segment_fixed_size 0
		.amdhsa_private_segment_fixed_size 0
		.amdhsa_kernarg_size 64
		.amdhsa_user_sgpr_count 6
		.amdhsa_user_sgpr_private_segment_buffer 1
		.amdhsa_user_sgpr_dispatch_ptr 0
		.amdhsa_user_sgpr_queue_ptr 0
		.amdhsa_user_sgpr_kernarg_segment_ptr 1
		.amdhsa_user_sgpr_dispatch_id 0
		.amdhsa_user_sgpr_flat_scratch_init 0
		.amdhsa_user_sgpr_private_segment_size 0
		.amdhsa_uses_dynamic_stack 0
		.amdhsa_system_sgpr_private_segment_wavefront_offset 0
		.amdhsa_system_sgpr_workgroup_id_x 1
		.amdhsa_system_sgpr_workgroup_id_y 0
		.amdhsa_system_sgpr_workgroup_id_z 0
		.amdhsa_system_sgpr_workgroup_info 0
		.amdhsa_system_vgpr_workitem_id 0
		.amdhsa_next_free_vgpr 1
		.amdhsa_next_free_sgpr 0
		.amdhsa_reserve_vcc 0
		.amdhsa_reserve_flat_scratch 0
		.amdhsa_float_round_mode_32 0
		.amdhsa_float_round_mode_16_64 0
		.amdhsa_float_denorm_mode_32 3
		.amdhsa_float_denorm_mode_16_64 3
		.amdhsa_dx10_clamp 1
		.amdhsa_ieee_mode 1
		.amdhsa_fp16_overflow 0
		.amdhsa_exception_fp_ieee_invalid_op 0
		.amdhsa_exception_fp_denorm_src 0
		.amdhsa_exception_fp_ieee_div_zero 0
		.amdhsa_exception_fp_ieee_overflow 0
		.amdhsa_exception_fp_ieee_underflow 0
		.amdhsa_exception_fp_ieee_inexact 0
		.amdhsa_exception_int_div_zero 0
	.end_amdhsa_kernel
	.section	.text._ZN7rocprim17ROCPRIM_400000_NS6detail17trampoline_kernelINS0_14default_configENS1_38merge_sort_block_merge_config_selectorIdlEEZZNS1_27merge_sort_block_merge_implIS3_PdN6thrust23THRUST_200600_302600_NS10device_ptrIlEEjNS1_19radix_merge_compareILb0ELb0EdNS0_19identity_decomposerEEEEE10hipError_tT0_T1_T2_jT3_P12ihipStream_tbPNSt15iterator_traitsISG_E10value_typeEPNSM_ISH_E10value_typeEPSI_NS1_7vsmem_tEENKUlT_SG_SH_SI_E_clIS7_S7_PlSB_EESF_SV_SG_SH_SI_EUlSV_E0_NS1_11comp_targetILNS1_3genE9ELNS1_11target_archE1100ELNS1_3gpuE3ELNS1_3repE0EEENS1_38merge_mergepath_config_static_selectorELNS0_4arch9wavefront6targetE1EEEvSH_,"axG",@progbits,_ZN7rocprim17ROCPRIM_400000_NS6detail17trampoline_kernelINS0_14default_configENS1_38merge_sort_block_merge_config_selectorIdlEEZZNS1_27merge_sort_block_merge_implIS3_PdN6thrust23THRUST_200600_302600_NS10device_ptrIlEEjNS1_19radix_merge_compareILb0ELb0EdNS0_19identity_decomposerEEEEE10hipError_tT0_T1_T2_jT3_P12ihipStream_tbPNSt15iterator_traitsISG_E10value_typeEPNSM_ISH_E10value_typeEPSI_NS1_7vsmem_tEENKUlT_SG_SH_SI_E_clIS7_S7_PlSB_EESF_SV_SG_SH_SI_EUlSV_E0_NS1_11comp_targetILNS1_3genE9ELNS1_11target_archE1100ELNS1_3gpuE3ELNS1_3repE0EEENS1_38merge_mergepath_config_static_selectorELNS0_4arch9wavefront6targetE1EEEvSH_,comdat
.Lfunc_end1556:
	.size	_ZN7rocprim17ROCPRIM_400000_NS6detail17trampoline_kernelINS0_14default_configENS1_38merge_sort_block_merge_config_selectorIdlEEZZNS1_27merge_sort_block_merge_implIS3_PdN6thrust23THRUST_200600_302600_NS10device_ptrIlEEjNS1_19radix_merge_compareILb0ELb0EdNS0_19identity_decomposerEEEEE10hipError_tT0_T1_T2_jT3_P12ihipStream_tbPNSt15iterator_traitsISG_E10value_typeEPNSM_ISH_E10value_typeEPSI_NS1_7vsmem_tEENKUlT_SG_SH_SI_E_clIS7_S7_PlSB_EESF_SV_SG_SH_SI_EUlSV_E0_NS1_11comp_targetILNS1_3genE9ELNS1_11target_archE1100ELNS1_3gpuE3ELNS1_3repE0EEENS1_38merge_mergepath_config_static_selectorELNS0_4arch9wavefront6targetE1EEEvSH_, .Lfunc_end1556-_ZN7rocprim17ROCPRIM_400000_NS6detail17trampoline_kernelINS0_14default_configENS1_38merge_sort_block_merge_config_selectorIdlEEZZNS1_27merge_sort_block_merge_implIS3_PdN6thrust23THRUST_200600_302600_NS10device_ptrIlEEjNS1_19radix_merge_compareILb0ELb0EdNS0_19identity_decomposerEEEEE10hipError_tT0_T1_T2_jT3_P12ihipStream_tbPNSt15iterator_traitsISG_E10value_typeEPNSM_ISH_E10value_typeEPSI_NS1_7vsmem_tEENKUlT_SG_SH_SI_E_clIS7_S7_PlSB_EESF_SV_SG_SH_SI_EUlSV_E0_NS1_11comp_targetILNS1_3genE9ELNS1_11target_archE1100ELNS1_3gpuE3ELNS1_3repE0EEENS1_38merge_mergepath_config_static_selectorELNS0_4arch9wavefront6targetE1EEEvSH_
                                        ; -- End function
	.set _ZN7rocprim17ROCPRIM_400000_NS6detail17trampoline_kernelINS0_14default_configENS1_38merge_sort_block_merge_config_selectorIdlEEZZNS1_27merge_sort_block_merge_implIS3_PdN6thrust23THRUST_200600_302600_NS10device_ptrIlEEjNS1_19radix_merge_compareILb0ELb0EdNS0_19identity_decomposerEEEEE10hipError_tT0_T1_T2_jT3_P12ihipStream_tbPNSt15iterator_traitsISG_E10value_typeEPNSM_ISH_E10value_typeEPSI_NS1_7vsmem_tEENKUlT_SG_SH_SI_E_clIS7_S7_PlSB_EESF_SV_SG_SH_SI_EUlSV_E0_NS1_11comp_targetILNS1_3genE9ELNS1_11target_archE1100ELNS1_3gpuE3ELNS1_3repE0EEENS1_38merge_mergepath_config_static_selectorELNS0_4arch9wavefront6targetE1EEEvSH_.num_vgpr, 0
	.set _ZN7rocprim17ROCPRIM_400000_NS6detail17trampoline_kernelINS0_14default_configENS1_38merge_sort_block_merge_config_selectorIdlEEZZNS1_27merge_sort_block_merge_implIS3_PdN6thrust23THRUST_200600_302600_NS10device_ptrIlEEjNS1_19radix_merge_compareILb0ELb0EdNS0_19identity_decomposerEEEEE10hipError_tT0_T1_T2_jT3_P12ihipStream_tbPNSt15iterator_traitsISG_E10value_typeEPNSM_ISH_E10value_typeEPSI_NS1_7vsmem_tEENKUlT_SG_SH_SI_E_clIS7_S7_PlSB_EESF_SV_SG_SH_SI_EUlSV_E0_NS1_11comp_targetILNS1_3genE9ELNS1_11target_archE1100ELNS1_3gpuE3ELNS1_3repE0EEENS1_38merge_mergepath_config_static_selectorELNS0_4arch9wavefront6targetE1EEEvSH_.num_agpr, 0
	.set _ZN7rocprim17ROCPRIM_400000_NS6detail17trampoline_kernelINS0_14default_configENS1_38merge_sort_block_merge_config_selectorIdlEEZZNS1_27merge_sort_block_merge_implIS3_PdN6thrust23THRUST_200600_302600_NS10device_ptrIlEEjNS1_19radix_merge_compareILb0ELb0EdNS0_19identity_decomposerEEEEE10hipError_tT0_T1_T2_jT3_P12ihipStream_tbPNSt15iterator_traitsISG_E10value_typeEPNSM_ISH_E10value_typeEPSI_NS1_7vsmem_tEENKUlT_SG_SH_SI_E_clIS7_S7_PlSB_EESF_SV_SG_SH_SI_EUlSV_E0_NS1_11comp_targetILNS1_3genE9ELNS1_11target_archE1100ELNS1_3gpuE3ELNS1_3repE0EEENS1_38merge_mergepath_config_static_selectorELNS0_4arch9wavefront6targetE1EEEvSH_.numbered_sgpr, 0
	.set _ZN7rocprim17ROCPRIM_400000_NS6detail17trampoline_kernelINS0_14default_configENS1_38merge_sort_block_merge_config_selectorIdlEEZZNS1_27merge_sort_block_merge_implIS3_PdN6thrust23THRUST_200600_302600_NS10device_ptrIlEEjNS1_19radix_merge_compareILb0ELb0EdNS0_19identity_decomposerEEEEE10hipError_tT0_T1_T2_jT3_P12ihipStream_tbPNSt15iterator_traitsISG_E10value_typeEPNSM_ISH_E10value_typeEPSI_NS1_7vsmem_tEENKUlT_SG_SH_SI_E_clIS7_S7_PlSB_EESF_SV_SG_SH_SI_EUlSV_E0_NS1_11comp_targetILNS1_3genE9ELNS1_11target_archE1100ELNS1_3gpuE3ELNS1_3repE0EEENS1_38merge_mergepath_config_static_selectorELNS0_4arch9wavefront6targetE1EEEvSH_.num_named_barrier, 0
	.set _ZN7rocprim17ROCPRIM_400000_NS6detail17trampoline_kernelINS0_14default_configENS1_38merge_sort_block_merge_config_selectorIdlEEZZNS1_27merge_sort_block_merge_implIS3_PdN6thrust23THRUST_200600_302600_NS10device_ptrIlEEjNS1_19radix_merge_compareILb0ELb0EdNS0_19identity_decomposerEEEEE10hipError_tT0_T1_T2_jT3_P12ihipStream_tbPNSt15iterator_traitsISG_E10value_typeEPNSM_ISH_E10value_typeEPSI_NS1_7vsmem_tEENKUlT_SG_SH_SI_E_clIS7_S7_PlSB_EESF_SV_SG_SH_SI_EUlSV_E0_NS1_11comp_targetILNS1_3genE9ELNS1_11target_archE1100ELNS1_3gpuE3ELNS1_3repE0EEENS1_38merge_mergepath_config_static_selectorELNS0_4arch9wavefront6targetE1EEEvSH_.private_seg_size, 0
	.set _ZN7rocprim17ROCPRIM_400000_NS6detail17trampoline_kernelINS0_14default_configENS1_38merge_sort_block_merge_config_selectorIdlEEZZNS1_27merge_sort_block_merge_implIS3_PdN6thrust23THRUST_200600_302600_NS10device_ptrIlEEjNS1_19radix_merge_compareILb0ELb0EdNS0_19identity_decomposerEEEEE10hipError_tT0_T1_T2_jT3_P12ihipStream_tbPNSt15iterator_traitsISG_E10value_typeEPNSM_ISH_E10value_typeEPSI_NS1_7vsmem_tEENKUlT_SG_SH_SI_E_clIS7_S7_PlSB_EESF_SV_SG_SH_SI_EUlSV_E0_NS1_11comp_targetILNS1_3genE9ELNS1_11target_archE1100ELNS1_3gpuE3ELNS1_3repE0EEENS1_38merge_mergepath_config_static_selectorELNS0_4arch9wavefront6targetE1EEEvSH_.uses_vcc, 0
	.set _ZN7rocprim17ROCPRIM_400000_NS6detail17trampoline_kernelINS0_14default_configENS1_38merge_sort_block_merge_config_selectorIdlEEZZNS1_27merge_sort_block_merge_implIS3_PdN6thrust23THRUST_200600_302600_NS10device_ptrIlEEjNS1_19radix_merge_compareILb0ELb0EdNS0_19identity_decomposerEEEEE10hipError_tT0_T1_T2_jT3_P12ihipStream_tbPNSt15iterator_traitsISG_E10value_typeEPNSM_ISH_E10value_typeEPSI_NS1_7vsmem_tEENKUlT_SG_SH_SI_E_clIS7_S7_PlSB_EESF_SV_SG_SH_SI_EUlSV_E0_NS1_11comp_targetILNS1_3genE9ELNS1_11target_archE1100ELNS1_3gpuE3ELNS1_3repE0EEENS1_38merge_mergepath_config_static_selectorELNS0_4arch9wavefront6targetE1EEEvSH_.uses_flat_scratch, 0
	.set _ZN7rocprim17ROCPRIM_400000_NS6detail17trampoline_kernelINS0_14default_configENS1_38merge_sort_block_merge_config_selectorIdlEEZZNS1_27merge_sort_block_merge_implIS3_PdN6thrust23THRUST_200600_302600_NS10device_ptrIlEEjNS1_19radix_merge_compareILb0ELb0EdNS0_19identity_decomposerEEEEE10hipError_tT0_T1_T2_jT3_P12ihipStream_tbPNSt15iterator_traitsISG_E10value_typeEPNSM_ISH_E10value_typeEPSI_NS1_7vsmem_tEENKUlT_SG_SH_SI_E_clIS7_S7_PlSB_EESF_SV_SG_SH_SI_EUlSV_E0_NS1_11comp_targetILNS1_3genE9ELNS1_11target_archE1100ELNS1_3gpuE3ELNS1_3repE0EEENS1_38merge_mergepath_config_static_selectorELNS0_4arch9wavefront6targetE1EEEvSH_.has_dyn_sized_stack, 0
	.set _ZN7rocprim17ROCPRIM_400000_NS6detail17trampoline_kernelINS0_14default_configENS1_38merge_sort_block_merge_config_selectorIdlEEZZNS1_27merge_sort_block_merge_implIS3_PdN6thrust23THRUST_200600_302600_NS10device_ptrIlEEjNS1_19radix_merge_compareILb0ELb0EdNS0_19identity_decomposerEEEEE10hipError_tT0_T1_T2_jT3_P12ihipStream_tbPNSt15iterator_traitsISG_E10value_typeEPNSM_ISH_E10value_typeEPSI_NS1_7vsmem_tEENKUlT_SG_SH_SI_E_clIS7_S7_PlSB_EESF_SV_SG_SH_SI_EUlSV_E0_NS1_11comp_targetILNS1_3genE9ELNS1_11target_archE1100ELNS1_3gpuE3ELNS1_3repE0EEENS1_38merge_mergepath_config_static_selectorELNS0_4arch9wavefront6targetE1EEEvSH_.has_recursion, 0
	.set _ZN7rocprim17ROCPRIM_400000_NS6detail17trampoline_kernelINS0_14default_configENS1_38merge_sort_block_merge_config_selectorIdlEEZZNS1_27merge_sort_block_merge_implIS3_PdN6thrust23THRUST_200600_302600_NS10device_ptrIlEEjNS1_19radix_merge_compareILb0ELb0EdNS0_19identity_decomposerEEEEE10hipError_tT0_T1_T2_jT3_P12ihipStream_tbPNSt15iterator_traitsISG_E10value_typeEPNSM_ISH_E10value_typeEPSI_NS1_7vsmem_tEENKUlT_SG_SH_SI_E_clIS7_S7_PlSB_EESF_SV_SG_SH_SI_EUlSV_E0_NS1_11comp_targetILNS1_3genE9ELNS1_11target_archE1100ELNS1_3gpuE3ELNS1_3repE0EEENS1_38merge_mergepath_config_static_selectorELNS0_4arch9wavefront6targetE1EEEvSH_.has_indirect_call, 0
	.section	.AMDGPU.csdata,"",@progbits
; Kernel info:
; codeLenInByte = 0
; TotalNumSgprs: 4
; NumVgprs: 0
; ScratchSize: 0
; MemoryBound: 0
; FloatMode: 240
; IeeeMode: 1
; LDSByteSize: 0 bytes/workgroup (compile time only)
; SGPRBlocks: 0
; VGPRBlocks: 0
; NumSGPRsForWavesPerEU: 4
; NumVGPRsForWavesPerEU: 1
; Occupancy: 10
; WaveLimiterHint : 0
; COMPUTE_PGM_RSRC2:SCRATCH_EN: 0
; COMPUTE_PGM_RSRC2:USER_SGPR: 6
; COMPUTE_PGM_RSRC2:TRAP_HANDLER: 0
; COMPUTE_PGM_RSRC2:TGID_X_EN: 1
; COMPUTE_PGM_RSRC2:TGID_Y_EN: 0
; COMPUTE_PGM_RSRC2:TGID_Z_EN: 0
; COMPUTE_PGM_RSRC2:TIDIG_COMP_CNT: 0
	.section	.text._ZN7rocprim17ROCPRIM_400000_NS6detail17trampoline_kernelINS0_14default_configENS1_38merge_sort_block_merge_config_selectorIdlEEZZNS1_27merge_sort_block_merge_implIS3_PdN6thrust23THRUST_200600_302600_NS10device_ptrIlEEjNS1_19radix_merge_compareILb0ELb0EdNS0_19identity_decomposerEEEEE10hipError_tT0_T1_T2_jT3_P12ihipStream_tbPNSt15iterator_traitsISG_E10value_typeEPNSM_ISH_E10value_typeEPSI_NS1_7vsmem_tEENKUlT_SG_SH_SI_E_clIS7_S7_PlSB_EESF_SV_SG_SH_SI_EUlSV_E0_NS1_11comp_targetILNS1_3genE8ELNS1_11target_archE1030ELNS1_3gpuE2ELNS1_3repE0EEENS1_38merge_mergepath_config_static_selectorELNS0_4arch9wavefront6targetE1EEEvSH_,"axG",@progbits,_ZN7rocprim17ROCPRIM_400000_NS6detail17trampoline_kernelINS0_14default_configENS1_38merge_sort_block_merge_config_selectorIdlEEZZNS1_27merge_sort_block_merge_implIS3_PdN6thrust23THRUST_200600_302600_NS10device_ptrIlEEjNS1_19radix_merge_compareILb0ELb0EdNS0_19identity_decomposerEEEEE10hipError_tT0_T1_T2_jT3_P12ihipStream_tbPNSt15iterator_traitsISG_E10value_typeEPNSM_ISH_E10value_typeEPSI_NS1_7vsmem_tEENKUlT_SG_SH_SI_E_clIS7_S7_PlSB_EESF_SV_SG_SH_SI_EUlSV_E0_NS1_11comp_targetILNS1_3genE8ELNS1_11target_archE1030ELNS1_3gpuE2ELNS1_3repE0EEENS1_38merge_mergepath_config_static_selectorELNS0_4arch9wavefront6targetE1EEEvSH_,comdat
	.protected	_ZN7rocprim17ROCPRIM_400000_NS6detail17trampoline_kernelINS0_14default_configENS1_38merge_sort_block_merge_config_selectorIdlEEZZNS1_27merge_sort_block_merge_implIS3_PdN6thrust23THRUST_200600_302600_NS10device_ptrIlEEjNS1_19radix_merge_compareILb0ELb0EdNS0_19identity_decomposerEEEEE10hipError_tT0_T1_T2_jT3_P12ihipStream_tbPNSt15iterator_traitsISG_E10value_typeEPNSM_ISH_E10value_typeEPSI_NS1_7vsmem_tEENKUlT_SG_SH_SI_E_clIS7_S7_PlSB_EESF_SV_SG_SH_SI_EUlSV_E0_NS1_11comp_targetILNS1_3genE8ELNS1_11target_archE1030ELNS1_3gpuE2ELNS1_3repE0EEENS1_38merge_mergepath_config_static_selectorELNS0_4arch9wavefront6targetE1EEEvSH_ ; -- Begin function _ZN7rocprim17ROCPRIM_400000_NS6detail17trampoline_kernelINS0_14default_configENS1_38merge_sort_block_merge_config_selectorIdlEEZZNS1_27merge_sort_block_merge_implIS3_PdN6thrust23THRUST_200600_302600_NS10device_ptrIlEEjNS1_19radix_merge_compareILb0ELb0EdNS0_19identity_decomposerEEEEE10hipError_tT0_T1_T2_jT3_P12ihipStream_tbPNSt15iterator_traitsISG_E10value_typeEPNSM_ISH_E10value_typeEPSI_NS1_7vsmem_tEENKUlT_SG_SH_SI_E_clIS7_S7_PlSB_EESF_SV_SG_SH_SI_EUlSV_E0_NS1_11comp_targetILNS1_3genE8ELNS1_11target_archE1030ELNS1_3gpuE2ELNS1_3repE0EEENS1_38merge_mergepath_config_static_selectorELNS0_4arch9wavefront6targetE1EEEvSH_
	.globl	_ZN7rocprim17ROCPRIM_400000_NS6detail17trampoline_kernelINS0_14default_configENS1_38merge_sort_block_merge_config_selectorIdlEEZZNS1_27merge_sort_block_merge_implIS3_PdN6thrust23THRUST_200600_302600_NS10device_ptrIlEEjNS1_19radix_merge_compareILb0ELb0EdNS0_19identity_decomposerEEEEE10hipError_tT0_T1_T2_jT3_P12ihipStream_tbPNSt15iterator_traitsISG_E10value_typeEPNSM_ISH_E10value_typeEPSI_NS1_7vsmem_tEENKUlT_SG_SH_SI_E_clIS7_S7_PlSB_EESF_SV_SG_SH_SI_EUlSV_E0_NS1_11comp_targetILNS1_3genE8ELNS1_11target_archE1030ELNS1_3gpuE2ELNS1_3repE0EEENS1_38merge_mergepath_config_static_selectorELNS0_4arch9wavefront6targetE1EEEvSH_
	.p2align	8
	.type	_ZN7rocprim17ROCPRIM_400000_NS6detail17trampoline_kernelINS0_14default_configENS1_38merge_sort_block_merge_config_selectorIdlEEZZNS1_27merge_sort_block_merge_implIS3_PdN6thrust23THRUST_200600_302600_NS10device_ptrIlEEjNS1_19radix_merge_compareILb0ELb0EdNS0_19identity_decomposerEEEEE10hipError_tT0_T1_T2_jT3_P12ihipStream_tbPNSt15iterator_traitsISG_E10value_typeEPNSM_ISH_E10value_typeEPSI_NS1_7vsmem_tEENKUlT_SG_SH_SI_E_clIS7_S7_PlSB_EESF_SV_SG_SH_SI_EUlSV_E0_NS1_11comp_targetILNS1_3genE8ELNS1_11target_archE1030ELNS1_3gpuE2ELNS1_3repE0EEENS1_38merge_mergepath_config_static_selectorELNS0_4arch9wavefront6targetE1EEEvSH_,@function
_ZN7rocprim17ROCPRIM_400000_NS6detail17trampoline_kernelINS0_14default_configENS1_38merge_sort_block_merge_config_selectorIdlEEZZNS1_27merge_sort_block_merge_implIS3_PdN6thrust23THRUST_200600_302600_NS10device_ptrIlEEjNS1_19radix_merge_compareILb0ELb0EdNS0_19identity_decomposerEEEEE10hipError_tT0_T1_T2_jT3_P12ihipStream_tbPNSt15iterator_traitsISG_E10value_typeEPNSM_ISH_E10value_typeEPSI_NS1_7vsmem_tEENKUlT_SG_SH_SI_E_clIS7_S7_PlSB_EESF_SV_SG_SH_SI_EUlSV_E0_NS1_11comp_targetILNS1_3genE8ELNS1_11target_archE1030ELNS1_3gpuE2ELNS1_3repE0EEENS1_38merge_mergepath_config_static_selectorELNS0_4arch9wavefront6targetE1EEEvSH_: ; @_ZN7rocprim17ROCPRIM_400000_NS6detail17trampoline_kernelINS0_14default_configENS1_38merge_sort_block_merge_config_selectorIdlEEZZNS1_27merge_sort_block_merge_implIS3_PdN6thrust23THRUST_200600_302600_NS10device_ptrIlEEjNS1_19radix_merge_compareILb0ELb0EdNS0_19identity_decomposerEEEEE10hipError_tT0_T1_T2_jT3_P12ihipStream_tbPNSt15iterator_traitsISG_E10value_typeEPNSM_ISH_E10value_typeEPSI_NS1_7vsmem_tEENKUlT_SG_SH_SI_E_clIS7_S7_PlSB_EESF_SV_SG_SH_SI_EUlSV_E0_NS1_11comp_targetILNS1_3genE8ELNS1_11target_archE1030ELNS1_3gpuE2ELNS1_3repE0EEENS1_38merge_mergepath_config_static_selectorELNS0_4arch9wavefront6targetE1EEEvSH_
; %bb.0:
	.section	.rodata,"a",@progbits
	.p2align	6, 0x0
	.amdhsa_kernel _ZN7rocprim17ROCPRIM_400000_NS6detail17trampoline_kernelINS0_14default_configENS1_38merge_sort_block_merge_config_selectorIdlEEZZNS1_27merge_sort_block_merge_implIS3_PdN6thrust23THRUST_200600_302600_NS10device_ptrIlEEjNS1_19radix_merge_compareILb0ELb0EdNS0_19identity_decomposerEEEEE10hipError_tT0_T1_T2_jT3_P12ihipStream_tbPNSt15iterator_traitsISG_E10value_typeEPNSM_ISH_E10value_typeEPSI_NS1_7vsmem_tEENKUlT_SG_SH_SI_E_clIS7_S7_PlSB_EESF_SV_SG_SH_SI_EUlSV_E0_NS1_11comp_targetILNS1_3genE8ELNS1_11target_archE1030ELNS1_3gpuE2ELNS1_3repE0EEENS1_38merge_mergepath_config_static_selectorELNS0_4arch9wavefront6targetE1EEEvSH_
		.amdhsa_group_segment_fixed_size 0
		.amdhsa_private_segment_fixed_size 0
		.amdhsa_kernarg_size 64
		.amdhsa_user_sgpr_count 6
		.amdhsa_user_sgpr_private_segment_buffer 1
		.amdhsa_user_sgpr_dispatch_ptr 0
		.amdhsa_user_sgpr_queue_ptr 0
		.amdhsa_user_sgpr_kernarg_segment_ptr 1
		.amdhsa_user_sgpr_dispatch_id 0
		.amdhsa_user_sgpr_flat_scratch_init 0
		.amdhsa_user_sgpr_private_segment_size 0
		.amdhsa_uses_dynamic_stack 0
		.amdhsa_system_sgpr_private_segment_wavefront_offset 0
		.amdhsa_system_sgpr_workgroup_id_x 1
		.amdhsa_system_sgpr_workgroup_id_y 0
		.amdhsa_system_sgpr_workgroup_id_z 0
		.amdhsa_system_sgpr_workgroup_info 0
		.amdhsa_system_vgpr_workitem_id 0
		.amdhsa_next_free_vgpr 1
		.amdhsa_next_free_sgpr 0
		.amdhsa_reserve_vcc 0
		.amdhsa_reserve_flat_scratch 0
		.amdhsa_float_round_mode_32 0
		.amdhsa_float_round_mode_16_64 0
		.amdhsa_float_denorm_mode_32 3
		.amdhsa_float_denorm_mode_16_64 3
		.amdhsa_dx10_clamp 1
		.amdhsa_ieee_mode 1
		.amdhsa_fp16_overflow 0
		.amdhsa_exception_fp_ieee_invalid_op 0
		.amdhsa_exception_fp_denorm_src 0
		.amdhsa_exception_fp_ieee_div_zero 0
		.amdhsa_exception_fp_ieee_overflow 0
		.amdhsa_exception_fp_ieee_underflow 0
		.amdhsa_exception_fp_ieee_inexact 0
		.amdhsa_exception_int_div_zero 0
	.end_amdhsa_kernel
	.section	.text._ZN7rocprim17ROCPRIM_400000_NS6detail17trampoline_kernelINS0_14default_configENS1_38merge_sort_block_merge_config_selectorIdlEEZZNS1_27merge_sort_block_merge_implIS3_PdN6thrust23THRUST_200600_302600_NS10device_ptrIlEEjNS1_19radix_merge_compareILb0ELb0EdNS0_19identity_decomposerEEEEE10hipError_tT0_T1_T2_jT3_P12ihipStream_tbPNSt15iterator_traitsISG_E10value_typeEPNSM_ISH_E10value_typeEPSI_NS1_7vsmem_tEENKUlT_SG_SH_SI_E_clIS7_S7_PlSB_EESF_SV_SG_SH_SI_EUlSV_E0_NS1_11comp_targetILNS1_3genE8ELNS1_11target_archE1030ELNS1_3gpuE2ELNS1_3repE0EEENS1_38merge_mergepath_config_static_selectorELNS0_4arch9wavefront6targetE1EEEvSH_,"axG",@progbits,_ZN7rocprim17ROCPRIM_400000_NS6detail17trampoline_kernelINS0_14default_configENS1_38merge_sort_block_merge_config_selectorIdlEEZZNS1_27merge_sort_block_merge_implIS3_PdN6thrust23THRUST_200600_302600_NS10device_ptrIlEEjNS1_19radix_merge_compareILb0ELb0EdNS0_19identity_decomposerEEEEE10hipError_tT0_T1_T2_jT3_P12ihipStream_tbPNSt15iterator_traitsISG_E10value_typeEPNSM_ISH_E10value_typeEPSI_NS1_7vsmem_tEENKUlT_SG_SH_SI_E_clIS7_S7_PlSB_EESF_SV_SG_SH_SI_EUlSV_E0_NS1_11comp_targetILNS1_3genE8ELNS1_11target_archE1030ELNS1_3gpuE2ELNS1_3repE0EEENS1_38merge_mergepath_config_static_selectorELNS0_4arch9wavefront6targetE1EEEvSH_,comdat
.Lfunc_end1557:
	.size	_ZN7rocprim17ROCPRIM_400000_NS6detail17trampoline_kernelINS0_14default_configENS1_38merge_sort_block_merge_config_selectorIdlEEZZNS1_27merge_sort_block_merge_implIS3_PdN6thrust23THRUST_200600_302600_NS10device_ptrIlEEjNS1_19radix_merge_compareILb0ELb0EdNS0_19identity_decomposerEEEEE10hipError_tT0_T1_T2_jT3_P12ihipStream_tbPNSt15iterator_traitsISG_E10value_typeEPNSM_ISH_E10value_typeEPSI_NS1_7vsmem_tEENKUlT_SG_SH_SI_E_clIS7_S7_PlSB_EESF_SV_SG_SH_SI_EUlSV_E0_NS1_11comp_targetILNS1_3genE8ELNS1_11target_archE1030ELNS1_3gpuE2ELNS1_3repE0EEENS1_38merge_mergepath_config_static_selectorELNS0_4arch9wavefront6targetE1EEEvSH_, .Lfunc_end1557-_ZN7rocprim17ROCPRIM_400000_NS6detail17trampoline_kernelINS0_14default_configENS1_38merge_sort_block_merge_config_selectorIdlEEZZNS1_27merge_sort_block_merge_implIS3_PdN6thrust23THRUST_200600_302600_NS10device_ptrIlEEjNS1_19radix_merge_compareILb0ELb0EdNS0_19identity_decomposerEEEEE10hipError_tT0_T1_T2_jT3_P12ihipStream_tbPNSt15iterator_traitsISG_E10value_typeEPNSM_ISH_E10value_typeEPSI_NS1_7vsmem_tEENKUlT_SG_SH_SI_E_clIS7_S7_PlSB_EESF_SV_SG_SH_SI_EUlSV_E0_NS1_11comp_targetILNS1_3genE8ELNS1_11target_archE1030ELNS1_3gpuE2ELNS1_3repE0EEENS1_38merge_mergepath_config_static_selectorELNS0_4arch9wavefront6targetE1EEEvSH_
                                        ; -- End function
	.set _ZN7rocprim17ROCPRIM_400000_NS6detail17trampoline_kernelINS0_14default_configENS1_38merge_sort_block_merge_config_selectorIdlEEZZNS1_27merge_sort_block_merge_implIS3_PdN6thrust23THRUST_200600_302600_NS10device_ptrIlEEjNS1_19radix_merge_compareILb0ELb0EdNS0_19identity_decomposerEEEEE10hipError_tT0_T1_T2_jT3_P12ihipStream_tbPNSt15iterator_traitsISG_E10value_typeEPNSM_ISH_E10value_typeEPSI_NS1_7vsmem_tEENKUlT_SG_SH_SI_E_clIS7_S7_PlSB_EESF_SV_SG_SH_SI_EUlSV_E0_NS1_11comp_targetILNS1_3genE8ELNS1_11target_archE1030ELNS1_3gpuE2ELNS1_3repE0EEENS1_38merge_mergepath_config_static_selectorELNS0_4arch9wavefront6targetE1EEEvSH_.num_vgpr, 0
	.set _ZN7rocprim17ROCPRIM_400000_NS6detail17trampoline_kernelINS0_14default_configENS1_38merge_sort_block_merge_config_selectorIdlEEZZNS1_27merge_sort_block_merge_implIS3_PdN6thrust23THRUST_200600_302600_NS10device_ptrIlEEjNS1_19radix_merge_compareILb0ELb0EdNS0_19identity_decomposerEEEEE10hipError_tT0_T1_T2_jT3_P12ihipStream_tbPNSt15iterator_traitsISG_E10value_typeEPNSM_ISH_E10value_typeEPSI_NS1_7vsmem_tEENKUlT_SG_SH_SI_E_clIS7_S7_PlSB_EESF_SV_SG_SH_SI_EUlSV_E0_NS1_11comp_targetILNS1_3genE8ELNS1_11target_archE1030ELNS1_3gpuE2ELNS1_3repE0EEENS1_38merge_mergepath_config_static_selectorELNS0_4arch9wavefront6targetE1EEEvSH_.num_agpr, 0
	.set _ZN7rocprim17ROCPRIM_400000_NS6detail17trampoline_kernelINS0_14default_configENS1_38merge_sort_block_merge_config_selectorIdlEEZZNS1_27merge_sort_block_merge_implIS3_PdN6thrust23THRUST_200600_302600_NS10device_ptrIlEEjNS1_19radix_merge_compareILb0ELb0EdNS0_19identity_decomposerEEEEE10hipError_tT0_T1_T2_jT3_P12ihipStream_tbPNSt15iterator_traitsISG_E10value_typeEPNSM_ISH_E10value_typeEPSI_NS1_7vsmem_tEENKUlT_SG_SH_SI_E_clIS7_S7_PlSB_EESF_SV_SG_SH_SI_EUlSV_E0_NS1_11comp_targetILNS1_3genE8ELNS1_11target_archE1030ELNS1_3gpuE2ELNS1_3repE0EEENS1_38merge_mergepath_config_static_selectorELNS0_4arch9wavefront6targetE1EEEvSH_.numbered_sgpr, 0
	.set _ZN7rocprim17ROCPRIM_400000_NS6detail17trampoline_kernelINS0_14default_configENS1_38merge_sort_block_merge_config_selectorIdlEEZZNS1_27merge_sort_block_merge_implIS3_PdN6thrust23THRUST_200600_302600_NS10device_ptrIlEEjNS1_19radix_merge_compareILb0ELb0EdNS0_19identity_decomposerEEEEE10hipError_tT0_T1_T2_jT3_P12ihipStream_tbPNSt15iterator_traitsISG_E10value_typeEPNSM_ISH_E10value_typeEPSI_NS1_7vsmem_tEENKUlT_SG_SH_SI_E_clIS7_S7_PlSB_EESF_SV_SG_SH_SI_EUlSV_E0_NS1_11comp_targetILNS1_3genE8ELNS1_11target_archE1030ELNS1_3gpuE2ELNS1_3repE0EEENS1_38merge_mergepath_config_static_selectorELNS0_4arch9wavefront6targetE1EEEvSH_.num_named_barrier, 0
	.set _ZN7rocprim17ROCPRIM_400000_NS6detail17trampoline_kernelINS0_14default_configENS1_38merge_sort_block_merge_config_selectorIdlEEZZNS1_27merge_sort_block_merge_implIS3_PdN6thrust23THRUST_200600_302600_NS10device_ptrIlEEjNS1_19radix_merge_compareILb0ELb0EdNS0_19identity_decomposerEEEEE10hipError_tT0_T1_T2_jT3_P12ihipStream_tbPNSt15iterator_traitsISG_E10value_typeEPNSM_ISH_E10value_typeEPSI_NS1_7vsmem_tEENKUlT_SG_SH_SI_E_clIS7_S7_PlSB_EESF_SV_SG_SH_SI_EUlSV_E0_NS1_11comp_targetILNS1_3genE8ELNS1_11target_archE1030ELNS1_3gpuE2ELNS1_3repE0EEENS1_38merge_mergepath_config_static_selectorELNS0_4arch9wavefront6targetE1EEEvSH_.private_seg_size, 0
	.set _ZN7rocprim17ROCPRIM_400000_NS6detail17trampoline_kernelINS0_14default_configENS1_38merge_sort_block_merge_config_selectorIdlEEZZNS1_27merge_sort_block_merge_implIS3_PdN6thrust23THRUST_200600_302600_NS10device_ptrIlEEjNS1_19radix_merge_compareILb0ELb0EdNS0_19identity_decomposerEEEEE10hipError_tT0_T1_T2_jT3_P12ihipStream_tbPNSt15iterator_traitsISG_E10value_typeEPNSM_ISH_E10value_typeEPSI_NS1_7vsmem_tEENKUlT_SG_SH_SI_E_clIS7_S7_PlSB_EESF_SV_SG_SH_SI_EUlSV_E0_NS1_11comp_targetILNS1_3genE8ELNS1_11target_archE1030ELNS1_3gpuE2ELNS1_3repE0EEENS1_38merge_mergepath_config_static_selectorELNS0_4arch9wavefront6targetE1EEEvSH_.uses_vcc, 0
	.set _ZN7rocprim17ROCPRIM_400000_NS6detail17trampoline_kernelINS0_14default_configENS1_38merge_sort_block_merge_config_selectorIdlEEZZNS1_27merge_sort_block_merge_implIS3_PdN6thrust23THRUST_200600_302600_NS10device_ptrIlEEjNS1_19radix_merge_compareILb0ELb0EdNS0_19identity_decomposerEEEEE10hipError_tT0_T1_T2_jT3_P12ihipStream_tbPNSt15iterator_traitsISG_E10value_typeEPNSM_ISH_E10value_typeEPSI_NS1_7vsmem_tEENKUlT_SG_SH_SI_E_clIS7_S7_PlSB_EESF_SV_SG_SH_SI_EUlSV_E0_NS1_11comp_targetILNS1_3genE8ELNS1_11target_archE1030ELNS1_3gpuE2ELNS1_3repE0EEENS1_38merge_mergepath_config_static_selectorELNS0_4arch9wavefront6targetE1EEEvSH_.uses_flat_scratch, 0
	.set _ZN7rocprim17ROCPRIM_400000_NS6detail17trampoline_kernelINS0_14default_configENS1_38merge_sort_block_merge_config_selectorIdlEEZZNS1_27merge_sort_block_merge_implIS3_PdN6thrust23THRUST_200600_302600_NS10device_ptrIlEEjNS1_19radix_merge_compareILb0ELb0EdNS0_19identity_decomposerEEEEE10hipError_tT0_T1_T2_jT3_P12ihipStream_tbPNSt15iterator_traitsISG_E10value_typeEPNSM_ISH_E10value_typeEPSI_NS1_7vsmem_tEENKUlT_SG_SH_SI_E_clIS7_S7_PlSB_EESF_SV_SG_SH_SI_EUlSV_E0_NS1_11comp_targetILNS1_3genE8ELNS1_11target_archE1030ELNS1_3gpuE2ELNS1_3repE0EEENS1_38merge_mergepath_config_static_selectorELNS0_4arch9wavefront6targetE1EEEvSH_.has_dyn_sized_stack, 0
	.set _ZN7rocprim17ROCPRIM_400000_NS6detail17trampoline_kernelINS0_14default_configENS1_38merge_sort_block_merge_config_selectorIdlEEZZNS1_27merge_sort_block_merge_implIS3_PdN6thrust23THRUST_200600_302600_NS10device_ptrIlEEjNS1_19radix_merge_compareILb0ELb0EdNS0_19identity_decomposerEEEEE10hipError_tT0_T1_T2_jT3_P12ihipStream_tbPNSt15iterator_traitsISG_E10value_typeEPNSM_ISH_E10value_typeEPSI_NS1_7vsmem_tEENKUlT_SG_SH_SI_E_clIS7_S7_PlSB_EESF_SV_SG_SH_SI_EUlSV_E0_NS1_11comp_targetILNS1_3genE8ELNS1_11target_archE1030ELNS1_3gpuE2ELNS1_3repE0EEENS1_38merge_mergepath_config_static_selectorELNS0_4arch9wavefront6targetE1EEEvSH_.has_recursion, 0
	.set _ZN7rocprim17ROCPRIM_400000_NS6detail17trampoline_kernelINS0_14default_configENS1_38merge_sort_block_merge_config_selectorIdlEEZZNS1_27merge_sort_block_merge_implIS3_PdN6thrust23THRUST_200600_302600_NS10device_ptrIlEEjNS1_19radix_merge_compareILb0ELb0EdNS0_19identity_decomposerEEEEE10hipError_tT0_T1_T2_jT3_P12ihipStream_tbPNSt15iterator_traitsISG_E10value_typeEPNSM_ISH_E10value_typeEPSI_NS1_7vsmem_tEENKUlT_SG_SH_SI_E_clIS7_S7_PlSB_EESF_SV_SG_SH_SI_EUlSV_E0_NS1_11comp_targetILNS1_3genE8ELNS1_11target_archE1030ELNS1_3gpuE2ELNS1_3repE0EEENS1_38merge_mergepath_config_static_selectorELNS0_4arch9wavefront6targetE1EEEvSH_.has_indirect_call, 0
	.section	.AMDGPU.csdata,"",@progbits
; Kernel info:
; codeLenInByte = 0
; TotalNumSgprs: 4
; NumVgprs: 0
; ScratchSize: 0
; MemoryBound: 0
; FloatMode: 240
; IeeeMode: 1
; LDSByteSize: 0 bytes/workgroup (compile time only)
; SGPRBlocks: 0
; VGPRBlocks: 0
; NumSGPRsForWavesPerEU: 4
; NumVGPRsForWavesPerEU: 1
; Occupancy: 10
; WaveLimiterHint : 0
; COMPUTE_PGM_RSRC2:SCRATCH_EN: 0
; COMPUTE_PGM_RSRC2:USER_SGPR: 6
; COMPUTE_PGM_RSRC2:TRAP_HANDLER: 0
; COMPUTE_PGM_RSRC2:TGID_X_EN: 1
; COMPUTE_PGM_RSRC2:TGID_Y_EN: 0
; COMPUTE_PGM_RSRC2:TGID_Z_EN: 0
; COMPUTE_PGM_RSRC2:TIDIG_COMP_CNT: 0
	.section	.text._ZN7rocprim17ROCPRIM_400000_NS6detail17trampoline_kernelINS0_14default_configENS1_38merge_sort_block_merge_config_selectorIdlEEZZNS1_27merge_sort_block_merge_implIS3_PdN6thrust23THRUST_200600_302600_NS10device_ptrIlEEjNS1_19radix_merge_compareILb0ELb0EdNS0_19identity_decomposerEEEEE10hipError_tT0_T1_T2_jT3_P12ihipStream_tbPNSt15iterator_traitsISG_E10value_typeEPNSM_ISH_E10value_typeEPSI_NS1_7vsmem_tEENKUlT_SG_SH_SI_E_clIS7_S7_PlSB_EESF_SV_SG_SH_SI_EUlSV_E1_NS1_11comp_targetILNS1_3genE0ELNS1_11target_archE4294967295ELNS1_3gpuE0ELNS1_3repE0EEENS1_36merge_oddeven_config_static_selectorELNS0_4arch9wavefront6targetE1EEEvSH_,"axG",@progbits,_ZN7rocprim17ROCPRIM_400000_NS6detail17trampoline_kernelINS0_14default_configENS1_38merge_sort_block_merge_config_selectorIdlEEZZNS1_27merge_sort_block_merge_implIS3_PdN6thrust23THRUST_200600_302600_NS10device_ptrIlEEjNS1_19radix_merge_compareILb0ELb0EdNS0_19identity_decomposerEEEEE10hipError_tT0_T1_T2_jT3_P12ihipStream_tbPNSt15iterator_traitsISG_E10value_typeEPNSM_ISH_E10value_typeEPSI_NS1_7vsmem_tEENKUlT_SG_SH_SI_E_clIS7_S7_PlSB_EESF_SV_SG_SH_SI_EUlSV_E1_NS1_11comp_targetILNS1_3genE0ELNS1_11target_archE4294967295ELNS1_3gpuE0ELNS1_3repE0EEENS1_36merge_oddeven_config_static_selectorELNS0_4arch9wavefront6targetE1EEEvSH_,comdat
	.protected	_ZN7rocprim17ROCPRIM_400000_NS6detail17trampoline_kernelINS0_14default_configENS1_38merge_sort_block_merge_config_selectorIdlEEZZNS1_27merge_sort_block_merge_implIS3_PdN6thrust23THRUST_200600_302600_NS10device_ptrIlEEjNS1_19radix_merge_compareILb0ELb0EdNS0_19identity_decomposerEEEEE10hipError_tT0_T1_T2_jT3_P12ihipStream_tbPNSt15iterator_traitsISG_E10value_typeEPNSM_ISH_E10value_typeEPSI_NS1_7vsmem_tEENKUlT_SG_SH_SI_E_clIS7_S7_PlSB_EESF_SV_SG_SH_SI_EUlSV_E1_NS1_11comp_targetILNS1_3genE0ELNS1_11target_archE4294967295ELNS1_3gpuE0ELNS1_3repE0EEENS1_36merge_oddeven_config_static_selectorELNS0_4arch9wavefront6targetE1EEEvSH_ ; -- Begin function _ZN7rocprim17ROCPRIM_400000_NS6detail17trampoline_kernelINS0_14default_configENS1_38merge_sort_block_merge_config_selectorIdlEEZZNS1_27merge_sort_block_merge_implIS3_PdN6thrust23THRUST_200600_302600_NS10device_ptrIlEEjNS1_19radix_merge_compareILb0ELb0EdNS0_19identity_decomposerEEEEE10hipError_tT0_T1_T2_jT3_P12ihipStream_tbPNSt15iterator_traitsISG_E10value_typeEPNSM_ISH_E10value_typeEPSI_NS1_7vsmem_tEENKUlT_SG_SH_SI_E_clIS7_S7_PlSB_EESF_SV_SG_SH_SI_EUlSV_E1_NS1_11comp_targetILNS1_3genE0ELNS1_11target_archE4294967295ELNS1_3gpuE0ELNS1_3repE0EEENS1_36merge_oddeven_config_static_selectorELNS0_4arch9wavefront6targetE1EEEvSH_
	.globl	_ZN7rocprim17ROCPRIM_400000_NS6detail17trampoline_kernelINS0_14default_configENS1_38merge_sort_block_merge_config_selectorIdlEEZZNS1_27merge_sort_block_merge_implIS3_PdN6thrust23THRUST_200600_302600_NS10device_ptrIlEEjNS1_19radix_merge_compareILb0ELb0EdNS0_19identity_decomposerEEEEE10hipError_tT0_T1_T2_jT3_P12ihipStream_tbPNSt15iterator_traitsISG_E10value_typeEPNSM_ISH_E10value_typeEPSI_NS1_7vsmem_tEENKUlT_SG_SH_SI_E_clIS7_S7_PlSB_EESF_SV_SG_SH_SI_EUlSV_E1_NS1_11comp_targetILNS1_3genE0ELNS1_11target_archE4294967295ELNS1_3gpuE0ELNS1_3repE0EEENS1_36merge_oddeven_config_static_selectorELNS0_4arch9wavefront6targetE1EEEvSH_
	.p2align	8
	.type	_ZN7rocprim17ROCPRIM_400000_NS6detail17trampoline_kernelINS0_14default_configENS1_38merge_sort_block_merge_config_selectorIdlEEZZNS1_27merge_sort_block_merge_implIS3_PdN6thrust23THRUST_200600_302600_NS10device_ptrIlEEjNS1_19radix_merge_compareILb0ELb0EdNS0_19identity_decomposerEEEEE10hipError_tT0_T1_T2_jT3_P12ihipStream_tbPNSt15iterator_traitsISG_E10value_typeEPNSM_ISH_E10value_typeEPSI_NS1_7vsmem_tEENKUlT_SG_SH_SI_E_clIS7_S7_PlSB_EESF_SV_SG_SH_SI_EUlSV_E1_NS1_11comp_targetILNS1_3genE0ELNS1_11target_archE4294967295ELNS1_3gpuE0ELNS1_3repE0EEENS1_36merge_oddeven_config_static_selectorELNS0_4arch9wavefront6targetE1EEEvSH_,@function
_ZN7rocprim17ROCPRIM_400000_NS6detail17trampoline_kernelINS0_14default_configENS1_38merge_sort_block_merge_config_selectorIdlEEZZNS1_27merge_sort_block_merge_implIS3_PdN6thrust23THRUST_200600_302600_NS10device_ptrIlEEjNS1_19radix_merge_compareILb0ELb0EdNS0_19identity_decomposerEEEEE10hipError_tT0_T1_T2_jT3_P12ihipStream_tbPNSt15iterator_traitsISG_E10value_typeEPNSM_ISH_E10value_typeEPSI_NS1_7vsmem_tEENKUlT_SG_SH_SI_E_clIS7_S7_PlSB_EESF_SV_SG_SH_SI_EUlSV_E1_NS1_11comp_targetILNS1_3genE0ELNS1_11target_archE4294967295ELNS1_3gpuE0ELNS1_3repE0EEENS1_36merge_oddeven_config_static_selectorELNS0_4arch9wavefront6targetE1EEEvSH_: ; @_ZN7rocprim17ROCPRIM_400000_NS6detail17trampoline_kernelINS0_14default_configENS1_38merge_sort_block_merge_config_selectorIdlEEZZNS1_27merge_sort_block_merge_implIS3_PdN6thrust23THRUST_200600_302600_NS10device_ptrIlEEjNS1_19radix_merge_compareILb0ELb0EdNS0_19identity_decomposerEEEEE10hipError_tT0_T1_T2_jT3_P12ihipStream_tbPNSt15iterator_traitsISG_E10value_typeEPNSM_ISH_E10value_typeEPSI_NS1_7vsmem_tEENKUlT_SG_SH_SI_E_clIS7_S7_PlSB_EESF_SV_SG_SH_SI_EUlSV_E1_NS1_11comp_targetILNS1_3genE0ELNS1_11target_archE4294967295ELNS1_3gpuE0ELNS1_3repE0EEENS1_36merge_oddeven_config_static_selectorELNS0_4arch9wavefront6targetE1EEEvSH_
; %bb.0:
	.section	.rodata,"a",@progbits
	.p2align	6, 0x0
	.amdhsa_kernel _ZN7rocprim17ROCPRIM_400000_NS6detail17trampoline_kernelINS0_14default_configENS1_38merge_sort_block_merge_config_selectorIdlEEZZNS1_27merge_sort_block_merge_implIS3_PdN6thrust23THRUST_200600_302600_NS10device_ptrIlEEjNS1_19radix_merge_compareILb0ELb0EdNS0_19identity_decomposerEEEEE10hipError_tT0_T1_T2_jT3_P12ihipStream_tbPNSt15iterator_traitsISG_E10value_typeEPNSM_ISH_E10value_typeEPSI_NS1_7vsmem_tEENKUlT_SG_SH_SI_E_clIS7_S7_PlSB_EESF_SV_SG_SH_SI_EUlSV_E1_NS1_11comp_targetILNS1_3genE0ELNS1_11target_archE4294967295ELNS1_3gpuE0ELNS1_3repE0EEENS1_36merge_oddeven_config_static_selectorELNS0_4arch9wavefront6targetE1EEEvSH_
		.amdhsa_group_segment_fixed_size 0
		.amdhsa_private_segment_fixed_size 0
		.amdhsa_kernarg_size 48
		.amdhsa_user_sgpr_count 6
		.amdhsa_user_sgpr_private_segment_buffer 1
		.amdhsa_user_sgpr_dispatch_ptr 0
		.amdhsa_user_sgpr_queue_ptr 0
		.amdhsa_user_sgpr_kernarg_segment_ptr 1
		.amdhsa_user_sgpr_dispatch_id 0
		.amdhsa_user_sgpr_flat_scratch_init 0
		.amdhsa_user_sgpr_private_segment_size 0
		.amdhsa_uses_dynamic_stack 0
		.amdhsa_system_sgpr_private_segment_wavefront_offset 0
		.amdhsa_system_sgpr_workgroup_id_x 1
		.amdhsa_system_sgpr_workgroup_id_y 0
		.amdhsa_system_sgpr_workgroup_id_z 0
		.amdhsa_system_sgpr_workgroup_info 0
		.amdhsa_system_vgpr_workitem_id 0
		.amdhsa_next_free_vgpr 1
		.amdhsa_next_free_sgpr 0
		.amdhsa_reserve_vcc 0
		.amdhsa_reserve_flat_scratch 0
		.amdhsa_float_round_mode_32 0
		.amdhsa_float_round_mode_16_64 0
		.amdhsa_float_denorm_mode_32 3
		.amdhsa_float_denorm_mode_16_64 3
		.amdhsa_dx10_clamp 1
		.amdhsa_ieee_mode 1
		.amdhsa_fp16_overflow 0
		.amdhsa_exception_fp_ieee_invalid_op 0
		.amdhsa_exception_fp_denorm_src 0
		.amdhsa_exception_fp_ieee_div_zero 0
		.amdhsa_exception_fp_ieee_overflow 0
		.amdhsa_exception_fp_ieee_underflow 0
		.amdhsa_exception_fp_ieee_inexact 0
		.amdhsa_exception_int_div_zero 0
	.end_amdhsa_kernel
	.section	.text._ZN7rocprim17ROCPRIM_400000_NS6detail17trampoline_kernelINS0_14default_configENS1_38merge_sort_block_merge_config_selectorIdlEEZZNS1_27merge_sort_block_merge_implIS3_PdN6thrust23THRUST_200600_302600_NS10device_ptrIlEEjNS1_19radix_merge_compareILb0ELb0EdNS0_19identity_decomposerEEEEE10hipError_tT0_T1_T2_jT3_P12ihipStream_tbPNSt15iterator_traitsISG_E10value_typeEPNSM_ISH_E10value_typeEPSI_NS1_7vsmem_tEENKUlT_SG_SH_SI_E_clIS7_S7_PlSB_EESF_SV_SG_SH_SI_EUlSV_E1_NS1_11comp_targetILNS1_3genE0ELNS1_11target_archE4294967295ELNS1_3gpuE0ELNS1_3repE0EEENS1_36merge_oddeven_config_static_selectorELNS0_4arch9wavefront6targetE1EEEvSH_,"axG",@progbits,_ZN7rocprim17ROCPRIM_400000_NS6detail17trampoline_kernelINS0_14default_configENS1_38merge_sort_block_merge_config_selectorIdlEEZZNS1_27merge_sort_block_merge_implIS3_PdN6thrust23THRUST_200600_302600_NS10device_ptrIlEEjNS1_19radix_merge_compareILb0ELb0EdNS0_19identity_decomposerEEEEE10hipError_tT0_T1_T2_jT3_P12ihipStream_tbPNSt15iterator_traitsISG_E10value_typeEPNSM_ISH_E10value_typeEPSI_NS1_7vsmem_tEENKUlT_SG_SH_SI_E_clIS7_S7_PlSB_EESF_SV_SG_SH_SI_EUlSV_E1_NS1_11comp_targetILNS1_3genE0ELNS1_11target_archE4294967295ELNS1_3gpuE0ELNS1_3repE0EEENS1_36merge_oddeven_config_static_selectorELNS0_4arch9wavefront6targetE1EEEvSH_,comdat
.Lfunc_end1558:
	.size	_ZN7rocprim17ROCPRIM_400000_NS6detail17trampoline_kernelINS0_14default_configENS1_38merge_sort_block_merge_config_selectorIdlEEZZNS1_27merge_sort_block_merge_implIS3_PdN6thrust23THRUST_200600_302600_NS10device_ptrIlEEjNS1_19radix_merge_compareILb0ELb0EdNS0_19identity_decomposerEEEEE10hipError_tT0_T1_T2_jT3_P12ihipStream_tbPNSt15iterator_traitsISG_E10value_typeEPNSM_ISH_E10value_typeEPSI_NS1_7vsmem_tEENKUlT_SG_SH_SI_E_clIS7_S7_PlSB_EESF_SV_SG_SH_SI_EUlSV_E1_NS1_11comp_targetILNS1_3genE0ELNS1_11target_archE4294967295ELNS1_3gpuE0ELNS1_3repE0EEENS1_36merge_oddeven_config_static_selectorELNS0_4arch9wavefront6targetE1EEEvSH_, .Lfunc_end1558-_ZN7rocprim17ROCPRIM_400000_NS6detail17trampoline_kernelINS0_14default_configENS1_38merge_sort_block_merge_config_selectorIdlEEZZNS1_27merge_sort_block_merge_implIS3_PdN6thrust23THRUST_200600_302600_NS10device_ptrIlEEjNS1_19radix_merge_compareILb0ELb0EdNS0_19identity_decomposerEEEEE10hipError_tT0_T1_T2_jT3_P12ihipStream_tbPNSt15iterator_traitsISG_E10value_typeEPNSM_ISH_E10value_typeEPSI_NS1_7vsmem_tEENKUlT_SG_SH_SI_E_clIS7_S7_PlSB_EESF_SV_SG_SH_SI_EUlSV_E1_NS1_11comp_targetILNS1_3genE0ELNS1_11target_archE4294967295ELNS1_3gpuE0ELNS1_3repE0EEENS1_36merge_oddeven_config_static_selectorELNS0_4arch9wavefront6targetE1EEEvSH_
                                        ; -- End function
	.set _ZN7rocprim17ROCPRIM_400000_NS6detail17trampoline_kernelINS0_14default_configENS1_38merge_sort_block_merge_config_selectorIdlEEZZNS1_27merge_sort_block_merge_implIS3_PdN6thrust23THRUST_200600_302600_NS10device_ptrIlEEjNS1_19radix_merge_compareILb0ELb0EdNS0_19identity_decomposerEEEEE10hipError_tT0_T1_T2_jT3_P12ihipStream_tbPNSt15iterator_traitsISG_E10value_typeEPNSM_ISH_E10value_typeEPSI_NS1_7vsmem_tEENKUlT_SG_SH_SI_E_clIS7_S7_PlSB_EESF_SV_SG_SH_SI_EUlSV_E1_NS1_11comp_targetILNS1_3genE0ELNS1_11target_archE4294967295ELNS1_3gpuE0ELNS1_3repE0EEENS1_36merge_oddeven_config_static_selectorELNS0_4arch9wavefront6targetE1EEEvSH_.num_vgpr, 0
	.set _ZN7rocprim17ROCPRIM_400000_NS6detail17trampoline_kernelINS0_14default_configENS1_38merge_sort_block_merge_config_selectorIdlEEZZNS1_27merge_sort_block_merge_implIS3_PdN6thrust23THRUST_200600_302600_NS10device_ptrIlEEjNS1_19radix_merge_compareILb0ELb0EdNS0_19identity_decomposerEEEEE10hipError_tT0_T1_T2_jT3_P12ihipStream_tbPNSt15iterator_traitsISG_E10value_typeEPNSM_ISH_E10value_typeEPSI_NS1_7vsmem_tEENKUlT_SG_SH_SI_E_clIS7_S7_PlSB_EESF_SV_SG_SH_SI_EUlSV_E1_NS1_11comp_targetILNS1_3genE0ELNS1_11target_archE4294967295ELNS1_3gpuE0ELNS1_3repE0EEENS1_36merge_oddeven_config_static_selectorELNS0_4arch9wavefront6targetE1EEEvSH_.num_agpr, 0
	.set _ZN7rocprim17ROCPRIM_400000_NS6detail17trampoline_kernelINS0_14default_configENS1_38merge_sort_block_merge_config_selectorIdlEEZZNS1_27merge_sort_block_merge_implIS3_PdN6thrust23THRUST_200600_302600_NS10device_ptrIlEEjNS1_19radix_merge_compareILb0ELb0EdNS0_19identity_decomposerEEEEE10hipError_tT0_T1_T2_jT3_P12ihipStream_tbPNSt15iterator_traitsISG_E10value_typeEPNSM_ISH_E10value_typeEPSI_NS1_7vsmem_tEENKUlT_SG_SH_SI_E_clIS7_S7_PlSB_EESF_SV_SG_SH_SI_EUlSV_E1_NS1_11comp_targetILNS1_3genE0ELNS1_11target_archE4294967295ELNS1_3gpuE0ELNS1_3repE0EEENS1_36merge_oddeven_config_static_selectorELNS0_4arch9wavefront6targetE1EEEvSH_.numbered_sgpr, 0
	.set _ZN7rocprim17ROCPRIM_400000_NS6detail17trampoline_kernelINS0_14default_configENS1_38merge_sort_block_merge_config_selectorIdlEEZZNS1_27merge_sort_block_merge_implIS3_PdN6thrust23THRUST_200600_302600_NS10device_ptrIlEEjNS1_19radix_merge_compareILb0ELb0EdNS0_19identity_decomposerEEEEE10hipError_tT0_T1_T2_jT3_P12ihipStream_tbPNSt15iterator_traitsISG_E10value_typeEPNSM_ISH_E10value_typeEPSI_NS1_7vsmem_tEENKUlT_SG_SH_SI_E_clIS7_S7_PlSB_EESF_SV_SG_SH_SI_EUlSV_E1_NS1_11comp_targetILNS1_3genE0ELNS1_11target_archE4294967295ELNS1_3gpuE0ELNS1_3repE0EEENS1_36merge_oddeven_config_static_selectorELNS0_4arch9wavefront6targetE1EEEvSH_.num_named_barrier, 0
	.set _ZN7rocprim17ROCPRIM_400000_NS6detail17trampoline_kernelINS0_14default_configENS1_38merge_sort_block_merge_config_selectorIdlEEZZNS1_27merge_sort_block_merge_implIS3_PdN6thrust23THRUST_200600_302600_NS10device_ptrIlEEjNS1_19radix_merge_compareILb0ELb0EdNS0_19identity_decomposerEEEEE10hipError_tT0_T1_T2_jT3_P12ihipStream_tbPNSt15iterator_traitsISG_E10value_typeEPNSM_ISH_E10value_typeEPSI_NS1_7vsmem_tEENKUlT_SG_SH_SI_E_clIS7_S7_PlSB_EESF_SV_SG_SH_SI_EUlSV_E1_NS1_11comp_targetILNS1_3genE0ELNS1_11target_archE4294967295ELNS1_3gpuE0ELNS1_3repE0EEENS1_36merge_oddeven_config_static_selectorELNS0_4arch9wavefront6targetE1EEEvSH_.private_seg_size, 0
	.set _ZN7rocprim17ROCPRIM_400000_NS6detail17trampoline_kernelINS0_14default_configENS1_38merge_sort_block_merge_config_selectorIdlEEZZNS1_27merge_sort_block_merge_implIS3_PdN6thrust23THRUST_200600_302600_NS10device_ptrIlEEjNS1_19radix_merge_compareILb0ELb0EdNS0_19identity_decomposerEEEEE10hipError_tT0_T1_T2_jT3_P12ihipStream_tbPNSt15iterator_traitsISG_E10value_typeEPNSM_ISH_E10value_typeEPSI_NS1_7vsmem_tEENKUlT_SG_SH_SI_E_clIS7_S7_PlSB_EESF_SV_SG_SH_SI_EUlSV_E1_NS1_11comp_targetILNS1_3genE0ELNS1_11target_archE4294967295ELNS1_3gpuE0ELNS1_3repE0EEENS1_36merge_oddeven_config_static_selectorELNS0_4arch9wavefront6targetE1EEEvSH_.uses_vcc, 0
	.set _ZN7rocprim17ROCPRIM_400000_NS6detail17trampoline_kernelINS0_14default_configENS1_38merge_sort_block_merge_config_selectorIdlEEZZNS1_27merge_sort_block_merge_implIS3_PdN6thrust23THRUST_200600_302600_NS10device_ptrIlEEjNS1_19radix_merge_compareILb0ELb0EdNS0_19identity_decomposerEEEEE10hipError_tT0_T1_T2_jT3_P12ihipStream_tbPNSt15iterator_traitsISG_E10value_typeEPNSM_ISH_E10value_typeEPSI_NS1_7vsmem_tEENKUlT_SG_SH_SI_E_clIS7_S7_PlSB_EESF_SV_SG_SH_SI_EUlSV_E1_NS1_11comp_targetILNS1_3genE0ELNS1_11target_archE4294967295ELNS1_3gpuE0ELNS1_3repE0EEENS1_36merge_oddeven_config_static_selectorELNS0_4arch9wavefront6targetE1EEEvSH_.uses_flat_scratch, 0
	.set _ZN7rocprim17ROCPRIM_400000_NS6detail17trampoline_kernelINS0_14default_configENS1_38merge_sort_block_merge_config_selectorIdlEEZZNS1_27merge_sort_block_merge_implIS3_PdN6thrust23THRUST_200600_302600_NS10device_ptrIlEEjNS1_19radix_merge_compareILb0ELb0EdNS0_19identity_decomposerEEEEE10hipError_tT0_T1_T2_jT3_P12ihipStream_tbPNSt15iterator_traitsISG_E10value_typeEPNSM_ISH_E10value_typeEPSI_NS1_7vsmem_tEENKUlT_SG_SH_SI_E_clIS7_S7_PlSB_EESF_SV_SG_SH_SI_EUlSV_E1_NS1_11comp_targetILNS1_3genE0ELNS1_11target_archE4294967295ELNS1_3gpuE0ELNS1_3repE0EEENS1_36merge_oddeven_config_static_selectorELNS0_4arch9wavefront6targetE1EEEvSH_.has_dyn_sized_stack, 0
	.set _ZN7rocprim17ROCPRIM_400000_NS6detail17trampoline_kernelINS0_14default_configENS1_38merge_sort_block_merge_config_selectorIdlEEZZNS1_27merge_sort_block_merge_implIS3_PdN6thrust23THRUST_200600_302600_NS10device_ptrIlEEjNS1_19radix_merge_compareILb0ELb0EdNS0_19identity_decomposerEEEEE10hipError_tT0_T1_T2_jT3_P12ihipStream_tbPNSt15iterator_traitsISG_E10value_typeEPNSM_ISH_E10value_typeEPSI_NS1_7vsmem_tEENKUlT_SG_SH_SI_E_clIS7_S7_PlSB_EESF_SV_SG_SH_SI_EUlSV_E1_NS1_11comp_targetILNS1_3genE0ELNS1_11target_archE4294967295ELNS1_3gpuE0ELNS1_3repE0EEENS1_36merge_oddeven_config_static_selectorELNS0_4arch9wavefront6targetE1EEEvSH_.has_recursion, 0
	.set _ZN7rocprim17ROCPRIM_400000_NS6detail17trampoline_kernelINS0_14default_configENS1_38merge_sort_block_merge_config_selectorIdlEEZZNS1_27merge_sort_block_merge_implIS3_PdN6thrust23THRUST_200600_302600_NS10device_ptrIlEEjNS1_19radix_merge_compareILb0ELb0EdNS0_19identity_decomposerEEEEE10hipError_tT0_T1_T2_jT3_P12ihipStream_tbPNSt15iterator_traitsISG_E10value_typeEPNSM_ISH_E10value_typeEPSI_NS1_7vsmem_tEENKUlT_SG_SH_SI_E_clIS7_S7_PlSB_EESF_SV_SG_SH_SI_EUlSV_E1_NS1_11comp_targetILNS1_3genE0ELNS1_11target_archE4294967295ELNS1_3gpuE0ELNS1_3repE0EEENS1_36merge_oddeven_config_static_selectorELNS0_4arch9wavefront6targetE1EEEvSH_.has_indirect_call, 0
	.section	.AMDGPU.csdata,"",@progbits
; Kernel info:
; codeLenInByte = 0
; TotalNumSgprs: 4
; NumVgprs: 0
; ScratchSize: 0
; MemoryBound: 0
; FloatMode: 240
; IeeeMode: 1
; LDSByteSize: 0 bytes/workgroup (compile time only)
; SGPRBlocks: 0
; VGPRBlocks: 0
; NumSGPRsForWavesPerEU: 4
; NumVGPRsForWavesPerEU: 1
; Occupancy: 10
; WaveLimiterHint : 0
; COMPUTE_PGM_RSRC2:SCRATCH_EN: 0
; COMPUTE_PGM_RSRC2:USER_SGPR: 6
; COMPUTE_PGM_RSRC2:TRAP_HANDLER: 0
; COMPUTE_PGM_RSRC2:TGID_X_EN: 1
; COMPUTE_PGM_RSRC2:TGID_Y_EN: 0
; COMPUTE_PGM_RSRC2:TGID_Z_EN: 0
; COMPUTE_PGM_RSRC2:TIDIG_COMP_CNT: 0
	.section	.text._ZN7rocprim17ROCPRIM_400000_NS6detail17trampoline_kernelINS0_14default_configENS1_38merge_sort_block_merge_config_selectorIdlEEZZNS1_27merge_sort_block_merge_implIS3_PdN6thrust23THRUST_200600_302600_NS10device_ptrIlEEjNS1_19radix_merge_compareILb0ELb0EdNS0_19identity_decomposerEEEEE10hipError_tT0_T1_T2_jT3_P12ihipStream_tbPNSt15iterator_traitsISG_E10value_typeEPNSM_ISH_E10value_typeEPSI_NS1_7vsmem_tEENKUlT_SG_SH_SI_E_clIS7_S7_PlSB_EESF_SV_SG_SH_SI_EUlSV_E1_NS1_11comp_targetILNS1_3genE10ELNS1_11target_archE1201ELNS1_3gpuE5ELNS1_3repE0EEENS1_36merge_oddeven_config_static_selectorELNS0_4arch9wavefront6targetE1EEEvSH_,"axG",@progbits,_ZN7rocprim17ROCPRIM_400000_NS6detail17trampoline_kernelINS0_14default_configENS1_38merge_sort_block_merge_config_selectorIdlEEZZNS1_27merge_sort_block_merge_implIS3_PdN6thrust23THRUST_200600_302600_NS10device_ptrIlEEjNS1_19radix_merge_compareILb0ELb0EdNS0_19identity_decomposerEEEEE10hipError_tT0_T1_T2_jT3_P12ihipStream_tbPNSt15iterator_traitsISG_E10value_typeEPNSM_ISH_E10value_typeEPSI_NS1_7vsmem_tEENKUlT_SG_SH_SI_E_clIS7_S7_PlSB_EESF_SV_SG_SH_SI_EUlSV_E1_NS1_11comp_targetILNS1_3genE10ELNS1_11target_archE1201ELNS1_3gpuE5ELNS1_3repE0EEENS1_36merge_oddeven_config_static_selectorELNS0_4arch9wavefront6targetE1EEEvSH_,comdat
	.protected	_ZN7rocprim17ROCPRIM_400000_NS6detail17trampoline_kernelINS0_14default_configENS1_38merge_sort_block_merge_config_selectorIdlEEZZNS1_27merge_sort_block_merge_implIS3_PdN6thrust23THRUST_200600_302600_NS10device_ptrIlEEjNS1_19radix_merge_compareILb0ELb0EdNS0_19identity_decomposerEEEEE10hipError_tT0_T1_T2_jT3_P12ihipStream_tbPNSt15iterator_traitsISG_E10value_typeEPNSM_ISH_E10value_typeEPSI_NS1_7vsmem_tEENKUlT_SG_SH_SI_E_clIS7_S7_PlSB_EESF_SV_SG_SH_SI_EUlSV_E1_NS1_11comp_targetILNS1_3genE10ELNS1_11target_archE1201ELNS1_3gpuE5ELNS1_3repE0EEENS1_36merge_oddeven_config_static_selectorELNS0_4arch9wavefront6targetE1EEEvSH_ ; -- Begin function _ZN7rocprim17ROCPRIM_400000_NS6detail17trampoline_kernelINS0_14default_configENS1_38merge_sort_block_merge_config_selectorIdlEEZZNS1_27merge_sort_block_merge_implIS3_PdN6thrust23THRUST_200600_302600_NS10device_ptrIlEEjNS1_19radix_merge_compareILb0ELb0EdNS0_19identity_decomposerEEEEE10hipError_tT0_T1_T2_jT3_P12ihipStream_tbPNSt15iterator_traitsISG_E10value_typeEPNSM_ISH_E10value_typeEPSI_NS1_7vsmem_tEENKUlT_SG_SH_SI_E_clIS7_S7_PlSB_EESF_SV_SG_SH_SI_EUlSV_E1_NS1_11comp_targetILNS1_3genE10ELNS1_11target_archE1201ELNS1_3gpuE5ELNS1_3repE0EEENS1_36merge_oddeven_config_static_selectorELNS0_4arch9wavefront6targetE1EEEvSH_
	.globl	_ZN7rocprim17ROCPRIM_400000_NS6detail17trampoline_kernelINS0_14default_configENS1_38merge_sort_block_merge_config_selectorIdlEEZZNS1_27merge_sort_block_merge_implIS3_PdN6thrust23THRUST_200600_302600_NS10device_ptrIlEEjNS1_19radix_merge_compareILb0ELb0EdNS0_19identity_decomposerEEEEE10hipError_tT0_T1_T2_jT3_P12ihipStream_tbPNSt15iterator_traitsISG_E10value_typeEPNSM_ISH_E10value_typeEPSI_NS1_7vsmem_tEENKUlT_SG_SH_SI_E_clIS7_S7_PlSB_EESF_SV_SG_SH_SI_EUlSV_E1_NS1_11comp_targetILNS1_3genE10ELNS1_11target_archE1201ELNS1_3gpuE5ELNS1_3repE0EEENS1_36merge_oddeven_config_static_selectorELNS0_4arch9wavefront6targetE1EEEvSH_
	.p2align	8
	.type	_ZN7rocprim17ROCPRIM_400000_NS6detail17trampoline_kernelINS0_14default_configENS1_38merge_sort_block_merge_config_selectorIdlEEZZNS1_27merge_sort_block_merge_implIS3_PdN6thrust23THRUST_200600_302600_NS10device_ptrIlEEjNS1_19radix_merge_compareILb0ELb0EdNS0_19identity_decomposerEEEEE10hipError_tT0_T1_T2_jT3_P12ihipStream_tbPNSt15iterator_traitsISG_E10value_typeEPNSM_ISH_E10value_typeEPSI_NS1_7vsmem_tEENKUlT_SG_SH_SI_E_clIS7_S7_PlSB_EESF_SV_SG_SH_SI_EUlSV_E1_NS1_11comp_targetILNS1_3genE10ELNS1_11target_archE1201ELNS1_3gpuE5ELNS1_3repE0EEENS1_36merge_oddeven_config_static_selectorELNS0_4arch9wavefront6targetE1EEEvSH_,@function
_ZN7rocprim17ROCPRIM_400000_NS6detail17trampoline_kernelINS0_14default_configENS1_38merge_sort_block_merge_config_selectorIdlEEZZNS1_27merge_sort_block_merge_implIS3_PdN6thrust23THRUST_200600_302600_NS10device_ptrIlEEjNS1_19radix_merge_compareILb0ELb0EdNS0_19identity_decomposerEEEEE10hipError_tT0_T1_T2_jT3_P12ihipStream_tbPNSt15iterator_traitsISG_E10value_typeEPNSM_ISH_E10value_typeEPSI_NS1_7vsmem_tEENKUlT_SG_SH_SI_E_clIS7_S7_PlSB_EESF_SV_SG_SH_SI_EUlSV_E1_NS1_11comp_targetILNS1_3genE10ELNS1_11target_archE1201ELNS1_3gpuE5ELNS1_3repE0EEENS1_36merge_oddeven_config_static_selectorELNS0_4arch9wavefront6targetE1EEEvSH_: ; @_ZN7rocprim17ROCPRIM_400000_NS6detail17trampoline_kernelINS0_14default_configENS1_38merge_sort_block_merge_config_selectorIdlEEZZNS1_27merge_sort_block_merge_implIS3_PdN6thrust23THRUST_200600_302600_NS10device_ptrIlEEjNS1_19radix_merge_compareILb0ELb0EdNS0_19identity_decomposerEEEEE10hipError_tT0_T1_T2_jT3_P12ihipStream_tbPNSt15iterator_traitsISG_E10value_typeEPNSM_ISH_E10value_typeEPSI_NS1_7vsmem_tEENKUlT_SG_SH_SI_E_clIS7_S7_PlSB_EESF_SV_SG_SH_SI_EUlSV_E1_NS1_11comp_targetILNS1_3genE10ELNS1_11target_archE1201ELNS1_3gpuE5ELNS1_3repE0EEENS1_36merge_oddeven_config_static_selectorELNS0_4arch9wavefront6targetE1EEEvSH_
; %bb.0:
	.section	.rodata,"a",@progbits
	.p2align	6, 0x0
	.amdhsa_kernel _ZN7rocprim17ROCPRIM_400000_NS6detail17trampoline_kernelINS0_14default_configENS1_38merge_sort_block_merge_config_selectorIdlEEZZNS1_27merge_sort_block_merge_implIS3_PdN6thrust23THRUST_200600_302600_NS10device_ptrIlEEjNS1_19radix_merge_compareILb0ELb0EdNS0_19identity_decomposerEEEEE10hipError_tT0_T1_T2_jT3_P12ihipStream_tbPNSt15iterator_traitsISG_E10value_typeEPNSM_ISH_E10value_typeEPSI_NS1_7vsmem_tEENKUlT_SG_SH_SI_E_clIS7_S7_PlSB_EESF_SV_SG_SH_SI_EUlSV_E1_NS1_11comp_targetILNS1_3genE10ELNS1_11target_archE1201ELNS1_3gpuE5ELNS1_3repE0EEENS1_36merge_oddeven_config_static_selectorELNS0_4arch9wavefront6targetE1EEEvSH_
		.amdhsa_group_segment_fixed_size 0
		.amdhsa_private_segment_fixed_size 0
		.amdhsa_kernarg_size 48
		.amdhsa_user_sgpr_count 6
		.amdhsa_user_sgpr_private_segment_buffer 1
		.amdhsa_user_sgpr_dispatch_ptr 0
		.amdhsa_user_sgpr_queue_ptr 0
		.amdhsa_user_sgpr_kernarg_segment_ptr 1
		.amdhsa_user_sgpr_dispatch_id 0
		.amdhsa_user_sgpr_flat_scratch_init 0
		.amdhsa_user_sgpr_private_segment_size 0
		.amdhsa_uses_dynamic_stack 0
		.amdhsa_system_sgpr_private_segment_wavefront_offset 0
		.amdhsa_system_sgpr_workgroup_id_x 1
		.amdhsa_system_sgpr_workgroup_id_y 0
		.amdhsa_system_sgpr_workgroup_id_z 0
		.amdhsa_system_sgpr_workgroup_info 0
		.amdhsa_system_vgpr_workitem_id 0
		.amdhsa_next_free_vgpr 1
		.amdhsa_next_free_sgpr 0
		.amdhsa_reserve_vcc 0
		.amdhsa_reserve_flat_scratch 0
		.amdhsa_float_round_mode_32 0
		.amdhsa_float_round_mode_16_64 0
		.amdhsa_float_denorm_mode_32 3
		.amdhsa_float_denorm_mode_16_64 3
		.amdhsa_dx10_clamp 1
		.amdhsa_ieee_mode 1
		.amdhsa_fp16_overflow 0
		.amdhsa_exception_fp_ieee_invalid_op 0
		.amdhsa_exception_fp_denorm_src 0
		.amdhsa_exception_fp_ieee_div_zero 0
		.amdhsa_exception_fp_ieee_overflow 0
		.amdhsa_exception_fp_ieee_underflow 0
		.amdhsa_exception_fp_ieee_inexact 0
		.amdhsa_exception_int_div_zero 0
	.end_amdhsa_kernel
	.section	.text._ZN7rocprim17ROCPRIM_400000_NS6detail17trampoline_kernelINS0_14default_configENS1_38merge_sort_block_merge_config_selectorIdlEEZZNS1_27merge_sort_block_merge_implIS3_PdN6thrust23THRUST_200600_302600_NS10device_ptrIlEEjNS1_19radix_merge_compareILb0ELb0EdNS0_19identity_decomposerEEEEE10hipError_tT0_T1_T2_jT3_P12ihipStream_tbPNSt15iterator_traitsISG_E10value_typeEPNSM_ISH_E10value_typeEPSI_NS1_7vsmem_tEENKUlT_SG_SH_SI_E_clIS7_S7_PlSB_EESF_SV_SG_SH_SI_EUlSV_E1_NS1_11comp_targetILNS1_3genE10ELNS1_11target_archE1201ELNS1_3gpuE5ELNS1_3repE0EEENS1_36merge_oddeven_config_static_selectorELNS0_4arch9wavefront6targetE1EEEvSH_,"axG",@progbits,_ZN7rocprim17ROCPRIM_400000_NS6detail17trampoline_kernelINS0_14default_configENS1_38merge_sort_block_merge_config_selectorIdlEEZZNS1_27merge_sort_block_merge_implIS3_PdN6thrust23THRUST_200600_302600_NS10device_ptrIlEEjNS1_19radix_merge_compareILb0ELb0EdNS0_19identity_decomposerEEEEE10hipError_tT0_T1_T2_jT3_P12ihipStream_tbPNSt15iterator_traitsISG_E10value_typeEPNSM_ISH_E10value_typeEPSI_NS1_7vsmem_tEENKUlT_SG_SH_SI_E_clIS7_S7_PlSB_EESF_SV_SG_SH_SI_EUlSV_E1_NS1_11comp_targetILNS1_3genE10ELNS1_11target_archE1201ELNS1_3gpuE5ELNS1_3repE0EEENS1_36merge_oddeven_config_static_selectorELNS0_4arch9wavefront6targetE1EEEvSH_,comdat
.Lfunc_end1559:
	.size	_ZN7rocprim17ROCPRIM_400000_NS6detail17trampoline_kernelINS0_14default_configENS1_38merge_sort_block_merge_config_selectorIdlEEZZNS1_27merge_sort_block_merge_implIS3_PdN6thrust23THRUST_200600_302600_NS10device_ptrIlEEjNS1_19radix_merge_compareILb0ELb0EdNS0_19identity_decomposerEEEEE10hipError_tT0_T1_T2_jT3_P12ihipStream_tbPNSt15iterator_traitsISG_E10value_typeEPNSM_ISH_E10value_typeEPSI_NS1_7vsmem_tEENKUlT_SG_SH_SI_E_clIS7_S7_PlSB_EESF_SV_SG_SH_SI_EUlSV_E1_NS1_11comp_targetILNS1_3genE10ELNS1_11target_archE1201ELNS1_3gpuE5ELNS1_3repE0EEENS1_36merge_oddeven_config_static_selectorELNS0_4arch9wavefront6targetE1EEEvSH_, .Lfunc_end1559-_ZN7rocprim17ROCPRIM_400000_NS6detail17trampoline_kernelINS0_14default_configENS1_38merge_sort_block_merge_config_selectorIdlEEZZNS1_27merge_sort_block_merge_implIS3_PdN6thrust23THRUST_200600_302600_NS10device_ptrIlEEjNS1_19radix_merge_compareILb0ELb0EdNS0_19identity_decomposerEEEEE10hipError_tT0_T1_T2_jT3_P12ihipStream_tbPNSt15iterator_traitsISG_E10value_typeEPNSM_ISH_E10value_typeEPSI_NS1_7vsmem_tEENKUlT_SG_SH_SI_E_clIS7_S7_PlSB_EESF_SV_SG_SH_SI_EUlSV_E1_NS1_11comp_targetILNS1_3genE10ELNS1_11target_archE1201ELNS1_3gpuE5ELNS1_3repE0EEENS1_36merge_oddeven_config_static_selectorELNS0_4arch9wavefront6targetE1EEEvSH_
                                        ; -- End function
	.set _ZN7rocprim17ROCPRIM_400000_NS6detail17trampoline_kernelINS0_14default_configENS1_38merge_sort_block_merge_config_selectorIdlEEZZNS1_27merge_sort_block_merge_implIS3_PdN6thrust23THRUST_200600_302600_NS10device_ptrIlEEjNS1_19radix_merge_compareILb0ELb0EdNS0_19identity_decomposerEEEEE10hipError_tT0_T1_T2_jT3_P12ihipStream_tbPNSt15iterator_traitsISG_E10value_typeEPNSM_ISH_E10value_typeEPSI_NS1_7vsmem_tEENKUlT_SG_SH_SI_E_clIS7_S7_PlSB_EESF_SV_SG_SH_SI_EUlSV_E1_NS1_11comp_targetILNS1_3genE10ELNS1_11target_archE1201ELNS1_3gpuE5ELNS1_3repE0EEENS1_36merge_oddeven_config_static_selectorELNS0_4arch9wavefront6targetE1EEEvSH_.num_vgpr, 0
	.set _ZN7rocprim17ROCPRIM_400000_NS6detail17trampoline_kernelINS0_14default_configENS1_38merge_sort_block_merge_config_selectorIdlEEZZNS1_27merge_sort_block_merge_implIS3_PdN6thrust23THRUST_200600_302600_NS10device_ptrIlEEjNS1_19radix_merge_compareILb0ELb0EdNS0_19identity_decomposerEEEEE10hipError_tT0_T1_T2_jT3_P12ihipStream_tbPNSt15iterator_traitsISG_E10value_typeEPNSM_ISH_E10value_typeEPSI_NS1_7vsmem_tEENKUlT_SG_SH_SI_E_clIS7_S7_PlSB_EESF_SV_SG_SH_SI_EUlSV_E1_NS1_11comp_targetILNS1_3genE10ELNS1_11target_archE1201ELNS1_3gpuE5ELNS1_3repE0EEENS1_36merge_oddeven_config_static_selectorELNS0_4arch9wavefront6targetE1EEEvSH_.num_agpr, 0
	.set _ZN7rocprim17ROCPRIM_400000_NS6detail17trampoline_kernelINS0_14default_configENS1_38merge_sort_block_merge_config_selectorIdlEEZZNS1_27merge_sort_block_merge_implIS3_PdN6thrust23THRUST_200600_302600_NS10device_ptrIlEEjNS1_19radix_merge_compareILb0ELb0EdNS0_19identity_decomposerEEEEE10hipError_tT0_T1_T2_jT3_P12ihipStream_tbPNSt15iterator_traitsISG_E10value_typeEPNSM_ISH_E10value_typeEPSI_NS1_7vsmem_tEENKUlT_SG_SH_SI_E_clIS7_S7_PlSB_EESF_SV_SG_SH_SI_EUlSV_E1_NS1_11comp_targetILNS1_3genE10ELNS1_11target_archE1201ELNS1_3gpuE5ELNS1_3repE0EEENS1_36merge_oddeven_config_static_selectorELNS0_4arch9wavefront6targetE1EEEvSH_.numbered_sgpr, 0
	.set _ZN7rocprim17ROCPRIM_400000_NS6detail17trampoline_kernelINS0_14default_configENS1_38merge_sort_block_merge_config_selectorIdlEEZZNS1_27merge_sort_block_merge_implIS3_PdN6thrust23THRUST_200600_302600_NS10device_ptrIlEEjNS1_19radix_merge_compareILb0ELb0EdNS0_19identity_decomposerEEEEE10hipError_tT0_T1_T2_jT3_P12ihipStream_tbPNSt15iterator_traitsISG_E10value_typeEPNSM_ISH_E10value_typeEPSI_NS1_7vsmem_tEENKUlT_SG_SH_SI_E_clIS7_S7_PlSB_EESF_SV_SG_SH_SI_EUlSV_E1_NS1_11comp_targetILNS1_3genE10ELNS1_11target_archE1201ELNS1_3gpuE5ELNS1_3repE0EEENS1_36merge_oddeven_config_static_selectorELNS0_4arch9wavefront6targetE1EEEvSH_.num_named_barrier, 0
	.set _ZN7rocprim17ROCPRIM_400000_NS6detail17trampoline_kernelINS0_14default_configENS1_38merge_sort_block_merge_config_selectorIdlEEZZNS1_27merge_sort_block_merge_implIS3_PdN6thrust23THRUST_200600_302600_NS10device_ptrIlEEjNS1_19radix_merge_compareILb0ELb0EdNS0_19identity_decomposerEEEEE10hipError_tT0_T1_T2_jT3_P12ihipStream_tbPNSt15iterator_traitsISG_E10value_typeEPNSM_ISH_E10value_typeEPSI_NS1_7vsmem_tEENKUlT_SG_SH_SI_E_clIS7_S7_PlSB_EESF_SV_SG_SH_SI_EUlSV_E1_NS1_11comp_targetILNS1_3genE10ELNS1_11target_archE1201ELNS1_3gpuE5ELNS1_3repE0EEENS1_36merge_oddeven_config_static_selectorELNS0_4arch9wavefront6targetE1EEEvSH_.private_seg_size, 0
	.set _ZN7rocprim17ROCPRIM_400000_NS6detail17trampoline_kernelINS0_14default_configENS1_38merge_sort_block_merge_config_selectorIdlEEZZNS1_27merge_sort_block_merge_implIS3_PdN6thrust23THRUST_200600_302600_NS10device_ptrIlEEjNS1_19radix_merge_compareILb0ELb0EdNS0_19identity_decomposerEEEEE10hipError_tT0_T1_T2_jT3_P12ihipStream_tbPNSt15iterator_traitsISG_E10value_typeEPNSM_ISH_E10value_typeEPSI_NS1_7vsmem_tEENKUlT_SG_SH_SI_E_clIS7_S7_PlSB_EESF_SV_SG_SH_SI_EUlSV_E1_NS1_11comp_targetILNS1_3genE10ELNS1_11target_archE1201ELNS1_3gpuE5ELNS1_3repE0EEENS1_36merge_oddeven_config_static_selectorELNS0_4arch9wavefront6targetE1EEEvSH_.uses_vcc, 0
	.set _ZN7rocprim17ROCPRIM_400000_NS6detail17trampoline_kernelINS0_14default_configENS1_38merge_sort_block_merge_config_selectorIdlEEZZNS1_27merge_sort_block_merge_implIS3_PdN6thrust23THRUST_200600_302600_NS10device_ptrIlEEjNS1_19radix_merge_compareILb0ELb0EdNS0_19identity_decomposerEEEEE10hipError_tT0_T1_T2_jT3_P12ihipStream_tbPNSt15iterator_traitsISG_E10value_typeEPNSM_ISH_E10value_typeEPSI_NS1_7vsmem_tEENKUlT_SG_SH_SI_E_clIS7_S7_PlSB_EESF_SV_SG_SH_SI_EUlSV_E1_NS1_11comp_targetILNS1_3genE10ELNS1_11target_archE1201ELNS1_3gpuE5ELNS1_3repE0EEENS1_36merge_oddeven_config_static_selectorELNS0_4arch9wavefront6targetE1EEEvSH_.uses_flat_scratch, 0
	.set _ZN7rocprim17ROCPRIM_400000_NS6detail17trampoline_kernelINS0_14default_configENS1_38merge_sort_block_merge_config_selectorIdlEEZZNS1_27merge_sort_block_merge_implIS3_PdN6thrust23THRUST_200600_302600_NS10device_ptrIlEEjNS1_19radix_merge_compareILb0ELb0EdNS0_19identity_decomposerEEEEE10hipError_tT0_T1_T2_jT3_P12ihipStream_tbPNSt15iterator_traitsISG_E10value_typeEPNSM_ISH_E10value_typeEPSI_NS1_7vsmem_tEENKUlT_SG_SH_SI_E_clIS7_S7_PlSB_EESF_SV_SG_SH_SI_EUlSV_E1_NS1_11comp_targetILNS1_3genE10ELNS1_11target_archE1201ELNS1_3gpuE5ELNS1_3repE0EEENS1_36merge_oddeven_config_static_selectorELNS0_4arch9wavefront6targetE1EEEvSH_.has_dyn_sized_stack, 0
	.set _ZN7rocprim17ROCPRIM_400000_NS6detail17trampoline_kernelINS0_14default_configENS1_38merge_sort_block_merge_config_selectorIdlEEZZNS1_27merge_sort_block_merge_implIS3_PdN6thrust23THRUST_200600_302600_NS10device_ptrIlEEjNS1_19radix_merge_compareILb0ELb0EdNS0_19identity_decomposerEEEEE10hipError_tT0_T1_T2_jT3_P12ihipStream_tbPNSt15iterator_traitsISG_E10value_typeEPNSM_ISH_E10value_typeEPSI_NS1_7vsmem_tEENKUlT_SG_SH_SI_E_clIS7_S7_PlSB_EESF_SV_SG_SH_SI_EUlSV_E1_NS1_11comp_targetILNS1_3genE10ELNS1_11target_archE1201ELNS1_3gpuE5ELNS1_3repE0EEENS1_36merge_oddeven_config_static_selectorELNS0_4arch9wavefront6targetE1EEEvSH_.has_recursion, 0
	.set _ZN7rocprim17ROCPRIM_400000_NS6detail17trampoline_kernelINS0_14default_configENS1_38merge_sort_block_merge_config_selectorIdlEEZZNS1_27merge_sort_block_merge_implIS3_PdN6thrust23THRUST_200600_302600_NS10device_ptrIlEEjNS1_19radix_merge_compareILb0ELb0EdNS0_19identity_decomposerEEEEE10hipError_tT0_T1_T2_jT3_P12ihipStream_tbPNSt15iterator_traitsISG_E10value_typeEPNSM_ISH_E10value_typeEPSI_NS1_7vsmem_tEENKUlT_SG_SH_SI_E_clIS7_S7_PlSB_EESF_SV_SG_SH_SI_EUlSV_E1_NS1_11comp_targetILNS1_3genE10ELNS1_11target_archE1201ELNS1_3gpuE5ELNS1_3repE0EEENS1_36merge_oddeven_config_static_selectorELNS0_4arch9wavefront6targetE1EEEvSH_.has_indirect_call, 0
	.section	.AMDGPU.csdata,"",@progbits
; Kernel info:
; codeLenInByte = 0
; TotalNumSgprs: 4
; NumVgprs: 0
; ScratchSize: 0
; MemoryBound: 0
; FloatMode: 240
; IeeeMode: 1
; LDSByteSize: 0 bytes/workgroup (compile time only)
; SGPRBlocks: 0
; VGPRBlocks: 0
; NumSGPRsForWavesPerEU: 4
; NumVGPRsForWavesPerEU: 1
; Occupancy: 10
; WaveLimiterHint : 0
; COMPUTE_PGM_RSRC2:SCRATCH_EN: 0
; COMPUTE_PGM_RSRC2:USER_SGPR: 6
; COMPUTE_PGM_RSRC2:TRAP_HANDLER: 0
; COMPUTE_PGM_RSRC2:TGID_X_EN: 1
; COMPUTE_PGM_RSRC2:TGID_Y_EN: 0
; COMPUTE_PGM_RSRC2:TGID_Z_EN: 0
; COMPUTE_PGM_RSRC2:TIDIG_COMP_CNT: 0
	.section	.text._ZN7rocprim17ROCPRIM_400000_NS6detail17trampoline_kernelINS0_14default_configENS1_38merge_sort_block_merge_config_selectorIdlEEZZNS1_27merge_sort_block_merge_implIS3_PdN6thrust23THRUST_200600_302600_NS10device_ptrIlEEjNS1_19radix_merge_compareILb0ELb0EdNS0_19identity_decomposerEEEEE10hipError_tT0_T1_T2_jT3_P12ihipStream_tbPNSt15iterator_traitsISG_E10value_typeEPNSM_ISH_E10value_typeEPSI_NS1_7vsmem_tEENKUlT_SG_SH_SI_E_clIS7_S7_PlSB_EESF_SV_SG_SH_SI_EUlSV_E1_NS1_11comp_targetILNS1_3genE5ELNS1_11target_archE942ELNS1_3gpuE9ELNS1_3repE0EEENS1_36merge_oddeven_config_static_selectorELNS0_4arch9wavefront6targetE1EEEvSH_,"axG",@progbits,_ZN7rocprim17ROCPRIM_400000_NS6detail17trampoline_kernelINS0_14default_configENS1_38merge_sort_block_merge_config_selectorIdlEEZZNS1_27merge_sort_block_merge_implIS3_PdN6thrust23THRUST_200600_302600_NS10device_ptrIlEEjNS1_19radix_merge_compareILb0ELb0EdNS0_19identity_decomposerEEEEE10hipError_tT0_T1_T2_jT3_P12ihipStream_tbPNSt15iterator_traitsISG_E10value_typeEPNSM_ISH_E10value_typeEPSI_NS1_7vsmem_tEENKUlT_SG_SH_SI_E_clIS7_S7_PlSB_EESF_SV_SG_SH_SI_EUlSV_E1_NS1_11comp_targetILNS1_3genE5ELNS1_11target_archE942ELNS1_3gpuE9ELNS1_3repE0EEENS1_36merge_oddeven_config_static_selectorELNS0_4arch9wavefront6targetE1EEEvSH_,comdat
	.protected	_ZN7rocprim17ROCPRIM_400000_NS6detail17trampoline_kernelINS0_14default_configENS1_38merge_sort_block_merge_config_selectorIdlEEZZNS1_27merge_sort_block_merge_implIS3_PdN6thrust23THRUST_200600_302600_NS10device_ptrIlEEjNS1_19radix_merge_compareILb0ELb0EdNS0_19identity_decomposerEEEEE10hipError_tT0_T1_T2_jT3_P12ihipStream_tbPNSt15iterator_traitsISG_E10value_typeEPNSM_ISH_E10value_typeEPSI_NS1_7vsmem_tEENKUlT_SG_SH_SI_E_clIS7_S7_PlSB_EESF_SV_SG_SH_SI_EUlSV_E1_NS1_11comp_targetILNS1_3genE5ELNS1_11target_archE942ELNS1_3gpuE9ELNS1_3repE0EEENS1_36merge_oddeven_config_static_selectorELNS0_4arch9wavefront6targetE1EEEvSH_ ; -- Begin function _ZN7rocprim17ROCPRIM_400000_NS6detail17trampoline_kernelINS0_14default_configENS1_38merge_sort_block_merge_config_selectorIdlEEZZNS1_27merge_sort_block_merge_implIS3_PdN6thrust23THRUST_200600_302600_NS10device_ptrIlEEjNS1_19radix_merge_compareILb0ELb0EdNS0_19identity_decomposerEEEEE10hipError_tT0_T1_T2_jT3_P12ihipStream_tbPNSt15iterator_traitsISG_E10value_typeEPNSM_ISH_E10value_typeEPSI_NS1_7vsmem_tEENKUlT_SG_SH_SI_E_clIS7_S7_PlSB_EESF_SV_SG_SH_SI_EUlSV_E1_NS1_11comp_targetILNS1_3genE5ELNS1_11target_archE942ELNS1_3gpuE9ELNS1_3repE0EEENS1_36merge_oddeven_config_static_selectorELNS0_4arch9wavefront6targetE1EEEvSH_
	.globl	_ZN7rocprim17ROCPRIM_400000_NS6detail17trampoline_kernelINS0_14default_configENS1_38merge_sort_block_merge_config_selectorIdlEEZZNS1_27merge_sort_block_merge_implIS3_PdN6thrust23THRUST_200600_302600_NS10device_ptrIlEEjNS1_19radix_merge_compareILb0ELb0EdNS0_19identity_decomposerEEEEE10hipError_tT0_T1_T2_jT3_P12ihipStream_tbPNSt15iterator_traitsISG_E10value_typeEPNSM_ISH_E10value_typeEPSI_NS1_7vsmem_tEENKUlT_SG_SH_SI_E_clIS7_S7_PlSB_EESF_SV_SG_SH_SI_EUlSV_E1_NS1_11comp_targetILNS1_3genE5ELNS1_11target_archE942ELNS1_3gpuE9ELNS1_3repE0EEENS1_36merge_oddeven_config_static_selectorELNS0_4arch9wavefront6targetE1EEEvSH_
	.p2align	8
	.type	_ZN7rocprim17ROCPRIM_400000_NS6detail17trampoline_kernelINS0_14default_configENS1_38merge_sort_block_merge_config_selectorIdlEEZZNS1_27merge_sort_block_merge_implIS3_PdN6thrust23THRUST_200600_302600_NS10device_ptrIlEEjNS1_19radix_merge_compareILb0ELb0EdNS0_19identity_decomposerEEEEE10hipError_tT0_T1_T2_jT3_P12ihipStream_tbPNSt15iterator_traitsISG_E10value_typeEPNSM_ISH_E10value_typeEPSI_NS1_7vsmem_tEENKUlT_SG_SH_SI_E_clIS7_S7_PlSB_EESF_SV_SG_SH_SI_EUlSV_E1_NS1_11comp_targetILNS1_3genE5ELNS1_11target_archE942ELNS1_3gpuE9ELNS1_3repE0EEENS1_36merge_oddeven_config_static_selectorELNS0_4arch9wavefront6targetE1EEEvSH_,@function
_ZN7rocprim17ROCPRIM_400000_NS6detail17trampoline_kernelINS0_14default_configENS1_38merge_sort_block_merge_config_selectorIdlEEZZNS1_27merge_sort_block_merge_implIS3_PdN6thrust23THRUST_200600_302600_NS10device_ptrIlEEjNS1_19radix_merge_compareILb0ELb0EdNS0_19identity_decomposerEEEEE10hipError_tT0_T1_T2_jT3_P12ihipStream_tbPNSt15iterator_traitsISG_E10value_typeEPNSM_ISH_E10value_typeEPSI_NS1_7vsmem_tEENKUlT_SG_SH_SI_E_clIS7_S7_PlSB_EESF_SV_SG_SH_SI_EUlSV_E1_NS1_11comp_targetILNS1_3genE5ELNS1_11target_archE942ELNS1_3gpuE9ELNS1_3repE0EEENS1_36merge_oddeven_config_static_selectorELNS0_4arch9wavefront6targetE1EEEvSH_: ; @_ZN7rocprim17ROCPRIM_400000_NS6detail17trampoline_kernelINS0_14default_configENS1_38merge_sort_block_merge_config_selectorIdlEEZZNS1_27merge_sort_block_merge_implIS3_PdN6thrust23THRUST_200600_302600_NS10device_ptrIlEEjNS1_19radix_merge_compareILb0ELb0EdNS0_19identity_decomposerEEEEE10hipError_tT0_T1_T2_jT3_P12ihipStream_tbPNSt15iterator_traitsISG_E10value_typeEPNSM_ISH_E10value_typeEPSI_NS1_7vsmem_tEENKUlT_SG_SH_SI_E_clIS7_S7_PlSB_EESF_SV_SG_SH_SI_EUlSV_E1_NS1_11comp_targetILNS1_3genE5ELNS1_11target_archE942ELNS1_3gpuE9ELNS1_3repE0EEENS1_36merge_oddeven_config_static_selectorELNS0_4arch9wavefront6targetE1EEEvSH_
; %bb.0:
	.section	.rodata,"a",@progbits
	.p2align	6, 0x0
	.amdhsa_kernel _ZN7rocprim17ROCPRIM_400000_NS6detail17trampoline_kernelINS0_14default_configENS1_38merge_sort_block_merge_config_selectorIdlEEZZNS1_27merge_sort_block_merge_implIS3_PdN6thrust23THRUST_200600_302600_NS10device_ptrIlEEjNS1_19radix_merge_compareILb0ELb0EdNS0_19identity_decomposerEEEEE10hipError_tT0_T1_T2_jT3_P12ihipStream_tbPNSt15iterator_traitsISG_E10value_typeEPNSM_ISH_E10value_typeEPSI_NS1_7vsmem_tEENKUlT_SG_SH_SI_E_clIS7_S7_PlSB_EESF_SV_SG_SH_SI_EUlSV_E1_NS1_11comp_targetILNS1_3genE5ELNS1_11target_archE942ELNS1_3gpuE9ELNS1_3repE0EEENS1_36merge_oddeven_config_static_selectorELNS0_4arch9wavefront6targetE1EEEvSH_
		.amdhsa_group_segment_fixed_size 0
		.amdhsa_private_segment_fixed_size 0
		.amdhsa_kernarg_size 48
		.amdhsa_user_sgpr_count 6
		.amdhsa_user_sgpr_private_segment_buffer 1
		.amdhsa_user_sgpr_dispatch_ptr 0
		.amdhsa_user_sgpr_queue_ptr 0
		.amdhsa_user_sgpr_kernarg_segment_ptr 1
		.amdhsa_user_sgpr_dispatch_id 0
		.amdhsa_user_sgpr_flat_scratch_init 0
		.amdhsa_user_sgpr_private_segment_size 0
		.amdhsa_uses_dynamic_stack 0
		.amdhsa_system_sgpr_private_segment_wavefront_offset 0
		.amdhsa_system_sgpr_workgroup_id_x 1
		.amdhsa_system_sgpr_workgroup_id_y 0
		.amdhsa_system_sgpr_workgroup_id_z 0
		.amdhsa_system_sgpr_workgroup_info 0
		.amdhsa_system_vgpr_workitem_id 0
		.amdhsa_next_free_vgpr 1
		.amdhsa_next_free_sgpr 0
		.amdhsa_reserve_vcc 0
		.amdhsa_reserve_flat_scratch 0
		.amdhsa_float_round_mode_32 0
		.amdhsa_float_round_mode_16_64 0
		.amdhsa_float_denorm_mode_32 3
		.amdhsa_float_denorm_mode_16_64 3
		.amdhsa_dx10_clamp 1
		.amdhsa_ieee_mode 1
		.amdhsa_fp16_overflow 0
		.amdhsa_exception_fp_ieee_invalid_op 0
		.amdhsa_exception_fp_denorm_src 0
		.amdhsa_exception_fp_ieee_div_zero 0
		.amdhsa_exception_fp_ieee_overflow 0
		.amdhsa_exception_fp_ieee_underflow 0
		.amdhsa_exception_fp_ieee_inexact 0
		.amdhsa_exception_int_div_zero 0
	.end_amdhsa_kernel
	.section	.text._ZN7rocprim17ROCPRIM_400000_NS6detail17trampoline_kernelINS0_14default_configENS1_38merge_sort_block_merge_config_selectorIdlEEZZNS1_27merge_sort_block_merge_implIS3_PdN6thrust23THRUST_200600_302600_NS10device_ptrIlEEjNS1_19radix_merge_compareILb0ELb0EdNS0_19identity_decomposerEEEEE10hipError_tT0_T1_T2_jT3_P12ihipStream_tbPNSt15iterator_traitsISG_E10value_typeEPNSM_ISH_E10value_typeEPSI_NS1_7vsmem_tEENKUlT_SG_SH_SI_E_clIS7_S7_PlSB_EESF_SV_SG_SH_SI_EUlSV_E1_NS1_11comp_targetILNS1_3genE5ELNS1_11target_archE942ELNS1_3gpuE9ELNS1_3repE0EEENS1_36merge_oddeven_config_static_selectorELNS0_4arch9wavefront6targetE1EEEvSH_,"axG",@progbits,_ZN7rocprim17ROCPRIM_400000_NS6detail17trampoline_kernelINS0_14default_configENS1_38merge_sort_block_merge_config_selectorIdlEEZZNS1_27merge_sort_block_merge_implIS3_PdN6thrust23THRUST_200600_302600_NS10device_ptrIlEEjNS1_19radix_merge_compareILb0ELb0EdNS0_19identity_decomposerEEEEE10hipError_tT0_T1_T2_jT3_P12ihipStream_tbPNSt15iterator_traitsISG_E10value_typeEPNSM_ISH_E10value_typeEPSI_NS1_7vsmem_tEENKUlT_SG_SH_SI_E_clIS7_S7_PlSB_EESF_SV_SG_SH_SI_EUlSV_E1_NS1_11comp_targetILNS1_3genE5ELNS1_11target_archE942ELNS1_3gpuE9ELNS1_3repE0EEENS1_36merge_oddeven_config_static_selectorELNS0_4arch9wavefront6targetE1EEEvSH_,comdat
.Lfunc_end1560:
	.size	_ZN7rocprim17ROCPRIM_400000_NS6detail17trampoline_kernelINS0_14default_configENS1_38merge_sort_block_merge_config_selectorIdlEEZZNS1_27merge_sort_block_merge_implIS3_PdN6thrust23THRUST_200600_302600_NS10device_ptrIlEEjNS1_19radix_merge_compareILb0ELb0EdNS0_19identity_decomposerEEEEE10hipError_tT0_T1_T2_jT3_P12ihipStream_tbPNSt15iterator_traitsISG_E10value_typeEPNSM_ISH_E10value_typeEPSI_NS1_7vsmem_tEENKUlT_SG_SH_SI_E_clIS7_S7_PlSB_EESF_SV_SG_SH_SI_EUlSV_E1_NS1_11comp_targetILNS1_3genE5ELNS1_11target_archE942ELNS1_3gpuE9ELNS1_3repE0EEENS1_36merge_oddeven_config_static_selectorELNS0_4arch9wavefront6targetE1EEEvSH_, .Lfunc_end1560-_ZN7rocprim17ROCPRIM_400000_NS6detail17trampoline_kernelINS0_14default_configENS1_38merge_sort_block_merge_config_selectorIdlEEZZNS1_27merge_sort_block_merge_implIS3_PdN6thrust23THRUST_200600_302600_NS10device_ptrIlEEjNS1_19radix_merge_compareILb0ELb0EdNS0_19identity_decomposerEEEEE10hipError_tT0_T1_T2_jT3_P12ihipStream_tbPNSt15iterator_traitsISG_E10value_typeEPNSM_ISH_E10value_typeEPSI_NS1_7vsmem_tEENKUlT_SG_SH_SI_E_clIS7_S7_PlSB_EESF_SV_SG_SH_SI_EUlSV_E1_NS1_11comp_targetILNS1_3genE5ELNS1_11target_archE942ELNS1_3gpuE9ELNS1_3repE0EEENS1_36merge_oddeven_config_static_selectorELNS0_4arch9wavefront6targetE1EEEvSH_
                                        ; -- End function
	.set _ZN7rocprim17ROCPRIM_400000_NS6detail17trampoline_kernelINS0_14default_configENS1_38merge_sort_block_merge_config_selectorIdlEEZZNS1_27merge_sort_block_merge_implIS3_PdN6thrust23THRUST_200600_302600_NS10device_ptrIlEEjNS1_19radix_merge_compareILb0ELb0EdNS0_19identity_decomposerEEEEE10hipError_tT0_T1_T2_jT3_P12ihipStream_tbPNSt15iterator_traitsISG_E10value_typeEPNSM_ISH_E10value_typeEPSI_NS1_7vsmem_tEENKUlT_SG_SH_SI_E_clIS7_S7_PlSB_EESF_SV_SG_SH_SI_EUlSV_E1_NS1_11comp_targetILNS1_3genE5ELNS1_11target_archE942ELNS1_3gpuE9ELNS1_3repE0EEENS1_36merge_oddeven_config_static_selectorELNS0_4arch9wavefront6targetE1EEEvSH_.num_vgpr, 0
	.set _ZN7rocprim17ROCPRIM_400000_NS6detail17trampoline_kernelINS0_14default_configENS1_38merge_sort_block_merge_config_selectorIdlEEZZNS1_27merge_sort_block_merge_implIS3_PdN6thrust23THRUST_200600_302600_NS10device_ptrIlEEjNS1_19radix_merge_compareILb0ELb0EdNS0_19identity_decomposerEEEEE10hipError_tT0_T1_T2_jT3_P12ihipStream_tbPNSt15iterator_traitsISG_E10value_typeEPNSM_ISH_E10value_typeEPSI_NS1_7vsmem_tEENKUlT_SG_SH_SI_E_clIS7_S7_PlSB_EESF_SV_SG_SH_SI_EUlSV_E1_NS1_11comp_targetILNS1_3genE5ELNS1_11target_archE942ELNS1_3gpuE9ELNS1_3repE0EEENS1_36merge_oddeven_config_static_selectorELNS0_4arch9wavefront6targetE1EEEvSH_.num_agpr, 0
	.set _ZN7rocprim17ROCPRIM_400000_NS6detail17trampoline_kernelINS0_14default_configENS1_38merge_sort_block_merge_config_selectorIdlEEZZNS1_27merge_sort_block_merge_implIS3_PdN6thrust23THRUST_200600_302600_NS10device_ptrIlEEjNS1_19radix_merge_compareILb0ELb0EdNS0_19identity_decomposerEEEEE10hipError_tT0_T1_T2_jT3_P12ihipStream_tbPNSt15iterator_traitsISG_E10value_typeEPNSM_ISH_E10value_typeEPSI_NS1_7vsmem_tEENKUlT_SG_SH_SI_E_clIS7_S7_PlSB_EESF_SV_SG_SH_SI_EUlSV_E1_NS1_11comp_targetILNS1_3genE5ELNS1_11target_archE942ELNS1_3gpuE9ELNS1_3repE0EEENS1_36merge_oddeven_config_static_selectorELNS0_4arch9wavefront6targetE1EEEvSH_.numbered_sgpr, 0
	.set _ZN7rocprim17ROCPRIM_400000_NS6detail17trampoline_kernelINS0_14default_configENS1_38merge_sort_block_merge_config_selectorIdlEEZZNS1_27merge_sort_block_merge_implIS3_PdN6thrust23THRUST_200600_302600_NS10device_ptrIlEEjNS1_19radix_merge_compareILb0ELb0EdNS0_19identity_decomposerEEEEE10hipError_tT0_T1_T2_jT3_P12ihipStream_tbPNSt15iterator_traitsISG_E10value_typeEPNSM_ISH_E10value_typeEPSI_NS1_7vsmem_tEENKUlT_SG_SH_SI_E_clIS7_S7_PlSB_EESF_SV_SG_SH_SI_EUlSV_E1_NS1_11comp_targetILNS1_3genE5ELNS1_11target_archE942ELNS1_3gpuE9ELNS1_3repE0EEENS1_36merge_oddeven_config_static_selectorELNS0_4arch9wavefront6targetE1EEEvSH_.num_named_barrier, 0
	.set _ZN7rocprim17ROCPRIM_400000_NS6detail17trampoline_kernelINS0_14default_configENS1_38merge_sort_block_merge_config_selectorIdlEEZZNS1_27merge_sort_block_merge_implIS3_PdN6thrust23THRUST_200600_302600_NS10device_ptrIlEEjNS1_19radix_merge_compareILb0ELb0EdNS0_19identity_decomposerEEEEE10hipError_tT0_T1_T2_jT3_P12ihipStream_tbPNSt15iterator_traitsISG_E10value_typeEPNSM_ISH_E10value_typeEPSI_NS1_7vsmem_tEENKUlT_SG_SH_SI_E_clIS7_S7_PlSB_EESF_SV_SG_SH_SI_EUlSV_E1_NS1_11comp_targetILNS1_3genE5ELNS1_11target_archE942ELNS1_3gpuE9ELNS1_3repE0EEENS1_36merge_oddeven_config_static_selectorELNS0_4arch9wavefront6targetE1EEEvSH_.private_seg_size, 0
	.set _ZN7rocprim17ROCPRIM_400000_NS6detail17trampoline_kernelINS0_14default_configENS1_38merge_sort_block_merge_config_selectorIdlEEZZNS1_27merge_sort_block_merge_implIS3_PdN6thrust23THRUST_200600_302600_NS10device_ptrIlEEjNS1_19radix_merge_compareILb0ELb0EdNS0_19identity_decomposerEEEEE10hipError_tT0_T1_T2_jT3_P12ihipStream_tbPNSt15iterator_traitsISG_E10value_typeEPNSM_ISH_E10value_typeEPSI_NS1_7vsmem_tEENKUlT_SG_SH_SI_E_clIS7_S7_PlSB_EESF_SV_SG_SH_SI_EUlSV_E1_NS1_11comp_targetILNS1_3genE5ELNS1_11target_archE942ELNS1_3gpuE9ELNS1_3repE0EEENS1_36merge_oddeven_config_static_selectorELNS0_4arch9wavefront6targetE1EEEvSH_.uses_vcc, 0
	.set _ZN7rocprim17ROCPRIM_400000_NS6detail17trampoline_kernelINS0_14default_configENS1_38merge_sort_block_merge_config_selectorIdlEEZZNS1_27merge_sort_block_merge_implIS3_PdN6thrust23THRUST_200600_302600_NS10device_ptrIlEEjNS1_19radix_merge_compareILb0ELb0EdNS0_19identity_decomposerEEEEE10hipError_tT0_T1_T2_jT3_P12ihipStream_tbPNSt15iterator_traitsISG_E10value_typeEPNSM_ISH_E10value_typeEPSI_NS1_7vsmem_tEENKUlT_SG_SH_SI_E_clIS7_S7_PlSB_EESF_SV_SG_SH_SI_EUlSV_E1_NS1_11comp_targetILNS1_3genE5ELNS1_11target_archE942ELNS1_3gpuE9ELNS1_3repE0EEENS1_36merge_oddeven_config_static_selectorELNS0_4arch9wavefront6targetE1EEEvSH_.uses_flat_scratch, 0
	.set _ZN7rocprim17ROCPRIM_400000_NS6detail17trampoline_kernelINS0_14default_configENS1_38merge_sort_block_merge_config_selectorIdlEEZZNS1_27merge_sort_block_merge_implIS3_PdN6thrust23THRUST_200600_302600_NS10device_ptrIlEEjNS1_19radix_merge_compareILb0ELb0EdNS0_19identity_decomposerEEEEE10hipError_tT0_T1_T2_jT3_P12ihipStream_tbPNSt15iterator_traitsISG_E10value_typeEPNSM_ISH_E10value_typeEPSI_NS1_7vsmem_tEENKUlT_SG_SH_SI_E_clIS7_S7_PlSB_EESF_SV_SG_SH_SI_EUlSV_E1_NS1_11comp_targetILNS1_3genE5ELNS1_11target_archE942ELNS1_3gpuE9ELNS1_3repE0EEENS1_36merge_oddeven_config_static_selectorELNS0_4arch9wavefront6targetE1EEEvSH_.has_dyn_sized_stack, 0
	.set _ZN7rocprim17ROCPRIM_400000_NS6detail17trampoline_kernelINS0_14default_configENS1_38merge_sort_block_merge_config_selectorIdlEEZZNS1_27merge_sort_block_merge_implIS3_PdN6thrust23THRUST_200600_302600_NS10device_ptrIlEEjNS1_19radix_merge_compareILb0ELb0EdNS0_19identity_decomposerEEEEE10hipError_tT0_T1_T2_jT3_P12ihipStream_tbPNSt15iterator_traitsISG_E10value_typeEPNSM_ISH_E10value_typeEPSI_NS1_7vsmem_tEENKUlT_SG_SH_SI_E_clIS7_S7_PlSB_EESF_SV_SG_SH_SI_EUlSV_E1_NS1_11comp_targetILNS1_3genE5ELNS1_11target_archE942ELNS1_3gpuE9ELNS1_3repE0EEENS1_36merge_oddeven_config_static_selectorELNS0_4arch9wavefront6targetE1EEEvSH_.has_recursion, 0
	.set _ZN7rocprim17ROCPRIM_400000_NS6detail17trampoline_kernelINS0_14default_configENS1_38merge_sort_block_merge_config_selectorIdlEEZZNS1_27merge_sort_block_merge_implIS3_PdN6thrust23THRUST_200600_302600_NS10device_ptrIlEEjNS1_19radix_merge_compareILb0ELb0EdNS0_19identity_decomposerEEEEE10hipError_tT0_T1_T2_jT3_P12ihipStream_tbPNSt15iterator_traitsISG_E10value_typeEPNSM_ISH_E10value_typeEPSI_NS1_7vsmem_tEENKUlT_SG_SH_SI_E_clIS7_S7_PlSB_EESF_SV_SG_SH_SI_EUlSV_E1_NS1_11comp_targetILNS1_3genE5ELNS1_11target_archE942ELNS1_3gpuE9ELNS1_3repE0EEENS1_36merge_oddeven_config_static_selectorELNS0_4arch9wavefront6targetE1EEEvSH_.has_indirect_call, 0
	.section	.AMDGPU.csdata,"",@progbits
; Kernel info:
; codeLenInByte = 0
; TotalNumSgprs: 4
; NumVgprs: 0
; ScratchSize: 0
; MemoryBound: 0
; FloatMode: 240
; IeeeMode: 1
; LDSByteSize: 0 bytes/workgroup (compile time only)
; SGPRBlocks: 0
; VGPRBlocks: 0
; NumSGPRsForWavesPerEU: 4
; NumVGPRsForWavesPerEU: 1
; Occupancy: 10
; WaveLimiterHint : 0
; COMPUTE_PGM_RSRC2:SCRATCH_EN: 0
; COMPUTE_PGM_RSRC2:USER_SGPR: 6
; COMPUTE_PGM_RSRC2:TRAP_HANDLER: 0
; COMPUTE_PGM_RSRC2:TGID_X_EN: 1
; COMPUTE_PGM_RSRC2:TGID_Y_EN: 0
; COMPUTE_PGM_RSRC2:TGID_Z_EN: 0
; COMPUTE_PGM_RSRC2:TIDIG_COMP_CNT: 0
	.section	.text._ZN7rocprim17ROCPRIM_400000_NS6detail17trampoline_kernelINS0_14default_configENS1_38merge_sort_block_merge_config_selectorIdlEEZZNS1_27merge_sort_block_merge_implIS3_PdN6thrust23THRUST_200600_302600_NS10device_ptrIlEEjNS1_19radix_merge_compareILb0ELb0EdNS0_19identity_decomposerEEEEE10hipError_tT0_T1_T2_jT3_P12ihipStream_tbPNSt15iterator_traitsISG_E10value_typeEPNSM_ISH_E10value_typeEPSI_NS1_7vsmem_tEENKUlT_SG_SH_SI_E_clIS7_S7_PlSB_EESF_SV_SG_SH_SI_EUlSV_E1_NS1_11comp_targetILNS1_3genE4ELNS1_11target_archE910ELNS1_3gpuE8ELNS1_3repE0EEENS1_36merge_oddeven_config_static_selectorELNS0_4arch9wavefront6targetE1EEEvSH_,"axG",@progbits,_ZN7rocprim17ROCPRIM_400000_NS6detail17trampoline_kernelINS0_14default_configENS1_38merge_sort_block_merge_config_selectorIdlEEZZNS1_27merge_sort_block_merge_implIS3_PdN6thrust23THRUST_200600_302600_NS10device_ptrIlEEjNS1_19radix_merge_compareILb0ELb0EdNS0_19identity_decomposerEEEEE10hipError_tT0_T1_T2_jT3_P12ihipStream_tbPNSt15iterator_traitsISG_E10value_typeEPNSM_ISH_E10value_typeEPSI_NS1_7vsmem_tEENKUlT_SG_SH_SI_E_clIS7_S7_PlSB_EESF_SV_SG_SH_SI_EUlSV_E1_NS1_11comp_targetILNS1_3genE4ELNS1_11target_archE910ELNS1_3gpuE8ELNS1_3repE0EEENS1_36merge_oddeven_config_static_selectorELNS0_4arch9wavefront6targetE1EEEvSH_,comdat
	.protected	_ZN7rocprim17ROCPRIM_400000_NS6detail17trampoline_kernelINS0_14default_configENS1_38merge_sort_block_merge_config_selectorIdlEEZZNS1_27merge_sort_block_merge_implIS3_PdN6thrust23THRUST_200600_302600_NS10device_ptrIlEEjNS1_19radix_merge_compareILb0ELb0EdNS0_19identity_decomposerEEEEE10hipError_tT0_T1_T2_jT3_P12ihipStream_tbPNSt15iterator_traitsISG_E10value_typeEPNSM_ISH_E10value_typeEPSI_NS1_7vsmem_tEENKUlT_SG_SH_SI_E_clIS7_S7_PlSB_EESF_SV_SG_SH_SI_EUlSV_E1_NS1_11comp_targetILNS1_3genE4ELNS1_11target_archE910ELNS1_3gpuE8ELNS1_3repE0EEENS1_36merge_oddeven_config_static_selectorELNS0_4arch9wavefront6targetE1EEEvSH_ ; -- Begin function _ZN7rocprim17ROCPRIM_400000_NS6detail17trampoline_kernelINS0_14default_configENS1_38merge_sort_block_merge_config_selectorIdlEEZZNS1_27merge_sort_block_merge_implIS3_PdN6thrust23THRUST_200600_302600_NS10device_ptrIlEEjNS1_19radix_merge_compareILb0ELb0EdNS0_19identity_decomposerEEEEE10hipError_tT0_T1_T2_jT3_P12ihipStream_tbPNSt15iterator_traitsISG_E10value_typeEPNSM_ISH_E10value_typeEPSI_NS1_7vsmem_tEENKUlT_SG_SH_SI_E_clIS7_S7_PlSB_EESF_SV_SG_SH_SI_EUlSV_E1_NS1_11comp_targetILNS1_3genE4ELNS1_11target_archE910ELNS1_3gpuE8ELNS1_3repE0EEENS1_36merge_oddeven_config_static_selectorELNS0_4arch9wavefront6targetE1EEEvSH_
	.globl	_ZN7rocprim17ROCPRIM_400000_NS6detail17trampoline_kernelINS0_14default_configENS1_38merge_sort_block_merge_config_selectorIdlEEZZNS1_27merge_sort_block_merge_implIS3_PdN6thrust23THRUST_200600_302600_NS10device_ptrIlEEjNS1_19radix_merge_compareILb0ELb0EdNS0_19identity_decomposerEEEEE10hipError_tT0_T1_T2_jT3_P12ihipStream_tbPNSt15iterator_traitsISG_E10value_typeEPNSM_ISH_E10value_typeEPSI_NS1_7vsmem_tEENKUlT_SG_SH_SI_E_clIS7_S7_PlSB_EESF_SV_SG_SH_SI_EUlSV_E1_NS1_11comp_targetILNS1_3genE4ELNS1_11target_archE910ELNS1_3gpuE8ELNS1_3repE0EEENS1_36merge_oddeven_config_static_selectorELNS0_4arch9wavefront6targetE1EEEvSH_
	.p2align	8
	.type	_ZN7rocprim17ROCPRIM_400000_NS6detail17trampoline_kernelINS0_14default_configENS1_38merge_sort_block_merge_config_selectorIdlEEZZNS1_27merge_sort_block_merge_implIS3_PdN6thrust23THRUST_200600_302600_NS10device_ptrIlEEjNS1_19radix_merge_compareILb0ELb0EdNS0_19identity_decomposerEEEEE10hipError_tT0_T1_T2_jT3_P12ihipStream_tbPNSt15iterator_traitsISG_E10value_typeEPNSM_ISH_E10value_typeEPSI_NS1_7vsmem_tEENKUlT_SG_SH_SI_E_clIS7_S7_PlSB_EESF_SV_SG_SH_SI_EUlSV_E1_NS1_11comp_targetILNS1_3genE4ELNS1_11target_archE910ELNS1_3gpuE8ELNS1_3repE0EEENS1_36merge_oddeven_config_static_selectorELNS0_4arch9wavefront6targetE1EEEvSH_,@function
_ZN7rocprim17ROCPRIM_400000_NS6detail17trampoline_kernelINS0_14default_configENS1_38merge_sort_block_merge_config_selectorIdlEEZZNS1_27merge_sort_block_merge_implIS3_PdN6thrust23THRUST_200600_302600_NS10device_ptrIlEEjNS1_19radix_merge_compareILb0ELb0EdNS0_19identity_decomposerEEEEE10hipError_tT0_T1_T2_jT3_P12ihipStream_tbPNSt15iterator_traitsISG_E10value_typeEPNSM_ISH_E10value_typeEPSI_NS1_7vsmem_tEENKUlT_SG_SH_SI_E_clIS7_S7_PlSB_EESF_SV_SG_SH_SI_EUlSV_E1_NS1_11comp_targetILNS1_3genE4ELNS1_11target_archE910ELNS1_3gpuE8ELNS1_3repE0EEENS1_36merge_oddeven_config_static_selectorELNS0_4arch9wavefront6targetE1EEEvSH_: ; @_ZN7rocprim17ROCPRIM_400000_NS6detail17trampoline_kernelINS0_14default_configENS1_38merge_sort_block_merge_config_selectorIdlEEZZNS1_27merge_sort_block_merge_implIS3_PdN6thrust23THRUST_200600_302600_NS10device_ptrIlEEjNS1_19radix_merge_compareILb0ELb0EdNS0_19identity_decomposerEEEEE10hipError_tT0_T1_T2_jT3_P12ihipStream_tbPNSt15iterator_traitsISG_E10value_typeEPNSM_ISH_E10value_typeEPSI_NS1_7vsmem_tEENKUlT_SG_SH_SI_E_clIS7_S7_PlSB_EESF_SV_SG_SH_SI_EUlSV_E1_NS1_11comp_targetILNS1_3genE4ELNS1_11target_archE910ELNS1_3gpuE8ELNS1_3repE0EEENS1_36merge_oddeven_config_static_selectorELNS0_4arch9wavefront6targetE1EEEvSH_
; %bb.0:
	.section	.rodata,"a",@progbits
	.p2align	6, 0x0
	.amdhsa_kernel _ZN7rocprim17ROCPRIM_400000_NS6detail17trampoline_kernelINS0_14default_configENS1_38merge_sort_block_merge_config_selectorIdlEEZZNS1_27merge_sort_block_merge_implIS3_PdN6thrust23THRUST_200600_302600_NS10device_ptrIlEEjNS1_19radix_merge_compareILb0ELb0EdNS0_19identity_decomposerEEEEE10hipError_tT0_T1_T2_jT3_P12ihipStream_tbPNSt15iterator_traitsISG_E10value_typeEPNSM_ISH_E10value_typeEPSI_NS1_7vsmem_tEENKUlT_SG_SH_SI_E_clIS7_S7_PlSB_EESF_SV_SG_SH_SI_EUlSV_E1_NS1_11comp_targetILNS1_3genE4ELNS1_11target_archE910ELNS1_3gpuE8ELNS1_3repE0EEENS1_36merge_oddeven_config_static_selectorELNS0_4arch9wavefront6targetE1EEEvSH_
		.amdhsa_group_segment_fixed_size 0
		.amdhsa_private_segment_fixed_size 0
		.amdhsa_kernarg_size 48
		.amdhsa_user_sgpr_count 6
		.amdhsa_user_sgpr_private_segment_buffer 1
		.amdhsa_user_sgpr_dispatch_ptr 0
		.amdhsa_user_sgpr_queue_ptr 0
		.amdhsa_user_sgpr_kernarg_segment_ptr 1
		.amdhsa_user_sgpr_dispatch_id 0
		.amdhsa_user_sgpr_flat_scratch_init 0
		.amdhsa_user_sgpr_private_segment_size 0
		.amdhsa_uses_dynamic_stack 0
		.amdhsa_system_sgpr_private_segment_wavefront_offset 0
		.amdhsa_system_sgpr_workgroup_id_x 1
		.amdhsa_system_sgpr_workgroup_id_y 0
		.amdhsa_system_sgpr_workgroup_id_z 0
		.amdhsa_system_sgpr_workgroup_info 0
		.amdhsa_system_vgpr_workitem_id 0
		.amdhsa_next_free_vgpr 1
		.amdhsa_next_free_sgpr 0
		.amdhsa_reserve_vcc 0
		.amdhsa_reserve_flat_scratch 0
		.amdhsa_float_round_mode_32 0
		.amdhsa_float_round_mode_16_64 0
		.amdhsa_float_denorm_mode_32 3
		.amdhsa_float_denorm_mode_16_64 3
		.amdhsa_dx10_clamp 1
		.amdhsa_ieee_mode 1
		.amdhsa_fp16_overflow 0
		.amdhsa_exception_fp_ieee_invalid_op 0
		.amdhsa_exception_fp_denorm_src 0
		.amdhsa_exception_fp_ieee_div_zero 0
		.amdhsa_exception_fp_ieee_overflow 0
		.amdhsa_exception_fp_ieee_underflow 0
		.amdhsa_exception_fp_ieee_inexact 0
		.amdhsa_exception_int_div_zero 0
	.end_amdhsa_kernel
	.section	.text._ZN7rocprim17ROCPRIM_400000_NS6detail17trampoline_kernelINS0_14default_configENS1_38merge_sort_block_merge_config_selectorIdlEEZZNS1_27merge_sort_block_merge_implIS3_PdN6thrust23THRUST_200600_302600_NS10device_ptrIlEEjNS1_19radix_merge_compareILb0ELb0EdNS0_19identity_decomposerEEEEE10hipError_tT0_T1_T2_jT3_P12ihipStream_tbPNSt15iterator_traitsISG_E10value_typeEPNSM_ISH_E10value_typeEPSI_NS1_7vsmem_tEENKUlT_SG_SH_SI_E_clIS7_S7_PlSB_EESF_SV_SG_SH_SI_EUlSV_E1_NS1_11comp_targetILNS1_3genE4ELNS1_11target_archE910ELNS1_3gpuE8ELNS1_3repE0EEENS1_36merge_oddeven_config_static_selectorELNS0_4arch9wavefront6targetE1EEEvSH_,"axG",@progbits,_ZN7rocprim17ROCPRIM_400000_NS6detail17trampoline_kernelINS0_14default_configENS1_38merge_sort_block_merge_config_selectorIdlEEZZNS1_27merge_sort_block_merge_implIS3_PdN6thrust23THRUST_200600_302600_NS10device_ptrIlEEjNS1_19radix_merge_compareILb0ELb0EdNS0_19identity_decomposerEEEEE10hipError_tT0_T1_T2_jT3_P12ihipStream_tbPNSt15iterator_traitsISG_E10value_typeEPNSM_ISH_E10value_typeEPSI_NS1_7vsmem_tEENKUlT_SG_SH_SI_E_clIS7_S7_PlSB_EESF_SV_SG_SH_SI_EUlSV_E1_NS1_11comp_targetILNS1_3genE4ELNS1_11target_archE910ELNS1_3gpuE8ELNS1_3repE0EEENS1_36merge_oddeven_config_static_selectorELNS0_4arch9wavefront6targetE1EEEvSH_,comdat
.Lfunc_end1561:
	.size	_ZN7rocprim17ROCPRIM_400000_NS6detail17trampoline_kernelINS0_14default_configENS1_38merge_sort_block_merge_config_selectorIdlEEZZNS1_27merge_sort_block_merge_implIS3_PdN6thrust23THRUST_200600_302600_NS10device_ptrIlEEjNS1_19radix_merge_compareILb0ELb0EdNS0_19identity_decomposerEEEEE10hipError_tT0_T1_T2_jT3_P12ihipStream_tbPNSt15iterator_traitsISG_E10value_typeEPNSM_ISH_E10value_typeEPSI_NS1_7vsmem_tEENKUlT_SG_SH_SI_E_clIS7_S7_PlSB_EESF_SV_SG_SH_SI_EUlSV_E1_NS1_11comp_targetILNS1_3genE4ELNS1_11target_archE910ELNS1_3gpuE8ELNS1_3repE0EEENS1_36merge_oddeven_config_static_selectorELNS0_4arch9wavefront6targetE1EEEvSH_, .Lfunc_end1561-_ZN7rocprim17ROCPRIM_400000_NS6detail17trampoline_kernelINS0_14default_configENS1_38merge_sort_block_merge_config_selectorIdlEEZZNS1_27merge_sort_block_merge_implIS3_PdN6thrust23THRUST_200600_302600_NS10device_ptrIlEEjNS1_19radix_merge_compareILb0ELb0EdNS0_19identity_decomposerEEEEE10hipError_tT0_T1_T2_jT3_P12ihipStream_tbPNSt15iterator_traitsISG_E10value_typeEPNSM_ISH_E10value_typeEPSI_NS1_7vsmem_tEENKUlT_SG_SH_SI_E_clIS7_S7_PlSB_EESF_SV_SG_SH_SI_EUlSV_E1_NS1_11comp_targetILNS1_3genE4ELNS1_11target_archE910ELNS1_3gpuE8ELNS1_3repE0EEENS1_36merge_oddeven_config_static_selectorELNS0_4arch9wavefront6targetE1EEEvSH_
                                        ; -- End function
	.set _ZN7rocprim17ROCPRIM_400000_NS6detail17trampoline_kernelINS0_14default_configENS1_38merge_sort_block_merge_config_selectorIdlEEZZNS1_27merge_sort_block_merge_implIS3_PdN6thrust23THRUST_200600_302600_NS10device_ptrIlEEjNS1_19radix_merge_compareILb0ELb0EdNS0_19identity_decomposerEEEEE10hipError_tT0_T1_T2_jT3_P12ihipStream_tbPNSt15iterator_traitsISG_E10value_typeEPNSM_ISH_E10value_typeEPSI_NS1_7vsmem_tEENKUlT_SG_SH_SI_E_clIS7_S7_PlSB_EESF_SV_SG_SH_SI_EUlSV_E1_NS1_11comp_targetILNS1_3genE4ELNS1_11target_archE910ELNS1_3gpuE8ELNS1_3repE0EEENS1_36merge_oddeven_config_static_selectorELNS0_4arch9wavefront6targetE1EEEvSH_.num_vgpr, 0
	.set _ZN7rocprim17ROCPRIM_400000_NS6detail17trampoline_kernelINS0_14default_configENS1_38merge_sort_block_merge_config_selectorIdlEEZZNS1_27merge_sort_block_merge_implIS3_PdN6thrust23THRUST_200600_302600_NS10device_ptrIlEEjNS1_19radix_merge_compareILb0ELb0EdNS0_19identity_decomposerEEEEE10hipError_tT0_T1_T2_jT3_P12ihipStream_tbPNSt15iterator_traitsISG_E10value_typeEPNSM_ISH_E10value_typeEPSI_NS1_7vsmem_tEENKUlT_SG_SH_SI_E_clIS7_S7_PlSB_EESF_SV_SG_SH_SI_EUlSV_E1_NS1_11comp_targetILNS1_3genE4ELNS1_11target_archE910ELNS1_3gpuE8ELNS1_3repE0EEENS1_36merge_oddeven_config_static_selectorELNS0_4arch9wavefront6targetE1EEEvSH_.num_agpr, 0
	.set _ZN7rocprim17ROCPRIM_400000_NS6detail17trampoline_kernelINS0_14default_configENS1_38merge_sort_block_merge_config_selectorIdlEEZZNS1_27merge_sort_block_merge_implIS3_PdN6thrust23THRUST_200600_302600_NS10device_ptrIlEEjNS1_19radix_merge_compareILb0ELb0EdNS0_19identity_decomposerEEEEE10hipError_tT0_T1_T2_jT3_P12ihipStream_tbPNSt15iterator_traitsISG_E10value_typeEPNSM_ISH_E10value_typeEPSI_NS1_7vsmem_tEENKUlT_SG_SH_SI_E_clIS7_S7_PlSB_EESF_SV_SG_SH_SI_EUlSV_E1_NS1_11comp_targetILNS1_3genE4ELNS1_11target_archE910ELNS1_3gpuE8ELNS1_3repE0EEENS1_36merge_oddeven_config_static_selectorELNS0_4arch9wavefront6targetE1EEEvSH_.numbered_sgpr, 0
	.set _ZN7rocprim17ROCPRIM_400000_NS6detail17trampoline_kernelINS0_14default_configENS1_38merge_sort_block_merge_config_selectorIdlEEZZNS1_27merge_sort_block_merge_implIS3_PdN6thrust23THRUST_200600_302600_NS10device_ptrIlEEjNS1_19radix_merge_compareILb0ELb0EdNS0_19identity_decomposerEEEEE10hipError_tT0_T1_T2_jT3_P12ihipStream_tbPNSt15iterator_traitsISG_E10value_typeEPNSM_ISH_E10value_typeEPSI_NS1_7vsmem_tEENKUlT_SG_SH_SI_E_clIS7_S7_PlSB_EESF_SV_SG_SH_SI_EUlSV_E1_NS1_11comp_targetILNS1_3genE4ELNS1_11target_archE910ELNS1_3gpuE8ELNS1_3repE0EEENS1_36merge_oddeven_config_static_selectorELNS0_4arch9wavefront6targetE1EEEvSH_.num_named_barrier, 0
	.set _ZN7rocprim17ROCPRIM_400000_NS6detail17trampoline_kernelINS0_14default_configENS1_38merge_sort_block_merge_config_selectorIdlEEZZNS1_27merge_sort_block_merge_implIS3_PdN6thrust23THRUST_200600_302600_NS10device_ptrIlEEjNS1_19radix_merge_compareILb0ELb0EdNS0_19identity_decomposerEEEEE10hipError_tT0_T1_T2_jT3_P12ihipStream_tbPNSt15iterator_traitsISG_E10value_typeEPNSM_ISH_E10value_typeEPSI_NS1_7vsmem_tEENKUlT_SG_SH_SI_E_clIS7_S7_PlSB_EESF_SV_SG_SH_SI_EUlSV_E1_NS1_11comp_targetILNS1_3genE4ELNS1_11target_archE910ELNS1_3gpuE8ELNS1_3repE0EEENS1_36merge_oddeven_config_static_selectorELNS0_4arch9wavefront6targetE1EEEvSH_.private_seg_size, 0
	.set _ZN7rocprim17ROCPRIM_400000_NS6detail17trampoline_kernelINS0_14default_configENS1_38merge_sort_block_merge_config_selectorIdlEEZZNS1_27merge_sort_block_merge_implIS3_PdN6thrust23THRUST_200600_302600_NS10device_ptrIlEEjNS1_19radix_merge_compareILb0ELb0EdNS0_19identity_decomposerEEEEE10hipError_tT0_T1_T2_jT3_P12ihipStream_tbPNSt15iterator_traitsISG_E10value_typeEPNSM_ISH_E10value_typeEPSI_NS1_7vsmem_tEENKUlT_SG_SH_SI_E_clIS7_S7_PlSB_EESF_SV_SG_SH_SI_EUlSV_E1_NS1_11comp_targetILNS1_3genE4ELNS1_11target_archE910ELNS1_3gpuE8ELNS1_3repE0EEENS1_36merge_oddeven_config_static_selectorELNS0_4arch9wavefront6targetE1EEEvSH_.uses_vcc, 0
	.set _ZN7rocprim17ROCPRIM_400000_NS6detail17trampoline_kernelINS0_14default_configENS1_38merge_sort_block_merge_config_selectorIdlEEZZNS1_27merge_sort_block_merge_implIS3_PdN6thrust23THRUST_200600_302600_NS10device_ptrIlEEjNS1_19radix_merge_compareILb0ELb0EdNS0_19identity_decomposerEEEEE10hipError_tT0_T1_T2_jT3_P12ihipStream_tbPNSt15iterator_traitsISG_E10value_typeEPNSM_ISH_E10value_typeEPSI_NS1_7vsmem_tEENKUlT_SG_SH_SI_E_clIS7_S7_PlSB_EESF_SV_SG_SH_SI_EUlSV_E1_NS1_11comp_targetILNS1_3genE4ELNS1_11target_archE910ELNS1_3gpuE8ELNS1_3repE0EEENS1_36merge_oddeven_config_static_selectorELNS0_4arch9wavefront6targetE1EEEvSH_.uses_flat_scratch, 0
	.set _ZN7rocprim17ROCPRIM_400000_NS6detail17trampoline_kernelINS0_14default_configENS1_38merge_sort_block_merge_config_selectorIdlEEZZNS1_27merge_sort_block_merge_implIS3_PdN6thrust23THRUST_200600_302600_NS10device_ptrIlEEjNS1_19radix_merge_compareILb0ELb0EdNS0_19identity_decomposerEEEEE10hipError_tT0_T1_T2_jT3_P12ihipStream_tbPNSt15iterator_traitsISG_E10value_typeEPNSM_ISH_E10value_typeEPSI_NS1_7vsmem_tEENKUlT_SG_SH_SI_E_clIS7_S7_PlSB_EESF_SV_SG_SH_SI_EUlSV_E1_NS1_11comp_targetILNS1_3genE4ELNS1_11target_archE910ELNS1_3gpuE8ELNS1_3repE0EEENS1_36merge_oddeven_config_static_selectorELNS0_4arch9wavefront6targetE1EEEvSH_.has_dyn_sized_stack, 0
	.set _ZN7rocprim17ROCPRIM_400000_NS6detail17trampoline_kernelINS0_14default_configENS1_38merge_sort_block_merge_config_selectorIdlEEZZNS1_27merge_sort_block_merge_implIS3_PdN6thrust23THRUST_200600_302600_NS10device_ptrIlEEjNS1_19radix_merge_compareILb0ELb0EdNS0_19identity_decomposerEEEEE10hipError_tT0_T1_T2_jT3_P12ihipStream_tbPNSt15iterator_traitsISG_E10value_typeEPNSM_ISH_E10value_typeEPSI_NS1_7vsmem_tEENKUlT_SG_SH_SI_E_clIS7_S7_PlSB_EESF_SV_SG_SH_SI_EUlSV_E1_NS1_11comp_targetILNS1_3genE4ELNS1_11target_archE910ELNS1_3gpuE8ELNS1_3repE0EEENS1_36merge_oddeven_config_static_selectorELNS0_4arch9wavefront6targetE1EEEvSH_.has_recursion, 0
	.set _ZN7rocprim17ROCPRIM_400000_NS6detail17trampoline_kernelINS0_14default_configENS1_38merge_sort_block_merge_config_selectorIdlEEZZNS1_27merge_sort_block_merge_implIS3_PdN6thrust23THRUST_200600_302600_NS10device_ptrIlEEjNS1_19radix_merge_compareILb0ELb0EdNS0_19identity_decomposerEEEEE10hipError_tT0_T1_T2_jT3_P12ihipStream_tbPNSt15iterator_traitsISG_E10value_typeEPNSM_ISH_E10value_typeEPSI_NS1_7vsmem_tEENKUlT_SG_SH_SI_E_clIS7_S7_PlSB_EESF_SV_SG_SH_SI_EUlSV_E1_NS1_11comp_targetILNS1_3genE4ELNS1_11target_archE910ELNS1_3gpuE8ELNS1_3repE0EEENS1_36merge_oddeven_config_static_selectorELNS0_4arch9wavefront6targetE1EEEvSH_.has_indirect_call, 0
	.section	.AMDGPU.csdata,"",@progbits
; Kernel info:
; codeLenInByte = 0
; TotalNumSgprs: 4
; NumVgprs: 0
; ScratchSize: 0
; MemoryBound: 0
; FloatMode: 240
; IeeeMode: 1
; LDSByteSize: 0 bytes/workgroup (compile time only)
; SGPRBlocks: 0
; VGPRBlocks: 0
; NumSGPRsForWavesPerEU: 4
; NumVGPRsForWavesPerEU: 1
; Occupancy: 10
; WaveLimiterHint : 0
; COMPUTE_PGM_RSRC2:SCRATCH_EN: 0
; COMPUTE_PGM_RSRC2:USER_SGPR: 6
; COMPUTE_PGM_RSRC2:TRAP_HANDLER: 0
; COMPUTE_PGM_RSRC2:TGID_X_EN: 1
; COMPUTE_PGM_RSRC2:TGID_Y_EN: 0
; COMPUTE_PGM_RSRC2:TGID_Z_EN: 0
; COMPUTE_PGM_RSRC2:TIDIG_COMP_CNT: 0
	.section	.text._ZN7rocprim17ROCPRIM_400000_NS6detail17trampoline_kernelINS0_14default_configENS1_38merge_sort_block_merge_config_selectorIdlEEZZNS1_27merge_sort_block_merge_implIS3_PdN6thrust23THRUST_200600_302600_NS10device_ptrIlEEjNS1_19radix_merge_compareILb0ELb0EdNS0_19identity_decomposerEEEEE10hipError_tT0_T1_T2_jT3_P12ihipStream_tbPNSt15iterator_traitsISG_E10value_typeEPNSM_ISH_E10value_typeEPSI_NS1_7vsmem_tEENKUlT_SG_SH_SI_E_clIS7_S7_PlSB_EESF_SV_SG_SH_SI_EUlSV_E1_NS1_11comp_targetILNS1_3genE3ELNS1_11target_archE908ELNS1_3gpuE7ELNS1_3repE0EEENS1_36merge_oddeven_config_static_selectorELNS0_4arch9wavefront6targetE1EEEvSH_,"axG",@progbits,_ZN7rocprim17ROCPRIM_400000_NS6detail17trampoline_kernelINS0_14default_configENS1_38merge_sort_block_merge_config_selectorIdlEEZZNS1_27merge_sort_block_merge_implIS3_PdN6thrust23THRUST_200600_302600_NS10device_ptrIlEEjNS1_19radix_merge_compareILb0ELb0EdNS0_19identity_decomposerEEEEE10hipError_tT0_T1_T2_jT3_P12ihipStream_tbPNSt15iterator_traitsISG_E10value_typeEPNSM_ISH_E10value_typeEPSI_NS1_7vsmem_tEENKUlT_SG_SH_SI_E_clIS7_S7_PlSB_EESF_SV_SG_SH_SI_EUlSV_E1_NS1_11comp_targetILNS1_3genE3ELNS1_11target_archE908ELNS1_3gpuE7ELNS1_3repE0EEENS1_36merge_oddeven_config_static_selectorELNS0_4arch9wavefront6targetE1EEEvSH_,comdat
	.protected	_ZN7rocprim17ROCPRIM_400000_NS6detail17trampoline_kernelINS0_14default_configENS1_38merge_sort_block_merge_config_selectorIdlEEZZNS1_27merge_sort_block_merge_implIS3_PdN6thrust23THRUST_200600_302600_NS10device_ptrIlEEjNS1_19radix_merge_compareILb0ELb0EdNS0_19identity_decomposerEEEEE10hipError_tT0_T1_T2_jT3_P12ihipStream_tbPNSt15iterator_traitsISG_E10value_typeEPNSM_ISH_E10value_typeEPSI_NS1_7vsmem_tEENKUlT_SG_SH_SI_E_clIS7_S7_PlSB_EESF_SV_SG_SH_SI_EUlSV_E1_NS1_11comp_targetILNS1_3genE3ELNS1_11target_archE908ELNS1_3gpuE7ELNS1_3repE0EEENS1_36merge_oddeven_config_static_selectorELNS0_4arch9wavefront6targetE1EEEvSH_ ; -- Begin function _ZN7rocprim17ROCPRIM_400000_NS6detail17trampoline_kernelINS0_14default_configENS1_38merge_sort_block_merge_config_selectorIdlEEZZNS1_27merge_sort_block_merge_implIS3_PdN6thrust23THRUST_200600_302600_NS10device_ptrIlEEjNS1_19radix_merge_compareILb0ELb0EdNS0_19identity_decomposerEEEEE10hipError_tT0_T1_T2_jT3_P12ihipStream_tbPNSt15iterator_traitsISG_E10value_typeEPNSM_ISH_E10value_typeEPSI_NS1_7vsmem_tEENKUlT_SG_SH_SI_E_clIS7_S7_PlSB_EESF_SV_SG_SH_SI_EUlSV_E1_NS1_11comp_targetILNS1_3genE3ELNS1_11target_archE908ELNS1_3gpuE7ELNS1_3repE0EEENS1_36merge_oddeven_config_static_selectorELNS0_4arch9wavefront6targetE1EEEvSH_
	.globl	_ZN7rocprim17ROCPRIM_400000_NS6detail17trampoline_kernelINS0_14default_configENS1_38merge_sort_block_merge_config_selectorIdlEEZZNS1_27merge_sort_block_merge_implIS3_PdN6thrust23THRUST_200600_302600_NS10device_ptrIlEEjNS1_19radix_merge_compareILb0ELb0EdNS0_19identity_decomposerEEEEE10hipError_tT0_T1_T2_jT3_P12ihipStream_tbPNSt15iterator_traitsISG_E10value_typeEPNSM_ISH_E10value_typeEPSI_NS1_7vsmem_tEENKUlT_SG_SH_SI_E_clIS7_S7_PlSB_EESF_SV_SG_SH_SI_EUlSV_E1_NS1_11comp_targetILNS1_3genE3ELNS1_11target_archE908ELNS1_3gpuE7ELNS1_3repE0EEENS1_36merge_oddeven_config_static_selectorELNS0_4arch9wavefront6targetE1EEEvSH_
	.p2align	8
	.type	_ZN7rocprim17ROCPRIM_400000_NS6detail17trampoline_kernelINS0_14default_configENS1_38merge_sort_block_merge_config_selectorIdlEEZZNS1_27merge_sort_block_merge_implIS3_PdN6thrust23THRUST_200600_302600_NS10device_ptrIlEEjNS1_19radix_merge_compareILb0ELb0EdNS0_19identity_decomposerEEEEE10hipError_tT0_T1_T2_jT3_P12ihipStream_tbPNSt15iterator_traitsISG_E10value_typeEPNSM_ISH_E10value_typeEPSI_NS1_7vsmem_tEENKUlT_SG_SH_SI_E_clIS7_S7_PlSB_EESF_SV_SG_SH_SI_EUlSV_E1_NS1_11comp_targetILNS1_3genE3ELNS1_11target_archE908ELNS1_3gpuE7ELNS1_3repE0EEENS1_36merge_oddeven_config_static_selectorELNS0_4arch9wavefront6targetE1EEEvSH_,@function
_ZN7rocprim17ROCPRIM_400000_NS6detail17trampoline_kernelINS0_14default_configENS1_38merge_sort_block_merge_config_selectorIdlEEZZNS1_27merge_sort_block_merge_implIS3_PdN6thrust23THRUST_200600_302600_NS10device_ptrIlEEjNS1_19radix_merge_compareILb0ELb0EdNS0_19identity_decomposerEEEEE10hipError_tT0_T1_T2_jT3_P12ihipStream_tbPNSt15iterator_traitsISG_E10value_typeEPNSM_ISH_E10value_typeEPSI_NS1_7vsmem_tEENKUlT_SG_SH_SI_E_clIS7_S7_PlSB_EESF_SV_SG_SH_SI_EUlSV_E1_NS1_11comp_targetILNS1_3genE3ELNS1_11target_archE908ELNS1_3gpuE7ELNS1_3repE0EEENS1_36merge_oddeven_config_static_selectorELNS0_4arch9wavefront6targetE1EEEvSH_: ; @_ZN7rocprim17ROCPRIM_400000_NS6detail17trampoline_kernelINS0_14default_configENS1_38merge_sort_block_merge_config_selectorIdlEEZZNS1_27merge_sort_block_merge_implIS3_PdN6thrust23THRUST_200600_302600_NS10device_ptrIlEEjNS1_19radix_merge_compareILb0ELb0EdNS0_19identity_decomposerEEEEE10hipError_tT0_T1_T2_jT3_P12ihipStream_tbPNSt15iterator_traitsISG_E10value_typeEPNSM_ISH_E10value_typeEPSI_NS1_7vsmem_tEENKUlT_SG_SH_SI_E_clIS7_S7_PlSB_EESF_SV_SG_SH_SI_EUlSV_E1_NS1_11comp_targetILNS1_3genE3ELNS1_11target_archE908ELNS1_3gpuE7ELNS1_3repE0EEENS1_36merge_oddeven_config_static_selectorELNS0_4arch9wavefront6targetE1EEEvSH_
; %bb.0:
	.section	.rodata,"a",@progbits
	.p2align	6, 0x0
	.amdhsa_kernel _ZN7rocprim17ROCPRIM_400000_NS6detail17trampoline_kernelINS0_14default_configENS1_38merge_sort_block_merge_config_selectorIdlEEZZNS1_27merge_sort_block_merge_implIS3_PdN6thrust23THRUST_200600_302600_NS10device_ptrIlEEjNS1_19radix_merge_compareILb0ELb0EdNS0_19identity_decomposerEEEEE10hipError_tT0_T1_T2_jT3_P12ihipStream_tbPNSt15iterator_traitsISG_E10value_typeEPNSM_ISH_E10value_typeEPSI_NS1_7vsmem_tEENKUlT_SG_SH_SI_E_clIS7_S7_PlSB_EESF_SV_SG_SH_SI_EUlSV_E1_NS1_11comp_targetILNS1_3genE3ELNS1_11target_archE908ELNS1_3gpuE7ELNS1_3repE0EEENS1_36merge_oddeven_config_static_selectorELNS0_4arch9wavefront6targetE1EEEvSH_
		.amdhsa_group_segment_fixed_size 0
		.amdhsa_private_segment_fixed_size 0
		.amdhsa_kernarg_size 48
		.amdhsa_user_sgpr_count 6
		.amdhsa_user_sgpr_private_segment_buffer 1
		.amdhsa_user_sgpr_dispatch_ptr 0
		.amdhsa_user_sgpr_queue_ptr 0
		.amdhsa_user_sgpr_kernarg_segment_ptr 1
		.amdhsa_user_sgpr_dispatch_id 0
		.amdhsa_user_sgpr_flat_scratch_init 0
		.amdhsa_user_sgpr_private_segment_size 0
		.amdhsa_uses_dynamic_stack 0
		.amdhsa_system_sgpr_private_segment_wavefront_offset 0
		.amdhsa_system_sgpr_workgroup_id_x 1
		.amdhsa_system_sgpr_workgroup_id_y 0
		.amdhsa_system_sgpr_workgroup_id_z 0
		.amdhsa_system_sgpr_workgroup_info 0
		.amdhsa_system_vgpr_workitem_id 0
		.amdhsa_next_free_vgpr 1
		.amdhsa_next_free_sgpr 0
		.amdhsa_reserve_vcc 0
		.amdhsa_reserve_flat_scratch 0
		.amdhsa_float_round_mode_32 0
		.amdhsa_float_round_mode_16_64 0
		.amdhsa_float_denorm_mode_32 3
		.amdhsa_float_denorm_mode_16_64 3
		.amdhsa_dx10_clamp 1
		.amdhsa_ieee_mode 1
		.amdhsa_fp16_overflow 0
		.amdhsa_exception_fp_ieee_invalid_op 0
		.amdhsa_exception_fp_denorm_src 0
		.amdhsa_exception_fp_ieee_div_zero 0
		.amdhsa_exception_fp_ieee_overflow 0
		.amdhsa_exception_fp_ieee_underflow 0
		.amdhsa_exception_fp_ieee_inexact 0
		.amdhsa_exception_int_div_zero 0
	.end_amdhsa_kernel
	.section	.text._ZN7rocprim17ROCPRIM_400000_NS6detail17trampoline_kernelINS0_14default_configENS1_38merge_sort_block_merge_config_selectorIdlEEZZNS1_27merge_sort_block_merge_implIS3_PdN6thrust23THRUST_200600_302600_NS10device_ptrIlEEjNS1_19radix_merge_compareILb0ELb0EdNS0_19identity_decomposerEEEEE10hipError_tT0_T1_T2_jT3_P12ihipStream_tbPNSt15iterator_traitsISG_E10value_typeEPNSM_ISH_E10value_typeEPSI_NS1_7vsmem_tEENKUlT_SG_SH_SI_E_clIS7_S7_PlSB_EESF_SV_SG_SH_SI_EUlSV_E1_NS1_11comp_targetILNS1_3genE3ELNS1_11target_archE908ELNS1_3gpuE7ELNS1_3repE0EEENS1_36merge_oddeven_config_static_selectorELNS0_4arch9wavefront6targetE1EEEvSH_,"axG",@progbits,_ZN7rocprim17ROCPRIM_400000_NS6detail17trampoline_kernelINS0_14default_configENS1_38merge_sort_block_merge_config_selectorIdlEEZZNS1_27merge_sort_block_merge_implIS3_PdN6thrust23THRUST_200600_302600_NS10device_ptrIlEEjNS1_19radix_merge_compareILb0ELb0EdNS0_19identity_decomposerEEEEE10hipError_tT0_T1_T2_jT3_P12ihipStream_tbPNSt15iterator_traitsISG_E10value_typeEPNSM_ISH_E10value_typeEPSI_NS1_7vsmem_tEENKUlT_SG_SH_SI_E_clIS7_S7_PlSB_EESF_SV_SG_SH_SI_EUlSV_E1_NS1_11comp_targetILNS1_3genE3ELNS1_11target_archE908ELNS1_3gpuE7ELNS1_3repE0EEENS1_36merge_oddeven_config_static_selectorELNS0_4arch9wavefront6targetE1EEEvSH_,comdat
.Lfunc_end1562:
	.size	_ZN7rocprim17ROCPRIM_400000_NS6detail17trampoline_kernelINS0_14default_configENS1_38merge_sort_block_merge_config_selectorIdlEEZZNS1_27merge_sort_block_merge_implIS3_PdN6thrust23THRUST_200600_302600_NS10device_ptrIlEEjNS1_19radix_merge_compareILb0ELb0EdNS0_19identity_decomposerEEEEE10hipError_tT0_T1_T2_jT3_P12ihipStream_tbPNSt15iterator_traitsISG_E10value_typeEPNSM_ISH_E10value_typeEPSI_NS1_7vsmem_tEENKUlT_SG_SH_SI_E_clIS7_S7_PlSB_EESF_SV_SG_SH_SI_EUlSV_E1_NS1_11comp_targetILNS1_3genE3ELNS1_11target_archE908ELNS1_3gpuE7ELNS1_3repE0EEENS1_36merge_oddeven_config_static_selectorELNS0_4arch9wavefront6targetE1EEEvSH_, .Lfunc_end1562-_ZN7rocprim17ROCPRIM_400000_NS6detail17trampoline_kernelINS0_14default_configENS1_38merge_sort_block_merge_config_selectorIdlEEZZNS1_27merge_sort_block_merge_implIS3_PdN6thrust23THRUST_200600_302600_NS10device_ptrIlEEjNS1_19radix_merge_compareILb0ELb0EdNS0_19identity_decomposerEEEEE10hipError_tT0_T1_T2_jT3_P12ihipStream_tbPNSt15iterator_traitsISG_E10value_typeEPNSM_ISH_E10value_typeEPSI_NS1_7vsmem_tEENKUlT_SG_SH_SI_E_clIS7_S7_PlSB_EESF_SV_SG_SH_SI_EUlSV_E1_NS1_11comp_targetILNS1_3genE3ELNS1_11target_archE908ELNS1_3gpuE7ELNS1_3repE0EEENS1_36merge_oddeven_config_static_selectorELNS0_4arch9wavefront6targetE1EEEvSH_
                                        ; -- End function
	.set _ZN7rocprim17ROCPRIM_400000_NS6detail17trampoline_kernelINS0_14default_configENS1_38merge_sort_block_merge_config_selectorIdlEEZZNS1_27merge_sort_block_merge_implIS3_PdN6thrust23THRUST_200600_302600_NS10device_ptrIlEEjNS1_19radix_merge_compareILb0ELb0EdNS0_19identity_decomposerEEEEE10hipError_tT0_T1_T2_jT3_P12ihipStream_tbPNSt15iterator_traitsISG_E10value_typeEPNSM_ISH_E10value_typeEPSI_NS1_7vsmem_tEENKUlT_SG_SH_SI_E_clIS7_S7_PlSB_EESF_SV_SG_SH_SI_EUlSV_E1_NS1_11comp_targetILNS1_3genE3ELNS1_11target_archE908ELNS1_3gpuE7ELNS1_3repE0EEENS1_36merge_oddeven_config_static_selectorELNS0_4arch9wavefront6targetE1EEEvSH_.num_vgpr, 0
	.set _ZN7rocprim17ROCPRIM_400000_NS6detail17trampoline_kernelINS0_14default_configENS1_38merge_sort_block_merge_config_selectorIdlEEZZNS1_27merge_sort_block_merge_implIS3_PdN6thrust23THRUST_200600_302600_NS10device_ptrIlEEjNS1_19radix_merge_compareILb0ELb0EdNS0_19identity_decomposerEEEEE10hipError_tT0_T1_T2_jT3_P12ihipStream_tbPNSt15iterator_traitsISG_E10value_typeEPNSM_ISH_E10value_typeEPSI_NS1_7vsmem_tEENKUlT_SG_SH_SI_E_clIS7_S7_PlSB_EESF_SV_SG_SH_SI_EUlSV_E1_NS1_11comp_targetILNS1_3genE3ELNS1_11target_archE908ELNS1_3gpuE7ELNS1_3repE0EEENS1_36merge_oddeven_config_static_selectorELNS0_4arch9wavefront6targetE1EEEvSH_.num_agpr, 0
	.set _ZN7rocprim17ROCPRIM_400000_NS6detail17trampoline_kernelINS0_14default_configENS1_38merge_sort_block_merge_config_selectorIdlEEZZNS1_27merge_sort_block_merge_implIS3_PdN6thrust23THRUST_200600_302600_NS10device_ptrIlEEjNS1_19radix_merge_compareILb0ELb0EdNS0_19identity_decomposerEEEEE10hipError_tT0_T1_T2_jT3_P12ihipStream_tbPNSt15iterator_traitsISG_E10value_typeEPNSM_ISH_E10value_typeEPSI_NS1_7vsmem_tEENKUlT_SG_SH_SI_E_clIS7_S7_PlSB_EESF_SV_SG_SH_SI_EUlSV_E1_NS1_11comp_targetILNS1_3genE3ELNS1_11target_archE908ELNS1_3gpuE7ELNS1_3repE0EEENS1_36merge_oddeven_config_static_selectorELNS0_4arch9wavefront6targetE1EEEvSH_.numbered_sgpr, 0
	.set _ZN7rocprim17ROCPRIM_400000_NS6detail17trampoline_kernelINS0_14default_configENS1_38merge_sort_block_merge_config_selectorIdlEEZZNS1_27merge_sort_block_merge_implIS3_PdN6thrust23THRUST_200600_302600_NS10device_ptrIlEEjNS1_19radix_merge_compareILb0ELb0EdNS0_19identity_decomposerEEEEE10hipError_tT0_T1_T2_jT3_P12ihipStream_tbPNSt15iterator_traitsISG_E10value_typeEPNSM_ISH_E10value_typeEPSI_NS1_7vsmem_tEENKUlT_SG_SH_SI_E_clIS7_S7_PlSB_EESF_SV_SG_SH_SI_EUlSV_E1_NS1_11comp_targetILNS1_3genE3ELNS1_11target_archE908ELNS1_3gpuE7ELNS1_3repE0EEENS1_36merge_oddeven_config_static_selectorELNS0_4arch9wavefront6targetE1EEEvSH_.num_named_barrier, 0
	.set _ZN7rocprim17ROCPRIM_400000_NS6detail17trampoline_kernelINS0_14default_configENS1_38merge_sort_block_merge_config_selectorIdlEEZZNS1_27merge_sort_block_merge_implIS3_PdN6thrust23THRUST_200600_302600_NS10device_ptrIlEEjNS1_19radix_merge_compareILb0ELb0EdNS0_19identity_decomposerEEEEE10hipError_tT0_T1_T2_jT3_P12ihipStream_tbPNSt15iterator_traitsISG_E10value_typeEPNSM_ISH_E10value_typeEPSI_NS1_7vsmem_tEENKUlT_SG_SH_SI_E_clIS7_S7_PlSB_EESF_SV_SG_SH_SI_EUlSV_E1_NS1_11comp_targetILNS1_3genE3ELNS1_11target_archE908ELNS1_3gpuE7ELNS1_3repE0EEENS1_36merge_oddeven_config_static_selectorELNS0_4arch9wavefront6targetE1EEEvSH_.private_seg_size, 0
	.set _ZN7rocprim17ROCPRIM_400000_NS6detail17trampoline_kernelINS0_14default_configENS1_38merge_sort_block_merge_config_selectorIdlEEZZNS1_27merge_sort_block_merge_implIS3_PdN6thrust23THRUST_200600_302600_NS10device_ptrIlEEjNS1_19radix_merge_compareILb0ELb0EdNS0_19identity_decomposerEEEEE10hipError_tT0_T1_T2_jT3_P12ihipStream_tbPNSt15iterator_traitsISG_E10value_typeEPNSM_ISH_E10value_typeEPSI_NS1_7vsmem_tEENKUlT_SG_SH_SI_E_clIS7_S7_PlSB_EESF_SV_SG_SH_SI_EUlSV_E1_NS1_11comp_targetILNS1_3genE3ELNS1_11target_archE908ELNS1_3gpuE7ELNS1_3repE0EEENS1_36merge_oddeven_config_static_selectorELNS0_4arch9wavefront6targetE1EEEvSH_.uses_vcc, 0
	.set _ZN7rocprim17ROCPRIM_400000_NS6detail17trampoline_kernelINS0_14default_configENS1_38merge_sort_block_merge_config_selectorIdlEEZZNS1_27merge_sort_block_merge_implIS3_PdN6thrust23THRUST_200600_302600_NS10device_ptrIlEEjNS1_19radix_merge_compareILb0ELb0EdNS0_19identity_decomposerEEEEE10hipError_tT0_T1_T2_jT3_P12ihipStream_tbPNSt15iterator_traitsISG_E10value_typeEPNSM_ISH_E10value_typeEPSI_NS1_7vsmem_tEENKUlT_SG_SH_SI_E_clIS7_S7_PlSB_EESF_SV_SG_SH_SI_EUlSV_E1_NS1_11comp_targetILNS1_3genE3ELNS1_11target_archE908ELNS1_3gpuE7ELNS1_3repE0EEENS1_36merge_oddeven_config_static_selectorELNS0_4arch9wavefront6targetE1EEEvSH_.uses_flat_scratch, 0
	.set _ZN7rocprim17ROCPRIM_400000_NS6detail17trampoline_kernelINS0_14default_configENS1_38merge_sort_block_merge_config_selectorIdlEEZZNS1_27merge_sort_block_merge_implIS3_PdN6thrust23THRUST_200600_302600_NS10device_ptrIlEEjNS1_19radix_merge_compareILb0ELb0EdNS0_19identity_decomposerEEEEE10hipError_tT0_T1_T2_jT3_P12ihipStream_tbPNSt15iterator_traitsISG_E10value_typeEPNSM_ISH_E10value_typeEPSI_NS1_7vsmem_tEENKUlT_SG_SH_SI_E_clIS7_S7_PlSB_EESF_SV_SG_SH_SI_EUlSV_E1_NS1_11comp_targetILNS1_3genE3ELNS1_11target_archE908ELNS1_3gpuE7ELNS1_3repE0EEENS1_36merge_oddeven_config_static_selectorELNS0_4arch9wavefront6targetE1EEEvSH_.has_dyn_sized_stack, 0
	.set _ZN7rocprim17ROCPRIM_400000_NS6detail17trampoline_kernelINS0_14default_configENS1_38merge_sort_block_merge_config_selectorIdlEEZZNS1_27merge_sort_block_merge_implIS3_PdN6thrust23THRUST_200600_302600_NS10device_ptrIlEEjNS1_19radix_merge_compareILb0ELb0EdNS0_19identity_decomposerEEEEE10hipError_tT0_T1_T2_jT3_P12ihipStream_tbPNSt15iterator_traitsISG_E10value_typeEPNSM_ISH_E10value_typeEPSI_NS1_7vsmem_tEENKUlT_SG_SH_SI_E_clIS7_S7_PlSB_EESF_SV_SG_SH_SI_EUlSV_E1_NS1_11comp_targetILNS1_3genE3ELNS1_11target_archE908ELNS1_3gpuE7ELNS1_3repE0EEENS1_36merge_oddeven_config_static_selectorELNS0_4arch9wavefront6targetE1EEEvSH_.has_recursion, 0
	.set _ZN7rocprim17ROCPRIM_400000_NS6detail17trampoline_kernelINS0_14default_configENS1_38merge_sort_block_merge_config_selectorIdlEEZZNS1_27merge_sort_block_merge_implIS3_PdN6thrust23THRUST_200600_302600_NS10device_ptrIlEEjNS1_19radix_merge_compareILb0ELb0EdNS0_19identity_decomposerEEEEE10hipError_tT0_T1_T2_jT3_P12ihipStream_tbPNSt15iterator_traitsISG_E10value_typeEPNSM_ISH_E10value_typeEPSI_NS1_7vsmem_tEENKUlT_SG_SH_SI_E_clIS7_S7_PlSB_EESF_SV_SG_SH_SI_EUlSV_E1_NS1_11comp_targetILNS1_3genE3ELNS1_11target_archE908ELNS1_3gpuE7ELNS1_3repE0EEENS1_36merge_oddeven_config_static_selectorELNS0_4arch9wavefront6targetE1EEEvSH_.has_indirect_call, 0
	.section	.AMDGPU.csdata,"",@progbits
; Kernel info:
; codeLenInByte = 0
; TotalNumSgprs: 4
; NumVgprs: 0
; ScratchSize: 0
; MemoryBound: 0
; FloatMode: 240
; IeeeMode: 1
; LDSByteSize: 0 bytes/workgroup (compile time only)
; SGPRBlocks: 0
; VGPRBlocks: 0
; NumSGPRsForWavesPerEU: 4
; NumVGPRsForWavesPerEU: 1
; Occupancy: 10
; WaveLimiterHint : 0
; COMPUTE_PGM_RSRC2:SCRATCH_EN: 0
; COMPUTE_PGM_RSRC2:USER_SGPR: 6
; COMPUTE_PGM_RSRC2:TRAP_HANDLER: 0
; COMPUTE_PGM_RSRC2:TGID_X_EN: 1
; COMPUTE_PGM_RSRC2:TGID_Y_EN: 0
; COMPUTE_PGM_RSRC2:TGID_Z_EN: 0
; COMPUTE_PGM_RSRC2:TIDIG_COMP_CNT: 0
	.section	.text._ZN7rocprim17ROCPRIM_400000_NS6detail17trampoline_kernelINS0_14default_configENS1_38merge_sort_block_merge_config_selectorIdlEEZZNS1_27merge_sort_block_merge_implIS3_PdN6thrust23THRUST_200600_302600_NS10device_ptrIlEEjNS1_19radix_merge_compareILb0ELb0EdNS0_19identity_decomposerEEEEE10hipError_tT0_T1_T2_jT3_P12ihipStream_tbPNSt15iterator_traitsISG_E10value_typeEPNSM_ISH_E10value_typeEPSI_NS1_7vsmem_tEENKUlT_SG_SH_SI_E_clIS7_S7_PlSB_EESF_SV_SG_SH_SI_EUlSV_E1_NS1_11comp_targetILNS1_3genE2ELNS1_11target_archE906ELNS1_3gpuE6ELNS1_3repE0EEENS1_36merge_oddeven_config_static_selectorELNS0_4arch9wavefront6targetE1EEEvSH_,"axG",@progbits,_ZN7rocprim17ROCPRIM_400000_NS6detail17trampoline_kernelINS0_14default_configENS1_38merge_sort_block_merge_config_selectorIdlEEZZNS1_27merge_sort_block_merge_implIS3_PdN6thrust23THRUST_200600_302600_NS10device_ptrIlEEjNS1_19radix_merge_compareILb0ELb0EdNS0_19identity_decomposerEEEEE10hipError_tT0_T1_T2_jT3_P12ihipStream_tbPNSt15iterator_traitsISG_E10value_typeEPNSM_ISH_E10value_typeEPSI_NS1_7vsmem_tEENKUlT_SG_SH_SI_E_clIS7_S7_PlSB_EESF_SV_SG_SH_SI_EUlSV_E1_NS1_11comp_targetILNS1_3genE2ELNS1_11target_archE906ELNS1_3gpuE6ELNS1_3repE0EEENS1_36merge_oddeven_config_static_selectorELNS0_4arch9wavefront6targetE1EEEvSH_,comdat
	.protected	_ZN7rocprim17ROCPRIM_400000_NS6detail17trampoline_kernelINS0_14default_configENS1_38merge_sort_block_merge_config_selectorIdlEEZZNS1_27merge_sort_block_merge_implIS3_PdN6thrust23THRUST_200600_302600_NS10device_ptrIlEEjNS1_19radix_merge_compareILb0ELb0EdNS0_19identity_decomposerEEEEE10hipError_tT0_T1_T2_jT3_P12ihipStream_tbPNSt15iterator_traitsISG_E10value_typeEPNSM_ISH_E10value_typeEPSI_NS1_7vsmem_tEENKUlT_SG_SH_SI_E_clIS7_S7_PlSB_EESF_SV_SG_SH_SI_EUlSV_E1_NS1_11comp_targetILNS1_3genE2ELNS1_11target_archE906ELNS1_3gpuE6ELNS1_3repE0EEENS1_36merge_oddeven_config_static_selectorELNS0_4arch9wavefront6targetE1EEEvSH_ ; -- Begin function _ZN7rocprim17ROCPRIM_400000_NS6detail17trampoline_kernelINS0_14default_configENS1_38merge_sort_block_merge_config_selectorIdlEEZZNS1_27merge_sort_block_merge_implIS3_PdN6thrust23THRUST_200600_302600_NS10device_ptrIlEEjNS1_19radix_merge_compareILb0ELb0EdNS0_19identity_decomposerEEEEE10hipError_tT0_T1_T2_jT3_P12ihipStream_tbPNSt15iterator_traitsISG_E10value_typeEPNSM_ISH_E10value_typeEPSI_NS1_7vsmem_tEENKUlT_SG_SH_SI_E_clIS7_S7_PlSB_EESF_SV_SG_SH_SI_EUlSV_E1_NS1_11comp_targetILNS1_3genE2ELNS1_11target_archE906ELNS1_3gpuE6ELNS1_3repE0EEENS1_36merge_oddeven_config_static_selectorELNS0_4arch9wavefront6targetE1EEEvSH_
	.globl	_ZN7rocprim17ROCPRIM_400000_NS6detail17trampoline_kernelINS0_14default_configENS1_38merge_sort_block_merge_config_selectorIdlEEZZNS1_27merge_sort_block_merge_implIS3_PdN6thrust23THRUST_200600_302600_NS10device_ptrIlEEjNS1_19radix_merge_compareILb0ELb0EdNS0_19identity_decomposerEEEEE10hipError_tT0_T1_T2_jT3_P12ihipStream_tbPNSt15iterator_traitsISG_E10value_typeEPNSM_ISH_E10value_typeEPSI_NS1_7vsmem_tEENKUlT_SG_SH_SI_E_clIS7_S7_PlSB_EESF_SV_SG_SH_SI_EUlSV_E1_NS1_11comp_targetILNS1_3genE2ELNS1_11target_archE906ELNS1_3gpuE6ELNS1_3repE0EEENS1_36merge_oddeven_config_static_selectorELNS0_4arch9wavefront6targetE1EEEvSH_
	.p2align	8
	.type	_ZN7rocprim17ROCPRIM_400000_NS6detail17trampoline_kernelINS0_14default_configENS1_38merge_sort_block_merge_config_selectorIdlEEZZNS1_27merge_sort_block_merge_implIS3_PdN6thrust23THRUST_200600_302600_NS10device_ptrIlEEjNS1_19radix_merge_compareILb0ELb0EdNS0_19identity_decomposerEEEEE10hipError_tT0_T1_T2_jT3_P12ihipStream_tbPNSt15iterator_traitsISG_E10value_typeEPNSM_ISH_E10value_typeEPSI_NS1_7vsmem_tEENKUlT_SG_SH_SI_E_clIS7_S7_PlSB_EESF_SV_SG_SH_SI_EUlSV_E1_NS1_11comp_targetILNS1_3genE2ELNS1_11target_archE906ELNS1_3gpuE6ELNS1_3repE0EEENS1_36merge_oddeven_config_static_selectorELNS0_4arch9wavefront6targetE1EEEvSH_,@function
_ZN7rocprim17ROCPRIM_400000_NS6detail17trampoline_kernelINS0_14default_configENS1_38merge_sort_block_merge_config_selectorIdlEEZZNS1_27merge_sort_block_merge_implIS3_PdN6thrust23THRUST_200600_302600_NS10device_ptrIlEEjNS1_19radix_merge_compareILb0ELb0EdNS0_19identity_decomposerEEEEE10hipError_tT0_T1_T2_jT3_P12ihipStream_tbPNSt15iterator_traitsISG_E10value_typeEPNSM_ISH_E10value_typeEPSI_NS1_7vsmem_tEENKUlT_SG_SH_SI_E_clIS7_S7_PlSB_EESF_SV_SG_SH_SI_EUlSV_E1_NS1_11comp_targetILNS1_3genE2ELNS1_11target_archE906ELNS1_3gpuE6ELNS1_3repE0EEENS1_36merge_oddeven_config_static_selectorELNS0_4arch9wavefront6targetE1EEEvSH_: ; @_ZN7rocprim17ROCPRIM_400000_NS6detail17trampoline_kernelINS0_14default_configENS1_38merge_sort_block_merge_config_selectorIdlEEZZNS1_27merge_sort_block_merge_implIS3_PdN6thrust23THRUST_200600_302600_NS10device_ptrIlEEjNS1_19radix_merge_compareILb0ELb0EdNS0_19identity_decomposerEEEEE10hipError_tT0_T1_T2_jT3_P12ihipStream_tbPNSt15iterator_traitsISG_E10value_typeEPNSM_ISH_E10value_typeEPSI_NS1_7vsmem_tEENKUlT_SG_SH_SI_E_clIS7_S7_PlSB_EESF_SV_SG_SH_SI_EUlSV_E1_NS1_11comp_targetILNS1_3genE2ELNS1_11target_archE906ELNS1_3gpuE6ELNS1_3repE0EEENS1_36merge_oddeven_config_static_selectorELNS0_4arch9wavefront6targetE1EEEvSH_
; %bb.0:
	s_load_dword s7, s[4:5], 0x20
	s_waitcnt lgkmcnt(0)
	s_lshr_b32 s0, s7, 8
	s_cmp_eq_u32 s6, s0
	s_cselect_b64 s[16:17], -1, 0
	s_cmp_lg_u32 s6, s0
	s_cselect_b64 s[0:1], -1, 0
	s_lshl_b32 s18, s6, 8
	s_sub_i32 s2, s7, s18
	v_cmp_gt_u32_e64 s[2:3], s2, v0
	s_or_b64 s[0:1], s[0:1], s[2:3]
	s_and_saveexec_b64 s[8:9], s[0:1]
	s_cbranch_execz .LBB1563_24
; %bb.1:
	s_load_dwordx8 s[8:15], s[4:5], 0x0
	s_mov_b32 s19, 0
	s_lshl_b64 s[0:1], s[18:19], 3
	v_lshlrev_b32_e32 v5, 3, v0
	s_waitcnt lgkmcnt(0)
	s_add_u32 s20, s8, s0
	s_addc_u32 s21, s9, s1
	s_add_u32 s0, s12, s0
	s_addc_u32 s1, s13, s1
	global_load_dwordx2 v[1:2], v5, s[0:1]
	global_load_dwordx2 v[3:4], v5, s[20:21]
	s_load_dword s13, s[4:5], 0x24
	v_add_u32_e32 v5, s18, v0
	s_waitcnt lgkmcnt(0)
	s_lshr_b32 s0, s13, 8
	s_sub_i32 s1, 0, s0
	s_and_b32 s1, s6, s1
	s_and_b32 s0, s1, s0
	s_lshl_b32 s19, s1, 8
	s_sub_i32 s6, 0, s13
	s_cmp_eq_u32 s0, 0
	s_cselect_b64 s[0:1], -1, 0
	s_and_b64 s[4:5], s[0:1], exec
	s_cselect_b32 s6, s13, s6
	s_add_i32 s6, s6, s19
	s_mov_b64 s[4:5], -1
	s_cmp_gt_u32 s7, s6
	s_cbranch_scc1 .LBB1563_9
; %bb.2:
	s_and_b64 vcc, exec, s[16:17]
	s_cbranch_vccz .LBB1563_6
; %bb.3:
	v_cmp_gt_u32_e32 vcc, s7, v5
	s_and_saveexec_b64 s[4:5], vcc
	s_cbranch_execz .LBB1563_5
; %bb.4:
	v_mov_b32_e32 v6, 0
	v_lshlrev_b64 v[6:7], 3, v[5:6]
	v_mov_b32_e32 v0, s11
	v_add_co_u32_e32 v8, vcc, s10, v6
	v_addc_co_u32_e32 v9, vcc, v0, v7, vcc
	v_mov_b32_e32 v0, s15
	v_add_co_u32_e32 v6, vcc, s14, v6
	v_addc_co_u32_e32 v7, vcc, v0, v7, vcc
	s_waitcnt vmcnt(0)
	global_store_dwordx2 v[8:9], v[3:4], off
	global_store_dwordx2 v[6:7], v[1:2], off
.LBB1563_5:
	s_or_b64 exec, exec, s[4:5]
	s_mov_b64 s[4:5], 0
.LBB1563_6:
	s_andn2_b64 vcc, exec, s[4:5]
	s_cbranch_vccnz .LBB1563_8
; %bb.7:
	v_mov_b32_e32 v6, 0
	v_lshlrev_b64 v[6:7], 3, v[5:6]
	v_mov_b32_e32 v0, s11
	v_add_co_u32_e32 v8, vcc, s10, v6
	v_addc_co_u32_e32 v9, vcc, v0, v7, vcc
	v_mov_b32_e32 v0, s15
	v_add_co_u32_e32 v6, vcc, s14, v6
	v_addc_co_u32_e32 v7, vcc, v0, v7, vcc
	s_waitcnt vmcnt(0)
	global_store_dwordx2 v[8:9], v[3:4], off
	global_store_dwordx2 v[6:7], v[1:2], off
.LBB1563_8:
	s_mov_b64 s[4:5], 0
.LBB1563_9:
	s_andn2_b64 vcc, exec, s[4:5]
	s_cbranch_vccnz .LBB1563_24
; %bb.10:
	s_waitcnt vmcnt(0)
	v_add_f64 v[7:8], v[3:4], 0
	s_min_u32 s12, s6, s7
	s_min_u32 s5, s19, s12
	s_add_i32 s19, s19, s12
	v_subrev_u32_e32 v0, s19, v5
	s_add_i32 s4, s12, s13
	s_min_u32 s7, s4, s7
	v_add_u32_e32 v0, s5, v0
	v_ashrrev_i32_e32 v5, 31, v8
	v_or_b32_e32 v6, 0x80000000, v5
	v_xor_b32_e32 v6, v6, v8
	v_xor_b32_e32 v5, v5, v7
	s_mov_b64 s[4:5], -1
	s_and_b64 vcc, exec, s[16:17]
	s_cbranch_vccz .LBB1563_18
; %bb.11:
	s_and_saveexec_b64 s[4:5], s[2:3]
	s_cbranch_execz .LBB1563_17
; %bb.12:
	s_cmp_ge_u32 s6, s7
	v_mov_b32_e32 v9, s12
	s_cbranch_scc1 .LBB1563_16
; %bb.13:
	s_mov_b64 s[2:3], 0
	v_mov_b32_e32 v10, s7
	v_mov_b32_e32 v9, s12
	;; [unrolled: 1-line block ×4, first 2 shown]
.LBB1563_14:                            ; =>This Inner Loop Header: Depth=1
	v_add_u32_e32 v7, v9, v10
	v_lshrrev_b32_e32 v7, 1, v7
	v_lshlrev_b64 v[12:13], 3, v[7:8]
	v_add_u32_e32 v14, 1, v7
	v_add_co_u32_e32 v12, vcc, s8, v12
	v_addc_co_u32_e32 v13, vcc, v11, v13, vcc
	global_load_dwordx2 v[12:13], v[12:13], off
	s_waitcnt vmcnt(0)
	v_add_f64 v[12:13], v[12:13], 0
	v_ashrrev_i32_e32 v15, 31, v13
	v_or_b32_e32 v16, 0x80000000, v15
	v_xor_b32_e32 v12, v15, v12
	v_xor_b32_e32 v13, v16, v13
	v_cmp_gt_u64_e32 vcc, v[5:6], v[12:13]
	v_cndmask_b32_e64 v15, 0, 1, vcc
	v_cmp_le_u64_e32 vcc, v[12:13], v[5:6]
	v_cndmask_b32_e64 v12, 0, 1, vcc
	v_cndmask_b32_e64 v12, v12, v15, s[0:1]
	v_and_b32_e32 v12, 1, v12
	v_cmp_eq_u32_e32 vcc, 1, v12
	v_cndmask_b32_e32 v10, v7, v10, vcc
	v_cndmask_b32_e32 v9, v9, v14, vcc
	v_cmp_ge_u32_e32 vcc, v9, v10
	s_or_b64 s[2:3], vcc, s[2:3]
	s_andn2_b64 exec, exec, s[2:3]
	s_cbranch_execnz .LBB1563_14
; %bb.15:
	s_or_b64 exec, exec, s[2:3]
.LBB1563_16:
	v_add_u32_e32 v7, v9, v0
	v_mov_b32_e32 v8, 0
	v_lshlrev_b64 v[7:8], 3, v[7:8]
	v_mov_b32_e32 v10, s11
	v_add_co_u32_e32 v9, vcc, s10, v7
	v_addc_co_u32_e32 v10, vcc, v10, v8, vcc
	global_store_dwordx2 v[9:10], v[3:4], off
	v_mov_b32_e32 v9, s15
	v_add_co_u32_e32 v7, vcc, s14, v7
	v_addc_co_u32_e32 v8, vcc, v9, v8, vcc
	global_store_dwordx2 v[7:8], v[1:2], off
.LBB1563_17:
	s_or_b64 exec, exec, s[4:5]
	s_mov_b64 s[4:5], 0
.LBB1563_18:
	s_andn2_b64 vcc, exec, s[4:5]
	s_cbranch_vccnz .LBB1563_24
; %bb.19:
	s_cmp_ge_u32 s6, s7
	v_mov_b32_e32 v9, s12
	s_cbranch_scc1 .LBB1563_23
; %bb.20:
	s_mov_b64 s[2:3], 0
	v_mov_b32_e32 v10, s7
	v_mov_b32_e32 v9, s12
	;; [unrolled: 1-line block ×4, first 2 shown]
.LBB1563_21:                            ; =>This Inner Loop Header: Depth=1
	v_add_u32_e32 v7, v9, v10
	v_lshrrev_b32_e32 v7, 1, v7
	v_lshlrev_b64 v[12:13], 3, v[7:8]
	v_add_u32_e32 v14, 1, v7
	v_add_co_u32_e32 v12, vcc, s8, v12
	v_addc_co_u32_e32 v13, vcc, v11, v13, vcc
	global_load_dwordx2 v[12:13], v[12:13], off
	s_waitcnt vmcnt(0)
	v_add_f64 v[12:13], v[12:13], 0
	v_ashrrev_i32_e32 v15, 31, v13
	v_or_b32_e32 v16, 0x80000000, v15
	v_xor_b32_e32 v12, v15, v12
	v_xor_b32_e32 v13, v16, v13
	v_cmp_gt_u64_e32 vcc, v[5:6], v[12:13]
	v_cndmask_b32_e64 v15, 0, 1, vcc
	v_cmp_le_u64_e32 vcc, v[12:13], v[5:6]
	v_cndmask_b32_e64 v12, 0, 1, vcc
	v_cndmask_b32_e64 v12, v12, v15, s[0:1]
	v_and_b32_e32 v12, 1, v12
	v_cmp_eq_u32_e32 vcc, 1, v12
	v_cndmask_b32_e32 v10, v7, v10, vcc
	v_cndmask_b32_e32 v9, v9, v14, vcc
	v_cmp_ge_u32_e32 vcc, v9, v10
	s_or_b64 s[2:3], vcc, s[2:3]
	s_andn2_b64 exec, exec, s[2:3]
	s_cbranch_execnz .LBB1563_21
; %bb.22:
	s_or_b64 exec, exec, s[2:3]
.LBB1563_23:
	v_add_u32_e32 v5, v9, v0
	v_mov_b32_e32 v6, 0
	v_lshlrev_b64 v[5:6], 3, v[5:6]
	v_mov_b32_e32 v0, s11
	v_add_co_u32_e32 v7, vcc, s10, v5
	v_addc_co_u32_e32 v8, vcc, v0, v6, vcc
	global_store_dwordx2 v[7:8], v[3:4], off
	v_mov_b32_e32 v0, s15
	v_add_co_u32_e32 v3, vcc, s14, v5
	v_addc_co_u32_e32 v4, vcc, v0, v6, vcc
	global_store_dwordx2 v[3:4], v[1:2], off
.LBB1563_24:
	s_endpgm
	.section	.rodata,"a",@progbits
	.p2align	6, 0x0
	.amdhsa_kernel _ZN7rocprim17ROCPRIM_400000_NS6detail17trampoline_kernelINS0_14default_configENS1_38merge_sort_block_merge_config_selectorIdlEEZZNS1_27merge_sort_block_merge_implIS3_PdN6thrust23THRUST_200600_302600_NS10device_ptrIlEEjNS1_19radix_merge_compareILb0ELb0EdNS0_19identity_decomposerEEEEE10hipError_tT0_T1_T2_jT3_P12ihipStream_tbPNSt15iterator_traitsISG_E10value_typeEPNSM_ISH_E10value_typeEPSI_NS1_7vsmem_tEENKUlT_SG_SH_SI_E_clIS7_S7_PlSB_EESF_SV_SG_SH_SI_EUlSV_E1_NS1_11comp_targetILNS1_3genE2ELNS1_11target_archE906ELNS1_3gpuE6ELNS1_3repE0EEENS1_36merge_oddeven_config_static_selectorELNS0_4arch9wavefront6targetE1EEEvSH_
		.amdhsa_group_segment_fixed_size 0
		.amdhsa_private_segment_fixed_size 0
		.amdhsa_kernarg_size 48
		.amdhsa_user_sgpr_count 6
		.amdhsa_user_sgpr_private_segment_buffer 1
		.amdhsa_user_sgpr_dispatch_ptr 0
		.amdhsa_user_sgpr_queue_ptr 0
		.amdhsa_user_sgpr_kernarg_segment_ptr 1
		.amdhsa_user_sgpr_dispatch_id 0
		.amdhsa_user_sgpr_flat_scratch_init 0
		.amdhsa_user_sgpr_private_segment_size 0
		.amdhsa_uses_dynamic_stack 0
		.amdhsa_system_sgpr_private_segment_wavefront_offset 0
		.amdhsa_system_sgpr_workgroup_id_x 1
		.amdhsa_system_sgpr_workgroup_id_y 0
		.amdhsa_system_sgpr_workgroup_id_z 0
		.amdhsa_system_sgpr_workgroup_info 0
		.amdhsa_system_vgpr_workitem_id 0
		.amdhsa_next_free_vgpr 17
		.amdhsa_next_free_sgpr 22
		.amdhsa_reserve_vcc 1
		.amdhsa_reserve_flat_scratch 0
		.amdhsa_float_round_mode_32 0
		.amdhsa_float_round_mode_16_64 0
		.amdhsa_float_denorm_mode_32 3
		.amdhsa_float_denorm_mode_16_64 3
		.amdhsa_dx10_clamp 1
		.amdhsa_ieee_mode 1
		.amdhsa_fp16_overflow 0
		.amdhsa_exception_fp_ieee_invalid_op 0
		.amdhsa_exception_fp_denorm_src 0
		.amdhsa_exception_fp_ieee_div_zero 0
		.amdhsa_exception_fp_ieee_overflow 0
		.amdhsa_exception_fp_ieee_underflow 0
		.amdhsa_exception_fp_ieee_inexact 0
		.amdhsa_exception_int_div_zero 0
	.end_amdhsa_kernel
	.section	.text._ZN7rocprim17ROCPRIM_400000_NS6detail17trampoline_kernelINS0_14default_configENS1_38merge_sort_block_merge_config_selectorIdlEEZZNS1_27merge_sort_block_merge_implIS3_PdN6thrust23THRUST_200600_302600_NS10device_ptrIlEEjNS1_19radix_merge_compareILb0ELb0EdNS0_19identity_decomposerEEEEE10hipError_tT0_T1_T2_jT3_P12ihipStream_tbPNSt15iterator_traitsISG_E10value_typeEPNSM_ISH_E10value_typeEPSI_NS1_7vsmem_tEENKUlT_SG_SH_SI_E_clIS7_S7_PlSB_EESF_SV_SG_SH_SI_EUlSV_E1_NS1_11comp_targetILNS1_3genE2ELNS1_11target_archE906ELNS1_3gpuE6ELNS1_3repE0EEENS1_36merge_oddeven_config_static_selectorELNS0_4arch9wavefront6targetE1EEEvSH_,"axG",@progbits,_ZN7rocprim17ROCPRIM_400000_NS6detail17trampoline_kernelINS0_14default_configENS1_38merge_sort_block_merge_config_selectorIdlEEZZNS1_27merge_sort_block_merge_implIS3_PdN6thrust23THRUST_200600_302600_NS10device_ptrIlEEjNS1_19radix_merge_compareILb0ELb0EdNS0_19identity_decomposerEEEEE10hipError_tT0_T1_T2_jT3_P12ihipStream_tbPNSt15iterator_traitsISG_E10value_typeEPNSM_ISH_E10value_typeEPSI_NS1_7vsmem_tEENKUlT_SG_SH_SI_E_clIS7_S7_PlSB_EESF_SV_SG_SH_SI_EUlSV_E1_NS1_11comp_targetILNS1_3genE2ELNS1_11target_archE906ELNS1_3gpuE6ELNS1_3repE0EEENS1_36merge_oddeven_config_static_selectorELNS0_4arch9wavefront6targetE1EEEvSH_,comdat
.Lfunc_end1563:
	.size	_ZN7rocprim17ROCPRIM_400000_NS6detail17trampoline_kernelINS0_14default_configENS1_38merge_sort_block_merge_config_selectorIdlEEZZNS1_27merge_sort_block_merge_implIS3_PdN6thrust23THRUST_200600_302600_NS10device_ptrIlEEjNS1_19radix_merge_compareILb0ELb0EdNS0_19identity_decomposerEEEEE10hipError_tT0_T1_T2_jT3_P12ihipStream_tbPNSt15iterator_traitsISG_E10value_typeEPNSM_ISH_E10value_typeEPSI_NS1_7vsmem_tEENKUlT_SG_SH_SI_E_clIS7_S7_PlSB_EESF_SV_SG_SH_SI_EUlSV_E1_NS1_11comp_targetILNS1_3genE2ELNS1_11target_archE906ELNS1_3gpuE6ELNS1_3repE0EEENS1_36merge_oddeven_config_static_selectorELNS0_4arch9wavefront6targetE1EEEvSH_, .Lfunc_end1563-_ZN7rocprim17ROCPRIM_400000_NS6detail17trampoline_kernelINS0_14default_configENS1_38merge_sort_block_merge_config_selectorIdlEEZZNS1_27merge_sort_block_merge_implIS3_PdN6thrust23THRUST_200600_302600_NS10device_ptrIlEEjNS1_19radix_merge_compareILb0ELb0EdNS0_19identity_decomposerEEEEE10hipError_tT0_T1_T2_jT3_P12ihipStream_tbPNSt15iterator_traitsISG_E10value_typeEPNSM_ISH_E10value_typeEPSI_NS1_7vsmem_tEENKUlT_SG_SH_SI_E_clIS7_S7_PlSB_EESF_SV_SG_SH_SI_EUlSV_E1_NS1_11comp_targetILNS1_3genE2ELNS1_11target_archE906ELNS1_3gpuE6ELNS1_3repE0EEENS1_36merge_oddeven_config_static_selectorELNS0_4arch9wavefront6targetE1EEEvSH_
                                        ; -- End function
	.set _ZN7rocprim17ROCPRIM_400000_NS6detail17trampoline_kernelINS0_14default_configENS1_38merge_sort_block_merge_config_selectorIdlEEZZNS1_27merge_sort_block_merge_implIS3_PdN6thrust23THRUST_200600_302600_NS10device_ptrIlEEjNS1_19radix_merge_compareILb0ELb0EdNS0_19identity_decomposerEEEEE10hipError_tT0_T1_T2_jT3_P12ihipStream_tbPNSt15iterator_traitsISG_E10value_typeEPNSM_ISH_E10value_typeEPSI_NS1_7vsmem_tEENKUlT_SG_SH_SI_E_clIS7_S7_PlSB_EESF_SV_SG_SH_SI_EUlSV_E1_NS1_11comp_targetILNS1_3genE2ELNS1_11target_archE906ELNS1_3gpuE6ELNS1_3repE0EEENS1_36merge_oddeven_config_static_selectorELNS0_4arch9wavefront6targetE1EEEvSH_.num_vgpr, 17
	.set _ZN7rocprim17ROCPRIM_400000_NS6detail17trampoline_kernelINS0_14default_configENS1_38merge_sort_block_merge_config_selectorIdlEEZZNS1_27merge_sort_block_merge_implIS3_PdN6thrust23THRUST_200600_302600_NS10device_ptrIlEEjNS1_19radix_merge_compareILb0ELb0EdNS0_19identity_decomposerEEEEE10hipError_tT0_T1_T2_jT3_P12ihipStream_tbPNSt15iterator_traitsISG_E10value_typeEPNSM_ISH_E10value_typeEPSI_NS1_7vsmem_tEENKUlT_SG_SH_SI_E_clIS7_S7_PlSB_EESF_SV_SG_SH_SI_EUlSV_E1_NS1_11comp_targetILNS1_3genE2ELNS1_11target_archE906ELNS1_3gpuE6ELNS1_3repE0EEENS1_36merge_oddeven_config_static_selectorELNS0_4arch9wavefront6targetE1EEEvSH_.num_agpr, 0
	.set _ZN7rocprim17ROCPRIM_400000_NS6detail17trampoline_kernelINS0_14default_configENS1_38merge_sort_block_merge_config_selectorIdlEEZZNS1_27merge_sort_block_merge_implIS3_PdN6thrust23THRUST_200600_302600_NS10device_ptrIlEEjNS1_19radix_merge_compareILb0ELb0EdNS0_19identity_decomposerEEEEE10hipError_tT0_T1_T2_jT3_P12ihipStream_tbPNSt15iterator_traitsISG_E10value_typeEPNSM_ISH_E10value_typeEPSI_NS1_7vsmem_tEENKUlT_SG_SH_SI_E_clIS7_S7_PlSB_EESF_SV_SG_SH_SI_EUlSV_E1_NS1_11comp_targetILNS1_3genE2ELNS1_11target_archE906ELNS1_3gpuE6ELNS1_3repE0EEENS1_36merge_oddeven_config_static_selectorELNS0_4arch9wavefront6targetE1EEEvSH_.numbered_sgpr, 22
	.set _ZN7rocprim17ROCPRIM_400000_NS6detail17trampoline_kernelINS0_14default_configENS1_38merge_sort_block_merge_config_selectorIdlEEZZNS1_27merge_sort_block_merge_implIS3_PdN6thrust23THRUST_200600_302600_NS10device_ptrIlEEjNS1_19radix_merge_compareILb0ELb0EdNS0_19identity_decomposerEEEEE10hipError_tT0_T1_T2_jT3_P12ihipStream_tbPNSt15iterator_traitsISG_E10value_typeEPNSM_ISH_E10value_typeEPSI_NS1_7vsmem_tEENKUlT_SG_SH_SI_E_clIS7_S7_PlSB_EESF_SV_SG_SH_SI_EUlSV_E1_NS1_11comp_targetILNS1_3genE2ELNS1_11target_archE906ELNS1_3gpuE6ELNS1_3repE0EEENS1_36merge_oddeven_config_static_selectorELNS0_4arch9wavefront6targetE1EEEvSH_.num_named_barrier, 0
	.set _ZN7rocprim17ROCPRIM_400000_NS6detail17trampoline_kernelINS0_14default_configENS1_38merge_sort_block_merge_config_selectorIdlEEZZNS1_27merge_sort_block_merge_implIS3_PdN6thrust23THRUST_200600_302600_NS10device_ptrIlEEjNS1_19radix_merge_compareILb0ELb0EdNS0_19identity_decomposerEEEEE10hipError_tT0_T1_T2_jT3_P12ihipStream_tbPNSt15iterator_traitsISG_E10value_typeEPNSM_ISH_E10value_typeEPSI_NS1_7vsmem_tEENKUlT_SG_SH_SI_E_clIS7_S7_PlSB_EESF_SV_SG_SH_SI_EUlSV_E1_NS1_11comp_targetILNS1_3genE2ELNS1_11target_archE906ELNS1_3gpuE6ELNS1_3repE0EEENS1_36merge_oddeven_config_static_selectorELNS0_4arch9wavefront6targetE1EEEvSH_.private_seg_size, 0
	.set _ZN7rocprim17ROCPRIM_400000_NS6detail17trampoline_kernelINS0_14default_configENS1_38merge_sort_block_merge_config_selectorIdlEEZZNS1_27merge_sort_block_merge_implIS3_PdN6thrust23THRUST_200600_302600_NS10device_ptrIlEEjNS1_19radix_merge_compareILb0ELb0EdNS0_19identity_decomposerEEEEE10hipError_tT0_T1_T2_jT3_P12ihipStream_tbPNSt15iterator_traitsISG_E10value_typeEPNSM_ISH_E10value_typeEPSI_NS1_7vsmem_tEENKUlT_SG_SH_SI_E_clIS7_S7_PlSB_EESF_SV_SG_SH_SI_EUlSV_E1_NS1_11comp_targetILNS1_3genE2ELNS1_11target_archE906ELNS1_3gpuE6ELNS1_3repE0EEENS1_36merge_oddeven_config_static_selectorELNS0_4arch9wavefront6targetE1EEEvSH_.uses_vcc, 1
	.set _ZN7rocprim17ROCPRIM_400000_NS6detail17trampoline_kernelINS0_14default_configENS1_38merge_sort_block_merge_config_selectorIdlEEZZNS1_27merge_sort_block_merge_implIS3_PdN6thrust23THRUST_200600_302600_NS10device_ptrIlEEjNS1_19radix_merge_compareILb0ELb0EdNS0_19identity_decomposerEEEEE10hipError_tT0_T1_T2_jT3_P12ihipStream_tbPNSt15iterator_traitsISG_E10value_typeEPNSM_ISH_E10value_typeEPSI_NS1_7vsmem_tEENKUlT_SG_SH_SI_E_clIS7_S7_PlSB_EESF_SV_SG_SH_SI_EUlSV_E1_NS1_11comp_targetILNS1_3genE2ELNS1_11target_archE906ELNS1_3gpuE6ELNS1_3repE0EEENS1_36merge_oddeven_config_static_selectorELNS0_4arch9wavefront6targetE1EEEvSH_.uses_flat_scratch, 0
	.set _ZN7rocprim17ROCPRIM_400000_NS6detail17trampoline_kernelINS0_14default_configENS1_38merge_sort_block_merge_config_selectorIdlEEZZNS1_27merge_sort_block_merge_implIS3_PdN6thrust23THRUST_200600_302600_NS10device_ptrIlEEjNS1_19radix_merge_compareILb0ELb0EdNS0_19identity_decomposerEEEEE10hipError_tT0_T1_T2_jT3_P12ihipStream_tbPNSt15iterator_traitsISG_E10value_typeEPNSM_ISH_E10value_typeEPSI_NS1_7vsmem_tEENKUlT_SG_SH_SI_E_clIS7_S7_PlSB_EESF_SV_SG_SH_SI_EUlSV_E1_NS1_11comp_targetILNS1_3genE2ELNS1_11target_archE906ELNS1_3gpuE6ELNS1_3repE0EEENS1_36merge_oddeven_config_static_selectorELNS0_4arch9wavefront6targetE1EEEvSH_.has_dyn_sized_stack, 0
	.set _ZN7rocprim17ROCPRIM_400000_NS6detail17trampoline_kernelINS0_14default_configENS1_38merge_sort_block_merge_config_selectorIdlEEZZNS1_27merge_sort_block_merge_implIS3_PdN6thrust23THRUST_200600_302600_NS10device_ptrIlEEjNS1_19radix_merge_compareILb0ELb0EdNS0_19identity_decomposerEEEEE10hipError_tT0_T1_T2_jT3_P12ihipStream_tbPNSt15iterator_traitsISG_E10value_typeEPNSM_ISH_E10value_typeEPSI_NS1_7vsmem_tEENKUlT_SG_SH_SI_E_clIS7_S7_PlSB_EESF_SV_SG_SH_SI_EUlSV_E1_NS1_11comp_targetILNS1_3genE2ELNS1_11target_archE906ELNS1_3gpuE6ELNS1_3repE0EEENS1_36merge_oddeven_config_static_selectorELNS0_4arch9wavefront6targetE1EEEvSH_.has_recursion, 0
	.set _ZN7rocprim17ROCPRIM_400000_NS6detail17trampoline_kernelINS0_14default_configENS1_38merge_sort_block_merge_config_selectorIdlEEZZNS1_27merge_sort_block_merge_implIS3_PdN6thrust23THRUST_200600_302600_NS10device_ptrIlEEjNS1_19radix_merge_compareILb0ELb0EdNS0_19identity_decomposerEEEEE10hipError_tT0_T1_T2_jT3_P12ihipStream_tbPNSt15iterator_traitsISG_E10value_typeEPNSM_ISH_E10value_typeEPSI_NS1_7vsmem_tEENKUlT_SG_SH_SI_E_clIS7_S7_PlSB_EESF_SV_SG_SH_SI_EUlSV_E1_NS1_11comp_targetILNS1_3genE2ELNS1_11target_archE906ELNS1_3gpuE6ELNS1_3repE0EEENS1_36merge_oddeven_config_static_selectorELNS0_4arch9wavefront6targetE1EEEvSH_.has_indirect_call, 0
	.section	.AMDGPU.csdata,"",@progbits
; Kernel info:
; codeLenInByte = 896
; TotalNumSgprs: 26
; NumVgprs: 17
; ScratchSize: 0
; MemoryBound: 0
; FloatMode: 240
; IeeeMode: 1
; LDSByteSize: 0 bytes/workgroup (compile time only)
; SGPRBlocks: 3
; VGPRBlocks: 4
; NumSGPRsForWavesPerEU: 26
; NumVGPRsForWavesPerEU: 17
; Occupancy: 10
; WaveLimiterHint : 0
; COMPUTE_PGM_RSRC2:SCRATCH_EN: 0
; COMPUTE_PGM_RSRC2:USER_SGPR: 6
; COMPUTE_PGM_RSRC2:TRAP_HANDLER: 0
; COMPUTE_PGM_RSRC2:TGID_X_EN: 1
; COMPUTE_PGM_RSRC2:TGID_Y_EN: 0
; COMPUTE_PGM_RSRC2:TGID_Z_EN: 0
; COMPUTE_PGM_RSRC2:TIDIG_COMP_CNT: 0
	.section	.text._ZN7rocprim17ROCPRIM_400000_NS6detail17trampoline_kernelINS0_14default_configENS1_38merge_sort_block_merge_config_selectorIdlEEZZNS1_27merge_sort_block_merge_implIS3_PdN6thrust23THRUST_200600_302600_NS10device_ptrIlEEjNS1_19radix_merge_compareILb0ELb0EdNS0_19identity_decomposerEEEEE10hipError_tT0_T1_T2_jT3_P12ihipStream_tbPNSt15iterator_traitsISG_E10value_typeEPNSM_ISH_E10value_typeEPSI_NS1_7vsmem_tEENKUlT_SG_SH_SI_E_clIS7_S7_PlSB_EESF_SV_SG_SH_SI_EUlSV_E1_NS1_11comp_targetILNS1_3genE9ELNS1_11target_archE1100ELNS1_3gpuE3ELNS1_3repE0EEENS1_36merge_oddeven_config_static_selectorELNS0_4arch9wavefront6targetE1EEEvSH_,"axG",@progbits,_ZN7rocprim17ROCPRIM_400000_NS6detail17trampoline_kernelINS0_14default_configENS1_38merge_sort_block_merge_config_selectorIdlEEZZNS1_27merge_sort_block_merge_implIS3_PdN6thrust23THRUST_200600_302600_NS10device_ptrIlEEjNS1_19radix_merge_compareILb0ELb0EdNS0_19identity_decomposerEEEEE10hipError_tT0_T1_T2_jT3_P12ihipStream_tbPNSt15iterator_traitsISG_E10value_typeEPNSM_ISH_E10value_typeEPSI_NS1_7vsmem_tEENKUlT_SG_SH_SI_E_clIS7_S7_PlSB_EESF_SV_SG_SH_SI_EUlSV_E1_NS1_11comp_targetILNS1_3genE9ELNS1_11target_archE1100ELNS1_3gpuE3ELNS1_3repE0EEENS1_36merge_oddeven_config_static_selectorELNS0_4arch9wavefront6targetE1EEEvSH_,comdat
	.protected	_ZN7rocprim17ROCPRIM_400000_NS6detail17trampoline_kernelINS0_14default_configENS1_38merge_sort_block_merge_config_selectorIdlEEZZNS1_27merge_sort_block_merge_implIS3_PdN6thrust23THRUST_200600_302600_NS10device_ptrIlEEjNS1_19radix_merge_compareILb0ELb0EdNS0_19identity_decomposerEEEEE10hipError_tT0_T1_T2_jT3_P12ihipStream_tbPNSt15iterator_traitsISG_E10value_typeEPNSM_ISH_E10value_typeEPSI_NS1_7vsmem_tEENKUlT_SG_SH_SI_E_clIS7_S7_PlSB_EESF_SV_SG_SH_SI_EUlSV_E1_NS1_11comp_targetILNS1_3genE9ELNS1_11target_archE1100ELNS1_3gpuE3ELNS1_3repE0EEENS1_36merge_oddeven_config_static_selectorELNS0_4arch9wavefront6targetE1EEEvSH_ ; -- Begin function _ZN7rocprim17ROCPRIM_400000_NS6detail17trampoline_kernelINS0_14default_configENS1_38merge_sort_block_merge_config_selectorIdlEEZZNS1_27merge_sort_block_merge_implIS3_PdN6thrust23THRUST_200600_302600_NS10device_ptrIlEEjNS1_19radix_merge_compareILb0ELb0EdNS0_19identity_decomposerEEEEE10hipError_tT0_T1_T2_jT3_P12ihipStream_tbPNSt15iterator_traitsISG_E10value_typeEPNSM_ISH_E10value_typeEPSI_NS1_7vsmem_tEENKUlT_SG_SH_SI_E_clIS7_S7_PlSB_EESF_SV_SG_SH_SI_EUlSV_E1_NS1_11comp_targetILNS1_3genE9ELNS1_11target_archE1100ELNS1_3gpuE3ELNS1_3repE0EEENS1_36merge_oddeven_config_static_selectorELNS0_4arch9wavefront6targetE1EEEvSH_
	.globl	_ZN7rocprim17ROCPRIM_400000_NS6detail17trampoline_kernelINS0_14default_configENS1_38merge_sort_block_merge_config_selectorIdlEEZZNS1_27merge_sort_block_merge_implIS3_PdN6thrust23THRUST_200600_302600_NS10device_ptrIlEEjNS1_19radix_merge_compareILb0ELb0EdNS0_19identity_decomposerEEEEE10hipError_tT0_T1_T2_jT3_P12ihipStream_tbPNSt15iterator_traitsISG_E10value_typeEPNSM_ISH_E10value_typeEPSI_NS1_7vsmem_tEENKUlT_SG_SH_SI_E_clIS7_S7_PlSB_EESF_SV_SG_SH_SI_EUlSV_E1_NS1_11comp_targetILNS1_3genE9ELNS1_11target_archE1100ELNS1_3gpuE3ELNS1_3repE0EEENS1_36merge_oddeven_config_static_selectorELNS0_4arch9wavefront6targetE1EEEvSH_
	.p2align	8
	.type	_ZN7rocprim17ROCPRIM_400000_NS6detail17trampoline_kernelINS0_14default_configENS1_38merge_sort_block_merge_config_selectorIdlEEZZNS1_27merge_sort_block_merge_implIS3_PdN6thrust23THRUST_200600_302600_NS10device_ptrIlEEjNS1_19radix_merge_compareILb0ELb0EdNS0_19identity_decomposerEEEEE10hipError_tT0_T1_T2_jT3_P12ihipStream_tbPNSt15iterator_traitsISG_E10value_typeEPNSM_ISH_E10value_typeEPSI_NS1_7vsmem_tEENKUlT_SG_SH_SI_E_clIS7_S7_PlSB_EESF_SV_SG_SH_SI_EUlSV_E1_NS1_11comp_targetILNS1_3genE9ELNS1_11target_archE1100ELNS1_3gpuE3ELNS1_3repE0EEENS1_36merge_oddeven_config_static_selectorELNS0_4arch9wavefront6targetE1EEEvSH_,@function
_ZN7rocprim17ROCPRIM_400000_NS6detail17trampoline_kernelINS0_14default_configENS1_38merge_sort_block_merge_config_selectorIdlEEZZNS1_27merge_sort_block_merge_implIS3_PdN6thrust23THRUST_200600_302600_NS10device_ptrIlEEjNS1_19radix_merge_compareILb0ELb0EdNS0_19identity_decomposerEEEEE10hipError_tT0_T1_T2_jT3_P12ihipStream_tbPNSt15iterator_traitsISG_E10value_typeEPNSM_ISH_E10value_typeEPSI_NS1_7vsmem_tEENKUlT_SG_SH_SI_E_clIS7_S7_PlSB_EESF_SV_SG_SH_SI_EUlSV_E1_NS1_11comp_targetILNS1_3genE9ELNS1_11target_archE1100ELNS1_3gpuE3ELNS1_3repE0EEENS1_36merge_oddeven_config_static_selectorELNS0_4arch9wavefront6targetE1EEEvSH_: ; @_ZN7rocprim17ROCPRIM_400000_NS6detail17trampoline_kernelINS0_14default_configENS1_38merge_sort_block_merge_config_selectorIdlEEZZNS1_27merge_sort_block_merge_implIS3_PdN6thrust23THRUST_200600_302600_NS10device_ptrIlEEjNS1_19radix_merge_compareILb0ELb0EdNS0_19identity_decomposerEEEEE10hipError_tT0_T1_T2_jT3_P12ihipStream_tbPNSt15iterator_traitsISG_E10value_typeEPNSM_ISH_E10value_typeEPSI_NS1_7vsmem_tEENKUlT_SG_SH_SI_E_clIS7_S7_PlSB_EESF_SV_SG_SH_SI_EUlSV_E1_NS1_11comp_targetILNS1_3genE9ELNS1_11target_archE1100ELNS1_3gpuE3ELNS1_3repE0EEENS1_36merge_oddeven_config_static_selectorELNS0_4arch9wavefront6targetE1EEEvSH_
; %bb.0:
	.section	.rodata,"a",@progbits
	.p2align	6, 0x0
	.amdhsa_kernel _ZN7rocprim17ROCPRIM_400000_NS6detail17trampoline_kernelINS0_14default_configENS1_38merge_sort_block_merge_config_selectorIdlEEZZNS1_27merge_sort_block_merge_implIS3_PdN6thrust23THRUST_200600_302600_NS10device_ptrIlEEjNS1_19radix_merge_compareILb0ELb0EdNS0_19identity_decomposerEEEEE10hipError_tT0_T1_T2_jT3_P12ihipStream_tbPNSt15iterator_traitsISG_E10value_typeEPNSM_ISH_E10value_typeEPSI_NS1_7vsmem_tEENKUlT_SG_SH_SI_E_clIS7_S7_PlSB_EESF_SV_SG_SH_SI_EUlSV_E1_NS1_11comp_targetILNS1_3genE9ELNS1_11target_archE1100ELNS1_3gpuE3ELNS1_3repE0EEENS1_36merge_oddeven_config_static_selectorELNS0_4arch9wavefront6targetE1EEEvSH_
		.amdhsa_group_segment_fixed_size 0
		.amdhsa_private_segment_fixed_size 0
		.amdhsa_kernarg_size 48
		.amdhsa_user_sgpr_count 6
		.amdhsa_user_sgpr_private_segment_buffer 1
		.amdhsa_user_sgpr_dispatch_ptr 0
		.amdhsa_user_sgpr_queue_ptr 0
		.amdhsa_user_sgpr_kernarg_segment_ptr 1
		.amdhsa_user_sgpr_dispatch_id 0
		.amdhsa_user_sgpr_flat_scratch_init 0
		.amdhsa_user_sgpr_private_segment_size 0
		.amdhsa_uses_dynamic_stack 0
		.amdhsa_system_sgpr_private_segment_wavefront_offset 0
		.amdhsa_system_sgpr_workgroup_id_x 1
		.amdhsa_system_sgpr_workgroup_id_y 0
		.amdhsa_system_sgpr_workgroup_id_z 0
		.amdhsa_system_sgpr_workgroup_info 0
		.amdhsa_system_vgpr_workitem_id 0
		.amdhsa_next_free_vgpr 1
		.amdhsa_next_free_sgpr 0
		.amdhsa_reserve_vcc 0
		.amdhsa_reserve_flat_scratch 0
		.amdhsa_float_round_mode_32 0
		.amdhsa_float_round_mode_16_64 0
		.amdhsa_float_denorm_mode_32 3
		.amdhsa_float_denorm_mode_16_64 3
		.amdhsa_dx10_clamp 1
		.amdhsa_ieee_mode 1
		.amdhsa_fp16_overflow 0
		.amdhsa_exception_fp_ieee_invalid_op 0
		.amdhsa_exception_fp_denorm_src 0
		.amdhsa_exception_fp_ieee_div_zero 0
		.amdhsa_exception_fp_ieee_overflow 0
		.amdhsa_exception_fp_ieee_underflow 0
		.amdhsa_exception_fp_ieee_inexact 0
		.amdhsa_exception_int_div_zero 0
	.end_amdhsa_kernel
	.section	.text._ZN7rocprim17ROCPRIM_400000_NS6detail17trampoline_kernelINS0_14default_configENS1_38merge_sort_block_merge_config_selectorIdlEEZZNS1_27merge_sort_block_merge_implIS3_PdN6thrust23THRUST_200600_302600_NS10device_ptrIlEEjNS1_19radix_merge_compareILb0ELb0EdNS0_19identity_decomposerEEEEE10hipError_tT0_T1_T2_jT3_P12ihipStream_tbPNSt15iterator_traitsISG_E10value_typeEPNSM_ISH_E10value_typeEPSI_NS1_7vsmem_tEENKUlT_SG_SH_SI_E_clIS7_S7_PlSB_EESF_SV_SG_SH_SI_EUlSV_E1_NS1_11comp_targetILNS1_3genE9ELNS1_11target_archE1100ELNS1_3gpuE3ELNS1_3repE0EEENS1_36merge_oddeven_config_static_selectorELNS0_4arch9wavefront6targetE1EEEvSH_,"axG",@progbits,_ZN7rocprim17ROCPRIM_400000_NS6detail17trampoline_kernelINS0_14default_configENS1_38merge_sort_block_merge_config_selectorIdlEEZZNS1_27merge_sort_block_merge_implIS3_PdN6thrust23THRUST_200600_302600_NS10device_ptrIlEEjNS1_19radix_merge_compareILb0ELb0EdNS0_19identity_decomposerEEEEE10hipError_tT0_T1_T2_jT3_P12ihipStream_tbPNSt15iterator_traitsISG_E10value_typeEPNSM_ISH_E10value_typeEPSI_NS1_7vsmem_tEENKUlT_SG_SH_SI_E_clIS7_S7_PlSB_EESF_SV_SG_SH_SI_EUlSV_E1_NS1_11comp_targetILNS1_3genE9ELNS1_11target_archE1100ELNS1_3gpuE3ELNS1_3repE0EEENS1_36merge_oddeven_config_static_selectorELNS0_4arch9wavefront6targetE1EEEvSH_,comdat
.Lfunc_end1564:
	.size	_ZN7rocprim17ROCPRIM_400000_NS6detail17trampoline_kernelINS0_14default_configENS1_38merge_sort_block_merge_config_selectorIdlEEZZNS1_27merge_sort_block_merge_implIS3_PdN6thrust23THRUST_200600_302600_NS10device_ptrIlEEjNS1_19radix_merge_compareILb0ELb0EdNS0_19identity_decomposerEEEEE10hipError_tT0_T1_T2_jT3_P12ihipStream_tbPNSt15iterator_traitsISG_E10value_typeEPNSM_ISH_E10value_typeEPSI_NS1_7vsmem_tEENKUlT_SG_SH_SI_E_clIS7_S7_PlSB_EESF_SV_SG_SH_SI_EUlSV_E1_NS1_11comp_targetILNS1_3genE9ELNS1_11target_archE1100ELNS1_3gpuE3ELNS1_3repE0EEENS1_36merge_oddeven_config_static_selectorELNS0_4arch9wavefront6targetE1EEEvSH_, .Lfunc_end1564-_ZN7rocprim17ROCPRIM_400000_NS6detail17trampoline_kernelINS0_14default_configENS1_38merge_sort_block_merge_config_selectorIdlEEZZNS1_27merge_sort_block_merge_implIS3_PdN6thrust23THRUST_200600_302600_NS10device_ptrIlEEjNS1_19radix_merge_compareILb0ELb0EdNS0_19identity_decomposerEEEEE10hipError_tT0_T1_T2_jT3_P12ihipStream_tbPNSt15iterator_traitsISG_E10value_typeEPNSM_ISH_E10value_typeEPSI_NS1_7vsmem_tEENKUlT_SG_SH_SI_E_clIS7_S7_PlSB_EESF_SV_SG_SH_SI_EUlSV_E1_NS1_11comp_targetILNS1_3genE9ELNS1_11target_archE1100ELNS1_3gpuE3ELNS1_3repE0EEENS1_36merge_oddeven_config_static_selectorELNS0_4arch9wavefront6targetE1EEEvSH_
                                        ; -- End function
	.set _ZN7rocprim17ROCPRIM_400000_NS6detail17trampoline_kernelINS0_14default_configENS1_38merge_sort_block_merge_config_selectorIdlEEZZNS1_27merge_sort_block_merge_implIS3_PdN6thrust23THRUST_200600_302600_NS10device_ptrIlEEjNS1_19radix_merge_compareILb0ELb0EdNS0_19identity_decomposerEEEEE10hipError_tT0_T1_T2_jT3_P12ihipStream_tbPNSt15iterator_traitsISG_E10value_typeEPNSM_ISH_E10value_typeEPSI_NS1_7vsmem_tEENKUlT_SG_SH_SI_E_clIS7_S7_PlSB_EESF_SV_SG_SH_SI_EUlSV_E1_NS1_11comp_targetILNS1_3genE9ELNS1_11target_archE1100ELNS1_3gpuE3ELNS1_3repE0EEENS1_36merge_oddeven_config_static_selectorELNS0_4arch9wavefront6targetE1EEEvSH_.num_vgpr, 0
	.set _ZN7rocprim17ROCPRIM_400000_NS6detail17trampoline_kernelINS0_14default_configENS1_38merge_sort_block_merge_config_selectorIdlEEZZNS1_27merge_sort_block_merge_implIS3_PdN6thrust23THRUST_200600_302600_NS10device_ptrIlEEjNS1_19radix_merge_compareILb0ELb0EdNS0_19identity_decomposerEEEEE10hipError_tT0_T1_T2_jT3_P12ihipStream_tbPNSt15iterator_traitsISG_E10value_typeEPNSM_ISH_E10value_typeEPSI_NS1_7vsmem_tEENKUlT_SG_SH_SI_E_clIS7_S7_PlSB_EESF_SV_SG_SH_SI_EUlSV_E1_NS1_11comp_targetILNS1_3genE9ELNS1_11target_archE1100ELNS1_3gpuE3ELNS1_3repE0EEENS1_36merge_oddeven_config_static_selectorELNS0_4arch9wavefront6targetE1EEEvSH_.num_agpr, 0
	.set _ZN7rocprim17ROCPRIM_400000_NS6detail17trampoline_kernelINS0_14default_configENS1_38merge_sort_block_merge_config_selectorIdlEEZZNS1_27merge_sort_block_merge_implIS3_PdN6thrust23THRUST_200600_302600_NS10device_ptrIlEEjNS1_19radix_merge_compareILb0ELb0EdNS0_19identity_decomposerEEEEE10hipError_tT0_T1_T2_jT3_P12ihipStream_tbPNSt15iterator_traitsISG_E10value_typeEPNSM_ISH_E10value_typeEPSI_NS1_7vsmem_tEENKUlT_SG_SH_SI_E_clIS7_S7_PlSB_EESF_SV_SG_SH_SI_EUlSV_E1_NS1_11comp_targetILNS1_3genE9ELNS1_11target_archE1100ELNS1_3gpuE3ELNS1_3repE0EEENS1_36merge_oddeven_config_static_selectorELNS0_4arch9wavefront6targetE1EEEvSH_.numbered_sgpr, 0
	.set _ZN7rocprim17ROCPRIM_400000_NS6detail17trampoline_kernelINS0_14default_configENS1_38merge_sort_block_merge_config_selectorIdlEEZZNS1_27merge_sort_block_merge_implIS3_PdN6thrust23THRUST_200600_302600_NS10device_ptrIlEEjNS1_19radix_merge_compareILb0ELb0EdNS0_19identity_decomposerEEEEE10hipError_tT0_T1_T2_jT3_P12ihipStream_tbPNSt15iterator_traitsISG_E10value_typeEPNSM_ISH_E10value_typeEPSI_NS1_7vsmem_tEENKUlT_SG_SH_SI_E_clIS7_S7_PlSB_EESF_SV_SG_SH_SI_EUlSV_E1_NS1_11comp_targetILNS1_3genE9ELNS1_11target_archE1100ELNS1_3gpuE3ELNS1_3repE0EEENS1_36merge_oddeven_config_static_selectorELNS0_4arch9wavefront6targetE1EEEvSH_.num_named_barrier, 0
	.set _ZN7rocprim17ROCPRIM_400000_NS6detail17trampoline_kernelINS0_14default_configENS1_38merge_sort_block_merge_config_selectorIdlEEZZNS1_27merge_sort_block_merge_implIS3_PdN6thrust23THRUST_200600_302600_NS10device_ptrIlEEjNS1_19radix_merge_compareILb0ELb0EdNS0_19identity_decomposerEEEEE10hipError_tT0_T1_T2_jT3_P12ihipStream_tbPNSt15iterator_traitsISG_E10value_typeEPNSM_ISH_E10value_typeEPSI_NS1_7vsmem_tEENKUlT_SG_SH_SI_E_clIS7_S7_PlSB_EESF_SV_SG_SH_SI_EUlSV_E1_NS1_11comp_targetILNS1_3genE9ELNS1_11target_archE1100ELNS1_3gpuE3ELNS1_3repE0EEENS1_36merge_oddeven_config_static_selectorELNS0_4arch9wavefront6targetE1EEEvSH_.private_seg_size, 0
	.set _ZN7rocprim17ROCPRIM_400000_NS6detail17trampoline_kernelINS0_14default_configENS1_38merge_sort_block_merge_config_selectorIdlEEZZNS1_27merge_sort_block_merge_implIS3_PdN6thrust23THRUST_200600_302600_NS10device_ptrIlEEjNS1_19radix_merge_compareILb0ELb0EdNS0_19identity_decomposerEEEEE10hipError_tT0_T1_T2_jT3_P12ihipStream_tbPNSt15iterator_traitsISG_E10value_typeEPNSM_ISH_E10value_typeEPSI_NS1_7vsmem_tEENKUlT_SG_SH_SI_E_clIS7_S7_PlSB_EESF_SV_SG_SH_SI_EUlSV_E1_NS1_11comp_targetILNS1_3genE9ELNS1_11target_archE1100ELNS1_3gpuE3ELNS1_3repE0EEENS1_36merge_oddeven_config_static_selectorELNS0_4arch9wavefront6targetE1EEEvSH_.uses_vcc, 0
	.set _ZN7rocprim17ROCPRIM_400000_NS6detail17trampoline_kernelINS0_14default_configENS1_38merge_sort_block_merge_config_selectorIdlEEZZNS1_27merge_sort_block_merge_implIS3_PdN6thrust23THRUST_200600_302600_NS10device_ptrIlEEjNS1_19radix_merge_compareILb0ELb0EdNS0_19identity_decomposerEEEEE10hipError_tT0_T1_T2_jT3_P12ihipStream_tbPNSt15iterator_traitsISG_E10value_typeEPNSM_ISH_E10value_typeEPSI_NS1_7vsmem_tEENKUlT_SG_SH_SI_E_clIS7_S7_PlSB_EESF_SV_SG_SH_SI_EUlSV_E1_NS1_11comp_targetILNS1_3genE9ELNS1_11target_archE1100ELNS1_3gpuE3ELNS1_3repE0EEENS1_36merge_oddeven_config_static_selectorELNS0_4arch9wavefront6targetE1EEEvSH_.uses_flat_scratch, 0
	.set _ZN7rocprim17ROCPRIM_400000_NS6detail17trampoline_kernelINS0_14default_configENS1_38merge_sort_block_merge_config_selectorIdlEEZZNS1_27merge_sort_block_merge_implIS3_PdN6thrust23THRUST_200600_302600_NS10device_ptrIlEEjNS1_19radix_merge_compareILb0ELb0EdNS0_19identity_decomposerEEEEE10hipError_tT0_T1_T2_jT3_P12ihipStream_tbPNSt15iterator_traitsISG_E10value_typeEPNSM_ISH_E10value_typeEPSI_NS1_7vsmem_tEENKUlT_SG_SH_SI_E_clIS7_S7_PlSB_EESF_SV_SG_SH_SI_EUlSV_E1_NS1_11comp_targetILNS1_3genE9ELNS1_11target_archE1100ELNS1_3gpuE3ELNS1_3repE0EEENS1_36merge_oddeven_config_static_selectorELNS0_4arch9wavefront6targetE1EEEvSH_.has_dyn_sized_stack, 0
	.set _ZN7rocprim17ROCPRIM_400000_NS6detail17trampoline_kernelINS0_14default_configENS1_38merge_sort_block_merge_config_selectorIdlEEZZNS1_27merge_sort_block_merge_implIS3_PdN6thrust23THRUST_200600_302600_NS10device_ptrIlEEjNS1_19radix_merge_compareILb0ELb0EdNS0_19identity_decomposerEEEEE10hipError_tT0_T1_T2_jT3_P12ihipStream_tbPNSt15iterator_traitsISG_E10value_typeEPNSM_ISH_E10value_typeEPSI_NS1_7vsmem_tEENKUlT_SG_SH_SI_E_clIS7_S7_PlSB_EESF_SV_SG_SH_SI_EUlSV_E1_NS1_11comp_targetILNS1_3genE9ELNS1_11target_archE1100ELNS1_3gpuE3ELNS1_3repE0EEENS1_36merge_oddeven_config_static_selectorELNS0_4arch9wavefront6targetE1EEEvSH_.has_recursion, 0
	.set _ZN7rocprim17ROCPRIM_400000_NS6detail17trampoline_kernelINS0_14default_configENS1_38merge_sort_block_merge_config_selectorIdlEEZZNS1_27merge_sort_block_merge_implIS3_PdN6thrust23THRUST_200600_302600_NS10device_ptrIlEEjNS1_19radix_merge_compareILb0ELb0EdNS0_19identity_decomposerEEEEE10hipError_tT0_T1_T2_jT3_P12ihipStream_tbPNSt15iterator_traitsISG_E10value_typeEPNSM_ISH_E10value_typeEPSI_NS1_7vsmem_tEENKUlT_SG_SH_SI_E_clIS7_S7_PlSB_EESF_SV_SG_SH_SI_EUlSV_E1_NS1_11comp_targetILNS1_3genE9ELNS1_11target_archE1100ELNS1_3gpuE3ELNS1_3repE0EEENS1_36merge_oddeven_config_static_selectorELNS0_4arch9wavefront6targetE1EEEvSH_.has_indirect_call, 0
	.section	.AMDGPU.csdata,"",@progbits
; Kernel info:
; codeLenInByte = 0
; TotalNumSgprs: 4
; NumVgprs: 0
; ScratchSize: 0
; MemoryBound: 0
; FloatMode: 240
; IeeeMode: 1
; LDSByteSize: 0 bytes/workgroup (compile time only)
; SGPRBlocks: 0
; VGPRBlocks: 0
; NumSGPRsForWavesPerEU: 4
; NumVGPRsForWavesPerEU: 1
; Occupancy: 10
; WaveLimiterHint : 0
; COMPUTE_PGM_RSRC2:SCRATCH_EN: 0
; COMPUTE_PGM_RSRC2:USER_SGPR: 6
; COMPUTE_PGM_RSRC2:TRAP_HANDLER: 0
; COMPUTE_PGM_RSRC2:TGID_X_EN: 1
; COMPUTE_PGM_RSRC2:TGID_Y_EN: 0
; COMPUTE_PGM_RSRC2:TGID_Z_EN: 0
; COMPUTE_PGM_RSRC2:TIDIG_COMP_CNT: 0
	.section	.text._ZN7rocprim17ROCPRIM_400000_NS6detail17trampoline_kernelINS0_14default_configENS1_38merge_sort_block_merge_config_selectorIdlEEZZNS1_27merge_sort_block_merge_implIS3_PdN6thrust23THRUST_200600_302600_NS10device_ptrIlEEjNS1_19radix_merge_compareILb0ELb0EdNS0_19identity_decomposerEEEEE10hipError_tT0_T1_T2_jT3_P12ihipStream_tbPNSt15iterator_traitsISG_E10value_typeEPNSM_ISH_E10value_typeEPSI_NS1_7vsmem_tEENKUlT_SG_SH_SI_E_clIS7_S7_PlSB_EESF_SV_SG_SH_SI_EUlSV_E1_NS1_11comp_targetILNS1_3genE8ELNS1_11target_archE1030ELNS1_3gpuE2ELNS1_3repE0EEENS1_36merge_oddeven_config_static_selectorELNS0_4arch9wavefront6targetE1EEEvSH_,"axG",@progbits,_ZN7rocprim17ROCPRIM_400000_NS6detail17trampoline_kernelINS0_14default_configENS1_38merge_sort_block_merge_config_selectorIdlEEZZNS1_27merge_sort_block_merge_implIS3_PdN6thrust23THRUST_200600_302600_NS10device_ptrIlEEjNS1_19radix_merge_compareILb0ELb0EdNS0_19identity_decomposerEEEEE10hipError_tT0_T1_T2_jT3_P12ihipStream_tbPNSt15iterator_traitsISG_E10value_typeEPNSM_ISH_E10value_typeEPSI_NS1_7vsmem_tEENKUlT_SG_SH_SI_E_clIS7_S7_PlSB_EESF_SV_SG_SH_SI_EUlSV_E1_NS1_11comp_targetILNS1_3genE8ELNS1_11target_archE1030ELNS1_3gpuE2ELNS1_3repE0EEENS1_36merge_oddeven_config_static_selectorELNS0_4arch9wavefront6targetE1EEEvSH_,comdat
	.protected	_ZN7rocprim17ROCPRIM_400000_NS6detail17trampoline_kernelINS0_14default_configENS1_38merge_sort_block_merge_config_selectorIdlEEZZNS1_27merge_sort_block_merge_implIS3_PdN6thrust23THRUST_200600_302600_NS10device_ptrIlEEjNS1_19radix_merge_compareILb0ELb0EdNS0_19identity_decomposerEEEEE10hipError_tT0_T1_T2_jT3_P12ihipStream_tbPNSt15iterator_traitsISG_E10value_typeEPNSM_ISH_E10value_typeEPSI_NS1_7vsmem_tEENKUlT_SG_SH_SI_E_clIS7_S7_PlSB_EESF_SV_SG_SH_SI_EUlSV_E1_NS1_11comp_targetILNS1_3genE8ELNS1_11target_archE1030ELNS1_3gpuE2ELNS1_3repE0EEENS1_36merge_oddeven_config_static_selectorELNS0_4arch9wavefront6targetE1EEEvSH_ ; -- Begin function _ZN7rocprim17ROCPRIM_400000_NS6detail17trampoline_kernelINS0_14default_configENS1_38merge_sort_block_merge_config_selectorIdlEEZZNS1_27merge_sort_block_merge_implIS3_PdN6thrust23THRUST_200600_302600_NS10device_ptrIlEEjNS1_19radix_merge_compareILb0ELb0EdNS0_19identity_decomposerEEEEE10hipError_tT0_T1_T2_jT3_P12ihipStream_tbPNSt15iterator_traitsISG_E10value_typeEPNSM_ISH_E10value_typeEPSI_NS1_7vsmem_tEENKUlT_SG_SH_SI_E_clIS7_S7_PlSB_EESF_SV_SG_SH_SI_EUlSV_E1_NS1_11comp_targetILNS1_3genE8ELNS1_11target_archE1030ELNS1_3gpuE2ELNS1_3repE0EEENS1_36merge_oddeven_config_static_selectorELNS0_4arch9wavefront6targetE1EEEvSH_
	.globl	_ZN7rocprim17ROCPRIM_400000_NS6detail17trampoline_kernelINS0_14default_configENS1_38merge_sort_block_merge_config_selectorIdlEEZZNS1_27merge_sort_block_merge_implIS3_PdN6thrust23THRUST_200600_302600_NS10device_ptrIlEEjNS1_19radix_merge_compareILb0ELb0EdNS0_19identity_decomposerEEEEE10hipError_tT0_T1_T2_jT3_P12ihipStream_tbPNSt15iterator_traitsISG_E10value_typeEPNSM_ISH_E10value_typeEPSI_NS1_7vsmem_tEENKUlT_SG_SH_SI_E_clIS7_S7_PlSB_EESF_SV_SG_SH_SI_EUlSV_E1_NS1_11comp_targetILNS1_3genE8ELNS1_11target_archE1030ELNS1_3gpuE2ELNS1_3repE0EEENS1_36merge_oddeven_config_static_selectorELNS0_4arch9wavefront6targetE1EEEvSH_
	.p2align	8
	.type	_ZN7rocprim17ROCPRIM_400000_NS6detail17trampoline_kernelINS0_14default_configENS1_38merge_sort_block_merge_config_selectorIdlEEZZNS1_27merge_sort_block_merge_implIS3_PdN6thrust23THRUST_200600_302600_NS10device_ptrIlEEjNS1_19radix_merge_compareILb0ELb0EdNS0_19identity_decomposerEEEEE10hipError_tT0_T1_T2_jT3_P12ihipStream_tbPNSt15iterator_traitsISG_E10value_typeEPNSM_ISH_E10value_typeEPSI_NS1_7vsmem_tEENKUlT_SG_SH_SI_E_clIS7_S7_PlSB_EESF_SV_SG_SH_SI_EUlSV_E1_NS1_11comp_targetILNS1_3genE8ELNS1_11target_archE1030ELNS1_3gpuE2ELNS1_3repE0EEENS1_36merge_oddeven_config_static_selectorELNS0_4arch9wavefront6targetE1EEEvSH_,@function
_ZN7rocprim17ROCPRIM_400000_NS6detail17trampoline_kernelINS0_14default_configENS1_38merge_sort_block_merge_config_selectorIdlEEZZNS1_27merge_sort_block_merge_implIS3_PdN6thrust23THRUST_200600_302600_NS10device_ptrIlEEjNS1_19radix_merge_compareILb0ELb0EdNS0_19identity_decomposerEEEEE10hipError_tT0_T1_T2_jT3_P12ihipStream_tbPNSt15iterator_traitsISG_E10value_typeEPNSM_ISH_E10value_typeEPSI_NS1_7vsmem_tEENKUlT_SG_SH_SI_E_clIS7_S7_PlSB_EESF_SV_SG_SH_SI_EUlSV_E1_NS1_11comp_targetILNS1_3genE8ELNS1_11target_archE1030ELNS1_3gpuE2ELNS1_3repE0EEENS1_36merge_oddeven_config_static_selectorELNS0_4arch9wavefront6targetE1EEEvSH_: ; @_ZN7rocprim17ROCPRIM_400000_NS6detail17trampoline_kernelINS0_14default_configENS1_38merge_sort_block_merge_config_selectorIdlEEZZNS1_27merge_sort_block_merge_implIS3_PdN6thrust23THRUST_200600_302600_NS10device_ptrIlEEjNS1_19radix_merge_compareILb0ELb0EdNS0_19identity_decomposerEEEEE10hipError_tT0_T1_T2_jT3_P12ihipStream_tbPNSt15iterator_traitsISG_E10value_typeEPNSM_ISH_E10value_typeEPSI_NS1_7vsmem_tEENKUlT_SG_SH_SI_E_clIS7_S7_PlSB_EESF_SV_SG_SH_SI_EUlSV_E1_NS1_11comp_targetILNS1_3genE8ELNS1_11target_archE1030ELNS1_3gpuE2ELNS1_3repE0EEENS1_36merge_oddeven_config_static_selectorELNS0_4arch9wavefront6targetE1EEEvSH_
; %bb.0:
	.section	.rodata,"a",@progbits
	.p2align	6, 0x0
	.amdhsa_kernel _ZN7rocprim17ROCPRIM_400000_NS6detail17trampoline_kernelINS0_14default_configENS1_38merge_sort_block_merge_config_selectorIdlEEZZNS1_27merge_sort_block_merge_implIS3_PdN6thrust23THRUST_200600_302600_NS10device_ptrIlEEjNS1_19radix_merge_compareILb0ELb0EdNS0_19identity_decomposerEEEEE10hipError_tT0_T1_T2_jT3_P12ihipStream_tbPNSt15iterator_traitsISG_E10value_typeEPNSM_ISH_E10value_typeEPSI_NS1_7vsmem_tEENKUlT_SG_SH_SI_E_clIS7_S7_PlSB_EESF_SV_SG_SH_SI_EUlSV_E1_NS1_11comp_targetILNS1_3genE8ELNS1_11target_archE1030ELNS1_3gpuE2ELNS1_3repE0EEENS1_36merge_oddeven_config_static_selectorELNS0_4arch9wavefront6targetE1EEEvSH_
		.amdhsa_group_segment_fixed_size 0
		.amdhsa_private_segment_fixed_size 0
		.amdhsa_kernarg_size 48
		.amdhsa_user_sgpr_count 6
		.amdhsa_user_sgpr_private_segment_buffer 1
		.amdhsa_user_sgpr_dispatch_ptr 0
		.amdhsa_user_sgpr_queue_ptr 0
		.amdhsa_user_sgpr_kernarg_segment_ptr 1
		.amdhsa_user_sgpr_dispatch_id 0
		.amdhsa_user_sgpr_flat_scratch_init 0
		.amdhsa_user_sgpr_private_segment_size 0
		.amdhsa_uses_dynamic_stack 0
		.amdhsa_system_sgpr_private_segment_wavefront_offset 0
		.amdhsa_system_sgpr_workgroup_id_x 1
		.amdhsa_system_sgpr_workgroup_id_y 0
		.amdhsa_system_sgpr_workgroup_id_z 0
		.amdhsa_system_sgpr_workgroup_info 0
		.amdhsa_system_vgpr_workitem_id 0
		.amdhsa_next_free_vgpr 1
		.amdhsa_next_free_sgpr 0
		.amdhsa_reserve_vcc 0
		.amdhsa_reserve_flat_scratch 0
		.amdhsa_float_round_mode_32 0
		.amdhsa_float_round_mode_16_64 0
		.amdhsa_float_denorm_mode_32 3
		.amdhsa_float_denorm_mode_16_64 3
		.amdhsa_dx10_clamp 1
		.amdhsa_ieee_mode 1
		.amdhsa_fp16_overflow 0
		.amdhsa_exception_fp_ieee_invalid_op 0
		.amdhsa_exception_fp_denorm_src 0
		.amdhsa_exception_fp_ieee_div_zero 0
		.amdhsa_exception_fp_ieee_overflow 0
		.amdhsa_exception_fp_ieee_underflow 0
		.amdhsa_exception_fp_ieee_inexact 0
		.amdhsa_exception_int_div_zero 0
	.end_amdhsa_kernel
	.section	.text._ZN7rocprim17ROCPRIM_400000_NS6detail17trampoline_kernelINS0_14default_configENS1_38merge_sort_block_merge_config_selectorIdlEEZZNS1_27merge_sort_block_merge_implIS3_PdN6thrust23THRUST_200600_302600_NS10device_ptrIlEEjNS1_19radix_merge_compareILb0ELb0EdNS0_19identity_decomposerEEEEE10hipError_tT0_T1_T2_jT3_P12ihipStream_tbPNSt15iterator_traitsISG_E10value_typeEPNSM_ISH_E10value_typeEPSI_NS1_7vsmem_tEENKUlT_SG_SH_SI_E_clIS7_S7_PlSB_EESF_SV_SG_SH_SI_EUlSV_E1_NS1_11comp_targetILNS1_3genE8ELNS1_11target_archE1030ELNS1_3gpuE2ELNS1_3repE0EEENS1_36merge_oddeven_config_static_selectorELNS0_4arch9wavefront6targetE1EEEvSH_,"axG",@progbits,_ZN7rocprim17ROCPRIM_400000_NS6detail17trampoline_kernelINS0_14default_configENS1_38merge_sort_block_merge_config_selectorIdlEEZZNS1_27merge_sort_block_merge_implIS3_PdN6thrust23THRUST_200600_302600_NS10device_ptrIlEEjNS1_19radix_merge_compareILb0ELb0EdNS0_19identity_decomposerEEEEE10hipError_tT0_T1_T2_jT3_P12ihipStream_tbPNSt15iterator_traitsISG_E10value_typeEPNSM_ISH_E10value_typeEPSI_NS1_7vsmem_tEENKUlT_SG_SH_SI_E_clIS7_S7_PlSB_EESF_SV_SG_SH_SI_EUlSV_E1_NS1_11comp_targetILNS1_3genE8ELNS1_11target_archE1030ELNS1_3gpuE2ELNS1_3repE0EEENS1_36merge_oddeven_config_static_selectorELNS0_4arch9wavefront6targetE1EEEvSH_,comdat
.Lfunc_end1565:
	.size	_ZN7rocprim17ROCPRIM_400000_NS6detail17trampoline_kernelINS0_14default_configENS1_38merge_sort_block_merge_config_selectorIdlEEZZNS1_27merge_sort_block_merge_implIS3_PdN6thrust23THRUST_200600_302600_NS10device_ptrIlEEjNS1_19radix_merge_compareILb0ELb0EdNS0_19identity_decomposerEEEEE10hipError_tT0_T1_T2_jT3_P12ihipStream_tbPNSt15iterator_traitsISG_E10value_typeEPNSM_ISH_E10value_typeEPSI_NS1_7vsmem_tEENKUlT_SG_SH_SI_E_clIS7_S7_PlSB_EESF_SV_SG_SH_SI_EUlSV_E1_NS1_11comp_targetILNS1_3genE8ELNS1_11target_archE1030ELNS1_3gpuE2ELNS1_3repE0EEENS1_36merge_oddeven_config_static_selectorELNS0_4arch9wavefront6targetE1EEEvSH_, .Lfunc_end1565-_ZN7rocprim17ROCPRIM_400000_NS6detail17trampoline_kernelINS0_14default_configENS1_38merge_sort_block_merge_config_selectorIdlEEZZNS1_27merge_sort_block_merge_implIS3_PdN6thrust23THRUST_200600_302600_NS10device_ptrIlEEjNS1_19radix_merge_compareILb0ELb0EdNS0_19identity_decomposerEEEEE10hipError_tT0_T1_T2_jT3_P12ihipStream_tbPNSt15iterator_traitsISG_E10value_typeEPNSM_ISH_E10value_typeEPSI_NS1_7vsmem_tEENKUlT_SG_SH_SI_E_clIS7_S7_PlSB_EESF_SV_SG_SH_SI_EUlSV_E1_NS1_11comp_targetILNS1_3genE8ELNS1_11target_archE1030ELNS1_3gpuE2ELNS1_3repE0EEENS1_36merge_oddeven_config_static_selectorELNS0_4arch9wavefront6targetE1EEEvSH_
                                        ; -- End function
	.set _ZN7rocprim17ROCPRIM_400000_NS6detail17trampoline_kernelINS0_14default_configENS1_38merge_sort_block_merge_config_selectorIdlEEZZNS1_27merge_sort_block_merge_implIS3_PdN6thrust23THRUST_200600_302600_NS10device_ptrIlEEjNS1_19radix_merge_compareILb0ELb0EdNS0_19identity_decomposerEEEEE10hipError_tT0_T1_T2_jT3_P12ihipStream_tbPNSt15iterator_traitsISG_E10value_typeEPNSM_ISH_E10value_typeEPSI_NS1_7vsmem_tEENKUlT_SG_SH_SI_E_clIS7_S7_PlSB_EESF_SV_SG_SH_SI_EUlSV_E1_NS1_11comp_targetILNS1_3genE8ELNS1_11target_archE1030ELNS1_3gpuE2ELNS1_3repE0EEENS1_36merge_oddeven_config_static_selectorELNS0_4arch9wavefront6targetE1EEEvSH_.num_vgpr, 0
	.set _ZN7rocprim17ROCPRIM_400000_NS6detail17trampoline_kernelINS0_14default_configENS1_38merge_sort_block_merge_config_selectorIdlEEZZNS1_27merge_sort_block_merge_implIS3_PdN6thrust23THRUST_200600_302600_NS10device_ptrIlEEjNS1_19radix_merge_compareILb0ELb0EdNS0_19identity_decomposerEEEEE10hipError_tT0_T1_T2_jT3_P12ihipStream_tbPNSt15iterator_traitsISG_E10value_typeEPNSM_ISH_E10value_typeEPSI_NS1_7vsmem_tEENKUlT_SG_SH_SI_E_clIS7_S7_PlSB_EESF_SV_SG_SH_SI_EUlSV_E1_NS1_11comp_targetILNS1_3genE8ELNS1_11target_archE1030ELNS1_3gpuE2ELNS1_3repE0EEENS1_36merge_oddeven_config_static_selectorELNS0_4arch9wavefront6targetE1EEEvSH_.num_agpr, 0
	.set _ZN7rocprim17ROCPRIM_400000_NS6detail17trampoline_kernelINS0_14default_configENS1_38merge_sort_block_merge_config_selectorIdlEEZZNS1_27merge_sort_block_merge_implIS3_PdN6thrust23THRUST_200600_302600_NS10device_ptrIlEEjNS1_19radix_merge_compareILb0ELb0EdNS0_19identity_decomposerEEEEE10hipError_tT0_T1_T2_jT3_P12ihipStream_tbPNSt15iterator_traitsISG_E10value_typeEPNSM_ISH_E10value_typeEPSI_NS1_7vsmem_tEENKUlT_SG_SH_SI_E_clIS7_S7_PlSB_EESF_SV_SG_SH_SI_EUlSV_E1_NS1_11comp_targetILNS1_3genE8ELNS1_11target_archE1030ELNS1_3gpuE2ELNS1_3repE0EEENS1_36merge_oddeven_config_static_selectorELNS0_4arch9wavefront6targetE1EEEvSH_.numbered_sgpr, 0
	.set _ZN7rocprim17ROCPRIM_400000_NS6detail17trampoline_kernelINS0_14default_configENS1_38merge_sort_block_merge_config_selectorIdlEEZZNS1_27merge_sort_block_merge_implIS3_PdN6thrust23THRUST_200600_302600_NS10device_ptrIlEEjNS1_19radix_merge_compareILb0ELb0EdNS0_19identity_decomposerEEEEE10hipError_tT0_T1_T2_jT3_P12ihipStream_tbPNSt15iterator_traitsISG_E10value_typeEPNSM_ISH_E10value_typeEPSI_NS1_7vsmem_tEENKUlT_SG_SH_SI_E_clIS7_S7_PlSB_EESF_SV_SG_SH_SI_EUlSV_E1_NS1_11comp_targetILNS1_3genE8ELNS1_11target_archE1030ELNS1_3gpuE2ELNS1_3repE0EEENS1_36merge_oddeven_config_static_selectorELNS0_4arch9wavefront6targetE1EEEvSH_.num_named_barrier, 0
	.set _ZN7rocprim17ROCPRIM_400000_NS6detail17trampoline_kernelINS0_14default_configENS1_38merge_sort_block_merge_config_selectorIdlEEZZNS1_27merge_sort_block_merge_implIS3_PdN6thrust23THRUST_200600_302600_NS10device_ptrIlEEjNS1_19radix_merge_compareILb0ELb0EdNS0_19identity_decomposerEEEEE10hipError_tT0_T1_T2_jT3_P12ihipStream_tbPNSt15iterator_traitsISG_E10value_typeEPNSM_ISH_E10value_typeEPSI_NS1_7vsmem_tEENKUlT_SG_SH_SI_E_clIS7_S7_PlSB_EESF_SV_SG_SH_SI_EUlSV_E1_NS1_11comp_targetILNS1_3genE8ELNS1_11target_archE1030ELNS1_3gpuE2ELNS1_3repE0EEENS1_36merge_oddeven_config_static_selectorELNS0_4arch9wavefront6targetE1EEEvSH_.private_seg_size, 0
	.set _ZN7rocprim17ROCPRIM_400000_NS6detail17trampoline_kernelINS0_14default_configENS1_38merge_sort_block_merge_config_selectorIdlEEZZNS1_27merge_sort_block_merge_implIS3_PdN6thrust23THRUST_200600_302600_NS10device_ptrIlEEjNS1_19radix_merge_compareILb0ELb0EdNS0_19identity_decomposerEEEEE10hipError_tT0_T1_T2_jT3_P12ihipStream_tbPNSt15iterator_traitsISG_E10value_typeEPNSM_ISH_E10value_typeEPSI_NS1_7vsmem_tEENKUlT_SG_SH_SI_E_clIS7_S7_PlSB_EESF_SV_SG_SH_SI_EUlSV_E1_NS1_11comp_targetILNS1_3genE8ELNS1_11target_archE1030ELNS1_3gpuE2ELNS1_3repE0EEENS1_36merge_oddeven_config_static_selectorELNS0_4arch9wavefront6targetE1EEEvSH_.uses_vcc, 0
	.set _ZN7rocprim17ROCPRIM_400000_NS6detail17trampoline_kernelINS0_14default_configENS1_38merge_sort_block_merge_config_selectorIdlEEZZNS1_27merge_sort_block_merge_implIS3_PdN6thrust23THRUST_200600_302600_NS10device_ptrIlEEjNS1_19radix_merge_compareILb0ELb0EdNS0_19identity_decomposerEEEEE10hipError_tT0_T1_T2_jT3_P12ihipStream_tbPNSt15iterator_traitsISG_E10value_typeEPNSM_ISH_E10value_typeEPSI_NS1_7vsmem_tEENKUlT_SG_SH_SI_E_clIS7_S7_PlSB_EESF_SV_SG_SH_SI_EUlSV_E1_NS1_11comp_targetILNS1_3genE8ELNS1_11target_archE1030ELNS1_3gpuE2ELNS1_3repE0EEENS1_36merge_oddeven_config_static_selectorELNS0_4arch9wavefront6targetE1EEEvSH_.uses_flat_scratch, 0
	.set _ZN7rocprim17ROCPRIM_400000_NS6detail17trampoline_kernelINS0_14default_configENS1_38merge_sort_block_merge_config_selectorIdlEEZZNS1_27merge_sort_block_merge_implIS3_PdN6thrust23THRUST_200600_302600_NS10device_ptrIlEEjNS1_19radix_merge_compareILb0ELb0EdNS0_19identity_decomposerEEEEE10hipError_tT0_T1_T2_jT3_P12ihipStream_tbPNSt15iterator_traitsISG_E10value_typeEPNSM_ISH_E10value_typeEPSI_NS1_7vsmem_tEENKUlT_SG_SH_SI_E_clIS7_S7_PlSB_EESF_SV_SG_SH_SI_EUlSV_E1_NS1_11comp_targetILNS1_3genE8ELNS1_11target_archE1030ELNS1_3gpuE2ELNS1_3repE0EEENS1_36merge_oddeven_config_static_selectorELNS0_4arch9wavefront6targetE1EEEvSH_.has_dyn_sized_stack, 0
	.set _ZN7rocprim17ROCPRIM_400000_NS6detail17trampoline_kernelINS0_14default_configENS1_38merge_sort_block_merge_config_selectorIdlEEZZNS1_27merge_sort_block_merge_implIS3_PdN6thrust23THRUST_200600_302600_NS10device_ptrIlEEjNS1_19radix_merge_compareILb0ELb0EdNS0_19identity_decomposerEEEEE10hipError_tT0_T1_T2_jT3_P12ihipStream_tbPNSt15iterator_traitsISG_E10value_typeEPNSM_ISH_E10value_typeEPSI_NS1_7vsmem_tEENKUlT_SG_SH_SI_E_clIS7_S7_PlSB_EESF_SV_SG_SH_SI_EUlSV_E1_NS1_11comp_targetILNS1_3genE8ELNS1_11target_archE1030ELNS1_3gpuE2ELNS1_3repE0EEENS1_36merge_oddeven_config_static_selectorELNS0_4arch9wavefront6targetE1EEEvSH_.has_recursion, 0
	.set _ZN7rocprim17ROCPRIM_400000_NS6detail17trampoline_kernelINS0_14default_configENS1_38merge_sort_block_merge_config_selectorIdlEEZZNS1_27merge_sort_block_merge_implIS3_PdN6thrust23THRUST_200600_302600_NS10device_ptrIlEEjNS1_19radix_merge_compareILb0ELb0EdNS0_19identity_decomposerEEEEE10hipError_tT0_T1_T2_jT3_P12ihipStream_tbPNSt15iterator_traitsISG_E10value_typeEPNSM_ISH_E10value_typeEPSI_NS1_7vsmem_tEENKUlT_SG_SH_SI_E_clIS7_S7_PlSB_EESF_SV_SG_SH_SI_EUlSV_E1_NS1_11comp_targetILNS1_3genE8ELNS1_11target_archE1030ELNS1_3gpuE2ELNS1_3repE0EEENS1_36merge_oddeven_config_static_selectorELNS0_4arch9wavefront6targetE1EEEvSH_.has_indirect_call, 0
	.section	.AMDGPU.csdata,"",@progbits
; Kernel info:
; codeLenInByte = 0
; TotalNumSgprs: 4
; NumVgprs: 0
; ScratchSize: 0
; MemoryBound: 0
; FloatMode: 240
; IeeeMode: 1
; LDSByteSize: 0 bytes/workgroup (compile time only)
; SGPRBlocks: 0
; VGPRBlocks: 0
; NumSGPRsForWavesPerEU: 4
; NumVGPRsForWavesPerEU: 1
; Occupancy: 10
; WaveLimiterHint : 0
; COMPUTE_PGM_RSRC2:SCRATCH_EN: 0
; COMPUTE_PGM_RSRC2:USER_SGPR: 6
; COMPUTE_PGM_RSRC2:TRAP_HANDLER: 0
; COMPUTE_PGM_RSRC2:TGID_X_EN: 1
; COMPUTE_PGM_RSRC2:TGID_Y_EN: 0
; COMPUTE_PGM_RSRC2:TGID_Z_EN: 0
; COMPUTE_PGM_RSRC2:TIDIG_COMP_CNT: 0
	.section	.text._ZN7rocprim17ROCPRIM_400000_NS6detail17trampoline_kernelINS0_14default_configENS1_38merge_sort_block_merge_config_selectorIdlEEZZNS1_27merge_sort_block_merge_implIS3_PdN6thrust23THRUST_200600_302600_NS10device_ptrIlEEjNS1_19radix_merge_compareILb0ELb0EdNS0_19identity_decomposerEEEEE10hipError_tT0_T1_T2_jT3_P12ihipStream_tbPNSt15iterator_traitsISG_E10value_typeEPNSM_ISH_E10value_typeEPSI_NS1_7vsmem_tEENKUlT_SG_SH_SI_E_clIS7_S7_SB_PlEESF_SV_SG_SH_SI_EUlSV_E_NS1_11comp_targetILNS1_3genE0ELNS1_11target_archE4294967295ELNS1_3gpuE0ELNS1_3repE0EEENS1_48merge_mergepath_partition_config_static_selectorELNS0_4arch9wavefront6targetE1EEEvSH_,"axG",@progbits,_ZN7rocprim17ROCPRIM_400000_NS6detail17trampoline_kernelINS0_14default_configENS1_38merge_sort_block_merge_config_selectorIdlEEZZNS1_27merge_sort_block_merge_implIS3_PdN6thrust23THRUST_200600_302600_NS10device_ptrIlEEjNS1_19radix_merge_compareILb0ELb0EdNS0_19identity_decomposerEEEEE10hipError_tT0_T1_T2_jT3_P12ihipStream_tbPNSt15iterator_traitsISG_E10value_typeEPNSM_ISH_E10value_typeEPSI_NS1_7vsmem_tEENKUlT_SG_SH_SI_E_clIS7_S7_SB_PlEESF_SV_SG_SH_SI_EUlSV_E_NS1_11comp_targetILNS1_3genE0ELNS1_11target_archE4294967295ELNS1_3gpuE0ELNS1_3repE0EEENS1_48merge_mergepath_partition_config_static_selectorELNS0_4arch9wavefront6targetE1EEEvSH_,comdat
	.protected	_ZN7rocprim17ROCPRIM_400000_NS6detail17trampoline_kernelINS0_14default_configENS1_38merge_sort_block_merge_config_selectorIdlEEZZNS1_27merge_sort_block_merge_implIS3_PdN6thrust23THRUST_200600_302600_NS10device_ptrIlEEjNS1_19radix_merge_compareILb0ELb0EdNS0_19identity_decomposerEEEEE10hipError_tT0_T1_T2_jT3_P12ihipStream_tbPNSt15iterator_traitsISG_E10value_typeEPNSM_ISH_E10value_typeEPSI_NS1_7vsmem_tEENKUlT_SG_SH_SI_E_clIS7_S7_SB_PlEESF_SV_SG_SH_SI_EUlSV_E_NS1_11comp_targetILNS1_3genE0ELNS1_11target_archE4294967295ELNS1_3gpuE0ELNS1_3repE0EEENS1_48merge_mergepath_partition_config_static_selectorELNS0_4arch9wavefront6targetE1EEEvSH_ ; -- Begin function _ZN7rocprim17ROCPRIM_400000_NS6detail17trampoline_kernelINS0_14default_configENS1_38merge_sort_block_merge_config_selectorIdlEEZZNS1_27merge_sort_block_merge_implIS3_PdN6thrust23THRUST_200600_302600_NS10device_ptrIlEEjNS1_19radix_merge_compareILb0ELb0EdNS0_19identity_decomposerEEEEE10hipError_tT0_T1_T2_jT3_P12ihipStream_tbPNSt15iterator_traitsISG_E10value_typeEPNSM_ISH_E10value_typeEPSI_NS1_7vsmem_tEENKUlT_SG_SH_SI_E_clIS7_S7_SB_PlEESF_SV_SG_SH_SI_EUlSV_E_NS1_11comp_targetILNS1_3genE0ELNS1_11target_archE4294967295ELNS1_3gpuE0ELNS1_3repE0EEENS1_48merge_mergepath_partition_config_static_selectorELNS0_4arch9wavefront6targetE1EEEvSH_
	.globl	_ZN7rocprim17ROCPRIM_400000_NS6detail17trampoline_kernelINS0_14default_configENS1_38merge_sort_block_merge_config_selectorIdlEEZZNS1_27merge_sort_block_merge_implIS3_PdN6thrust23THRUST_200600_302600_NS10device_ptrIlEEjNS1_19radix_merge_compareILb0ELb0EdNS0_19identity_decomposerEEEEE10hipError_tT0_T1_T2_jT3_P12ihipStream_tbPNSt15iterator_traitsISG_E10value_typeEPNSM_ISH_E10value_typeEPSI_NS1_7vsmem_tEENKUlT_SG_SH_SI_E_clIS7_S7_SB_PlEESF_SV_SG_SH_SI_EUlSV_E_NS1_11comp_targetILNS1_3genE0ELNS1_11target_archE4294967295ELNS1_3gpuE0ELNS1_3repE0EEENS1_48merge_mergepath_partition_config_static_selectorELNS0_4arch9wavefront6targetE1EEEvSH_
	.p2align	8
	.type	_ZN7rocprim17ROCPRIM_400000_NS6detail17trampoline_kernelINS0_14default_configENS1_38merge_sort_block_merge_config_selectorIdlEEZZNS1_27merge_sort_block_merge_implIS3_PdN6thrust23THRUST_200600_302600_NS10device_ptrIlEEjNS1_19radix_merge_compareILb0ELb0EdNS0_19identity_decomposerEEEEE10hipError_tT0_T1_T2_jT3_P12ihipStream_tbPNSt15iterator_traitsISG_E10value_typeEPNSM_ISH_E10value_typeEPSI_NS1_7vsmem_tEENKUlT_SG_SH_SI_E_clIS7_S7_SB_PlEESF_SV_SG_SH_SI_EUlSV_E_NS1_11comp_targetILNS1_3genE0ELNS1_11target_archE4294967295ELNS1_3gpuE0ELNS1_3repE0EEENS1_48merge_mergepath_partition_config_static_selectorELNS0_4arch9wavefront6targetE1EEEvSH_,@function
_ZN7rocprim17ROCPRIM_400000_NS6detail17trampoline_kernelINS0_14default_configENS1_38merge_sort_block_merge_config_selectorIdlEEZZNS1_27merge_sort_block_merge_implIS3_PdN6thrust23THRUST_200600_302600_NS10device_ptrIlEEjNS1_19radix_merge_compareILb0ELb0EdNS0_19identity_decomposerEEEEE10hipError_tT0_T1_T2_jT3_P12ihipStream_tbPNSt15iterator_traitsISG_E10value_typeEPNSM_ISH_E10value_typeEPSI_NS1_7vsmem_tEENKUlT_SG_SH_SI_E_clIS7_S7_SB_PlEESF_SV_SG_SH_SI_EUlSV_E_NS1_11comp_targetILNS1_3genE0ELNS1_11target_archE4294967295ELNS1_3gpuE0ELNS1_3repE0EEENS1_48merge_mergepath_partition_config_static_selectorELNS0_4arch9wavefront6targetE1EEEvSH_: ; @_ZN7rocprim17ROCPRIM_400000_NS6detail17trampoline_kernelINS0_14default_configENS1_38merge_sort_block_merge_config_selectorIdlEEZZNS1_27merge_sort_block_merge_implIS3_PdN6thrust23THRUST_200600_302600_NS10device_ptrIlEEjNS1_19radix_merge_compareILb0ELb0EdNS0_19identity_decomposerEEEEE10hipError_tT0_T1_T2_jT3_P12ihipStream_tbPNSt15iterator_traitsISG_E10value_typeEPNSM_ISH_E10value_typeEPSI_NS1_7vsmem_tEENKUlT_SG_SH_SI_E_clIS7_S7_SB_PlEESF_SV_SG_SH_SI_EUlSV_E_NS1_11comp_targetILNS1_3genE0ELNS1_11target_archE4294967295ELNS1_3gpuE0ELNS1_3repE0EEENS1_48merge_mergepath_partition_config_static_selectorELNS0_4arch9wavefront6targetE1EEEvSH_
; %bb.0:
	.section	.rodata,"a",@progbits
	.p2align	6, 0x0
	.amdhsa_kernel _ZN7rocprim17ROCPRIM_400000_NS6detail17trampoline_kernelINS0_14default_configENS1_38merge_sort_block_merge_config_selectorIdlEEZZNS1_27merge_sort_block_merge_implIS3_PdN6thrust23THRUST_200600_302600_NS10device_ptrIlEEjNS1_19radix_merge_compareILb0ELb0EdNS0_19identity_decomposerEEEEE10hipError_tT0_T1_T2_jT3_P12ihipStream_tbPNSt15iterator_traitsISG_E10value_typeEPNSM_ISH_E10value_typeEPSI_NS1_7vsmem_tEENKUlT_SG_SH_SI_E_clIS7_S7_SB_PlEESF_SV_SG_SH_SI_EUlSV_E_NS1_11comp_targetILNS1_3genE0ELNS1_11target_archE4294967295ELNS1_3gpuE0ELNS1_3repE0EEENS1_48merge_mergepath_partition_config_static_selectorELNS0_4arch9wavefront6targetE1EEEvSH_
		.amdhsa_group_segment_fixed_size 0
		.amdhsa_private_segment_fixed_size 0
		.amdhsa_kernarg_size 40
		.amdhsa_user_sgpr_count 6
		.amdhsa_user_sgpr_private_segment_buffer 1
		.amdhsa_user_sgpr_dispatch_ptr 0
		.amdhsa_user_sgpr_queue_ptr 0
		.amdhsa_user_sgpr_kernarg_segment_ptr 1
		.amdhsa_user_sgpr_dispatch_id 0
		.amdhsa_user_sgpr_flat_scratch_init 0
		.amdhsa_user_sgpr_private_segment_size 0
		.amdhsa_uses_dynamic_stack 0
		.amdhsa_system_sgpr_private_segment_wavefront_offset 0
		.amdhsa_system_sgpr_workgroup_id_x 1
		.amdhsa_system_sgpr_workgroup_id_y 0
		.amdhsa_system_sgpr_workgroup_id_z 0
		.amdhsa_system_sgpr_workgroup_info 0
		.amdhsa_system_vgpr_workitem_id 0
		.amdhsa_next_free_vgpr 1
		.amdhsa_next_free_sgpr 0
		.amdhsa_reserve_vcc 0
		.amdhsa_reserve_flat_scratch 0
		.amdhsa_float_round_mode_32 0
		.amdhsa_float_round_mode_16_64 0
		.amdhsa_float_denorm_mode_32 3
		.amdhsa_float_denorm_mode_16_64 3
		.amdhsa_dx10_clamp 1
		.amdhsa_ieee_mode 1
		.amdhsa_fp16_overflow 0
		.amdhsa_exception_fp_ieee_invalid_op 0
		.amdhsa_exception_fp_denorm_src 0
		.amdhsa_exception_fp_ieee_div_zero 0
		.amdhsa_exception_fp_ieee_overflow 0
		.amdhsa_exception_fp_ieee_underflow 0
		.amdhsa_exception_fp_ieee_inexact 0
		.amdhsa_exception_int_div_zero 0
	.end_amdhsa_kernel
	.section	.text._ZN7rocprim17ROCPRIM_400000_NS6detail17trampoline_kernelINS0_14default_configENS1_38merge_sort_block_merge_config_selectorIdlEEZZNS1_27merge_sort_block_merge_implIS3_PdN6thrust23THRUST_200600_302600_NS10device_ptrIlEEjNS1_19radix_merge_compareILb0ELb0EdNS0_19identity_decomposerEEEEE10hipError_tT0_T1_T2_jT3_P12ihipStream_tbPNSt15iterator_traitsISG_E10value_typeEPNSM_ISH_E10value_typeEPSI_NS1_7vsmem_tEENKUlT_SG_SH_SI_E_clIS7_S7_SB_PlEESF_SV_SG_SH_SI_EUlSV_E_NS1_11comp_targetILNS1_3genE0ELNS1_11target_archE4294967295ELNS1_3gpuE0ELNS1_3repE0EEENS1_48merge_mergepath_partition_config_static_selectorELNS0_4arch9wavefront6targetE1EEEvSH_,"axG",@progbits,_ZN7rocprim17ROCPRIM_400000_NS6detail17trampoline_kernelINS0_14default_configENS1_38merge_sort_block_merge_config_selectorIdlEEZZNS1_27merge_sort_block_merge_implIS3_PdN6thrust23THRUST_200600_302600_NS10device_ptrIlEEjNS1_19radix_merge_compareILb0ELb0EdNS0_19identity_decomposerEEEEE10hipError_tT0_T1_T2_jT3_P12ihipStream_tbPNSt15iterator_traitsISG_E10value_typeEPNSM_ISH_E10value_typeEPSI_NS1_7vsmem_tEENKUlT_SG_SH_SI_E_clIS7_S7_SB_PlEESF_SV_SG_SH_SI_EUlSV_E_NS1_11comp_targetILNS1_3genE0ELNS1_11target_archE4294967295ELNS1_3gpuE0ELNS1_3repE0EEENS1_48merge_mergepath_partition_config_static_selectorELNS0_4arch9wavefront6targetE1EEEvSH_,comdat
.Lfunc_end1566:
	.size	_ZN7rocprim17ROCPRIM_400000_NS6detail17trampoline_kernelINS0_14default_configENS1_38merge_sort_block_merge_config_selectorIdlEEZZNS1_27merge_sort_block_merge_implIS3_PdN6thrust23THRUST_200600_302600_NS10device_ptrIlEEjNS1_19radix_merge_compareILb0ELb0EdNS0_19identity_decomposerEEEEE10hipError_tT0_T1_T2_jT3_P12ihipStream_tbPNSt15iterator_traitsISG_E10value_typeEPNSM_ISH_E10value_typeEPSI_NS1_7vsmem_tEENKUlT_SG_SH_SI_E_clIS7_S7_SB_PlEESF_SV_SG_SH_SI_EUlSV_E_NS1_11comp_targetILNS1_3genE0ELNS1_11target_archE4294967295ELNS1_3gpuE0ELNS1_3repE0EEENS1_48merge_mergepath_partition_config_static_selectorELNS0_4arch9wavefront6targetE1EEEvSH_, .Lfunc_end1566-_ZN7rocprim17ROCPRIM_400000_NS6detail17trampoline_kernelINS0_14default_configENS1_38merge_sort_block_merge_config_selectorIdlEEZZNS1_27merge_sort_block_merge_implIS3_PdN6thrust23THRUST_200600_302600_NS10device_ptrIlEEjNS1_19radix_merge_compareILb0ELb0EdNS0_19identity_decomposerEEEEE10hipError_tT0_T1_T2_jT3_P12ihipStream_tbPNSt15iterator_traitsISG_E10value_typeEPNSM_ISH_E10value_typeEPSI_NS1_7vsmem_tEENKUlT_SG_SH_SI_E_clIS7_S7_SB_PlEESF_SV_SG_SH_SI_EUlSV_E_NS1_11comp_targetILNS1_3genE0ELNS1_11target_archE4294967295ELNS1_3gpuE0ELNS1_3repE0EEENS1_48merge_mergepath_partition_config_static_selectorELNS0_4arch9wavefront6targetE1EEEvSH_
                                        ; -- End function
	.set _ZN7rocprim17ROCPRIM_400000_NS6detail17trampoline_kernelINS0_14default_configENS1_38merge_sort_block_merge_config_selectorIdlEEZZNS1_27merge_sort_block_merge_implIS3_PdN6thrust23THRUST_200600_302600_NS10device_ptrIlEEjNS1_19radix_merge_compareILb0ELb0EdNS0_19identity_decomposerEEEEE10hipError_tT0_T1_T2_jT3_P12ihipStream_tbPNSt15iterator_traitsISG_E10value_typeEPNSM_ISH_E10value_typeEPSI_NS1_7vsmem_tEENKUlT_SG_SH_SI_E_clIS7_S7_SB_PlEESF_SV_SG_SH_SI_EUlSV_E_NS1_11comp_targetILNS1_3genE0ELNS1_11target_archE4294967295ELNS1_3gpuE0ELNS1_3repE0EEENS1_48merge_mergepath_partition_config_static_selectorELNS0_4arch9wavefront6targetE1EEEvSH_.num_vgpr, 0
	.set _ZN7rocprim17ROCPRIM_400000_NS6detail17trampoline_kernelINS0_14default_configENS1_38merge_sort_block_merge_config_selectorIdlEEZZNS1_27merge_sort_block_merge_implIS3_PdN6thrust23THRUST_200600_302600_NS10device_ptrIlEEjNS1_19radix_merge_compareILb0ELb0EdNS0_19identity_decomposerEEEEE10hipError_tT0_T1_T2_jT3_P12ihipStream_tbPNSt15iterator_traitsISG_E10value_typeEPNSM_ISH_E10value_typeEPSI_NS1_7vsmem_tEENKUlT_SG_SH_SI_E_clIS7_S7_SB_PlEESF_SV_SG_SH_SI_EUlSV_E_NS1_11comp_targetILNS1_3genE0ELNS1_11target_archE4294967295ELNS1_3gpuE0ELNS1_3repE0EEENS1_48merge_mergepath_partition_config_static_selectorELNS0_4arch9wavefront6targetE1EEEvSH_.num_agpr, 0
	.set _ZN7rocprim17ROCPRIM_400000_NS6detail17trampoline_kernelINS0_14default_configENS1_38merge_sort_block_merge_config_selectorIdlEEZZNS1_27merge_sort_block_merge_implIS3_PdN6thrust23THRUST_200600_302600_NS10device_ptrIlEEjNS1_19radix_merge_compareILb0ELb0EdNS0_19identity_decomposerEEEEE10hipError_tT0_T1_T2_jT3_P12ihipStream_tbPNSt15iterator_traitsISG_E10value_typeEPNSM_ISH_E10value_typeEPSI_NS1_7vsmem_tEENKUlT_SG_SH_SI_E_clIS7_S7_SB_PlEESF_SV_SG_SH_SI_EUlSV_E_NS1_11comp_targetILNS1_3genE0ELNS1_11target_archE4294967295ELNS1_3gpuE0ELNS1_3repE0EEENS1_48merge_mergepath_partition_config_static_selectorELNS0_4arch9wavefront6targetE1EEEvSH_.numbered_sgpr, 0
	.set _ZN7rocprim17ROCPRIM_400000_NS6detail17trampoline_kernelINS0_14default_configENS1_38merge_sort_block_merge_config_selectorIdlEEZZNS1_27merge_sort_block_merge_implIS3_PdN6thrust23THRUST_200600_302600_NS10device_ptrIlEEjNS1_19radix_merge_compareILb0ELb0EdNS0_19identity_decomposerEEEEE10hipError_tT0_T1_T2_jT3_P12ihipStream_tbPNSt15iterator_traitsISG_E10value_typeEPNSM_ISH_E10value_typeEPSI_NS1_7vsmem_tEENKUlT_SG_SH_SI_E_clIS7_S7_SB_PlEESF_SV_SG_SH_SI_EUlSV_E_NS1_11comp_targetILNS1_3genE0ELNS1_11target_archE4294967295ELNS1_3gpuE0ELNS1_3repE0EEENS1_48merge_mergepath_partition_config_static_selectorELNS0_4arch9wavefront6targetE1EEEvSH_.num_named_barrier, 0
	.set _ZN7rocprim17ROCPRIM_400000_NS6detail17trampoline_kernelINS0_14default_configENS1_38merge_sort_block_merge_config_selectorIdlEEZZNS1_27merge_sort_block_merge_implIS3_PdN6thrust23THRUST_200600_302600_NS10device_ptrIlEEjNS1_19radix_merge_compareILb0ELb0EdNS0_19identity_decomposerEEEEE10hipError_tT0_T1_T2_jT3_P12ihipStream_tbPNSt15iterator_traitsISG_E10value_typeEPNSM_ISH_E10value_typeEPSI_NS1_7vsmem_tEENKUlT_SG_SH_SI_E_clIS7_S7_SB_PlEESF_SV_SG_SH_SI_EUlSV_E_NS1_11comp_targetILNS1_3genE0ELNS1_11target_archE4294967295ELNS1_3gpuE0ELNS1_3repE0EEENS1_48merge_mergepath_partition_config_static_selectorELNS0_4arch9wavefront6targetE1EEEvSH_.private_seg_size, 0
	.set _ZN7rocprim17ROCPRIM_400000_NS6detail17trampoline_kernelINS0_14default_configENS1_38merge_sort_block_merge_config_selectorIdlEEZZNS1_27merge_sort_block_merge_implIS3_PdN6thrust23THRUST_200600_302600_NS10device_ptrIlEEjNS1_19radix_merge_compareILb0ELb0EdNS0_19identity_decomposerEEEEE10hipError_tT0_T1_T2_jT3_P12ihipStream_tbPNSt15iterator_traitsISG_E10value_typeEPNSM_ISH_E10value_typeEPSI_NS1_7vsmem_tEENKUlT_SG_SH_SI_E_clIS7_S7_SB_PlEESF_SV_SG_SH_SI_EUlSV_E_NS1_11comp_targetILNS1_3genE0ELNS1_11target_archE4294967295ELNS1_3gpuE0ELNS1_3repE0EEENS1_48merge_mergepath_partition_config_static_selectorELNS0_4arch9wavefront6targetE1EEEvSH_.uses_vcc, 0
	.set _ZN7rocprim17ROCPRIM_400000_NS6detail17trampoline_kernelINS0_14default_configENS1_38merge_sort_block_merge_config_selectorIdlEEZZNS1_27merge_sort_block_merge_implIS3_PdN6thrust23THRUST_200600_302600_NS10device_ptrIlEEjNS1_19radix_merge_compareILb0ELb0EdNS0_19identity_decomposerEEEEE10hipError_tT0_T1_T2_jT3_P12ihipStream_tbPNSt15iterator_traitsISG_E10value_typeEPNSM_ISH_E10value_typeEPSI_NS1_7vsmem_tEENKUlT_SG_SH_SI_E_clIS7_S7_SB_PlEESF_SV_SG_SH_SI_EUlSV_E_NS1_11comp_targetILNS1_3genE0ELNS1_11target_archE4294967295ELNS1_3gpuE0ELNS1_3repE0EEENS1_48merge_mergepath_partition_config_static_selectorELNS0_4arch9wavefront6targetE1EEEvSH_.uses_flat_scratch, 0
	.set _ZN7rocprim17ROCPRIM_400000_NS6detail17trampoline_kernelINS0_14default_configENS1_38merge_sort_block_merge_config_selectorIdlEEZZNS1_27merge_sort_block_merge_implIS3_PdN6thrust23THRUST_200600_302600_NS10device_ptrIlEEjNS1_19radix_merge_compareILb0ELb0EdNS0_19identity_decomposerEEEEE10hipError_tT0_T1_T2_jT3_P12ihipStream_tbPNSt15iterator_traitsISG_E10value_typeEPNSM_ISH_E10value_typeEPSI_NS1_7vsmem_tEENKUlT_SG_SH_SI_E_clIS7_S7_SB_PlEESF_SV_SG_SH_SI_EUlSV_E_NS1_11comp_targetILNS1_3genE0ELNS1_11target_archE4294967295ELNS1_3gpuE0ELNS1_3repE0EEENS1_48merge_mergepath_partition_config_static_selectorELNS0_4arch9wavefront6targetE1EEEvSH_.has_dyn_sized_stack, 0
	.set _ZN7rocprim17ROCPRIM_400000_NS6detail17trampoline_kernelINS0_14default_configENS1_38merge_sort_block_merge_config_selectorIdlEEZZNS1_27merge_sort_block_merge_implIS3_PdN6thrust23THRUST_200600_302600_NS10device_ptrIlEEjNS1_19radix_merge_compareILb0ELb0EdNS0_19identity_decomposerEEEEE10hipError_tT0_T1_T2_jT3_P12ihipStream_tbPNSt15iterator_traitsISG_E10value_typeEPNSM_ISH_E10value_typeEPSI_NS1_7vsmem_tEENKUlT_SG_SH_SI_E_clIS7_S7_SB_PlEESF_SV_SG_SH_SI_EUlSV_E_NS1_11comp_targetILNS1_3genE0ELNS1_11target_archE4294967295ELNS1_3gpuE0ELNS1_3repE0EEENS1_48merge_mergepath_partition_config_static_selectorELNS0_4arch9wavefront6targetE1EEEvSH_.has_recursion, 0
	.set _ZN7rocprim17ROCPRIM_400000_NS6detail17trampoline_kernelINS0_14default_configENS1_38merge_sort_block_merge_config_selectorIdlEEZZNS1_27merge_sort_block_merge_implIS3_PdN6thrust23THRUST_200600_302600_NS10device_ptrIlEEjNS1_19radix_merge_compareILb0ELb0EdNS0_19identity_decomposerEEEEE10hipError_tT0_T1_T2_jT3_P12ihipStream_tbPNSt15iterator_traitsISG_E10value_typeEPNSM_ISH_E10value_typeEPSI_NS1_7vsmem_tEENKUlT_SG_SH_SI_E_clIS7_S7_SB_PlEESF_SV_SG_SH_SI_EUlSV_E_NS1_11comp_targetILNS1_3genE0ELNS1_11target_archE4294967295ELNS1_3gpuE0ELNS1_3repE0EEENS1_48merge_mergepath_partition_config_static_selectorELNS0_4arch9wavefront6targetE1EEEvSH_.has_indirect_call, 0
	.section	.AMDGPU.csdata,"",@progbits
; Kernel info:
; codeLenInByte = 0
; TotalNumSgprs: 4
; NumVgprs: 0
; ScratchSize: 0
; MemoryBound: 0
; FloatMode: 240
; IeeeMode: 1
; LDSByteSize: 0 bytes/workgroup (compile time only)
; SGPRBlocks: 0
; VGPRBlocks: 0
; NumSGPRsForWavesPerEU: 4
; NumVGPRsForWavesPerEU: 1
; Occupancy: 10
; WaveLimiterHint : 0
; COMPUTE_PGM_RSRC2:SCRATCH_EN: 0
; COMPUTE_PGM_RSRC2:USER_SGPR: 6
; COMPUTE_PGM_RSRC2:TRAP_HANDLER: 0
; COMPUTE_PGM_RSRC2:TGID_X_EN: 1
; COMPUTE_PGM_RSRC2:TGID_Y_EN: 0
; COMPUTE_PGM_RSRC2:TGID_Z_EN: 0
; COMPUTE_PGM_RSRC2:TIDIG_COMP_CNT: 0
	.section	.text._ZN7rocprim17ROCPRIM_400000_NS6detail17trampoline_kernelINS0_14default_configENS1_38merge_sort_block_merge_config_selectorIdlEEZZNS1_27merge_sort_block_merge_implIS3_PdN6thrust23THRUST_200600_302600_NS10device_ptrIlEEjNS1_19radix_merge_compareILb0ELb0EdNS0_19identity_decomposerEEEEE10hipError_tT0_T1_T2_jT3_P12ihipStream_tbPNSt15iterator_traitsISG_E10value_typeEPNSM_ISH_E10value_typeEPSI_NS1_7vsmem_tEENKUlT_SG_SH_SI_E_clIS7_S7_SB_PlEESF_SV_SG_SH_SI_EUlSV_E_NS1_11comp_targetILNS1_3genE10ELNS1_11target_archE1201ELNS1_3gpuE5ELNS1_3repE0EEENS1_48merge_mergepath_partition_config_static_selectorELNS0_4arch9wavefront6targetE1EEEvSH_,"axG",@progbits,_ZN7rocprim17ROCPRIM_400000_NS6detail17trampoline_kernelINS0_14default_configENS1_38merge_sort_block_merge_config_selectorIdlEEZZNS1_27merge_sort_block_merge_implIS3_PdN6thrust23THRUST_200600_302600_NS10device_ptrIlEEjNS1_19radix_merge_compareILb0ELb0EdNS0_19identity_decomposerEEEEE10hipError_tT0_T1_T2_jT3_P12ihipStream_tbPNSt15iterator_traitsISG_E10value_typeEPNSM_ISH_E10value_typeEPSI_NS1_7vsmem_tEENKUlT_SG_SH_SI_E_clIS7_S7_SB_PlEESF_SV_SG_SH_SI_EUlSV_E_NS1_11comp_targetILNS1_3genE10ELNS1_11target_archE1201ELNS1_3gpuE5ELNS1_3repE0EEENS1_48merge_mergepath_partition_config_static_selectorELNS0_4arch9wavefront6targetE1EEEvSH_,comdat
	.protected	_ZN7rocprim17ROCPRIM_400000_NS6detail17trampoline_kernelINS0_14default_configENS1_38merge_sort_block_merge_config_selectorIdlEEZZNS1_27merge_sort_block_merge_implIS3_PdN6thrust23THRUST_200600_302600_NS10device_ptrIlEEjNS1_19radix_merge_compareILb0ELb0EdNS0_19identity_decomposerEEEEE10hipError_tT0_T1_T2_jT3_P12ihipStream_tbPNSt15iterator_traitsISG_E10value_typeEPNSM_ISH_E10value_typeEPSI_NS1_7vsmem_tEENKUlT_SG_SH_SI_E_clIS7_S7_SB_PlEESF_SV_SG_SH_SI_EUlSV_E_NS1_11comp_targetILNS1_3genE10ELNS1_11target_archE1201ELNS1_3gpuE5ELNS1_3repE0EEENS1_48merge_mergepath_partition_config_static_selectorELNS0_4arch9wavefront6targetE1EEEvSH_ ; -- Begin function _ZN7rocprim17ROCPRIM_400000_NS6detail17trampoline_kernelINS0_14default_configENS1_38merge_sort_block_merge_config_selectorIdlEEZZNS1_27merge_sort_block_merge_implIS3_PdN6thrust23THRUST_200600_302600_NS10device_ptrIlEEjNS1_19radix_merge_compareILb0ELb0EdNS0_19identity_decomposerEEEEE10hipError_tT0_T1_T2_jT3_P12ihipStream_tbPNSt15iterator_traitsISG_E10value_typeEPNSM_ISH_E10value_typeEPSI_NS1_7vsmem_tEENKUlT_SG_SH_SI_E_clIS7_S7_SB_PlEESF_SV_SG_SH_SI_EUlSV_E_NS1_11comp_targetILNS1_3genE10ELNS1_11target_archE1201ELNS1_3gpuE5ELNS1_3repE0EEENS1_48merge_mergepath_partition_config_static_selectorELNS0_4arch9wavefront6targetE1EEEvSH_
	.globl	_ZN7rocprim17ROCPRIM_400000_NS6detail17trampoline_kernelINS0_14default_configENS1_38merge_sort_block_merge_config_selectorIdlEEZZNS1_27merge_sort_block_merge_implIS3_PdN6thrust23THRUST_200600_302600_NS10device_ptrIlEEjNS1_19radix_merge_compareILb0ELb0EdNS0_19identity_decomposerEEEEE10hipError_tT0_T1_T2_jT3_P12ihipStream_tbPNSt15iterator_traitsISG_E10value_typeEPNSM_ISH_E10value_typeEPSI_NS1_7vsmem_tEENKUlT_SG_SH_SI_E_clIS7_S7_SB_PlEESF_SV_SG_SH_SI_EUlSV_E_NS1_11comp_targetILNS1_3genE10ELNS1_11target_archE1201ELNS1_3gpuE5ELNS1_3repE0EEENS1_48merge_mergepath_partition_config_static_selectorELNS0_4arch9wavefront6targetE1EEEvSH_
	.p2align	8
	.type	_ZN7rocprim17ROCPRIM_400000_NS6detail17trampoline_kernelINS0_14default_configENS1_38merge_sort_block_merge_config_selectorIdlEEZZNS1_27merge_sort_block_merge_implIS3_PdN6thrust23THRUST_200600_302600_NS10device_ptrIlEEjNS1_19radix_merge_compareILb0ELb0EdNS0_19identity_decomposerEEEEE10hipError_tT0_T1_T2_jT3_P12ihipStream_tbPNSt15iterator_traitsISG_E10value_typeEPNSM_ISH_E10value_typeEPSI_NS1_7vsmem_tEENKUlT_SG_SH_SI_E_clIS7_S7_SB_PlEESF_SV_SG_SH_SI_EUlSV_E_NS1_11comp_targetILNS1_3genE10ELNS1_11target_archE1201ELNS1_3gpuE5ELNS1_3repE0EEENS1_48merge_mergepath_partition_config_static_selectorELNS0_4arch9wavefront6targetE1EEEvSH_,@function
_ZN7rocprim17ROCPRIM_400000_NS6detail17trampoline_kernelINS0_14default_configENS1_38merge_sort_block_merge_config_selectorIdlEEZZNS1_27merge_sort_block_merge_implIS3_PdN6thrust23THRUST_200600_302600_NS10device_ptrIlEEjNS1_19radix_merge_compareILb0ELb0EdNS0_19identity_decomposerEEEEE10hipError_tT0_T1_T2_jT3_P12ihipStream_tbPNSt15iterator_traitsISG_E10value_typeEPNSM_ISH_E10value_typeEPSI_NS1_7vsmem_tEENKUlT_SG_SH_SI_E_clIS7_S7_SB_PlEESF_SV_SG_SH_SI_EUlSV_E_NS1_11comp_targetILNS1_3genE10ELNS1_11target_archE1201ELNS1_3gpuE5ELNS1_3repE0EEENS1_48merge_mergepath_partition_config_static_selectorELNS0_4arch9wavefront6targetE1EEEvSH_: ; @_ZN7rocprim17ROCPRIM_400000_NS6detail17trampoline_kernelINS0_14default_configENS1_38merge_sort_block_merge_config_selectorIdlEEZZNS1_27merge_sort_block_merge_implIS3_PdN6thrust23THRUST_200600_302600_NS10device_ptrIlEEjNS1_19radix_merge_compareILb0ELb0EdNS0_19identity_decomposerEEEEE10hipError_tT0_T1_T2_jT3_P12ihipStream_tbPNSt15iterator_traitsISG_E10value_typeEPNSM_ISH_E10value_typeEPSI_NS1_7vsmem_tEENKUlT_SG_SH_SI_E_clIS7_S7_SB_PlEESF_SV_SG_SH_SI_EUlSV_E_NS1_11comp_targetILNS1_3genE10ELNS1_11target_archE1201ELNS1_3gpuE5ELNS1_3repE0EEENS1_48merge_mergepath_partition_config_static_selectorELNS0_4arch9wavefront6targetE1EEEvSH_
; %bb.0:
	.section	.rodata,"a",@progbits
	.p2align	6, 0x0
	.amdhsa_kernel _ZN7rocprim17ROCPRIM_400000_NS6detail17trampoline_kernelINS0_14default_configENS1_38merge_sort_block_merge_config_selectorIdlEEZZNS1_27merge_sort_block_merge_implIS3_PdN6thrust23THRUST_200600_302600_NS10device_ptrIlEEjNS1_19radix_merge_compareILb0ELb0EdNS0_19identity_decomposerEEEEE10hipError_tT0_T1_T2_jT3_P12ihipStream_tbPNSt15iterator_traitsISG_E10value_typeEPNSM_ISH_E10value_typeEPSI_NS1_7vsmem_tEENKUlT_SG_SH_SI_E_clIS7_S7_SB_PlEESF_SV_SG_SH_SI_EUlSV_E_NS1_11comp_targetILNS1_3genE10ELNS1_11target_archE1201ELNS1_3gpuE5ELNS1_3repE0EEENS1_48merge_mergepath_partition_config_static_selectorELNS0_4arch9wavefront6targetE1EEEvSH_
		.amdhsa_group_segment_fixed_size 0
		.amdhsa_private_segment_fixed_size 0
		.amdhsa_kernarg_size 40
		.amdhsa_user_sgpr_count 6
		.amdhsa_user_sgpr_private_segment_buffer 1
		.amdhsa_user_sgpr_dispatch_ptr 0
		.amdhsa_user_sgpr_queue_ptr 0
		.amdhsa_user_sgpr_kernarg_segment_ptr 1
		.amdhsa_user_sgpr_dispatch_id 0
		.amdhsa_user_sgpr_flat_scratch_init 0
		.amdhsa_user_sgpr_private_segment_size 0
		.amdhsa_uses_dynamic_stack 0
		.amdhsa_system_sgpr_private_segment_wavefront_offset 0
		.amdhsa_system_sgpr_workgroup_id_x 1
		.amdhsa_system_sgpr_workgroup_id_y 0
		.amdhsa_system_sgpr_workgroup_id_z 0
		.amdhsa_system_sgpr_workgroup_info 0
		.amdhsa_system_vgpr_workitem_id 0
		.amdhsa_next_free_vgpr 1
		.amdhsa_next_free_sgpr 0
		.amdhsa_reserve_vcc 0
		.amdhsa_reserve_flat_scratch 0
		.amdhsa_float_round_mode_32 0
		.amdhsa_float_round_mode_16_64 0
		.amdhsa_float_denorm_mode_32 3
		.amdhsa_float_denorm_mode_16_64 3
		.amdhsa_dx10_clamp 1
		.amdhsa_ieee_mode 1
		.amdhsa_fp16_overflow 0
		.amdhsa_exception_fp_ieee_invalid_op 0
		.amdhsa_exception_fp_denorm_src 0
		.amdhsa_exception_fp_ieee_div_zero 0
		.amdhsa_exception_fp_ieee_overflow 0
		.amdhsa_exception_fp_ieee_underflow 0
		.amdhsa_exception_fp_ieee_inexact 0
		.amdhsa_exception_int_div_zero 0
	.end_amdhsa_kernel
	.section	.text._ZN7rocprim17ROCPRIM_400000_NS6detail17trampoline_kernelINS0_14default_configENS1_38merge_sort_block_merge_config_selectorIdlEEZZNS1_27merge_sort_block_merge_implIS3_PdN6thrust23THRUST_200600_302600_NS10device_ptrIlEEjNS1_19radix_merge_compareILb0ELb0EdNS0_19identity_decomposerEEEEE10hipError_tT0_T1_T2_jT3_P12ihipStream_tbPNSt15iterator_traitsISG_E10value_typeEPNSM_ISH_E10value_typeEPSI_NS1_7vsmem_tEENKUlT_SG_SH_SI_E_clIS7_S7_SB_PlEESF_SV_SG_SH_SI_EUlSV_E_NS1_11comp_targetILNS1_3genE10ELNS1_11target_archE1201ELNS1_3gpuE5ELNS1_3repE0EEENS1_48merge_mergepath_partition_config_static_selectorELNS0_4arch9wavefront6targetE1EEEvSH_,"axG",@progbits,_ZN7rocprim17ROCPRIM_400000_NS6detail17trampoline_kernelINS0_14default_configENS1_38merge_sort_block_merge_config_selectorIdlEEZZNS1_27merge_sort_block_merge_implIS3_PdN6thrust23THRUST_200600_302600_NS10device_ptrIlEEjNS1_19radix_merge_compareILb0ELb0EdNS0_19identity_decomposerEEEEE10hipError_tT0_T1_T2_jT3_P12ihipStream_tbPNSt15iterator_traitsISG_E10value_typeEPNSM_ISH_E10value_typeEPSI_NS1_7vsmem_tEENKUlT_SG_SH_SI_E_clIS7_S7_SB_PlEESF_SV_SG_SH_SI_EUlSV_E_NS1_11comp_targetILNS1_3genE10ELNS1_11target_archE1201ELNS1_3gpuE5ELNS1_3repE0EEENS1_48merge_mergepath_partition_config_static_selectorELNS0_4arch9wavefront6targetE1EEEvSH_,comdat
.Lfunc_end1567:
	.size	_ZN7rocprim17ROCPRIM_400000_NS6detail17trampoline_kernelINS0_14default_configENS1_38merge_sort_block_merge_config_selectorIdlEEZZNS1_27merge_sort_block_merge_implIS3_PdN6thrust23THRUST_200600_302600_NS10device_ptrIlEEjNS1_19radix_merge_compareILb0ELb0EdNS0_19identity_decomposerEEEEE10hipError_tT0_T1_T2_jT3_P12ihipStream_tbPNSt15iterator_traitsISG_E10value_typeEPNSM_ISH_E10value_typeEPSI_NS1_7vsmem_tEENKUlT_SG_SH_SI_E_clIS7_S7_SB_PlEESF_SV_SG_SH_SI_EUlSV_E_NS1_11comp_targetILNS1_3genE10ELNS1_11target_archE1201ELNS1_3gpuE5ELNS1_3repE0EEENS1_48merge_mergepath_partition_config_static_selectorELNS0_4arch9wavefront6targetE1EEEvSH_, .Lfunc_end1567-_ZN7rocprim17ROCPRIM_400000_NS6detail17trampoline_kernelINS0_14default_configENS1_38merge_sort_block_merge_config_selectorIdlEEZZNS1_27merge_sort_block_merge_implIS3_PdN6thrust23THRUST_200600_302600_NS10device_ptrIlEEjNS1_19radix_merge_compareILb0ELb0EdNS0_19identity_decomposerEEEEE10hipError_tT0_T1_T2_jT3_P12ihipStream_tbPNSt15iterator_traitsISG_E10value_typeEPNSM_ISH_E10value_typeEPSI_NS1_7vsmem_tEENKUlT_SG_SH_SI_E_clIS7_S7_SB_PlEESF_SV_SG_SH_SI_EUlSV_E_NS1_11comp_targetILNS1_3genE10ELNS1_11target_archE1201ELNS1_3gpuE5ELNS1_3repE0EEENS1_48merge_mergepath_partition_config_static_selectorELNS0_4arch9wavefront6targetE1EEEvSH_
                                        ; -- End function
	.set _ZN7rocprim17ROCPRIM_400000_NS6detail17trampoline_kernelINS0_14default_configENS1_38merge_sort_block_merge_config_selectorIdlEEZZNS1_27merge_sort_block_merge_implIS3_PdN6thrust23THRUST_200600_302600_NS10device_ptrIlEEjNS1_19radix_merge_compareILb0ELb0EdNS0_19identity_decomposerEEEEE10hipError_tT0_T1_T2_jT3_P12ihipStream_tbPNSt15iterator_traitsISG_E10value_typeEPNSM_ISH_E10value_typeEPSI_NS1_7vsmem_tEENKUlT_SG_SH_SI_E_clIS7_S7_SB_PlEESF_SV_SG_SH_SI_EUlSV_E_NS1_11comp_targetILNS1_3genE10ELNS1_11target_archE1201ELNS1_3gpuE5ELNS1_3repE0EEENS1_48merge_mergepath_partition_config_static_selectorELNS0_4arch9wavefront6targetE1EEEvSH_.num_vgpr, 0
	.set _ZN7rocprim17ROCPRIM_400000_NS6detail17trampoline_kernelINS0_14default_configENS1_38merge_sort_block_merge_config_selectorIdlEEZZNS1_27merge_sort_block_merge_implIS3_PdN6thrust23THRUST_200600_302600_NS10device_ptrIlEEjNS1_19radix_merge_compareILb0ELb0EdNS0_19identity_decomposerEEEEE10hipError_tT0_T1_T2_jT3_P12ihipStream_tbPNSt15iterator_traitsISG_E10value_typeEPNSM_ISH_E10value_typeEPSI_NS1_7vsmem_tEENKUlT_SG_SH_SI_E_clIS7_S7_SB_PlEESF_SV_SG_SH_SI_EUlSV_E_NS1_11comp_targetILNS1_3genE10ELNS1_11target_archE1201ELNS1_3gpuE5ELNS1_3repE0EEENS1_48merge_mergepath_partition_config_static_selectorELNS0_4arch9wavefront6targetE1EEEvSH_.num_agpr, 0
	.set _ZN7rocprim17ROCPRIM_400000_NS6detail17trampoline_kernelINS0_14default_configENS1_38merge_sort_block_merge_config_selectorIdlEEZZNS1_27merge_sort_block_merge_implIS3_PdN6thrust23THRUST_200600_302600_NS10device_ptrIlEEjNS1_19radix_merge_compareILb0ELb0EdNS0_19identity_decomposerEEEEE10hipError_tT0_T1_T2_jT3_P12ihipStream_tbPNSt15iterator_traitsISG_E10value_typeEPNSM_ISH_E10value_typeEPSI_NS1_7vsmem_tEENKUlT_SG_SH_SI_E_clIS7_S7_SB_PlEESF_SV_SG_SH_SI_EUlSV_E_NS1_11comp_targetILNS1_3genE10ELNS1_11target_archE1201ELNS1_3gpuE5ELNS1_3repE0EEENS1_48merge_mergepath_partition_config_static_selectorELNS0_4arch9wavefront6targetE1EEEvSH_.numbered_sgpr, 0
	.set _ZN7rocprim17ROCPRIM_400000_NS6detail17trampoline_kernelINS0_14default_configENS1_38merge_sort_block_merge_config_selectorIdlEEZZNS1_27merge_sort_block_merge_implIS3_PdN6thrust23THRUST_200600_302600_NS10device_ptrIlEEjNS1_19radix_merge_compareILb0ELb0EdNS0_19identity_decomposerEEEEE10hipError_tT0_T1_T2_jT3_P12ihipStream_tbPNSt15iterator_traitsISG_E10value_typeEPNSM_ISH_E10value_typeEPSI_NS1_7vsmem_tEENKUlT_SG_SH_SI_E_clIS7_S7_SB_PlEESF_SV_SG_SH_SI_EUlSV_E_NS1_11comp_targetILNS1_3genE10ELNS1_11target_archE1201ELNS1_3gpuE5ELNS1_3repE0EEENS1_48merge_mergepath_partition_config_static_selectorELNS0_4arch9wavefront6targetE1EEEvSH_.num_named_barrier, 0
	.set _ZN7rocprim17ROCPRIM_400000_NS6detail17trampoline_kernelINS0_14default_configENS1_38merge_sort_block_merge_config_selectorIdlEEZZNS1_27merge_sort_block_merge_implIS3_PdN6thrust23THRUST_200600_302600_NS10device_ptrIlEEjNS1_19radix_merge_compareILb0ELb0EdNS0_19identity_decomposerEEEEE10hipError_tT0_T1_T2_jT3_P12ihipStream_tbPNSt15iterator_traitsISG_E10value_typeEPNSM_ISH_E10value_typeEPSI_NS1_7vsmem_tEENKUlT_SG_SH_SI_E_clIS7_S7_SB_PlEESF_SV_SG_SH_SI_EUlSV_E_NS1_11comp_targetILNS1_3genE10ELNS1_11target_archE1201ELNS1_3gpuE5ELNS1_3repE0EEENS1_48merge_mergepath_partition_config_static_selectorELNS0_4arch9wavefront6targetE1EEEvSH_.private_seg_size, 0
	.set _ZN7rocprim17ROCPRIM_400000_NS6detail17trampoline_kernelINS0_14default_configENS1_38merge_sort_block_merge_config_selectorIdlEEZZNS1_27merge_sort_block_merge_implIS3_PdN6thrust23THRUST_200600_302600_NS10device_ptrIlEEjNS1_19radix_merge_compareILb0ELb0EdNS0_19identity_decomposerEEEEE10hipError_tT0_T1_T2_jT3_P12ihipStream_tbPNSt15iterator_traitsISG_E10value_typeEPNSM_ISH_E10value_typeEPSI_NS1_7vsmem_tEENKUlT_SG_SH_SI_E_clIS7_S7_SB_PlEESF_SV_SG_SH_SI_EUlSV_E_NS1_11comp_targetILNS1_3genE10ELNS1_11target_archE1201ELNS1_3gpuE5ELNS1_3repE0EEENS1_48merge_mergepath_partition_config_static_selectorELNS0_4arch9wavefront6targetE1EEEvSH_.uses_vcc, 0
	.set _ZN7rocprim17ROCPRIM_400000_NS6detail17trampoline_kernelINS0_14default_configENS1_38merge_sort_block_merge_config_selectorIdlEEZZNS1_27merge_sort_block_merge_implIS3_PdN6thrust23THRUST_200600_302600_NS10device_ptrIlEEjNS1_19radix_merge_compareILb0ELb0EdNS0_19identity_decomposerEEEEE10hipError_tT0_T1_T2_jT3_P12ihipStream_tbPNSt15iterator_traitsISG_E10value_typeEPNSM_ISH_E10value_typeEPSI_NS1_7vsmem_tEENKUlT_SG_SH_SI_E_clIS7_S7_SB_PlEESF_SV_SG_SH_SI_EUlSV_E_NS1_11comp_targetILNS1_3genE10ELNS1_11target_archE1201ELNS1_3gpuE5ELNS1_3repE0EEENS1_48merge_mergepath_partition_config_static_selectorELNS0_4arch9wavefront6targetE1EEEvSH_.uses_flat_scratch, 0
	.set _ZN7rocprim17ROCPRIM_400000_NS6detail17trampoline_kernelINS0_14default_configENS1_38merge_sort_block_merge_config_selectorIdlEEZZNS1_27merge_sort_block_merge_implIS3_PdN6thrust23THRUST_200600_302600_NS10device_ptrIlEEjNS1_19radix_merge_compareILb0ELb0EdNS0_19identity_decomposerEEEEE10hipError_tT0_T1_T2_jT3_P12ihipStream_tbPNSt15iterator_traitsISG_E10value_typeEPNSM_ISH_E10value_typeEPSI_NS1_7vsmem_tEENKUlT_SG_SH_SI_E_clIS7_S7_SB_PlEESF_SV_SG_SH_SI_EUlSV_E_NS1_11comp_targetILNS1_3genE10ELNS1_11target_archE1201ELNS1_3gpuE5ELNS1_3repE0EEENS1_48merge_mergepath_partition_config_static_selectorELNS0_4arch9wavefront6targetE1EEEvSH_.has_dyn_sized_stack, 0
	.set _ZN7rocprim17ROCPRIM_400000_NS6detail17trampoline_kernelINS0_14default_configENS1_38merge_sort_block_merge_config_selectorIdlEEZZNS1_27merge_sort_block_merge_implIS3_PdN6thrust23THRUST_200600_302600_NS10device_ptrIlEEjNS1_19radix_merge_compareILb0ELb0EdNS0_19identity_decomposerEEEEE10hipError_tT0_T1_T2_jT3_P12ihipStream_tbPNSt15iterator_traitsISG_E10value_typeEPNSM_ISH_E10value_typeEPSI_NS1_7vsmem_tEENKUlT_SG_SH_SI_E_clIS7_S7_SB_PlEESF_SV_SG_SH_SI_EUlSV_E_NS1_11comp_targetILNS1_3genE10ELNS1_11target_archE1201ELNS1_3gpuE5ELNS1_3repE0EEENS1_48merge_mergepath_partition_config_static_selectorELNS0_4arch9wavefront6targetE1EEEvSH_.has_recursion, 0
	.set _ZN7rocprim17ROCPRIM_400000_NS6detail17trampoline_kernelINS0_14default_configENS1_38merge_sort_block_merge_config_selectorIdlEEZZNS1_27merge_sort_block_merge_implIS3_PdN6thrust23THRUST_200600_302600_NS10device_ptrIlEEjNS1_19radix_merge_compareILb0ELb0EdNS0_19identity_decomposerEEEEE10hipError_tT0_T1_T2_jT3_P12ihipStream_tbPNSt15iterator_traitsISG_E10value_typeEPNSM_ISH_E10value_typeEPSI_NS1_7vsmem_tEENKUlT_SG_SH_SI_E_clIS7_S7_SB_PlEESF_SV_SG_SH_SI_EUlSV_E_NS1_11comp_targetILNS1_3genE10ELNS1_11target_archE1201ELNS1_3gpuE5ELNS1_3repE0EEENS1_48merge_mergepath_partition_config_static_selectorELNS0_4arch9wavefront6targetE1EEEvSH_.has_indirect_call, 0
	.section	.AMDGPU.csdata,"",@progbits
; Kernel info:
; codeLenInByte = 0
; TotalNumSgprs: 4
; NumVgprs: 0
; ScratchSize: 0
; MemoryBound: 0
; FloatMode: 240
; IeeeMode: 1
; LDSByteSize: 0 bytes/workgroup (compile time only)
; SGPRBlocks: 0
; VGPRBlocks: 0
; NumSGPRsForWavesPerEU: 4
; NumVGPRsForWavesPerEU: 1
; Occupancy: 10
; WaveLimiterHint : 0
; COMPUTE_PGM_RSRC2:SCRATCH_EN: 0
; COMPUTE_PGM_RSRC2:USER_SGPR: 6
; COMPUTE_PGM_RSRC2:TRAP_HANDLER: 0
; COMPUTE_PGM_RSRC2:TGID_X_EN: 1
; COMPUTE_PGM_RSRC2:TGID_Y_EN: 0
; COMPUTE_PGM_RSRC2:TGID_Z_EN: 0
; COMPUTE_PGM_RSRC2:TIDIG_COMP_CNT: 0
	.section	.text._ZN7rocprim17ROCPRIM_400000_NS6detail17trampoline_kernelINS0_14default_configENS1_38merge_sort_block_merge_config_selectorIdlEEZZNS1_27merge_sort_block_merge_implIS3_PdN6thrust23THRUST_200600_302600_NS10device_ptrIlEEjNS1_19radix_merge_compareILb0ELb0EdNS0_19identity_decomposerEEEEE10hipError_tT0_T1_T2_jT3_P12ihipStream_tbPNSt15iterator_traitsISG_E10value_typeEPNSM_ISH_E10value_typeEPSI_NS1_7vsmem_tEENKUlT_SG_SH_SI_E_clIS7_S7_SB_PlEESF_SV_SG_SH_SI_EUlSV_E_NS1_11comp_targetILNS1_3genE5ELNS1_11target_archE942ELNS1_3gpuE9ELNS1_3repE0EEENS1_48merge_mergepath_partition_config_static_selectorELNS0_4arch9wavefront6targetE1EEEvSH_,"axG",@progbits,_ZN7rocprim17ROCPRIM_400000_NS6detail17trampoline_kernelINS0_14default_configENS1_38merge_sort_block_merge_config_selectorIdlEEZZNS1_27merge_sort_block_merge_implIS3_PdN6thrust23THRUST_200600_302600_NS10device_ptrIlEEjNS1_19radix_merge_compareILb0ELb0EdNS0_19identity_decomposerEEEEE10hipError_tT0_T1_T2_jT3_P12ihipStream_tbPNSt15iterator_traitsISG_E10value_typeEPNSM_ISH_E10value_typeEPSI_NS1_7vsmem_tEENKUlT_SG_SH_SI_E_clIS7_S7_SB_PlEESF_SV_SG_SH_SI_EUlSV_E_NS1_11comp_targetILNS1_3genE5ELNS1_11target_archE942ELNS1_3gpuE9ELNS1_3repE0EEENS1_48merge_mergepath_partition_config_static_selectorELNS0_4arch9wavefront6targetE1EEEvSH_,comdat
	.protected	_ZN7rocprim17ROCPRIM_400000_NS6detail17trampoline_kernelINS0_14default_configENS1_38merge_sort_block_merge_config_selectorIdlEEZZNS1_27merge_sort_block_merge_implIS3_PdN6thrust23THRUST_200600_302600_NS10device_ptrIlEEjNS1_19radix_merge_compareILb0ELb0EdNS0_19identity_decomposerEEEEE10hipError_tT0_T1_T2_jT3_P12ihipStream_tbPNSt15iterator_traitsISG_E10value_typeEPNSM_ISH_E10value_typeEPSI_NS1_7vsmem_tEENKUlT_SG_SH_SI_E_clIS7_S7_SB_PlEESF_SV_SG_SH_SI_EUlSV_E_NS1_11comp_targetILNS1_3genE5ELNS1_11target_archE942ELNS1_3gpuE9ELNS1_3repE0EEENS1_48merge_mergepath_partition_config_static_selectorELNS0_4arch9wavefront6targetE1EEEvSH_ ; -- Begin function _ZN7rocprim17ROCPRIM_400000_NS6detail17trampoline_kernelINS0_14default_configENS1_38merge_sort_block_merge_config_selectorIdlEEZZNS1_27merge_sort_block_merge_implIS3_PdN6thrust23THRUST_200600_302600_NS10device_ptrIlEEjNS1_19radix_merge_compareILb0ELb0EdNS0_19identity_decomposerEEEEE10hipError_tT0_T1_T2_jT3_P12ihipStream_tbPNSt15iterator_traitsISG_E10value_typeEPNSM_ISH_E10value_typeEPSI_NS1_7vsmem_tEENKUlT_SG_SH_SI_E_clIS7_S7_SB_PlEESF_SV_SG_SH_SI_EUlSV_E_NS1_11comp_targetILNS1_3genE5ELNS1_11target_archE942ELNS1_3gpuE9ELNS1_3repE0EEENS1_48merge_mergepath_partition_config_static_selectorELNS0_4arch9wavefront6targetE1EEEvSH_
	.globl	_ZN7rocprim17ROCPRIM_400000_NS6detail17trampoline_kernelINS0_14default_configENS1_38merge_sort_block_merge_config_selectorIdlEEZZNS1_27merge_sort_block_merge_implIS3_PdN6thrust23THRUST_200600_302600_NS10device_ptrIlEEjNS1_19radix_merge_compareILb0ELb0EdNS0_19identity_decomposerEEEEE10hipError_tT0_T1_T2_jT3_P12ihipStream_tbPNSt15iterator_traitsISG_E10value_typeEPNSM_ISH_E10value_typeEPSI_NS1_7vsmem_tEENKUlT_SG_SH_SI_E_clIS7_S7_SB_PlEESF_SV_SG_SH_SI_EUlSV_E_NS1_11comp_targetILNS1_3genE5ELNS1_11target_archE942ELNS1_3gpuE9ELNS1_3repE0EEENS1_48merge_mergepath_partition_config_static_selectorELNS0_4arch9wavefront6targetE1EEEvSH_
	.p2align	8
	.type	_ZN7rocprim17ROCPRIM_400000_NS6detail17trampoline_kernelINS0_14default_configENS1_38merge_sort_block_merge_config_selectorIdlEEZZNS1_27merge_sort_block_merge_implIS3_PdN6thrust23THRUST_200600_302600_NS10device_ptrIlEEjNS1_19radix_merge_compareILb0ELb0EdNS0_19identity_decomposerEEEEE10hipError_tT0_T1_T2_jT3_P12ihipStream_tbPNSt15iterator_traitsISG_E10value_typeEPNSM_ISH_E10value_typeEPSI_NS1_7vsmem_tEENKUlT_SG_SH_SI_E_clIS7_S7_SB_PlEESF_SV_SG_SH_SI_EUlSV_E_NS1_11comp_targetILNS1_3genE5ELNS1_11target_archE942ELNS1_3gpuE9ELNS1_3repE0EEENS1_48merge_mergepath_partition_config_static_selectorELNS0_4arch9wavefront6targetE1EEEvSH_,@function
_ZN7rocprim17ROCPRIM_400000_NS6detail17trampoline_kernelINS0_14default_configENS1_38merge_sort_block_merge_config_selectorIdlEEZZNS1_27merge_sort_block_merge_implIS3_PdN6thrust23THRUST_200600_302600_NS10device_ptrIlEEjNS1_19radix_merge_compareILb0ELb0EdNS0_19identity_decomposerEEEEE10hipError_tT0_T1_T2_jT3_P12ihipStream_tbPNSt15iterator_traitsISG_E10value_typeEPNSM_ISH_E10value_typeEPSI_NS1_7vsmem_tEENKUlT_SG_SH_SI_E_clIS7_S7_SB_PlEESF_SV_SG_SH_SI_EUlSV_E_NS1_11comp_targetILNS1_3genE5ELNS1_11target_archE942ELNS1_3gpuE9ELNS1_3repE0EEENS1_48merge_mergepath_partition_config_static_selectorELNS0_4arch9wavefront6targetE1EEEvSH_: ; @_ZN7rocprim17ROCPRIM_400000_NS6detail17trampoline_kernelINS0_14default_configENS1_38merge_sort_block_merge_config_selectorIdlEEZZNS1_27merge_sort_block_merge_implIS3_PdN6thrust23THRUST_200600_302600_NS10device_ptrIlEEjNS1_19radix_merge_compareILb0ELb0EdNS0_19identity_decomposerEEEEE10hipError_tT0_T1_T2_jT3_P12ihipStream_tbPNSt15iterator_traitsISG_E10value_typeEPNSM_ISH_E10value_typeEPSI_NS1_7vsmem_tEENKUlT_SG_SH_SI_E_clIS7_S7_SB_PlEESF_SV_SG_SH_SI_EUlSV_E_NS1_11comp_targetILNS1_3genE5ELNS1_11target_archE942ELNS1_3gpuE9ELNS1_3repE0EEENS1_48merge_mergepath_partition_config_static_selectorELNS0_4arch9wavefront6targetE1EEEvSH_
; %bb.0:
	.section	.rodata,"a",@progbits
	.p2align	6, 0x0
	.amdhsa_kernel _ZN7rocprim17ROCPRIM_400000_NS6detail17trampoline_kernelINS0_14default_configENS1_38merge_sort_block_merge_config_selectorIdlEEZZNS1_27merge_sort_block_merge_implIS3_PdN6thrust23THRUST_200600_302600_NS10device_ptrIlEEjNS1_19radix_merge_compareILb0ELb0EdNS0_19identity_decomposerEEEEE10hipError_tT0_T1_T2_jT3_P12ihipStream_tbPNSt15iterator_traitsISG_E10value_typeEPNSM_ISH_E10value_typeEPSI_NS1_7vsmem_tEENKUlT_SG_SH_SI_E_clIS7_S7_SB_PlEESF_SV_SG_SH_SI_EUlSV_E_NS1_11comp_targetILNS1_3genE5ELNS1_11target_archE942ELNS1_3gpuE9ELNS1_3repE0EEENS1_48merge_mergepath_partition_config_static_selectorELNS0_4arch9wavefront6targetE1EEEvSH_
		.amdhsa_group_segment_fixed_size 0
		.amdhsa_private_segment_fixed_size 0
		.amdhsa_kernarg_size 40
		.amdhsa_user_sgpr_count 6
		.amdhsa_user_sgpr_private_segment_buffer 1
		.amdhsa_user_sgpr_dispatch_ptr 0
		.amdhsa_user_sgpr_queue_ptr 0
		.amdhsa_user_sgpr_kernarg_segment_ptr 1
		.amdhsa_user_sgpr_dispatch_id 0
		.amdhsa_user_sgpr_flat_scratch_init 0
		.amdhsa_user_sgpr_private_segment_size 0
		.amdhsa_uses_dynamic_stack 0
		.amdhsa_system_sgpr_private_segment_wavefront_offset 0
		.amdhsa_system_sgpr_workgroup_id_x 1
		.amdhsa_system_sgpr_workgroup_id_y 0
		.amdhsa_system_sgpr_workgroup_id_z 0
		.amdhsa_system_sgpr_workgroup_info 0
		.amdhsa_system_vgpr_workitem_id 0
		.amdhsa_next_free_vgpr 1
		.amdhsa_next_free_sgpr 0
		.amdhsa_reserve_vcc 0
		.amdhsa_reserve_flat_scratch 0
		.amdhsa_float_round_mode_32 0
		.amdhsa_float_round_mode_16_64 0
		.amdhsa_float_denorm_mode_32 3
		.amdhsa_float_denorm_mode_16_64 3
		.amdhsa_dx10_clamp 1
		.amdhsa_ieee_mode 1
		.amdhsa_fp16_overflow 0
		.amdhsa_exception_fp_ieee_invalid_op 0
		.amdhsa_exception_fp_denorm_src 0
		.amdhsa_exception_fp_ieee_div_zero 0
		.amdhsa_exception_fp_ieee_overflow 0
		.amdhsa_exception_fp_ieee_underflow 0
		.amdhsa_exception_fp_ieee_inexact 0
		.amdhsa_exception_int_div_zero 0
	.end_amdhsa_kernel
	.section	.text._ZN7rocprim17ROCPRIM_400000_NS6detail17trampoline_kernelINS0_14default_configENS1_38merge_sort_block_merge_config_selectorIdlEEZZNS1_27merge_sort_block_merge_implIS3_PdN6thrust23THRUST_200600_302600_NS10device_ptrIlEEjNS1_19radix_merge_compareILb0ELb0EdNS0_19identity_decomposerEEEEE10hipError_tT0_T1_T2_jT3_P12ihipStream_tbPNSt15iterator_traitsISG_E10value_typeEPNSM_ISH_E10value_typeEPSI_NS1_7vsmem_tEENKUlT_SG_SH_SI_E_clIS7_S7_SB_PlEESF_SV_SG_SH_SI_EUlSV_E_NS1_11comp_targetILNS1_3genE5ELNS1_11target_archE942ELNS1_3gpuE9ELNS1_3repE0EEENS1_48merge_mergepath_partition_config_static_selectorELNS0_4arch9wavefront6targetE1EEEvSH_,"axG",@progbits,_ZN7rocprim17ROCPRIM_400000_NS6detail17trampoline_kernelINS0_14default_configENS1_38merge_sort_block_merge_config_selectorIdlEEZZNS1_27merge_sort_block_merge_implIS3_PdN6thrust23THRUST_200600_302600_NS10device_ptrIlEEjNS1_19radix_merge_compareILb0ELb0EdNS0_19identity_decomposerEEEEE10hipError_tT0_T1_T2_jT3_P12ihipStream_tbPNSt15iterator_traitsISG_E10value_typeEPNSM_ISH_E10value_typeEPSI_NS1_7vsmem_tEENKUlT_SG_SH_SI_E_clIS7_S7_SB_PlEESF_SV_SG_SH_SI_EUlSV_E_NS1_11comp_targetILNS1_3genE5ELNS1_11target_archE942ELNS1_3gpuE9ELNS1_3repE0EEENS1_48merge_mergepath_partition_config_static_selectorELNS0_4arch9wavefront6targetE1EEEvSH_,comdat
.Lfunc_end1568:
	.size	_ZN7rocprim17ROCPRIM_400000_NS6detail17trampoline_kernelINS0_14default_configENS1_38merge_sort_block_merge_config_selectorIdlEEZZNS1_27merge_sort_block_merge_implIS3_PdN6thrust23THRUST_200600_302600_NS10device_ptrIlEEjNS1_19radix_merge_compareILb0ELb0EdNS0_19identity_decomposerEEEEE10hipError_tT0_T1_T2_jT3_P12ihipStream_tbPNSt15iterator_traitsISG_E10value_typeEPNSM_ISH_E10value_typeEPSI_NS1_7vsmem_tEENKUlT_SG_SH_SI_E_clIS7_S7_SB_PlEESF_SV_SG_SH_SI_EUlSV_E_NS1_11comp_targetILNS1_3genE5ELNS1_11target_archE942ELNS1_3gpuE9ELNS1_3repE0EEENS1_48merge_mergepath_partition_config_static_selectorELNS0_4arch9wavefront6targetE1EEEvSH_, .Lfunc_end1568-_ZN7rocprim17ROCPRIM_400000_NS6detail17trampoline_kernelINS0_14default_configENS1_38merge_sort_block_merge_config_selectorIdlEEZZNS1_27merge_sort_block_merge_implIS3_PdN6thrust23THRUST_200600_302600_NS10device_ptrIlEEjNS1_19radix_merge_compareILb0ELb0EdNS0_19identity_decomposerEEEEE10hipError_tT0_T1_T2_jT3_P12ihipStream_tbPNSt15iterator_traitsISG_E10value_typeEPNSM_ISH_E10value_typeEPSI_NS1_7vsmem_tEENKUlT_SG_SH_SI_E_clIS7_S7_SB_PlEESF_SV_SG_SH_SI_EUlSV_E_NS1_11comp_targetILNS1_3genE5ELNS1_11target_archE942ELNS1_3gpuE9ELNS1_3repE0EEENS1_48merge_mergepath_partition_config_static_selectorELNS0_4arch9wavefront6targetE1EEEvSH_
                                        ; -- End function
	.set _ZN7rocprim17ROCPRIM_400000_NS6detail17trampoline_kernelINS0_14default_configENS1_38merge_sort_block_merge_config_selectorIdlEEZZNS1_27merge_sort_block_merge_implIS3_PdN6thrust23THRUST_200600_302600_NS10device_ptrIlEEjNS1_19radix_merge_compareILb0ELb0EdNS0_19identity_decomposerEEEEE10hipError_tT0_T1_T2_jT3_P12ihipStream_tbPNSt15iterator_traitsISG_E10value_typeEPNSM_ISH_E10value_typeEPSI_NS1_7vsmem_tEENKUlT_SG_SH_SI_E_clIS7_S7_SB_PlEESF_SV_SG_SH_SI_EUlSV_E_NS1_11comp_targetILNS1_3genE5ELNS1_11target_archE942ELNS1_3gpuE9ELNS1_3repE0EEENS1_48merge_mergepath_partition_config_static_selectorELNS0_4arch9wavefront6targetE1EEEvSH_.num_vgpr, 0
	.set _ZN7rocprim17ROCPRIM_400000_NS6detail17trampoline_kernelINS0_14default_configENS1_38merge_sort_block_merge_config_selectorIdlEEZZNS1_27merge_sort_block_merge_implIS3_PdN6thrust23THRUST_200600_302600_NS10device_ptrIlEEjNS1_19radix_merge_compareILb0ELb0EdNS0_19identity_decomposerEEEEE10hipError_tT0_T1_T2_jT3_P12ihipStream_tbPNSt15iterator_traitsISG_E10value_typeEPNSM_ISH_E10value_typeEPSI_NS1_7vsmem_tEENKUlT_SG_SH_SI_E_clIS7_S7_SB_PlEESF_SV_SG_SH_SI_EUlSV_E_NS1_11comp_targetILNS1_3genE5ELNS1_11target_archE942ELNS1_3gpuE9ELNS1_3repE0EEENS1_48merge_mergepath_partition_config_static_selectorELNS0_4arch9wavefront6targetE1EEEvSH_.num_agpr, 0
	.set _ZN7rocprim17ROCPRIM_400000_NS6detail17trampoline_kernelINS0_14default_configENS1_38merge_sort_block_merge_config_selectorIdlEEZZNS1_27merge_sort_block_merge_implIS3_PdN6thrust23THRUST_200600_302600_NS10device_ptrIlEEjNS1_19radix_merge_compareILb0ELb0EdNS0_19identity_decomposerEEEEE10hipError_tT0_T1_T2_jT3_P12ihipStream_tbPNSt15iterator_traitsISG_E10value_typeEPNSM_ISH_E10value_typeEPSI_NS1_7vsmem_tEENKUlT_SG_SH_SI_E_clIS7_S7_SB_PlEESF_SV_SG_SH_SI_EUlSV_E_NS1_11comp_targetILNS1_3genE5ELNS1_11target_archE942ELNS1_3gpuE9ELNS1_3repE0EEENS1_48merge_mergepath_partition_config_static_selectorELNS0_4arch9wavefront6targetE1EEEvSH_.numbered_sgpr, 0
	.set _ZN7rocprim17ROCPRIM_400000_NS6detail17trampoline_kernelINS0_14default_configENS1_38merge_sort_block_merge_config_selectorIdlEEZZNS1_27merge_sort_block_merge_implIS3_PdN6thrust23THRUST_200600_302600_NS10device_ptrIlEEjNS1_19radix_merge_compareILb0ELb0EdNS0_19identity_decomposerEEEEE10hipError_tT0_T1_T2_jT3_P12ihipStream_tbPNSt15iterator_traitsISG_E10value_typeEPNSM_ISH_E10value_typeEPSI_NS1_7vsmem_tEENKUlT_SG_SH_SI_E_clIS7_S7_SB_PlEESF_SV_SG_SH_SI_EUlSV_E_NS1_11comp_targetILNS1_3genE5ELNS1_11target_archE942ELNS1_3gpuE9ELNS1_3repE0EEENS1_48merge_mergepath_partition_config_static_selectorELNS0_4arch9wavefront6targetE1EEEvSH_.num_named_barrier, 0
	.set _ZN7rocprim17ROCPRIM_400000_NS6detail17trampoline_kernelINS0_14default_configENS1_38merge_sort_block_merge_config_selectorIdlEEZZNS1_27merge_sort_block_merge_implIS3_PdN6thrust23THRUST_200600_302600_NS10device_ptrIlEEjNS1_19radix_merge_compareILb0ELb0EdNS0_19identity_decomposerEEEEE10hipError_tT0_T1_T2_jT3_P12ihipStream_tbPNSt15iterator_traitsISG_E10value_typeEPNSM_ISH_E10value_typeEPSI_NS1_7vsmem_tEENKUlT_SG_SH_SI_E_clIS7_S7_SB_PlEESF_SV_SG_SH_SI_EUlSV_E_NS1_11comp_targetILNS1_3genE5ELNS1_11target_archE942ELNS1_3gpuE9ELNS1_3repE0EEENS1_48merge_mergepath_partition_config_static_selectorELNS0_4arch9wavefront6targetE1EEEvSH_.private_seg_size, 0
	.set _ZN7rocprim17ROCPRIM_400000_NS6detail17trampoline_kernelINS0_14default_configENS1_38merge_sort_block_merge_config_selectorIdlEEZZNS1_27merge_sort_block_merge_implIS3_PdN6thrust23THRUST_200600_302600_NS10device_ptrIlEEjNS1_19radix_merge_compareILb0ELb0EdNS0_19identity_decomposerEEEEE10hipError_tT0_T1_T2_jT3_P12ihipStream_tbPNSt15iterator_traitsISG_E10value_typeEPNSM_ISH_E10value_typeEPSI_NS1_7vsmem_tEENKUlT_SG_SH_SI_E_clIS7_S7_SB_PlEESF_SV_SG_SH_SI_EUlSV_E_NS1_11comp_targetILNS1_3genE5ELNS1_11target_archE942ELNS1_3gpuE9ELNS1_3repE0EEENS1_48merge_mergepath_partition_config_static_selectorELNS0_4arch9wavefront6targetE1EEEvSH_.uses_vcc, 0
	.set _ZN7rocprim17ROCPRIM_400000_NS6detail17trampoline_kernelINS0_14default_configENS1_38merge_sort_block_merge_config_selectorIdlEEZZNS1_27merge_sort_block_merge_implIS3_PdN6thrust23THRUST_200600_302600_NS10device_ptrIlEEjNS1_19radix_merge_compareILb0ELb0EdNS0_19identity_decomposerEEEEE10hipError_tT0_T1_T2_jT3_P12ihipStream_tbPNSt15iterator_traitsISG_E10value_typeEPNSM_ISH_E10value_typeEPSI_NS1_7vsmem_tEENKUlT_SG_SH_SI_E_clIS7_S7_SB_PlEESF_SV_SG_SH_SI_EUlSV_E_NS1_11comp_targetILNS1_3genE5ELNS1_11target_archE942ELNS1_3gpuE9ELNS1_3repE0EEENS1_48merge_mergepath_partition_config_static_selectorELNS0_4arch9wavefront6targetE1EEEvSH_.uses_flat_scratch, 0
	.set _ZN7rocprim17ROCPRIM_400000_NS6detail17trampoline_kernelINS0_14default_configENS1_38merge_sort_block_merge_config_selectorIdlEEZZNS1_27merge_sort_block_merge_implIS3_PdN6thrust23THRUST_200600_302600_NS10device_ptrIlEEjNS1_19radix_merge_compareILb0ELb0EdNS0_19identity_decomposerEEEEE10hipError_tT0_T1_T2_jT3_P12ihipStream_tbPNSt15iterator_traitsISG_E10value_typeEPNSM_ISH_E10value_typeEPSI_NS1_7vsmem_tEENKUlT_SG_SH_SI_E_clIS7_S7_SB_PlEESF_SV_SG_SH_SI_EUlSV_E_NS1_11comp_targetILNS1_3genE5ELNS1_11target_archE942ELNS1_3gpuE9ELNS1_3repE0EEENS1_48merge_mergepath_partition_config_static_selectorELNS0_4arch9wavefront6targetE1EEEvSH_.has_dyn_sized_stack, 0
	.set _ZN7rocprim17ROCPRIM_400000_NS6detail17trampoline_kernelINS0_14default_configENS1_38merge_sort_block_merge_config_selectorIdlEEZZNS1_27merge_sort_block_merge_implIS3_PdN6thrust23THRUST_200600_302600_NS10device_ptrIlEEjNS1_19radix_merge_compareILb0ELb0EdNS0_19identity_decomposerEEEEE10hipError_tT0_T1_T2_jT3_P12ihipStream_tbPNSt15iterator_traitsISG_E10value_typeEPNSM_ISH_E10value_typeEPSI_NS1_7vsmem_tEENKUlT_SG_SH_SI_E_clIS7_S7_SB_PlEESF_SV_SG_SH_SI_EUlSV_E_NS1_11comp_targetILNS1_3genE5ELNS1_11target_archE942ELNS1_3gpuE9ELNS1_3repE0EEENS1_48merge_mergepath_partition_config_static_selectorELNS0_4arch9wavefront6targetE1EEEvSH_.has_recursion, 0
	.set _ZN7rocprim17ROCPRIM_400000_NS6detail17trampoline_kernelINS0_14default_configENS1_38merge_sort_block_merge_config_selectorIdlEEZZNS1_27merge_sort_block_merge_implIS3_PdN6thrust23THRUST_200600_302600_NS10device_ptrIlEEjNS1_19radix_merge_compareILb0ELb0EdNS0_19identity_decomposerEEEEE10hipError_tT0_T1_T2_jT3_P12ihipStream_tbPNSt15iterator_traitsISG_E10value_typeEPNSM_ISH_E10value_typeEPSI_NS1_7vsmem_tEENKUlT_SG_SH_SI_E_clIS7_S7_SB_PlEESF_SV_SG_SH_SI_EUlSV_E_NS1_11comp_targetILNS1_3genE5ELNS1_11target_archE942ELNS1_3gpuE9ELNS1_3repE0EEENS1_48merge_mergepath_partition_config_static_selectorELNS0_4arch9wavefront6targetE1EEEvSH_.has_indirect_call, 0
	.section	.AMDGPU.csdata,"",@progbits
; Kernel info:
; codeLenInByte = 0
; TotalNumSgprs: 4
; NumVgprs: 0
; ScratchSize: 0
; MemoryBound: 0
; FloatMode: 240
; IeeeMode: 1
; LDSByteSize: 0 bytes/workgroup (compile time only)
; SGPRBlocks: 0
; VGPRBlocks: 0
; NumSGPRsForWavesPerEU: 4
; NumVGPRsForWavesPerEU: 1
; Occupancy: 10
; WaveLimiterHint : 0
; COMPUTE_PGM_RSRC2:SCRATCH_EN: 0
; COMPUTE_PGM_RSRC2:USER_SGPR: 6
; COMPUTE_PGM_RSRC2:TRAP_HANDLER: 0
; COMPUTE_PGM_RSRC2:TGID_X_EN: 1
; COMPUTE_PGM_RSRC2:TGID_Y_EN: 0
; COMPUTE_PGM_RSRC2:TGID_Z_EN: 0
; COMPUTE_PGM_RSRC2:TIDIG_COMP_CNT: 0
	.section	.text._ZN7rocprim17ROCPRIM_400000_NS6detail17trampoline_kernelINS0_14default_configENS1_38merge_sort_block_merge_config_selectorIdlEEZZNS1_27merge_sort_block_merge_implIS3_PdN6thrust23THRUST_200600_302600_NS10device_ptrIlEEjNS1_19radix_merge_compareILb0ELb0EdNS0_19identity_decomposerEEEEE10hipError_tT0_T1_T2_jT3_P12ihipStream_tbPNSt15iterator_traitsISG_E10value_typeEPNSM_ISH_E10value_typeEPSI_NS1_7vsmem_tEENKUlT_SG_SH_SI_E_clIS7_S7_SB_PlEESF_SV_SG_SH_SI_EUlSV_E_NS1_11comp_targetILNS1_3genE4ELNS1_11target_archE910ELNS1_3gpuE8ELNS1_3repE0EEENS1_48merge_mergepath_partition_config_static_selectorELNS0_4arch9wavefront6targetE1EEEvSH_,"axG",@progbits,_ZN7rocprim17ROCPRIM_400000_NS6detail17trampoline_kernelINS0_14default_configENS1_38merge_sort_block_merge_config_selectorIdlEEZZNS1_27merge_sort_block_merge_implIS3_PdN6thrust23THRUST_200600_302600_NS10device_ptrIlEEjNS1_19radix_merge_compareILb0ELb0EdNS0_19identity_decomposerEEEEE10hipError_tT0_T1_T2_jT3_P12ihipStream_tbPNSt15iterator_traitsISG_E10value_typeEPNSM_ISH_E10value_typeEPSI_NS1_7vsmem_tEENKUlT_SG_SH_SI_E_clIS7_S7_SB_PlEESF_SV_SG_SH_SI_EUlSV_E_NS1_11comp_targetILNS1_3genE4ELNS1_11target_archE910ELNS1_3gpuE8ELNS1_3repE0EEENS1_48merge_mergepath_partition_config_static_selectorELNS0_4arch9wavefront6targetE1EEEvSH_,comdat
	.protected	_ZN7rocprim17ROCPRIM_400000_NS6detail17trampoline_kernelINS0_14default_configENS1_38merge_sort_block_merge_config_selectorIdlEEZZNS1_27merge_sort_block_merge_implIS3_PdN6thrust23THRUST_200600_302600_NS10device_ptrIlEEjNS1_19radix_merge_compareILb0ELb0EdNS0_19identity_decomposerEEEEE10hipError_tT0_T1_T2_jT3_P12ihipStream_tbPNSt15iterator_traitsISG_E10value_typeEPNSM_ISH_E10value_typeEPSI_NS1_7vsmem_tEENKUlT_SG_SH_SI_E_clIS7_S7_SB_PlEESF_SV_SG_SH_SI_EUlSV_E_NS1_11comp_targetILNS1_3genE4ELNS1_11target_archE910ELNS1_3gpuE8ELNS1_3repE0EEENS1_48merge_mergepath_partition_config_static_selectorELNS0_4arch9wavefront6targetE1EEEvSH_ ; -- Begin function _ZN7rocprim17ROCPRIM_400000_NS6detail17trampoline_kernelINS0_14default_configENS1_38merge_sort_block_merge_config_selectorIdlEEZZNS1_27merge_sort_block_merge_implIS3_PdN6thrust23THRUST_200600_302600_NS10device_ptrIlEEjNS1_19radix_merge_compareILb0ELb0EdNS0_19identity_decomposerEEEEE10hipError_tT0_T1_T2_jT3_P12ihipStream_tbPNSt15iterator_traitsISG_E10value_typeEPNSM_ISH_E10value_typeEPSI_NS1_7vsmem_tEENKUlT_SG_SH_SI_E_clIS7_S7_SB_PlEESF_SV_SG_SH_SI_EUlSV_E_NS1_11comp_targetILNS1_3genE4ELNS1_11target_archE910ELNS1_3gpuE8ELNS1_3repE0EEENS1_48merge_mergepath_partition_config_static_selectorELNS0_4arch9wavefront6targetE1EEEvSH_
	.globl	_ZN7rocprim17ROCPRIM_400000_NS6detail17trampoline_kernelINS0_14default_configENS1_38merge_sort_block_merge_config_selectorIdlEEZZNS1_27merge_sort_block_merge_implIS3_PdN6thrust23THRUST_200600_302600_NS10device_ptrIlEEjNS1_19radix_merge_compareILb0ELb0EdNS0_19identity_decomposerEEEEE10hipError_tT0_T1_T2_jT3_P12ihipStream_tbPNSt15iterator_traitsISG_E10value_typeEPNSM_ISH_E10value_typeEPSI_NS1_7vsmem_tEENKUlT_SG_SH_SI_E_clIS7_S7_SB_PlEESF_SV_SG_SH_SI_EUlSV_E_NS1_11comp_targetILNS1_3genE4ELNS1_11target_archE910ELNS1_3gpuE8ELNS1_3repE0EEENS1_48merge_mergepath_partition_config_static_selectorELNS0_4arch9wavefront6targetE1EEEvSH_
	.p2align	8
	.type	_ZN7rocprim17ROCPRIM_400000_NS6detail17trampoline_kernelINS0_14default_configENS1_38merge_sort_block_merge_config_selectorIdlEEZZNS1_27merge_sort_block_merge_implIS3_PdN6thrust23THRUST_200600_302600_NS10device_ptrIlEEjNS1_19radix_merge_compareILb0ELb0EdNS0_19identity_decomposerEEEEE10hipError_tT0_T1_T2_jT3_P12ihipStream_tbPNSt15iterator_traitsISG_E10value_typeEPNSM_ISH_E10value_typeEPSI_NS1_7vsmem_tEENKUlT_SG_SH_SI_E_clIS7_S7_SB_PlEESF_SV_SG_SH_SI_EUlSV_E_NS1_11comp_targetILNS1_3genE4ELNS1_11target_archE910ELNS1_3gpuE8ELNS1_3repE0EEENS1_48merge_mergepath_partition_config_static_selectorELNS0_4arch9wavefront6targetE1EEEvSH_,@function
_ZN7rocprim17ROCPRIM_400000_NS6detail17trampoline_kernelINS0_14default_configENS1_38merge_sort_block_merge_config_selectorIdlEEZZNS1_27merge_sort_block_merge_implIS3_PdN6thrust23THRUST_200600_302600_NS10device_ptrIlEEjNS1_19radix_merge_compareILb0ELb0EdNS0_19identity_decomposerEEEEE10hipError_tT0_T1_T2_jT3_P12ihipStream_tbPNSt15iterator_traitsISG_E10value_typeEPNSM_ISH_E10value_typeEPSI_NS1_7vsmem_tEENKUlT_SG_SH_SI_E_clIS7_S7_SB_PlEESF_SV_SG_SH_SI_EUlSV_E_NS1_11comp_targetILNS1_3genE4ELNS1_11target_archE910ELNS1_3gpuE8ELNS1_3repE0EEENS1_48merge_mergepath_partition_config_static_selectorELNS0_4arch9wavefront6targetE1EEEvSH_: ; @_ZN7rocprim17ROCPRIM_400000_NS6detail17trampoline_kernelINS0_14default_configENS1_38merge_sort_block_merge_config_selectorIdlEEZZNS1_27merge_sort_block_merge_implIS3_PdN6thrust23THRUST_200600_302600_NS10device_ptrIlEEjNS1_19radix_merge_compareILb0ELb0EdNS0_19identity_decomposerEEEEE10hipError_tT0_T1_T2_jT3_P12ihipStream_tbPNSt15iterator_traitsISG_E10value_typeEPNSM_ISH_E10value_typeEPSI_NS1_7vsmem_tEENKUlT_SG_SH_SI_E_clIS7_S7_SB_PlEESF_SV_SG_SH_SI_EUlSV_E_NS1_11comp_targetILNS1_3genE4ELNS1_11target_archE910ELNS1_3gpuE8ELNS1_3repE0EEENS1_48merge_mergepath_partition_config_static_selectorELNS0_4arch9wavefront6targetE1EEEvSH_
; %bb.0:
	.section	.rodata,"a",@progbits
	.p2align	6, 0x0
	.amdhsa_kernel _ZN7rocprim17ROCPRIM_400000_NS6detail17trampoline_kernelINS0_14default_configENS1_38merge_sort_block_merge_config_selectorIdlEEZZNS1_27merge_sort_block_merge_implIS3_PdN6thrust23THRUST_200600_302600_NS10device_ptrIlEEjNS1_19radix_merge_compareILb0ELb0EdNS0_19identity_decomposerEEEEE10hipError_tT0_T1_T2_jT3_P12ihipStream_tbPNSt15iterator_traitsISG_E10value_typeEPNSM_ISH_E10value_typeEPSI_NS1_7vsmem_tEENKUlT_SG_SH_SI_E_clIS7_S7_SB_PlEESF_SV_SG_SH_SI_EUlSV_E_NS1_11comp_targetILNS1_3genE4ELNS1_11target_archE910ELNS1_3gpuE8ELNS1_3repE0EEENS1_48merge_mergepath_partition_config_static_selectorELNS0_4arch9wavefront6targetE1EEEvSH_
		.amdhsa_group_segment_fixed_size 0
		.amdhsa_private_segment_fixed_size 0
		.amdhsa_kernarg_size 40
		.amdhsa_user_sgpr_count 6
		.amdhsa_user_sgpr_private_segment_buffer 1
		.amdhsa_user_sgpr_dispatch_ptr 0
		.amdhsa_user_sgpr_queue_ptr 0
		.amdhsa_user_sgpr_kernarg_segment_ptr 1
		.amdhsa_user_sgpr_dispatch_id 0
		.amdhsa_user_sgpr_flat_scratch_init 0
		.amdhsa_user_sgpr_private_segment_size 0
		.amdhsa_uses_dynamic_stack 0
		.amdhsa_system_sgpr_private_segment_wavefront_offset 0
		.amdhsa_system_sgpr_workgroup_id_x 1
		.amdhsa_system_sgpr_workgroup_id_y 0
		.amdhsa_system_sgpr_workgroup_id_z 0
		.amdhsa_system_sgpr_workgroup_info 0
		.amdhsa_system_vgpr_workitem_id 0
		.amdhsa_next_free_vgpr 1
		.amdhsa_next_free_sgpr 0
		.amdhsa_reserve_vcc 0
		.amdhsa_reserve_flat_scratch 0
		.amdhsa_float_round_mode_32 0
		.amdhsa_float_round_mode_16_64 0
		.amdhsa_float_denorm_mode_32 3
		.amdhsa_float_denorm_mode_16_64 3
		.amdhsa_dx10_clamp 1
		.amdhsa_ieee_mode 1
		.amdhsa_fp16_overflow 0
		.amdhsa_exception_fp_ieee_invalid_op 0
		.amdhsa_exception_fp_denorm_src 0
		.amdhsa_exception_fp_ieee_div_zero 0
		.amdhsa_exception_fp_ieee_overflow 0
		.amdhsa_exception_fp_ieee_underflow 0
		.amdhsa_exception_fp_ieee_inexact 0
		.amdhsa_exception_int_div_zero 0
	.end_amdhsa_kernel
	.section	.text._ZN7rocprim17ROCPRIM_400000_NS6detail17trampoline_kernelINS0_14default_configENS1_38merge_sort_block_merge_config_selectorIdlEEZZNS1_27merge_sort_block_merge_implIS3_PdN6thrust23THRUST_200600_302600_NS10device_ptrIlEEjNS1_19radix_merge_compareILb0ELb0EdNS0_19identity_decomposerEEEEE10hipError_tT0_T1_T2_jT3_P12ihipStream_tbPNSt15iterator_traitsISG_E10value_typeEPNSM_ISH_E10value_typeEPSI_NS1_7vsmem_tEENKUlT_SG_SH_SI_E_clIS7_S7_SB_PlEESF_SV_SG_SH_SI_EUlSV_E_NS1_11comp_targetILNS1_3genE4ELNS1_11target_archE910ELNS1_3gpuE8ELNS1_3repE0EEENS1_48merge_mergepath_partition_config_static_selectorELNS0_4arch9wavefront6targetE1EEEvSH_,"axG",@progbits,_ZN7rocprim17ROCPRIM_400000_NS6detail17trampoline_kernelINS0_14default_configENS1_38merge_sort_block_merge_config_selectorIdlEEZZNS1_27merge_sort_block_merge_implIS3_PdN6thrust23THRUST_200600_302600_NS10device_ptrIlEEjNS1_19radix_merge_compareILb0ELb0EdNS0_19identity_decomposerEEEEE10hipError_tT0_T1_T2_jT3_P12ihipStream_tbPNSt15iterator_traitsISG_E10value_typeEPNSM_ISH_E10value_typeEPSI_NS1_7vsmem_tEENKUlT_SG_SH_SI_E_clIS7_S7_SB_PlEESF_SV_SG_SH_SI_EUlSV_E_NS1_11comp_targetILNS1_3genE4ELNS1_11target_archE910ELNS1_3gpuE8ELNS1_3repE0EEENS1_48merge_mergepath_partition_config_static_selectorELNS0_4arch9wavefront6targetE1EEEvSH_,comdat
.Lfunc_end1569:
	.size	_ZN7rocprim17ROCPRIM_400000_NS6detail17trampoline_kernelINS0_14default_configENS1_38merge_sort_block_merge_config_selectorIdlEEZZNS1_27merge_sort_block_merge_implIS3_PdN6thrust23THRUST_200600_302600_NS10device_ptrIlEEjNS1_19radix_merge_compareILb0ELb0EdNS0_19identity_decomposerEEEEE10hipError_tT0_T1_T2_jT3_P12ihipStream_tbPNSt15iterator_traitsISG_E10value_typeEPNSM_ISH_E10value_typeEPSI_NS1_7vsmem_tEENKUlT_SG_SH_SI_E_clIS7_S7_SB_PlEESF_SV_SG_SH_SI_EUlSV_E_NS1_11comp_targetILNS1_3genE4ELNS1_11target_archE910ELNS1_3gpuE8ELNS1_3repE0EEENS1_48merge_mergepath_partition_config_static_selectorELNS0_4arch9wavefront6targetE1EEEvSH_, .Lfunc_end1569-_ZN7rocprim17ROCPRIM_400000_NS6detail17trampoline_kernelINS0_14default_configENS1_38merge_sort_block_merge_config_selectorIdlEEZZNS1_27merge_sort_block_merge_implIS3_PdN6thrust23THRUST_200600_302600_NS10device_ptrIlEEjNS1_19radix_merge_compareILb0ELb0EdNS0_19identity_decomposerEEEEE10hipError_tT0_T1_T2_jT3_P12ihipStream_tbPNSt15iterator_traitsISG_E10value_typeEPNSM_ISH_E10value_typeEPSI_NS1_7vsmem_tEENKUlT_SG_SH_SI_E_clIS7_S7_SB_PlEESF_SV_SG_SH_SI_EUlSV_E_NS1_11comp_targetILNS1_3genE4ELNS1_11target_archE910ELNS1_3gpuE8ELNS1_3repE0EEENS1_48merge_mergepath_partition_config_static_selectorELNS0_4arch9wavefront6targetE1EEEvSH_
                                        ; -- End function
	.set _ZN7rocprim17ROCPRIM_400000_NS6detail17trampoline_kernelINS0_14default_configENS1_38merge_sort_block_merge_config_selectorIdlEEZZNS1_27merge_sort_block_merge_implIS3_PdN6thrust23THRUST_200600_302600_NS10device_ptrIlEEjNS1_19radix_merge_compareILb0ELb0EdNS0_19identity_decomposerEEEEE10hipError_tT0_T1_T2_jT3_P12ihipStream_tbPNSt15iterator_traitsISG_E10value_typeEPNSM_ISH_E10value_typeEPSI_NS1_7vsmem_tEENKUlT_SG_SH_SI_E_clIS7_S7_SB_PlEESF_SV_SG_SH_SI_EUlSV_E_NS1_11comp_targetILNS1_3genE4ELNS1_11target_archE910ELNS1_3gpuE8ELNS1_3repE0EEENS1_48merge_mergepath_partition_config_static_selectorELNS0_4arch9wavefront6targetE1EEEvSH_.num_vgpr, 0
	.set _ZN7rocprim17ROCPRIM_400000_NS6detail17trampoline_kernelINS0_14default_configENS1_38merge_sort_block_merge_config_selectorIdlEEZZNS1_27merge_sort_block_merge_implIS3_PdN6thrust23THRUST_200600_302600_NS10device_ptrIlEEjNS1_19radix_merge_compareILb0ELb0EdNS0_19identity_decomposerEEEEE10hipError_tT0_T1_T2_jT3_P12ihipStream_tbPNSt15iterator_traitsISG_E10value_typeEPNSM_ISH_E10value_typeEPSI_NS1_7vsmem_tEENKUlT_SG_SH_SI_E_clIS7_S7_SB_PlEESF_SV_SG_SH_SI_EUlSV_E_NS1_11comp_targetILNS1_3genE4ELNS1_11target_archE910ELNS1_3gpuE8ELNS1_3repE0EEENS1_48merge_mergepath_partition_config_static_selectorELNS0_4arch9wavefront6targetE1EEEvSH_.num_agpr, 0
	.set _ZN7rocprim17ROCPRIM_400000_NS6detail17trampoline_kernelINS0_14default_configENS1_38merge_sort_block_merge_config_selectorIdlEEZZNS1_27merge_sort_block_merge_implIS3_PdN6thrust23THRUST_200600_302600_NS10device_ptrIlEEjNS1_19radix_merge_compareILb0ELb0EdNS0_19identity_decomposerEEEEE10hipError_tT0_T1_T2_jT3_P12ihipStream_tbPNSt15iterator_traitsISG_E10value_typeEPNSM_ISH_E10value_typeEPSI_NS1_7vsmem_tEENKUlT_SG_SH_SI_E_clIS7_S7_SB_PlEESF_SV_SG_SH_SI_EUlSV_E_NS1_11comp_targetILNS1_3genE4ELNS1_11target_archE910ELNS1_3gpuE8ELNS1_3repE0EEENS1_48merge_mergepath_partition_config_static_selectorELNS0_4arch9wavefront6targetE1EEEvSH_.numbered_sgpr, 0
	.set _ZN7rocprim17ROCPRIM_400000_NS6detail17trampoline_kernelINS0_14default_configENS1_38merge_sort_block_merge_config_selectorIdlEEZZNS1_27merge_sort_block_merge_implIS3_PdN6thrust23THRUST_200600_302600_NS10device_ptrIlEEjNS1_19radix_merge_compareILb0ELb0EdNS0_19identity_decomposerEEEEE10hipError_tT0_T1_T2_jT3_P12ihipStream_tbPNSt15iterator_traitsISG_E10value_typeEPNSM_ISH_E10value_typeEPSI_NS1_7vsmem_tEENKUlT_SG_SH_SI_E_clIS7_S7_SB_PlEESF_SV_SG_SH_SI_EUlSV_E_NS1_11comp_targetILNS1_3genE4ELNS1_11target_archE910ELNS1_3gpuE8ELNS1_3repE0EEENS1_48merge_mergepath_partition_config_static_selectorELNS0_4arch9wavefront6targetE1EEEvSH_.num_named_barrier, 0
	.set _ZN7rocprim17ROCPRIM_400000_NS6detail17trampoline_kernelINS0_14default_configENS1_38merge_sort_block_merge_config_selectorIdlEEZZNS1_27merge_sort_block_merge_implIS3_PdN6thrust23THRUST_200600_302600_NS10device_ptrIlEEjNS1_19radix_merge_compareILb0ELb0EdNS0_19identity_decomposerEEEEE10hipError_tT0_T1_T2_jT3_P12ihipStream_tbPNSt15iterator_traitsISG_E10value_typeEPNSM_ISH_E10value_typeEPSI_NS1_7vsmem_tEENKUlT_SG_SH_SI_E_clIS7_S7_SB_PlEESF_SV_SG_SH_SI_EUlSV_E_NS1_11comp_targetILNS1_3genE4ELNS1_11target_archE910ELNS1_3gpuE8ELNS1_3repE0EEENS1_48merge_mergepath_partition_config_static_selectorELNS0_4arch9wavefront6targetE1EEEvSH_.private_seg_size, 0
	.set _ZN7rocprim17ROCPRIM_400000_NS6detail17trampoline_kernelINS0_14default_configENS1_38merge_sort_block_merge_config_selectorIdlEEZZNS1_27merge_sort_block_merge_implIS3_PdN6thrust23THRUST_200600_302600_NS10device_ptrIlEEjNS1_19radix_merge_compareILb0ELb0EdNS0_19identity_decomposerEEEEE10hipError_tT0_T1_T2_jT3_P12ihipStream_tbPNSt15iterator_traitsISG_E10value_typeEPNSM_ISH_E10value_typeEPSI_NS1_7vsmem_tEENKUlT_SG_SH_SI_E_clIS7_S7_SB_PlEESF_SV_SG_SH_SI_EUlSV_E_NS1_11comp_targetILNS1_3genE4ELNS1_11target_archE910ELNS1_3gpuE8ELNS1_3repE0EEENS1_48merge_mergepath_partition_config_static_selectorELNS0_4arch9wavefront6targetE1EEEvSH_.uses_vcc, 0
	.set _ZN7rocprim17ROCPRIM_400000_NS6detail17trampoline_kernelINS0_14default_configENS1_38merge_sort_block_merge_config_selectorIdlEEZZNS1_27merge_sort_block_merge_implIS3_PdN6thrust23THRUST_200600_302600_NS10device_ptrIlEEjNS1_19radix_merge_compareILb0ELb0EdNS0_19identity_decomposerEEEEE10hipError_tT0_T1_T2_jT3_P12ihipStream_tbPNSt15iterator_traitsISG_E10value_typeEPNSM_ISH_E10value_typeEPSI_NS1_7vsmem_tEENKUlT_SG_SH_SI_E_clIS7_S7_SB_PlEESF_SV_SG_SH_SI_EUlSV_E_NS1_11comp_targetILNS1_3genE4ELNS1_11target_archE910ELNS1_3gpuE8ELNS1_3repE0EEENS1_48merge_mergepath_partition_config_static_selectorELNS0_4arch9wavefront6targetE1EEEvSH_.uses_flat_scratch, 0
	.set _ZN7rocprim17ROCPRIM_400000_NS6detail17trampoline_kernelINS0_14default_configENS1_38merge_sort_block_merge_config_selectorIdlEEZZNS1_27merge_sort_block_merge_implIS3_PdN6thrust23THRUST_200600_302600_NS10device_ptrIlEEjNS1_19radix_merge_compareILb0ELb0EdNS0_19identity_decomposerEEEEE10hipError_tT0_T1_T2_jT3_P12ihipStream_tbPNSt15iterator_traitsISG_E10value_typeEPNSM_ISH_E10value_typeEPSI_NS1_7vsmem_tEENKUlT_SG_SH_SI_E_clIS7_S7_SB_PlEESF_SV_SG_SH_SI_EUlSV_E_NS1_11comp_targetILNS1_3genE4ELNS1_11target_archE910ELNS1_3gpuE8ELNS1_3repE0EEENS1_48merge_mergepath_partition_config_static_selectorELNS0_4arch9wavefront6targetE1EEEvSH_.has_dyn_sized_stack, 0
	.set _ZN7rocprim17ROCPRIM_400000_NS6detail17trampoline_kernelINS0_14default_configENS1_38merge_sort_block_merge_config_selectorIdlEEZZNS1_27merge_sort_block_merge_implIS3_PdN6thrust23THRUST_200600_302600_NS10device_ptrIlEEjNS1_19radix_merge_compareILb0ELb0EdNS0_19identity_decomposerEEEEE10hipError_tT0_T1_T2_jT3_P12ihipStream_tbPNSt15iterator_traitsISG_E10value_typeEPNSM_ISH_E10value_typeEPSI_NS1_7vsmem_tEENKUlT_SG_SH_SI_E_clIS7_S7_SB_PlEESF_SV_SG_SH_SI_EUlSV_E_NS1_11comp_targetILNS1_3genE4ELNS1_11target_archE910ELNS1_3gpuE8ELNS1_3repE0EEENS1_48merge_mergepath_partition_config_static_selectorELNS0_4arch9wavefront6targetE1EEEvSH_.has_recursion, 0
	.set _ZN7rocprim17ROCPRIM_400000_NS6detail17trampoline_kernelINS0_14default_configENS1_38merge_sort_block_merge_config_selectorIdlEEZZNS1_27merge_sort_block_merge_implIS3_PdN6thrust23THRUST_200600_302600_NS10device_ptrIlEEjNS1_19radix_merge_compareILb0ELb0EdNS0_19identity_decomposerEEEEE10hipError_tT0_T1_T2_jT3_P12ihipStream_tbPNSt15iterator_traitsISG_E10value_typeEPNSM_ISH_E10value_typeEPSI_NS1_7vsmem_tEENKUlT_SG_SH_SI_E_clIS7_S7_SB_PlEESF_SV_SG_SH_SI_EUlSV_E_NS1_11comp_targetILNS1_3genE4ELNS1_11target_archE910ELNS1_3gpuE8ELNS1_3repE0EEENS1_48merge_mergepath_partition_config_static_selectorELNS0_4arch9wavefront6targetE1EEEvSH_.has_indirect_call, 0
	.section	.AMDGPU.csdata,"",@progbits
; Kernel info:
; codeLenInByte = 0
; TotalNumSgprs: 4
; NumVgprs: 0
; ScratchSize: 0
; MemoryBound: 0
; FloatMode: 240
; IeeeMode: 1
; LDSByteSize: 0 bytes/workgroup (compile time only)
; SGPRBlocks: 0
; VGPRBlocks: 0
; NumSGPRsForWavesPerEU: 4
; NumVGPRsForWavesPerEU: 1
; Occupancy: 10
; WaveLimiterHint : 0
; COMPUTE_PGM_RSRC2:SCRATCH_EN: 0
; COMPUTE_PGM_RSRC2:USER_SGPR: 6
; COMPUTE_PGM_RSRC2:TRAP_HANDLER: 0
; COMPUTE_PGM_RSRC2:TGID_X_EN: 1
; COMPUTE_PGM_RSRC2:TGID_Y_EN: 0
; COMPUTE_PGM_RSRC2:TGID_Z_EN: 0
; COMPUTE_PGM_RSRC2:TIDIG_COMP_CNT: 0
	.section	.text._ZN7rocprim17ROCPRIM_400000_NS6detail17trampoline_kernelINS0_14default_configENS1_38merge_sort_block_merge_config_selectorIdlEEZZNS1_27merge_sort_block_merge_implIS3_PdN6thrust23THRUST_200600_302600_NS10device_ptrIlEEjNS1_19radix_merge_compareILb0ELb0EdNS0_19identity_decomposerEEEEE10hipError_tT0_T1_T2_jT3_P12ihipStream_tbPNSt15iterator_traitsISG_E10value_typeEPNSM_ISH_E10value_typeEPSI_NS1_7vsmem_tEENKUlT_SG_SH_SI_E_clIS7_S7_SB_PlEESF_SV_SG_SH_SI_EUlSV_E_NS1_11comp_targetILNS1_3genE3ELNS1_11target_archE908ELNS1_3gpuE7ELNS1_3repE0EEENS1_48merge_mergepath_partition_config_static_selectorELNS0_4arch9wavefront6targetE1EEEvSH_,"axG",@progbits,_ZN7rocprim17ROCPRIM_400000_NS6detail17trampoline_kernelINS0_14default_configENS1_38merge_sort_block_merge_config_selectorIdlEEZZNS1_27merge_sort_block_merge_implIS3_PdN6thrust23THRUST_200600_302600_NS10device_ptrIlEEjNS1_19radix_merge_compareILb0ELb0EdNS0_19identity_decomposerEEEEE10hipError_tT0_T1_T2_jT3_P12ihipStream_tbPNSt15iterator_traitsISG_E10value_typeEPNSM_ISH_E10value_typeEPSI_NS1_7vsmem_tEENKUlT_SG_SH_SI_E_clIS7_S7_SB_PlEESF_SV_SG_SH_SI_EUlSV_E_NS1_11comp_targetILNS1_3genE3ELNS1_11target_archE908ELNS1_3gpuE7ELNS1_3repE0EEENS1_48merge_mergepath_partition_config_static_selectorELNS0_4arch9wavefront6targetE1EEEvSH_,comdat
	.protected	_ZN7rocprim17ROCPRIM_400000_NS6detail17trampoline_kernelINS0_14default_configENS1_38merge_sort_block_merge_config_selectorIdlEEZZNS1_27merge_sort_block_merge_implIS3_PdN6thrust23THRUST_200600_302600_NS10device_ptrIlEEjNS1_19radix_merge_compareILb0ELb0EdNS0_19identity_decomposerEEEEE10hipError_tT0_T1_T2_jT3_P12ihipStream_tbPNSt15iterator_traitsISG_E10value_typeEPNSM_ISH_E10value_typeEPSI_NS1_7vsmem_tEENKUlT_SG_SH_SI_E_clIS7_S7_SB_PlEESF_SV_SG_SH_SI_EUlSV_E_NS1_11comp_targetILNS1_3genE3ELNS1_11target_archE908ELNS1_3gpuE7ELNS1_3repE0EEENS1_48merge_mergepath_partition_config_static_selectorELNS0_4arch9wavefront6targetE1EEEvSH_ ; -- Begin function _ZN7rocprim17ROCPRIM_400000_NS6detail17trampoline_kernelINS0_14default_configENS1_38merge_sort_block_merge_config_selectorIdlEEZZNS1_27merge_sort_block_merge_implIS3_PdN6thrust23THRUST_200600_302600_NS10device_ptrIlEEjNS1_19radix_merge_compareILb0ELb0EdNS0_19identity_decomposerEEEEE10hipError_tT0_T1_T2_jT3_P12ihipStream_tbPNSt15iterator_traitsISG_E10value_typeEPNSM_ISH_E10value_typeEPSI_NS1_7vsmem_tEENKUlT_SG_SH_SI_E_clIS7_S7_SB_PlEESF_SV_SG_SH_SI_EUlSV_E_NS1_11comp_targetILNS1_3genE3ELNS1_11target_archE908ELNS1_3gpuE7ELNS1_3repE0EEENS1_48merge_mergepath_partition_config_static_selectorELNS0_4arch9wavefront6targetE1EEEvSH_
	.globl	_ZN7rocprim17ROCPRIM_400000_NS6detail17trampoline_kernelINS0_14default_configENS1_38merge_sort_block_merge_config_selectorIdlEEZZNS1_27merge_sort_block_merge_implIS3_PdN6thrust23THRUST_200600_302600_NS10device_ptrIlEEjNS1_19radix_merge_compareILb0ELb0EdNS0_19identity_decomposerEEEEE10hipError_tT0_T1_T2_jT3_P12ihipStream_tbPNSt15iterator_traitsISG_E10value_typeEPNSM_ISH_E10value_typeEPSI_NS1_7vsmem_tEENKUlT_SG_SH_SI_E_clIS7_S7_SB_PlEESF_SV_SG_SH_SI_EUlSV_E_NS1_11comp_targetILNS1_3genE3ELNS1_11target_archE908ELNS1_3gpuE7ELNS1_3repE0EEENS1_48merge_mergepath_partition_config_static_selectorELNS0_4arch9wavefront6targetE1EEEvSH_
	.p2align	8
	.type	_ZN7rocprim17ROCPRIM_400000_NS6detail17trampoline_kernelINS0_14default_configENS1_38merge_sort_block_merge_config_selectorIdlEEZZNS1_27merge_sort_block_merge_implIS3_PdN6thrust23THRUST_200600_302600_NS10device_ptrIlEEjNS1_19radix_merge_compareILb0ELb0EdNS0_19identity_decomposerEEEEE10hipError_tT0_T1_T2_jT3_P12ihipStream_tbPNSt15iterator_traitsISG_E10value_typeEPNSM_ISH_E10value_typeEPSI_NS1_7vsmem_tEENKUlT_SG_SH_SI_E_clIS7_S7_SB_PlEESF_SV_SG_SH_SI_EUlSV_E_NS1_11comp_targetILNS1_3genE3ELNS1_11target_archE908ELNS1_3gpuE7ELNS1_3repE0EEENS1_48merge_mergepath_partition_config_static_selectorELNS0_4arch9wavefront6targetE1EEEvSH_,@function
_ZN7rocprim17ROCPRIM_400000_NS6detail17trampoline_kernelINS0_14default_configENS1_38merge_sort_block_merge_config_selectorIdlEEZZNS1_27merge_sort_block_merge_implIS3_PdN6thrust23THRUST_200600_302600_NS10device_ptrIlEEjNS1_19radix_merge_compareILb0ELb0EdNS0_19identity_decomposerEEEEE10hipError_tT0_T1_T2_jT3_P12ihipStream_tbPNSt15iterator_traitsISG_E10value_typeEPNSM_ISH_E10value_typeEPSI_NS1_7vsmem_tEENKUlT_SG_SH_SI_E_clIS7_S7_SB_PlEESF_SV_SG_SH_SI_EUlSV_E_NS1_11comp_targetILNS1_3genE3ELNS1_11target_archE908ELNS1_3gpuE7ELNS1_3repE0EEENS1_48merge_mergepath_partition_config_static_selectorELNS0_4arch9wavefront6targetE1EEEvSH_: ; @_ZN7rocprim17ROCPRIM_400000_NS6detail17trampoline_kernelINS0_14default_configENS1_38merge_sort_block_merge_config_selectorIdlEEZZNS1_27merge_sort_block_merge_implIS3_PdN6thrust23THRUST_200600_302600_NS10device_ptrIlEEjNS1_19radix_merge_compareILb0ELb0EdNS0_19identity_decomposerEEEEE10hipError_tT0_T1_T2_jT3_P12ihipStream_tbPNSt15iterator_traitsISG_E10value_typeEPNSM_ISH_E10value_typeEPSI_NS1_7vsmem_tEENKUlT_SG_SH_SI_E_clIS7_S7_SB_PlEESF_SV_SG_SH_SI_EUlSV_E_NS1_11comp_targetILNS1_3genE3ELNS1_11target_archE908ELNS1_3gpuE7ELNS1_3repE0EEENS1_48merge_mergepath_partition_config_static_selectorELNS0_4arch9wavefront6targetE1EEEvSH_
; %bb.0:
	.section	.rodata,"a",@progbits
	.p2align	6, 0x0
	.amdhsa_kernel _ZN7rocprim17ROCPRIM_400000_NS6detail17trampoline_kernelINS0_14default_configENS1_38merge_sort_block_merge_config_selectorIdlEEZZNS1_27merge_sort_block_merge_implIS3_PdN6thrust23THRUST_200600_302600_NS10device_ptrIlEEjNS1_19radix_merge_compareILb0ELb0EdNS0_19identity_decomposerEEEEE10hipError_tT0_T1_T2_jT3_P12ihipStream_tbPNSt15iterator_traitsISG_E10value_typeEPNSM_ISH_E10value_typeEPSI_NS1_7vsmem_tEENKUlT_SG_SH_SI_E_clIS7_S7_SB_PlEESF_SV_SG_SH_SI_EUlSV_E_NS1_11comp_targetILNS1_3genE3ELNS1_11target_archE908ELNS1_3gpuE7ELNS1_3repE0EEENS1_48merge_mergepath_partition_config_static_selectorELNS0_4arch9wavefront6targetE1EEEvSH_
		.amdhsa_group_segment_fixed_size 0
		.amdhsa_private_segment_fixed_size 0
		.amdhsa_kernarg_size 40
		.amdhsa_user_sgpr_count 6
		.amdhsa_user_sgpr_private_segment_buffer 1
		.amdhsa_user_sgpr_dispatch_ptr 0
		.amdhsa_user_sgpr_queue_ptr 0
		.amdhsa_user_sgpr_kernarg_segment_ptr 1
		.amdhsa_user_sgpr_dispatch_id 0
		.amdhsa_user_sgpr_flat_scratch_init 0
		.amdhsa_user_sgpr_private_segment_size 0
		.amdhsa_uses_dynamic_stack 0
		.amdhsa_system_sgpr_private_segment_wavefront_offset 0
		.amdhsa_system_sgpr_workgroup_id_x 1
		.amdhsa_system_sgpr_workgroup_id_y 0
		.amdhsa_system_sgpr_workgroup_id_z 0
		.amdhsa_system_sgpr_workgroup_info 0
		.amdhsa_system_vgpr_workitem_id 0
		.amdhsa_next_free_vgpr 1
		.amdhsa_next_free_sgpr 0
		.amdhsa_reserve_vcc 0
		.amdhsa_reserve_flat_scratch 0
		.amdhsa_float_round_mode_32 0
		.amdhsa_float_round_mode_16_64 0
		.amdhsa_float_denorm_mode_32 3
		.amdhsa_float_denorm_mode_16_64 3
		.amdhsa_dx10_clamp 1
		.amdhsa_ieee_mode 1
		.amdhsa_fp16_overflow 0
		.amdhsa_exception_fp_ieee_invalid_op 0
		.amdhsa_exception_fp_denorm_src 0
		.amdhsa_exception_fp_ieee_div_zero 0
		.amdhsa_exception_fp_ieee_overflow 0
		.amdhsa_exception_fp_ieee_underflow 0
		.amdhsa_exception_fp_ieee_inexact 0
		.amdhsa_exception_int_div_zero 0
	.end_amdhsa_kernel
	.section	.text._ZN7rocprim17ROCPRIM_400000_NS6detail17trampoline_kernelINS0_14default_configENS1_38merge_sort_block_merge_config_selectorIdlEEZZNS1_27merge_sort_block_merge_implIS3_PdN6thrust23THRUST_200600_302600_NS10device_ptrIlEEjNS1_19radix_merge_compareILb0ELb0EdNS0_19identity_decomposerEEEEE10hipError_tT0_T1_T2_jT3_P12ihipStream_tbPNSt15iterator_traitsISG_E10value_typeEPNSM_ISH_E10value_typeEPSI_NS1_7vsmem_tEENKUlT_SG_SH_SI_E_clIS7_S7_SB_PlEESF_SV_SG_SH_SI_EUlSV_E_NS1_11comp_targetILNS1_3genE3ELNS1_11target_archE908ELNS1_3gpuE7ELNS1_3repE0EEENS1_48merge_mergepath_partition_config_static_selectorELNS0_4arch9wavefront6targetE1EEEvSH_,"axG",@progbits,_ZN7rocprim17ROCPRIM_400000_NS6detail17trampoline_kernelINS0_14default_configENS1_38merge_sort_block_merge_config_selectorIdlEEZZNS1_27merge_sort_block_merge_implIS3_PdN6thrust23THRUST_200600_302600_NS10device_ptrIlEEjNS1_19radix_merge_compareILb0ELb0EdNS0_19identity_decomposerEEEEE10hipError_tT0_T1_T2_jT3_P12ihipStream_tbPNSt15iterator_traitsISG_E10value_typeEPNSM_ISH_E10value_typeEPSI_NS1_7vsmem_tEENKUlT_SG_SH_SI_E_clIS7_S7_SB_PlEESF_SV_SG_SH_SI_EUlSV_E_NS1_11comp_targetILNS1_3genE3ELNS1_11target_archE908ELNS1_3gpuE7ELNS1_3repE0EEENS1_48merge_mergepath_partition_config_static_selectorELNS0_4arch9wavefront6targetE1EEEvSH_,comdat
.Lfunc_end1570:
	.size	_ZN7rocprim17ROCPRIM_400000_NS6detail17trampoline_kernelINS0_14default_configENS1_38merge_sort_block_merge_config_selectorIdlEEZZNS1_27merge_sort_block_merge_implIS3_PdN6thrust23THRUST_200600_302600_NS10device_ptrIlEEjNS1_19radix_merge_compareILb0ELb0EdNS0_19identity_decomposerEEEEE10hipError_tT0_T1_T2_jT3_P12ihipStream_tbPNSt15iterator_traitsISG_E10value_typeEPNSM_ISH_E10value_typeEPSI_NS1_7vsmem_tEENKUlT_SG_SH_SI_E_clIS7_S7_SB_PlEESF_SV_SG_SH_SI_EUlSV_E_NS1_11comp_targetILNS1_3genE3ELNS1_11target_archE908ELNS1_3gpuE7ELNS1_3repE0EEENS1_48merge_mergepath_partition_config_static_selectorELNS0_4arch9wavefront6targetE1EEEvSH_, .Lfunc_end1570-_ZN7rocprim17ROCPRIM_400000_NS6detail17trampoline_kernelINS0_14default_configENS1_38merge_sort_block_merge_config_selectorIdlEEZZNS1_27merge_sort_block_merge_implIS3_PdN6thrust23THRUST_200600_302600_NS10device_ptrIlEEjNS1_19radix_merge_compareILb0ELb0EdNS0_19identity_decomposerEEEEE10hipError_tT0_T1_T2_jT3_P12ihipStream_tbPNSt15iterator_traitsISG_E10value_typeEPNSM_ISH_E10value_typeEPSI_NS1_7vsmem_tEENKUlT_SG_SH_SI_E_clIS7_S7_SB_PlEESF_SV_SG_SH_SI_EUlSV_E_NS1_11comp_targetILNS1_3genE3ELNS1_11target_archE908ELNS1_3gpuE7ELNS1_3repE0EEENS1_48merge_mergepath_partition_config_static_selectorELNS0_4arch9wavefront6targetE1EEEvSH_
                                        ; -- End function
	.set _ZN7rocprim17ROCPRIM_400000_NS6detail17trampoline_kernelINS0_14default_configENS1_38merge_sort_block_merge_config_selectorIdlEEZZNS1_27merge_sort_block_merge_implIS3_PdN6thrust23THRUST_200600_302600_NS10device_ptrIlEEjNS1_19radix_merge_compareILb0ELb0EdNS0_19identity_decomposerEEEEE10hipError_tT0_T1_T2_jT3_P12ihipStream_tbPNSt15iterator_traitsISG_E10value_typeEPNSM_ISH_E10value_typeEPSI_NS1_7vsmem_tEENKUlT_SG_SH_SI_E_clIS7_S7_SB_PlEESF_SV_SG_SH_SI_EUlSV_E_NS1_11comp_targetILNS1_3genE3ELNS1_11target_archE908ELNS1_3gpuE7ELNS1_3repE0EEENS1_48merge_mergepath_partition_config_static_selectorELNS0_4arch9wavefront6targetE1EEEvSH_.num_vgpr, 0
	.set _ZN7rocprim17ROCPRIM_400000_NS6detail17trampoline_kernelINS0_14default_configENS1_38merge_sort_block_merge_config_selectorIdlEEZZNS1_27merge_sort_block_merge_implIS3_PdN6thrust23THRUST_200600_302600_NS10device_ptrIlEEjNS1_19radix_merge_compareILb0ELb0EdNS0_19identity_decomposerEEEEE10hipError_tT0_T1_T2_jT3_P12ihipStream_tbPNSt15iterator_traitsISG_E10value_typeEPNSM_ISH_E10value_typeEPSI_NS1_7vsmem_tEENKUlT_SG_SH_SI_E_clIS7_S7_SB_PlEESF_SV_SG_SH_SI_EUlSV_E_NS1_11comp_targetILNS1_3genE3ELNS1_11target_archE908ELNS1_3gpuE7ELNS1_3repE0EEENS1_48merge_mergepath_partition_config_static_selectorELNS0_4arch9wavefront6targetE1EEEvSH_.num_agpr, 0
	.set _ZN7rocprim17ROCPRIM_400000_NS6detail17trampoline_kernelINS0_14default_configENS1_38merge_sort_block_merge_config_selectorIdlEEZZNS1_27merge_sort_block_merge_implIS3_PdN6thrust23THRUST_200600_302600_NS10device_ptrIlEEjNS1_19radix_merge_compareILb0ELb0EdNS0_19identity_decomposerEEEEE10hipError_tT0_T1_T2_jT3_P12ihipStream_tbPNSt15iterator_traitsISG_E10value_typeEPNSM_ISH_E10value_typeEPSI_NS1_7vsmem_tEENKUlT_SG_SH_SI_E_clIS7_S7_SB_PlEESF_SV_SG_SH_SI_EUlSV_E_NS1_11comp_targetILNS1_3genE3ELNS1_11target_archE908ELNS1_3gpuE7ELNS1_3repE0EEENS1_48merge_mergepath_partition_config_static_selectorELNS0_4arch9wavefront6targetE1EEEvSH_.numbered_sgpr, 0
	.set _ZN7rocprim17ROCPRIM_400000_NS6detail17trampoline_kernelINS0_14default_configENS1_38merge_sort_block_merge_config_selectorIdlEEZZNS1_27merge_sort_block_merge_implIS3_PdN6thrust23THRUST_200600_302600_NS10device_ptrIlEEjNS1_19radix_merge_compareILb0ELb0EdNS0_19identity_decomposerEEEEE10hipError_tT0_T1_T2_jT3_P12ihipStream_tbPNSt15iterator_traitsISG_E10value_typeEPNSM_ISH_E10value_typeEPSI_NS1_7vsmem_tEENKUlT_SG_SH_SI_E_clIS7_S7_SB_PlEESF_SV_SG_SH_SI_EUlSV_E_NS1_11comp_targetILNS1_3genE3ELNS1_11target_archE908ELNS1_3gpuE7ELNS1_3repE0EEENS1_48merge_mergepath_partition_config_static_selectorELNS0_4arch9wavefront6targetE1EEEvSH_.num_named_barrier, 0
	.set _ZN7rocprim17ROCPRIM_400000_NS6detail17trampoline_kernelINS0_14default_configENS1_38merge_sort_block_merge_config_selectorIdlEEZZNS1_27merge_sort_block_merge_implIS3_PdN6thrust23THRUST_200600_302600_NS10device_ptrIlEEjNS1_19radix_merge_compareILb0ELb0EdNS0_19identity_decomposerEEEEE10hipError_tT0_T1_T2_jT3_P12ihipStream_tbPNSt15iterator_traitsISG_E10value_typeEPNSM_ISH_E10value_typeEPSI_NS1_7vsmem_tEENKUlT_SG_SH_SI_E_clIS7_S7_SB_PlEESF_SV_SG_SH_SI_EUlSV_E_NS1_11comp_targetILNS1_3genE3ELNS1_11target_archE908ELNS1_3gpuE7ELNS1_3repE0EEENS1_48merge_mergepath_partition_config_static_selectorELNS0_4arch9wavefront6targetE1EEEvSH_.private_seg_size, 0
	.set _ZN7rocprim17ROCPRIM_400000_NS6detail17trampoline_kernelINS0_14default_configENS1_38merge_sort_block_merge_config_selectorIdlEEZZNS1_27merge_sort_block_merge_implIS3_PdN6thrust23THRUST_200600_302600_NS10device_ptrIlEEjNS1_19radix_merge_compareILb0ELb0EdNS0_19identity_decomposerEEEEE10hipError_tT0_T1_T2_jT3_P12ihipStream_tbPNSt15iterator_traitsISG_E10value_typeEPNSM_ISH_E10value_typeEPSI_NS1_7vsmem_tEENKUlT_SG_SH_SI_E_clIS7_S7_SB_PlEESF_SV_SG_SH_SI_EUlSV_E_NS1_11comp_targetILNS1_3genE3ELNS1_11target_archE908ELNS1_3gpuE7ELNS1_3repE0EEENS1_48merge_mergepath_partition_config_static_selectorELNS0_4arch9wavefront6targetE1EEEvSH_.uses_vcc, 0
	.set _ZN7rocprim17ROCPRIM_400000_NS6detail17trampoline_kernelINS0_14default_configENS1_38merge_sort_block_merge_config_selectorIdlEEZZNS1_27merge_sort_block_merge_implIS3_PdN6thrust23THRUST_200600_302600_NS10device_ptrIlEEjNS1_19radix_merge_compareILb0ELb0EdNS0_19identity_decomposerEEEEE10hipError_tT0_T1_T2_jT3_P12ihipStream_tbPNSt15iterator_traitsISG_E10value_typeEPNSM_ISH_E10value_typeEPSI_NS1_7vsmem_tEENKUlT_SG_SH_SI_E_clIS7_S7_SB_PlEESF_SV_SG_SH_SI_EUlSV_E_NS1_11comp_targetILNS1_3genE3ELNS1_11target_archE908ELNS1_3gpuE7ELNS1_3repE0EEENS1_48merge_mergepath_partition_config_static_selectorELNS0_4arch9wavefront6targetE1EEEvSH_.uses_flat_scratch, 0
	.set _ZN7rocprim17ROCPRIM_400000_NS6detail17trampoline_kernelINS0_14default_configENS1_38merge_sort_block_merge_config_selectorIdlEEZZNS1_27merge_sort_block_merge_implIS3_PdN6thrust23THRUST_200600_302600_NS10device_ptrIlEEjNS1_19radix_merge_compareILb0ELb0EdNS0_19identity_decomposerEEEEE10hipError_tT0_T1_T2_jT3_P12ihipStream_tbPNSt15iterator_traitsISG_E10value_typeEPNSM_ISH_E10value_typeEPSI_NS1_7vsmem_tEENKUlT_SG_SH_SI_E_clIS7_S7_SB_PlEESF_SV_SG_SH_SI_EUlSV_E_NS1_11comp_targetILNS1_3genE3ELNS1_11target_archE908ELNS1_3gpuE7ELNS1_3repE0EEENS1_48merge_mergepath_partition_config_static_selectorELNS0_4arch9wavefront6targetE1EEEvSH_.has_dyn_sized_stack, 0
	.set _ZN7rocprim17ROCPRIM_400000_NS6detail17trampoline_kernelINS0_14default_configENS1_38merge_sort_block_merge_config_selectorIdlEEZZNS1_27merge_sort_block_merge_implIS3_PdN6thrust23THRUST_200600_302600_NS10device_ptrIlEEjNS1_19radix_merge_compareILb0ELb0EdNS0_19identity_decomposerEEEEE10hipError_tT0_T1_T2_jT3_P12ihipStream_tbPNSt15iterator_traitsISG_E10value_typeEPNSM_ISH_E10value_typeEPSI_NS1_7vsmem_tEENKUlT_SG_SH_SI_E_clIS7_S7_SB_PlEESF_SV_SG_SH_SI_EUlSV_E_NS1_11comp_targetILNS1_3genE3ELNS1_11target_archE908ELNS1_3gpuE7ELNS1_3repE0EEENS1_48merge_mergepath_partition_config_static_selectorELNS0_4arch9wavefront6targetE1EEEvSH_.has_recursion, 0
	.set _ZN7rocprim17ROCPRIM_400000_NS6detail17trampoline_kernelINS0_14default_configENS1_38merge_sort_block_merge_config_selectorIdlEEZZNS1_27merge_sort_block_merge_implIS3_PdN6thrust23THRUST_200600_302600_NS10device_ptrIlEEjNS1_19radix_merge_compareILb0ELb0EdNS0_19identity_decomposerEEEEE10hipError_tT0_T1_T2_jT3_P12ihipStream_tbPNSt15iterator_traitsISG_E10value_typeEPNSM_ISH_E10value_typeEPSI_NS1_7vsmem_tEENKUlT_SG_SH_SI_E_clIS7_S7_SB_PlEESF_SV_SG_SH_SI_EUlSV_E_NS1_11comp_targetILNS1_3genE3ELNS1_11target_archE908ELNS1_3gpuE7ELNS1_3repE0EEENS1_48merge_mergepath_partition_config_static_selectorELNS0_4arch9wavefront6targetE1EEEvSH_.has_indirect_call, 0
	.section	.AMDGPU.csdata,"",@progbits
; Kernel info:
; codeLenInByte = 0
; TotalNumSgprs: 4
; NumVgprs: 0
; ScratchSize: 0
; MemoryBound: 0
; FloatMode: 240
; IeeeMode: 1
; LDSByteSize: 0 bytes/workgroup (compile time only)
; SGPRBlocks: 0
; VGPRBlocks: 0
; NumSGPRsForWavesPerEU: 4
; NumVGPRsForWavesPerEU: 1
; Occupancy: 10
; WaveLimiterHint : 0
; COMPUTE_PGM_RSRC2:SCRATCH_EN: 0
; COMPUTE_PGM_RSRC2:USER_SGPR: 6
; COMPUTE_PGM_RSRC2:TRAP_HANDLER: 0
; COMPUTE_PGM_RSRC2:TGID_X_EN: 1
; COMPUTE_PGM_RSRC2:TGID_Y_EN: 0
; COMPUTE_PGM_RSRC2:TGID_Z_EN: 0
; COMPUTE_PGM_RSRC2:TIDIG_COMP_CNT: 0
	.section	.text._ZN7rocprim17ROCPRIM_400000_NS6detail17trampoline_kernelINS0_14default_configENS1_38merge_sort_block_merge_config_selectorIdlEEZZNS1_27merge_sort_block_merge_implIS3_PdN6thrust23THRUST_200600_302600_NS10device_ptrIlEEjNS1_19radix_merge_compareILb0ELb0EdNS0_19identity_decomposerEEEEE10hipError_tT0_T1_T2_jT3_P12ihipStream_tbPNSt15iterator_traitsISG_E10value_typeEPNSM_ISH_E10value_typeEPSI_NS1_7vsmem_tEENKUlT_SG_SH_SI_E_clIS7_S7_SB_PlEESF_SV_SG_SH_SI_EUlSV_E_NS1_11comp_targetILNS1_3genE2ELNS1_11target_archE906ELNS1_3gpuE6ELNS1_3repE0EEENS1_48merge_mergepath_partition_config_static_selectorELNS0_4arch9wavefront6targetE1EEEvSH_,"axG",@progbits,_ZN7rocprim17ROCPRIM_400000_NS6detail17trampoline_kernelINS0_14default_configENS1_38merge_sort_block_merge_config_selectorIdlEEZZNS1_27merge_sort_block_merge_implIS3_PdN6thrust23THRUST_200600_302600_NS10device_ptrIlEEjNS1_19radix_merge_compareILb0ELb0EdNS0_19identity_decomposerEEEEE10hipError_tT0_T1_T2_jT3_P12ihipStream_tbPNSt15iterator_traitsISG_E10value_typeEPNSM_ISH_E10value_typeEPSI_NS1_7vsmem_tEENKUlT_SG_SH_SI_E_clIS7_S7_SB_PlEESF_SV_SG_SH_SI_EUlSV_E_NS1_11comp_targetILNS1_3genE2ELNS1_11target_archE906ELNS1_3gpuE6ELNS1_3repE0EEENS1_48merge_mergepath_partition_config_static_selectorELNS0_4arch9wavefront6targetE1EEEvSH_,comdat
	.protected	_ZN7rocprim17ROCPRIM_400000_NS6detail17trampoline_kernelINS0_14default_configENS1_38merge_sort_block_merge_config_selectorIdlEEZZNS1_27merge_sort_block_merge_implIS3_PdN6thrust23THRUST_200600_302600_NS10device_ptrIlEEjNS1_19radix_merge_compareILb0ELb0EdNS0_19identity_decomposerEEEEE10hipError_tT0_T1_T2_jT3_P12ihipStream_tbPNSt15iterator_traitsISG_E10value_typeEPNSM_ISH_E10value_typeEPSI_NS1_7vsmem_tEENKUlT_SG_SH_SI_E_clIS7_S7_SB_PlEESF_SV_SG_SH_SI_EUlSV_E_NS1_11comp_targetILNS1_3genE2ELNS1_11target_archE906ELNS1_3gpuE6ELNS1_3repE0EEENS1_48merge_mergepath_partition_config_static_selectorELNS0_4arch9wavefront6targetE1EEEvSH_ ; -- Begin function _ZN7rocprim17ROCPRIM_400000_NS6detail17trampoline_kernelINS0_14default_configENS1_38merge_sort_block_merge_config_selectorIdlEEZZNS1_27merge_sort_block_merge_implIS3_PdN6thrust23THRUST_200600_302600_NS10device_ptrIlEEjNS1_19radix_merge_compareILb0ELb0EdNS0_19identity_decomposerEEEEE10hipError_tT0_T1_T2_jT3_P12ihipStream_tbPNSt15iterator_traitsISG_E10value_typeEPNSM_ISH_E10value_typeEPSI_NS1_7vsmem_tEENKUlT_SG_SH_SI_E_clIS7_S7_SB_PlEESF_SV_SG_SH_SI_EUlSV_E_NS1_11comp_targetILNS1_3genE2ELNS1_11target_archE906ELNS1_3gpuE6ELNS1_3repE0EEENS1_48merge_mergepath_partition_config_static_selectorELNS0_4arch9wavefront6targetE1EEEvSH_
	.globl	_ZN7rocprim17ROCPRIM_400000_NS6detail17trampoline_kernelINS0_14default_configENS1_38merge_sort_block_merge_config_selectorIdlEEZZNS1_27merge_sort_block_merge_implIS3_PdN6thrust23THRUST_200600_302600_NS10device_ptrIlEEjNS1_19radix_merge_compareILb0ELb0EdNS0_19identity_decomposerEEEEE10hipError_tT0_T1_T2_jT3_P12ihipStream_tbPNSt15iterator_traitsISG_E10value_typeEPNSM_ISH_E10value_typeEPSI_NS1_7vsmem_tEENKUlT_SG_SH_SI_E_clIS7_S7_SB_PlEESF_SV_SG_SH_SI_EUlSV_E_NS1_11comp_targetILNS1_3genE2ELNS1_11target_archE906ELNS1_3gpuE6ELNS1_3repE0EEENS1_48merge_mergepath_partition_config_static_selectorELNS0_4arch9wavefront6targetE1EEEvSH_
	.p2align	8
	.type	_ZN7rocprim17ROCPRIM_400000_NS6detail17trampoline_kernelINS0_14default_configENS1_38merge_sort_block_merge_config_selectorIdlEEZZNS1_27merge_sort_block_merge_implIS3_PdN6thrust23THRUST_200600_302600_NS10device_ptrIlEEjNS1_19radix_merge_compareILb0ELb0EdNS0_19identity_decomposerEEEEE10hipError_tT0_T1_T2_jT3_P12ihipStream_tbPNSt15iterator_traitsISG_E10value_typeEPNSM_ISH_E10value_typeEPSI_NS1_7vsmem_tEENKUlT_SG_SH_SI_E_clIS7_S7_SB_PlEESF_SV_SG_SH_SI_EUlSV_E_NS1_11comp_targetILNS1_3genE2ELNS1_11target_archE906ELNS1_3gpuE6ELNS1_3repE0EEENS1_48merge_mergepath_partition_config_static_selectorELNS0_4arch9wavefront6targetE1EEEvSH_,@function
_ZN7rocprim17ROCPRIM_400000_NS6detail17trampoline_kernelINS0_14default_configENS1_38merge_sort_block_merge_config_selectorIdlEEZZNS1_27merge_sort_block_merge_implIS3_PdN6thrust23THRUST_200600_302600_NS10device_ptrIlEEjNS1_19radix_merge_compareILb0ELb0EdNS0_19identity_decomposerEEEEE10hipError_tT0_T1_T2_jT3_P12ihipStream_tbPNSt15iterator_traitsISG_E10value_typeEPNSM_ISH_E10value_typeEPSI_NS1_7vsmem_tEENKUlT_SG_SH_SI_E_clIS7_S7_SB_PlEESF_SV_SG_SH_SI_EUlSV_E_NS1_11comp_targetILNS1_3genE2ELNS1_11target_archE906ELNS1_3gpuE6ELNS1_3repE0EEENS1_48merge_mergepath_partition_config_static_selectorELNS0_4arch9wavefront6targetE1EEEvSH_: ; @_ZN7rocprim17ROCPRIM_400000_NS6detail17trampoline_kernelINS0_14default_configENS1_38merge_sort_block_merge_config_selectorIdlEEZZNS1_27merge_sort_block_merge_implIS3_PdN6thrust23THRUST_200600_302600_NS10device_ptrIlEEjNS1_19radix_merge_compareILb0ELb0EdNS0_19identity_decomposerEEEEE10hipError_tT0_T1_T2_jT3_P12ihipStream_tbPNSt15iterator_traitsISG_E10value_typeEPNSM_ISH_E10value_typeEPSI_NS1_7vsmem_tEENKUlT_SG_SH_SI_E_clIS7_S7_SB_PlEESF_SV_SG_SH_SI_EUlSV_E_NS1_11comp_targetILNS1_3genE2ELNS1_11target_archE906ELNS1_3gpuE6ELNS1_3repE0EEENS1_48merge_mergepath_partition_config_static_selectorELNS0_4arch9wavefront6targetE1EEEvSH_
; %bb.0:
	s_load_dword s0, s[4:5], 0x0
	v_lshl_or_b32 v0, s6, 7, v0
	s_waitcnt lgkmcnt(0)
	v_cmp_gt_u32_e32 vcc, s0, v0
	s_and_saveexec_b64 s[0:1], vcc
	s_cbranch_execz .LBB1571_6
; %bb.1:
	s_load_dwordx2 s[2:3], s[4:5], 0x4
	s_load_dwordx2 s[0:1], s[4:5], 0x20
	s_waitcnt lgkmcnt(0)
	s_lshr_b32 s6, s2, 9
	s_and_b32 s6, s6, 0x7ffffe
	s_add_i32 s7, s6, -1
	s_sub_i32 s6, 0, s6
	v_and_b32_e32 v1, s6, v0
	v_lshlrev_b32_e32 v3, 10, v1
	v_min_u32_e32 v1, s3, v3
	v_add_u32_e32 v3, s2, v3
	v_min_u32_e32 v3, s3, v3
	v_add_u32_e32 v4, s2, v3
	v_and_b32_e32 v2, s7, v0
	v_min_u32_e32 v4, s3, v4
	v_sub_u32_e32 v5, v4, v1
	v_lshlrev_b32_e32 v2, 10, v2
	v_min_u32_e32 v6, v5, v2
	v_sub_u32_e32 v2, v3, v1
	v_sub_u32_e32 v4, v4, v3
	v_sub_u32_e64 v5, v6, v4 clamp
	v_min_u32_e32 v7, v6, v2
	v_cmp_lt_u32_e32 vcc, v5, v7
	s_and_saveexec_b64 s[2:3], vcc
	s_cbranch_execz .LBB1571_5
; %bb.2:
	s_load_dwordx2 s[4:5], s[4:5], 0x10
	v_mov_b32_e32 v4, 0
	v_mov_b32_e32 v2, v4
	v_lshlrev_b64 v[8:9], 3, v[1:2]
	s_waitcnt lgkmcnt(0)
	v_mov_b32_e32 v11, s5
	v_add_co_u32_e32 v2, vcc, s4, v8
	v_addc_co_u32_e32 v8, vcc, v11, v9, vcc
	v_lshlrev_b64 v[9:10], 3, v[3:4]
	v_add_co_u32_e32 v9, vcc, s4, v9
	v_addc_co_u32_e32 v10, vcc, v11, v10, vcc
	s_mov_b64 s[4:5], 0
.LBB1571_3:                             ; =>This Inner Loop Header: Depth=1
	v_add_u32_e32 v3, v7, v5
	v_lshrrev_b32_e32 v3, 1, v3
	v_lshlrev_b64 v[13:14], 3, v[3:4]
	v_mov_b32_e32 v12, v4
	v_xad_u32 v11, v3, -1, v6
	v_lshlrev_b64 v[11:12], 3, v[11:12]
	v_add_co_u32_e32 v13, vcc, v2, v13
	v_addc_co_u32_e32 v14, vcc, v8, v14, vcc
	v_add_co_u32_e32 v11, vcc, v9, v11
	global_load_dwordx2 v[13:14], v[13:14], off
	v_addc_co_u32_e32 v12, vcc, v10, v12, vcc
	global_load_dwordx2 v[11:12], v[11:12], off
	v_add_u32_e32 v15, 1, v3
	s_waitcnt vmcnt(1)
	v_add_f64 v[13:14], v[13:14], 0
	s_waitcnt vmcnt(0)
	v_add_f64 v[11:12], v[11:12], 0
	v_ashrrev_i32_e32 v16, 31, v14
	v_or_b32_e32 v17, 0x80000000, v16
	v_xor_b32_e32 v13, v16, v13
	v_ashrrev_i32_e32 v16, 31, v12
	v_xor_b32_e32 v14, v17, v14
	v_or_b32_e32 v17, 0x80000000, v16
	v_xor_b32_e32 v11, v16, v11
	v_xor_b32_e32 v12, v17, v12
	v_cmp_gt_u64_e32 vcc, v[13:14], v[11:12]
	v_cndmask_b32_e32 v7, v7, v3, vcc
	v_cndmask_b32_e32 v5, v15, v5, vcc
	v_cmp_ge_u32_e32 vcc, v5, v7
	s_or_b64 s[4:5], vcc, s[4:5]
	s_andn2_b64 exec, exec, s[4:5]
	s_cbranch_execnz .LBB1571_3
; %bb.4:
	s_or_b64 exec, exec, s[4:5]
.LBB1571_5:
	s_or_b64 exec, exec, s[2:3]
	v_add_u32_e32 v2, v5, v1
	v_mov_b32_e32 v1, 0
	v_lshlrev_b64 v[0:1], 2, v[0:1]
	v_mov_b32_e32 v3, s1
	v_add_co_u32_e32 v0, vcc, s0, v0
	v_addc_co_u32_e32 v1, vcc, v3, v1, vcc
	global_store_dword v[0:1], v2, off
.LBB1571_6:
	s_endpgm
	.section	.rodata,"a",@progbits
	.p2align	6, 0x0
	.amdhsa_kernel _ZN7rocprim17ROCPRIM_400000_NS6detail17trampoline_kernelINS0_14default_configENS1_38merge_sort_block_merge_config_selectorIdlEEZZNS1_27merge_sort_block_merge_implIS3_PdN6thrust23THRUST_200600_302600_NS10device_ptrIlEEjNS1_19radix_merge_compareILb0ELb0EdNS0_19identity_decomposerEEEEE10hipError_tT0_T1_T2_jT3_P12ihipStream_tbPNSt15iterator_traitsISG_E10value_typeEPNSM_ISH_E10value_typeEPSI_NS1_7vsmem_tEENKUlT_SG_SH_SI_E_clIS7_S7_SB_PlEESF_SV_SG_SH_SI_EUlSV_E_NS1_11comp_targetILNS1_3genE2ELNS1_11target_archE906ELNS1_3gpuE6ELNS1_3repE0EEENS1_48merge_mergepath_partition_config_static_selectorELNS0_4arch9wavefront6targetE1EEEvSH_
		.amdhsa_group_segment_fixed_size 0
		.amdhsa_private_segment_fixed_size 0
		.amdhsa_kernarg_size 40
		.amdhsa_user_sgpr_count 6
		.amdhsa_user_sgpr_private_segment_buffer 1
		.amdhsa_user_sgpr_dispatch_ptr 0
		.amdhsa_user_sgpr_queue_ptr 0
		.amdhsa_user_sgpr_kernarg_segment_ptr 1
		.amdhsa_user_sgpr_dispatch_id 0
		.amdhsa_user_sgpr_flat_scratch_init 0
		.amdhsa_user_sgpr_private_segment_size 0
		.amdhsa_uses_dynamic_stack 0
		.amdhsa_system_sgpr_private_segment_wavefront_offset 0
		.amdhsa_system_sgpr_workgroup_id_x 1
		.amdhsa_system_sgpr_workgroup_id_y 0
		.amdhsa_system_sgpr_workgroup_id_z 0
		.amdhsa_system_sgpr_workgroup_info 0
		.amdhsa_system_vgpr_workitem_id 0
		.amdhsa_next_free_vgpr 18
		.amdhsa_next_free_sgpr 8
		.amdhsa_reserve_vcc 1
		.amdhsa_reserve_flat_scratch 0
		.amdhsa_float_round_mode_32 0
		.amdhsa_float_round_mode_16_64 0
		.amdhsa_float_denorm_mode_32 3
		.amdhsa_float_denorm_mode_16_64 3
		.amdhsa_dx10_clamp 1
		.amdhsa_ieee_mode 1
		.amdhsa_fp16_overflow 0
		.amdhsa_exception_fp_ieee_invalid_op 0
		.amdhsa_exception_fp_denorm_src 0
		.amdhsa_exception_fp_ieee_div_zero 0
		.amdhsa_exception_fp_ieee_overflow 0
		.amdhsa_exception_fp_ieee_underflow 0
		.amdhsa_exception_fp_ieee_inexact 0
		.amdhsa_exception_int_div_zero 0
	.end_amdhsa_kernel
	.section	.text._ZN7rocprim17ROCPRIM_400000_NS6detail17trampoline_kernelINS0_14default_configENS1_38merge_sort_block_merge_config_selectorIdlEEZZNS1_27merge_sort_block_merge_implIS3_PdN6thrust23THRUST_200600_302600_NS10device_ptrIlEEjNS1_19radix_merge_compareILb0ELb0EdNS0_19identity_decomposerEEEEE10hipError_tT0_T1_T2_jT3_P12ihipStream_tbPNSt15iterator_traitsISG_E10value_typeEPNSM_ISH_E10value_typeEPSI_NS1_7vsmem_tEENKUlT_SG_SH_SI_E_clIS7_S7_SB_PlEESF_SV_SG_SH_SI_EUlSV_E_NS1_11comp_targetILNS1_3genE2ELNS1_11target_archE906ELNS1_3gpuE6ELNS1_3repE0EEENS1_48merge_mergepath_partition_config_static_selectorELNS0_4arch9wavefront6targetE1EEEvSH_,"axG",@progbits,_ZN7rocprim17ROCPRIM_400000_NS6detail17trampoline_kernelINS0_14default_configENS1_38merge_sort_block_merge_config_selectorIdlEEZZNS1_27merge_sort_block_merge_implIS3_PdN6thrust23THRUST_200600_302600_NS10device_ptrIlEEjNS1_19radix_merge_compareILb0ELb0EdNS0_19identity_decomposerEEEEE10hipError_tT0_T1_T2_jT3_P12ihipStream_tbPNSt15iterator_traitsISG_E10value_typeEPNSM_ISH_E10value_typeEPSI_NS1_7vsmem_tEENKUlT_SG_SH_SI_E_clIS7_S7_SB_PlEESF_SV_SG_SH_SI_EUlSV_E_NS1_11comp_targetILNS1_3genE2ELNS1_11target_archE906ELNS1_3gpuE6ELNS1_3repE0EEENS1_48merge_mergepath_partition_config_static_selectorELNS0_4arch9wavefront6targetE1EEEvSH_,comdat
.Lfunc_end1571:
	.size	_ZN7rocprim17ROCPRIM_400000_NS6detail17trampoline_kernelINS0_14default_configENS1_38merge_sort_block_merge_config_selectorIdlEEZZNS1_27merge_sort_block_merge_implIS3_PdN6thrust23THRUST_200600_302600_NS10device_ptrIlEEjNS1_19radix_merge_compareILb0ELb0EdNS0_19identity_decomposerEEEEE10hipError_tT0_T1_T2_jT3_P12ihipStream_tbPNSt15iterator_traitsISG_E10value_typeEPNSM_ISH_E10value_typeEPSI_NS1_7vsmem_tEENKUlT_SG_SH_SI_E_clIS7_S7_SB_PlEESF_SV_SG_SH_SI_EUlSV_E_NS1_11comp_targetILNS1_3genE2ELNS1_11target_archE906ELNS1_3gpuE6ELNS1_3repE0EEENS1_48merge_mergepath_partition_config_static_selectorELNS0_4arch9wavefront6targetE1EEEvSH_, .Lfunc_end1571-_ZN7rocprim17ROCPRIM_400000_NS6detail17trampoline_kernelINS0_14default_configENS1_38merge_sort_block_merge_config_selectorIdlEEZZNS1_27merge_sort_block_merge_implIS3_PdN6thrust23THRUST_200600_302600_NS10device_ptrIlEEjNS1_19radix_merge_compareILb0ELb0EdNS0_19identity_decomposerEEEEE10hipError_tT0_T1_T2_jT3_P12ihipStream_tbPNSt15iterator_traitsISG_E10value_typeEPNSM_ISH_E10value_typeEPSI_NS1_7vsmem_tEENKUlT_SG_SH_SI_E_clIS7_S7_SB_PlEESF_SV_SG_SH_SI_EUlSV_E_NS1_11comp_targetILNS1_3genE2ELNS1_11target_archE906ELNS1_3gpuE6ELNS1_3repE0EEENS1_48merge_mergepath_partition_config_static_selectorELNS0_4arch9wavefront6targetE1EEEvSH_
                                        ; -- End function
	.set _ZN7rocprim17ROCPRIM_400000_NS6detail17trampoline_kernelINS0_14default_configENS1_38merge_sort_block_merge_config_selectorIdlEEZZNS1_27merge_sort_block_merge_implIS3_PdN6thrust23THRUST_200600_302600_NS10device_ptrIlEEjNS1_19radix_merge_compareILb0ELb0EdNS0_19identity_decomposerEEEEE10hipError_tT0_T1_T2_jT3_P12ihipStream_tbPNSt15iterator_traitsISG_E10value_typeEPNSM_ISH_E10value_typeEPSI_NS1_7vsmem_tEENKUlT_SG_SH_SI_E_clIS7_S7_SB_PlEESF_SV_SG_SH_SI_EUlSV_E_NS1_11comp_targetILNS1_3genE2ELNS1_11target_archE906ELNS1_3gpuE6ELNS1_3repE0EEENS1_48merge_mergepath_partition_config_static_selectorELNS0_4arch9wavefront6targetE1EEEvSH_.num_vgpr, 18
	.set _ZN7rocprim17ROCPRIM_400000_NS6detail17trampoline_kernelINS0_14default_configENS1_38merge_sort_block_merge_config_selectorIdlEEZZNS1_27merge_sort_block_merge_implIS3_PdN6thrust23THRUST_200600_302600_NS10device_ptrIlEEjNS1_19radix_merge_compareILb0ELb0EdNS0_19identity_decomposerEEEEE10hipError_tT0_T1_T2_jT3_P12ihipStream_tbPNSt15iterator_traitsISG_E10value_typeEPNSM_ISH_E10value_typeEPSI_NS1_7vsmem_tEENKUlT_SG_SH_SI_E_clIS7_S7_SB_PlEESF_SV_SG_SH_SI_EUlSV_E_NS1_11comp_targetILNS1_3genE2ELNS1_11target_archE906ELNS1_3gpuE6ELNS1_3repE0EEENS1_48merge_mergepath_partition_config_static_selectorELNS0_4arch9wavefront6targetE1EEEvSH_.num_agpr, 0
	.set _ZN7rocprim17ROCPRIM_400000_NS6detail17trampoline_kernelINS0_14default_configENS1_38merge_sort_block_merge_config_selectorIdlEEZZNS1_27merge_sort_block_merge_implIS3_PdN6thrust23THRUST_200600_302600_NS10device_ptrIlEEjNS1_19radix_merge_compareILb0ELb0EdNS0_19identity_decomposerEEEEE10hipError_tT0_T1_T2_jT3_P12ihipStream_tbPNSt15iterator_traitsISG_E10value_typeEPNSM_ISH_E10value_typeEPSI_NS1_7vsmem_tEENKUlT_SG_SH_SI_E_clIS7_S7_SB_PlEESF_SV_SG_SH_SI_EUlSV_E_NS1_11comp_targetILNS1_3genE2ELNS1_11target_archE906ELNS1_3gpuE6ELNS1_3repE0EEENS1_48merge_mergepath_partition_config_static_selectorELNS0_4arch9wavefront6targetE1EEEvSH_.numbered_sgpr, 8
	.set _ZN7rocprim17ROCPRIM_400000_NS6detail17trampoline_kernelINS0_14default_configENS1_38merge_sort_block_merge_config_selectorIdlEEZZNS1_27merge_sort_block_merge_implIS3_PdN6thrust23THRUST_200600_302600_NS10device_ptrIlEEjNS1_19radix_merge_compareILb0ELb0EdNS0_19identity_decomposerEEEEE10hipError_tT0_T1_T2_jT3_P12ihipStream_tbPNSt15iterator_traitsISG_E10value_typeEPNSM_ISH_E10value_typeEPSI_NS1_7vsmem_tEENKUlT_SG_SH_SI_E_clIS7_S7_SB_PlEESF_SV_SG_SH_SI_EUlSV_E_NS1_11comp_targetILNS1_3genE2ELNS1_11target_archE906ELNS1_3gpuE6ELNS1_3repE0EEENS1_48merge_mergepath_partition_config_static_selectorELNS0_4arch9wavefront6targetE1EEEvSH_.num_named_barrier, 0
	.set _ZN7rocprim17ROCPRIM_400000_NS6detail17trampoline_kernelINS0_14default_configENS1_38merge_sort_block_merge_config_selectorIdlEEZZNS1_27merge_sort_block_merge_implIS3_PdN6thrust23THRUST_200600_302600_NS10device_ptrIlEEjNS1_19radix_merge_compareILb0ELb0EdNS0_19identity_decomposerEEEEE10hipError_tT0_T1_T2_jT3_P12ihipStream_tbPNSt15iterator_traitsISG_E10value_typeEPNSM_ISH_E10value_typeEPSI_NS1_7vsmem_tEENKUlT_SG_SH_SI_E_clIS7_S7_SB_PlEESF_SV_SG_SH_SI_EUlSV_E_NS1_11comp_targetILNS1_3genE2ELNS1_11target_archE906ELNS1_3gpuE6ELNS1_3repE0EEENS1_48merge_mergepath_partition_config_static_selectorELNS0_4arch9wavefront6targetE1EEEvSH_.private_seg_size, 0
	.set _ZN7rocprim17ROCPRIM_400000_NS6detail17trampoline_kernelINS0_14default_configENS1_38merge_sort_block_merge_config_selectorIdlEEZZNS1_27merge_sort_block_merge_implIS3_PdN6thrust23THRUST_200600_302600_NS10device_ptrIlEEjNS1_19radix_merge_compareILb0ELb0EdNS0_19identity_decomposerEEEEE10hipError_tT0_T1_T2_jT3_P12ihipStream_tbPNSt15iterator_traitsISG_E10value_typeEPNSM_ISH_E10value_typeEPSI_NS1_7vsmem_tEENKUlT_SG_SH_SI_E_clIS7_S7_SB_PlEESF_SV_SG_SH_SI_EUlSV_E_NS1_11comp_targetILNS1_3genE2ELNS1_11target_archE906ELNS1_3gpuE6ELNS1_3repE0EEENS1_48merge_mergepath_partition_config_static_selectorELNS0_4arch9wavefront6targetE1EEEvSH_.uses_vcc, 1
	.set _ZN7rocprim17ROCPRIM_400000_NS6detail17trampoline_kernelINS0_14default_configENS1_38merge_sort_block_merge_config_selectorIdlEEZZNS1_27merge_sort_block_merge_implIS3_PdN6thrust23THRUST_200600_302600_NS10device_ptrIlEEjNS1_19radix_merge_compareILb0ELb0EdNS0_19identity_decomposerEEEEE10hipError_tT0_T1_T2_jT3_P12ihipStream_tbPNSt15iterator_traitsISG_E10value_typeEPNSM_ISH_E10value_typeEPSI_NS1_7vsmem_tEENKUlT_SG_SH_SI_E_clIS7_S7_SB_PlEESF_SV_SG_SH_SI_EUlSV_E_NS1_11comp_targetILNS1_3genE2ELNS1_11target_archE906ELNS1_3gpuE6ELNS1_3repE0EEENS1_48merge_mergepath_partition_config_static_selectorELNS0_4arch9wavefront6targetE1EEEvSH_.uses_flat_scratch, 0
	.set _ZN7rocprim17ROCPRIM_400000_NS6detail17trampoline_kernelINS0_14default_configENS1_38merge_sort_block_merge_config_selectorIdlEEZZNS1_27merge_sort_block_merge_implIS3_PdN6thrust23THRUST_200600_302600_NS10device_ptrIlEEjNS1_19radix_merge_compareILb0ELb0EdNS0_19identity_decomposerEEEEE10hipError_tT0_T1_T2_jT3_P12ihipStream_tbPNSt15iterator_traitsISG_E10value_typeEPNSM_ISH_E10value_typeEPSI_NS1_7vsmem_tEENKUlT_SG_SH_SI_E_clIS7_S7_SB_PlEESF_SV_SG_SH_SI_EUlSV_E_NS1_11comp_targetILNS1_3genE2ELNS1_11target_archE906ELNS1_3gpuE6ELNS1_3repE0EEENS1_48merge_mergepath_partition_config_static_selectorELNS0_4arch9wavefront6targetE1EEEvSH_.has_dyn_sized_stack, 0
	.set _ZN7rocprim17ROCPRIM_400000_NS6detail17trampoline_kernelINS0_14default_configENS1_38merge_sort_block_merge_config_selectorIdlEEZZNS1_27merge_sort_block_merge_implIS3_PdN6thrust23THRUST_200600_302600_NS10device_ptrIlEEjNS1_19radix_merge_compareILb0ELb0EdNS0_19identity_decomposerEEEEE10hipError_tT0_T1_T2_jT3_P12ihipStream_tbPNSt15iterator_traitsISG_E10value_typeEPNSM_ISH_E10value_typeEPSI_NS1_7vsmem_tEENKUlT_SG_SH_SI_E_clIS7_S7_SB_PlEESF_SV_SG_SH_SI_EUlSV_E_NS1_11comp_targetILNS1_3genE2ELNS1_11target_archE906ELNS1_3gpuE6ELNS1_3repE0EEENS1_48merge_mergepath_partition_config_static_selectorELNS0_4arch9wavefront6targetE1EEEvSH_.has_recursion, 0
	.set _ZN7rocprim17ROCPRIM_400000_NS6detail17trampoline_kernelINS0_14default_configENS1_38merge_sort_block_merge_config_selectorIdlEEZZNS1_27merge_sort_block_merge_implIS3_PdN6thrust23THRUST_200600_302600_NS10device_ptrIlEEjNS1_19radix_merge_compareILb0ELb0EdNS0_19identity_decomposerEEEEE10hipError_tT0_T1_T2_jT3_P12ihipStream_tbPNSt15iterator_traitsISG_E10value_typeEPNSM_ISH_E10value_typeEPSI_NS1_7vsmem_tEENKUlT_SG_SH_SI_E_clIS7_S7_SB_PlEESF_SV_SG_SH_SI_EUlSV_E_NS1_11comp_targetILNS1_3genE2ELNS1_11target_archE906ELNS1_3gpuE6ELNS1_3repE0EEENS1_48merge_mergepath_partition_config_static_selectorELNS0_4arch9wavefront6targetE1EEEvSH_.has_indirect_call, 0
	.section	.AMDGPU.csdata,"",@progbits
; Kernel info:
; codeLenInByte = 420
; TotalNumSgprs: 12
; NumVgprs: 18
; ScratchSize: 0
; MemoryBound: 0
; FloatMode: 240
; IeeeMode: 1
; LDSByteSize: 0 bytes/workgroup (compile time only)
; SGPRBlocks: 1
; VGPRBlocks: 4
; NumSGPRsForWavesPerEU: 12
; NumVGPRsForWavesPerEU: 18
; Occupancy: 10
; WaveLimiterHint : 0
; COMPUTE_PGM_RSRC2:SCRATCH_EN: 0
; COMPUTE_PGM_RSRC2:USER_SGPR: 6
; COMPUTE_PGM_RSRC2:TRAP_HANDLER: 0
; COMPUTE_PGM_RSRC2:TGID_X_EN: 1
; COMPUTE_PGM_RSRC2:TGID_Y_EN: 0
; COMPUTE_PGM_RSRC2:TGID_Z_EN: 0
; COMPUTE_PGM_RSRC2:TIDIG_COMP_CNT: 0
	.section	.text._ZN7rocprim17ROCPRIM_400000_NS6detail17trampoline_kernelINS0_14default_configENS1_38merge_sort_block_merge_config_selectorIdlEEZZNS1_27merge_sort_block_merge_implIS3_PdN6thrust23THRUST_200600_302600_NS10device_ptrIlEEjNS1_19radix_merge_compareILb0ELb0EdNS0_19identity_decomposerEEEEE10hipError_tT0_T1_T2_jT3_P12ihipStream_tbPNSt15iterator_traitsISG_E10value_typeEPNSM_ISH_E10value_typeEPSI_NS1_7vsmem_tEENKUlT_SG_SH_SI_E_clIS7_S7_SB_PlEESF_SV_SG_SH_SI_EUlSV_E_NS1_11comp_targetILNS1_3genE9ELNS1_11target_archE1100ELNS1_3gpuE3ELNS1_3repE0EEENS1_48merge_mergepath_partition_config_static_selectorELNS0_4arch9wavefront6targetE1EEEvSH_,"axG",@progbits,_ZN7rocprim17ROCPRIM_400000_NS6detail17trampoline_kernelINS0_14default_configENS1_38merge_sort_block_merge_config_selectorIdlEEZZNS1_27merge_sort_block_merge_implIS3_PdN6thrust23THRUST_200600_302600_NS10device_ptrIlEEjNS1_19radix_merge_compareILb0ELb0EdNS0_19identity_decomposerEEEEE10hipError_tT0_T1_T2_jT3_P12ihipStream_tbPNSt15iterator_traitsISG_E10value_typeEPNSM_ISH_E10value_typeEPSI_NS1_7vsmem_tEENKUlT_SG_SH_SI_E_clIS7_S7_SB_PlEESF_SV_SG_SH_SI_EUlSV_E_NS1_11comp_targetILNS1_3genE9ELNS1_11target_archE1100ELNS1_3gpuE3ELNS1_3repE0EEENS1_48merge_mergepath_partition_config_static_selectorELNS0_4arch9wavefront6targetE1EEEvSH_,comdat
	.protected	_ZN7rocprim17ROCPRIM_400000_NS6detail17trampoline_kernelINS0_14default_configENS1_38merge_sort_block_merge_config_selectorIdlEEZZNS1_27merge_sort_block_merge_implIS3_PdN6thrust23THRUST_200600_302600_NS10device_ptrIlEEjNS1_19radix_merge_compareILb0ELb0EdNS0_19identity_decomposerEEEEE10hipError_tT0_T1_T2_jT3_P12ihipStream_tbPNSt15iterator_traitsISG_E10value_typeEPNSM_ISH_E10value_typeEPSI_NS1_7vsmem_tEENKUlT_SG_SH_SI_E_clIS7_S7_SB_PlEESF_SV_SG_SH_SI_EUlSV_E_NS1_11comp_targetILNS1_3genE9ELNS1_11target_archE1100ELNS1_3gpuE3ELNS1_3repE0EEENS1_48merge_mergepath_partition_config_static_selectorELNS0_4arch9wavefront6targetE1EEEvSH_ ; -- Begin function _ZN7rocprim17ROCPRIM_400000_NS6detail17trampoline_kernelINS0_14default_configENS1_38merge_sort_block_merge_config_selectorIdlEEZZNS1_27merge_sort_block_merge_implIS3_PdN6thrust23THRUST_200600_302600_NS10device_ptrIlEEjNS1_19radix_merge_compareILb0ELb0EdNS0_19identity_decomposerEEEEE10hipError_tT0_T1_T2_jT3_P12ihipStream_tbPNSt15iterator_traitsISG_E10value_typeEPNSM_ISH_E10value_typeEPSI_NS1_7vsmem_tEENKUlT_SG_SH_SI_E_clIS7_S7_SB_PlEESF_SV_SG_SH_SI_EUlSV_E_NS1_11comp_targetILNS1_3genE9ELNS1_11target_archE1100ELNS1_3gpuE3ELNS1_3repE0EEENS1_48merge_mergepath_partition_config_static_selectorELNS0_4arch9wavefront6targetE1EEEvSH_
	.globl	_ZN7rocprim17ROCPRIM_400000_NS6detail17trampoline_kernelINS0_14default_configENS1_38merge_sort_block_merge_config_selectorIdlEEZZNS1_27merge_sort_block_merge_implIS3_PdN6thrust23THRUST_200600_302600_NS10device_ptrIlEEjNS1_19radix_merge_compareILb0ELb0EdNS0_19identity_decomposerEEEEE10hipError_tT0_T1_T2_jT3_P12ihipStream_tbPNSt15iterator_traitsISG_E10value_typeEPNSM_ISH_E10value_typeEPSI_NS1_7vsmem_tEENKUlT_SG_SH_SI_E_clIS7_S7_SB_PlEESF_SV_SG_SH_SI_EUlSV_E_NS1_11comp_targetILNS1_3genE9ELNS1_11target_archE1100ELNS1_3gpuE3ELNS1_3repE0EEENS1_48merge_mergepath_partition_config_static_selectorELNS0_4arch9wavefront6targetE1EEEvSH_
	.p2align	8
	.type	_ZN7rocprim17ROCPRIM_400000_NS6detail17trampoline_kernelINS0_14default_configENS1_38merge_sort_block_merge_config_selectorIdlEEZZNS1_27merge_sort_block_merge_implIS3_PdN6thrust23THRUST_200600_302600_NS10device_ptrIlEEjNS1_19radix_merge_compareILb0ELb0EdNS0_19identity_decomposerEEEEE10hipError_tT0_T1_T2_jT3_P12ihipStream_tbPNSt15iterator_traitsISG_E10value_typeEPNSM_ISH_E10value_typeEPSI_NS1_7vsmem_tEENKUlT_SG_SH_SI_E_clIS7_S7_SB_PlEESF_SV_SG_SH_SI_EUlSV_E_NS1_11comp_targetILNS1_3genE9ELNS1_11target_archE1100ELNS1_3gpuE3ELNS1_3repE0EEENS1_48merge_mergepath_partition_config_static_selectorELNS0_4arch9wavefront6targetE1EEEvSH_,@function
_ZN7rocprim17ROCPRIM_400000_NS6detail17trampoline_kernelINS0_14default_configENS1_38merge_sort_block_merge_config_selectorIdlEEZZNS1_27merge_sort_block_merge_implIS3_PdN6thrust23THRUST_200600_302600_NS10device_ptrIlEEjNS1_19radix_merge_compareILb0ELb0EdNS0_19identity_decomposerEEEEE10hipError_tT0_T1_T2_jT3_P12ihipStream_tbPNSt15iterator_traitsISG_E10value_typeEPNSM_ISH_E10value_typeEPSI_NS1_7vsmem_tEENKUlT_SG_SH_SI_E_clIS7_S7_SB_PlEESF_SV_SG_SH_SI_EUlSV_E_NS1_11comp_targetILNS1_3genE9ELNS1_11target_archE1100ELNS1_3gpuE3ELNS1_3repE0EEENS1_48merge_mergepath_partition_config_static_selectorELNS0_4arch9wavefront6targetE1EEEvSH_: ; @_ZN7rocprim17ROCPRIM_400000_NS6detail17trampoline_kernelINS0_14default_configENS1_38merge_sort_block_merge_config_selectorIdlEEZZNS1_27merge_sort_block_merge_implIS3_PdN6thrust23THRUST_200600_302600_NS10device_ptrIlEEjNS1_19radix_merge_compareILb0ELb0EdNS0_19identity_decomposerEEEEE10hipError_tT0_T1_T2_jT3_P12ihipStream_tbPNSt15iterator_traitsISG_E10value_typeEPNSM_ISH_E10value_typeEPSI_NS1_7vsmem_tEENKUlT_SG_SH_SI_E_clIS7_S7_SB_PlEESF_SV_SG_SH_SI_EUlSV_E_NS1_11comp_targetILNS1_3genE9ELNS1_11target_archE1100ELNS1_3gpuE3ELNS1_3repE0EEENS1_48merge_mergepath_partition_config_static_selectorELNS0_4arch9wavefront6targetE1EEEvSH_
; %bb.0:
	.section	.rodata,"a",@progbits
	.p2align	6, 0x0
	.amdhsa_kernel _ZN7rocprim17ROCPRIM_400000_NS6detail17trampoline_kernelINS0_14default_configENS1_38merge_sort_block_merge_config_selectorIdlEEZZNS1_27merge_sort_block_merge_implIS3_PdN6thrust23THRUST_200600_302600_NS10device_ptrIlEEjNS1_19radix_merge_compareILb0ELb0EdNS0_19identity_decomposerEEEEE10hipError_tT0_T1_T2_jT3_P12ihipStream_tbPNSt15iterator_traitsISG_E10value_typeEPNSM_ISH_E10value_typeEPSI_NS1_7vsmem_tEENKUlT_SG_SH_SI_E_clIS7_S7_SB_PlEESF_SV_SG_SH_SI_EUlSV_E_NS1_11comp_targetILNS1_3genE9ELNS1_11target_archE1100ELNS1_3gpuE3ELNS1_3repE0EEENS1_48merge_mergepath_partition_config_static_selectorELNS0_4arch9wavefront6targetE1EEEvSH_
		.amdhsa_group_segment_fixed_size 0
		.amdhsa_private_segment_fixed_size 0
		.amdhsa_kernarg_size 40
		.amdhsa_user_sgpr_count 6
		.amdhsa_user_sgpr_private_segment_buffer 1
		.amdhsa_user_sgpr_dispatch_ptr 0
		.amdhsa_user_sgpr_queue_ptr 0
		.amdhsa_user_sgpr_kernarg_segment_ptr 1
		.amdhsa_user_sgpr_dispatch_id 0
		.amdhsa_user_sgpr_flat_scratch_init 0
		.amdhsa_user_sgpr_private_segment_size 0
		.amdhsa_uses_dynamic_stack 0
		.amdhsa_system_sgpr_private_segment_wavefront_offset 0
		.amdhsa_system_sgpr_workgroup_id_x 1
		.amdhsa_system_sgpr_workgroup_id_y 0
		.amdhsa_system_sgpr_workgroup_id_z 0
		.amdhsa_system_sgpr_workgroup_info 0
		.amdhsa_system_vgpr_workitem_id 0
		.amdhsa_next_free_vgpr 1
		.amdhsa_next_free_sgpr 0
		.amdhsa_reserve_vcc 0
		.amdhsa_reserve_flat_scratch 0
		.amdhsa_float_round_mode_32 0
		.amdhsa_float_round_mode_16_64 0
		.amdhsa_float_denorm_mode_32 3
		.amdhsa_float_denorm_mode_16_64 3
		.amdhsa_dx10_clamp 1
		.amdhsa_ieee_mode 1
		.amdhsa_fp16_overflow 0
		.amdhsa_exception_fp_ieee_invalid_op 0
		.amdhsa_exception_fp_denorm_src 0
		.amdhsa_exception_fp_ieee_div_zero 0
		.amdhsa_exception_fp_ieee_overflow 0
		.amdhsa_exception_fp_ieee_underflow 0
		.amdhsa_exception_fp_ieee_inexact 0
		.amdhsa_exception_int_div_zero 0
	.end_amdhsa_kernel
	.section	.text._ZN7rocprim17ROCPRIM_400000_NS6detail17trampoline_kernelINS0_14default_configENS1_38merge_sort_block_merge_config_selectorIdlEEZZNS1_27merge_sort_block_merge_implIS3_PdN6thrust23THRUST_200600_302600_NS10device_ptrIlEEjNS1_19radix_merge_compareILb0ELb0EdNS0_19identity_decomposerEEEEE10hipError_tT0_T1_T2_jT3_P12ihipStream_tbPNSt15iterator_traitsISG_E10value_typeEPNSM_ISH_E10value_typeEPSI_NS1_7vsmem_tEENKUlT_SG_SH_SI_E_clIS7_S7_SB_PlEESF_SV_SG_SH_SI_EUlSV_E_NS1_11comp_targetILNS1_3genE9ELNS1_11target_archE1100ELNS1_3gpuE3ELNS1_3repE0EEENS1_48merge_mergepath_partition_config_static_selectorELNS0_4arch9wavefront6targetE1EEEvSH_,"axG",@progbits,_ZN7rocprim17ROCPRIM_400000_NS6detail17trampoline_kernelINS0_14default_configENS1_38merge_sort_block_merge_config_selectorIdlEEZZNS1_27merge_sort_block_merge_implIS3_PdN6thrust23THRUST_200600_302600_NS10device_ptrIlEEjNS1_19radix_merge_compareILb0ELb0EdNS0_19identity_decomposerEEEEE10hipError_tT0_T1_T2_jT3_P12ihipStream_tbPNSt15iterator_traitsISG_E10value_typeEPNSM_ISH_E10value_typeEPSI_NS1_7vsmem_tEENKUlT_SG_SH_SI_E_clIS7_S7_SB_PlEESF_SV_SG_SH_SI_EUlSV_E_NS1_11comp_targetILNS1_3genE9ELNS1_11target_archE1100ELNS1_3gpuE3ELNS1_3repE0EEENS1_48merge_mergepath_partition_config_static_selectorELNS0_4arch9wavefront6targetE1EEEvSH_,comdat
.Lfunc_end1572:
	.size	_ZN7rocprim17ROCPRIM_400000_NS6detail17trampoline_kernelINS0_14default_configENS1_38merge_sort_block_merge_config_selectorIdlEEZZNS1_27merge_sort_block_merge_implIS3_PdN6thrust23THRUST_200600_302600_NS10device_ptrIlEEjNS1_19radix_merge_compareILb0ELb0EdNS0_19identity_decomposerEEEEE10hipError_tT0_T1_T2_jT3_P12ihipStream_tbPNSt15iterator_traitsISG_E10value_typeEPNSM_ISH_E10value_typeEPSI_NS1_7vsmem_tEENKUlT_SG_SH_SI_E_clIS7_S7_SB_PlEESF_SV_SG_SH_SI_EUlSV_E_NS1_11comp_targetILNS1_3genE9ELNS1_11target_archE1100ELNS1_3gpuE3ELNS1_3repE0EEENS1_48merge_mergepath_partition_config_static_selectorELNS0_4arch9wavefront6targetE1EEEvSH_, .Lfunc_end1572-_ZN7rocprim17ROCPRIM_400000_NS6detail17trampoline_kernelINS0_14default_configENS1_38merge_sort_block_merge_config_selectorIdlEEZZNS1_27merge_sort_block_merge_implIS3_PdN6thrust23THRUST_200600_302600_NS10device_ptrIlEEjNS1_19radix_merge_compareILb0ELb0EdNS0_19identity_decomposerEEEEE10hipError_tT0_T1_T2_jT3_P12ihipStream_tbPNSt15iterator_traitsISG_E10value_typeEPNSM_ISH_E10value_typeEPSI_NS1_7vsmem_tEENKUlT_SG_SH_SI_E_clIS7_S7_SB_PlEESF_SV_SG_SH_SI_EUlSV_E_NS1_11comp_targetILNS1_3genE9ELNS1_11target_archE1100ELNS1_3gpuE3ELNS1_3repE0EEENS1_48merge_mergepath_partition_config_static_selectorELNS0_4arch9wavefront6targetE1EEEvSH_
                                        ; -- End function
	.set _ZN7rocprim17ROCPRIM_400000_NS6detail17trampoline_kernelINS0_14default_configENS1_38merge_sort_block_merge_config_selectorIdlEEZZNS1_27merge_sort_block_merge_implIS3_PdN6thrust23THRUST_200600_302600_NS10device_ptrIlEEjNS1_19radix_merge_compareILb0ELb0EdNS0_19identity_decomposerEEEEE10hipError_tT0_T1_T2_jT3_P12ihipStream_tbPNSt15iterator_traitsISG_E10value_typeEPNSM_ISH_E10value_typeEPSI_NS1_7vsmem_tEENKUlT_SG_SH_SI_E_clIS7_S7_SB_PlEESF_SV_SG_SH_SI_EUlSV_E_NS1_11comp_targetILNS1_3genE9ELNS1_11target_archE1100ELNS1_3gpuE3ELNS1_3repE0EEENS1_48merge_mergepath_partition_config_static_selectorELNS0_4arch9wavefront6targetE1EEEvSH_.num_vgpr, 0
	.set _ZN7rocprim17ROCPRIM_400000_NS6detail17trampoline_kernelINS0_14default_configENS1_38merge_sort_block_merge_config_selectorIdlEEZZNS1_27merge_sort_block_merge_implIS3_PdN6thrust23THRUST_200600_302600_NS10device_ptrIlEEjNS1_19radix_merge_compareILb0ELb0EdNS0_19identity_decomposerEEEEE10hipError_tT0_T1_T2_jT3_P12ihipStream_tbPNSt15iterator_traitsISG_E10value_typeEPNSM_ISH_E10value_typeEPSI_NS1_7vsmem_tEENKUlT_SG_SH_SI_E_clIS7_S7_SB_PlEESF_SV_SG_SH_SI_EUlSV_E_NS1_11comp_targetILNS1_3genE9ELNS1_11target_archE1100ELNS1_3gpuE3ELNS1_3repE0EEENS1_48merge_mergepath_partition_config_static_selectorELNS0_4arch9wavefront6targetE1EEEvSH_.num_agpr, 0
	.set _ZN7rocprim17ROCPRIM_400000_NS6detail17trampoline_kernelINS0_14default_configENS1_38merge_sort_block_merge_config_selectorIdlEEZZNS1_27merge_sort_block_merge_implIS3_PdN6thrust23THRUST_200600_302600_NS10device_ptrIlEEjNS1_19radix_merge_compareILb0ELb0EdNS0_19identity_decomposerEEEEE10hipError_tT0_T1_T2_jT3_P12ihipStream_tbPNSt15iterator_traitsISG_E10value_typeEPNSM_ISH_E10value_typeEPSI_NS1_7vsmem_tEENKUlT_SG_SH_SI_E_clIS7_S7_SB_PlEESF_SV_SG_SH_SI_EUlSV_E_NS1_11comp_targetILNS1_3genE9ELNS1_11target_archE1100ELNS1_3gpuE3ELNS1_3repE0EEENS1_48merge_mergepath_partition_config_static_selectorELNS0_4arch9wavefront6targetE1EEEvSH_.numbered_sgpr, 0
	.set _ZN7rocprim17ROCPRIM_400000_NS6detail17trampoline_kernelINS0_14default_configENS1_38merge_sort_block_merge_config_selectorIdlEEZZNS1_27merge_sort_block_merge_implIS3_PdN6thrust23THRUST_200600_302600_NS10device_ptrIlEEjNS1_19radix_merge_compareILb0ELb0EdNS0_19identity_decomposerEEEEE10hipError_tT0_T1_T2_jT3_P12ihipStream_tbPNSt15iterator_traitsISG_E10value_typeEPNSM_ISH_E10value_typeEPSI_NS1_7vsmem_tEENKUlT_SG_SH_SI_E_clIS7_S7_SB_PlEESF_SV_SG_SH_SI_EUlSV_E_NS1_11comp_targetILNS1_3genE9ELNS1_11target_archE1100ELNS1_3gpuE3ELNS1_3repE0EEENS1_48merge_mergepath_partition_config_static_selectorELNS0_4arch9wavefront6targetE1EEEvSH_.num_named_barrier, 0
	.set _ZN7rocprim17ROCPRIM_400000_NS6detail17trampoline_kernelINS0_14default_configENS1_38merge_sort_block_merge_config_selectorIdlEEZZNS1_27merge_sort_block_merge_implIS3_PdN6thrust23THRUST_200600_302600_NS10device_ptrIlEEjNS1_19radix_merge_compareILb0ELb0EdNS0_19identity_decomposerEEEEE10hipError_tT0_T1_T2_jT3_P12ihipStream_tbPNSt15iterator_traitsISG_E10value_typeEPNSM_ISH_E10value_typeEPSI_NS1_7vsmem_tEENKUlT_SG_SH_SI_E_clIS7_S7_SB_PlEESF_SV_SG_SH_SI_EUlSV_E_NS1_11comp_targetILNS1_3genE9ELNS1_11target_archE1100ELNS1_3gpuE3ELNS1_3repE0EEENS1_48merge_mergepath_partition_config_static_selectorELNS0_4arch9wavefront6targetE1EEEvSH_.private_seg_size, 0
	.set _ZN7rocprim17ROCPRIM_400000_NS6detail17trampoline_kernelINS0_14default_configENS1_38merge_sort_block_merge_config_selectorIdlEEZZNS1_27merge_sort_block_merge_implIS3_PdN6thrust23THRUST_200600_302600_NS10device_ptrIlEEjNS1_19radix_merge_compareILb0ELb0EdNS0_19identity_decomposerEEEEE10hipError_tT0_T1_T2_jT3_P12ihipStream_tbPNSt15iterator_traitsISG_E10value_typeEPNSM_ISH_E10value_typeEPSI_NS1_7vsmem_tEENKUlT_SG_SH_SI_E_clIS7_S7_SB_PlEESF_SV_SG_SH_SI_EUlSV_E_NS1_11comp_targetILNS1_3genE9ELNS1_11target_archE1100ELNS1_3gpuE3ELNS1_3repE0EEENS1_48merge_mergepath_partition_config_static_selectorELNS0_4arch9wavefront6targetE1EEEvSH_.uses_vcc, 0
	.set _ZN7rocprim17ROCPRIM_400000_NS6detail17trampoline_kernelINS0_14default_configENS1_38merge_sort_block_merge_config_selectorIdlEEZZNS1_27merge_sort_block_merge_implIS3_PdN6thrust23THRUST_200600_302600_NS10device_ptrIlEEjNS1_19radix_merge_compareILb0ELb0EdNS0_19identity_decomposerEEEEE10hipError_tT0_T1_T2_jT3_P12ihipStream_tbPNSt15iterator_traitsISG_E10value_typeEPNSM_ISH_E10value_typeEPSI_NS1_7vsmem_tEENKUlT_SG_SH_SI_E_clIS7_S7_SB_PlEESF_SV_SG_SH_SI_EUlSV_E_NS1_11comp_targetILNS1_3genE9ELNS1_11target_archE1100ELNS1_3gpuE3ELNS1_3repE0EEENS1_48merge_mergepath_partition_config_static_selectorELNS0_4arch9wavefront6targetE1EEEvSH_.uses_flat_scratch, 0
	.set _ZN7rocprim17ROCPRIM_400000_NS6detail17trampoline_kernelINS0_14default_configENS1_38merge_sort_block_merge_config_selectorIdlEEZZNS1_27merge_sort_block_merge_implIS3_PdN6thrust23THRUST_200600_302600_NS10device_ptrIlEEjNS1_19radix_merge_compareILb0ELb0EdNS0_19identity_decomposerEEEEE10hipError_tT0_T1_T2_jT3_P12ihipStream_tbPNSt15iterator_traitsISG_E10value_typeEPNSM_ISH_E10value_typeEPSI_NS1_7vsmem_tEENKUlT_SG_SH_SI_E_clIS7_S7_SB_PlEESF_SV_SG_SH_SI_EUlSV_E_NS1_11comp_targetILNS1_3genE9ELNS1_11target_archE1100ELNS1_3gpuE3ELNS1_3repE0EEENS1_48merge_mergepath_partition_config_static_selectorELNS0_4arch9wavefront6targetE1EEEvSH_.has_dyn_sized_stack, 0
	.set _ZN7rocprim17ROCPRIM_400000_NS6detail17trampoline_kernelINS0_14default_configENS1_38merge_sort_block_merge_config_selectorIdlEEZZNS1_27merge_sort_block_merge_implIS3_PdN6thrust23THRUST_200600_302600_NS10device_ptrIlEEjNS1_19radix_merge_compareILb0ELb0EdNS0_19identity_decomposerEEEEE10hipError_tT0_T1_T2_jT3_P12ihipStream_tbPNSt15iterator_traitsISG_E10value_typeEPNSM_ISH_E10value_typeEPSI_NS1_7vsmem_tEENKUlT_SG_SH_SI_E_clIS7_S7_SB_PlEESF_SV_SG_SH_SI_EUlSV_E_NS1_11comp_targetILNS1_3genE9ELNS1_11target_archE1100ELNS1_3gpuE3ELNS1_3repE0EEENS1_48merge_mergepath_partition_config_static_selectorELNS0_4arch9wavefront6targetE1EEEvSH_.has_recursion, 0
	.set _ZN7rocprim17ROCPRIM_400000_NS6detail17trampoline_kernelINS0_14default_configENS1_38merge_sort_block_merge_config_selectorIdlEEZZNS1_27merge_sort_block_merge_implIS3_PdN6thrust23THRUST_200600_302600_NS10device_ptrIlEEjNS1_19radix_merge_compareILb0ELb0EdNS0_19identity_decomposerEEEEE10hipError_tT0_T1_T2_jT3_P12ihipStream_tbPNSt15iterator_traitsISG_E10value_typeEPNSM_ISH_E10value_typeEPSI_NS1_7vsmem_tEENKUlT_SG_SH_SI_E_clIS7_S7_SB_PlEESF_SV_SG_SH_SI_EUlSV_E_NS1_11comp_targetILNS1_3genE9ELNS1_11target_archE1100ELNS1_3gpuE3ELNS1_3repE0EEENS1_48merge_mergepath_partition_config_static_selectorELNS0_4arch9wavefront6targetE1EEEvSH_.has_indirect_call, 0
	.section	.AMDGPU.csdata,"",@progbits
; Kernel info:
; codeLenInByte = 0
; TotalNumSgprs: 4
; NumVgprs: 0
; ScratchSize: 0
; MemoryBound: 0
; FloatMode: 240
; IeeeMode: 1
; LDSByteSize: 0 bytes/workgroup (compile time only)
; SGPRBlocks: 0
; VGPRBlocks: 0
; NumSGPRsForWavesPerEU: 4
; NumVGPRsForWavesPerEU: 1
; Occupancy: 10
; WaveLimiterHint : 0
; COMPUTE_PGM_RSRC2:SCRATCH_EN: 0
; COMPUTE_PGM_RSRC2:USER_SGPR: 6
; COMPUTE_PGM_RSRC2:TRAP_HANDLER: 0
; COMPUTE_PGM_RSRC2:TGID_X_EN: 1
; COMPUTE_PGM_RSRC2:TGID_Y_EN: 0
; COMPUTE_PGM_RSRC2:TGID_Z_EN: 0
; COMPUTE_PGM_RSRC2:TIDIG_COMP_CNT: 0
	.section	.text._ZN7rocprim17ROCPRIM_400000_NS6detail17trampoline_kernelINS0_14default_configENS1_38merge_sort_block_merge_config_selectorIdlEEZZNS1_27merge_sort_block_merge_implIS3_PdN6thrust23THRUST_200600_302600_NS10device_ptrIlEEjNS1_19radix_merge_compareILb0ELb0EdNS0_19identity_decomposerEEEEE10hipError_tT0_T1_T2_jT3_P12ihipStream_tbPNSt15iterator_traitsISG_E10value_typeEPNSM_ISH_E10value_typeEPSI_NS1_7vsmem_tEENKUlT_SG_SH_SI_E_clIS7_S7_SB_PlEESF_SV_SG_SH_SI_EUlSV_E_NS1_11comp_targetILNS1_3genE8ELNS1_11target_archE1030ELNS1_3gpuE2ELNS1_3repE0EEENS1_48merge_mergepath_partition_config_static_selectorELNS0_4arch9wavefront6targetE1EEEvSH_,"axG",@progbits,_ZN7rocprim17ROCPRIM_400000_NS6detail17trampoline_kernelINS0_14default_configENS1_38merge_sort_block_merge_config_selectorIdlEEZZNS1_27merge_sort_block_merge_implIS3_PdN6thrust23THRUST_200600_302600_NS10device_ptrIlEEjNS1_19radix_merge_compareILb0ELb0EdNS0_19identity_decomposerEEEEE10hipError_tT0_T1_T2_jT3_P12ihipStream_tbPNSt15iterator_traitsISG_E10value_typeEPNSM_ISH_E10value_typeEPSI_NS1_7vsmem_tEENKUlT_SG_SH_SI_E_clIS7_S7_SB_PlEESF_SV_SG_SH_SI_EUlSV_E_NS1_11comp_targetILNS1_3genE8ELNS1_11target_archE1030ELNS1_3gpuE2ELNS1_3repE0EEENS1_48merge_mergepath_partition_config_static_selectorELNS0_4arch9wavefront6targetE1EEEvSH_,comdat
	.protected	_ZN7rocprim17ROCPRIM_400000_NS6detail17trampoline_kernelINS0_14default_configENS1_38merge_sort_block_merge_config_selectorIdlEEZZNS1_27merge_sort_block_merge_implIS3_PdN6thrust23THRUST_200600_302600_NS10device_ptrIlEEjNS1_19radix_merge_compareILb0ELb0EdNS0_19identity_decomposerEEEEE10hipError_tT0_T1_T2_jT3_P12ihipStream_tbPNSt15iterator_traitsISG_E10value_typeEPNSM_ISH_E10value_typeEPSI_NS1_7vsmem_tEENKUlT_SG_SH_SI_E_clIS7_S7_SB_PlEESF_SV_SG_SH_SI_EUlSV_E_NS1_11comp_targetILNS1_3genE8ELNS1_11target_archE1030ELNS1_3gpuE2ELNS1_3repE0EEENS1_48merge_mergepath_partition_config_static_selectorELNS0_4arch9wavefront6targetE1EEEvSH_ ; -- Begin function _ZN7rocprim17ROCPRIM_400000_NS6detail17trampoline_kernelINS0_14default_configENS1_38merge_sort_block_merge_config_selectorIdlEEZZNS1_27merge_sort_block_merge_implIS3_PdN6thrust23THRUST_200600_302600_NS10device_ptrIlEEjNS1_19radix_merge_compareILb0ELb0EdNS0_19identity_decomposerEEEEE10hipError_tT0_T1_T2_jT3_P12ihipStream_tbPNSt15iterator_traitsISG_E10value_typeEPNSM_ISH_E10value_typeEPSI_NS1_7vsmem_tEENKUlT_SG_SH_SI_E_clIS7_S7_SB_PlEESF_SV_SG_SH_SI_EUlSV_E_NS1_11comp_targetILNS1_3genE8ELNS1_11target_archE1030ELNS1_3gpuE2ELNS1_3repE0EEENS1_48merge_mergepath_partition_config_static_selectorELNS0_4arch9wavefront6targetE1EEEvSH_
	.globl	_ZN7rocprim17ROCPRIM_400000_NS6detail17trampoline_kernelINS0_14default_configENS1_38merge_sort_block_merge_config_selectorIdlEEZZNS1_27merge_sort_block_merge_implIS3_PdN6thrust23THRUST_200600_302600_NS10device_ptrIlEEjNS1_19radix_merge_compareILb0ELb0EdNS0_19identity_decomposerEEEEE10hipError_tT0_T1_T2_jT3_P12ihipStream_tbPNSt15iterator_traitsISG_E10value_typeEPNSM_ISH_E10value_typeEPSI_NS1_7vsmem_tEENKUlT_SG_SH_SI_E_clIS7_S7_SB_PlEESF_SV_SG_SH_SI_EUlSV_E_NS1_11comp_targetILNS1_3genE8ELNS1_11target_archE1030ELNS1_3gpuE2ELNS1_3repE0EEENS1_48merge_mergepath_partition_config_static_selectorELNS0_4arch9wavefront6targetE1EEEvSH_
	.p2align	8
	.type	_ZN7rocprim17ROCPRIM_400000_NS6detail17trampoline_kernelINS0_14default_configENS1_38merge_sort_block_merge_config_selectorIdlEEZZNS1_27merge_sort_block_merge_implIS3_PdN6thrust23THRUST_200600_302600_NS10device_ptrIlEEjNS1_19radix_merge_compareILb0ELb0EdNS0_19identity_decomposerEEEEE10hipError_tT0_T1_T2_jT3_P12ihipStream_tbPNSt15iterator_traitsISG_E10value_typeEPNSM_ISH_E10value_typeEPSI_NS1_7vsmem_tEENKUlT_SG_SH_SI_E_clIS7_S7_SB_PlEESF_SV_SG_SH_SI_EUlSV_E_NS1_11comp_targetILNS1_3genE8ELNS1_11target_archE1030ELNS1_3gpuE2ELNS1_3repE0EEENS1_48merge_mergepath_partition_config_static_selectorELNS0_4arch9wavefront6targetE1EEEvSH_,@function
_ZN7rocprim17ROCPRIM_400000_NS6detail17trampoline_kernelINS0_14default_configENS1_38merge_sort_block_merge_config_selectorIdlEEZZNS1_27merge_sort_block_merge_implIS3_PdN6thrust23THRUST_200600_302600_NS10device_ptrIlEEjNS1_19radix_merge_compareILb0ELb0EdNS0_19identity_decomposerEEEEE10hipError_tT0_T1_T2_jT3_P12ihipStream_tbPNSt15iterator_traitsISG_E10value_typeEPNSM_ISH_E10value_typeEPSI_NS1_7vsmem_tEENKUlT_SG_SH_SI_E_clIS7_S7_SB_PlEESF_SV_SG_SH_SI_EUlSV_E_NS1_11comp_targetILNS1_3genE8ELNS1_11target_archE1030ELNS1_3gpuE2ELNS1_3repE0EEENS1_48merge_mergepath_partition_config_static_selectorELNS0_4arch9wavefront6targetE1EEEvSH_: ; @_ZN7rocprim17ROCPRIM_400000_NS6detail17trampoline_kernelINS0_14default_configENS1_38merge_sort_block_merge_config_selectorIdlEEZZNS1_27merge_sort_block_merge_implIS3_PdN6thrust23THRUST_200600_302600_NS10device_ptrIlEEjNS1_19radix_merge_compareILb0ELb0EdNS0_19identity_decomposerEEEEE10hipError_tT0_T1_T2_jT3_P12ihipStream_tbPNSt15iterator_traitsISG_E10value_typeEPNSM_ISH_E10value_typeEPSI_NS1_7vsmem_tEENKUlT_SG_SH_SI_E_clIS7_S7_SB_PlEESF_SV_SG_SH_SI_EUlSV_E_NS1_11comp_targetILNS1_3genE8ELNS1_11target_archE1030ELNS1_3gpuE2ELNS1_3repE0EEENS1_48merge_mergepath_partition_config_static_selectorELNS0_4arch9wavefront6targetE1EEEvSH_
; %bb.0:
	.section	.rodata,"a",@progbits
	.p2align	6, 0x0
	.amdhsa_kernel _ZN7rocprim17ROCPRIM_400000_NS6detail17trampoline_kernelINS0_14default_configENS1_38merge_sort_block_merge_config_selectorIdlEEZZNS1_27merge_sort_block_merge_implIS3_PdN6thrust23THRUST_200600_302600_NS10device_ptrIlEEjNS1_19radix_merge_compareILb0ELb0EdNS0_19identity_decomposerEEEEE10hipError_tT0_T1_T2_jT3_P12ihipStream_tbPNSt15iterator_traitsISG_E10value_typeEPNSM_ISH_E10value_typeEPSI_NS1_7vsmem_tEENKUlT_SG_SH_SI_E_clIS7_S7_SB_PlEESF_SV_SG_SH_SI_EUlSV_E_NS1_11comp_targetILNS1_3genE8ELNS1_11target_archE1030ELNS1_3gpuE2ELNS1_3repE0EEENS1_48merge_mergepath_partition_config_static_selectorELNS0_4arch9wavefront6targetE1EEEvSH_
		.amdhsa_group_segment_fixed_size 0
		.amdhsa_private_segment_fixed_size 0
		.amdhsa_kernarg_size 40
		.amdhsa_user_sgpr_count 6
		.amdhsa_user_sgpr_private_segment_buffer 1
		.amdhsa_user_sgpr_dispatch_ptr 0
		.amdhsa_user_sgpr_queue_ptr 0
		.amdhsa_user_sgpr_kernarg_segment_ptr 1
		.amdhsa_user_sgpr_dispatch_id 0
		.amdhsa_user_sgpr_flat_scratch_init 0
		.amdhsa_user_sgpr_private_segment_size 0
		.amdhsa_uses_dynamic_stack 0
		.amdhsa_system_sgpr_private_segment_wavefront_offset 0
		.amdhsa_system_sgpr_workgroup_id_x 1
		.amdhsa_system_sgpr_workgroup_id_y 0
		.amdhsa_system_sgpr_workgroup_id_z 0
		.amdhsa_system_sgpr_workgroup_info 0
		.amdhsa_system_vgpr_workitem_id 0
		.amdhsa_next_free_vgpr 1
		.amdhsa_next_free_sgpr 0
		.amdhsa_reserve_vcc 0
		.amdhsa_reserve_flat_scratch 0
		.amdhsa_float_round_mode_32 0
		.amdhsa_float_round_mode_16_64 0
		.amdhsa_float_denorm_mode_32 3
		.amdhsa_float_denorm_mode_16_64 3
		.amdhsa_dx10_clamp 1
		.amdhsa_ieee_mode 1
		.amdhsa_fp16_overflow 0
		.amdhsa_exception_fp_ieee_invalid_op 0
		.amdhsa_exception_fp_denorm_src 0
		.amdhsa_exception_fp_ieee_div_zero 0
		.amdhsa_exception_fp_ieee_overflow 0
		.amdhsa_exception_fp_ieee_underflow 0
		.amdhsa_exception_fp_ieee_inexact 0
		.amdhsa_exception_int_div_zero 0
	.end_amdhsa_kernel
	.section	.text._ZN7rocprim17ROCPRIM_400000_NS6detail17trampoline_kernelINS0_14default_configENS1_38merge_sort_block_merge_config_selectorIdlEEZZNS1_27merge_sort_block_merge_implIS3_PdN6thrust23THRUST_200600_302600_NS10device_ptrIlEEjNS1_19radix_merge_compareILb0ELb0EdNS0_19identity_decomposerEEEEE10hipError_tT0_T1_T2_jT3_P12ihipStream_tbPNSt15iterator_traitsISG_E10value_typeEPNSM_ISH_E10value_typeEPSI_NS1_7vsmem_tEENKUlT_SG_SH_SI_E_clIS7_S7_SB_PlEESF_SV_SG_SH_SI_EUlSV_E_NS1_11comp_targetILNS1_3genE8ELNS1_11target_archE1030ELNS1_3gpuE2ELNS1_3repE0EEENS1_48merge_mergepath_partition_config_static_selectorELNS0_4arch9wavefront6targetE1EEEvSH_,"axG",@progbits,_ZN7rocprim17ROCPRIM_400000_NS6detail17trampoline_kernelINS0_14default_configENS1_38merge_sort_block_merge_config_selectorIdlEEZZNS1_27merge_sort_block_merge_implIS3_PdN6thrust23THRUST_200600_302600_NS10device_ptrIlEEjNS1_19radix_merge_compareILb0ELb0EdNS0_19identity_decomposerEEEEE10hipError_tT0_T1_T2_jT3_P12ihipStream_tbPNSt15iterator_traitsISG_E10value_typeEPNSM_ISH_E10value_typeEPSI_NS1_7vsmem_tEENKUlT_SG_SH_SI_E_clIS7_S7_SB_PlEESF_SV_SG_SH_SI_EUlSV_E_NS1_11comp_targetILNS1_3genE8ELNS1_11target_archE1030ELNS1_3gpuE2ELNS1_3repE0EEENS1_48merge_mergepath_partition_config_static_selectorELNS0_4arch9wavefront6targetE1EEEvSH_,comdat
.Lfunc_end1573:
	.size	_ZN7rocprim17ROCPRIM_400000_NS6detail17trampoline_kernelINS0_14default_configENS1_38merge_sort_block_merge_config_selectorIdlEEZZNS1_27merge_sort_block_merge_implIS3_PdN6thrust23THRUST_200600_302600_NS10device_ptrIlEEjNS1_19radix_merge_compareILb0ELb0EdNS0_19identity_decomposerEEEEE10hipError_tT0_T1_T2_jT3_P12ihipStream_tbPNSt15iterator_traitsISG_E10value_typeEPNSM_ISH_E10value_typeEPSI_NS1_7vsmem_tEENKUlT_SG_SH_SI_E_clIS7_S7_SB_PlEESF_SV_SG_SH_SI_EUlSV_E_NS1_11comp_targetILNS1_3genE8ELNS1_11target_archE1030ELNS1_3gpuE2ELNS1_3repE0EEENS1_48merge_mergepath_partition_config_static_selectorELNS0_4arch9wavefront6targetE1EEEvSH_, .Lfunc_end1573-_ZN7rocprim17ROCPRIM_400000_NS6detail17trampoline_kernelINS0_14default_configENS1_38merge_sort_block_merge_config_selectorIdlEEZZNS1_27merge_sort_block_merge_implIS3_PdN6thrust23THRUST_200600_302600_NS10device_ptrIlEEjNS1_19radix_merge_compareILb0ELb0EdNS0_19identity_decomposerEEEEE10hipError_tT0_T1_T2_jT3_P12ihipStream_tbPNSt15iterator_traitsISG_E10value_typeEPNSM_ISH_E10value_typeEPSI_NS1_7vsmem_tEENKUlT_SG_SH_SI_E_clIS7_S7_SB_PlEESF_SV_SG_SH_SI_EUlSV_E_NS1_11comp_targetILNS1_3genE8ELNS1_11target_archE1030ELNS1_3gpuE2ELNS1_3repE0EEENS1_48merge_mergepath_partition_config_static_selectorELNS0_4arch9wavefront6targetE1EEEvSH_
                                        ; -- End function
	.set _ZN7rocprim17ROCPRIM_400000_NS6detail17trampoline_kernelINS0_14default_configENS1_38merge_sort_block_merge_config_selectorIdlEEZZNS1_27merge_sort_block_merge_implIS3_PdN6thrust23THRUST_200600_302600_NS10device_ptrIlEEjNS1_19radix_merge_compareILb0ELb0EdNS0_19identity_decomposerEEEEE10hipError_tT0_T1_T2_jT3_P12ihipStream_tbPNSt15iterator_traitsISG_E10value_typeEPNSM_ISH_E10value_typeEPSI_NS1_7vsmem_tEENKUlT_SG_SH_SI_E_clIS7_S7_SB_PlEESF_SV_SG_SH_SI_EUlSV_E_NS1_11comp_targetILNS1_3genE8ELNS1_11target_archE1030ELNS1_3gpuE2ELNS1_3repE0EEENS1_48merge_mergepath_partition_config_static_selectorELNS0_4arch9wavefront6targetE1EEEvSH_.num_vgpr, 0
	.set _ZN7rocprim17ROCPRIM_400000_NS6detail17trampoline_kernelINS0_14default_configENS1_38merge_sort_block_merge_config_selectorIdlEEZZNS1_27merge_sort_block_merge_implIS3_PdN6thrust23THRUST_200600_302600_NS10device_ptrIlEEjNS1_19radix_merge_compareILb0ELb0EdNS0_19identity_decomposerEEEEE10hipError_tT0_T1_T2_jT3_P12ihipStream_tbPNSt15iterator_traitsISG_E10value_typeEPNSM_ISH_E10value_typeEPSI_NS1_7vsmem_tEENKUlT_SG_SH_SI_E_clIS7_S7_SB_PlEESF_SV_SG_SH_SI_EUlSV_E_NS1_11comp_targetILNS1_3genE8ELNS1_11target_archE1030ELNS1_3gpuE2ELNS1_3repE0EEENS1_48merge_mergepath_partition_config_static_selectorELNS0_4arch9wavefront6targetE1EEEvSH_.num_agpr, 0
	.set _ZN7rocprim17ROCPRIM_400000_NS6detail17trampoline_kernelINS0_14default_configENS1_38merge_sort_block_merge_config_selectorIdlEEZZNS1_27merge_sort_block_merge_implIS3_PdN6thrust23THRUST_200600_302600_NS10device_ptrIlEEjNS1_19radix_merge_compareILb0ELb0EdNS0_19identity_decomposerEEEEE10hipError_tT0_T1_T2_jT3_P12ihipStream_tbPNSt15iterator_traitsISG_E10value_typeEPNSM_ISH_E10value_typeEPSI_NS1_7vsmem_tEENKUlT_SG_SH_SI_E_clIS7_S7_SB_PlEESF_SV_SG_SH_SI_EUlSV_E_NS1_11comp_targetILNS1_3genE8ELNS1_11target_archE1030ELNS1_3gpuE2ELNS1_3repE0EEENS1_48merge_mergepath_partition_config_static_selectorELNS0_4arch9wavefront6targetE1EEEvSH_.numbered_sgpr, 0
	.set _ZN7rocprim17ROCPRIM_400000_NS6detail17trampoline_kernelINS0_14default_configENS1_38merge_sort_block_merge_config_selectorIdlEEZZNS1_27merge_sort_block_merge_implIS3_PdN6thrust23THRUST_200600_302600_NS10device_ptrIlEEjNS1_19radix_merge_compareILb0ELb0EdNS0_19identity_decomposerEEEEE10hipError_tT0_T1_T2_jT3_P12ihipStream_tbPNSt15iterator_traitsISG_E10value_typeEPNSM_ISH_E10value_typeEPSI_NS1_7vsmem_tEENKUlT_SG_SH_SI_E_clIS7_S7_SB_PlEESF_SV_SG_SH_SI_EUlSV_E_NS1_11comp_targetILNS1_3genE8ELNS1_11target_archE1030ELNS1_3gpuE2ELNS1_3repE0EEENS1_48merge_mergepath_partition_config_static_selectorELNS0_4arch9wavefront6targetE1EEEvSH_.num_named_barrier, 0
	.set _ZN7rocprim17ROCPRIM_400000_NS6detail17trampoline_kernelINS0_14default_configENS1_38merge_sort_block_merge_config_selectorIdlEEZZNS1_27merge_sort_block_merge_implIS3_PdN6thrust23THRUST_200600_302600_NS10device_ptrIlEEjNS1_19radix_merge_compareILb0ELb0EdNS0_19identity_decomposerEEEEE10hipError_tT0_T1_T2_jT3_P12ihipStream_tbPNSt15iterator_traitsISG_E10value_typeEPNSM_ISH_E10value_typeEPSI_NS1_7vsmem_tEENKUlT_SG_SH_SI_E_clIS7_S7_SB_PlEESF_SV_SG_SH_SI_EUlSV_E_NS1_11comp_targetILNS1_3genE8ELNS1_11target_archE1030ELNS1_3gpuE2ELNS1_3repE0EEENS1_48merge_mergepath_partition_config_static_selectorELNS0_4arch9wavefront6targetE1EEEvSH_.private_seg_size, 0
	.set _ZN7rocprim17ROCPRIM_400000_NS6detail17trampoline_kernelINS0_14default_configENS1_38merge_sort_block_merge_config_selectorIdlEEZZNS1_27merge_sort_block_merge_implIS3_PdN6thrust23THRUST_200600_302600_NS10device_ptrIlEEjNS1_19radix_merge_compareILb0ELb0EdNS0_19identity_decomposerEEEEE10hipError_tT0_T1_T2_jT3_P12ihipStream_tbPNSt15iterator_traitsISG_E10value_typeEPNSM_ISH_E10value_typeEPSI_NS1_7vsmem_tEENKUlT_SG_SH_SI_E_clIS7_S7_SB_PlEESF_SV_SG_SH_SI_EUlSV_E_NS1_11comp_targetILNS1_3genE8ELNS1_11target_archE1030ELNS1_3gpuE2ELNS1_3repE0EEENS1_48merge_mergepath_partition_config_static_selectorELNS0_4arch9wavefront6targetE1EEEvSH_.uses_vcc, 0
	.set _ZN7rocprim17ROCPRIM_400000_NS6detail17trampoline_kernelINS0_14default_configENS1_38merge_sort_block_merge_config_selectorIdlEEZZNS1_27merge_sort_block_merge_implIS3_PdN6thrust23THRUST_200600_302600_NS10device_ptrIlEEjNS1_19radix_merge_compareILb0ELb0EdNS0_19identity_decomposerEEEEE10hipError_tT0_T1_T2_jT3_P12ihipStream_tbPNSt15iterator_traitsISG_E10value_typeEPNSM_ISH_E10value_typeEPSI_NS1_7vsmem_tEENKUlT_SG_SH_SI_E_clIS7_S7_SB_PlEESF_SV_SG_SH_SI_EUlSV_E_NS1_11comp_targetILNS1_3genE8ELNS1_11target_archE1030ELNS1_3gpuE2ELNS1_3repE0EEENS1_48merge_mergepath_partition_config_static_selectorELNS0_4arch9wavefront6targetE1EEEvSH_.uses_flat_scratch, 0
	.set _ZN7rocprim17ROCPRIM_400000_NS6detail17trampoline_kernelINS0_14default_configENS1_38merge_sort_block_merge_config_selectorIdlEEZZNS1_27merge_sort_block_merge_implIS3_PdN6thrust23THRUST_200600_302600_NS10device_ptrIlEEjNS1_19radix_merge_compareILb0ELb0EdNS0_19identity_decomposerEEEEE10hipError_tT0_T1_T2_jT3_P12ihipStream_tbPNSt15iterator_traitsISG_E10value_typeEPNSM_ISH_E10value_typeEPSI_NS1_7vsmem_tEENKUlT_SG_SH_SI_E_clIS7_S7_SB_PlEESF_SV_SG_SH_SI_EUlSV_E_NS1_11comp_targetILNS1_3genE8ELNS1_11target_archE1030ELNS1_3gpuE2ELNS1_3repE0EEENS1_48merge_mergepath_partition_config_static_selectorELNS0_4arch9wavefront6targetE1EEEvSH_.has_dyn_sized_stack, 0
	.set _ZN7rocprim17ROCPRIM_400000_NS6detail17trampoline_kernelINS0_14default_configENS1_38merge_sort_block_merge_config_selectorIdlEEZZNS1_27merge_sort_block_merge_implIS3_PdN6thrust23THRUST_200600_302600_NS10device_ptrIlEEjNS1_19radix_merge_compareILb0ELb0EdNS0_19identity_decomposerEEEEE10hipError_tT0_T1_T2_jT3_P12ihipStream_tbPNSt15iterator_traitsISG_E10value_typeEPNSM_ISH_E10value_typeEPSI_NS1_7vsmem_tEENKUlT_SG_SH_SI_E_clIS7_S7_SB_PlEESF_SV_SG_SH_SI_EUlSV_E_NS1_11comp_targetILNS1_3genE8ELNS1_11target_archE1030ELNS1_3gpuE2ELNS1_3repE0EEENS1_48merge_mergepath_partition_config_static_selectorELNS0_4arch9wavefront6targetE1EEEvSH_.has_recursion, 0
	.set _ZN7rocprim17ROCPRIM_400000_NS6detail17trampoline_kernelINS0_14default_configENS1_38merge_sort_block_merge_config_selectorIdlEEZZNS1_27merge_sort_block_merge_implIS3_PdN6thrust23THRUST_200600_302600_NS10device_ptrIlEEjNS1_19radix_merge_compareILb0ELb0EdNS0_19identity_decomposerEEEEE10hipError_tT0_T1_T2_jT3_P12ihipStream_tbPNSt15iterator_traitsISG_E10value_typeEPNSM_ISH_E10value_typeEPSI_NS1_7vsmem_tEENKUlT_SG_SH_SI_E_clIS7_S7_SB_PlEESF_SV_SG_SH_SI_EUlSV_E_NS1_11comp_targetILNS1_3genE8ELNS1_11target_archE1030ELNS1_3gpuE2ELNS1_3repE0EEENS1_48merge_mergepath_partition_config_static_selectorELNS0_4arch9wavefront6targetE1EEEvSH_.has_indirect_call, 0
	.section	.AMDGPU.csdata,"",@progbits
; Kernel info:
; codeLenInByte = 0
; TotalNumSgprs: 4
; NumVgprs: 0
; ScratchSize: 0
; MemoryBound: 0
; FloatMode: 240
; IeeeMode: 1
; LDSByteSize: 0 bytes/workgroup (compile time only)
; SGPRBlocks: 0
; VGPRBlocks: 0
; NumSGPRsForWavesPerEU: 4
; NumVGPRsForWavesPerEU: 1
; Occupancy: 10
; WaveLimiterHint : 0
; COMPUTE_PGM_RSRC2:SCRATCH_EN: 0
; COMPUTE_PGM_RSRC2:USER_SGPR: 6
; COMPUTE_PGM_RSRC2:TRAP_HANDLER: 0
; COMPUTE_PGM_RSRC2:TGID_X_EN: 1
; COMPUTE_PGM_RSRC2:TGID_Y_EN: 0
; COMPUTE_PGM_RSRC2:TGID_Z_EN: 0
; COMPUTE_PGM_RSRC2:TIDIG_COMP_CNT: 0
	.section	.text._ZN7rocprim17ROCPRIM_400000_NS6detail17trampoline_kernelINS0_14default_configENS1_38merge_sort_block_merge_config_selectorIdlEEZZNS1_27merge_sort_block_merge_implIS3_PdN6thrust23THRUST_200600_302600_NS10device_ptrIlEEjNS1_19radix_merge_compareILb0ELb0EdNS0_19identity_decomposerEEEEE10hipError_tT0_T1_T2_jT3_P12ihipStream_tbPNSt15iterator_traitsISG_E10value_typeEPNSM_ISH_E10value_typeEPSI_NS1_7vsmem_tEENKUlT_SG_SH_SI_E_clIS7_S7_SB_PlEESF_SV_SG_SH_SI_EUlSV_E0_NS1_11comp_targetILNS1_3genE0ELNS1_11target_archE4294967295ELNS1_3gpuE0ELNS1_3repE0EEENS1_38merge_mergepath_config_static_selectorELNS0_4arch9wavefront6targetE1EEEvSH_,"axG",@progbits,_ZN7rocprim17ROCPRIM_400000_NS6detail17trampoline_kernelINS0_14default_configENS1_38merge_sort_block_merge_config_selectorIdlEEZZNS1_27merge_sort_block_merge_implIS3_PdN6thrust23THRUST_200600_302600_NS10device_ptrIlEEjNS1_19radix_merge_compareILb0ELb0EdNS0_19identity_decomposerEEEEE10hipError_tT0_T1_T2_jT3_P12ihipStream_tbPNSt15iterator_traitsISG_E10value_typeEPNSM_ISH_E10value_typeEPSI_NS1_7vsmem_tEENKUlT_SG_SH_SI_E_clIS7_S7_SB_PlEESF_SV_SG_SH_SI_EUlSV_E0_NS1_11comp_targetILNS1_3genE0ELNS1_11target_archE4294967295ELNS1_3gpuE0ELNS1_3repE0EEENS1_38merge_mergepath_config_static_selectorELNS0_4arch9wavefront6targetE1EEEvSH_,comdat
	.protected	_ZN7rocprim17ROCPRIM_400000_NS6detail17trampoline_kernelINS0_14default_configENS1_38merge_sort_block_merge_config_selectorIdlEEZZNS1_27merge_sort_block_merge_implIS3_PdN6thrust23THRUST_200600_302600_NS10device_ptrIlEEjNS1_19radix_merge_compareILb0ELb0EdNS0_19identity_decomposerEEEEE10hipError_tT0_T1_T2_jT3_P12ihipStream_tbPNSt15iterator_traitsISG_E10value_typeEPNSM_ISH_E10value_typeEPSI_NS1_7vsmem_tEENKUlT_SG_SH_SI_E_clIS7_S7_SB_PlEESF_SV_SG_SH_SI_EUlSV_E0_NS1_11comp_targetILNS1_3genE0ELNS1_11target_archE4294967295ELNS1_3gpuE0ELNS1_3repE0EEENS1_38merge_mergepath_config_static_selectorELNS0_4arch9wavefront6targetE1EEEvSH_ ; -- Begin function _ZN7rocprim17ROCPRIM_400000_NS6detail17trampoline_kernelINS0_14default_configENS1_38merge_sort_block_merge_config_selectorIdlEEZZNS1_27merge_sort_block_merge_implIS3_PdN6thrust23THRUST_200600_302600_NS10device_ptrIlEEjNS1_19radix_merge_compareILb0ELb0EdNS0_19identity_decomposerEEEEE10hipError_tT0_T1_T2_jT3_P12ihipStream_tbPNSt15iterator_traitsISG_E10value_typeEPNSM_ISH_E10value_typeEPSI_NS1_7vsmem_tEENKUlT_SG_SH_SI_E_clIS7_S7_SB_PlEESF_SV_SG_SH_SI_EUlSV_E0_NS1_11comp_targetILNS1_3genE0ELNS1_11target_archE4294967295ELNS1_3gpuE0ELNS1_3repE0EEENS1_38merge_mergepath_config_static_selectorELNS0_4arch9wavefront6targetE1EEEvSH_
	.globl	_ZN7rocprim17ROCPRIM_400000_NS6detail17trampoline_kernelINS0_14default_configENS1_38merge_sort_block_merge_config_selectorIdlEEZZNS1_27merge_sort_block_merge_implIS3_PdN6thrust23THRUST_200600_302600_NS10device_ptrIlEEjNS1_19radix_merge_compareILb0ELb0EdNS0_19identity_decomposerEEEEE10hipError_tT0_T1_T2_jT3_P12ihipStream_tbPNSt15iterator_traitsISG_E10value_typeEPNSM_ISH_E10value_typeEPSI_NS1_7vsmem_tEENKUlT_SG_SH_SI_E_clIS7_S7_SB_PlEESF_SV_SG_SH_SI_EUlSV_E0_NS1_11comp_targetILNS1_3genE0ELNS1_11target_archE4294967295ELNS1_3gpuE0ELNS1_3repE0EEENS1_38merge_mergepath_config_static_selectorELNS0_4arch9wavefront6targetE1EEEvSH_
	.p2align	8
	.type	_ZN7rocprim17ROCPRIM_400000_NS6detail17trampoline_kernelINS0_14default_configENS1_38merge_sort_block_merge_config_selectorIdlEEZZNS1_27merge_sort_block_merge_implIS3_PdN6thrust23THRUST_200600_302600_NS10device_ptrIlEEjNS1_19radix_merge_compareILb0ELb0EdNS0_19identity_decomposerEEEEE10hipError_tT0_T1_T2_jT3_P12ihipStream_tbPNSt15iterator_traitsISG_E10value_typeEPNSM_ISH_E10value_typeEPSI_NS1_7vsmem_tEENKUlT_SG_SH_SI_E_clIS7_S7_SB_PlEESF_SV_SG_SH_SI_EUlSV_E0_NS1_11comp_targetILNS1_3genE0ELNS1_11target_archE4294967295ELNS1_3gpuE0ELNS1_3repE0EEENS1_38merge_mergepath_config_static_selectorELNS0_4arch9wavefront6targetE1EEEvSH_,@function
_ZN7rocprim17ROCPRIM_400000_NS6detail17trampoline_kernelINS0_14default_configENS1_38merge_sort_block_merge_config_selectorIdlEEZZNS1_27merge_sort_block_merge_implIS3_PdN6thrust23THRUST_200600_302600_NS10device_ptrIlEEjNS1_19radix_merge_compareILb0ELb0EdNS0_19identity_decomposerEEEEE10hipError_tT0_T1_T2_jT3_P12ihipStream_tbPNSt15iterator_traitsISG_E10value_typeEPNSM_ISH_E10value_typeEPSI_NS1_7vsmem_tEENKUlT_SG_SH_SI_E_clIS7_S7_SB_PlEESF_SV_SG_SH_SI_EUlSV_E0_NS1_11comp_targetILNS1_3genE0ELNS1_11target_archE4294967295ELNS1_3gpuE0ELNS1_3repE0EEENS1_38merge_mergepath_config_static_selectorELNS0_4arch9wavefront6targetE1EEEvSH_: ; @_ZN7rocprim17ROCPRIM_400000_NS6detail17trampoline_kernelINS0_14default_configENS1_38merge_sort_block_merge_config_selectorIdlEEZZNS1_27merge_sort_block_merge_implIS3_PdN6thrust23THRUST_200600_302600_NS10device_ptrIlEEjNS1_19radix_merge_compareILb0ELb0EdNS0_19identity_decomposerEEEEE10hipError_tT0_T1_T2_jT3_P12ihipStream_tbPNSt15iterator_traitsISG_E10value_typeEPNSM_ISH_E10value_typeEPSI_NS1_7vsmem_tEENKUlT_SG_SH_SI_E_clIS7_S7_SB_PlEESF_SV_SG_SH_SI_EUlSV_E0_NS1_11comp_targetILNS1_3genE0ELNS1_11target_archE4294967295ELNS1_3gpuE0ELNS1_3repE0EEENS1_38merge_mergepath_config_static_selectorELNS0_4arch9wavefront6targetE1EEEvSH_
; %bb.0:
	.section	.rodata,"a",@progbits
	.p2align	6, 0x0
	.amdhsa_kernel _ZN7rocprim17ROCPRIM_400000_NS6detail17trampoline_kernelINS0_14default_configENS1_38merge_sort_block_merge_config_selectorIdlEEZZNS1_27merge_sort_block_merge_implIS3_PdN6thrust23THRUST_200600_302600_NS10device_ptrIlEEjNS1_19radix_merge_compareILb0ELb0EdNS0_19identity_decomposerEEEEE10hipError_tT0_T1_T2_jT3_P12ihipStream_tbPNSt15iterator_traitsISG_E10value_typeEPNSM_ISH_E10value_typeEPSI_NS1_7vsmem_tEENKUlT_SG_SH_SI_E_clIS7_S7_SB_PlEESF_SV_SG_SH_SI_EUlSV_E0_NS1_11comp_targetILNS1_3genE0ELNS1_11target_archE4294967295ELNS1_3gpuE0ELNS1_3repE0EEENS1_38merge_mergepath_config_static_selectorELNS0_4arch9wavefront6targetE1EEEvSH_
		.amdhsa_group_segment_fixed_size 0
		.amdhsa_private_segment_fixed_size 0
		.amdhsa_kernarg_size 64
		.amdhsa_user_sgpr_count 6
		.amdhsa_user_sgpr_private_segment_buffer 1
		.amdhsa_user_sgpr_dispatch_ptr 0
		.amdhsa_user_sgpr_queue_ptr 0
		.amdhsa_user_sgpr_kernarg_segment_ptr 1
		.amdhsa_user_sgpr_dispatch_id 0
		.amdhsa_user_sgpr_flat_scratch_init 0
		.amdhsa_user_sgpr_private_segment_size 0
		.amdhsa_uses_dynamic_stack 0
		.amdhsa_system_sgpr_private_segment_wavefront_offset 0
		.amdhsa_system_sgpr_workgroup_id_x 1
		.amdhsa_system_sgpr_workgroup_id_y 0
		.amdhsa_system_sgpr_workgroup_id_z 0
		.amdhsa_system_sgpr_workgroup_info 0
		.amdhsa_system_vgpr_workitem_id 0
		.amdhsa_next_free_vgpr 1
		.amdhsa_next_free_sgpr 0
		.amdhsa_reserve_vcc 0
		.amdhsa_reserve_flat_scratch 0
		.amdhsa_float_round_mode_32 0
		.amdhsa_float_round_mode_16_64 0
		.amdhsa_float_denorm_mode_32 3
		.amdhsa_float_denorm_mode_16_64 3
		.amdhsa_dx10_clamp 1
		.amdhsa_ieee_mode 1
		.amdhsa_fp16_overflow 0
		.amdhsa_exception_fp_ieee_invalid_op 0
		.amdhsa_exception_fp_denorm_src 0
		.amdhsa_exception_fp_ieee_div_zero 0
		.amdhsa_exception_fp_ieee_overflow 0
		.amdhsa_exception_fp_ieee_underflow 0
		.amdhsa_exception_fp_ieee_inexact 0
		.amdhsa_exception_int_div_zero 0
	.end_amdhsa_kernel
	.section	.text._ZN7rocprim17ROCPRIM_400000_NS6detail17trampoline_kernelINS0_14default_configENS1_38merge_sort_block_merge_config_selectorIdlEEZZNS1_27merge_sort_block_merge_implIS3_PdN6thrust23THRUST_200600_302600_NS10device_ptrIlEEjNS1_19radix_merge_compareILb0ELb0EdNS0_19identity_decomposerEEEEE10hipError_tT0_T1_T2_jT3_P12ihipStream_tbPNSt15iterator_traitsISG_E10value_typeEPNSM_ISH_E10value_typeEPSI_NS1_7vsmem_tEENKUlT_SG_SH_SI_E_clIS7_S7_SB_PlEESF_SV_SG_SH_SI_EUlSV_E0_NS1_11comp_targetILNS1_3genE0ELNS1_11target_archE4294967295ELNS1_3gpuE0ELNS1_3repE0EEENS1_38merge_mergepath_config_static_selectorELNS0_4arch9wavefront6targetE1EEEvSH_,"axG",@progbits,_ZN7rocprim17ROCPRIM_400000_NS6detail17trampoline_kernelINS0_14default_configENS1_38merge_sort_block_merge_config_selectorIdlEEZZNS1_27merge_sort_block_merge_implIS3_PdN6thrust23THRUST_200600_302600_NS10device_ptrIlEEjNS1_19radix_merge_compareILb0ELb0EdNS0_19identity_decomposerEEEEE10hipError_tT0_T1_T2_jT3_P12ihipStream_tbPNSt15iterator_traitsISG_E10value_typeEPNSM_ISH_E10value_typeEPSI_NS1_7vsmem_tEENKUlT_SG_SH_SI_E_clIS7_S7_SB_PlEESF_SV_SG_SH_SI_EUlSV_E0_NS1_11comp_targetILNS1_3genE0ELNS1_11target_archE4294967295ELNS1_3gpuE0ELNS1_3repE0EEENS1_38merge_mergepath_config_static_selectorELNS0_4arch9wavefront6targetE1EEEvSH_,comdat
.Lfunc_end1574:
	.size	_ZN7rocprim17ROCPRIM_400000_NS6detail17trampoline_kernelINS0_14default_configENS1_38merge_sort_block_merge_config_selectorIdlEEZZNS1_27merge_sort_block_merge_implIS3_PdN6thrust23THRUST_200600_302600_NS10device_ptrIlEEjNS1_19radix_merge_compareILb0ELb0EdNS0_19identity_decomposerEEEEE10hipError_tT0_T1_T2_jT3_P12ihipStream_tbPNSt15iterator_traitsISG_E10value_typeEPNSM_ISH_E10value_typeEPSI_NS1_7vsmem_tEENKUlT_SG_SH_SI_E_clIS7_S7_SB_PlEESF_SV_SG_SH_SI_EUlSV_E0_NS1_11comp_targetILNS1_3genE0ELNS1_11target_archE4294967295ELNS1_3gpuE0ELNS1_3repE0EEENS1_38merge_mergepath_config_static_selectorELNS0_4arch9wavefront6targetE1EEEvSH_, .Lfunc_end1574-_ZN7rocprim17ROCPRIM_400000_NS6detail17trampoline_kernelINS0_14default_configENS1_38merge_sort_block_merge_config_selectorIdlEEZZNS1_27merge_sort_block_merge_implIS3_PdN6thrust23THRUST_200600_302600_NS10device_ptrIlEEjNS1_19radix_merge_compareILb0ELb0EdNS0_19identity_decomposerEEEEE10hipError_tT0_T1_T2_jT3_P12ihipStream_tbPNSt15iterator_traitsISG_E10value_typeEPNSM_ISH_E10value_typeEPSI_NS1_7vsmem_tEENKUlT_SG_SH_SI_E_clIS7_S7_SB_PlEESF_SV_SG_SH_SI_EUlSV_E0_NS1_11comp_targetILNS1_3genE0ELNS1_11target_archE4294967295ELNS1_3gpuE0ELNS1_3repE0EEENS1_38merge_mergepath_config_static_selectorELNS0_4arch9wavefront6targetE1EEEvSH_
                                        ; -- End function
	.set _ZN7rocprim17ROCPRIM_400000_NS6detail17trampoline_kernelINS0_14default_configENS1_38merge_sort_block_merge_config_selectorIdlEEZZNS1_27merge_sort_block_merge_implIS3_PdN6thrust23THRUST_200600_302600_NS10device_ptrIlEEjNS1_19radix_merge_compareILb0ELb0EdNS0_19identity_decomposerEEEEE10hipError_tT0_T1_T2_jT3_P12ihipStream_tbPNSt15iterator_traitsISG_E10value_typeEPNSM_ISH_E10value_typeEPSI_NS1_7vsmem_tEENKUlT_SG_SH_SI_E_clIS7_S7_SB_PlEESF_SV_SG_SH_SI_EUlSV_E0_NS1_11comp_targetILNS1_3genE0ELNS1_11target_archE4294967295ELNS1_3gpuE0ELNS1_3repE0EEENS1_38merge_mergepath_config_static_selectorELNS0_4arch9wavefront6targetE1EEEvSH_.num_vgpr, 0
	.set _ZN7rocprim17ROCPRIM_400000_NS6detail17trampoline_kernelINS0_14default_configENS1_38merge_sort_block_merge_config_selectorIdlEEZZNS1_27merge_sort_block_merge_implIS3_PdN6thrust23THRUST_200600_302600_NS10device_ptrIlEEjNS1_19radix_merge_compareILb0ELb0EdNS0_19identity_decomposerEEEEE10hipError_tT0_T1_T2_jT3_P12ihipStream_tbPNSt15iterator_traitsISG_E10value_typeEPNSM_ISH_E10value_typeEPSI_NS1_7vsmem_tEENKUlT_SG_SH_SI_E_clIS7_S7_SB_PlEESF_SV_SG_SH_SI_EUlSV_E0_NS1_11comp_targetILNS1_3genE0ELNS1_11target_archE4294967295ELNS1_3gpuE0ELNS1_3repE0EEENS1_38merge_mergepath_config_static_selectorELNS0_4arch9wavefront6targetE1EEEvSH_.num_agpr, 0
	.set _ZN7rocprim17ROCPRIM_400000_NS6detail17trampoline_kernelINS0_14default_configENS1_38merge_sort_block_merge_config_selectorIdlEEZZNS1_27merge_sort_block_merge_implIS3_PdN6thrust23THRUST_200600_302600_NS10device_ptrIlEEjNS1_19radix_merge_compareILb0ELb0EdNS0_19identity_decomposerEEEEE10hipError_tT0_T1_T2_jT3_P12ihipStream_tbPNSt15iterator_traitsISG_E10value_typeEPNSM_ISH_E10value_typeEPSI_NS1_7vsmem_tEENKUlT_SG_SH_SI_E_clIS7_S7_SB_PlEESF_SV_SG_SH_SI_EUlSV_E0_NS1_11comp_targetILNS1_3genE0ELNS1_11target_archE4294967295ELNS1_3gpuE0ELNS1_3repE0EEENS1_38merge_mergepath_config_static_selectorELNS0_4arch9wavefront6targetE1EEEvSH_.numbered_sgpr, 0
	.set _ZN7rocprim17ROCPRIM_400000_NS6detail17trampoline_kernelINS0_14default_configENS1_38merge_sort_block_merge_config_selectorIdlEEZZNS1_27merge_sort_block_merge_implIS3_PdN6thrust23THRUST_200600_302600_NS10device_ptrIlEEjNS1_19radix_merge_compareILb0ELb0EdNS0_19identity_decomposerEEEEE10hipError_tT0_T1_T2_jT3_P12ihipStream_tbPNSt15iterator_traitsISG_E10value_typeEPNSM_ISH_E10value_typeEPSI_NS1_7vsmem_tEENKUlT_SG_SH_SI_E_clIS7_S7_SB_PlEESF_SV_SG_SH_SI_EUlSV_E0_NS1_11comp_targetILNS1_3genE0ELNS1_11target_archE4294967295ELNS1_3gpuE0ELNS1_3repE0EEENS1_38merge_mergepath_config_static_selectorELNS0_4arch9wavefront6targetE1EEEvSH_.num_named_barrier, 0
	.set _ZN7rocprim17ROCPRIM_400000_NS6detail17trampoline_kernelINS0_14default_configENS1_38merge_sort_block_merge_config_selectorIdlEEZZNS1_27merge_sort_block_merge_implIS3_PdN6thrust23THRUST_200600_302600_NS10device_ptrIlEEjNS1_19radix_merge_compareILb0ELb0EdNS0_19identity_decomposerEEEEE10hipError_tT0_T1_T2_jT3_P12ihipStream_tbPNSt15iterator_traitsISG_E10value_typeEPNSM_ISH_E10value_typeEPSI_NS1_7vsmem_tEENKUlT_SG_SH_SI_E_clIS7_S7_SB_PlEESF_SV_SG_SH_SI_EUlSV_E0_NS1_11comp_targetILNS1_3genE0ELNS1_11target_archE4294967295ELNS1_3gpuE0ELNS1_3repE0EEENS1_38merge_mergepath_config_static_selectorELNS0_4arch9wavefront6targetE1EEEvSH_.private_seg_size, 0
	.set _ZN7rocprim17ROCPRIM_400000_NS6detail17trampoline_kernelINS0_14default_configENS1_38merge_sort_block_merge_config_selectorIdlEEZZNS1_27merge_sort_block_merge_implIS3_PdN6thrust23THRUST_200600_302600_NS10device_ptrIlEEjNS1_19radix_merge_compareILb0ELb0EdNS0_19identity_decomposerEEEEE10hipError_tT0_T1_T2_jT3_P12ihipStream_tbPNSt15iterator_traitsISG_E10value_typeEPNSM_ISH_E10value_typeEPSI_NS1_7vsmem_tEENKUlT_SG_SH_SI_E_clIS7_S7_SB_PlEESF_SV_SG_SH_SI_EUlSV_E0_NS1_11comp_targetILNS1_3genE0ELNS1_11target_archE4294967295ELNS1_3gpuE0ELNS1_3repE0EEENS1_38merge_mergepath_config_static_selectorELNS0_4arch9wavefront6targetE1EEEvSH_.uses_vcc, 0
	.set _ZN7rocprim17ROCPRIM_400000_NS6detail17trampoline_kernelINS0_14default_configENS1_38merge_sort_block_merge_config_selectorIdlEEZZNS1_27merge_sort_block_merge_implIS3_PdN6thrust23THRUST_200600_302600_NS10device_ptrIlEEjNS1_19radix_merge_compareILb0ELb0EdNS0_19identity_decomposerEEEEE10hipError_tT0_T1_T2_jT3_P12ihipStream_tbPNSt15iterator_traitsISG_E10value_typeEPNSM_ISH_E10value_typeEPSI_NS1_7vsmem_tEENKUlT_SG_SH_SI_E_clIS7_S7_SB_PlEESF_SV_SG_SH_SI_EUlSV_E0_NS1_11comp_targetILNS1_3genE0ELNS1_11target_archE4294967295ELNS1_3gpuE0ELNS1_3repE0EEENS1_38merge_mergepath_config_static_selectorELNS0_4arch9wavefront6targetE1EEEvSH_.uses_flat_scratch, 0
	.set _ZN7rocprim17ROCPRIM_400000_NS6detail17trampoline_kernelINS0_14default_configENS1_38merge_sort_block_merge_config_selectorIdlEEZZNS1_27merge_sort_block_merge_implIS3_PdN6thrust23THRUST_200600_302600_NS10device_ptrIlEEjNS1_19radix_merge_compareILb0ELb0EdNS0_19identity_decomposerEEEEE10hipError_tT0_T1_T2_jT3_P12ihipStream_tbPNSt15iterator_traitsISG_E10value_typeEPNSM_ISH_E10value_typeEPSI_NS1_7vsmem_tEENKUlT_SG_SH_SI_E_clIS7_S7_SB_PlEESF_SV_SG_SH_SI_EUlSV_E0_NS1_11comp_targetILNS1_3genE0ELNS1_11target_archE4294967295ELNS1_3gpuE0ELNS1_3repE0EEENS1_38merge_mergepath_config_static_selectorELNS0_4arch9wavefront6targetE1EEEvSH_.has_dyn_sized_stack, 0
	.set _ZN7rocprim17ROCPRIM_400000_NS6detail17trampoline_kernelINS0_14default_configENS1_38merge_sort_block_merge_config_selectorIdlEEZZNS1_27merge_sort_block_merge_implIS3_PdN6thrust23THRUST_200600_302600_NS10device_ptrIlEEjNS1_19radix_merge_compareILb0ELb0EdNS0_19identity_decomposerEEEEE10hipError_tT0_T1_T2_jT3_P12ihipStream_tbPNSt15iterator_traitsISG_E10value_typeEPNSM_ISH_E10value_typeEPSI_NS1_7vsmem_tEENKUlT_SG_SH_SI_E_clIS7_S7_SB_PlEESF_SV_SG_SH_SI_EUlSV_E0_NS1_11comp_targetILNS1_3genE0ELNS1_11target_archE4294967295ELNS1_3gpuE0ELNS1_3repE0EEENS1_38merge_mergepath_config_static_selectorELNS0_4arch9wavefront6targetE1EEEvSH_.has_recursion, 0
	.set _ZN7rocprim17ROCPRIM_400000_NS6detail17trampoline_kernelINS0_14default_configENS1_38merge_sort_block_merge_config_selectorIdlEEZZNS1_27merge_sort_block_merge_implIS3_PdN6thrust23THRUST_200600_302600_NS10device_ptrIlEEjNS1_19radix_merge_compareILb0ELb0EdNS0_19identity_decomposerEEEEE10hipError_tT0_T1_T2_jT3_P12ihipStream_tbPNSt15iterator_traitsISG_E10value_typeEPNSM_ISH_E10value_typeEPSI_NS1_7vsmem_tEENKUlT_SG_SH_SI_E_clIS7_S7_SB_PlEESF_SV_SG_SH_SI_EUlSV_E0_NS1_11comp_targetILNS1_3genE0ELNS1_11target_archE4294967295ELNS1_3gpuE0ELNS1_3repE0EEENS1_38merge_mergepath_config_static_selectorELNS0_4arch9wavefront6targetE1EEEvSH_.has_indirect_call, 0
	.section	.AMDGPU.csdata,"",@progbits
; Kernel info:
; codeLenInByte = 0
; TotalNumSgprs: 4
; NumVgprs: 0
; ScratchSize: 0
; MemoryBound: 0
; FloatMode: 240
; IeeeMode: 1
; LDSByteSize: 0 bytes/workgroup (compile time only)
; SGPRBlocks: 0
; VGPRBlocks: 0
; NumSGPRsForWavesPerEU: 4
; NumVGPRsForWavesPerEU: 1
; Occupancy: 10
; WaveLimiterHint : 0
; COMPUTE_PGM_RSRC2:SCRATCH_EN: 0
; COMPUTE_PGM_RSRC2:USER_SGPR: 6
; COMPUTE_PGM_RSRC2:TRAP_HANDLER: 0
; COMPUTE_PGM_RSRC2:TGID_X_EN: 1
; COMPUTE_PGM_RSRC2:TGID_Y_EN: 0
; COMPUTE_PGM_RSRC2:TGID_Z_EN: 0
; COMPUTE_PGM_RSRC2:TIDIG_COMP_CNT: 0
	.section	.text._ZN7rocprim17ROCPRIM_400000_NS6detail17trampoline_kernelINS0_14default_configENS1_38merge_sort_block_merge_config_selectorIdlEEZZNS1_27merge_sort_block_merge_implIS3_PdN6thrust23THRUST_200600_302600_NS10device_ptrIlEEjNS1_19radix_merge_compareILb0ELb0EdNS0_19identity_decomposerEEEEE10hipError_tT0_T1_T2_jT3_P12ihipStream_tbPNSt15iterator_traitsISG_E10value_typeEPNSM_ISH_E10value_typeEPSI_NS1_7vsmem_tEENKUlT_SG_SH_SI_E_clIS7_S7_SB_PlEESF_SV_SG_SH_SI_EUlSV_E0_NS1_11comp_targetILNS1_3genE10ELNS1_11target_archE1201ELNS1_3gpuE5ELNS1_3repE0EEENS1_38merge_mergepath_config_static_selectorELNS0_4arch9wavefront6targetE1EEEvSH_,"axG",@progbits,_ZN7rocprim17ROCPRIM_400000_NS6detail17trampoline_kernelINS0_14default_configENS1_38merge_sort_block_merge_config_selectorIdlEEZZNS1_27merge_sort_block_merge_implIS3_PdN6thrust23THRUST_200600_302600_NS10device_ptrIlEEjNS1_19radix_merge_compareILb0ELb0EdNS0_19identity_decomposerEEEEE10hipError_tT0_T1_T2_jT3_P12ihipStream_tbPNSt15iterator_traitsISG_E10value_typeEPNSM_ISH_E10value_typeEPSI_NS1_7vsmem_tEENKUlT_SG_SH_SI_E_clIS7_S7_SB_PlEESF_SV_SG_SH_SI_EUlSV_E0_NS1_11comp_targetILNS1_3genE10ELNS1_11target_archE1201ELNS1_3gpuE5ELNS1_3repE0EEENS1_38merge_mergepath_config_static_selectorELNS0_4arch9wavefront6targetE1EEEvSH_,comdat
	.protected	_ZN7rocprim17ROCPRIM_400000_NS6detail17trampoline_kernelINS0_14default_configENS1_38merge_sort_block_merge_config_selectorIdlEEZZNS1_27merge_sort_block_merge_implIS3_PdN6thrust23THRUST_200600_302600_NS10device_ptrIlEEjNS1_19radix_merge_compareILb0ELb0EdNS0_19identity_decomposerEEEEE10hipError_tT0_T1_T2_jT3_P12ihipStream_tbPNSt15iterator_traitsISG_E10value_typeEPNSM_ISH_E10value_typeEPSI_NS1_7vsmem_tEENKUlT_SG_SH_SI_E_clIS7_S7_SB_PlEESF_SV_SG_SH_SI_EUlSV_E0_NS1_11comp_targetILNS1_3genE10ELNS1_11target_archE1201ELNS1_3gpuE5ELNS1_3repE0EEENS1_38merge_mergepath_config_static_selectorELNS0_4arch9wavefront6targetE1EEEvSH_ ; -- Begin function _ZN7rocprim17ROCPRIM_400000_NS6detail17trampoline_kernelINS0_14default_configENS1_38merge_sort_block_merge_config_selectorIdlEEZZNS1_27merge_sort_block_merge_implIS3_PdN6thrust23THRUST_200600_302600_NS10device_ptrIlEEjNS1_19radix_merge_compareILb0ELb0EdNS0_19identity_decomposerEEEEE10hipError_tT0_T1_T2_jT3_P12ihipStream_tbPNSt15iterator_traitsISG_E10value_typeEPNSM_ISH_E10value_typeEPSI_NS1_7vsmem_tEENKUlT_SG_SH_SI_E_clIS7_S7_SB_PlEESF_SV_SG_SH_SI_EUlSV_E0_NS1_11comp_targetILNS1_3genE10ELNS1_11target_archE1201ELNS1_3gpuE5ELNS1_3repE0EEENS1_38merge_mergepath_config_static_selectorELNS0_4arch9wavefront6targetE1EEEvSH_
	.globl	_ZN7rocprim17ROCPRIM_400000_NS6detail17trampoline_kernelINS0_14default_configENS1_38merge_sort_block_merge_config_selectorIdlEEZZNS1_27merge_sort_block_merge_implIS3_PdN6thrust23THRUST_200600_302600_NS10device_ptrIlEEjNS1_19radix_merge_compareILb0ELb0EdNS0_19identity_decomposerEEEEE10hipError_tT0_T1_T2_jT3_P12ihipStream_tbPNSt15iterator_traitsISG_E10value_typeEPNSM_ISH_E10value_typeEPSI_NS1_7vsmem_tEENKUlT_SG_SH_SI_E_clIS7_S7_SB_PlEESF_SV_SG_SH_SI_EUlSV_E0_NS1_11comp_targetILNS1_3genE10ELNS1_11target_archE1201ELNS1_3gpuE5ELNS1_3repE0EEENS1_38merge_mergepath_config_static_selectorELNS0_4arch9wavefront6targetE1EEEvSH_
	.p2align	8
	.type	_ZN7rocprim17ROCPRIM_400000_NS6detail17trampoline_kernelINS0_14default_configENS1_38merge_sort_block_merge_config_selectorIdlEEZZNS1_27merge_sort_block_merge_implIS3_PdN6thrust23THRUST_200600_302600_NS10device_ptrIlEEjNS1_19radix_merge_compareILb0ELb0EdNS0_19identity_decomposerEEEEE10hipError_tT0_T1_T2_jT3_P12ihipStream_tbPNSt15iterator_traitsISG_E10value_typeEPNSM_ISH_E10value_typeEPSI_NS1_7vsmem_tEENKUlT_SG_SH_SI_E_clIS7_S7_SB_PlEESF_SV_SG_SH_SI_EUlSV_E0_NS1_11comp_targetILNS1_3genE10ELNS1_11target_archE1201ELNS1_3gpuE5ELNS1_3repE0EEENS1_38merge_mergepath_config_static_selectorELNS0_4arch9wavefront6targetE1EEEvSH_,@function
_ZN7rocprim17ROCPRIM_400000_NS6detail17trampoline_kernelINS0_14default_configENS1_38merge_sort_block_merge_config_selectorIdlEEZZNS1_27merge_sort_block_merge_implIS3_PdN6thrust23THRUST_200600_302600_NS10device_ptrIlEEjNS1_19radix_merge_compareILb0ELb0EdNS0_19identity_decomposerEEEEE10hipError_tT0_T1_T2_jT3_P12ihipStream_tbPNSt15iterator_traitsISG_E10value_typeEPNSM_ISH_E10value_typeEPSI_NS1_7vsmem_tEENKUlT_SG_SH_SI_E_clIS7_S7_SB_PlEESF_SV_SG_SH_SI_EUlSV_E0_NS1_11comp_targetILNS1_3genE10ELNS1_11target_archE1201ELNS1_3gpuE5ELNS1_3repE0EEENS1_38merge_mergepath_config_static_selectorELNS0_4arch9wavefront6targetE1EEEvSH_: ; @_ZN7rocprim17ROCPRIM_400000_NS6detail17trampoline_kernelINS0_14default_configENS1_38merge_sort_block_merge_config_selectorIdlEEZZNS1_27merge_sort_block_merge_implIS3_PdN6thrust23THRUST_200600_302600_NS10device_ptrIlEEjNS1_19radix_merge_compareILb0ELb0EdNS0_19identity_decomposerEEEEE10hipError_tT0_T1_T2_jT3_P12ihipStream_tbPNSt15iterator_traitsISG_E10value_typeEPNSM_ISH_E10value_typeEPSI_NS1_7vsmem_tEENKUlT_SG_SH_SI_E_clIS7_S7_SB_PlEESF_SV_SG_SH_SI_EUlSV_E0_NS1_11comp_targetILNS1_3genE10ELNS1_11target_archE1201ELNS1_3gpuE5ELNS1_3repE0EEENS1_38merge_mergepath_config_static_selectorELNS0_4arch9wavefront6targetE1EEEvSH_
; %bb.0:
	.section	.rodata,"a",@progbits
	.p2align	6, 0x0
	.amdhsa_kernel _ZN7rocprim17ROCPRIM_400000_NS6detail17trampoline_kernelINS0_14default_configENS1_38merge_sort_block_merge_config_selectorIdlEEZZNS1_27merge_sort_block_merge_implIS3_PdN6thrust23THRUST_200600_302600_NS10device_ptrIlEEjNS1_19radix_merge_compareILb0ELb0EdNS0_19identity_decomposerEEEEE10hipError_tT0_T1_T2_jT3_P12ihipStream_tbPNSt15iterator_traitsISG_E10value_typeEPNSM_ISH_E10value_typeEPSI_NS1_7vsmem_tEENKUlT_SG_SH_SI_E_clIS7_S7_SB_PlEESF_SV_SG_SH_SI_EUlSV_E0_NS1_11comp_targetILNS1_3genE10ELNS1_11target_archE1201ELNS1_3gpuE5ELNS1_3repE0EEENS1_38merge_mergepath_config_static_selectorELNS0_4arch9wavefront6targetE1EEEvSH_
		.amdhsa_group_segment_fixed_size 0
		.amdhsa_private_segment_fixed_size 0
		.amdhsa_kernarg_size 64
		.amdhsa_user_sgpr_count 6
		.amdhsa_user_sgpr_private_segment_buffer 1
		.amdhsa_user_sgpr_dispatch_ptr 0
		.amdhsa_user_sgpr_queue_ptr 0
		.amdhsa_user_sgpr_kernarg_segment_ptr 1
		.amdhsa_user_sgpr_dispatch_id 0
		.amdhsa_user_sgpr_flat_scratch_init 0
		.amdhsa_user_sgpr_private_segment_size 0
		.amdhsa_uses_dynamic_stack 0
		.amdhsa_system_sgpr_private_segment_wavefront_offset 0
		.amdhsa_system_sgpr_workgroup_id_x 1
		.amdhsa_system_sgpr_workgroup_id_y 0
		.amdhsa_system_sgpr_workgroup_id_z 0
		.amdhsa_system_sgpr_workgroup_info 0
		.amdhsa_system_vgpr_workitem_id 0
		.amdhsa_next_free_vgpr 1
		.amdhsa_next_free_sgpr 0
		.amdhsa_reserve_vcc 0
		.amdhsa_reserve_flat_scratch 0
		.amdhsa_float_round_mode_32 0
		.amdhsa_float_round_mode_16_64 0
		.amdhsa_float_denorm_mode_32 3
		.amdhsa_float_denorm_mode_16_64 3
		.amdhsa_dx10_clamp 1
		.amdhsa_ieee_mode 1
		.amdhsa_fp16_overflow 0
		.amdhsa_exception_fp_ieee_invalid_op 0
		.amdhsa_exception_fp_denorm_src 0
		.amdhsa_exception_fp_ieee_div_zero 0
		.amdhsa_exception_fp_ieee_overflow 0
		.amdhsa_exception_fp_ieee_underflow 0
		.amdhsa_exception_fp_ieee_inexact 0
		.amdhsa_exception_int_div_zero 0
	.end_amdhsa_kernel
	.section	.text._ZN7rocprim17ROCPRIM_400000_NS6detail17trampoline_kernelINS0_14default_configENS1_38merge_sort_block_merge_config_selectorIdlEEZZNS1_27merge_sort_block_merge_implIS3_PdN6thrust23THRUST_200600_302600_NS10device_ptrIlEEjNS1_19radix_merge_compareILb0ELb0EdNS0_19identity_decomposerEEEEE10hipError_tT0_T1_T2_jT3_P12ihipStream_tbPNSt15iterator_traitsISG_E10value_typeEPNSM_ISH_E10value_typeEPSI_NS1_7vsmem_tEENKUlT_SG_SH_SI_E_clIS7_S7_SB_PlEESF_SV_SG_SH_SI_EUlSV_E0_NS1_11comp_targetILNS1_3genE10ELNS1_11target_archE1201ELNS1_3gpuE5ELNS1_3repE0EEENS1_38merge_mergepath_config_static_selectorELNS0_4arch9wavefront6targetE1EEEvSH_,"axG",@progbits,_ZN7rocprim17ROCPRIM_400000_NS6detail17trampoline_kernelINS0_14default_configENS1_38merge_sort_block_merge_config_selectorIdlEEZZNS1_27merge_sort_block_merge_implIS3_PdN6thrust23THRUST_200600_302600_NS10device_ptrIlEEjNS1_19radix_merge_compareILb0ELb0EdNS0_19identity_decomposerEEEEE10hipError_tT0_T1_T2_jT3_P12ihipStream_tbPNSt15iterator_traitsISG_E10value_typeEPNSM_ISH_E10value_typeEPSI_NS1_7vsmem_tEENKUlT_SG_SH_SI_E_clIS7_S7_SB_PlEESF_SV_SG_SH_SI_EUlSV_E0_NS1_11comp_targetILNS1_3genE10ELNS1_11target_archE1201ELNS1_3gpuE5ELNS1_3repE0EEENS1_38merge_mergepath_config_static_selectorELNS0_4arch9wavefront6targetE1EEEvSH_,comdat
.Lfunc_end1575:
	.size	_ZN7rocprim17ROCPRIM_400000_NS6detail17trampoline_kernelINS0_14default_configENS1_38merge_sort_block_merge_config_selectorIdlEEZZNS1_27merge_sort_block_merge_implIS3_PdN6thrust23THRUST_200600_302600_NS10device_ptrIlEEjNS1_19radix_merge_compareILb0ELb0EdNS0_19identity_decomposerEEEEE10hipError_tT0_T1_T2_jT3_P12ihipStream_tbPNSt15iterator_traitsISG_E10value_typeEPNSM_ISH_E10value_typeEPSI_NS1_7vsmem_tEENKUlT_SG_SH_SI_E_clIS7_S7_SB_PlEESF_SV_SG_SH_SI_EUlSV_E0_NS1_11comp_targetILNS1_3genE10ELNS1_11target_archE1201ELNS1_3gpuE5ELNS1_3repE0EEENS1_38merge_mergepath_config_static_selectorELNS0_4arch9wavefront6targetE1EEEvSH_, .Lfunc_end1575-_ZN7rocprim17ROCPRIM_400000_NS6detail17trampoline_kernelINS0_14default_configENS1_38merge_sort_block_merge_config_selectorIdlEEZZNS1_27merge_sort_block_merge_implIS3_PdN6thrust23THRUST_200600_302600_NS10device_ptrIlEEjNS1_19radix_merge_compareILb0ELb0EdNS0_19identity_decomposerEEEEE10hipError_tT0_T1_T2_jT3_P12ihipStream_tbPNSt15iterator_traitsISG_E10value_typeEPNSM_ISH_E10value_typeEPSI_NS1_7vsmem_tEENKUlT_SG_SH_SI_E_clIS7_S7_SB_PlEESF_SV_SG_SH_SI_EUlSV_E0_NS1_11comp_targetILNS1_3genE10ELNS1_11target_archE1201ELNS1_3gpuE5ELNS1_3repE0EEENS1_38merge_mergepath_config_static_selectorELNS0_4arch9wavefront6targetE1EEEvSH_
                                        ; -- End function
	.set _ZN7rocprim17ROCPRIM_400000_NS6detail17trampoline_kernelINS0_14default_configENS1_38merge_sort_block_merge_config_selectorIdlEEZZNS1_27merge_sort_block_merge_implIS3_PdN6thrust23THRUST_200600_302600_NS10device_ptrIlEEjNS1_19radix_merge_compareILb0ELb0EdNS0_19identity_decomposerEEEEE10hipError_tT0_T1_T2_jT3_P12ihipStream_tbPNSt15iterator_traitsISG_E10value_typeEPNSM_ISH_E10value_typeEPSI_NS1_7vsmem_tEENKUlT_SG_SH_SI_E_clIS7_S7_SB_PlEESF_SV_SG_SH_SI_EUlSV_E0_NS1_11comp_targetILNS1_3genE10ELNS1_11target_archE1201ELNS1_3gpuE5ELNS1_3repE0EEENS1_38merge_mergepath_config_static_selectorELNS0_4arch9wavefront6targetE1EEEvSH_.num_vgpr, 0
	.set _ZN7rocprim17ROCPRIM_400000_NS6detail17trampoline_kernelINS0_14default_configENS1_38merge_sort_block_merge_config_selectorIdlEEZZNS1_27merge_sort_block_merge_implIS3_PdN6thrust23THRUST_200600_302600_NS10device_ptrIlEEjNS1_19radix_merge_compareILb0ELb0EdNS0_19identity_decomposerEEEEE10hipError_tT0_T1_T2_jT3_P12ihipStream_tbPNSt15iterator_traitsISG_E10value_typeEPNSM_ISH_E10value_typeEPSI_NS1_7vsmem_tEENKUlT_SG_SH_SI_E_clIS7_S7_SB_PlEESF_SV_SG_SH_SI_EUlSV_E0_NS1_11comp_targetILNS1_3genE10ELNS1_11target_archE1201ELNS1_3gpuE5ELNS1_3repE0EEENS1_38merge_mergepath_config_static_selectorELNS0_4arch9wavefront6targetE1EEEvSH_.num_agpr, 0
	.set _ZN7rocprim17ROCPRIM_400000_NS6detail17trampoline_kernelINS0_14default_configENS1_38merge_sort_block_merge_config_selectorIdlEEZZNS1_27merge_sort_block_merge_implIS3_PdN6thrust23THRUST_200600_302600_NS10device_ptrIlEEjNS1_19radix_merge_compareILb0ELb0EdNS0_19identity_decomposerEEEEE10hipError_tT0_T1_T2_jT3_P12ihipStream_tbPNSt15iterator_traitsISG_E10value_typeEPNSM_ISH_E10value_typeEPSI_NS1_7vsmem_tEENKUlT_SG_SH_SI_E_clIS7_S7_SB_PlEESF_SV_SG_SH_SI_EUlSV_E0_NS1_11comp_targetILNS1_3genE10ELNS1_11target_archE1201ELNS1_3gpuE5ELNS1_3repE0EEENS1_38merge_mergepath_config_static_selectorELNS0_4arch9wavefront6targetE1EEEvSH_.numbered_sgpr, 0
	.set _ZN7rocprim17ROCPRIM_400000_NS6detail17trampoline_kernelINS0_14default_configENS1_38merge_sort_block_merge_config_selectorIdlEEZZNS1_27merge_sort_block_merge_implIS3_PdN6thrust23THRUST_200600_302600_NS10device_ptrIlEEjNS1_19radix_merge_compareILb0ELb0EdNS0_19identity_decomposerEEEEE10hipError_tT0_T1_T2_jT3_P12ihipStream_tbPNSt15iterator_traitsISG_E10value_typeEPNSM_ISH_E10value_typeEPSI_NS1_7vsmem_tEENKUlT_SG_SH_SI_E_clIS7_S7_SB_PlEESF_SV_SG_SH_SI_EUlSV_E0_NS1_11comp_targetILNS1_3genE10ELNS1_11target_archE1201ELNS1_3gpuE5ELNS1_3repE0EEENS1_38merge_mergepath_config_static_selectorELNS0_4arch9wavefront6targetE1EEEvSH_.num_named_barrier, 0
	.set _ZN7rocprim17ROCPRIM_400000_NS6detail17trampoline_kernelINS0_14default_configENS1_38merge_sort_block_merge_config_selectorIdlEEZZNS1_27merge_sort_block_merge_implIS3_PdN6thrust23THRUST_200600_302600_NS10device_ptrIlEEjNS1_19radix_merge_compareILb0ELb0EdNS0_19identity_decomposerEEEEE10hipError_tT0_T1_T2_jT3_P12ihipStream_tbPNSt15iterator_traitsISG_E10value_typeEPNSM_ISH_E10value_typeEPSI_NS1_7vsmem_tEENKUlT_SG_SH_SI_E_clIS7_S7_SB_PlEESF_SV_SG_SH_SI_EUlSV_E0_NS1_11comp_targetILNS1_3genE10ELNS1_11target_archE1201ELNS1_3gpuE5ELNS1_3repE0EEENS1_38merge_mergepath_config_static_selectorELNS0_4arch9wavefront6targetE1EEEvSH_.private_seg_size, 0
	.set _ZN7rocprim17ROCPRIM_400000_NS6detail17trampoline_kernelINS0_14default_configENS1_38merge_sort_block_merge_config_selectorIdlEEZZNS1_27merge_sort_block_merge_implIS3_PdN6thrust23THRUST_200600_302600_NS10device_ptrIlEEjNS1_19radix_merge_compareILb0ELb0EdNS0_19identity_decomposerEEEEE10hipError_tT0_T1_T2_jT3_P12ihipStream_tbPNSt15iterator_traitsISG_E10value_typeEPNSM_ISH_E10value_typeEPSI_NS1_7vsmem_tEENKUlT_SG_SH_SI_E_clIS7_S7_SB_PlEESF_SV_SG_SH_SI_EUlSV_E0_NS1_11comp_targetILNS1_3genE10ELNS1_11target_archE1201ELNS1_3gpuE5ELNS1_3repE0EEENS1_38merge_mergepath_config_static_selectorELNS0_4arch9wavefront6targetE1EEEvSH_.uses_vcc, 0
	.set _ZN7rocprim17ROCPRIM_400000_NS6detail17trampoline_kernelINS0_14default_configENS1_38merge_sort_block_merge_config_selectorIdlEEZZNS1_27merge_sort_block_merge_implIS3_PdN6thrust23THRUST_200600_302600_NS10device_ptrIlEEjNS1_19radix_merge_compareILb0ELb0EdNS0_19identity_decomposerEEEEE10hipError_tT0_T1_T2_jT3_P12ihipStream_tbPNSt15iterator_traitsISG_E10value_typeEPNSM_ISH_E10value_typeEPSI_NS1_7vsmem_tEENKUlT_SG_SH_SI_E_clIS7_S7_SB_PlEESF_SV_SG_SH_SI_EUlSV_E0_NS1_11comp_targetILNS1_3genE10ELNS1_11target_archE1201ELNS1_3gpuE5ELNS1_3repE0EEENS1_38merge_mergepath_config_static_selectorELNS0_4arch9wavefront6targetE1EEEvSH_.uses_flat_scratch, 0
	.set _ZN7rocprim17ROCPRIM_400000_NS6detail17trampoline_kernelINS0_14default_configENS1_38merge_sort_block_merge_config_selectorIdlEEZZNS1_27merge_sort_block_merge_implIS3_PdN6thrust23THRUST_200600_302600_NS10device_ptrIlEEjNS1_19radix_merge_compareILb0ELb0EdNS0_19identity_decomposerEEEEE10hipError_tT0_T1_T2_jT3_P12ihipStream_tbPNSt15iterator_traitsISG_E10value_typeEPNSM_ISH_E10value_typeEPSI_NS1_7vsmem_tEENKUlT_SG_SH_SI_E_clIS7_S7_SB_PlEESF_SV_SG_SH_SI_EUlSV_E0_NS1_11comp_targetILNS1_3genE10ELNS1_11target_archE1201ELNS1_3gpuE5ELNS1_3repE0EEENS1_38merge_mergepath_config_static_selectorELNS0_4arch9wavefront6targetE1EEEvSH_.has_dyn_sized_stack, 0
	.set _ZN7rocprim17ROCPRIM_400000_NS6detail17trampoline_kernelINS0_14default_configENS1_38merge_sort_block_merge_config_selectorIdlEEZZNS1_27merge_sort_block_merge_implIS3_PdN6thrust23THRUST_200600_302600_NS10device_ptrIlEEjNS1_19radix_merge_compareILb0ELb0EdNS0_19identity_decomposerEEEEE10hipError_tT0_T1_T2_jT3_P12ihipStream_tbPNSt15iterator_traitsISG_E10value_typeEPNSM_ISH_E10value_typeEPSI_NS1_7vsmem_tEENKUlT_SG_SH_SI_E_clIS7_S7_SB_PlEESF_SV_SG_SH_SI_EUlSV_E0_NS1_11comp_targetILNS1_3genE10ELNS1_11target_archE1201ELNS1_3gpuE5ELNS1_3repE0EEENS1_38merge_mergepath_config_static_selectorELNS0_4arch9wavefront6targetE1EEEvSH_.has_recursion, 0
	.set _ZN7rocprim17ROCPRIM_400000_NS6detail17trampoline_kernelINS0_14default_configENS1_38merge_sort_block_merge_config_selectorIdlEEZZNS1_27merge_sort_block_merge_implIS3_PdN6thrust23THRUST_200600_302600_NS10device_ptrIlEEjNS1_19radix_merge_compareILb0ELb0EdNS0_19identity_decomposerEEEEE10hipError_tT0_T1_T2_jT3_P12ihipStream_tbPNSt15iterator_traitsISG_E10value_typeEPNSM_ISH_E10value_typeEPSI_NS1_7vsmem_tEENKUlT_SG_SH_SI_E_clIS7_S7_SB_PlEESF_SV_SG_SH_SI_EUlSV_E0_NS1_11comp_targetILNS1_3genE10ELNS1_11target_archE1201ELNS1_3gpuE5ELNS1_3repE0EEENS1_38merge_mergepath_config_static_selectorELNS0_4arch9wavefront6targetE1EEEvSH_.has_indirect_call, 0
	.section	.AMDGPU.csdata,"",@progbits
; Kernel info:
; codeLenInByte = 0
; TotalNumSgprs: 4
; NumVgprs: 0
; ScratchSize: 0
; MemoryBound: 0
; FloatMode: 240
; IeeeMode: 1
; LDSByteSize: 0 bytes/workgroup (compile time only)
; SGPRBlocks: 0
; VGPRBlocks: 0
; NumSGPRsForWavesPerEU: 4
; NumVGPRsForWavesPerEU: 1
; Occupancy: 10
; WaveLimiterHint : 0
; COMPUTE_PGM_RSRC2:SCRATCH_EN: 0
; COMPUTE_PGM_RSRC2:USER_SGPR: 6
; COMPUTE_PGM_RSRC2:TRAP_HANDLER: 0
; COMPUTE_PGM_RSRC2:TGID_X_EN: 1
; COMPUTE_PGM_RSRC2:TGID_Y_EN: 0
; COMPUTE_PGM_RSRC2:TGID_Z_EN: 0
; COMPUTE_PGM_RSRC2:TIDIG_COMP_CNT: 0
	.section	.text._ZN7rocprim17ROCPRIM_400000_NS6detail17trampoline_kernelINS0_14default_configENS1_38merge_sort_block_merge_config_selectorIdlEEZZNS1_27merge_sort_block_merge_implIS3_PdN6thrust23THRUST_200600_302600_NS10device_ptrIlEEjNS1_19radix_merge_compareILb0ELb0EdNS0_19identity_decomposerEEEEE10hipError_tT0_T1_T2_jT3_P12ihipStream_tbPNSt15iterator_traitsISG_E10value_typeEPNSM_ISH_E10value_typeEPSI_NS1_7vsmem_tEENKUlT_SG_SH_SI_E_clIS7_S7_SB_PlEESF_SV_SG_SH_SI_EUlSV_E0_NS1_11comp_targetILNS1_3genE5ELNS1_11target_archE942ELNS1_3gpuE9ELNS1_3repE0EEENS1_38merge_mergepath_config_static_selectorELNS0_4arch9wavefront6targetE1EEEvSH_,"axG",@progbits,_ZN7rocprim17ROCPRIM_400000_NS6detail17trampoline_kernelINS0_14default_configENS1_38merge_sort_block_merge_config_selectorIdlEEZZNS1_27merge_sort_block_merge_implIS3_PdN6thrust23THRUST_200600_302600_NS10device_ptrIlEEjNS1_19radix_merge_compareILb0ELb0EdNS0_19identity_decomposerEEEEE10hipError_tT0_T1_T2_jT3_P12ihipStream_tbPNSt15iterator_traitsISG_E10value_typeEPNSM_ISH_E10value_typeEPSI_NS1_7vsmem_tEENKUlT_SG_SH_SI_E_clIS7_S7_SB_PlEESF_SV_SG_SH_SI_EUlSV_E0_NS1_11comp_targetILNS1_3genE5ELNS1_11target_archE942ELNS1_3gpuE9ELNS1_3repE0EEENS1_38merge_mergepath_config_static_selectorELNS0_4arch9wavefront6targetE1EEEvSH_,comdat
	.protected	_ZN7rocprim17ROCPRIM_400000_NS6detail17trampoline_kernelINS0_14default_configENS1_38merge_sort_block_merge_config_selectorIdlEEZZNS1_27merge_sort_block_merge_implIS3_PdN6thrust23THRUST_200600_302600_NS10device_ptrIlEEjNS1_19radix_merge_compareILb0ELb0EdNS0_19identity_decomposerEEEEE10hipError_tT0_T1_T2_jT3_P12ihipStream_tbPNSt15iterator_traitsISG_E10value_typeEPNSM_ISH_E10value_typeEPSI_NS1_7vsmem_tEENKUlT_SG_SH_SI_E_clIS7_S7_SB_PlEESF_SV_SG_SH_SI_EUlSV_E0_NS1_11comp_targetILNS1_3genE5ELNS1_11target_archE942ELNS1_3gpuE9ELNS1_3repE0EEENS1_38merge_mergepath_config_static_selectorELNS0_4arch9wavefront6targetE1EEEvSH_ ; -- Begin function _ZN7rocprim17ROCPRIM_400000_NS6detail17trampoline_kernelINS0_14default_configENS1_38merge_sort_block_merge_config_selectorIdlEEZZNS1_27merge_sort_block_merge_implIS3_PdN6thrust23THRUST_200600_302600_NS10device_ptrIlEEjNS1_19radix_merge_compareILb0ELb0EdNS0_19identity_decomposerEEEEE10hipError_tT0_T1_T2_jT3_P12ihipStream_tbPNSt15iterator_traitsISG_E10value_typeEPNSM_ISH_E10value_typeEPSI_NS1_7vsmem_tEENKUlT_SG_SH_SI_E_clIS7_S7_SB_PlEESF_SV_SG_SH_SI_EUlSV_E0_NS1_11comp_targetILNS1_3genE5ELNS1_11target_archE942ELNS1_3gpuE9ELNS1_3repE0EEENS1_38merge_mergepath_config_static_selectorELNS0_4arch9wavefront6targetE1EEEvSH_
	.globl	_ZN7rocprim17ROCPRIM_400000_NS6detail17trampoline_kernelINS0_14default_configENS1_38merge_sort_block_merge_config_selectorIdlEEZZNS1_27merge_sort_block_merge_implIS3_PdN6thrust23THRUST_200600_302600_NS10device_ptrIlEEjNS1_19radix_merge_compareILb0ELb0EdNS0_19identity_decomposerEEEEE10hipError_tT0_T1_T2_jT3_P12ihipStream_tbPNSt15iterator_traitsISG_E10value_typeEPNSM_ISH_E10value_typeEPSI_NS1_7vsmem_tEENKUlT_SG_SH_SI_E_clIS7_S7_SB_PlEESF_SV_SG_SH_SI_EUlSV_E0_NS1_11comp_targetILNS1_3genE5ELNS1_11target_archE942ELNS1_3gpuE9ELNS1_3repE0EEENS1_38merge_mergepath_config_static_selectorELNS0_4arch9wavefront6targetE1EEEvSH_
	.p2align	8
	.type	_ZN7rocprim17ROCPRIM_400000_NS6detail17trampoline_kernelINS0_14default_configENS1_38merge_sort_block_merge_config_selectorIdlEEZZNS1_27merge_sort_block_merge_implIS3_PdN6thrust23THRUST_200600_302600_NS10device_ptrIlEEjNS1_19radix_merge_compareILb0ELb0EdNS0_19identity_decomposerEEEEE10hipError_tT0_T1_T2_jT3_P12ihipStream_tbPNSt15iterator_traitsISG_E10value_typeEPNSM_ISH_E10value_typeEPSI_NS1_7vsmem_tEENKUlT_SG_SH_SI_E_clIS7_S7_SB_PlEESF_SV_SG_SH_SI_EUlSV_E0_NS1_11comp_targetILNS1_3genE5ELNS1_11target_archE942ELNS1_3gpuE9ELNS1_3repE0EEENS1_38merge_mergepath_config_static_selectorELNS0_4arch9wavefront6targetE1EEEvSH_,@function
_ZN7rocprim17ROCPRIM_400000_NS6detail17trampoline_kernelINS0_14default_configENS1_38merge_sort_block_merge_config_selectorIdlEEZZNS1_27merge_sort_block_merge_implIS3_PdN6thrust23THRUST_200600_302600_NS10device_ptrIlEEjNS1_19radix_merge_compareILb0ELb0EdNS0_19identity_decomposerEEEEE10hipError_tT0_T1_T2_jT3_P12ihipStream_tbPNSt15iterator_traitsISG_E10value_typeEPNSM_ISH_E10value_typeEPSI_NS1_7vsmem_tEENKUlT_SG_SH_SI_E_clIS7_S7_SB_PlEESF_SV_SG_SH_SI_EUlSV_E0_NS1_11comp_targetILNS1_3genE5ELNS1_11target_archE942ELNS1_3gpuE9ELNS1_3repE0EEENS1_38merge_mergepath_config_static_selectorELNS0_4arch9wavefront6targetE1EEEvSH_: ; @_ZN7rocprim17ROCPRIM_400000_NS6detail17trampoline_kernelINS0_14default_configENS1_38merge_sort_block_merge_config_selectorIdlEEZZNS1_27merge_sort_block_merge_implIS3_PdN6thrust23THRUST_200600_302600_NS10device_ptrIlEEjNS1_19radix_merge_compareILb0ELb0EdNS0_19identity_decomposerEEEEE10hipError_tT0_T1_T2_jT3_P12ihipStream_tbPNSt15iterator_traitsISG_E10value_typeEPNSM_ISH_E10value_typeEPSI_NS1_7vsmem_tEENKUlT_SG_SH_SI_E_clIS7_S7_SB_PlEESF_SV_SG_SH_SI_EUlSV_E0_NS1_11comp_targetILNS1_3genE5ELNS1_11target_archE942ELNS1_3gpuE9ELNS1_3repE0EEENS1_38merge_mergepath_config_static_selectorELNS0_4arch9wavefront6targetE1EEEvSH_
; %bb.0:
	.section	.rodata,"a",@progbits
	.p2align	6, 0x0
	.amdhsa_kernel _ZN7rocprim17ROCPRIM_400000_NS6detail17trampoline_kernelINS0_14default_configENS1_38merge_sort_block_merge_config_selectorIdlEEZZNS1_27merge_sort_block_merge_implIS3_PdN6thrust23THRUST_200600_302600_NS10device_ptrIlEEjNS1_19radix_merge_compareILb0ELb0EdNS0_19identity_decomposerEEEEE10hipError_tT0_T1_T2_jT3_P12ihipStream_tbPNSt15iterator_traitsISG_E10value_typeEPNSM_ISH_E10value_typeEPSI_NS1_7vsmem_tEENKUlT_SG_SH_SI_E_clIS7_S7_SB_PlEESF_SV_SG_SH_SI_EUlSV_E0_NS1_11comp_targetILNS1_3genE5ELNS1_11target_archE942ELNS1_3gpuE9ELNS1_3repE0EEENS1_38merge_mergepath_config_static_selectorELNS0_4arch9wavefront6targetE1EEEvSH_
		.amdhsa_group_segment_fixed_size 0
		.amdhsa_private_segment_fixed_size 0
		.amdhsa_kernarg_size 64
		.amdhsa_user_sgpr_count 6
		.amdhsa_user_sgpr_private_segment_buffer 1
		.amdhsa_user_sgpr_dispatch_ptr 0
		.amdhsa_user_sgpr_queue_ptr 0
		.amdhsa_user_sgpr_kernarg_segment_ptr 1
		.amdhsa_user_sgpr_dispatch_id 0
		.amdhsa_user_sgpr_flat_scratch_init 0
		.amdhsa_user_sgpr_private_segment_size 0
		.amdhsa_uses_dynamic_stack 0
		.amdhsa_system_sgpr_private_segment_wavefront_offset 0
		.amdhsa_system_sgpr_workgroup_id_x 1
		.amdhsa_system_sgpr_workgroup_id_y 0
		.amdhsa_system_sgpr_workgroup_id_z 0
		.amdhsa_system_sgpr_workgroup_info 0
		.amdhsa_system_vgpr_workitem_id 0
		.amdhsa_next_free_vgpr 1
		.amdhsa_next_free_sgpr 0
		.amdhsa_reserve_vcc 0
		.amdhsa_reserve_flat_scratch 0
		.amdhsa_float_round_mode_32 0
		.amdhsa_float_round_mode_16_64 0
		.amdhsa_float_denorm_mode_32 3
		.amdhsa_float_denorm_mode_16_64 3
		.amdhsa_dx10_clamp 1
		.amdhsa_ieee_mode 1
		.amdhsa_fp16_overflow 0
		.amdhsa_exception_fp_ieee_invalid_op 0
		.amdhsa_exception_fp_denorm_src 0
		.amdhsa_exception_fp_ieee_div_zero 0
		.amdhsa_exception_fp_ieee_overflow 0
		.amdhsa_exception_fp_ieee_underflow 0
		.amdhsa_exception_fp_ieee_inexact 0
		.amdhsa_exception_int_div_zero 0
	.end_amdhsa_kernel
	.section	.text._ZN7rocprim17ROCPRIM_400000_NS6detail17trampoline_kernelINS0_14default_configENS1_38merge_sort_block_merge_config_selectorIdlEEZZNS1_27merge_sort_block_merge_implIS3_PdN6thrust23THRUST_200600_302600_NS10device_ptrIlEEjNS1_19radix_merge_compareILb0ELb0EdNS0_19identity_decomposerEEEEE10hipError_tT0_T1_T2_jT3_P12ihipStream_tbPNSt15iterator_traitsISG_E10value_typeEPNSM_ISH_E10value_typeEPSI_NS1_7vsmem_tEENKUlT_SG_SH_SI_E_clIS7_S7_SB_PlEESF_SV_SG_SH_SI_EUlSV_E0_NS1_11comp_targetILNS1_3genE5ELNS1_11target_archE942ELNS1_3gpuE9ELNS1_3repE0EEENS1_38merge_mergepath_config_static_selectorELNS0_4arch9wavefront6targetE1EEEvSH_,"axG",@progbits,_ZN7rocprim17ROCPRIM_400000_NS6detail17trampoline_kernelINS0_14default_configENS1_38merge_sort_block_merge_config_selectorIdlEEZZNS1_27merge_sort_block_merge_implIS3_PdN6thrust23THRUST_200600_302600_NS10device_ptrIlEEjNS1_19radix_merge_compareILb0ELb0EdNS0_19identity_decomposerEEEEE10hipError_tT0_T1_T2_jT3_P12ihipStream_tbPNSt15iterator_traitsISG_E10value_typeEPNSM_ISH_E10value_typeEPSI_NS1_7vsmem_tEENKUlT_SG_SH_SI_E_clIS7_S7_SB_PlEESF_SV_SG_SH_SI_EUlSV_E0_NS1_11comp_targetILNS1_3genE5ELNS1_11target_archE942ELNS1_3gpuE9ELNS1_3repE0EEENS1_38merge_mergepath_config_static_selectorELNS0_4arch9wavefront6targetE1EEEvSH_,comdat
.Lfunc_end1576:
	.size	_ZN7rocprim17ROCPRIM_400000_NS6detail17trampoline_kernelINS0_14default_configENS1_38merge_sort_block_merge_config_selectorIdlEEZZNS1_27merge_sort_block_merge_implIS3_PdN6thrust23THRUST_200600_302600_NS10device_ptrIlEEjNS1_19radix_merge_compareILb0ELb0EdNS0_19identity_decomposerEEEEE10hipError_tT0_T1_T2_jT3_P12ihipStream_tbPNSt15iterator_traitsISG_E10value_typeEPNSM_ISH_E10value_typeEPSI_NS1_7vsmem_tEENKUlT_SG_SH_SI_E_clIS7_S7_SB_PlEESF_SV_SG_SH_SI_EUlSV_E0_NS1_11comp_targetILNS1_3genE5ELNS1_11target_archE942ELNS1_3gpuE9ELNS1_3repE0EEENS1_38merge_mergepath_config_static_selectorELNS0_4arch9wavefront6targetE1EEEvSH_, .Lfunc_end1576-_ZN7rocprim17ROCPRIM_400000_NS6detail17trampoline_kernelINS0_14default_configENS1_38merge_sort_block_merge_config_selectorIdlEEZZNS1_27merge_sort_block_merge_implIS3_PdN6thrust23THRUST_200600_302600_NS10device_ptrIlEEjNS1_19radix_merge_compareILb0ELb0EdNS0_19identity_decomposerEEEEE10hipError_tT0_T1_T2_jT3_P12ihipStream_tbPNSt15iterator_traitsISG_E10value_typeEPNSM_ISH_E10value_typeEPSI_NS1_7vsmem_tEENKUlT_SG_SH_SI_E_clIS7_S7_SB_PlEESF_SV_SG_SH_SI_EUlSV_E0_NS1_11comp_targetILNS1_3genE5ELNS1_11target_archE942ELNS1_3gpuE9ELNS1_3repE0EEENS1_38merge_mergepath_config_static_selectorELNS0_4arch9wavefront6targetE1EEEvSH_
                                        ; -- End function
	.set _ZN7rocprim17ROCPRIM_400000_NS6detail17trampoline_kernelINS0_14default_configENS1_38merge_sort_block_merge_config_selectorIdlEEZZNS1_27merge_sort_block_merge_implIS3_PdN6thrust23THRUST_200600_302600_NS10device_ptrIlEEjNS1_19radix_merge_compareILb0ELb0EdNS0_19identity_decomposerEEEEE10hipError_tT0_T1_T2_jT3_P12ihipStream_tbPNSt15iterator_traitsISG_E10value_typeEPNSM_ISH_E10value_typeEPSI_NS1_7vsmem_tEENKUlT_SG_SH_SI_E_clIS7_S7_SB_PlEESF_SV_SG_SH_SI_EUlSV_E0_NS1_11comp_targetILNS1_3genE5ELNS1_11target_archE942ELNS1_3gpuE9ELNS1_3repE0EEENS1_38merge_mergepath_config_static_selectorELNS0_4arch9wavefront6targetE1EEEvSH_.num_vgpr, 0
	.set _ZN7rocprim17ROCPRIM_400000_NS6detail17trampoline_kernelINS0_14default_configENS1_38merge_sort_block_merge_config_selectorIdlEEZZNS1_27merge_sort_block_merge_implIS3_PdN6thrust23THRUST_200600_302600_NS10device_ptrIlEEjNS1_19radix_merge_compareILb0ELb0EdNS0_19identity_decomposerEEEEE10hipError_tT0_T1_T2_jT3_P12ihipStream_tbPNSt15iterator_traitsISG_E10value_typeEPNSM_ISH_E10value_typeEPSI_NS1_7vsmem_tEENKUlT_SG_SH_SI_E_clIS7_S7_SB_PlEESF_SV_SG_SH_SI_EUlSV_E0_NS1_11comp_targetILNS1_3genE5ELNS1_11target_archE942ELNS1_3gpuE9ELNS1_3repE0EEENS1_38merge_mergepath_config_static_selectorELNS0_4arch9wavefront6targetE1EEEvSH_.num_agpr, 0
	.set _ZN7rocprim17ROCPRIM_400000_NS6detail17trampoline_kernelINS0_14default_configENS1_38merge_sort_block_merge_config_selectorIdlEEZZNS1_27merge_sort_block_merge_implIS3_PdN6thrust23THRUST_200600_302600_NS10device_ptrIlEEjNS1_19radix_merge_compareILb0ELb0EdNS0_19identity_decomposerEEEEE10hipError_tT0_T1_T2_jT3_P12ihipStream_tbPNSt15iterator_traitsISG_E10value_typeEPNSM_ISH_E10value_typeEPSI_NS1_7vsmem_tEENKUlT_SG_SH_SI_E_clIS7_S7_SB_PlEESF_SV_SG_SH_SI_EUlSV_E0_NS1_11comp_targetILNS1_3genE5ELNS1_11target_archE942ELNS1_3gpuE9ELNS1_3repE0EEENS1_38merge_mergepath_config_static_selectorELNS0_4arch9wavefront6targetE1EEEvSH_.numbered_sgpr, 0
	.set _ZN7rocprim17ROCPRIM_400000_NS6detail17trampoline_kernelINS0_14default_configENS1_38merge_sort_block_merge_config_selectorIdlEEZZNS1_27merge_sort_block_merge_implIS3_PdN6thrust23THRUST_200600_302600_NS10device_ptrIlEEjNS1_19radix_merge_compareILb0ELb0EdNS0_19identity_decomposerEEEEE10hipError_tT0_T1_T2_jT3_P12ihipStream_tbPNSt15iterator_traitsISG_E10value_typeEPNSM_ISH_E10value_typeEPSI_NS1_7vsmem_tEENKUlT_SG_SH_SI_E_clIS7_S7_SB_PlEESF_SV_SG_SH_SI_EUlSV_E0_NS1_11comp_targetILNS1_3genE5ELNS1_11target_archE942ELNS1_3gpuE9ELNS1_3repE0EEENS1_38merge_mergepath_config_static_selectorELNS0_4arch9wavefront6targetE1EEEvSH_.num_named_barrier, 0
	.set _ZN7rocprim17ROCPRIM_400000_NS6detail17trampoline_kernelINS0_14default_configENS1_38merge_sort_block_merge_config_selectorIdlEEZZNS1_27merge_sort_block_merge_implIS3_PdN6thrust23THRUST_200600_302600_NS10device_ptrIlEEjNS1_19radix_merge_compareILb0ELb0EdNS0_19identity_decomposerEEEEE10hipError_tT0_T1_T2_jT3_P12ihipStream_tbPNSt15iterator_traitsISG_E10value_typeEPNSM_ISH_E10value_typeEPSI_NS1_7vsmem_tEENKUlT_SG_SH_SI_E_clIS7_S7_SB_PlEESF_SV_SG_SH_SI_EUlSV_E0_NS1_11comp_targetILNS1_3genE5ELNS1_11target_archE942ELNS1_3gpuE9ELNS1_3repE0EEENS1_38merge_mergepath_config_static_selectorELNS0_4arch9wavefront6targetE1EEEvSH_.private_seg_size, 0
	.set _ZN7rocprim17ROCPRIM_400000_NS6detail17trampoline_kernelINS0_14default_configENS1_38merge_sort_block_merge_config_selectorIdlEEZZNS1_27merge_sort_block_merge_implIS3_PdN6thrust23THRUST_200600_302600_NS10device_ptrIlEEjNS1_19radix_merge_compareILb0ELb0EdNS0_19identity_decomposerEEEEE10hipError_tT0_T1_T2_jT3_P12ihipStream_tbPNSt15iterator_traitsISG_E10value_typeEPNSM_ISH_E10value_typeEPSI_NS1_7vsmem_tEENKUlT_SG_SH_SI_E_clIS7_S7_SB_PlEESF_SV_SG_SH_SI_EUlSV_E0_NS1_11comp_targetILNS1_3genE5ELNS1_11target_archE942ELNS1_3gpuE9ELNS1_3repE0EEENS1_38merge_mergepath_config_static_selectorELNS0_4arch9wavefront6targetE1EEEvSH_.uses_vcc, 0
	.set _ZN7rocprim17ROCPRIM_400000_NS6detail17trampoline_kernelINS0_14default_configENS1_38merge_sort_block_merge_config_selectorIdlEEZZNS1_27merge_sort_block_merge_implIS3_PdN6thrust23THRUST_200600_302600_NS10device_ptrIlEEjNS1_19radix_merge_compareILb0ELb0EdNS0_19identity_decomposerEEEEE10hipError_tT0_T1_T2_jT3_P12ihipStream_tbPNSt15iterator_traitsISG_E10value_typeEPNSM_ISH_E10value_typeEPSI_NS1_7vsmem_tEENKUlT_SG_SH_SI_E_clIS7_S7_SB_PlEESF_SV_SG_SH_SI_EUlSV_E0_NS1_11comp_targetILNS1_3genE5ELNS1_11target_archE942ELNS1_3gpuE9ELNS1_3repE0EEENS1_38merge_mergepath_config_static_selectorELNS0_4arch9wavefront6targetE1EEEvSH_.uses_flat_scratch, 0
	.set _ZN7rocprim17ROCPRIM_400000_NS6detail17trampoline_kernelINS0_14default_configENS1_38merge_sort_block_merge_config_selectorIdlEEZZNS1_27merge_sort_block_merge_implIS3_PdN6thrust23THRUST_200600_302600_NS10device_ptrIlEEjNS1_19radix_merge_compareILb0ELb0EdNS0_19identity_decomposerEEEEE10hipError_tT0_T1_T2_jT3_P12ihipStream_tbPNSt15iterator_traitsISG_E10value_typeEPNSM_ISH_E10value_typeEPSI_NS1_7vsmem_tEENKUlT_SG_SH_SI_E_clIS7_S7_SB_PlEESF_SV_SG_SH_SI_EUlSV_E0_NS1_11comp_targetILNS1_3genE5ELNS1_11target_archE942ELNS1_3gpuE9ELNS1_3repE0EEENS1_38merge_mergepath_config_static_selectorELNS0_4arch9wavefront6targetE1EEEvSH_.has_dyn_sized_stack, 0
	.set _ZN7rocprim17ROCPRIM_400000_NS6detail17trampoline_kernelINS0_14default_configENS1_38merge_sort_block_merge_config_selectorIdlEEZZNS1_27merge_sort_block_merge_implIS3_PdN6thrust23THRUST_200600_302600_NS10device_ptrIlEEjNS1_19radix_merge_compareILb0ELb0EdNS0_19identity_decomposerEEEEE10hipError_tT0_T1_T2_jT3_P12ihipStream_tbPNSt15iterator_traitsISG_E10value_typeEPNSM_ISH_E10value_typeEPSI_NS1_7vsmem_tEENKUlT_SG_SH_SI_E_clIS7_S7_SB_PlEESF_SV_SG_SH_SI_EUlSV_E0_NS1_11comp_targetILNS1_3genE5ELNS1_11target_archE942ELNS1_3gpuE9ELNS1_3repE0EEENS1_38merge_mergepath_config_static_selectorELNS0_4arch9wavefront6targetE1EEEvSH_.has_recursion, 0
	.set _ZN7rocprim17ROCPRIM_400000_NS6detail17trampoline_kernelINS0_14default_configENS1_38merge_sort_block_merge_config_selectorIdlEEZZNS1_27merge_sort_block_merge_implIS3_PdN6thrust23THRUST_200600_302600_NS10device_ptrIlEEjNS1_19radix_merge_compareILb0ELb0EdNS0_19identity_decomposerEEEEE10hipError_tT0_T1_T2_jT3_P12ihipStream_tbPNSt15iterator_traitsISG_E10value_typeEPNSM_ISH_E10value_typeEPSI_NS1_7vsmem_tEENKUlT_SG_SH_SI_E_clIS7_S7_SB_PlEESF_SV_SG_SH_SI_EUlSV_E0_NS1_11comp_targetILNS1_3genE5ELNS1_11target_archE942ELNS1_3gpuE9ELNS1_3repE0EEENS1_38merge_mergepath_config_static_selectorELNS0_4arch9wavefront6targetE1EEEvSH_.has_indirect_call, 0
	.section	.AMDGPU.csdata,"",@progbits
; Kernel info:
; codeLenInByte = 0
; TotalNumSgprs: 4
; NumVgprs: 0
; ScratchSize: 0
; MemoryBound: 0
; FloatMode: 240
; IeeeMode: 1
; LDSByteSize: 0 bytes/workgroup (compile time only)
; SGPRBlocks: 0
; VGPRBlocks: 0
; NumSGPRsForWavesPerEU: 4
; NumVGPRsForWavesPerEU: 1
; Occupancy: 10
; WaveLimiterHint : 0
; COMPUTE_PGM_RSRC2:SCRATCH_EN: 0
; COMPUTE_PGM_RSRC2:USER_SGPR: 6
; COMPUTE_PGM_RSRC2:TRAP_HANDLER: 0
; COMPUTE_PGM_RSRC2:TGID_X_EN: 1
; COMPUTE_PGM_RSRC2:TGID_Y_EN: 0
; COMPUTE_PGM_RSRC2:TGID_Z_EN: 0
; COMPUTE_PGM_RSRC2:TIDIG_COMP_CNT: 0
	.section	.text._ZN7rocprim17ROCPRIM_400000_NS6detail17trampoline_kernelINS0_14default_configENS1_38merge_sort_block_merge_config_selectorIdlEEZZNS1_27merge_sort_block_merge_implIS3_PdN6thrust23THRUST_200600_302600_NS10device_ptrIlEEjNS1_19radix_merge_compareILb0ELb0EdNS0_19identity_decomposerEEEEE10hipError_tT0_T1_T2_jT3_P12ihipStream_tbPNSt15iterator_traitsISG_E10value_typeEPNSM_ISH_E10value_typeEPSI_NS1_7vsmem_tEENKUlT_SG_SH_SI_E_clIS7_S7_SB_PlEESF_SV_SG_SH_SI_EUlSV_E0_NS1_11comp_targetILNS1_3genE4ELNS1_11target_archE910ELNS1_3gpuE8ELNS1_3repE0EEENS1_38merge_mergepath_config_static_selectorELNS0_4arch9wavefront6targetE1EEEvSH_,"axG",@progbits,_ZN7rocprim17ROCPRIM_400000_NS6detail17trampoline_kernelINS0_14default_configENS1_38merge_sort_block_merge_config_selectorIdlEEZZNS1_27merge_sort_block_merge_implIS3_PdN6thrust23THRUST_200600_302600_NS10device_ptrIlEEjNS1_19radix_merge_compareILb0ELb0EdNS0_19identity_decomposerEEEEE10hipError_tT0_T1_T2_jT3_P12ihipStream_tbPNSt15iterator_traitsISG_E10value_typeEPNSM_ISH_E10value_typeEPSI_NS1_7vsmem_tEENKUlT_SG_SH_SI_E_clIS7_S7_SB_PlEESF_SV_SG_SH_SI_EUlSV_E0_NS1_11comp_targetILNS1_3genE4ELNS1_11target_archE910ELNS1_3gpuE8ELNS1_3repE0EEENS1_38merge_mergepath_config_static_selectorELNS0_4arch9wavefront6targetE1EEEvSH_,comdat
	.protected	_ZN7rocprim17ROCPRIM_400000_NS6detail17trampoline_kernelINS0_14default_configENS1_38merge_sort_block_merge_config_selectorIdlEEZZNS1_27merge_sort_block_merge_implIS3_PdN6thrust23THRUST_200600_302600_NS10device_ptrIlEEjNS1_19radix_merge_compareILb0ELb0EdNS0_19identity_decomposerEEEEE10hipError_tT0_T1_T2_jT3_P12ihipStream_tbPNSt15iterator_traitsISG_E10value_typeEPNSM_ISH_E10value_typeEPSI_NS1_7vsmem_tEENKUlT_SG_SH_SI_E_clIS7_S7_SB_PlEESF_SV_SG_SH_SI_EUlSV_E0_NS1_11comp_targetILNS1_3genE4ELNS1_11target_archE910ELNS1_3gpuE8ELNS1_3repE0EEENS1_38merge_mergepath_config_static_selectorELNS0_4arch9wavefront6targetE1EEEvSH_ ; -- Begin function _ZN7rocprim17ROCPRIM_400000_NS6detail17trampoline_kernelINS0_14default_configENS1_38merge_sort_block_merge_config_selectorIdlEEZZNS1_27merge_sort_block_merge_implIS3_PdN6thrust23THRUST_200600_302600_NS10device_ptrIlEEjNS1_19radix_merge_compareILb0ELb0EdNS0_19identity_decomposerEEEEE10hipError_tT0_T1_T2_jT3_P12ihipStream_tbPNSt15iterator_traitsISG_E10value_typeEPNSM_ISH_E10value_typeEPSI_NS1_7vsmem_tEENKUlT_SG_SH_SI_E_clIS7_S7_SB_PlEESF_SV_SG_SH_SI_EUlSV_E0_NS1_11comp_targetILNS1_3genE4ELNS1_11target_archE910ELNS1_3gpuE8ELNS1_3repE0EEENS1_38merge_mergepath_config_static_selectorELNS0_4arch9wavefront6targetE1EEEvSH_
	.globl	_ZN7rocprim17ROCPRIM_400000_NS6detail17trampoline_kernelINS0_14default_configENS1_38merge_sort_block_merge_config_selectorIdlEEZZNS1_27merge_sort_block_merge_implIS3_PdN6thrust23THRUST_200600_302600_NS10device_ptrIlEEjNS1_19radix_merge_compareILb0ELb0EdNS0_19identity_decomposerEEEEE10hipError_tT0_T1_T2_jT3_P12ihipStream_tbPNSt15iterator_traitsISG_E10value_typeEPNSM_ISH_E10value_typeEPSI_NS1_7vsmem_tEENKUlT_SG_SH_SI_E_clIS7_S7_SB_PlEESF_SV_SG_SH_SI_EUlSV_E0_NS1_11comp_targetILNS1_3genE4ELNS1_11target_archE910ELNS1_3gpuE8ELNS1_3repE0EEENS1_38merge_mergepath_config_static_selectorELNS0_4arch9wavefront6targetE1EEEvSH_
	.p2align	8
	.type	_ZN7rocprim17ROCPRIM_400000_NS6detail17trampoline_kernelINS0_14default_configENS1_38merge_sort_block_merge_config_selectorIdlEEZZNS1_27merge_sort_block_merge_implIS3_PdN6thrust23THRUST_200600_302600_NS10device_ptrIlEEjNS1_19radix_merge_compareILb0ELb0EdNS0_19identity_decomposerEEEEE10hipError_tT0_T1_T2_jT3_P12ihipStream_tbPNSt15iterator_traitsISG_E10value_typeEPNSM_ISH_E10value_typeEPSI_NS1_7vsmem_tEENKUlT_SG_SH_SI_E_clIS7_S7_SB_PlEESF_SV_SG_SH_SI_EUlSV_E0_NS1_11comp_targetILNS1_3genE4ELNS1_11target_archE910ELNS1_3gpuE8ELNS1_3repE0EEENS1_38merge_mergepath_config_static_selectorELNS0_4arch9wavefront6targetE1EEEvSH_,@function
_ZN7rocprim17ROCPRIM_400000_NS6detail17trampoline_kernelINS0_14default_configENS1_38merge_sort_block_merge_config_selectorIdlEEZZNS1_27merge_sort_block_merge_implIS3_PdN6thrust23THRUST_200600_302600_NS10device_ptrIlEEjNS1_19radix_merge_compareILb0ELb0EdNS0_19identity_decomposerEEEEE10hipError_tT0_T1_T2_jT3_P12ihipStream_tbPNSt15iterator_traitsISG_E10value_typeEPNSM_ISH_E10value_typeEPSI_NS1_7vsmem_tEENKUlT_SG_SH_SI_E_clIS7_S7_SB_PlEESF_SV_SG_SH_SI_EUlSV_E0_NS1_11comp_targetILNS1_3genE4ELNS1_11target_archE910ELNS1_3gpuE8ELNS1_3repE0EEENS1_38merge_mergepath_config_static_selectorELNS0_4arch9wavefront6targetE1EEEvSH_: ; @_ZN7rocprim17ROCPRIM_400000_NS6detail17trampoline_kernelINS0_14default_configENS1_38merge_sort_block_merge_config_selectorIdlEEZZNS1_27merge_sort_block_merge_implIS3_PdN6thrust23THRUST_200600_302600_NS10device_ptrIlEEjNS1_19radix_merge_compareILb0ELb0EdNS0_19identity_decomposerEEEEE10hipError_tT0_T1_T2_jT3_P12ihipStream_tbPNSt15iterator_traitsISG_E10value_typeEPNSM_ISH_E10value_typeEPSI_NS1_7vsmem_tEENKUlT_SG_SH_SI_E_clIS7_S7_SB_PlEESF_SV_SG_SH_SI_EUlSV_E0_NS1_11comp_targetILNS1_3genE4ELNS1_11target_archE910ELNS1_3gpuE8ELNS1_3repE0EEENS1_38merge_mergepath_config_static_selectorELNS0_4arch9wavefront6targetE1EEEvSH_
; %bb.0:
	.section	.rodata,"a",@progbits
	.p2align	6, 0x0
	.amdhsa_kernel _ZN7rocprim17ROCPRIM_400000_NS6detail17trampoline_kernelINS0_14default_configENS1_38merge_sort_block_merge_config_selectorIdlEEZZNS1_27merge_sort_block_merge_implIS3_PdN6thrust23THRUST_200600_302600_NS10device_ptrIlEEjNS1_19radix_merge_compareILb0ELb0EdNS0_19identity_decomposerEEEEE10hipError_tT0_T1_T2_jT3_P12ihipStream_tbPNSt15iterator_traitsISG_E10value_typeEPNSM_ISH_E10value_typeEPSI_NS1_7vsmem_tEENKUlT_SG_SH_SI_E_clIS7_S7_SB_PlEESF_SV_SG_SH_SI_EUlSV_E0_NS1_11comp_targetILNS1_3genE4ELNS1_11target_archE910ELNS1_3gpuE8ELNS1_3repE0EEENS1_38merge_mergepath_config_static_selectorELNS0_4arch9wavefront6targetE1EEEvSH_
		.amdhsa_group_segment_fixed_size 0
		.amdhsa_private_segment_fixed_size 0
		.amdhsa_kernarg_size 64
		.amdhsa_user_sgpr_count 6
		.amdhsa_user_sgpr_private_segment_buffer 1
		.amdhsa_user_sgpr_dispatch_ptr 0
		.amdhsa_user_sgpr_queue_ptr 0
		.amdhsa_user_sgpr_kernarg_segment_ptr 1
		.amdhsa_user_sgpr_dispatch_id 0
		.amdhsa_user_sgpr_flat_scratch_init 0
		.amdhsa_user_sgpr_private_segment_size 0
		.amdhsa_uses_dynamic_stack 0
		.amdhsa_system_sgpr_private_segment_wavefront_offset 0
		.amdhsa_system_sgpr_workgroup_id_x 1
		.amdhsa_system_sgpr_workgroup_id_y 0
		.amdhsa_system_sgpr_workgroup_id_z 0
		.amdhsa_system_sgpr_workgroup_info 0
		.amdhsa_system_vgpr_workitem_id 0
		.amdhsa_next_free_vgpr 1
		.amdhsa_next_free_sgpr 0
		.amdhsa_reserve_vcc 0
		.amdhsa_reserve_flat_scratch 0
		.amdhsa_float_round_mode_32 0
		.amdhsa_float_round_mode_16_64 0
		.amdhsa_float_denorm_mode_32 3
		.amdhsa_float_denorm_mode_16_64 3
		.amdhsa_dx10_clamp 1
		.amdhsa_ieee_mode 1
		.amdhsa_fp16_overflow 0
		.amdhsa_exception_fp_ieee_invalid_op 0
		.amdhsa_exception_fp_denorm_src 0
		.amdhsa_exception_fp_ieee_div_zero 0
		.amdhsa_exception_fp_ieee_overflow 0
		.amdhsa_exception_fp_ieee_underflow 0
		.amdhsa_exception_fp_ieee_inexact 0
		.amdhsa_exception_int_div_zero 0
	.end_amdhsa_kernel
	.section	.text._ZN7rocprim17ROCPRIM_400000_NS6detail17trampoline_kernelINS0_14default_configENS1_38merge_sort_block_merge_config_selectorIdlEEZZNS1_27merge_sort_block_merge_implIS3_PdN6thrust23THRUST_200600_302600_NS10device_ptrIlEEjNS1_19radix_merge_compareILb0ELb0EdNS0_19identity_decomposerEEEEE10hipError_tT0_T1_T2_jT3_P12ihipStream_tbPNSt15iterator_traitsISG_E10value_typeEPNSM_ISH_E10value_typeEPSI_NS1_7vsmem_tEENKUlT_SG_SH_SI_E_clIS7_S7_SB_PlEESF_SV_SG_SH_SI_EUlSV_E0_NS1_11comp_targetILNS1_3genE4ELNS1_11target_archE910ELNS1_3gpuE8ELNS1_3repE0EEENS1_38merge_mergepath_config_static_selectorELNS0_4arch9wavefront6targetE1EEEvSH_,"axG",@progbits,_ZN7rocprim17ROCPRIM_400000_NS6detail17trampoline_kernelINS0_14default_configENS1_38merge_sort_block_merge_config_selectorIdlEEZZNS1_27merge_sort_block_merge_implIS3_PdN6thrust23THRUST_200600_302600_NS10device_ptrIlEEjNS1_19radix_merge_compareILb0ELb0EdNS0_19identity_decomposerEEEEE10hipError_tT0_T1_T2_jT3_P12ihipStream_tbPNSt15iterator_traitsISG_E10value_typeEPNSM_ISH_E10value_typeEPSI_NS1_7vsmem_tEENKUlT_SG_SH_SI_E_clIS7_S7_SB_PlEESF_SV_SG_SH_SI_EUlSV_E0_NS1_11comp_targetILNS1_3genE4ELNS1_11target_archE910ELNS1_3gpuE8ELNS1_3repE0EEENS1_38merge_mergepath_config_static_selectorELNS0_4arch9wavefront6targetE1EEEvSH_,comdat
.Lfunc_end1577:
	.size	_ZN7rocprim17ROCPRIM_400000_NS6detail17trampoline_kernelINS0_14default_configENS1_38merge_sort_block_merge_config_selectorIdlEEZZNS1_27merge_sort_block_merge_implIS3_PdN6thrust23THRUST_200600_302600_NS10device_ptrIlEEjNS1_19radix_merge_compareILb0ELb0EdNS0_19identity_decomposerEEEEE10hipError_tT0_T1_T2_jT3_P12ihipStream_tbPNSt15iterator_traitsISG_E10value_typeEPNSM_ISH_E10value_typeEPSI_NS1_7vsmem_tEENKUlT_SG_SH_SI_E_clIS7_S7_SB_PlEESF_SV_SG_SH_SI_EUlSV_E0_NS1_11comp_targetILNS1_3genE4ELNS1_11target_archE910ELNS1_3gpuE8ELNS1_3repE0EEENS1_38merge_mergepath_config_static_selectorELNS0_4arch9wavefront6targetE1EEEvSH_, .Lfunc_end1577-_ZN7rocprim17ROCPRIM_400000_NS6detail17trampoline_kernelINS0_14default_configENS1_38merge_sort_block_merge_config_selectorIdlEEZZNS1_27merge_sort_block_merge_implIS3_PdN6thrust23THRUST_200600_302600_NS10device_ptrIlEEjNS1_19radix_merge_compareILb0ELb0EdNS0_19identity_decomposerEEEEE10hipError_tT0_T1_T2_jT3_P12ihipStream_tbPNSt15iterator_traitsISG_E10value_typeEPNSM_ISH_E10value_typeEPSI_NS1_7vsmem_tEENKUlT_SG_SH_SI_E_clIS7_S7_SB_PlEESF_SV_SG_SH_SI_EUlSV_E0_NS1_11comp_targetILNS1_3genE4ELNS1_11target_archE910ELNS1_3gpuE8ELNS1_3repE0EEENS1_38merge_mergepath_config_static_selectorELNS0_4arch9wavefront6targetE1EEEvSH_
                                        ; -- End function
	.set _ZN7rocprim17ROCPRIM_400000_NS6detail17trampoline_kernelINS0_14default_configENS1_38merge_sort_block_merge_config_selectorIdlEEZZNS1_27merge_sort_block_merge_implIS3_PdN6thrust23THRUST_200600_302600_NS10device_ptrIlEEjNS1_19radix_merge_compareILb0ELb0EdNS0_19identity_decomposerEEEEE10hipError_tT0_T1_T2_jT3_P12ihipStream_tbPNSt15iterator_traitsISG_E10value_typeEPNSM_ISH_E10value_typeEPSI_NS1_7vsmem_tEENKUlT_SG_SH_SI_E_clIS7_S7_SB_PlEESF_SV_SG_SH_SI_EUlSV_E0_NS1_11comp_targetILNS1_3genE4ELNS1_11target_archE910ELNS1_3gpuE8ELNS1_3repE0EEENS1_38merge_mergepath_config_static_selectorELNS0_4arch9wavefront6targetE1EEEvSH_.num_vgpr, 0
	.set _ZN7rocprim17ROCPRIM_400000_NS6detail17trampoline_kernelINS0_14default_configENS1_38merge_sort_block_merge_config_selectorIdlEEZZNS1_27merge_sort_block_merge_implIS3_PdN6thrust23THRUST_200600_302600_NS10device_ptrIlEEjNS1_19radix_merge_compareILb0ELb0EdNS0_19identity_decomposerEEEEE10hipError_tT0_T1_T2_jT3_P12ihipStream_tbPNSt15iterator_traitsISG_E10value_typeEPNSM_ISH_E10value_typeEPSI_NS1_7vsmem_tEENKUlT_SG_SH_SI_E_clIS7_S7_SB_PlEESF_SV_SG_SH_SI_EUlSV_E0_NS1_11comp_targetILNS1_3genE4ELNS1_11target_archE910ELNS1_3gpuE8ELNS1_3repE0EEENS1_38merge_mergepath_config_static_selectorELNS0_4arch9wavefront6targetE1EEEvSH_.num_agpr, 0
	.set _ZN7rocprim17ROCPRIM_400000_NS6detail17trampoline_kernelINS0_14default_configENS1_38merge_sort_block_merge_config_selectorIdlEEZZNS1_27merge_sort_block_merge_implIS3_PdN6thrust23THRUST_200600_302600_NS10device_ptrIlEEjNS1_19radix_merge_compareILb0ELb0EdNS0_19identity_decomposerEEEEE10hipError_tT0_T1_T2_jT3_P12ihipStream_tbPNSt15iterator_traitsISG_E10value_typeEPNSM_ISH_E10value_typeEPSI_NS1_7vsmem_tEENKUlT_SG_SH_SI_E_clIS7_S7_SB_PlEESF_SV_SG_SH_SI_EUlSV_E0_NS1_11comp_targetILNS1_3genE4ELNS1_11target_archE910ELNS1_3gpuE8ELNS1_3repE0EEENS1_38merge_mergepath_config_static_selectorELNS0_4arch9wavefront6targetE1EEEvSH_.numbered_sgpr, 0
	.set _ZN7rocprim17ROCPRIM_400000_NS6detail17trampoline_kernelINS0_14default_configENS1_38merge_sort_block_merge_config_selectorIdlEEZZNS1_27merge_sort_block_merge_implIS3_PdN6thrust23THRUST_200600_302600_NS10device_ptrIlEEjNS1_19radix_merge_compareILb0ELb0EdNS0_19identity_decomposerEEEEE10hipError_tT0_T1_T2_jT3_P12ihipStream_tbPNSt15iterator_traitsISG_E10value_typeEPNSM_ISH_E10value_typeEPSI_NS1_7vsmem_tEENKUlT_SG_SH_SI_E_clIS7_S7_SB_PlEESF_SV_SG_SH_SI_EUlSV_E0_NS1_11comp_targetILNS1_3genE4ELNS1_11target_archE910ELNS1_3gpuE8ELNS1_3repE0EEENS1_38merge_mergepath_config_static_selectorELNS0_4arch9wavefront6targetE1EEEvSH_.num_named_barrier, 0
	.set _ZN7rocprim17ROCPRIM_400000_NS6detail17trampoline_kernelINS0_14default_configENS1_38merge_sort_block_merge_config_selectorIdlEEZZNS1_27merge_sort_block_merge_implIS3_PdN6thrust23THRUST_200600_302600_NS10device_ptrIlEEjNS1_19radix_merge_compareILb0ELb0EdNS0_19identity_decomposerEEEEE10hipError_tT0_T1_T2_jT3_P12ihipStream_tbPNSt15iterator_traitsISG_E10value_typeEPNSM_ISH_E10value_typeEPSI_NS1_7vsmem_tEENKUlT_SG_SH_SI_E_clIS7_S7_SB_PlEESF_SV_SG_SH_SI_EUlSV_E0_NS1_11comp_targetILNS1_3genE4ELNS1_11target_archE910ELNS1_3gpuE8ELNS1_3repE0EEENS1_38merge_mergepath_config_static_selectorELNS0_4arch9wavefront6targetE1EEEvSH_.private_seg_size, 0
	.set _ZN7rocprim17ROCPRIM_400000_NS6detail17trampoline_kernelINS0_14default_configENS1_38merge_sort_block_merge_config_selectorIdlEEZZNS1_27merge_sort_block_merge_implIS3_PdN6thrust23THRUST_200600_302600_NS10device_ptrIlEEjNS1_19radix_merge_compareILb0ELb0EdNS0_19identity_decomposerEEEEE10hipError_tT0_T1_T2_jT3_P12ihipStream_tbPNSt15iterator_traitsISG_E10value_typeEPNSM_ISH_E10value_typeEPSI_NS1_7vsmem_tEENKUlT_SG_SH_SI_E_clIS7_S7_SB_PlEESF_SV_SG_SH_SI_EUlSV_E0_NS1_11comp_targetILNS1_3genE4ELNS1_11target_archE910ELNS1_3gpuE8ELNS1_3repE0EEENS1_38merge_mergepath_config_static_selectorELNS0_4arch9wavefront6targetE1EEEvSH_.uses_vcc, 0
	.set _ZN7rocprim17ROCPRIM_400000_NS6detail17trampoline_kernelINS0_14default_configENS1_38merge_sort_block_merge_config_selectorIdlEEZZNS1_27merge_sort_block_merge_implIS3_PdN6thrust23THRUST_200600_302600_NS10device_ptrIlEEjNS1_19radix_merge_compareILb0ELb0EdNS0_19identity_decomposerEEEEE10hipError_tT0_T1_T2_jT3_P12ihipStream_tbPNSt15iterator_traitsISG_E10value_typeEPNSM_ISH_E10value_typeEPSI_NS1_7vsmem_tEENKUlT_SG_SH_SI_E_clIS7_S7_SB_PlEESF_SV_SG_SH_SI_EUlSV_E0_NS1_11comp_targetILNS1_3genE4ELNS1_11target_archE910ELNS1_3gpuE8ELNS1_3repE0EEENS1_38merge_mergepath_config_static_selectorELNS0_4arch9wavefront6targetE1EEEvSH_.uses_flat_scratch, 0
	.set _ZN7rocprim17ROCPRIM_400000_NS6detail17trampoline_kernelINS0_14default_configENS1_38merge_sort_block_merge_config_selectorIdlEEZZNS1_27merge_sort_block_merge_implIS3_PdN6thrust23THRUST_200600_302600_NS10device_ptrIlEEjNS1_19radix_merge_compareILb0ELb0EdNS0_19identity_decomposerEEEEE10hipError_tT0_T1_T2_jT3_P12ihipStream_tbPNSt15iterator_traitsISG_E10value_typeEPNSM_ISH_E10value_typeEPSI_NS1_7vsmem_tEENKUlT_SG_SH_SI_E_clIS7_S7_SB_PlEESF_SV_SG_SH_SI_EUlSV_E0_NS1_11comp_targetILNS1_3genE4ELNS1_11target_archE910ELNS1_3gpuE8ELNS1_3repE0EEENS1_38merge_mergepath_config_static_selectorELNS0_4arch9wavefront6targetE1EEEvSH_.has_dyn_sized_stack, 0
	.set _ZN7rocprim17ROCPRIM_400000_NS6detail17trampoline_kernelINS0_14default_configENS1_38merge_sort_block_merge_config_selectorIdlEEZZNS1_27merge_sort_block_merge_implIS3_PdN6thrust23THRUST_200600_302600_NS10device_ptrIlEEjNS1_19radix_merge_compareILb0ELb0EdNS0_19identity_decomposerEEEEE10hipError_tT0_T1_T2_jT3_P12ihipStream_tbPNSt15iterator_traitsISG_E10value_typeEPNSM_ISH_E10value_typeEPSI_NS1_7vsmem_tEENKUlT_SG_SH_SI_E_clIS7_S7_SB_PlEESF_SV_SG_SH_SI_EUlSV_E0_NS1_11comp_targetILNS1_3genE4ELNS1_11target_archE910ELNS1_3gpuE8ELNS1_3repE0EEENS1_38merge_mergepath_config_static_selectorELNS0_4arch9wavefront6targetE1EEEvSH_.has_recursion, 0
	.set _ZN7rocprim17ROCPRIM_400000_NS6detail17trampoline_kernelINS0_14default_configENS1_38merge_sort_block_merge_config_selectorIdlEEZZNS1_27merge_sort_block_merge_implIS3_PdN6thrust23THRUST_200600_302600_NS10device_ptrIlEEjNS1_19radix_merge_compareILb0ELb0EdNS0_19identity_decomposerEEEEE10hipError_tT0_T1_T2_jT3_P12ihipStream_tbPNSt15iterator_traitsISG_E10value_typeEPNSM_ISH_E10value_typeEPSI_NS1_7vsmem_tEENKUlT_SG_SH_SI_E_clIS7_S7_SB_PlEESF_SV_SG_SH_SI_EUlSV_E0_NS1_11comp_targetILNS1_3genE4ELNS1_11target_archE910ELNS1_3gpuE8ELNS1_3repE0EEENS1_38merge_mergepath_config_static_selectorELNS0_4arch9wavefront6targetE1EEEvSH_.has_indirect_call, 0
	.section	.AMDGPU.csdata,"",@progbits
; Kernel info:
; codeLenInByte = 0
; TotalNumSgprs: 4
; NumVgprs: 0
; ScratchSize: 0
; MemoryBound: 0
; FloatMode: 240
; IeeeMode: 1
; LDSByteSize: 0 bytes/workgroup (compile time only)
; SGPRBlocks: 0
; VGPRBlocks: 0
; NumSGPRsForWavesPerEU: 4
; NumVGPRsForWavesPerEU: 1
; Occupancy: 10
; WaveLimiterHint : 0
; COMPUTE_PGM_RSRC2:SCRATCH_EN: 0
; COMPUTE_PGM_RSRC2:USER_SGPR: 6
; COMPUTE_PGM_RSRC2:TRAP_HANDLER: 0
; COMPUTE_PGM_RSRC2:TGID_X_EN: 1
; COMPUTE_PGM_RSRC2:TGID_Y_EN: 0
; COMPUTE_PGM_RSRC2:TGID_Z_EN: 0
; COMPUTE_PGM_RSRC2:TIDIG_COMP_CNT: 0
	.section	.text._ZN7rocprim17ROCPRIM_400000_NS6detail17trampoline_kernelINS0_14default_configENS1_38merge_sort_block_merge_config_selectorIdlEEZZNS1_27merge_sort_block_merge_implIS3_PdN6thrust23THRUST_200600_302600_NS10device_ptrIlEEjNS1_19radix_merge_compareILb0ELb0EdNS0_19identity_decomposerEEEEE10hipError_tT0_T1_T2_jT3_P12ihipStream_tbPNSt15iterator_traitsISG_E10value_typeEPNSM_ISH_E10value_typeEPSI_NS1_7vsmem_tEENKUlT_SG_SH_SI_E_clIS7_S7_SB_PlEESF_SV_SG_SH_SI_EUlSV_E0_NS1_11comp_targetILNS1_3genE3ELNS1_11target_archE908ELNS1_3gpuE7ELNS1_3repE0EEENS1_38merge_mergepath_config_static_selectorELNS0_4arch9wavefront6targetE1EEEvSH_,"axG",@progbits,_ZN7rocprim17ROCPRIM_400000_NS6detail17trampoline_kernelINS0_14default_configENS1_38merge_sort_block_merge_config_selectorIdlEEZZNS1_27merge_sort_block_merge_implIS3_PdN6thrust23THRUST_200600_302600_NS10device_ptrIlEEjNS1_19radix_merge_compareILb0ELb0EdNS0_19identity_decomposerEEEEE10hipError_tT0_T1_T2_jT3_P12ihipStream_tbPNSt15iterator_traitsISG_E10value_typeEPNSM_ISH_E10value_typeEPSI_NS1_7vsmem_tEENKUlT_SG_SH_SI_E_clIS7_S7_SB_PlEESF_SV_SG_SH_SI_EUlSV_E0_NS1_11comp_targetILNS1_3genE3ELNS1_11target_archE908ELNS1_3gpuE7ELNS1_3repE0EEENS1_38merge_mergepath_config_static_selectorELNS0_4arch9wavefront6targetE1EEEvSH_,comdat
	.protected	_ZN7rocprim17ROCPRIM_400000_NS6detail17trampoline_kernelINS0_14default_configENS1_38merge_sort_block_merge_config_selectorIdlEEZZNS1_27merge_sort_block_merge_implIS3_PdN6thrust23THRUST_200600_302600_NS10device_ptrIlEEjNS1_19radix_merge_compareILb0ELb0EdNS0_19identity_decomposerEEEEE10hipError_tT0_T1_T2_jT3_P12ihipStream_tbPNSt15iterator_traitsISG_E10value_typeEPNSM_ISH_E10value_typeEPSI_NS1_7vsmem_tEENKUlT_SG_SH_SI_E_clIS7_S7_SB_PlEESF_SV_SG_SH_SI_EUlSV_E0_NS1_11comp_targetILNS1_3genE3ELNS1_11target_archE908ELNS1_3gpuE7ELNS1_3repE0EEENS1_38merge_mergepath_config_static_selectorELNS0_4arch9wavefront6targetE1EEEvSH_ ; -- Begin function _ZN7rocprim17ROCPRIM_400000_NS6detail17trampoline_kernelINS0_14default_configENS1_38merge_sort_block_merge_config_selectorIdlEEZZNS1_27merge_sort_block_merge_implIS3_PdN6thrust23THRUST_200600_302600_NS10device_ptrIlEEjNS1_19radix_merge_compareILb0ELb0EdNS0_19identity_decomposerEEEEE10hipError_tT0_T1_T2_jT3_P12ihipStream_tbPNSt15iterator_traitsISG_E10value_typeEPNSM_ISH_E10value_typeEPSI_NS1_7vsmem_tEENKUlT_SG_SH_SI_E_clIS7_S7_SB_PlEESF_SV_SG_SH_SI_EUlSV_E0_NS1_11comp_targetILNS1_3genE3ELNS1_11target_archE908ELNS1_3gpuE7ELNS1_3repE0EEENS1_38merge_mergepath_config_static_selectorELNS0_4arch9wavefront6targetE1EEEvSH_
	.globl	_ZN7rocprim17ROCPRIM_400000_NS6detail17trampoline_kernelINS0_14default_configENS1_38merge_sort_block_merge_config_selectorIdlEEZZNS1_27merge_sort_block_merge_implIS3_PdN6thrust23THRUST_200600_302600_NS10device_ptrIlEEjNS1_19radix_merge_compareILb0ELb0EdNS0_19identity_decomposerEEEEE10hipError_tT0_T1_T2_jT3_P12ihipStream_tbPNSt15iterator_traitsISG_E10value_typeEPNSM_ISH_E10value_typeEPSI_NS1_7vsmem_tEENKUlT_SG_SH_SI_E_clIS7_S7_SB_PlEESF_SV_SG_SH_SI_EUlSV_E0_NS1_11comp_targetILNS1_3genE3ELNS1_11target_archE908ELNS1_3gpuE7ELNS1_3repE0EEENS1_38merge_mergepath_config_static_selectorELNS0_4arch9wavefront6targetE1EEEvSH_
	.p2align	8
	.type	_ZN7rocprim17ROCPRIM_400000_NS6detail17trampoline_kernelINS0_14default_configENS1_38merge_sort_block_merge_config_selectorIdlEEZZNS1_27merge_sort_block_merge_implIS3_PdN6thrust23THRUST_200600_302600_NS10device_ptrIlEEjNS1_19radix_merge_compareILb0ELb0EdNS0_19identity_decomposerEEEEE10hipError_tT0_T1_T2_jT3_P12ihipStream_tbPNSt15iterator_traitsISG_E10value_typeEPNSM_ISH_E10value_typeEPSI_NS1_7vsmem_tEENKUlT_SG_SH_SI_E_clIS7_S7_SB_PlEESF_SV_SG_SH_SI_EUlSV_E0_NS1_11comp_targetILNS1_3genE3ELNS1_11target_archE908ELNS1_3gpuE7ELNS1_3repE0EEENS1_38merge_mergepath_config_static_selectorELNS0_4arch9wavefront6targetE1EEEvSH_,@function
_ZN7rocprim17ROCPRIM_400000_NS6detail17trampoline_kernelINS0_14default_configENS1_38merge_sort_block_merge_config_selectorIdlEEZZNS1_27merge_sort_block_merge_implIS3_PdN6thrust23THRUST_200600_302600_NS10device_ptrIlEEjNS1_19radix_merge_compareILb0ELb0EdNS0_19identity_decomposerEEEEE10hipError_tT0_T1_T2_jT3_P12ihipStream_tbPNSt15iterator_traitsISG_E10value_typeEPNSM_ISH_E10value_typeEPSI_NS1_7vsmem_tEENKUlT_SG_SH_SI_E_clIS7_S7_SB_PlEESF_SV_SG_SH_SI_EUlSV_E0_NS1_11comp_targetILNS1_3genE3ELNS1_11target_archE908ELNS1_3gpuE7ELNS1_3repE0EEENS1_38merge_mergepath_config_static_selectorELNS0_4arch9wavefront6targetE1EEEvSH_: ; @_ZN7rocprim17ROCPRIM_400000_NS6detail17trampoline_kernelINS0_14default_configENS1_38merge_sort_block_merge_config_selectorIdlEEZZNS1_27merge_sort_block_merge_implIS3_PdN6thrust23THRUST_200600_302600_NS10device_ptrIlEEjNS1_19radix_merge_compareILb0ELb0EdNS0_19identity_decomposerEEEEE10hipError_tT0_T1_T2_jT3_P12ihipStream_tbPNSt15iterator_traitsISG_E10value_typeEPNSM_ISH_E10value_typeEPSI_NS1_7vsmem_tEENKUlT_SG_SH_SI_E_clIS7_S7_SB_PlEESF_SV_SG_SH_SI_EUlSV_E0_NS1_11comp_targetILNS1_3genE3ELNS1_11target_archE908ELNS1_3gpuE7ELNS1_3repE0EEENS1_38merge_mergepath_config_static_selectorELNS0_4arch9wavefront6targetE1EEEvSH_
; %bb.0:
	.section	.rodata,"a",@progbits
	.p2align	6, 0x0
	.amdhsa_kernel _ZN7rocprim17ROCPRIM_400000_NS6detail17trampoline_kernelINS0_14default_configENS1_38merge_sort_block_merge_config_selectorIdlEEZZNS1_27merge_sort_block_merge_implIS3_PdN6thrust23THRUST_200600_302600_NS10device_ptrIlEEjNS1_19radix_merge_compareILb0ELb0EdNS0_19identity_decomposerEEEEE10hipError_tT0_T1_T2_jT3_P12ihipStream_tbPNSt15iterator_traitsISG_E10value_typeEPNSM_ISH_E10value_typeEPSI_NS1_7vsmem_tEENKUlT_SG_SH_SI_E_clIS7_S7_SB_PlEESF_SV_SG_SH_SI_EUlSV_E0_NS1_11comp_targetILNS1_3genE3ELNS1_11target_archE908ELNS1_3gpuE7ELNS1_3repE0EEENS1_38merge_mergepath_config_static_selectorELNS0_4arch9wavefront6targetE1EEEvSH_
		.amdhsa_group_segment_fixed_size 0
		.amdhsa_private_segment_fixed_size 0
		.amdhsa_kernarg_size 64
		.amdhsa_user_sgpr_count 6
		.amdhsa_user_sgpr_private_segment_buffer 1
		.amdhsa_user_sgpr_dispatch_ptr 0
		.amdhsa_user_sgpr_queue_ptr 0
		.amdhsa_user_sgpr_kernarg_segment_ptr 1
		.amdhsa_user_sgpr_dispatch_id 0
		.amdhsa_user_sgpr_flat_scratch_init 0
		.amdhsa_user_sgpr_private_segment_size 0
		.amdhsa_uses_dynamic_stack 0
		.amdhsa_system_sgpr_private_segment_wavefront_offset 0
		.amdhsa_system_sgpr_workgroup_id_x 1
		.amdhsa_system_sgpr_workgroup_id_y 0
		.amdhsa_system_sgpr_workgroup_id_z 0
		.amdhsa_system_sgpr_workgroup_info 0
		.amdhsa_system_vgpr_workitem_id 0
		.amdhsa_next_free_vgpr 1
		.amdhsa_next_free_sgpr 0
		.amdhsa_reserve_vcc 0
		.amdhsa_reserve_flat_scratch 0
		.amdhsa_float_round_mode_32 0
		.amdhsa_float_round_mode_16_64 0
		.amdhsa_float_denorm_mode_32 3
		.amdhsa_float_denorm_mode_16_64 3
		.amdhsa_dx10_clamp 1
		.amdhsa_ieee_mode 1
		.amdhsa_fp16_overflow 0
		.amdhsa_exception_fp_ieee_invalid_op 0
		.amdhsa_exception_fp_denorm_src 0
		.amdhsa_exception_fp_ieee_div_zero 0
		.amdhsa_exception_fp_ieee_overflow 0
		.amdhsa_exception_fp_ieee_underflow 0
		.amdhsa_exception_fp_ieee_inexact 0
		.amdhsa_exception_int_div_zero 0
	.end_amdhsa_kernel
	.section	.text._ZN7rocprim17ROCPRIM_400000_NS6detail17trampoline_kernelINS0_14default_configENS1_38merge_sort_block_merge_config_selectorIdlEEZZNS1_27merge_sort_block_merge_implIS3_PdN6thrust23THRUST_200600_302600_NS10device_ptrIlEEjNS1_19radix_merge_compareILb0ELb0EdNS0_19identity_decomposerEEEEE10hipError_tT0_T1_T2_jT3_P12ihipStream_tbPNSt15iterator_traitsISG_E10value_typeEPNSM_ISH_E10value_typeEPSI_NS1_7vsmem_tEENKUlT_SG_SH_SI_E_clIS7_S7_SB_PlEESF_SV_SG_SH_SI_EUlSV_E0_NS1_11comp_targetILNS1_3genE3ELNS1_11target_archE908ELNS1_3gpuE7ELNS1_3repE0EEENS1_38merge_mergepath_config_static_selectorELNS0_4arch9wavefront6targetE1EEEvSH_,"axG",@progbits,_ZN7rocprim17ROCPRIM_400000_NS6detail17trampoline_kernelINS0_14default_configENS1_38merge_sort_block_merge_config_selectorIdlEEZZNS1_27merge_sort_block_merge_implIS3_PdN6thrust23THRUST_200600_302600_NS10device_ptrIlEEjNS1_19radix_merge_compareILb0ELb0EdNS0_19identity_decomposerEEEEE10hipError_tT0_T1_T2_jT3_P12ihipStream_tbPNSt15iterator_traitsISG_E10value_typeEPNSM_ISH_E10value_typeEPSI_NS1_7vsmem_tEENKUlT_SG_SH_SI_E_clIS7_S7_SB_PlEESF_SV_SG_SH_SI_EUlSV_E0_NS1_11comp_targetILNS1_3genE3ELNS1_11target_archE908ELNS1_3gpuE7ELNS1_3repE0EEENS1_38merge_mergepath_config_static_selectorELNS0_4arch9wavefront6targetE1EEEvSH_,comdat
.Lfunc_end1578:
	.size	_ZN7rocprim17ROCPRIM_400000_NS6detail17trampoline_kernelINS0_14default_configENS1_38merge_sort_block_merge_config_selectorIdlEEZZNS1_27merge_sort_block_merge_implIS3_PdN6thrust23THRUST_200600_302600_NS10device_ptrIlEEjNS1_19radix_merge_compareILb0ELb0EdNS0_19identity_decomposerEEEEE10hipError_tT0_T1_T2_jT3_P12ihipStream_tbPNSt15iterator_traitsISG_E10value_typeEPNSM_ISH_E10value_typeEPSI_NS1_7vsmem_tEENKUlT_SG_SH_SI_E_clIS7_S7_SB_PlEESF_SV_SG_SH_SI_EUlSV_E0_NS1_11comp_targetILNS1_3genE3ELNS1_11target_archE908ELNS1_3gpuE7ELNS1_3repE0EEENS1_38merge_mergepath_config_static_selectorELNS0_4arch9wavefront6targetE1EEEvSH_, .Lfunc_end1578-_ZN7rocprim17ROCPRIM_400000_NS6detail17trampoline_kernelINS0_14default_configENS1_38merge_sort_block_merge_config_selectorIdlEEZZNS1_27merge_sort_block_merge_implIS3_PdN6thrust23THRUST_200600_302600_NS10device_ptrIlEEjNS1_19radix_merge_compareILb0ELb0EdNS0_19identity_decomposerEEEEE10hipError_tT0_T1_T2_jT3_P12ihipStream_tbPNSt15iterator_traitsISG_E10value_typeEPNSM_ISH_E10value_typeEPSI_NS1_7vsmem_tEENKUlT_SG_SH_SI_E_clIS7_S7_SB_PlEESF_SV_SG_SH_SI_EUlSV_E0_NS1_11comp_targetILNS1_3genE3ELNS1_11target_archE908ELNS1_3gpuE7ELNS1_3repE0EEENS1_38merge_mergepath_config_static_selectorELNS0_4arch9wavefront6targetE1EEEvSH_
                                        ; -- End function
	.set _ZN7rocprim17ROCPRIM_400000_NS6detail17trampoline_kernelINS0_14default_configENS1_38merge_sort_block_merge_config_selectorIdlEEZZNS1_27merge_sort_block_merge_implIS3_PdN6thrust23THRUST_200600_302600_NS10device_ptrIlEEjNS1_19radix_merge_compareILb0ELb0EdNS0_19identity_decomposerEEEEE10hipError_tT0_T1_T2_jT3_P12ihipStream_tbPNSt15iterator_traitsISG_E10value_typeEPNSM_ISH_E10value_typeEPSI_NS1_7vsmem_tEENKUlT_SG_SH_SI_E_clIS7_S7_SB_PlEESF_SV_SG_SH_SI_EUlSV_E0_NS1_11comp_targetILNS1_3genE3ELNS1_11target_archE908ELNS1_3gpuE7ELNS1_3repE0EEENS1_38merge_mergepath_config_static_selectorELNS0_4arch9wavefront6targetE1EEEvSH_.num_vgpr, 0
	.set _ZN7rocprim17ROCPRIM_400000_NS6detail17trampoline_kernelINS0_14default_configENS1_38merge_sort_block_merge_config_selectorIdlEEZZNS1_27merge_sort_block_merge_implIS3_PdN6thrust23THRUST_200600_302600_NS10device_ptrIlEEjNS1_19radix_merge_compareILb0ELb0EdNS0_19identity_decomposerEEEEE10hipError_tT0_T1_T2_jT3_P12ihipStream_tbPNSt15iterator_traitsISG_E10value_typeEPNSM_ISH_E10value_typeEPSI_NS1_7vsmem_tEENKUlT_SG_SH_SI_E_clIS7_S7_SB_PlEESF_SV_SG_SH_SI_EUlSV_E0_NS1_11comp_targetILNS1_3genE3ELNS1_11target_archE908ELNS1_3gpuE7ELNS1_3repE0EEENS1_38merge_mergepath_config_static_selectorELNS0_4arch9wavefront6targetE1EEEvSH_.num_agpr, 0
	.set _ZN7rocprim17ROCPRIM_400000_NS6detail17trampoline_kernelINS0_14default_configENS1_38merge_sort_block_merge_config_selectorIdlEEZZNS1_27merge_sort_block_merge_implIS3_PdN6thrust23THRUST_200600_302600_NS10device_ptrIlEEjNS1_19radix_merge_compareILb0ELb0EdNS0_19identity_decomposerEEEEE10hipError_tT0_T1_T2_jT3_P12ihipStream_tbPNSt15iterator_traitsISG_E10value_typeEPNSM_ISH_E10value_typeEPSI_NS1_7vsmem_tEENKUlT_SG_SH_SI_E_clIS7_S7_SB_PlEESF_SV_SG_SH_SI_EUlSV_E0_NS1_11comp_targetILNS1_3genE3ELNS1_11target_archE908ELNS1_3gpuE7ELNS1_3repE0EEENS1_38merge_mergepath_config_static_selectorELNS0_4arch9wavefront6targetE1EEEvSH_.numbered_sgpr, 0
	.set _ZN7rocprim17ROCPRIM_400000_NS6detail17trampoline_kernelINS0_14default_configENS1_38merge_sort_block_merge_config_selectorIdlEEZZNS1_27merge_sort_block_merge_implIS3_PdN6thrust23THRUST_200600_302600_NS10device_ptrIlEEjNS1_19radix_merge_compareILb0ELb0EdNS0_19identity_decomposerEEEEE10hipError_tT0_T1_T2_jT3_P12ihipStream_tbPNSt15iterator_traitsISG_E10value_typeEPNSM_ISH_E10value_typeEPSI_NS1_7vsmem_tEENKUlT_SG_SH_SI_E_clIS7_S7_SB_PlEESF_SV_SG_SH_SI_EUlSV_E0_NS1_11comp_targetILNS1_3genE3ELNS1_11target_archE908ELNS1_3gpuE7ELNS1_3repE0EEENS1_38merge_mergepath_config_static_selectorELNS0_4arch9wavefront6targetE1EEEvSH_.num_named_barrier, 0
	.set _ZN7rocprim17ROCPRIM_400000_NS6detail17trampoline_kernelINS0_14default_configENS1_38merge_sort_block_merge_config_selectorIdlEEZZNS1_27merge_sort_block_merge_implIS3_PdN6thrust23THRUST_200600_302600_NS10device_ptrIlEEjNS1_19radix_merge_compareILb0ELb0EdNS0_19identity_decomposerEEEEE10hipError_tT0_T1_T2_jT3_P12ihipStream_tbPNSt15iterator_traitsISG_E10value_typeEPNSM_ISH_E10value_typeEPSI_NS1_7vsmem_tEENKUlT_SG_SH_SI_E_clIS7_S7_SB_PlEESF_SV_SG_SH_SI_EUlSV_E0_NS1_11comp_targetILNS1_3genE3ELNS1_11target_archE908ELNS1_3gpuE7ELNS1_3repE0EEENS1_38merge_mergepath_config_static_selectorELNS0_4arch9wavefront6targetE1EEEvSH_.private_seg_size, 0
	.set _ZN7rocprim17ROCPRIM_400000_NS6detail17trampoline_kernelINS0_14default_configENS1_38merge_sort_block_merge_config_selectorIdlEEZZNS1_27merge_sort_block_merge_implIS3_PdN6thrust23THRUST_200600_302600_NS10device_ptrIlEEjNS1_19radix_merge_compareILb0ELb0EdNS0_19identity_decomposerEEEEE10hipError_tT0_T1_T2_jT3_P12ihipStream_tbPNSt15iterator_traitsISG_E10value_typeEPNSM_ISH_E10value_typeEPSI_NS1_7vsmem_tEENKUlT_SG_SH_SI_E_clIS7_S7_SB_PlEESF_SV_SG_SH_SI_EUlSV_E0_NS1_11comp_targetILNS1_3genE3ELNS1_11target_archE908ELNS1_3gpuE7ELNS1_3repE0EEENS1_38merge_mergepath_config_static_selectorELNS0_4arch9wavefront6targetE1EEEvSH_.uses_vcc, 0
	.set _ZN7rocprim17ROCPRIM_400000_NS6detail17trampoline_kernelINS0_14default_configENS1_38merge_sort_block_merge_config_selectorIdlEEZZNS1_27merge_sort_block_merge_implIS3_PdN6thrust23THRUST_200600_302600_NS10device_ptrIlEEjNS1_19radix_merge_compareILb0ELb0EdNS0_19identity_decomposerEEEEE10hipError_tT0_T1_T2_jT3_P12ihipStream_tbPNSt15iterator_traitsISG_E10value_typeEPNSM_ISH_E10value_typeEPSI_NS1_7vsmem_tEENKUlT_SG_SH_SI_E_clIS7_S7_SB_PlEESF_SV_SG_SH_SI_EUlSV_E0_NS1_11comp_targetILNS1_3genE3ELNS1_11target_archE908ELNS1_3gpuE7ELNS1_3repE0EEENS1_38merge_mergepath_config_static_selectorELNS0_4arch9wavefront6targetE1EEEvSH_.uses_flat_scratch, 0
	.set _ZN7rocprim17ROCPRIM_400000_NS6detail17trampoline_kernelINS0_14default_configENS1_38merge_sort_block_merge_config_selectorIdlEEZZNS1_27merge_sort_block_merge_implIS3_PdN6thrust23THRUST_200600_302600_NS10device_ptrIlEEjNS1_19radix_merge_compareILb0ELb0EdNS0_19identity_decomposerEEEEE10hipError_tT0_T1_T2_jT3_P12ihipStream_tbPNSt15iterator_traitsISG_E10value_typeEPNSM_ISH_E10value_typeEPSI_NS1_7vsmem_tEENKUlT_SG_SH_SI_E_clIS7_S7_SB_PlEESF_SV_SG_SH_SI_EUlSV_E0_NS1_11comp_targetILNS1_3genE3ELNS1_11target_archE908ELNS1_3gpuE7ELNS1_3repE0EEENS1_38merge_mergepath_config_static_selectorELNS0_4arch9wavefront6targetE1EEEvSH_.has_dyn_sized_stack, 0
	.set _ZN7rocprim17ROCPRIM_400000_NS6detail17trampoline_kernelINS0_14default_configENS1_38merge_sort_block_merge_config_selectorIdlEEZZNS1_27merge_sort_block_merge_implIS3_PdN6thrust23THRUST_200600_302600_NS10device_ptrIlEEjNS1_19radix_merge_compareILb0ELb0EdNS0_19identity_decomposerEEEEE10hipError_tT0_T1_T2_jT3_P12ihipStream_tbPNSt15iterator_traitsISG_E10value_typeEPNSM_ISH_E10value_typeEPSI_NS1_7vsmem_tEENKUlT_SG_SH_SI_E_clIS7_S7_SB_PlEESF_SV_SG_SH_SI_EUlSV_E0_NS1_11comp_targetILNS1_3genE3ELNS1_11target_archE908ELNS1_3gpuE7ELNS1_3repE0EEENS1_38merge_mergepath_config_static_selectorELNS0_4arch9wavefront6targetE1EEEvSH_.has_recursion, 0
	.set _ZN7rocprim17ROCPRIM_400000_NS6detail17trampoline_kernelINS0_14default_configENS1_38merge_sort_block_merge_config_selectorIdlEEZZNS1_27merge_sort_block_merge_implIS3_PdN6thrust23THRUST_200600_302600_NS10device_ptrIlEEjNS1_19radix_merge_compareILb0ELb0EdNS0_19identity_decomposerEEEEE10hipError_tT0_T1_T2_jT3_P12ihipStream_tbPNSt15iterator_traitsISG_E10value_typeEPNSM_ISH_E10value_typeEPSI_NS1_7vsmem_tEENKUlT_SG_SH_SI_E_clIS7_S7_SB_PlEESF_SV_SG_SH_SI_EUlSV_E0_NS1_11comp_targetILNS1_3genE3ELNS1_11target_archE908ELNS1_3gpuE7ELNS1_3repE0EEENS1_38merge_mergepath_config_static_selectorELNS0_4arch9wavefront6targetE1EEEvSH_.has_indirect_call, 0
	.section	.AMDGPU.csdata,"",@progbits
; Kernel info:
; codeLenInByte = 0
; TotalNumSgprs: 4
; NumVgprs: 0
; ScratchSize: 0
; MemoryBound: 0
; FloatMode: 240
; IeeeMode: 1
; LDSByteSize: 0 bytes/workgroup (compile time only)
; SGPRBlocks: 0
; VGPRBlocks: 0
; NumSGPRsForWavesPerEU: 4
; NumVGPRsForWavesPerEU: 1
; Occupancy: 10
; WaveLimiterHint : 0
; COMPUTE_PGM_RSRC2:SCRATCH_EN: 0
; COMPUTE_PGM_RSRC2:USER_SGPR: 6
; COMPUTE_PGM_RSRC2:TRAP_HANDLER: 0
; COMPUTE_PGM_RSRC2:TGID_X_EN: 1
; COMPUTE_PGM_RSRC2:TGID_Y_EN: 0
; COMPUTE_PGM_RSRC2:TGID_Z_EN: 0
; COMPUTE_PGM_RSRC2:TIDIG_COMP_CNT: 0
	.section	.text._ZN7rocprim17ROCPRIM_400000_NS6detail17trampoline_kernelINS0_14default_configENS1_38merge_sort_block_merge_config_selectorIdlEEZZNS1_27merge_sort_block_merge_implIS3_PdN6thrust23THRUST_200600_302600_NS10device_ptrIlEEjNS1_19radix_merge_compareILb0ELb0EdNS0_19identity_decomposerEEEEE10hipError_tT0_T1_T2_jT3_P12ihipStream_tbPNSt15iterator_traitsISG_E10value_typeEPNSM_ISH_E10value_typeEPSI_NS1_7vsmem_tEENKUlT_SG_SH_SI_E_clIS7_S7_SB_PlEESF_SV_SG_SH_SI_EUlSV_E0_NS1_11comp_targetILNS1_3genE2ELNS1_11target_archE906ELNS1_3gpuE6ELNS1_3repE0EEENS1_38merge_mergepath_config_static_selectorELNS0_4arch9wavefront6targetE1EEEvSH_,"axG",@progbits,_ZN7rocprim17ROCPRIM_400000_NS6detail17trampoline_kernelINS0_14default_configENS1_38merge_sort_block_merge_config_selectorIdlEEZZNS1_27merge_sort_block_merge_implIS3_PdN6thrust23THRUST_200600_302600_NS10device_ptrIlEEjNS1_19radix_merge_compareILb0ELb0EdNS0_19identity_decomposerEEEEE10hipError_tT0_T1_T2_jT3_P12ihipStream_tbPNSt15iterator_traitsISG_E10value_typeEPNSM_ISH_E10value_typeEPSI_NS1_7vsmem_tEENKUlT_SG_SH_SI_E_clIS7_S7_SB_PlEESF_SV_SG_SH_SI_EUlSV_E0_NS1_11comp_targetILNS1_3genE2ELNS1_11target_archE906ELNS1_3gpuE6ELNS1_3repE0EEENS1_38merge_mergepath_config_static_selectorELNS0_4arch9wavefront6targetE1EEEvSH_,comdat
	.protected	_ZN7rocprim17ROCPRIM_400000_NS6detail17trampoline_kernelINS0_14default_configENS1_38merge_sort_block_merge_config_selectorIdlEEZZNS1_27merge_sort_block_merge_implIS3_PdN6thrust23THRUST_200600_302600_NS10device_ptrIlEEjNS1_19radix_merge_compareILb0ELb0EdNS0_19identity_decomposerEEEEE10hipError_tT0_T1_T2_jT3_P12ihipStream_tbPNSt15iterator_traitsISG_E10value_typeEPNSM_ISH_E10value_typeEPSI_NS1_7vsmem_tEENKUlT_SG_SH_SI_E_clIS7_S7_SB_PlEESF_SV_SG_SH_SI_EUlSV_E0_NS1_11comp_targetILNS1_3genE2ELNS1_11target_archE906ELNS1_3gpuE6ELNS1_3repE0EEENS1_38merge_mergepath_config_static_selectorELNS0_4arch9wavefront6targetE1EEEvSH_ ; -- Begin function _ZN7rocprim17ROCPRIM_400000_NS6detail17trampoline_kernelINS0_14default_configENS1_38merge_sort_block_merge_config_selectorIdlEEZZNS1_27merge_sort_block_merge_implIS3_PdN6thrust23THRUST_200600_302600_NS10device_ptrIlEEjNS1_19radix_merge_compareILb0ELb0EdNS0_19identity_decomposerEEEEE10hipError_tT0_T1_T2_jT3_P12ihipStream_tbPNSt15iterator_traitsISG_E10value_typeEPNSM_ISH_E10value_typeEPSI_NS1_7vsmem_tEENKUlT_SG_SH_SI_E_clIS7_S7_SB_PlEESF_SV_SG_SH_SI_EUlSV_E0_NS1_11comp_targetILNS1_3genE2ELNS1_11target_archE906ELNS1_3gpuE6ELNS1_3repE0EEENS1_38merge_mergepath_config_static_selectorELNS0_4arch9wavefront6targetE1EEEvSH_
	.globl	_ZN7rocprim17ROCPRIM_400000_NS6detail17trampoline_kernelINS0_14default_configENS1_38merge_sort_block_merge_config_selectorIdlEEZZNS1_27merge_sort_block_merge_implIS3_PdN6thrust23THRUST_200600_302600_NS10device_ptrIlEEjNS1_19radix_merge_compareILb0ELb0EdNS0_19identity_decomposerEEEEE10hipError_tT0_T1_T2_jT3_P12ihipStream_tbPNSt15iterator_traitsISG_E10value_typeEPNSM_ISH_E10value_typeEPSI_NS1_7vsmem_tEENKUlT_SG_SH_SI_E_clIS7_S7_SB_PlEESF_SV_SG_SH_SI_EUlSV_E0_NS1_11comp_targetILNS1_3genE2ELNS1_11target_archE906ELNS1_3gpuE6ELNS1_3repE0EEENS1_38merge_mergepath_config_static_selectorELNS0_4arch9wavefront6targetE1EEEvSH_
	.p2align	8
	.type	_ZN7rocprim17ROCPRIM_400000_NS6detail17trampoline_kernelINS0_14default_configENS1_38merge_sort_block_merge_config_selectorIdlEEZZNS1_27merge_sort_block_merge_implIS3_PdN6thrust23THRUST_200600_302600_NS10device_ptrIlEEjNS1_19radix_merge_compareILb0ELb0EdNS0_19identity_decomposerEEEEE10hipError_tT0_T1_T2_jT3_P12ihipStream_tbPNSt15iterator_traitsISG_E10value_typeEPNSM_ISH_E10value_typeEPSI_NS1_7vsmem_tEENKUlT_SG_SH_SI_E_clIS7_S7_SB_PlEESF_SV_SG_SH_SI_EUlSV_E0_NS1_11comp_targetILNS1_3genE2ELNS1_11target_archE906ELNS1_3gpuE6ELNS1_3repE0EEENS1_38merge_mergepath_config_static_selectorELNS0_4arch9wavefront6targetE1EEEvSH_,@function
_ZN7rocprim17ROCPRIM_400000_NS6detail17trampoline_kernelINS0_14default_configENS1_38merge_sort_block_merge_config_selectorIdlEEZZNS1_27merge_sort_block_merge_implIS3_PdN6thrust23THRUST_200600_302600_NS10device_ptrIlEEjNS1_19radix_merge_compareILb0ELb0EdNS0_19identity_decomposerEEEEE10hipError_tT0_T1_T2_jT3_P12ihipStream_tbPNSt15iterator_traitsISG_E10value_typeEPNSM_ISH_E10value_typeEPSI_NS1_7vsmem_tEENKUlT_SG_SH_SI_E_clIS7_S7_SB_PlEESF_SV_SG_SH_SI_EUlSV_E0_NS1_11comp_targetILNS1_3genE2ELNS1_11target_archE906ELNS1_3gpuE6ELNS1_3repE0EEENS1_38merge_mergepath_config_static_selectorELNS0_4arch9wavefront6targetE1EEEvSH_: ; @_ZN7rocprim17ROCPRIM_400000_NS6detail17trampoline_kernelINS0_14default_configENS1_38merge_sort_block_merge_config_selectorIdlEEZZNS1_27merge_sort_block_merge_implIS3_PdN6thrust23THRUST_200600_302600_NS10device_ptrIlEEjNS1_19radix_merge_compareILb0ELb0EdNS0_19identity_decomposerEEEEE10hipError_tT0_T1_T2_jT3_P12ihipStream_tbPNSt15iterator_traitsISG_E10value_typeEPNSM_ISH_E10value_typeEPSI_NS1_7vsmem_tEENKUlT_SG_SH_SI_E_clIS7_S7_SB_PlEESF_SV_SG_SH_SI_EUlSV_E0_NS1_11comp_targetILNS1_3genE2ELNS1_11target_archE906ELNS1_3gpuE6ELNS1_3repE0EEENS1_38merge_mergepath_config_static_selectorELNS0_4arch9wavefront6targetE1EEEvSH_
; %bb.0:
	s_load_dwordx2 s[24:25], s[4:5], 0x40
	s_load_dword s1, s[4:5], 0x30
	s_add_u32 s22, s4, 64
	s_addc_u32 s23, s5, 0
	s_waitcnt lgkmcnt(0)
	s_mul_i32 s0, s25, s8
	s_add_i32 s0, s0, s7
	s_mul_i32 s0, s0, s24
	s_add_i32 s0, s0, s6
	s_cmp_ge_u32 s0, s1
	s_cbranch_scc1 .LBB1579_60
; %bb.1:
	s_load_dwordx8 s[8:15], s[4:5], 0x10
	s_load_dwordx2 s[28:29], s[4:5], 0x8
	s_load_dwordx2 s[2:3], s[4:5], 0x38
	s_mov_b32 s1, 0
	s_mov_b32 s21, s1
	s_waitcnt lgkmcnt(0)
	s_lshr_b32 s30, s14, 10
	s_cmp_lg_u32 s0, s30
	s_cselect_b64 s[4:5], -1, 0
	s_lshl_b64 s[16:17], s[0:1], 2
	s_add_u32 s2, s2, s16
	s_addc_u32 s3, s3, s17
	s_load_dwordx2 s[16:17], s[2:3], 0x0
	s_lshr_b32 s2, s15, 9
	s_and_b32 s2, s2, 0x7ffffe
	s_sub_i32 s3, 0, s2
	s_and_b32 s7, s0, s3
	s_lshl_b32 s18, s7, 10
	s_lshl_b32 s2, s0, 10
	;; [unrolled: 1-line block ×3, first 2 shown]
	s_sub_i32 s19, s2, s18
	s_add_i32 s7, s7, s15
	s_add_i32 s19, s7, s19
	s_waitcnt lgkmcnt(0)
	s_sub_i32 s20, s19, s16
	s_sub_i32 s19, s19, s17
	;; [unrolled: 1-line block ×3, first 2 shown]
	s_min_u32 s20, s14, s20
	s_addk_i32 s19, 0x400
	s_or_b32 s3, s0, s3
	s_min_u32 s18, s14, s7
	s_add_i32 s7, s7, s15
	s_cmp_eq_u32 s3, -1
	s_cselect_b32 s3, s7, s19
	s_cselect_b32 s7, s18, s17
	s_mov_b32 s17, s1
	s_min_u32 s15, s3, s14
	s_sub_i32 s3, s7, s16
	s_lshl_b64 s[16:17], s[16:17], 3
	s_add_u32 s25, s28, s16
	s_addc_u32 s26, s29, s17
	s_lshl_b64 s[18:19], s[20:21], 3
	s_add_u32 s21, s28, s18
	v_mov_b32_e32 v6, 0
	global_load_dword v1, v6, s[22:23] offset:14
	s_addc_u32 s27, s29, s19
	s_cmp_lt_u32 s6, s24
	s_cselect_b32 s1, 12, 18
	s_add_u32 s6, s22, s1
	s_addc_u32 s7, s23, 0
	global_load_ushort v2, v6, s[6:7]
	s_cmp_eq_u32 s0, s30
	v_lshlrev_b32_e32 v25, 3, v0
	s_waitcnt vmcnt(1)
	v_lshrrev_b32_e32 v3, 16, v1
	v_and_b32_e32 v1, 0xffff, v1
	v_mul_lo_u32 v1, v1, v3
	s_waitcnt vmcnt(0)
	v_mul_lo_u32 v21, v1, v2
	v_add_u32_e32 v19, v21, v0
	v_add_u32_e32 v17, v19, v21
	s_cbranch_scc1 .LBB1579_3
; %bb.2:
	v_mov_b32_e32 v1, s26
	v_add_co_u32_e32 v3, vcc, s25, v25
	v_addc_co_u32_e32 v4, vcc, 0, v1, vcc
	v_subrev_co_u32_e32 v5, vcc, s3, v0
	v_lshlrev_b64 v[1:2], 3, v[5:6]
	v_mov_b32_e32 v5, s27
	v_add_co_u32_e64 v1, s[0:1], s21, v1
	v_addc_co_u32_e64 v2, s[0:1], v5, v2, s[0:1]
	v_mov_b32_e32 v20, v6
	v_cndmask_b32_e32 v2, v2, v4, vcc
	v_cndmask_b32_e32 v1, v1, v3, vcc
	v_lshlrev_b64 v[3:4], 3, v[19:20]
	global_load_dwordx2 v[1:2], v[1:2], off
	v_mov_b32_e32 v5, s26
	v_add_co_u32_e32 v7, vcc, s25, v3
	v_addc_co_u32_e32 v8, vcc, v5, v4, vcc
	v_subrev_co_u32_e32 v5, vcc, s3, v19
	v_lshlrev_b64 v[3:4], 3, v[5:6]
	v_mov_b32_e32 v5, s27
	v_add_co_u32_e64 v3, s[0:1], s21, v3
	v_addc_co_u32_e64 v4, s[0:1], v5, v4, s[0:1]
	v_mov_b32_e32 v18, v6
	v_cndmask_b32_e32 v4, v4, v8, vcc
	v_cndmask_b32_e32 v3, v3, v7, vcc
	v_lshlrev_b64 v[7:8], 3, v[17:18]
	v_mov_b32_e32 v5, s26
	v_add_co_u32_e32 v7, vcc, s25, v7
	v_addc_co_u32_e32 v8, vcc, v5, v8, vcc
	v_subrev_co_u32_e32 v5, vcc, s3, v17
	v_lshlrev_b64 v[5:6], 3, v[5:6]
	v_mov_b32_e32 v9, s27
	v_add_co_u32_e64 v5, s[0:1], s21, v5
	v_addc_co_u32_e64 v6, s[0:1], v9, v6, s[0:1]
	v_cndmask_b32_e32 v6, v6, v8, vcc
	v_cndmask_b32_e32 v5, v5, v7, vcc
	global_load_dwordx2 v[3:4], v[3:4], off
	v_add_u32_e32 v9, v17, v21
	global_load_dwordx2 v[5:6], v[5:6], off
	s_mov_b64 s[0:1], -1
	s_sub_i32 s15, s15, s20
	s_cbranch_execz .LBB1579_4
	s_branch .LBB1579_9
.LBB1579_3:
	s_mov_b64 s[0:1], 0
                                        ; implicit-def: $vgpr9
                                        ; implicit-def: $vgpr1_vgpr2_vgpr3_vgpr4_vgpr5_vgpr6_vgpr7_vgpr8
	s_sub_i32 s15, s15, s20
.LBB1579_4:
	s_add_i32 s20, s15, s3
	s_waitcnt vmcnt(2)
	v_mov_b32_e32 v1, 0
	v_cmp_gt_u32_e32 vcc, s20, v0
	v_mov_b32_e32 v2, v1
	s_waitcnt vmcnt(1)
	v_mov_b32_e32 v3, v1
	v_mov_b32_e32 v4, v1
	s_waitcnt vmcnt(0)
	v_mov_b32_e32 v5, v1
	v_mov_b32_e32 v6, v1
	;; [unrolled: 1-line block ×4, first 2 shown]
	s_and_saveexec_b64 s[6:7], vcc
	s_cbranch_execnz .LBB1579_61
; %bb.5:
	s_or_b64 exec, exec, s[6:7]
	v_cmp_gt_u32_e32 vcc, s20, v19
	s_and_saveexec_b64 s[6:7], vcc
	s_cbranch_execnz .LBB1579_62
.LBB1579_6:
	s_or_b64 exec, exec, s[6:7]
	v_cmp_gt_u32_e32 vcc, s20, v17
	s_and_saveexec_b64 s[6:7], vcc
	s_cbranch_execz .LBB1579_8
.LBB1579_7:
	v_mov_b32_e32 v18, 0
	v_lshlrev_b64 v[5:6], 3, v[17:18]
	v_mov_b32_e32 v9, s26
	v_add_co_u32_e32 v10, vcc, s25, v5
	v_addc_co_u32_e32 v9, vcc, v9, v6, vcc
	v_subrev_co_u32_e32 v5, vcc, s3, v17
	v_mov_b32_e32 v6, v18
	v_lshlrev_b64 v[5:6], 3, v[5:6]
	v_mov_b32_e32 v11, s27
	v_add_co_u32_e64 v5, s[0:1], s21, v5
	v_addc_co_u32_e64 v6, s[0:1], v11, v6, s[0:1]
	v_cndmask_b32_e32 v6, v6, v9, vcc
	v_cndmask_b32_e32 v5, v5, v10, vcc
	global_load_dwordx2 v[5:6], v[5:6], off
.LBB1579_8:
	s_or_b64 exec, exec, s[6:7]
	v_add_u32_e32 v9, v17, v21
	v_cmp_gt_u32_e64 s[0:1], s20, v9
.LBB1579_9:
	s_and_saveexec_b64 s[6:7], s[0:1]
	s_cbranch_execz .LBB1579_11
; %bb.10:
	v_mov_b32_e32 v10, 0
	v_lshlrev_b64 v[7:8], 3, v[9:10]
	v_mov_b32_e32 v11, s26
	v_add_co_u32_e32 v12, vcc, s25, v7
	v_addc_co_u32_e32 v11, vcc, v11, v8, vcc
	v_subrev_co_u32_e32 v9, vcc, s3, v9
	v_lshlrev_b64 v[7:8], 3, v[9:10]
	v_mov_b32_e32 v9, s27
	v_add_co_u32_e64 v7, s[0:1], s21, v7
	v_addc_co_u32_e64 v8, s[0:1], v9, v8, s[0:1]
	v_cndmask_b32_e32 v8, v8, v11, vcc
	v_cndmask_b32_e32 v7, v7, v12, vcc
	global_load_dwordx2 v[7:8], v[7:8], off
.LBB1579_11:
	s_or_b64 exec, exec, s[6:7]
	s_add_u32 s16, s10, s16
	s_addc_u32 s17, s11, s17
	s_add_u32 s10, s10, s18
	v_mov_b32_e32 v15, 0
	s_addc_u32 s11, s11, s19
	s_andn2_b64 vcc, exec, s[4:5]
	s_waitcnt vmcnt(0)
	ds_write2st64_b64 v25, v[1:2], v[3:4] offset1:4
	ds_write2st64_b64 v25, v[5:6], v[7:8] offset0:8 offset1:12
	s_cbranch_vccnz .LBB1579_13
; %bb.12:
	v_mov_b32_e32 v9, s17
	v_add_co_u32_e32 v11, vcc, s16, v25
	v_addc_co_u32_e32 v12, vcc, 0, v9, vcc
	v_subrev_co_u32_e32 v14, vcc, s3, v0
	v_lshlrev_b64 v[9:10], 3, v[14:15]
	v_mov_b32_e32 v13, s11
	v_add_co_u32_e64 v9, s[0:1], s10, v9
	v_addc_co_u32_e64 v10, s[0:1], v13, v10, s[0:1]
	v_mov_b32_e32 v20, v15
	v_cndmask_b32_e32 v10, v10, v12, vcc
	v_cndmask_b32_e32 v9, v9, v11, vcc
	v_lshlrev_b64 v[11:12], 3, v[19:20]
	v_mov_b32_e32 v13, s17
	v_add_co_u32_e32 v16, vcc, s16, v11
	v_addc_co_u32_e32 v13, vcc, v13, v12, vcc
	v_subrev_co_u32_e32 v14, vcc, s3, v19
	v_lshlrev_b64 v[11:12], 3, v[14:15]
	v_mov_b32_e32 v14, s11
	v_add_co_u32_e64 v11, s[0:1], s10, v11
	v_addc_co_u32_e64 v12, s[0:1], v14, v12, s[0:1]
	v_mov_b32_e32 v18, v15
	v_cndmask_b32_e32 v12, v12, v13, vcc
	v_lshlrev_b64 v[13:14], 3, v[17:18]
	v_cndmask_b32_e32 v11, v11, v16, vcc
	v_mov_b32_e32 v16, s17
	v_add_co_u32_e32 v18, vcc, s16, v13
	v_addc_co_u32_e32 v16, vcc, v16, v14, vcc
	v_subrev_co_u32_e32 v14, vcc, s3, v17
	v_lshlrev_b64 v[13:14], 3, v[14:15]
	v_mov_b32_e32 v20, s11
	v_add_co_u32_e64 v13, s[0:1], s10, v13
	v_addc_co_u32_e64 v14, s[0:1], v20, v14, s[0:1]
	v_cndmask_b32_e32 v14, v14, v16, vcc
	v_cndmask_b32_e32 v13, v13, v18, vcc
	global_load_dwordx2 v[9:10], v[9:10], off
	s_add_i32 s18, s15, s3
	global_load_dwordx2 v[11:12], v[11:12], off
	v_mov_b32_e32 v16, v15
	global_load_dwordx2 v[13:14], v[13:14], off
	v_add_u32_e32 v18, v17, v21
	s_mov_b64 s[0:1], -1
	v_mov_b32_e32 v27, s18
	s_cbranch_execz .LBB1579_14
	s_branch .LBB1579_19
.LBB1579_13:
	s_mov_b64 s[0:1], 0
                                        ; implicit-def: $vgpr18
                                        ; implicit-def: $vgpr9_vgpr10_vgpr11_vgpr12_vgpr13_vgpr14_vgpr15_vgpr16
                                        ; implicit-def: $vgpr27
.LBB1579_14:
	s_add_i32 s18, s15, s3
	s_waitcnt vmcnt(2)
	v_mov_b32_e32 v9, 0
	v_cmp_gt_u32_e32 vcc, s18, v0
	v_mov_b32_e32 v10, v9
	s_waitcnt vmcnt(1)
	v_mov_b32_e32 v11, v9
	v_mov_b32_e32 v12, v9
	s_waitcnt vmcnt(0)
	v_mov_b32_e32 v13, v9
	v_mov_b32_e32 v14, v9
	v_mov_b32_e32 v15, v9
	v_mov_b32_e32 v16, v9
	s_and_saveexec_b64 s[6:7], vcc
	s_cbranch_execnz .LBB1579_63
; %bb.15:
	s_or_b64 exec, exec, s[6:7]
	v_cmp_gt_u32_e32 vcc, s18, v19
	s_and_saveexec_b64 s[6:7], vcc
	s_cbranch_execnz .LBB1579_64
.LBB1579_16:
	s_or_b64 exec, exec, s[6:7]
	v_cmp_gt_u32_e32 vcc, s18, v17
	s_and_saveexec_b64 s[6:7], vcc
	s_cbranch_execz .LBB1579_18
.LBB1579_17:
	v_mov_b32_e32 v18, 0
	v_lshlrev_b64 v[13:14], 3, v[17:18]
	v_mov_b32_e32 v19, s17
	v_add_co_u32_e32 v20, vcc, s16, v13
	v_addc_co_u32_e32 v19, vcc, v19, v14, vcc
	v_subrev_co_u32_e32 v13, vcc, s3, v17
	v_mov_b32_e32 v14, v18
	v_lshlrev_b64 v[13:14], 3, v[13:14]
	v_mov_b32_e32 v18, s11
	v_add_co_u32_e64 v13, s[0:1], s10, v13
	v_addc_co_u32_e64 v14, s[0:1], v18, v14, s[0:1]
	v_cndmask_b32_e32 v14, v14, v19, vcc
	v_cndmask_b32_e32 v13, v13, v20, vcc
	global_load_dwordx2 v[13:14], v[13:14], off
.LBB1579_18:
	s_or_b64 exec, exec, s[6:7]
	v_add_u32_e32 v18, v17, v21
	v_cmp_gt_u32_e64 s[0:1], s18, v18
	v_mov_b32_e32 v27, s18
.LBB1579_19:
	s_and_saveexec_b64 s[6:7], s[0:1]
	s_cbranch_execz .LBB1579_21
; %bb.20:
	v_mov_b32_e32 v16, 0
	v_mov_b32_e32 v19, v16
	v_lshlrev_b64 v[19:20], 3, v[18:19]
	v_mov_b32_e32 v15, s17
	v_add_co_u32_e32 v17, vcc, s16, v19
	v_addc_co_u32_e32 v19, vcc, v15, v20, vcc
	v_subrev_co_u32_e32 v15, vcc, s3, v18
	v_lshlrev_b64 v[15:16], 3, v[15:16]
	v_mov_b32_e32 v18, s11
	v_add_co_u32_e64 v15, s[0:1], s10, v15
	v_addc_co_u32_e64 v16, s[0:1], v18, v16, s[0:1]
	v_cndmask_b32_e32 v16, v16, v19, vcc
	v_cndmask_b32_e32 v15, v15, v17, vcc
	global_load_dwordx2 v[15:16], v[15:16], off
.LBB1579_21:
	s_or_b64 exec, exec, s[6:7]
	v_lshlrev_b32_e32 v26, 2, v0
	v_min_u32_e32 v17, v27, v26
	v_sub_u32_e64 v19, v17, s15 clamp
	v_min_u32_e32 v18, s3, v17
	v_cmp_lt_u32_e32 vcc, v19, v18
	s_waitcnt vmcnt(0) lgkmcnt(0)
	s_barrier
	s_and_saveexec_b64 s[0:1], vcc
	s_cbranch_execz .LBB1579_25
; %bb.22:
	v_lshlrev_b32_e32 v20, 3, v17
	v_lshl_add_u32 v20, s3, 3, v20
	s_mov_b64 s[6:7], 0
.LBB1579_23:                            ; =>This Inner Loop Header: Depth=1
	v_add_u32_e32 v21, v18, v19
	v_lshrrev_b32_e32 v28, 1, v21
	v_not_b32_e32 v23, v28
	v_lshlrev_b32_e32 v21, 3, v28
	ds_read_b64 v[21:22], v21
	v_lshl_add_u32 v23, v23, 3, v20
	ds_read_b64 v[23:24], v23
	v_add_u32_e32 v29, 1, v28
	s_waitcnt lgkmcnt(1)
	v_add_f64 v[21:22], v[21:22], 0
	s_waitcnt lgkmcnt(0)
	v_add_f64 v[23:24], v[23:24], 0
	v_ashrrev_i32_e32 v30, 31, v22
	v_or_b32_e32 v31, 0x80000000, v30
	v_xor_b32_e32 v21, v30, v21
	v_ashrrev_i32_e32 v30, 31, v24
	v_xor_b32_e32 v22, v31, v22
	v_or_b32_e32 v31, 0x80000000, v30
	v_xor_b32_e32 v23, v30, v23
	v_xor_b32_e32 v24, v31, v24
	v_cmp_gt_u64_e32 vcc, v[21:22], v[23:24]
	v_cndmask_b32_e32 v18, v18, v28, vcc
	v_cndmask_b32_e32 v19, v29, v19, vcc
	v_cmp_ge_u32_e32 vcc, v19, v18
	s_or_b64 s[6:7], vcc, s[6:7]
	s_andn2_b64 exec, exec, s[6:7]
	s_cbranch_execnz .LBB1579_23
; %bb.24:
	s_or_b64 exec, exec, s[6:7]
.LBB1579_25:
	s_or_b64 exec, exec, s[0:1]
	v_sub_u32_e32 v17, v17, v19
	v_add_u32_e32 v20, s3, v17
	v_cmp_ge_u32_e32 vcc, s3, v19
	v_cmp_le_u32_e64 s[0:1], v20, v27
	s_or_b64 s[0:1], vcc, s[0:1]
	v_mov_b32_e32 v28, 0
	v_mov_b32_e32 v29, 0
	;; [unrolled: 1-line block ×4, first 2 shown]
	s_and_saveexec_b64 s[6:7], s[0:1]
	s_cbranch_execz .LBB1579_45
; %bb.26:
	v_cmp_le_u32_e32 vcc, s3, v19
	v_cmp_gt_u32_e64 s[0:1], s3, v19
                                        ; implicit-def: $vgpr1_vgpr2
	s_and_saveexec_b64 s[10:11], s[0:1]
; %bb.27:
	v_lshlrev_b32_e32 v1, 3, v19
	ds_read_b64 v[1:2], v1
; %bb.28:
	s_or_b64 exec, exec, s[10:11]
	v_cmp_ge_u32_e64 s[10:11], v20, v27
	v_cmp_lt_u32_e64 s[0:1], v20, v27
                                        ; implicit-def: $vgpr7_vgpr8
	s_and_saveexec_b64 s[16:17], s[0:1]
; %bb.29:
	v_lshlrev_b32_e32 v3, 3, v20
	ds_read_b64 v[7:8], v3
; %bb.30:
	s_or_b64 exec, exec, s[16:17]
	s_nor_b64 s[16:17], vcc, s[10:11]
	s_and_saveexec_b64 s[0:1], s[16:17]
	s_cbranch_execz .LBB1579_32
; %bb.31:
	s_waitcnt lgkmcnt(0)
	v_add_f64 v[3:4], v[1:2], 0
	v_add_f64 v[5:6], v[7:8], 0
	s_andn2_b64 s[10:11], s[10:11], exec
	v_ashrrev_i32_e32 v17, 31, v4
	v_ashrrev_i32_e32 v18, 31, v6
	v_or_b32_e32 v21, 0x80000000, v17
	v_xor_b32_e32 v3, v17, v3
	v_or_b32_e32 v17, 0x80000000, v18
	v_xor_b32_e32 v4, v21, v4
	v_xor_b32_e32 v6, v17, v6
	;; [unrolled: 1-line block ×3, first 2 shown]
	v_cmp_le_u64_e32 vcc, v[3:4], v[5:6]
	s_and_b64 s[16:17], vcc, exec
	s_or_b64 s[10:11], s[10:11], s[16:17]
.LBB1579_32:
	s_or_b64 exec, exec, s[0:1]
	v_mov_b32_e32 v3, s3
	v_cndmask_b32_e64 v28, v20, v19, s[10:11]
	v_cndmask_b32_e64 v3, v27, v3, s[10:11]
	v_add_u32_e32 v22, 1, v28
	v_add_u32_e32 v3, -1, v3
	v_min_u32_e32 v3, v22, v3
	v_lshlrev_b32_e32 v3, 3, v3
	ds_read_b64 v[5:6], v3
	v_cndmask_b32_e64 v21, v22, v20, s[10:11]
	v_cndmask_b32_e64 v22, v19, v22, s[10:11]
	v_cmp_lt_u32_e32 vcc, v21, v27
	s_mov_b64 s[16:17], -1
	s_waitcnt lgkmcnt(0)
	v_cndmask_b32_e64 v4, v6, v8, s[10:11]
	v_cndmask_b32_e64 v3, v5, v7, s[10:11]
	;; [unrolled: 1-line block ×4, first 2 shown]
	s_mov_b64 s[0:1], -1
	s_and_saveexec_b64 s[18:19], vcc
	s_cbranch_execz .LBB1579_36
; %bb.33:
	v_cmp_gt_u32_e32 vcc, s3, v22
	s_mov_b64 s[20:21], 0
	s_and_saveexec_b64 s[0:1], vcc
	s_cbranch_execz .LBB1579_35
; %bb.34:
	v_add_f64 v[5:6], v[17:18], 0
	v_add_f64 v[19:20], v[3:4], 0
	v_ashrrev_i32_e32 v23, 31, v6
	v_ashrrev_i32_e32 v24, 31, v20
	v_or_b32_e32 v29, 0x80000000, v23
	v_xor_b32_e32 v5, v23, v5
	v_or_b32_e32 v23, 0x80000000, v24
	v_xor_b32_e32 v6, v29, v6
	v_xor_b32_e32 v20, v23, v20
	;; [unrolled: 1-line block ×3, first 2 shown]
	v_cmp_le_u64_e32 vcc, v[5:6], v[19:20]
	s_and_b64 s[20:21], vcc, exec
.LBB1579_35:
	s_or_b64 exec, exec, s[0:1]
	s_orn2_b64 s[0:1], s[20:21], exec
.LBB1579_36:
	s_or_b64 exec, exec, s[18:19]
	v_mov_b32_e32 v5, s3
	v_cndmask_b32_e64 v29, v21, v22, s[0:1]
	v_cndmask_b32_e64 v5, v27, v5, s[0:1]
	v_add_u32_e32 v23, 1, v29
	v_add_u32_e32 v5, -1, v5
	v_min_u32_e32 v5, v23, v5
	v_lshlrev_b32_e32 v5, 3, v5
	ds_read_b64 v[19:20], v5
	v_cndmask_b32_e64 v31, v23, v21, s[0:1]
	v_cndmask_b32_e64 v32, v22, v23, s[0:1]
	v_cmp_lt_u32_e32 vcc, v31, v27
	s_waitcnt lgkmcnt(0)
	v_cndmask_b32_e64 v6, v20, v4, s[0:1]
	v_cndmask_b32_e64 v5, v19, v3, s[0:1]
	;; [unrolled: 1-line block ×4, first 2 shown]
	s_and_saveexec_b64 s[18:19], vcc
	s_cbranch_execz .LBB1579_40
; %bb.37:
	v_cmp_gt_u32_e32 vcc, s3, v32
	s_mov_b64 s[20:21], 0
	s_and_saveexec_b64 s[16:17], vcc
	s_cbranch_execz .LBB1579_39
; %bb.38:
	v_add_f64 v[21:22], v[19:20], 0
	v_add_f64 v[23:24], v[5:6], 0
	v_ashrrev_i32_e32 v30, 31, v22
	v_ashrrev_i32_e32 v33, 31, v24
	v_or_b32_e32 v34, 0x80000000, v30
	v_xor_b32_e32 v21, v30, v21
	v_or_b32_e32 v30, 0x80000000, v33
	v_xor_b32_e32 v22, v34, v22
	v_xor_b32_e32 v24, v30, v24
	;; [unrolled: 1-line block ×3, first 2 shown]
	v_cmp_le_u64_e32 vcc, v[21:22], v[23:24]
	s_and_b64 s[20:21], vcc, exec
.LBB1579_39:
	s_or_b64 exec, exec, s[16:17]
	s_orn2_b64 s[16:17], s[20:21], exec
.LBB1579_40:
	s_or_b64 exec, exec, s[18:19]
	v_mov_b32_e32 v21, s3
	v_cndmask_b32_e64 v30, v31, v32, s[16:17]
	v_cndmask_b32_e64 v21, v27, v21, s[16:17]
	v_add_u32_e32 v33, 1, v30
	v_add_u32_e32 v21, -1, v21
	v_min_u32_e32 v21, v33, v21
	v_lshlrev_b32_e32 v21, 3, v21
	ds_read_b64 v[23:24], v21
	v_cndmask_b32_e64 v31, v33, v31, s[16:17]
	v_cndmask_b32_e64 v32, v32, v33, s[16:17]
	v_cmp_lt_u32_e32 vcc, v31, v27
	s_mov_b64 s[20:21], -1
	s_waitcnt lgkmcnt(0)
	v_cndmask_b32_e64 v22, v24, v6, s[16:17]
	v_cndmask_b32_e64 v21, v23, v5, s[16:17]
	;; [unrolled: 1-line block ×4, first 2 shown]
	s_and_saveexec_b64 s[18:19], vcc
	s_cbranch_execz .LBB1579_44
; %bb.41:
	v_cmp_gt_u32_e32 vcc, s3, v32
	s_mov_b64 s[22:23], 0
	s_and_saveexec_b64 s[20:21], vcc
	s_cbranch_execz .LBB1579_43
; %bb.42:
	v_add_f64 v[33:34], v[23:24], 0
	v_add_f64 v[35:36], v[21:22], 0
	v_ashrrev_i32_e32 v27, 31, v34
	v_ashrrev_i32_e32 v37, 31, v36
	v_or_b32_e32 v38, 0x80000000, v27
	v_xor_b32_e32 v33, v27, v33
	v_or_b32_e32 v27, 0x80000000, v37
	v_xor_b32_e32 v34, v38, v34
	v_xor_b32_e32 v36, v27, v36
	v_xor_b32_e32 v35, v37, v35
	v_cmp_le_u64_e32 vcc, v[33:34], v[35:36]
	s_and_b64 s[22:23], vcc, exec
.LBB1579_43:
	s_or_b64 exec, exec, s[20:21]
	s_orn2_b64 s[20:21], s[22:23], exec
.LBB1579_44:
	s_or_b64 exec, exec, s[18:19]
	v_cndmask_b32_e64 v6, v6, v20, s[16:17]
	v_cndmask_b32_e64 v5, v5, v19, s[16:17]
	;; [unrolled: 1-line block ×9, first 2 shown]
.LBB1579_45:
	s_or_b64 exec, exec, s[6:7]
	s_barrier
	ds_write2st64_b64 v25, v[9:10], v[11:12] offset1:4
	ds_write2st64_b64 v25, v[13:14], v[15:16] offset0:8 offset1:12
	v_lshlrev_b32_e32 v12, 3, v17
	v_and_b32_e32 v17, 0xf8, v0
	v_lshlrev_b32_e32 v9, 3, v28
	v_lshlrev_b32_e32 v10, 3, v29
	;; [unrolled: 1-line block ×3, first 2 shown]
	v_lshl_add_u32 v18, v26, 3, v17
	s_waitcnt lgkmcnt(0)
	s_barrier
	ds_read_b64 v[13:14], v9
	ds_read_b64 v[15:16], v10
	ds_read_b64 v[9:10], v11
	ds_read_b64 v[11:12], v12
	s_waitcnt lgkmcnt(0)
	s_barrier
	s_barrier
	ds_write2_b64 v18, v[1:2], v[3:4] offset1:1
	ds_write2_b64 v18, v[5:6], v[7:8] offset0:2 offset1:3
	v_lshrrev_b32_e32 v1, 2, v0
	v_and_b32_e32 v1, 56, v1
	v_or_b32_e32 v24, 0x100, v0
	v_add_u32_e32 v17, v1, v25
	v_lshrrev_b32_e32 v1, 2, v24
	v_and_b32_e32 v1, 0x78, v1
	v_or_b32_e32 v23, 0x200, v0
	s_mov_b32 s3, 0
	v_add_u32_e32 v19, v1, v25
	v_lshrrev_b32_e32 v1, 2, v23
	s_lshl_b64 s[6:7], s[2:3], 3
	v_and_b32_e32 v1, 0xb8, v1
	v_or_b32_e32 v22, 0x300, v0
	s_add_u32 s0, s8, s6
	v_add_u32_e32 v20, v1, v25
	v_lshrrev_b32_e32 v1, 2, v22
	s_addc_u32 s1, s9, s7
	v_and_b32_e32 v1, 0xf8, v1
	v_add_u32_e32 v21, v1, v25
	v_mov_b32_e32 v2, s1
	v_add_co_u32_e32 v1, vcc, s0, v25
	v_addc_co_u32_e32 v2, vcc, 0, v2, vcc
	s_and_b64 vcc, exec, s[4:5]
	s_waitcnt lgkmcnt(0)
	s_cbranch_vccz .LBB1579_47
; %bb.46:
	s_barrier
	ds_read_b64 v[3:4], v17
	ds_read_b64 v[5:6], v19 offset:2048
	ds_read_b64 v[7:8], v20 offset:4096
	;; [unrolled: 1-line block ×3, first 2 shown]
	s_waitcnt lgkmcnt(3)
	global_store_dwordx2 v[1:2], v[3:4], off
	s_waitcnt lgkmcnt(2)
	global_store_dwordx2 v[1:2], v[5:6], off offset:2048
	v_add_co_u32_e32 v3, vcc, 0x1000, v1
	v_addc_co_u32_e32 v4, vcc, 0, v2, vcc
	s_add_u32 s0, s12, s6
	s_waitcnt lgkmcnt(1)
	global_store_dwordx2 v[3:4], v[7:8], off
	s_waitcnt lgkmcnt(0)
	global_store_dwordx2 v[3:4], v[26:27], off offset:2048
	s_waitcnt vmcnt(0)
	s_barrier
	s_addc_u32 s1, s13, s7
	ds_write2_b64 v18, v[13:14], v[15:16] offset1:1
	ds_write2_b64 v18, v[9:10], v[11:12] offset0:2 offset1:3
	s_waitcnt lgkmcnt(0)
	s_barrier
	ds_read_b64 v[5:6], v17
	ds_read_b64 v[7:8], v19 offset:2048
	ds_read_b64 v[26:27], v20 offset:4096
	;; [unrolled: 1-line block ×3, first 2 shown]
	v_mov_b32_e32 v28, s1
	v_add_co_u32_e32 v29, vcc, s0, v25
	v_addc_co_u32_e32 v28, vcc, 0, v28, vcc
	s_waitcnt lgkmcnt(3)
	global_store_dwordx2 v25, v[5:6], s[0:1]
	s_waitcnt lgkmcnt(2)
	global_store_dwordx2 v25, v[7:8], s[0:1] offset:2048
	v_add_co_u32_e32 v5, vcc, 0x1000, v29
	v_addc_co_u32_e32 v6, vcc, 0, v28, vcc
	s_waitcnt lgkmcnt(1)
	global_store_dwordx2 v[5:6], v[26:27], off
	s_mov_b64 s[8:9], -1
	s_cbranch_execz .LBB1579_48
	s_branch .LBB1579_58
.LBB1579_47:
	s_mov_b64 s[8:9], 0
                                        ; implicit-def: $vgpr3_vgpr4
.LBB1579_48:
	s_waitcnt vmcnt(0) lgkmcnt(0)
	s_barrier
	ds_read_b64 v[7:8], v19 offset:2048
	ds_read_b64 v[5:6], v20 offset:4096
	;; [unrolled: 1-line block ×3, first 2 shown]
	s_sub_i32 s10, s14, s2
	v_cmp_gt_u32_e64 s[0:1], s10, v0
	s_and_saveexec_b64 s[2:3], s[0:1]
	s_cbranch_execnz .LBB1579_65
; %bb.49:
	s_or_b64 exec, exec, s[2:3]
	v_cmp_gt_u32_e64 s[2:3], s10, v24
	s_and_saveexec_b64 s[4:5], s[2:3]
	s_cbranch_execnz .LBB1579_66
.LBB1579_50:
	s_or_b64 exec, exec, s[4:5]
	v_cmp_gt_u32_e64 s[4:5], s10, v23
	s_and_saveexec_b64 s[8:9], s[4:5]
	s_cbranch_execnz .LBB1579_67
.LBB1579_51:
	s_or_b64 exec, exec, s[8:9]
	v_cmp_gt_u32_e64 s[8:9], s10, v22
	s_and_saveexec_b64 s[10:11], s[8:9]
	s_cbranch_execz .LBB1579_53
.LBB1579_52:
	v_add_co_u32_e32 v0, vcc, 0x1000, v1
	v_addc_co_u32_e32 v1, vcc, 0, v2, vcc
	s_waitcnt lgkmcnt(0)
	global_store_dwordx2 v[0:1], v[3:4], off offset:2048
.LBB1579_53:
	s_or_b64 exec, exec, s[10:11]
	s_waitcnt vmcnt(0) lgkmcnt(0)
	s_barrier
	ds_write2_b64 v18, v[13:14], v[15:16] offset1:1
	ds_write2_b64 v18, v[9:10], v[11:12] offset0:2 offset1:3
	s_waitcnt lgkmcnt(0)
	s_barrier
	ds_read_b64 v[7:8], v19 offset:2048
	ds_read_b64 v[0:1], v20 offset:4096
	;; [unrolled: 1-line block ×3, first 2 shown]
	s_add_u32 s10, s12, s6
	s_addc_u32 s11, s13, s7
	v_mov_b32_e32 v2, s11
	v_add_co_u32_e32 v5, vcc, s10, v25
	v_addc_co_u32_e32 v6, vcc, 0, v2, vcc
	s_and_saveexec_b64 s[10:11], s[0:1]
	s_cbranch_execnz .LBB1579_68
; %bb.54:
	s_or_b64 exec, exec, s[10:11]
	s_and_saveexec_b64 s[0:1], s[2:3]
	s_cbranch_execnz .LBB1579_69
.LBB1579_55:
	s_or_b64 exec, exec, s[0:1]
	s_and_saveexec_b64 s[0:1], s[4:5]
	s_cbranch_execz .LBB1579_57
.LBB1579_56:
	v_add_co_u32_e32 v5, vcc, 0x1000, v5
	v_addc_co_u32_e32 v6, vcc, 0, v6, vcc
	s_waitcnt lgkmcnt(1)
	global_store_dwordx2 v[5:6], v[0:1], off
.LBB1579_57:
	s_or_b64 exec, exec, s[0:1]
.LBB1579_58:
	s_and_saveexec_b64 s[0:1], s[8:9]
	s_cbranch_execz .LBB1579_60
; %bb.59:
	s_add_u32 s0, s12, s6
	s_addc_u32 s1, s13, s7
	s_waitcnt lgkmcnt(1)
	v_mov_b32_e32 v0, s1
	v_add_co_u32_e32 v1, vcc, s0, v25
	v_addc_co_u32_e32 v2, vcc, 0, v0, vcc
	v_add_co_u32_e32 v0, vcc, 0x1000, v1
	v_addc_co_u32_e32 v1, vcc, 0, v2, vcc
	s_waitcnt lgkmcnt(0)
	global_store_dwordx2 v[0:1], v[3:4], off offset:2048
.LBB1579_60:
	s_endpgm
.LBB1579_61:
	v_mov_b32_e32 v2, s26
	v_add_co_u32_e32 v4, vcc, s25, v25
	v_addc_co_u32_e32 v5, vcc, 0, v2, vcc
	v_subrev_co_u32_e32 v2, vcc, s3, v0
	v_mov_b32_e32 v3, v1
	v_lshlrev_b64 v[2:3], 3, v[2:3]
	v_mov_b32_e32 v6, s27
	v_add_co_u32_e64 v2, s[0:1], s21, v2
	v_addc_co_u32_e64 v3, s[0:1], v6, v3, s[0:1]
	v_cndmask_b32_e32 v3, v3, v5, vcc
	v_cndmask_b32_e32 v2, v2, v4, vcc
	global_load_dwordx2 v[2:3], v[2:3], off
	v_mov_b32_e32 v4, v1
	v_mov_b32_e32 v5, v1
	;; [unrolled: 1-line block ×6, first 2 shown]
	s_waitcnt vmcnt(0)
	v_mov_b32_e32 v1, v2
	v_mov_b32_e32 v2, v3
	;; [unrolled: 1-line block ×8, first 2 shown]
	s_or_b64 exec, exec, s[6:7]
	v_cmp_gt_u32_e32 vcc, s20, v19
	s_and_saveexec_b64 s[6:7], vcc
	s_cbranch_execz .LBB1579_6
.LBB1579_62:
	v_mov_b32_e32 v20, 0
	v_lshlrev_b64 v[3:4], 3, v[19:20]
	v_mov_b32_e32 v9, s26
	v_add_co_u32_e32 v10, vcc, s25, v3
	v_addc_co_u32_e32 v9, vcc, v9, v4, vcc
	v_subrev_co_u32_e32 v3, vcc, s3, v19
	v_mov_b32_e32 v4, v20
	v_lshlrev_b64 v[3:4], 3, v[3:4]
	v_mov_b32_e32 v11, s27
	v_add_co_u32_e64 v3, s[0:1], s21, v3
	v_addc_co_u32_e64 v4, s[0:1], v11, v4, s[0:1]
	v_cndmask_b32_e32 v4, v4, v9, vcc
	v_cndmask_b32_e32 v3, v3, v10, vcc
	global_load_dwordx2 v[3:4], v[3:4], off
	s_or_b64 exec, exec, s[6:7]
	v_cmp_gt_u32_e32 vcc, s20, v17
	s_and_saveexec_b64 s[6:7], vcc
	s_cbranch_execnz .LBB1579_7
	s_branch .LBB1579_8
.LBB1579_63:
	v_mov_b32_e32 v10, s17
	v_add_co_u32_e32 v12, vcc, s16, v25
	v_addc_co_u32_e32 v13, vcc, 0, v10, vcc
	v_subrev_co_u32_e32 v10, vcc, s3, v0
	v_mov_b32_e32 v11, v9
	v_lshlrev_b64 v[10:11], 3, v[10:11]
	v_mov_b32_e32 v14, s11
	v_add_co_u32_e64 v10, s[0:1], s10, v10
	v_addc_co_u32_e64 v11, s[0:1], v14, v11, s[0:1]
	v_cndmask_b32_e32 v11, v11, v13, vcc
	v_cndmask_b32_e32 v10, v10, v12, vcc
	global_load_dwordx2 v[26:27], v[10:11], off
	v_mov_b32_e32 v28, v9
	v_mov_b32_e32 v29, v9
	;; [unrolled: 1-line block ×6, first 2 shown]
	s_waitcnt vmcnt(0)
	v_mov_b32_e32 v9, v26
	v_mov_b32_e32 v10, v27
	;; [unrolled: 1-line block ×8, first 2 shown]
	s_or_b64 exec, exec, s[6:7]
	v_cmp_gt_u32_e32 vcc, s18, v19
	s_and_saveexec_b64 s[6:7], vcc
	s_cbranch_execz .LBB1579_16
.LBB1579_64:
	v_mov_b32_e32 v20, 0
	v_lshlrev_b64 v[11:12], 3, v[19:20]
	v_mov_b32_e32 v18, s17
	v_add_co_u32_e32 v22, vcc, s16, v11
	v_addc_co_u32_e32 v18, vcc, v18, v12, vcc
	v_subrev_co_u32_e32 v19, vcc, s3, v19
	v_lshlrev_b64 v[11:12], 3, v[19:20]
	v_mov_b32_e32 v19, s11
	v_add_co_u32_e64 v11, s[0:1], s10, v11
	v_addc_co_u32_e64 v12, s[0:1], v19, v12, s[0:1]
	v_cndmask_b32_e32 v12, v12, v18, vcc
	v_cndmask_b32_e32 v11, v11, v22, vcc
	global_load_dwordx2 v[11:12], v[11:12], off
	s_or_b64 exec, exec, s[6:7]
	v_cmp_gt_u32_e32 vcc, s18, v17
	s_and_saveexec_b64 s[6:7], vcc
	s_cbranch_execnz .LBB1579_17
	s_branch .LBB1579_18
.LBB1579_65:
	ds_read_b64 v[26:27], v17
	s_waitcnt lgkmcnt(0)
	global_store_dwordx2 v[1:2], v[26:27], off
	s_or_b64 exec, exec, s[2:3]
	v_cmp_gt_u32_e64 s[2:3], s10, v24
	s_and_saveexec_b64 s[4:5], s[2:3]
	s_cbranch_execz .LBB1579_50
.LBB1579_66:
	s_waitcnt lgkmcnt(2)
	global_store_dwordx2 v[1:2], v[7:8], off offset:2048
	s_or_b64 exec, exec, s[4:5]
	v_cmp_gt_u32_e64 s[4:5], s10, v23
	s_and_saveexec_b64 s[8:9], s[4:5]
	s_cbranch_execz .LBB1579_51
.LBB1579_67:
	s_waitcnt lgkmcnt(2)
	v_add_co_u32_e32 v7, vcc, 0x1000, v1
	v_addc_co_u32_e32 v8, vcc, 0, v2, vcc
	s_waitcnt lgkmcnt(1)
	global_store_dwordx2 v[7:8], v[5:6], off
	s_or_b64 exec, exec, s[8:9]
	v_cmp_gt_u32_e64 s[8:9], s10, v22
	s_and_saveexec_b64 s[10:11], s[8:9]
	s_cbranch_execnz .LBB1579_52
	s_branch .LBB1579_53
.LBB1579_68:
	ds_read_b64 v[9:10], v17
	s_waitcnt lgkmcnt(0)
	global_store_dwordx2 v[5:6], v[9:10], off
	s_or_b64 exec, exec, s[10:11]
	s_and_saveexec_b64 s[0:1], s[2:3]
	s_cbranch_execz .LBB1579_55
.LBB1579_69:
	s_waitcnt lgkmcnt(2)
	global_store_dwordx2 v[5:6], v[7:8], off offset:2048
	s_or_b64 exec, exec, s[0:1]
	s_and_saveexec_b64 s[0:1], s[4:5]
	s_cbranch_execnz .LBB1579_56
	s_branch .LBB1579_57
	.section	.rodata,"a",@progbits
	.p2align	6, 0x0
	.amdhsa_kernel _ZN7rocprim17ROCPRIM_400000_NS6detail17trampoline_kernelINS0_14default_configENS1_38merge_sort_block_merge_config_selectorIdlEEZZNS1_27merge_sort_block_merge_implIS3_PdN6thrust23THRUST_200600_302600_NS10device_ptrIlEEjNS1_19radix_merge_compareILb0ELb0EdNS0_19identity_decomposerEEEEE10hipError_tT0_T1_T2_jT3_P12ihipStream_tbPNSt15iterator_traitsISG_E10value_typeEPNSM_ISH_E10value_typeEPSI_NS1_7vsmem_tEENKUlT_SG_SH_SI_E_clIS7_S7_SB_PlEESF_SV_SG_SH_SI_EUlSV_E0_NS1_11comp_targetILNS1_3genE2ELNS1_11target_archE906ELNS1_3gpuE6ELNS1_3repE0EEENS1_38merge_mergepath_config_static_selectorELNS0_4arch9wavefront6targetE1EEEvSH_
		.amdhsa_group_segment_fixed_size 8448
		.amdhsa_private_segment_fixed_size 0
		.amdhsa_kernarg_size 320
		.amdhsa_user_sgpr_count 6
		.amdhsa_user_sgpr_private_segment_buffer 1
		.amdhsa_user_sgpr_dispatch_ptr 0
		.amdhsa_user_sgpr_queue_ptr 0
		.amdhsa_user_sgpr_kernarg_segment_ptr 1
		.amdhsa_user_sgpr_dispatch_id 0
		.amdhsa_user_sgpr_flat_scratch_init 0
		.amdhsa_user_sgpr_private_segment_size 0
		.amdhsa_uses_dynamic_stack 0
		.amdhsa_system_sgpr_private_segment_wavefront_offset 0
		.amdhsa_system_sgpr_workgroup_id_x 1
		.amdhsa_system_sgpr_workgroup_id_y 1
		.amdhsa_system_sgpr_workgroup_id_z 1
		.amdhsa_system_sgpr_workgroup_info 0
		.amdhsa_system_vgpr_workitem_id 0
		.amdhsa_next_free_vgpr 39
		.amdhsa_next_free_sgpr 77
		.amdhsa_reserve_vcc 1
		.amdhsa_reserve_flat_scratch 0
		.amdhsa_float_round_mode_32 0
		.amdhsa_float_round_mode_16_64 0
		.amdhsa_float_denorm_mode_32 3
		.amdhsa_float_denorm_mode_16_64 3
		.amdhsa_dx10_clamp 1
		.amdhsa_ieee_mode 1
		.amdhsa_fp16_overflow 0
		.amdhsa_exception_fp_ieee_invalid_op 0
		.amdhsa_exception_fp_denorm_src 0
		.amdhsa_exception_fp_ieee_div_zero 0
		.amdhsa_exception_fp_ieee_overflow 0
		.amdhsa_exception_fp_ieee_underflow 0
		.amdhsa_exception_fp_ieee_inexact 0
		.amdhsa_exception_int_div_zero 0
	.end_amdhsa_kernel
	.section	.text._ZN7rocprim17ROCPRIM_400000_NS6detail17trampoline_kernelINS0_14default_configENS1_38merge_sort_block_merge_config_selectorIdlEEZZNS1_27merge_sort_block_merge_implIS3_PdN6thrust23THRUST_200600_302600_NS10device_ptrIlEEjNS1_19radix_merge_compareILb0ELb0EdNS0_19identity_decomposerEEEEE10hipError_tT0_T1_T2_jT3_P12ihipStream_tbPNSt15iterator_traitsISG_E10value_typeEPNSM_ISH_E10value_typeEPSI_NS1_7vsmem_tEENKUlT_SG_SH_SI_E_clIS7_S7_SB_PlEESF_SV_SG_SH_SI_EUlSV_E0_NS1_11comp_targetILNS1_3genE2ELNS1_11target_archE906ELNS1_3gpuE6ELNS1_3repE0EEENS1_38merge_mergepath_config_static_selectorELNS0_4arch9wavefront6targetE1EEEvSH_,"axG",@progbits,_ZN7rocprim17ROCPRIM_400000_NS6detail17trampoline_kernelINS0_14default_configENS1_38merge_sort_block_merge_config_selectorIdlEEZZNS1_27merge_sort_block_merge_implIS3_PdN6thrust23THRUST_200600_302600_NS10device_ptrIlEEjNS1_19radix_merge_compareILb0ELb0EdNS0_19identity_decomposerEEEEE10hipError_tT0_T1_T2_jT3_P12ihipStream_tbPNSt15iterator_traitsISG_E10value_typeEPNSM_ISH_E10value_typeEPSI_NS1_7vsmem_tEENKUlT_SG_SH_SI_E_clIS7_S7_SB_PlEESF_SV_SG_SH_SI_EUlSV_E0_NS1_11comp_targetILNS1_3genE2ELNS1_11target_archE906ELNS1_3gpuE6ELNS1_3repE0EEENS1_38merge_mergepath_config_static_selectorELNS0_4arch9wavefront6targetE1EEEvSH_,comdat
.Lfunc_end1579:
	.size	_ZN7rocprim17ROCPRIM_400000_NS6detail17trampoline_kernelINS0_14default_configENS1_38merge_sort_block_merge_config_selectorIdlEEZZNS1_27merge_sort_block_merge_implIS3_PdN6thrust23THRUST_200600_302600_NS10device_ptrIlEEjNS1_19radix_merge_compareILb0ELb0EdNS0_19identity_decomposerEEEEE10hipError_tT0_T1_T2_jT3_P12ihipStream_tbPNSt15iterator_traitsISG_E10value_typeEPNSM_ISH_E10value_typeEPSI_NS1_7vsmem_tEENKUlT_SG_SH_SI_E_clIS7_S7_SB_PlEESF_SV_SG_SH_SI_EUlSV_E0_NS1_11comp_targetILNS1_3genE2ELNS1_11target_archE906ELNS1_3gpuE6ELNS1_3repE0EEENS1_38merge_mergepath_config_static_selectorELNS0_4arch9wavefront6targetE1EEEvSH_, .Lfunc_end1579-_ZN7rocprim17ROCPRIM_400000_NS6detail17trampoline_kernelINS0_14default_configENS1_38merge_sort_block_merge_config_selectorIdlEEZZNS1_27merge_sort_block_merge_implIS3_PdN6thrust23THRUST_200600_302600_NS10device_ptrIlEEjNS1_19radix_merge_compareILb0ELb0EdNS0_19identity_decomposerEEEEE10hipError_tT0_T1_T2_jT3_P12ihipStream_tbPNSt15iterator_traitsISG_E10value_typeEPNSM_ISH_E10value_typeEPSI_NS1_7vsmem_tEENKUlT_SG_SH_SI_E_clIS7_S7_SB_PlEESF_SV_SG_SH_SI_EUlSV_E0_NS1_11comp_targetILNS1_3genE2ELNS1_11target_archE906ELNS1_3gpuE6ELNS1_3repE0EEENS1_38merge_mergepath_config_static_selectorELNS0_4arch9wavefront6targetE1EEEvSH_
                                        ; -- End function
	.set _ZN7rocprim17ROCPRIM_400000_NS6detail17trampoline_kernelINS0_14default_configENS1_38merge_sort_block_merge_config_selectorIdlEEZZNS1_27merge_sort_block_merge_implIS3_PdN6thrust23THRUST_200600_302600_NS10device_ptrIlEEjNS1_19radix_merge_compareILb0ELb0EdNS0_19identity_decomposerEEEEE10hipError_tT0_T1_T2_jT3_P12ihipStream_tbPNSt15iterator_traitsISG_E10value_typeEPNSM_ISH_E10value_typeEPSI_NS1_7vsmem_tEENKUlT_SG_SH_SI_E_clIS7_S7_SB_PlEESF_SV_SG_SH_SI_EUlSV_E0_NS1_11comp_targetILNS1_3genE2ELNS1_11target_archE906ELNS1_3gpuE6ELNS1_3repE0EEENS1_38merge_mergepath_config_static_selectorELNS0_4arch9wavefront6targetE1EEEvSH_.num_vgpr, 39
	.set _ZN7rocprim17ROCPRIM_400000_NS6detail17trampoline_kernelINS0_14default_configENS1_38merge_sort_block_merge_config_selectorIdlEEZZNS1_27merge_sort_block_merge_implIS3_PdN6thrust23THRUST_200600_302600_NS10device_ptrIlEEjNS1_19radix_merge_compareILb0ELb0EdNS0_19identity_decomposerEEEEE10hipError_tT0_T1_T2_jT3_P12ihipStream_tbPNSt15iterator_traitsISG_E10value_typeEPNSM_ISH_E10value_typeEPSI_NS1_7vsmem_tEENKUlT_SG_SH_SI_E_clIS7_S7_SB_PlEESF_SV_SG_SH_SI_EUlSV_E0_NS1_11comp_targetILNS1_3genE2ELNS1_11target_archE906ELNS1_3gpuE6ELNS1_3repE0EEENS1_38merge_mergepath_config_static_selectorELNS0_4arch9wavefront6targetE1EEEvSH_.num_agpr, 0
	.set _ZN7rocprim17ROCPRIM_400000_NS6detail17trampoline_kernelINS0_14default_configENS1_38merge_sort_block_merge_config_selectorIdlEEZZNS1_27merge_sort_block_merge_implIS3_PdN6thrust23THRUST_200600_302600_NS10device_ptrIlEEjNS1_19radix_merge_compareILb0ELb0EdNS0_19identity_decomposerEEEEE10hipError_tT0_T1_T2_jT3_P12ihipStream_tbPNSt15iterator_traitsISG_E10value_typeEPNSM_ISH_E10value_typeEPSI_NS1_7vsmem_tEENKUlT_SG_SH_SI_E_clIS7_S7_SB_PlEESF_SV_SG_SH_SI_EUlSV_E0_NS1_11comp_targetILNS1_3genE2ELNS1_11target_archE906ELNS1_3gpuE6ELNS1_3repE0EEENS1_38merge_mergepath_config_static_selectorELNS0_4arch9wavefront6targetE1EEEvSH_.numbered_sgpr, 31
	.set _ZN7rocprim17ROCPRIM_400000_NS6detail17trampoline_kernelINS0_14default_configENS1_38merge_sort_block_merge_config_selectorIdlEEZZNS1_27merge_sort_block_merge_implIS3_PdN6thrust23THRUST_200600_302600_NS10device_ptrIlEEjNS1_19radix_merge_compareILb0ELb0EdNS0_19identity_decomposerEEEEE10hipError_tT0_T1_T2_jT3_P12ihipStream_tbPNSt15iterator_traitsISG_E10value_typeEPNSM_ISH_E10value_typeEPSI_NS1_7vsmem_tEENKUlT_SG_SH_SI_E_clIS7_S7_SB_PlEESF_SV_SG_SH_SI_EUlSV_E0_NS1_11comp_targetILNS1_3genE2ELNS1_11target_archE906ELNS1_3gpuE6ELNS1_3repE0EEENS1_38merge_mergepath_config_static_selectorELNS0_4arch9wavefront6targetE1EEEvSH_.num_named_barrier, 0
	.set _ZN7rocprim17ROCPRIM_400000_NS6detail17trampoline_kernelINS0_14default_configENS1_38merge_sort_block_merge_config_selectorIdlEEZZNS1_27merge_sort_block_merge_implIS3_PdN6thrust23THRUST_200600_302600_NS10device_ptrIlEEjNS1_19radix_merge_compareILb0ELb0EdNS0_19identity_decomposerEEEEE10hipError_tT0_T1_T2_jT3_P12ihipStream_tbPNSt15iterator_traitsISG_E10value_typeEPNSM_ISH_E10value_typeEPSI_NS1_7vsmem_tEENKUlT_SG_SH_SI_E_clIS7_S7_SB_PlEESF_SV_SG_SH_SI_EUlSV_E0_NS1_11comp_targetILNS1_3genE2ELNS1_11target_archE906ELNS1_3gpuE6ELNS1_3repE0EEENS1_38merge_mergepath_config_static_selectorELNS0_4arch9wavefront6targetE1EEEvSH_.private_seg_size, 0
	.set _ZN7rocprim17ROCPRIM_400000_NS6detail17trampoline_kernelINS0_14default_configENS1_38merge_sort_block_merge_config_selectorIdlEEZZNS1_27merge_sort_block_merge_implIS3_PdN6thrust23THRUST_200600_302600_NS10device_ptrIlEEjNS1_19radix_merge_compareILb0ELb0EdNS0_19identity_decomposerEEEEE10hipError_tT0_T1_T2_jT3_P12ihipStream_tbPNSt15iterator_traitsISG_E10value_typeEPNSM_ISH_E10value_typeEPSI_NS1_7vsmem_tEENKUlT_SG_SH_SI_E_clIS7_S7_SB_PlEESF_SV_SG_SH_SI_EUlSV_E0_NS1_11comp_targetILNS1_3genE2ELNS1_11target_archE906ELNS1_3gpuE6ELNS1_3repE0EEENS1_38merge_mergepath_config_static_selectorELNS0_4arch9wavefront6targetE1EEEvSH_.uses_vcc, 1
	.set _ZN7rocprim17ROCPRIM_400000_NS6detail17trampoline_kernelINS0_14default_configENS1_38merge_sort_block_merge_config_selectorIdlEEZZNS1_27merge_sort_block_merge_implIS3_PdN6thrust23THRUST_200600_302600_NS10device_ptrIlEEjNS1_19radix_merge_compareILb0ELb0EdNS0_19identity_decomposerEEEEE10hipError_tT0_T1_T2_jT3_P12ihipStream_tbPNSt15iterator_traitsISG_E10value_typeEPNSM_ISH_E10value_typeEPSI_NS1_7vsmem_tEENKUlT_SG_SH_SI_E_clIS7_S7_SB_PlEESF_SV_SG_SH_SI_EUlSV_E0_NS1_11comp_targetILNS1_3genE2ELNS1_11target_archE906ELNS1_3gpuE6ELNS1_3repE0EEENS1_38merge_mergepath_config_static_selectorELNS0_4arch9wavefront6targetE1EEEvSH_.uses_flat_scratch, 0
	.set _ZN7rocprim17ROCPRIM_400000_NS6detail17trampoline_kernelINS0_14default_configENS1_38merge_sort_block_merge_config_selectorIdlEEZZNS1_27merge_sort_block_merge_implIS3_PdN6thrust23THRUST_200600_302600_NS10device_ptrIlEEjNS1_19radix_merge_compareILb0ELb0EdNS0_19identity_decomposerEEEEE10hipError_tT0_T1_T2_jT3_P12ihipStream_tbPNSt15iterator_traitsISG_E10value_typeEPNSM_ISH_E10value_typeEPSI_NS1_7vsmem_tEENKUlT_SG_SH_SI_E_clIS7_S7_SB_PlEESF_SV_SG_SH_SI_EUlSV_E0_NS1_11comp_targetILNS1_3genE2ELNS1_11target_archE906ELNS1_3gpuE6ELNS1_3repE0EEENS1_38merge_mergepath_config_static_selectorELNS0_4arch9wavefront6targetE1EEEvSH_.has_dyn_sized_stack, 0
	.set _ZN7rocprim17ROCPRIM_400000_NS6detail17trampoline_kernelINS0_14default_configENS1_38merge_sort_block_merge_config_selectorIdlEEZZNS1_27merge_sort_block_merge_implIS3_PdN6thrust23THRUST_200600_302600_NS10device_ptrIlEEjNS1_19radix_merge_compareILb0ELb0EdNS0_19identity_decomposerEEEEE10hipError_tT0_T1_T2_jT3_P12ihipStream_tbPNSt15iterator_traitsISG_E10value_typeEPNSM_ISH_E10value_typeEPSI_NS1_7vsmem_tEENKUlT_SG_SH_SI_E_clIS7_S7_SB_PlEESF_SV_SG_SH_SI_EUlSV_E0_NS1_11comp_targetILNS1_3genE2ELNS1_11target_archE906ELNS1_3gpuE6ELNS1_3repE0EEENS1_38merge_mergepath_config_static_selectorELNS0_4arch9wavefront6targetE1EEEvSH_.has_recursion, 0
	.set _ZN7rocprim17ROCPRIM_400000_NS6detail17trampoline_kernelINS0_14default_configENS1_38merge_sort_block_merge_config_selectorIdlEEZZNS1_27merge_sort_block_merge_implIS3_PdN6thrust23THRUST_200600_302600_NS10device_ptrIlEEjNS1_19radix_merge_compareILb0ELb0EdNS0_19identity_decomposerEEEEE10hipError_tT0_T1_T2_jT3_P12ihipStream_tbPNSt15iterator_traitsISG_E10value_typeEPNSM_ISH_E10value_typeEPSI_NS1_7vsmem_tEENKUlT_SG_SH_SI_E_clIS7_S7_SB_PlEESF_SV_SG_SH_SI_EUlSV_E0_NS1_11comp_targetILNS1_3genE2ELNS1_11target_archE906ELNS1_3gpuE6ELNS1_3repE0EEENS1_38merge_mergepath_config_static_selectorELNS0_4arch9wavefront6targetE1EEEvSH_.has_indirect_call, 0
	.section	.AMDGPU.csdata,"",@progbits
; Kernel info:
; codeLenInByte = 3972
; TotalNumSgprs: 35
; NumVgprs: 39
; ScratchSize: 0
; MemoryBound: 0
; FloatMode: 240
; IeeeMode: 1
; LDSByteSize: 8448 bytes/workgroup (compile time only)
; SGPRBlocks: 10
; VGPRBlocks: 9
; NumSGPRsForWavesPerEU: 81
; NumVGPRsForWavesPerEU: 39
; Occupancy: 6
; WaveLimiterHint : 1
; COMPUTE_PGM_RSRC2:SCRATCH_EN: 0
; COMPUTE_PGM_RSRC2:USER_SGPR: 6
; COMPUTE_PGM_RSRC2:TRAP_HANDLER: 0
; COMPUTE_PGM_RSRC2:TGID_X_EN: 1
; COMPUTE_PGM_RSRC2:TGID_Y_EN: 1
; COMPUTE_PGM_RSRC2:TGID_Z_EN: 1
; COMPUTE_PGM_RSRC2:TIDIG_COMP_CNT: 0
	.section	.text._ZN7rocprim17ROCPRIM_400000_NS6detail17trampoline_kernelINS0_14default_configENS1_38merge_sort_block_merge_config_selectorIdlEEZZNS1_27merge_sort_block_merge_implIS3_PdN6thrust23THRUST_200600_302600_NS10device_ptrIlEEjNS1_19radix_merge_compareILb0ELb0EdNS0_19identity_decomposerEEEEE10hipError_tT0_T1_T2_jT3_P12ihipStream_tbPNSt15iterator_traitsISG_E10value_typeEPNSM_ISH_E10value_typeEPSI_NS1_7vsmem_tEENKUlT_SG_SH_SI_E_clIS7_S7_SB_PlEESF_SV_SG_SH_SI_EUlSV_E0_NS1_11comp_targetILNS1_3genE9ELNS1_11target_archE1100ELNS1_3gpuE3ELNS1_3repE0EEENS1_38merge_mergepath_config_static_selectorELNS0_4arch9wavefront6targetE1EEEvSH_,"axG",@progbits,_ZN7rocprim17ROCPRIM_400000_NS6detail17trampoline_kernelINS0_14default_configENS1_38merge_sort_block_merge_config_selectorIdlEEZZNS1_27merge_sort_block_merge_implIS3_PdN6thrust23THRUST_200600_302600_NS10device_ptrIlEEjNS1_19radix_merge_compareILb0ELb0EdNS0_19identity_decomposerEEEEE10hipError_tT0_T1_T2_jT3_P12ihipStream_tbPNSt15iterator_traitsISG_E10value_typeEPNSM_ISH_E10value_typeEPSI_NS1_7vsmem_tEENKUlT_SG_SH_SI_E_clIS7_S7_SB_PlEESF_SV_SG_SH_SI_EUlSV_E0_NS1_11comp_targetILNS1_3genE9ELNS1_11target_archE1100ELNS1_3gpuE3ELNS1_3repE0EEENS1_38merge_mergepath_config_static_selectorELNS0_4arch9wavefront6targetE1EEEvSH_,comdat
	.protected	_ZN7rocprim17ROCPRIM_400000_NS6detail17trampoline_kernelINS0_14default_configENS1_38merge_sort_block_merge_config_selectorIdlEEZZNS1_27merge_sort_block_merge_implIS3_PdN6thrust23THRUST_200600_302600_NS10device_ptrIlEEjNS1_19radix_merge_compareILb0ELb0EdNS0_19identity_decomposerEEEEE10hipError_tT0_T1_T2_jT3_P12ihipStream_tbPNSt15iterator_traitsISG_E10value_typeEPNSM_ISH_E10value_typeEPSI_NS1_7vsmem_tEENKUlT_SG_SH_SI_E_clIS7_S7_SB_PlEESF_SV_SG_SH_SI_EUlSV_E0_NS1_11comp_targetILNS1_3genE9ELNS1_11target_archE1100ELNS1_3gpuE3ELNS1_3repE0EEENS1_38merge_mergepath_config_static_selectorELNS0_4arch9wavefront6targetE1EEEvSH_ ; -- Begin function _ZN7rocprim17ROCPRIM_400000_NS6detail17trampoline_kernelINS0_14default_configENS1_38merge_sort_block_merge_config_selectorIdlEEZZNS1_27merge_sort_block_merge_implIS3_PdN6thrust23THRUST_200600_302600_NS10device_ptrIlEEjNS1_19radix_merge_compareILb0ELb0EdNS0_19identity_decomposerEEEEE10hipError_tT0_T1_T2_jT3_P12ihipStream_tbPNSt15iterator_traitsISG_E10value_typeEPNSM_ISH_E10value_typeEPSI_NS1_7vsmem_tEENKUlT_SG_SH_SI_E_clIS7_S7_SB_PlEESF_SV_SG_SH_SI_EUlSV_E0_NS1_11comp_targetILNS1_3genE9ELNS1_11target_archE1100ELNS1_3gpuE3ELNS1_3repE0EEENS1_38merge_mergepath_config_static_selectorELNS0_4arch9wavefront6targetE1EEEvSH_
	.globl	_ZN7rocprim17ROCPRIM_400000_NS6detail17trampoline_kernelINS0_14default_configENS1_38merge_sort_block_merge_config_selectorIdlEEZZNS1_27merge_sort_block_merge_implIS3_PdN6thrust23THRUST_200600_302600_NS10device_ptrIlEEjNS1_19radix_merge_compareILb0ELb0EdNS0_19identity_decomposerEEEEE10hipError_tT0_T1_T2_jT3_P12ihipStream_tbPNSt15iterator_traitsISG_E10value_typeEPNSM_ISH_E10value_typeEPSI_NS1_7vsmem_tEENKUlT_SG_SH_SI_E_clIS7_S7_SB_PlEESF_SV_SG_SH_SI_EUlSV_E0_NS1_11comp_targetILNS1_3genE9ELNS1_11target_archE1100ELNS1_3gpuE3ELNS1_3repE0EEENS1_38merge_mergepath_config_static_selectorELNS0_4arch9wavefront6targetE1EEEvSH_
	.p2align	8
	.type	_ZN7rocprim17ROCPRIM_400000_NS6detail17trampoline_kernelINS0_14default_configENS1_38merge_sort_block_merge_config_selectorIdlEEZZNS1_27merge_sort_block_merge_implIS3_PdN6thrust23THRUST_200600_302600_NS10device_ptrIlEEjNS1_19radix_merge_compareILb0ELb0EdNS0_19identity_decomposerEEEEE10hipError_tT0_T1_T2_jT3_P12ihipStream_tbPNSt15iterator_traitsISG_E10value_typeEPNSM_ISH_E10value_typeEPSI_NS1_7vsmem_tEENKUlT_SG_SH_SI_E_clIS7_S7_SB_PlEESF_SV_SG_SH_SI_EUlSV_E0_NS1_11comp_targetILNS1_3genE9ELNS1_11target_archE1100ELNS1_3gpuE3ELNS1_3repE0EEENS1_38merge_mergepath_config_static_selectorELNS0_4arch9wavefront6targetE1EEEvSH_,@function
_ZN7rocprim17ROCPRIM_400000_NS6detail17trampoline_kernelINS0_14default_configENS1_38merge_sort_block_merge_config_selectorIdlEEZZNS1_27merge_sort_block_merge_implIS3_PdN6thrust23THRUST_200600_302600_NS10device_ptrIlEEjNS1_19radix_merge_compareILb0ELb0EdNS0_19identity_decomposerEEEEE10hipError_tT0_T1_T2_jT3_P12ihipStream_tbPNSt15iterator_traitsISG_E10value_typeEPNSM_ISH_E10value_typeEPSI_NS1_7vsmem_tEENKUlT_SG_SH_SI_E_clIS7_S7_SB_PlEESF_SV_SG_SH_SI_EUlSV_E0_NS1_11comp_targetILNS1_3genE9ELNS1_11target_archE1100ELNS1_3gpuE3ELNS1_3repE0EEENS1_38merge_mergepath_config_static_selectorELNS0_4arch9wavefront6targetE1EEEvSH_: ; @_ZN7rocprim17ROCPRIM_400000_NS6detail17trampoline_kernelINS0_14default_configENS1_38merge_sort_block_merge_config_selectorIdlEEZZNS1_27merge_sort_block_merge_implIS3_PdN6thrust23THRUST_200600_302600_NS10device_ptrIlEEjNS1_19radix_merge_compareILb0ELb0EdNS0_19identity_decomposerEEEEE10hipError_tT0_T1_T2_jT3_P12ihipStream_tbPNSt15iterator_traitsISG_E10value_typeEPNSM_ISH_E10value_typeEPSI_NS1_7vsmem_tEENKUlT_SG_SH_SI_E_clIS7_S7_SB_PlEESF_SV_SG_SH_SI_EUlSV_E0_NS1_11comp_targetILNS1_3genE9ELNS1_11target_archE1100ELNS1_3gpuE3ELNS1_3repE0EEENS1_38merge_mergepath_config_static_selectorELNS0_4arch9wavefront6targetE1EEEvSH_
; %bb.0:
	.section	.rodata,"a",@progbits
	.p2align	6, 0x0
	.amdhsa_kernel _ZN7rocprim17ROCPRIM_400000_NS6detail17trampoline_kernelINS0_14default_configENS1_38merge_sort_block_merge_config_selectorIdlEEZZNS1_27merge_sort_block_merge_implIS3_PdN6thrust23THRUST_200600_302600_NS10device_ptrIlEEjNS1_19radix_merge_compareILb0ELb0EdNS0_19identity_decomposerEEEEE10hipError_tT0_T1_T2_jT3_P12ihipStream_tbPNSt15iterator_traitsISG_E10value_typeEPNSM_ISH_E10value_typeEPSI_NS1_7vsmem_tEENKUlT_SG_SH_SI_E_clIS7_S7_SB_PlEESF_SV_SG_SH_SI_EUlSV_E0_NS1_11comp_targetILNS1_3genE9ELNS1_11target_archE1100ELNS1_3gpuE3ELNS1_3repE0EEENS1_38merge_mergepath_config_static_selectorELNS0_4arch9wavefront6targetE1EEEvSH_
		.amdhsa_group_segment_fixed_size 0
		.amdhsa_private_segment_fixed_size 0
		.amdhsa_kernarg_size 64
		.amdhsa_user_sgpr_count 6
		.amdhsa_user_sgpr_private_segment_buffer 1
		.amdhsa_user_sgpr_dispatch_ptr 0
		.amdhsa_user_sgpr_queue_ptr 0
		.amdhsa_user_sgpr_kernarg_segment_ptr 1
		.amdhsa_user_sgpr_dispatch_id 0
		.amdhsa_user_sgpr_flat_scratch_init 0
		.amdhsa_user_sgpr_private_segment_size 0
		.amdhsa_uses_dynamic_stack 0
		.amdhsa_system_sgpr_private_segment_wavefront_offset 0
		.amdhsa_system_sgpr_workgroup_id_x 1
		.amdhsa_system_sgpr_workgroup_id_y 0
		.amdhsa_system_sgpr_workgroup_id_z 0
		.amdhsa_system_sgpr_workgroup_info 0
		.amdhsa_system_vgpr_workitem_id 0
		.amdhsa_next_free_vgpr 1
		.amdhsa_next_free_sgpr 0
		.amdhsa_reserve_vcc 0
		.amdhsa_reserve_flat_scratch 0
		.amdhsa_float_round_mode_32 0
		.amdhsa_float_round_mode_16_64 0
		.amdhsa_float_denorm_mode_32 3
		.amdhsa_float_denorm_mode_16_64 3
		.amdhsa_dx10_clamp 1
		.amdhsa_ieee_mode 1
		.amdhsa_fp16_overflow 0
		.amdhsa_exception_fp_ieee_invalid_op 0
		.amdhsa_exception_fp_denorm_src 0
		.amdhsa_exception_fp_ieee_div_zero 0
		.amdhsa_exception_fp_ieee_overflow 0
		.amdhsa_exception_fp_ieee_underflow 0
		.amdhsa_exception_fp_ieee_inexact 0
		.amdhsa_exception_int_div_zero 0
	.end_amdhsa_kernel
	.section	.text._ZN7rocprim17ROCPRIM_400000_NS6detail17trampoline_kernelINS0_14default_configENS1_38merge_sort_block_merge_config_selectorIdlEEZZNS1_27merge_sort_block_merge_implIS3_PdN6thrust23THRUST_200600_302600_NS10device_ptrIlEEjNS1_19radix_merge_compareILb0ELb0EdNS0_19identity_decomposerEEEEE10hipError_tT0_T1_T2_jT3_P12ihipStream_tbPNSt15iterator_traitsISG_E10value_typeEPNSM_ISH_E10value_typeEPSI_NS1_7vsmem_tEENKUlT_SG_SH_SI_E_clIS7_S7_SB_PlEESF_SV_SG_SH_SI_EUlSV_E0_NS1_11comp_targetILNS1_3genE9ELNS1_11target_archE1100ELNS1_3gpuE3ELNS1_3repE0EEENS1_38merge_mergepath_config_static_selectorELNS0_4arch9wavefront6targetE1EEEvSH_,"axG",@progbits,_ZN7rocprim17ROCPRIM_400000_NS6detail17trampoline_kernelINS0_14default_configENS1_38merge_sort_block_merge_config_selectorIdlEEZZNS1_27merge_sort_block_merge_implIS3_PdN6thrust23THRUST_200600_302600_NS10device_ptrIlEEjNS1_19radix_merge_compareILb0ELb0EdNS0_19identity_decomposerEEEEE10hipError_tT0_T1_T2_jT3_P12ihipStream_tbPNSt15iterator_traitsISG_E10value_typeEPNSM_ISH_E10value_typeEPSI_NS1_7vsmem_tEENKUlT_SG_SH_SI_E_clIS7_S7_SB_PlEESF_SV_SG_SH_SI_EUlSV_E0_NS1_11comp_targetILNS1_3genE9ELNS1_11target_archE1100ELNS1_3gpuE3ELNS1_3repE0EEENS1_38merge_mergepath_config_static_selectorELNS0_4arch9wavefront6targetE1EEEvSH_,comdat
.Lfunc_end1580:
	.size	_ZN7rocprim17ROCPRIM_400000_NS6detail17trampoline_kernelINS0_14default_configENS1_38merge_sort_block_merge_config_selectorIdlEEZZNS1_27merge_sort_block_merge_implIS3_PdN6thrust23THRUST_200600_302600_NS10device_ptrIlEEjNS1_19radix_merge_compareILb0ELb0EdNS0_19identity_decomposerEEEEE10hipError_tT0_T1_T2_jT3_P12ihipStream_tbPNSt15iterator_traitsISG_E10value_typeEPNSM_ISH_E10value_typeEPSI_NS1_7vsmem_tEENKUlT_SG_SH_SI_E_clIS7_S7_SB_PlEESF_SV_SG_SH_SI_EUlSV_E0_NS1_11comp_targetILNS1_3genE9ELNS1_11target_archE1100ELNS1_3gpuE3ELNS1_3repE0EEENS1_38merge_mergepath_config_static_selectorELNS0_4arch9wavefront6targetE1EEEvSH_, .Lfunc_end1580-_ZN7rocprim17ROCPRIM_400000_NS6detail17trampoline_kernelINS0_14default_configENS1_38merge_sort_block_merge_config_selectorIdlEEZZNS1_27merge_sort_block_merge_implIS3_PdN6thrust23THRUST_200600_302600_NS10device_ptrIlEEjNS1_19radix_merge_compareILb0ELb0EdNS0_19identity_decomposerEEEEE10hipError_tT0_T1_T2_jT3_P12ihipStream_tbPNSt15iterator_traitsISG_E10value_typeEPNSM_ISH_E10value_typeEPSI_NS1_7vsmem_tEENKUlT_SG_SH_SI_E_clIS7_S7_SB_PlEESF_SV_SG_SH_SI_EUlSV_E0_NS1_11comp_targetILNS1_3genE9ELNS1_11target_archE1100ELNS1_3gpuE3ELNS1_3repE0EEENS1_38merge_mergepath_config_static_selectorELNS0_4arch9wavefront6targetE1EEEvSH_
                                        ; -- End function
	.set _ZN7rocprim17ROCPRIM_400000_NS6detail17trampoline_kernelINS0_14default_configENS1_38merge_sort_block_merge_config_selectorIdlEEZZNS1_27merge_sort_block_merge_implIS3_PdN6thrust23THRUST_200600_302600_NS10device_ptrIlEEjNS1_19radix_merge_compareILb0ELb0EdNS0_19identity_decomposerEEEEE10hipError_tT0_T1_T2_jT3_P12ihipStream_tbPNSt15iterator_traitsISG_E10value_typeEPNSM_ISH_E10value_typeEPSI_NS1_7vsmem_tEENKUlT_SG_SH_SI_E_clIS7_S7_SB_PlEESF_SV_SG_SH_SI_EUlSV_E0_NS1_11comp_targetILNS1_3genE9ELNS1_11target_archE1100ELNS1_3gpuE3ELNS1_3repE0EEENS1_38merge_mergepath_config_static_selectorELNS0_4arch9wavefront6targetE1EEEvSH_.num_vgpr, 0
	.set _ZN7rocprim17ROCPRIM_400000_NS6detail17trampoline_kernelINS0_14default_configENS1_38merge_sort_block_merge_config_selectorIdlEEZZNS1_27merge_sort_block_merge_implIS3_PdN6thrust23THRUST_200600_302600_NS10device_ptrIlEEjNS1_19radix_merge_compareILb0ELb0EdNS0_19identity_decomposerEEEEE10hipError_tT0_T1_T2_jT3_P12ihipStream_tbPNSt15iterator_traitsISG_E10value_typeEPNSM_ISH_E10value_typeEPSI_NS1_7vsmem_tEENKUlT_SG_SH_SI_E_clIS7_S7_SB_PlEESF_SV_SG_SH_SI_EUlSV_E0_NS1_11comp_targetILNS1_3genE9ELNS1_11target_archE1100ELNS1_3gpuE3ELNS1_3repE0EEENS1_38merge_mergepath_config_static_selectorELNS0_4arch9wavefront6targetE1EEEvSH_.num_agpr, 0
	.set _ZN7rocprim17ROCPRIM_400000_NS6detail17trampoline_kernelINS0_14default_configENS1_38merge_sort_block_merge_config_selectorIdlEEZZNS1_27merge_sort_block_merge_implIS3_PdN6thrust23THRUST_200600_302600_NS10device_ptrIlEEjNS1_19radix_merge_compareILb0ELb0EdNS0_19identity_decomposerEEEEE10hipError_tT0_T1_T2_jT3_P12ihipStream_tbPNSt15iterator_traitsISG_E10value_typeEPNSM_ISH_E10value_typeEPSI_NS1_7vsmem_tEENKUlT_SG_SH_SI_E_clIS7_S7_SB_PlEESF_SV_SG_SH_SI_EUlSV_E0_NS1_11comp_targetILNS1_3genE9ELNS1_11target_archE1100ELNS1_3gpuE3ELNS1_3repE0EEENS1_38merge_mergepath_config_static_selectorELNS0_4arch9wavefront6targetE1EEEvSH_.numbered_sgpr, 0
	.set _ZN7rocprim17ROCPRIM_400000_NS6detail17trampoline_kernelINS0_14default_configENS1_38merge_sort_block_merge_config_selectorIdlEEZZNS1_27merge_sort_block_merge_implIS3_PdN6thrust23THRUST_200600_302600_NS10device_ptrIlEEjNS1_19radix_merge_compareILb0ELb0EdNS0_19identity_decomposerEEEEE10hipError_tT0_T1_T2_jT3_P12ihipStream_tbPNSt15iterator_traitsISG_E10value_typeEPNSM_ISH_E10value_typeEPSI_NS1_7vsmem_tEENKUlT_SG_SH_SI_E_clIS7_S7_SB_PlEESF_SV_SG_SH_SI_EUlSV_E0_NS1_11comp_targetILNS1_3genE9ELNS1_11target_archE1100ELNS1_3gpuE3ELNS1_3repE0EEENS1_38merge_mergepath_config_static_selectorELNS0_4arch9wavefront6targetE1EEEvSH_.num_named_barrier, 0
	.set _ZN7rocprim17ROCPRIM_400000_NS6detail17trampoline_kernelINS0_14default_configENS1_38merge_sort_block_merge_config_selectorIdlEEZZNS1_27merge_sort_block_merge_implIS3_PdN6thrust23THRUST_200600_302600_NS10device_ptrIlEEjNS1_19radix_merge_compareILb0ELb0EdNS0_19identity_decomposerEEEEE10hipError_tT0_T1_T2_jT3_P12ihipStream_tbPNSt15iterator_traitsISG_E10value_typeEPNSM_ISH_E10value_typeEPSI_NS1_7vsmem_tEENKUlT_SG_SH_SI_E_clIS7_S7_SB_PlEESF_SV_SG_SH_SI_EUlSV_E0_NS1_11comp_targetILNS1_3genE9ELNS1_11target_archE1100ELNS1_3gpuE3ELNS1_3repE0EEENS1_38merge_mergepath_config_static_selectorELNS0_4arch9wavefront6targetE1EEEvSH_.private_seg_size, 0
	.set _ZN7rocprim17ROCPRIM_400000_NS6detail17trampoline_kernelINS0_14default_configENS1_38merge_sort_block_merge_config_selectorIdlEEZZNS1_27merge_sort_block_merge_implIS3_PdN6thrust23THRUST_200600_302600_NS10device_ptrIlEEjNS1_19radix_merge_compareILb0ELb0EdNS0_19identity_decomposerEEEEE10hipError_tT0_T1_T2_jT3_P12ihipStream_tbPNSt15iterator_traitsISG_E10value_typeEPNSM_ISH_E10value_typeEPSI_NS1_7vsmem_tEENKUlT_SG_SH_SI_E_clIS7_S7_SB_PlEESF_SV_SG_SH_SI_EUlSV_E0_NS1_11comp_targetILNS1_3genE9ELNS1_11target_archE1100ELNS1_3gpuE3ELNS1_3repE0EEENS1_38merge_mergepath_config_static_selectorELNS0_4arch9wavefront6targetE1EEEvSH_.uses_vcc, 0
	.set _ZN7rocprim17ROCPRIM_400000_NS6detail17trampoline_kernelINS0_14default_configENS1_38merge_sort_block_merge_config_selectorIdlEEZZNS1_27merge_sort_block_merge_implIS3_PdN6thrust23THRUST_200600_302600_NS10device_ptrIlEEjNS1_19radix_merge_compareILb0ELb0EdNS0_19identity_decomposerEEEEE10hipError_tT0_T1_T2_jT3_P12ihipStream_tbPNSt15iterator_traitsISG_E10value_typeEPNSM_ISH_E10value_typeEPSI_NS1_7vsmem_tEENKUlT_SG_SH_SI_E_clIS7_S7_SB_PlEESF_SV_SG_SH_SI_EUlSV_E0_NS1_11comp_targetILNS1_3genE9ELNS1_11target_archE1100ELNS1_3gpuE3ELNS1_3repE0EEENS1_38merge_mergepath_config_static_selectorELNS0_4arch9wavefront6targetE1EEEvSH_.uses_flat_scratch, 0
	.set _ZN7rocprim17ROCPRIM_400000_NS6detail17trampoline_kernelINS0_14default_configENS1_38merge_sort_block_merge_config_selectorIdlEEZZNS1_27merge_sort_block_merge_implIS3_PdN6thrust23THRUST_200600_302600_NS10device_ptrIlEEjNS1_19radix_merge_compareILb0ELb0EdNS0_19identity_decomposerEEEEE10hipError_tT0_T1_T2_jT3_P12ihipStream_tbPNSt15iterator_traitsISG_E10value_typeEPNSM_ISH_E10value_typeEPSI_NS1_7vsmem_tEENKUlT_SG_SH_SI_E_clIS7_S7_SB_PlEESF_SV_SG_SH_SI_EUlSV_E0_NS1_11comp_targetILNS1_3genE9ELNS1_11target_archE1100ELNS1_3gpuE3ELNS1_3repE0EEENS1_38merge_mergepath_config_static_selectorELNS0_4arch9wavefront6targetE1EEEvSH_.has_dyn_sized_stack, 0
	.set _ZN7rocprim17ROCPRIM_400000_NS6detail17trampoline_kernelINS0_14default_configENS1_38merge_sort_block_merge_config_selectorIdlEEZZNS1_27merge_sort_block_merge_implIS3_PdN6thrust23THRUST_200600_302600_NS10device_ptrIlEEjNS1_19radix_merge_compareILb0ELb0EdNS0_19identity_decomposerEEEEE10hipError_tT0_T1_T2_jT3_P12ihipStream_tbPNSt15iterator_traitsISG_E10value_typeEPNSM_ISH_E10value_typeEPSI_NS1_7vsmem_tEENKUlT_SG_SH_SI_E_clIS7_S7_SB_PlEESF_SV_SG_SH_SI_EUlSV_E0_NS1_11comp_targetILNS1_3genE9ELNS1_11target_archE1100ELNS1_3gpuE3ELNS1_3repE0EEENS1_38merge_mergepath_config_static_selectorELNS0_4arch9wavefront6targetE1EEEvSH_.has_recursion, 0
	.set _ZN7rocprim17ROCPRIM_400000_NS6detail17trampoline_kernelINS0_14default_configENS1_38merge_sort_block_merge_config_selectorIdlEEZZNS1_27merge_sort_block_merge_implIS3_PdN6thrust23THRUST_200600_302600_NS10device_ptrIlEEjNS1_19radix_merge_compareILb0ELb0EdNS0_19identity_decomposerEEEEE10hipError_tT0_T1_T2_jT3_P12ihipStream_tbPNSt15iterator_traitsISG_E10value_typeEPNSM_ISH_E10value_typeEPSI_NS1_7vsmem_tEENKUlT_SG_SH_SI_E_clIS7_S7_SB_PlEESF_SV_SG_SH_SI_EUlSV_E0_NS1_11comp_targetILNS1_3genE9ELNS1_11target_archE1100ELNS1_3gpuE3ELNS1_3repE0EEENS1_38merge_mergepath_config_static_selectorELNS0_4arch9wavefront6targetE1EEEvSH_.has_indirect_call, 0
	.section	.AMDGPU.csdata,"",@progbits
; Kernel info:
; codeLenInByte = 0
; TotalNumSgprs: 4
; NumVgprs: 0
; ScratchSize: 0
; MemoryBound: 0
; FloatMode: 240
; IeeeMode: 1
; LDSByteSize: 0 bytes/workgroup (compile time only)
; SGPRBlocks: 0
; VGPRBlocks: 0
; NumSGPRsForWavesPerEU: 4
; NumVGPRsForWavesPerEU: 1
; Occupancy: 10
; WaveLimiterHint : 0
; COMPUTE_PGM_RSRC2:SCRATCH_EN: 0
; COMPUTE_PGM_RSRC2:USER_SGPR: 6
; COMPUTE_PGM_RSRC2:TRAP_HANDLER: 0
; COMPUTE_PGM_RSRC2:TGID_X_EN: 1
; COMPUTE_PGM_RSRC2:TGID_Y_EN: 0
; COMPUTE_PGM_RSRC2:TGID_Z_EN: 0
; COMPUTE_PGM_RSRC2:TIDIG_COMP_CNT: 0
	.section	.text._ZN7rocprim17ROCPRIM_400000_NS6detail17trampoline_kernelINS0_14default_configENS1_38merge_sort_block_merge_config_selectorIdlEEZZNS1_27merge_sort_block_merge_implIS3_PdN6thrust23THRUST_200600_302600_NS10device_ptrIlEEjNS1_19radix_merge_compareILb0ELb0EdNS0_19identity_decomposerEEEEE10hipError_tT0_T1_T2_jT3_P12ihipStream_tbPNSt15iterator_traitsISG_E10value_typeEPNSM_ISH_E10value_typeEPSI_NS1_7vsmem_tEENKUlT_SG_SH_SI_E_clIS7_S7_SB_PlEESF_SV_SG_SH_SI_EUlSV_E0_NS1_11comp_targetILNS1_3genE8ELNS1_11target_archE1030ELNS1_3gpuE2ELNS1_3repE0EEENS1_38merge_mergepath_config_static_selectorELNS0_4arch9wavefront6targetE1EEEvSH_,"axG",@progbits,_ZN7rocprim17ROCPRIM_400000_NS6detail17trampoline_kernelINS0_14default_configENS1_38merge_sort_block_merge_config_selectorIdlEEZZNS1_27merge_sort_block_merge_implIS3_PdN6thrust23THRUST_200600_302600_NS10device_ptrIlEEjNS1_19radix_merge_compareILb0ELb0EdNS0_19identity_decomposerEEEEE10hipError_tT0_T1_T2_jT3_P12ihipStream_tbPNSt15iterator_traitsISG_E10value_typeEPNSM_ISH_E10value_typeEPSI_NS1_7vsmem_tEENKUlT_SG_SH_SI_E_clIS7_S7_SB_PlEESF_SV_SG_SH_SI_EUlSV_E0_NS1_11comp_targetILNS1_3genE8ELNS1_11target_archE1030ELNS1_3gpuE2ELNS1_3repE0EEENS1_38merge_mergepath_config_static_selectorELNS0_4arch9wavefront6targetE1EEEvSH_,comdat
	.protected	_ZN7rocprim17ROCPRIM_400000_NS6detail17trampoline_kernelINS0_14default_configENS1_38merge_sort_block_merge_config_selectorIdlEEZZNS1_27merge_sort_block_merge_implIS3_PdN6thrust23THRUST_200600_302600_NS10device_ptrIlEEjNS1_19radix_merge_compareILb0ELb0EdNS0_19identity_decomposerEEEEE10hipError_tT0_T1_T2_jT3_P12ihipStream_tbPNSt15iterator_traitsISG_E10value_typeEPNSM_ISH_E10value_typeEPSI_NS1_7vsmem_tEENKUlT_SG_SH_SI_E_clIS7_S7_SB_PlEESF_SV_SG_SH_SI_EUlSV_E0_NS1_11comp_targetILNS1_3genE8ELNS1_11target_archE1030ELNS1_3gpuE2ELNS1_3repE0EEENS1_38merge_mergepath_config_static_selectorELNS0_4arch9wavefront6targetE1EEEvSH_ ; -- Begin function _ZN7rocprim17ROCPRIM_400000_NS6detail17trampoline_kernelINS0_14default_configENS1_38merge_sort_block_merge_config_selectorIdlEEZZNS1_27merge_sort_block_merge_implIS3_PdN6thrust23THRUST_200600_302600_NS10device_ptrIlEEjNS1_19radix_merge_compareILb0ELb0EdNS0_19identity_decomposerEEEEE10hipError_tT0_T1_T2_jT3_P12ihipStream_tbPNSt15iterator_traitsISG_E10value_typeEPNSM_ISH_E10value_typeEPSI_NS1_7vsmem_tEENKUlT_SG_SH_SI_E_clIS7_S7_SB_PlEESF_SV_SG_SH_SI_EUlSV_E0_NS1_11comp_targetILNS1_3genE8ELNS1_11target_archE1030ELNS1_3gpuE2ELNS1_3repE0EEENS1_38merge_mergepath_config_static_selectorELNS0_4arch9wavefront6targetE1EEEvSH_
	.globl	_ZN7rocprim17ROCPRIM_400000_NS6detail17trampoline_kernelINS0_14default_configENS1_38merge_sort_block_merge_config_selectorIdlEEZZNS1_27merge_sort_block_merge_implIS3_PdN6thrust23THRUST_200600_302600_NS10device_ptrIlEEjNS1_19radix_merge_compareILb0ELb0EdNS0_19identity_decomposerEEEEE10hipError_tT0_T1_T2_jT3_P12ihipStream_tbPNSt15iterator_traitsISG_E10value_typeEPNSM_ISH_E10value_typeEPSI_NS1_7vsmem_tEENKUlT_SG_SH_SI_E_clIS7_S7_SB_PlEESF_SV_SG_SH_SI_EUlSV_E0_NS1_11comp_targetILNS1_3genE8ELNS1_11target_archE1030ELNS1_3gpuE2ELNS1_3repE0EEENS1_38merge_mergepath_config_static_selectorELNS0_4arch9wavefront6targetE1EEEvSH_
	.p2align	8
	.type	_ZN7rocprim17ROCPRIM_400000_NS6detail17trampoline_kernelINS0_14default_configENS1_38merge_sort_block_merge_config_selectorIdlEEZZNS1_27merge_sort_block_merge_implIS3_PdN6thrust23THRUST_200600_302600_NS10device_ptrIlEEjNS1_19radix_merge_compareILb0ELb0EdNS0_19identity_decomposerEEEEE10hipError_tT0_T1_T2_jT3_P12ihipStream_tbPNSt15iterator_traitsISG_E10value_typeEPNSM_ISH_E10value_typeEPSI_NS1_7vsmem_tEENKUlT_SG_SH_SI_E_clIS7_S7_SB_PlEESF_SV_SG_SH_SI_EUlSV_E0_NS1_11comp_targetILNS1_3genE8ELNS1_11target_archE1030ELNS1_3gpuE2ELNS1_3repE0EEENS1_38merge_mergepath_config_static_selectorELNS0_4arch9wavefront6targetE1EEEvSH_,@function
_ZN7rocprim17ROCPRIM_400000_NS6detail17trampoline_kernelINS0_14default_configENS1_38merge_sort_block_merge_config_selectorIdlEEZZNS1_27merge_sort_block_merge_implIS3_PdN6thrust23THRUST_200600_302600_NS10device_ptrIlEEjNS1_19radix_merge_compareILb0ELb0EdNS0_19identity_decomposerEEEEE10hipError_tT0_T1_T2_jT3_P12ihipStream_tbPNSt15iterator_traitsISG_E10value_typeEPNSM_ISH_E10value_typeEPSI_NS1_7vsmem_tEENKUlT_SG_SH_SI_E_clIS7_S7_SB_PlEESF_SV_SG_SH_SI_EUlSV_E0_NS1_11comp_targetILNS1_3genE8ELNS1_11target_archE1030ELNS1_3gpuE2ELNS1_3repE0EEENS1_38merge_mergepath_config_static_selectorELNS0_4arch9wavefront6targetE1EEEvSH_: ; @_ZN7rocprim17ROCPRIM_400000_NS6detail17trampoline_kernelINS0_14default_configENS1_38merge_sort_block_merge_config_selectorIdlEEZZNS1_27merge_sort_block_merge_implIS3_PdN6thrust23THRUST_200600_302600_NS10device_ptrIlEEjNS1_19radix_merge_compareILb0ELb0EdNS0_19identity_decomposerEEEEE10hipError_tT0_T1_T2_jT3_P12ihipStream_tbPNSt15iterator_traitsISG_E10value_typeEPNSM_ISH_E10value_typeEPSI_NS1_7vsmem_tEENKUlT_SG_SH_SI_E_clIS7_S7_SB_PlEESF_SV_SG_SH_SI_EUlSV_E0_NS1_11comp_targetILNS1_3genE8ELNS1_11target_archE1030ELNS1_3gpuE2ELNS1_3repE0EEENS1_38merge_mergepath_config_static_selectorELNS0_4arch9wavefront6targetE1EEEvSH_
; %bb.0:
	.section	.rodata,"a",@progbits
	.p2align	6, 0x0
	.amdhsa_kernel _ZN7rocprim17ROCPRIM_400000_NS6detail17trampoline_kernelINS0_14default_configENS1_38merge_sort_block_merge_config_selectorIdlEEZZNS1_27merge_sort_block_merge_implIS3_PdN6thrust23THRUST_200600_302600_NS10device_ptrIlEEjNS1_19radix_merge_compareILb0ELb0EdNS0_19identity_decomposerEEEEE10hipError_tT0_T1_T2_jT3_P12ihipStream_tbPNSt15iterator_traitsISG_E10value_typeEPNSM_ISH_E10value_typeEPSI_NS1_7vsmem_tEENKUlT_SG_SH_SI_E_clIS7_S7_SB_PlEESF_SV_SG_SH_SI_EUlSV_E0_NS1_11comp_targetILNS1_3genE8ELNS1_11target_archE1030ELNS1_3gpuE2ELNS1_3repE0EEENS1_38merge_mergepath_config_static_selectorELNS0_4arch9wavefront6targetE1EEEvSH_
		.amdhsa_group_segment_fixed_size 0
		.amdhsa_private_segment_fixed_size 0
		.amdhsa_kernarg_size 64
		.amdhsa_user_sgpr_count 6
		.amdhsa_user_sgpr_private_segment_buffer 1
		.amdhsa_user_sgpr_dispatch_ptr 0
		.amdhsa_user_sgpr_queue_ptr 0
		.amdhsa_user_sgpr_kernarg_segment_ptr 1
		.amdhsa_user_sgpr_dispatch_id 0
		.amdhsa_user_sgpr_flat_scratch_init 0
		.amdhsa_user_sgpr_private_segment_size 0
		.amdhsa_uses_dynamic_stack 0
		.amdhsa_system_sgpr_private_segment_wavefront_offset 0
		.amdhsa_system_sgpr_workgroup_id_x 1
		.amdhsa_system_sgpr_workgroup_id_y 0
		.amdhsa_system_sgpr_workgroup_id_z 0
		.amdhsa_system_sgpr_workgroup_info 0
		.amdhsa_system_vgpr_workitem_id 0
		.amdhsa_next_free_vgpr 1
		.amdhsa_next_free_sgpr 0
		.amdhsa_reserve_vcc 0
		.amdhsa_reserve_flat_scratch 0
		.amdhsa_float_round_mode_32 0
		.amdhsa_float_round_mode_16_64 0
		.amdhsa_float_denorm_mode_32 3
		.amdhsa_float_denorm_mode_16_64 3
		.amdhsa_dx10_clamp 1
		.amdhsa_ieee_mode 1
		.amdhsa_fp16_overflow 0
		.amdhsa_exception_fp_ieee_invalid_op 0
		.amdhsa_exception_fp_denorm_src 0
		.amdhsa_exception_fp_ieee_div_zero 0
		.amdhsa_exception_fp_ieee_overflow 0
		.amdhsa_exception_fp_ieee_underflow 0
		.amdhsa_exception_fp_ieee_inexact 0
		.amdhsa_exception_int_div_zero 0
	.end_amdhsa_kernel
	.section	.text._ZN7rocprim17ROCPRIM_400000_NS6detail17trampoline_kernelINS0_14default_configENS1_38merge_sort_block_merge_config_selectorIdlEEZZNS1_27merge_sort_block_merge_implIS3_PdN6thrust23THRUST_200600_302600_NS10device_ptrIlEEjNS1_19radix_merge_compareILb0ELb0EdNS0_19identity_decomposerEEEEE10hipError_tT0_T1_T2_jT3_P12ihipStream_tbPNSt15iterator_traitsISG_E10value_typeEPNSM_ISH_E10value_typeEPSI_NS1_7vsmem_tEENKUlT_SG_SH_SI_E_clIS7_S7_SB_PlEESF_SV_SG_SH_SI_EUlSV_E0_NS1_11comp_targetILNS1_3genE8ELNS1_11target_archE1030ELNS1_3gpuE2ELNS1_3repE0EEENS1_38merge_mergepath_config_static_selectorELNS0_4arch9wavefront6targetE1EEEvSH_,"axG",@progbits,_ZN7rocprim17ROCPRIM_400000_NS6detail17trampoline_kernelINS0_14default_configENS1_38merge_sort_block_merge_config_selectorIdlEEZZNS1_27merge_sort_block_merge_implIS3_PdN6thrust23THRUST_200600_302600_NS10device_ptrIlEEjNS1_19radix_merge_compareILb0ELb0EdNS0_19identity_decomposerEEEEE10hipError_tT0_T1_T2_jT3_P12ihipStream_tbPNSt15iterator_traitsISG_E10value_typeEPNSM_ISH_E10value_typeEPSI_NS1_7vsmem_tEENKUlT_SG_SH_SI_E_clIS7_S7_SB_PlEESF_SV_SG_SH_SI_EUlSV_E0_NS1_11comp_targetILNS1_3genE8ELNS1_11target_archE1030ELNS1_3gpuE2ELNS1_3repE0EEENS1_38merge_mergepath_config_static_selectorELNS0_4arch9wavefront6targetE1EEEvSH_,comdat
.Lfunc_end1581:
	.size	_ZN7rocprim17ROCPRIM_400000_NS6detail17trampoline_kernelINS0_14default_configENS1_38merge_sort_block_merge_config_selectorIdlEEZZNS1_27merge_sort_block_merge_implIS3_PdN6thrust23THRUST_200600_302600_NS10device_ptrIlEEjNS1_19radix_merge_compareILb0ELb0EdNS0_19identity_decomposerEEEEE10hipError_tT0_T1_T2_jT3_P12ihipStream_tbPNSt15iterator_traitsISG_E10value_typeEPNSM_ISH_E10value_typeEPSI_NS1_7vsmem_tEENKUlT_SG_SH_SI_E_clIS7_S7_SB_PlEESF_SV_SG_SH_SI_EUlSV_E0_NS1_11comp_targetILNS1_3genE8ELNS1_11target_archE1030ELNS1_3gpuE2ELNS1_3repE0EEENS1_38merge_mergepath_config_static_selectorELNS0_4arch9wavefront6targetE1EEEvSH_, .Lfunc_end1581-_ZN7rocprim17ROCPRIM_400000_NS6detail17trampoline_kernelINS0_14default_configENS1_38merge_sort_block_merge_config_selectorIdlEEZZNS1_27merge_sort_block_merge_implIS3_PdN6thrust23THRUST_200600_302600_NS10device_ptrIlEEjNS1_19radix_merge_compareILb0ELb0EdNS0_19identity_decomposerEEEEE10hipError_tT0_T1_T2_jT3_P12ihipStream_tbPNSt15iterator_traitsISG_E10value_typeEPNSM_ISH_E10value_typeEPSI_NS1_7vsmem_tEENKUlT_SG_SH_SI_E_clIS7_S7_SB_PlEESF_SV_SG_SH_SI_EUlSV_E0_NS1_11comp_targetILNS1_3genE8ELNS1_11target_archE1030ELNS1_3gpuE2ELNS1_3repE0EEENS1_38merge_mergepath_config_static_selectorELNS0_4arch9wavefront6targetE1EEEvSH_
                                        ; -- End function
	.set _ZN7rocprim17ROCPRIM_400000_NS6detail17trampoline_kernelINS0_14default_configENS1_38merge_sort_block_merge_config_selectorIdlEEZZNS1_27merge_sort_block_merge_implIS3_PdN6thrust23THRUST_200600_302600_NS10device_ptrIlEEjNS1_19radix_merge_compareILb0ELb0EdNS0_19identity_decomposerEEEEE10hipError_tT0_T1_T2_jT3_P12ihipStream_tbPNSt15iterator_traitsISG_E10value_typeEPNSM_ISH_E10value_typeEPSI_NS1_7vsmem_tEENKUlT_SG_SH_SI_E_clIS7_S7_SB_PlEESF_SV_SG_SH_SI_EUlSV_E0_NS1_11comp_targetILNS1_3genE8ELNS1_11target_archE1030ELNS1_3gpuE2ELNS1_3repE0EEENS1_38merge_mergepath_config_static_selectorELNS0_4arch9wavefront6targetE1EEEvSH_.num_vgpr, 0
	.set _ZN7rocprim17ROCPRIM_400000_NS6detail17trampoline_kernelINS0_14default_configENS1_38merge_sort_block_merge_config_selectorIdlEEZZNS1_27merge_sort_block_merge_implIS3_PdN6thrust23THRUST_200600_302600_NS10device_ptrIlEEjNS1_19radix_merge_compareILb0ELb0EdNS0_19identity_decomposerEEEEE10hipError_tT0_T1_T2_jT3_P12ihipStream_tbPNSt15iterator_traitsISG_E10value_typeEPNSM_ISH_E10value_typeEPSI_NS1_7vsmem_tEENKUlT_SG_SH_SI_E_clIS7_S7_SB_PlEESF_SV_SG_SH_SI_EUlSV_E0_NS1_11comp_targetILNS1_3genE8ELNS1_11target_archE1030ELNS1_3gpuE2ELNS1_3repE0EEENS1_38merge_mergepath_config_static_selectorELNS0_4arch9wavefront6targetE1EEEvSH_.num_agpr, 0
	.set _ZN7rocprim17ROCPRIM_400000_NS6detail17trampoline_kernelINS0_14default_configENS1_38merge_sort_block_merge_config_selectorIdlEEZZNS1_27merge_sort_block_merge_implIS3_PdN6thrust23THRUST_200600_302600_NS10device_ptrIlEEjNS1_19radix_merge_compareILb0ELb0EdNS0_19identity_decomposerEEEEE10hipError_tT0_T1_T2_jT3_P12ihipStream_tbPNSt15iterator_traitsISG_E10value_typeEPNSM_ISH_E10value_typeEPSI_NS1_7vsmem_tEENKUlT_SG_SH_SI_E_clIS7_S7_SB_PlEESF_SV_SG_SH_SI_EUlSV_E0_NS1_11comp_targetILNS1_3genE8ELNS1_11target_archE1030ELNS1_3gpuE2ELNS1_3repE0EEENS1_38merge_mergepath_config_static_selectorELNS0_4arch9wavefront6targetE1EEEvSH_.numbered_sgpr, 0
	.set _ZN7rocprim17ROCPRIM_400000_NS6detail17trampoline_kernelINS0_14default_configENS1_38merge_sort_block_merge_config_selectorIdlEEZZNS1_27merge_sort_block_merge_implIS3_PdN6thrust23THRUST_200600_302600_NS10device_ptrIlEEjNS1_19radix_merge_compareILb0ELb0EdNS0_19identity_decomposerEEEEE10hipError_tT0_T1_T2_jT3_P12ihipStream_tbPNSt15iterator_traitsISG_E10value_typeEPNSM_ISH_E10value_typeEPSI_NS1_7vsmem_tEENKUlT_SG_SH_SI_E_clIS7_S7_SB_PlEESF_SV_SG_SH_SI_EUlSV_E0_NS1_11comp_targetILNS1_3genE8ELNS1_11target_archE1030ELNS1_3gpuE2ELNS1_3repE0EEENS1_38merge_mergepath_config_static_selectorELNS0_4arch9wavefront6targetE1EEEvSH_.num_named_barrier, 0
	.set _ZN7rocprim17ROCPRIM_400000_NS6detail17trampoline_kernelINS0_14default_configENS1_38merge_sort_block_merge_config_selectorIdlEEZZNS1_27merge_sort_block_merge_implIS3_PdN6thrust23THRUST_200600_302600_NS10device_ptrIlEEjNS1_19radix_merge_compareILb0ELb0EdNS0_19identity_decomposerEEEEE10hipError_tT0_T1_T2_jT3_P12ihipStream_tbPNSt15iterator_traitsISG_E10value_typeEPNSM_ISH_E10value_typeEPSI_NS1_7vsmem_tEENKUlT_SG_SH_SI_E_clIS7_S7_SB_PlEESF_SV_SG_SH_SI_EUlSV_E0_NS1_11comp_targetILNS1_3genE8ELNS1_11target_archE1030ELNS1_3gpuE2ELNS1_3repE0EEENS1_38merge_mergepath_config_static_selectorELNS0_4arch9wavefront6targetE1EEEvSH_.private_seg_size, 0
	.set _ZN7rocprim17ROCPRIM_400000_NS6detail17trampoline_kernelINS0_14default_configENS1_38merge_sort_block_merge_config_selectorIdlEEZZNS1_27merge_sort_block_merge_implIS3_PdN6thrust23THRUST_200600_302600_NS10device_ptrIlEEjNS1_19radix_merge_compareILb0ELb0EdNS0_19identity_decomposerEEEEE10hipError_tT0_T1_T2_jT3_P12ihipStream_tbPNSt15iterator_traitsISG_E10value_typeEPNSM_ISH_E10value_typeEPSI_NS1_7vsmem_tEENKUlT_SG_SH_SI_E_clIS7_S7_SB_PlEESF_SV_SG_SH_SI_EUlSV_E0_NS1_11comp_targetILNS1_3genE8ELNS1_11target_archE1030ELNS1_3gpuE2ELNS1_3repE0EEENS1_38merge_mergepath_config_static_selectorELNS0_4arch9wavefront6targetE1EEEvSH_.uses_vcc, 0
	.set _ZN7rocprim17ROCPRIM_400000_NS6detail17trampoline_kernelINS0_14default_configENS1_38merge_sort_block_merge_config_selectorIdlEEZZNS1_27merge_sort_block_merge_implIS3_PdN6thrust23THRUST_200600_302600_NS10device_ptrIlEEjNS1_19radix_merge_compareILb0ELb0EdNS0_19identity_decomposerEEEEE10hipError_tT0_T1_T2_jT3_P12ihipStream_tbPNSt15iterator_traitsISG_E10value_typeEPNSM_ISH_E10value_typeEPSI_NS1_7vsmem_tEENKUlT_SG_SH_SI_E_clIS7_S7_SB_PlEESF_SV_SG_SH_SI_EUlSV_E0_NS1_11comp_targetILNS1_3genE8ELNS1_11target_archE1030ELNS1_3gpuE2ELNS1_3repE0EEENS1_38merge_mergepath_config_static_selectorELNS0_4arch9wavefront6targetE1EEEvSH_.uses_flat_scratch, 0
	.set _ZN7rocprim17ROCPRIM_400000_NS6detail17trampoline_kernelINS0_14default_configENS1_38merge_sort_block_merge_config_selectorIdlEEZZNS1_27merge_sort_block_merge_implIS3_PdN6thrust23THRUST_200600_302600_NS10device_ptrIlEEjNS1_19radix_merge_compareILb0ELb0EdNS0_19identity_decomposerEEEEE10hipError_tT0_T1_T2_jT3_P12ihipStream_tbPNSt15iterator_traitsISG_E10value_typeEPNSM_ISH_E10value_typeEPSI_NS1_7vsmem_tEENKUlT_SG_SH_SI_E_clIS7_S7_SB_PlEESF_SV_SG_SH_SI_EUlSV_E0_NS1_11comp_targetILNS1_3genE8ELNS1_11target_archE1030ELNS1_3gpuE2ELNS1_3repE0EEENS1_38merge_mergepath_config_static_selectorELNS0_4arch9wavefront6targetE1EEEvSH_.has_dyn_sized_stack, 0
	.set _ZN7rocprim17ROCPRIM_400000_NS6detail17trampoline_kernelINS0_14default_configENS1_38merge_sort_block_merge_config_selectorIdlEEZZNS1_27merge_sort_block_merge_implIS3_PdN6thrust23THRUST_200600_302600_NS10device_ptrIlEEjNS1_19radix_merge_compareILb0ELb0EdNS0_19identity_decomposerEEEEE10hipError_tT0_T1_T2_jT3_P12ihipStream_tbPNSt15iterator_traitsISG_E10value_typeEPNSM_ISH_E10value_typeEPSI_NS1_7vsmem_tEENKUlT_SG_SH_SI_E_clIS7_S7_SB_PlEESF_SV_SG_SH_SI_EUlSV_E0_NS1_11comp_targetILNS1_3genE8ELNS1_11target_archE1030ELNS1_3gpuE2ELNS1_3repE0EEENS1_38merge_mergepath_config_static_selectorELNS0_4arch9wavefront6targetE1EEEvSH_.has_recursion, 0
	.set _ZN7rocprim17ROCPRIM_400000_NS6detail17trampoline_kernelINS0_14default_configENS1_38merge_sort_block_merge_config_selectorIdlEEZZNS1_27merge_sort_block_merge_implIS3_PdN6thrust23THRUST_200600_302600_NS10device_ptrIlEEjNS1_19radix_merge_compareILb0ELb0EdNS0_19identity_decomposerEEEEE10hipError_tT0_T1_T2_jT3_P12ihipStream_tbPNSt15iterator_traitsISG_E10value_typeEPNSM_ISH_E10value_typeEPSI_NS1_7vsmem_tEENKUlT_SG_SH_SI_E_clIS7_S7_SB_PlEESF_SV_SG_SH_SI_EUlSV_E0_NS1_11comp_targetILNS1_3genE8ELNS1_11target_archE1030ELNS1_3gpuE2ELNS1_3repE0EEENS1_38merge_mergepath_config_static_selectorELNS0_4arch9wavefront6targetE1EEEvSH_.has_indirect_call, 0
	.section	.AMDGPU.csdata,"",@progbits
; Kernel info:
; codeLenInByte = 0
; TotalNumSgprs: 4
; NumVgprs: 0
; ScratchSize: 0
; MemoryBound: 0
; FloatMode: 240
; IeeeMode: 1
; LDSByteSize: 0 bytes/workgroup (compile time only)
; SGPRBlocks: 0
; VGPRBlocks: 0
; NumSGPRsForWavesPerEU: 4
; NumVGPRsForWavesPerEU: 1
; Occupancy: 10
; WaveLimiterHint : 0
; COMPUTE_PGM_RSRC2:SCRATCH_EN: 0
; COMPUTE_PGM_RSRC2:USER_SGPR: 6
; COMPUTE_PGM_RSRC2:TRAP_HANDLER: 0
; COMPUTE_PGM_RSRC2:TGID_X_EN: 1
; COMPUTE_PGM_RSRC2:TGID_Y_EN: 0
; COMPUTE_PGM_RSRC2:TGID_Z_EN: 0
; COMPUTE_PGM_RSRC2:TIDIG_COMP_CNT: 0
	.section	.text._ZN7rocprim17ROCPRIM_400000_NS6detail17trampoline_kernelINS0_14default_configENS1_38merge_sort_block_merge_config_selectorIdlEEZZNS1_27merge_sort_block_merge_implIS3_PdN6thrust23THRUST_200600_302600_NS10device_ptrIlEEjNS1_19radix_merge_compareILb0ELb0EdNS0_19identity_decomposerEEEEE10hipError_tT0_T1_T2_jT3_P12ihipStream_tbPNSt15iterator_traitsISG_E10value_typeEPNSM_ISH_E10value_typeEPSI_NS1_7vsmem_tEENKUlT_SG_SH_SI_E_clIS7_S7_SB_PlEESF_SV_SG_SH_SI_EUlSV_E1_NS1_11comp_targetILNS1_3genE0ELNS1_11target_archE4294967295ELNS1_3gpuE0ELNS1_3repE0EEENS1_36merge_oddeven_config_static_selectorELNS0_4arch9wavefront6targetE1EEEvSH_,"axG",@progbits,_ZN7rocprim17ROCPRIM_400000_NS6detail17trampoline_kernelINS0_14default_configENS1_38merge_sort_block_merge_config_selectorIdlEEZZNS1_27merge_sort_block_merge_implIS3_PdN6thrust23THRUST_200600_302600_NS10device_ptrIlEEjNS1_19radix_merge_compareILb0ELb0EdNS0_19identity_decomposerEEEEE10hipError_tT0_T1_T2_jT3_P12ihipStream_tbPNSt15iterator_traitsISG_E10value_typeEPNSM_ISH_E10value_typeEPSI_NS1_7vsmem_tEENKUlT_SG_SH_SI_E_clIS7_S7_SB_PlEESF_SV_SG_SH_SI_EUlSV_E1_NS1_11comp_targetILNS1_3genE0ELNS1_11target_archE4294967295ELNS1_3gpuE0ELNS1_3repE0EEENS1_36merge_oddeven_config_static_selectorELNS0_4arch9wavefront6targetE1EEEvSH_,comdat
	.protected	_ZN7rocprim17ROCPRIM_400000_NS6detail17trampoline_kernelINS0_14default_configENS1_38merge_sort_block_merge_config_selectorIdlEEZZNS1_27merge_sort_block_merge_implIS3_PdN6thrust23THRUST_200600_302600_NS10device_ptrIlEEjNS1_19radix_merge_compareILb0ELb0EdNS0_19identity_decomposerEEEEE10hipError_tT0_T1_T2_jT3_P12ihipStream_tbPNSt15iterator_traitsISG_E10value_typeEPNSM_ISH_E10value_typeEPSI_NS1_7vsmem_tEENKUlT_SG_SH_SI_E_clIS7_S7_SB_PlEESF_SV_SG_SH_SI_EUlSV_E1_NS1_11comp_targetILNS1_3genE0ELNS1_11target_archE4294967295ELNS1_3gpuE0ELNS1_3repE0EEENS1_36merge_oddeven_config_static_selectorELNS0_4arch9wavefront6targetE1EEEvSH_ ; -- Begin function _ZN7rocprim17ROCPRIM_400000_NS6detail17trampoline_kernelINS0_14default_configENS1_38merge_sort_block_merge_config_selectorIdlEEZZNS1_27merge_sort_block_merge_implIS3_PdN6thrust23THRUST_200600_302600_NS10device_ptrIlEEjNS1_19radix_merge_compareILb0ELb0EdNS0_19identity_decomposerEEEEE10hipError_tT0_T1_T2_jT3_P12ihipStream_tbPNSt15iterator_traitsISG_E10value_typeEPNSM_ISH_E10value_typeEPSI_NS1_7vsmem_tEENKUlT_SG_SH_SI_E_clIS7_S7_SB_PlEESF_SV_SG_SH_SI_EUlSV_E1_NS1_11comp_targetILNS1_3genE0ELNS1_11target_archE4294967295ELNS1_3gpuE0ELNS1_3repE0EEENS1_36merge_oddeven_config_static_selectorELNS0_4arch9wavefront6targetE1EEEvSH_
	.globl	_ZN7rocprim17ROCPRIM_400000_NS6detail17trampoline_kernelINS0_14default_configENS1_38merge_sort_block_merge_config_selectorIdlEEZZNS1_27merge_sort_block_merge_implIS3_PdN6thrust23THRUST_200600_302600_NS10device_ptrIlEEjNS1_19radix_merge_compareILb0ELb0EdNS0_19identity_decomposerEEEEE10hipError_tT0_T1_T2_jT3_P12ihipStream_tbPNSt15iterator_traitsISG_E10value_typeEPNSM_ISH_E10value_typeEPSI_NS1_7vsmem_tEENKUlT_SG_SH_SI_E_clIS7_S7_SB_PlEESF_SV_SG_SH_SI_EUlSV_E1_NS1_11comp_targetILNS1_3genE0ELNS1_11target_archE4294967295ELNS1_3gpuE0ELNS1_3repE0EEENS1_36merge_oddeven_config_static_selectorELNS0_4arch9wavefront6targetE1EEEvSH_
	.p2align	8
	.type	_ZN7rocprim17ROCPRIM_400000_NS6detail17trampoline_kernelINS0_14default_configENS1_38merge_sort_block_merge_config_selectorIdlEEZZNS1_27merge_sort_block_merge_implIS3_PdN6thrust23THRUST_200600_302600_NS10device_ptrIlEEjNS1_19radix_merge_compareILb0ELb0EdNS0_19identity_decomposerEEEEE10hipError_tT0_T1_T2_jT3_P12ihipStream_tbPNSt15iterator_traitsISG_E10value_typeEPNSM_ISH_E10value_typeEPSI_NS1_7vsmem_tEENKUlT_SG_SH_SI_E_clIS7_S7_SB_PlEESF_SV_SG_SH_SI_EUlSV_E1_NS1_11comp_targetILNS1_3genE0ELNS1_11target_archE4294967295ELNS1_3gpuE0ELNS1_3repE0EEENS1_36merge_oddeven_config_static_selectorELNS0_4arch9wavefront6targetE1EEEvSH_,@function
_ZN7rocprim17ROCPRIM_400000_NS6detail17trampoline_kernelINS0_14default_configENS1_38merge_sort_block_merge_config_selectorIdlEEZZNS1_27merge_sort_block_merge_implIS3_PdN6thrust23THRUST_200600_302600_NS10device_ptrIlEEjNS1_19radix_merge_compareILb0ELb0EdNS0_19identity_decomposerEEEEE10hipError_tT0_T1_T2_jT3_P12ihipStream_tbPNSt15iterator_traitsISG_E10value_typeEPNSM_ISH_E10value_typeEPSI_NS1_7vsmem_tEENKUlT_SG_SH_SI_E_clIS7_S7_SB_PlEESF_SV_SG_SH_SI_EUlSV_E1_NS1_11comp_targetILNS1_3genE0ELNS1_11target_archE4294967295ELNS1_3gpuE0ELNS1_3repE0EEENS1_36merge_oddeven_config_static_selectorELNS0_4arch9wavefront6targetE1EEEvSH_: ; @_ZN7rocprim17ROCPRIM_400000_NS6detail17trampoline_kernelINS0_14default_configENS1_38merge_sort_block_merge_config_selectorIdlEEZZNS1_27merge_sort_block_merge_implIS3_PdN6thrust23THRUST_200600_302600_NS10device_ptrIlEEjNS1_19radix_merge_compareILb0ELb0EdNS0_19identity_decomposerEEEEE10hipError_tT0_T1_T2_jT3_P12ihipStream_tbPNSt15iterator_traitsISG_E10value_typeEPNSM_ISH_E10value_typeEPSI_NS1_7vsmem_tEENKUlT_SG_SH_SI_E_clIS7_S7_SB_PlEESF_SV_SG_SH_SI_EUlSV_E1_NS1_11comp_targetILNS1_3genE0ELNS1_11target_archE4294967295ELNS1_3gpuE0ELNS1_3repE0EEENS1_36merge_oddeven_config_static_selectorELNS0_4arch9wavefront6targetE1EEEvSH_
; %bb.0:
	.section	.rodata,"a",@progbits
	.p2align	6, 0x0
	.amdhsa_kernel _ZN7rocprim17ROCPRIM_400000_NS6detail17trampoline_kernelINS0_14default_configENS1_38merge_sort_block_merge_config_selectorIdlEEZZNS1_27merge_sort_block_merge_implIS3_PdN6thrust23THRUST_200600_302600_NS10device_ptrIlEEjNS1_19radix_merge_compareILb0ELb0EdNS0_19identity_decomposerEEEEE10hipError_tT0_T1_T2_jT3_P12ihipStream_tbPNSt15iterator_traitsISG_E10value_typeEPNSM_ISH_E10value_typeEPSI_NS1_7vsmem_tEENKUlT_SG_SH_SI_E_clIS7_S7_SB_PlEESF_SV_SG_SH_SI_EUlSV_E1_NS1_11comp_targetILNS1_3genE0ELNS1_11target_archE4294967295ELNS1_3gpuE0ELNS1_3repE0EEENS1_36merge_oddeven_config_static_selectorELNS0_4arch9wavefront6targetE1EEEvSH_
		.amdhsa_group_segment_fixed_size 0
		.amdhsa_private_segment_fixed_size 0
		.amdhsa_kernarg_size 48
		.amdhsa_user_sgpr_count 6
		.amdhsa_user_sgpr_private_segment_buffer 1
		.amdhsa_user_sgpr_dispatch_ptr 0
		.amdhsa_user_sgpr_queue_ptr 0
		.amdhsa_user_sgpr_kernarg_segment_ptr 1
		.amdhsa_user_sgpr_dispatch_id 0
		.amdhsa_user_sgpr_flat_scratch_init 0
		.amdhsa_user_sgpr_private_segment_size 0
		.amdhsa_uses_dynamic_stack 0
		.amdhsa_system_sgpr_private_segment_wavefront_offset 0
		.amdhsa_system_sgpr_workgroup_id_x 1
		.amdhsa_system_sgpr_workgroup_id_y 0
		.amdhsa_system_sgpr_workgroup_id_z 0
		.amdhsa_system_sgpr_workgroup_info 0
		.amdhsa_system_vgpr_workitem_id 0
		.amdhsa_next_free_vgpr 1
		.amdhsa_next_free_sgpr 0
		.amdhsa_reserve_vcc 0
		.amdhsa_reserve_flat_scratch 0
		.amdhsa_float_round_mode_32 0
		.amdhsa_float_round_mode_16_64 0
		.amdhsa_float_denorm_mode_32 3
		.amdhsa_float_denorm_mode_16_64 3
		.amdhsa_dx10_clamp 1
		.amdhsa_ieee_mode 1
		.amdhsa_fp16_overflow 0
		.amdhsa_exception_fp_ieee_invalid_op 0
		.amdhsa_exception_fp_denorm_src 0
		.amdhsa_exception_fp_ieee_div_zero 0
		.amdhsa_exception_fp_ieee_overflow 0
		.amdhsa_exception_fp_ieee_underflow 0
		.amdhsa_exception_fp_ieee_inexact 0
		.amdhsa_exception_int_div_zero 0
	.end_amdhsa_kernel
	.section	.text._ZN7rocprim17ROCPRIM_400000_NS6detail17trampoline_kernelINS0_14default_configENS1_38merge_sort_block_merge_config_selectorIdlEEZZNS1_27merge_sort_block_merge_implIS3_PdN6thrust23THRUST_200600_302600_NS10device_ptrIlEEjNS1_19radix_merge_compareILb0ELb0EdNS0_19identity_decomposerEEEEE10hipError_tT0_T1_T2_jT3_P12ihipStream_tbPNSt15iterator_traitsISG_E10value_typeEPNSM_ISH_E10value_typeEPSI_NS1_7vsmem_tEENKUlT_SG_SH_SI_E_clIS7_S7_SB_PlEESF_SV_SG_SH_SI_EUlSV_E1_NS1_11comp_targetILNS1_3genE0ELNS1_11target_archE4294967295ELNS1_3gpuE0ELNS1_3repE0EEENS1_36merge_oddeven_config_static_selectorELNS0_4arch9wavefront6targetE1EEEvSH_,"axG",@progbits,_ZN7rocprim17ROCPRIM_400000_NS6detail17trampoline_kernelINS0_14default_configENS1_38merge_sort_block_merge_config_selectorIdlEEZZNS1_27merge_sort_block_merge_implIS3_PdN6thrust23THRUST_200600_302600_NS10device_ptrIlEEjNS1_19radix_merge_compareILb0ELb0EdNS0_19identity_decomposerEEEEE10hipError_tT0_T1_T2_jT3_P12ihipStream_tbPNSt15iterator_traitsISG_E10value_typeEPNSM_ISH_E10value_typeEPSI_NS1_7vsmem_tEENKUlT_SG_SH_SI_E_clIS7_S7_SB_PlEESF_SV_SG_SH_SI_EUlSV_E1_NS1_11comp_targetILNS1_3genE0ELNS1_11target_archE4294967295ELNS1_3gpuE0ELNS1_3repE0EEENS1_36merge_oddeven_config_static_selectorELNS0_4arch9wavefront6targetE1EEEvSH_,comdat
.Lfunc_end1582:
	.size	_ZN7rocprim17ROCPRIM_400000_NS6detail17trampoline_kernelINS0_14default_configENS1_38merge_sort_block_merge_config_selectorIdlEEZZNS1_27merge_sort_block_merge_implIS3_PdN6thrust23THRUST_200600_302600_NS10device_ptrIlEEjNS1_19radix_merge_compareILb0ELb0EdNS0_19identity_decomposerEEEEE10hipError_tT0_T1_T2_jT3_P12ihipStream_tbPNSt15iterator_traitsISG_E10value_typeEPNSM_ISH_E10value_typeEPSI_NS1_7vsmem_tEENKUlT_SG_SH_SI_E_clIS7_S7_SB_PlEESF_SV_SG_SH_SI_EUlSV_E1_NS1_11comp_targetILNS1_3genE0ELNS1_11target_archE4294967295ELNS1_3gpuE0ELNS1_3repE0EEENS1_36merge_oddeven_config_static_selectorELNS0_4arch9wavefront6targetE1EEEvSH_, .Lfunc_end1582-_ZN7rocprim17ROCPRIM_400000_NS6detail17trampoline_kernelINS0_14default_configENS1_38merge_sort_block_merge_config_selectorIdlEEZZNS1_27merge_sort_block_merge_implIS3_PdN6thrust23THRUST_200600_302600_NS10device_ptrIlEEjNS1_19radix_merge_compareILb0ELb0EdNS0_19identity_decomposerEEEEE10hipError_tT0_T1_T2_jT3_P12ihipStream_tbPNSt15iterator_traitsISG_E10value_typeEPNSM_ISH_E10value_typeEPSI_NS1_7vsmem_tEENKUlT_SG_SH_SI_E_clIS7_S7_SB_PlEESF_SV_SG_SH_SI_EUlSV_E1_NS1_11comp_targetILNS1_3genE0ELNS1_11target_archE4294967295ELNS1_3gpuE0ELNS1_3repE0EEENS1_36merge_oddeven_config_static_selectorELNS0_4arch9wavefront6targetE1EEEvSH_
                                        ; -- End function
	.set _ZN7rocprim17ROCPRIM_400000_NS6detail17trampoline_kernelINS0_14default_configENS1_38merge_sort_block_merge_config_selectorIdlEEZZNS1_27merge_sort_block_merge_implIS3_PdN6thrust23THRUST_200600_302600_NS10device_ptrIlEEjNS1_19radix_merge_compareILb0ELb0EdNS0_19identity_decomposerEEEEE10hipError_tT0_T1_T2_jT3_P12ihipStream_tbPNSt15iterator_traitsISG_E10value_typeEPNSM_ISH_E10value_typeEPSI_NS1_7vsmem_tEENKUlT_SG_SH_SI_E_clIS7_S7_SB_PlEESF_SV_SG_SH_SI_EUlSV_E1_NS1_11comp_targetILNS1_3genE0ELNS1_11target_archE4294967295ELNS1_3gpuE0ELNS1_3repE0EEENS1_36merge_oddeven_config_static_selectorELNS0_4arch9wavefront6targetE1EEEvSH_.num_vgpr, 0
	.set _ZN7rocprim17ROCPRIM_400000_NS6detail17trampoline_kernelINS0_14default_configENS1_38merge_sort_block_merge_config_selectorIdlEEZZNS1_27merge_sort_block_merge_implIS3_PdN6thrust23THRUST_200600_302600_NS10device_ptrIlEEjNS1_19radix_merge_compareILb0ELb0EdNS0_19identity_decomposerEEEEE10hipError_tT0_T1_T2_jT3_P12ihipStream_tbPNSt15iterator_traitsISG_E10value_typeEPNSM_ISH_E10value_typeEPSI_NS1_7vsmem_tEENKUlT_SG_SH_SI_E_clIS7_S7_SB_PlEESF_SV_SG_SH_SI_EUlSV_E1_NS1_11comp_targetILNS1_3genE0ELNS1_11target_archE4294967295ELNS1_3gpuE0ELNS1_3repE0EEENS1_36merge_oddeven_config_static_selectorELNS0_4arch9wavefront6targetE1EEEvSH_.num_agpr, 0
	.set _ZN7rocprim17ROCPRIM_400000_NS6detail17trampoline_kernelINS0_14default_configENS1_38merge_sort_block_merge_config_selectorIdlEEZZNS1_27merge_sort_block_merge_implIS3_PdN6thrust23THRUST_200600_302600_NS10device_ptrIlEEjNS1_19radix_merge_compareILb0ELb0EdNS0_19identity_decomposerEEEEE10hipError_tT0_T1_T2_jT3_P12ihipStream_tbPNSt15iterator_traitsISG_E10value_typeEPNSM_ISH_E10value_typeEPSI_NS1_7vsmem_tEENKUlT_SG_SH_SI_E_clIS7_S7_SB_PlEESF_SV_SG_SH_SI_EUlSV_E1_NS1_11comp_targetILNS1_3genE0ELNS1_11target_archE4294967295ELNS1_3gpuE0ELNS1_3repE0EEENS1_36merge_oddeven_config_static_selectorELNS0_4arch9wavefront6targetE1EEEvSH_.numbered_sgpr, 0
	.set _ZN7rocprim17ROCPRIM_400000_NS6detail17trampoline_kernelINS0_14default_configENS1_38merge_sort_block_merge_config_selectorIdlEEZZNS1_27merge_sort_block_merge_implIS3_PdN6thrust23THRUST_200600_302600_NS10device_ptrIlEEjNS1_19radix_merge_compareILb0ELb0EdNS0_19identity_decomposerEEEEE10hipError_tT0_T1_T2_jT3_P12ihipStream_tbPNSt15iterator_traitsISG_E10value_typeEPNSM_ISH_E10value_typeEPSI_NS1_7vsmem_tEENKUlT_SG_SH_SI_E_clIS7_S7_SB_PlEESF_SV_SG_SH_SI_EUlSV_E1_NS1_11comp_targetILNS1_3genE0ELNS1_11target_archE4294967295ELNS1_3gpuE0ELNS1_3repE0EEENS1_36merge_oddeven_config_static_selectorELNS0_4arch9wavefront6targetE1EEEvSH_.num_named_barrier, 0
	.set _ZN7rocprim17ROCPRIM_400000_NS6detail17trampoline_kernelINS0_14default_configENS1_38merge_sort_block_merge_config_selectorIdlEEZZNS1_27merge_sort_block_merge_implIS3_PdN6thrust23THRUST_200600_302600_NS10device_ptrIlEEjNS1_19radix_merge_compareILb0ELb0EdNS0_19identity_decomposerEEEEE10hipError_tT0_T1_T2_jT3_P12ihipStream_tbPNSt15iterator_traitsISG_E10value_typeEPNSM_ISH_E10value_typeEPSI_NS1_7vsmem_tEENKUlT_SG_SH_SI_E_clIS7_S7_SB_PlEESF_SV_SG_SH_SI_EUlSV_E1_NS1_11comp_targetILNS1_3genE0ELNS1_11target_archE4294967295ELNS1_3gpuE0ELNS1_3repE0EEENS1_36merge_oddeven_config_static_selectorELNS0_4arch9wavefront6targetE1EEEvSH_.private_seg_size, 0
	.set _ZN7rocprim17ROCPRIM_400000_NS6detail17trampoline_kernelINS0_14default_configENS1_38merge_sort_block_merge_config_selectorIdlEEZZNS1_27merge_sort_block_merge_implIS3_PdN6thrust23THRUST_200600_302600_NS10device_ptrIlEEjNS1_19radix_merge_compareILb0ELb0EdNS0_19identity_decomposerEEEEE10hipError_tT0_T1_T2_jT3_P12ihipStream_tbPNSt15iterator_traitsISG_E10value_typeEPNSM_ISH_E10value_typeEPSI_NS1_7vsmem_tEENKUlT_SG_SH_SI_E_clIS7_S7_SB_PlEESF_SV_SG_SH_SI_EUlSV_E1_NS1_11comp_targetILNS1_3genE0ELNS1_11target_archE4294967295ELNS1_3gpuE0ELNS1_3repE0EEENS1_36merge_oddeven_config_static_selectorELNS0_4arch9wavefront6targetE1EEEvSH_.uses_vcc, 0
	.set _ZN7rocprim17ROCPRIM_400000_NS6detail17trampoline_kernelINS0_14default_configENS1_38merge_sort_block_merge_config_selectorIdlEEZZNS1_27merge_sort_block_merge_implIS3_PdN6thrust23THRUST_200600_302600_NS10device_ptrIlEEjNS1_19radix_merge_compareILb0ELb0EdNS0_19identity_decomposerEEEEE10hipError_tT0_T1_T2_jT3_P12ihipStream_tbPNSt15iterator_traitsISG_E10value_typeEPNSM_ISH_E10value_typeEPSI_NS1_7vsmem_tEENKUlT_SG_SH_SI_E_clIS7_S7_SB_PlEESF_SV_SG_SH_SI_EUlSV_E1_NS1_11comp_targetILNS1_3genE0ELNS1_11target_archE4294967295ELNS1_3gpuE0ELNS1_3repE0EEENS1_36merge_oddeven_config_static_selectorELNS0_4arch9wavefront6targetE1EEEvSH_.uses_flat_scratch, 0
	.set _ZN7rocprim17ROCPRIM_400000_NS6detail17trampoline_kernelINS0_14default_configENS1_38merge_sort_block_merge_config_selectorIdlEEZZNS1_27merge_sort_block_merge_implIS3_PdN6thrust23THRUST_200600_302600_NS10device_ptrIlEEjNS1_19radix_merge_compareILb0ELb0EdNS0_19identity_decomposerEEEEE10hipError_tT0_T1_T2_jT3_P12ihipStream_tbPNSt15iterator_traitsISG_E10value_typeEPNSM_ISH_E10value_typeEPSI_NS1_7vsmem_tEENKUlT_SG_SH_SI_E_clIS7_S7_SB_PlEESF_SV_SG_SH_SI_EUlSV_E1_NS1_11comp_targetILNS1_3genE0ELNS1_11target_archE4294967295ELNS1_3gpuE0ELNS1_3repE0EEENS1_36merge_oddeven_config_static_selectorELNS0_4arch9wavefront6targetE1EEEvSH_.has_dyn_sized_stack, 0
	.set _ZN7rocprim17ROCPRIM_400000_NS6detail17trampoline_kernelINS0_14default_configENS1_38merge_sort_block_merge_config_selectorIdlEEZZNS1_27merge_sort_block_merge_implIS3_PdN6thrust23THRUST_200600_302600_NS10device_ptrIlEEjNS1_19radix_merge_compareILb0ELb0EdNS0_19identity_decomposerEEEEE10hipError_tT0_T1_T2_jT3_P12ihipStream_tbPNSt15iterator_traitsISG_E10value_typeEPNSM_ISH_E10value_typeEPSI_NS1_7vsmem_tEENKUlT_SG_SH_SI_E_clIS7_S7_SB_PlEESF_SV_SG_SH_SI_EUlSV_E1_NS1_11comp_targetILNS1_3genE0ELNS1_11target_archE4294967295ELNS1_3gpuE0ELNS1_3repE0EEENS1_36merge_oddeven_config_static_selectorELNS0_4arch9wavefront6targetE1EEEvSH_.has_recursion, 0
	.set _ZN7rocprim17ROCPRIM_400000_NS6detail17trampoline_kernelINS0_14default_configENS1_38merge_sort_block_merge_config_selectorIdlEEZZNS1_27merge_sort_block_merge_implIS3_PdN6thrust23THRUST_200600_302600_NS10device_ptrIlEEjNS1_19radix_merge_compareILb0ELb0EdNS0_19identity_decomposerEEEEE10hipError_tT0_T1_T2_jT3_P12ihipStream_tbPNSt15iterator_traitsISG_E10value_typeEPNSM_ISH_E10value_typeEPSI_NS1_7vsmem_tEENKUlT_SG_SH_SI_E_clIS7_S7_SB_PlEESF_SV_SG_SH_SI_EUlSV_E1_NS1_11comp_targetILNS1_3genE0ELNS1_11target_archE4294967295ELNS1_3gpuE0ELNS1_3repE0EEENS1_36merge_oddeven_config_static_selectorELNS0_4arch9wavefront6targetE1EEEvSH_.has_indirect_call, 0
	.section	.AMDGPU.csdata,"",@progbits
; Kernel info:
; codeLenInByte = 0
; TotalNumSgprs: 4
; NumVgprs: 0
; ScratchSize: 0
; MemoryBound: 0
; FloatMode: 240
; IeeeMode: 1
; LDSByteSize: 0 bytes/workgroup (compile time only)
; SGPRBlocks: 0
; VGPRBlocks: 0
; NumSGPRsForWavesPerEU: 4
; NumVGPRsForWavesPerEU: 1
; Occupancy: 10
; WaveLimiterHint : 0
; COMPUTE_PGM_RSRC2:SCRATCH_EN: 0
; COMPUTE_PGM_RSRC2:USER_SGPR: 6
; COMPUTE_PGM_RSRC2:TRAP_HANDLER: 0
; COMPUTE_PGM_RSRC2:TGID_X_EN: 1
; COMPUTE_PGM_RSRC2:TGID_Y_EN: 0
; COMPUTE_PGM_RSRC2:TGID_Z_EN: 0
; COMPUTE_PGM_RSRC2:TIDIG_COMP_CNT: 0
	.section	.text._ZN7rocprim17ROCPRIM_400000_NS6detail17trampoline_kernelINS0_14default_configENS1_38merge_sort_block_merge_config_selectorIdlEEZZNS1_27merge_sort_block_merge_implIS3_PdN6thrust23THRUST_200600_302600_NS10device_ptrIlEEjNS1_19radix_merge_compareILb0ELb0EdNS0_19identity_decomposerEEEEE10hipError_tT0_T1_T2_jT3_P12ihipStream_tbPNSt15iterator_traitsISG_E10value_typeEPNSM_ISH_E10value_typeEPSI_NS1_7vsmem_tEENKUlT_SG_SH_SI_E_clIS7_S7_SB_PlEESF_SV_SG_SH_SI_EUlSV_E1_NS1_11comp_targetILNS1_3genE10ELNS1_11target_archE1201ELNS1_3gpuE5ELNS1_3repE0EEENS1_36merge_oddeven_config_static_selectorELNS0_4arch9wavefront6targetE1EEEvSH_,"axG",@progbits,_ZN7rocprim17ROCPRIM_400000_NS6detail17trampoline_kernelINS0_14default_configENS1_38merge_sort_block_merge_config_selectorIdlEEZZNS1_27merge_sort_block_merge_implIS3_PdN6thrust23THRUST_200600_302600_NS10device_ptrIlEEjNS1_19radix_merge_compareILb0ELb0EdNS0_19identity_decomposerEEEEE10hipError_tT0_T1_T2_jT3_P12ihipStream_tbPNSt15iterator_traitsISG_E10value_typeEPNSM_ISH_E10value_typeEPSI_NS1_7vsmem_tEENKUlT_SG_SH_SI_E_clIS7_S7_SB_PlEESF_SV_SG_SH_SI_EUlSV_E1_NS1_11comp_targetILNS1_3genE10ELNS1_11target_archE1201ELNS1_3gpuE5ELNS1_3repE0EEENS1_36merge_oddeven_config_static_selectorELNS0_4arch9wavefront6targetE1EEEvSH_,comdat
	.protected	_ZN7rocprim17ROCPRIM_400000_NS6detail17trampoline_kernelINS0_14default_configENS1_38merge_sort_block_merge_config_selectorIdlEEZZNS1_27merge_sort_block_merge_implIS3_PdN6thrust23THRUST_200600_302600_NS10device_ptrIlEEjNS1_19radix_merge_compareILb0ELb0EdNS0_19identity_decomposerEEEEE10hipError_tT0_T1_T2_jT3_P12ihipStream_tbPNSt15iterator_traitsISG_E10value_typeEPNSM_ISH_E10value_typeEPSI_NS1_7vsmem_tEENKUlT_SG_SH_SI_E_clIS7_S7_SB_PlEESF_SV_SG_SH_SI_EUlSV_E1_NS1_11comp_targetILNS1_3genE10ELNS1_11target_archE1201ELNS1_3gpuE5ELNS1_3repE0EEENS1_36merge_oddeven_config_static_selectorELNS0_4arch9wavefront6targetE1EEEvSH_ ; -- Begin function _ZN7rocprim17ROCPRIM_400000_NS6detail17trampoline_kernelINS0_14default_configENS1_38merge_sort_block_merge_config_selectorIdlEEZZNS1_27merge_sort_block_merge_implIS3_PdN6thrust23THRUST_200600_302600_NS10device_ptrIlEEjNS1_19radix_merge_compareILb0ELb0EdNS0_19identity_decomposerEEEEE10hipError_tT0_T1_T2_jT3_P12ihipStream_tbPNSt15iterator_traitsISG_E10value_typeEPNSM_ISH_E10value_typeEPSI_NS1_7vsmem_tEENKUlT_SG_SH_SI_E_clIS7_S7_SB_PlEESF_SV_SG_SH_SI_EUlSV_E1_NS1_11comp_targetILNS1_3genE10ELNS1_11target_archE1201ELNS1_3gpuE5ELNS1_3repE0EEENS1_36merge_oddeven_config_static_selectorELNS0_4arch9wavefront6targetE1EEEvSH_
	.globl	_ZN7rocprim17ROCPRIM_400000_NS6detail17trampoline_kernelINS0_14default_configENS1_38merge_sort_block_merge_config_selectorIdlEEZZNS1_27merge_sort_block_merge_implIS3_PdN6thrust23THRUST_200600_302600_NS10device_ptrIlEEjNS1_19radix_merge_compareILb0ELb0EdNS0_19identity_decomposerEEEEE10hipError_tT0_T1_T2_jT3_P12ihipStream_tbPNSt15iterator_traitsISG_E10value_typeEPNSM_ISH_E10value_typeEPSI_NS1_7vsmem_tEENKUlT_SG_SH_SI_E_clIS7_S7_SB_PlEESF_SV_SG_SH_SI_EUlSV_E1_NS1_11comp_targetILNS1_3genE10ELNS1_11target_archE1201ELNS1_3gpuE5ELNS1_3repE0EEENS1_36merge_oddeven_config_static_selectorELNS0_4arch9wavefront6targetE1EEEvSH_
	.p2align	8
	.type	_ZN7rocprim17ROCPRIM_400000_NS6detail17trampoline_kernelINS0_14default_configENS1_38merge_sort_block_merge_config_selectorIdlEEZZNS1_27merge_sort_block_merge_implIS3_PdN6thrust23THRUST_200600_302600_NS10device_ptrIlEEjNS1_19radix_merge_compareILb0ELb0EdNS0_19identity_decomposerEEEEE10hipError_tT0_T1_T2_jT3_P12ihipStream_tbPNSt15iterator_traitsISG_E10value_typeEPNSM_ISH_E10value_typeEPSI_NS1_7vsmem_tEENKUlT_SG_SH_SI_E_clIS7_S7_SB_PlEESF_SV_SG_SH_SI_EUlSV_E1_NS1_11comp_targetILNS1_3genE10ELNS1_11target_archE1201ELNS1_3gpuE5ELNS1_3repE0EEENS1_36merge_oddeven_config_static_selectorELNS0_4arch9wavefront6targetE1EEEvSH_,@function
_ZN7rocprim17ROCPRIM_400000_NS6detail17trampoline_kernelINS0_14default_configENS1_38merge_sort_block_merge_config_selectorIdlEEZZNS1_27merge_sort_block_merge_implIS3_PdN6thrust23THRUST_200600_302600_NS10device_ptrIlEEjNS1_19radix_merge_compareILb0ELb0EdNS0_19identity_decomposerEEEEE10hipError_tT0_T1_T2_jT3_P12ihipStream_tbPNSt15iterator_traitsISG_E10value_typeEPNSM_ISH_E10value_typeEPSI_NS1_7vsmem_tEENKUlT_SG_SH_SI_E_clIS7_S7_SB_PlEESF_SV_SG_SH_SI_EUlSV_E1_NS1_11comp_targetILNS1_3genE10ELNS1_11target_archE1201ELNS1_3gpuE5ELNS1_3repE0EEENS1_36merge_oddeven_config_static_selectorELNS0_4arch9wavefront6targetE1EEEvSH_: ; @_ZN7rocprim17ROCPRIM_400000_NS6detail17trampoline_kernelINS0_14default_configENS1_38merge_sort_block_merge_config_selectorIdlEEZZNS1_27merge_sort_block_merge_implIS3_PdN6thrust23THRUST_200600_302600_NS10device_ptrIlEEjNS1_19radix_merge_compareILb0ELb0EdNS0_19identity_decomposerEEEEE10hipError_tT0_T1_T2_jT3_P12ihipStream_tbPNSt15iterator_traitsISG_E10value_typeEPNSM_ISH_E10value_typeEPSI_NS1_7vsmem_tEENKUlT_SG_SH_SI_E_clIS7_S7_SB_PlEESF_SV_SG_SH_SI_EUlSV_E1_NS1_11comp_targetILNS1_3genE10ELNS1_11target_archE1201ELNS1_3gpuE5ELNS1_3repE0EEENS1_36merge_oddeven_config_static_selectorELNS0_4arch9wavefront6targetE1EEEvSH_
; %bb.0:
	.section	.rodata,"a",@progbits
	.p2align	6, 0x0
	.amdhsa_kernel _ZN7rocprim17ROCPRIM_400000_NS6detail17trampoline_kernelINS0_14default_configENS1_38merge_sort_block_merge_config_selectorIdlEEZZNS1_27merge_sort_block_merge_implIS3_PdN6thrust23THRUST_200600_302600_NS10device_ptrIlEEjNS1_19radix_merge_compareILb0ELb0EdNS0_19identity_decomposerEEEEE10hipError_tT0_T1_T2_jT3_P12ihipStream_tbPNSt15iterator_traitsISG_E10value_typeEPNSM_ISH_E10value_typeEPSI_NS1_7vsmem_tEENKUlT_SG_SH_SI_E_clIS7_S7_SB_PlEESF_SV_SG_SH_SI_EUlSV_E1_NS1_11comp_targetILNS1_3genE10ELNS1_11target_archE1201ELNS1_3gpuE5ELNS1_3repE0EEENS1_36merge_oddeven_config_static_selectorELNS0_4arch9wavefront6targetE1EEEvSH_
		.amdhsa_group_segment_fixed_size 0
		.amdhsa_private_segment_fixed_size 0
		.amdhsa_kernarg_size 48
		.amdhsa_user_sgpr_count 6
		.amdhsa_user_sgpr_private_segment_buffer 1
		.amdhsa_user_sgpr_dispatch_ptr 0
		.amdhsa_user_sgpr_queue_ptr 0
		.amdhsa_user_sgpr_kernarg_segment_ptr 1
		.amdhsa_user_sgpr_dispatch_id 0
		.amdhsa_user_sgpr_flat_scratch_init 0
		.amdhsa_user_sgpr_private_segment_size 0
		.amdhsa_uses_dynamic_stack 0
		.amdhsa_system_sgpr_private_segment_wavefront_offset 0
		.amdhsa_system_sgpr_workgroup_id_x 1
		.amdhsa_system_sgpr_workgroup_id_y 0
		.amdhsa_system_sgpr_workgroup_id_z 0
		.amdhsa_system_sgpr_workgroup_info 0
		.amdhsa_system_vgpr_workitem_id 0
		.amdhsa_next_free_vgpr 1
		.amdhsa_next_free_sgpr 0
		.amdhsa_reserve_vcc 0
		.amdhsa_reserve_flat_scratch 0
		.amdhsa_float_round_mode_32 0
		.amdhsa_float_round_mode_16_64 0
		.amdhsa_float_denorm_mode_32 3
		.amdhsa_float_denorm_mode_16_64 3
		.amdhsa_dx10_clamp 1
		.amdhsa_ieee_mode 1
		.amdhsa_fp16_overflow 0
		.amdhsa_exception_fp_ieee_invalid_op 0
		.amdhsa_exception_fp_denorm_src 0
		.amdhsa_exception_fp_ieee_div_zero 0
		.amdhsa_exception_fp_ieee_overflow 0
		.amdhsa_exception_fp_ieee_underflow 0
		.amdhsa_exception_fp_ieee_inexact 0
		.amdhsa_exception_int_div_zero 0
	.end_amdhsa_kernel
	.section	.text._ZN7rocprim17ROCPRIM_400000_NS6detail17trampoline_kernelINS0_14default_configENS1_38merge_sort_block_merge_config_selectorIdlEEZZNS1_27merge_sort_block_merge_implIS3_PdN6thrust23THRUST_200600_302600_NS10device_ptrIlEEjNS1_19radix_merge_compareILb0ELb0EdNS0_19identity_decomposerEEEEE10hipError_tT0_T1_T2_jT3_P12ihipStream_tbPNSt15iterator_traitsISG_E10value_typeEPNSM_ISH_E10value_typeEPSI_NS1_7vsmem_tEENKUlT_SG_SH_SI_E_clIS7_S7_SB_PlEESF_SV_SG_SH_SI_EUlSV_E1_NS1_11comp_targetILNS1_3genE10ELNS1_11target_archE1201ELNS1_3gpuE5ELNS1_3repE0EEENS1_36merge_oddeven_config_static_selectorELNS0_4arch9wavefront6targetE1EEEvSH_,"axG",@progbits,_ZN7rocprim17ROCPRIM_400000_NS6detail17trampoline_kernelINS0_14default_configENS1_38merge_sort_block_merge_config_selectorIdlEEZZNS1_27merge_sort_block_merge_implIS3_PdN6thrust23THRUST_200600_302600_NS10device_ptrIlEEjNS1_19radix_merge_compareILb0ELb0EdNS0_19identity_decomposerEEEEE10hipError_tT0_T1_T2_jT3_P12ihipStream_tbPNSt15iterator_traitsISG_E10value_typeEPNSM_ISH_E10value_typeEPSI_NS1_7vsmem_tEENKUlT_SG_SH_SI_E_clIS7_S7_SB_PlEESF_SV_SG_SH_SI_EUlSV_E1_NS1_11comp_targetILNS1_3genE10ELNS1_11target_archE1201ELNS1_3gpuE5ELNS1_3repE0EEENS1_36merge_oddeven_config_static_selectorELNS0_4arch9wavefront6targetE1EEEvSH_,comdat
.Lfunc_end1583:
	.size	_ZN7rocprim17ROCPRIM_400000_NS6detail17trampoline_kernelINS0_14default_configENS1_38merge_sort_block_merge_config_selectorIdlEEZZNS1_27merge_sort_block_merge_implIS3_PdN6thrust23THRUST_200600_302600_NS10device_ptrIlEEjNS1_19radix_merge_compareILb0ELb0EdNS0_19identity_decomposerEEEEE10hipError_tT0_T1_T2_jT3_P12ihipStream_tbPNSt15iterator_traitsISG_E10value_typeEPNSM_ISH_E10value_typeEPSI_NS1_7vsmem_tEENKUlT_SG_SH_SI_E_clIS7_S7_SB_PlEESF_SV_SG_SH_SI_EUlSV_E1_NS1_11comp_targetILNS1_3genE10ELNS1_11target_archE1201ELNS1_3gpuE5ELNS1_3repE0EEENS1_36merge_oddeven_config_static_selectorELNS0_4arch9wavefront6targetE1EEEvSH_, .Lfunc_end1583-_ZN7rocprim17ROCPRIM_400000_NS6detail17trampoline_kernelINS0_14default_configENS1_38merge_sort_block_merge_config_selectorIdlEEZZNS1_27merge_sort_block_merge_implIS3_PdN6thrust23THRUST_200600_302600_NS10device_ptrIlEEjNS1_19radix_merge_compareILb0ELb0EdNS0_19identity_decomposerEEEEE10hipError_tT0_T1_T2_jT3_P12ihipStream_tbPNSt15iterator_traitsISG_E10value_typeEPNSM_ISH_E10value_typeEPSI_NS1_7vsmem_tEENKUlT_SG_SH_SI_E_clIS7_S7_SB_PlEESF_SV_SG_SH_SI_EUlSV_E1_NS1_11comp_targetILNS1_3genE10ELNS1_11target_archE1201ELNS1_3gpuE5ELNS1_3repE0EEENS1_36merge_oddeven_config_static_selectorELNS0_4arch9wavefront6targetE1EEEvSH_
                                        ; -- End function
	.set _ZN7rocprim17ROCPRIM_400000_NS6detail17trampoline_kernelINS0_14default_configENS1_38merge_sort_block_merge_config_selectorIdlEEZZNS1_27merge_sort_block_merge_implIS3_PdN6thrust23THRUST_200600_302600_NS10device_ptrIlEEjNS1_19radix_merge_compareILb0ELb0EdNS0_19identity_decomposerEEEEE10hipError_tT0_T1_T2_jT3_P12ihipStream_tbPNSt15iterator_traitsISG_E10value_typeEPNSM_ISH_E10value_typeEPSI_NS1_7vsmem_tEENKUlT_SG_SH_SI_E_clIS7_S7_SB_PlEESF_SV_SG_SH_SI_EUlSV_E1_NS1_11comp_targetILNS1_3genE10ELNS1_11target_archE1201ELNS1_3gpuE5ELNS1_3repE0EEENS1_36merge_oddeven_config_static_selectorELNS0_4arch9wavefront6targetE1EEEvSH_.num_vgpr, 0
	.set _ZN7rocprim17ROCPRIM_400000_NS6detail17trampoline_kernelINS0_14default_configENS1_38merge_sort_block_merge_config_selectorIdlEEZZNS1_27merge_sort_block_merge_implIS3_PdN6thrust23THRUST_200600_302600_NS10device_ptrIlEEjNS1_19radix_merge_compareILb0ELb0EdNS0_19identity_decomposerEEEEE10hipError_tT0_T1_T2_jT3_P12ihipStream_tbPNSt15iterator_traitsISG_E10value_typeEPNSM_ISH_E10value_typeEPSI_NS1_7vsmem_tEENKUlT_SG_SH_SI_E_clIS7_S7_SB_PlEESF_SV_SG_SH_SI_EUlSV_E1_NS1_11comp_targetILNS1_3genE10ELNS1_11target_archE1201ELNS1_3gpuE5ELNS1_3repE0EEENS1_36merge_oddeven_config_static_selectorELNS0_4arch9wavefront6targetE1EEEvSH_.num_agpr, 0
	.set _ZN7rocprim17ROCPRIM_400000_NS6detail17trampoline_kernelINS0_14default_configENS1_38merge_sort_block_merge_config_selectorIdlEEZZNS1_27merge_sort_block_merge_implIS3_PdN6thrust23THRUST_200600_302600_NS10device_ptrIlEEjNS1_19radix_merge_compareILb0ELb0EdNS0_19identity_decomposerEEEEE10hipError_tT0_T1_T2_jT3_P12ihipStream_tbPNSt15iterator_traitsISG_E10value_typeEPNSM_ISH_E10value_typeEPSI_NS1_7vsmem_tEENKUlT_SG_SH_SI_E_clIS7_S7_SB_PlEESF_SV_SG_SH_SI_EUlSV_E1_NS1_11comp_targetILNS1_3genE10ELNS1_11target_archE1201ELNS1_3gpuE5ELNS1_3repE0EEENS1_36merge_oddeven_config_static_selectorELNS0_4arch9wavefront6targetE1EEEvSH_.numbered_sgpr, 0
	.set _ZN7rocprim17ROCPRIM_400000_NS6detail17trampoline_kernelINS0_14default_configENS1_38merge_sort_block_merge_config_selectorIdlEEZZNS1_27merge_sort_block_merge_implIS3_PdN6thrust23THRUST_200600_302600_NS10device_ptrIlEEjNS1_19radix_merge_compareILb0ELb0EdNS0_19identity_decomposerEEEEE10hipError_tT0_T1_T2_jT3_P12ihipStream_tbPNSt15iterator_traitsISG_E10value_typeEPNSM_ISH_E10value_typeEPSI_NS1_7vsmem_tEENKUlT_SG_SH_SI_E_clIS7_S7_SB_PlEESF_SV_SG_SH_SI_EUlSV_E1_NS1_11comp_targetILNS1_3genE10ELNS1_11target_archE1201ELNS1_3gpuE5ELNS1_3repE0EEENS1_36merge_oddeven_config_static_selectorELNS0_4arch9wavefront6targetE1EEEvSH_.num_named_barrier, 0
	.set _ZN7rocprim17ROCPRIM_400000_NS6detail17trampoline_kernelINS0_14default_configENS1_38merge_sort_block_merge_config_selectorIdlEEZZNS1_27merge_sort_block_merge_implIS3_PdN6thrust23THRUST_200600_302600_NS10device_ptrIlEEjNS1_19radix_merge_compareILb0ELb0EdNS0_19identity_decomposerEEEEE10hipError_tT0_T1_T2_jT3_P12ihipStream_tbPNSt15iterator_traitsISG_E10value_typeEPNSM_ISH_E10value_typeEPSI_NS1_7vsmem_tEENKUlT_SG_SH_SI_E_clIS7_S7_SB_PlEESF_SV_SG_SH_SI_EUlSV_E1_NS1_11comp_targetILNS1_3genE10ELNS1_11target_archE1201ELNS1_3gpuE5ELNS1_3repE0EEENS1_36merge_oddeven_config_static_selectorELNS0_4arch9wavefront6targetE1EEEvSH_.private_seg_size, 0
	.set _ZN7rocprim17ROCPRIM_400000_NS6detail17trampoline_kernelINS0_14default_configENS1_38merge_sort_block_merge_config_selectorIdlEEZZNS1_27merge_sort_block_merge_implIS3_PdN6thrust23THRUST_200600_302600_NS10device_ptrIlEEjNS1_19radix_merge_compareILb0ELb0EdNS0_19identity_decomposerEEEEE10hipError_tT0_T1_T2_jT3_P12ihipStream_tbPNSt15iterator_traitsISG_E10value_typeEPNSM_ISH_E10value_typeEPSI_NS1_7vsmem_tEENKUlT_SG_SH_SI_E_clIS7_S7_SB_PlEESF_SV_SG_SH_SI_EUlSV_E1_NS1_11comp_targetILNS1_3genE10ELNS1_11target_archE1201ELNS1_3gpuE5ELNS1_3repE0EEENS1_36merge_oddeven_config_static_selectorELNS0_4arch9wavefront6targetE1EEEvSH_.uses_vcc, 0
	.set _ZN7rocprim17ROCPRIM_400000_NS6detail17trampoline_kernelINS0_14default_configENS1_38merge_sort_block_merge_config_selectorIdlEEZZNS1_27merge_sort_block_merge_implIS3_PdN6thrust23THRUST_200600_302600_NS10device_ptrIlEEjNS1_19radix_merge_compareILb0ELb0EdNS0_19identity_decomposerEEEEE10hipError_tT0_T1_T2_jT3_P12ihipStream_tbPNSt15iterator_traitsISG_E10value_typeEPNSM_ISH_E10value_typeEPSI_NS1_7vsmem_tEENKUlT_SG_SH_SI_E_clIS7_S7_SB_PlEESF_SV_SG_SH_SI_EUlSV_E1_NS1_11comp_targetILNS1_3genE10ELNS1_11target_archE1201ELNS1_3gpuE5ELNS1_3repE0EEENS1_36merge_oddeven_config_static_selectorELNS0_4arch9wavefront6targetE1EEEvSH_.uses_flat_scratch, 0
	.set _ZN7rocprim17ROCPRIM_400000_NS6detail17trampoline_kernelINS0_14default_configENS1_38merge_sort_block_merge_config_selectorIdlEEZZNS1_27merge_sort_block_merge_implIS3_PdN6thrust23THRUST_200600_302600_NS10device_ptrIlEEjNS1_19radix_merge_compareILb0ELb0EdNS0_19identity_decomposerEEEEE10hipError_tT0_T1_T2_jT3_P12ihipStream_tbPNSt15iterator_traitsISG_E10value_typeEPNSM_ISH_E10value_typeEPSI_NS1_7vsmem_tEENKUlT_SG_SH_SI_E_clIS7_S7_SB_PlEESF_SV_SG_SH_SI_EUlSV_E1_NS1_11comp_targetILNS1_3genE10ELNS1_11target_archE1201ELNS1_3gpuE5ELNS1_3repE0EEENS1_36merge_oddeven_config_static_selectorELNS0_4arch9wavefront6targetE1EEEvSH_.has_dyn_sized_stack, 0
	.set _ZN7rocprim17ROCPRIM_400000_NS6detail17trampoline_kernelINS0_14default_configENS1_38merge_sort_block_merge_config_selectorIdlEEZZNS1_27merge_sort_block_merge_implIS3_PdN6thrust23THRUST_200600_302600_NS10device_ptrIlEEjNS1_19radix_merge_compareILb0ELb0EdNS0_19identity_decomposerEEEEE10hipError_tT0_T1_T2_jT3_P12ihipStream_tbPNSt15iterator_traitsISG_E10value_typeEPNSM_ISH_E10value_typeEPSI_NS1_7vsmem_tEENKUlT_SG_SH_SI_E_clIS7_S7_SB_PlEESF_SV_SG_SH_SI_EUlSV_E1_NS1_11comp_targetILNS1_3genE10ELNS1_11target_archE1201ELNS1_3gpuE5ELNS1_3repE0EEENS1_36merge_oddeven_config_static_selectorELNS0_4arch9wavefront6targetE1EEEvSH_.has_recursion, 0
	.set _ZN7rocprim17ROCPRIM_400000_NS6detail17trampoline_kernelINS0_14default_configENS1_38merge_sort_block_merge_config_selectorIdlEEZZNS1_27merge_sort_block_merge_implIS3_PdN6thrust23THRUST_200600_302600_NS10device_ptrIlEEjNS1_19radix_merge_compareILb0ELb0EdNS0_19identity_decomposerEEEEE10hipError_tT0_T1_T2_jT3_P12ihipStream_tbPNSt15iterator_traitsISG_E10value_typeEPNSM_ISH_E10value_typeEPSI_NS1_7vsmem_tEENKUlT_SG_SH_SI_E_clIS7_S7_SB_PlEESF_SV_SG_SH_SI_EUlSV_E1_NS1_11comp_targetILNS1_3genE10ELNS1_11target_archE1201ELNS1_3gpuE5ELNS1_3repE0EEENS1_36merge_oddeven_config_static_selectorELNS0_4arch9wavefront6targetE1EEEvSH_.has_indirect_call, 0
	.section	.AMDGPU.csdata,"",@progbits
; Kernel info:
; codeLenInByte = 0
; TotalNumSgprs: 4
; NumVgprs: 0
; ScratchSize: 0
; MemoryBound: 0
; FloatMode: 240
; IeeeMode: 1
; LDSByteSize: 0 bytes/workgroup (compile time only)
; SGPRBlocks: 0
; VGPRBlocks: 0
; NumSGPRsForWavesPerEU: 4
; NumVGPRsForWavesPerEU: 1
; Occupancy: 10
; WaveLimiterHint : 0
; COMPUTE_PGM_RSRC2:SCRATCH_EN: 0
; COMPUTE_PGM_RSRC2:USER_SGPR: 6
; COMPUTE_PGM_RSRC2:TRAP_HANDLER: 0
; COMPUTE_PGM_RSRC2:TGID_X_EN: 1
; COMPUTE_PGM_RSRC2:TGID_Y_EN: 0
; COMPUTE_PGM_RSRC2:TGID_Z_EN: 0
; COMPUTE_PGM_RSRC2:TIDIG_COMP_CNT: 0
	.section	.text._ZN7rocprim17ROCPRIM_400000_NS6detail17trampoline_kernelINS0_14default_configENS1_38merge_sort_block_merge_config_selectorIdlEEZZNS1_27merge_sort_block_merge_implIS3_PdN6thrust23THRUST_200600_302600_NS10device_ptrIlEEjNS1_19radix_merge_compareILb0ELb0EdNS0_19identity_decomposerEEEEE10hipError_tT0_T1_T2_jT3_P12ihipStream_tbPNSt15iterator_traitsISG_E10value_typeEPNSM_ISH_E10value_typeEPSI_NS1_7vsmem_tEENKUlT_SG_SH_SI_E_clIS7_S7_SB_PlEESF_SV_SG_SH_SI_EUlSV_E1_NS1_11comp_targetILNS1_3genE5ELNS1_11target_archE942ELNS1_3gpuE9ELNS1_3repE0EEENS1_36merge_oddeven_config_static_selectorELNS0_4arch9wavefront6targetE1EEEvSH_,"axG",@progbits,_ZN7rocprim17ROCPRIM_400000_NS6detail17trampoline_kernelINS0_14default_configENS1_38merge_sort_block_merge_config_selectorIdlEEZZNS1_27merge_sort_block_merge_implIS3_PdN6thrust23THRUST_200600_302600_NS10device_ptrIlEEjNS1_19radix_merge_compareILb0ELb0EdNS0_19identity_decomposerEEEEE10hipError_tT0_T1_T2_jT3_P12ihipStream_tbPNSt15iterator_traitsISG_E10value_typeEPNSM_ISH_E10value_typeEPSI_NS1_7vsmem_tEENKUlT_SG_SH_SI_E_clIS7_S7_SB_PlEESF_SV_SG_SH_SI_EUlSV_E1_NS1_11comp_targetILNS1_3genE5ELNS1_11target_archE942ELNS1_3gpuE9ELNS1_3repE0EEENS1_36merge_oddeven_config_static_selectorELNS0_4arch9wavefront6targetE1EEEvSH_,comdat
	.protected	_ZN7rocprim17ROCPRIM_400000_NS6detail17trampoline_kernelINS0_14default_configENS1_38merge_sort_block_merge_config_selectorIdlEEZZNS1_27merge_sort_block_merge_implIS3_PdN6thrust23THRUST_200600_302600_NS10device_ptrIlEEjNS1_19radix_merge_compareILb0ELb0EdNS0_19identity_decomposerEEEEE10hipError_tT0_T1_T2_jT3_P12ihipStream_tbPNSt15iterator_traitsISG_E10value_typeEPNSM_ISH_E10value_typeEPSI_NS1_7vsmem_tEENKUlT_SG_SH_SI_E_clIS7_S7_SB_PlEESF_SV_SG_SH_SI_EUlSV_E1_NS1_11comp_targetILNS1_3genE5ELNS1_11target_archE942ELNS1_3gpuE9ELNS1_3repE0EEENS1_36merge_oddeven_config_static_selectorELNS0_4arch9wavefront6targetE1EEEvSH_ ; -- Begin function _ZN7rocprim17ROCPRIM_400000_NS6detail17trampoline_kernelINS0_14default_configENS1_38merge_sort_block_merge_config_selectorIdlEEZZNS1_27merge_sort_block_merge_implIS3_PdN6thrust23THRUST_200600_302600_NS10device_ptrIlEEjNS1_19radix_merge_compareILb0ELb0EdNS0_19identity_decomposerEEEEE10hipError_tT0_T1_T2_jT3_P12ihipStream_tbPNSt15iterator_traitsISG_E10value_typeEPNSM_ISH_E10value_typeEPSI_NS1_7vsmem_tEENKUlT_SG_SH_SI_E_clIS7_S7_SB_PlEESF_SV_SG_SH_SI_EUlSV_E1_NS1_11comp_targetILNS1_3genE5ELNS1_11target_archE942ELNS1_3gpuE9ELNS1_3repE0EEENS1_36merge_oddeven_config_static_selectorELNS0_4arch9wavefront6targetE1EEEvSH_
	.globl	_ZN7rocprim17ROCPRIM_400000_NS6detail17trampoline_kernelINS0_14default_configENS1_38merge_sort_block_merge_config_selectorIdlEEZZNS1_27merge_sort_block_merge_implIS3_PdN6thrust23THRUST_200600_302600_NS10device_ptrIlEEjNS1_19radix_merge_compareILb0ELb0EdNS0_19identity_decomposerEEEEE10hipError_tT0_T1_T2_jT3_P12ihipStream_tbPNSt15iterator_traitsISG_E10value_typeEPNSM_ISH_E10value_typeEPSI_NS1_7vsmem_tEENKUlT_SG_SH_SI_E_clIS7_S7_SB_PlEESF_SV_SG_SH_SI_EUlSV_E1_NS1_11comp_targetILNS1_3genE5ELNS1_11target_archE942ELNS1_3gpuE9ELNS1_3repE0EEENS1_36merge_oddeven_config_static_selectorELNS0_4arch9wavefront6targetE1EEEvSH_
	.p2align	8
	.type	_ZN7rocprim17ROCPRIM_400000_NS6detail17trampoline_kernelINS0_14default_configENS1_38merge_sort_block_merge_config_selectorIdlEEZZNS1_27merge_sort_block_merge_implIS3_PdN6thrust23THRUST_200600_302600_NS10device_ptrIlEEjNS1_19radix_merge_compareILb0ELb0EdNS0_19identity_decomposerEEEEE10hipError_tT0_T1_T2_jT3_P12ihipStream_tbPNSt15iterator_traitsISG_E10value_typeEPNSM_ISH_E10value_typeEPSI_NS1_7vsmem_tEENKUlT_SG_SH_SI_E_clIS7_S7_SB_PlEESF_SV_SG_SH_SI_EUlSV_E1_NS1_11comp_targetILNS1_3genE5ELNS1_11target_archE942ELNS1_3gpuE9ELNS1_3repE0EEENS1_36merge_oddeven_config_static_selectorELNS0_4arch9wavefront6targetE1EEEvSH_,@function
_ZN7rocprim17ROCPRIM_400000_NS6detail17trampoline_kernelINS0_14default_configENS1_38merge_sort_block_merge_config_selectorIdlEEZZNS1_27merge_sort_block_merge_implIS3_PdN6thrust23THRUST_200600_302600_NS10device_ptrIlEEjNS1_19radix_merge_compareILb0ELb0EdNS0_19identity_decomposerEEEEE10hipError_tT0_T1_T2_jT3_P12ihipStream_tbPNSt15iterator_traitsISG_E10value_typeEPNSM_ISH_E10value_typeEPSI_NS1_7vsmem_tEENKUlT_SG_SH_SI_E_clIS7_S7_SB_PlEESF_SV_SG_SH_SI_EUlSV_E1_NS1_11comp_targetILNS1_3genE5ELNS1_11target_archE942ELNS1_3gpuE9ELNS1_3repE0EEENS1_36merge_oddeven_config_static_selectorELNS0_4arch9wavefront6targetE1EEEvSH_: ; @_ZN7rocprim17ROCPRIM_400000_NS6detail17trampoline_kernelINS0_14default_configENS1_38merge_sort_block_merge_config_selectorIdlEEZZNS1_27merge_sort_block_merge_implIS3_PdN6thrust23THRUST_200600_302600_NS10device_ptrIlEEjNS1_19radix_merge_compareILb0ELb0EdNS0_19identity_decomposerEEEEE10hipError_tT0_T1_T2_jT3_P12ihipStream_tbPNSt15iterator_traitsISG_E10value_typeEPNSM_ISH_E10value_typeEPSI_NS1_7vsmem_tEENKUlT_SG_SH_SI_E_clIS7_S7_SB_PlEESF_SV_SG_SH_SI_EUlSV_E1_NS1_11comp_targetILNS1_3genE5ELNS1_11target_archE942ELNS1_3gpuE9ELNS1_3repE0EEENS1_36merge_oddeven_config_static_selectorELNS0_4arch9wavefront6targetE1EEEvSH_
; %bb.0:
	.section	.rodata,"a",@progbits
	.p2align	6, 0x0
	.amdhsa_kernel _ZN7rocprim17ROCPRIM_400000_NS6detail17trampoline_kernelINS0_14default_configENS1_38merge_sort_block_merge_config_selectorIdlEEZZNS1_27merge_sort_block_merge_implIS3_PdN6thrust23THRUST_200600_302600_NS10device_ptrIlEEjNS1_19radix_merge_compareILb0ELb0EdNS0_19identity_decomposerEEEEE10hipError_tT0_T1_T2_jT3_P12ihipStream_tbPNSt15iterator_traitsISG_E10value_typeEPNSM_ISH_E10value_typeEPSI_NS1_7vsmem_tEENKUlT_SG_SH_SI_E_clIS7_S7_SB_PlEESF_SV_SG_SH_SI_EUlSV_E1_NS1_11comp_targetILNS1_3genE5ELNS1_11target_archE942ELNS1_3gpuE9ELNS1_3repE0EEENS1_36merge_oddeven_config_static_selectorELNS0_4arch9wavefront6targetE1EEEvSH_
		.amdhsa_group_segment_fixed_size 0
		.amdhsa_private_segment_fixed_size 0
		.amdhsa_kernarg_size 48
		.amdhsa_user_sgpr_count 6
		.amdhsa_user_sgpr_private_segment_buffer 1
		.amdhsa_user_sgpr_dispatch_ptr 0
		.amdhsa_user_sgpr_queue_ptr 0
		.amdhsa_user_sgpr_kernarg_segment_ptr 1
		.amdhsa_user_sgpr_dispatch_id 0
		.amdhsa_user_sgpr_flat_scratch_init 0
		.amdhsa_user_sgpr_private_segment_size 0
		.amdhsa_uses_dynamic_stack 0
		.amdhsa_system_sgpr_private_segment_wavefront_offset 0
		.amdhsa_system_sgpr_workgroup_id_x 1
		.amdhsa_system_sgpr_workgroup_id_y 0
		.amdhsa_system_sgpr_workgroup_id_z 0
		.amdhsa_system_sgpr_workgroup_info 0
		.amdhsa_system_vgpr_workitem_id 0
		.amdhsa_next_free_vgpr 1
		.amdhsa_next_free_sgpr 0
		.amdhsa_reserve_vcc 0
		.amdhsa_reserve_flat_scratch 0
		.amdhsa_float_round_mode_32 0
		.amdhsa_float_round_mode_16_64 0
		.amdhsa_float_denorm_mode_32 3
		.amdhsa_float_denorm_mode_16_64 3
		.amdhsa_dx10_clamp 1
		.amdhsa_ieee_mode 1
		.amdhsa_fp16_overflow 0
		.amdhsa_exception_fp_ieee_invalid_op 0
		.amdhsa_exception_fp_denorm_src 0
		.amdhsa_exception_fp_ieee_div_zero 0
		.amdhsa_exception_fp_ieee_overflow 0
		.amdhsa_exception_fp_ieee_underflow 0
		.amdhsa_exception_fp_ieee_inexact 0
		.amdhsa_exception_int_div_zero 0
	.end_amdhsa_kernel
	.section	.text._ZN7rocprim17ROCPRIM_400000_NS6detail17trampoline_kernelINS0_14default_configENS1_38merge_sort_block_merge_config_selectorIdlEEZZNS1_27merge_sort_block_merge_implIS3_PdN6thrust23THRUST_200600_302600_NS10device_ptrIlEEjNS1_19radix_merge_compareILb0ELb0EdNS0_19identity_decomposerEEEEE10hipError_tT0_T1_T2_jT3_P12ihipStream_tbPNSt15iterator_traitsISG_E10value_typeEPNSM_ISH_E10value_typeEPSI_NS1_7vsmem_tEENKUlT_SG_SH_SI_E_clIS7_S7_SB_PlEESF_SV_SG_SH_SI_EUlSV_E1_NS1_11comp_targetILNS1_3genE5ELNS1_11target_archE942ELNS1_3gpuE9ELNS1_3repE0EEENS1_36merge_oddeven_config_static_selectorELNS0_4arch9wavefront6targetE1EEEvSH_,"axG",@progbits,_ZN7rocprim17ROCPRIM_400000_NS6detail17trampoline_kernelINS0_14default_configENS1_38merge_sort_block_merge_config_selectorIdlEEZZNS1_27merge_sort_block_merge_implIS3_PdN6thrust23THRUST_200600_302600_NS10device_ptrIlEEjNS1_19radix_merge_compareILb0ELb0EdNS0_19identity_decomposerEEEEE10hipError_tT0_T1_T2_jT3_P12ihipStream_tbPNSt15iterator_traitsISG_E10value_typeEPNSM_ISH_E10value_typeEPSI_NS1_7vsmem_tEENKUlT_SG_SH_SI_E_clIS7_S7_SB_PlEESF_SV_SG_SH_SI_EUlSV_E1_NS1_11comp_targetILNS1_3genE5ELNS1_11target_archE942ELNS1_3gpuE9ELNS1_3repE0EEENS1_36merge_oddeven_config_static_selectorELNS0_4arch9wavefront6targetE1EEEvSH_,comdat
.Lfunc_end1584:
	.size	_ZN7rocprim17ROCPRIM_400000_NS6detail17trampoline_kernelINS0_14default_configENS1_38merge_sort_block_merge_config_selectorIdlEEZZNS1_27merge_sort_block_merge_implIS3_PdN6thrust23THRUST_200600_302600_NS10device_ptrIlEEjNS1_19radix_merge_compareILb0ELb0EdNS0_19identity_decomposerEEEEE10hipError_tT0_T1_T2_jT3_P12ihipStream_tbPNSt15iterator_traitsISG_E10value_typeEPNSM_ISH_E10value_typeEPSI_NS1_7vsmem_tEENKUlT_SG_SH_SI_E_clIS7_S7_SB_PlEESF_SV_SG_SH_SI_EUlSV_E1_NS1_11comp_targetILNS1_3genE5ELNS1_11target_archE942ELNS1_3gpuE9ELNS1_3repE0EEENS1_36merge_oddeven_config_static_selectorELNS0_4arch9wavefront6targetE1EEEvSH_, .Lfunc_end1584-_ZN7rocprim17ROCPRIM_400000_NS6detail17trampoline_kernelINS0_14default_configENS1_38merge_sort_block_merge_config_selectorIdlEEZZNS1_27merge_sort_block_merge_implIS3_PdN6thrust23THRUST_200600_302600_NS10device_ptrIlEEjNS1_19radix_merge_compareILb0ELb0EdNS0_19identity_decomposerEEEEE10hipError_tT0_T1_T2_jT3_P12ihipStream_tbPNSt15iterator_traitsISG_E10value_typeEPNSM_ISH_E10value_typeEPSI_NS1_7vsmem_tEENKUlT_SG_SH_SI_E_clIS7_S7_SB_PlEESF_SV_SG_SH_SI_EUlSV_E1_NS1_11comp_targetILNS1_3genE5ELNS1_11target_archE942ELNS1_3gpuE9ELNS1_3repE0EEENS1_36merge_oddeven_config_static_selectorELNS0_4arch9wavefront6targetE1EEEvSH_
                                        ; -- End function
	.set _ZN7rocprim17ROCPRIM_400000_NS6detail17trampoline_kernelINS0_14default_configENS1_38merge_sort_block_merge_config_selectorIdlEEZZNS1_27merge_sort_block_merge_implIS3_PdN6thrust23THRUST_200600_302600_NS10device_ptrIlEEjNS1_19radix_merge_compareILb0ELb0EdNS0_19identity_decomposerEEEEE10hipError_tT0_T1_T2_jT3_P12ihipStream_tbPNSt15iterator_traitsISG_E10value_typeEPNSM_ISH_E10value_typeEPSI_NS1_7vsmem_tEENKUlT_SG_SH_SI_E_clIS7_S7_SB_PlEESF_SV_SG_SH_SI_EUlSV_E1_NS1_11comp_targetILNS1_3genE5ELNS1_11target_archE942ELNS1_3gpuE9ELNS1_3repE0EEENS1_36merge_oddeven_config_static_selectorELNS0_4arch9wavefront6targetE1EEEvSH_.num_vgpr, 0
	.set _ZN7rocprim17ROCPRIM_400000_NS6detail17trampoline_kernelINS0_14default_configENS1_38merge_sort_block_merge_config_selectorIdlEEZZNS1_27merge_sort_block_merge_implIS3_PdN6thrust23THRUST_200600_302600_NS10device_ptrIlEEjNS1_19radix_merge_compareILb0ELb0EdNS0_19identity_decomposerEEEEE10hipError_tT0_T1_T2_jT3_P12ihipStream_tbPNSt15iterator_traitsISG_E10value_typeEPNSM_ISH_E10value_typeEPSI_NS1_7vsmem_tEENKUlT_SG_SH_SI_E_clIS7_S7_SB_PlEESF_SV_SG_SH_SI_EUlSV_E1_NS1_11comp_targetILNS1_3genE5ELNS1_11target_archE942ELNS1_3gpuE9ELNS1_3repE0EEENS1_36merge_oddeven_config_static_selectorELNS0_4arch9wavefront6targetE1EEEvSH_.num_agpr, 0
	.set _ZN7rocprim17ROCPRIM_400000_NS6detail17trampoline_kernelINS0_14default_configENS1_38merge_sort_block_merge_config_selectorIdlEEZZNS1_27merge_sort_block_merge_implIS3_PdN6thrust23THRUST_200600_302600_NS10device_ptrIlEEjNS1_19radix_merge_compareILb0ELb0EdNS0_19identity_decomposerEEEEE10hipError_tT0_T1_T2_jT3_P12ihipStream_tbPNSt15iterator_traitsISG_E10value_typeEPNSM_ISH_E10value_typeEPSI_NS1_7vsmem_tEENKUlT_SG_SH_SI_E_clIS7_S7_SB_PlEESF_SV_SG_SH_SI_EUlSV_E1_NS1_11comp_targetILNS1_3genE5ELNS1_11target_archE942ELNS1_3gpuE9ELNS1_3repE0EEENS1_36merge_oddeven_config_static_selectorELNS0_4arch9wavefront6targetE1EEEvSH_.numbered_sgpr, 0
	.set _ZN7rocprim17ROCPRIM_400000_NS6detail17trampoline_kernelINS0_14default_configENS1_38merge_sort_block_merge_config_selectorIdlEEZZNS1_27merge_sort_block_merge_implIS3_PdN6thrust23THRUST_200600_302600_NS10device_ptrIlEEjNS1_19radix_merge_compareILb0ELb0EdNS0_19identity_decomposerEEEEE10hipError_tT0_T1_T2_jT3_P12ihipStream_tbPNSt15iterator_traitsISG_E10value_typeEPNSM_ISH_E10value_typeEPSI_NS1_7vsmem_tEENKUlT_SG_SH_SI_E_clIS7_S7_SB_PlEESF_SV_SG_SH_SI_EUlSV_E1_NS1_11comp_targetILNS1_3genE5ELNS1_11target_archE942ELNS1_3gpuE9ELNS1_3repE0EEENS1_36merge_oddeven_config_static_selectorELNS0_4arch9wavefront6targetE1EEEvSH_.num_named_barrier, 0
	.set _ZN7rocprim17ROCPRIM_400000_NS6detail17trampoline_kernelINS0_14default_configENS1_38merge_sort_block_merge_config_selectorIdlEEZZNS1_27merge_sort_block_merge_implIS3_PdN6thrust23THRUST_200600_302600_NS10device_ptrIlEEjNS1_19radix_merge_compareILb0ELb0EdNS0_19identity_decomposerEEEEE10hipError_tT0_T1_T2_jT3_P12ihipStream_tbPNSt15iterator_traitsISG_E10value_typeEPNSM_ISH_E10value_typeEPSI_NS1_7vsmem_tEENKUlT_SG_SH_SI_E_clIS7_S7_SB_PlEESF_SV_SG_SH_SI_EUlSV_E1_NS1_11comp_targetILNS1_3genE5ELNS1_11target_archE942ELNS1_3gpuE9ELNS1_3repE0EEENS1_36merge_oddeven_config_static_selectorELNS0_4arch9wavefront6targetE1EEEvSH_.private_seg_size, 0
	.set _ZN7rocprim17ROCPRIM_400000_NS6detail17trampoline_kernelINS0_14default_configENS1_38merge_sort_block_merge_config_selectorIdlEEZZNS1_27merge_sort_block_merge_implIS3_PdN6thrust23THRUST_200600_302600_NS10device_ptrIlEEjNS1_19radix_merge_compareILb0ELb0EdNS0_19identity_decomposerEEEEE10hipError_tT0_T1_T2_jT3_P12ihipStream_tbPNSt15iterator_traitsISG_E10value_typeEPNSM_ISH_E10value_typeEPSI_NS1_7vsmem_tEENKUlT_SG_SH_SI_E_clIS7_S7_SB_PlEESF_SV_SG_SH_SI_EUlSV_E1_NS1_11comp_targetILNS1_3genE5ELNS1_11target_archE942ELNS1_3gpuE9ELNS1_3repE0EEENS1_36merge_oddeven_config_static_selectorELNS0_4arch9wavefront6targetE1EEEvSH_.uses_vcc, 0
	.set _ZN7rocprim17ROCPRIM_400000_NS6detail17trampoline_kernelINS0_14default_configENS1_38merge_sort_block_merge_config_selectorIdlEEZZNS1_27merge_sort_block_merge_implIS3_PdN6thrust23THRUST_200600_302600_NS10device_ptrIlEEjNS1_19radix_merge_compareILb0ELb0EdNS0_19identity_decomposerEEEEE10hipError_tT0_T1_T2_jT3_P12ihipStream_tbPNSt15iterator_traitsISG_E10value_typeEPNSM_ISH_E10value_typeEPSI_NS1_7vsmem_tEENKUlT_SG_SH_SI_E_clIS7_S7_SB_PlEESF_SV_SG_SH_SI_EUlSV_E1_NS1_11comp_targetILNS1_3genE5ELNS1_11target_archE942ELNS1_3gpuE9ELNS1_3repE0EEENS1_36merge_oddeven_config_static_selectorELNS0_4arch9wavefront6targetE1EEEvSH_.uses_flat_scratch, 0
	.set _ZN7rocprim17ROCPRIM_400000_NS6detail17trampoline_kernelINS0_14default_configENS1_38merge_sort_block_merge_config_selectorIdlEEZZNS1_27merge_sort_block_merge_implIS3_PdN6thrust23THRUST_200600_302600_NS10device_ptrIlEEjNS1_19radix_merge_compareILb0ELb0EdNS0_19identity_decomposerEEEEE10hipError_tT0_T1_T2_jT3_P12ihipStream_tbPNSt15iterator_traitsISG_E10value_typeEPNSM_ISH_E10value_typeEPSI_NS1_7vsmem_tEENKUlT_SG_SH_SI_E_clIS7_S7_SB_PlEESF_SV_SG_SH_SI_EUlSV_E1_NS1_11comp_targetILNS1_3genE5ELNS1_11target_archE942ELNS1_3gpuE9ELNS1_3repE0EEENS1_36merge_oddeven_config_static_selectorELNS0_4arch9wavefront6targetE1EEEvSH_.has_dyn_sized_stack, 0
	.set _ZN7rocprim17ROCPRIM_400000_NS6detail17trampoline_kernelINS0_14default_configENS1_38merge_sort_block_merge_config_selectorIdlEEZZNS1_27merge_sort_block_merge_implIS3_PdN6thrust23THRUST_200600_302600_NS10device_ptrIlEEjNS1_19radix_merge_compareILb0ELb0EdNS0_19identity_decomposerEEEEE10hipError_tT0_T1_T2_jT3_P12ihipStream_tbPNSt15iterator_traitsISG_E10value_typeEPNSM_ISH_E10value_typeEPSI_NS1_7vsmem_tEENKUlT_SG_SH_SI_E_clIS7_S7_SB_PlEESF_SV_SG_SH_SI_EUlSV_E1_NS1_11comp_targetILNS1_3genE5ELNS1_11target_archE942ELNS1_3gpuE9ELNS1_3repE0EEENS1_36merge_oddeven_config_static_selectorELNS0_4arch9wavefront6targetE1EEEvSH_.has_recursion, 0
	.set _ZN7rocprim17ROCPRIM_400000_NS6detail17trampoline_kernelINS0_14default_configENS1_38merge_sort_block_merge_config_selectorIdlEEZZNS1_27merge_sort_block_merge_implIS3_PdN6thrust23THRUST_200600_302600_NS10device_ptrIlEEjNS1_19radix_merge_compareILb0ELb0EdNS0_19identity_decomposerEEEEE10hipError_tT0_T1_T2_jT3_P12ihipStream_tbPNSt15iterator_traitsISG_E10value_typeEPNSM_ISH_E10value_typeEPSI_NS1_7vsmem_tEENKUlT_SG_SH_SI_E_clIS7_S7_SB_PlEESF_SV_SG_SH_SI_EUlSV_E1_NS1_11comp_targetILNS1_3genE5ELNS1_11target_archE942ELNS1_3gpuE9ELNS1_3repE0EEENS1_36merge_oddeven_config_static_selectorELNS0_4arch9wavefront6targetE1EEEvSH_.has_indirect_call, 0
	.section	.AMDGPU.csdata,"",@progbits
; Kernel info:
; codeLenInByte = 0
; TotalNumSgprs: 4
; NumVgprs: 0
; ScratchSize: 0
; MemoryBound: 0
; FloatMode: 240
; IeeeMode: 1
; LDSByteSize: 0 bytes/workgroup (compile time only)
; SGPRBlocks: 0
; VGPRBlocks: 0
; NumSGPRsForWavesPerEU: 4
; NumVGPRsForWavesPerEU: 1
; Occupancy: 10
; WaveLimiterHint : 0
; COMPUTE_PGM_RSRC2:SCRATCH_EN: 0
; COMPUTE_PGM_RSRC2:USER_SGPR: 6
; COMPUTE_PGM_RSRC2:TRAP_HANDLER: 0
; COMPUTE_PGM_RSRC2:TGID_X_EN: 1
; COMPUTE_PGM_RSRC2:TGID_Y_EN: 0
; COMPUTE_PGM_RSRC2:TGID_Z_EN: 0
; COMPUTE_PGM_RSRC2:TIDIG_COMP_CNT: 0
	.section	.text._ZN7rocprim17ROCPRIM_400000_NS6detail17trampoline_kernelINS0_14default_configENS1_38merge_sort_block_merge_config_selectorIdlEEZZNS1_27merge_sort_block_merge_implIS3_PdN6thrust23THRUST_200600_302600_NS10device_ptrIlEEjNS1_19radix_merge_compareILb0ELb0EdNS0_19identity_decomposerEEEEE10hipError_tT0_T1_T2_jT3_P12ihipStream_tbPNSt15iterator_traitsISG_E10value_typeEPNSM_ISH_E10value_typeEPSI_NS1_7vsmem_tEENKUlT_SG_SH_SI_E_clIS7_S7_SB_PlEESF_SV_SG_SH_SI_EUlSV_E1_NS1_11comp_targetILNS1_3genE4ELNS1_11target_archE910ELNS1_3gpuE8ELNS1_3repE0EEENS1_36merge_oddeven_config_static_selectorELNS0_4arch9wavefront6targetE1EEEvSH_,"axG",@progbits,_ZN7rocprim17ROCPRIM_400000_NS6detail17trampoline_kernelINS0_14default_configENS1_38merge_sort_block_merge_config_selectorIdlEEZZNS1_27merge_sort_block_merge_implIS3_PdN6thrust23THRUST_200600_302600_NS10device_ptrIlEEjNS1_19radix_merge_compareILb0ELb0EdNS0_19identity_decomposerEEEEE10hipError_tT0_T1_T2_jT3_P12ihipStream_tbPNSt15iterator_traitsISG_E10value_typeEPNSM_ISH_E10value_typeEPSI_NS1_7vsmem_tEENKUlT_SG_SH_SI_E_clIS7_S7_SB_PlEESF_SV_SG_SH_SI_EUlSV_E1_NS1_11comp_targetILNS1_3genE4ELNS1_11target_archE910ELNS1_3gpuE8ELNS1_3repE0EEENS1_36merge_oddeven_config_static_selectorELNS0_4arch9wavefront6targetE1EEEvSH_,comdat
	.protected	_ZN7rocprim17ROCPRIM_400000_NS6detail17trampoline_kernelINS0_14default_configENS1_38merge_sort_block_merge_config_selectorIdlEEZZNS1_27merge_sort_block_merge_implIS3_PdN6thrust23THRUST_200600_302600_NS10device_ptrIlEEjNS1_19radix_merge_compareILb0ELb0EdNS0_19identity_decomposerEEEEE10hipError_tT0_T1_T2_jT3_P12ihipStream_tbPNSt15iterator_traitsISG_E10value_typeEPNSM_ISH_E10value_typeEPSI_NS1_7vsmem_tEENKUlT_SG_SH_SI_E_clIS7_S7_SB_PlEESF_SV_SG_SH_SI_EUlSV_E1_NS1_11comp_targetILNS1_3genE4ELNS1_11target_archE910ELNS1_3gpuE8ELNS1_3repE0EEENS1_36merge_oddeven_config_static_selectorELNS0_4arch9wavefront6targetE1EEEvSH_ ; -- Begin function _ZN7rocprim17ROCPRIM_400000_NS6detail17trampoline_kernelINS0_14default_configENS1_38merge_sort_block_merge_config_selectorIdlEEZZNS1_27merge_sort_block_merge_implIS3_PdN6thrust23THRUST_200600_302600_NS10device_ptrIlEEjNS1_19radix_merge_compareILb0ELb0EdNS0_19identity_decomposerEEEEE10hipError_tT0_T1_T2_jT3_P12ihipStream_tbPNSt15iterator_traitsISG_E10value_typeEPNSM_ISH_E10value_typeEPSI_NS1_7vsmem_tEENKUlT_SG_SH_SI_E_clIS7_S7_SB_PlEESF_SV_SG_SH_SI_EUlSV_E1_NS1_11comp_targetILNS1_3genE4ELNS1_11target_archE910ELNS1_3gpuE8ELNS1_3repE0EEENS1_36merge_oddeven_config_static_selectorELNS0_4arch9wavefront6targetE1EEEvSH_
	.globl	_ZN7rocprim17ROCPRIM_400000_NS6detail17trampoline_kernelINS0_14default_configENS1_38merge_sort_block_merge_config_selectorIdlEEZZNS1_27merge_sort_block_merge_implIS3_PdN6thrust23THRUST_200600_302600_NS10device_ptrIlEEjNS1_19radix_merge_compareILb0ELb0EdNS0_19identity_decomposerEEEEE10hipError_tT0_T1_T2_jT3_P12ihipStream_tbPNSt15iterator_traitsISG_E10value_typeEPNSM_ISH_E10value_typeEPSI_NS1_7vsmem_tEENKUlT_SG_SH_SI_E_clIS7_S7_SB_PlEESF_SV_SG_SH_SI_EUlSV_E1_NS1_11comp_targetILNS1_3genE4ELNS1_11target_archE910ELNS1_3gpuE8ELNS1_3repE0EEENS1_36merge_oddeven_config_static_selectorELNS0_4arch9wavefront6targetE1EEEvSH_
	.p2align	8
	.type	_ZN7rocprim17ROCPRIM_400000_NS6detail17trampoline_kernelINS0_14default_configENS1_38merge_sort_block_merge_config_selectorIdlEEZZNS1_27merge_sort_block_merge_implIS3_PdN6thrust23THRUST_200600_302600_NS10device_ptrIlEEjNS1_19radix_merge_compareILb0ELb0EdNS0_19identity_decomposerEEEEE10hipError_tT0_T1_T2_jT3_P12ihipStream_tbPNSt15iterator_traitsISG_E10value_typeEPNSM_ISH_E10value_typeEPSI_NS1_7vsmem_tEENKUlT_SG_SH_SI_E_clIS7_S7_SB_PlEESF_SV_SG_SH_SI_EUlSV_E1_NS1_11comp_targetILNS1_3genE4ELNS1_11target_archE910ELNS1_3gpuE8ELNS1_3repE0EEENS1_36merge_oddeven_config_static_selectorELNS0_4arch9wavefront6targetE1EEEvSH_,@function
_ZN7rocprim17ROCPRIM_400000_NS6detail17trampoline_kernelINS0_14default_configENS1_38merge_sort_block_merge_config_selectorIdlEEZZNS1_27merge_sort_block_merge_implIS3_PdN6thrust23THRUST_200600_302600_NS10device_ptrIlEEjNS1_19radix_merge_compareILb0ELb0EdNS0_19identity_decomposerEEEEE10hipError_tT0_T1_T2_jT3_P12ihipStream_tbPNSt15iterator_traitsISG_E10value_typeEPNSM_ISH_E10value_typeEPSI_NS1_7vsmem_tEENKUlT_SG_SH_SI_E_clIS7_S7_SB_PlEESF_SV_SG_SH_SI_EUlSV_E1_NS1_11comp_targetILNS1_3genE4ELNS1_11target_archE910ELNS1_3gpuE8ELNS1_3repE0EEENS1_36merge_oddeven_config_static_selectorELNS0_4arch9wavefront6targetE1EEEvSH_: ; @_ZN7rocprim17ROCPRIM_400000_NS6detail17trampoline_kernelINS0_14default_configENS1_38merge_sort_block_merge_config_selectorIdlEEZZNS1_27merge_sort_block_merge_implIS3_PdN6thrust23THRUST_200600_302600_NS10device_ptrIlEEjNS1_19radix_merge_compareILb0ELb0EdNS0_19identity_decomposerEEEEE10hipError_tT0_T1_T2_jT3_P12ihipStream_tbPNSt15iterator_traitsISG_E10value_typeEPNSM_ISH_E10value_typeEPSI_NS1_7vsmem_tEENKUlT_SG_SH_SI_E_clIS7_S7_SB_PlEESF_SV_SG_SH_SI_EUlSV_E1_NS1_11comp_targetILNS1_3genE4ELNS1_11target_archE910ELNS1_3gpuE8ELNS1_3repE0EEENS1_36merge_oddeven_config_static_selectorELNS0_4arch9wavefront6targetE1EEEvSH_
; %bb.0:
	.section	.rodata,"a",@progbits
	.p2align	6, 0x0
	.amdhsa_kernel _ZN7rocprim17ROCPRIM_400000_NS6detail17trampoline_kernelINS0_14default_configENS1_38merge_sort_block_merge_config_selectorIdlEEZZNS1_27merge_sort_block_merge_implIS3_PdN6thrust23THRUST_200600_302600_NS10device_ptrIlEEjNS1_19radix_merge_compareILb0ELb0EdNS0_19identity_decomposerEEEEE10hipError_tT0_T1_T2_jT3_P12ihipStream_tbPNSt15iterator_traitsISG_E10value_typeEPNSM_ISH_E10value_typeEPSI_NS1_7vsmem_tEENKUlT_SG_SH_SI_E_clIS7_S7_SB_PlEESF_SV_SG_SH_SI_EUlSV_E1_NS1_11comp_targetILNS1_3genE4ELNS1_11target_archE910ELNS1_3gpuE8ELNS1_3repE0EEENS1_36merge_oddeven_config_static_selectorELNS0_4arch9wavefront6targetE1EEEvSH_
		.amdhsa_group_segment_fixed_size 0
		.amdhsa_private_segment_fixed_size 0
		.amdhsa_kernarg_size 48
		.amdhsa_user_sgpr_count 6
		.amdhsa_user_sgpr_private_segment_buffer 1
		.amdhsa_user_sgpr_dispatch_ptr 0
		.amdhsa_user_sgpr_queue_ptr 0
		.amdhsa_user_sgpr_kernarg_segment_ptr 1
		.amdhsa_user_sgpr_dispatch_id 0
		.amdhsa_user_sgpr_flat_scratch_init 0
		.amdhsa_user_sgpr_private_segment_size 0
		.amdhsa_uses_dynamic_stack 0
		.amdhsa_system_sgpr_private_segment_wavefront_offset 0
		.amdhsa_system_sgpr_workgroup_id_x 1
		.amdhsa_system_sgpr_workgroup_id_y 0
		.amdhsa_system_sgpr_workgroup_id_z 0
		.amdhsa_system_sgpr_workgroup_info 0
		.amdhsa_system_vgpr_workitem_id 0
		.amdhsa_next_free_vgpr 1
		.amdhsa_next_free_sgpr 0
		.amdhsa_reserve_vcc 0
		.amdhsa_reserve_flat_scratch 0
		.amdhsa_float_round_mode_32 0
		.amdhsa_float_round_mode_16_64 0
		.amdhsa_float_denorm_mode_32 3
		.amdhsa_float_denorm_mode_16_64 3
		.amdhsa_dx10_clamp 1
		.amdhsa_ieee_mode 1
		.amdhsa_fp16_overflow 0
		.amdhsa_exception_fp_ieee_invalid_op 0
		.amdhsa_exception_fp_denorm_src 0
		.amdhsa_exception_fp_ieee_div_zero 0
		.amdhsa_exception_fp_ieee_overflow 0
		.amdhsa_exception_fp_ieee_underflow 0
		.amdhsa_exception_fp_ieee_inexact 0
		.amdhsa_exception_int_div_zero 0
	.end_amdhsa_kernel
	.section	.text._ZN7rocprim17ROCPRIM_400000_NS6detail17trampoline_kernelINS0_14default_configENS1_38merge_sort_block_merge_config_selectorIdlEEZZNS1_27merge_sort_block_merge_implIS3_PdN6thrust23THRUST_200600_302600_NS10device_ptrIlEEjNS1_19radix_merge_compareILb0ELb0EdNS0_19identity_decomposerEEEEE10hipError_tT0_T1_T2_jT3_P12ihipStream_tbPNSt15iterator_traitsISG_E10value_typeEPNSM_ISH_E10value_typeEPSI_NS1_7vsmem_tEENKUlT_SG_SH_SI_E_clIS7_S7_SB_PlEESF_SV_SG_SH_SI_EUlSV_E1_NS1_11comp_targetILNS1_3genE4ELNS1_11target_archE910ELNS1_3gpuE8ELNS1_3repE0EEENS1_36merge_oddeven_config_static_selectorELNS0_4arch9wavefront6targetE1EEEvSH_,"axG",@progbits,_ZN7rocprim17ROCPRIM_400000_NS6detail17trampoline_kernelINS0_14default_configENS1_38merge_sort_block_merge_config_selectorIdlEEZZNS1_27merge_sort_block_merge_implIS3_PdN6thrust23THRUST_200600_302600_NS10device_ptrIlEEjNS1_19radix_merge_compareILb0ELb0EdNS0_19identity_decomposerEEEEE10hipError_tT0_T1_T2_jT3_P12ihipStream_tbPNSt15iterator_traitsISG_E10value_typeEPNSM_ISH_E10value_typeEPSI_NS1_7vsmem_tEENKUlT_SG_SH_SI_E_clIS7_S7_SB_PlEESF_SV_SG_SH_SI_EUlSV_E1_NS1_11comp_targetILNS1_3genE4ELNS1_11target_archE910ELNS1_3gpuE8ELNS1_3repE0EEENS1_36merge_oddeven_config_static_selectorELNS0_4arch9wavefront6targetE1EEEvSH_,comdat
.Lfunc_end1585:
	.size	_ZN7rocprim17ROCPRIM_400000_NS6detail17trampoline_kernelINS0_14default_configENS1_38merge_sort_block_merge_config_selectorIdlEEZZNS1_27merge_sort_block_merge_implIS3_PdN6thrust23THRUST_200600_302600_NS10device_ptrIlEEjNS1_19radix_merge_compareILb0ELb0EdNS0_19identity_decomposerEEEEE10hipError_tT0_T1_T2_jT3_P12ihipStream_tbPNSt15iterator_traitsISG_E10value_typeEPNSM_ISH_E10value_typeEPSI_NS1_7vsmem_tEENKUlT_SG_SH_SI_E_clIS7_S7_SB_PlEESF_SV_SG_SH_SI_EUlSV_E1_NS1_11comp_targetILNS1_3genE4ELNS1_11target_archE910ELNS1_3gpuE8ELNS1_3repE0EEENS1_36merge_oddeven_config_static_selectorELNS0_4arch9wavefront6targetE1EEEvSH_, .Lfunc_end1585-_ZN7rocprim17ROCPRIM_400000_NS6detail17trampoline_kernelINS0_14default_configENS1_38merge_sort_block_merge_config_selectorIdlEEZZNS1_27merge_sort_block_merge_implIS3_PdN6thrust23THRUST_200600_302600_NS10device_ptrIlEEjNS1_19radix_merge_compareILb0ELb0EdNS0_19identity_decomposerEEEEE10hipError_tT0_T1_T2_jT3_P12ihipStream_tbPNSt15iterator_traitsISG_E10value_typeEPNSM_ISH_E10value_typeEPSI_NS1_7vsmem_tEENKUlT_SG_SH_SI_E_clIS7_S7_SB_PlEESF_SV_SG_SH_SI_EUlSV_E1_NS1_11comp_targetILNS1_3genE4ELNS1_11target_archE910ELNS1_3gpuE8ELNS1_3repE0EEENS1_36merge_oddeven_config_static_selectorELNS0_4arch9wavefront6targetE1EEEvSH_
                                        ; -- End function
	.set _ZN7rocprim17ROCPRIM_400000_NS6detail17trampoline_kernelINS0_14default_configENS1_38merge_sort_block_merge_config_selectorIdlEEZZNS1_27merge_sort_block_merge_implIS3_PdN6thrust23THRUST_200600_302600_NS10device_ptrIlEEjNS1_19radix_merge_compareILb0ELb0EdNS0_19identity_decomposerEEEEE10hipError_tT0_T1_T2_jT3_P12ihipStream_tbPNSt15iterator_traitsISG_E10value_typeEPNSM_ISH_E10value_typeEPSI_NS1_7vsmem_tEENKUlT_SG_SH_SI_E_clIS7_S7_SB_PlEESF_SV_SG_SH_SI_EUlSV_E1_NS1_11comp_targetILNS1_3genE4ELNS1_11target_archE910ELNS1_3gpuE8ELNS1_3repE0EEENS1_36merge_oddeven_config_static_selectorELNS0_4arch9wavefront6targetE1EEEvSH_.num_vgpr, 0
	.set _ZN7rocprim17ROCPRIM_400000_NS6detail17trampoline_kernelINS0_14default_configENS1_38merge_sort_block_merge_config_selectorIdlEEZZNS1_27merge_sort_block_merge_implIS3_PdN6thrust23THRUST_200600_302600_NS10device_ptrIlEEjNS1_19radix_merge_compareILb0ELb0EdNS0_19identity_decomposerEEEEE10hipError_tT0_T1_T2_jT3_P12ihipStream_tbPNSt15iterator_traitsISG_E10value_typeEPNSM_ISH_E10value_typeEPSI_NS1_7vsmem_tEENKUlT_SG_SH_SI_E_clIS7_S7_SB_PlEESF_SV_SG_SH_SI_EUlSV_E1_NS1_11comp_targetILNS1_3genE4ELNS1_11target_archE910ELNS1_3gpuE8ELNS1_3repE0EEENS1_36merge_oddeven_config_static_selectorELNS0_4arch9wavefront6targetE1EEEvSH_.num_agpr, 0
	.set _ZN7rocprim17ROCPRIM_400000_NS6detail17trampoline_kernelINS0_14default_configENS1_38merge_sort_block_merge_config_selectorIdlEEZZNS1_27merge_sort_block_merge_implIS3_PdN6thrust23THRUST_200600_302600_NS10device_ptrIlEEjNS1_19radix_merge_compareILb0ELb0EdNS0_19identity_decomposerEEEEE10hipError_tT0_T1_T2_jT3_P12ihipStream_tbPNSt15iterator_traitsISG_E10value_typeEPNSM_ISH_E10value_typeEPSI_NS1_7vsmem_tEENKUlT_SG_SH_SI_E_clIS7_S7_SB_PlEESF_SV_SG_SH_SI_EUlSV_E1_NS1_11comp_targetILNS1_3genE4ELNS1_11target_archE910ELNS1_3gpuE8ELNS1_3repE0EEENS1_36merge_oddeven_config_static_selectorELNS0_4arch9wavefront6targetE1EEEvSH_.numbered_sgpr, 0
	.set _ZN7rocprim17ROCPRIM_400000_NS6detail17trampoline_kernelINS0_14default_configENS1_38merge_sort_block_merge_config_selectorIdlEEZZNS1_27merge_sort_block_merge_implIS3_PdN6thrust23THRUST_200600_302600_NS10device_ptrIlEEjNS1_19radix_merge_compareILb0ELb0EdNS0_19identity_decomposerEEEEE10hipError_tT0_T1_T2_jT3_P12ihipStream_tbPNSt15iterator_traitsISG_E10value_typeEPNSM_ISH_E10value_typeEPSI_NS1_7vsmem_tEENKUlT_SG_SH_SI_E_clIS7_S7_SB_PlEESF_SV_SG_SH_SI_EUlSV_E1_NS1_11comp_targetILNS1_3genE4ELNS1_11target_archE910ELNS1_3gpuE8ELNS1_3repE0EEENS1_36merge_oddeven_config_static_selectorELNS0_4arch9wavefront6targetE1EEEvSH_.num_named_barrier, 0
	.set _ZN7rocprim17ROCPRIM_400000_NS6detail17trampoline_kernelINS0_14default_configENS1_38merge_sort_block_merge_config_selectorIdlEEZZNS1_27merge_sort_block_merge_implIS3_PdN6thrust23THRUST_200600_302600_NS10device_ptrIlEEjNS1_19radix_merge_compareILb0ELb0EdNS0_19identity_decomposerEEEEE10hipError_tT0_T1_T2_jT3_P12ihipStream_tbPNSt15iterator_traitsISG_E10value_typeEPNSM_ISH_E10value_typeEPSI_NS1_7vsmem_tEENKUlT_SG_SH_SI_E_clIS7_S7_SB_PlEESF_SV_SG_SH_SI_EUlSV_E1_NS1_11comp_targetILNS1_3genE4ELNS1_11target_archE910ELNS1_3gpuE8ELNS1_3repE0EEENS1_36merge_oddeven_config_static_selectorELNS0_4arch9wavefront6targetE1EEEvSH_.private_seg_size, 0
	.set _ZN7rocprim17ROCPRIM_400000_NS6detail17trampoline_kernelINS0_14default_configENS1_38merge_sort_block_merge_config_selectorIdlEEZZNS1_27merge_sort_block_merge_implIS3_PdN6thrust23THRUST_200600_302600_NS10device_ptrIlEEjNS1_19radix_merge_compareILb0ELb0EdNS0_19identity_decomposerEEEEE10hipError_tT0_T1_T2_jT3_P12ihipStream_tbPNSt15iterator_traitsISG_E10value_typeEPNSM_ISH_E10value_typeEPSI_NS1_7vsmem_tEENKUlT_SG_SH_SI_E_clIS7_S7_SB_PlEESF_SV_SG_SH_SI_EUlSV_E1_NS1_11comp_targetILNS1_3genE4ELNS1_11target_archE910ELNS1_3gpuE8ELNS1_3repE0EEENS1_36merge_oddeven_config_static_selectorELNS0_4arch9wavefront6targetE1EEEvSH_.uses_vcc, 0
	.set _ZN7rocprim17ROCPRIM_400000_NS6detail17trampoline_kernelINS0_14default_configENS1_38merge_sort_block_merge_config_selectorIdlEEZZNS1_27merge_sort_block_merge_implIS3_PdN6thrust23THRUST_200600_302600_NS10device_ptrIlEEjNS1_19radix_merge_compareILb0ELb0EdNS0_19identity_decomposerEEEEE10hipError_tT0_T1_T2_jT3_P12ihipStream_tbPNSt15iterator_traitsISG_E10value_typeEPNSM_ISH_E10value_typeEPSI_NS1_7vsmem_tEENKUlT_SG_SH_SI_E_clIS7_S7_SB_PlEESF_SV_SG_SH_SI_EUlSV_E1_NS1_11comp_targetILNS1_3genE4ELNS1_11target_archE910ELNS1_3gpuE8ELNS1_3repE0EEENS1_36merge_oddeven_config_static_selectorELNS0_4arch9wavefront6targetE1EEEvSH_.uses_flat_scratch, 0
	.set _ZN7rocprim17ROCPRIM_400000_NS6detail17trampoline_kernelINS0_14default_configENS1_38merge_sort_block_merge_config_selectorIdlEEZZNS1_27merge_sort_block_merge_implIS3_PdN6thrust23THRUST_200600_302600_NS10device_ptrIlEEjNS1_19radix_merge_compareILb0ELb0EdNS0_19identity_decomposerEEEEE10hipError_tT0_T1_T2_jT3_P12ihipStream_tbPNSt15iterator_traitsISG_E10value_typeEPNSM_ISH_E10value_typeEPSI_NS1_7vsmem_tEENKUlT_SG_SH_SI_E_clIS7_S7_SB_PlEESF_SV_SG_SH_SI_EUlSV_E1_NS1_11comp_targetILNS1_3genE4ELNS1_11target_archE910ELNS1_3gpuE8ELNS1_3repE0EEENS1_36merge_oddeven_config_static_selectorELNS0_4arch9wavefront6targetE1EEEvSH_.has_dyn_sized_stack, 0
	.set _ZN7rocprim17ROCPRIM_400000_NS6detail17trampoline_kernelINS0_14default_configENS1_38merge_sort_block_merge_config_selectorIdlEEZZNS1_27merge_sort_block_merge_implIS3_PdN6thrust23THRUST_200600_302600_NS10device_ptrIlEEjNS1_19radix_merge_compareILb0ELb0EdNS0_19identity_decomposerEEEEE10hipError_tT0_T1_T2_jT3_P12ihipStream_tbPNSt15iterator_traitsISG_E10value_typeEPNSM_ISH_E10value_typeEPSI_NS1_7vsmem_tEENKUlT_SG_SH_SI_E_clIS7_S7_SB_PlEESF_SV_SG_SH_SI_EUlSV_E1_NS1_11comp_targetILNS1_3genE4ELNS1_11target_archE910ELNS1_3gpuE8ELNS1_3repE0EEENS1_36merge_oddeven_config_static_selectorELNS0_4arch9wavefront6targetE1EEEvSH_.has_recursion, 0
	.set _ZN7rocprim17ROCPRIM_400000_NS6detail17trampoline_kernelINS0_14default_configENS1_38merge_sort_block_merge_config_selectorIdlEEZZNS1_27merge_sort_block_merge_implIS3_PdN6thrust23THRUST_200600_302600_NS10device_ptrIlEEjNS1_19radix_merge_compareILb0ELb0EdNS0_19identity_decomposerEEEEE10hipError_tT0_T1_T2_jT3_P12ihipStream_tbPNSt15iterator_traitsISG_E10value_typeEPNSM_ISH_E10value_typeEPSI_NS1_7vsmem_tEENKUlT_SG_SH_SI_E_clIS7_S7_SB_PlEESF_SV_SG_SH_SI_EUlSV_E1_NS1_11comp_targetILNS1_3genE4ELNS1_11target_archE910ELNS1_3gpuE8ELNS1_3repE0EEENS1_36merge_oddeven_config_static_selectorELNS0_4arch9wavefront6targetE1EEEvSH_.has_indirect_call, 0
	.section	.AMDGPU.csdata,"",@progbits
; Kernel info:
; codeLenInByte = 0
; TotalNumSgprs: 4
; NumVgprs: 0
; ScratchSize: 0
; MemoryBound: 0
; FloatMode: 240
; IeeeMode: 1
; LDSByteSize: 0 bytes/workgroup (compile time only)
; SGPRBlocks: 0
; VGPRBlocks: 0
; NumSGPRsForWavesPerEU: 4
; NumVGPRsForWavesPerEU: 1
; Occupancy: 10
; WaveLimiterHint : 0
; COMPUTE_PGM_RSRC2:SCRATCH_EN: 0
; COMPUTE_PGM_RSRC2:USER_SGPR: 6
; COMPUTE_PGM_RSRC2:TRAP_HANDLER: 0
; COMPUTE_PGM_RSRC2:TGID_X_EN: 1
; COMPUTE_PGM_RSRC2:TGID_Y_EN: 0
; COMPUTE_PGM_RSRC2:TGID_Z_EN: 0
; COMPUTE_PGM_RSRC2:TIDIG_COMP_CNT: 0
	.section	.text._ZN7rocprim17ROCPRIM_400000_NS6detail17trampoline_kernelINS0_14default_configENS1_38merge_sort_block_merge_config_selectorIdlEEZZNS1_27merge_sort_block_merge_implIS3_PdN6thrust23THRUST_200600_302600_NS10device_ptrIlEEjNS1_19radix_merge_compareILb0ELb0EdNS0_19identity_decomposerEEEEE10hipError_tT0_T1_T2_jT3_P12ihipStream_tbPNSt15iterator_traitsISG_E10value_typeEPNSM_ISH_E10value_typeEPSI_NS1_7vsmem_tEENKUlT_SG_SH_SI_E_clIS7_S7_SB_PlEESF_SV_SG_SH_SI_EUlSV_E1_NS1_11comp_targetILNS1_3genE3ELNS1_11target_archE908ELNS1_3gpuE7ELNS1_3repE0EEENS1_36merge_oddeven_config_static_selectorELNS0_4arch9wavefront6targetE1EEEvSH_,"axG",@progbits,_ZN7rocprim17ROCPRIM_400000_NS6detail17trampoline_kernelINS0_14default_configENS1_38merge_sort_block_merge_config_selectorIdlEEZZNS1_27merge_sort_block_merge_implIS3_PdN6thrust23THRUST_200600_302600_NS10device_ptrIlEEjNS1_19radix_merge_compareILb0ELb0EdNS0_19identity_decomposerEEEEE10hipError_tT0_T1_T2_jT3_P12ihipStream_tbPNSt15iterator_traitsISG_E10value_typeEPNSM_ISH_E10value_typeEPSI_NS1_7vsmem_tEENKUlT_SG_SH_SI_E_clIS7_S7_SB_PlEESF_SV_SG_SH_SI_EUlSV_E1_NS1_11comp_targetILNS1_3genE3ELNS1_11target_archE908ELNS1_3gpuE7ELNS1_3repE0EEENS1_36merge_oddeven_config_static_selectorELNS0_4arch9wavefront6targetE1EEEvSH_,comdat
	.protected	_ZN7rocprim17ROCPRIM_400000_NS6detail17trampoline_kernelINS0_14default_configENS1_38merge_sort_block_merge_config_selectorIdlEEZZNS1_27merge_sort_block_merge_implIS3_PdN6thrust23THRUST_200600_302600_NS10device_ptrIlEEjNS1_19radix_merge_compareILb0ELb0EdNS0_19identity_decomposerEEEEE10hipError_tT0_T1_T2_jT3_P12ihipStream_tbPNSt15iterator_traitsISG_E10value_typeEPNSM_ISH_E10value_typeEPSI_NS1_7vsmem_tEENKUlT_SG_SH_SI_E_clIS7_S7_SB_PlEESF_SV_SG_SH_SI_EUlSV_E1_NS1_11comp_targetILNS1_3genE3ELNS1_11target_archE908ELNS1_3gpuE7ELNS1_3repE0EEENS1_36merge_oddeven_config_static_selectorELNS0_4arch9wavefront6targetE1EEEvSH_ ; -- Begin function _ZN7rocprim17ROCPRIM_400000_NS6detail17trampoline_kernelINS0_14default_configENS1_38merge_sort_block_merge_config_selectorIdlEEZZNS1_27merge_sort_block_merge_implIS3_PdN6thrust23THRUST_200600_302600_NS10device_ptrIlEEjNS1_19radix_merge_compareILb0ELb0EdNS0_19identity_decomposerEEEEE10hipError_tT0_T1_T2_jT3_P12ihipStream_tbPNSt15iterator_traitsISG_E10value_typeEPNSM_ISH_E10value_typeEPSI_NS1_7vsmem_tEENKUlT_SG_SH_SI_E_clIS7_S7_SB_PlEESF_SV_SG_SH_SI_EUlSV_E1_NS1_11comp_targetILNS1_3genE3ELNS1_11target_archE908ELNS1_3gpuE7ELNS1_3repE0EEENS1_36merge_oddeven_config_static_selectorELNS0_4arch9wavefront6targetE1EEEvSH_
	.globl	_ZN7rocprim17ROCPRIM_400000_NS6detail17trampoline_kernelINS0_14default_configENS1_38merge_sort_block_merge_config_selectorIdlEEZZNS1_27merge_sort_block_merge_implIS3_PdN6thrust23THRUST_200600_302600_NS10device_ptrIlEEjNS1_19radix_merge_compareILb0ELb0EdNS0_19identity_decomposerEEEEE10hipError_tT0_T1_T2_jT3_P12ihipStream_tbPNSt15iterator_traitsISG_E10value_typeEPNSM_ISH_E10value_typeEPSI_NS1_7vsmem_tEENKUlT_SG_SH_SI_E_clIS7_S7_SB_PlEESF_SV_SG_SH_SI_EUlSV_E1_NS1_11comp_targetILNS1_3genE3ELNS1_11target_archE908ELNS1_3gpuE7ELNS1_3repE0EEENS1_36merge_oddeven_config_static_selectorELNS0_4arch9wavefront6targetE1EEEvSH_
	.p2align	8
	.type	_ZN7rocprim17ROCPRIM_400000_NS6detail17trampoline_kernelINS0_14default_configENS1_38merge_sort_block_merge_config_selectorIdlEEZZNS1_27merge_sort_block_merge_implIS3_PdN6thrust23THRUST_200600_302600_NS10device_ptrIlEEjNS1_19radix_merge_compareILb0ELb0EdNS0_19identity_decomposerEEEEE10hipError_tT0_T1_T2_jT3_P12ihipStream_tbPNSt15iterator_traitsISG_E10value_typeEPNSM_ISH_E10value_typeEPSI_NS1_7vsmem_tEENKUlT_SG_SH_SI_E_clIS7_S7_SB_PlEESF_SV_SG_SH_SI_EUlSV_E1_NS1_11comp_targetILNS1_3genE3ELNS1_11target_archE908ELNS1_3gpuE7ELNS1_3repE0EEENS1_36merge_oddeven_config_static_selectorELNS0_4arch9wavefront6targetE1EEEvSH_,@function
_ZN7rocprim17ROCPRIM_400000_NS6detail17trampoline_kernelINS0_14default_configENS1_38merge_sort_block_merge_config_selectorIdlEEZZNS1_27merge_sort_block_merge_implIS3_PdN6thrust23THRUST_200600_302600_NS10device_ptrIlEEjNS1_19radix_merge_compareILb0ELb0EdNS0_19identity_decomposerEEEEE10hipError_tT0_T1_T2_jT3_P12ihipStream_tbPNSt15iterator_traitsISG_E10value_typeEPNSM_ISH_E10value_typeEPSI_NS1_7vsmem_tEENKUlT_SG_SH_SI_E_clIS7_S7_SB_PlEESF_SV_SG_SH_SI_EUlSV_E1_NS1_11comp_targetILNS1_3genE3ELNS1_11target_archE908ELNS1_3gpuE7ELNS1_3repE0EEENS1_36merge_oddeven_config_static_selectorELNS0_4arch9wavefront6targetE1EEEvSH_: ; @_ZN7rocprim17ROCPRIM_400000_NS6detail17trampoline_kernelINS0_14default_configENS1_38merge_sort_block_merge_config_selectorIdlEEZZNS1_27merge_sort_block_merge_implIS3_PdN6thrust23THRUST_200600_302600_NS10device_ptrIlEEjNS1_19radix_merge_compareILb0ELb0EdNS0_19identity_decomposerEEEEE10hipError_tT0_T1_T2_jT3_P12ihipStream_tbPNSt15iterator_traitsISG_E10value_typeEPNSM_ISH_E10value_typeEPSI_NS1_7vsmem_tEENKUlT_SG_SH_SI_E_clIS7_S7_SB_PlEESF_SV_SG_SH_SI_EUlSV_E1_NS1_11comp_targetILNS1_3genE3ELNS1_11target_archE908ELNS1_3gpuE7ELNS1_3repE0EEENS1_36merge_oddeven_config_static_selectorELNS0_4arch9wavefront6targetE1EEEvSH_
; %bb.0:
	.section	.rodata,"a",@progbits
	.p2align	6, 0x0
	.amdhsa_kernel _ZN7rocprim17ROCPRIM_400000_NS6detail17trampoline_kernelINS0_14default_configENS1_38merge_sort_block_merge_config_selectorIdlEEZZNS1_27merge_sort_block_merge_implIS3_PdN6thrust23THRUST_200600_302600_NS10device_ptrIlEEjNS1_19radix_merge_compareILb0ELb0EdNS0_19identity_decomposerEEEEE10hipError_tT0_T1_T2_jT3_P12ihipStream_tbPNSt15iterator_traitsISG_E10value_typeEPNSM_ISH_E10value_typeEPSI_NS1_7vsmem_tEENKUlT_SG_SH_SI_E_clIS7_S7_SB_PlEESF_SV_SG_SH_SI_EUlSV_E1_NS1_11comp_targetILNS1_3genE3ELNS1_11target_archE908ELNS1_3gpuE7ELNS1_3repE0EEENS1_36merge_oddeven_config_static_selectorELNS0_4arch9wavefront6targetE1EEEvSH_
		.amdhsa_group_segment_fixed_size 0
		.amdhsa_private_segment_fixed_size 0
		.amdhsa_kernarg_size 48
		.amdhsa_user_sgpr_count 6
		.amdhsa_user_sgpr_private_segment_buffer 1
		.amdhsa_user_sgpr_dispatch_ptr 0
		.amdhsa_user_sgpr_queue_ptr 0
		.amdhsa_user_sgpr_kernarg_segment_ptr 1
		.amdhsa_user_sgpr_dispatch_id 0
		.amdhsa_user_sgpr_flat_scratch_init 0
		.amdhsa_user_sgpr_private_segment_size 0
		.amdhsa_uses_dynamic_stack 0
		.amdhsa_system_sgpr_private_segment_wavefront_offset 0
		.amdhsa_system_sgpr_workgroup_id_x 1
		.amdhsa_system_sgpr_workgroup_id_y 0
		.amdhsa_system_sgpr_workgroup_id_z 0
		.amdhsa_system_sgpr_workgroup_info 0
		.amdhsa_system_vgpr_workitem_id 0
		.amdhsa_next_free_vgpr 1
		.amdhsa_next_free_sgpr 0
		.amdhsa_reserve_vcc 0
		.amdhsa_reserve_flat_scratch 0
		.amdhsa_float_round_mode_32 0
		.amdhsa_float_round_mode_16_64 0
		.amdhsa_float_denorm_mode_32 3
		.amdhsa_float_denorm_mode_16_64 3
		.amdhsa_dx10_clamp 1
		.amdhsa_ieee_mode 1
		.amdhsa_fp16_overflow 0
		.amdhsa_exception_fp_ieee_invalid_op 0
		.amdhsa_exception_fp_denorm_src 0
		.amdhsa_exception_fp_ieee_div_zero 0
		.amdhsa_exception_fp_ieee_overflow 0
		.amdhsa_exception_fp_ieee_underflow 0
		.amdhsa_exception_fp_ieee_inexact 0
		.amdhsa_exception_int_div_zero 0
	.end_amdhsa_kernel
	.section	.text._ZN7rocprim17ROCPRIM_400000_NS6detail17trampoline_kernelINS0_14default_configENS1_38merge_sort_block_merge_config_selectorIdlEEZZNS1_27merge_sort_block_merge_implIS3_PdN6thrust23THRUST_200600_302600_NS10device_ptrIlEEjNS1_19radix_merge_compareILb0ELb0EdNS0_19identity_decomposerEEEEE10hipError_tT0_T1_T2_jT3_P12ihipStream_tbPNSt15iterator_traitsISG_E10value_typeEPNSM_ISH_E10value_typeEPSI_NS1_7vsmem_tEENKUlT_SG_SH_SI_E_clIS7_S7_SB_PlEESF_SV_SG_SH_SI_EUlSV_E1_NS1_11comp_targetILNS1_3genE3ELNS1_11target_archE908ELNS1_3gpuE7ELNS1_3repE0EEENS1_36merge_oddeven_config_static_selectorELNS0_4arch9wavefront6targetE1EEEvSH_,"axG",@progbits,_ZN7rocprim17ROCPRIM_400000_NS6detail17trampoline_kernelINS0_14default_configENS1_38merge_sort_block_merge_config_selectorIdlEEZZNS1_27merge_sort_block_merge_implIS3_PdN6thrust23THRUST_200600_302600_NS10device_ptrIlEEjNS1_19radix_merge_compareILb0ELb0EdNS0_19identity_decomposerEEEEE10hipError_tT0_T1_T2_jT3_P12ihipStream_tbPNSt15iterator_traitsISG_E10value_typeEPNSM_ISH_E10value_typeEPSI_NS1_7vsmem_tEENKUlT_SG_SH_SI_E_clIS7_S7_SB_PlEESF_SV_SG_SH_SI_EUlSV_E1_NS1_11comp_targetILNS1_3genE3ELNS1_11target_archE908ELNS1_3gpuE7ELNS1_3repE0EEENS1_36merge_oddeven_config_static_selectorELNS0_4arch9wavefront6targetE1EEEvSH_,comdat
.Lfunc_end1586:
	.size	_ZN7rocprim17ROCPRIM_400000_NS6detail17trampoline_kernelINS0_14default_configENS1_38merge_sort_block_merge_config_selectorIdlEEZZNS1_27merge_sort_block_merge_implIS3_PdN6thrust23THRUST_200600_302600_NS10device_ptrIlEEjNS1_19radix_merge_compareILb0ELb0EdNS0_19identity_decomposerEEEEE10hipError_tT0_T1_T2_jT3_P12ihipStream_tbPNSt15iterator_traitsISG_E10value_typeEPNSM_ISH_E10value_typeEPSI_NS1_7vsmem_tEENKUlT_SG_SH_SI_E_clIS7_S7_SB_PlEESF_SV_SG_SH_SI_EUlSV_E1_NS1_11comp_targetILNS1_3genE3ELNS1_11target_archE908ELNS1_3gpuE7ELNS1_3repE0EEENS1_36merge_oddeven_config_static_selectorELNS0_4arch9wavefront6targetE1EEEvSH_, .Lfunc_end1586-_ZN7rocprim17ROCPRIM_400000_NS6detail17trampoline_kernelINS0_14default_configENS1_38merge_sort_block_merge_config_selectorIdlEEZZNS1_27merge_sort_block_merge_implIS3_PdN6thrust23THRUST_200600_302600_NS10device_ptrIlEEjNS1_19radix_merge_compareILb0ELb0EdNS0_19identity_decomposerEEEEE10hipError_tT0_T1_T2_jT3_P12ihipStream_tbPNSt15iterator_traitsISG_E10value_typeEPNSM_ISH_E10value_typeEPSI_NS1_7vsmem_tEENKUlT_SG_SH_SI_E_clIS7_S7_SB_PlEESF_SV_SG_SH_SI_EUlSV_E1_NS1_11comp_targetILNS1_3genE3ELNS1_11target_archE908ELNS1_3gpuE7ELNS1_3repE0EEENS1_36merge_oddeven_config_static_selectorELNS0_4arch9wavefront6targetE1EEEvSH_
                                        ; -- End function
	.set _ZN7rocprim17ROCPRIM_400000_NS6detail17trampoline_kernelINS0_14default_configENS1_38merge_sort_block_merge_config_selectorIdlEEZZNS1_27merge_sort_block_merge_implIS3_PdN6thrust23THRUST_200600_302600_NS10device_ptrIlEEjNS1_19radix_merge_compareILb0ELb0EdNS0_19identity_decomposerEEEEE10hipError_tT0_T1_T2_jT3_P12ihipStream_tbPNSt15iterator_traitsISG_E10value_typeEPNSM_ISH_E10value_typeEPSI_NS1_7vsmem_tEENKUlT_SG_SH_SI_E_clIS7_S7_SB_PlEESF_SV_SG_SH_SI_EUlSV_E1_NS1_11comp_targetILNS1_3genE3ELNS1_11target_archE908ELNS1_3gpuE7ELNS1_3repE0EEENS1_36merge_oddeven_config_static_selectorELNS0_4arch9wavefront6targetE1EEEvSH_.num_vgpr, 0
	.set _ZN7rocprim17ROCPRIM_400000_NS6detail17trampoline_kernelINS0_14default_configENS1_38merge_sort_block_merge_config_selectorIdlEEZZNS1_27merge_sort_block_merge_implIS3_PdN6thrust23THRUST_200600_302600_NS10device_ptrIlEEjNS1_19radix_merge_compareILb0ELb0EdNS0_19identity_decomposerEEEEE10hipError_tT0_T1_T2_jT3_P12ihipStream_tbPNSt15iterator_traitsISG_E10value_typeEPNSM_ISH_E10value_typeEPSI_NS1_7vsmem_tEENKUlT_SG_SH_SI_E_clIS7_S7_SB_PlEESF_SV_SG_SH_SI_EUlSV_E1_NS1_11comp_targetILNS1_3genE3ELNS1_11target_archE908ELNS1_3gpuE7ELNS1_3repE0EEENS1_36merge_oddeven_config_static_selectorELNS0_4arch9wavefront6targetE1EEEvSH_.num_agpr, 0
	.set _ZN7rocprim17ROCPRIM_400000_NS6detail17trampoline_kernelINS0_14default_configENS1_38merge_sort_block_merge_config_selectorIdlEEZZNS1_27merge_sort_block_merge_implIS3_PdN6thrust23THRUST_200600_302600_NS10device_ptrIlEEjNS1_19radix_merge_compareILb0ELb0EdNS0_19identity_decomposerEEEEE10hipError_tT0_T1_T2_jT3_P12ihipStream_tbPNSt15iterator_traitsISG_E10value_typeEPNSM_ISH_E10value_typeEPSI_NS1_7vsmem_tEENKUlT_SG_SH_SI_E_clIS7_S7_SB_PlEESF_SV_SG_SH_SI_EUlSV_E1_NS1_11comp_targetILNS1_3genE3ELNS1_11target_archE908ELNS1_3gpuE7ELNS1_3repE0EEENS1_36merge_oddeven_config_static_selectorELNS0_4arch9wavefront6targetE1EEEvSH_.numbered_sgpr, 0
	.set _ZN7rocprim17ROCPRIM_400000_NS6detail17trampoline_kernelINS0_14default_configENS1_38merge_sort_block_merge_config_selectorIdlEEZZNS1_27merge_sort_block_merge_implIS3_PdN6thrust23THRUST_200600_302600_NS10device_ptrIlEEjNS1_19radix_merge_compareILb0ELb0EdNS0_19identity_decomposerEEEEE10hipError_tT0_T1_T2_jT3_P12ihipStream_tbPNSt15iterator_traitsISG_E10value_typeEPNSM_ISH_E10value_typeEPSI_NS1_7vsmem_tEENKUlT_SG_SH_SI_E_clIS7_S7_SB_PlEESF_SV_SG_SH_SI_EUlSV_E1_NS1_11comp_targetILNS1_3genE3ELNS1_11target_archE908ELNS1_3gpuE7ELNS1_3repE0EEENS1_36merge_oddeven_config_static_selectorELNS0_4arch9wavefront6targetE1EEEvSH_.num_named_barrier, 0
	.set _ZN7rocprim17ROCPRIM_400000_NS6detail17trampoline_kernelINS0_14default_configENS1_38merge_sort_block_merge_config_selectorIdlEEZZNS1_27merge_sort_block_merge_implIS3_PdN6thrust23THRUST_200600_302600_NS10device_ptrIlEEjNS1_19radix_merge_compareILb0ELb0EdNS0_19identity_decomposerEEEEE10hipError_tT0_T1_T2_jT3_P12ihipStream_tbPNSt15iterator_traitsISG_E10value_typeEPNSM_ISH_E10value_typeEPSI_NS1_7vsmem_tEENKUlT_SG_SH_SI_E_clIS7_S7_SB_PlEESF_SV_SG_SH_SI_EUlSV_E1_NS1_11comp_targetILNS1_3genE3ELNS1_11target_archE908ELNS1_3gpuE7ELNS1_3repE0EEENS1_36merge_oddeven_config_static_selectorELNS0_4arch9wavefront6targetE1EEEvSH_.private_seg_size, 0
	.set _ZN7rocprim17ROCPRIM_400000_NS6detail17trampoline_kernelINS0_14default_configENS1_38merge_sort_block_merge_config_selectorIdlEEZZNS1_27merge_sort_block_merge_implIS3_PdN6thrust23THRUST_200600_302600_NS10device_ptrIlEEjNS1_19radix_merge_compareILb0ELb0EdNS0_19identity_decomposerEEEEE10hipError_tT0_T1_T2_jT3_P12ihipStream_tbPNSt15iterator_traitsISG_E10value_typeEPNSM_ISH_E10value_typeEPSI_NS1_7vsmem_tEENKUlT_SG_SH_SI_E_clIS7_S7_SB_PlEESF_SV_SG_SH_SI_EUlSV_E1_NS1_11comp_targetILNS1_3genE3ELNS1_11target_archE908ELNS1_3gpuE7ELNS1_3repE0EEENS1_36merge_oddeven_config_static_selectorELNS0_4arch9wavefront6targetE1EEEvSH_.uses_vcc, 0
	.set _ZN7rocprim17ROCPRIM_400000_NS6detail17trampoline_kernelINS0_14default_configENS1_38merge_sort_block_merge_config_selectorIdlEEZZNS1_27merge_sort_block_merge_implIS3_PdN6thrust23THRUST_200600_302600_NS10device_ptrIlEEjNS1_19radix_merge_compareILb0ELb0EdNS0_19identity_decomposerEEEEE10hipError_tT0_T1_T2_jT3_P12ihipStream_tbPNSt15iterator_traitsISG_E10value_typeEPNSM_ISH_E10value_typeEPSI_NS1_7vsmem_tEENKUlT_SG_SH_SI_E_clIS7_S7_SB_PlEESF_SV_SG_SH_SI_EUlSV_E1_NS1_11comp_targetILNS1_3genE3ELNS1_11target_archE908ELNS1_3gpuE7ELNS1_3repE0EEENS1_36merge_oddeven_config_static_selectorELNS0_4arch9wavefront6targetE1EEEvSH_.uses_flat_scratch, 0
	.set _ZN7rocprim17ROCPRIM_400000_NS6detail17trampoline_kernelINS0_14default_configENS1_38merge_sort_block_merge_config_selectorIdlEEZZNS1_27merge_sort_block_merge_implIS3_PdN6thrust23THRUST_200600_302600_NS10device_ptrIlEEjNS1_19radix_merge_compareILb0ELb0EdNS0_19identity_decomposerEEEEE10hipError_tT0_T1_T2_jT3_P12ihipStream_tbPNSt15iterator_traitsISG_E10value_typeEPNSM_ISH_E10value_typeEPSI_NS1_7vsmem_tEENKUlT_SG_SH_SI_E_clIS7_S7_SB_PlEESF_SV_SG_SH_SI_EUlSV_E1_NS1_11comp_targetILNS1_3genE3ELNS1_11target_archE908ELNS1_3gpuE7ELNS1_3repE0EEENS1_36merge_oddeven_config_static_selectorELNS0_4arch9wavefront6targetE1EEEvSH_.has_dyn_sized_stack, 0
	.set _ZN7rocprim17ROCPRIM_400000_NS6detail17trampoline_kernelINS0_14default_configENS1_38merge_sort_block_merge_config_selectorIdlEEZZNS1_27merge_sort_block_merge_implIS3_PdN6thrust23THRUST_200600_302600_NS10device_ptrIlEEjNS1_19radix_merge_compareILb0ELb0EdNS0_19identity_decomposerEEEEE10hipError_tT0_T1_T2_jT3_P12ihipStream_tbPNSt15iterator_traitsISG_E10value_typeEPNSM_ISH_E10value_typeEPSI_NS1_7vsmem_tEENKUlT_SG_SH_SI_E_clIS7_S7_SB_PlEESF_SV_SG_SH_SI_EUlSV_E1_NS1_11comp_targetILNS1_3genE3ELNS1_11target_archE908ELNS1_3gpuE7ELNS1_3repE0EEENS1_36merge_oddeven_config_static_selectorELNS0_4arch9wavefront6targetE1EEEvSH_.has_recursion, 0
	.set _ZN7rocprim17ROCPRIM_400000_NS6detail17trampoline_kernelINS0_14default_configENS1_38merge_sort_block_merge_config_selectorIdlEEZZNS1_27merge_sort_block_merge_implIS3_PdN6thrust23THRUST_200600_302600_NS10device_ptrIlEEjNS1_19radix_merge_compareILb0ELb0EdNS0_19identity_decomposerEEEEE10hipError_tT0_T1_T2_jT3_P12ihipStream_tbPNSt15iterator_traitsISG_E10value_typeEPNSM_ISH_E10value_typeEPSI_NS1_7vsmem_tEENKUlT_SG_SH_SI_E_clIS7_S7_SB_PlEESF_SV_SG_SH_SI_EUlSV_E1_NS1_11comp_targetILNS1_3genE3ELNS1_11target_archE908ELNS1_3gpuE7ELNS1_3repE0EEENS1_36merge_oddeven_config_static_selectorELNS0_4arch9wavefront6targetE1EEEvSH_.has_indirect_call, 0
	.section	.AMDGPU.csdata,"",@progbits
; Kernel info:
; codeLenInByte = 0
; TotalNumSgprs: 4
; NumVgprs: 0
; ScratchSize: 0
; MemoryBound: 0
; FloatMode: 240
; IeeeMode: 1
; LDSByteSize: 0 bytes/workgroup (compile time only)
; SGPRBlocks: 0
; VGPRBlocks: 0
; NumSGPRsForWavesPerEU: 4
; NumVGPRsForWavesPerEU: 1
; Occupancy: 10
; WaveLimiterHint : 0
; COMPUTE_PGM_RSRC2:SCRATCH_EN: 0
; COMPUTE_PGM_RSRC2:USER_SGPR: 6
; COMPUTE_PGM_RSRC2:TRAP_HANDLER: 0
; COMPUTE_PGM_RSRC2:TGID_X_EN: 1
; COMPUTE_PGM_RSRC2:TGID_Y_EN: 0
; COMPUTE_PGM_RSRC2:TGID_Z_EN: 0
; COMPUTE_PGM_RSRC2:TIDIG_COMP_CNT: 0
	.section	.text._ZN7rocprim17ROCPRIM_400000_NS6detail17trampoline_kernelINS0_14default_configENS1_38merge_sort_block_merge_config_selectorIdlEEZZNS1_27merge_sort_block_merge_implIS3_PdN6thrust23THRUST_200600_302600_NS10device_ptrIlEEjNS1_19radix_merge_compareILb0ELb0EdNS0_19identity_decomposerEEEEE10hipError_tT0_T1_T2_jT3_P12ihipStream_tbPNSt15iterator_traitsISG_E10value_typeEPNSM_ISH_E10value_typeEPSI_NS1_7vsmem_tEENKUlT_SG_SH_SI_E_clIS7_S7_SB_PlEESF_SV_SG_SH_SI_EUlSV_E1_NS1_11comp_targetILNS1_3genE2ELNS1_11target_archE906ELNS1_3gpuE6ELNS1_3repE0EEENS1_36merge_oddeven_config_static_selectorELNS0_4arch9wavefront6targetE1EEEvSH_,"axG",@progbits,_ZN7rocprim17ROCPRIM_400000_NS6detail17trampoline_kernelINS0_14default_configENS1_38merge_sort_block_merge_config_selectorIdlEEZZNS1_27merge_sort_block_merge_implIS3_PdN6thrust23THRUST_200600_302600_NS10device_ptrIlEEjNS1_19radix_merge_compareILb0ELb0EdNS0_19identity_decomposerEEEEE10hipError_tT0_T1_T2_jT3_P12ihipStream_tbPNSt15iterator_traitsISG_E10value_typeEPNSM_ISH_E10value_typeEPSI_NS1_7vsmem_tEENKUlT_SG_SH_SI_E_clIS7_S7_SB_PlEESF_SV_SG_SH_SI_EUlSV_E1_NS1_11comp_targetILNS1_3genE2ELNS1_11target_archE906ELNS1_3gpuE6ELNS1_3repE0EEENS1_36merge_oddeven_config_static_selectorELNS0_4arch9wavefront6targetE1EEEvSH_,comdat
	.protected	_ZN7rocprim17ROCPRIM_400000_NS6detail17trampoline_kernelINS0_14default_configENS1_38merge_sort_block_merge_config_selectorIdlEEZZNS1_27merge_sort_block_merge_implIS3_PdN6thrust23THRUST_200600_302600_NS10device_ptrIlEEjNS1_19radix_merge_compareILb0ELb0EdNS0_19identity_decomposerEEEEE10hipError_tT0_T1_T2_jT3_P12ihipStream_tbPNSt15iterator_traitsISG_E10value_typeEPNSM_ISH_E10value_typeEPSI_NS1_7vsmem_tEENKUlT_SG_SH_SI_E_clIS7_S7_SB_PlEESF_SV_SG_SH_SI_EUlSV_E1_NS1_11comp_targetILNS1_3genE2ELNS1_11target_archE906ELNS1_3gpuE6ELNS1_3repE0EEENS1_36merge_oddeven_config_static_selectorELNS0_4arch9wavefront6targetE1EEEvSH_ ; -- Begin function _ZN7rocprim17ROCPRIM_400000_NS6detail17trampoline_kernelINS0_14default_configENS1_38merge_sort_block_merge_config_selectorIdlEEZZNS1_27merge_sort_block_merge_implIS3_PdN6thrust23THRUST_200600_302600_NS10device_ptrIlEEjNS1_19radix_merge_compareILb0ELb0EdNS0_19identity_decomposerEEEEE10hipError_tT0_T1_T2_jT3_P12ihipStream_tbPNSt15iterator_traitsISG_E10value_typeEPNSM_ISH_E10value_typeEPSI_NS1_7vsmem_tEENKUlT_SG_SH_SI_E_clIS7_S7_SB_PlEESF_SV_SG_SH_SI_EUlSV_E1_NS1_11comp_targetILNS1_3genE2ELNS1_11target_archE906ELNS1_3gpuE6ELNS1_3repE0EEENS1_36merge_oddeven_config_static_selectorELNS0_4arch9wavefront6targetE1EEEvSH_
	.globl	_ZN7rocprim17ROCPRIM_400000_NS6detail17trampoline_kernelINS0_14default_configENS1_38merge_sort_block_merge_config_selectorIdlEEZZNS1_27merge_sort_block_merge_implIS3_PdN6thrust23THRUST_200600_302600_NS10device_ptrIlEEjNS1_19radix_merge_compareILb0ELb0EdNS0_19identity_decomposerEEEEE10hipError_tT0_T1_T2_jT3_P12ihipStream_tbPNSt15iterator_traitsISG_E10value_typeEPNSM_ISH_E10value_typeEPSI_NS1_7vsmem_tEENKUlT_SG_SH_SI_E_clIS7_S7_SB_PlEESF_SV_SG_SH_SI_EUlSV_E1_NS1_11comp_targetILNS1_3genE2ELNS1_11target_archE906ELNS1_3gpuE6ELNS1_3repE0EEENS1_36merge_oddeven_config_static_selectorELNS0_4arch9wavefront6targetE1EEEvSH_
	.p2align	8
	.type	_ZN7rocprim17ROCPRIM_400000_NS6detail17trampoline_kernelINS0_14default_configENS1_38merge_sort_block_merge_config_selectorIdlEEZZNS1_27merge_sort_block_merge_implIS3_PdN6thrust23THRUST_200600_302600_NS10device_ptrIlEEjNS1_19radix_merge_compareILb0ELb0EdNS0_19identity_decomposerEEEEE10hipError_tT0_T1_T2_jT3_P12ihipStream_tbPNSt15iterator_traitsISG_E10value_typeEPNSM_ISH_E10value_typeEPSI_NS1_7vsmem_tEENKUlT_SG_SH_SI_E_clIS7_S7_SB_PlEESF_SV_SG_SH_SI_EUlSV_E1_NS1_11comp_targetILNS1_3genE2ELNS1_11target_archE906ELNS1_3gpuE6ELNS1_3repE0EEENS1_36merge_oddeven_config_static_selectorELNS0_4arch9wavefront6targetE1EEEvSH_,@function
_ZN7rocprim17ROCPRIM_400000_NS6detail17trampoline_kernelINS0_14default_configENS1_38merge_sort_block_merge_config_selectorIdlEEZZNS1_27merge_sort_block_merge_implIS3_PdN6thrust23THRUST_200600_302600_NS10device_ptrIlEEjNS1_19radix_merge_compareILb0ELb0EdNS0_19identity_decomposerEEEEE10hipError_tT0_T1_T2_jT3_P12ihipStream_tbPNSt15iterator_traitsISG_E10value_typeEPNSM_ISH_E10value_typeEPSI_NS1_7vsmem_tEENKUlT_SG_SH_SI_E_clIS7_S7_SB_PlEESF_SV_SG_SH_SI_EUlSV_E1_NS1_11comp_targetILNS1_3genE2ELNS1_11target_archE906ELNS1_3gpuE6ELNS1_3repE0EEENS1_36merge_oddeven_config_static_selectorELNS0_4arch9wavefront6targetE1EEEvSH_: ; @_ZN7rocprim17ROCPRIM_400000_NS6detail17trampoline_kernelINS0_14default_configENS1_38merge_sort_block_merge_config_selectorIdlEEZZNS1_27merge_sort_block_merge_implIS3_PdN6thrust23THRUST_200600_302600_NS10device_ptrIlEEjNS1_19radix_merge_compareILb0ELb0EdNS0_19identity_decomposerEEEEE10hipError_tT0_T1_T2_jT3_P12ihipStream_tbPNSt15iterator_traitsISG_E10value_typeEPNSM_ISH_E10value_typeEPSI_NS1_7vsmem_tEENKUlT_SG_SH_SI_E_clIS7_S7_SB_PlEESF_SV_SG_SH_SI_EUlSV_E1_NS1_11comp_targetILNS1_3genE2ELNS1_11target_archE906ELNS1_3gpuE6ELNS1_3repE0EEENS1_36merge_oddeven_config_static_selectorELNS0_4arch9wavefront6targetE1EEEvSH_
; %bb.0:
	s_load_dword s7, s[4:5], 0x20
	s_waitcnt lgkmcnt(0)
	s_lshr_b32 s0, s7, 8
	s_cmp_eq_u32 s6, s0
	s_cselect_b64 s[16:17], -1, 0
	s_cmp_lg_u32 s6, s0
	s_cselect_b64 s[0:1], -1, 0
	s_lshl_b32 s18, s6, 8
	s_sub_i32 s2, s7, s18
	v_cmp_gt_u32_e64 s[2:3], s2, v0
	s_or_b64 s[0:1], s[0:1], s[2:3]
	s_and_saveexec_b64 s[8:9], s[0:1]
	s_cbranch_execz .LBB1587_24
; %bb.1:
	s_load_dwordx8 s[8:15], s[4:5], 0x0
	s_mov_b32 s19, 0
	s_lshl_b64 s[0:1], s[18:19], 3
	v_lshlrev_b32_e32 v5, 3, v0
	s_waitcnt lgkmcnt(0)
	s_add_u32 s20, s8, s0
	s_addc_u32 s21, s9, s1
	s_add_u32 s0, s12, s0
	s_addc_u32 s1, s13, s1
	global_load_dwordx2 v[1:2], v5, s[0:1]
	global_load_dwordx2 v[3:4], v5, s[20:21]
	s_load_dword s13, s[4:5], 0x24
	v_add_u32_e32 v5, s18, v0
	s_waitcnt lgkmcnt(0)
	s_lshr_b32 s0, s13, 8
	s_sub_i32 s1, 0, s0
	s_and_b32 s1, s6, s1
	s_and_b32 s0, s1, s0
	s_lshl_b32 s19, s1, 8
	s_sub_i32 s6, 0, s13
	s_cmp_eq_u32 s0, 0
	s_cselect_b64 s[0:1], -1, 0
	s_and_b64 s[4:5], s[0:1], exec
	s_cselect_b32 s6, s13, s6
	s_add_i32 s6, s6, s19
	s_mov_b64 s[4:5], -1
	s_cmp_gt_u32 s7, s6
	s_cbranch_scc1 .LBB1587_9
; %bb.2:
	s_and_b64 vcc, exec, s[16:17]
	s_cbranch_vccz .LBB1587_6
; %bb.3:
	v_cmp_gt_u32_e32 vcc, s7, v5
	s_and_saveexec_b64 s[4:5], vcc
	s_cbranch_execz .LBB1587_5
; %bb.4:
	v_mov_b32_e32 v6, 0
	v_lshlrev_b64 v[6:7], 3, v[5:6]
	v_mov_b32_e32 v0, s11
	v_add_co_u32_e32 v8, vcc, s10, v6
	v_addc_co_u32_e32 v9, vcc, v0, v7, vcc
	v_mov_b32_e32 v0, s15
	v_add_co_u32_e32 v6, vcc, s14, v6
	v_addc_co_u32_e32 v7, vcc, v0, v7, vcc
	s_waitcnt vmcnt(0)
	global_store_dwordx2 v[8:9], v[3:4], off
	global_store_dwordx2 v[6:7], v[1:2], off
.LBB1587_5:
	s_or_b64 exec, exec, s[4:5]
	s_mov_b64 s[4:5], 0
.LBB1587_6:
	s_andn2_b64 vcc, exec, s[4:5]
	s_cbranch_vccnz .LBB1587_8
; %bb.7:
	v_mov_b32_e32 v6, 0
	v_lshlrev_b64 v[6:7], 3, v[5:6]
	v_mov_b32_e32 v0, s11
	v_add_co_u32_e32 v8, vcc, s10, v6
	v_addc_co_u32_e32 v9, vcc, v0, v7, vcc
	v_mov_b32_e32 v0, s15
	v_add_co_u32_e32 v6, vcc, s14, v6
	v_addc_co_u32_e32 v7, vcc, v0, v7, vcc
	s_waitcnt vmcnt(0)
	global_store_dwordx2 v[8:9], v[3:4], off
	global_store_dwordx2 v[6:7], v[1:2], off
.LBB1587_8:
	s_mov_b64 s[4:5], 0
.LBB1587_9:
	s_andn2_b64 vcc, exec, s[4:5]
	s_cbranch_vccnz .LBB1587_24
; %bb.10:
	s_waitcnt vmcnt(0)
	v_add_f64 v[7:8], v[3:4], 0
	s_min_u32 s12, s6, s7
	s_min_u32 s5, s19, s12
	s_add_i32 s19, s19, s12
	v_subrev_u32_e32 v0, s19, v5
	s_add_i32 s4, s12, s13
	s_min_u32 s7, s4, s7
	v_add_u32_e32 v0, s5, v0
	v_ashrrev_i32_e32 v5, 31, v8
	v_or_b32_e32 v6, 0x80000000, v5
	v_xor_b32_e32 v6, v6, v8
	v_xor_b32_e32 v5, v5, v7
	s_mov_b64 s[4:5], -1
	s_and_b64 vcc, exec, s[16:17]
	s_cbranch_vccz .LBB1587_18
; %bb.11:
	s_and_saveexec_b64 s[4:5], s[2:3]
	s_cbranch_execz .LBB1587_17
; %bb.12:
	s_cmp_ge_u32 s6, s7
	v_mov_b32_e32 v9, s12
	s_cbranch_scc1 .LBB1587_16
; %bb.13:
	s_mov_b64 s[2:3], 0
	v_mov_b32_e32 v10, s7
	v_mov_b32_e32 v9, s12
	;; [unrolled: 1-line block ×4, first 2 shown]
.LBB1587_14:                            ; =>This Inner Loop Header: Depth=1
	v_add_u32_e32 v7, v9, v10
	v_lshrrev_b32_e32 v7, 1, v7
	v_lshlrev_b64 v[12:13], 3, v[7:8]
	v_add_u32_e32 v14, 1, v7
	v_add_co_u32_e32 v12, vcc, s8, v12
	v_addc_co_u32_e32 v13, vcc, v11, v13, vcc
	global_load_dwordx2 v[12:13], v[12:13], off
	s_waitcnt vmcnt(0)
	v_add_f64 v[12:13], v[12:13], 0
	v_ashrrev_i32_e32 v15, 31, v13
	v_or_b32_e32 v16, 0x80000000, v15
	v_xor_b32_e32 v12, v15, v12
	v_xor_b32_e32 v13, v16, v13
	v_cmp_gt_u64_e32 vcc, v[5:6], v[12:13]
	v_cndmask_b32_e64 v15, 0, 1, vcc
	v_cmp_le_u64_e32 vcc, v[12:13], v[5:6]
	v_cndmask_b32_e64 v12, 0, 1, vcc
	v_cndmask_b32_e64 v12, v12, v15, s[0:1]
	v_and_b32_e32 v12, 1, v12
	v_cmp_eq_u32_e32 vcc, 1, v12
	v_cndmask_b32_e32 v10, v7, v10, vcc
	v_cndmask_b32_e32 v9, v9, v14, vcc
	v_cmp_ge_u32_e32 vcc, v9, v10
	s_or_b64 s[2:3], vcc, s[2:3]
	s_andn2_b64 exec, exec, s[2:3]
	s_cbranch_execnz .LBB1587_14
; %bb.15:
	s_or_b64 exec, exec, s[2:3]
.LBB1587_16:
	v_add_u32_e32 v7, v9, v0
	v_mov_b32_e32 v8, 0
	v_lshlrev_b64 v[7:8], 3, v[7:8]
	v_mov_b32_e32 v10, s11
	v_add_co_u32_e32 v9, vcc, s10, v7
	v_addc_co_u32_e32 v10, vcc, v10, v8, vcc
	global_store_dwordx2 v[9:10], v[3:4], off
	v_mov_b32_e32 v9, s15
	v_add_co_u32_e32 v7, vcc, s14, v7
	v_addc_co_u32_e32 v8, vcc, v9, v8, vcc
	global_store_dwordx2 v[7:8], v[1:2], off
.LBB1587_17:
	s_or_b64 exec, exec, s[4:5]
	s_mov_b64 s[4:5], 0
.LBB1587_18:
	s_andn2_b64 vcc, exec, s[4:5]
	s_cbranch_vccnz .LBB1587_24
; %bb.19:
	s_cmp_ge_u32 s6, s7
	v_mov_b32_e32 v9, s12
	s_cbranch_scc1 .LBB1587_23
; %bb.20:
	s_mov_b64 s[2:3], 0
	v_mov_b32_e32 v10, s7
	v_mov_b32_e32 v9, s12
	;; [unrolled: 1-line block ×4, first 2 shown]
.LBB1587_21:                            ; =>This Inner Loop Header: Depth=1
	v_add_u32_e32 v7, v9, v10
	v_lshrrev_b32_e32 v7, 1, v7
	v_lshlrev_b64 v[12:13], 3, v[7:8]
	v_add_u32_e32 v14, 1, v7
	v_add_co_u32_e32 v12, vcc, s8, v12
	v_addc_co_u32_e32 v13, vcc, v11, v13, vcc
	global_load_dwordx2 v[12:13], v[12:13], off
	s_waitcnt vmcnt(0)
	v_add_f64 v[12:13], v[12:13], 0
	v_ashrrev_i32_e32 v15, 31, v13
	v_or_b32_e32 v16, 0x80000000, v15
	v_xor_b32_e32 v12, v15, v12
	v_xor_b32_e32 v13, v16, v13
	v_cmp_gt_u64_e32 vcc, v[5:6], v[12:13]
	v_cndmask_b32_e64 v15, 0, 1, vcc
	v_cmp_le_u64_e32 vcc, v[12:13], v[5:6]
	v_cndmask_b32_e64 v12, 0, 1, vcc
	v_cndmask_b32_e64 v12, v12, v15, s[0:1]
	v_and_b32_e32 v12, 1, v12
	v_cmp_eq_u32_e32 vcc, 1, v12
	v_cndmask_b32_e32 v10, v7, v10, vcc
	v_cndmask_b32_e32 v9, v9, v14, vcc
	v_cmp_ge_u32_e32 vcc, v9, v10
	s_or_b64 s[2:3], vcc, s[2:3]
	s_andn2_b64 exec, exec, s[2:3]
	s_cbranch_execnz .LBB1587_21
; %bb.22:
	s_or_b64 exec, exec, s[2:3]
.LBB1587_23:
	v_add_u32_e32 v5, v9, v0
	v_mov_b32_e32 v6, 0
	v_lshlrev_b64 v[5:6], 3, v[5:6]
	v_mov_b32_e32 v0, s11
	v_add_co_u32_e32 v7, vcc, s10, v5
	v_addc_co_u32_e32 v8, vcc, v0, v6, vcc
	global_store_dwordx2 v[7:8], v[3:4], off
	v_mov_b32_e32 v0, s15
	v_add_co_u32_e32 v3, vcc, s14, v5
	v_addc_co_u32_e32 v4, vcc, v0, v6, vcc
	global_store_dwordx2 v[3:4], v[1:2], off
.LBB1587_24:
	s_endpgm
	.section	.rodata,"a",@progbits
	.p2align	6, 0x0
	.amdhsa_kernel _ZN7rocprim17ROCPRIM_400000_NS6detail17trampoline_kernelINS0_14default_configENS1_38merge_sort_block_merge_config_selectorIdlEEZZNS1_27merge_sort_block_merge_implIS3_PdN6thrust23THRUST_200600_302600_NS10device_ptrIlEEjNS1_19radix_merge_compareILb0ELb0EdNS0_19identity_decomposerEEEEE10hipError_tT0_T1_T2_jT3_P12ihipStream_tbPNSt15iterator_traitsISG_E10value_typeEPNSM_ISH_E10value_typeEPSI_NS1_7vsmem_tEENKUlT_SG_SH_SI_E_clIS7_S7_SB_PlEESF_SV_SG_SH_SI_EUlSV_E1_NS1_11comp_targetILNS1_3genE2ELNS1_11target_archE906ELNS1_3gpuE6ELNS1_3repE0EEENS1_36merge_oddeven_config_static_selectorELNS0_4arch9wavefront6targetE1EEEvSH_
		.amdhsa_group_segment_fixed_size 0
		.amdhsa_private_segment_fixed_size 0
		.amdhsa_kernarg_size 48
		.amdhsa_user_sgpr_count 6
		.amdhsa_user_sgpr_private_segment_buffer 1
		.amdhsa_user_sgpr_dispatch_ptr 0
		.amdhsa_user_sgpr_queue_ptr 0
		.amdhsa_user_sgpr_kernarg_segment_ptr 1
		.amdhsa_user_sgpr_dispatch_id 0
		.amdhsa_user_sgpr_flat_scratch_init 0
		.amdhsa_user_sgpr_private_segment_size 0
		.amdhsa_uses_dynamic_stack 0
		.amdhsa_system_sgpr_private_segment_wavefront_offset 0
		.amdhsa_system_sgpr_workgroup_id_x 1
		.amdhsa_system_sgpr_workgroup_id_y 0
		.amdhsa_system_sgpr_workgroup_id_z 0
		.amdhsa_system_sgpr_workgroup_info 0
		.amdhsa_system_vgpr_workitem_id 0
		.amdhsa_next_free_vgpr 17
		.amdhsa_next_free_sgpr 22
		.amdhsa_reserve_vcc 1
		.amdhsa_reserve_flat_scratch 0
		.amdhsa_float_round_mode_32 0
		.amdhsa_float_round_mode_16_64 0
		.amdhsa_float_denorm_mode_32 3
		.amdhsa_float_denorm_mode_16_64 3
		.amdhsa_dx10_clamp 1
		.amdhsa_ieee_mode 1
		.amdhsa_fp16_overflow 0
		.amdhsa_exception_fp_ieee_invalid_op 0
		.amdhsa_exception_fp_denorm_src 0
		.amdhsa_exception_fp_ieee_div_zero 0
		.amdhsa_exception_fp_ieee_overflow 0
		.amdhsa_exception_fp_ieee_underflow 0
		.amdhsa_exception_fp_ieee_inexact 0
		.amdhsa_exception_int_div_zero 0
	.end_amdhsa_kernel
	.section	.text._ZN7rocprim17ROCPRIM_400000_NS6detail17trampoline_kernelINS0_14default_configENS1_38merge_sort_block_merge_config_selectorIdlEEZZNS1_27merge_sort_block_merge_implIS3_PdN6thrust23THRUST_200600_302600_NS10device_ptrIlEEjNS1_19radix_merge_compareILb0ELb0EdNS0_19identity_decomposerEEEEE10hipError_tT0_T1_T2_jT3_P12ihipStream_tbPNSt15iterator_traitsISG_E10value_typeEPNSM_ISH_E10value_typeEPSI_NS1_7vsmem_tEENKUlT_SG_SH_SI_E_clIS7_S7_SB_PlEESF_SV_SG_SH_SI_EUlSV_E1_NS1_11comp_targetILNS1_3genE2ELNS1_11target_archE906ELNS1_3gpuE6ELNS1_3repE0EEENS1_36merge_oddeven_config_static_selectorELNS0_4arch9wavefront6targetE1EEEvSH_,"axG",@progbits,_ZN7rocprim17ROCPRIM_400000_NS6detail17trampoline_kernelINS0_14default_configENS1_38merge_sort_block_merge_config_selectorIdlEEZZNS1_27merge_sort_block_merge_implIS3_PdN6thrust23THRUST_200600_302600_NS10device_ptrIlEEjNS1_19radix_merge_compareILb0ELb0EdNS0_19identity_decomposerEEEEE10hipError_tT0_T1_T2_jT3_P12ihipStream_tbPNSt15iterator_traitsISG_E10value_typeEPNSM_ISH_E10value_typeEPSI_NS1_7vsmem_tEENKUlT_SG_SH_SI_E_clIS7_S7_SB_PlEESF_SV_SG_SH_SI_EUlSV_E1_NS1_11comp_targetILNS1_3genE2ELNS1_11target_archE906ELNS1_3gpuE6ELNS1_3repE0EEENS1_36merge_oddeven_config_static_selectorELNS0_4arch9wavefront6targetE1EEEvSH_,comdat
.Lfunc_end1587:
	.size	_ZN7rocprim17ROCPRIM_400000_NS6detail17trampoline_kernelINS0_14default_configENS1_38merge_sort_block_merge_config_selectorIdlEEZZNS1_27merge_sort_block_merge_implIS3_PdN6thrust23THRUST_200600_302600_NS10device_ptrIlEEjNS1_19radix_merge_compareILb0ELb0EdNS0_19identity_decomposerEEEEE10hipError_tT0_T1_T2_jT3_P12ihipStream_tbPNSt15iterator_traitsISG_E10value_typeEPNSM_ISH_E10value_typeEPSI_NS1_7vsmem_tEENKUlT_SG_SH_SI_E_clIS7_S7_SB_PlEESF_SV_SG_SH_SI_EUlSV_E1_NS1_11comp_targetILNS1_3genE2ELNS1_11target_archE906ELNS1_3gpuE6ELNS1_3repE0EEENS1_36merge_oddeven_config_static_selectorELNS0_4arch9wavefront6targetE1EEEvSH_, .Lfunc_end1587-_ZN7rocprim17ROCPRIM_400000_NS6detail17trampoline_kernelINS0_14default_configENS1_38merge_sort_block_merge_config_selectorIdlEEZZNS1_27merge_sort_block_merge_implIS3_PdN6thrust23THRUST_200600_302600_NS10device_ptrIlEEjNS1_19radix_merge_compareILb0ELb0EdNS0_19identity_decomposerEEEEE10hipError_tT0_T1_T2_jT3_P12ihipStream_tbPNSt15iterator_traitsISG_E10value_typeEPNSM_ISH_E10value_typeEPSI_NS1_7vsmem_tEENKUlT_SG_SH_SI_E_clIS7_S7_SB_PlEESF_SV_SG_SH_SI_EUlSV_E1_NS1_11comp_targetILNS1_3genE2ELNS1_11target_archE906ELNS1_3gpuE6ELNS1_3repE0EEENS1_36merge_oddeven_config_static_selectorELNS0_4arch9wavefront6targetE1EEEvSH_
                                        ; -- End function
	.set _ZN7rocprim17ROCPRIM_400000_NS6detail17trampoline_kernelINS0_14default_configENS1_38merge_sort_block_merge_config_selectorIdlEEZZNS1_27merge_sort_block_merge_implIS3_PdN6thrust23THRUST_200600_302600_NS10device_ptrIlEEjNS1_19radix_merge_compareILb0ELb0EdNS0_19identity_decomposerEEEEE10hipError_tT0_T1_T2_jT3_P12ihipStream_tbPNSt15iterator_traitsISG_E10value_typeEPNSM_ISH_E10value_typeEPSI_NS1_7vsmem_tEENKUlT_SG_SH_SI_E_clIS7_S7_SB_PlEESF_SV_SG_SH_SI_EUlSV_E1_NS1_11comp_targetILNS1_3genE2ELNS1_11target_archE906ELNS1_3gpuE6ELNS1_3repE0EEENS1_36merge_oddeven_config_static_selectorELNS0_4arch9wavefront6targetE1EEEvSH_.num_vgpr, 17
	.set _ZN7rocprim17ROCPRIM_400000_NS6detail17trampoline_kernelINS0_14default_configENS1_38merge_sort_block_merge_config_selectorIdlEEZZNS1_27merge_sort_block_merge_implIS3_PdN6thrust23THRUST_200600_302600_NS10device_ptrIlEEjNS1_19radix_merge_compareILb0ELb0EdNS0_19identity_decomposerEEEEE10hipError_tT0_T1_T2_jT3_P12ihipStream_tbPNSt15iterator_traitsISG_E10value_typeEPNSM_ISH_E10value_typeEPSI_NS1_7vsmem_tEENKUlT_SG_SH_SI_E_clIS7_S7_SB_PlEESF_SV_SG_SH_SI_EUlSV_E1_NS1_11comp_targetILNS1_3genE2ELNS1_11target_archE906ELNS1_3gpuE6ELNS1_3repE0EEENS1_36merge_oddeven_config_static_selectorELNS0_4arch9wavefront6targetE1EEEvSH_.num_agpr, 0
	.set _ZN7rocprim17ROCPRIM_400000_NS6detail17trampoline_kernelINS0_14default_configENS1_38merge_sort_block_merge_config_selectorIdlEEZZNS1_27merge_sort_block_merge_implIS3_PdN6thrust23THRUST_200600_302600_NS10device_ptrIlEEjNS1_19radix_merge_compareILb0ELb0EdNS0_19identity_decomposerEEEEE10hipError_tT0_T1_T2_jT3_P12ihipStream_tbPNSt15iterator_traitsISG_E10value_typeEPNSM_ISH_E10value_typeEPSI_NS1_7vsmem_tEENKUlT_SG_SH_SI_E_clIS7_S7_SB_PlEESF_SV_SG_SH_SI_EUlSV_E1_NS1_11comp_targetILNS1_3genE2ELNS1_11target_archE906ELNS1_3gpuE6ELNS1_3repE0EEENS1_36merge_oddeven_config_static_selectorELNS0_4arch9wavefront6targetE1EEEvSH_.numbered_sgpr, 22
	.set _ZN7rocprim17ROCPRIM_400000_NS6detail17trampoline_kernelINS0_14default_configENS1_38merge_sort_block_merge_config_selectorIdlEEZZNS1_27merge_sort_block_merge_implIS3_PdN6thrust23THRUST_200600_302600_NS10device_ptrIlEEjNS1_19radix_merge_compareILb0ELb0EdNS0_19identity_decomposerEEEEE10hipError_tT0_T1_T2_jT3_P12ihipStream_tbPNSt15iterator_traitsISG_E10value_typeEPNSM_ISH_E10value_typeEPSI_NS1_7vsmem_tEENKUlT_SG_SH_SI_E_clIS7_S7_SB_PlEESF_SV_SG_SH_SI_EUlSV_E1_NS1_11comp_targetILNS1_3genE2ELNS1_11target_archE906ELNS1_3gpuE6ELNS1_3repE0EEENS1_36merge_oddeven_config_static_selectorELNS0_4arch9wavefront6targetE1EEEvSH_.num_named_barrier, 0
	.set _ZN7rocprim17ROCPRIM_400000_NS6detail17trampoline_kernelINS0_14default_configENS1_38merge_sort_block_merge_config_selectorIdlEEZZNS1_27merge_sort_block_merge_implIS3_PdN6thrust23THRUST_200600_302600_NS10device_ptrIlEEjNS1_19radix_merge_compareILb0ELb0EdNS0_19identity_decomposerEEEEE10hipError_tT0_T1_T2_jT3_P12ihipStream_tbPNSt15iterator_traitsISG_E10value_typeEPNSM_ISH_E10value_typeEPSI_NS1_7vsmem_tEENKUlT_SG_SH_SI_E_clIS7_S7_SB_PlEESF_SV_SG_SH_SI_EUlSV_E1_NS1_11comp_targetILNS1_3genE2ELNS1_11target_archE906ELNS1_3gpuE6ELNS1_3repE0EEENS1_36merge_oddeven_config_static_selectorELNS0_4arch9wavefront6targetE1EEEvSH_.private_seg_size, 0
	.set _ZN7rocprim17ROCPRIM_400000_NS6detail17trampoline_kernelINS0_14default_configENS1_38merge_sort_block_merge_config_selectorIdlEEZZNS1_27merge_sort_block_merge_implIS3_PdN6thrust23THRUST_200600_302600_NS10device_ptrIlEEjNS1_19radix_merge_compareILb0ELb0EdNS0_19identity_decomposerEEEEE10hipError_tT0_T1_T2_jT3_P12ihipStream_tbPNSt15iterator_traitsISG_E10value_typeEPNSM_ISH_E10value_typeEPSI_NS1_7vsmem_tEENKUlT_SG_SH_SI_E_clIS7_S7_SB_PlEESF_SV_SG_SH_SI_EUlSV_E1_NS1_11comp_targetILNS1_3genE2ELNS1_11target_archE906ELNS1_3gpuE6ELNS1_3repE0EEENS1_36merge_oddeven_config_static_selectorELNS0_4arch9wavefront6targetE1EEEvSH_.uses_vcc, 1
	.set _ZN7rocprim17ROCPRIM_400000_NS6detail17trampoline_kernelINS0_14default_configENS1_38merge_sort_block_merge_config_selectorIdlEEZZNS1_27merge_sort_block_merge_implIS3_PdN6thrust23THRUST_200600_302600_NS10device_ptrIlEEjNS1_19radix_merge_compareILb0ELb0EdNS0_19identity_decomposerEEEEE10hipError_tT0_T1_T2_jT3_P12ihipStream_tbPNSt15iterator_traitsISG_E10value_typeEPNSM_ISH_E10value_typeEPSI_NS1_7vsmem_tEENKUlT_SG_SH_SI_E_clIS7_S7_SB_PlEESF_SV_SG_SH_SI_EUlSV_E1_NS1_11comp_targetILNS1_3genE2ELNS1_11target_archE906ELNS1_3gpuE6ELNS1_3repE0EEENS1_36merge_oddeven_config_static_selectorELNS0_4arch9wavefront6targetE1EEEvSH_.uses_flat_scratch, 0
	.set _ZN7rocprim17ROCPRIM_400000_NS6detail17trampoline_kernelINS0_14default_configENS1_38merge_sort_block_merge_config_selectorIdlEEZZNS1_27merge_sort_block_merge_implIS3_PdN6thrust23THRUST_200600_302600_NS10device_ptrIlEEjNS1_19radix_merge_compareILb0ELb0EdNS0_19identity_decomposerEEEEE10hipError_tT0_T1_T2_jT3_P12ihipStream_tbPNSt15iterator_traitsISG_E10value_typeEPNSM_ISH_E10value_typeEPSI_NS1_7vsmem_tEENKUlT_SG_SH_SI_E_clIS7_S7_SB_PlEESF_SV_SG_SH_SI_EUlSV_E1_NS1_11comp_targetILNS1_3genE2ELNS1_11target_archE906ELNS1_3gpuE6ELNS1_3repE0EEENS1_36merge_oddeven_config_static_selectorELNS0_4arch9wavefront6targetE1EEEvSH_.has_dyn_sized_stack, 0
	.set _ZN7rocprim17ROCPRIM_400000_NS6detail17trampoline_kernelINS0_14default_configENS1_38merge_sort_block_merge_config_selectorIdlEEZZNS1_27merge_sort_block_merge_implIS3_PdN6thrust23THRUST_200600_302600_NS10device_ptrIlEEjNS1_19radix_merge_compareILb0ELb0EdNS0_19identity_decomposerEEEEE10hipError_tT0_T1_T2_jT3_P12ihipStream_tbPNSt15iterator_traitsISG_E10value_typeEPNSM_ISH_E10value_typeEPSI_NS1_7vsmem_tEENKUlT_SG_SH_SI_E_clIS7_S7_SB_PlEESF_SV_SG_SH_SI_EUlSV_E1_NS1_11comp_targetILNS1_3genE2ELNS1_11target_archE906ELNS1_3gpuE6ELNS1_3repE0EEENS1_36merge_oddeven_config_static_selectorELNS0_4arch9wavefront6targetE1EEEvSH_.has_recursion, 0
	.set _ZN7rocprim17ROCPRIM_400000_NS6detail17trampoline_kernelINS0_14default_configENS1_38merge_sort_block_merge_config_selectorIdlEEZZNS1_27merge_sort_block_merge_implIS3_PdN6thrust23THRUST_200600_302600_NS10device_ptrIlEEjNS1_19radix_merge_compareILb0ELb0EdNS0_19identity_decomposerEEEEE10hipError_tT0_T1_T2_jT3_P12ihipStream_tbPNSt15iterator_traitsISG_E10value_typeEPNSM_ISH_E10value_typeEPSI_NS1_7vsmem_tEENKUlT_SG_SH_SI_E_clIS7_S7_SB_PlEESF_SV_SG_SH_SI_EUlSV_E1_NS1_11comp_targetILNS1_3genE2ELNS1_11target_archE906ELNS1_3gpuE6ELNS1_3repE0EEENS1_36merge_oddeven_config_static_selectorELNS0_4arch9wavefront6targetE1EEEvSH_.has_indirect_call, 0
	.section	.AMDGPU.csdata,"",@progbits
; Kernel info:
; codeLenInByte = 896
; TotalNumSgprs: 26
; NumVgprs: 17
; ScratchSize: 0
; MemoryBound: 0
; FloatMode: 240
; IeeeMode: 1
; LDSByteSize: 0 bytes/workgroup (compile time only)
; SGPRBlocks: 3
; VGPRBlocks: 4
; NumSGPRsForWavesPerEU: 26
; NumVGPRsForWavesPerEU: 17
; Occupancy: 10
; WaveLimiterHint : 0
; COMPUTE_PGM_RSRC2:SCRATCH_EN: 0
; COMPUTE_PGM_RSRC2:USER_SGPR: 6
; COMPUTE_PGM_RSRC2:TRAP_HANDLER: 0
; COMPUTE_PGM_RSRC2:TGID_X_EN: 1
; COMPUTE_PGM_RSRC2:TGID_Y_EN: 0
; COMPUTE_PGM_RSRC2:TGID_Z_EN: 0
; COMPUTE_PGM_RSRC2:TIDIG_COMP_CNT: 0
	.section	.text._ZN7rocprim17ROCPRIM_400000_NS6detail17trampoline_kernelINS0_14default_configENS1_38merge_sort_block_merge_config_selectorIdlEEZZNS1_27merge_sort_block_merge_implIS3_PdN6thrust23THRUST_200600_302600_NS10device_ptrIlEEjNS1_19radix_merge_compareILb0ELb0EdNS0_19identity_decomposerEEEEE10hipError_tT0_T1_T2_jT3_P12ihipStream_tbPNSt15iterator_traitsISG_E10value_typeEPNSM_ISH_E10value_typeEPSI_NS1_7vsmem_tEENKUlT_SG_SH_SI_E_clIS7_S7_SB_PlEESF_SV_SG_SH_SI_EUlSV_E1_NS1_11comp_targetILNS1_3genE9ELNS1_11target_archE1100ELNS1_3gpuE3ELNS1_3repE0EEENS1_36merge_oddeven_config_static_selectorELNS0_4arch9wavefront6targetE1EEEvSH_,"axG",@progbits,_ZN7rocprim17ROCPRIM_400000_NS6detail17trampoline_kernelINS0_14default_configENS1_38merge_sort_block_merge_config_selectorIdlEEZZNS1_27merge_sort_block_merge_implIS3_PdN6thrust23THRUST_200600_302600_NS10device_ptrIlEEjNS1_19radix_merge_compareILb0ELb0EdNS0_19identity_decomposerEEEEE10hipError_tT0_T1_T2_jT3_P12ihipStream_tbPNSt15iterator_traitsISG_E10value_typeEPNSM_ISH_E10value_typeEPSI_NS1_7vsmem_tEENKUlT_SG_SH_SI_E_clIS7_S7_SB_PlEESF_SV_SG_SH_SI_EUlSV_E1_NS1_11comp_targetILNS1_3genE9ELNS1_11target_archE1100ELNS1_3gpuE3ELNS1_3repE0EEENS1_36merge_oddeven_config_static_selectorELNS0_4arch9wavefront6targetE1EEEvSH_,comdat
	.protected	_ZN7rocprim17ROCPRIM_400000_NS6detail17trampoline_kernelINS0_14default_configENS1_38merge_sort_block_merge_config_selectorIdlEEZZNS1_27merge_sort_block_merge_implIS3_PdN6thrust23THRUST_200600_302600_NS10device_ptrIlEEjNS1_19radix_merge_compareILb0ELb0EdNS0_19identity_decomposerEEEEE10hipError_tT0_T1_T2_jT3_P12ihipStream_tbPNSt15iterator_traitsISG_E10value_typeEPNSM_ISH_E10value_typeEPSI_NS1_7vsmem_tEENKUlT_SG_SH_SI_E_clIS7_S7_SB_PlEESF_SV_SG_SH_SI_EUlSV_E1_NS1_11comp_targetILNS1_3genE9ELNS1_11target_archE1100ELNS1_3gpuE3ELNS1_3repE0EEENS1_36merge_oddeven_config_static_selectorELNS0_4arch9wavefront6targetE1EEEvSH_ ; -- Begin function _ZN7rocprim17ROCPRIM_400000_NS6detail17trampoline_kernelINS0_14default_configENS1_38merge_sort_block_merge_config_selectorIdlEEZZNS1_27merge_sort_block_merge_implIS3_PdN6thrust23THRUST_200600_302600_NS10device_ptrIlEEjNS1_19radix_merge_compareILb0ELb0EdNS0_19identity_decomposerEEEEE10hipError_tT0_T1_T2_jT3_P12ihipStream_tbPNSt15iterator_traitsISG_E10value_typeEPNSM_ISH_E10value_typeEPSI_NS1_7vsmem_tEENKUlT_SG_SH_SI_E_clIS7_S7_SB_PlEESF_SV_SG_SH_SI_EUlSV_E1_NS1_11comp_targetILNS1_3genE9ELNS1_11target_archE1100ELNS1_3gpuE3ELNS1_3repE0EEENS1_36merge_oddeven_config_static_selectorELNS0_4arch9wavefront6targetE1EEEvSH_
	.globl	_ZN7rocprim17ROCPRIM_400000_NS6detail17trampoline_kernelINS0_14default_configENS1_38merge_sort_block_merge_config_selectorIdlEEZZNS1_27merge_sort_block_merge_implIS3_PdN6thrust23THRUST_200600_302600_NS10device_ptrIlEEjNS1_19radix_merge_compareILb0ELb0EdNS0_19identity_decomposerEEEEE10hipError_tT0_T1_T2_jT3_P12ihipStream_tbPNSt15iterator_traitsISG_E10value_typeEPNSM_ISH_E10value_typeEPSI_NS1_7vsmem_tEENKUlT_SG_SH_SI_E_clIS7_S7_SB_PlEESF_SV_SG_SH_SI_EUlSV_E1_NS1_11comp_targetILNS1_3genE9ELNS1_11target_archE1100ELNS1_3gpuE3ELNS1_3repE0EEENS1_36merge_oddeven_config_static_selectorELNS0_4arch9wavefront6targetE1EEEvSH_
	.p2align	8
	.type	_ZN7rocprim17ROCPRIM_400000_NS6detail17trampoline_kernelINS0_14default_configENS1_38merge_sort_block_merge_config_selectorIdlEEZZNS1_27merge_sort_block_merge_implIS3_PdN6thrust23THRUST_200600_302600_NS10device_ptrIlEEjNS1_19radix_merge_compareILb0ELb0EdNS0_19identity_decomposerEEEEE10hipError_tT0_T1_T2_jT3_P12ihipStream_tbPNSt15iterator_traitsISG_E10value_typeEPNSM_ISH_E10value_typeEPSI_NS1_7vsmem_tEENKUlT_SG_SH_SI_E_clIS7_S7_SB_PlEESF_SV_SG_SH_SI_EUlSV_E1_NS1_11comp_targetILNS1_3genE9ELNS1_11target_archE1100ELNS1_3gpuE3ELNS1_3repE0EEENS1_36merge_oddeven_config_static_selectorELNS0_4arch9wavefront6targetE1EEEvSH_,@function
_ZN7rocprim17ROCPRIM_400000_NS6detail17trampoline_kernelINS0_14default_configENS1_38merge_sort_block_merge_config_selectorIdlEEZZNS1_27merge_sort_block_merge_implIS3_PdN6thrust23THRUST_200600_302600_NS10device_ptrIlEEjNS1_19radix_merge_compareILb0ELb0EdNS0_19identity_decomposerEEEEE10hipError_tT0_T1_T2_jT3_P12ihipStream_tbPNSt15iterator_traitsISG_E10value_typeEPNSM_ISH_E10value_typeEPSI_NS1_7vsmem_tEENKUlT_SG_SH_SI_E_clIS7_S7_SB_PlEESF_SV_SG_SH_SI_EUlSV_E1_NS1_11comp_targetILNS1_3genE9ELNS1_11target_archE1100ELNS1_3gpuE3ELNS1_3repE0EEENS1_36merge_oddeven_config_static_selectorELNS0_4arch9wavefront6targetE1EEEvSH_: ; @_ZN7rocprim17ROCPRIM_400000_NS6detail17trampoline_kernelINS0_14default_configENS1_38merge_sort_block_merge_config_selectorIdlEEZZNS1_27merge_sort_block_merge_implIS3_PdN6thrust23THRUST_200600_302600_NS10device_ptrIlEEjNS1_19radix_merge_compareILb0ELb0EdNS0_19identity_decomposerEEEEE10hipError_tT0_T1_T2_jT3_P12ihipStream_tbPNSt15iterator_traitsISG_E10value_typeEPNSM_ISH_E10value_typeEPSI_NS1_7vsmem_tEENKUlT_SG_SH_SI_E_clIS7_S7_SB_PlEESF_SV_SG_SH_SI_EUlSV_E1_NS1_11comp_targetILNS1_3genE9ELNS1_11target_archE1100ELNS1_3gpuE3ELNS1_3repE0EEENS1_36merge_oddeven_config_static_selectorELNS0_4arch9wavefront6targetE1EEEvSH_
; %bb.0:
	.section	.rodata,"a",@progbits
	.p2align	6, 0x0
	.amdhsa_kernel _ZN7rocprim17ROCPRIM_400000_NS6detail17trampoline_kernelINS0_14default_configENS1_38merge_sort_block_merge_config_selectorIdlEEZZNS1_27merge_sort_block_merge_implIS3_PdN6thrust23THRUST_200600_302600_NS10device_ptrIlEEjNS1_19radix_merge_compareILb0ELb0EdNS0_19identity_decomposerEEEEE10hipError_tT0_T1_T2_jT3_P12ihipStream_tbPNSt15iterator_traitsISG_E10value_typeEPNSM_ISH_E10value_typeEPSI_NS1_7vsmem_tEENKUlT_SG_SH_SI_E_clIS7_S7_SB_PlEESF_SV_SG_SH_SI_EUlSV_E1_NS1_11comp_targetILNS1_3genE9ELNS1_11target_archE1100ELNS1_3gpuE3ELNS1_3repE0EEENS1_36merge_oddeven_config_static_selectorELNS0_4arch9wavefront6targetE1EEEvSH_
		.amdhsa_group_segment_fixed_size 0
		.amdhsa_private_segment_fixed_size 0
		.amdhsa_kernarg_size 48
		.amdhsa_user_sgpr_count 6
		.amdhsa_user_sgpr_private_segment_buffer 1
		.amdhsa_user_sgpr_dispatch_ptr 0
		.amdhsa_user_sgpr_queue_ptr 0
		.amdhsa_user_sgpr_kernarg_segment_ptr 1
		.amdhsa_user_sgpr_dispatch_id 0
		.amdhsa_user_sgpr_flat_scratch_init 0
		.amdhsa_user_sgpr_private_segment_size 0
		.amdhsa_uses_dynamic_stack 0
		.amdhsa_system_sgpr_private_segment_wavefront_offset 0
		.amdhsa_system_sgpr_workgroup_id_x 1
		.amdhsa_system_sgpr_workgroup_id_y 0
		.amdhsa_system_sgpr_workgroup_id_z 0
		.amdhsa_system_sgpr_workgroup_info 0
		.amdhsa_system_vgpr_workitem_id 0
		.amdhsa_next_free_vgpr 1
		.amdhsa_next_free_sgpr 0
		.amdhsa_reserve_vcc 0
		.amdhsa_reserve_flat_scratch 0
		.amdhsa_float_round_mode_32 0
		.amdhsa_float_round_mode_16_64 0
		.amdhsa_float_denorm_mode_32 3
		.amdhsa_float_denorm_mode_16_64 3
		.amdhsa_dx10_clamp 1
		.amdhsa_ieee_mode 1
		.amdhsa_fp16_overflow 0
		.amdhsa_exception_fp_ieee_invalid_op 0
		.amdhsa_exception_fp_denorm_src 0
		.amdhsa_exception_fp_ieee_div_zero 0
		.amdhsa_exception_fp_ieee_overflow 0
		.amdhsa_exception_fp_ieee_underflow 0
		.amdhsa_exception_fp_ieee_inexact 0
		.amdhsa_exception_int_div_zero 0
	.end_amdhsa_kernel
	.section	.text._ZN7rocprim17ROCPRIM_400000_NS6detail17trampoline_kernelINS0_14default_configENS1_38merge_sort_block_merge_config_selectorIdlEEZZNS1_27merge_sort_block_merge_implIS3_PdN6thrust23THRUST_200600_302600_NS10device_ptrIlEEjNS1_19radix_merge_compareILb0ELb0EdNS0_19identity_decomposerEEEEE10hipError_tT0_T1_T2_jT3_P12ihipStream_tbPNSt15iterator_traitsISG_E10value_typeEPNSM_ISH_E10value_typeEPSI_NS1_7vsmem_tEENKUlT_SG_SH_SI_E_clIS7_S7_SB_PlEESF_SV_SG_SH_SI_EUlSV_E1_NS1_11comp_targetILNS1_3genE9ELNS1_11target_archE1100ELNS1_3gpuE3ELNS1_3repE0EEENS1_36merge_oddeven_config_static_selectorELNS0_4arch9wavefront6targetE1EEEvSH_,"axG",@progbits,_ZN7rocprim17ROCPRIM_400000_NS6detail17trampoline_kernelINS0_14default_configENS1_38merge_sort_block_merge_config_selectorIdlEEZZNS1_27merge_sort_block_merge_implIS3_PdN6thrust23THRUST_200600_302600_NS10device_ptrIlEEjNS1_19radix_merge_compareILb0ELb0EdNS0_19identity_decomposerEEEEE10hipError_tT0_T1_T2_jT3_P12ihipStream_tbPNSt15iterator_traitsISG_E10value_typeEPNSM_ISH_E10value_typeEPSI_NS1_7vsmem_tEENKUlT_SG_SH_SI_E_clIS7_S7_SB_PlEESF_SV_SG_SH_SI_EUlSV_E1_NS1_11comp_targetILNS1_3genE9ELNS1_11target_archE1100ELNS1_3gpuE3ELNS1_3repE0EEENS1_36merge_oddeven_config_static_selectorELNS0_4arch9wavefront6targetE1EEEvSH_,comdat
.Lfunc_end1588:
	.size	_ZN7rocprim17ROCPRIM_400000_NS6detail17trampoline_kernelINS0_14default_configENS1_38merge_sort_block_merge_config_selectorIdlEEZZNS1_27merge_sort_block_merge_implIS3_PdN6thrust23THRUST_200600_302600_NS10device_ptrIlEEjNS1_19radix_merge_compareILb0ELb0EdNS0_19identity_decomposerEEEEE10hipError_tT0_T1_T2_jT3_P12ihipStream_tbPNSt15iterator_traitsISG_E10value_typeEPNSM_ISH_E10value_typeEPSI_NS1_7vsmem_tEENKUlT_SG_SH_SI_E_clIS7_S7_SB_PlEESF_SV_SG_SH_SI_EUlSV_E1_NS1_11comp_targetILNS1_3genE9ELNS1_11target_archE1100ELNS1_3gpuE3ELNS1_3repE0EEENS1_36merge_oddeven_config_static_selectorELNS0_4arch9wavefront6targetE1EEEvSH_, .Lfunc_end1588-_ZN7rocprim17ROCPRIM_400000_NS6detail17trampoline_kernelINS0_14default_configENS1_38merge_sort_block_merge_config_selectorIdlEEZZNS1_27merge_sort_block_merge_implIS3_PdN6thrust23THRUST_200600_302600_NS10device_ptrIlEEjNS1_19radix_merge_compareILb0ELb0EdNS0_19identity_decomposerEEEEE10hipError_tT0_T1_T2_jT3_P12ihipStream_tbPNSt15iterator_traitsISG_E10value_typeEPNSM_ISH_E10value_typeEPSI_NS1_7vsmem_tEENKUlT_SG_SH_SI_E_clIS7_S7_SB_PlEESF_SV_SG_SH_SI_EUlSV_E1_NS1_11comp_targetILNS1_3genE9ELNS1_11target_archE1100ELNS1_3gpuE3ELNS1_3repE0EEENS1_36merge_oddeven_config_static_selectorELNS0_4arch9wavefront6targetE1EEEvSH_
                                        ; -- End function
	.set _ZN7rocprim17ROCPRIM_400000_NS6detail17trampoline_kernelINS0_14default_configENS1_38merge_sort_block_merge_config_selectorIdlEEZZNS1_27merge_sort_block_merge_implIS3_PdN6thrust23THRUST_200600_302600_NS10device_ptrIlEEjNS1_19radix_merge_compareILb0ELb0EdNS0_19identity_decomposerEEEEE10hipError_tT0_T1_T2_jT3_P12ihipStream_tbPNSt15iterator_traitsISG_E10value_typeEPNSM_ISH_E10value_typeEPSI_NS1_7vsmem_tEENKUlT_SG_SH_SI_E_clIS7_S7_SB_PlEESF_SV_SG_SH_SI_EUlSV_E1_NS1_11comp_targetILNS1_3genE9ELNS1_11target_archE1100ELNS1_3gpuE3ELNS1_3repE0EEENS1_36merge_oddeven_config_static_selectorELNS0_4arch9wavefront6targetE1EEEvSH_.num_vgpr, 0
	.set _ZN7rocprim17ROCPRIM_400000_NS6detail17trampoline_kernelINS0_14default_configENS1_38merge_sort_block_merge_config_selectorIdlEEZZNS1_27merge_sort_block_merge_implIS3_PdN6thrust23THRUST_200600_302600_NS10device_ptrIlEEjNS1_19radix_merge_compareILb0ELb0EdNS0_19identity_decomposerEEEEE10hipError_tT0_T1_T2_jT3_P12ihipStream_tbPNSt15iterator_traitsISG_E10value_typeEPNSM_ISH_E10value_typeEPSI_NS1_7vsmem_tEENKUlT_SG_SH_SI_E_clIS7_S7_SB_PlEESF_SV_SG_SH_SI_EUlSV_E1_NS1_11comp_targetILNS1_3genE9ELNS1_11target_archE1100ELNS1_3gpuE3ELNS1_3repE0EEENS1_36merge_oddeven_config_static_selectorELNS0_4arch9wavefront6targetE1EEEvSH_.num_agpr, 0
	.set _ZN7rocprim17ROCPRIM_400000_NS6detail17trampoline_kernelINS0_14default_configENS1_38merge_sort_block_merge_config_selectorIdlEEZZNS1_27merge_sort_block_merge_implIS3_PdN6thrust23THRUST_200600_302600_NS10device_ptrIlEEjNS1_19radix_merge_compareILb0ELb0EdNS0_19identity_decomposerEEEEE10hipError_tT0_T1_T2_jT3_P12ihipStream_tbPNSt15iterator_traitsISG_E10value_typeEPNSM_ISH_E10value_typeEPSI_NS1_7vsmem_tEENKUlT_SG_SH_SI_E_clIS7_S7_SB_PlEESF_SV_SG_SH_SI_EUlSV_E1_NS1_11comp_targetILNS1_3genE9ELNS1_11target_archE1100ELNS1_3gpuE3ELNS1_3repE0EEENS1_36merge_oddeven_config_static_selectorELNS0_4arch9wavefront6targetE1EEEvSH_.numbered_sgpr, 0
	.set _ZN7rocprim17ROCPRIM_400000_NS6detail17trampoline_kernelINS0_14default_configENS1_38merge_sort_block_merge_config_selectorIdlEEZZNS1_27merge_sort_block_merge_implIS3_PdN6thrust23THRUST_200600_302600_NS10device_ptrIlEEjNS1_19radix_merge_compareILb0ELb0EdNS0_19identity_decomposerEEEEE10hipError_tT0_T1_T2_jT3_P12ihipStream_tbPNSt15iterator_traitsISG_E10value_typeEPNSM_ISH_E10value_typeEPSI_NS1_7vsmem_tEENKUlT_SG_SH_SI_E_clIS7_S7_SB_PlEESF_SV_SG_SH_SI_EUlSV_E1_NS1_11comp_targetILNS1_3genE9ELNS1_11target_archE1100ELNS1_3gpuE3ELNS1_3repE0EEENS1_36merge_oddeven_config_static_selectorELNS0_4arch9wavefront6targetE1EEEvSH_.num_named_barrier, 0
	.set _ZN7rocprim17ROCPRIM_400000_NS6detail17trampoline_kernelINS0_14default_configENS1_38merge_sort_block_merge_config_selectorIdlEEZZNS1_27merge_sort_block_merge_implIS3_PdN6thrust23THRUST_200600_302600_NS10device_ptrIlEEjNS1_19radix_merge_compareILb0ELb0EdNS0_19identity_decomposerEEEEE10hipError_tT0_T1_T2_jT3_P12ihipStream_tbPNSt15iterator_traitsISG_E10value_typeEPNSM_ISH_E10value_typeEPSI_NS1_7vsmem_tEENKUlT_SG_SH_SI_E_clIS7_S7_SB_PlEESF_SV_SG_SH_SI_EUlSV_E1_NS1_11comp_targetILNS1_3genE9ELNS1_11target_archE1100ELNS1_3gpuE3ELNS1_3repE0EEENS1_36merge_oddeven_config_static_selectorELNS0_4arch9wavefront6targetE1EEEvSH_.private_seg_size, 0
	.set _ZN7rocprim17ROCPRIM_400000_NS6detail17trampoline_kernelINS0_14default_configENS1_38merge_sort_block_merge_config_selectorIdlEEZZNS1_27merge_sort_block_merge_implIS3_PdN6thrust23THRUST_200600_302600_NS10device_ptrIlEEjNS1_19radix_merge_compareILb0ELb0EdNS0_19identity_decomposerEEEEE10hipError_tT0_T1_T2_jT3_P12ihipStream_tbPNSt15iterator_traitsISG_E10value_typeEPNSM_ISH_E10value_typeEPSI_NS1_7vsmem_tEENKUlT_SG_SH_SI_E_clIS7_S7_SB_PlEESF_SV_SG_SH_SI_EUlSV_E1_NS1_11comp_targetILNS1_3genE9ELNS1_11target_archE1100ELNS1_3gpuE3ELNS1_3repE0EEENS1_36merge_oddeven_config_static_selectorELNS0_4arch9wavefront6targetE1EEEvSH_.uses_vcc, 0
	.set _ZN7rocprim17ROCPRIM_400000_NS6detail17trampoline_kernelINS0_14default_configENS1_38merge_sort_block_merge_config_selectorIdlEEZZNS1_27merge_sort_block_merge_implIS3_PdN6thrust23THRUST_200600_302600_NS10device_ptrIlEEjNS1_19radix_merge_compareILb0ELb0EdNS0_19identity_decomposerEEEEE10hipError_tT0_T1_T2_jT3_P12ihipStream_tbPNSt15iterator_traitsISG_E10value_typeEPNSM_ISH_E10value_typeEPSI_NS1_7vsmem_tEENKUlT_SG_SH_SI_E_clIS7_S7_SB_PlEESF_SV_SG_SH_SI_EUlSV_E1_NS1_11comp_targetILNS1_3genE9ELNS1_11target_archE1100ELNS1_3gpuE3ELNS1_3repE0EEENS1_36merge_oddeven_config_static_selectorELNS0_4arch9wavefront6targetE1EEEvSH_.uses_flat_scratch, 0
	.set _ZN7rocprim17ROCPRIM_400000_NS6detail17trampoline_kernelINS0_14default_configENS1_38merge_sort_block_merge_config_selectorIdlEEZZNS1_27merge_sort_block_merge_implIS3_PdN6thrust23THRUST_200600_302600_NS10device_ptrIlEEjNS1_19radix_merge_compareILb0ELb0EdNS0_19identity_decomposerEEEEE10hipError_tT0_T1_T2_jT3_P12ihipStream_tbPNSt15iterator_traitsISG_E10value_typeEPNSM_ISH_E10value_typeEPSI_NS1_7vsmem_tEENKUlT_SG_SH_SI_E_clIS7_S7_SB_PlEESF_SV_SG_SH_SI_EUlSV_E1_NS1_11comp_targetILNS1_3genE9ELNS1_11target_archE1100ELNS1_3gpuE3ELNS1_3repE0EEENS1_36merge_oddeven_config_static_selectorELNS0_4arch9wavefront6targetE1EEEvSH_.has_dyn_sized_stack, 0
	.set _ZN7rocprim17ROCPRIM_400000_NS6detail17trampoline_kernelINS0_14default_configENS1_38merge_sort_block_merge_config_selectorIdlEEZZNS1_27merge_sort_block_merge_implIS3_PdN6thrust23THRUST_200600_302600_NS10device_ptrIlEEjNS1_19radix_merge_compareILb0ELb0EdNS0_19identity_decomposerEEEEE10hipError_tT0_T1_T2_jT3_P12ihipStream_tbPNSt15iterator_traitsISG_E10value_typeEPNSM_ISH_E10value_typeEPSI_NS1_7vsmem_tEENKUlT_SG_SH_SI_E_clIS7_S7_SB_PlEESF_SV_SG_SH_SI_EUlSV_E1_NS1_11comp_targetILNS1_3genE9ELNS1_11target_archE1100ELNS1_3gpuE3ELNS1_3repE0EEENS1_36merge_oddeven_config_static_selectorELNS0_4arch9wavefront6targetE1EEEvSH_.has_recursion, 0
	.set _ZN7rocprim17ROCPRIM_400000_NS6detail17trampoline_kernelINS0_14default_configENS1_38merge_sort_block_merge_config_selectorIdlEEZZNS1_27merge_sort_block_merge_implIS3_PdN6thrust23THRUST_200600_302600_NS10device_ptrIlEEjNS1_19radix_merge_compareILb0ELb0EdNS0_19identity_decomposerEEEEE10hipError_tT0_T1_T2_jT3_P12ihipStream_tbPNSt15iterator_traitsISG_E10value_typeEPNSM_ISH_E10value_typeEPSI_NS1_7vsmem_tEENKUlT_SG_SH_SI_E_clIS7_S7_SB_PlEESF_SV_SG_SH_SI_EUlSV_E1_NS1_11comp_targetILNS1_3genE9ELNS1_11target_archE1100ELNS1_3gpuE3ELNS1_3repE0EEENS1_36merge_oddeven_config_static_selectorELNS0_4arch9wavefront6targetE1EEEvSH_.has_indirect_call, 0
	.section	.AMDGPU.csdata,"",@progbits
; Kernel info:
; codeLenInByte = 0
; TotalNumSgprs: 4
; NumVgprs: 0
; ScratchSize: 0
; MemoryBound: 0
; FloatMode: 240
; IeeeMode: 1
; LDSByteSize: 0 bytes/workgroup (compile time only)
; SGPRBlocks: 0
; VGPRBlocks: 0
; NumSGPRsForWavesPerEU: 4
; NumVGPRsForWavesPerEU: 1
; Occupancy: 10
; WaveLimiterHint : 0
; COMPUTE_PGM_RSRC2:SCRATCH_EN: 0
; COMPUTE_PGM_RSRC2:USER_SGPR: 6
; COMPUTE_PGM_RSRC2:TRAP_HANDLER: 0
; COMPUTE_PGM_RSRC2:TGID_X_EN: 1
; COMPUTE_PGM_RSRC2:TGID_Y_EN: 0
; COMPUTE_PGM_RSRC2:TGID_Z_EN: 0
; COMPUTE_PGM_RSRC2:TIDIG_COMP_CNT: 0
	.section	.text._ZN7rocprim17ROCPRIM_400000_NS6detail17trampoline_kernelINS0_14default_configENS1_38merge_sort_block_merge_config_selectorIdlEEZZNS1_27merge_sort_block_merge_implIS3_PdN6thrust23THRUST_200600_302600_NS10device_ptrIlEEjNS1_19radix_merge_compareILb0ELb0EdNS0_19identity_decomposerEEEEE10hipError_tT0_T1_T2_jT3_P12ihipStream_tbPNSt15iterator_traitsISG_E10value_typeEPNSM_ISH_E10value_typeEPSI_NS1_7vsmem_tEENKUlT_SG_SH_SI_E_clIS7_S7_SB_PlEESF_SV_SG_SH_SI_EUlSV_E1_NS1_11comp_targetILNS1_3genE8ELNS1_11target_archE1030ELNS1_3gpuE2ELNS1_3repE0EEENS1_36merge_oddeven_config_static_selectorELNS0_4arch9wavefront6targetE1EEEvSH_,"axG",@progbits,_ZN7rocprim17ROCPRIM_400000_NS6detail17trampoline_kernelINS0_14default_configENS1_38merge_sort_block_merge_config_selectorIdlEEZZNS1_27merge_sort_block_merge_implIS3_PdN6thrust23THRUST_200600_302600_NS10device_ptrIlEEjNS1_19radix_merge_compareILb0ELb0EdNS0_19identity_decomposerEEEEE10hipError_tT0_T1_T2_jT3_P12ihipStream_tbPNSt15iterator_traitsISG_E10value_typeEPNSM_ISH_E10value_typeEPSI_NS1_7vsmem_tEENKUlT_SG_SH_SI_E_clIS7_S7_SB_PlEESF_SV_SG_SH_SI_EUlSV_E1_NS1_11comp_targetILNS1_3genE8ELNS1_11target_archE1030ELNS1_3gpuE2ELNS1_3repE0EEENS1_36merge_oddeven_config_static_selectorELNS0_4arch9wavefront6targetE1EEEvSH_,comdat
	.protected	_ZN7rocprim17ROCPRIM_400000_NS6detail17trampoline_kernelINS0_14default_configENS1_38merge_sort_block_merge_config_selectorIdlEEZZNS1_27merge_sort_block_merge_implIS3_PdN6thrust23THRUST_200600_302600_NS10device_ptrIlEEjNS1_19radix_merge_compareILb0ELb0EdNS0_19identity_decomposerEEEEE10hipError_tT0_T1_T2_jT3_P12ihipStream_tbPNSt15iterator_traitsISG_E10value_typeEPNSM_ISH_E10value_typeEPSI_NS1_7vsmem_tEENKUlT_SG_SH_SI_E_clIS7_S7_SB_PlEESF_SV_SG_SH_SI_EUlSV_E1_NS1_11comp_targetILNS1_3genE8ELNS1_11target_archE1030ELNS1_3gpuE2ELNS1_3repE0EEENS1_36merge_oddeven_config_static_selectorELNS0_4arch9wavefront6targetE1EEEvSH_ ; -- Begin function _ZN7rocprim17ROCPRIM_400000_NS6detail17trampoline_kernelINS0_14default_configENS1_38merge_sort_block_merge_config_selectorIdlEEZZNS1_27merge_sort_block_merge_implIS3_PdN6thrust23THRUST_200600_302600_NS10device_ptrIlEEjNS1_19radix_merge_compareILb0ELb0EdNS0_19identity_decomposerEEEEE10hipError_tT0_T1_T2_jT3_P12ihipStream_tbPNSt15iterator_traitsISG_E10value_typeEPNSM_ISH_E10value_typeEPSI_NS1_7vsmem_tEENKUlT_SG_SH_SI_E_clIS7_S7_SB_PlEESF_SV_SG_SH_SI_EUlSV_E1_NS1_11comp_targetILNS1_3genE8ELNS1_11target_archE1030ELNS1_3gpuE2ELNS1_3repE0EEENS1_36merge_oddeven_config_static_selectorELNS0_4arch9wavefront6targetE1EEEvSH_
	.globl	_ZN7rocprim17ROCPRIM_400000_NS6detail17trampoline_kernelINS0_14default_configENS1_38merge_sort_block_merge_config_selectorIdlEEZZNS1_27merge_sort_block_merge_implIS3_PdN6thrust23THRUST_200600_302600_NS10device_ptrIlEEjNS1_19radix_merge_compareILb0ELb0EdNS0_19identity_decomposerEEEEE10hipError_tT0_T1_T2_jT3_P12ihipStream_tbPNSt15iterator_traitsISG_E10value_typeEPNSM_ISH_E10value_typeEPSI_NS1_7vsmem_tEENKUlT_SG_SH_SI_E_clIS7_S7_SB_PlEESF_SV_SG_SH_SI_EUlSV_E1_NS1_11comp_targetILNS1_3genE8ELNS1_11target_archE1030ELNS1_3gpuE2ELNS1_3repE0EEENS1_36merge_oddeven_config_static_selectorELNS0_4arch9wavefront6targetE1EEEvSH_
	.p2align	8
	.type	_ZN7rocprim17ROCPRIM_400000_NS6detail17trampoline_kernelINS0_14default_configENS1_38merge_sort_block_merge_config_selectorIdlEEZZNS1_27merge_sort_block_merge_implIS3_PdN6thrust23THRUST_200600_302600_NS10device_ptrIlEEjNS1_19radix_merge_compareILb0ELb0EdNS0_19identity_decomposerEEEEE10hipError_tT0_T1_T2_jT3_P12ihipStream_tbPNSt15iterator_traitsISG_E10value_typeEPNSM_ISH_E10value_typeEPSI_NS1_7vsmem_tEENKUlT_SG_SH_SI_E_clIS7_S7_SB_PlEESF_SV_SG_SH_SI_EUlSV_E1_NS1_11comp_targetILNS1_3genE8ELNS1_11target_archE1030ELNS1_3gpuE2ELNS1_3repE0EEENS1_36merge_oddeven_config_static_selectorELNS0_4arch9wavefront6targetE1EEEvSH_,@function
_ZN7rocprim17ROCPRIM_400000_NS6detail17trampoline_kernelINS0_14default_configENS1_38merge_sort_block_merge_config_selectorIdlEEZZNS1_27merge_sort_block_merge_implIS3_PdN6thrust23THRUST_200600_302600_NS10device_ptrIlEEjNS1_19radix_merge_compareILb0ELb0EdNS0_19identity_decomposerEEEEE10hipError_tT0_T1_T2_jT3_P12ihipStream_tbPNSt15iterator_traitsISG_E10value_typeEPNSM_ISH_E10value_typeEPSI_NS1_7vsmem_tEENKUlT_SG_SH_SI_E_clIS7_S7_SB_PlEESF_SV_SG_SH_SI_EUlSV_E1_NS1_11comp_targetILNS1_3genE8ELNS1_11target_archE1030ELNS1_3gpuE2ELNS1_3repE0EEENS1_36merge_oddeven_config_static_selectorELNS0_4arch9wavefront6targetE1EEEvSH_: ; @_ZN7rocprim17ROCPRIM_400000_NS6detail17trampoline_kernelINS0_14default_configENS1_38merge_sort_block_merge_config_selectorIdlEEZZNS1_27merge_sort_block_merge_implIS3_PdN6thrust23THRUST_200600_302600_NS10device_ptrIlEEjNS1_19radix_merge_compareILb0ELb0EdNS0_19identity_decomposerEEEEE10hipError_tT0_T1_T2_jT3_P12ihipStream_tbPNSt15iterator_traitsISG_E10value_typeEPNSM_ISH_E10value_typeEPSI_NS1_7vsmem_tEENKUlT_SG_SH_SI_E_clIS7_S7_SB_PlEESF_SV_SG_SH_SI_EUlSV_E1_NS1_11comp_targetILNS1_3genE8ELNS1_11target_archE1030ELNS1_3gpuE2ELNS1_3repE0EEENS1_36merge_oddeven_config_static_selectorELNS0_4arch9wavefront6targetE1EEEvSH_
; %bb.0:
	.section	.rodata,"a",@progbits
	.p2align	6, 0x0
	.amdhsa_kernel _ZN7rocprim17ROCPRIM_400000_NS6detail17trampoline_kernelINS0_14default_configENS1_38merge_sort_block_merge_config_selectorIdlEEZZNS1_27merge_sort_block_merge_implIS3_PdN6thrust23THRUST_200600_302600_NS10device_ptrIlEEjNS1_19radix_merge_compareILb0ELb0EdNS0_19identity_decomposerEEEEE10hipError_tT0_T1_T2_jT3_P12ihipStream_tbPNSt15iterator_traitsISG_E10value_typeEPNSM_ISH_E10value_typeEPSI_NS1_7vsmem_tEENKUlT_SG_SH_SI_E_clIS7_S7_SB_PlEESF_SV_SG_SH_SI_EUlSV_E1_NS1_11comp_targetILNS1_3genE8ELNS1_11target_archE1030ELNS1_3gpuE2ELNS1_3repE0EEENS1_36merge_oddeven_config_static_selectorELNS0_4arch9wavefront6targetE1EEEvSH_
		.amdhsa_group_segment_fixed_size 0
		.amdhsa_private_segment_fixed_size 0
		.amdhsa_kernarg_size 48
		.amdhsa_user_sgpr_count 6
		.amdhsa_user_sgpr_private_segment_buffer 1
		.amdhsa_user_sgpr_dispatch_ptr 0
		.amdhsa_user_sgpr_queue_ptr 0
		.amdhsa_user_sgpr_kernarg_segment_ptr 1
		.amdhsa_user_sgpr_dispatch_id 0
		.amdhsa_user_sgpr_flat_scratch_init 0
		.amdhsa_user_sgpr_private_segment_size 0
		.amdhsa_uses_dynamic_stack 0
		.amdhsa_system_sgpr_private_segment_wavefront_offset 0
		.amdhsa_system_sgpr_workgroup_id_x 1
		.amdhsa_system_sgpr_workgroup_id_y 0
		.amdhsa_system_sgpr_workgroup_id_z 0
		.amdhsa_system_sgpr_workgroup_info 0
		.amdhsa_system_vgpr_workitem_id 0
		.amdhsa_next_free_vgpr 1
		.amdhsa_next_free_sgpr 0
		.amdhsa_reserve_vcc 0
		.amdhsa_reserve_flat_scratch 0
		.amdhsa_float_round_mode_32 0
		.amdhsa_float_round_mode_16_64 0
		.amdhsa_float_denorm_mode_32 3
		.amdhsa_float_denorm_mode_16_64 3
		.amdhsa_dx10_clamp 1
		.amdhsa_ieee_mode 1
		.amdhsa_fp16_overflow 0
		.amdhsa_exception_fp_ieee_invalid_op 0
		.amdhsa_exception_fp_denorm_src 0
		.amdhsa_exception_fp_ieee_div_zero 0
		.amdhsa_exception_fp_ieee_overflow 0
		.amdhsa_exception_fp_ieee_underflow 0
		.amdhsa_exception_fp_ieee_inexact 0
		.amdhsa_exception_int_div_zero 0
	.end_amdhsa_kernel
	.section	.text._ZN7rocprim17ROCPRIM_400000_NS6detail17trampoline_kernelINS0_14default_configENS1_38merge_sort_block_merge_config_selectorIdlEEZZNS1_27merge_sort_block_merge_implIS3_PdN6thrust23THRUST_200600_302600_NS10device_ptrIlEEjNS1_19radix_merge_compareILb0ELb0EdNS0_19identity_decomposerEEEEE10hipError_tT0_T1_T2_jT3_P12ihipStream_tbPNSt15iterator_traitsISG_E10value_typeEPNSM_ISH_E10value_typeEPSI_NS1_7vsmem_tEENKUlT_SG_SH_SI_E_clIS7_S7_SB_PlEESF_SV_SG_SH_SI_EUlSV_E1_NS1_11comp_targetILNS1_3genE8ELNS1_11target_archE1030ELNS1_3gpuE2ELNS1_3repE0EEENS1_36merge_oddeven_config_static_selectorELNS0_4arch9wavefront6targetE1EEEvSH_,"axG",@progbits,_ZN7rocprim17ROCPRIM_400000_NS6detail17trampoline_kernelINS0_14default_configENS1_38merge_sort_block_merge_config_selectorIdlEEZZNS1_27merge_sort_block_merge_implIS3_PdN6thrust23THRUST_200600_302600_NS10device_ptrIlEEjNS1_19radix_merge_compareILb0ELb0EdNS0_19identity_decomposerEEEEE10hipError_tT0_T1_T2_jT3_P12ihipStream_tbPNSt15iterator_traitsISG_E10value_typeEPNSM_ISH_E10value_typeEPSI_NS1_7vsmem_tEENKUlT_SG_SH_SI_E_clIS7_S7_SB_PlEESF_SV_SG_SH_SI_EUlSV_E1_NS1_11comp_targetILNS1_3genE8ELNS1_11target_archE1030ELNS1_3gpuE2ELNS1_3repE0EEENS1_36merge_oddeven_config_static_selectorELNS0_4arch9wavefront6targetE1EEEvSH_,comdat
.Lfunc_end1589:
	.size	_ZN7rocprim17ROCPRIM_400000_NS6detail17trampoline_kernelINS0_14default_configENS1_38merge_sort_block_merge_config_selectorIdlEEZZNS1_27merge_sort_block_merge_implIS3_PdN6thrust23THRUST_200600_302600_NS10device_ptrIlEEjNS1_19radix_merge_compareILb0ELb0EdNS0_19identity_decomposerEEEEE10hipError_tT0_T1_T2_jT3_P12ihipStream_tbPNSt15iterator_traitsISG_E10value_typeEPNSM_ISH_E10value_typeEPSI_NS1_7vsmem_tEENKUlT_SG_SH_SI_E_clIS7_S7_SB_PlEESF_SV_SG_SH_SI_EUlSV_E1_NS1_11comp_targetILNS1_3genE8ELNS1_11target_archE1030ELNS1_3gpuE2ELNS1_3repE0EEENS1_36merge_oddeven_config_static_selectorELNS0_4arch9wavefront6targetE1EEEvSH_, .Lfunc_end1589-_ZN7rocprim17ROCPRIM_400000_NS6detail17trampoline_kernelINS0_14default_configENS1_38merge_sort_block_merge_config_selectorIdlEEZZNS1_27merge_sort_block_merge_implIS3_PdN6thrust23THRUST_200600_302600_NS10device_ptrIlEEjNS1_19radix_merge_compareILb0ELb0EdNS0_19identity_decomposerEEEEE10hipError_tT0_T1_T2_jT3_P12ihipStream_tbPNSt15iterator_traitsISG_E10value_typeEPNSM_ISH_E10value_typeEPSI_NS1_7vsmem_tEENKUlT_SG_SH_SI_E_clIS7_S7_SB_PlEESF_SV_SG_SH_SI_EUlSV_E1_NS1_11comp_targetILNS1_3genE8ELNS1_11target_archE1030ELNS1_3gpuE2ELNS1_3repE0EEENS1_36merge_oddeven_config_static_selectorELNS0_4arch9wavefront6targetE1EEEvSH_
                                        ; -- End function
	.set _ZN7rocprim17ROCPRIM_400000_NS6detail17trampoline_kernelINS0_14default_configENS1_38merge_sort_block_merge_config_selectorIdlEEZZNS1_27merge_sort_block_merge_implIS3_PdN6thrust23THRUST_200600_302600_NS10device_ptrIlEEjNS1_19radix_merge_compareILb0ELb0EdNS0_19identity_decomposerEEEEE10hipError_tT0_T1_T2_jT3_P12ihipStream_tbPNSt15iterator_traitsISG_E10value_typeEPNSM_ISH_E10value_typeEPSI_NS1_7vsmem_tEENKUlT_SG_SH_SI_E_clIS7_S7_SB_PlEESF_SV_SG_SH_SI_EUlSV_E1_NS1_11comp_targetILNS1_3genE8ELNS1_11target_archE1030ELNS1_3gpuE2ELNS1_3repE0EEENS1_36merge_oddeven_config_static_selectorELNS0_4arch9wavefront6targetE1EEEvSH_.num_vgpr, 0
	.set _ZN7rocprim17ROCPRIM_400000_NS6detail17trampoline_kernelINS0_14default_configENS1_38merge_sort_block_merge_config_selectorIdlEEZZNS1_27merge_sort_block_merge_implIS3_PdN6thrust23THRUST_200600_302600_NS10device_ptrIlEEjNS1_19radix_merge_compareILb0ELb0EdNS0_19identity_decomposerEEEEE10hipError_tT0_T1_T2_jT3_P12ihipStream_tbPNSt15iterator_traitsISG_E10value_typeEPNSM_ISH_E10value_typeEPSI_NS1_7vsmem_tEENKUlT_SG_SH_SI_E_clIS7_S7_SB_PlEESF_SV_SG_SH_SI_EUlSV_E1_NS1_11comp_targetILNS1_3genE8ELNS1_11target_archE1030ELNS1_3gpuE2ELNS1_3repE0EEENS1_36merge_oddeven_config_static_selectorELNS0_4arch9wavefront6targetE1EEEvSH_.num_agpr, 0
	.set _ZN7rocprim17ROCPRIM_400000_NS6detail17trampoline_kernelINS0_14default_configENS1_38merge_sort_block_merge_config_selectorIdlEEZZNS1_27merge_sort_block_merge_implIS3_PdN6thrust23THRUST_200600_302600_NS10device_ptrIlEEjNS1_19radix_merge_compareILb0ELb0EdNS0_19identity_decomposerEEEEE10hipError_tT0_T1_T2_jT3_P12ihipStream_tbPNSt15iterator_traitsISG_E10value_typeEPNSM_ISH_E10value_typeEPSI_NS1_7vsmem_tEENKUlT_SG_SH_SI_E_clIS7_S7_SB_PlEESF_SV_SG_SH_SI_EUlSV_E1_NS1_11comp_targetILNS1_3genE8ELNS1_11target_archE1030ELNS1_3gpuE2ELNS1_3repE0EEENS1_36merge_oddeven_config_static_selectorELNS0_4arch9wavefront6targetE1EEEvSH_.numbered_sgpr, 0
	.set _ZN7rocprim17ROCPRIM_400000_NS6detail17trampoline_kernelINS0_14default_configENS1_38merge_sort_block_merge_config_selectorIdlEEZZNS1_27merge_sort_block_merge_implIS3_PdN6thrust23THRUST_200600_302600_NS10device_ptrIlEEjNS1_19radix_merge_compareILb0ELb0EdNS0_19identity_decomposerEEEEE10hipError_tT0_T1_T2_jT3_P12ihipStream_tbPNSt15iterator_traitsISG_E10value_typeEPNSM_ISH_E10value_typeEPSI_NS1_7vsmem_tEENKUlT_SG_SH_SI_E_clIS7_S7_SB_PlEESF_SV_SG_SH_SI_EUlSV_E1_NS1_11comp_targetILNS1_3genE8ELNS1_11target_archE1030ELNS1_3gpuE2ELNS1_3repE0EEENS1_36merge_oddeven_config_static_selectorELNS0_4arch9wavefront6targetE1EEEvSH_.num_named_barrier, 0
	.set _ZN7rocprim17ROCPRIM_400000_NS6detail17trampoline_kernelINS0_14default_configENS1_38merge_sort_block_merge_config_selectorIdlEEZZNS1_27merge_sort_block_merge_implIS3_PdN6thrust23THRUST_200600_302600_NS10device_ptrIlEEjNS1_19radix_merge_compareILb0ELb0EdNS0_19identity_decomposerEEEEE10hipError_tT0_T1_T2_jT3_P12ihipStream_tbPNSt15iterator_traitsISG_E10value_typeEPNSM_ISH_E10value_typeEPSI_NS1_7vsmem_tEENKUlT_SG_SH_SI_E_clIS7_S7_SB_PlEESF_SV_SG_SH_SI_EUlSV_E1_NS1_11comp_targetILNS1_3genE8ELNS1_11target_archE1030ELNS1_3gpuE2ELNS1_3repE0EEENS1_36merge_oddeven_config_static_selectorELNS0_4arch9wavefront6targetE1EEEvSH_.private_seg_size, 0
	.set _ZN7rocprim17ROCPRIM_400000_NS6detail17trampoline_kernelINS0_14default_configENS1_38merge_sort_block_merge_config_selectorIdlEEZZNS1_27merge_sort_block_merge_implIS3_PdN6thrust23THRUST_200600_302600_NS10device_ptrIlEEjNS1_19radix_merge_compareILb0ELb0EdNS0_19identity_decomposerEEEEE10hipError_tT0_T1_T2_jT3_P12ihipStream_tbPNSt15iterator_traitsISG_E10value_typeEPNSM_ISH_E10value_typeEPSI_NS1_7vsmem_tEENKUlT_SG_SH_SI_E_clIS7_S7_SB_PlEESF_SV_SG_SH_SI_EUlSV_E1_NS1_11comp_targetILNS1_3genE8ELNS1_11target_archE1030ELNS1_3gpuE2ELNS1_3repE0EEENS1_36merge_oddeven_config_static_selectorELNS0_4arch9wavefront6targetE1EEEvSH_.uses_vcc, 0
	.set _ZN7rocprim17ROCPRIM_400000_NS6detail17trampoline_kernelINS0_14default_configENS1_38merge_sort_block_merge_config_selectorIdlEEZZNS1_27merge_sort_block_merge_implIS3_PdN6thrust23THRUST_200600_302600_NS10device_ptrIlEEjNS1_19radix_merge_compareILb0ELb0EdNS0_19identity_decomposerEEEEE10hipError_tT0_T1_T2_jT3_P12ihipStream_tbPNSt15iterator_traitsISG_E10value_typeEPNSM_ISH_E10value_typeEPSI_NS1_7vsmem_tEENKUlT_SG_SH_SI_E_clIS7_S7_SB_PlEESF_SV_SG_SH_SI_EUlSV_E1_NS1_11comp_targetILNS1_3genE8ELNS1_11target_archE1030ELNS1_3gpuE2ELNS1_3repE0EEENS1_36merge_oddeven_config_static_selectorELNS0_4arch9wavefront6targetE1EEEvSH_.uses_flat_scratch, 0
	.set _ZN7rocprim17ROCPRIM_400000_NS6detail17trampoline_kernelINS0_14default_configENS1_38merge_sort_block_merge_config_selectorIdlEEZZNS1_27merge_sort_block_merge_implIS3_PdN6thrust23THRUST_200600_302600_NS10device_ptrIlEEjNS1_19radix_merge_compareILb0ELb0EdNS0_19identity_decomposerEEEEE10hipError_tT0_T1_T2_jT3_P12ihipStream_tbPNSt15iterator_traitsISG_E10value_typeEPNSM_ISH_E10value_typeEPSI_NS1_7vsmem_tEENKUlT_SG_SH_SI_E_clIS7_S7_SB_PlEESF_SV_SG_SH_SI_EUlSV_E1_NS1_11comp_targetILNS1_3genE8ELNS1_11target_archE1030ELNS1_3gpuE2ELNS1_3repE0EEENS1_36merge_oddeven_config_static_selectorELNS0_4arch9wavefront6targetE1EEEvSH_.has_dyn_sized_stack, 0
	.set _ZN7rocprim17ROCPRIM_400000_NS6detail17trampoline_kernelINS0_14default_configENS1_38merge_sort_block_merge_config_selectorIdlEEZZNS1_27merge_sort_block_merge_implIS3_PdN6thrust23THRUST_200600_302600_NS10device_ptrIlEEjNS1_19radix_merge_compareILb0ELb0EdNS0_19identity_decomposerEEEEE10hipError_tT0_T1_T2_jT3_P12ihipStream_tbPNSt15iterator_traitsISG_E10value_typeEPNSM_ISH_E10value_typeEPSI_NS1_7vsmem_tEENKUlT_SG_SH_SI_E_clIS7_S7_SB_PlEESF_SV_SG_SH_SI_EUlSV_E1_NS1_11comp_targetILNS1_3genE8ELNS1_11target_archE1030ELNS1_3gpuE2ELNS1_3repE0EEENS1_36merge_oddeven_config_static_selectorELNS0_4arch9wavefront6targetE1EEEvSH_.has_recursion, 0
	.set _ZN7rocprim17ROCPRIM_400000_NS6detail17trampoline_kernelINS0_14default_configENS1_38merge_sort_block_merge_config_selectorIdlEEZZNS1_27merge_sort_block_merge_implIS3_PdN6thrust23THRUST_200600_302600_NS10device_ptrIlEEjNS1_19radix_merge_compareILb0ELb0EdNS0_19identity_decomposerEEEEE10hipError_tT0_T1_T2_jT3_P12ihipStream_tbPNSt15iterator_traitsISG_E10value_typeEPNSM_ISH_E10value_typeEPSI_NS1_7vsmem_tEENKUlT_SG_SH_SI_E_clIS7_S7_SB_PlEESF_SV_SG_SH_SI_EUlSV_E1_NS1_11comp_targetILNS1_3genE8ELNS1_11target_archE1030ELNS1_3gpuE2ELNS1_3repE0EEENS1_36merge_oddeven_config_static_selectorELNS0_4arch9wavefront6targetE1EEEvSH_.has_indirect_call, 0
	.section	.AMDGPU.csdata,"",@progbits
; Kernel info:
; codeLenInByte = 0
; TotalNumSgprs: 4
; NumVgprs: 0
; ScratchSize: 0
; MemoryBound: 0
; FloatMode: 240
; IeeeMode: 1
; LDSByteSize: 0 bytes/workgroup (compile time only)
; SGPRBlocks: 0
; VGPRBlocks: 0
; NumSGPRsForWavesPerEU: 4
; NumVGPRsForWavesPerEU: 1
; Occupancy: 10
; WaveLimiterHint : 0
; COMPUTE_PGM_RSRC2:SCRATCH_EN: 0
; COMPUTE_PGM_RSRC2:USER_SGPR: 6
; COMPUTE_PGM_RSRC2:TRAP_HANDLER: 0
; COMPUTE_PGM_RSRC2:TGID_X_EN: 1
; COMPUTE_PGM_RSRC2:TGID_Y_EN: 0
; COMPUTE_PGM_RSRC2:TGID_Z_EN: 0
; COMPUTE_PGM_RSRC2:TIDIG_COMP_CNT: 0
	.section	.text._ZN7rocprim17ROCPRIM_400000_NS6detail17trampoline_kernelINS0_14default_configENS1_25transform_config_selectorIdLb1EEEZNS1_14transform_implILb1ES3_S5_PdS7_NS0_8identityIdEEEE10hipError_tT2_T3_mT4_P12ihipStream_tbEUlT_E_NS1_11comp_targetILNS1_3genE0ELNS1_11target_archE4294967295ELNS1_3gpuE0ELNS1_3repE0EEENS1_30default_config_static_selectorELNS0_4arch9wavefront6targetE1EEEvT1_,"axG",@progbits,_ZN7rocprim17ROCPRIM_400000_NS6detail17trampoline_kernelINS0_14default_configENS1_25transform_config_selectorIdLb1EEEZNS1_14transform_implILb1ES3_S5_PdS7_NS0_8identityIdEEEE10hipError_tT2_T3_mT4_P12ihipStream_tbEUlT_E_NS1_11comp_targetILNS1_3genE0ELNS1_11target_archE4294967295ELNS1_3gpuE0ELNS1_3repE0EEENS1_30default_config_static_selectorELNS0_4arch9wavefront6targetE1EEEvT1_,comdat
	.protected	_ZN7rocprim17ROCPRIM_400000_NS6detail17trampoline_kernelINS0_14default_configENS1_25transform_config_selectorIdLb1EEEZNS1_14transform_implILb1ES3_S5_PdS7_NS0_8identityIdEEEE10hipError_tT2_T3_mT4_P12ihipStream_tbEUlT_E_NS1_11comp_targetILNS1_3genE0ELNS1_11target_archE4294967295ELNS1_3gpuE0ELNS1_3repE0EEENS1_30default_config_static_selectorELNS0_4arch9wavefront6targetE1EEEvT1_ ; -- Begin function _ZN7rocprim17ROCPRIM_400000_NS6detail17trampoline_kernelINS0_14default_configENS1_25transform_config_selectorIdLb1EEEZNS1_14transform_implILb1ES3_S5_PdS7_NS0_8identityIdEEEE10hipError_tT2_T3_mT4_P12ihipStream_tbEUlT_E_NS1_11comp_targetILNS1_3genE0ELNS1_11target_archE4294967295ELNS1_3gpuE0ELNS1_3repE0EEENS1_30default_config_static_selectorELNS0_4arch9wavefront6targetE1EEEvT1_
	.globl	_ZN7rocprim17ROCPRIM_400000_NS6detail17trampoline_kernelINS0_14default_configENS1_25transform_config_selectorIdLb1EEEZNS1_14transform_implILb1ES3_S5_PdS7_NS0_8identityIdEEEE10hipError_tT2_T3_mT4_P12ihipStream_tbEUlT_E_NS1_11comp_targetILNS1_3genE0ELNS1_11target_archE4294967295ELNS1_3gpuE0ELNS1_3repE0EEENS1_30default_config_static_selectorELNS0_4arch9wavefront6targetE1EEEvT1_
	.p2align	8
	.type	_ZN7rocprim17ROCPRIM_400000_NS6detail17trampoline_kernelINS0_14default_configENS1_25transform_config_selectorIdLb1EEEZNS1_14transform_implILb1ES3_S5_PdS7_NS0_8identityIdEEEE10hipError_tT2_T3_mT4_P12ihipStream_tbEUlT_E_NS1_11comp_targetILNS1_3genE0ELNS1_11target_archE4294967295ELNS1_3gpuE0ELNS1_3repE0EEENS1_30default_config_static_selectorELNS0_4arch9wavefront6targetE1EEEvT1_,@function
_ZN7rocprim17ROCPRIM_400000_NS6detail17trampoline_kernelINS0_14default_configENS1_25transform_config_selectorIdLb1EEEZNS1_14transform_implILb1ES3_S5_PdS7_NS0_8identityIdEEEE10hipError_tT2_T3_mT4_P12ihipStream_tbEUlT_E_NS1_11comp_targetILNS1_3genE0ELNS1_11target_archE4294967295ELNS1_3gpuE0ELNS1_3repE0EEENS1_30default_config_static_selectorELNS0_4arch9wavefront6targetE1EEEvT1_: ; @_ZN7rocprim17ROCPRIM_400000_NS6detail17trampoline_kernelINS0_14default_configENS1_25transform_config_selectorIdLb1EEEZNS1_14transform_implILb1ES3_S5_PdS7_NS0_8identityIdEEEE10hipError_tT2_T3_mT4_P12ihipStream_tbEUlT_E_NS1_11comp_targetILNS1_3genE0ELNS1_11target_archE4294967295ELNS1_3gpuE0ELNS1_3repE0EEENS1_30default_config_static_selectorELNS0_4arch9wavefront6targetE1EEEvT1_
; %bb.0:
	.section	.rodata,"a",@progbits
	.p2align	6, 0x0
	.amdhsa_kernel _ZN7rocprim17ROCPRIM_400000_NS6detail17trampoline_kernelINS0_14default_configENS1_25transform_config_selectorIdLb1EEEZNS1_14transform_implILb1ES3_S5_PdS7_NS0_8identityIdEEEE10hipError_tT2_T3_mT4_P12ihipStream_tbEUlT_E_NS1_11comp_targetILNS1_3genE0ELNS1_11target_archE4294967295ELNS1_3gpuE0ELNS1_3repE0EEENS1_30default_config_static_selectorELNS0_4arch9wavefront6targetE1EEEvT1_
		.amdhsa_group_segment_fixed_size 0
		.amdhsa_private_segment_fixed_size 0
		.amdhsa_kernarg_size 40
		.amdhsa_user_sgpr_count 6
		.amdhsa_user_sgpr_private_segment_buffer 1
		.amdhsa_user_sgpr_dispatch_ptr 0
		.amdhsa_user_sgpr_queue_ptr 0
		.amdhsa_user_sgpr_kernarg_segment_ptr 1
		.amdhsa_user_sgpr_dispatch_id 0
		.amdhsa_user_sgpr_flat_scratch_init 0
		.amdhsa_user_sgpr_private_segment_size 0
		.amdhsa_uses_dynamic_stack 0
		.amdhsa_system_sgpr_private_segment_wavefront_offset 0
		.amdhsa_system_sgpr_workgroup_id_x 1
		.amdhsa_system_sgpr_workgroup_id_y 0
		.amdhsa_system_sgpr_workgroup_id_z 0
		.amdhsa_system_sgpr_workgroup_info 0
		.amdhsa_system_vgpr_workitem_id 0
		.amdhsa_next_free_vgpr 1
		.amdhsa_next_free_sgpr 0
		.amdhsa_reserve_vcc 0
		.amdhsa_reserve_flat_scratch 0
		.amdhsa_float_round_mode_32 0
		.amdhsa_float_round_mode_16_64 0
		.amdhsa_float_denorm_mode_32 3
		.amdhsa_float_denorm_mode_16_64 3
		.amdhsa_dx10_clamp 1
		.amdhsa_ieee_mode 1
		.amdhsa_fp16_overflow 0
		.amdhsa_exception_fp_ieee_invalid_op 0
		.amdhsa_exception_fp_denorm_src 0
		.amdhsa_exception_fp_ieee_div_zero 0
		.amdhsa_exception_fp_ieee_overflow 0
		.amdhsa_exception_fp_ieee_underflow 0
		.amdhsa_exception_fp_ieee_inexact 0
		.amdhsa_exception_int_div_zero 0
	.end_amdhsa_kernel
	.section	.text._ZN7rocprim17ROCPRIM_400000_NS6detail17trampoline_kernelINS0_14default_configENS1_25transform_config_selectorIdLb1EEEZNS1_14transform_implILb1ES3_S5_PdS7_NS0_8identityIdEEEE10hipError_tT2_T3_mT4_P12ihipStream_tbEUlT_E_NS1_11comp_targetILNS1_3genE0ELNS1_11target_archE4294967295ELNS1_3gpuE0ELNS1_3repE0EEENS1_30default_config_static_selectorELNS0_4arch9wavefront6targetE1EEEvT1_,"axG",@progbits,_ZN7rocprim17ROCPRIM_400000_NS6detail17trampoline_kernelINS0_14default_configENS1_25transform_config_selectorIdLb1EEEZNS1_14transform_implILb1ES3_S5_PdS7_NS0_8identityIdEEEE10hipError_tT2_T3_mT4_P12ihipStream_tbEUlT_E_NS1_11comp_targetILNS1_3genE0ELNS1_11target_archE4294967295ELNS1_3gpuE0ELNS1_3repE0EEENS1_30default_config_static_selectorELNS0_4arch9wavefront6targetE1EEEvT1_,comdat
.Lfunc_end1590:
	.size	_ZN7rocprim17ROCPRIM_400000_NS6detail17trampoline_kernelINS0_14default_configENS1_25transform_config_selectorIdLb1EEEZNS1_14transform_implILb1ES3_S5_PdS7_NS0_8identityIdEEEE10hipError_tT2_T3_mT4_P12ihipStream_tbEUlT_E_NS1_11comp_targetILNS1_3genE0ELNS1_11target_archE4294967295ELNS1_3gpuE0ELNS1_3repE0EEENS1_30default_config_static_selectorELNS0_4arch9wavefront6targetE1EEEvT1_, .Lfunc_end1590-_ZN7rocprim17ROCPRIM_400000_NS6detail17trampoline_kernelINS0_14default_configENS1_25transform_config_selectorIdLb1EEEZNS1_14transform_implILb1ES3_S5_PdS7_NS0_8identityIdEEEE10hipError_tT2_T3_mT4_P12ihipStream_tbEUlT_E_NS1_11comp_targetILNS1_3genE0ELNS1_11target_archE4294967295ELNS1_3gpuE0ELNS1_3repE0EEENS1_30default_config_static_selectorELNS0_4arch9wavefront6targetE1EEEvT1_
                                        ; -- End function
	.set _ZN7rocprim17ROCPRIM_400000_NS6detail17trampoline_kernelINS0_14default_configENS1_25transform_config_selectorIdLb1EEEZNS1_14transform_implILb1ES3_S5_PdS7_NS0_8identityIdEEEE10hipError_tT2_T3_mT4_P12ihipStream_tbEUlT_E_NS1_11comp_targetILNS1_3genE0ELNS1_11target_archE4294967295ELNS1_3gpuE0ELNS1_3repE0EEENS1_30default_config_static_selectorELNS0_4arch9wavefront6targetE1EEEvT1_.num_vgpr, 0
	.set _ZN7rocprim17ROCPRIM_400000_NS6detail17trampoline_kernelINS0_14default_configENS1_25transform_config_selectorIdLb1EEEZNS1_14transform_implILb1ES3_S5_PdS7_NS0_8identityIdEEEE10hipError_tT2_T3_mT4_P12ihipStream_tbEUlT_E_NS1_11comp_targetILNS1_3genE0ELNS1_11target_archE4294967295ELNS1_3gpuE0ELNS1_3repE0EEENS1_30default_config_static_selectorELNS0_4arch9wavefront6targetE1EEEvT1_.num_agpr, 0
	.set _ZN7rocprim17ROCPRIM_400000_NS6detail17trampoline_kernelINS0_14default_configENS1_25transform_config_selectorIdLb1EEEZNS1_14transform_implILb1ES3_S5_PdS7_NS0_8identityIdEEEE10hipError_tT2_T3_mT4_P12ihipStream_tbEUlT_E_NS1_11comp_targetILNS1_3genE0ELNS1_11target_archE4294967295ELNS1_3gpuE0ELNS1_3repE0EEENS1_30default_config_static_selectorELNS0_4arch9wavefront6targetE1EEEvT1_.numbered_sgpr, 0
	.set _ZN7rocprim17ROCPRIM_400000_NS6detail17trampoline_kernelINS0_14default_configENS1_25transform_config_selectorIdLb1EEEZNS1_14transform_implILb1ES3_S5_PdS7_NS0_8identityIdEEEE10hipError_tT2_T3_mT4_P12ihipStream_tbEUlT_E_NS1_11comp_targetILNS1_3genE0ELNS1_11target_archE4294967295ELNS1_3gpuE0ELNS1_3repE0EEENS1_30default_config_static_selectorELNS0_4arch9wavefront6targetE1EEEvT1_.num_named_barrier, 0
	.set _ZN7rocprim17ROCPRIM_400000_NS6detail17trampoline_kernelINS0_14default_configENS1_25transform_config_selectorIdLb1EEEZNS1_14transform_implILb1ES3_S5_PdS7_NS0_8identityIdEEEE10hipError_tT2_T3_mT4_P12ihipStream_tbEUlT_E_NS1_11comp_targetILNS1_3genE0ELNS1_11target_archE4294967295ELNS1_3gpuE0ELNS1_3repE0EEENS1_30default_config_static_selectorELNS0_4arch9wavefront6targetE1EEEvT1_.private_seg_size, 0
	.set _ZN7rocprim17ROCPRIM_400000_NS6detail17trampoline_kernelINS0_14default_configENS1_25transform_config_selectorIdLb1EEEZNS1_14transform_implILb1ES3_S5_PdS7_NS0_8identityIdEEEE10hipError_tT2_T3_mT4_P12ihipStream_tbEUlT_E_NS1_11comp_targetILNS1_3genE0ELNS1_11target_archE4294967295ELNS1_3gpuE0ELNS1_3repE0EEENS1_30default_config_static_selectorELNS0_4arch9wavefront6targetE1EEEvT1_.uses_vcc, 0
	.set _ZN7rocprim17ROCPRIM_400000_NS6detail17trampoline_kernelINS0_14default_configENS1_25transform_config_selectorIdLb1EEEZNS1_14transform_implILb1ES3_S5_PdS7_NS0_8identityIdEEEE10hipError_tT2_T3_mT4_P12ihipStream_tbEUlT_E_NS1_11comp_targetILNS1_3genE0ELNS1_11target_archE4294967295ELNS1_3gpuE0ELNS1_3repE0EEENS1_30default_config_static_selectorELNS0_4arch9wavefront6targetE1EEEvT1_.uses_flat_scratch, 0
	.set _ZN7rocprim17ROCPRIM_400000_NS6detail17trampoline_kernelINS0_14default_configENS1_25transform_config_selectorIdLb1EEEZNS1_14transform_implILb1ES3_S5_PdS7_NS0_8identityIdEEEE10hipError_tT2_T3_mT4_P12ihipStream_tbEUlT_E_NS1_11comp_targetILNS1_3genE0ELNS1_11target_archE4294967295ELNS1_3gpuE0ELNS1_3repE0EEENS1_30default_config_static_selectorELNS0_4arch9wavefront6targetE1EEEvT1_.has_dyn_sized_stack, 0
	.set _ZN7rocprim17ROCPRIM_400000_NS6detail17trampoline_kernelINS0_14default_configENS1_25transform_config_selectorIdLb1EEEZNS1_14transform_implILb1ES3_S5_PdS7_NS0_8identityIdEEEE10hipError_tT2_T3_mT4_P12ihipStream_tbEUlT_E_NS1_11comp_targetILNS1_3genE0ELNS1_11target_archE4294967295ELNS1_3gpuE0ELNS1_3repE0EEENS1_30default_config_static_selectorELNS0_4arch9wavefront6targetE1EEEvT1_.has_recursion, 0
	.set _ZN7rocprim17ROCPRIM_400000_NS6detail17trampoline_kernelINS0_14default_configENS1_25transform_config_selectorIdLb1EEEZNS1_14transform_implILb1ES3_S5_PdS7_NS0_8identityIdEEEE10hipError_tT2_T3_mT4_P12ihipStream_tbEUlT_E_NS1_11comp_targetILNS1_3genE0ELNS1_11target_archE4294967295ELNS1_3gpuE0ELNS1_3repE0EEENS1_30default_config_static_selectorELNS0_4arch9wavefront6targetE1EEEvT1_.has_indirect_call, 0
	.section	.AMDGPU.csdata,"",@progbits
; Kernel info:
; codeLenInByte = 0
; TotalNumSgprs: 4
; NumVgprs: 0
; ScratchSize: 0
; MemoryBound: 0
; FloatMode: 240
; IeeeMode: 1
; LDSByteSize: 0 bytes/workgroup (compile time only)
; SGPRBlocks: 0
; VGPRBlocks: 0
; NumSGPRsForWavesPerEU: 4
; NumVGPRsForWavesPerEU: 1
; Occupancy: 10
; WaveLimiterHint : 0
; COMPUTE_PGM_RSRC2:SCRATCH_EN: 0
; COMPUTE_PGM_RSRC2:USER_SGPR: 6
; COMPUTE_PGM_RSRC2:TRAP_HANDLER: 0
; COMPUTE_PGM_RSRC2:TGID_X_EN: 1
; COMPUTE_PGM_RSRC2:TGID_Y_EN: 0
; COMPUTE_PGM_RSRC2:TGID_Z_EN: 0
; COMPUTE_PGM_RSRC2:TIDIG_COMP_CNT: 0
	.section	.text._ZN7rocprim17ROCPRIM_400000_NS6detail17trampoline_kernelINS0_14default_configENS1_25transform_config_selectorIdLb1EEEZNS1_14transform_implILb1ES3_S5_PdS7_NS0_8identityIdEEEE10hipError_tT2_T3_mT4_P12ihipStream_tbEUlT_E_NS1_11comp_targetILNS1_3genE10ELNS1_11target_archE1201ELNS1_3gpuE5ELNS1_3repE0EEENS1_30default_config_static_selectorELNS0_4arch9wavefront6targetE1EEEvT1_,"axG",@progbits,_ZN7rocprim17ROCPRIM_400000_NS6detail17trampoline_kernelINS0_14default_configENS1_25transform_config_selectorIdLb1EEEZNS1_14transform_implILb1ES3_S5_PdS7_NS0_8identityIdEEEE10hipError_tT2_T3_mT4_P12ihipStream_tbEUlT_E_NS1_11comp_targetILNS1_3genE10ELNS1_11target_archE1201ELNS1_3gpuE5ELNS1_3repE0EEENS1_30default_config_static_selectorELNS0_4arch9wavefront6targetE1EEEvT1_,comdat
	.protected	_ZN7rocprim17ROCPRIM_400000_NS6detail17trampoline_kernelINS0_14default_configENS1_25transform_config_selectorIdLb1EEEZNS1_14transform_implILb1ES3_S5_PdS7_NS0_8identityIdEEEE10hipError_tT2_T3_mT4_P12ihipStream_tbEUlT_E_NS1_11comp_targetILNS1_3genE10ELNS1_11target_archE1201ELNS1_3gpuE5ELNS1_3repE0EEENS1_30default_config_static_selectorELNS0_4arch9wavefront6targetE1EEEvT1_ ; -- Begin function _ZN7rocprim17ROCPRIM_400000_NS6detail17trampoline_kernelINS0_14default_configENS1_25transform_config_selectorIdLb1EEEZNS1_14transform_implILb1ES3_S5_PdS7_NS0_8identityIdEEEE10hipError_tT2_T3_mT4_P12ihipStream_tbEUlT_E_NS1_11comp_targetILNS1_3genE10ELNS1_11target_archE1201ELNS1_3gpuE5ELNS1_3repE0EEENS1_30default_config_static_selectorELNS0_4arch9wavefront6targetE1EEEvT1_
	.globl	_ZN7rocprim17ROCPRIM_400000_NS6detail17trampoline_kernelINS0_14default_configENS1_25transform_config_selectorIdLb1EEEZNS1_14transform_implILb1ES3_S5_PdS7_NS0_8identityIdEEEE10hipError_tT2_T3_mT4_P12ihipStream_tbEUlT_E_NS1_11comp_targetILNS1_3genE10ELNS1_11target_archE1201ELNS1_3gpuE5ELNS1_3repE0EEENS1_30default_config_static_selectorELNS0_4arch9wavefront6targetE1EEEvT1_
	.p2align	8
	.type	_ZN7rocprim17ROCPRIM_400000_NS6detail17trampoline_kernelINS0_14default_configENS1_25transform_config_selectorIdLb1EEEZNS1_14transform_implILb1ES3_S5_PdS7_NS0_8identityIdEEEE10hipError_tT2_T3_mT4_P12ihipStream_tbEUlT_E_NS1_11comp_targetILNS1_3genE10ELNS1_11target_archE1201ELNS1_3gpuE5ELNS1_3repE0EEENS1_30default_config_static_selectorELNS0_4arch9wavefront6targetE1EEEvT1_,@function
_ZN7rocprim17ROCPRIM_400000_NS6detail17trampoline_kernelINS0_14default_configENS1_25transform_config_selectorIdLb1EEEZNS1_14transform_implILb1ES3_S5_PdS7_NS0_8identityIdEEEE10hipError_tT2_T3_mT4_P12ihipStream_tbEUlT_E_NS1_11comp_targetILNS1_3genE10ELNS1_11target_archE1201ELNS1_3gpuE5ELNS1_3repE0EEENS1_30default_config_static_selectorELNS0_4arch9wavefront6targetE1EEEvT1_: ; @_ZN7rocprim17ROCPRIM_400000_NS6detail17trampoline_kernelINS0_14default_configENS1_25transform_config_selectorIdLb1EEEZNS1_14transform_implILb1ES3_S5_PdS7_NS0_8identityIdEEEE10hipError_tT2_T3_mT4_P12ihipStream_tbEUlT_E_NS1_11comp_targetILNS1_3genE10ELNS1_11target_archE1201ELNS1_3gpuE5ELNS1_3repE0EEENS1_30default_config_static_selectorELNS0_4arch9wavefront6targetE1EEEvT1_
; %bb.0:
	.section	.rodata,"a",@progbits
	.p2align	6, 0x0
	.amdhsa_kernel _ZN7rocprim17ROCPRIM_400000_NS6detail17trampoline_kernelINS0_14default_configENS1_25transform_config_selectorIdLb1EEEZNS1_14transform_implILb1ES3_S5_PdS7_NS0_8identityIdEEEE10hipError_tT2_T3_mT4_P12ihipStream_tbEUlT_E_NS1_11comp_targetILNS1_3genE10ELNS1_11target_archE1201ELNS1_3gpuE5ELNS1_3repE0EEENS1_30default_config_static_selectorELNS0_4arch9wavefront6targetE1EEEvT1_
		.amdhsa_group_segment_fixed_size 0
		.amdhsa_private_segment_fixed_size 0
		.amdhsa_kernarg_size 40
		.amdhsa_user_sgpr_count 6
		.amdhsa_user_sgpr_private_segment_buffer 1
		.amdhsa_user_sgpr_dispatch_ptr 0
		.amdhsa_user_sgpr_queue_ptr 0
		.amdhsa_user_sgpr_kernarg_segment_ptr 1
		.amdhsa_user_sgpr_dispatch_id 0
		.amdhsa_user_sgpr_flat_scratch_init 0
		.amdhsa_user_sgpr_private_segment_size 0
		.amdhsa_uses_dynamic_stack 0
		.amdhsa_system_sgpr_private_segment_wavefront_offset 0
		.amdhsa_system_sgpr_workgroup_id_x 1
		.amdhsa_system_sgpr_workgroup_id_y 0
		.amdhsa_system_sgpr_workgroup_id_z 0
		.amdhsa_system_sgpr_workgroup_info 0
		.amdhsa_system_vgpr_workitem_id 0
		.amdhsa_next_free_vgpr 1
		.amdhsa_next_free_sgpr 0
		.amdhsa_reserve_vcc 0
		.amdhsa_reserve_flat_scratch 0
		.amdhsa_float_round_mode_32 0
		.amdhsa_float_round_mode_16_64 0
		.amdhsa_float_denorm_mode_32 3
		.amdhsa_float_denorm_mode_16_64 3
		.amdhsa_dx10_clamp 1
		.amdhsa_ieee_mode 1
		.amdhsa_fp16_overflow 0
		.amdhsa_exception_fp_ieee_invalid_op 0
		.amdhsa_exception_fp_denorm_src 0
		.amdhsa_exception_fp_ieee_div_zero 0
		.amdhsa_exception_fp_ieee_overflow 0
		.amdhsa_exception_fp_ieee_underflow 0
		.amdhsa_exception_fp_ieee_inexact 0
		.amdhsa_exception_int_div_zero 0
	.end_amdhsa_kernel
	.section	.text._ZN7rocprim17ROCPRIM_400000_NS6detail17trampoline_kernelINS0_14default_configENS1_25transform_config_selectorIdLb1EEEZNS1_14transform_implILb1ES3_S5_PdS7_NS0_8identityIdEEEE10hipError_tT2_T3_mT4_P12ihipStream_tbEUlT_E_NS1_11comp_targetILNS1_3genE10ELNS1_11target_archE1201ELNS1_3gpuE5ELNS1_3repE0EEENS1_30default_config_static_selectorELNS0_4arch9wavefront6targetE1EEEvT1_,"axG",@progbits,_ZN7rocprim17ROCPRIM_400000_NS6detail17trampoline_kernelINS0_14default_configENS1_25transform_config_selectorIdLb1EEEZNS1_14transform_implILb1ES3_S5_PdS7_NS0_8identityIdEEEE10hipError_tT2_T3_mT4_P12ihipStream_tbEUlT_E_NS1_11comp_targetILNS1_3genE10ELNS1_11target_archE1201ELNS1_3gpuE5ELNS1_3repE0EEENS1_30default_config_static_selectorELNS0_4arch9wavefront6targetE1EEEvT1_,comdat
.Lfunc_end1591:
	.size	_ZN7rocprim17ROCPRIM_400000_NS6detail17trampoline_kernelINS0_14default_configENS1_25transform_config_selectorIdLb1EEEZNS1_14transform_implILb1ES3_S5_PdS7_NS0_8identityIdEEEE10hipError_tT2_T3_mT4_P12ihipStream_tbEUlT_E_NS1_11comp_targetILNS1_3genE10ELNS1_11target_archE1201ELNS1_3gpuE5ELNS1_3repE0EEENS1_30default_config_static_selectorELNS0_4arch9wavefront6targetE1EEEvT1_, .Lfunc_end1591-_ZN7rocprim17ROCPRIM_400000_NS6detail17trampoline_kernelINS0_14default_configENS1_25transform_config_selectorIdLb1EEEZNS1_14transform_implILb1ES3_S5_PdS7_NS0_8identityIdEEEE10hipError_tT2_T3_mT4_P12ihipStream_tbEUlT_E_NS1_11comp_targetILNS1_3genE10ELNS1_11target_archE1201ELNS1_3gpuE5ELNS1_3repE0EEENS1_30default_config_static_selectorELNS0_4arch9wavefront6targetE1EEEvT1_
                                        ; -- End function
	.set _ZN7rocprim17ROCPRIM_400000_NS6detail17trampoline_kernelINS0_14default_configENS1_25transform_config_selectorIdLb1EEEZNS1_14transform_implILb1ES3_S5_PdS7_NS0_8identityIdEEEE10hipError_tT2_T3_mT4_P12ihipStream_tbEUlT_E_NS1_11comp_targetILNS1_3genE10ELNS1_11target_archE1201ELNS1_3gpuE5ELNS1_3repE0EEENS1_30default_config_static_selectorELNS0_4arch9wavefront6targetE1EEEvT1_.num_vgpr, 0
	.set _ZN7rocprim17ROCPRIM_400000_NS6detail17trampoline_kernelINS0_14default_configENS1_25transform_config_selectorIdLb1EEEZNS1_14transform_implILb1ES3_S5_PdS7_NS0_8identityIdEEEE10hipError_tT2_T3_mT4_P12ihipStream_tbEUlT_E_NS1_11comp_targetILNS1_3genE10ELNS1_11target_archE1201ELNS1_3gpuE5ELNS1_3repE0EEENS1_30default_config_static_selectorELNS0_4arch9wavefront6targetE1EEEvT1_.num_agpr, 0
	.set _ZN7rocprim17ROCPRIM_400000_NS6detail17trampoline_kernelINS0_14default_configENS1_25transform_config_selectorIdLb1EEEZNS1_14transform_implILb1ES3_S5_PdS7_NS0_8identityIdEEEE10hipError_tT2_T3_mT4_P12ihipStream_tbEUlT_E_NS1_11comp_targetILNS1_3genE10ELNS1_11target_archE1201ELNS1_3gpuE5ELNS1_3repE0EEENS1_30default_config_static_selectorELNS0_4arch9wavefront6targetE1EEEvT1_.numbered_sgpr, 0
	.set _ZN7rocprim17ROCPRIM_400000_NS6detail17trampoline_kernelINS0_14default_configENS1_25transform_config_selectorIdLb1EEEZNS1_14transform_implILb1ES3_S5_PdS7_NS0_8identityIdEEEE10hipError_tT2_T3_mT4_P12ihipStream_tbEUlT_E_NS1_11comp_targetILNS1_3genE10ELNS1_11target_archE1201ELNS1_3gpuE5ELNS1_3repE0EEENS1_30default_config_static_selectorELNS0_4arch9wavefront6targetE1EEEvT1_.num_named_barrier, 0
	.set _ZN7rocprim17ROCPRIM_400000_NS6detail17trampoline_kernelINS0_14default_configENS1_25transform_config_selectorIdLb1EEEZNS1_14transform_implILb1ES3_S5_PdS7_NS0_8identityIdEEEE10hipError_tT2_T3_mT4_P12ihipStream_tbEUlT_E_NS1_11comp_targetILNS1_3genE10ELNS1_11target_archE1201ELNS1_3gpuE5ELNS1_3repE0EEENS1_30default_config_static_selectorELNS0_4arch9wavefront6targetE1EEEvT1_.private_seg_size, 0
	.set _ZN7rocprim17ROCPRIM_400000_NS6detail17trampoline_kernelINS0_14default_configENS1_25transform_config_selectorIdLb1EEEZNS1_14transform_implILb1ES3_S5_PdS7_NS0_8identityIdEEEE10hipError_tT2_T3_mT4_P12ihipStream_tbEUlT_E_NS1_11comp_targetILNS1_3genE10ELNS1_11target_archE1201ELNS1_3gpuE5ELNS1_3repE0EEENS1_30default_config_static_selectorELNS0_4arch9wavefront6targetE1EEEvT1_.uses_vcc, 0
	.set _ZN7rocprim17ROCPRIM_400000_NS6detail17trampoline_kernelINS0_14default_configENS1_25transform_config_selectorIdLb1EEEZNS1_14transform_implILb1ES3_S5_PdS7_NS0_8identityIdEEEE10hipError_tT2_T3_mT4_P12ihipStream_tbEUlT_E_NS1_11comp_targetILNS1_3genE10ELNS1_11target_archE1201ELNS1_3gpuE5ELNS1_3repE0EEENS1_30default_config_static_selectorELNS0_4arch9wavefront6targetE1EEEvT1_.uses_flat_scratch, 0
	.set _ZN7rocprim17ROCPRIM_400000_NS6detail17trampoline_kernelINS0_14default_configENS1_25transform_config_selectorIdLb1EEEZNS1_14transform_implILb1ES3_S5_PdS7_NS0_8identityIdEEEE10hipError_tT2_T3_mT4_P12ihipStream_tbEUlT_E_NS1_11comp_targetILNS1_3genE10ELNS1_11target_archE1201ELNS1_3gpuE5ELNS1_3repE0EEENS1_30default_config_static_selectorELNS0_4arch9wavefront6targetE1EEEvT1_.has_dyn_sized_stack, 0
	.set _ZN7rocprim17ROCPRIM_400000_NS6detail17trampoline_kernelINS0_14default_configENS1_25transform_config_selectorIdLb1EEEZNS1_14transform_implILb1ES3_S5_PdS7_NS0_8identityIdEEEE10hipError_tT2_T3_mT4_P12ihipStream_tbEUlT_E_NS1_11comp_targetILNS1_3genE10ELNS1_11target_archE1201ELNS1_3gpuE5ELNS1_3repE0EEENS1_30default_config_static_selectorELNS0_4arch9wavefront6targetE1EEEvT1_.has_recursion, 0
	.set _ZN7rocprim17ROCPRIM_400000_NS6detail17trampoline_kernelINS0_14default_configENS1_25transform_config_selectorIdLb1EEEZNS1_14transform_implILb1ES3_S5_PdS7_NS0_8identityIdEEEE10hipError_tT2_T3_mT4_P12ihipStream_tbEUlT_E_NS1_11comp_targetILNS1_3genE10ELNS1_11target_archE1201ELNS1_3gpuE5ELNS1_3repE0EEENS1_30default_config_static_selectorELNS0_4arch9wavefront6targetE1EEEvT1_.has_indirect_call, 0
	.section	.AMDGPU.csdata,"",@progbits
; Kernel info:
; codeLenInByte = 0
; TotalNumSgprs: 4
; NumVgprs: 0
; ScratchSize: 0
; MemoryBound: 0
; FloatMode: 240
; IeeeMode: 1
; LDSByteSize: 0 bytes/workgroup (compile time only)
; SGPRBlocks: 0
; VGPRBlocks: 0
; NumSGPRsForWavesPerEU: 4
; NumVGPRsForWavesPerEU: 1
; Occupancy: 10
; WaveLimiterHint : 0
; COMPUTE_PGM_RSRC2:SCRATCH_EN: 0
; COMPUTE_PGM_RSRC2:USER_SGPR: 6
; COMPUTE_PGM_RSRC2:TRAP_HANDLER: 0
; COMPUTE_PGM_RSRC2:TGID_X_EN: 1
; COMPUTE_PGM_RSRC2:TGID_Y_EN: 0
; COMPUTE_PGM_RSRC2:TGID_Z_EN: 0
; COMPUTE_PGM_RSRC2:TIDIG_COMP_CNT: 0
	.section	.text._ZN7rocprim17ROCPRIM_400000_NS6detail17trampoline_kernelINS0_14default_configENS1_25transform_config_selectorIdLb1EEEZNS1_14transform_implILb1ES3_S5_PdS7_NS0_8identityIdEEEE10hipError_tT2_T3_mT4_P12ihipStream_tbEUlT_E_NS1_11comp_targetILNS1_3genE5ELNS1_11target_archE942ELNS1_3gpuE9ELNS1_3repE0EEENS1_30default_config_static_selectorELNS0_4arch9wavefront6targetE1EEEvT1_,"axG",@progbits,_ZN7rocprim17ROCPRIM_400000_NS6detail17trampoline_kernelINS0_14default_configENS1_25transform_config_selectorIdLb1EEEZNS1_14transform_implILb1ES3_S5_PdS7_NS0_8identityIdEEEE10hipError_tT2_T3_mT4_P12ihipStream_tbEUlT_E_NS1_11comp_targetILNS1_3genE5ELNS1_11target_archE942ELNS1_3gpuE9ELNS1_3repE0EEENS1_30default_config_static_selectorELNS0_4arch9wavefront6targetE1EEEvT1_,comdat
	.protected	_ZN7rocprim17ROCPRIM_400000_NS6detail17trampoline_kernelINS0_14default_configENS1_25transform_config_selectorIdLb1EEEZNS1_14transform_implILb1ES3_S5_PdS7_NS0_8identityIdEEEE10hipError_tT2_T3_mT4_P12ihipStream_tbEUlT_E_NS1_11comp_targetILNS1_3genE5ELNS1_11target_archE942ELNS1_3gpuE9ELNS1_3repE0EEENS1_30default_config_static_selectorELNS0_4arch9wavefront6targetE1EEEvT1_ ; -- Begin function _ZN7rocprim17ROCPRIM_400000_NS6detail17trampoline_kernelINS0_14default_configENS1_25transform_config_selectorIdLb1EEEZNS1_14transform_implILb1ES3_S5_PdS7_NS0_8identityIdEEEE10hipError_tT2_T3_mT4_P12ihipStream_tbEUlT_E_NS1_11comp_targetILNS1_3genE5ELNS1_11target_archE942ELNS1_3gpuE9ELNS1_3repE0EEENS1_30default_config_static_selectorELNS0_4arch9wavefront6targetE1EEEvT1_
	.globl	_ZN7rocprim17ROCPRIM_400000_NS6detail17trampoline_kernelINS0_14default_configENS1_25transform_config_selectorIdLb1EEEZNS1_14transform_implILb1ES3_S5_PdS7_NS0_8identityIdEEEE10hipError_tT2_T3_mT4_P12ihipStream_tbEUlT_E_NS1_11comp_targetILNS1_3genE5ELNS1_11target_archE942ELNS1_3gpuE9ELNS1_3repE0EEENS1_30default_config_static_selectorELNS0_4arch9wavefront6targetE1EEEvT1_
	.p2align	8
	.type	_ZN7rocprim17ROCPRIM_400000_NS6detail17trampoline_kernelINS0_14default_configENS1_25transform_config_selectorIdLb1EEEZNS1_14transform_implILb1ES3_S5_PdS7_NS0_8identityIdEEEE10hipError_tT2_T3_mT4_P12ihipStream_tbEUlT_E_NS1_11comp_targetILNS1_3genE5ELNS1_11target_archE942ELNS1_3gpuE9ELNS1_3repE0EEENS1_30default_config_static_selectorELNS0_4arch9wavefront6targetE1EEEvT1_,@function
_ZN7rocprim17ROCPRIM_400000_NS6detail17trampoline_kernelINS0_14default_configENS1_25transform_config_selectorIdLb1EEEZNS1_14transform_implILb1ES3_S5_PdS7_NS0_8identityIdEEEE10hipError_tT2_T3_mT4_P12ihipStream_tbEUlT_E_NS1_11comp_targetILNS1_3genE5ELNS1_11target_archE942ELNS1_3gpuE9ELNS1_3repE0EEENS1_30default_config_static_selectorELNS0_4arch9wavefront6targetE1EEEvT1_: ; @_ZN7rocprim17ROCPRIM_400000_NS6detail17trampoline_kernelINS0_14default_configENS1_25transform_config_selectorIdLb1EEEZNS1_14transform_implILb1ES3_S5_PdS7_NS0_8identityIdEEEE10hipError_tT2_T3_mT4_P12ihipStream_tbEUlT_E_NS1_11comp_targetILNS1_3genE5ELNS1_11target_archE942ELNS1_3gpuE9ELNS1_3repE0EEENS1_30default_config_static_selectorELNS0_4arch9wavefront6targetE1EEEvT1_
; %bb.0:
	.section	.rodata,"a",@progbits
	.p2align	6, 0x0
	.amdhsa_kernel _ZN7rocprim17ROCPRIM_400000_NS6detail17trampoline_kernelINS0_14default_configENS1_25transform_config_selectorIdLb1EEEZNS1_14transform_implILb1ES3_S5_PdS7_NS0_8identityIdEEEE10hipError_tT2_T3_mT4_P12ihipStream_tbEUlT_E_NS1_11comp_targetILNS1_3genE5ELNS1_11target_archE942ELNS1_3gpuE9ELNS1_3repE0EEENS1_30default_config_static_selectorELNS0_4arch9wavefront6targetE1EEEvT1_
		.amdhsa_group_segment_fixed_size 0
		.amdhsa_private_segment_fixed_size 0
		.amdhsa_kernarg_size 40
		.amdhsa_user_sgpr_count 6
		.amdhsa_user_sgpr_private_segment_buffer 1
		.amdhsa_user_sgpr_dispatch_ptr 0
		.amdhsa_user_sgpr_queue_ptr 0
		.amdhsa_user_sgpr_kernarg_segment_ptr 1
		.amdhsa_user_sgpr_dispatch_id 0
		.amdhsa_user_sgpr_flat_scratch_init 0
		.amdhsa_user_sgpr_private_segment_size 0
		.amdhsa_uses_dynamic_stack 0
		.amdhsa_system_sgpr_private_segment_wavefront_offset 0
		.amdhsa_system_sgpr_workgroup_id_x 1
		.amdhsa_system_sgpr_workgroup_id_y 0
		.amdhsa_system_sgpr_workgroup_id_z 0
		.amdhsa_system_sgpr_workgroup_info 0
		.amdhsa_system_vgpr_workitem_id 0
		.amdhsa_next_free_vgpr 1
		.amdhsa_next_free_sgpr 0
		.amdhsa_reserve_vcc 0
		.amdhsa_reserve_flat_scratch 0
		.amdhsa_float_round_mode_32 0
		.amdhsa_float_round_mode_16_64 0
		.amdhsa_float_denorm_mode_32 3
		.amdhsa_float_denorm_mode_16_64 3
		.amdhsa_dx10_clamp 1
		.amdhsa_ieee_mode 1
		.amdhsa_fp16_overflow 0
		.amdhsa_exception_fp_ieee_invalid_op 0
		.amdhsa_exception_fp_denorm_src 0
		.amdhsa_exception_fp_ieee_div_zero 0
		.amdhsa_exception_fp_ieee_overflow 0
		.amdhsa_exception_fp_ieee_underflow 0
		.amdhsa_exception_fp_ieee_inexact 0
		.amdhsa_exception_int_div_zero 0
	.end_amdhsa_kernel
	.section	.text._ZN7rocprim17ROCPRIM_400000_NS6detail17trampoline_kernelINS0_14default_configENS1_25transform_config_selectorIdLb1EEEZNS1_14transform_implILb1ES3_S5_PdS7_NS0_8identityIdEEEE10hipError_tT2_T3_mT4_P12ihipStream_tbEUlT_E_NS1_11comp_targetILNS1_3genE5ELNS1_11target_archE942ELNS1_3gpuE9ELNS1_3repE0EEENS1_30default_config_static_selectorELNS0_4arch9wavefront6targetE1EEEvT1_,"axG",@progbits,_ZN7rocprim17ROCPRIM_400000_NS6detail17trampoline_kernelINS0_14default_configENS1_25transform_config_selectorIdLb1EEEZNS1_14transform_implILb1ES3_S5_PdS7_NS0_8identityIdEEEE10hipError_tT2_T3_mT4_P12ihipStream_tbEUlT_E_NS1_11comp_targetILNS1_3genE5ELNS1_11target_archE942ELNS1_3gpuE9ELNS1_3repE0EEENS1_30default_config_static_selectorELNS0_4arch9wavefront6targetE1EEEvT1_,comdat
.Lfunc_end1592:
	.size	_ZN7rocprim17ROCPRIM_400000_NS6detail17trampoline_kernelINS0_14default_configENS1_25transform_config_selectorIdLb1EEEZNS1_14transform_implILb1ES3_S5_PdS7_NS0_8identityIdEEEE10hipError_tT2_T3_mT4_P12ihipStream_tbEUlT_E_NS1_11comp_targetILNS1_3genE5ELNS1_11target_archE942ELNS1_3gpuE9ELNS1_3repE0EEENS1_30default_config_static_selectorELNS0_4arch9wavefront6targetE1EEEvT1_, .Lfunc_end1592-_ZN7rocprim17ROCPRIM_400000_NS6detail17trampoline_kernelINS0_14default_configENS1_25transform_config_selectorIdLb1EEEZNS1_14transform_implILb1ES3_S5_PdS7_NS0_8identityIdEEEE10hipError_tT2_T3_mT4_P12ihipStream_tbEUlT_E_NS1_11comp_targetILNS1_3genE5ELNS1_11target_archE942ELNS1_3gpuE9ELNS1_3repE0EEENS1_30default_config_static_selectorELNS0_4arch9wavefront6targetE1EEEvT1_
                                        ; -- End function
	.set _ZN7rocprim17ROCPRIM_400000_NS6detail17trampoline_kernelINS0_14default_configENS1_25transform_config_selectorIdLb1EEEZNS1_14transform_implILb1ES3_S5_PdS7_NS0_8identityIdEEEE10hipError_tT2_T3_mT4_P12ihipStream_tbEUlT_E_NS1_11comp_targetILNS1_3genE5ELNS1_11target_archE942ELNS1_3gpuE9ELNS1_3repE0EEENS1_30default_config_static_selectorELNS0_4arch9wavefront6targetE1EEEvT1_.num_vgpr, 0
	.set _ZN7rocprim17ROCPRIM_400000_NS6detail17trampoline_kernelINS0_14default_configENS1_25transform_config_selectorIdLb1EEEZNS1_14transform_implILb1ES3_S5_PdS7_NS0_8identityIdEEEE10hipError_tT2_T3_mT4_P12ihipStream_tbEUlT_E_NS1_11comp_targetILNS1_3genE5ELNS1_11target_archE942ELNS1_3gpuE9ELNS1_3repE0EEENS1_30default_config_static_selectorELNS0_4arch9wavefront6targetE1EEEvT1_.num_agpr, 0
	.set _ZN7rocprim17ROCPRIM_400000_NS6detail17trampoline_kernelINS0_14default_configENS1_25transform_config_selectorIdLb1EEEZNS1_14transform_implILb1ES3_S5_PdS7_NS0_8identityIdEEEE10hipError_tT2_T3_mT4_P12ihipStream_tbEUlT_E_NS1_11comp_targetILNS1_3genE5ELNS1_11target_archE942ELNS1_3gpuE9ELNS1_3repE0EEENS1_30default_config_static_selectorELNS0_4arch9wavefront6targetE1EEEvT1_.numbered_sgpr, 0
	.set _ZN7rocprim17ROCPRIM_400000_NS6detail17trampoline_kernelINS0_14default_configENS1_25transform_config_selectorIdLb1EEEZNS1_14transform_implILb1ES3_S5_PdS7_NS0_8identityIdEEEE10hipError_tT2_T3_mT4_P12ihipStream_tbEUlT_E_NS1_11comp_targetILNS1_3genE5ELNS1_11target_archE942ELNS1_3gpuE9ELNS1_3repE0EEENS1_30default_config_static_selectorELNS0_4arch9wavefront6targetE1EEEvT1_.num_named_barrier, 0
	.set _ZN7rocprim17ROCPRIM_400000_NS6detail17trampoline_kernelINS0_14default_configENS1_25transform_config_selectorIdLb1EEEZNS1_14transform_implILb1ES3_S5_PdS7_NS0_8identityIdEEEE10hipError_tT2_T3_mT4_P12ihipStream_tbEUlT_E_NS1_11comp_targetILNS1_3genE5ELNS1_11target_archE942ELNS1_3gpuE9ELNS1_3repE0EEENS1_30default_config_static_selectorELNS0_4arch9wavefront6targetE1EEEvT1_.private_seg_size, 0
	.set _ZN7rocprim17ROCPRIM_400000_NS6detail17trampoline_kernelINS0_14default_configENS1_25transform_config_selectorIdLb1EEEZNS1_14transform_implILb1ES3_S5_PdS7_NS0_8identityIdEEEE10hipError_tT2_T3_mT4_P12ihipStream_tbEUlT_E_NS1_11comp_targetILNS1_3genE5ELNS1_11target_archE942ELNS1_3gpuE9ELNS1_3repE0EEENS1_30default_config_static_selectorELNS0_4arch9wavefront6targetE1EEEvT1_.uses_vcc, 0
	.set _ZN7rocprim17ROCPRIM_400000_NS6detail17trampoline_kernelINS0_14default_configENS1_25transform_config_selectorIdLb1EEEZNS1_14transform_implILb1ES3_S5_PdS7_NS0_8identityIdEEEE10hipError_tT2_T3_mT4_P12ihipStream_tbEUlT_E_NS1_11comp_targetILNS1_3genE5ELNS1_11target_archE942ELNS1_3gpuE9ELNS1_3repE0EEENS1_30default_config_static_selectorELNS0_4arch9wavefront6targetE1EEEvT1_.uses_flat_scratch, 0
	.set _ZN7rocprim17ROCPRIM_400000_NS6detail17trampoline_kernelINS0_14default_configENS1_25transform_config_selectorIdLb1EEEZNS1_14transform_implILb1ES3_S5_PdS7_NS0_8identityIdEEEE10hipError_tT2_T3_mT4_P12ihipStream_tbEUlT_E_NS1_11comp_targetILNS1_3genE5ELNS1_11target_archE942ELNS1_3gpuE9ELNS1_3repE0EEENS1_30default_config_static_selectorELNS0_4arch9wavefront6targetE1EEEvT1_.has_dyn_sized_stack, 0
	.set _ZN7rocprim17ROCPRIM_400000_NS6detail17trampoline_kernelINS0_14default_configENS1_25transform_config_selectorIdLb1EEEZNS1_14transform_implILb1ES3_S5_PdS7_NS0_8identityIdEEEE10hipError_tT2_T3_mT4_P12ihipStream_tbEUlT_E_NS1_11comp_targetILNS1_3genE5ELNS1_11target_archE942ELNS1_3gpuE9ELNS1_3repE0EEENS1_30default_config_static_selectorELNS0_4arch9wavefront6targetE1EEEvT1_.has_recursion, 0
	.set _ZN7rocprim17ROCPRIM_400000_NS6detail17trampoline_kernelINS0_14default_configENS1_25transform_config_selectorIdLb1EEEZNS1_14transform_implILb1ES3_S5_PdS7_NS0_8identityIdEEEE10hipError_tT2_T3_mT4_P12ihipStream_tbEUlT_E_NS1_11comp_targetILNS1_3genE5ELNS1_11target_archE942ELNS1_3gpuE9ELNS1_3repE0EEENS1_30default_config_static_selectorELNS0_4arch9wavefront6targetE1EEEvT1_.has_indirect_call, 0
	.section	.AMDGPU.csdata,"",@progbits
; Kernel info:
; codeLenInByte = 0
; TotalNumSgprs: 4
; NumVgprs: 0
; ScratchSize: 0
; MemoryBound: 0
; FloatMode: 240
; IeeeMode: 1
; LDSByteSize: 0 bytes/workgroup (compile time only)
; SGPRBlocks: 0
; VGPRBlocks: 0
; NumSGPRsForWavesPerEU: 4
; NumVGPRsForWavesPerEU: 1
; Occupancy: 10
; WaveLimiterHint : 0
; COMPUTE_PGM_RSRC2:SCRATCH_EN: 0
; COMPUTE_PGM_RSRC2:USER_SGPR: 6
; COMPUTE_PGM_RSRC2:TRAP_HANDLER: 0
; COMPUTE_PGM_RSRC2:TGID_X_EN: 1
; COMPUTE_PGM_RSRC2:TGID_Y_EN: 0
; COMPUTE_PGM_RSRC2:TGID_Z_EN: 0
; COMPUTE_PGM_RSRC2:TIDIG_COMP_CNT: 0
	.section	.text._ZN7rocprim17ROCPRIM_400000_NS6detail17trampoline_kernelINS0_14default_configENS1_25transform_config_selectorIdLb1EEEZNS1_14transform_implILb1ES3_S5_PdS7_NS0_8identityIdEEEE10hipError_tT2_T3_mT4_P12ihipStream_tbEUlT_E_NS1_11comp_targetILNS1_3genE4ELNS1_11target_archE910ELNS1_3gpuE8ELNS1_3repE0EEENS1_30default_config_static_selectorELNS0_4arch9wavefront6targetE1EEEvT1_,"axG",@progbits,_ZN7rocprim17ROCPRIM_400000_NS6detail17trampoline_kernelINS0_14default_configENS1_25transform_config_selectorIdLb1EEEZNS1_14transform_implILb1ES3_S5_PdS7_NS0_8identityIdEEEE10hipError_tT2_T3_mT4_P12ihipStream_tbEUlT_E_NS1_11comp_targetILNS1_3genE4ELNS1_11target_archE910ELNS1_3gpuE8ELNS1_3repE0EEENS1_30default_config_static_selectorELNS0_4arch9wavefront6targetE1EEEvT1_,comdat
	.protected	_ZN7rocprim17ROCPRIM_400000_NS6detail17trampoline_kernelINS0_14default_configENS1_25transform_config_selectorIdLb1EEEZNS1_14transform_implILb1ES3_S5_PdS7_NS0_8identityIdEEEE10hipError_tT2_T3_mT4_P12ihipStream_tbEUlT_E_NS1_11comp_targetILNS1_3genE4ELNS1_11target_archE910ELNS1_3gpuE8ELNS1_3repE0EEENS1_30default_config_static_selectorELNS0_4arch9wavefront6targetE1EEEvT1_ ; -- Begin function _ZN7rocprim17ROCPRIM_400000_NS6detail17trampoline_kernelINS0_14default_configENS1_25transform_config_selectorIdLb1EEEZNS1_14transform_implILb1ES3_S5_PdS7_NS0_8identityIdEEEE10hipError_tT2_T3_mT4_P12ihipStream_tbEUlT_E_NS1_11comp_targetILNS1_3genE4ELNS1_11target_archE910ELNS1_3gpuE8ELNS1_3repE0EEENS1_30default_config_static_selectorELNS0_4arch9wavefront6targetE1EEEvT1_
	.globl	_ZN7rocprim17ROCPRIM_400000_NS6detail17trampoline_kernelINS0_14default_configENS1_25transform_config_selectorIdLb1EEEZNS1_14transform_implILb1ES3_S5_PdS7_NS0_8identityIdEEEE10hipError_tT2_T3_mT4_P12ihipStream_tbEUlT_E_NS1_11comp_targetILNS1_3genE4ELNS1_11target_archE910ELNS1_3gpuE8ELNS1_3repE0EEENS1_30default_config_static_selectorELNS0_4arch9wavefront6targetE1EEEvT1_
	.p2align	8
	.type	_ZN7rocprim17ROCPRIM_400000_NS6detail17trampoline_kernelINS0_14default_configENS1_25transform_config_selectorIdLb1EEEZNS1_14transform_implILb1ES3_S5_PdS7_NS0_8identityIdEEEE10hipError_tT2_T3_mT4_P12ihipStream_tbEUlT_E_NS1_11comp_targetILNS1_3genE4ELNS1_11target_archE910ELNS1_3gpuE8ELNS1_3repE0EEENS1_30default_config_static_selectorELNS0_4arch9wavefront6targetE1EEEvT1_,@function
_ZN7rocprim17ROCPRIM_400000_NS6detail17trampoline_kernelINS0_14default_configENS1_25transform_config_selectorIdLb1EEEZNS1_14transform_implILb1ES3_S5_PdS7_NS0_8identityIdEEEE10hipError_tT2_T3_mT4_P12ihipStream_tbEUlT_E_NS1_11comp_targetILNS1_3genE4ELNS1_11target_archE910ELNS1_3gpuE8ELNS1_3repE0EEENS1_30default_config_static_selectorELNS0_4arch9wavefront6targetE1EEEvT1_: ; @_ZN7rocprim17ROCPRIM_400000_NS6detail17trampoline_kernelINS0_14default_configENS1_25transform_config_selectorIdLb1EEEZNS1_14transform_implILb1ES3_S5_PdS7_NS0_8identityIdEEEE10hipError_tT2_T3_mT4_P12ihipStream_tbEUlT_E_NS1_11comp_targetILNS1_3genE4ELNS1_11target_archE910ELNS1_3gpuE8ELNS1_3repE0EEENS1_30default_config_static_selectorELNS0_4arch9wavefront6targetE1EEEvT1_
; %bb.0:
	.section	.rodata,"a",@progbits
	.p2align	6, 0x0
	.amdhsa_kernel _ZN7rocprim17ROCPRIM_400000_NS6detail17trampoline_kernelINS0_14default_configENS1_25transform_config_selectorIdLb1EEEZNS1_14transform_implILb1ES3_S5_PdS7_NS0_8identityIdEEEE10hipError_tT2_T3_mT4_P12ihipStream_tbEUlT_E_NS1_11comp_targetILNS1_3genE4ELNS1_11target_archE910ELNS1_3gpuE8ELNS1_3repE0EEENS1_30default_config_static_selectorELNS0_4arch9wavefront6targetE1EEEvT1_
		.amdhsa_group_segment_fixed_size 0
		.amdhsa_private_segment_fixed_size 0
		.amdhsa_kernarg_size 40
		.amdhsa_user_sgpr_count 6
		.amdhsa_user_sgpr_private_segment_buffer 1
		.amdhsa_user_sgpr_dispatch_ptr 0
		.amdhsa_user_sgpr_queue_ptr 0
		.amdhsa_user_sgpr_kernarg_segment_ptr 1
		.amdhsa_user_sgpr_dispatch_id 0
		.amdhsa_user_sgpr_flat_scratch_init 0
		.amdhsa_user_sgpr_private_segment_size 0
		.amdhsa_uses_dynamic_stack 0
		.amdhsa_system_sgpr_private_segment_wavefront_offset 0
		.amdhsa_system_sgpr_workgroup_id_x 1
		.amdhsa_system_sgpr_workgroup_id_y 0
		.amdhsa_system_sgpr_workgroup_id_z 0
		.amdhsa_system_sgpr_workgroup_info 0
		.amdhsa_system_vgpr_workitem_id 0
		.amdhsa_next_free_vgpr 1
		.amdhsa_next_free_sgpr 0
		.amdhsa_reserve_vcc 0
		.amdhsa_reserve_flat_scratch 0
		.amdhsa_float_round_mode_32 0
		.amdhsa_float_round_mode_16_64 0
		.amdhsa_float_denorm_mode_32 3
		.amdhsa_float_denorm_mode_16_64 3
		.amdhsa_dx10_clamp 1
		.amdhsa_ieee_mode 1
		.amdhsa_fp16_overflow 0
		.amdhsa_exception_fp_ieee_invalid_op 0
		.amdhsa_exception_fp_denorm_src 0
		.amdhsa_exception_fp_ieee_div_zero 0
		.amdhsa_exception_fp_ieee_overflow 0
		.amdhsa_exception_fp_ieee_underflow 0
		.amdhsa_exception_fp_ieee_inexact 0
		.amdhsa_exception_int_div_zero 0
	.end_amdhsa_kernel
	.section	.text._ZN7rocprim17ROCPRIM_400000_NS6detail17trampoline_kernelINS0_14default_configENS1_25transform_config_selectorIdLb1EEEZNS1_14transform_implILb1ES3_S5_PdS7_NS0_8identityIdEEEE10hipError_tT2_T3_mT4_P12ihipStream_tbEUlT_E_NS1_11comp_targetILNS1_3genE4ELNS1_11target_archE910ELNS1_3gpuE8ELNS1_3repE0EEENS1_30default_config_static_selectorELNS0_4arch9wavefront6targetE1EEEvT1_,"axG",@progbits,_ZN7rocprim17ROCPRIM_400000_NS6detail17trampoline_kernelINS0_14default_configENS1_25transform_config_selectorIdLb1EEEZNS1_14transform_implILb1ES3_S5_PdS7_NS0_8identityIdEEEE10hipError_tT2_T3_mT4_P12ihipStream_tbEUlT_E_NS1_11comp_targetILNS1_3genE4ELNS1_11target_archE910ELNS1_3gpuE8ELNS1_3repE0EEENS1_30default_config_static_selectorELNS0_4arch9wavefront6targetE1EEEvT1_,comdat
.Lfunc_end1593:
	.size	_ZN7rocprim17ROCPRIM_400000_NS6detail17trampoline_kernelINS0_14default_configENS1_25transform_config_selectorIdLb1EEEZNS1_14transform_implILb1ES3_S5_PdS7_NS0_8identityIdEEEE10hipError_tT2_T3_mT4_P12ihipStream_tbEUlT_E_NS1_11comp_targetILNS1_3genE4ELNS1_11target_archE910ELNS1_3gpuE8ELNS1_3repE0EEENS1_30default_config_static_selectorELNS0_4arch9wavefront6targetE1EEEvT1_, .Lfunc_end1593-_ZN7rocprim17ROCPRIM_400000_NS6detail17trampoline_kernelINS0_14default_configENS1_25transform_config_selectorIdLb1EEEZNS1_14transform_implILb1ES3_S5_PdS7_NS0_8identityIdEEEE10hipError_tT2_T3_mT4_P12ihipStream_tbEUlT_E_NS1_11comp_targetILNS1_3genE4ELNS1_11target_archE910ELNS1_3gpuE8ELNS1_3repE0EEENS1_30default_config_static_selectorELNS0_4arch9wavefront6targetE1EEEvT1_
                                        ; -- End function
	.set _ZN7rocprim17ROCPRIM_400000_NS6detail17trampoline_kernelINS0_14default_configENS1_25transform_config_selectorIdLb1EEEZNS1_14transform_implILb1ES3_S5_PdS7_NS0_8identityIdEEEE10hipError_tT2_T3_mT4_P12ihipStream_tbEUlT_E_NS1_11comp_targetILNS1_3genE4ELNS1_11target_archE910ELNS1_3gpuE8ELNS1_3repE0EEENS1_30default_config_static_selectorELNS0_4arch9wavefront6targetE1EEEvT1_.num_vgpr, 0
	.set _ZN7rocprim17ROCPRIM_400000_NS6detail17trampoline_kernelINS0_14default_configENS1_25transform_config_selectorIdLb1EEEZNS1_14transform_implILb1ES3_S5_PdS7_NS0_8identityIdEEEE10hipError_tT2_T3_mT4_P12ihipStream_tbEUlT_E_NS1_11comp_targetILNS1_3genE4ELNS1_11target_archE910ELNS1_3gpuE8ELNS1_3repE0EEENS1_30default_config_static_selectorELNS0_4arch9wavefront6targetE1EEEvT1_.num_agpr, 0
	.set _ZN7rocprim17ROCPRIM_400000_NS6detail17trampoline_kernelINS0_14default_configENS1_25transform_config_selectorIdLb1EEEZNS1_14transform_implILb1ES3_S5_PdS7_NS0_8identityIdEEEE10hipError_tT2_T3_mT4_P12ihipStream_tbEUlT_E_NS1_11comp_targetILNS1_3genE4ELNS1_11target_archE910ELNS1_3gpuE8ELNS1_3repE0EEENS1_30default_config_static_selectorELNS0_4arch9wavefront6targetE1EEEvT1_.numbered_sgpr, 0
	.set _ZN7rocprim17ROCPRIM_400000_NS6detail17trampoline_kernelINS0_14default_configENS1_25transform_config_selectorIdLb1EEEZNS1_14transform_implILb1ES3_S5_PdS7_NS0_8identityIdEEEE10hipError_tT2_T3_mT4_P12ihipStream_tbEUlT_E_NS1_11comp_targetILNS1_3genE4ELNS1_11target_archE910ELNS1_3gpuE8ELNS1_3repE0EEENS1_30default_config_static_selectorELNS0_4arch9wavefront6targetE1EEEvT1_.num_named_barrier, 0
	.set _ZN7rocprim17ROCPRIM_400000_NS6detail17trampoline_kernelINS0_14default_configENS1_25transform_config_selectorIdLb1EEEZNS1_14transform_implILb1ES3_S5_PdS7_NS0_8identityIdEEEE10hipError_tT2_T3_mT4_P12ihipStream_tbEUlT_E_NS1_11comp_targetILNS1_3genE4ELNS1_11target_archE910ELNS1_3gpuE8ELNS1_3repE0EEENS1_30default_config_static_selectorELNS0_4arch9wavefront6targetE1EEEvT1_.private_seg_size, 0
	.set _ZN7rocprim17ROCPRIM_400000_NS6detail17trampoline_kernelINS0_14default_configENS1_25transform_config_selectorIdLb1EEEZNS1_14transform_implILb1ES3_S5_PdS7_NS0_8identityIdEEEE10hipError_tT2_T3_mT4_P12ihipStream_tbEUlT_E_NS1_11comp_targetILNS1_3genE4ELNS1_11target_archE910ELNS1_3gpuE8ELNS1_3repE0EEENS1_30default_config_static_selectorELNS0_4arch9wavefront6targetE1EEEvT1_.uses_vcc, 0
	.set _ZN7rocprim17ROCPRIM_400000_NS6detail17trampoline_kernelINS0_14default_configENS1_25transform_config_selectorIdLb1EEEZNS1_14transform_implILb1ES3_S5_PdS7_NS0_8identityIdEEEE10hipError_tT2_T3_mT4_P12ihipStream_tbEUlT_E_NS1_11comp_targetILNS1_3genE4ELNS1_11target_archE910ELNS1_3gpuE8ELNS1_3repE0EEENS1_30default_config_static_selectorELNS0_4arch9wavefront6targetE1EEEvT1_.uses_flat_scratch, 0
	.set _ZN7rocprim17ROCPRIM_400000_NS6detail17trampoline_kernelINS0_14default_configENS1_25transform_config_selectorIdLb1EEEZNS1_14transform_implILb1ES3_S5_PdS7_NS0_8identityIdEEEE10hipError_tT2_T3_mT4_P12ihipStream_tbEUlT_E_NS1_11comp_targetILNS1_3genE4ELNS1_11target_archE910ELNS1_3gpuE8ELNS1_3repE0EEENS1_30default_config_static_selectorELNS0_4arch9wavefront6targetE1EEEvT1_.has_dyn_sized_stack, 0
	.set _ZN7rocprim17ROCPRIM_400000_NS6detail17trampoline_kernelINS0_14default_configENS1_25transform_config_selectorIdLb1EEEZNS1_14transform_implILb1ES3_S5_PdS7_NS0_8identityIdEEEE10hipError_tT2_T3_mT4_P12ihipStream_tbEUlT_E_NS1_11comp_targetILNS1_3genE4ELNS1_11target_archE910ELNS1_3gpuE8ELNS1_3repE0EEENS1_30default_config_static_selectorELNS0_4arch9wavefront6targetE1EEEvT1_.has_recursion, 0
	.set _ZN7rocprim17ROCPRIM_400000_NS6detail17trampoline_kernelINS0_14default_configENS1_25transform_config_selectorIdLb1EEEZNS1_14transform_implILb1ES3_S5_PdS7_NS0_8identityIdEEEE10hipError_tT2_T3_mT4_P12ihipStream_tbEUlT_E_NS1_11comp_targetILNS1_3genE4ELNS1_11target_archE910ELNS1_3gpuE8ELNS1_3repE0EEENS1_30default_config_static_selectorELNS0_4arch9wavefront6targetE1EEEvT1_.has_indirect_call, 0
	.section	.AMDGPU.csdata,"",@progbits
; Kernel info:
; codeLenInByte = 0
; TotalNumSgprs: 4
; NumVgprs: 0
; ScratchSize: 0
; MemoryBound: 0
; FloatMode: 240
; IeeeMode: 1
; LDSByteSize: 0 bytes/workgroup (compile time only)
; SGPRBlocks: 0
; VGPRBlocks: 0
; NumSGPRsForWavesPerEU: 4
; NumVGPRsForWavesPerEU: 1
; Occupancy: 10
; WaveLimiterHint : 0
; COMPUTE_PGM_RSRC2:SCRATCH_EN: 0
; COMPUTE_PGM_RSRC2:USER_SGPR: 6
; COMPUTE_PGM_RSRC2:TRAP_HANDLER: 0
; COMPUTE_PGM_RSRC2:TGID_X_EN: 1
; COMPUTE_PGM_RSRC2:TGID_Y_EN: 0
; COMPUTE_PGM_RSRC2:TGID_Z_EN: 0
; COMPUTE_PGM_RSRC2:TIDIG_COMP_CNT: 0
	.section	.text._ZN7rocprim17ROCPRIM_400000_NS6detail17trampoline_kernelINS0_14default_configENS1_25transform_config_selectorIdLb1EEEZNS1_14transform_implILb1ES3_S5_PdS7_NS0_8identityIdEEEE10hipError_tT2_T3_mT4_P12ihipStream_tbEUlT_E_NS1_11comp_targetILNS1_3genE3ELNS1_11target_archE908ELNS1_3gpuE7ELNS1_3repE0EEENS1_30default_config_static_selectorELNS0_4arch9wavefront6targetE1EEEvT1_,"axG",@progbits,_ZN7rocprim17ROCPRIM_400000_NS6detail17trampoline_kernelINS0_14default_configENS1_25transform_config_selectorIdLb1EEEZNS1_14transform_implILb1ES3_S5_PdS7_NS0_8identityIdEEEE10hipError_tT2_T3_mT4_P12ihipStream_tbEUlT_E_NS1_11comp_targetILNS1_3genE3ELNS1_11target_archE908ELNS1_3gpuE7ELNS1_3repE0EEENS1_30default_config_static_selectorELNS0_4arch9wavefront6targetE1EEEvT1_,comdat
	.protected	_ZN7rocprim17ROCPRIM_400000_NS6detail17trampoline_kernelINS0_14default_configENS1_25transform_config_selectorIdLb1EEEZNS1_14transform_implILb1ES3_S5_PdS7_NS0_8identityIdEEEE10hipError_tT2_T3_mT4_P12ihipStream_tbEUlT_E_NS1_11comp_targetILNS1_3genE3ELNS1_11target_archE908ELNS1_3gpuE7ELNS1_3repE0EEENS1_30default_config_static_selectorELNS0_4arch9wavefront6targetE1EEEvT1_ ; -- Begin function _ZN7rocprim17ROCPRIM_400000_NS6detail17trampoline_kernelINS0_14default_configENS1_25transform_config_selectorIdLb1EEEZNS1_14transform_implILb1ES3_S5_PdS7_NS0_8identityIdEEEE10hipError_tT2_T3_mT4_P12ihipStream_tbEUlT_E_NS1_11comp_targetILNS1_3genE3ELNS1_11target_archE908ELNS1_3gpuE7ELNS1_3repE0EEENS1_30default_config_static_selectorELNS0_4arch9wavefront6targetE1EEEvT1_
	.globl	_ZN7rocprim17ROCPRIM_400000_NS6detail17trampoline_kernelINS0_14default_configENS1_25transform_config_selectorIdLb1EEEZNS1_14transform_implILb1ES3_S5_PdS7_NS0_8identityIdEEEE10hipError_tT2_T3_mT4_P12ihipStream_tbEUlT_E_NS1_11comp_targetILNS1_3genE3ELNS1_11target_archE908ELNS1_3gpuE7ELNS1_3repE0EEENS1_30default_config_static_selectorELNS0_4arch9wavefront6targetE1EEEvT1_
	.p2align	8
	.type	_ZN7rocprim17ROCPRIM_400000_NS6detail17trampoline_kernelINS0_14default_configENS1_25transform_config_selectorIdLb1EEEZNS1_14transform_implILb1ES3_S5_PdS7_NS0_8identityIdEEEE10hipError_tT2_T3_mT4_P12ihipStream_tbEUlT_E_NS1_11comp_targetILNS1_3genE3ELNS1_11target_archE908ELNS1_3gpuE7ELNS1_3repE0EEENS1_30default_config_static_selectorELNS0_4arch9wavefront6targetE1EEEvT1_,@function
_ZN7rocprim17ROCPRIM_400000_NS6detail17trampoline_kernelINS0_14default_configENS1_25transform_config_selectorIdLb1EEEZNS1_14transform_implILb1ES3_S5_PdS7_NS0_8identityIdEEEE10hipError_tT2_T3_mT4_P12ihipStream_tbEUlT_E_NS1_11comp_targetILNS1_3genE3ELNS1_11target_archE908ELNS1_3gpuE7ELNS1_3repE0EEENS1_30default_config_static_selectorELNS0_4arch9wavefront6targetE1EEEvT1_: ; @_ZN7rocprim17ROCPRIM_400000_NS6detail17trampoline_kernelINS0_14default_configENS1_25transform_config_selectorIdLb1EEEZNS1_14transform_implILb1ES3_S5_PdS7_NS0_8identityIdEEEE10hipError_tT2_T3_mT4_P12ihipStream_tbEUlT_E_NS1_11comp_targetILNS1_3genE3ELNS1_11target_archE908ELNS1_3gpuE7ELNS1_3repE0EEENS1_30default_config_static_selectorELNS0_4arch9wavefront6targetE1EEEvT1_
; %bb.0:
	.section	.rodata,"a",@progbits
	.p2align	6, 0x0
	.amdhsa_kernel _ZN7rocprim17ROCPRIM_400000_NS6detail17trampoline_kernelINS0_14default_configENS1_25transform_config_selectorIdLb1EEEZNS1_14transform_implILb1ES3_S5_PdS7_NS0_8identityIdEEEE10hipError_tT2_T3_mT4_P12ihipStream_tbEUlT_E_NS1_11comp_targetILNS1_3genE3ELNS1_11target_archE908ELNS1_3gpuE7ELNS1_3repE0EEENS1_30default_config_static_selectorELNS0_4arch9wavefront6targetE1EEEvT1_
		.amdhsa_group_segment_fixed_size 0
		.amdhsa_private_segment_fixed_size 0
		.amdhsa_kernarg_size 40
		.amdhsa_user_sgpr_count 6
		.amdhsa_user_sgpr_private_segment_buffer 1
		.amdhsa_user_sgpr_dispatch_ptr 0
		.amdhsa_user_sgpr_queue_ptr 0
		.amdhsa_user_sgpr_kernarg_segment_ptr 1
		.amdhsa_user_sgpr_dispatch_id 0
		.amdhsa_user_sgpr_flat_scratch_init 0
		.amdhsa_user_sgpr_private_segment_size 0
		.amdhsa_uses_dynamic_stack 0
		.amdhsa_system_sgpr_private_segment_wavefront_offset 0
		.amdhsa_system_sgpr_workgroup_id_x 1
		.amdhsa_system_sgpr_workgroup_id_y 0
		.amdhsa_system_sgpr_workgroup_id_z 0
		.amdhsa_system_sgpr_workgroup_info 0
		.amdhsa_system_vgpr_workitem_id 0
		.amdhsa_next_free_vgpr 1
		.amdhsa_next_free_sgpr 0
		.amdhsa_reserve_vcc 0
		.amdhsa_reserve_flat_scratch 0
		.amdhsa_float_round_mode_32 0
		.amdhsa_float_round_mode_16_64 0
		.amdhsa_float_denorm_mode_32 3
		.amdhsa_float_denorm_mode_16_64 3
		.amdhsa_dx10_clamp 1
		.amdhsa_ieee_mode 1
		.amdhsa_fp16_overflow 0
		.amdhsa_exception_fp_ieee_invalid_op 0
		.amdhsa_exception_fp_denorm_src 0
		.amdhsa_exception_fp_ieee_div_zero 0
		.amdhsa_exception_fp_ieee_overflow 0
		.amdhsa_exception_fp_ieee_underflow 0
		.amdhsa_exception_fp_ieee_inexact 0
		.amdhsa_exception_int_div_zero 0
	.end_amdhsa_kernel
	.section	.text._ZN7rocprim17ROCPRIM_400000_NS6detail17trampoline_kernelINS0_14default_configENS1_25transform_config_selectorIdLb1EEEZNS1_14transform_implILb1ES3_S5_PdS7_NS0_8identityIdEEEE10hipError_tT2_T3_mT4_P12ihipStream_tbEUlT_E_NS1_11comp_targetILNS1_3genE3ELNS1_11target_archE908ELNS1_3gpuE7ELNS1_3repE0EEENS1_30default_config_static_selectorELNS0_4arch9wavefront6targetE1EEEvT1_,"axG",@progbits,_ZN7rocprim17ROCPRIM_400000_NS6detail17trampoline_kernelINS0_14default_configENS1_25transform_config_selectorIdLb1EEEZNS1_14transform_implILb1ES3_S5_PdS7_NS0_8identityIdEEEE10hipError_tT2_T3_mT4_P12ihipStream_tbEUlT_E_NS1_11comp_targetILNS1_3genE3ELNS1_11target_archE908ELNS1_3gpuE7ELNS1_3repE0EEENS1_30default_config_static_selectorELNS0_4arch9wavefront6targetE1EEEvT1_,comdat
.Lfunc_end1594:
	.size	_ZN7rocprim17ROCPRIM_400000_NS6detail17trampoline_kernelINS0_14default_configENS1_25transform_config_selectorIdLb1EEEZNS1_14transform_implILb1ES3_S5_PdS7_NS0_8identityIdEEEE10hipError_tT2_T3_mT4_P12ihipStream_tbEUlT_E_NS1_11comp_targetILNS1_3genE3ELNS1_11target_archE908ELNS1_3gpuE7ELNS1_3repE0EEENS1_30default_config_static_selectorELNS0_4arch9wavefront6targetE1EEEvT1_, .Lfunc_end1594-_ZN7rocprim17ROCPRIM_400000_NS6detail17trampoline_kernelINS0_14default_configENS1_25transform_config_selectorIdLb1EEEZNS1_14transform_implILb1ES3_S5_PdS7_NS0_8identityIdEEEE10hipError_tT2_T3_mT4_P12ihipStream_tbEUlT_E_NS1_11comp_targetILNS1_3genE3ELNS1_11target_archE908ELNS1_3gpuE7ELNS1_3repE0EEENS1_30default_config_static_selectorELNS0_4arch9wavefront6targetE1EEEvT1_
                                        ; -- End function
	.set _ZN7rocprim17ROCPRIM_400000_NS6detail17trampoline_kernelINS0_14default_configENS1_25transform_config_selectorIdLb1EEEZNS1_14transform_implILb1ES3_S5_PdS7_NS0_8identityIdEEEE10hipError_tT2_T3_mT4_P12ihipStream_tbEUlT_E_NS1_11comp_targetILNS1_3genE3ELNS1_11target_archE908ELNS1_3gpuE7ELNS1_3repE0EEENS1_30default_config_static_selectorELNS0_4arch9wavefront6targetE1EEEvT1_.num_vgpr, 0
	.set _ZN7rocprim17ROCPRIM_400000_NS6detail17trampoline_kernelINS0_14default_configENS1_25transform_config_selectorIdLb1EEEZNS1_14transform_implILb1ES3_S5_PdS7_NS0_8identityIdEEEE10hipError_tT2_T3_mT4_P12ihipStream_tbEUlT_E_NS1_11comp_targetILNS1_3genE3ELNS1_11target_archE908ELNS1_3gpuE7ELNS1_3repE0EEENS1_30default_config_static_selectorELNS0_4arch9wavefront6targetE1EEEvT1_.num_agpr, 0
	.set _ZN7rocprim17ROCPRIM_400000_NS6detail17trampoline_kernelINS0_14default_configENS1_25transform_config_selectorIdLb1EEEZNS1_14transform_implILb1ES3_S5_PdS7_NS0_8identityIdEEEE10hipError_tT2_T3_mT4_P12ihipStream_tbEUlT_E_NS1_11comp_targetILNS1_3genE3ELNS1_11target_archE908ELNS1_3gpuE7ELNS1_3repE0EEENS1_30default_config_static_selectorELNS0_4arch9wavefront6targetE1EEEvT1_.numbered_sgpr, 0
	.set _ZN7rocprim17ROCPRIM_400000_NS6detail17trampoline_kernelINS0_14default_configENS1_25transform_config_selectorIdLb1EEEZNS1_14transform_implILb1ES3_S5_PdS7_NS0_8identityIdEEEE10hipError_tT2_T3_mT4_P12ihipStream_tbEUlT_E_NS1_11comp_targetILNS1_3genE3ELNS1_11target_archE908ELNS1_3gpuE7ELNS1_3repE0EEENS1_30default_config_static_selectorELNS0_4arch9wavefront6targetE1EEEvT1_.num_named_barrier, 0
	.set _ZN7rocprim17ROCPRIM_400000_NS6detail17trampoline_kernelINS0_14default_configENS1_25transform_config_selectorIdLb1EEEZNS1_14transform_implILb1ES3_S5_PdS7_NS0_8identityIdEEEE10hipError_tT2_T3_mT4_P12ihipStream_tbEUlT_E_NS1_11comp_targetILNS1_3genE3ELNS1_11target_archE908ELNS1_3gpuE7ELNS1_3repE0EEENS1_30default_config_static_selectorELNS0_4arch9wavefront6targetE1EEEvT1_.private_seg_size, 0
	.set _ZN7rocprim17ROCPRIM_400000_NS6detail17trampoline_kernelINS0_14default_configENS1_25transform_config_selectorIdLb1EEEZNS1_14transform_implILb1ES3_S5_PdS7_NS0_8identityIdEEEE10hipError_tT2_T3_mT4_P12ihipStream_tbEUlT_E_NS1_11comp_targetILNS1_3genE3ELNS1_11target_archE908ELNS1_3gpuE7ELNS1_3repE0EEENS1_30default_config_static_selectorELNS0_4arch9wavefront6targetE1EEEvT1_.uses_vcc, 0
	.set _ZN7rocprim17ROCPRIM_400000_NS6detail17trampoline_kernelINS0_14default_configENS1_25transform_config_selectorIdLb1EEEZNS1_14transform_implILb1ES3_S5_PdS7_NS0_8identityIdEEEE10hipError_tT2_T3_mT4_P12ihipStream_tbEUlT_E_NS1_11comp_targetILNS1_3genE3ELNS1_11target_archE908ELNS1_3gpuE7ELNS1_3repE0EEENS1_30default_config_static_selectorELNS0_4arch9wavefront6targetE1EEEvT1_.uses_flat_scratch, 0
	.set _ZN7rocprim17ROCPRIM_400000_NS6detail17trampoline_kernelINS0_14default_configENS1_25transform_config_selectorIdLb1EEEZNS1_14transform_implILb1ES3_S5_PdS7_NS0_8identityIdEEEE10hipError_tT2_T3_mT4_P12ihipStream_tbEUlT_E_NS1_11comp_targetILNS1_3genE3ELNS1_11target_archE908ELNS1_3gpuE7ELNS1_3repE0EEENS1_30default_config_static_selectorELNS0_4arch9wavefront6targetE1EEEvT1_.has_dyn_sized_stack, 0
	.set _ZN7rocprim17ROCPRIM_400000_NS6detail17trampoline_kernelINS0_14default_configENS1_25transform_config_selectorIdLb1EEEZNS1_14transform_implILb1ES3_S5_PdS7_NS0_8identityIdEEEE10hipError_tT2_T3_mT4_P12ihipStream_tbEUlT_E_NS1_11comp_targetILNS1_3genE3ELNS1_11target_archE908ELNS1_3gpuE7ELNS1_3repE0EEENS1_30default_config_static_selectorELNS0_4arch9wavefront6targetE1EEEvT1_.has_recursion, 0
	.set _ZN7rocprim17ROCPRIM_400000_NS6detail17trampoline_kernelINS0_14default_configENS1_25transform_config_selectorIdLb1EEEZNS1_14transform_implILb1ES3_S5_PdS7_NS0_8identityIdEEEE10hipError_tT2_T3_mT4_P12ihipStream_tbEUlT_E_NS1_11comp_targetILNS1_3genE3ELNS1_11target_archE908ELNS1_3gpuE7ELNS1_3repE0EEENS1_30default_config_static_selectorELNS0_4arch9wavefront6targetE1EEEvT1_.has_indirect_call, 0
	.section	.AMDGPU.csdata,"",@progbits
; Kernel info:
; codeLenInByte = 0
; TotalNumSgprs: 4
; NumVgprs: 0
; ScratchSize: 0
; MemoryBound: 0
; FloatMode: 240
; IeeeMode: 1
; LDSByteSize: 0 bytes/workgroup (compile time only)
; SGPRBlocks: 0
; VGPRBlocks: 0
; NumSGPRsForWavesPerEU: 4
; NumVGPRsForWavesPerEU: 1
; Occupancy: 10
; WaveLimiterHint : 0
; COMPUTE_PGM_RSRC2:SCRATCH_EN: 0
; COMPUTE_PGM_RSRC2:USER_SGPR: 6
; COMPUTE_PGM_RSRC2:TRAP_HANDLER: 0
; COMPUTE_PGM_RSRC2:TGID_X_EN: 1
; COMPUTE_PGM_RSRC2:TGID_Y_EN: 0
; COMPUTE_PGM_RSRC2:TGID_Z_EN: 0
; COMPUTE_PGM_RSRC2:TIDIG_COMP_CNT: 0
	.section	.text._ZN7rocprim17ROCPRIM_400000_NS6detail17trampoline_kernelINS0_14default_configENS1_25transform_config_selectorIdLb1EEEZNS1_14transform_implILb1ES3_S5_PdS7_NS0_8identityIdEEEE10hipError_tT2_T3_mT4_P12ihipStream_tbEUlT_E_NS1_11comp_targetILNS1_3genE2ELNS1_11target_archE906ELNS1_3gpuE6ELNS1_3repE0EEENS1_30default_config_static_selectorELNS0_4arch9wavefront6targetE1EEEvT1_,"axG",@progbits,_ZN7rocprim17ROCPRIM_400000_NS6detail17trampoline_kernelINS0_14default_configENS1_25transform_config_selectorIdLb1EEEZNS1_14transform_implILb1ES3_S5_PdS7_NS0_8identityIdEEEE10hipError_tT2_T3_mT4_P12ihipStream_tbEUlT_E_NS1_11comp_targetILNS1_3genE2ELNS1_11target_archE906ELNS1_3gpuE6ELNS1_3repE0EEENS1_30default_config_static_selectorELNS0_4arch9wavefront6targetE1EEEvT1_,comdat
	.protected	_ZN7rocprim17ROCPRIM_400000_NS6detail17trampoline_kernelINS0_14default_configENS1_25transform_config_selectorIdLb1EEEZNS1_14transform_implILb1ES3_S5_PdS7_NS0_8identityIdEEEE10hipError_tT2_T3_mT4_P12ihipStream_tbEUlT_E_NS1_11comp_targetILNS1_3genE2ELNS1_11target_archE906ELNS1_3gpuE6ELNS1_3repE0EEENS1_30default_config_static_selectorELNS0_4arch9wavefront6targetE1EEEvT1_ ; -- Begin function _ZN7rocprim17ROCPRIM_400000_NS6detail17trampoline_kernelINS0_14default_configENS1_25transform_config_selectorIdLb1EEEZNS1_14transform_implILb1ES3_S5_PdS7_NS0_8identityIdEEEE10hipError_tT2_T3_mT4_P12ihipStream_tbEUlT_E_NS1_11comp_targetILNS1_3genE2ELNS1_11target_archE906ELNS1_3gpuE6ELNS1_3repE0EEENS1_30default_config_static_selectorELNS0_4arch9wavefront6targetE1EEEvT1_
	.globl	_ZN7rocprim17ROCPRIM_400000_NS6detail17trampoline_kernelINS0_14default_configENS1_25transform_config_selectorIdLb1EEEZNS1_14transform_implILb1ES3_S5_PdS7_NS0_8identityIdEEEE10hipError_tT2_T3_mT4_P12ihipStream_tbEUlT_E_NS1_11comp_targetILNS1_3genE2ELNS1_11target_archE906ELNS1_3gpuE6ELNS1_3repE0EEENS1_30default_config_static_selectorELNS0_4arch9wavefront6targetE1EEEvT1_
	.p2align	8
	.type	_ZN7rocprim17ROCPRIM_400000_NS6detail17trampoline_kernelINS0_14default_configENS1_25transform_config_selectorIdLb1EEEZNS1_14transform_implILb1ES3_S5_PdS7_NS0_8identityIdEEEE10hipError_tT2_T3_mT4_P12ihipStream_tbEUlT_E_NS1_11comp_targetILNS1_3genE2ELNS1_11target_archE906ELNS1_3gpuE6ELNS1_3repE0EEENS1_30default_config_static_selectorELNS0_4arch9wavefront6targetE1EEEvT1_,@function
_ZN7rocprim17ROCPRIM_400000_NS6detail17trampoline_kernelINS0_14default_configENS1_25transform_config_selectorIdLb1EEEZNS1_14transform_implILb1ES3_S5_PdS7_NS0_8identityIdEEEE10hipError_tT2_T3_mT4_P12ihipStream_tbEUlT_E_NS1_11comp_targetILNS1_3genE2ELNS1_11target_archE906ELNS1_3gpuE6ELNS1_3repE0EEENS1_30default_config_static_selectorELNS0_4arch9wavefront6targetE1EEEvT1_: ; @_ZN7rocprim17ROCPRIM_400000_NS6detail17trampoline_kernelINS0_14default_configENS1_25transform_config_selectorIdLb1EEEZNS1_14transform_implILb1ES3_S5_PdS7_NS0_8identityIdEEEE10hipError_tT2_T3_mT4_P12ihipStream_tbEUlT_E_NS1_11comp_targetILNS1_3genE2ELNS1_11target_archE906ELNS1_3gpuE6ELNS1_3repE0EEENS1_30default_config_static_selectorELNS0_4arch9wavefront6targetE1EEEvT1_
; %bb.0:
	s_load_dword s1, s[4:5], 0x28
	s_load_dword s7, s[4:5], 0x10
	s_lshl_b32 s0, s6, 10
	s_waitcnt lgkmcnt(0)
	s_add_i32 s1, s1, -1
	s_cmp_lg_u32 s6, s1
	s_cselect_b64 s[2:3], -1, 0
	s_sub_i32 s1, s7, s0
	v_cmp_gt_u32_e32 vcc, s1, v0
	s_or_b64 s[2:3], vcc, s[2:3]
	s_and_saveexec_b64 s[6:7], s[2:3]
	s_cbranch_execz .LBB1595_2
; %bb.1:
	s_load_dwordx4 s[8:11], s[4:5], 0x0
	s_load_dwordx2 s[2:3], s[4:5], 0x18
	s_mov_b32 s1, 0
	v_lshlrev_b32_e32 v2, 3, v0
	s_waitcnt lgkmcnt(0)
	s_lshl_b64 s[4:5], s[10:11], 3
	s_add_u32 s6, s8, s4
	s_addc_u32 s7, s9, s5
	s_lshl_b64 s[0:1], s[0:1], 3
	s_add_u32 s6, s6, s0
	s_addc_u32 s7, s7, s1
	global_load_dwordx2 v[0:1], v2, s[6:7]
	s_add_u32 s2, s2, s4
	s_addc_u32 s3, s3, s5
	s_add_u32 s0, s2, s0
	s_addc_u32 s1, s3, s1
	s_waitcnt vmcnt(0)
	global_store_dwordx2 v2, v[0:1], s[0:1]
.LBB1595_2:
	s_endpgm
	.section	.rodata,"a",@progbits
	.p2align	6, 0x0
	.amdhsa_kernel _ZN7rocprim17ROCPRIM_400000_NS6detail17trampoline_kernelINS0_14default_configENS1_25transform_config_selectorIdLb1EEEZNS1_14transform_implILb1ES3_S5_PdS7_NS0_8identityIdEEEE10hipError_tT2_T3_mT4_P12ihipStream_tbEUlT_E_NS1_11comp_targetILNS1_3genE2ELNS1_11target_archE906ELNS1_3gpuE6ELNS1_3repE0EEENS1_30default_config_static_selectorELNS0_4arch9wavefront6targetE1EEEvT1_
		.amdhsa_group_segment_fixed_size 0
		.amdhsa_private_segment_fixed_size 0
		.amdhsa_kernarg_size 296
		.amdhsa_user_sgpr_count 6
		.amdhsa_user_sgpr_private_segment_buffer 1
		.amdhsa_user_sgpr_dispatch_ptr 0
		.amdhsa_user_sgpr_queue_ptr 0
		.amdhsa_user_sgpr_kernarg_segment_ptr 1
		.amdhsa_user_sgpr_dispatch_id 0
		.amdhsa_user_sgpr_flat_scratch_init 0
		.amdhsa_user_sgpr_private_segment_size 0
		.amdhsa_uses_dynamic_stack 0
		.amdhsa_system_sgpr_private_segment_wavefront_offset 0
		.amdhsa_system_sgpr_workgroup_id_x 1
		.amdhsa_system_sgpr_workgroup_id_y 0
		.amdhsa_system_sgpr_workgroup_id_z 0
		.amdhsa_system_sgpr_workgroup_info 0
		.amdhsa_system_vgpr_workitem_id 0
		.amdhsa_next_free_vgpr 3
		.amdhsa_next_free_sgpr 12
		.amdhsa_reserve_vcc 1
		.amdhsa_reserve_flat_scratch 0
		.amdhsa_float_round_mode_32 0
		.amdhsa_float_round_mode_16_64 0
		.amdhsa_float_denorm_mode_32 3
		.amdhsa_float_denorm_mode_16_64 3
		.amdhsa_dx10_clamp 1
		.amdhsa_ieee_mode 1
		.amdhsa_fp16_overflow 0
		.amdhsa_exception_fp_ieee_invalid_op 0
		.amdhsa_exception_fp_denorm_src 0
		.amdhsa_exception_fp_ieee_div_zero 0
		.amdhsa_exception_fp_ieee_overflow 0
		.amdhsa_exception_fp_ieee_underflow 0
		.amdhsa_exception_fp_ieee_inexact 0
		.amdhsa_exception_int_div_zero 0
	.end_amdhsa_kernel
	.section	.text._ZN7rocprim17ROCPRIM_400000_NS6detail17trampoline_kernelINS0_14default_configENS1_25transform_config_selectorIdLb1EEEZNS1_14transform_implILb1ES3_S5_PdS7_NS0_8identityIdEEEE10hipError_tT2_T3_mT4_P12ihipStream_tbEUlT_E_NS1_11comp_targetILNS1_3genE2ELNS1_11target_archE906ELNS1_3gpuE6ELNS1_3repE0EEENS1_30default_config_static_selectorELNS0_4arch9wavefront6targetE1EEEvT1_,"axG",@progbits,_ZN7rocprim17ROCPRIM_400000_NS6detail17trampoline_kernelINS0_14default_configENS1_25transform_config_selectorIdLb1EEEZNS1_14transform_implILb1ES3_S5_PdS7_NS0_8identityIdEEEE10hipError_tT2_T3_mT4_P12ihipStream_tbEUlT_E_NS1_11comp_targetILNS1_3genE2ELNS1_11target_archE906ELNS1_3gpuE6ELNS1_3repE0EEENS1_30default_config_static_selectorELNS0_4arch9wavefront6targetE1EEEvT1_,comdat
.Lfunc_end1595:
	.size	_ZN7rocprim17ROCPRIM_400000_NS6detail17trampoline_kernelINS0_14default_configENS1_25transform_config_selectorIdLb1EEEZNS1_14transform_implILb1ES3_S5_PdS7_NS0_8identityIdEEEE10hipError_tT2_T3_mT4_P12ihipStream_tbEUlT_E_NS1_11comp_targetILNS1_3genE2ELNS1_11target_archE906ELNS1_3gpuE6ELNS1_3repE0EEENS1_30default_config_static_selectorELNS0_4arch9wavefront6targetE1EEEvT1_, .Lfunc_end1595-_ZN7rocprim17ROCPRIM_400000_NS6detail17trampoline_kernelINS0_14default_configENS1_25transform_config_selectorIdLb1EEEZNS1_14transform_implILb1ES3_S5_PdS7_NS0_8identityIdEEEE10hipError_tT2_T3_mT4_P12ihipStream_tbEUlT_E_NS1_11comp_targetILNS1_3genE2ELNS1_11target_archE906ELNS1_3gpuE6ELNS1_3repE0EEENS1_30default_config_static_selectorELNS0_4arch9wavefront6targetE1EEEvT1_
                                        ; -- End function
	.set _ZN7rocprim17ROCPRIM_400000_NS6detail17trampoline_kernelINS0_14default_configENS1_25transform_config_selectorIdLb1EEEZNS1_14transform_implILb1ES3_S5_PdS7_NS0_8identityIdEEEE10hipError_tT2_T3_mT4_P12ihipStream_tbEUlT_E_NS1_11comp_targetILNS1_3genE2ELNS1_11target_archE906ELNS1_3gpuE6ELNS1_3repE0EEENS1_30default_config_static_selectorELNS0_4arch9wavefront6targetE1EEEvT1_.num_vgpr, 3
	.set _ZN7rocprim17ROCPRIM_400000_NS6detail17trampoline_kernelINS0_14default_configENS1_25transform_config_selectorIdLb1EEEZNS1_14transform_implILb1ES3_S5_PdS7_NS0_8identityIdEEEE10hipError_tT2_T3_mT4_P12ihipStream_tbEUlT_E_NS1_11comp_targetILNS1_3genE2ELNS1_11target_archE906ELNS1_3gpuE6ELNS1_3repE0EEENS1_30default_config_static_selectorELNS0_4arch9wavefront6targetE1EEEvT1_.num_agpr, 0
	.set _ZN7rocprim17ROCPRIM_400000_NS6detail17trampoline_kernelINS0_14default_configENS1_25transform_config_selectorIdLb1EEEZNS1_14transform_implILb1ES3_S5_PdS7_NS0_8identityIdEEEE10hipError_tT2_T3_mT4_P12ihipStream_tbEUlT_E_NS1_11comp_targetILNS1_3genE2ELNS1_11target_archE906ELNS1_3gpuE6ELNS1_3repE0EEENS1_30default_config_static_selectorELNS0_4arch9wavefront6targetE1EEEvT1_.numbered_sgpr, 12
	.set _ZN7rocprim17ROCPRIM_400000_NS6detail17trampoline_kernelINS0_14default_configENS1_25transform_config_selectorIdLb1EEEZNS1_14transform_implILb1ES3_S5_PdS7_NS0_8identityIdEEEE10hipError_tT2_T3_mT4_P12ihipStream_tbEUlT_E_NS1_11comp_targetILNS1_3genE2ELNS1_11target_archE906ELNS1_3gpuE6ELNS1_3repE0EEENS1_30default_config_static_selectorELNS0_4arch9wavefront6targetE1EEEvT1_.num_named_barrier, 0
	.set _ZN7rocprim17ROCPRIM_400000_NS6detail17trampoline_kernelINS0_14default_configENS1_25transform_config_selectorIdLb1EEEZNS1_14transform_implILb1ES3_S5_PdS7_NS0_8identityIdEEEE10hipError_tT2_T3_mT4_P12ihipStream_tbEUlT_E_NS1_11comp_targetILNS1_3genE2ELNS1_11target_archE906ELNS1_3gpuE6ELNS1_3repE0EEENS1_30default_config_static_selectorELNS0_4arch9wavefront6targetE1EEEvT1_.private_seg_size, 0
	.set _ZN7rocprim17ROCPRIM_400000_NS6detail17trampoline_kernelINS0_14default_configENS1_25transform_config_selectorIdLb1EEEZNS1_14transform_implILb1ES3_S5_PdS7_NS0_8identityIdEEEE10hipError_tT2_T3_mT4_P12ihipStream_tbEUlT_E_NS1_11comp_targetILNS1_3genE2ELNS1_11target_archE906ELNS1_3gpuE6ELNS1_3repE0EEENS1_30default_config_static_selectorELNS0_4arch9wavefront6targetE1EEEvT1_.uses_vcc, 1
	.set _ZN7rocprim17ROCPRIM_400000_NS6detail17trampoline_kernelINS0_14default_configENS1_25transform_config_selectorIdLb1EEEZNS1_14transform_implILb1ES3_S5_PdS7_NS0_8identityIdEEEE10hipError_tT2_T3_mT4_P12ihipStream_tbEUlT_E_NS1_11comp_targetILNS1_3genE2ELNS1_11target_archE906ELNS1_3gpuE6ELNS1_3repE0EEENS1_30default_config_static_selectorELNS0_4arch9wavefront6targetE1EEEvT1_.uses_flat_scratch, 0
	.set _ZN7rocprim17ROCPRIM_400000_NS6detail17trampoline_kernelINS0_14default_configENS1_25transform_config_selectorIdLb1EEEZNS1_14transform_implILb1ES3_S5_PdS7_NS0_8identityIdEEEE10hipError_tT2_T3_mT4_P12ihipStream_tbEUlT_E_NS1_11comp_targetILNS1_3genE2ELNS1_11target_archE906ELNS1_3gpuE6ELNS1_3repE0EEENS1_30default_config_static_selectorELNS0_4arch9wavefront6targetE1EEEvT1_.has_dyn_sized_stack, 0
	.set _ZN7rocprim17ROCPRIM_400000_NS6detail17trampoline_kernelINS0_14default_configENS1_25transform_config_selectorIdLb1EEEZNS1_14transform_implILb1ES3_S5_PdS7_NS0_8identityIdEEEE10hipError_tT2_T3_mT4_P12ihipStream_tbEUlT_E_NS1_11comp_targetILNS1_3genE2ELNS1_11target_archE906ELNS1_3gpuE6ELNS1_3repE0EEENS1_30default_config_static_selectorELNS0_4arch9wavefront6targetE1EEEvT1_.has_recursion, 0
	.set _ZN7rocprim17ROCPRIM_400000_NS6detail17trampoline_kernelINS0_14default_configENS1_25transform_config_selectorIdLb1EEEZNS1_14transform_implILb1ES3_S5_PdS7_NS0_8identityIdEEEE10hipError_tT2_T3_mT4_P12ihipStream_tbEUlT_E_NS1_11comp_targetILNS1_3genE2ELNS1_11target_archE906ELNS1_3gpuE6ELNS1_3repE0EEENS1_30default_config_static_selectorELNS0_4arch9wavefront6targetE1EEEvT1_.has_indirect_call, 0
	.section	.AMDGPU.csdata,"",@progbits
; Kernel info:
; codeLenInByte = 148
; TotalNumSgprs: 16
; NumVgprs: 3
; ScratchSize: 0
; MemoryBound: 0
; FloatMode: 240
; IeeeMode: 1
; LDSByteSize: 0 bytes/workgroup (compile time only)
; SGPRBlocks: 1
; VGPRBlocks: 0
; NumSGPRsForWavesPerEU: 16
; NumVGPRsForWavesPerEU: 3
; Occupancy: 10
; WaveLimiterHint : 0
; COMPUTE_PGM_RSRC2:SCRATCH_EN: 0
; COMPUTE_PGM_RSRC2:USER_SGPR: 6
; COMPUTE_PGM_RSRC2:TRAP_HANDLER: 0
; COMPUTE_PGM_RSRC2:TGID_X_EN: 1
; COMPUTE_PGM_RSRC2:TGID_Y_EN: 0
; COMPUTE_PGM_RSRC2:TGID_Z_EN: 0
; COMPUTE_PGM_RSRC2:TIDIG_COMP_CNT: 0
	.section	.text._ZN7rocprim17ROCPRIM_400000_NS6detail17trampoline_kernelINS0_14default_configENS1_25transform_config_selectorIdLb1EEEZNS1_14transform_implILb1ES3_S5_PdS7_NS0_8identityIdEEEE10hipError_tT2_T3_mT4_P12ihipStream_tbEUlT_E_NS1_11comp_targetILNS1_3genE9ELNS1_11target_archE1100ELNS1_3gpuE3ELNS1_3repE0EEENS1_30default_config_static_selectorELNS0_4arch9wavefront6targetE1EEEvT1_,"axG",@progbits,_ZN7rocprim17ROCPRIM_400000_NS6detail17trampoline_kernelINS0_14default_configENS1_25transform_config_selectorIdLb1EEEZNS1_14transform_implILb1ES3_S5_PdS7_NS0_8identityIdEEEE10hipError_tT2_T3_mT4_P12ihipStream_tbEUlT_E_NS1_11comp_targetILNS1_3genE9ELNS1_11target_archE1100ELNS1_3gpuE3ELNS1_3repE0EEENS1_30default_config_static_selectorELNS0_4arch9wavefront6targetE1EEEvT1_,comdat
	.protected	_ZN7rocprim17ROCPRIM_400000_NS6detail17trampoline_kernelINS0_14default_configENS1_25transform_config_selectorIdLb1EEEZNS1_14transform_implILb1ES3_S5_PdS7_NS0_8identityIdEEEE10hipError_tT2_T3_mT4_P12ihipStream_tbEUlT_E_NS1_11comp_targetILNS1_3genE9ELNS1_11target_archE1100ELNS1_3gpuE3ELNS1_3repE0EEENS1_30default_config_static_selectorELNS0_4arch9wavefront6targetE1EEEvT1_ ; -- Begin function _ZN7rocprim17ROCPRIM_400000_NS6detail17trampoline_kernelINS0_14default_configENS1_25transform_config_selectorIdLb1EEEZNS1_14transform_implILb1ES3_S5_PdS7_NS0_8identityIdEEEE10hipError_tT2_T3_mT4_P12ihipStream_tbEUlT_E_NS1_11comp_targetILNS1_3genE9ELNS1_11target_archE1100ELNS1_3gpuE3ELNS1_3repE0EEENS1_30default_config_static_selectorELNS0_4arch9wavefront6targetE1EEEvT1_
	.globl	_ZN7rocprim17ROCPRIM_400000_NS6detail17trampoline_kernelINS0_14default_configENS1_25transform_config_selectorIdLb1EEEZNS1_14transform_implILb1ES3_S5_PdS7_NS0_8identityIdEEEE10hipError_tT2_T3_mT4_P12ihipStream_tbEUlT_E_NS1_11comp_targetILNS1_3genE9ELNS1_11target_archE1100ELNS1_3gpuE3ELNS1_3repE0EEENS1_30default_config_static_selectorELNS0_4arch9wavefront6targetE1EEEvT1_
	.p2align	8
	.type	_ZN7rocprim17ROCPRIM_400000_NS6detail17trampoline_kernelINS0_14default_configENS1_25transform_config_selectorIdLb1EEEZNS1_14transform_implILb1ES3_S5_PdS7_NS0_8identityIdEEEE10hipError_tT2_T3_mT4_P12ihipStream_tbEUlT_E_NS1_11comp_targetILNS1_3genE9ELNS1_11target_archE1100ELNS1_3gpuE3ELNS1_3repE0EEENS1_30default_config_static_selectorELNS0_4arch9wavefront6targetE1EEEvT1_,@function
_ZN7rocprim17ROCPRIM_400000_NS6detail17trampoline_kernelINS0_14default_configENS1_25transform_config_selectorIdLb1EEEZNS1_14transform_implILb1ES3_S5_PdS7_NS0_8identityIdEEEE10hipError_tT2_T3_mT4_P12ihipStream_tbEUlT_E_NS1_11comp_targetILNS1_3genE9ELNS1_11target_archE1100ELNS1_3gpuE3ELNS1_3repE0EEENS1_30default_config_static_selectorELNS0_4arch9wavefront6targetE1EEEvT1_: ; @_ZN7rocprim17ROCPRIM_400000_NS6detail17trampoline_kernelINS0_14default_configENS1_25transform_config_selectorIdLb1EEEZNS1_14transform_implILb1ES3_S5_PdS7_NS0_8identityIdEEEE10hipError_tT2_T3_mT4_P12ihipStream_tbEUlT_E_NS1_11comp_targetILNS1_3genE9ELNS1_11target_archE1100ELNS1_3gpuE3ELNS1_3repE0EEENS1_30default_config_static_selectorELNS0_4arch9wavefront6targetE1EEEvT1_
; %bb.0:
	.section	.rodata,"a",@progbits
	.p2align	6, 0x0
	.amdhsa_kernel _ZN7rocprim17ROCPRIM_400000_NS6detail17trampoline_kernelINS0_14default_configENS1_25transform_config_selectorIdLb1EEEZNS1_14transform_implILb1ES3_S5_PdS7_NS0_8identityIdEEEE10hipError_tT2_T3_mT4_P12ihipStream_tbEUlT_E_NS1_11comp_targetILNS1_3genE9ELNS1_11target_archE1100ELNS1_3gpuE3ELNS1_3repE0EEENS1_30default_config_static_selectorELNS0_4arch9wavefront6targetE1EEEvT1_
		.amdhsa_group_segment_fixed_size 0
		.amdhsa_private_segment_fixed_size 0
		.amdhsa_kernarg_size 40
		.amdhsa_user_sgpr_count 6
		.amdhsa_user_sgpr_private_segment_buffer 1
		.amdhsa_user_sgpr_dispatch_ptr 0
		.amdhsa_user_sgpr_queue_ptr 0
		.amdhsa_user_sgpr_kernarg_segment_ptr 1
		.amdhsa_user_sgpr_dispatch_id 0
		.amdhsa_user_sgpr_flat_scratch_init 0
		.amdhsa_user_sgpr_private_segment_size 0
		.amdhsa_uses_dynamic_stack 0
		.amdhsa_system_sgpr_private_segment_wavefront_offset 0
		.amdhsa_system_sgpr_workgroup_id_x 1
		.amdhsa_system_sgpr_workgroup_id_y 0
		.amdhsa_system_sgpr_workgroup_id_z 0
		.amdhsa_system_sgpr_workgroup_info 0
		.amdhsa_system_vgpr_workitem_id 0
		.amdhsa_next_free_vgpr 1
		.amdhsa_next_free_sgpr 0
		.amdhsa_reserve_vcc 0
		.amdhsa_reserve_flat_scratch 0
		.amdhsa_float_round_mode_32 0
		.amdhsa_float_round_mode_16_64 0
		.amdhsa_float_denorm_mode_32 3
		.amdhsa_float_denorm_mode_16_64 3
		.amdhsa_dx10_clamp 1
		.amdhsa_ieee_mode 1
		.amdhsa_fp16_overflow 0
		.amdhsa_exception_fp_ieee_invalid_op 0
		.amdhsa_exception_fp_denorm_src 0
		.amdhsa_exception_fp_ieee_div_zero 0
		.amdhsa_exception_fp_ieee_overflow 0
		.amdhsa_exception_fp_ieee_underflow 0
		.amdhsa_exception_fp_ieee_inexact 0
		.amdhsa_exception_int_div_zero 0
	.end_amdhsa_kernel
	.section	.text._ZN7rocprim17ROCPRIM_400000_NS6detail17trampoline_kernelINS0_14default_configENS1_25transform_config_selectorIdLb1EEEZNS1_14transform_implILb1ES3_S5_PdS7_NS0_8identityIdEEEE10hipError_tT2_T3_mT4_P12ihipStream_tbEUlT_E_NS1_11comp_targetILNS1_3genE9ELNS1_11target_archE1100ELNS1_3gpuE3ELNS1_3repE0EEENS1_30default_config_static_selectorELNS0_4arch9wavefront6targetE1EEEvT1_,"axG",@progbits,_ZN7rocprim17ROCPRIM_400000_NS6detail17trampoline_kernelINS0_14default_configENS1_25transform_config_selectorIdLb1EEEZNS1_14transform_implILb1ES3_S5_PdS7_NS0_8identityIdEEEE10hipError_tT2_T3_mT4_P12ihipStream_tbEUlT_E_NS1_11comp_targetILNS1_3genE9ELNS1_11target_archE1100ELNS1_3gpuE3ELNS1_3repE0EEENS1_30default_config_static_selectorELNS0_4arch9wavefront6targetE1EEEvT1_,comdat
.Lfunc_end1596:
	.size	_ZN7rocprim17ROCPRIM_400000_NS6detail17trampoline_kernelINS0_14default_configENS1_25transform_config_selectorIdLb1EEEZNS1_14transform_implILb1ES3_S5_PdS7_NS0_8identityIdEEEE10hipError_tT2_T3_mT4_P12ihipStream_tbEUlT_E_NS1_11comp_targetILNS1_3genE9ELNS1_11target_archE1100ELNS1_3gpuE3ELNS1_3repE0EEENS1_30default_config_static_selectorELNS0_4arch9wavefront6targetE1EEEvT1_, .Lfunc_end1596-_ZN7rocprim17ROCPRIM_400000_NS6detail17trampoline_kernelINS0_14default_configENS1_25transform_config_selectorIdLb1EEEZNS1_14transform_implILb1ES3_S5_PdS7_NS0_8identityIdEEEE10hipError_tT2_T3_mT4_P12ihipStream_tbEUlT_E_NS1_11comp_targetILNS1_3genE9ELNS1_11target_archE1100ELNS1_3gpuE3ELNS1_3repE0EEENS1_30default_config_static_selectorELNS0_4arch9wavefront6targetE1EEEvT1_
                                        ; -- End function
	.set _ZN7rocprim17ROCPRIM_400000_NS6detail17trampoline_kernelINS0_14default_configENS1_25transform_config_selectorIdLb1EEEZNS1_14transform_implILb1ES3_S5_PdS7_NS0_8identityIdEEEE10hipError_tT2_T3_mT4_P12ihipStream_tbEUlT_E_NS1_11comp_targetILNS1_3genE9ELNS1_11target_archE1100ELNS1_3gpuE3ELNS1_3repE0EEENS1_30default_config_static_selectorELNS0_4arch9wavefront6targetE1EEEvT1_.num_vgpr, 0
	.set _ZN7rocprim17ROCPRIM_400000_NS6detail17trampoline_kernelINS0_14default_configENS1_25transform_config_selectorIdLb1EEEZNS1_14transform_implILb1ES3_S5_PdS7_NS0_8identityIdEEEE10hipError_tT2_T3_mT4_P12ihipStream_tbEUlT_E_NS1_11comp_targetILNS1_3genE9ELNS1_11target_archE1100ELNS1_3gpuE3ELNS1_3repE0EEENS1_30default_config_static_selectorELNS0_4arch9wavefront6targetE1EEEvT1_.num_agpr, 0
	.set _ZN7rocprim17ROCPRIM_400000_NS6detail17trampoline_kernelINS0_14default_configENS1_25transform_config_selectorIdLb1EEEZNS1_14transform_implILb1ES3_S5_PdS7_NS0_8identityIdEEEE10hipError_tT2_T3_mT4_P12ihipStream_tbEUlT_E_NS1_11comp_targetILNS1_3genE9ELNS1_11target_archE1100ELNS1_3gpuE3ELNS1_3repE0EEENS1_30default_config_static_selectorELNS0_4arch9wavefront6targetE1EEEvT1_.numbered_sgpr, 0
	.set _ZN7rocprim17ROCPRIM_400000_NS6detail17trampoline_kernelINS0_14default_configENS1_25transform_config_selectorIdLb1EEEZNS1_14transform_implILb1ES3_S5_PdS7_NS0_8identityIdEEEE10hipError_tT2_T3_mT4_P12ihipStream_tbEUlT_E_NS1_11comp_targetILNS1_3genE9ELNS1_11target_archE1100ELNS1_3gpuE3ELNS1_3repE0EEENS1_30default_config_static_selectorELNS0_4arch9wavefront6targetE1EEEvT1_.num_named_barrier, 0
	.set _ZN7rocprim17ROCPRIM_400000_NS6detail17trampoline_kernelINS0_14default_configENS1_25transform_config_selectorIdLb1EEEZNS1_14transform_implILb1ES3_S5_PdS7_NS0_8identityIdEEEE10hipError_tT2_T3_mT4_P12ihipStream_tbEUlT_E_NS1_11comp_targetILNS1_3genE9ELNS1_11target_archE1100ELNS1_3gpuE3ELNS1_3repE0EEENS1_30default_config_static_selectorELNS0_4arch9wavefront6targetE1EEEvT1_.private_seg_size, 0
	.set _ZN7rocprim17ROCPRIM_400000_NS6detail17trampoline_kernelINS0_14default_configENS1_25transform_config_selectorIdLb1EEEZNS1_14transform_implILb1ES3_S5_PdS7_NS0_8identityIdEEEE10hipError_tT2_T3_mT4_P12ihipStream_tbEUlT_E_NS1_11comp_targetILNS1_3genE9ELNS1_11target_archE1100ELNS1_3gpuE3ELNS1_3repE0EEENS1_30default_config_static_selectorELNS0_4arch9wavefront6targetE1EEEvT1_.uses_vcc, 0
	.set _ZN7rocprim17ROCPRIM_400000_NS6detail17trampoline_kernelINS0_14default_configENS1_25transform_config_selectorIdLb1EEEZNS1_14transform_implILb1ES3_S5_PdS7_NS0_8identityIdEEEE10hipError_tT2_T3_mT4_P12ihipStream_tbEUlT_E_NS1_11comp_targetILNS1_3genE9ELNS1_11target_archE1100ELNS1_3gpuE3ELNS1_3repE0EEENS1_30default_config_static_selectorELNS0_4arch9wavefront6targetE1EEEvT1_.uses_flat_scratch, 0
	.set _ZN7rocprim17ROCPRIM_400000_NS6detail17trampoline_kernelINS0_14default_configENS1_25transform_config_selectorIdLb1EEEZNS1_14transform_implILb1ES3_S5_PdS7_NS0_8identityIdEEEE10hipError_tT2_T3_mT4_P12ihipStream_tbEUlT_E_NS1_11comp_targetILNS1_3genE9ELNS1_11target_archE1100ELNS1_3gpuE3ELNS1_3repE0EEENS1_30default_config_static_selectorELNS0_4arch9wavefront6targetE1EEEvT1_.has_dyn_sized_stack, 0
	.set _ZN7rocprim17ROCPRIM_400000_NS6detail17trampoline_kernelINS0_14default_configENS1_25transform_config_selectorIdLb1EEEZNS1_14transform_implILb1ES3_S5_PdS7_NS0_8identityIdEEEE10hipError_tT2_T3_mT4_P12ihipStream_tbEUlT_E_NS1_11comp_targetILNS1_3genE9ELNS1_11target_archE1100ELNS1_3gpuE3ELNS1_3repE0EEENS1_30default_config_static_selectorELNS0_4arch9wavefront6targetE1EEEvT1_.has_recursion, 0
	.set _ZN7rocprim17ROCPRIM_400000_NS6detail17trampoline_kernelINS0_14default_configENS1_25transform_config_selectorIdLb1EEEZNS1_14transform_implILb1ES3_S5_PdS7_NS0_8identityIdEEEE10hipError_tT2_T3_mT4_P12ihipStream_tbEUlT_E_NS1_11comp_targetILNS1_3genE9ELNS1_11target_archE1100ELNS1_3gpuE3ELNS1_3repE0EEENS1_30default_config_static_selectorELNS0_4arch9wavefront6targetE1EEEvT1_.has_indirect_call, 0
	.section	.AMDGPU.csdata,"",@progbits
; Kernel info:
; codeLenInByte = 0
; TotalNumSgprs: 4
; NumVgprs: 0
; ScratchSize: 0
; MemoryBound: 0
; FloatMode: 240
; IeeeMode: 1
; LDSByteSize: 0 bytes/workgroup (compile time only)
; SGPRBlocks: 0
; VGPRBlocks: 0
; NumSGPRsForWavesPerEU: 4
; NumVGPRsForWavesPerEU: 1
; Occupancy: 10
; WaveLimiterHint : 0
; COMPUTE_PGM_RSRC2:SCRATCH_EN: 0
; COMPUTE_PGM_RSRC2:USER_SGPR: 6
; COMPUTE_PGM_RSRC2:TRAP_HANDLER: 0
; COMPUTE_PGM_RSRC2:TGID_X_EN: 1
; COMPUTE_PGM_RSRC2:TGID_Y_EN: 0
; COMPUTE_PGM_RSRC2:TGID_Z_EN: 0
; COMPUTE_PGM_RSRC2:TIDIG_COMP_CNT: 0
	.section	.text._ZN7rocprim17ROCPRIM_400000_NS6detail17trampoline_kernelINS0_14default_configENS1_25transform_config_selectorIdLb1EEEZNS1_14transform_implILb1ES3_S5_PdS7_NS0_8identityIdEEEE10hipError_tT2_T3_mT4_P12ihipStream_tbEUlT_E_NS1_11comp_targetILNS1_3genE8ELNS1_11target_archE1030ELNS1_3gpuE2ELNS1_3repE0EEENS1_30default_config_static_selectorELNS0_4arch9wavefront6targetE1EEEvT1_,"axG",@progbits,_ZN7rocprim17ROCPRIM_400000_NS6detail17trampoline_kernelINS0_14default_configENS1_25transform_config_selectorIdLb1EEEZNS1_14transform_implILb1ES3_S5_PdS7_NS0_8identityIdEEEE10hipError_tT2_T3_mT4_P12ihipStream_tbEUlT_E_NS1_11comp_targetILNS1_3genE8ELNS1_11target_archE1030ELNS1_3gpuE2ELNS1_3repE0EEENS1_30default_config_static_selectorELNS0_4arch9wavefront6targetE1EEEvT1_,comdat
	.protected	_ZN7rocprim17ROCPRIM_400000_NS6detail17trampoline_kernelINS0_14default_configENS1_25transform_config_selectorIdLb1EEEZNS1_14transform_implILb1ES3_S5_PdS7_NS0_8identityIdEEEE10hipError_tT2_T3_mT4_P12ihipStream_tbEUlT_E_NS1_11comp_targetILNS1_3genE8ELNS1_11target_archE1030ELNS1_3gpuE2ELNS1_3repE0EEENS1_30default_config_static_selectorELNS0_4arch9wavefront6targetE1EEEvT1_ ; -- Begin function _ZN7rocprim17ROCPRIM_400000_NS6detail17trampoline_kernelINS0_14default_configENS1_25transform_config_selectorIdLb1EEEZNS1_14transform_implILb1ES3_S5_PdS7_NS0_8identityIdEEEE10hipError_tT2_T3_mT4_P12ihipStream_tbEUlT_E_NS1_11comp_targetILNS1_3genE8ELNS1_11target_archE1030ELNS1_3gpuE2ELNS1_3repE0EEENS1_30default_config_static_selectorELNS0_4arch9wavefront6targetE1EEEvT1_
	.globl	_ZN7rocprim17ROCPRIM_400000_NS6detail17trampoline_kernelINS0_14default_configENS1_25transform_config_selectorIdLb1EEEZNS1_14transform_implILb1ES3_S5_PdS7_NS0_8identityIdEEEE10hipError_tT2_T3_mT4_P12ihipStream_tbEUlT_E_NS1_11comp_targetILNS1_3genE8ELNS1_11target_archE1030ELNS1_3gpuE2ELNS1_3repE0EEENS1_30default_config_static_selectorELNS0_4arch9wavefront6targetE1EEEvT1_
	.p2align	8
	.type	_ZN7rocprim17ROCPRIM_400000_NS6detail17trampoline_kernelINS0_14default_configENS1_25transform_config_selectorIdLb1EEEZNS1_14transform_implILb1ES3_S5_PdS7_NS0_8identityIdEEEE10hipError_tT2_T3_mT4_P12ihipStream_tbEUlT_E_NS1_11comp_targetILNS1_3genE8ELNS1_11target_archE1030ELNS1_3gpuE2ELNS1_3repE0EEENS1_30default_config_static_selectorELNS0_4arch9wavefront6targetE1EEEvT1_,@function
_ZN7rocprim17ROCPRIM_400000_NS6detail17trampoline_kernelINS0_14default_configENS1_25transform_config_selectorIdLb1EEEZNS1_14transform_implILb1ES3_S5_PdS7_NS0_8identityIdEEEE10hipError_tT2_T3_mT4_P12ihipStream_tbEUlT_E_NS1_11comp_targetILNS1_3genE8ELNS1_11target_archE1030ELNS1_3gpuE2ELNS1_3repE0EEENS1_30default_config_static_selectorELNS0_4arch9wavefront6targetE1EEEvT1_: ; @_ZN7rocprim17ROCPRIM_400000_NS6detail17trampoline_kernelINS0_14default_configENS1_25transform_config_selectorIdLb1EEEZNS1_14transform_implILb1ES3_S5_PdS7_NS0_8identityIdEEEE10hipError_tT2_T3_mT4_P12ihipStream_tbEUlT_E_NS1_11comp_targetILNS1_3genE8ELNS1_11target_archE1030ELNS1_3gpuE2ELNS1_3repE0EEENS1_30default_config_static_selectorELNS0_4arch9wavefront6targetE1EEEvT1_
; %bb.0:
	.section	.rodata,"a",@progbits
	.p2align	6, 0x0
	.amdhsa_kernel _ZN7rocprim17ROCPRIM_400000_NS6detail17trampoline_kernelINS0_14default_configENS1_25transform_config_selectorIdLb1EEEZNS1_14transform_implILb1ES3_S5_PdS7_NS0_8identityIdEEEE10hipError_tT2_T3_mT4_P12ihipStream_tbEUlT_E_NS1_11comp_targetILNS1_3genE8ELNS1_11target_archE1030ELNS1_3gpuE2ELNS1_3repE0EEENS1_30default_config_static_selectorELNS0_4arch9wavefront6targetE1EEEvT1_
		.amdhsa_group_segment_fixed_size 0
		.amdhsa_private_segment_fixed_size 0
		.amdhsa_kernarg_size 40
		.amdhsa_user_sgpr_count 6
		.amdhsa_user_sgpr_private_segment_buffer 1
		.amdhsa_user_sgpr_dispatch_ptr 0
		.amdhsa_user_sgpr_queue_ptr 0
		.amdhsa_user_sgpr_kernarg_segment_ptr 1
		.amdhsa_user_sgpr_dispatch_id 0
		.amdhsa_user_sgpr_flat_scratch_init 0
		.amdhsa_user_sgpr_private_segment_size 0
		.amdhsa_uses_dynamic_stack 0
		.amdhsa_system_sgpr_private_segment_wavefront_offset 0
		.amdhsa_system_sgpr_workgroup_id_x 1
		.amdhsa_system_sgpr_workgroup_id_y 0
		.amdhsa_system_sgpr_workgroup_id_z 0
		.amdhsa_system_sgpr_workgroup_info 0
		.amdhsa_system_vgpr_workitem_id 0
		.amdhsa_next_free_vgpr 1
		.amdhsa_next_free_sgpr 0
		.amdhsa_reserve_vcc 0
		.amdhsa_reserve_flat_scratch 0
		.amdhsa_float_round_mode_32 0
		.amdhsa_float_round_mode_16_64 0
		.amdhsa_float_denorm_mode_32 3
		.amdhsa_float_denorm_mode_16_64 3
		.amdhsa_dx10_clamp 1
		.amdhsa_ieee_mode 1
		.amdhsa_fp16_overflow 0
		.amdhsa_exception_fp_ieee_invalid_op 0
		.amdhsa_exception_fp_denorm_src 0
		.amdhsa_exception_fp_ieee_div_zero 0
		.amdhsa_exception_fp_ieee_overflow 0
		.amdhsa_exception_fp_ieee_underflow 0
		.amdhsa_exception_fp_ieee_inexact 0
		.amdhsa_exception_int_div_zero 0
	.end_amdhsa_kernel
	.section	.text._ZN7rocprim17ROCPRIM_400000_NS6detail17trampoline_kernelINS0_14default_configENS1_25transform_config_selectorIdLb1EEEZNS1_14transform_implILb1ES3_S5_PdS7_NS0_8identityIdEEEE10hipError_tT2_T3_mT4_P12ihipStream_tbEUlT_E_NS1_11comp_targetILNS1_3genE8ELNS1_11target_archE1030ELNS1_3gpuE2ELNS1_3repE0EEENS1_30default_config_static_selectorELNS0_4arch9wavefront6targetE1EEEvT1_,"axG",@progbits,_ZN7rocprim17ROCPRIM_400000_NS6detail17trampoline_kernelINS0_14default_configENS1_25transform_config_selectorIdLb1EEEZNS1_14transform_implILb1ES3_S5_PdS7_NS0_8identityIdEEEE10hipError_tT2_T3_mT4_P12ihipStream_tbEUlT_E_NS1_11comp_targetILNS1_3genE8ELNS1_11target_archE1030ELNS1_3gpuE2ELNS1_3repE0EEENS1_30default_config_static_selectorELNS0_4arch9wavefront6targetE1EEEvT1_,comdat
.Lfunc_end1597:
	.size	_ZN7rocprim17ROCPRIM_400000_NS6detail17trampoline_kernelINS0_14default_configENS1_25transform_config_selectorIdLb1EEEZNS1_14transform_implILb1ES3_S5_PdS7_NS0_8identityIdEEEE10hipError_tT2_T3_mT4_P12ihipStream_tbEUlT_E_NS1_11comp_targetILNS1_3genE8ELNS1_11target_archE1030ELNS1_3gpuE2ELNS1_3repE0EEENS1_30default_config_static_selectorELNS0_4arch9wavefront6targetE1EEEvT1_, .Lfunc_end1597-_ZN7rocprim17ROCPRIM_400000_NS6detail17trampoline_kernelINS0_14default_configENS1_25transform_config_selectorIdLb1EEEZNS1_14transform_implILb1ES3_S5_PdS7_NS0_8identityIdEEEE10hipError_tT2_T3_mT4_P12ihipStream_tbEUlT_E_NS1_11comp_targetILNS1_3genE8ELNS1_11target_archE1030ELNS1_3gpuE2ELNS1_3repE0EEENS1_30default_config_static_selectorELNS0_4arch9wavefront6targetE1EEEvT1_
                                        ; -- End function
	.set _ZN7rocprim17ROCPRIM_400000_NS6detail17trampoline_kernelINS0_14default_configENS1_25transform_config_selectorIdLb1EEEZNS1_14transform_implILb1ES3_S5_PdS7_NS0_8identityIdEEEE10hipError_tT2_T3_mT4_P12ihipStream_tbEUlT_E_NS1_11comp_targetILNS1_3genE8ELNS1_11target_archE1030ELNS1_3gpuE2ELNS1_3repE0EEENS1_30default_config_static_selectorELNS0_4arch9wavefront6targetE1EEEvT1_.num_vgpr, 0
	.set _ZN7rocprim17ROCPRIM_400000_NS6detail17trampoline_kernelINS0_14default_configENS1_25transform_config_selectorIdLb1EEEZNS1_14transform_implILb1ES3_S5_PdS7_NS0_8identityIdEEEE10hipError_tT2_T3_mT4_P12ihipStream_tbEUlT_E_NS1_11comp_targetILNS1_3genE8ELNS1_11target_archE1030ELNS1_3gpuE2ELNS1_3repE0EEENS1_30default_config_static_selectorELNS0_4arch9wavefront6targetE1EEEvT1_.num_agpr, 0
	.set _ZN7rocprim17ROCPRIM_400000_NS6detail17trampoline_kernelINS0_14default_configENS1_25transform_config_selectorIdLb1EEEZNS1_14transform_implILb1ES3_S5_PdS7_NS0_8identityIdEEEE10hipError_tT2_T3_mT4_P12ihipStream_tbEUlT_E_NS1_11comp_targetILNS1_3genE8ELNS1_11target_archE1030ELNS1_3gpuE2ELNS1_3repE0EEENS1_30default_config_static_selectorELNS0_4arch9wavefront6targetE1EEEvT1_.numbered_sgpr, 0
	.set _ZN7rocprim17ROCPRIM_400000_NS6detail17trampoline_kernelINS0_14default_configENS1_25transform_config_selectorIdLb1EEEZNS1_14transform_implILb1ES3_S5_PdS7_NS0_8identityIdEEEE10hipError_tT2_T3_mT4_P12ihipStream_tbEUlT_E_NS1_11comp_targetILNS1_3genE8ELNS1_11target_archE1030ELNS1_3gpuE2ELNS1_3repE0EEENS1_30default_config_static_selectorELNS0_4arch9wavefront6targetE1EEEvT1_.num_named_barrier, 0
	.set _ZN7rocprim17ROCPRIM_400000_NS6detail17trampoline_kernelINS0_14default_configENS1_25transform_config_selectorIdLb1EEEZNS1_14transform_implILb1ES3_S5_PdS7_NS0_8identityIdEEEE10hipError_tT2_T3_mT4_P12ihipStream_tbEUlT_E_NS1_11comp_targetILNS1_3genE8ELNS1_11target_archE1030ELNS1_3gpuE2ELNS1_3repE0EEENS1_30default_config_static_selectorELNS0_4arch9wavefront6targetE1EEEvT1_.private_seg_size, 0
	.set _ZN7rocprim17ROCPRIM_400000_NS6detail17trampoline_kernelINS0_14default_configENS1_25transform_config_selectorIdLb1EEEZNS1_14transform_implILb1ES3_S5_PdS7_NS0_8identityIdEEEE10hipError_tT2_T3_mT4_P12ihipStream_tbEUlT_E_NS1_11comp_targetILNS1_3genE8ELNS1_11target_archE1030ELNS1_3gpuE2ELNS1_3repE0EEENS1_30default_config_static_selectorELNS0_4arch9wavefront6targetE1EEEvT1_.uses_vcc, 0
	.set _ZN7rocprim17ROCPRIM_400000_NS6detail17trampoline_kernelINS0_14default_configENS1_25transform_config_selectorIdLb1EEEZNS1_14transform_implILb1ES3_S5_PdS7_NS0_8identityIdEEEE10hipError_tT2_T3_mT4_P12ihipStream_tbEUlT_E_NS1_11comp_targetILNS1_3genE8ELNS1_11target_archE1030ELNS1_3gpuE2ELNS1_3repE0EEENS1_30default_config_static_selectorELNS0_4arch9wavefront6targetE1EEEvT1_.uses_flat_scratch, 0
	.set _ZN7rocprim17ROCPRIM_400000_NS6detail17trampoline_kernelINS0_14default_configENS1_25transform_config_selectorIdLb1EEEZNS1_14transform_implILb1ES3_S5_PdS7_NS0_8identityIdEEEE10hipError_tT2_T3_mT4_P12ihipStream_tbEUlT_E_NS1_11comp_targetILNS1_3genE8ELNS1_11target_archE1030ELNS1_3gpuE2ELNS1_3repE0EEENS1_30default_config_static_selectorELNS0_4arch9wavefront6targetE1EEEvT1_.has_dyn_sized_stack, 0
	.set _ZN7rocprim17ROCPRIM_400000_NS6detail17trampoline_kernelINS0_14default_configENS1_25transform_config_selectorIdLb1EEEZNS1_14transform_implILb1ES3_S5_PdS7_NS0_8identityIdEEEE10hipError_tT2_T3_mT4_P12ihipStream_tbEUlT_E_NS1_11comp_targetILNS1_3genE8ELNS1_11target_archE1030ELNS1_3gpuE2ELNS1_3repE0EEENS1_30default_config_static_selectorELNS0_4arch9wavefront6targetE1EEEvT1_.has_recursion, 0
	.set _ZN7rocprim17ROCPRIM_400000_NS6detail17trampoline_kernelINS0_14default_configENS1_25transform_config_selectorIdLb1EEEZNS1_14transform_implILb1ES3_S5_PdS7_NS0_8identityIdEEEE10hipError_tT2_T3_mT4_P12ihipStream_tbEUlT_E_NS1_11comp_targetILNS1_3genE8ELNS1_11target_archE1030ELNS1_3gpuE2ELNS1_3repE0EEENS1_30default_config_static_selectorELNS0_4arch9wavefront6targetE1EEEvT1_.has_indirect_call, 0
	.section	.AMDGPU.csdata,"",@progbits
; Kernel info:
; codeLenInByte = 0
; TotalNumSgprs: 4
; NumVgprs: 0
; ScratchSize: 0
; MemoryBound: 0
; FloatMode: 240
; IeeeMode: 1
; LDSByteSize: 0 bytes/workgroup (compile time only)
; SGPRBlocks: 0
; VGPRBlocks: 0
; NumSGPRsForWavesPerEU: 4
; NumVGPRsForWavesPerEU: 1
; Occupancy: 10
; WaveLimiterHint : 0
; COMPUTE_PGM_RSRC2:SCRATCH_EN: 0
; COMPUTE_PGM_RSRC2:USER_SGPR: 6
; COMPUTE_PGM_RSRC2:TRAP_HANDLER: 0
; COMPUTE_PGM_RSRC2:TGID_X_EN: 1
; COMPUTE_PGM_RSRC2:TGID_Y_EN: 0
; COMPUTE_PGM_RSRC2:TGID_Z_EN: 0
; COMPUTE_PGM_RSRC2:TIDIG_COMP_CNT: 0
	.section	.text._ZN7rocprim17ROCPRIM_400000_NS6detail17trampoline_kernelINS0_14default_configENS1_35radix_sort_onesweep_config_selectorIdlEEZNS1_34radix_sort_onesweep_global_offsetsIS3_Lb0EPdN6thrust23THRUST_200600_302600_NS10device_ptrIlEEjNS0_19identity_decomposerEEE10hipError_tT1_T2_PT3_SG_jT4_jjP12ihipStream_tbEUlT_E_NS1_11comp_targetILNS1_3genE0ELNS1_11target_archE4294967295ELNS1_3gpuE0ELNS1_3repE0EEENS1_52radix_sort_onesweep_histogram_config_static_selectorELNS0_4arch9wavefront6targetE1EEEvSE_,"axG",@progbits,_ZN7rocprim17ROCPRIM_400000_NS6detail17trampoline_kernelINS0_14default_configENS1_35radix_sort_onesweep_config_selectorIdlEEZNS1_34radix_sort_onesweep_global_offsetsIS3_Lb0EPdN6thrust23THRUST_200600_302600_NS10device_ptrIlEEjNS0_19identity_decomposerEEE10hipError_tT1_T2_PT3_SG_jT4_jjP12ihipStream_tbEUlT_E_NS1_11comp_targetILNS1_3genE0ELNS1_11target_archE4294967295ELNS1_3gpuE0ELNS1_3repE0EEENS1_52radix_sort_onesweep_histogram_config_static_selectorELNS0_4arch9wavefront6targetE1EEEvSE_,comdat
	.protected	_ZN7rocprim17ROCPRIM_400000_NS6detail17trampoline_kernelINS0_14default_configENS1_35radix_sort_onesweep_config_selectorIdlEEZNS1_34radix_sort_onesweep_global_offsetsIS3_Lb0EPdN6thrust23THRUST_200600_302600_NS10device_ptrIlEEjNS0_19identity_decomposerEEE10hipError_tT1_T2_PT3_SG_jT4_jjP12ihipStream_tbEUlT_E_NS1_11comp_targetILNS1_3genE0ELNS1_11target_archE4294967295ELNS1_3gpuE0ELNS1_3repE0EEENS1_52radix_sort_onesweep_histogram_config_static_selectorELNS0_4arch9wavefront6targetE1EEEvSE_ ; -- Begin function _ZN7rocprim17ROCPRIM_400000_NS6detail17trampoline_kernelINS0_14default_configENS1_35radix_sort_onesweep_config_selectorIdlEEZNS1_34radix_sort_onesweep_global_offsetsIS3_Lb0EPdN6thrust23THRUST_200600_302600_NS10device_ptrIlEEjNS0_19identity_decomposerEEE10hipError_tT1_T2_PT3_SG_jT4_jjP12ihipStream_tbEUlT_E_NS1_11comp_targetILNS1_3genE0ELNS1_11target_archE4294967295ELNS1_3gpuE0ELNS1_3repE0EEENS1_52radix_sort_onesweep_histogram_config_static_selectorELNS0_4arch9wavefront6targetE1EEEvSE_
	.globl	_ZN7rocprim17ROCPRIM_400000_NS6detail17trampoline_kernelINS0_14default_configENS1_35radix_sort_onesweep_config_selectorIdlEEZNS1_34radix_sort_onesweep_global_offsetsIS3_Lb0EPdN6thrust23THRUST_200600_302600_NS10device_ptrIlEEjNS0_19identity_decomposerEEE10hipError_tT1_T2_PT3_SG_jT4_jjP12ihipStream_tbEUlT_E_NS1_11comp_targetILNS1_3genE0ELNS1_11target_archE4294967295ELNS1_3gpuE0ELNS1_3repE0EEENS1_52radix_sort_onesweep_histogram_config_static_selectorELNS0_4arch9wavefront6targetE1EEEvSE_
	.p2align	8
	.type	_ZN7rocprim17ROCPRIM_400000_NS6detail17trampoline_kernelINS0_14default_configENS1_35radix_sort_onesweep_config_selectorIdlEEZNS1_34radix_sort_onesweep_global_offsetsIS3_Lb0EPdN6thrust23THRUST_200600_302600_NS10device_ptrIlEEjNS0_19identity_decomposerEEE10hipError_tT1_T2_PT3_SG_jT4_jjP12ihipStream_tbEUlT_E_NS1_11comp_targetILNS1_3genE0ELNS1_11target_archE4294967295ELNS1_3gpuE0ELNS1_3repE0EEENS1_52radix_sort_onesweep_histogram_config_static_selectorELNS0_4arch9wavefront6targetE1EEEvSE_,@function
_ZN7rocprim17ROCPRIM_400000_NS6detail17trampoline_kernelINS0_14default_configENS1_35radix_sort_onesweep_config_selectorIdlEEZNS1_34radix_sort_onesweep_global_offsetsIS3_Lb0EPdN6thrust23THRUST_200600_302600_NS10device_ptrIlEEjNS0_19identity_decomposerEEE10hipError_tT1_T2_PT3_SG_jT4_jjP12ihipStream_tbEUlT_E_NS1_11comp_targetILNS1_3genE0ELNS1_11target_archE4294967295ELNS1_3gpuE0ELNS1_3repE0EEENS1_52radix_sort_onesweep_histogram_config_static_selectorELNS0_4arch9wavefront6targetE1EEEvSE_: ; @_ZN7rocprim17ROCPRIM_400000_NS6detail17trampoline_kernelINS0_14default_configENS1_35radix_sort_onesweep_config_selectorIdlEEZNS1_34radix_sort_onesweep_global_offsetsIS3_Lb0EPdN6thrust23THRUST_200600_302600_NS10device_ptrIlEEjNS0_19identity_decomposerEEE10hipError_tT1_T2_PT3_SG_jT4_jjP12ihipStream_tbEUlT_E_NS1_11comp_targetILNS1_3genE0ELNS1_11target_archE4294967295ELNS1_3gpuE0ELNS1_3repE0EEENS1_52radix_sort_onesweep_histogram_config_static_selectorELNS0_4arch9wavefront6targetE1EEEvSE_
; %bb.0:
	.section	.rodata,"a",@progbits
	.p2align	6, 0x0
	.amdhsa_kernel _ZN7rocprim17ROCPRIM_400000_NS6detail17trampoline_kernelINS0_14default_configENS1_35radix_sort_onesweep_config_selectorIdlEEZNS1_34radix_sort_onesweep_global_offsetsIS3_Lb0EPdN6thrust23THRUST_200600_302600_NS10device_ptrIlEEjNS0_19identity_decomposerEEE10hipError_tT1_T2_PT3_SG_jT4_jjP12ihipStream_tbEUlT_E_NS1_11comp_targetILNS1_3genE0ELNS1_11target_archE4294967295ELNS1_3gpuE0ELNS1_3repE0EEENS1_52radix_sort_onesweep_histogram_config_static_selectorELNS0_4arch9wavefront6targetE1EEEvSE_
		.amdhsa_group_segment_fixed_size 0
		.amdhsa_private_segment_fixed_size 0
		.amdhsa_kernarg_size 40
		.amdhsa_user_sgpr_count 6
		.amdhsa_user_sgpr_private_segment_buffer 1
		.amdhsa_user_sgpr_dispatch_ptr 0
		.amdhsa_user_sgpr_queue_ptr 0
		.amdhsa_user_sgpr_kernarg_segment_ptr 1
		.amdhsa_user_sgpr_dispatch_id 0
		.amdhsa_user_sgpr_flat_scratch_init 0
		.amdhsa_user_sgpr_private_segment_size 0
		.amdhsa_uses_dynamic_stack 0
		.amdhsa_system_sgpr_private_segment_wavefront_offset 0
		.amdhsa_system_sgpr_workgroup_id_x 1
		.amdhsa_system_sgpr_workgroup_id_y 0
		.amdhsa_system_sgpr_workgroup_id_z 0
		.amdhsa_system_sgpr_workgroup_info 0
		.amdhsa_system_vgpr_workitem_id 0
		.amdhsa_next_free_vgpr 1
		.amdhsa_next_free_sgpr 0
		.amdhsa_reserve_vcc 0
		.amdhsa_reserve_flat_scratch 0
		.amdhsa_float_round_mode_32 0
		.amdhsa_float_round_mode_16_64 0
		.amdhsa_float_denorm_mode_32 3
		.amdhsa_float_denorm_mode_16_64 3
		.amdhsa_dx10_clamp 1
		.amdhsa_ieee_mode 1
		.amdhsa_fp16_overflow 0
		.amdhsa_exception_fp_ieee_invalid_op 0
		.amdhsa_exception_fp_denorm_src 0
		.amdhsa_exception_fp_ieee_div_zero 0
		.amdhsa_exception_fp_ieee_overflow 0
		.amdhsa_exception_fp_ieee_underflow 0
		.amdhsa_exception_fp_ieee_inexact 0
		.amdhsa_exception_int_div_zero 0
	.end_amdhsa_kernel
	.section	.text._ZN7rocprim17ROCPRIM_400000_NS6detail17trampoline_kernelINS0_14default_configENS1_35radix_sort_onesweep_config_selectorIdlEEZNS1_34radix_sort_onesweep_global_offsetsIS3_Lb0EPdN6thrust23THRUST_200600_302600_NS10device_ptrIlEEjNS0_19identity_decomposerEEE10hipError_tT1_T2_PT3_SG_jT4_jjP12ihipStream_tbEUlT_E_NS1_11comp_targetILNS1_3genE0ELNS1_11target_archE4294967295ELNS1_3gpuE0ELNS1_3repE0EEENS1_52radix_sort_onesweep_histogram_config_static_selectorELNS0_4arch9wavefront6targetE1EEEvSE_,"axG",@progbits,_ZN7rocprim17ROCPRIM_400000_NS6detail17trampoline_kernelINS0_14default_configENS1_35radix_sort_onesweep_config_selectorIdlEEZNS1_34radix_sort_onesweep_global_offsetsIS3_Lb0EPdN6thrust23THRUST_200600_302600_NS10device_ptrIlEEjNS0_19identity_decomposerEEE10hipError_tT1_T2_PT3_SG_jT4_jjP12ihipStream_tbEUlT_E_NS1_11comp_targetILNS1_3genE0ELNS1_11target_archE4294967295ELNS1_3gpuE0ELNS1_3repE0EEENS1_52radix_sort_onesweep_histogram_config_static_selectorELNS0_4arch9wavefront6targetE1EEEvSE_,comdat
.Lfunc_end1598:
	.size	_ZN7rocprim17ROCPRIM_400000_NS6detail17trampoline_kernelINS0_14default_configENS1_35radix_sort_onesweep_config_selectorIdlEEZNS1_34radix_sort_onesweep_global_offsetsIS3_Lb0EPdN6thrust23THRUST_200600_302600_NS10device_ptrIlEEjNS0_19identity_decomposerEEE10hipError_tT1_T2_PT3_SG_jT4_jjP12ihipStream_tbEUlT_E_NS1_11comp_targetILNS1_3genE0ELNS1_11target_archE4294967295ELNS1_3gpuE0ELNS1_3repE0EEENS1_52radix_sort_onesweep_histogram_config_static_selectorELNS0_4arch9wavefront6targetE1EEEvSE_, .Lfunc_end1598-_ZN7rocprim17ROCPRIM_400000_NS6detail17trampoline_kernelINS0_14default_configENS1_35radix_sort_onesweep_config_selectorIdlEEZNS1_34radix_sort_onesweep_global_offsetsIS3_Lb0EPdN6thrust23THRUST_200600_302600_NS10device_ptrIlEEjNS0_19identity_decomposerEEE10hipError_tT1_T2_PT3_SG_jT4_jjP12ihipStream_tbEUlT_E_NS1_11comp_targetILNS1_3genE0ELNS1_11target_archE4294967295ELNS1_3gpuE0ELNS1_3repE0EEENS1_52radix_sort_onesweep_histogram_config_static_selectorELNS0_4arch9wavefront6targetE1EEEvSE_
                                        ; -- End function
	.set _ZN7rocprim17ROCPRIM_400000_NS6detail17trampoline_kernelINS0_14default_configENS1_35radix_sort_onesweep_config_selectorIdlEEZNS1_34radix_sort_onesweep_global_offsetsIS3_Lb0EPdN6thrust23THRUST_200600_302600_NS10device_ptrIlEEjNS0_19identity_decomposerEEE10hipError_tT1_T2_PT3_SG_jT4_jjP12ihipStream_tbEUlT_E_NS1_11comp_targetILNS1_3genE0ELNS1_11target_archE4294967295ELNS1_3gpuE0ELNS1_3repE0EEENS1_52radix_sort_onesweep_histogram_config_static_selectorELNS0_4arch9wavefront6targetE1EEEvSE_.num_vgpr, 0
	.set _ZN7rocprim17ROCPRIM_400000_NS6detail17trampoline_kernelINS0_14default_configENS1_35radix_sort_onesweep_config_selectorIdlEEZNS1_34radix_sort_onesweep_global_offsetsIS3_Lb0EPdN6thrust23THRUST_200600_302600_NS10device_ptrIlEEjNS0_19identity_decomposerEEE10hipError_tT1_T2_PT3_SG_jT4_jjP12ihipStream_tbEUlT_E_NS1_11comp_targetILNS1_3genE0ELNS1_11target_archE4294967295ELNS1_3gpuE0ELNS1_3repE0EEENS1_52radix_sort_onesweep_histogram_config_static_selectorELNS0_4arch9wavefront6targetE1EEEvSE_.num_agpr, 0
	.set _ZN7rocprim17ROCPRIM_400000_NS6detail17trampoline_kernelINS0_14default_configENS1_35radix_sort_onesweep_config_selectorIdlEEZNS1_34radix_sort_onesweep_global_offsetsIS3_Lb0EPdN6thrust23THRUST_200600_302600_NS10device_ptrIlEEjNS0_19identity_decomposerEEE10hipError_tT1_T2_PT3_SG_jT4_jjP12ihipStream_tbEUlT_E_NS1_11comp_targetILNS1_3genE0ELNS1_11target_archE4294967295ELNS1_3gpuE0ELNS1_3repE0EEENS1_52radix_sort_onesweep_histogram_config_static_selectorELNS0_4arch9wavefront6targetE1EEEvSE_.numbered_sgpr, 0
	.set _ZN7rocprim17ROCPRIM_400000_NS6detail17trampoline_kernelINS0_14default_configENS1_35radix_sort_onesweep_config_selectorIdlEEZNS1_34radix_sort_onesweep_global_offsetsIS3_Lb0EPdN6thrust23THRUST_200600_302600_NS10device_ptrIlEEjNS0_19identity_decomposerEEE10hipError_tT1_T2_PT3_SG_jT4_jjP12ihipStream_tbEUlT_E_NS1_11comp_targetILNS1_3genE0ELNS1_11target_archE4294967295ELNS1_3gpuE0ELNS1_3repE0EEENS1_52radix_sort_onesweep_histogram_config_static_selectorELNS0_4arch9wavefront6targetE1EEEvSE_.num_named_barrier, 0
	.set _ZN7rocprim17ROCPRIM_400000_NS6detail17trampoline_kernelINS0_14default_configENS1_35radix_sort_onesweep_config_selectorIdlEEZNS1_34radix_sort_onesweep_global_offsetsIS3_Lb0EPdN6thrust23THRUST_200600_302600_NS10device_ptrIlEEjNS0_19identity_decomposerEEE10hipError_tT1_T2_PT3_SG_jT4_jjP12ihipStream_tbEUlT_E_NS1_11comp_targetILNS1_3genE0ELNS1_11target_archE4294967295ELNS1_3gpuE0ELNS1_3repE0EEENS1_52radix_sort_onesweep_histogram_config_static_selectorELNS0_4arch9wavefront6targetE1EEEvSE_.private_seg_size, 0
	.set _ZN7rocprim17ROCPRIM_400000_NS6detail17trampoline_kernelINS0_14default_configENS1_35radix_sort_onesweep_config_selectorIdlEEZNS1_34radix_sort_onesweep_global_offsetsIS3_Lb0EPdN6thrust23THRUST_200600_302600_NS10device_ptrIlEEjNS0_19identity_decomposerEEE10hipError_tT1_T2_PT3_SG_jT4_jjP12ihipStream_tbEUlT_E_NS1_11comp_targetILNS1_3genE0ELNS1_11target_archE4294967295ELNS1_3gpuE0ELNS1_3repE0EEENS1_52radix_sort_onesweep_histogram_config_static_selectorELNS0_4arch9wavefront6targetE1EEEvSE_.uses_vcc, 0
	.set _ZN7rocprim17ROCPRIM_400000_NS6detail17trampoline_kernelINS0_14default_configENS1_35radix_sort_onesweep_config_selectorIdlEEZNS1_34radix_sort_onesweep_global_offsetsIS3_Lb0EPdN6thrust23THRUST_200600_302600_NS10device_ptrIlEEjNS0_19identity_decomposerEEE10hipError_tT1_T2_PT3_SG_jT4_jjP12ihipStream_tbEUlT_E_NS1_11comp_targetILNS1_3genE0ELNS1_11target_archE4294967295ELNS1_3gpuE0ELNS1_3repE0EEENS1_52radix_sort_onesweep_histogram_config_static_selectorELNS0_4arch9wavefront6targetE1EEEvSE_.uses_flat_scratch, 0
	.set _ZN7rocprim17ROCPRIM_400000_NS6detail17trampoline_kernelINS0_14default_configENS1_35radix_sort_onesweep_config_selectorIdlEEZNS1_34radix_sort_onesweep_global_offsetsIS3_Lb0EPdN6thrust23THRUST_200600_302600_NS10device_ptrIlEEjNS0_19identity_decomposerEEE10hipError_tT1_T2_PT3_SG_jT4_jjP12ihipStream_tbEUlT_E_NS1_11comp_targetILNS1_3genE0ELNS1_11target_archE4294967295ELNS1_3gpuE0ELNS1_3repE0EEENS1_52radix_sort_onesweep_histogram_config_static_selectorELNS0_4arch9wavefront6targetE1EEEvSE_.has_dyn_sized_stack, 0
	.set _ZN7rocprim17ROCPRIM_400000_NS6detail17trampoline_kernelINS0_14default_configENS1_35radix_sort_onesweep_config_selectorIdlEEZNS1_34radix_sort_onesweep_global_offsetsIS3_Lb0EPdN6thrust23THRUST_200600_302600_NS10device_ptrIlEEjNS0_19identity_decomposerEEE10hipError_tT1_T2_PT3_SG_jT4_jjP12ihipStream_tbEUlT_E_NS1_11comp_targetILNS1_3genE0ELNS1_11target_archE4294967295ELNS1_3gpuE0ELNS1_3repE0EEENS1_52radix_sort_onesweep_histogram_config_static_selectorELNS0_4arch9wavefront6targetE1EEEvSE_.has_recursion, 0
	.set _ZN7rocprim17ROCPRIM_400000_NS6detail17trampoline_kernelINS0_14default_configENS1_35radix_sort_onesweep_config_selectorIdlEEZNS1_34radix_sort_onesweep_global_offsetsIS3_Lb0EPdN6thrust23THRUST_200600_302600_NS10device_ptrIlEEjNS0_19identity_decomposerEEE10hipError_tT1_T2_PT3_SG_jT4_jjP12ihipStream_tbEUlT_E_NS1_11comp_targetILNS1_3genE0ELNS1_11target_archE4294967295ELNS1_3gpuE0ELNS1_3repE0EEENS1_52radix_sort_onesweep_histogram_config_static_selectorELNS0_4arch9wavefront6targetE1EEEvSE_.has_indirect_call, 0
	.section	.AMDGPU.csdata,"",@progbits
; Kernel info:
; codeLenInByte = 0
; TotalNumSgprs: 4
; NumVgprs: 0
; ScratchSize: 0
; MemoryBound: 0
; FloatMode: 240
; IeeeMode: 1
; LDSByteSize: 0 bytes/workgroup (compile time only)
; SGPRBlocks: 0
; VGPRBlocks: 0
; NumSGPRsForWavesPerEU: 4
; NumVGPRsForWavesPerEU: 1
; Occupancy: 10
; WaveLimiterHint : 0
; COMPUTE_PGM_RSRC2:SCRATCH_EN: 0
; COMPUTE_PGM_RSRC2:USER_SGPR: 6
; COMPUTE_PGM_RSRC2:TRAP_HANDLER: 0
; COMPUTE_PGM_RSRC2:TGID_X_EN: 1
; COMPUTE_PGM_RSRC2:TGID_Y_EN: 0
; COMPUTE_PGM_RSRC2:TGID_Z_EN: 0
; COMPUTE_PGM_RSRC2:TIDIG_COMP_CNT: 0
	.section	.text._ZN7rocprim17ROCPRIM_400000_NS6detail17trampoline_kernelINS0_14default_configENS1_35radix_sort_onesweep_config_selectorIdlEEZNS1_34radix_sort_onesweep_global_offsetsIS3_Lb0EPdN6thrust23THRUST_200600_302600_NS10device_ptrIlEEjNS0_19identity_decomposerEEE10hipError_tT1_T2_PT3_SG_jT4_jjP12ihipStream_tbEUlT_E_NS1_11comp_targetILNS1_3genE6ELNS1_11target_archE950ELNS1_3gpuE13ELNS1_3repE0EEENS1_52radix_sort_onesweep_histogram_config_static_selectorELNS0_4arch9wavefront6targetE1EEEvSE_,"axG",@progbits,_ZN7rocprim17ROCPRIM_400000_NS6detail17trampoline_kernelINS0_14default_configENS1_35radix_sort_onesweep_config_selectorIdlEEZNS1_34radix_sort_onesweep_global_offsetsIS3_Lb0EPdN6thrust23THRUST_200600_302600_NS10device_ptrIlEEjNS0_19identity_decomposerEEE10hipError_tT1_T2_PT3_SG_jT4_jjP12ihipStream_tbEUlT_E_NS1_11comp_targetILNS1_3genE6ELNS1_11target_archE950ELNS1_3gpuE13ELNS1_3repE0EEENS1_52radix_sort_onesweep_histogram_config_static_selectorELNS0_4arch9wavefront6targetE1EEEvSE_,comdat
	.protected	_ZN7rocprim17ROCPRIM_400000_NS6detail17trampoline_kernelINS0_14default_configENS1_35radix_sort_onesweep_config_selectorIdlEEZNS1_34radix_sort_onesweep_global_offsetsIS3_Lb0EPdN6thrust23THRUST_200600_302600_NS10device_ptrIlEEjNS0_19identity_decomposerEEE10hipError_tT1_T2_PT3_SG_jT4_jjP12ihipStream_tbEUlT_E_NS1_11comp_targetILNS1_3genE6ELNS1_11target_archE950ELNS1_3gpuE13ELNS1_3repE0EEENS1_52radix_sort_onesweep_histogram_config_static_selectorELNS0_4arch9wavefront6targetE1EEEvSE_ ; -- Begin function _ZN7rocprim17ROCPRIM_400000_NS6detail17trampoline_kernelINS0_14default_configENS1_35radix_sort_onesweep_config_selectorIdlEEZNS1_34radix_sort_onesweep_global_offsetsIS3_Lb0EPdN6thrust23THRUST_200600_302600_NS10device_ptrIlEEjNS0_19identity_decomposerEEE10hipError_tT1_T2_PT3_SG_jT4_jjP12ihipStream_tbEUlT_E_NS1_11comp_targetILNS1_3genE6ELNS1_11target_archE950ELNS1_3gpuE13ELNS1_3repE0EEENS1_52radix_sort_onesweep_histogram_config_static_selectorELNS0_4arch9wavefront6targetE1EEEvSE_
	.globl	_ZN7rocprim17ROCPRIM_400000_NS6detail17trampoline_kernelINS0_14default_configENS1_35radix_sort_onesweep_config_selectorIdlEEZNS1_34radix_sort_onesweep_global_offsetsIS3_Lb0EPdN6thrust23THRUST_200600_302600_NS10device_ptrIlEEjNS0_19identity_decomposerEEE10hipError_tT1_T2_PT3_SG_jT4_jjP12ihipStream_tbEUlT_E_NS1_11comp_targetILNS1_3genE6ELNS1_11target_archE950ELNS1_3gpuE13ELNS1_3repE0EEENS1_52radix_sort_onesweep_histogram_config_static_selectorELNS0_4arch9wavefront6targetE1EEEvSE_
	.p2align	8
	.type	_ZN7rocprim17ROCPRIM_400000_NS6detail17trampoline_kernelINS0_14default_configENS1_35radix_sort_onesweep_config_selectorIdlEEZNS1_34radix_sort_onesweep_global_offsetsIS3_Lb0EPdN6thrust23THRUST_200600_302600_NS10device_ptrIlEEjNS0_19identity_decomposerEEE10hipError_tT1_T2_PT3_SG_jT4_jjP12ihipStream_tbEUlT_E_NS1_11comp_targetILNS1_3genE6ELNS1_11target_archE950ELNS1_3gpuE13ELNS1_3repE0EEENS1_52radix_sort_onesweep_histogram_config_static_selectorELNS0_4arch9wavefront6targetE1EEEvSE_,@function
_ZN7rocprim17ROCPRIM_400000_NS6detail17trampoline_kernelINS0_14default_configENS1_35radix_sort_onesweep_config_selectorIdlEEZNS1_34radix_sort_onesweep_global_offsetsIS3_Lb0EPdN6thrust23THRUST_200600_302600_NS10device_ptrIlEEjNS0_19identity_decomposerEEE10hipError_tT1_T2_PT3_SG_jT4_jjP12ihipStream_tbEUlT_E_NS1_11comp_targetILNS1_3genE6ELNS1_11target_archE950ELNS1_3gpuE13ELNS1_3repE0EEENS1_52radix_sort_onesweep_histogram_config_static_selectorELNS0_4arch9wavefront6targetE1EEEvSE_: ; @_ZN7rocprim17ROCPRIM_400000_NS6detail17trampoline_kernelINS0_14default_configENS1_35radix_sort_onesweep_config_selectorIdlEEZNS1_34radix_sort_onesweep_global_offsetsIS3_Lb0EPdN6thrust23THRUST_200600_302600_NS10device_ptrIlEEjNS0_19identity_decomposerEEE10hipError_tT1_T2_PT3_SG_jT4_jjP12ihipStream_tbEUlT_E_NS1_11comp_targetILNS1_3genE6ELNS1_11target_archE950ELNS1_3gpuE13ELNS1_3repE0EEENS1_52radix_sort_onesweep_histogram_config_static_selectorELNS0_4arch9wavefront6targetE1EEEvSE_
; %bb.0:
	.section	.rodata,"a",@progbits
	.p2align	6, 0x0
	.amdhsa_kernel _ZN7rocprim17ROCPRIM_400000_NS6detail17trampoline_kernelINS0_14default_configENS1_35radix_sort_onesweep_config_selectorIdlEEZNS1_34radix_sort_onesweep_global_offsetsIS3_Lb0EPdN6thrust23THRUST_200600_302600_NS10device_ptrIlEEjNS0_19identity_decomposerEEE10hipError_tT1_T2_PT3_SG_jT4_jjP12ihipStream_tbEUlT_E_NS1_11comp_targetILNS1_3genE6ELNS1_11target_archE950ELNS1_3gpuE13ELNS1_3repE0EEENS1_52radix_sort_onesweep_histogram_config_static_selectorELNS0_4arch9wavefront6targetE1EEEvSE_
		.amdhsa_group_segment_fixed_size 0
		.amdhsa_private_segment_fixed_size 0
		.amdhsa_kernarg_size 40
		.amdhsa_user_sgpr_count 6
		.amdhsa_user_sgpr_private_segment_buffer 1
		.amdhsa_user_sgpr_dispatch_ptr 0
		.amdhsa_user_sgpr_queue_ptr 0
		.amdhsa_user_sgpr_kernarg_segment_ptr 1
		.amdhsa_user_sgpr_dispatch_id 0
		.amdhsa_user_sgpr_flat_scratch_init 0
		.amdhsa_user_sgpr_private_segment_size 0
		.amdhsa_uses_dynamic_stack 0
		.amdhsa_system_sgpr_private_segment_wavefront_offset 0
		.amdhsa_system_sgpr_workgroup_id_x 1
		.amdhsa_system_sgpr_workgroup_id_y 0
		.amdhsa_system_sgpr_workgroup_id_z 0
		.amdhsa_system_sgpr_workgroup_info 0
		.amdhsa_system_vgpr_workitem_id 0
		.amdhsa_next_free_vgpr 1
		.amdhsa_next_free_sgpr 0
		.amdhsa_reserve_vcc 0
		.amdhsa_reserve_flat_scratch 0
		.amdhsa_float_round_mode_32 0
		.amdhsa_float_round_mode_16_64 0
		.amdhsa_float_denorm_mode_32 3
		.amdhsa_float_denorm_mode_16_64 3
		.amdhsa_dx10_clamp 1
		.amdhsa_ieee_mode 1
		.amdhsa_fp16_overflow 0
		.amdhsa_exception_fp_ieee_invalid_op 0
		.amdhsa_exception_fp_denorm_src 0
		.amdhsa_exception_fp_ieee_div_zero 0
		.amdhsa_exception_fp_ieee_overflow 0
		.amdhsa_exception_fp_ieee_underflow 0
		.amdhsa_exception_fp_ieee_inexact 0
		.amdhsa_exception_int_div_zero 0
	.end_amdhsa_kernel
	.section	.text._ZN7rocprim17ROCPRIM_400000_NS6detail17trampoline_kernelINS0_14default_configENS1_35radix_sort_onesweep_config_selectorIdlEEZNS1_34radix_sort_onesweep_global_offsetsIS3_Lb0EPdN6thrust23THRUST_200600_302600_NS10device_ptrIlEEjNS0_19identity_decomposerEEE10hipError_tT1_T2_PT3_SG_jT4_jjP12ihipStream_tbEUlT_E_NS1_11comp_targetILNS1_3genE6ELNS1_11target_archE950ELNS1_3gpuE13ELNS1_3repE0EEENS1_52radix_sort_onesweep_histogram_config_static_selectorELNS0_4arch9wavefront6targetE1EEEvSE_,"axG",@progbits,_ZN7rocprim17ROCPRIM_400000_NS6detail17trampoline_kernelINS0_14default_configENS1_35radix_sort_onesweep_config_selectorIdlEEZNS1_34radix_sort_onesweep_global_offsetsIS3_Lb0EPdN6thrust23THRUST_200600_302600_NS10device_ptrIlEEjNS0_19identity_decomposerEEE10hipError_tT1_T2_PT3_SG_jT4_jjP12ihipStream_tbEUlT_E_NS1_11comp_targetILNS1_3genE6ELNS1_11target_archE950ELNS1_3gpuE13ELNS1_3repE0EEENS1_52radix_sort_onesweep_histogram_config_static_selectorELNS0_4arch9wavefront6targetE1EEEvSE_,comdat
.Lfunc_end1599:
	.size	_ZN7rocprim17ROCPRIM_400000_NS6detail17trampoline_kernelINS0_14default_configENS1_35radix_sort_onesweep_config_selectorIdlEEZNS1_34radix_sort_onesweep_global_offsetsIS3_Lb0EPdN6thrust23THRUST_200600_302600_NS10device_ptrIlEEjNS0_19identity_decomposerEEE10hipError_tT1_T2_PT3_SG_jT4_jjP12ihipStream_tbEUlT_E_NS1_11comp_targetILNS1_3genE6ELNS1_11target_archE950ELNS1_3gpuE13ELNS1_3repE0EEENS1_52radix_sort_onesweep_histogram_config_static_selectorELNS0_4arch9wavefront6targetE1EEEvSE_, .Lfunc_end1599-_ZN7rocprim17ROCPRIM_400000_NS6detail17trampoline_kernelINS0_14default_configENS1_35radix_sort_onesweep_config_selectorIdlEEZNS1_34radix_sort_onesweep_global_offsetsIS3_Lb0EPdN6thrust23THRUST_200600_302600_NS10device_ptrIlEEjNS0_19identity_decomposerEEE10hipError_tT1_T2_PT3_SG_jT4_jjP12ihipStream_tbEUlT_E_NS1_11comp_targetILNS1_3genE6ELNS1_11target_archE950ELNS1_3gpuE13ELNS1_3repE0EEENS1_52radix_sort_onesweep_histogram_config_static_selectorELNS0_4arch9wavefront6targetE1EEEvSE_
                                        ; -- End function
	.set _ZN7rocprim17ROCPRIM_400000_NS6detail17trampoline_kernelINS0_14default_configENS1_35radix_sort_onesweep_config_selectorIdlEEZNS1_34radix_sort_onesweep_global_offsetsIS3_Lb0EPdN6thrust23THRUST_200600_302600_NS10device_ptrIlEEjNS0_19identity_decomposerEEE10hipError_tT1_T2_PT3_SG_jT4_jjP12ihipStream_tbEUlT_E_NS1_11comp_targetILNS1_3genE6ELNS1_11target_archE950ELNS1_3gpuE13ELNS1_3repE0EEENS1_52radix_sort_onesweep_histogram_config_static_selectorELNS0_4arch9wavefront6targetE1EEEvSE_.num_vgpr, 0
	.set _ZN7rocprim17ROCPRIM_400000_NS6detail17trampoline_kernelINS0_14default_configENS1_35radix_sort_onesweep_config_selectorIdlEEZNS1_34radix_sort_onesweep_global_offsetsIS3_Lb0EPdN6thrust23THRUST_200600_302600_NS10device_ptrIlEEjNS0_19identity_decomposerEEE10hipError_tT1_T2_PT3_SG_jT4_jjP12ihipStream_tbEUlT_E_NS1_11comp_targetILNS1_3genE6ELNS1_11target_archE950ELNS1_3gpuE13ELNS1_3repE0EEENS1_52radix_sort_onesweep_histogram_config_static_selectorELNS0_4arch9wavefront6targetE1EEEvSE_.num_agpr, 0
	.set _ZN7rocprim17ROCPRIM_400000_NS6detail17trampoline_kernelINS0_14default_configENS1_35radix_sort_onesweep_config_selectorIdlEEZNS1_34radix_sort_onesweep_global_offsetsIS3_Lb0EPdN6thrust23THRUST_200600_302600_NS10device_ptrIlEEjNS0_19identity_decomposerEEE10hipError_tT1_T2_PT3_SG_jT4_jjP12ihipStream_tbEUlT_E_NS1_11comp_targetILNS1_3genE6ELNS1_11target_archE950ELNS1_3gpuE13ELNS1_3repE0EEENS1_52radix_sort_onesweep_histogram_config_static_selectorELNS0_4arch9wavefront6targetE1EEEvSE_.numbered_sgpr, 0
	.set _ZN7rocprim17ROCPRIM_400000_NS6detail17trampoline_kernelINS0_14default_configENS1_35radix_sort_onesweep_config_selectorIdlEEZNS1_34radix_sort_onesweep_global_offsetsIS3_Lb0EPdN6thrust23THRUST_200600_302600_NS10device_ptrIlEEjNS0_19identity_decomposerEEE10hipError_tT1_T2_PT3_SG_jT4_jjP12ihipStream_tbEUlT_E_NS1_11comp_targetILNS1_3genE6ELNS1_11target_archE950ELNS1_3gpuE13ELNS1_3repE0EEENS1_52radix_sort_onesweep_histogram_config_static_selectorELNS0_4arch9wavefront6targetE1EEEvSE_.num_named_barrier, 0
	.set _ZN7rocprim17ROCPRIM_400000_NS6detail17trampoline_kernelINS0_14default_configENS1_35radix_sort_onesweep_config_selectorIdlEEZNS1_34radix_sort_onesweep_global_offsetsIS3_Lb0EPdN6thrust23THRUST_200600_302600_NS10device_ptrIlEEjNS0_19identity_decomposerEEE10hipError_tT1_T2_PT3_SG_jT4_jjP12ihipStream_tbEUlT_E_NS1_11comp_targetILNS1_3genE6ELNS1_11target_archE950ELNS1_3gpuE13ELNS1_3repE0EEENS1_52radix_sort_onesweep_histogram_config_static_selectorELNS0_4arch9wavefront6targetE1EEEvSE_.private_seg_size, 0
	.set _ZN7rocprim17ROCPRIM_400000_NS6detail17trampoline_kernelINS0_14default_configENS1_35radix_sort_onesweep_config_selectorIdlEEZNS1_34radix_sort_onesweep_global_offsetsIS3_Lb0EPdN6thrust23THRUST_200600_302600_NS10device_ptrIlEEjNS0_19identity_decomposerEEE10hipError_tT1_T2_PT3_SG_jT4_jjP12ihipStream_tbEUlT_E_NS1_11comp_targetILNS1_3genE6ELNS1_11target_archE950ELNS1_3gpuE13ELNS1_3repE0EEENS1_52radix_sort_onesweep_histogram_config_static_selectorELNS0_4arch9wavefront6targetE1EEEvSE_.uses_vcc, 0
	.set _ZN7rocprim17ROCPRIM_400000_NS6detail17trampoline_kernelINS0_14default_configENS1_35radix_sort_onesweep_config_selectorIdlEEZNS1_34radix_sort_onesweep_global_offsetsIS3_Lb0EPdN6thrust23THRUST_200600_302600_NS10device_ptrIlEEjNS0_19identity_decomposerEEE10hipError_tT1_T2_PT3_SG_jT4_jjP12ihipStream_tbEUlT_E_NS1_11comp_targetILNS1_3genE6ELNS1_11target_archE950ELNS1_3gpuE13ELNS1_3repE0EEENS1_52radix_sort_onesweep_histogram_config_static_selectorELNS0_4arch9wavefront6targetE1EEEvSE_.uses_flat_scratch, 0
	.set _ZN7rocprim17ROCPRIM_400000_NS6detail17trampoline_kernelINS0_14default_configENS1_35radix_sort_onesweep_config_selectorIdlEEZNS1_34radix_sort_onesweep_global_offsetsIS3_Lb0EPdN6thrust23THRUST_200600_302600_NS10device_ptrIlEEjNS0_19identity_decomposerEEE10hipError_tT1_T2_PT3_SG_jT4_jjP12ihipStream_tbEUlT_E_NS1_11comp_targetILNS1_3genE6ELNS1_11target_archE950ELNS1_3gpuE13ELNS1_3repE0EEENS1_52radix_sort_onesweep_histogram_config_static_selectorELNS0_4arch9wavefront6targetE1EEEvSE_.has_dyn_sized_stack, 0
	.set _ZN7rocprim17ROCPRIM_400000_NS6detail17trampoline_kernelINS0_14default_configENS1_35radix_sort_onesweep_config_selectorIdlEEZNS1_34radix_sort_onesweep_global_offsetsIS3_Lb0EPdN6thrust23THRUST_200600_302600_NS10device_ptrIlEEjNS0_19identity_decomposerEEE10hipError_tT1_T2_PT3_SG_jT4_jjP12ihipStream_tbEUlT_E_NS1_11comp_targetILNS1_3genE6ELNS1_11target_archE950ELNS1_3gpuE13ELNS1_3repE0EEENS1_52radix_sort_onesweep_histogram_config_static_selectorELNS0_4arch9wavefront6targetE1EEEvSE_.has_recursion, 0
	.set _ZN7rocprim17ROCPRIM_400000_NS6detail17trampoline_kernelINS0_14default_configENS1_35radix_sort_onesweep_config_selectorIdlEEZNS1_34radix_sort_onesweep_global_offsetsIS3_Lb0EPdN6thrust23THRUST_200600_302600_NS10device_ptrIlEEjNS0_19identity_decomposerEEE10hipError_tT1_T2_PT3_SG_jT4_jjP12ihipStream_tbEUlT_E_NS1_11comp_targetILNS1_3genE6ELNS1_11target_archE950ELNS1_3gpuE13ELNS1_3repE0EEENS1_52radix_sort_onesweep_histogram_config_static_selectorELNS0_4arch9wavefront6targetE1EEEvSE_.has_indirect_call, 0
	.section	.AMDGPU.csdata,"",@progbits
; Kernel info:
; codeLenInByte = 0
; TotalNumSgprs: 4
; NumVgprs: 0
; ScratchSize: 0
; MemoryBound: 0
; FloatMode: 240
; IeeeMode: 1
; LDSByteSize: 0 bytes/workgroup (compile time only)
; SGPRBlocks: 0
; VGPRBlocks: 0
; NumSGPRsForWavesPerEU: 4
; NumVGPRsForWavesPerEU: 1
; Occupancy: 10
; WaveLimiterHint : 0
; COMPUTE_PGM_RSRC2:SCRATCH_EN: 0
; COMPUTE_PGM_RSRC2:USER_SGPR: 6
; COMPUTE_PGM_RSRC2:TRAP_HANDLER: 0
; COMPUTE_PGM_RSRC2:TGID_X_EN: 1
; COMPUTE_PGM_RSRC2:TGID_Y_EN: 0
; COMPUTE_PGM_RSRC2:TGID_Z_EN: 0
; COMPUTE_PGM_RSRC2:TIDIG_COMP_CNT: 0
	.section	.text._ZN7rocprim17ROCPRIM_400000_NS6detail17trampoline_kernelINS0_14default_configENS1_35radix_sort_onesweep_config_selectorIdlEEZNS1_34radix_sort_onesweep_global_offsetsIS3_Lb0EPdN6thrust23THRUST_200600_302600_NS10device_ptrIlEEjNS0_19identity_decomposerEEE10hipError_tT1_T2_PT3_SG_jT4_jjP12ihipStream_tbEUlT_E_NS1_11comp_targetILNS1_3genE5ELNS1_11target_archE942ELNS1_3gpuE9ELNS1_3repE0EEENS1_52radix_sort_onesweep_histogram_config_static_selectorELNS0_4arch9wavefront6targetE1EEEvSE_,"axG",@progbits,_ZN7rocprim17ROCPRIM_400000_NS6detail17trampoline_kernelINS0_14default_configENS1_35radix_sort_onesweep_config_selectorIdlEEZNS1_34radix_sort_onesweep_global_offsetsIS3_Lb0EPdN6thrust23THRUST_200600_302600_NS10device_ptrIlEEjNS0_19identity_decomposerEEE10hipError_tT1_T2_PT3_SG_jT4_jjP12ihipStream_tbEUlT_E_NS1_11comp_targetILNS1_3genE5ELNS1_11target_archE942ELNS1_3gpuE9ELNS1_3repE0EEENS1_52radix_sort_onesweep_histogram_config_static_selectorELNS0_4arch9wavefront6targetE1EEEvSE_,comdat
	.protected	_ZN7rocprim17ROCPRIM_400000_NS6detail17trampoline_kernelINS0_14default_configENS1_35radix_sort_onesweep_config_selectorIdlEEZNS1_34radix_sort_onesweep_global_offsetsIS3_Lb0EPdN6thrust23THRUST_200600_302600_NS10device_ptrIlEEjNS0_19identity_decomposerEEE10hipError_tT1_T2_PT3_SG_jT4_jjP12ihipStream_tbEUlT_E_NS1_11comp_targetILNS1_3genE5ELNS1_11target_archE942ELNS1_3gpuE9ELNS1_3repE0EEENS1_52radix_sort_onesweep_histogram_config_static_selectorELNS0_4arch9wavefront6targetE1EEEvSE_ ; -- Begin function _ZN7rocprim17ROCPRIM_400000_NS6detail17trampoline_kernelINS0_14default_configENS1_35radix_sort_onesweep_config_selectorIdlEEZNS1_34radix_sort_onesweep_global_offsetsIS3_Lb0EPdN6thrust23THRUST_200600_302600_NS10device_ptrIlEEjNS0_19identity_decomposerEEE10hipError_tT1_T2_PT3_SG_jT4_jjP12ihipStream_tbEUlT_E_NS1_11comp_targetILNS1_3genE5ELNS1_11target_archE942ELNS1_3gpuE9ELNS1_3repE0EEENS1_52radix_sort_onesweep_histogram_config_static_selectorELNS0_4arch9wavefront6targetE1EEEvSE_
	.globl	_ZN7rocprim17ROCPRIM_400000_NS6detail17trampoline_kernelINS0_14default_configENS1_35radix_sort_onesweep_config_selectorIdlEEZNS1_34radix_sort_onesweep_global_offsetsIS3_Lb0EPdN6thrust23THRUST_200600_302600_NS10device_ptrIlEEjNS0_19identity_decomposerEEE10hipError_tT1_T2_PT3_SG_jT4_jjP12ihipStream_tbEUlT_E_NS1_11comp_targetILNS1_3genE5ELNS1_11target_archE942ELNS1_3gpuE9ELNS1_3repE0EEENS1_52radix_sort_onesweep_histogram_config_static_selectorELNS0_4arch9wavefront6targetE1EEEvSE_
	.p2align	8
	.type	_ZN7rocprim17ROCPRIM_400000_NS6detail17trampoline_kernelINS0_14default_configENS1_35radix_sort_onesweep_config_selectorIdlEEZNS1_34radix_sort_onesweep_global_offsetsIS3_Lb0EPdN6thrust23THRUST_200600_302600_NS10device_ptrIlEEjNS0_19identity_decomposerEEE10hipError_tT1_T2_PT3_SG_jT4_jjP12ihipStream_tbEUlT_E_NS1_11comp_targetILNS1_3genE5ELNS1_11target_archE942ELNS1_3gpuE9ELNS1_3repE0EEENS1_52radix_sort_onesweep_histogram_config_static_selectorELNS0_4arch9wavefront6targetE1EEEvSE_,@function
_ZN7rocprim17ROCPRIM_400000_NS6detail17trampoline_kernelINS0_14default_configENS1_35radix_sort_onesweep_config_selectorIdlEEZNS1_34radix_sort_onesweep_global_offsetsIS3_Lb0EPdN6thrust23THRUST_200600_302600_NS10device_ptrIlEEjNS0_19identity_decomposerEEE10hipError_tT1_T2_PT3_SG_jT4_jjP12ihipStream_tbEUlT_E_NS1_11comp_targetILNS1_3genE5ELNS1_11target_archE942ELNS1_3gpuE9ELNS1_3repE0EEENS1_52radix_sort_onesweep_histogram_config_static_selectorELNS0_4arch9wavefront6targetE1EEEvSE_: ; @_ZN7rocprim17ROCPRIM_400000_NS6detail17trampoline_kernelINS0_14default_configENS1_35radix_sort_onesweep_config_selectorIdlEEZNS1_34radix_sort_onesweep_global_offsetsIS3_Lb0EPdN6thrust23THRUST_200600_302600_NS10device_ptrIlEEjNS0_19identity_decomposerEEE10hipError_tT1_T2_PT3_SG_jT4_jjP12ihipStream_tbEUlT_E_NS1_11comp_targetILNS1_3genE5ELNS1_11target_archE942ELNS1_3gpuE9ELNS1_3repE0EEENS1_52radix_sort_onesweep_histogram_config_static_selectorELNS0_4arch9wavefront6targetE1EEEvSE_
; %bb.0:
	.section	.rodata,"a",@progbits
	.p2align	6, 0x0
	.amdhsa_kernel _ZN7rocprim17ROCPRIM_400000_NS6detail17trampoline_kernelINS0_14default_configENS1_35radix_sort_onesweep_config_selectorIdlEEZNS1_34radix_sort_onesweep_global_offsetsIS3_Lb0EPdN6thrust23THRUST_200600_302600_NS10device_ptrIlEEjNS0_19identity_decomposerEEE10hipError_tT1_T2_PT3_SG_jT4_jjP12ihipStream_tbEUlT_E_NS1_11comp_targetILNS1_3genE5ELNS1_11target_archE942ELNS1_3gpuE9ELNS1_3repE0EEENS1_52radix_sort_onesweep_histogram_config_static_selectorELNS0_4arch9wavefront6targetE1EEEvSE_
		.amdhsa_group_segment_fixed_size 0
		.amdhsa_private_segment_fixed_size 0
		.amdhsa_kernarg_size 40
		.amdhsa_user_sgpr_count 6
		.amdhsa_user_sgpr_private_segment_buffer 1
		.amdhsa_user_sgpr_dispatch_ptr 0
		.amdhsa_user_sgpr_queue_ptr 0
		.amdhsa_user_sgpr_kernarg_segment_ptr 1
		.amdhsa_user_sgpr_dispatch_id 0
		.amdhsa_user_sgpr_flat_scratch_init 0
		.amdhsa_user_sgpr_private_segment_size 0
		.amdhsa_uses_dynamic_stack 0
		.amdhsa_system_sgpr_private_segment_wavefront_offset 0
		.amdhsa_system_sgpr_workgroup_id_x 1
		.amdhsa_system_sgpr_workgroup_id_y 0
		.amdhsa_system_sgpr_workgroup_id_z 0
		.amdhsa_system_sgpr_workgroup_info 0
		.amdhsa_system_vgpr_workitem_id 0
		.amdhsa_next_free_vgpr 1
		.amdhsa_next_free_sgpr 0
		.amdhsa_reserve_vcc 0
		.amdhsa_reserve_flat_scratch 0
		.amdhsa_float_round_mode_32 0
		.amdhsa_float_round_mode_16_64 0
		.amdhsa_float_denorm_mode_32 3
		.amdhsa_float_denorm_mode_16_64 3
		.amdhsa_dx10_clamp 1
		.amdhsa_ieee_mode 1
		.amdhsa_fp16_overflow 0
		.amdhsa_exception_fp_ieee_invalid_op 0
		.amdhsa_exception_fp_denorm_src 0
		.amdhsa_exception_fp_ieee_div_zero 0
		.amdhsa_exception_fp_ieee_overflow 0
		.amdhsa_exception_fp_ieee_underflow 0
		.amdhsa_exception_fp_ieee_inexact 0
		.amdhsa_exception_int_div_zero 0
	.end_amdhsa_kernel
	.section	.text._ZN7rocprim17ROCPRIM_400000_NS6detail17trampoline_kernelINS0_14default_configENS1_35radix_sort_onesweep_config_selectorIdlEEZNS1_34radix_sort_onesweep_global_offsetsIS3_Lb0EPdN6thrust23THRUST_200600_302600_NS10device_ptrIlEEjNS0_19identity_decomposerEEE10hipError_tT1_T2_PT3_SG_jT4_jjP12ihipStream_tbEUlT_E_NS1_11comp_targetILNS1_3genE5ELNS1_11target_archE942ELNS1_3gpuE9ELNS1_3repE0EEENS1_52radix_sort_onesweep_histogram_config_static_selectorELNS0_4arch9wavefront6targetE1EEEvSE_,"axG",@progbits,_ZN7rocprim17ROCPRIM_400000_NS6detail17trampoline_kernelINS0_14default_configENS1_35radix_sort_onesweep_config_selectorIdlEEZNS1_34radix_sort_onesweep_global_offsetsIS3_Lb0EPdN6thrust23THRUST_200600_302600_NS10device_ptrIlEEjNS0_19identity_decomposerEEE10hipError_tT1_T2_PT3_SG_jT4_jjP12ihipStream_tbEUlT_E_NS1_11comp_targetILNS1_3genE5ELNS1_11target_archE942ELNS1_3gpuE9ELNS1_3repE0EEENS1_52radix_sort_onesweep_histogram_config_static_selectorELNS0_4arch9wavefront6targetE1EEEvSE_,comdat
.Lfunc_end1600:
	.size	_ZN7rocprim17ROCPRIM_400000_NS6detail17trampoline_kernelINS0_14default_configENS1_35radix_sort_onesweep_config_selectorIdlEEZNS1_34radix_sort_onesweep_global_offsetsIS3_Lb0EPdN6thrust23THRUST_200600_302600_NS10device_ptrIlEEjNS0_19identity_decomposerEEE10hipError_tT1_T2_PT3_SG_jT4_jjP12ihipStream_tbEUlT_E_NS1_11comp_targetILNS1_3genE5ELNS1_11target_archE942ELNS1_3gpuE9ELNS1_3repE0EEENS1_52radix_sort_onesweep_histogram_config_static_selectorELNS0_4arch9wavefront6targetE1EEEvSE_, .Lfunc_end1600-_ZN7rocprim17ROCPRIM_400000_NS6detail17trampoline_kernelINS0_14default_configENS1_35radix_sort_onesweep_config_selectorIdlEEZNS1_34radix_sort_onesweep_global_offsetsIS3_Lb0EPdN6thrust23THRUST_200600_302600_NS10device_ptrIlEEjNS0_19identity_decomposerEEE10hipError_tT1_T2_PT3_SG_jT4_jjP12ihipStream_tbEUlT_E_NS1_11comp_targetILNS1_3genE5ELNS1_11target_archE942ELNS1_3gpuE9ELNS1_3repE0EEENS1_52radix_sort_onesweep_histogram_config_static_selectorELNS0_4arch9wavefront6targetE1EEEvSE_
                                        ; -- End function
	.set _ZN7rocprim17ROCPRIM_400000_NS6detail17trampoline_kernelINS0_14default_configENS1_35radix_sort_onesweep_config_selectorIdlEEZNS1_34radix_sort_onesweep_global_offsetsIS3_Lb0EPdN6thrust23THRUST_200600_302600_NS10device_ptrIlEEjNS0_19identity_decomposerEEE10hipError_tT1_T2_PT3_SG_jT4_jjP12ihipStream_tbEUlT_E_NS1_11comp_targetILNS1_3genE5ELNS1_11target_archE942ELNS1_3gpuE9ELNS1_3repE0EEENS1_52radix_sort_onesweep_histogram_config_static_selectorELNS0_4arch9wavefront6targetE1EEEvSE_.num_vgpr, 0
	.set _ZN7rocprim17ROCPRIM_400000_NS6detail17trampoline_kernelINS0_14default_configENS1_35radix_sort_onesweep_config_selectorIdlEEZNS1_34radix_sort_onesweep_global_offsetsIS3_Lb0EPdN6thrust23THRUST_200600_302600_NS10device_ptrIlEEjNS0_19identity_decomposerEEE10hipError_tT1_T2_PT3_SG_jT4_jjP12ihipStream_tbEUlT_E_NS1_11comp_targetILNS1_3genE5ELNS1_11target_archE942ELNS1_3gpuE9ELNS1_3repE0EEENS1_52radix_sort_onesweep_histogram_config_static_selectorELNS0_4arch9wavefront6targetE1EEEvSE_.num_agpr, 0
	.set _ZN7rocprim17ROCPRIM_400000_NS6detail17trampoline_kernelINS0_14default_configENS1_35radix_sort_onesweep_config_selectorIdlEEZNS1_34radix_sort_onesweep_global_offsetsIS3_Lb0EPdN6thrust23THRUST_200600_302600_NS10device_ptrIlEEjNS0_19identity_decomposerEEE10hipError_tT1_T2_PT3_SG_jT4_jjP12ihipStream_tbEUlT_E_NS1_11comp_targetILNS1_3genE5ELNS1_11target_archE942ELNS1_3gpuE9ELNS1_3repE0EEENS1_52radix_sort_onesweep_histogram_config_static_selectorELNS0_4arch9wavefront6targetE1EEEvSE_.numbered_sgpr, 0
	.set _ZN7rocprim17ROCPRIM_400000_NS6detail17trampoline_kernelINS0_14default_configENS1_35radix_sort_onesweep_config_selectorIdlEEZNS1_34radix_sort_onesweep_global_offsetsIS3_Lb0EPdN6thrust23THRUST_200600_302600_NS10device_ptrIlEEjNS0_19identity_decomposerEEE10hipError_tT1_T2_PT3_SG_jT4_jjP12ihipStream_tbEUlT_E_NS1_11comp_targetILNS1_3genE5ELNS1_11target_archE942ELNS1_3gpuE9ELNS1_3repE0EEENS1_52radix_sort_onesweep_histogram_config_static_selectorELNS0_4arch9wavefront6targetE1EEEvSE_.num_named_barrier, 0
	.set _ZN7rocprim17ROCPRIM_400000_NS6detail17trampoline_kernelINS0_14default_configENS1_35radix_sort_onesweep_config_selectorIdlEEZNS1_34radix_sort_onesweep_global_offsetsIS3_Lb0EPdN6thrust23THRUST_200600_302600_NS10device_ptrIlEEjNS0_19identity_decomposerEEE10hipError_tT1_T2_PT3_SG_jT4_jjP12ihipStream_tbEUlT_E_NS1_11comp_targetILNS1_3genE5ELNS1_11target_archE942ELNS1_3gpuE9ELNS1_3repE0EEENS1_52radix_sort_onesweep_histogram_config_static_selectorELNS0_4arch9wavefront6targetE1EEEvSE_.private_seg_size, 0
	.set _ZN7rocprim17ROCPRIM_400000_NS6detail17trampoline_kernelINS0_14default_configENS1_35radix_sort_onesweep_config_selectorIdlEEZNS1_34radix_sort_onesweep_global_offsetsIS3_Lb0EPdN6thrust23THRUST_200600_302600_NS10device_ptrIlEEjNS0_19identity_decomposerEEE10hipError_tT1_T2_PT3_SG_jT4_jjP12ihipStream_tbEUlT_E_NS1_11comp_targetILNS1_3genE5ELNS1_11target_archE942ELNS1_3gpuE9ELNS1_3repE0EEENS1_52radix_sort_onesweep_histogram_config_static_selectorELNS0_4arch9wavefront6targetE1EEEvSE_.uses_vcc, 0
	.set _ZN7rocprim17ROCPRIM_400000_NS6detail17trampoline_kernelINS0_14default_configENS1_35radix_sort_onesweep_config_selectorIdlEEZNS1_34radix_sort_onesweep_global_offsetsIS3_Lb0EPdN6thrust23THRUST_200600_302600_NS10device_ptrIlEEjNS0_19identity_decomposerEEE10hipError_tT1_T2_PT3_SG_jT4_jjP12ihipStream_tbEUlT_E_NS1_11comp_targetILNS1_3genE5ELNS1_11target_archE942ELNS1_3gpuE9ELNS1_3repE0EEENS1_52radix_sort_onesweep_histogram_config_static_selectorELNS0_4arch9wavefront6targetE1EEEvSE_.uses_flat_scratch, 0
	.set _ZN7rocprim17ROCPRIM_400000_NS6detail17trampoline_kernelINS0_14default_configENS1_35radix_sort_onesweep_config_selectorIdlEEZNS1_34radix_sort_onesweep_global_offsetsIS3_Lb0EPdN6thrust23THRUST_200600_302600_NS10device_ptrIlEEjNS0_19identity_decomposerEEE10hipError_tT1_T2_PT3_SG_jT4_jjP12ihipStream_tbEUlT_E_NS1_11comp_targetILNS1_3genE5ELNS1_11target_archE942ELNS1_3gpuE9ELNS1_3repE0EEENS1_52radix_sort_onesweep_histogram_config_static_selectorELNS0_4arch9wavefront6targetE1EEEvSE_.has_dyn_sized_stack, 0
	.set _ZN7rocprim17ROCPRIM_400000_NS6detail17trampoline_kernelINS0_14default_configENS1_35radix_sort_onesweep_config_selectorIdlEEZNS1_34radix_sort_onesweep_global_offsetsIS3_Lb0EPdN6thrust23THRUST_200600_302600_NS10device_ptrIlEEjNS0_19identity_decomposerEEE10hipError_tT1_T2_PT3_SG_jT4_jjP12ihipStream_tbEUlT_E_NS1_11comp_targetILNS1_3genE5ELNS1_11target_archE942ELNS1_3gpuE9ELNS1_3repE0EEENS1_52radix_sort_onesweep_histogram_config_static_selectorELNS0_4arch9wavefront6targetE1EEEvSE_.has_recursion, 0
	.set _ZN7rocprim17ROCPRIM_400000_NS6detail17trampoline_kernelINS0_14default_configENS1_35radix_sort_onesweep_config_selectorIdlEEZNS1_34radix_sort_onesweep_global_offsetsIS3_Lb0EPdN6thrust23THRUST_200600_302600_NS10device_ptrIlEEjNS0_19identity_decomposerEEE10hipError_tT1_T2_PT3_SG_jT4_jjP12ihipStream_tbEUlT_E_NS1_11comp_targetILNS1_3genE5ELNS1_11target_archE942ELNS1_3gpuE9ELNS1_3repE0EEENS1_52radix_sort_onesweep_histogram_config_static_selectorELNS0_4arch9wavefront6targetE1EEEvSE_.has_indirect_call, 0
	.section	.AMDGPU.csdata,"",@progbits
; Kernel info:
; codeLenInByte = 0
; TotalNumSgprs: 4
; NumVgprs: 0
; ScratchSize: 0
; MemoryBound: 0
; FloatMode: 240
; IeeeMode: 1
; LDSByteSize: 0 bytes/workgroup (compile time only)
; SGPRBlocks: 0
; VGPRBlocks: 0
; NumSGPRsForWavesPerEU: 4
; NumVGPRsForWavesPerEU: 1
; Occupancy: 10
; WaveLimiterHint : 0
; COMPUTE_PGM_RSRC2:SCRATCH_EN: 0
; COMPUTE_PGM_RSRC2:USER_SGPR: 6
; COMPUTE_PGM_RSRC2:TRAP_HANDLER: 0
; COMPUTE_PGM_RSRC2:TGID_X_EN: 1
; COMPUTE_PGM_RSRC2:TGID_Y_EN: 0
; COMPUTE_PGM_RSRC2:TGID_Z_EN: 0
; COMPUTE_PGM_RSRC2:TIDIG_COMP_CNT: 0
	.section	.text._ZN7rocprim17ROCPRIM_400000_NS6detail17trampoline_kernelINS0_14default_configENS1_35radix_sort_onesweep_config_selectorIdlEEZNS1_34radix_sort_onesweep_global_offsetsIS3_Lb0EPdN6thrust23THRUST_200600_302600_NS10device_ptrIlEEjNS0_19identity_decomposerEEE10hipError_tT1_T2_PT3_SG_jT4_jjP12ihipStream_tbEUlT_E_NS1_11comp_targetILNS1_3genE2ELNS1_11target_archE906ELNS1_3gpuE6ELNS1_3repE0EEENS1_52radix_sort_onesweep_histogram_config_static_selectorELNS0_4arch9wavefront6targetE1EEEvSE_,"axG",@progbits,_ZN7rocprim17ROCPRIM_400000_NS6detail17trampoline_kernelINS0_14default_configENS1_35radix_sort_onesweep_config_selectorIdlEEZNS1_34radix_sort_onesweep_global_offsetsIS3_Lb0EPdN6thrust23THRUST_200600_302600_NS10device_ptrIlEEjNS0_19identity_decomposerEEE10hipError_tT1_T2_PT3_SG_jT4_jjP12ihipStream_tbEUlT_E_NS1_11comp_targetILNS1_3genE2ELNS1_11target_archE906ELNS1_3gpuE6ELNS1_3repE0EEENS1_52radix_sort_onesweep_histogram_config_static_selectorELNS0_4arch9wavefront6targetE1EEEvSE_,comdat
	.protected	_ZN7rocprim17ROCPRIM_400000_NS6detail17trampoline_kernelINS0_14default_configENS1_35radix_sort_onesweep_config_selectorIdlEEZNS1_34radix_sort_onesweep_global_offsetsIS3_Lb0EPdN6thrust23THRUST_200600_302600_NS10device_ptrIlEEjNS0_19identity_decomposerEEE10hipError_tT1_T2_PT3_SG_jT4_jjP12ihipStream_tbEUlT_E_NS1_11comp_targetILNS1_3genE2ELNS1_11target_archE906ELNS1_3gpuE6ELNS1_3repE0EEENS1_52radix_sort_onesweep_histogram_config_static_selectorELNS0_4arch9wavefront6targetE1EEEvSE_ ; -- Begin function _ZN7rocprim17ROCPRIM_400000_NS6detail17trampoline_kernelINS0_14default_configENS1_35radix_sort_onesweep_config_selectorIdlEEZNS1_34radix_sort_onesweep_global_offsetsIS3_Lb0EPdN6thrust23THRUST_200600_302600_NS10device_ptrIlEEjNS0_19identity_decomposerEEE10hipError_tT1_T2_PT3_SG_jT4_jjP12ihipStream_tbEUlT_E_NS1_11comp_targetILNS1_3genE2ELNS1_11target_archE906ELNS1_3gpuE6ELNS1_3repE0EEENS1_52radix_sort_onesweep_histogram_config_static_selectorELNS0_4arch9wavefront6targetE1EEEvSE_
	.globl	_ZN7rocprim17ROCPRIM_400000_NS6detail17trampoline_kernelINS0_14default_configENS1_35radix_sort_onesweep_config_selectorIdlEEZNS1_34radix_sort_onesweep_global_offsetsIS3_Lb0EPdN6thrust23THRUST_200600_302600_NS10device_ptrIlEEjNS0_19identity_decomposerEEE10hipError_tT1_T2_PT3_SG_jT4_jjP12ihipStream_tbEUlT_E_NS1_11comp_targetILNS1_3genE2ELNS1_11target_archE906ELNS1_3gpuE6ELNS1_3repE0EEENS1_52radix_sort_onesweep_histogram_config_static_selectorELNS0_4arch9wavefront6targetE1EEEvSE_
	.p2align	8
	.type	_ZN7rocprim17ROCPRIM_400000_NS6detail17trampoline_kernelINS0_14default_configENS1_35radix_sort_onesweep_config_selectorIdlEEZNS1_34radix_sort_onesweep_global_offsetsIS3_Lb0EPdN6thrust23THRUST_200600_302600_NS10device_ptrIlEEjNS0_19identity_decomposerEEE10hipError_tT1_T2_PT3_SG_jT4_jjP12ihipStream_tbEUlT_E_NS1_11comp_targetILNS1_3genE2ELNS1_11target_archE906ELNS1_3gpuE6ELNS1_3repE0EEENS1_52radix_sort_onesweep_histogram_config_static_selectorELNS0_4arch9wavefront6targetE1EEEvSE_,@function
_ZN7rocprim17ROCPRIM_400000_NS6detail17trampoline_kernelINS0_14default_configENS1_35radix_sort_onesweep_config_selectorIdlEEZNS1_34radix_sort_onesweep_global_offsetsIS3_Lb0EPdN6thrust23THRUST_200600_302600_NS10device_ptrIlEEjNS0_19identity_decomposerEEE10hipError_tT1_T2_PT3_SG_jT4_jjP12ihipStream_tbEUlT_E_NS1_11comp_targetILNS1_3genE2ELNS1_11target_archE906ELNS1_3gpuE6ELNS1_3repE0EEENS1_52radix_sort_onesweep_histogram_config_static_selectorELNS0_4arch9wavefront6targetE1EEEvSE_: ; @_ZN7rocprim17ROCPRIM_400000_NS6detail17trampoline_kernelINS0_14default_configENS1_35radix_sort_onesweep_config_selectorIdlEEZNS1_34radix_sort_onesweep_global_offsetsIS3_Lb0EPdN6thrust23THRUST_200600_302600_NS10device_ptrIlEEjNS0_19identity_decomposerEEE10hipError_tT1_T2_PT3_SG_jT4_jjP12ihipStream_tbEUlT_E_NS1_11comp_targetILNS1_3genE2ELNS1_11target_archE906ELNS1_3gpuE6ELNS1_3repE0EEENS1_52radix_sort_onesweep_histogram_config_static_selectorELNS0_4arch9wavefront6targetE1EEEvSE_
; %bb.0:
	s_load_dword s7, s[4:5], 0x14
	s_load_dwordx4 s[8:11], s[4:5], 0x0
	s_load_dwordx2 s[2:3], s[4:5], 0x1c
	s_mul_i32 s12, s6, 0xc00
	s_mov_b64 s[0:1], -1
	s_waitcnt lgkmcnt(0)
	s_cmp_ge_u32 s6, s7
	s_cbranch_scc0 .LBB1601_243
; %bb.1:
	s_load_dword s4, s[4:5], 0x10
	s_mulk_i32 s7, 0xf400
	s_mov_b32 s13, 0
	s_lshl_b64 s[0:1], s[12:13], 3
                                        ; implicit-def: $vgpr11_vgpr12
	s_waitcnt lgkmcnt(0)
	s_add_i32 s13, s4, s7
	s_add_u32 s0, s8, s0
	s_addc_u32 s1, s9, s1
	v_cmp_gt_u32_e32 vcc, s13, v0
	s_and_saveexec_b64 s[4:5], vcc
	s_cbranch_execz .LBB1601_3
; %bb.2:
	v_lshlrev_b32_e32 v1, 3, v0
	global_load_dwordx2 v[11:12], v1, s[0:1]
.LBB1601_3:
	s_or_b64 exec, exec, s[4:5]
	v_or_b32_e32 v18, 0x200, v0
	v_cmp_gt_u32_e32 vcc, s13, v18
                                        ; implicit-def: $vgpr9_vgpr10
	s_and_saveexec_b64 s[4:5], vcc
	s_cbranch_execz .LBB1601_5
; %bb.4:
	v_lshlrev_b32_e32 v1, 3, v18
	global_load_dwordx2 v[9:10], v1, s[0:1]
.LBB1601_5:
	s_or_b64 exec, exec, s[4:5]
	v_or_b32_e32 v17, 0x400, v0
	v_cmp_gt_u32_e32 vcc, s13, v17
                                        ; implicit-def: $vgpr7_vgpr8
	s_and_saveexec_b64 s[4:5], vcc
	s_cbranch_execz .LBB1601_7
; %bb.6:
	v_lshlrev_b32_e32 v1, 3, v17
	global_load_dwordx2 v[7:8], v1, s[0:1]
.LBB1601_7:
	s_or_b64 exec, exec, s[4:5]
	v_or_b32_e32 v16, 0x600, v0
	v_cmp_gt_u32_e32 vcc, s13, v16
                                        ; implicit-def: $vgpr5_vgpr6
	s_and_saveexec_b64 s[4:5], vcc
	s_cbranch_execz .LBB1601_9
; %bb.8:
	v_lshlrev_b32_e32 v1, 3, v16
	global_load_dwordx2 v[5:6], v1, s[0:1]
.LBB1601_9:
	s_or_b64 exec, exec, s[4:5]
	v_or_b32_e32 v15, 0x800, v0
	v_cmp_gt_u32_e32 vcc, s13, v15
                                        ; implicit-def: $vgpr3_vgpr4
	s_and_saveexec_b64 s[4:5], vcc
	s_cbranch_execz .LBB1601_11
; %bb.10:
	v_lshlrev_b32_e32 v1, 3, v15
	global_load_dwordx2 v[3:4], v1, s[0:1]
.LBB1601_11:
	s_or_b64 exec, exec, s[4:5]
	v_or_b32_e32 v14, 0xa00, v0
	v_cmp_gt_u32_e32 vcc, s13, v14
                                        ; implicit-def: $vgpr1_vgpr2
	s_and_saveexec_b64 s[4:5], vcc
	s_cbranch_execz .LBB1601_13
; %bb.12:
	v_lshlrev_b32_e32 v1, 3, v14
	global_load_dwordx2 v[1:2], v1, s[0:1]
.LBB1601_13:
	s_or_b64 exec, exec, s[4:5]
	v_or_b32_e32 v13, 0xfffffe00, v0
	v_lshlrev_b32_e32 v19, 2, v0
	s_mov_b64 s[0:1], 0
	v_mov_b32_e32 v20, 0
	s_movk_i32 s4, 0x1dff
.LBB1601_14:                            ; =>This Inner Loop Header: Depth=1
	v_add_u32_e32 v13, 0x200, v13
	v_cmp_lt_u32_e32 vcc, s4, v13
	ds_write_b32 v19, v20
	s_or_b64 s[0:1], vcc, s[0:1]
	v_add_u32_e32 v19, 0x800, v19
	s_andn2_b64 exec, exec, s[0:1]
	s_cbranch_execnz .LBB1601_14
; %bb.15:
	s_or_b64 exec, exec, s[0:1]
	s_cmp_le_u32 s3, s2
	s_waitcnt vmcnt(0)
	v_cmp_lt_i64_e32 vcc, -1, v[11:12]
	s_cselect_b64 s[4:5], -1, 0
	v_bfrev_b32_e32 v19, 1
	s_and_b64 s[6:7], s[4:5], exec
	v_cndmask_b32_e32 v20, -1, v19, vcc
	v_ashrrev_i32_e32 v21, 31, v12
	v_cmp_le_u32_e32 vcc, s13, v0
	s_cselect_b32 s18, 8, 10
	v_and_b32_e32 v13, 3, v0
	s_mov_b32 s0, -1
	v_xor_b32_e32 v12, v20, v12
	v_xor_b32_e32 v11, v21, v11
	s_nor_b64 s[14:15], s[4:5], vcc
	v_mov_b32_e32 v20, s18
	s_waitcnt lgkmcnt(0)
	s_barrier
	s_and_saveexec_b64 s[6:7], s[14:15]
	s_cbranch_execz .LBB1601_17
; %bb.16:
	s_brev_b32 s1, -2
	v_cmp_ne_u64_e64 s[0:1], s[0:1], v[11:12]
	s_sub_i32 s14, s3, s2
	v_cndmask_b32_e64 v20, v19, v12, s[0:1]
	v_cndmask_b32_e64 v19, 0, v11, s[0:1]
	v_lshrrev_b64 v[19:20], s2, v[19:20]
	s_min_u32 s0, s14, 8
	v_bfe_u32 v19, v19, 0, s0
	v_lshlrev_b32_e32 v20, 2, v13
	v_lshl_or_b32 v19, v19, 4, v20
	v_mov_b32_e32 v20, 1
	ds_add_u32 v19, v20
	v_mov_b32_e32 v20, 0
.LBB1601_17:
	s_or_b64 exec, exec, s[6:7]
	v_cmp_gt_i32_e64 s[0:1], 10, v20
	s_mov_b64 s[14:15], -1
	s_and_saveexec_b64 s[6:7], s[0:1]
; %bb.18:
	v_cmp_eq_u32_e64 s[0:1], 0, v20
	s_orn2_b64 s[14:15], s[0:1], exec
; %bb.19:
	s_or_b64 exec, exec, s[6:7]
	s_and_saveexec_b64 s[6:7], s[14:15]
	s_cbranch_execz .LBB1601_52
; %bb.20:
	s_add_i32 s16, s2, 8
	s_cmp_le_u32 s3, s16
	s_cselect_b64 s[0:1], -1, 0
	s_and_b64 s[14:15], s[0:1], exec
	s_cselect_b32 s14, 8, 10
	s_nor_b64 s[0:1], s[0:1], vcc
	v_mov_b32_e32 v19, s14
	s_and_saveexec_b64 s[14:15], s[0:1]
	s_cbranch_execz .LBB1601_22
; %bb.21:
	s_mov_b32 s0, -1
	s_brev_b32 s1, -2
	v_cmp_ne_u64_e64 s[0:1], s[0:1], v[11:12]
	v_bfrev_b32_e32 v19, 1
	v_cndmask_b32_e64 v20, v19, v12, s[0:1]
	v_cndmask_b32_e64 v19, 0, v11, s[0:1]
	s_sub_i32 s17, s3, s16
	v_lshrrev_b64 v[19:20], s16, v[19:20]
	s_min_u32 s0, s17, 8
	v_bfe_u32 v19, v19, 0, s0
	v_lshlrev_b32_e32 v20, 2, v13
	v_lshl_or_b32 v19, v19, 4, v20
	v_mov_b32_e32 v20, 1
	ds_add_u32 v19, v20 offset:4096
	v_mov_b32_e32 v19, 0
.LBB1601_22:
	s_or_b64 exec, exec, s[14:15]
	v_cmp_gt_i32_e64 s[0:1], 10, v19
	s_mov_b64 s[14:15], -1
	s_and_saveexec_b64 s[16:17], s[0:1]
; %bb.23:
	v_cmp_eq_u32_e64 s[0:1], 0, v19
	s_orn2_b64 s[14:15], s[0:1], exec
; %bb.24:
	s_or_b64 exec, exec, s[16:17]
	s_and_b64 exec, exec, s[14:15]
	s_cbranch_execz .LBB1601_52
; %bb.25:
	s_add_i32 s16, s2, 16
	s_cmp_le_u32 s3, s16
	s_cselect_b64 s[0:1], -1, 0
	s_and_b64 s[14:15], s[0:1], exec
	s_cselect_b32 s14, 8, 10
	s_nor_b64 s[0:1], s[0:1], vcc
	v_mov_b32_e32 v19, s14
	s_and_saveexec_b64 s[14:15], s[0:1]
	s_cbranch_execz .LBB1601_27
; %bb.26:
	s_mov_b32 s0, -1
	s_brev_b32 s1, -2
	v_cmp_ne_u64_e64 s[0:1], s[0:1], v[11:12]
	v_bfrev_b32_e32 v19, 1
	v_cndmask_b32_e64 v20, v19, v12, s[0:1]
	v_cndmask_b32_e64 v19, 0, v11, s[0:1]
	s_sub_i32 s17, s3, s16
	v_lshrrev_b64 v[19:20], s16, v[19:20]
	s_min_u32 s0, s17, 8
	v_bfe_u32 v19, v19, 0, s0
	v_lshlrev_b32_e32 v20, 2, v13
	v_lshl_or_b32 v19, v19, 4, v20
	v_mov_b32_e32 v20, 1
	ds_add_u32 v19, v20 offset:8192
	v_mov_b32_e32 v19, 0
.LBB1601_27:
	s_or_b64 exec, exec, s[14:15]
	v_cmp_gt_i32_e64 s[0:1], 10, v19
	s_mov_b64 s[14:15], -1
	s_and_saveexec_b64 s[16:17], s[0:1]
; %bb.28:
	v_cmp_eq_u32_e64 s[0:1], 0, v19
	s_orn2_b64 s[14:15], s[0:1], exec
; %bb.29:
	s_or_b64 exec, exec, s[16:17]
	s_and_b64 exec, exec, s[14:15]
	;; [unrolled: 38-line block ×6, first 2 shown]
	s_cbranch_execz .LBB1601_52
; %bb.50:
	s_add_i32 s0, s2, 56
	s_cmp_gt_u32 s3, s0
	s_cselect_b64 s[14:15], -1, 0
	s_xor_b64 s[16:17], vcc, -1
	s_and_b64 s[14:15], s[14:15], s[16:17]
	s_and_b64 exec, exec, s[14:15]
	s_cbranch_execz .LBB1601_52
; %bb.51:
	s_mov_b32 s14, -1
	s_brev_b32 s15, -2
	v_cmp_ne_u64_e32 vcc, s[14:15], v[11:12]
	v_bfrev_b32_e32 v19, 1
	v_cndmask_b32_e32 v12, v19, v12, vcc
	v_cndmask_b32_e32 v11, 0, v11, vcc
	s_sub_i32 s1, s3, s0
	v_lshrrev_b64 v[11:12], s0, v[11:12]
	s_min_u32 s0, s1, 8
	v_bfe_u32 v11, v11, 0, s0
	v_lshlrev_b32_e32 v12, 2, v13
	v_lshl_or_b32 v11, v11, 4, v12
	v_mov_b32_e32 v12, 1
	ds_add_u32 v11, v12 offset:28672
.LBB1601_52:
	s_or_b64 exec, exec, s[6:7]
	v_cmp_lt_i64_e32 vcc, -1, v[9:10]
	v_bfrev_b32_e32 v11, 1
	v_cndmask_b32_e32 v12, -1, v11, vcc
	v_ashrrev_i32_e32 v19, 31, v10
	v_cmp_le_u32_e32 vcc, s13, v18
	s_mov_b32 s0, -1
	v_xor_b32_e32 v10, v12, v10
	v_xor_b32_e32 v9, v19, v9
	s_nor_b64 s[14:15], s[4:5], vcc
	v_mov_b32_e32 v12, s18
	s_and_saveexec_b64 s[6:7], s[14:15]
	s_cbranch_execz .LBB1601_54
; %bb.53:
	s_brev_b32 s1, -2
	v_cmp_ne_u64_e64 s[0:1], s[0:1], v[9:10]
	s_sub_i32 s14, s3, s2
	v_cndmask_b32_e64 v12, v11, v10, s[0:1]
	v_cndmask_b32_e64 v11, 0, v9, s[0:1]
	v_lshrrev_b64 v[11:12], s2, v[11:12]
	s_min_u32 s0, s14, 8
	v_bfe_u32 v11, v11, 0, s0
	v_lshlrev_b32_e32 v12, 2, v13
	v_lshl_or_b32 v11, v11, 4, v12
	v_mov_b32_e32 v12, 1
	ds_add_u32 v11, v12
	v_mov_b32_e32 v12, 0
.LBB1601_54:
	s_or_b64 exec, exec, s[6:7]
	v_cmp_gt_i32_e64 s[0:1], 10, v12
	s_mov_b64 s[14:15], -1
	s_and_saveexec_b64 s[6:7], s[0:1]
; %bb.55:
	v_cmp_eq_u32_e64 s[0:1], 0, v12
	s_orn2_b64 s[14:15], s[0:1], exec
; %bb.56:
	s_or_b64 exec, exec, s[6:7]
	s_and_saveexec_b64 s[6:7], s[14:15]
	s_cbranch_execz .LBB1601_89
; %bb.57:
	s_add_i32 s16, s2, 8
	s_cmp_le_u32 s3, s16
	s_cselect_b64 s[0:1], -1, 0
	s_and_b64 s[14:15], s[0:1], exec
	s_cselect_b32 s14, 8, 10
	s_nor_b64 s[0:1], s[0:1], vcc
	v_mov_b32_e32 v11, s14
	s_and_saveexec_b64 s[14:15], s[0:1]
	s_cbranch_execz .LBB1601_59
; %bb.58:
	s_mov_b32 s0, -1
	s_brev_b32 s1, -2
	v_cmp_ne_u64_e64 s[0:1], s[0:1], v[9:10]
	v_bfrev_b32_e32 v11, 1
	v_cndmask_b32_e64 v12, v11, v10, s[0:1]
	v_cndmask_b32_e64 v11, 0, v9, s[0:1]
	s_sub_i32 s17, s3, s16
	v_lshrrev_b64 v[11:12], s16, v[11:12]
	s_min_u32 s0, s17, 8
	v_bfe_u32 v11, v11, 0, s0
	v_lshlrev_b32_e32 v12, 2, v13
	v_lshl_or_b32 v11, v11, 4, v12
	v_mov_b32_e32 v12, 1
	ds_add_u32 v11, v12 offset:4096
	v_mov_b32_e32 v11, 0
.LBB1601_59:
	s_or_b64 exec, exec, s[14:15]
	v_cmp_gt_i32_e64 s[0:1], 10, v11
	s_mov_b64 s[14:15], -1
	s_and_saveexec_b64 s[16:17], s[0:1]
; %bb.60:
	v_cmp_eq_u32_e64 s[0:1], 0, v11
	s_orn2_b64 s[14:15], s[0:1], exec
; %bb.61:
	s_or_b64 exec, exec, s[16:17]
	s_and_b64 exec, exec, s[14:15]
	s_cbranch_execz .LBB1601_89
; %bb.62:
	s_add_i32 s16, s2, 16
	s_cmp_le_u32 s3, s16
	s_cselect_b64 s[0:1], -1, 0
	s_and_b64 s[14:15], s[0:1], exec
	s_cselect_b32 s14, 8, 10
	s_nor_b64 s[0:1], s[0:1], vcc
	v_mov_b32_e32 v11, s14
	s_and_saveexec_b64 s[14:15], s[0:1]
	s_cbranch_execz .LBB1601_64
; %bb.63:
	s_mov_b32 s0, -1
	s_brev_b32 s1, -2
	v_cmp_ne_u64_e64 s[0:1], s[0:1], v[9:10]
	v_bfrev_b32_e32 v11, 1
	v_cndmask_b32_e64 v12, v11, v10, s[0:1]
	v_cndmask_b32_e64 v11, 0, v9, s[0:1]
	s_sub_i32 s17, s3, s16
	v_lshrrev_b64 v[11:12], s16, v[11:12]
	s_min_u32 s0, s17, 8
	v_bfe_u32 v11, v11, 0, s0
	v_lshlrev_b32_e32 v12, 2, v13
	v_lshl_or_b32 v11, v11, 4, v12
	v_mov_b32_e32 v12, 1
	ds_add_u32 v11, v12 offset:8192
	v_mov_b32_e32 v11, 0
.LBB1601_64:
	s_or_b64 exec, exec, s[14:15]
	v_cmp_gt_i32_e64 s[0:1], 10, v11
	s_mov_b64 s[14:15], -1
	s_and_saveexec_b64 s[16:17], s[0:1]
; %bb.65:
	v_cmp_eq_u32_e64 s[0:1], 0, v11
	s_orn2_b64 s[14:15], s[0:1], exec
; %bb.66:
	s_or_b64 exec, exec, s[16:17]
	s_and_b64 exec, exec, s[14:15]
	;; [unrolled: 38-line block ×6, first 2 shown]
	s_cbranch_execz .LBB1601_89
; %bb.87:
	s_add_i32 s0, s2, 56
	s_cmp_gt_u32 s3, s0
	s_cselect_b64 s[14:15], -1, 0
	s_xor_b64 s[16:17], vcc, -1
	s_and_b64 s[14:15], s[14:15], s[16:17]
	s_and_b64 exec, exec, s[14:15]
	s_cbranch_execz .LBB1601_89
; %bb.88:
	s_mov_b32 s14, -1
	s_brev_b32 s15, -2
	v_cmp_ne_u64_e32 vcc, s[14:15], v[9:10]
	v_bfrev_b32_e32 v11, 1
	v_cndmask_b32_e32 v10, v11, v10, vcc
	v_cndmask_b32_e32 v9, 0, v9, vcc
	s_sub_i32 s1, s3, s0
	v_lshrrev_b64 v[9:10], s0, v[9:10]
	s_min_u32 s0, s1, 8
	v_bfe_u32 v9, v9, 0, s0
	v_lshlrev_b32_e32 v10, 2, v13
	v_lshl_or_b32 v9, v9, 4, v10
	v_mov_b32_e32 v10, 1
	ds_add_u32 v9, v10 offset:28672
.LBB1601_89:
	s_or_b64 exec, exec, s[6:7]
	v_cmp_lt_i64_e32 vcc, -1, v[7:8]
	v_bfrev_b32_e32 v9, 1
	v_cndmask_b32_e32 v10, -1, v9, vcc
	v_ashrrev_i32_e32 v11, 31, v8
	v_cmp_le_u32_e32 vcc, s13, v17
	s_mov_b32 s0, -1
	v_xor_b32_e32 v8, v10, v8
	v_xor_b32_e32 v7, v11, v7
	s_nor_b64 s[14:15], s[4:5], vcc
	v_mov_b32_e32 v10, s18
	s_and_saveexec_b64 s[6:7], s[14:15]
	s_cbranch_execz .LBB1601_91
; %bb.90:
	s_brev_b32 s1, -2
	v_cmp_ne_u64_e64 s[0:1], s[0:1], v[7:8]
	s_sub_i32 s14, s3, s2
	v_cndmask_b32_e64 v10, v9, v8, s[0:1]
	v_cndmask_b32_e64 v9, 0, v7, s[0:1]
	v_lshrrev_b64 v[9:10], s2, v[9:10]
	s_min_u32 s0, s14, 8
	v_bfe_u32 v9, v9, 0, s0
	v_lshlrev_b32_e32 v10, 2, v13
	v_lshl_or_b32 v9, v9, 4, v10
	v_mov_b32_e32 v10, 1
	ds_add_u32 v9, v10
	v_mov_b32_e32 v10, 0
.LBB1601_91:
	s_or_b64 exec, exec, s[6:7]
	v_cmp_gt_i32_e64 s[0:1], 10, v10
	s_mov_b64 s[14:15], -1
	s_and_saveexec_b64 s[6:7], s[0:1]
; %bb.92:
	v_cmp_eq_u32_e64 s[0:1], 0, v10
	s_orn2_b64 s[14:15], s[0:1], exec
; %bb.93:
	s_or_b64 exec, exec, s[6:7]
	s_and_saveexec_b64 s[6:7], s[14:15]
	s_cbranch_execz .LBB1601_126
; %bb.94:
	s_add_i32 s16, s2, 8
	s_cmp_le_u32 s3, s16
	s_cselect_b64 s[0:1], -1, 0
	s_and_b64 s[14:15], s[0:1], exec
	s_cselect_b32 s14, 8, 10
	s_nor_b64 s[0:1], s[0:1], vcc
	v_mov_b32_e32 v9, s14
	s_and_saveexec_b64 s[14:15], s[0:1]
	s_cbranch_execz .LBB1601_96
; %bb.95:
	s_mov_b32 s0, -1
	s_brev_b32 s1, -2
	v_cmp_ne_u64_e64 s[0:1], s[0:1], v[7:8]
	v_bfrev_b32_e32 v9, 1
	v_cndmask_b32_e64 v10, v9, v8, s[0:1]
	v_cndmask_b32_e64 v9, 0, v7, s[0:1]
	s_sub_i32 s17, s3, s16
	v_lshrrev_b64 v[9:10], s16, v[9:10]
	s_min_u32 s0, s17, 8
	v_bfe_u32 v9, v9, 0, s0
	v_lshlrev_b32_e32 v10, 2, v13
	v_lshl_or_b32 v9, v9, 4, v10
	v_mov_b32_e32 v10, 1
	ds_add_u32 v9, v10 offset:4096
	v_mov_b32_e32 v9, 0
.LBB1601_96:
	s_or_b64 exec, exec, s[14:15]
	v_cmp_gt_i32_e64 s[0:1], 10, v9
	s_mov_b64 s[14:15], -1
	s_and_saveexec_b64 s[16:17], s[0:1]
; %bb.97:
	v_cmp_eq_u32_e64 s[0:1], 0, v9
	s_orn2_b64 s[14:15], s[0:1], exec
; %bb.98:
	s_or_b64 exec, exec, s[16:17]
	s_and_b64 exec, exec, s[14:15]
	s_cbranch_execz .LBB1601_126
; %bb.99:
	s_add_i32 s16, s2, 16
	s_cmp_le_u32 s3, s16
	s_cselect_b64 s[0:1], -1, 0
	s_and_b64 s[14:15], s[0:1], exec
	s_cselect_b32 s14, 8, 10
	s_nor_b64 s[0:1], s[0:1], vcc
	v_mov_b32_e32 v9, s14
	s_and_saveexec_b64 s[14:15], s[0:1]
	s_cbranch_execz .LBB1601_101
; %bb.100:
	s_mov_b32 s0, -1
	s_brev_b32 s1, -2
	v_cmp_ne_u64_e64 s[0:1], s[0:1], v[7:8]
	v_bfrev_b32_e32 v9, 1
	v_cndmask_b32_e64 v10, v9, v8, s[0:1]
	v_cndmask_b32_e64 v9, 0, v7, s[0:1]
	s_sub_i32 s17, s3, s16
	v_lshrrev_b64 v[9:10], s16, v[9:10]
	s_min_u32 s0, s17, 8
	v_bfe_u32 v9, v9, 0, s0
	v_lshlrev_b32_e32 v10, 2, v13
	v_lshl_or_b32 v9, v9, 4, v10
	v_mov_b32_e32 v10, 1
	ds_add_u32 v9, v10 offset:8192
	v_mov_b32_e32 v9, 0
.LBB1601_101:
	s_or_b64 exec, exec, s[14:15]
	v_cmp_gt_i32_e64 s[0:1], 10, v9
	s_mov_b64 s[14:15], -1
	s_and_saveexec_b64 s[16:17], s[0:1]
; %bb.102:
	v_cmp_eq_u32_e64 s[0:1], 0, v9
	s_orn2_b64 s[14:15], s[0:1], exec
; %bb.103:
	s_or_b64 exec, exec, s[16:17]
	s_and_b64 exec, exec, s[14:15]
	;; [unrolled: 38-line block ×6, first 2 shown]
	s_cbranch_execz .LBB1601_126
; %bb.124:
	s_add_i32 s0, s2, 56
	s_cmp_gt_u32 s3, s0
	s_cselect_b64 s[14:15], -1, 0
	s_xor_b64 s[16:17], vcc, -1
	s_and_b64 s[14:15], s[14:15], s[16:17]
	s_and_b64 exec, exec, s[14:15]
	s_cbranch_execz .LBB1601_126
; %bb.125:
	s_mov_b32 s14, -1
	s_brev_b32 s15, -2
	v_cmp_ne_u64_e32 vcc, s[14:15], v[7:8]
	v_bfrev_b32_e32 v9, 1
	v_cndmask_b32_e32 v8, v9, v8, vcc
	v_cndmask_b32_e32 v7, 0, v7, vcc
	s_sub_i32 s1, s3, s0
	v_lshrrev_b64 v[7:8], s0, v[7:8]
	s_min_u32 s0, s1, 8
	v_bfe_u32 v7, v7, 0, s0
	v_lshlrev_b32_e32 v8, 2, v13
	v_lshl_or_b32 v7, v7, 4, v8
	v_mov_b32_e32 v8, 1
	ds_add_u32 v7, v8 offset:28672
.LBB1601_126:
	s_or_b64 exec, exec, s[6:7]
	v_cmp_lt_i64_e32 vcc, -1, v[5:6]
	v_bfrev_b32_e32 v7, 1
	v_cndmask_b32_e32 v8, -1, v7, vcc
	v_ashrrev_i32_e32 v9, 31, v6
	v_cmp_le_u32_e32 vcc, s13, v16
	s_mov_b32 s0, -1
	v_xor_b32_e32 v6, v8, v6
	v_xor_b32_e32 v5, v9, v5
	s_nor_b64 s[14:15], s[4:5], vcc
	v_mov_b32_e32 v8, s18
	s_and_saveexec_b64 s[6:7], s[14:15]
	s_cbranch_execz .LBB1601_128
; %bb.127:
	s_brev_b32 s1, -2
	v_cmp_ne_u64_e64 s[0:1], s[0:1], v[5:6]
	s_sub_i32 s14, s3, s2
	v_cndmask_b32_e64 v8, v7, v6, s[0:1]
	v_cndmask_b32_e64 v7, 0, v5, s[0:1]
	v_lshrrev_b64 v[7:8], s2, v[7:8]
	s_min_u32 s0, s14, 8
	v_bfe_u32 v7, v7, 0, s0
	v_lshlrev_b32_e32 v8, 2, v13
	v_lshl_or_b32 v7, v7, 4, v8
	v_mov_b32_e32 v8, 1
	ds_add_u32 v7, v8
	v_mov_b32_e32 v8, 0
.LBB1601_128:
	s_or_b64 exec, exec, s[6:7]
	v_cmp_gt_i32_e64 s[0:1], 10, v8
	s_mov_b64 s[14:15], -1
	s_and_saveexec_b64 s[6:7], s[0:1]
; %bb.129:
	v_cmp_eq_u32_e64 s[0:1], 0, v8
	s_orn2_b64 s[14:15], s[0:1], exec
; %bb.130:
	s_or_b64 exec, exec, s[6:7]
	s_and_saveexec_b64 s[6:7], s[14:15]
	s_cbranch_execz .LBB1601_163
; %bb.131:
	s_add_i32 s16, s2, 8
	s_cmp_le_u32 s3, s16
	s_cselect_b64 s[0:1], -1, 0
	s_and_b64 s[14:15], s[0:1], exec
	s_cselect_b32 s14, 8, 10
	s_nor_b64 s[0:1], s[0:1], vcc
	v_mov_b32_e32 v7, s14
	s_and_saveexec_b64 s[14:15], s[0:1]
	s_cbranch_execz .LBB1601_133
; %bb.132:
	s_mov_b32 s0, -1
	s_brev_b32 s1, -2
	v_cmp_ne_u64_e64 s[0:1], s[0:1], v[5:6]
	v_bfrev_b32_e32 v7, 1
	v_cndmask_b32_e64 v8, v7, v6, s[0:1]
	v_cndmask_b32_e64 v7, 0, v5, s[0:1]
	s_sub_i32 s17, s3, s16
	v_lshrrev_b64 v[7:8], s16, v[7:8]
	s_min_u32 s0, s17, 8
	v_bfe_u32 v7, v7, 0, s0
	v_lshlrev_b32_e32 v8, 2, v13
	v_lshl_or_b32 v7, v7, 4, v8
	v_mov_b32_e32 v8, 1
	ds_add_u32 v7, v8 offset:4096
	v_mov_b32_e32 v7, 0
.LBB1601_133:
	s_or_b64 exec, exec, s[14:15]
	v_cmp_gt_i32_e64 s[0:1], 10, v7
	s_mov_b64 s[14:15], -1
	s_and_saveexec_b64 s[16:17], s[0:1]
; %bb.134:
	v_cmp_eq_u32_e64 s[0:1], 0, v7
	s_orn2_b64 s[14:15], s[0:1], exec
; %bb.135:
	s_or_b64 exec, exec, s[16:17]
	s_and_b64 exec, exec, s[14:15]
	s_cbranch_execz .LBB1601_163
; %bb.136:
	s_add_i32 s16, s2, 16
	s_cmp_le_u32 s3, s16
	s_cselect_b64 s[0:1], -1, 0
	s_and_b64 s[14:15], s[0:1], exec
	s_cselect_b32 s14, 8, 10
	s_nor_b64 s[0:1], s[0:1], vcc
	v_mov_b32_e32 v7, s14
	s_and_saveexec_b64 s[14:15], s[0:1]
	s_cbranch_execz .LBB1601_138
; %bb.137:
	s_mov_b32 s0, -1
	s_brev_b32 s1, -2
	v_cmp_ne_u64_e64 s[0:1], s[0:1], v[5:6]
	v_bfrev_b32_e32 v7, 1
	v_cndmask_b32_e64 v8, v7, v6, s[0:1]
	v_cndmask_b32_e64 v7, 0, v5, s[0:1]
	s_sub_i32 s17, s3, s16
	v_lshrrev_b64 v[7:8], s16, v[7:8]
	s_min_u32 s0, s17, 8
	v_bfe_u32 v7, v7, 0, s0
	v_lshlrev_b32_e32 v8, 2, v13
	v_lshl_or_b32 v7, v7, 4, v8
	v_mov_b32_e32 v8, 1
	ds_add_u32 v7, v8 offset:8192
	v_mov_b32_e32 v7, 0
.LBB1601_138:
	s_or_b64 exec, exec, s[14:15]
	v_cmp_gt_i32_e64 s[0:1], 10, v7
	s_mov_b64 s[14:15], -1
	s_and_saveexec_b64 s[16:17], s[0:1]
; %bb.139:
	v_cmp_eq_u32_e64 s[0:1], 0, v7
	s_orn2_b64 s[14:15], s[0:1], exec
; %bb.140:
	s_or_b64 exec, exec, s[16:17]
	s_and_b64 exec, exec, s[14:15]
	;; [unrolled: 38-line block ×6, first 2 shown]
	s_cbranch_execz .LBB1601_163
; %bb.161:
	s_add_i32 s0, s2, 56
	s_cmp_gt_u32 s3, s0
	s_cselect_b64 s[14:15], -1, 0
	s_xor_b64 s[16:17], vcc, -1
	s_and_b64 s[14:15], s[14:15], s[16:17]
	s_and_b64 exec, exec, s[14:15]
	s_cbranch_execz .LBB1601_163
; %bb.162:
	s_mov_b32 s14, -1
	s_brev_b32 s15, -2
	v_cmp_ne_u64_e32 vcc, s[14:15], v[5:6]
	v_bfrev_b32_e32 v7, 1
	v_cndmask_b32_e32 v6, v7, v6, vcc
	v_cndmask_b32_e32 v5, 0, v5, vcc
	s_sub_i32 s1, s3, s0
	v_lshrrev_b64 v[5:6], s0, v[5:6]
	s_min_u32 s0, s1, 8
	v_bfe_u32 v5, v5, 0, s0
	v_lshlrev_b32_e32 v6, 2, v13
	v_lshl_or_b32 v5, v5, 4, v6
	v_mov_b32_e32 v6, 1
	ds_add_u32 v5, v6 offset:28672
.LBB1601_163:
	s_or_b64 exec, exec, s[6:7]
	v_cmp_lt_i64_e32 vcc, -1, v[3:4]
	v_bfrev_b32_e32 v5, 1
	v_cndmask_b32_e32 v6, -1, v5, vcc
	v_ashrrev_i32_e32 v7, 31, v4
	v_cmp_le_u32_e32 vcc, s13, v15
	s_mov_b32 s0, -1
	v_xor_b32_e32 v4, v6, v4
	v_xor_b32_e32 v3, v7, v3
	s_nor_b64 s[14:15], s[4:5], vcc
	v_mov_b32_e32 v6, s18
	s_and_saveexec_b64 s[6:7], s[14:15]
	s_cbranch_execz .LBB1601_165
; %bb.164:
	s_brev_b32 s1, -2
	v_cmp_ne_u64_e64 s[0:1], s[0:1], v[3:4]
	s_sub_i32 s14, s3, s2
	v_cndmask_b32_e64 v6, v5, v4, s[0:1]
	v_cndmask_b32_e64 v5, 0, v3, s[0:1]
	v_lshrrev_b64 v[5:6], s2, v[5:6]
	s_min_u32 s0, s14, 8
	v_bfe_u32 v5, v5, 0, s0
	v_lshlrev_b32_e32 v6, 2, v13
	v_lshl_or_b32 v5, v5, 4, v6
	v_mov_b32_e32 v6, 1
	ds_add_u32 v5, v6
	v_mov_b32_e32 v6, 0
.LBB1601_165:
	s_or_b64 exec, exec, s[6:7]
	v_cmp_gt_i32_e64 s[0:1], 10, v6
	s_mov_b64 s[14:15], -1
	s_and_saveexec_b64 s[6:7], s[0:1]
; %bb.166:
	v_cmp_eq_u32_e64 s[0:1], 0, v6
	s_orn2_b64 s[14:15], s[0:1], exec
; %bb.167:
	s_or_b64 exec, exec, s[6:7]
	s_and_saveexec_b64 s[6:7], s[14:15]
	s_cbranch_execz .LBB1601_200
; %bb.168:
	s_add_i32 s16, s2, 8
	s_cmp_le_u32 s3, s16
	s_cselect_b64 s[0:1], -1, 0
	s_and_b64 s[14:15], s[0:1], exec
	s_cselect_b32 s14, 8, 10
	s_nor_b64 s[0:1], s[0:1], vcc
	v_mov_b32_e32 v5, s14
	s_and_saveexec_b64 s[14:15], s[0:1]
	s_cbranch_execz .LBB1601_170
; %bb.169:
	s_mov_b32 s0, -1
	s_brev_b32 s1, -2
	v_cmp_ne_u64_e64 s[0:1], s[0:1], v[3:4]
	v_bfrev_b32_e32 v5, 1
	v_cndmask_b32_e64 v6, v5, v4, s[0:1]
	v_cndmask_b32_e64 v5, 0, v3, s[0:1]
	s_sub_i32 s17, s3, s16
	v_lshrrev_b64 v[5:6], s16, v[5:6]
	s_min_u32 s0, s17, 8
	v_bfe_u32 v5, v5, 0, s0
	v_lshlrev_b32_e32 v6, 2, v13
	v_lshl_or_b32 v5, v5, 4, v6
	v_mov_b32_e32 v6, 1
	ds_add_u32 v5, v6 offset:4096
	v_mov_b32_e32 v5, 0
.LBB1601_170:
	s_or_b64 exec, exec, s[14:15]
	v_cmp_gt_i32_e64 s[0:1], 10, v5
	s_mov_b64 s[14:15], -1
	s_and_saveexec_b64 s[16:17], s[0:1]
; %bb.171:
	v_cmp_eq_u32_e64 s[0:1], 0, v5
	s_orn2_b64 s[14:15], s[0:1], exec
; %bb.172:
	s_or_b64 exec, exec, s[16:17]
	s_and_b64 exec, exec, s[14:15]
	s_cbranch_execz .LBB1601_200
; %bb.173:
	s_add_i32 s16, s2, 16
	s_cmp_le_u32 s3, s16
	s_cselect_b64 s[0:1], -1, 0
	s_and_b64 s[14:15], s[0:1], exec
	s_cselect_b32 s14, 8, 10
	s_nor_b64 s[0:1], s[0:1], vcc
	v_mov_b32_e32 v5, s14
	s_and_saveexec_b64 s[14:15], s[0:1]
	s_cbranch_execz .LBB1601_175
; %bb.174:
	s_mov_b32 s0, -1
	s_brev_b32 s1, -2
	v_cmp_ne_u64_e64 s[0:1], s[0:1], v[3:4]
	v_bfrev_b32_e32 v5, 1
	v_cndmask_b32_e64 v6, v5, v4, s[0:1]
	v_cndmask_b32_e64 v5, 0, v3, s[0:1]
	s_sub_i32 s17, s3, s16
	v_lshrrev_b64 v[5:6], s16, v[5:6]
	s_min_u32 s0, s17, 8
	v_bfe_u32 v5, v5, 0, s0
	v_lshlrev_b32_e32 v6, 2, v13
	v_lshl_or_b32 v5, v5, 4, v6
	v_mov_b32_e32 v6, 1
	ds_add_u32 v5, v6 offset:8192
	v_mov_b32_e32 v5, 0
.LBB1601_175:
	s_or_b64 exec, exec, s[14:15]
	v_cmp_gt_i32_e64 s[0:1], 10, v5
	s_mov_b64 s[14:15], -1
	s_and_saveexec_b64 s[16:17], s[0:1]
; %bb.176:
	v_cmp_eq_u32_e64 s[0:1], 0, v5
	s_orn2_b64 s[14:15], s[0:1], exec
; %bb.177:
	s_or_b64 exec, exec, s[16:17]
	s_and_b64 exec, exec, s[14:15]
	;; [unrolled: 38-line block ×6, first 2 shown]
	s_cbranch_execz .LBB1601_200
; %bb.198:
	s_add_i32 s0, s2, 56
	s_cmp_gt_u32 s3, s0
	s_cselect_b64 s[14:15], -1, 0
	s_xor_b64 s[16:17], vcc, -1
	s_and_b64 s[14:15], s[14:15], s[16:17]
	s_and_b64 exec, exec, s[14:15]
	s_cbranch_execz .LBB1601_200
; %bb.199:
	s_mov_b32 s14, -1
	s_brev_b32 s15, -2
	v_cmp_ne_u64_e32 vcc, s[14:15], v[3:4]
	v_bfrev_b32_e32 v5, 1
	v_cndmask_b32_e32 v4, v5, v4, vcc
	v_cndmask_b32_e32 v3, 0, v3, vcc
	s_sub_i32 s1, s3, s0
	v_lshrrev_b64 v[3:4], s0, v[3:4]
	s_min_u32 s0, s1, 8
	v_bfe_u32 v3, v3, 0, s0
	v_lshlrev_b32_e32 v4, 2, v13
	v_lshl_or_b32 v3, v3, 4, v4
	v_mov_b32_e32 v4, 1
	ds_add_u32 v3, v4 offset:28672
.LBB1601_200:
	s_or_b64 exec, exec, s[6:7]
	v_cmp_lt_i64_e32 vcc, -1, v[1:2]
	v_bfrev_b32_e32 v3, 1
	v_cndmask_b32_e32 v4, -1, v3, vcc
	v_ashrrev_i32_e32 v5, 31, v2
	v_cmp_le_u32_e32 vcc, s13, v14
	s_mov_b32 s0, -1
	v_xor_b32_e32 v2, v4, v2
	v_xor_b32_e32 v1, v5, v1
	s_nor_b64 s[6:7], s[4:5], vcc
	v_mov_b32_e32 v4, s18
	s_and_saveexec_b64 s[4:5], s[6:7]
	s_cbranch_execz .LBB1601_202
; %bb.201:
	s_brev_b32 s1, -2
	v_cmp_ne_u64_e64 s[0:1], s[0:1], v[1:2]
	s_sub_i32 s6, s3, s2
	v_cndmask_b32_e64 v4, v3, v2, s[0:1]
	v_cndmask_b32_e64 v3, 0, v1, s[0:1]
	v_lshrrev_b64 v[3:4], s2, v[3:4]
	s_min_u32 s0, s6, 8
	v_bfe_u32 v3, v3, 0, s0
	v_lshlrev_b32_e32 v4, 2, v13
	v_lshl_or_b32 v3, v3, 4, v4
	v_mov_b32_e32 v4, 1
	ds_add_u32 v3, v4
	v_mov_b32_e32 v4, 0
.LBB1601_202:
	s_or_b64 exec, exec, s[4:5]
	v_cmp_gt_i32_e64 s[0:1], 10, v4
	s_mov_b64 s[6:7], -1
	s_and_saveexec_b64 s[4:5], s[0:1]
; %bb.203:
	v_cmp_eq_u32_e64 s[0:1], 0, v4
	s_orn2_b64 s[6:7], s[0:1], exec
; %bb.204:
	s_or_b64 exec, exec, s[4:5]
	s_and_saveexec_b64 s[4:5], s[6:7]
	s_cbranch_execz .LBB1601_237
; %bb.205:
	s_add_i32 s13, s2, 8
	s_cmp_le_u32 s3, s13
	s_cselect_b64 s[0:1], -1, 0
	s_and_b64 s[6:7], s[0:1], exec
	s_cselect_b32 s6, 8, 10
	s_nor_b64 s[0:1], s[0:1], vcc
	v_mov_b32_e32 v3, s6
	s_and_saveexec_b64 s[6:7], s[0:1]
	s_cbranch_execz .LBB1601_207
; %bb.206:
	s_mov_b32 s0, -1
	s_brev_b32 s1, -2
	v_cmp_ne_u64_e64 s[0:1], s[0:1], v[1:2]
	v_bfrev_b32_e32 v3, 1
	v_cndmask_b32_e64 v4, v3, v2, s[0:1]
	v_cndmask_b32_e64 v3, 0, v1, s[0:1]
	s_sub_i32 s14, s3, s13
	v_lshrrev_b64 v[3:4], s13, v[3:4]
	s_min_u32 s0, s14, 8
	v_bfe_u32 v3, v3, 0, s0
	v_lshlrev_b32_e32 v4, 2, v13
	v_lshl_or_b32 v3, v3, 4, v4
	v_mov_b32_e32 v4, 1
	ds_add_u32 v3, v4 offset:4096
	v_mov_b32_e32 v3, 0
.LBB1601_207:
	s_or_b64 exec, exec, s[6:7]
	v_cmp_gt_i32_e64 s[0:1], 10, v3
	s_mov_b64 s[6:7], -1
	s_and_saveexec_b64 s[14:15], s[0:1]
; %bb.208:
	v_cmp_eq_u32_e64 s[0:1], 0, v3
	s_orn2_b64 s[6:7], s[0:1], exec
; %bb.209:
	s_or_b64 exec, exec, s[14:15]
	s_and_b64 exec, exec, s[6:7]
	s_cbranch_execz .LBB1601_237
; %bb.210:
	s_add_i32 s13, s2, 16
	s_cmp_le_u32 s3, s13
	s_cselect_b64 s[0:1], -1, 0
	s_and_b64 s[6:7], s[0:1], exec
	s_cselect_b32 s6, 8, 10
	s_nor_b64 s[0:1], s[0:1], vcc
	v_mov_b32_e32 v3, s6
	s_and_saveexec_b64 s[6:7], s[0:1]
	s_cbranch_execz .LBB1601_212
; %bb.211:
	s_mov_b32 s0, -1
	s_brev_b32 s1, -2
	v_cmp_ne_u64_e64 s[0:1], s[0:1], v[1:2]
	v_bfrev_b32_e32 v3, 1
	v_cndmask_b32_e64 v4, v3, v2, s[0:1]
	v_cndmask_b32_e64 v3, 0, v1, s[0:1]
	s_sub_i32 s14, s3, s13
	v_lshrrev_b64 v[3:4], s13, v[3:4]
	s_min_u32 s0, s14, 8
	v_bfe_u32 v3, v3, 0, s0
	v_lshlrev_b32_e32 v4, 2, v13
	v_lshl_or_b32 v3, v3, 4, v4
	v_mov_b32_e32 v4, 1
	ds_add_u32 v3, v4 offset:8192
	v_mov_b32_e32 v3, 0
.LBB1601_212:
	s_or_b64 exec, exec, s[6:7]
	v_cmp_gt_i32_e64 s[0:1], 10, v3
	s_mov_b64 s[6:7], -1
	s_and_saveexec_b64 s[14:15], s[0:1]
; %bb.213:
	v_cmp_eq_u32_e64 s[0:1], 0, v3
	s_orn2_b64 s[6:7], s[0:1], exec
; %bb.214:
	s_or_b64 exec, exec, s[14:15]
	s_and_b64 exec, exec, s[6:7]
	;; [unrolled: 38-line block ×6, first 2 shown]
	s_cbranch_execz .LBB1601_237
; %bb.235:
	s_add_i32 s0, s2, 56
	s_cmp_gt_u32 s3, s0
	s_cselect_b64 s[6:7], -1, 0
	s_xor_b64 s[14:15], vcc, -1
	s_and_b64 s[6:7], s[6:7], s[14:15]
	s_and_b64 exec, exec, s[6:7]
	s_cbranch_execz .LBB1601_237
; %bb.236:
	s_mov_b32 s6, -1
	s_brev_b32 s7, -2
	v_cmp_ne_u64_e32 vcc, s[6:7], v[1:2]
	v_bfrev_b32_e32 v3, 1
	v_cndmask_b32_e32 v2, v3, v2, vcc
	v_cndmask_b32_e32 v1, 0, v1, vcc
	s_sub_i32 s1, s3, s0
	v_lshrrev_b64 v[1:2], s0, v[1:2]
	s_min_u32 s0, s1, 8
	v_bfe_u32 v1, v1, 0, s0
	v_lshlrev_b32_e32 v2, 2, v13
	v_lshl_or_b32 v1, v1, 4, v2
	v_mov_b32_e32 v2, 1
	ds_add_u32 v1, v2 offset:28672
.LBB1601_237:
	s_or_b64 exec, exec, s[4:5]
	s_cmp_gt_u32 s3, s2
	s_waitcnt lgkmcnt(0)
	s_barrier
	s_cbranch_scc0 .LBB1601_242
; %bb.238:
	s_movk_i32 s0, 0x100
	v_cmp_gt_u32_e32 vcc, s0, v0
	v_lshlrev_b32_e32 v3, 4, v0
	v_mov_b32_e32 v2, 0
	v_mov_b32_e32 v1, v0
	s_mov_b32 s6, s2
	s_branch .LBB1601_240
.LBB1601_239:                           ;   in Loop: Header=BB1601_240 Depth=1
	s_or_b64 exec, exec, s[4:5]
	s_add_i32 s6, s6, 8
	v_add_u32_e32 v1, 0x100, v1
	s_cmp_lt_u32 s6, s3
	v_add_u32_e32 v3, 0x1000, v3
	s_cbranch_scc0 .LBB1601_242
.LBB1601_240:                           ; =>This Inner Loop Header: Depth=1
	s_and_saveexec_b64 s[4:5], vcc
	s_cbranch_execz .LBB1601_239
; %bb.241:                              ;   in Loop: Header=BB1601_240 Depth=1
	ds_read2_b32 v[4:5], v3 offset1:1
	ds_read2_b32 v[6:7], v3 offset0:2 offset1:3
	v_lshlrev_b64 v[8:9], 2, v[1:2]
	v_mov_b32_e32 v10, s11
	s_waitcnt lgkmcnt(1)
	v_add_u32_e32 v4, v5, v4
	s_waitcnt lgkmcnt(0)
	v_add3_u32 v6, v4, v6, v7
	v_add_co_u32_e64 v4, s[0:1], s10, v8
	v_addc_co_u32_e64 v5, s[0:1], v10, v9, s[0:1]
	global_atomic_add v[4:5], v6, off
	s_branch .LBB1601_239
.LBB1601_242:
	s_mov_b64 s[0:1], 0
.LBB1601_243:
	s_and_b64 vcc, exec, s[0:1]
	s_cbranch_vccz .LBB1601_319
; %bb.244:
	s_cmp_eq_u32 s2, 0
	s_cselect_b64 s[0:1], -1, 0
	s_cmp_eq_u32 s3, 64
	s_mov_b32 s13, 0
	s_cselect_b64 s[4:5], -1, 0
	s_and_b64 s[4:5], s[0:1], s[4:5]
	s_lshl_b64 s[0:1], s[12:13], 3
	s_add_u32 s0, s8, s0
	s_addc_u32 s1, s9, s1
	v_lshlrev_b32_e32 v19, 3, v0
	v_mov_b32_e32 v1, s1
	v_add_co_u32_e32 v7, vcc, s0, v19
	v_addc_co_u32_e32 v8, vcc, 0, v1, vcc
	s_movk_i32 s6, 0x2000
	v_add_co_u32_e32 v3, vcc, s6, v7
	v_addc_co_u32_e32 v4, vcc, 0, v8, vcc
	s_movk_i32 s6, 0x3000
	v_add_co_u32_e32 v13, vcc, s6, v7
	v_addc_co_u32_e32 v14, vcc, 0, v8, vcc
	v_add_co_u32_e32 v15, vcc, 0x4000, v7
	v_addc_co_u32_e32 v16, vcc, 0, v8, vcc
	v_add_co_u32_e32 v17, vcc, 0x5000, v7
	global_load_dwordx2 v[5:6], v[3:4], off offset:-4096
	global_load_dwordx2 v[1:2], v[3:4], off
	v_addc_co_u32_e32 v18, vcc, 0, v8, vcc
	global_load_dwordx2 v[11:12], v19, s[0:1]
	global_load_dwordx2 v[9:10], v[13:14], off
	global_load_dwordx2 v[7:8], v[15:16], off
	global_load_dwordx2 v[3:4], v[17:18], off
	v_mov_b32_e32 v13, 0
	s_mov_b64 s[0:1], -1
	s_and_b64 vcc, exec, s[4:5]
	v_lshlrev_b32_e32 v17, 2, v0
	s_cbranch_vccnz .LBB1601_314
; %bb.245:
	v_or_b32_e32 v14, 0xfffffe00, v0
	v_lshlrev_b32_e32 v15, 2, v0
	s_mov_b64 s[0:1], 0
	s_movk_i32 s4, 0x1dff
.LBB1601_246:                           ; =>This Inner Loop Header: Depth=1
	v_add_u32_e32 v14, 0x200, v14
	v_cmp_lt_u32_e32 vcc, s4, v14
	ds_write_b32 v15, v13
	s_or_b64 s[0:1], vcc, s[0:1]
	v_add_u32_e32 v15, 0x800, v15
	s_andn2_b64 exec, exec, s[0:1]
	s_cbranch_execnz .LBB1601_246
; %bb.247:
	s_or_b64 exec, exec, s[0:1]
	s_cmp_gt_u32 s3, s2
	s_cselect_b64 s[0:1], -1, 0
	s_and_b64 vcc, exec, s[0:1]
	s_waitcnt vmcnt(0) lgkmcnt(0)
	s_barrier
	s_cbranch_vccz .LBB1601_308
; %bb.248:
	v_cmp_lt_i64_e32 vcc, -1, v[5:6]
	v_bfrev_b32_e32 v20, 1
	v_cndmask_b32_e32 v13, -1, v20, vcc
	v_cmp_lt_i64_e32 vcc, -1, v[11:12]
	v_ashrrev_i32_e32 v15, 31, v6
	s_mov_b32 s6, -1
	v_xor_b32_e32 v14, v13, v6
	v_xor_b32_e32 v13, v15, v5
	v_cndmask_b32_e32 v15, -1, v20, vcc
	v_ashrrev_i32_e32 v19, 31, v12
	s_brev_b32 s7, -2
	v_xor_b32_e32 v16, v15, v12
	v_xor_b32_e32 v15, v19, v11
	v_cmp_ne_u64_e32 vcc, s[6:7], v[15:16]
	s_sub_i32 s4, s3, s2
	s_min_u32 s4, s4, 8
	v_cndmask_b32_e32 v16, v20, v16, vcc
	v_cndmask_b32_e32 v15, 0, v15, vcc
	s_lshl_b32 s4, -1, s4
	v_lshrrev_b64 v[21:22], s2, v[15:16]
	v_and_b32_e32 v18, 3, v0
	s_not_b32 s14, s4
	v_and_b32_e32 v21, s14, v21
	v_lshlrev_b32_e32 v19, 2, v18
	v_lshl_or_b32 v21, v21, 4, v19
	v_mov_b32_e32 v22, 1
	ds_add_u32 v21, v22
	s_add_i32 s15, s2, 8
	s_cmp_le_u32 s3, s15
	s_cselect_b64 s[4:5], -1, 0
	s_mov_b64 s[8:9], -1
	s_and_b64 vcc, exec, s[4:5]
	s_cbranch_vccz .LBB1601_250
; %bb.249:
	v_cmp_ne_u64_e32 vcc, s[6:7], v[13:14]
	v_cndmask_b32_e32 v21, v20, v14, vcc
	v_cndmask_b32_e32 v20, 0, v13, vcc
	v_lshrrev_b64 v[20:21], s2, v[20:21]
	s_mov_b64 s[6:7], -1
	v_and_b32_e32 v20, s14, v20
	v_lshlrev_b32_e32 v20, 4, v20
	s_cbranch_execz .LBB1601_251
	s_branch .LBB1601_266
.LBB1601_250:
	s_mov_b64 s[6:7], 0
                                        ; implicit-def: $vgpr20
	s_andn2_b64 vcc, exec, s[8:9]
	s_cbranch_vccnz .LBB1601_266
.LBB1601_251:
	s_sub_i32 s8, s3, s15
	s_min_u32 s8, s8, 8
	s_lshl_b32 s8, -1, s8
	v_lshrrev_b64 v[20:21], s15, v[15:16]
	s_not_b32 s17, s8
	v_and_b32_e32 v20, s17, v20
	v_lshl_or_b32 v21, v20, 4, v19
	v_mov_b32_e32 v20, 1
	ds_add_u32 v21, v20 offset:4096
	s_add_i32 s16, s2, 16
	s_cmp_gt_u32 s3, s16
	s_cselect_b64 s[8:9], -1, 0
	s_cmp_le_u32 s3, s16
	s_mov_b32 s12, -1
	s_cbranch_scc1 .LBB1601_258
; %bb.252:
	s_sub_i32 s13, s3, s16
	v_lshrrev_b64 v[21:22], s16, v[15:16]
	s_min_u32 s13, s13, 8
	v_bfe_u32 v21, v21, 0, s13
	v_lshl_or_b32 v21, v21, 4, v19
	ds_add_u32 v21, v20 offset:8192
	s_add_i32 s13, s2, 24
	s_cmp_le_u32 s3, s13
	s_cbranch_scc1 .LBB1601_258
; %bb.253:
	s_sub_i32 s18, s3, s13
	v_lshrrev_b64 v[21:22], s13, v[15:16]
	s_min_u32 s13, s18, 8
	v_bfe_u32 v21, v21, 0, s13
	v_lshl_or_b32 v22, v21, 4, v19
	v_mov_b32_e32 v21, 1
	ds_add_u32 v22, v21 offset:12288
	s_add_i32 s13, s2, 32
	s_cmp_le_u32 s3, s13
	s_cbranch_scc1 .LBB1601_258
; %bb.254:
	s_sub_i32 s18, s3, s13
	v_lshrrev_b64 v[22:23], s13, v[15:16]
	s_min_u32 s13, s18, 8
	v_bfe_u32 v22, v22, 0, s13
	v_lshl_or_b32 v22, v22, 4, v19
	ds_add_u32 v22, v21 offset:16384
	s_add_i32 s13, s2, 40
	s_cmp_le_u32 s3, s13
	s_cbranch_scc1 .LBB1601_258
; %bb.255:
	s_sub_i32 s18, s3, s13
	v_lshrrev_b64 v[21:22], s13, v[15:16]
	s_min_u32 s13, s18, 8
	v_bfe_u32 v21, v21, 0, s13
	v_lshl_or_b32 v22, v21, 4, v19
	v_mov_b32_e32 v21, 1
	ds_add_u32 v22, v21 offset:20480
	s_add_i32 s13, s2, 48
	s_cmp_le_u32 s3, s13
	s_cbranch_scc1 .LBB1601_258
; %bb.256:
	s_sub_i32 s18, s3, s13
	v_lshrrev_b64 v[22:23], s13, v[15:16]
	s_min_u32 s13, s18, 8
	v_bfe_u32 v22, v22, 0, s13
	v_lshl_or_b32 v22, v22, 4, v19
	ds_add_u32 v22, v21 offset:24576
	s_add_i32 s13, s2, 56
	s_cmp_le_u32 s3, s13
	s_cbranch_scc1 .LBB1601_258
; %bb.257:
	s_sub_i32 s18, s3, s13
	v_lshrrev_b64 v[15:16], s13, v[15:16]
	s_min_u32 s13, s18, 8
	v_bfe_u32 v15, v15, 0, s13
	v_lshl_or_b32 v15, v15, 4, v19
	v_mov_b32_e32 v16, 1
	ds_add_u32 v15, v16 offset:28672
.LBB1601_258:
	s_brev_b32 s13, -2
	v_cmp_ne_u64_e32 vcc, s[12:13], v[13:14]
	v_bfrev_b32_e32 v15, 1
	v_cndmask_b32_e32 v14, v15, v14, vcc
	v_cndmask_b32_e32 v13, 0, v13, vcc
	v_lshrrev_b64 v[15:16], s2, v[13:14]
	s_andn2_b64 vcc, exec, s[8:9]
	v_and_b32_e32 v15, s14, v15
	v_lshl_or_b32 v21, v15, 4, v19
	v_lshrrev_b64 v[15:16], s15, v[13:14]
	ds_add_u32 v21, v20
	v_and_b32_e32 v15, s17, v15
	v_lshl_or_b32 v15, v15, 4, v19
	ds_add_u32 v15, v20 offset:4096
	s_cbranch_vccnz .LBB1601_265
; %bb.259:
	s_sub_i32 s8, s3, s16
	v_lshrrev_b64 v[15:16], s16, v[13:14]
	s_min_u32 s8, s8, 8
	v_bfe_u32 v15, v15, 0, s8
	v_lshl_or_b32 v16, v15, 4, v19
	v_mov_b32_e32 v15, 1
	ds_add_u32 v16, v15 offset:8192
	s_add_i32 s8, s2, 24
	s_cmp_gt_u32 s3, s8
	s_cbranch_scc0 .LBB1601_265
; %bb.260:
	s_sub_i32 s9, s3, s8
	v_lshrrev_b64 v[20:21], s8, v[13:14]
	s_min_u32 s8, s9, 8
	v_bfe_u32 v16, v20, 0, s8
	v_lshl_or_b32 v16, v16, 4, v19
	ds_add_u32 v16, v15 offset:12288
	s_add_i32 s8, s2, 32
	s_cmp_gt_u32 s3, s8
	s_cbranch_scc0 .LBB1601_265
; %bb.261:
	s_sub_i32 s9, s3, s8
	v_lshrrev_b64 v[15:16], s8, v[13:14]
	s_min_u32 s8, s9, 8
	v_bfe_u32 v15, v15, 0, s8
	v_lshl_or_b32 v16, v15, 4, v19
	v_mov_b32_e32 v15, 1
	ds_add_u32 v16, v15 offset:16384
	s_add_i32 s8, s2, 40
	s_cmp_gt_u32 s3, s8
	s_cbranch_scc0 .LBB1601_265
; %bb.262:
	s_sub_i32 s9, s3, s8
	v_lshrrev_b64 v[20:21], s8, v[13:14]
	s_min_u32 s8, s9, 8
	v_bfe_u32 v16, v20, 0, s8
	v_lshl_or_b32 v16, v16, 4, v19
	ds_add_u32 v16, v15 offset:20480
	s_add_i32 s8, s2, 48
	s_cmp_gt_u32 s3, s8
	s_cbranch_scc0 .LBB1601_265
; %bb.263:
	s_sub_i32 s9, s3, s8
	v_lshrrev_b64 v[15:16], s8, v[13:14]
	s_min_u32 s8, s9, 8
	v_bfe_u32 v15, v15, 0, s8
	v_lshl_or_b32 v15, v15, 4, v19
	v_mov_b32_e32 v16, 1
	ds_add_u32 v15, v16 offset:24576
	s_add_i32 s8, s2, 56
	s_cmp_gt_u32 s3, s8
                                        ; implicit-def: $vgpr20
	s_cbranch_scc0 .LBB1601_266
; %bb.264:
	s_sub_i32 s6, s3, s8
	v_lshrrev_b64 v[13:14], s8, v[13:14]
	s_min_u32 s6, s6, 8
	v_bfe_u32 v13, v13, 0, s6
	v_mov_b32_e32 v14, 0x7000
	v_lshl_add_u32 v20, v13, 4, v14
	s_mov_b64 s[6:7], -1
	s_branch .LBB1601_266
.LBB1601_265:
                                        ; implicit-def: $vgpr20
.LBB1601_266:
	s_and_b64 vcc, exec, s[6:7]
	s_cbranch_vccz .LBB1601_268
; %bb.267:
	v_lshl_add_u32 v13, v18, 2, v20
	v_mov_b32_e32 v14, 1
	ds_add_u32 v13, v14
.LBB1601_268:
	v_cmp_lt_i64_e32 vcc, -1, v[1:2]
	v_bfrev_b32_e32 v20, 1
	s_mov_b32 s6, -1
	v_cndmask_b32_e32 v13, -1, v20, vcc
	v_ashrrev_i32_e32 v15, 31, v2
	v_cmp_lt_i64_e32 vcc, -1, v[9:10]
	s_brev_b32 s7, -2
	v_xor_b32_e32 v14, v13, v2
	v_xor_b32_e32 v13, v15, v1
	v_cndmask_b32_e32 v21, -1, v20, vcc
	v_cmp_ne_u64_e32 vcc, s[6:7], v[13:14]
	v_ashrrev_i32_e32 v22, 31, v10
	v_cndmask_b32_e32 v16, v20, v14, vcc
	v_cndmask_b32_e32 v15, 0, v13, vcc
	v_lshrrev_b64 v[13:14], s2, v[15:16]
	v_xor_b32_e32 v14, v21, v10
	v_and_b32_e32 v13, s14, v13
	v_lshl_or_b32 v13, v13, 4, v19
	v_mov_b32_e32 v21, 1
	ds_add_u32 v13, v21
	s_mov_b64 s[8:9], -1
	v_xor_b32_e32 v13, v22, v9
	s_and_b64 vcc, exec, s[4:5]
	s_cbranch_vccz .LBB1601_270
; %bb.269:
	v_cmp_ne_u64_e32 vcc, s[6:7], v[13:14]
	v_cndmask_b32_e32 v21, v20, v14, vcc
	v_cndmask_b32_e32 v20, 0, v13, vcc
	v_lshrrev_b64 v[20:21], s2, v[20:21]
	s_mov_b64 s[6:7], -1
	v_and_b32_e32 v20, s14, v20
	v_lshlrev_b32_e32 v20, 4, v20
	s_cbranch_execz .LBB1601_271
	s_branch .LBB1601_286
.LBB1601_270:
	s_mov_b64 s[6:7], 0
                                        ; implicit-def: $vgpr20
	s_andn2_b64 vcc, exec, s[8:9]
	s_cbranch_vccnz .LBB1601_286
.LBB1601_271:
	s_sub_i32 s8, s3, s15
	s_min_u32 s8, s8, 8
	s_lshl_b32 s8, -1, s8
	v_lshrrev_b64 v[20:21], s15, v[15:16]
	s_not_b32 s17, s8
	v_and_b32_e32 v20, s17, v20
	v_lshl_or_b32 v21, v20, 4, v19
	v_mov_b32_e32 v20, 1
	ds_add_u32 v21, v20 offset:4096
	s_add_i32 s16, s2, 16
	s_cmp_gt_u32 s3, s16
	s_cselect_b64 s[8:9], -1, 0
	s_cmp_le_u32 s3, s16
	s_mov_b32 s12, -1
	s_cbranch_scc1 .LBB1601_278
; %bb.272:
	s_sub_i32 s13, s3, s16
	v_lshrrev_b64 v[21:22], s16, v[15:16]
	s_min_u32 s13, s13, 8
	v_bfe_u32 v21, v21, 0, s13
	v_lshl_or_b32 v21, v21, 4, v19
	ds_add_u32 v21, v20 offset:8192
	s_add_i32 s13, s2, 24
	s_cmp_le_u32 s3, s13
	s_cbranch_scc1 .LBB1601_278
; %bb.273:
	s_sub_i32 s18, s3, s13
	v_lshrrev_b64 v[21:22], s13, v[15:16]
	s_min_u32 s13, s18, 8
	v_bfe_u32 v21, v21, 0, s13
	v_lshl_or_b32 v22, v21, 4, v19
	v_mov_b32_e32 v21, 1
	ds_add_u32 v22, v21 offset:12288
	s_add_i32 s13, s2, 32
	s_cmp_le_u32 s3, s13
	s_cbranch_scc1 .LBB1601_278
; %bb.274:
	s_sub_i32 s18, s3, s13
	v_lshrrev_b64 v[22:23], s13, v[15:16]
	s_min_u32 s13, s18, 8
	v_bfe_u32 v22, v22, 0, s13
	v_lshl_or_b32 v22, v22, 4, v19
	ds_add_u32 v22, v21 offset:16384
	s_add_i32 s13, s2, 40
	s_cmp_le_u32 s3, s13
	s_cbranch_scc1 .LBB1601_278
; %bb.275:
	s_sub_i32 s18, s3, s13
	v_lshrrev_b64 v[21:22], s13, v[15:16]
	s_min_u32 s13, s18, 8
	v_bfe_u32 v21, v21, 0, s13
	v_lshl_or_b32 v22, v21, 4, v19
	v_mov_b32_e32 v21, 1
	ds_add_u32 v22, v21 offset:20480
	s_add_i32 s13, s2, 48
	s_cmp_le_u32 s3, s13
	s_cbranch_scc1 .LBB1601_278
; %bb.276:
	s_sub_i32 s18, s3, s13
	v_lshrrev_b64 v[22:23], s13, v[15:16]
	s_min_u32 s13, s18, 8
	v_bfe_u32 v22, v22, 0, s13
	v_lshl_or_b32 v22, v22, 4, v19
	ds_add_u32 v22, v21 offset:24576
	s_add_i32 s13, s2, 56
	s_cmp_le_u32 s3, s13
	s_cbranch_scc1 .LBB1601_278
; %bb.277:
	s_sub_i32 s18, s3, s13
	v_lshrrev_b64 v[15:16], s13, v[15:16]
	s_min_u32 s13, s18, 8
	v_bfe_u32 v15, v15, 0, s13
	v_lshl_or_b32 v15, v15, 4, v19
	v_mov_b32_e32 v16, 1
	ds_add_u32 v15, v16 offset:28672
.LBB1601_278:
	s_brev_b32 s13, -2
	v_cmp_ne_u64_e32 vcc, s[12:13], v[13:14]
	v_bfrev_b32_e32 v15, 1
	v_cndmask_b32_e32 v14, v15, v14, vcc
	v_cndmask_b32_e32 v13, 0, v13, vcc
	v_lshrrev_b64 v[15:16], s2, v[13:14]
	s_andn2_b64 vcc, exec, s[8:9]
	v_and_b32_e32 v15, s14, v15
	v_lshl_or_b32 v21, v15, 4, v19
	v_lshrrev_b64 v[15:16], s15, v[13:14]
	ds_add_u32 v21, v20
	v_and_b32_e32 v15, s17, v15
	v_lshl_or_b32 v15, v15, 4, v19
	ds_add_u32 v15, v20 offset:4096
	s_cbranch_vccnz .LBB1601_285
; %bb.279:
	s_sub_i32 s8, s3, s16
	v_lshrrev_b64 v[15:16], s16, v[13:14]
	s_min_u32 s8, s8, 8
	v_bfe_u32 v15, v15, 0, s8
	v_lshl_or_b32 v16, v15, 4, v19
	v_mov_b32_e32 v15, 1
	ds_add_u32 v16, v15 offset:8192
	s_add_i32 s8, s2, 24
	s_cmp_gt_u32 s3, s8
	s_cbranch_scc0 .LBB1601_285
; %bb.280:
	s_sub_i32 s9, s3, s8
	v_lshrrev_b64 v[20:21], s8, v[13:14]
	s_min_u32 s8, s9, 8
	v_bfe_u32 v16, v20, 0, s8
	v_lshl_or_b32 v16, v16, 4, v19
	ds_add_u32 v16, v15 offset:12288
	s_add_i32 s8, s2, 32
	s_cmp_gt_u32 s3, s8
	s_cbranch_scc0 .LBB1601_285
; %bb.281:
	s_sub_i32 s9, s3, s8
	v_lshrrev_b64 v[15:16], s8, v[13:14]
	s_min_u32 s8, s9, 8
	v_bfe_u32 v15, v15, 0, s8
	v_lshl_or_b32 v16, v15, 4, v19
	v_mov_b32_e32 v15, 1
	ds_add_u32 v16, v15 offset:16384
	s_add_i32 s8, s2, 40
	s_cmp_gt_u32 s3, s8
	s_cbranch_scc0 .LBB1601_285
; %bb.282:
	s_sub_i32 s9, s3, s8
	v_lshrrev_b64 v[20:21], s8, v[13:14]
	s_min_u32 s8, s9, 8
	v_bfe_u32 v16, v20, 0, s8
	v_lshl_or_b32 v16, v16, 4, v19
	ds_add_u32 v16, v15 offset:20480
	s_add_i32 s8, s2, 48
	s_cmp_gt_u32 s3, s8
	s_cbranch_scc0 .LBB1601_285
; %bb.283:
	s_sub_i32 s9, s3, s8
	v_lshrrev_b64 v[15:16], s8, v[13:14]
	s_min_u32 s8, s9, 8
	v_bfe_u32 v15, v15, 0, s8
	v_lshl_or_b32 v15, v15, 4, v19
	v_mov_b32_e32 v16, 1
	ds_add_u32 v15, v16 offset:24576
	s_add_i32 s8, s2, 56
	s_cmp_gt_u32 s3, s8
                                        ; implicit-def: $vgpr20
	s_cbranch_scc0 .LBB1601_286
; %bb.284:
	s_sub_i32 s6, s3, s8
	v_lshrrev_b64 v[13:14], s8, v[13:14]
	s_min_u32 s6, s6, 8
	v_bfe_u32 v13, v13, 0, s6
	v_mov_b32_e32 v14, 0x7000
	v_lshl_add_u32 v20, v13, 4, v14
	s_mov_b64 s[6:7], -1
	s_branch .LBB1601_286
.LBB1601_285:
                                        ; implicit-def: $vgpr20
.LBB1601_286:
	s_and_b64 vcc, exec, s[6:7]
	s_cbranch_vccz .LBB1601_288
; %bb.287:
	v_lshl_add_u32 v13, v18, 2, v20
	v_mov_b32_e32 v14, 1
	ds_add_u32 v13, v14
.LBB1601_288:
	v_cmp_lt_i64_e32 vcc, -1, v[7:8]
	v_bfrev_b32_e32 v20, 1
	s_mov_b32 s8, -1
	v_cndmask_b32_e32 v13, -1, v20, vcc
	v_ashrrev_i32_e32 v15, 31, v8
	v_cmp_lt_i64_e32 vcc, -1, v[3:4]
	s_brev_b32 s9, -2
	v_xor_b32_e32 v14, v13, v8
	v_xor_b32_e32 v13, v15, v7
	v_cndmask_b32_e32 v21, -1, v20, vcc
	v_cmp_ne_u64_e32 vcc, s[8:9], v[13:14]
	v_ashrrev_i32_e32 v22, 31, v4
	v_cndmask_b32_e32 v16, v20, v14, vcc
	v_cndmask_b32_e32 v15, 0, v13, vcc
	v_lshrrev_b64 v[13:14], s2, v[15:16]
	v_xor_b32_e32 v14, v21, v4
	v_and_b32_e32 v13, s14, v13
	v_lshl_or_b32 v13, v13, 4, v19
	v_mov_b32_e32 v21, 1
	ds_add_u32 v13, v21
	s_mov_b64 s[6:7], -1
	v_xor_b32_e32 v13, v22, v3
	s_and_b64 vcc, exec, s[4:5]
	s_cbranch_vccz .LBB1601_290
; %bb.289:
	v_cmp_ne_u64_e32 vcc, s[8:9], v[13:14]
	v_cndmask_b32_e32 v21, v20, v14, vcc
	v_cndmask_b32_e32 v20, 0, v13, vcc
	v_lshrrev_b64 v[20:21], s2, v[20:21]
	s_mov_b64 s[4:5], -1
	v_and_b32_e32 v20, s14, v20
	v_lshlrev_b32_e32 v20, 4, v20
	s_cbranch_execz .LBB1601_291
	s_branch .LBB1601_306
.LBB1601_290:
	s_mov_b64 s[4:5], 0
                                        ; implicit-def: $vgpr20
	s_andn2_b64 vcc, exec, s[6:7]
	s_cbranch_vccnz .LBB1601_306
.LBB1601_291:
	s_sub_i32 s6, s3, s15
	s_min_u32 s6, s6, 8
	s_lshl_b32 s6, -1, s6
	v_lshrrev_b64 v[20:21], s15, v[15:16]
	s_not_b32 s13, s6
	v_and_b32_e32 v20, s13, v20
	v_lshl_or_b32 v21, v20, 4, v19
	v_mov_b32_e32 v20, 1
	ds_add_u32 v21, v20 offset:4096
	s_add_i32 s12, s2, 16
	s_cmp_gt_u32 s3, s12
	s_cselect_b64 s[6:7], -1, 0
	s_cmp_le_u32 s3, s12
	s_mov_b32 s8, -1
	s_cbranch_scc1 .LBB1601_298
; %bb.292:
	s_sub_i32 s9, s3, s12
	v_lshrrev_b64 v[21:22], s12, v[15:16]
	s_min_u32 s9, s9, 8
	v_bfe_u32 v21, v21, 0, s9
	v_lshl_or_b32 v21, v21, 4, v19
	ds_add_u32 v21, v20 offset:8192
	s_add_i32 s9, s2, 24
	s_cmp_le_u32 s3, s9
	s_cbranch_scc1 .LBB1601_298
; %bb.293:
	s_sub_i32 s16, s3, s9
	v_lshrrev_b64 v[21:22], s9, v[15:16]
	s_min_u32 s9, s16, 8
	v_bfe_u32 v21, v21, 0, s9
	v_lshl_or_b32 v22, v21, 4, v19
	v_mov_b32_e32 v21, 1
	ds_add_u32 v22, v21 offset:12288
	s_add_i32 s9, s2, 32
	s_cmp_le_u32 s3, s9
	s_cbranch_scc1 .LBB1601_298
; %bb.294:
	s_sub_i32 s16, s3, s9
	v_lshrrev_b64 v[22:23], s9, v[15:16]
	s_min_u32 s9, s16, 8
	v_bfe_u32 v22, v22, 0, s9
	v_lshl_or_b32 v22, v22, 4, v19
	ds_add_u32 v22, v21 offset:16384
	s_add_i32 s9, s2, 40
	s_cmp_le_u32 s3, s9
	s_cbranch_scc1 .LBB1601_298
; %bb.295:
	s_sub_i32 s16, s3, s9
	v_lshrrev_b64 v[21:22], s9, v[15:16]
	s_min_u32 s9, s16, 8
	v_bfe_u32 v21, v21, 0, s9
	v_lshl_or_b32 v22, v21, 4, v19
	v_mov_b32_e32 v21, 1
	ds_add_u32 v22, v21 offset:20480
	s_add_i32 s9, s2, 48
	s_cmp_le_u32 s3, s9
	s_cbranch_scc1 .LBB1601_298
; %bb.296:
	s_sub_i32 s16, s3, s9
	v_lshrrev_b64 v[22:23], s9, v[15:16]
	s_min_u32 s9, s16, 8
	v_bfe_u32 v22, v22, 0, s9
	v_lshl_or_b32 v22, v22, 4, v19
	ds_add_u32 v22, v21 offset:24576
	s_add_i32 s9, s2, 56
	s_cmp_le_u32 s3, s9
	s_cbranch_scc1 .LBB1601_298
; %bb.297:
	s_sub_i32 s16, s3, s9
	v_lshrrev_b64 v[15:16], s9, v[15:16]
	s_min_u32 s9, s16, 8
	v_bfe_u32 v15, v15, 0, s9
	v_lshl_or_b32 v15, v15, 4, v19
	v_mov_b32_e32 v16, 1
	ds_add_u32 v15, v16 offset:28672
.LBB1601_298:
	s_brev_b32 s9, -2
	v_cmp_ne_u64_e32 vcc, s[8:9], v[13:14]
	v_bfrev_b32_e32 v15, 1
	v_cndmask_b32_e32 v14, v15, v14, vcc
	v_cndmask_b32_e32 v13, 0, v13, vcc
	v_lshrrev_b64 v[15:16], s2, v[13:14]
	s_andn2_b64 vcc, exec, s[6:7]
	v_and_b32_e32 v15, s14, v15
	v_lshl_or_b32 v21, v15, 4, v19
	v_lshrrev_b64 v[15:16], s15, v[13:14]
	ds_add_u32 v21, v20
	v_and_b32_e32 v15, s13, v15
	v_lshl_or_b32 v15, v15, 4, v19
	ds_add_u32 v15, v20 offset:4096
	s_cbranch_vccnz .LBB1601_305
; %bb.299:
	s_sub_i32 s6, s3, s12
	v_lshrrev_b64 v[15:16], s12, v[13:14]
	s_min_u32 s6, s6, 8
	v_bfe_u32 v15, v15, 0, s6
	v_lshl_or_b32 v16, v15, 4, v19
	v_mov_b32_e32 v15, 1
	ds_add_u32 v16, v15 offset:8192
	s_add_i32 s6, s2, 24
	s_cmp_gt_u32 s3, s6
	s_cbranch_scc0 .LBB1601_305
; %bb.300:
	s_sub_i32 s7, s3, s6
	v_lshrrev_b64 v[20:21], s6, v[13:14]
	s_min_u32 s6, s7, 8
	v_bfe_u32 v16, v20, 0, s6
	v_lshl_or_b32 v16, v16, 4, v19
	ds_add_u32 v16, v15 offset:12288
	s_add_i32 s6, s2, 32
	s_cmp_gt_u32 s3, s6
	s_cbranch_scc0 .LBB1601_305
; %bb.301:
	s_sub_i32 s7, s3, s6
	v_lshrrev_b64 v[15:16], s6, v[13:14]
	s_min_u32 s6, s7, 8
	v_bfe_u32 v15, v15, 0, s6
	v_lshl_or_b32 v16, v15, 4, v19
	v_mov_b32_e32 v15, 1
	ds_add_u32 v16, v15 offset:16384
	s_add_i32 s6, s2, 40
	s_cmp_gt_u32 s3, s6
	s_cbranch_scc0 .LBB1601_305
; %bb.302:
	s_sub_i32 s7, s3, s6
	v_lshrrev_b64 v[20:21], s6, v[13:14]
	s_min_u32 s6, s7, 8
	v_bfe_u32 v16, v20, 0, s6
	v_lshl_or_b32 v16, v16, 4, v19
	ds_add_u32 v16, v15 offset:20480
	s_add_i32 s6, s2, 48
	s_cmp_gt_u32 s3, s6
	s_cbranch_scc0 .LBB1601_305
; %bb.303:
	s_sub_i32 s7, s3, s6
	v_lshrrev_b64 v[15:16], s6, v[13:14]
	s_min_u32 s6, s7, 8
	v_bfe_u32 v15, v15, 0, s6
	v_lshl_or_b32 v15, v15, 4, v19
	v_mov_b32_e32 v16, 1
	ds_add_u32 v15, v16 offset:24576
	s_add_i32 s6, s2, 56
	s_cmp_gt_u32 s3, s6
                                        ; implicit-def: $vgpr20
	s_cbranch_scc0 .LBB1601_306
; %bb.304:
	s_sub_i32 s4, s3, s6
	v_lshrrev_b64 v[13:14], s6, v[13:14]
	s_min_u32 s4, s4, 8
	v_bfe_u32 v13, v13, 0, s4
	v_mov_b32_e32 v14, 0x7000
	v_lshl_add_u32 v20, v13, 4, v14
	s_mov_b64 s[4:5], -1
	s_branch .LBB1601_306
.LBB1601_305:
                                        ; implicit-def: $vgpr20
.LBB1601_306:
	s_and_b64 vcc, exec, s[4:5]
	s_cbranch_vccz .LBB1601_308
; %bb.307:
	v_lshl_add_u32 v13, v18, 2, v20
	v_mov_b32_e32 v14, 1
	ds_add_u32 v13, v14
.LBB1601_308:
	s_and_b64 vcc, exec, s[0:1]
	s_waitcnt lgkmcnt(0)
	s_barrier
	s_cbranch_vccz .LBB1601_313
; %bb.309:
	s_movk_i32 s0, 0x100
	v_cmp_gt_u32_e32 vcc, s0, v0
	v_lshlrev_b32_e32 v15, 4, v0
	v_mov_b32_e32 v14, 0
	v_mov_b32_e32 v13, v0
	s_branch .LBB1601_311
.LBB1601_310:                           ;   in Loop: Header=BB1601_311 Depth=1
	s_or_b64 exec, exec, s[4:5]
	s_add_i32 s2, s2, 8
	v_add_u32_e32 v13, 0x100, v13
	s_cmp_ge_u32 s2, s3
	v_add_u32_e32 v15, 0x1000, v15
	s_cbranch_scc1 .LBB1601_313
.LBB1601_311:                           ; =>This Inner Loop Header: Depth=1
	s_and_saveexec_b64 s[4:5], vcc
	s_cbranch_execz .LBB1601_310
; %bb.312:                              ;   in Loop: Header=BB1601_311 Depth=1
	ds_read2_b32 v[18:19], v15 offset1:1
	ds_read2_b32 v[20:21], v15 offset0:2 offset1:3
	v_lshlrev_b64 v[22:23], 2, v[13:14]
	v_mov_b32_e32 v16, s11
	s_waitcnt lgkmcnt(1)
	v_add_u32_e32 v18, v19, v18
	s_waitcnt lgkmcnt(0)
	v_add3_u32 v20, v18, v20, v21
	v_add_co_u32_e64 v18, s[0:1], s10, v22
	v_addc_co_u32_e64 v19, s[0:1], v16, v23, s[0:1]
	global_atomic_add v[18:19], v20, off
	s_branch .LBB1601_310
.LBB1601_313:
	s_mov_b64 s[0:1], 0
.LBB1601_314:
	s_and_b64 vcc, exec, s[0:1]
	s_cbranch_vccz .LBB1601_319
; %bb.315:
	v_or_b32_e32 v13, 0xfffffe00, v0
	s_mov_b64 s[0:1], 0
	v_mov_b32_e32 v14, 0
	s_movk_i32 s2, 0x1dff
.LBB1601_316:                           ; =>This Inner Loop Header: Depth=1
	v_add_u32_e32 v13, 0x200, v13
	v_cmp_lt_u32_e32 vcc, s2, v13
	ds_write_b32 v17, v14
	s_or_b64 s[0:1], vcc, s[0:1]
	v_add_u32_e32 v17, 0x800, v17
	s_andn2_b64 exec, exec, s[0:1]
	s_cbranch_execnz .LBB1601_316
; %bb.317:
	s_or_b64 exec, exec, s[0:1]
	s_waitcnt vmcnt(3)
	v_cmp_lt_i64_e32 vcc, -1, v[11:12]
	v_bfrev_b32_e32 v13, 1
	v_cndmask_b32_e32 v14, -1, v13, vcc
	v_cmp_lt_i64_e32 vcc, -1, v[5:6]
	v_ashrrev_i32_e32 v15, 31, v12
	v_xor_b32_e32 v12, v14, v12
	v_cndmask_b32_e32 v14, -1, v13, vcc
	v_cmp_lt_i64_e32 vcc, -1, v[1:2]
	v_xor_b32_e32 v11, v15, v11
	v_ashrrev_i32_e32 v15, 31, v6
	v_xor_b32_e32 v6, v14, v6
	v_cndmask_b32_e32 v14, -1, v13, vcc
	s_waitcnt vmcnt(2)
	v_cmp_lt_i64_e32 vcc, -1, v[9:10]
	v_xor_b32_e32 v5, v15, v5
	v_ashrrev_i32_e32 v15, 31, v2
	v_xor_b32_e32 v2, v14, v2
	v_cndmask_b32_e32 v14, -1, v13, vcc
	s_waitcnt vmcnt(1)
	v_cmp_lt_i64_e32 vcc, -1, v[7:8]
	s_mov_b32 s0, -1
	v_xor_b32_e32 v1, v15, v1
	v_ashrrev_i32_e32 v15, 31, v10
	v_xor_b32_e32 v10, v14, v10
	v_cndmask_b32_e32 v14, -1, v13, vcc
	s_waitcnt vmcnt(0)
	v_cmp_lt_i64_e32 vcc, -1, v[3:4]
	s_brev_b32 s1, -2
	v_xor_b32_e32 v9, v15, v9
	v_ashrrev_i32_e32 v15, 31, v8
	v_xor_b32_e32 v8, v14, v8
	v_cndmask_b32_e32 v14, -1, v13, vcc
	v_cmp_ne_u64_e32 vcc, s[0:1], v[11:12]
	v_xor_b32_e32 v7, v15, v7
	v_ashrrev_i32_e32 v15, 31, v4
	v_xor_b32_e32 v4, v14, v4
	v_and_b32_e32 v14, 3, v0
	v_cndmask_b32_e32 v11, 0, v11, vcc
	v_xor_b32_e32 v3, v15, v3
	v_lshlrev_b32_e32 v15, 4, v11
	v_lshlrev_b32_e32 v14, 2, v14
	s_movk_i32 s2, 0xff0
	v_and_or_b32 v15, v15, s2, v14
	v_mov_b32_e32 v16, 1
	s_waitcnt lgkmcnt(0)
	s_barrier
	ds_add_u32 v15, v16
	v_bfe_u32 v15, v11, 8, 8
	v_lshl_or_b32 v15, v15, 4, v14
	ds_add_u32 v15, v16 offset:4096
	v_bfe_u32 v15, v11, 16, 8
	v_cndmask_b32_e32 v12, v13, v12, vcc
	v_lshl_or_b32 v15, v15, 4, v14
	ds_add_u32 v15, v16 offset:8192
	v_lshrrev_b32_e32 v15, 24, v11
	v_alignbit_b32 v11, v12, v11, 30
	v_lshl_or_b32 v15, v15, 4, v14
	v_and_b32_e32 v11, 0x3fc, v11
	ds_add_u32 v15, v16 offset:12288
	v_lshl_or_b32 v11, v11, 2, v14
	ds_add_u32 v11, v16 offset:16384
	v_bfe_u32 v11, v12, 8, 8
	v_lshl_or_b32 v11, v11, 4, v14
	ds_add_u32 v11, v16 offset:20480
	v_bfe_u32 v11, v12, 16, 8
	v_lshl_or_b32 v11, v11, 4, v14
	v_cmp_ne_u64_e32 vcc, s[0:1], v[5:6]
	ds_add_u32 v11, v16 offset:24576
	v_lshrrev_b32_e32 v11, 24, v12
	v_lshl_or_b32 v11, v11, 4, v14
	v_cndmask_b32_e32 v5, 0, v5, vcc
	ds_add_u32 v11, v16 offset:28672
	v_lshlrev_b32_e32 v11, 4, v5
	v_and_or_b32 v11, v11, s2, v14
	ds_add_u32 v11, v16
	v_bfe_u32 v11, v5, 8, 8
	v_lshl_or_b32 v11, v11, 4, v14
	ds_add_u32 v11, v16 offset:4096
	v_bfe_u32 v11, v5, 16, 8
	v_cndmask_b32_e32 v6, v13, v6, vcc
	v_lshl_or_b32 v11, v11, 4, v14
	ds_add_u32 v11, v16 offset:8192
	v_lshrrev_b32_e32 v11, 24, v5
	v_alignbit_b32 v5, v6, v5, 30
	v_lshl_or_b32 v11, v11, 4, v14
	v_and_b32_e32 v5, 0x3fc, v5
	ds_add_u32 v11, v16 offset:12288
	v_lshl_or_b32 v5, v5, 2, v14
	ds_add_u32 v5, v16 offset:16384
	v_bfe_u32 v5, v6, 8, 8
	v_lshl_or_b32 v5, v5, 4, v14
	ds_add_u32 v5, v16 offset:20480
	v_bfe_u32 v5, v6, 16, 8
	v_lshl_or_b32 v5, v5, 4, v14
	v_cmp_ne_u64_e32 vcc, s[0:1], v[1:2]
	ds_add_u32 v5, v16 offset:24576
	v_lshrrev_b32_e32 v5, 24, v6
	v_lshl_or_b32 v5, v5, 4, v14
	v_cndmask_b32_e32 v1, 0, v1, vcc
	ds_add_u32 v5, v16 offset:28672
	v_lshlrev_b32_e32 v5, 4, v1
	v_and_or_b32 v5, v5, s2, v14
	ds_add_u32 v5, v16
	v_bfe_u32 v5, v1, 8, 8
	v_lshl_or_b32 v5, v5, 4, v14
	ds_add_u32 v5, v16 offset:4096
	v_bfe_u32 v5, v1, 16, 8
	v_cndmask_b32_e32 v2, v13, v2, vcc
	v_lshl_or_b32 v5, v5, 4, v14
	ds_add_u32 v5, v16 offset:8192
	v_lshrrev_b32_e32 v5, 24, v1
	v_alignbit_b32 v1, v2, v1, 30
	v_lshl_or_b32 v5, v5, 4, v14
	v_and_b32_e32 v1, 0x3fc, v1
	ds_add_u32 v5, v16 offset:12288
	v_lshl_or_b32 v1, v1, 2, v14
	ds_add_u32 v1, v16 offset:16384
	v_bfe_u32 v1, v2, 8, 8
	v_lshl_or_b32 v1, v1, 4, v14
	ds_add_u32 v1, v16 offset:20480
	v_bfe_u32 v1, v2, 16, 8
	v_cmp_ne_u64_e32 vcc, s[0:1], v[9:10]
	v_lshl_or_b32 v1, v1, 4, v14
	ds_add_u32 v1, v16 offset:24576
	v_lshrrev_b32_e32 v1, 24, v2
	v_cndmask_b32_e32 v2, 0, v9, vcc
	v_lshl_or_b32 v1, v1, 4, v14
	v_lshlrev_b32_e32 v5, 4, v2
	ds_add_u32 v1, v16 offset:28672
	v_and_or_b32 v5, v5, s2, v14
	ds_add_u32 v5, v16
	v_bfe_u32 v5, v2, 8, 8
	v_lshl_or_b32 v5, v5, 4, v14
	ds_add_u32 v5, v16 offset:4096
	v_bfe_u32 v5, v2, 16, 8
	v_cndmask_b32_e32 v1, v13, v10, vcc
	v_lshl_or_b32 v5, v5, 4, v14
	ds_add_u32 v5, v16 offset:8192
	v_lshrrev_b32_e32 v5, 24, v2
	v_alignbit_b32 v2, v1, v2, 30
	v_lshl_or_b32 v5, v5, 4, v14
	v_and_b32_e32 v2, 0x3fc, v2
	ds_add_u32 v5, v16 offset:12288
	v_lshl_or_b32 v2, v2, 2, v14
	ds_add_u32 v2, v16 offset:16384
	v_bfe_u32 v2, v1, 8, 8
	v_lshl_or_b32 v2, v2, 4, v14
	ds_add_u32 v2, v16 offset:20480
	v_bfe_u32 v2, v1, 16, 8
	v_cmp_ne_u64_e32 vcc, s[0:1], v[7:8]
	v_lshl_or_b32 v2, v2, 4, v14
	ds_add_u32 v2, v16 offset:24576
	v_lshrrev_b32_e32 v1, 24, v1
	v_cndmask_b32_e32 v2, 0, v7, vcc
	v_lshl_or_b32 v1, v1, 4, v14
	v_lshlrev_b32_e32 v5, 4, v2
	ds_add_u32 v1, v16 offset:28672
	;; [unrolled: 28-line block ×3, first 2 shown]
	v_and_or_b32 v3, v3, s2, v14
	ds_add_u32 v3, v16
	v_bfe_u32 v3, v2, 8, 8
	v_lshl_or_b32 v3, v3, 4, v14
	ds_add_u32 v3, v16 offset:4096
	v_bfe_u32 v3, v2, 16, 8
	v_cndmask_b32_e32 v1, v13, v4, vcc
	v_lshl_or_b32 v3, v3, 4, v14
	ds_add_u32 v3, v16 offset:8192
	v_lshrrev_b32_e32 v3, 24, v2
	v_alignbit_b32 v2, v1, v2, 30
	v_lshl_or_b32 v3, v3, 4, v14
	v_and_b32_e32 v2, 0x3fc, v2
	ds_add_u32 v3, v16 offset:12288
	v_lshl_or_b32 v2, v2, 2, v14
	ds_add_u32 v2, v16 offset:16384
	v_bfe_u32 v2, v1, 8, 8
	v_lshl_or_b32 v2, v2, 4, v14
	ds_add_u32 v2, v16 offset:20480
	v_bfe_u32 v2, v1, 16, 8
	v_lshl_or_b32 v2, v2, 4, v14
	v_lshrrev_b32_e32 v1, 24, v1
	ds_add_u32 v2, v16 offset:24576
	v_lshl_or_b32 v1, v1, 4, v14
	ds_add_u32 v1, v16 offset:28672
	s_movk_i32 s0, 0x100
	v_cmp_gt_u32_e32 vcc, s0, v0
	s_waitcnt lgkmcnt(0)
	s_barrier
	s_and_saveexec_b64 s[0:1], vcc
	s_cbranch_execz .LBB1601_319
; %bb.318:
	v_lshlrev_b32_e32 v6, 4, v0
	ds_read2_b32 v[1:2], v6 offset1:1
	ds_read2_b32 v[3:4], v6 offset0:2 offset1:3
	v_lshlrev_b32_e32 v5, 2, v0
	v_add_u32_e32 v0, 0x1000, v6
	v_add_u32_e32 v7, 0x1008, v6
	s_waitcnt lgkmcnt(1)
	v_add_u32_e32 v1, v2, v1
	s_waitcnt lgkmcnt(0)
	v_add3_u32 v1, v1, v3, v4
	global_atomic_add v5, v1, s[10:11]
	ds_read2_b32 v[0:1], v0 offset1:1
	ds_read2_b32 v[2:3], v7 offset1:1
	v_or_b32_e32 v4, 0x2000, v6
	v_or_b32_e32 v7, 0x2008, v6
	v_add_u32_e32 v8, 0x3008, v6
	s_waitcnt lgkmcnt(1)
	v_add_u32_e32 v0, v1, v0
	s_waitcnt lgkmcnt(0)
	v_add3_u32 v0, v0, v2, v3
	global_atomic_add v5, v0, s[10:11] offset:1024
	ds_read2_b32 v[0:1], v4 offset1:1
	ds_read2_b32 v[2:3], v7 offset1:1
	v_add_u32_e32 v7, 0x3000, v6
	v_mov_b32_e32 v4, s11
	s_movk_i32 s0, 0x1000
	s_waitcnt lgkmcnt(1)
	v_add_u32_e32 v0, v1, v0
	s_waitcnt lgkmcnt(0)
	v_add3_u32 v0, v0, v2, v3
	global_atomic_add v5, v0, s[10:11] offset:2048
	ds_read2_b32 v[0:1], v7 offset1:1
	ds_read2_b32 v[2:3], v8 offset1:1
	v_or_b32_e32 v7, 0x4000, v6
	v_or_b32_e32 v8, 0x4008, v6
	s_waitcnt lgkmcnt(1)
	v_add_u32_e32 v0, v1, v0
	s_waitcnt lgkmcnt(0)
	v_add3_u32 v0, v0, v2, v3
	global_atomic_add v5, v0, s[10:11] offset:3072
	ds_read2_b32 v[0:1], v7 offset1:1
	ds_read2_b32 v[2:3], v8 offset1:1
	v_add_co_u32_e32 v5, vcc, s10, v5
	v_addc_co_u32_e32 v4, vcc, 0, v4, vcc
	s_waitcnt lgkmcnt(1)
	v_add_u32_e32 v0, v1, v0
	s_waitcnt lgkmcnt(0)
	v_add3_u32 v2, v0, v2, v3
	v_add_co_u32_e32 v0, vcc, s0, v5
	v_addc_co_u32_e32 v1, vcc, 0, v4, vcc
	global_atomic_add v[0:1], v2, off
	v_add_u32_e32 v2, 0x5000, v6
	v_add_u32_e32 v4, 0x5008, v6
	ds_read2_b32 v[2:3], v2 offset1:1
	ds_read2_b32 v[4:5], v4 offset1:1
	s_waitcnt lgkmcnt(1)
	v_add_u32_e32 v2, v3, v2
	s_waitcnt lgkmcnt(0)
	v_add3_u32 v2, v2, v4, v5
	global_atomic_add v[0:1], v2, off offset:1024
	v_or_b32_e32 v2, 0x6000, v6
	v_or_b32_e32 v4, 0x6008, v6
	ds_read2_b32 v[2:3], v2 offset1:1
	ds_read2_b32 v[4:5], v4 offset1:1
	s_waitcnt lgkmcnt(1)
	v_add_u32_e32 v2, v3, v2
	s_waitcnt lgkmcnt(0)
	v_add3_u32 v2, v2, v4, v5
	global_atomic_add v[0:1], v2, off offset:2048
	v_add_u32_e32 v2, 0x7000, v6
	v_add_u32_e32 v4, 0x7008, v6
	ds_read2_b32 v[2:3], v2 offset1:1
	ds_read2_b32 v[4:5], v4 offset1:1
	s_waitcnt lgkmcnt(1)
	v_add_u32_e32 v2, v3, v2
	s_waitcnt lgkmcnt(0)
	v_add3_u32 v2, v2, v4, v5
	global_atomic_add v[0:1], v2, off offset:3072
.LBB1601_319:
	s_endpgm
	.section	.rodata,"a",@progbits
	.p2align	6, 0x0
	.amdhsa_kernel _ZN7rocprim17ROCPRIM_400000_NS6detail17trampoline_kernelINS0_14default_configENS1_35radix_sort_onesweep_config_selectorIdlEEZNS1_34radix_sort_onesweep_global_offsetsIS3_Lb0EPdN6thrust23THRUST_200600_302600_NS10device_ptrIlEEjNS0_19identity_decomposerEEE10hipError_tT1_T2_PT3_SG_jT4_jjP12ihipStream_tbEUlT_E_NS1_11comp_targetILNS1_3genE2ELNS1_11target_archE906ELNS1_3gpuE6ELNS1_3repE0EEENS1_52radix_sort_onesweep_histogram_config_static_selectorELNS0_4arch9wavefront6targetE1EEEvSE_
		.amdhsa_group_segment_fixed_size 32768
		.amdhsa_private_segment_fixed_size 0
		.amdhsa_kernarg_size 40
		.amdhsa_user_sgpr_count 6
		.amdhsa_user_sgpr_private_segment_buffer 1
		.amdhsa_user_sgpr_dispatch_ptr 0
		.amdhsa_user_sgpr_queue_ptr 0
		.amdhsa_user_sgpr_kernarg_segment_ptr 1
		.amdhsa_user_sgpr_dispatch_id 0
		.amdhsa_user_sgpr_flat_scratch_init 0
		.amdhsa_user_sgpr_private_segment_size 0
		.amdhsa_uses_dynamic_stack 0
		.amdhsa_system_sgpr_private_segment_wavefront_offset 0
		.amdhsa_system_sgpr_workgroup_id_x 1
		.amdhsa_system_sgpr_workgroup_id_y 0
		.amdhsa_system_sgpr_workgroup_id_z 0
		.amdhsa_system_sgpr_workgroup_info 0
		.amdhsa_system_vgpr_workitem_id 0
		.amdhsa_next_free_vgpr 49
		.amdhsa_next_free_sgpr 98
		.amdhsa_reserve_vcc 1
		.amdhsa_reserve_flat_scratch 0
		.amdhsa_float_round_mode_32 0
		.amdhsa_float_round_mode_16_64 0
		.amdhsa_float_denorm_mode_32 3
		.amdhsa_float_denorm_mode_16_64 3
		.amdhsa_dx10_clamp 1
		.amdhsa_ieee_mode 1
		.amdhsa_fp16_overflow 0
		.amdhsa_exception_fp_ieee_invalid_op 0
		.amdhsa_exception_fp_denorm_src 0
		.amdhsa_exception_fp_ieee_div_zero 0
		.amdhsa_exception_fp_ieee_overflow 0
		.amdhsa_exception_fp_ieee_underflow 0
		.amdhsa_exception_fp_ieee_inexact 0
		.amdhsa_exception_int_div_zero 0
	.end_amdhsa_kernel
	.section	.text._ZN7rocprim17ROCPRIM_400000_NS6detail17trampoline_kernelINS0_14default_configENS1_35radix_sort_onesweep_config_selectorIdlEEZNS1_34radix_sort_onesweep_global_offsetsIS3_Lb0EPdN6thrust23THRUST_200600_302600_NS10device_ptrIlEEjNS0_19identity_decomposerEEE10hipError_tT1_T2_PT3_SG_jT4_jjP12ihipStream_tbEUlT_E_NS1_11comp_targetILNS1_3genE2ELNS1_11target_archE906ELNS1_3gpuE6ELNS1_3repE0EEENS1_52radix_sort_onesweep_histogram_config_static_selectorELNS0_4arch9wavefront6targetE1EEEvSE_,"axG",@progbits,_ZN7rocprim17ROCPRIM_400000_NS6detail17trampoline_kernelINS0_14default_configENS1_35radix_sort_onesweep_config_selectorIdlEEZNS1_34radix_sort_onesweep_global_offsetsIS3_Lb0EPdN6thrust23THRUST_200600_302600_NS10device_ptrIlEEjNS0_19identity_decomposerEEE10hipError_tT1_T2_PT3_SG_jT4_jjP12ihipStream_tbEUlT_E_NS1_11comp_targetILNS1_3genE2ELNS1_11target_archE906ELNS1_3gpuE6ELNS1_3repE0EEENS1_52radix_sort_onesweep_histogram_config_static_selectorELNS0_4arch9wavefront6targetE1EEEvSE_,comdat
.Lfunc_end1601:
	.size	_ZN7rocprim17ROCPRIM_400000_NS6detail17trampoline_kernelINS0_14default_configENS1_35radix_sort_onesweep_config_selectorIdlEEZNS1_34radix_sort_onesweep_global_offsetsIS3_Lb0EPdN6thrust23THRUST_200600_302600_NS10device_ptrIlEEjNS0_19identity_decomposerEEE10hipError_tT1_T2_PT3_SG_jT4_jjP12ihipStream_tbEUlT_E_NS1_11comp_targetILNS1_3genE2ELNS1_11target_archE906ELNS1_3gpuE6ELNS1_3repE0EEENS1_52radix_sort_onesweep_histogram_config_static_selectorELNS0_4arch9wavefront6targetE1EEEvSE_, .Lfunc_end1601-_ZN7rocprim17ROCPRIM_400000_NS6detail17trampoline_kernelINS0_14default_configENS1_35radix_sort_onesweep_config_selectorIdlEEZNS1_34radix_sort_onesweep_global_offsetsIS3_Lb0EPdN6thrust23THRUST_200600_302600_NS10device_ptrIlEEjNS0_19identity_decomposerEEE10hipError_tT1_T2_PT3_SG_jT4_jjP12ihipStream_tbEUlT_E_NS1_11comp_targetILNS1_3genE2ELNS1_11target_archE906ELNS1_3gpuE6ELNS1_3repE0EEENS1_52radix_sort_onesweep_histogram_config_static_selectorELNS0_4arch9wavefront6targetE1EEEvSE_
                                        ; -- End function
	.set _ZN7rocprim17ROCPRIM_400000_NS6detail17trampoline_kernelINS0_14default_configENS1_35radix_sort_onesweep_config_selectorIdlEEZNS1_34radix_sort_onesweep_global_offsetsIS3_Lb0EPdN6thrust23THRUST_200600_302600_NS10device_ptrIlEEjNS0_19identity_decomposerEEE10hipError_tT1_T2_PT3_SG_jT4_jjP12ihipStream_tbEUlT_E_NS1_11comp_targetILNS1_3genE2ELNS1_11target_archE906ELNS1_3gpuE6ELNS1_3repE0EEENS1_52radix_sort_onesweep_histogram_config_static_selectorELNS0_4arch9wavefront6targetE1EEEvSE_.num_vgpr, 24
	.set _ZN7rocprim17ROCPRIM_400000_NS6detail17trampoline_kernelINS0_14default_configENS1_35radix_sort_onesweep_config_selectorIdlEEZNS1_34radix_sort_onesweep_global_offsetsIS3_Lb0EPdN6thrust23THRUST_200600_302600_NS10device_ptrIlEEjNS0_19identity_decomposerEEE10hipError_tT1_T2_PT3_SG_jT4_jjP12ihipStream_tbEUlT_E_NS1_11comp_targetILNS1_3genE2ELNS1_11target_archE906ELNS1_3gpuE6ELNS1_3repE0EEENS1_52radix_sort_onesweep_histogram_config_static_selectorELNS0_4arch9wavefront6targetE1EEEvSE_.num_agpr, 0
	.set _ZN7rocprim17ROCPRIM_400000_NS6detail17trampoline_kernelINS0_14default_configENS1_35radix_sort_onesweep_config_selectorIdlEEZNS1_34radix_sort_onesweep_global_offsetsIS3_Lb0EPdN6thrust23THRUST_200600_302600_NS10device_ptrIlEEjNS0_19identity_decomposerEEE10hipError_tT1_T2_PT3_SG_jT4_jjP12ihipStream_tbEUlT_E_NS1_11comp_targetILNS1_3genE2ELNS1_11target_archE906ELNS1_3gpuE6ELNS1_3repE0EEENS1_52radix_sort_onesweep_histogram_config_static_selectorELNS0_4arch9wavefront6targetE1EEEvSE_.numbered_sgpr, 19
	.set _ZN7rocprim17ROCPRIM_400000_NS6detail17trampoline_kernelINS0_14default_configENS1_35radix_sort_onesweep_config_selectorIdlEEZNS1_34radix_sort_onesweep_global_offsetsIS3_Lb0EPdN6thrust23THRUST_200600_302600_NS10device_ptrIlEEjNS0_19identity_decomposerEEE10hipError_tT1_T2_PT3_SG_jT4_jjP12ihipStream_tbEUlT_E_NS1_11comp_targetILNS1_3genE2ELNS1_11target_archE906ELNS1_3gpuE6ELNS1_3repE0EEENS1_52radix_sort_onesweep_histogram_config_static_selectorELNS0_4arch9wavefront6targetE1EEEvSE_.num_named_barrier, 0
	.set _ZN7rocprim17ROCPRIM_400000_NS6detail17trampoline_kernelINS0_14default_configENS1_35radix_sort_onesweep_config_selectorIdlEEZNS1_34radix_sort_onesweep_global_offsetsIS3_Lb0EPdN6thrust23THRUST_200600_302600_NS10device_ptrIlEEjNS0_19identity_decomposerEEE10hipError_tT1_T2_PT3_SG_jT4_jjP12ihipStream_tbEUlT_E_NS1_11comp_targetILNS1_3genE2ELNS1_11target_archE906ELNS1_3gpuE6ELNS1_3repE0EEENS1_52radix_sort_onesweep_histogram_config_static_selectorELNS0_4arch9wavefront6targetE1EEEvSE_.private_seg_size, 0
	.set _ZN7rocprim17ROCPRIM_400000_NS6detail17trampoline_kernelINS0_14default_configENS1_35radix_sort_onesweep_config_selectorIdlEEZNS1_34radix_sort_onesweep_global_offsetsIS3_Lb0EPdN6thrust23THRUST_200600_302600_NS10device_ptrIlEEjNS0_19identity_decomposerEEE10hipError_tT1_T2_PT3_SG_jT4_jjP12ihipStream_tbEUlT_E_NS1_11comp_targetILNS1_3genE2ELNS1_11target_archE906ELNS1_3gpuE6ELNS1_3repE0EEENS1_52radix_sort_onesweep_histogram_config_static_selectorELNS0_4arch9wavefront6targetE1EEEvSE_.uses_vcc, 1
	.set _ZN7rocprim17ROCPRIM_400000_NS6detail17trampoline_kernelINS0_14default_configENS1_35radix_sort_onesweep_config_selectorIdlEEZNS1_34radix_sort_onesweep_global_offsetsIS3_Lb0EPdN6thrust23THRUST_200600_302600_NS10device_ptrIlEEjNS0_19identity_decomposerEEE10hipError_tT1_T2_PT3_SG_jT4_jjP12ihipStream_tbEUlT_E_NS1_11comp_targetILNS1_3genE2ELNS1_11target_archE906ELNS1_3gpuE6ELNS1_3repE0EEENS1_52radix_sort_onesweep_histogram_config_static_selectorELNS0_4arch9wavefront6targetE1EEEvSE_.uses_flat_scratch, 0
	.set _ZN7rocprim17ROCPRIM_400000_NS6detail17trampoline_kernelINS0_14default_configENS1_35radix_sort_onesweep_config_selectorIdlEEZNS1_34radix_sort_onesweep_global_offsetsIS3_Lb0EPdN6thrust23THRUST_200600_302600_NS10device_ptrIlEEjNS0_19identity_decomposerEEE10hipError_tT1_T2_PT3_SG_jT4_jjP12ihipStream_tbEUlT_E_NS1_11comp_targetILNS1_3genE2ELNS1_11target_archE906ELNS1_3gpuE6ELNS1_3repE0EEENS1_52radix_sort_onesweep_histogram_config_static_selectorELNS0_4arch9wavefront6targetE1EEEvSE_.has_dyn_sized_stack, 0
	.set _ZN7rocprim17ROCPRIM_400000_NS6detail17trampoline_kernelINS0_14default_configENS1_35radix_sort_onesweep_config_selectorIdlEEZNS1_34radix_sort_onesweep_global_offsetsIS3_Lb0EPdN6thrust23THRUST_200600_302600_NS10device_ptrIlEEjNS0_19identity_decomposerEEE10hipError_tT1_T2_PT3_SG_jT4_jjP12ihipStream_tbEUlT_E_NS1_11comp_targetILNS1_3genE2ELNS1_11target_archE906ELNS1_3gpuE6ELNS1_3repE0EEENS1_52radix_sort_onesweep_histogram_config_static_selectorELNS0_4arch9wavefront6targetE1EEEvSE_.has_recursion, 0
	.set _ZN7rocprim17ROCPRIM_400000_NS6detail17trampoline_kernelINS0_14default_configENS1_35radix_sort_onesweep_config_selectorIdlEEZNS1_34radix_sort_onesweep_global_offsetsIS3_Lb0EPdN6thrust23THRUST_200600_302600_NS10device_ptrIlEEjNS0_19identity_decomposerEEE10hipError_tT1_T2_PT3_SG_jT4_jjP12ihipStream_tbEUlT_E_NS1_11comp_targetILNS1_3genE2ELNS1_11target_archE906ELNS1_3gpuE6ELNS1_3repE0EEENS1_52radix_sort_onesweep_histogram_config_static_selectorELNS0_4arch9wavefront6targetE1EEEvSE_.has_indirect_call, 0
	.section	.AMDGPU.csdata,"",@progbits
; Kernel info:
; codeLenInByte = 13616
; TotalNumSgprs: 23
; NumVgprs: 24
; ScratchSize: 0
; MemoryBound: 0
; FloatMode: 240
; IeeeMode: 1
; LDSByteSize: 32768 bytes/workgroup (compile time only)
; SGPRBlocks: 12
; VGPRBlocks: 12
; NumSGPRsForWavesPerEU: 102
; NumVGPRsForWavesPerEU: 49
; Occupancy: 4
; WaveLimiterHint : 1
; COMPUTE_PGM_RSRC2:SCRATCH_EN: 0
; COMPUTE_PGM_RSRC2:USER_SGPR: 6
; COMPUTE_PGM_RSRC2:TRAP_HANDLER: 0
; COMPUTE_PGM_RSRC2:TGID_X_EN: 1
; COMPUTE_PGM_RSRC2:TGID_Y_EN: 0
; COMPUTE_PGM_RSRC2:TGID_Z_EN: 0
; COMPUTE_PGM_RSRC2:TIDIG_COMP_CNT: 0
	.section	.text._ZN7rocprim17ROCPRIM_400000_NS6detail17trampoline_kernelINS0_14default_configENS1_35radix_sort_onesweep_config_selectorIdlEEZNS1_34radix_sort_onesweep_global_offsetsIS3_Lb0EPdN6thrust23THRUST_200600_302600_NS10device_ptrIlEEjNS0_19identity_decomposerEEE10hipError_tT1_T2_PT3_SG_jT4_jjP12ihipStream_tbEUlT_E_NS1_11comp_targetILNS1_3genE4ELNS1_11target_archE910ELNS1_3gpuE8ELNS1_3repE0EEENS1_52radix_sort_onesweep_histogram_config_static_selectorELNS0_4arch9wavefront6targetE1EEEvSE_,"axG",@progbits,_ZN7rocprim17ROCPRIM_400000_NS6detail17trampoline_kernelINS0_14default_configENS1_35radix_sort_onesweep_config_selectorIdlEEZNS1_34radix_sort_onesweep_global_offsetsIS3_Lb0EPdN6thrust23THRUST_200600_302600_NS10device_ptrIlEEjNS0_19identity_decomposerEEE10hipError_tT1_T2_PT3_SG_jT4_jjP12ihipStream_tbEUlT_E_NS1_11comp_targetILNS1_3genE4ELNS1_11target_archE910ELNS1_3gpuE8ELNS1_3repE0EEENS1_52radix_sort_onesweep_histogram_config_static_selectorELNS0_4arch9wavefront6targetE1EEEvSE_,comdat
	.protected	_ZN7rocprim17ROCPRIM_400000_NS6detail17trampoline_kernelINS0_14default_configENS1_35radix_sort_onesweep_config_selectorIdlEEZNS1_34radix_sort_onesweep_global_offsetsIS3_Lb0EPdN6thrust23THRUST_200600_302600_NS10device_ptrIlEEjNS0_19identity_decomposerEEE10hipError_tT1_T2_PT3_SG_jT4_jjP12ihipStream_tbEUlT_E_NS1_11comp_targetILNS1_3genE4ELNS1_11target_archE910ELNS1_3gpuE8ELNS1_3repE0EEENS1_52radix_sort_onesweep_histogram_config_static_selectorELNS0_4arch9wavefront6targetE1EEEvSE_ ; -- Begin function _ZN7rocprim17ROCPRIM_400000_NS6detail17trampoline_kernelINS0_14default_configENS1_35radix_sort_onesweep_config_selectorIdlEEZNS1_34radix_sort_onesweep_global_offsetsIS3_Lb0EPdN6thrust23THRUST_200600_302600_NS10device_ptrIlEEjNS0_19identity_decomposerEEE10hipError_tT1_T2_PT3_SG_jT4_jjP12ihipStream_tbEUlT_E_NS1_11comp_targetILNS1_3genE4ELNS1_11target_archE910ELNS1_3gpuE8ELNS1_3repE0EEENS1_52radix_sort_onesweep_histogram_config_static_selectorELNS0_4arch9wavefront6targetE1EEEvSE_
	.globl	_ZN7rocprim17ROCPRIM_400000_NS6detail17trampoline_kernelINS0_14default_configENS1_35radix_sort_onesweep_config_selectorIdlEEZNS1_34radix_sort_onesweep_global_offsetsIS3_Lb0EPdN6thrust23THRUST_200600_302600_NS10device_ptrIlEEjNS0_19identity_decomposerEEE10hipError_tT1_T2_PT3_SG_jT4_jjP12ihipStream_tbEUlT_E_NS1_11comp_targetILNS1_3genE4ELNS1_11target_archE910ELNS1_3gpuE8ELNS1_3repE0EEENS1_52radix_sort_onesweep_histogram_config_static_selectorELNS0_4arch9wavefront6targetE1EEEvSE_
	.p2align	8
	.type	_ZN7rocprim17ROCPRIM_400000_NS6detail17trampoline_kernelINS0_14default_configENS1_35radix_sort_onesweep_config_selectorIdlEEZNS1_34radix_sort_onesweep_global_offsetsIS3_Lb0EPdN6thrust23THRUST_200600_302600_NS10device_ptrIlEEjNS0_19identity_decomposerEEE10hipError_tT1_T2_PT3_SG_jT4_jjP12ihipStream_tbEUlT_E_NS1_11comp_targetILNS1_3genE4ELNS1_11target_archE910ELNS1_3gpuE8ELNS1_3repE0EEENS1_52radix_sort_onesweep_histogram_config_static_selectorELNS0_4arch9wavefront6targetE1EEEvSE_,@function
_ZN7rocprim17ROCPRIM_400000_NS6detail17trampoline_kernelINS0_14default_configENS1_35radix_sort_onesweep_config_selectorIdlEEZNS1_34radix_sort_onesweep_global_offsetsIS3_Lb0EPdN6thrust23THRUST_200600_302600_NS10device_ptrIlEEjNS0_19identity_decomposerEEE10hipError_tT1_T2_PT3_SG_jT4_jjP12ihipStream_tbEUlT_E_NS1_11comp_targetILNS1_3genE4ELNS1_11target_archE910ELNS1_3gpuE8ELNS1_3repE0EEENS1_52radix_sort_onesweep_histogram_config_static_selectorELNS0_4arch9wavefront6targetE1EEEvSE_: ; @_ZN7rocprim17ROCPRIM_400000_NS6detail17trampoline_kernelINS0_14default_configENS1_35radix_sort_onesweep_config_selectorIdlEEZNS1_34radix_sort_onesweep_global_offsetsIS3_Lb0EPdN6thrust23THRUST_200600_302600_NS10device_ptrIlEEjNS0_19identity_decomposerEEE10hipError_tT1_T2_PT3_SG_jT4_jjP12ihipStream_tbEUlT_E_NS1_11comp_targetILNS1_3genE4ELNS1_11target_archE910ELNS1_3gpuE8ELNS1_3repE0EEENS1_52radix_sort_onesweep_histogram_config_static_selectorELNS0_4arch9wavefront6targetE1EEEvSE_
; %bb.0:
	.section	.rodata,"a",@progbits
	.p2align	6, 0x0
	.amdhsa_kernel _ZN7rocprim17ROCPRIM_400000_NS6detail17trampoline_kernelINS0_14default_configENS1_35radix_sort_onesweep_config_selectorIdlEEZNS1_34radix_sort_onesweep_global_offsetsIS3_Lb0EPdN6thrust23THRUST_200600_302600_NS10device_ptrIlEEjNS0_19identity_decomposerEEE10hipError_tT1_T2_PT3_SG_jT4_jjP12ihipStream_tbEUlT_E_NS1_11comp_targetILNS1_3genE4ELNS1_11target_archE910ELNS1_3gpuE8ELNS1_3repE0EEENS1_52radix_sort_onesweep_histogram_config_static_selectorELNS0_4arch9wavefront6targetE1EEEvSE_
		.amdhsa_group_segment_fixed_size 0
		.amdhsa_private_segment_fixed_size 0
		.amdhsa_kernarg_size 40
		.amdhsa_user_sgpr_count 6
		.amdhsa_user_sgpr_private_segment_buffer 1
		.amdhsa_user_sgpr_dispatch_ptr 0
		.amdhsa_user_sgpr_queue_ptr 0
		.amdhsa_user_sgpr_kernarg_segment_ptr 1
		.amdhsa_user_sgpr_dispatch_id 0
		.amdhsa_user_sgpr_flat_scratch_init 0
		.amdhsa_user_sgpr_private_segment_size 0
		.amdhsa_uses_dynamic_stack 0
		.amdhsa_system_sgpr_private_segment_wavefront_offset 0
		.amdhsa_system_sgpr_workgroup_id_x 1
		.amdhsa_system_sgpr_workgroup_id_y 0
		.amdhsa_system_sgpr_workgroup_id_z 0
		.amdhsa_system_sgpr_workgroup_info 0
		.amdhsa_system_vgpr_workitem_id 0
		.amdhsa_next_free_vgpr 1
		.amdhsa_next_free_sgpr 0
		.amdhsa_reserve_vcc 0
		.amdhsa_reserve_flat_scratch 0
		.amdhsa_float_round_mode_32 0
		.amdhsa_float_round_mode_16_64 0
		.amdhsa_float_denorm_mode_32 3
		.amdhsa_float_denorm_mode_16_64 3
		.amdhsa_dx10_clamp 1
		.amdhsa_ieee_mode 1
		.amdhsa_fp16_overflow 0
		.amdhsa_exception_fp_ieee_invalid_op 0
		.amdhsa_exception_fp_denorm_src 0
		.amdhsa_exception_fp_ieee_div_zero 0
		.amdhsa_exception_fp_ieee_overflow 0
		.amdhsa_exception_fp_ieee_underflow 0
		.amdhsa_exception_fp_ieee_inexact 0
		.amdhsa_exception_int_div_zero 0
	.end_amdhsa_kernel
	.section	.text._ZN7rocprim17ROCPRIM_400000_NS6detail17trampoline_kernelINS0_14default_configENS1_35radix_sort_onesweep_config_selectorIdlEEZNS1_34radix_sort_onesweep_global_offsetsIS3_Lb0EPdN6thrust23THRUST_200600_302600_NS10device_ptrIlEEjNS0_19identity_decomposerEEE10hipError_tT1_T2_PT3_SG_jT4_jjP12ihipStream_tbEUlT_E_NS1_11comp_targetILNS1_3genE4ELNS1_11target_archE910ELNS1_3gpuE8ELNS1_3repE0EEENS1_52radix_sort_onesweep_histogram_config_static_selectorELNS0_4arch9wavefront6targetE1EEEvSE_,"axG",@progbits,_ZN7rocprim17ROCPRIM_400000_NS6detail17trampoline_kernelINS0_14default_configENS1_35radix_sort_onesweep_config_selectorIdlEEZNS1_34radix_sort_onesweep_global_offsetsIS3_Lb0EPdN6thrust23THRUST_200600_302600_NS10device_ptrIlEEjNS0_19identity_decomposerEEE10hipError_tT1_T2_PT3_SG_jT4_jjP12ihipStream_tbEUlT_E_NS1_11comp_targetILNS1_3genE4ELNS1_11target_archE910ELNS1_3gpuE8ELNS1_3repE0EEENS1_52radix_sort_onesweep_histogram_config_static_selectorELNS0_4arch9wavefront6targetE1EEEvSE_,comdat
.Lfunc_end1602:
	.size	_ZN7rocprim17ROCPRIM_400000_NS6detail17trampoline_kernelINS0_14default_configENS1_35radix_sort_onesweep_config_selectorIdlEEZNS1_34radix_sort_onesweep_global_offsetsIS3_Lb0EPdN6thrust23THRUST_200600_302600_NS10device_ptrIlEEjNS0_19identity_decomposerEEE10hipError_tT1_T2_PT3_SG_jT4_jjP12ihipStream_tbEUlT_E_NS1_11comp_targetILNS1_3genE4ELNS1_11target_archE910ELNS1_3gpuE8ELNS1_3repE0EEENS1_52radix_sort_onesweep_histogram_config_static_selectorELNS0_4arch9wavefront6targetE1EEEvSE_, .Lfunc_end1602-_ZN7rocprim17ROCPRIM_400000_NS6detail17trampoline_kernelINS0_14default_configENS1_35radix_sort_onesweep_config_selectorIdlEEZNS1_34radix_sort_onesweep_global_offsetsIS3_Lb0EPdN6thrust23THRUST_200600_302600_NS10device_ptrIlEEjNS0_19identity_decomposerEEE10hipError_tT1_T2_PT3_SG_jT4_jjP12ihipStream_tbEUlT_E_NS1_11comp_targetILNS1_3genE4ELNS1_11target_archE910ELNS1_3gpuE8ELNS1_3repE0EEENS1_52radix_sort_onesweep_histogram_config_static_selectorELNS0_4arch9wavefront6targetE1EEEvSE_
                                        ; -- End function
	.set _ZN7rocprim17ROCPRIM_400000_NS6detail17trampoline_kernelINS0_14default_configENS1_35radix_sort_onesweep_config_selectorIdlEEZNS1_34radix_sort_onesweep_global_offsetsIS3_Lb0EPdN6thrust23THRUST_200600_302600_NS10device_ptrIlEEjNS0_19identity_decomposerEEE10hipError_tT1_T2_PT3_SG_jT4_jjP12ihipStream_tbEUlT_E_NS1_11comp_targetILNS1_3genE4ELNS1_11target_archE910ELNS1_3gpuE8ELNS1_3repE0EEENS1_52radix_sort_onesweep_histogram_config_static_selectorELNS0_4arch9wavefront6targetE1EEEvSE_.num_vgpr, 0
	.set _ZN7rocprim17ROCPRIM_400000_NS6detail17trampoline_kernelINS0_14default_configENS1_35radix_sort_onesweep_config_selectorIdlEEZNS1_34radix_sort_onesweep_global_offsetsIS3_Lb0EPdN6thrust23THRUST_200600_302600_NS10device_ptrIlEEjNS0_19identity_decomposerEEE10hipError_tT1_T2_PT3_SG_jT4_jjP12ihipStream_tbEUlT_E_NS1_11comp_targetILNS1_3genE4ELNS1_11target_archE910ELNS1_3gpuE8ELNS1_3repE0EEENS1_52radix_sort_onesweep_histogram_config_static_selectorELNS0_4arch9wavefront6targetE1EEEvSE_.num_agpr, 0
	.set _ZN7rocprim17ROCPRIM_400000_NS6detail17trampoline_kernelINS0_14default_configENS1_35radix_sort_onesweep_config_selectorIdlEEZNS1_34radix_sort_onesweep_global_offsetsIS3_Lb0EPdN6thrust23THRUST_200600_302600_NS10device_ptrIlEEjNS0_19identity_decomposerEEE10hipError_tT1_T2_PT3_SG_jT4_jjP12ihipStream_tbEUlT_E_NS1_11comp_targetILNS1_3genE4ELNS1_11target_archE910ELNS1_3gpuE8ELNS1_3repE0EEENS1_52radix_sort_onesweep_histogram_config_static_selectorELNS0_4arch9wavefront6targetE1EEEvSE_.numbered_sgpr, 0
	.set _ZN7rocprim17ROCPRIM_400000_NS6detail17trampoline_kernelINS0_14default_configENS1_35radix_sort_onesweep_config_selectorIdlEEZNS1_34radix_sort_onesweep_global_offsetsIS3_Lb0EPdN6thrust23THRUST_200600_302600_NS10device_ptrIlEEjNS0_19identity_decomposerEEE10hipError_tT1_T2_PT3_SG_jT4_jjP12ihipStream_tbEUlT_E_NS1_11comp_targetILNS1_3genE4ELNS1_11target_archE910ELNS1_3gpuE8ELNS1_3repE0EEENS1_52radix_sort_onesweep_histogram_config_static_selectorELNS0_4arch9wavefront6targetE1EEEvSE_.num_named_barrier, 0
	.set _ZN7rocprim17ROCPRIM_400000_NS6detail17trampoline_kernelINS0_14default_configENS1_35radix_sort_onesweep_config_selectorIdlEEZNS1_34radix_sort_onesweep_global_offsetsIS3_Lb0EPdN6thrust23THRUST_200600_302600_NS10device_ptrIlEEjNS0_19identity_decomposerEEE10hipError_tT1_T2_PT3_SG_jT4_jjP12ihipStream_tbEUlT_E_NS1_11comp_targetILNS1_3genE4ELNS1_11target_archE910ELNS1_3gpuE8ELNS1_3repE0EEENS1_52radix_sort_onesweep_histogram_config_static_selectorELNS0_4arch9wavefront6targetE1EEEvSE_.private_seg_size, 0
	.set _ZN7rocprim17ROCPRIM_400000_NS6detail17trampoline_kernelINS0_14default_configENS1_35radix_sort_onesweep_config_selectorIdlEEZNS1_34radix_sort_onesweep_global_offsetsIS3_Lb0EPdN6thrust23THRUST_200600_302600_NS10device_ptrIlEEjNS0_19identity_decomposerEEE10hipError_tT1_T2_PT3_SG_jT4_jjP12ihipStream_tbEUlT_E_NS1_11comp_targetILNS1_3genE4ELNS1_11target_archE910ELNS1_3gpuE8ELNS1_3repE0EEENS1_52radix_sort_onesweep_histogram_config_static_selectorELNS0_4arch9wavefront6targetE1EEEvSE_.uses_vcc, 0
	.set _ZN7rocprim17ROCPRIM_400000_NS6detail17trampoline_kernelINS0_14default_configENS1_35radix_sort_onesweep_config_selectorIdlEEZNS1_34radix_sort_onesweep_global_offsetsIS3_Lb0EPdN6thrust23THRUST_200600_302600_NS10device_ptrIlEEjNS0_19identity_decomposerEEE10hipError_tT1_T2_PT3_SG_jT4_jjP12ihipStream_tbEUlT_E_NS1_11comp_targetILNS1_3genE4ELNS1_11target_archE910ELNS1_3gpuE8ELNS1_3repE0EEENS1_52radix_sort_onesweep_histogram_config_static_selectorELNS0_4arch9wavefront6targetE1EEEvSE_.uses_flat_scratch, 0
	.set _ZN7rocprim17ROCPRIM_400000_NS6detail17trampoline_kernelINS0_14default_configENS1_35radix_sort_onesweep_config_selectorIdlEEZNS1_34radix_sort_onesweep_global_offsetsIS3_Lb0EPdN6thrust23THRUST_200600_302600_NS10device_ptrIlEEjNS0_19identity_decomposerEEE10hipError_tT1_T2_PT3_SG_jT4_jjP12ihipStream_tbEUlT_E_NS1_11comp_targetILNS1_3genE4ELNS1_11target_archE910ELNS1_3gpuE8ELNS1_3repE0EEENS1_52radix_sort_onesweep_histogram_config_static_selectorELNS0_4arch9wavefront6targetE1EEEvSE_.has_dyn_sized_stack, 0
	.set _ZN7rocprim17ROCPRIM_400000_NS6detail17trampoline_kernelINS0_14default_configENS1_35radix_sort_onesweep_config_selectorIdlEEZNS1_34radix_sort_onesweep_global_offsetsIS3_Lb0EPdN6thrust23THRUST_200600_302600_NS10device_ptrIlEEjNS0_19identity_decomposerEEE10hipError_tT1_T2_PT3_SG_jT4_jjP12ihipStream_tbEUlT_E_NS1_11comp_targetILNS1_3genE4ELNS1_11target_archE910ELNS1_3gpuE8ELNS1_3repE0EEENS1_52radix_sort_onesweep_histogram_config_static_selectorELNS0_4arch9wavefront6targetE1EEEvSE_.has_recursion, 0
	.set _ZN7rocprim17ROCPRIM_400000_NS6detail17trampoline_kernelINS0_14default_configENS1_35radix_sort_onesweep_config_selectorIdlEEZNS1_34radix_sort_onesweep_global_offsetsIS3_Lb0EPdN6thrust23THRUST_200600_302600_NS10device_ptrIlEEjNS0_19identity_decomposerEEE10hipError_tT1_T2_PT3_SG_jT4_jjP12ihipStream_tbEUlT_E_NS1_11comp_targetILNS1_3genE4ELNS1_11target_archE910ELNS1_3gpuE8ELNS1_3repE0EEENS1_52radix_sort_onesweep_histogram_config_static_selectorELNS0_4arch9wavefront6targetE1EEEvSE_.has_indirect_call, 0
	.section	.AMDGPU.csdata,"",@progbits
; Kernel info:
; codeLenInByte = 0
; TotalNumSgprs: 4
; NumVgprs: 0
; ScratchSize: 0
; MemoryBound: 0
; FloatMode: 240
; IeeeMode: 1
; LDSByteSize: 0 bytes/workgroup (compile time only)
; SGPRBlocks: 0
; VGPRBlocks: 0
; NumSGPRsForWavesPerEU: 4
; NumVGPRsForWavesPerEU: 1
; Occupancy: 10
; WaveLimiterHint : 0
; COMPUTE_PGM_RSRC2:SCRATCH_EN: 0
; COMPUTE_PGM_RSRC2:USER_SGPR: 6
; COMPUTE_PGM_RSRC2:TRAP_HANDLER: 0
; COMPUTE_PGM_RSRC2:TGID_X_EN: 1
; COMPUTE_PGM_RSRC2:TGID_Y_EN: 0
; COMPUTE_PGM_RSRC2:TGID_Z_EN: 0
; COMPUTE_PGM_RSRC2:TIDIG_COMP_CNT: 0
	.section	.text._ZN7rocprim17ROCPRIM_400000_NS6detail17trampoline_kernelINS0_14default_configENS1_35radix_sort_onesweep_config_selectorIdlEEZNS1_34radix_sort_onesweep_global_offsetsIS3_Lb0EPdN6thrust23THRUST_200600_302600_NS10device_ptrIlEEjNS0_19identity_decomposerEEE10hipError_tT1_T2_PT3_SG_jT4_jjP12ihipStream_tbEUlT_E_NS1_11comp_targetILNS1_3genE3ELNS1_11target_archE908ELNS1_3gpuE7ELNS1_3repE0EEENS1_52radix_sort_onesweep_histogram_config_static_selectorELNS0_4arch9wavefront6targetE1EEEvSE_,"axG",@progbits,_ZN7rocprim17ROCPRIM_400000_NS6detail17trampoline_kernelINS0_14default_configENS1_35radix_sort_onesweep_config_selectorIdlEEZNS1_34radix_sort_onesweep_global_offsetsIS3_Lb0EPdN6thrust23THRUST_200600_302600_NS10device_ptrIlEEjNS0_19identity_decomposerEEE10hipError_tT1_T2_PT3_SG_jT4_jjP12ihipStream_tbEUlT_E_NS1_11comp_targetILNS1_3genE3ELNS1_11target_archE908ELNS1_3gpuE7ELNS1_3repE0EEENS1_52radix_sort_onesweep_histogram_config_static_selectorELNS0_4arch9wavefront6targetE1EEEvSE_,comdat
	.protected	_ZN7rocprim17ROCPRIM_400000_NS6detail17trampoline_kernelINS0_14default_configENS1_35radix_sort_onesweep_config_selectorIdlEEZNS1_34radix_sort_onesweep_global_offsetsIS3_Lb0EPdN6thrust23THRUST_200600_302600_NS10device_ptrIlEEjNS0_19identity_decomposerEEE10hipError_tT1_T2_PT3_SG_jT4_jjP12ihipStream_tbEUlT_E_NS1_11comp_targetILNS1_3genE3ELNS1_11target_archE908ELNS1_3gpuE7ELNS1_3repE0EEENS1_52radix_sort_onesweep_histogram_config_static_selectorELNS0_4arch9wavefront6targetE1EEEvSE_ ; -- Begin function _ZN7rocprim17ROCPRIM_400000_NS6detail17trampoline_kernelINS0_14default_configENS1_35radix_sort_onesweep_config_selectorIdlEEZNS1_34radix_sort_onesweep_global_offsetsIS3_Lb0EPdN6thrust23THRUST_200600_302600_NS10device_ptrIlEEjNS0_19identity_decomposerEEE10hipError_tT1_T2_PT3_SG_jT4_jjP12ihipStream_tbEUlT_E_NS1_11comp_targetILNS1_3genE3ELNS1_11target_archE908ELNS1_3gpuE7ELNS1_3repE0EEENS1_52radix_sort_onesweep_histogram_config_static_selectorELNS0_4arch9wavefront6targetE1EEEvSE_
	.globl	_ZN7rocprim17ROCPRIM_400000_NS6detail17trampoline_kernelINS0_14default_configENS1_35radix_sort_onesweep_config_selectorIdlEEZNS1_34radix_sort_onesweep_global_offsetsIS3_Lb0EPdN6thrust23THRUST_200600_302600_NS10device_ptrIlEEjNS0_19identity_decomposerEEE10hipError_tT1_T2_PT3_SG_jT4_jjP12ihipStream_tbEUlT_E_NS1_11comp_targetILNS1_3genE3ELNS1_11target_archE908ELNS1_3gpuE7ELNS1_3repE0EEENS1_52radix_sort_onesweep_histogram_config_static_selectorELNS0_4arch9wavefront6targetE1EEEvSE_
	.p2align	8
	.type	_ZN7rocprim17ROCPRIM_400000_NS6detail17trampoline_kernelINS0_14default_configENS1_35radix_sort_onesweep_config_selectorIdlEEZNS1_34radix_sort_onesweep_global_offsetsIS3_Lb0EPdN6thrust23THRUST_200600_302600_NS10device_ptrIlEEjNS0_19identity_decomposerEEE10hipError_tT1_T2_PT3_SG_jT4_jjP12ihipStream_tbEUlT_E_NS1_11comp_targetILNS1_3genE3ELNS1_11target_archE908ELNS1_3gpuE7ELNS1_3repE0EEENS1_52radix_sort_onesweep_histogram_config_static_selectorELNS0_4arch9wavefront6targetE1EEEvSE_,@function
_ZN7rocprim17ROCPRIM_400000_NS6detail17trampoline_kernelINS0_14default_configENS1_35radix_sort_onesweep_config_selectorIdlEEZNS1_34radix_sort_onesweep_global_offsetsIS3_Lb0EPdN6thrust23THRUST_200600_302600_NS10device_ptrIlEEjNS0_19identity_decomposerEEE10hipError_tT1_T2_PT3_SG_jT4_jjP12ihipStream_tbEUlT_E_NS1_11comp_targetILNS1_3genE3ELNS1_11target_archE908ELNS1_3gpuE7ELNS1_3repE0EEENS1_52radix_sort_onesweep_histogram_config_static_selectorELNS0_4arch9wavefront6targetE1EEEvSE_: ; @_ZN7rocprim17ROCPRIM_400000_NS6detail17trampoline_kernelINS0_14default_configENS1_35radix_sort_onesweep_config_selectorIdlEEZNS1_34radix_sort_onesweep_global_offsetsIS3_Lb0EPdN6thrust23THRUST_200600_302600_NS10device_ptrIlEEjNS0_19identity_decomposerEEE10hipError_tT1_T2_PT3_SG_jT4_jjP12ihipStream_tbEUlT_E_NS1_11comp_targetILNS1_3genE3ELNS1_11target_archE908ELNS1_3gpuE7ELNS1_3repE0EEENS1_52radix_sort_onesweep_histogram_config_static_selectorELNS0_4arch9wavefront6targetE1EEEvSE_
; %bb.0:
	.section	.rodata,"a",@progbits
	.p2align	6, 0x0
	.amdhsa_kernel _ZN7rocprim17ROCPRIM_400000_NS6detail17trampoline_kernelINS0_14default_configENS1_35radix_sort_onesweep_config_selectorIdlEEZNS1_34radix_sort_onesweep_global_offsetsIS3_Lb0EPdN6thrust23THRUST_200600_302600_NS10device_ptrIlEEjNS0_19identity_decomposerEEE10hipError_tT1_T2_PT3_SG_jT4_jjP12ihipStream_tbEUlT_E_NS1_11comp_targetILNS1_3genE3ELNS1_11target_archE908ELNS1_3gpuE7ELNS1_3repE0EEENS1_52radix_sort_onesweep_histogram_config_static_selectorELNS0_4arch9wavefront6targetE1EEEvSE_
		.amdhsa_group_segment_fixed_size 0
		.amdhsa_private_segment_fixed_size 0
		.amdhsa_kernarg_size 40
		.amdhsa_user_sgpr_count 6
		.amdhsa_user_sgpr_private_segment_buffer 1
		.amdhsa_user_sgpr_dispatch_ptr 0
		.amdhsa_user_sgpr_queue_ptr 0
		.amdhsa_user_sgpr_kernarg_segment_ptr 1
		.amdhsa_user_sgpr_dispatch_id 0
		.amdhsa_user_sgpr_flat_scratch_init 0
		.amdhsa_user_sgpr_private_segment_size 0
		.amdhsa_uses_dynamic_stack 0
		.amdhsa_system_sgpr_private_segment_wavefront_offset 0
		.amdhsa_system_sgpr_workgroup_id_x 1
		.amdhsa_system_sgpr_workgroup_id_y 0
		.amdhsa_system_sgpr_workgroup_id_z 0
		.amdhsa_system_sgpr_workgroup_info 0
		.amdhsa_system_vgpr_workitem_id 0
		.amdhsa_next_free_vgpr 1
		.amdhsa_next_free_sgpr 0
		.amdhsa_reserve_vcc 0
		.amdhsa_reserve_flat_scratch 0
		.amdhsa_float_round_mode_32 0
		.amdhsa_float_round_mode_16_64 0
		.amdhsa_float_denorm_mode_32 3
		.amdhsa_float_denorm_mode_16_64 3
		.amdhsa_dx10_clamp 1
		.amdhsa_ieee_mode 1
		.amdhsa_fp16_overflow 0
		.amdhsa_exception_fp_ieee_invalid_op 0
		.amdhsa_exception_fp_denorm_src 0
		.amdhsa_exception_fp_ieee_div_zero 0
		.amdhsa_exception_fp_ieee_overflow 0
		.amdhsa_exception_fp_ieee_underflow 0
		.amdhsa_exception_fp_ieee_inexact 0
		.amdhsa_exception_int_div_zero 0
	.end_amdhsa_kernel
	.section	.text._ZN7rocprim17ROCPRIM_400000_NS6detail17trampoline_kernelINS0_14default_configENS1_35radix_sort_onesweep_config_selectorIdlEEZNS1_34radix_sort_onesweep_global_offsetsIS3_Lb0EPdN6thrust23THRUST_200600_302600_NS10device_ptrIlEEjNS0_19identity_decomposerEEE10hipError_tT1_T2_PT3_SG_jT4_jjP12ihipStream_tbEUlT_E_NS1_11comp_targetILNS1_3genE3ELNS1_11target_archE908ELNS1_3gpuE7ELNS1_3repE0EEENS1_52radix_sort_onesweep_histogram_config_static_selectorELNS0_4arch9wavefront6targetE1EEEvSE_,"axG",@progbits,_ZN7rocprim17ROCPRIM_400000_NS6detail17trampoline_kernelINS0_14default_configENS1_35radix_sort_onesweep_config_selectorIdlEEZNS1_34radix_sort_onesweep_global_offsetsIS3_Lb0EPdN6thrust23THRUST_200600_302600_NS10device_ptrIlEEjNS0_19identity_decomposerEEE10hipError_tT1_T2_PT3_SG_jT4_jjP12ihipStream_tbEUlT_E_NS1_11comp_targetILNS1_3genE3ELNS1_11target_archE908ELNS1_3gpuE7ELNS1_3repE0EEENS1_52radix_sort_onesweep_histogram_config_static_selectorELNS0_4arch9wavefront6targetE1EEEvSE_,comdat
.Lfunc_end1603:
	.size	_ZN7rocprim17ROCPRIM_400000_NS6detail17trampoline_kernelINS0_14default_configENS1_35radix_sort_onesweep_config_selectorIdlEEZNS1_34radix_sort_onesweep_global_offsetsIS3_Lb0EPdN6thrust23THRUST_200600_302600_NS10device_ptrIlEEjNS0_19identity_decomposerEEE10hipError_tT1_T2_PT3_SG_jT4_jjP12ihipStream_tbEUlT_E_NS1_11comp_targetILNS1_3genE3ELNS1_11target_archE908ELNS1_3gpuE7ELNS1_3repE0EEENS1_52radix_sort_onesweep_histogram_config_static_selectorELNS0_4arch9wavefront6targetE1EEEvSE_, .Lfunc_end1603-_ZN7rocprim17ROCPRIM_400000_NS6detail17trampoline_kernelINS0_14default_configENS1_35radix_sort_onesweep_config_selectorIdlEEZNS1_34radix_sort_onesweep_global_offsetsIS3_Lb0EPdN6thrust23THRUST_200600_302600_NS10device_ptrIlEEjNS0_19identity_decomposerEEE10hipError_tT1_T2_PT3_SG_jT4_jjP12ihipStream_tbEUlT_E_NS1_11comp_targetILNS1_3genE3ELNS1_11target_archE908ELNS1_3gpuE7ELNS1_3repE0EEENS1_52radix_sort_onesweep_histogram_config_static_selectorELNS0_4arch9wavefront6targetE1EEEvSE_
                                        ; -- End function
	.set _ZN7rocprim17ROCPRIM_400000_NS6detail17trampoline_kernelINS0_14default_configENS1_35radix_sort_onesweep_config_selectorIdlEEZNS1_34radix_sort_onesweep_global_offsetsIS3_Lb0EPdN6thrust23THRUST_200600_302600_NS10device_ptrIlEEjNS0_19identity_decomposerEEE10hipError_tT1_T2_PT3_SG_jT4_jjP12ihipStream_tbEUlT_E_NS1_11comp_targetILNS1_3genE3ELNS1_11target_archE908ELNS1_3gpuE7ELNS1_3repE0EEENS1_52radix_sort_onesweep_histogram_config_static_selectorELNS0_4arch9wavefront6targetE1EEEvSE_.num_vgpr, 0
	.set _ZN7rocprim17ROCPRIM_400000_NS6detail17trampoline_kernelINS0_14default_configENS1_35radix_sort_onesweep_config_selectorIdlEEZNS1_34radix_sort_onesweep_global_offsetsIS3_Lb0EPdN6thrust23THRUST_200600_302600_NS10device_ptrIlEEjNS0_19identity_decomposerEEE10hipError_tT1_T2_PT3_SG_jT4_jjP12ihipStream_tbEUlT_E_NS1_11comp_targetILNS1_3genE3ELNS1_11target_archE908ELNS1_3gpuE7ELNS1_3repE0EEENS1_52radix_sort_onesweep_histogram_config_static_selectorELNS0_4arch9wavefront6targetE1EEEvSE_.num_agpr, 0
	.set _ZN7rocprim17ROCPRIM_400000_NS6detail17trampoline_kernelINS0_14default_configENS1_35radix_sort_onesweep_config_selectorIdlEEZNS1_34radix_sort_onesweep_global_offsetsIS3_Lb0EPdN6thrust23THRUST_200600_302600_NS10device_ptrIlEEjNS0_19identity_decomposerEEE10hipError_tT1_T2_PT3_SG_jT4_jjP12ihipStream_tbEUlT_E_NS1_11comp_targetILNS1_3genE3ELNS1_11target_archE908ELNS1_3gpuE7ELNS1_3repE0EEENS1_52radix_sort_onesweep_histogram_config_static_selectorELNS0_4arch9wavefront6targetE1EEEvSE_.numbered_sgpr, 0
	.set _ZN7rocprim17ROCPRIM_400000_NS6detail17trampoline_kernelINS0_14default_configENS1_35radix_sort_onesweep_config_selectorIdlEEZNS1_34radix_sort_onesweep_global_offsetsIS3_Lb0EPdN6thrust23THRUST_200600_302600_NS10device_ptrIlEEjNS0_19identity_decomposerEEE10hipError_tT1_T2_PT3_SG_jT4_jjP12ihipStream_tbEUlT_E_NS1_11comp_targetILNS1_3genE3ELNS1_11target_archE908ELNS1_3gpuE7ELNS1_3repE0EEENS1_52radix_sort_onesweep_histogram_config_static_selectorELNS0_4arch9wavefront6targetE1EEEvSE_.num_named_barrier, 0
	.set _ZN7rocprim17ROCPRIM_400000_NS6detail17trampoline_kernelINS0_14default_configENS1_35radix_sort_onesweep_config_selectorIdlEEZNS1_34radix_sort_onesweep_global_offsetsIS3_Lb0EPdN6thrust23THRUST_200600_302600_NS10device_ptrIlEEjNS0_19identity_decomposerEEE10hipError_tT1_T2_PT3_SG_jT4_jjP12ihipStream_tbEUlT_E_NS1_11comp_targetILNS1_3genE3ELNS1_11target_archE908ELNS1_3gpuE7ELNS1_3repE0EEENS1_52radix_sort_onesweep_histogram_config_static_selectorELNS0_4arch9wavefront6targetE1EEEvSE_.private_seg_size, 0
	.set _ZN7rocprim17ROCPRIM_400000_NS6detail17trampoline_kernelINS0_14default_configENS1_35radix_sort_onesweep_config_selectorIdlEEZNS1_34radix_sort_onesweep_global_offsetsIS3_Lb0EPdN6thrust23THRUST_200600_302600_NS10device_ptrIlEEjNS0_19identity_decomposerEEE10hipError_tT1_T2_PT3_SG_jT4_jjP12ihipStream_tbEUlT_E_NS1_11comp_targetILNS1_3genE3ELNS1_11target_archE908ELNS1_3gpuE7ELNS1_3repE0EEENS1_52radix_sort_onesweep_histogram_config_static_selectorELNS0_4arch9wavefront6targetE1EEEvSE_.uses_vcc, 0
	.set _ZN7rocprim17ROCPRIM_400000_NS6detail17trampoline_kernelINS0_14default_configENS1_35radix_sort_onesweep_config_selectorIdlEEZNS1_34radix_sort_onesweep_global_offsetsIS3_Lb0EPdN6thrust23THRUST_200600_302600_NS10device_ptrIlEEjNS0_19identity_decomposerEEE10hipError_tT1_T2_PT3_SG_jT4_jjP12ihipStream_tbEUlT_E_NS1_11comp_targetILNS1_3genE3ELNS1_11target_archE908ELNS1_3gpuE7ELNS1_3repE0EEENS1_52radix_sort_onesweep_histogram_config_static_selectorELNS0_4arch9wavefront6targetE1EEEvSE_.uses_flat_scratch, 0
	.set _ZN7rocprim17ROCPRIM_400000_NS6detail17trampoline_kernelINS0_14default_configENS1_35radix_sort_onesweep_config_selectorIdlEEZNS1_34radix_sort_onesweep_global_offsetsIS3_Lb0EPdN6thrust23THRUST_200600_302600_NS10device_ptrIlEEjNS0_19identity_decomposerEEE10hipError_tT1_T2_PT3_SG_jT4_jjP12ihipStream_tbEUlT_E_NS1_11comp_targetILNS1_3genE3ELNS1_11target_archE908ELNS1_3gpuE7ELNS1_3repE0EEENS1_52radix_sort_onesweep_histogram_config_static_selectorELNS0_4arch9wavefront6targetE1EEEvSE_.has_dyn_sized_stack, 0
	.set _ZN7rocprim17ROCPRIM_400000_NS6detail17trampoline_kernelINS0_14default_configENS1_35radix_sort_onesweep_config_selectorIdlEEZNS1_34radix_sort_onesweep_global_offsetsIS3_Lb0EPdN6thrust23THRUST_200600_302600_NS10device_ptrIlEEjNS0_19identity_decomposerEEE10hipError_tT1_T2_PT3_SG_jT4_jjP12ihipStream_tbEUlT_E_NS1_11comp_targetILNS1_3genE3ELNS1_11target_archE908ELNS1_3gpuE7ELNS1_3repE0EEENS1_52radix_sort_onesweep_histogram_config_static_selectorELNS0_4arch9wavefront6targetE1EEEvSE_.has_recursion, 0
	.set _ZN7rocprim17ROCPRIM_400000_NS6detail17trampoline_kernelINS0_14default_configENS1_35radix_sort_onesweep_config_selectorIdlEEZNS1_34radix_sort_onesweep_global_offsetsIS3_Lb0EPdN6thrust23THRUST_200600_302600_NS10device_ptrIlEEjNS0_19identity_decomposerEEE10hipError_tT1_T2_PT3_SG_jT4_jjP12ihipStream_tbEUlT_E_NS1_11comp_targetILNS1_3genE3ELNS1_11target_archE908ELNS1_3gpuE7ELNS1_3repE0EEENS1_52radix_sort_onesweep_histogram_config_static_selectorELNS0_4arch9wavefront6targetE1EEEvSE_.has_indirect_call, 0
	.section	.AMDGPU.csdata,"",@progbits
; Kernel info:
; codeLenInByte = 0
; TotalNumSgprs: 4
; NumVgprs: 0
; ScratchSize: 0
; MemoryBound: 0
; FloatMode: 240
; IeeeMode: 1
; LDSByteSize: 0 bytes/workgroup (compile time only)
; SGPRBlocks: 0
; VGPRBlocks: 0
; NumSGPRsForWavesPerEU: 4
; NumVGPRsForWavesPerEU: 1
; Occupancy: 10
; WaveLimiterHint : 0
; COMPUTE_PGM_RSRC2:SCRATCH_EN: 0
; COMPUTE_PGM_RSRC2:USER_SGPR: 6
; COMPUTE_PGM_RSRC2:TRAP_HANDLER: 0
; COMPUTE_PGM_RSRC2:TGID_X_EN: 1
; COMPUTE_PGM_RSRC2:TGID_Y_EN: 0
; COMPUTE_PGM_RSRC2:TGID_Z_EN: 0
; COMPUTE_PGM_RSRC2:TIDIG_COMP_CNT: 0
	.section	.text._ZN7rocprim17ROCPRIM_400000_NS6detail17trampoline_kernelINS0_14default_configENS1_35radix_sort_onesweep_config_selectorIdlEEZNS1_34radix_sort_onesweep_global_offsetsIS3_Lb0EPdN6thrust23THRUST_200600_302600_NS10device_ptrIlEEjNS0_19identity_decomposerEEE10hipError_tT1_T2_PT3_SG_jT4_jjP12ihipStream_tbEUlT_E_NS1_11comp_targetILNS1_3genE10ELNS1_11target_archE1201ELNS1_3gpuE5ELNS1_3repE0EEENS1_52radix_sort_onesweep_histogram_config_static_selectorELNS0_4arch9wavefront6targetE1EEEvSE_,"axG",@progbits,_ZN7rocprim17ROCPRIM_400000_NS6detail17trampoline_kernelINS0_14default_configENS1_35radix_sort_onesweep_config_selectorIdlEEZNS1_34radix_sort_onesweep_global_offsetsIS3_Lb0EPdN6thrust23THRUST_200600_302600_NS10device_ptrIlEEjNS0_19identity_decomposerEEE10hipError_tT1_T2_PT3_SG_jT4_jjP12ihipStream_tbEUlT_E_NS1_11comp_targetILNS1_3genE10ELNS1_11target_archE1201ELNS1_3gpuE5ELNS1_3repE0EEENS1_52radix_sort_onesweep_histogram_config_static_selectorELNS0_4arch9wavefront6targetE1EEEvSE_,comdat
	.protected	_ZN7rocprim17ROCPRIM_400000_NS6detail17trampoline_kernelINS0_14default_configENS1_35radix_sort_onesweep_config_selectorIdlEEZNS1_34radix_sort_onesweep_global_offsetsIS3_Lb0EPdN6thrust23THRUST_200600_302600_NS10device_ptrIlEEjNS0_19identity_decomposerEEE10hipError_tT1_T2_PT3_SG_jT4_jjP12ihipStream_tbEUlT_E_NS1_11comp_targetILNS1_3genE10ELNS1_11target_archE1201ELNS1_3gpuE5ELNS1_3repE0EEENS1_52radix_sort_onesweep_histogram_config_static_selectorELNS0_4arch9wavefront6targetE1EEEvSE_ ; -- Begin function _ZN7rocprim17ROCPRIM_400000_NS6detail17trampoline_kernelINS0_14default_configENS1_35radix_sort_onesweep_config_selectorIdlEEZNS1_34radix_sort_onesweep_global_offsetsIS3_Lb0EPdN6thrust23THRUST_200600_302600_NS10device_ptrIlEEjNS0_19identity_decomposerEEE10hipError_tT1_T2_PT3_SG_jT4_jjP12ihipStream_tbEUlT_E_NS1_11comp_targetILNS1_3genE10ELNS1_11target_archE1201ELNS1_3gpuE5ELNS1_3repE0EEENS1_52radix_sort_onesweep_histogram_config_static_selectorELNS0_4arch9wavefront6targetE1EEEvSE_
	.globl	_ZN7rocprim17ROCPRIM_400000_NS6detail17trampoline_kernelINS0_14default_configENS1_35radix_sort_onesweep_config_selectorIdlEEZNS1_34radix_sort_onesweep_global_offsetsIS3_Lb0EPdN6thrust23THRUST_200600_302600_NS10device_ptrIlEEjNS0_19identity_decomposerEEE10hipError_tT1_T2_PT3_SG_jT4_jjP12ihipStream_tbEUlT_E_NS1_11comp_targetILNS1_3genE10ELNS1_11target_archE1201ELNS1_3gpuE5ELNS1_3repE0EEENS1_52radix_sort_onesweep_histogram_config_static_selectorELNS0_4arch9wavefront6targetE1EEEvSE_
	.p2align	8
	.type	_ZN7rocprim17ROCPRIM_400000_NS6detail17trampoline_kernelINS0_14default_configENS1_35radix_sort_onesweep_config_selectorIdlEEZNS1_34radix_sort_onesweep_global_offsetsIS3_Lb0EPdN6thrust23THRUST_200600_302600_NS10device_ptrIlEEjNS0_19identity_decomposerEEE10hipError_tT1_T2_PT3_SG_jT4_jjP12ihipStream_tbEUlT_E_NS1_11comp_targetILNS1_3genE10ELNS1_11target_archE1201ELNS1_3gpuE5ELNS1_3repE0EEENS1_52radix_sort_onesweep_histogram_config_static_selectorELNS0_4arch9wavefront6targetE1EEEvSE_,@function
_ZN7rocprim17ROCPRIM_400000_NS6detail17trampoline_kernelINS0_14default_configENS1_35radix_sort_onesweep_config_selectorIdlEEZNS1_34radix_sort_onesweep_global_offsetsIS3_Lb0EPdN6thrust23THRUST_200600_302600_NS10device_ptrIlEEjNS0_19identity_decomposerEEE10hipError_tT1_T2_PT3_SG_jT4_jjP12ihipStream_tbEUlT_E_NS1_11comp_targetILNS1_3genE10ELNS1_11target_archE1201ELNS1_3gpuE5ELNS1_3repE0EEENS1_52radix_sort_onesweep_histogram_config_static_selectorELNS0_4arch9wavefront6targetE1EEEvSE_: ; @_ZN7rocprim17ROCPRIM_400000_NS6detail17trampoline_kernelINS0_14default_configENS1_35radix_sort_onesweep_config_selectorIdlEEZNS1_34radix_sort_onesweep_global_offsetsIS3_Lb0EPdN6thrust23THRUST_200600_302600_NS10device_ptrIlEEjNS0_19identity_decomposerEEE10hipError_tT1_T2_PT3_SG_jT4_jjP12ihipStream_tbEUlT_E_NS1_11comp_targetILNS1_3genE10ELNS1_11target_archE1201ELNS1_3gpuE5ELNS1_3repE0EEENS1_52radix_sort_onesweep_histogram_config_static_selectorELNS0_4arch9wavefront6targetE1EEEvSE_
; %bb.0:
	.section	.rodata,"a",@progbits
	.p2align	6, 0x0
	.amdhsa_kernel _ZN7rocprim17ROCPRIM_400000_NS6detail17trampoline_kernelINS0_14default_configENS1_35radix_sort_onesweep_config_selectorIdlEEZNS1_34radix_sort_onesweep_global_offsetsIS3_Lb0EPdN6thrust23THRUST_200600_302600_NS10device_ptrIlEEjNS0_19identity_decomposerEEE10hipError_tT1_T2_PT3_SG_jT4_jjP12ihipStream_tbEUlT_E_NS1_11comp_targetILNS1_3genE10ELNS1_11target_archE1201ELNS1_3gpuE5ELNS1_3repE0EEENS1_52radix_sort_onesweep_histogram_config_static_selectorELNS0_4arch9wavefront6targetE1EEEvSE_
		.amdhsa_group_segment_fixed_size 0
		.amdhsa_private_segment_fixed_size 0
		.amdhsa_kernarg_size 40
		.amdhsa_user_sgpr_count 6
		.amdhsa_user_sgpr_private_segment_buffer 1
		.amdhsa_user_sgpr_dispatch_ptr 0
		.amdhsa_user_sgpr_queue_ptr 0
		.amdhsa_user_sgpr_kernarg_segment_ptr 1
		.amdhsa_user_sgpr_dispatch_id 0
		.amdhsa_user_sgpr_flat_scratch_init 0
		.amdhsa_user_sgpr_private_segment_size 0
		.amdhsa_uses_dynamic_stack 0
		.amdhsa_system_sgpr_private_segment_wavefront_offset 0
		.amdhsa_system_sgpr_workgroup_id_x 1
		.amdhsa_system_sgpr_workgroup_id_y 0
		.amdhsa_system_sgpr_workgroup_id_z 0
		.amdhsa_system_sgpr_workgroup_info 0
		.amdhsa_system_vgpr_workitem_id 0
		.amdhsa_next_free_vgpr 1
		.amdhsa_next_free_sgpr 0
		.amdhsa_reserve_vcc 0
		.amdhsa_reserve_flat_scratch 0
		.amdhsa_float_round_mode_32 0
		.amdhsa_float_round_mode_16_64 0
		.amdhsa_float_denorm_mode_32 3
		.amdhsa_float_denorm_mode_16_64 3
		.amdhsa_dx10_clamp 1
		.amdhsa_ieee_mode 1
		.amdhsa_fp16_overflow 0
		.amdhsa_exception_fp_ieee_invalid_op 0
		.amdhsa_exception_fp_denorm_src 0
		.amdhsa_exception_fp_ieee_div_zero 0
		.amdhsa_exception_fp_ieee_overflow 0
		.amdhsa_exception_fp_ieee_underflow 0
		.amdhsa_exception_fp_ieee_inexact 0
		.amdhsa_exception_int_div_zero 0
	.end_amdhsa_kernel
	.section	.text._ZN7rocprim17ROCPRIM_400000_NS6detail17trampoline_kernelINS0_14default_configENS1_35radix_sort_onesweep_config_selectorIdlEEZNS1_34radix_sort_onesweep_global_offsetsIS3_Lb0EPdN6thrust23THRUST_200600_302600_NS10device_ptrIlEEjNS0_19identity_decomposerEEE10hipError_tT1_T2_PT3_SG_jT4_jjP12ihipStream_tbEUlT_E_NS1_11comp_targetILNS1_3genE10ELNS1_11target_archE1201ELNS1_3gpuE5ELNS1_3repE0EEENS1_52radix_sort_onesweep_histogram_config_static_selectorELNS0_4arch9wavefront6targetE1EEEvSE_,"axG",@progbits,_ZN7rocprim17ROCPRIM_400000_NS6detail17trampoline_kernelINS0_14default_configENS1_35radix_sort_onesweep_config_selectorIdlEEZNS1_34radix_sort_onesweep_global_offsetsIS3_Lb0EPdN6thrust23THRUST_200600_302600_NS10device_ptrIlEEjNS0_19identity_decomposerEEE10hipError_tT1_T2_PT3_SG_jT4_jjP12ihipStream_tbEUlT_E_NS1_11comp_targetILNS1_3genE10ELNS1_11target_archE1201ELNS1_3gpuE5ELNS1_3repE0EEENS1_52radix_sort_onesweep_histogram_config_static_selectorELNS0_4arch9wavefront6targetE1EEEvSE_,comdat
.Lfunc_end1604:
	.size	_ZN7rocprim17ROCPRIM_400000_NS6detail17trampoline_kernelINS0_14default_configENS1_35radix_sort_onesweep_config_selectorIdlEEZNS1_34radix_sort_onesweep_global_offsetsIS3_Lb0EPdN6thrust23THRUST_200600_302600_NS10device_ptrIlEEjNS0_19identity_decomposerEEE10hipError_tT1_T2_PT3_SG_jT4_jjP12ihipStream_tbEUlT_E_NS1_11comp_targetILNS1_3genE10ELNS1_11target_archE1201ELNS1_3gpuE5ELNS1_3repE0EEENS1_52radix_sort_onesweep_histogram_config_static_selectorELNS0_4arch9wavefront6targetE1EEEvSE_, .Lfunc_end1604-_ZN7rocprim17ROCPRIM_400000_NS6detail17trampoline_kernelINS0_14default_configENS1_35radix_sort_onesweep_config_selectorIdlEEZNS1_34radix_sort_onesweep_global_offsetsIS3_Lb0EPdN6thrust23THRUST_200600_302600_NS10device_ptrIlEEjNS0_19identity_decomposerEEE10hipError_tT1_T2_PT3_SG_jT4_jjP12ihipStream_tbEUlT_E_NS1_11comp_targetILNS1_3genE10ELNS1_11target_archE1201ELNS1_3gpuE5ELNS1_3repE0EEENS1_52radix_sort_onesweep_histogram_config_static_selectorELNS0_4arch9wavefront6targetE1EEEvSE_
                                        ; -- End function
	.set _ZN7rocprim17ROCPRIM_400000_NS6detail17trampoline_kernelINS0_14default_configENS1_35radix_sort_onesweep_config_selectorIdlEEZNS1_34radix_sort_onesweep_global_offsetsIS3_Lb0EPdN6thrust23THRUST_200600_302600_NS10device_ptrIlEEjNS0_19identity_decomposerEEE10hipError_tT1_T2_PT3_SG_jT4_jjP12ihipStream_tbEUlT_E_NS1_11comp_targetILNS1_3genE10ELNS1_11target_archE1201ELNS1_3gpuE5ELNS1_3repE0EEENS1_52radix_sort_onesweep_histogram_config_static_selectorELNS0_4arch9wavefront6targetE1EEEvSE_.num_vgpr, 0
	.set _ZN7rocprim17ROCPRIM_400000_NS6detail17trampoline_kernelINS0_14default_configENS1_35radix_sort_onesweep_config_selectorIdlEEZNS1_34radix_sort_onesweep_global_offsetsIS3_Lb0EPdN6thrust23THRUST_200600_302600_NS10device_ptrIlEEjNS0_19identity_decomposerEEE10hipError_tT1_T2_PT3_SG_jT4_jjP12ihipStream_tbEUlT_E_NS1_11comp_targetILNS1_3genE10ELNS1_11target_archE1201ELNS1_3gpuE5ELNS1_3repE0EEENS1_52radix_sort_onesweep_histogram_config_static_selectorELNS0_4arch9wavefront6targetE1EEEvSE_.num_agpr, 0
	.set _ZN7rocprim17ROCPRIM_400000_NS6detail17trampoline_kernelINS0_14default_configENS1_35radix_sort_onesweep_config_selectorIdlEEZNS1_34radix_sort_onesweep_global_offsetsIS3_Lb0EPdN6thrust23THRUST_200600_302600_NS10device_ptrIlEEjNS0_19identity_decomposerEEE10hipError_tT1_T2_PT3_SG_jT4_jjP12ihipStream_tbEUlT_E_NS1_11comp_targetILNS1_3genE10ELNS1_11target_archE1201ELNS1_3gpuE5ELNS1_3repE0EEENS1_52radix_sort_onesweep_histogram_config_static_selectorELNS0_4arch9wavefront6targetE1EEEvSE_.numbered_sgpr, 0
	.set _ZN7rocprim17ROCPRIM_400000_NS6detail17trampoline_kernelINS0_14default_configENS1_35radix_sort_onesweep_config_selectorIdlEEZNS1_34radix_sort_onesweep_global_offsetsIS3_Lb0EPdN6thrust23THRUST_200600_302600_NS10device_ptrIlEEjNS0_19identity_decomposerEEE10hipError_tT1_T2_PT3_SG_jT4_jjP12ihipStream_tbEUlT_E_NS1_11comp_targetILNS1_3genE10ELNS1_11target_archE1201ELNS1_3gpuE5ELNS1_3repE0EEENS1_52radix_sort_onesweep_histogram_config_static_selectorELNS0_4arch9wavefront6targetE1EEEvSE_.num_named_barrier, 0
	.set _ZN7rocprim17ROCPRIM_400000_NS6detail17trampoline_kernelINS0_14default_configENS1_35radix_sort_onesweep_config_selectorIdlEEZNS1_34radix_sort_onesweep_global_offsetsIS3_Lb0EPdN6thrust23THRUST_200600_302600_NS10device_ptrIlEEjNS0_19identity_decomposerEEE10hipError_tT1_T2_PT3_SG_jT4_jjP12ihipStream_tbEUlT_E_NS1_11comp_targetILNS1_3genE10ELNS1_11target_archE1201ELNS1_3gpuE5ELNS1_3repE0EEENS1_52radix_sort_onesweep_histogram_config_static_selectorELNS0_4arch9wavefront6targetE1EEEvSE_.private_seg_size, 0
	.set _ZN7rocprim17ROCPRIM_400000_NS6detail17trampoline_kernelINS0_14default_configENS1_35radix_sort_onesweep_config_selectorIdlEEZNS1_34radix_sort_onesweep_global_offsetsIS3_Lb0EPdN6thrust23THRUST_200600_302600_NS10device_ptrIlEEjNS0_19identity_decomposerEEE10hipError_tT1_T2_PT3_SG_jT4_jjP12ihipStream_tbEUlT_E_NS1_11comp_targetILNS1_3genE10ELNS1_11target_archE1201ELNS1_3gpuE5ELNS1_3repE0EEENS1_52radix_sort_onesweep_histogram_config_static_selectorELNS0_4arch9wavefront6targetE1EEEvSE_.uses_vcc, 0
	.set _ZN7rocprim17ROCPRIM_400000_NS6detail17trampoline_kernelINS0_14default_configENS1_35radix_sort_onesweep_config_selectorIdlEEZNS1_34radix_sort_onesweep_global_offsetsIS3_Lb0EPdN6thrust23THRUST_200600_302600_NS10device_ptrIlEEjNS0_19identity_decomposerEEE10hipError_tT1_T2_PT3_SG_jT4_jjP12ihipStream_tbEUlT_E_NS1_11comp_targetILNS1_3genE10ELNS1_11target_archE1201ELNS1_3gpuE5ELNS1_3repE0EEENS1_52radix_sort_onesweep_histogram_config_static_selectorELNS0_4arch9wavefront6targetE1EEEvSE_.uses_flat_scratch, 0
	.set _ZN7rocprim17ROCPRIM_400000_NS6detail17trampoline_kernelINS0_14default_configENS1_35radix_sort_onesweep_config_selectorIdlEEZNS1_34radix_sort_onesweep_global_offsetsIS3_Lb0EPdN6thrust23THRUST_200600_302600_NS10device_ptrIlEEjNS0_19identity_decomposerEEE10hipError_tT1_T2_PT3_SG_jT4_jjP12ihipStream_tbEUlT_E_NS1_11comp_targetILNS1_3genE10ELNS1_11target_archE1201ELNS1_3gpuE5ELNS1_3repE0EEENS1_52radix_sort_onesweep_histogram_config_static_selectorELNS0_4arch9wavefront6targetE1EEEvSE_.has_dyn_sized_stack, 0
	.set _ZN7rocprim17ROCPRIM_400000_NS6detail17trampoline_kernelINS0_14default_configENS1_35radix_sort_onesweep_config_selectorIdlEEZNS1_34radix_sort_onesweep_global_offsetsIS3_Lb0EPdN6thrust23THRUST_200600_302600_NS10device_ptrIlEEjNS0_19identity_decomposerEEE10hipError_tT1_T2_PT3_SG_jT4_jjP12ihipStream_tbEUlT_E_NS1_11comp_targetILNS1_3genE10ELNS1_11target_archE1201ELNS1_3gpuE5ELNS1_3repE0EEENS1_52radix_sort_onesweep_histogram_config_static_selectorELNS0_4arch9wavefront6targetE1EEEvSE_.has_recursion, 0
	.set _ZN7rocprim17ROCPRIM_400000_NS6detail17trampoline_kernelINS0_14default_configENS1_35radix_sort_onesweep_config_selectorIdlEEZNS1_34radix_sort_onesweep_global_offsetsIS3_Lb0EPdN6thrust23THRUST_200600_302600_NS10device_ptrIlEEjNS0_19identity_decomposerEEE10hipError_tT1_T2_PT3_SG_jT4_jjP12ihipStream_tbEUlT_E_NS1_11comp_targetILNS1_3genE10ELNS1_11target_archE1201ELNS1_3gpuE5ELNS1_3repE0EEENS1_52radix_sort_onesweep_histogram_config_static_selectorELNS0_4arch9wavefront6targetE1EEEvSE_.has_indirect_call, 0
	.section	.AMDGPU.csdata,"",@progbits
; Kernel info:
; codeLenInByte = 0
; TotalNumSgprs: 4
; NumVgprs: 0
; ScratchSize: 0
; MemoryBound: 0
; FloatMode: 240
; IeeeMode: 1
; LDSByteSize: 0 bytes/workgroup (compile time only)
; SGPRBlocks: 0
; VGPRBlocks: 0
; NumSGPRsForWavesPerEU: 4
; NumVGPRsForWavesPerEU: 1
; Occupancy: 10
; WaveLimiterHint : 0
; COMPUTE_PGM_RSRC2:SCRATCH_EN: 0
; COMPUTE_PGM_RSRC2:USER_SGPR: 6
; COMPUTE_PGM_RSRC2:TRAP_HANDLER: 0
; COMPUTE_PGM_RSRC2:TGID_X_EN: 1
; COMPUTE_PGM_RSRC2:TGID_Y_EN: 0
; COMPUTE_PGM_RSRC2:TGID_Z_EN: 0
; COMPUTE_PGM_RSRC2:TIDIG_COMP_CNT: 0
	.section	.text._ZN7rocprim17ROCPRIM_400000_NS6detail17trampoline_kernelINS0_14default_configENS1_35radix_sort_onesweep_config_selectorIdlEEZNS1_34radix_sort_onesweep_global_offsetsIS3_Lb0EPdN6thrust23THRUST_200600_302600_NS10device_ptrIlEEjNS0_19identity_decomposerEEE10hipError_tT1_T2_PT3_SG_jT4_jjP12ihipStream_tbEUlT_E_NS1_11comp_targetILNS1_3genE9ELNS1_11target_archE1100ELNS1_3gpuE3ELNS1_3repE0EEENS1_52radix_sort_onesweep_histogram_config_static_selectorELNS0_4arch9wavefront6targetE1EEEvSE_,"axG",@progbits,_ZN7rocprim17ROCPRIM_400000_NS6detail17trampoline_kernelINS0_14default_configENS1_35radix_sort_onesweep_config_selectorIdlEEZNS1_34radix_sort_onesweep_global_offsetsIS3_Lb0EPdN6thrust23THRUST_200600_302600_NS10device_ptrIlEEjNS0_19identity_decomposerEEE10hipError_tT1_T2_PT3_SG_jT4_jjP12ihipStream_tbEUlT_E_NS1_11comp_targetILNS1_3genE9ELNS1_11target_archE1100ELNS1_3gpuE3ELNS1_3repE0EEENS1_52radix_sort_onesweep_histogram_config_static_selectorELNS0_4arch9wavefront6targetE1EEEvSE_,comdat
	.protected	_ZN7rocprim17ROCPRIM_400000_NS6detail17trampoline_kernelINS0_14default_configENS1_35radix_sort_onesweep_config_selectorIdlEEZNS1_34radix_sort_onesweep_global_offsetsIS3_Lb0EPdN6thrust23THRUST_200600_302600_NS10device_ptrIlEEjNS0_19identity_decomposerEEE10hipError_tT1_T2_PT3_SG_jT4_jjP12ihipStream_tbEUlT_E_NS1_11comp_targetILNS1_3genE9ELNS1_11target_archE1100ELNS1_3gpuE3ELNS1_3repE0EEENS1_52radix_sort_onesweep_histogram_config_static_selectorELNS0_4arch9wavefront6targetE1EEEvSE_ ; -- Begin function _ZN7rocprim17ROCPRIM_400000_NS6detail17trampoline_kernelINS0_14default_configENS1_35radix_sort_onesweep_config_selectorIdlEEZNS1_34radix_sort_onesweep_global_offsetsIS3_Lb0EPdN6thrust23THRUST_200600_302600_NS10device_ptrIlEEjNS0_19identity_decomposerEEE10hipError_tT1_T2_PT3_SG_jT4_jjP12ihipStream_tbEUlT_E_NS1_11comp_targetILNS1_3genE9ELNS1_11target_archE1100ELNS1_3gpuE3ELNS1_3repE0EEENS1_52radix_sort_onesweep_histogram_config_static_selectorELNS0_4arch9wavefront6targetE1EEEvSE_
	.globl	_ZN7rocprim17ROCPRIM_400000_NS6detail17trampoline_kernelINS0_14default_configENS1_35radix_sort_onesweep_config_selectorIdlEEZNS1_34radix_sort_onesweep_global_offsetsIS3_Lb0EPdN6thrust23THRUST_200600_302600_NS10device_ptrIlEEjNS0_19identity_decomposerEEE10hipError_tT1_T2_PT3_SG_jT4_jjP12ihipStream_tbEUlT_E_NS1_11comp_targetILNS1_3genE9ELNS1_11target_archE1100ELNS1_3gpuE3ELNS1_3repE0EEENS1_52radix_sort_onesweep_histogram_config_static_selectorELNS0_4arch9wavefront6targetE1EEEvSE_
	.p2align	8
	.type	_ZN7rocprim17ROCPRIM_400000_NS6detail17trampoline_kernelINS0_14default_configENS1_35radix_sort_onesweep_config_selectorIdlEEZNS1_34radix_sort_onesweep_global_offsetsIS3_Lb0EPdN6thrust23THRUST_200600_302600_NS10device_ptrIlEEjNS0_19identity_decomposerEEE10hipError_tT1_T2_PT3_SG_jT4_jjP12ihipStream_tbEUlT_E_NS1_11comp_targetILNS1_3genE9ELNS1_11target_archE1100ELNS1_3gpuE3ELNS1_3repE0EEENS1_52radix_sort_onesweep_histogram_config_static_selectorELNS0_4arch9wavefront6targetE1EEEvSE_,@function
_ZN7rocprim17ROCPRIM_400000_NS6detail17trampoline_kernelINS0_14default_configENS1_35radix_sort_onesweep_config_selectorIdlEEZNS1_34radix_sort_onesweep_global_offsetsIS3_Lb0EPdN6thrust23THRUST_200600_302600_NS10device_ptrIlEEjNS0_19identity_decomposerEEE10hipError_tT1_T2_PT3_SG_jT4_jjP12ihipStream_tbEUlT_E_NS1_11comp_targetILNS1_3genE9ELNS1_11target_archE1100ELNS1_3gpuE3ELNS1_3repE0EEENS1_52radix_sort_onesweep_histogram_config_static_selectorELNS0_4arch9wavefront6targetE1EEEvSE_: ; @_ZN7rocprim17ROCPRIM_400000_NS6detail17trampoline_kernelINS0_14default_configENS1_35radix_sort_onesweep_config_selectorIdlEEZNS1_34radix_sort_onesweep_global_offsetsIS3_Lb0EPdN6thrust23THRUST_200600_302600_NS10device_ptrIlEEjNS0_19identity_decomposerEEE10hipError_tT1_T2_PT3_SG_jT4_jjP12ihipStream_tbEUlT_E_NS1_11comp_targetILNS1_3genE9ELNS1_11target_archE1100ELNS1_3gpuE3ELNS1_3repE0EEENS1_52radix_sort_onesweep_histogram_config_static_selectorELNS0_4arch9wavefront6targetE1EEEvSE_
; %bb.0:
	.section	.rodata,"a",@progbits
	.p2align	6, 0x0
	.amdhsa_kernel _ZN7rocprim17ROCPRIM_400000_NS6detail17trampoline_kernelINS0_14default_configENS1_35radix_sort_onesweep_config_selectorIdlEEZNS1_34radix_sort_onesweep_global_offsetsIS3_Lb0EPdN6thrust23THRUST_200600_302600_NS10device_ptrIlEEjNS0_19identity_decomposerEEE10hipError_tT1_T2_PT3_SG_jT4_jjP12ihipStream_tbEUlT_E_NS1_11comp_targetILNS1_3genE9ELNS1_11target_archE1100ELNS1_3gpuE3ELNS1_3repE0EEENS1_52radix_sort_onesweep_histogram_config_static_selectorELNS0_4arch9wavefront6targetE1EEEvSE_
		.amdhsa_group_segment_fixed_size 0
		.amdhsa_private_segment_fixed_size 0
		.amdhsa_kernarg_size 40
		.amdhsa_user_sgpr_count 6
		.amdhsa_user_sgpr_private_segment_buffer 1
		.amdhsa_user_sgpr_dispatch_ptr 0
		.amdhsa_user_sgpr_queue_ptr 0
		.amdhsa_user_sgpr_kernarg_segment_ptr 1
		.amdhsa_user_sgpr_dispatch_id 0
		.amdhsa_user_sgpr_flat_scratch_init 0
		.amdhsa_user_sgpr_private_segment_size 0
		.amdhsa_uses_dynamic_stack 0
		.amdhsa_system_sgpr_private_segment_wavefront_offset 0
		.amdhsa_system_sgpr_workgroup_id_x 1
		.amdhsa_system_sgpr_workgroup_id_y 0
		.amdhsa_system_sgpr_workgroup_id_z 0
		.amdhsa_system_sgpr_workgroup_info 0
		.amdhsa_system_vgpr_workitem_id 0
		.amdhsa_next_free_vgpr 1
		.amdhsa_next_free_sgpr 0
		.amdhsa_reserve_vcc 0
		.amdhsa_reserve_flat_scratch 0
		.amdhsa_float_round_mode_32 0
		.amdhsa_float_round_mode_16_64 0
		.amdhsa_float_denorm_mode_32 3
		.amdhsa_float_denorm_mode_16_64 3
		.amdhsa_dx10_clamp 1
		.amdhsa_ieee_mode 1
		.amdhsa_fp16_overflow 0
		.amdhsa_exception_fp_ieee_invalid_op 0
		.amdhsa_exception_fp_denorm_src 0
		.amdhsa_exception_fp_ieee_div_zero 0
		.amdhsa_exception_fp_ieee_overflow 0
		.amdhsa_exception_fp_ieee_underflow 0
		.amdhsa_exception_fp_ieee_inexact 0
		.amdhsa_exception_int_div_zero 0
	.end_amdhsa_kernel
	.section	.text._ZN7rocprim17ROCPRIM_400000_NS6detail17trampoline_kernelINS0_14default_configENS1_35radix_sort_onesweep_config_selectorIdlEEZNS1_34radix_sort_onesweep_global_offsetsIS3_Lb0EPdN6thrust23THRUST_200600_302600_NS10device_ptrIlEEjNS0_19identity_decomposerEEE10hipError_tT1_T2_PT3_SG_jT4_jjP12ihipStream_tbEUlT_E_NS1_11comp_targetILNS1_3genE9ELNS1_11target_archE1100ELNS1_3gpuE3ELNS1_3repE0EEENS1_52radix_sort_onesweep_histogram_config_static_selectorELNS0_4arch9wavefront6targetE1EEEvSE_,"axG",@progbits,_ZN7rocprim17ROCPRIM_400000_NS6detail17trampoline_kernelINS0_14default_configENS1_35radix_sort_onesweep_config_selectorIdlEEZNS1_34radix_sort_onesweep_global_offsetsIS3_Lb0EPdN6thrust23THRUST_200600_302600_NS10device_ptrIlEEjNS0_19identity_decomposerEEE10hipError_tT1_T2_PT3_SG_jT4_jjP12ihipStream_tbEUlT_E_NS1_11comp_targetILNS1_3genE9ELNS1_11target_archE1100ELNS1_3gpuE3ELNS1_3repE0EEENS1_52radix_sort_onesweep_histogram_config_static_selectorELNS0_4arch9wavefront6targetE1EEEvSE_,comdat
.Lfunc_end1605:
	.size	_ZN7rocprim17ROCPRIM_400000_NS6detail17trampoline_kernelINS0_14default_configENS1_35radix_sort_onesweep_config_selectorIdlEEZNS1_34radix_sort_onesweep_global_offsetsIS3_Lb0EPdN6thrust23THRUST_200600_302600_NS10device_ptrIlEEjNS0_19identity_decomposerEEE10hipError_tT1_T2_PT3_SG_jT4_jjP12ihipStream_tbEUlT_E_NS1_11comp_targetILNS1_3genE9ELNS1_11target_archE1100ELNS1_3gpuE3ELNS1_3repE0EEENS1_52radix_sort_onesweep_histogram_config_static_selectorELNS0_4arch9wavefront6targetE1EEEvSE_, .Lfunc_end1605-_ZN7rocprim17ROCPRIM_400000_NS6detail17trampoline_kernelINS0_14default_configENS1_35radix_sort_onesweep_config_selectorIdlEEZNS1_34radix_sort_onesweep_global_offsetsIS3_Lb0EPdN6thrust23THRUST_200600_302600_NS10device_ptrIlEEjNS0_19identity_decomposerEEE10hipError_tT1_T2_PT3_SG_jT4_jjP12ihipStream_tbEUlT_E_NS1_11comp_targetILNS1_3genE9ELNS1_11target_archE1100ELNS1_3gpuE3ELNS1_3repE0EEENS1_52radix_sort_onesweep_histogram_config_static_selectorELNS0_4arch9wavefront6targetE1EEEvSE_
                                        ; -- End function
	.set _ZN7rocprim17ROCPRIM_400000_NS6detail17trampoline_kernelINS0_14default_configENS1_35radix_sort_onesweep_config_selectorIdlEEZNS1_34radix_sort_onesweep_global_offsetsIS3_Lb0EPdN6thrust23THRUST_200600_302600_NS10device_ptrIlEEjNS0_19identity_decomposerEEE10hipError_tT1_T2_PT3_SG_jT4_jjP12ihipStream_tbEUlT_E_NS1_11comp_targetILNS1_3genE9ELNS1_11target_archE1100ELNS1_3gpuE3ELNS1_3repE0EEENS1_52radix_sort_onesweep_histogram_config_static_selectorELNS0_4arch9wavefront6targetE1EEEvSE_.num_vgpr, 0
	.set _ZN7rocprim17ROCPRIM_400000_NS6detail17trampoline_kernelINS0_14default_configENS1_35radix_sort_onesweep_config_selectorIdlEEZNS1_34radix_sort_onesweep_global_offsetsIS3_Lb0EPdN6thrust23THRUST_200600_302600_NS10device_ptrIlEEjNS0_19identity_decomposerEEE10hipError_tT1_T2_PT3_SG_jT4_jjP12ihipStream_tbEUlT_E_NS1_11comp_targetILNS1_3genE9ELNS1_11target_archE1100ELNS1_3gpuE3ELNS1_3repE0EEENS1_52radix_sort_onesweep_histogram_config_static_selectorELNS0_4arch9wavefront6targetE1EEEvSE_.num_agpr, 0
	.set _ZN7rocprim17ROCPRIM_400000_NS6detail17trampoline_kernelINS0_14default_configENS1_35radix_sort_onesweep_config_selectorIdlEEZNS1_34radix_sort_onesweep_global_offsetsIS3_Lb0EPdN6thrust23THRUST_200600_302600_NS10device_ptrIlEEjNS0_19identity_decomposerEEE10hipError_tT1_T2_PT3_SG_jT4_jjP12ihipStream_tbEUlT_E_NS1_11comp_targetILNS1_3genE9ELNS1_11target_archE1100ELNS1_3gpuE3ELNS1_3repE0EEENS1_52radix_sort_onesweep_histogram_config_static_selectorELNS0_4arch9wavefront6targetE1EEEvSE_.numbered_sgpr, 0
	.set _ZN7rocprim17ROCPRIM_400000_NS6detail17trampoline_kernelINS0_14default_configENS1_35radix_sort_onesweep_config_selectorIdlEEZNS1_34radix_sort_onesweep_global_offsetsIS3_Lb0EPdN6thrust23THRUST_200600_302600_NS10device_ptrIlEEjNS0_19identity_decomposerEEE10hipError_tT1_T2_PT3_SG_jT4_jjP12ihipStream_tbEUlT_E_NS1_11comp_targetILNS1_3genE9ELNS1_11target_archE1100ELNS1_3gpuE3ELNS1_3repE0EEENS1_52radix_sort_onesweep_histogram_config_static_selectorELNS0_4arch9wavefront6targetE1EEEvSE_.num_named_barrier, 0
	.set _ZN7rocprim17ROCPRIM_400000_NS6detail17trampoline_kernelINS0_14default_configENS1_35radix_sort_onesweep_config_selectorIdlEEZNS1_34radix_sort_onesweep_global_offsetsIS3_Lb0EPdN6thrust23THRUST_200600_302600_NS10device_ptrIlEEjNS0_19identity_decomposerEEE10hipError_tT1_T2_PT3_SG_jT4_jjP12ihipStream_tbEUlT_E_NS1_11comp_targetILNS1_3genE9ELNS1_11target_archE1100ELNS1_3gpuE3ELNS1_3repE0EEENS1_52radix_sort_onesweep_histogram_config_static_selectorELNS0_4arch9wavefront6targetE1EEEvSE_.private_seg_size, 0
	.set _ZN7rocprim17ROCPRIM_400000_NS6detail17trampoline_kernelINS0_14default_configENS1_35radix_sort_onesweep_config_selectorIdlEEZNS1_34radix_sort_onesweep_global_offsetsIS3_Lb0EPdN6thrust23THRUST_200600_302600_NS10device_ptrIlEEjNS0_19identity_decomposerEEE10hipError_tT1_T2_PT3_SG_jT4_jjP12ihipStream_tbEUlT_E_NS1_11comp_targetILNS1_3genE9ELNS1_11target_archE1100ELNS1_3gpuE3ELNS1_3repE0EEENS1_52radix_sort_onesweep_histogram_config_static_selectorELNS0_4arch9wavefront6targetE1EEEvSE_.uses_vcc, 0
	.set _ZN7rocprim17ROCPRIM_400000_NS6detail17trampoline_kernelINS0_14default_configENS1_35radix_sort_onesweep_config_selectorIdlEEZNS1_34radix_sort_onesweep_global_offsetsIS3_Lb0EPdN6thrust23THRUST_200600_302600_NS10device_ptrIlEEjNS0_19identity_decomposerEEE10hipError_tT1_T2_PT3_SG_jT4_jjP12ihipStream_tbEUlT_E_NS1_11comp_targetILNS1_3genE9ELNS1_11target_archE1100ELNS1_3gpuE3ELNS1_3repE0EEENS1_52radix_sort_onesweep_histogram_config_static_selectorELNS0_4arch9wavefront6targetE1EEEvSE_.uses_flat_scratch, 0
	.set _ZN7rocprim17ROCPRIM_400000_NS6detail17trampoline_kernelINS0_14default_configENS1_35radix_sort_onesweep_config_selectorIdlEEZNS1_34radix_sort_onesweep_global_offsetsIS3_Lb0EPdN6thrust23THRUST_200600_302600_NS10device_ptrIlEEjNS0_19identity_decomposerEEE10hipError_tT1_T2_PT3_SG_jT4_jjP12ihipStream_tbEUlT_E_NS1_11comp_targetILNS1_3genE9ELNS1_11target_archE1100ELNS1_3gpuE3ELNS1_3repE0EEENS1_52radix_sort_onesweep_histogram_config_static_selectorELNS0_4arch9wavefront6targetE1EEEvSE_.has_dyn_sized_stack, 0
	.set _ZN7rocprim17ROCPRIM_400000_NS6detail17trampoline_kernelINS0_14default_configENS1_35radix_sort_onesweep_config_selectorIdlEEZNS1_34radix_sort_onesweep_global_offsetsIS3_Lb0EPdN6thrust23THRUST_200600_302600_NS10device_ptrIlEEjNS0_19identity_decomposerEEE10hipError_tT1_T2_PT3_SG_jT4_jjP12ihipStream_tbEUlT_E_NS1_11comp_targetILNS1_3genE9ELNS1_11target_archE1100ELNS1_3gpuE3ELNS1_3repE0EEENS1_52radix_sort_onesweep_histogram_config_static_selectorELNS0_4arch9wavefront6targetE1EEEvSE_.has_recursion, 0
	.set _ZN7rocprim17ROCPRIM_400000_NS6detail17trampoline_kernelINS0_14default_configENS1_35radix_sort_onesweep_config_selectorIdlEEZNS1_34radix_sort_onesweep_global_offsetsIS3_Lb0EPdN6thrust23THRUST_200600_302600_NS10device_ptrIlEEjNS0_19identity_decomposerEEE10hipError_tT1_T2_PT3_SG_jT4_jjP12ihipStream_tbEUlT_E_NS1_11comp_targetILNS1_3genE9ELNS1_11target_archE1100ELNS1_3gpuE3ELNS1_3repE0EEENS1_52radix_sort_onesweep_histogram_config_static_selectorELNS0_4arch9wavefront6targetE1EEEvSE_.has_indirect_call, 0
	.section	.AMDGPU.csdata,"",@progbits
; Kernel info:
; codeLenInByte = 0
; TotalNumSgprs: 4
; NumVgprs: 0
; ScratchSize: 0
; MemoryBound: 0
; FloatMode: 240
; IeeeMode: 1
; LDSByteSize: 0 bytes/workgroup (compile time only)
; SGPRBlocks: 0
; VGPRBlocks: 0
; NumSGPRsForWavesPerEU: 4
; NumVGPRsForWavesPerEU: 1
; Occupancy: 10
; WaveLimiterHint : 0
; COMPUTE_PGM_RSRC2:SCRATCH_EN: 0
; COMPUTE_PGM_RSRC2:USER_SGPR: 6
; COMPUTE_PGM_RSRC2:TRAP_HANDLER: 0
; COMPUTE_PGM_RSRC2:TGID_X_EN: 1
; COMPUTE_PGM_RSRC2:TGID_Y_EN: 0
; COMPUTE_PGM_RSRC2:TGID_Z_EN: 0
; COMPUTE_PGM_RSRC2:TIDIG_COMP_CNT: 0
	.section	.text._ZN7rocprim17ROCPRIM_400000_NS6detail17trampoline_kernelINS0_14default_configENS1_35radix_sort_onesweep_config_selectorIdlEEZNS1_34radix_sort_onesweep_global_offsetsIS3_Lb0EPdN6thrust23THRUST_200600_302600_NS10device_ptrIlEEjNS0_19identity_decomposerEEE10hipError_tT1_T2_PT3_SG_jT4_jjP12ihipStream_tbEUlT_E_NS1_11comp_targetILNS1_3genE8ELNS1_11target_archE1030ELNS1_3gpuE2ELNS1_3repE0EEENS1_52radix_sort_onesweep_histogram_config_static_selectorELNS0_4arch9wavefront6targetE1EEEvSE_,"axG",@progbits,_ZN7rocprim17ROCPRIM_400000_NS6detail17trampoline_kernelINS0_14default_configENS1_35radix_sort_onesweep_config_selectorIdlEEZNS1_34radix_sort_onesweep_global_offsetsIS3_Lb0EPdN6thrust23THRUST_200600_302600_NS10device_ptrIlEEjNS0_19identity_decomposerEEE10hipError_tT1_T2_PT3_SG_jT4_jjP12ihipStream_tbEUlT_E_NS1_11comp_targetILNS1_3genE8ELNS1_11target_archE1030ELNS1_3gpuE2ELNS1_3repE0EEENS1_52radix_sort_onesweep_histogram_config_static_selectorELNS0_4arch9wavefront6targetE1EEEvSE_,comdat
	.protected	_ZN7rocprim17ROCPRIM_400000_NS6detail17trampoline_kernelINS0_14default_configENS1_35radix_sort_onesweep_config_selectorIdlEEZNS1_34radix_sort_onesweep_global_offsetsIS3_Lb0EPdN6thrust23THRUST_200600_302600_NS10device_ptrIlEEjNS0_19identity_decomposerEEE10hipError_tT1_T2_PT3_SG_jT4_jjP12ihipStream_tbEUlT_E_NS1_11comp_targetILNS1_3genE8ELNS1_11target_archE1030ELNS1_3gpuE2ELNS1_3repE0EEENS1_52radix_sort_onesweep_histogram_config_static_selectorELNS0_4arch9wavefront6targetE1EEEvSE_ ; -- Begin function _ZN7rocprim17ROCPRIM_400000_NS6detail17trampoline_kernelINS0_14default_configENS1_35radix_sort_onesweep_config_selectorIdlEEZNS1_34radix_sort_onesweep_global_offsetsIS3_Lb0EPdN6thrust23THRUST_200600_302600_NS10device_ptrIlEEjNS0_19identity_decomposerEEE10hipError_tT1_T2_PT3_SG_jT4_jjP12ihipStream_tbEUlT_E_NS1_11comp_targetILNS1_3genE8ELNS1_11target_archE1030ELNS1_3gpuE2ELNS1_3repE0EEENS1_52radix_sort_onesweep_histogram_config_static_selectorELNS0_4arch9wavefront6targetE1EEEvSE_
	.globl	_ZN7rocprim17ROCPRIM_400000_NS6detail17trampoline_kernelINS0_14default_configENS1_35radix_sort_onesweep_config_selectorIdlEEZNS1_34radix_sort_onesweep_global_offsetsIS3_Lb0EPdN6thrust23THRUST_200600_302600_NS10device_ptrIlEEjNS0_19identity_decomposerEEE10hipError_tT1_T2_PT3_SG_jT4_jjP12ihipStream_tbEUlT_E_NS1_11comp_targetILNS1_3genE8ELNS1_11target_archE1030ELNS1_3gpuE2ELNS1_3repE0EEENS1_52radix_sort_onesweep_histogram_config_static_selectorELNS0_4arch9wavefront6targetE1EEEvSE_
	.p2align	8
	.type	_ZN7rocprim17ROCPRIM_400000_NS6detail17trampoline_kernelINS0_14default_configENS1_35radix_sort_onesweep_config_selectorIdlEEZNS1_34radix_sort_onesweep_global_offsetsIS3_Lb0EPdN6thrust23THRUST_200600_302600_NS10device_ptrIlEEjNS0_19identity_decomposerEEE10hipError_tT1_T2_PT3_SG_jT4_jjP12ihipStream_tbEUlT_E_NS1_11comp_targetILNS1_3genE8ELNS1_11target_archE1030ELNS1_3gpuE2ELNS1_3repE0EEENS1_52radix_sort_onesweep_histogram_config_static_selectorELNS0_4arch9wavefront6targetE1EEEvSE_,@function
_ZN7rocprim17ROCPRIM_400000_NS6detail17trampoline_kernelINS0_14default_configENS1_35radix_sort_onesweep_config_selectorIdlEEZNS1_34radix_sort_onesweep_global_offsetsIS3_Lb0EPdN6thrust23THRUST_200600_302600_NS10device_ptrIlEEjNS0_19identity_decomposerEEE10hipError_tT1_T2_PT3_SG_jT4_jjP12ihipStream_tbEUlT_E_NS1_11comp_targetILNS1_3genE8ELNS1_11target_archE1030ELNS1_3gpuE2ELNS1_3repE0EEENS1_52radix_sort_onesweep_histogram_config_static_selectorELNS0_4arch9wavefront6targetE1EEEvSE_: ; @_ZN7rocprim17ROCPRIM_400000_NS6detail17trampoline_kernelINS0_14default_configENS1_35radix_sort_onesweep_config_selectorIdlEEZNS1_34radix_sort_onesweep_global_offsetsIS3_Lb0EPdN6thrust23THRUST_200600_302600_NS10device_ptrIlEEjNS0_19identity_decomposerEEE10hipError_tT1_T2_PT3_SG_jT4_jjP12ihipStream_tbEUlT_E_NS1_11comp_targetILNS1_3genE8ELNS1_11target_archE1030ELNS1_3gpuE2ELNS1_3repE0EEENS1_52radix_sort_onesweep_histogram_config_static_selectorELNS0_4arch9wavefront6targetE1EEEvSE_
; %bb.0:
	.section	.rodata,"a",@progbits
	.p2align	6, 0x0
	.amdhsa_kernel _ZN7rocprim17ROCPRIM_400000_NS6detail17trampoline_kernelINS0_14default_configENS1_35radix_sort_onesweep_config_selectorIdlEEZNS1_34radix_sort_onesweep_global_offsetsIS3_Lb0EPdN6thrust23THRUST_200600_302600_NS10device_ptrIlEEjNS0_19identity_decomposerEEE10hipError_tT1_T2_PT3_SG_jT4_jjP12ihipStream_tbEUlT_E_NS1_11comp_targetILNS1_3genE8ELNS1_11target_archE1030ELNS1_3gpuE2ELNS1_3repE0EEENS1_52radix_sort_onesweep_histogram_config_static_selectorELNS0_4arch9wavefront6targetE1EEEvSE_
		.amdhsa_group_segment_fixed_size 0
		.amdhsa_private_segment_fixed_size 0
		.amdhsa_kernarg_size 40
		.amdhsa_user_sgpr_count 6
		.amdhsa_user_sgpr_private_segment_buffer 1
		.amdhsa_user_sgpr_dispatch_ptr 0
		.amdhsa_user_sgpr_queue_ptr 0
		.amdhsa_user_sgpr_kernarg_segment_ptr 1
		.amdhsa_user_sgpr_dispatch_id 0
		.amdhsa_user_sgpr_flat_scratch_init 0
		.amdhsa_user_sgpr_private_segment_size 0
		.amdhsa_uses_dynamic_stack 0
		.amdhsa_system_sgpr_private_segment_wavefront_offset 0
		.amdhsa_system_sgpr_workgroup_id_x 1
		.amdhsa_system_sgpr_workgroup_id_y 0
		.amdhsa_system_sgpr_workgroup_id_z 0
		.amdhsa_system_sgpr_workgroup_info 0
		.amdhsa_system_vgpr_workitem_id 0
		.amdhsa_next_free_vgpr 1
		.amdhsa_next_free_sgpr 0
		.amdhsa_reserve_vcc 0
		.amdhsa_reserve_flat_scratch 0
		.amdhsa_float_round_mode_32 0
		.amdhsa_float_round_mode_16_64 0
		.amdhsa_float_denorm_mode_32 3
		.amdhsa_float_denorm_mode_16_64 3
		.amdhsa_dx10_clamp 1
		.amdhsa_ieee_mode 1
		.amdhsa_fp16_overflow 0
		.amdhsa_exception_fp_ieee_invalid_op 0
		.amdhsa_exception_fp_denorm_src 0
		.amdhsa_exception_fp_ieee_div_zero 0
		.amdhsa_exception_fp_ieee_overflow 0
		.amdhsa_exception_fp_ieee_underflow 0
		.amdhsa_exception_fp_ieee_inexact 0
		.amdhsa_exception_int_div_zero 0
	.end_amdhsa_kernel
	.section	.text._ZN7rocprim17ROCPRIM_400000_NS6detail17trampoline_kernelINS0_14default_configENS1_35radix_sort_onesweep_config_selectorIdlEEZNS1_34radix_sort_onesweep_global_offsetsIS3_Lb0EPdN6thrust23THRUST_200600_302600_NS10device_ptrIlEEjNS0_19identity_decomposerEEE10hipError_tT1_T2_PT3_SG_jT4_jjP12ihipStream_tbEUlT_E_NS1_11comp_targetILNS1_3genE8ELNS1_11target_archE1030ELNS1_3gpuE2ELNS1_3repE0EEENS1_52radix_sort_onesweep_histogram_config_static_selectorELNS0_4arch9wavefront6targetE1EEEvSE_,"axG",@progbits,_ZN7rocprim17ROCPRIM_400000_NS6detail17trampoline_kernelINS0_14default_configENS1_35radix_sort_onesweep_config_selectorIdlEEZNS1_34radix_sort_onesweep_global_offsetsIS3_Lb0EPdN6thrust23THRUST_200600_302600_NS10device_ptrIlEEjNS0_19identity_decomposerEEE10hipError_tT1_T2_PT3_SG_jT4_jjP12ihipStream_tbEUlT_E_NS1_11comp_targetILNS1_3genE8ELNS1_11target_archE1030ELNS1_3gpuE2ELNS1_3repE0EEENS1_52radix_sort_onesweep_histogram_config_static_selectorELNS0_4arch9wavefront6targetE1EEEvSE_,comdat
.Lfunc_end1606:
	.size	_ZN7rocprim17ROCPRIM_400000_NS6detail17trampoline_kernelINS0_14default_configENS1_35radix_sort_onesweep_config_selectorIdlEEZNS1_34radix_sort_onesweep_global_offsetsIS3_Lb0EPdN6thrust23THRUST_200600_302600_NS10device_ptrIlEEjNS0_19identity_decomposerEEE10hipError_tT1_T2_PT3_SG_jT4_jjP12ihipStream_tbEUlT_E_NS1_11comp_targetILNS1_3genE8ELNS1_11target_archE1030ELNS1_3gpuE2ELNS1_3repE0EEENS1_52radix_sort_onesweep_histogram_config_static_selectorELNS0_4arch9wavefront6targetE1EEEvSE_, .Lfunc_end1606-_ZN7rocprim17ROCPRIM_400000_NS6detail17trampoline_kernelINS0_14default_configENS1_35radix_sort_onesweep_config_selectorIdlEEZNS1_34radix_sort_onesweep_global_offsetsIS3_Lb0EPdN6thrust23THRUST_200600_302600_NS10device_ptrIlEEjNS0_19identity_decomposerEEE10hipError_tT1_T2_PT3_SG_jT4_jjP12ihipStream_tbEUlT_E_NS1_11comp_targetILNS1_3genE8ELNS1_11target_archE1030ELNS1_3gpuE2ELNS1_3repE0EEENS1_52radix_sort_onesweep_histogram_config_static_selectorELNS0_4arch9wavefront6targetE1EEEvSE_
                                        ; -- End function
	.set _ZN7rocprim17ROCPRIM_400000_NS6detail17trampoline_kernelINS0_14default_configENS1_35radix_sort_onesweep_config_selectorIdlEEZNS1_34radix_sort_onesweep_global_offsetsIS3_Lb0EPdN6thrust23THRUST_200600_302600_NS10device_ptrIlEEjNS0_19identity_decomposerEEE10hipError_tT1_T2_PT3_SG_jT4_jjP12ihipStream_tbEUlT_E_NS1_11comp_targetILNS1_3genE8ELNS1_11target_archE1030ELNS1_3gpuE2ELNS1_3repE0EEENS1_52radix_sort_onesweep_histogram_config_static_selectorELNS0_4arch9wavefront6targetE1EEEvSE_.num_vgpr, 0
	.set _ZN7rocprim17ROCPRIM_400000_NS6detail17trampoline_kernelINS0_14default_configENS1_35radix_sort_onesweep_config_selectorIdlEEZNS1_34radix_sort_onesweep_global_offsetsIS3_Lb0EPdN6thrust23THRUST_200600_302600_NS10device_ptrIlEEjNS0_19identity_decomposerEEE10hipError_tT1_T2_PT3_SG_jT4_jjP12ihipStream_tbEUlT_E_NS1_11comp_targetILNS1_3genE8ELNS1_11target_archE1030ELNS1_3gpuE2ELNS1_3repE0EEENS1_52radix_sort_onesweep_histogram_config_static_selectorELNS0_4arch9wavefront6targetE1EEEvSE_.num_agpr, 0
	.set _ZN7rocprim17ROCPRIM_400000_NS6detail17trampoline_kernelINS0_14default_configENS1_35radix_sort_onesweep_config_selectorIdlEEZNS1_34radix_sort_onesweep_global_offsetsIS3_Lb0EPdN6thrust23THRUST_200600_302600_NS10device_ptrIlEEjNS0_19identity_decomposerEEE10hipError_tT1_T2_PT3_SG_jT4_jjP12ihipStream_tbEUlT_E_NS1_11comp_targetILNS1_3genE8ELNS1_11target_archE1030ELNS1_3gpuE2ELNS1_3repE0EEENS1_52radix_sort_onesweep_histogram_config_static_selectorELNS0_4arch9wavefront6targetE1EEEvSE_.numbered_sgpr, 0
	.set _ZN7rocprim17ROCPRIM_400000_NS6detail17trampoline_kernelINS0_14default_configENS1_35radix_sort_onesweep_config_selectorIdlEEZNS1_34radix_sort_onesweep_global_offsetsIS3_Lb0EPdN6thrust23THRUST_200600_302600_NS10device_ptrIlEEjNS0_19identity_decomposerEEE10hipError_tT1_T2_PT3_SG_jT4_jjP12ihipStream_tbEUlT_E_NS1_11comp_targetILNS1_3genE8ELNS1_11target_archE1030ELNS1_3gpuE2ELNS1_3repE0EEENS1_52radix_sort_onesweep_histogram_config_static_selectorELNS0_4arch9wavefront6targetE1EEEvSE_.num_named_barrier, 0
	.set _ZN7rocprim17ROCPRIM_400000_NS6detail17trampoline_kernelINS0_14default_configENS1_35radix_sort_onesweep_config_selectorIdlEEZNS1_34radix_sort_onesweep_global_offsetsIS3_Lb0EPdN6thrust23THRUST_200600_302600_NS10device_ptrIlEEjNS0_19identity_decomposerEEE10hipError_tT1_T2_PT3_SG_jT4_jjP12ihipStream_tbEUlT_E_NS1_11comp_targetILNS1_3genE8ELNS1_11target_archE1030ELNS1_3gpuE2ELNS1_3repE0EEENS1_52radix_sort_onesweep_histogram_config_static_selectorELNS0_4arch9wavefront6targetE1EEEvSE_.private_seg_size, 0
	.set _ZN7rocprim17ROCPRIM_400000_NS6detail17trampoline_kernelINS0_14default_configENS1_35radix_sort_onesweep_config_selectorIdlEEZNS1_34radix_sort_onesweep_global_offsetsIS3_Lb0EPdN6thrust23THRUST_200600_302600_NS10device_ptrIlEEjNS0_19identity_decomposerEEE10hipError_tT1_T2_PT3_SG_jT4_jjP12ihipStream_tbEUlT_E_NS1_11comp_targetILNS1_3genE8ELNS1_11target_archE1030ELNS1_3gpuE2ELNS1_3repE0EEENS1_52radix_sort_onesweep_histogram_config_static_selectorELNS0_4arch9wavefront6targetE1EEEvSE_.uses_vcc, 0
	.set _ZN7rocprim17ROCPRIM_400000_NS6detail17trampoline_kernelINS0_14default_configENS1_35radix_sort_onesweep_config_selectorIdlEEZNS1_34radix_sort_onesweep_global_offsetsIS3_Lb0EPdN6thrust23THRUST_200600_302600_NS10device_ptrIlEEjNS0_19identity_decomposerEEE10hipError_tT1_T2_PT3_SG_jT4_jjP12ihipStream_tbEUlT_E_NS1_11comp_targetILNS1_3genE8ELNS1_11target_archE1030ELNS1_3gpuE2ELNS1_3repE0EEENS1_52radix_sort_onesweep_histogram_config_static_selectorELNS0_4arch9wavefront6targetE1EEEvSE_.uses_flat_scratch, 0
	.set _ZN7rocprim17ROCPRIM_400000_NS6detail17trampoline_kernelINS0_14default_configENS1_35radix_sort_onesweep_config_selectorIdlEEZNS1_34radix_sort_onesweep_global_offsetsIS3_Lb0EPdN6thrust23THRUST_200600_302600_NS10device_ptrIlEEjNS0_19identity_decomposerEEE10hipError_tT1_T2_PT3_SG_jT4_jjP12ihipStream_tbEUlT_E_NS1_11comp_targetILNS1_3genE8ELNS1_11target_archE1030ELNS1_3gpuE2ELNS1_3repE0EEENS1_52radix_sort_onesweep_histogram_config_static_selectorELNS0_4arch9wavefront6targetE1EEEvSE_.has_dyn_sized_stack, 0
	.set _ZN7rocprim17ROCPRIM_400000_NS6detail17trampoline_kernelINS0_14default_configENS1_35radix_sort_onesweep_config_selectorIdlEEZNS1_34radix_sort_onesweep_global_offsetsIS3_Lb0EPdN6thrust23THRUST_200600_302600_NS10device_ptrIlEEjNS0_19identity_decomposerEEE10hipError_tT1_T2_PT3_SG_jT4_jjP12ihipStream_tbEUlT_E_NS1_11comp_targetILNS1_3genE8ELNS1_11target_archE1030ELNS1_3gpuE2ELNS1_3repE0EEENS1_52radix_sort_onesweep_histogram_config_static_selectorELNS0_4arch9wavefront6targetE1EEEvSE_.has_recursion, 0
	.set _ZN7rocprim17ROCPRIM_400000_NS6detail17trampoline_kernelINS0_14default_configENS1_35radix_sort_onesweep_config_selectorIdlEEZNS1_34radix_sort_onesweep_global_offsetsIS3_Lb0EPdN6thrust23THRUST_200600_302600_NS10device_ptrIlEEjNS0_19identity_decomposerEEE10hipError_tT1_T2_PT3_SG_jT4_jjP12ihipStream_tbEUlT_E_NS1_11comp_targetILNS1_3genE8ELNS1_11target_archE1030ELNS1_3gpuE2ELNS1_3repE0EEENS1_52radix_sort_onesweep_histogram_config_static_selectorELNS0_4arch9wavefront6targetE1EEEvSE_.has_indirect_call, 0
	.section	.AMDGPU.csdata,"",@progbits
; Kernel info:
; codeLenInByte = 0
; TotalNumSgprs: 4
; NumVgprs: 0
; ScratchSize: 0
; MemoryBound: 0
; FloatMode: 240
; IeeeMode: 1
; LDSByteSize: 0 bytes/workgroup (compile time only)
; SGPRBlocks: 0
; VGPRBlocks: 0
; NumSGPRsForWavesPerEU: 4
; NumVGPRsForWavesPerEU: 1
; Occupancy: 10
; WaveLimiterHint : 0
; COMPUTE_PGM_RSRC2:SCRATCH_EN: 0
; COMPUTE_PGM_RSRC2:USER_SGPR: 6
; COMPUTE_PGM_RSRC2:TRAP_HANDLER: 0
; COMPUTE_PGM_RSRC2:TGID_X_EN: 1
; COMPUTE_PGM_RSRC2:TGID_Y_EN: 0
; COMPUTE_PGM_RSRC2:TGID_Z_EN: 0
; COMPUTE_PGM_RSRC2:TIDIG_COMP_CNT: 0
	.section	.text._ZN7rocprim17ROCPRIM_400000_NS6detail17trampoline_kernelINS0_14default_configENS1_35radix_sort_onesweep_config_selectorIdlEEZNS1_34radix_sort_onesweep_global_offsetsIS3_Lb0EPdN6thrust23THRUST_200600_302600_NS10device_ptrIlEEjNS0_19identity_decomposerEEE10hipError_tT1_T2_PT3_SG_jT4_jjP12ihipStream_tbEUlT_E0_NS1_11comp_targetILNS1_3genE0ELNS1_11target_archE4294967295ELNS1_3gpuE0ELNS1_3repE0EEENS1_52radix_sort_onesweep_histogram_config_static_selectorELNS0_4arch9wavefront6targetE1EEEvSE_,"axG",@progbits,_ZN7rocprim17ROCPRIM_400000_NS6detail17trampoline_kernelINS0_14default_configENS1_35radix_sort_onesweep_config_selectorIdlEEZNS1_34radix_sort_onesweep_global_offsetsIS3_Lb0EPdN6thrust23THRUST_200600_302600_NS10device_ptrIlEEjNS0_19identity_decomposerEEE10hipError_tT1_T2_PT3_SG_jT4_jjP12ihipStream_tbEUlT_E0_NS1_11comp_targetILNS1_3genE0ELNS1_11target_archE4294967295ELNS1_3gpuE0ELNS1_3repE0EEENS1_52radix_sort_onesweep_histogram_config_static_selectorELNS0_4arch9wavefront6targetE1EEEvSE_,comdat
	.protected	_ZN7rocprim17ROCPRIM_400000_NS6detail17trampoline_kernelINS0_14default_configENS1_35radix_sort_onesweep_config_selectorIdlEEZNS1_34radix_sort_onesweep_global_offsetsIS3_Lb0EPdN6thrust23THRUST_200600_302600_NS10device_ptrIlEEjNS0_19identity_decomposerEEE10hipError_tT1_T2_PT3_SG_jT4_jjP12ihipStream_tbEUlT_E0_NS1_11comp_targetILNS1_3genE0ELNS1_11target_archE4294967295ELNS1_3gpuE0ELNS1_3repE0EEENS1_52radix_sort_onesweep_histogram_config_static_selectorELNS0_4arch9wavefront6targetE1EEEvSE_ ; -- Begin function _ZN7rocprim17ROCPRIM_400000_NS6detail17trampoline_kernelINS0_14default_configENS1_35radix_sort_onesweep_config_selectorIdlEEZNS1_34radix_sort_onesweep_global_offsetsIS3_Lb0EPdN6thrust23THRUST_200600_302600_NS10device_ptrIlEEjNS0_19identity_decomposerEEE10hipError_tT1_T2_PT3_SG_jT4_jjP12ihipStream_tbEUlT_E0_NS1_11comp_targetILNS1_3genE0ELNS1_11target_archE4294967295ELNS1_3gpuE0ELNS1_3repE0EEENS1_52radix_sort_onesweep_histogram_config_static_selectorELNS0_4arch9wavefront6targetE1EEEvSE_
	.globl	_ZN7rocprim17ROCPRIM_400000_NS6detail17trampoline_kernelINS0_14default_configENS1_35radix_sort_onesweep_config_selectorIdlEEZNS1_34radix_sort_onesweep_global_offsetsIS3_Lb0EPdN6thrust23THRUST_200600_302600_NS10device_ptrIlEEjNS0_19identity_decomposerEEE10hipError_tT1_T2_PT3_SG_jT4_jjP12ihipStream_tbEUlT_E0_NS1_11comp_targetILNS1_3genE0ELNS1_11target_archE4294967295ELNS1_3gpuE0ELNS1_3repE0EEENS1_52radix_sort_onesweep_histogram_config_static_selectorELNS0_4arch9wavefront6targetE1EEEvSE_
	.p2align	8
	.type	_ZN7rocprim17ROCPRIM_400000_NS6detail17trampoline_kernelINS0_14default_configENS1_35radix_sort_onesweep_config_selectorIdlEEZNS1_34radix_sort_onesweep_global_offsetsIS3_Lb0EPdN6thrust23THRUST_200600_302600_NS10device_ptrIlEEjNS0_19identity_decomposerEEE10hipError_tT1_T2_PT3_SG_jT4_jjP12ihipStream_tbEUlT_E0_NS1_11comp_targetILNS1_3genE0ELNS1_11target_archE4294967295ELNS1_3gpuE0ELNS1_3repE0EEENS1_52radix_sort_onesweep_histogram_config_static_selectorELNS0_4arch9wavefront6targetE1EEEvSE_,@function
_ZN7rocprim17ROCPRIM_400000_NS6detail17trampoline_kernelINS0_14default_configENS1_35radix_sort_onesweep_config_selectorIdlEEZNS1_34radix_sort_onesweep_global_offsetsIS3_Lb0EPdN6thrust23THRUST_200600_302600_NS10device_ptrIlEEjNS0_19identity_decomposerEEE10hipError_tT1_T2_PT3_SG_jT4_jjP12ihipStream_tbEUlT_E0_NS1_11comp_targetILNS1_3genE0ELNS1_11target_archE4294967295ELNS1_3gpuE0ELNS1_3repE0EEENS1_52radix_sort_onesweep_histogram_config_static_selectorELNS0_4arch9wavefront6targetE1EEEvSE_: ; @_ZN7rocprim17ROCPRIM_400000_NS6detail17trampoline_kernelINS0_14default_configENS1_35radix_sort_onesweep_config_selectorIdlEEZNS1_34radix_sort_onesweep_global_offsetsIS3_Lb0EPdN6thrust23THRUST_200600_302600_NS10device_ptrIlEEjNS0_19identity_decomposerEEE10hipError_tT1_T2_PT3_SG_jT4_jjP12ihipStream_tbEUlT_E0_NS1_11comp_targetILNS1_3genE0ELNS1_11target_archE4294967295ELNS1_3gpuE0ELNS1_3repE0EEENS1_52radix_sort_onesweep_histogram_config_static_selectorELNS0_4arch9wavefront6targetE1EEEvSE_
; %bb.0:
	.section	.rodata,"a",@progbits
	.p2align	6, 0x0
	.amdhsa_kernel _ZN7rocprim17ROCPRIM_400000_NS6detail17trampoline_kernelINS0_14default_configENS1_35radix_sort_onesweep_config_selectorIdlEEZNS1_34radix_sort_onesweep_global_offsetsIS3_Lb0EPdN6thrust23THRUST_200600_302600_NS10device_ptrIlEEjNS0_19identity_decomposerEEE10hipError_tT1_T2_PT3_SG_jT4_jjP12ihipStream_tbEUlT_E0_NS1_11comp_targetILNS1_3genE0ELNS1_11target_archE4294967295ELNS1_3gpuE0ELNS1_3repE0EEENS1_52radix_sort_onesweep_histogram_config_static_selectorELNS0_4arch9wavefront6targetE1EEEvSE_
		.amdhsa_group_segment_fixed_size 0
		.amdhsa_private_segment_fixed_size 0
		.amdhsa_kernarg_size 8
		.amdhsa_user_sgpr_count 6
		.amdhsa_user_sgpr_private_segment_buffer 1
		.amdhsa_user_sgpr_dispatch_ptr 0
		.amdhsa_user_sgpr_queue_ptr 0
		.amdhsa_user_sgpr_kernarg_segment_ptr 1
		.amdhsa_user_sgpr_dispatch_id 0
		.amdhsa_user_sgpr_flat_scratch_init 0
		.amdhsa_user_sgpr_private_segment_size 0
		.amdhsa_uses_dynamic_stack 0
		.amdhsa_system_sgpr_private_segment_wavefront_offset 0
		.amdhsa_system_sgpr_workgroup_id_x 1
		.amdhsa_system_sgpr_workgroup_id_y 0
		.amdhsa_system_sgpr_workgroup_id_z 0
		.amdhsa_system_sgpr_workgroup_info 0
		.amdhsa_system_vgpr_workitem_id 0
		.amdhsa_next_free_vgpr 1
		.amdhsa_next_free_sgpr 0
		.amdhsa_reserve_vcc 0
		.amdhsa_reserve_flat_scratch 0
		.amdhsa_float_round_mode_32 0
		.amdhsa_float_round_mode_16_64 0
		.amdhsa_float_denorm_mode_32 3
		.amdhsa_float_denorm_mode_16_64 3
		.amdhsa_dx10_clamp 1
		.amdhsa_ieee_mode 1
		.amdhsa_fp16_overflow 0
		.amdhsa_exception_fp_ieee_invalid_op 0
		.amdhsa_exception_fp_denorm_src 0
		.amdhsa_exception_fp_ieee_div_zero 0
		.amdhsa_exception_fp_ieee_overflow 0
		.amdhsa_exception_fp_ieee_underflow 0
		.amdhsa_exception_fp_ieee_inexact 0
		.amdhsa_exception_int_div_zero 0
	.end_amdhsa_kernel
	.section	.text._ZN7rocprim17ROCPRIM_400000_NS6detail17trampoline_kernelINS0_14default_configENS1_35radix_sort_onesweep_config_selectorIdlEEZNS1_34radix_sort_onesweep_global_offsetsIS3_Lb0EPdN6thrust23THRUST_200600_302600_NS10device_ptrIlEEjNS0_19identity_decomposerEEE10hipError_tT1_T2_PT3_SG_jT4_jjP12ihipStream_tbEUlT_E0_NS1_11comp_targetILNS1_3genE0ELNS1_11target_archE4294967295ELNS1_3gpuE0ELNS1_3repE0EEENS1_52radix_sort_onesweep_histogram_config_static_selectorELNS0_4arch9wavefront6targetE1EEEvSE_,"axG",@progbits,_ZN7rocprim17ROCPRIM_400000_NS6detail17trampoline_kernelINS0_14default_configENS1_35radix_sort_onesweep_config_selectorIdlEEZNS1_34radix_sort_onesweep_global_offsetsIS3_Lb0EPdN6thrust23THRUST_200600_302600_NS10device_ptrIlEEjNS0_19identity_decomposerEEE10hipError_tT1_T2_PT3_SG_jT4_jjP12ihipStream_tbEUlT_E0_NS1_11comp_targetILNS1_3genE0ELNS1_11target_archE4294967295ELNS1_3gpuE0ELNS1_3repE0EEENS1_52radix_sort_onesweep_histogram_config_static_selectorELNS0_4arch9wavefront6targetE1EEEvSE_,comdat
.Lfunc_end1607:
	.size	_ZN7rocprim17ROCPRIM_400000_NS6detail17trampoline_kernelINS0_14default_configENS1_35radix_sort_onesweep_config_selectorIdlEEZNS1_34radix_sort_onesweep_global_offsetsIS3_Lb0EPdN6thrust23THRUST_200600_302600_NS10device_ptrIlEEjNS0_19identity_decomposerEEE10hipError_tT1_T2_PT3_SG_jT4_jjP12ihipStream_tbEUlT_E0_NS1_11comp_targetILNS1_3genE0ELNS1_11target_archE4294967295ELNS1_3gpuE0ELNS1_3repE0EEENS1_52radix_sort_onesweep_histogram_config_static_selectorELNS0_4arch9wavefront6targetE1EEEvSE_, .Lfunc_end1607-_ZN7rocprim17ROCPRIM_400000_NS6detail17trampoline_kernelINS0_14default_configENS1_35radix_sort_onesweep_config_selectorIdlEEZNS1_34radix_sort_onesweep_global_offsetsIS3_Lb0EPdN6thrust23THRUST_200600_302600_NS10device_ptrIlEEjNS0_19identity_decomposerEEE10hipError_tT1_T2_PT3_SG_jT4_jjP12ihipStream_tbEUlT_E0_NS1_11comp_targetILNS1_3genE0ELNS1_11target_archE4294967295ELNS1_3gpuE0ELNS1_3repE0EEENS1_52radix_sort_onesweep_histogram_config_static_selectorELNS0_4arch9wavefront6targetE1EEEvSE_
                                        ; -- End function
	.set _ZN7rocprim17ROCPRIM_400000_NS6detail17trampoline_kernelINS0_14default_configENS1_35radix_sort_onesweep_config_selectorIdlEEZNS1_34radix_sort_onesweep_global_offsetsIS3_Lb0EPdN6thrust23THRUST_200600_302600_NS10device_ptrIlEEjNS0_19identity_decomposerEEE10hipError_tT1_T2_PT3_SG_jT4_jjP12ihipStream_tbEUlT_E0_NS1_11comp_targetILNS1_3genE0ELNS1_11target_archE4294967295ELNS1_3gpuE0ELNS1_3repE0EEENS1_52radix_sort_onesweep_histogram_config_static_selectorELNS0_4arch9wavefront6targetE1EEEvSE_.num_vgpr, 0
	.set _ZN7rocprim17ROCPRIM_400000_NS6detail17trampoline_kernelINS0_14default_configENS1_35radix_sort_onesweep_config_selectorIdlEEZNS1_34radix_sort_onesweep_global_offsetsIS3_Lb0EPdN6thrust23THRUST_200600_302600_NS10device_ptrIlEEjNS0_19identity_decomposerEEE10hipError_tT1_T2_PT3_SG_jT4_jjP12ihipStream_tbEUlT_E0_NS1_11comp_targetILNS1_3genE0ELNS1_11target_archE4294967295ELNS1_3gpuE0ELNS1_3repE0EEENS1_52radix_sort_onesweep_histogram_config_static_selectorELNS0_4arch9wavefront6targetE1EEEvSE_.num_agpr, 0
	.set _ZN7rocprim17ROCPRIM_400000_NS6detail17trampoline_kernelINS0_14default_configENS1_35radix_sort_onesweep_config_selectorIdlEEZNS1_34radix_sort_onesweep_global_offsetsIS3_Lb0EPdN6thrust23THRUST_200600_302600_NS10device_ptrIlEEjNS0_19identity_decomposerEEE10hipError_tT1_T2_PT3_SG_jT4_jjP12ihipStream_tbEUlT_E0_NS1_11comp_targetILNS1_3genE0ELNS1_11target_archE4294967295ELNS1_3gpuE0ELNS1_3repE0EEENS1_52radix_sort_onesweep_histogram_config_static_selectorELNS0_4arch9wavefront6targetE1EEEvSE_.numbered_sgpr, 0
	.set _ZN7rocprim17ROCPRIM_400000_NS6detail17trampoline_kernelINS0_14default_configENS1_35radix_sort_onesweep_config_selectorIdlEEZNS1_34radix_sort_onesweep_global_offsetsIS3_Lb0EPdN6thrust23THRUST_200600_302600_NS10device_ptrIlEEjNS0_19identity_decomposerEEE10hipError_tT1_T2_PT3_SG_jT4_jjP12ihipStream_tbEUlT_E0_NS1_11comp_targetILNS1_3genE0ELNS1_11target_archE4294967295ELNS1_3gpuE0ELNS1_3repE0EEENS1_52radix_sort_onesweep_histogram_config_static_selectorELNS0_4arch9wavefront6targetE1EEEvSE_.num_named_barrier, 0
	.set _ZN7rocprim17ROCPRIM_400000_NS6detail17trampoline_kernelINS0_14default_configENS1_35radix_sort_onesweep_config_selectorIdlEEZNS1_34radix_sort_onesweep_global_offsetsIS3_Lb0EPdN6thrust23THRUST_200600_302600_NS10device_ptrIlEEjNS0_19identity_decomposerEEE10hipError_tT1_T2_PT3_SG_jT4_jjP12ihipStream_tbEUlT_E0_NS1_11comp_targetILNS1_3genE0ELNS1_11target_archE4294967295ELNS1_3gpuE0ELNS1_3repE0EEENS1_52radix_sort_onesweep_histogram_config_static_selectorELNS0_4arch9wavefront6targetE1EEEvSE_.private_seg_size, 0
	.set _ZN7rocprim17ROCPRIM_400000_NS6detail17trampoline_kernelINS0_14default_configENS1_35radix_sort_onesweep_config_selectorIdlEEZNS1_34radix_sort_onesweep_global_offsetsIS3_Lb0EPdN6thrust23THRUST_200600_302600_NS10device_ptrIlEEjNS0_19identity_decomposerEEE10hipError_tT1_T2_PT3_SG_jT4_jjP12ihipStream_tbEUlT_E0_NS1_11comp_targetILNS1_3genE0ELNS1_11target_archE4294967295ELNS1_3gpuE0ELNS1_3repE0EEENS1_52radix_sort_onesweep_histogram_config_static_selectorELNS0_4arch9wavefront6targetE1EEEvSE_.uses_vcc, 0
	.set _ZN7rocprim17ROCPRIM_400000_NS6detail17trampoline_kernelINS0_14default_configENS1_35radix_sort_onesweep_config_selectorIdlEEZNS1_34radix_sort_onesweep_global_offsetsIS3_Lb0EPdN6thrust23THRUST_200600_302600_NS10device_ptrIlEEjNS0_19identity_decomposerEEE10hipError_tT1_T2_PT3_SG_jT4_jjP12ihipStream_tbEUlT_E0_NS1_11comp_targetILNS1_3genE0ELNS1_11target_archE4294967295ELNS1_3gpuE0ELNS1_3repE0EEENS1_52radix_sort_onesweep_histogram_config_static_selectorELNS0_4arch9wavefront6targetE1EEEvSE_.uses_flat_scratch, 0
	.set _ZN7rocprim17ROCPRIM_400000_NS6detail17trampoline_kernelINS0_14default_configENS1_35radix_sort_onesweep_config_selectorIdlEEZNS1_34radix_sort_onesweep_global_offsetsIS3_Lb0EPdN6thrust23THRUST_200600_302600_NS10device_ptrIlEEjNS0_19identity_decomposerEEE10hipError_tT1_T2_PT3_SG_jT4_jjP12ihipStream_tbEUlT_E0_NS1_11comp_targetILNS1_3genE0ELNS1_11target_archE4294967295ELNS1_3gpuE0ELNS1_3repE0EEENS1_52radix_sort_onesweep_histogram_config_static_selectorELNS0_4arch9wavefront6targetE1EEEvSE_.has_dyn_sized_stack, 0
	.set _ZN7rocprim17ROCPRIM_400000_NS6detail17trampoline_kernelINS0_14default_configENS1_35radix_sort_onesweep_config_selectorIdlEEZNS1_34radix_sort_onesweep_global_offsetsIS3_Lb0EPdN6thrust23THRUST_200600_302600_NS10device_ptrIlEEjNS0_19identity_decomposerEEE10hipError_tT1_T2_PT3_SG_jT4_jjP12ihipStream_tbEUlT_E0_NS1_11comp_targetILNS1_3genE0ELNS1_11target_archE4294967295ELNS1_3gpuE0ELNS1_3repE0EEENS1_52radix_sort_onesweep_histogram_config_static_selectorELNS0_4arch9wavefront6targetE1EEEvSE_.has_recursion, 0
	.set _ZN7rocprim17ROCPRIM_400000_NS6detail17trampoline_kernelINS0_14default_configENS1_35radix_sort_onesweep_config_selectorIdlEEZNS1_34radix_sort_onesweep_global_offsetsIS3_Lb0EPdN6thrust23THRUST_200600_302600_NS10device_ptrIlEEjNS0_19identity_decomposerEEE10hipError_tT1_T2_PT3_SG_jT4_jjP12ihipStream_tbEUlT_E0_NS1_11comp_targetILNS1_3genE0ELNS1_11target_archE4294967295ELNS1_3gpuE0ELNS1_3repE0EEENS1_52radix_sort_onesweep_histogram_config_static_selectorELNS0_4arch9wavefront6targetE1EEEvSE_.has_indirect_call, 0
	.section	.AMDGPU.csdata,"",@progbits
; Kernel info:
; codeLenInByte = 0
; TotalNumSgprs: 4
; NumVgprs: 0
; ScratchSize: 0
; MemoryBound: 0
; FloatMode: 240
; IeeeMode: 1
; LDSByteSize: 0 bytes/workgroup (compile time only)
; SGPRBlocks: 0
; VGPRBlocks: 0
; NumSGPRsForWavesPerEU: 4
; NumVGPRsForWavesPerEU: 1
; Occupancy: 10
; WaveLimiterHint : 0
; COMPUTE_PGM_RSRC2:SCRATCH_EN: 0
; COMPUTE_PGM_RSRC2:USER_SGPR: 6
; COMPUTE_PGM_RSRC2:TRAP_HANDLER: 0
; COMPUTE_PGM_RSRC2:TGID_X_EN: 1
; COMPUTE_PGM_RSRC2:TGID_Y_EN: 0
; COMPUTE_PGM_RSRC2:TGID_Z_EN: 0
; COMPUTE_PGM_RSRC2:TIDIG_COMP_CNT: 0
	.section	.text._ZN7rocprim17ROCPRIM_400000_NS6detail17trampoline_kernelINS0_14default_configENS1_35radix_sort_onesweep_config_selectorIdlEEZNS1_34radix_sort_onesweep_global_offsetsIS3_Lb0EPdN6thrust23THRUST_200600_302600_NS10device_ptrIlEEjNS0_19identity_decomposerEEE10hipError_tT1_T2_PT3_SG_jT4_jjP12ihipStream_tbEUlT_E0_NS1_11comp_targetILNS1_3genE6ELNS1_11target_archE950ELNS1_3gpuE13ELNS1_3repE0EEENS1_52radix_sort_onesweep_histogram_config_static_selectorELNS0_4arch9wavefront6targetE1EEEvSE_,"axG",@progbits,_ZN7rocprim17ROCPRIM_400000_NS6detail17trampoline_kernelINS0_14default_configENS1_35radix_sort_onesweep_config_selectorIdlEEZNS1_34radix_sort_onesweep_global_offsetsIS3_Lb0EPdN6thrust23THRUST_200600_302600_NS10device_ptrIlEEjNS0_19identity_decomposerEEE10hipError_tT1_T2_PT3_SG_jT4_jjP12ihipStream_tbEUlT_E0_NS1_11comp_targetILNS1_3genE6ELNS1_11target_archE950ELNS1_3gpuE13ELNS1_3repE0EEENS1_52radix_sort_onesweep_histogram_config_static_selectorELNS0_4arch9wavefront6targetE1EEEvSE_,comdat
	.protected	_ZN7rocprim17ROCPRIM_400000_NS6detail17trampoline_kernelINS0_14default_configENS1_35radix_sort_onesweep_config_selectorIdlEEZNS1_34radix_sort_onesweep_global_offsetsIS3_Lb0EPdN6thrust23THRUST_200600_302600_NS10device_ptrIlEEjNS0_19identity_decomposerEEE10hipError_tT1_T2_PT3_SG_jT4_jjP12ihipStream_tbEUlT_E0_NS1_11comp_targetILNS1_3genE6ELNS1_11target_archE950ELNS1_3gpuE13ELNS1_3repE0EEENS1_52radix_sort_onesweep_histogram_config_static_selectorELNS0_4arch9wavefront6targetE1EEEvSE_ ; -- Begin function _ZN7rocprim17ROCPRIM_400000_NS6detail17trampoline_kernelINS0_14default_configENS1_35radix_sort_onesweep_config_selectorIdlEEZNS1_34radix_sort_onesweep_global_offsetsIS3_Lb0EPdN6thrust23THRUST_200600_302600_NS10device_ptrIlEEjNS0_19identity_decomposerEEE10hipError_tT1_T2_PT3_SG_jT4_jjP12ihipStream_tbEUlT_E0_NS1_11comp_targetILNS1_3genE6ELNS1_11target_archE950ELNS1_3gpuE13ELNS1_3repE0EEENS1_52radix_sort_onesweep_histogram_config_static_selectorELNS0_4arch9wavefront6targetE1EEEvSE_
	.globl	_ZN7rocprim17ROCPRIM_400000_NS6detail17trampoline_kernelINS0_14default_configENS1_35radix_sort_onesweep_config_selectorIdlEEZNS1_34radix_sort_onesweep_global_offsetsIS3_Lb0EPdN6thrust23THRUST_200600_302600_NS10device_ptrIlEEjNS0_19identity_decomposerEEE10hipError_tT1_T2_PT3_SG_jT4_jjP12ihipStream_tbEUlT_E0_NS1_11comp_targetILNS1_3genE6ELNS1_11target_archE950ELNS1_3gpuE13ELNS1_3repE0EEENS1_52radix_sort_onesweep_histogram_config_static_selectorELNS0_4arch9wavefront6targetE1EEEvSE_
	.p2align	8
	.type	_ZN7rocprim17ROCPRIM_400000_NS6detail17trampoline_kernelINS0_14default_configENS1_35radix_sort_onesweep_config_selectorIdlEEZNS1_34radix_sort_onesweep_global_offsetsIS3_Lb0EPdN6thrust23THRUST_200600_302600_NS10device_ptrIlEEjNS0_19identity_decomposerEEE10hipError_tT1_T2_PT3_SG_jT4_jjP12ihipStream_tbEUlT_E0_NS1_11comp_targetILNS1_3genE6ELNS1_11target_archE950ELNS1_3gpuE13ELNS1_3repE0EEENS1_52radix_sort_onesweep_histogram_config_static_selectorELNS0_4arch9wavefront6targetE1EEEvSE_,@function
_ZN7rocprim17ROCPRIM_400000_NS6detail17trampoline_kernelINS0_14default_configENS1_35radix_sort_onesweep_config_selectorIdlEEZNS1_34radix_sort_onesweep_global_offsetsIS3_Lb0EPdN6thrust23THRUST_200600_302600_NS10device_ptrIlEEjNS0_19identity_decomposerEEE10hipError_tT1_T2_PT3_SG_jT4_jjP12ihipStream_tbEUlT_E0_NS1_11comp_targetILNS1_3genE6ELNS1_11target_archE950ELNS1_3gpuE13ELNS1_3repE0EEENS1_52radix_sort_onesweep_histogram_config_static_selectorELNS0_4arch9wavefront6targetE1EEEvSE_: ; @_ZN7rocprim17ROCPRIM_400000_NS6detail17trampoline_kernelINS0_14default_configENS1_35radix_sort_onesweep_config_selectorIdlEEZNS1_34radix_sort_onesweep_global_offsetsIS3_Lb0EPdN6thrust23THRUST_200600_302600_NS10device_ptrIlEEjNS0_19identity_decomposerEEE10hipError_tT1_T2_PT3_SG_jT4_jjP12ihipStream_tbEUlT_E0_NS1_11comp_targetILNS1_3genE6ELNS1_11target_archE950ELNS1_3gpuE13ELNS1_3repE0EEENS1_52radix_sort_onesweep_histogram_config_static_selectorELNS0_4arch9wavefront6targetE1EEEvSE_
; %bb.0:
	.section	.rodata,"a",@progbits
	.p2align	6, 0x0
	.amdhsa_kernel _ZN7rocprim17ROCPRIM_400000_NS6detail17trampoline_kernelINS0_14default_configENS1_35radix_sort_onesweep_config_selectorIdlEEZNS1_34radix_sort_onesweep_global_offsetsIS3_Lb0EPdN6thrust23THRUST_200600_302600_NS10device_ptrIlEEjNS0_19identity_decomposerEEE10hipError_tT1_T2_PT3_SG_jT4_jjP12ihipStream_tbEUlT_E0_NS1_11comp_targetILNS1_3genE6ELNS1_11target_archE950ELNS1_3gpuE13ELNS1_3repE0EEENS1_52radix_sort_onesweep_histogram_config_static_selectorELNS0_4arch9wavefront6targetE1EEEvSE_
		.amdhsa_group_segment_fixed_size 0
		.amdhsa_private_segment_fixed_size 0
		.amdhsa_kernarg_size 8
		.amdhsa_user_sgpr_count 6
		.amdhsa_user_sgpr_private_segment_buffer 1
		.amdhsa_user_sgpr_dispatch_ptr 0
		.amdhsa_user_sgpr_queue_ptr 0
		.amdhsa_user_sgpr_kernarg_segment_ptr 1
		.amdhsa_user_sgpr_dispatch_id 0
		.amdhsa_user_sgpr_flat_scratch_init 0
		.amdhsa_user_sgpr_private_segment_size 0
		.amdhsa_uses_dynamic_stack 0
		.amdhsa_system_sgpr_private_segment_wavefront_offset 0
		.amdhsa_system_sgpr_workgroup_id_x 1
		.amdhsa_system_sgpr_workgroup_id_y 0
		.amdhsa_system_sgpr_workgroup_id_z 0
		.amdhsa_system_sgpr_workgroup_info 0
		.amdhsa_system_vgpr_workitem_id 0
		.amdhsa_next_free_vgpr 1
		.amdhsa_next_free_sgpr 0
		.amdhsa_reserve_vcc 0
		.amdhsa_reserve_flat_scratch 0
		.amdhsa_float_round_mode_32 0
		.amdhsa_float_round_mode_16_64 0
		.amdhsa_float_denorm_mode_32 3
		.amdhsa_float_denorm_mode_16_64 3
		.amdhsa_dx10_clamp 1
		.amdhsa_ieee_mode 1
		.amdhsa_fp16_overflow 0
		.amdhsa_exception_fp_ieee_invalid_op 0
		.amdhsa_exception_fp_denorm_src 0
		.amdhsa_exception_fp_ieee_div_zero 0
		.amdhsa_exception_fp_ieee_overflow 0
		.amdhsa_exception_fp_ieee_underflow 0
		.amdhsa_exception_fp_ieee_inexact 0
		.amdhsa_exception_int_div_zero 0
	.end_amdhsa_kernel
	.section	.text._ZN7rocprim17ROCPRIM_400000_NS6detail17trampoline_kernelINS0_14default_configENS1_35radix_sort_onesweep_config_selectorIdlEEZNS1_34radix_sort_onesweep_global_offsetsIS3_Lb0EPdN6thrust23THRUST_200600_302600_NS10device_ptrIlEEjNS0_19identity_decomposerEEE10hipError_tT1_T2_PT3_SG_jT4_jjP12ihipStream_tbEUlT_E0_NS1_11comp_targetILNS1_3genE6ELNS1_11target_archE950ELNS1_3gpuE13ELNS1_3repE0EEENS1_52radix_sort_onesweep_histogram_config_static_selectorELNS0_4arch9wavefront6targetE1EEEvSE_,"axG",@progbits,_ZN7rocprim17ROCPRIM_400000_NS6detail17trampoline_kernelINS0_14default_configENS1_35radix_sort_onesweep_config_selectorIdlEEZNS1_34radix_sort_onesweep_global_offsetsIS3_Lb0EPdN6thrust23THRUST_200600_302600_NS10device_ptrIlEEjNS0_19identity_decomposerEEE10hipError_tT1_T2_PT3_SG_jT4_jjP12ihipStream_tbEUlT_E0_NS1_11comp_targetILNS1_3genE6ELNS1_11target_archE950ELNS1_3gpuE13ELNS1_3repE0EEENS1_52radix_sort_onesweep_histogram_config_static_selectorELNS0_4arch9wavefront6targetE1EEEvSE_,comdat
.Lfunc_end1608:
	.size	_ZN7rocprim17ROCPRIM_400000_NS6detail17trampoline_kernelINS0_14default_configENS1_35radix_sort_onesweep_config_selectorIdlEEZNS1_34radix_sort_onesweep_global_offsetsIS3_Lb0EPdN6thrust23THRUST_200600_302600_NS10device_ptrIlEEjNS0_19identity_decomposerEEE10hipError_tT1_T2_PT3_SG_jT4_jjP12ihipStream_tbEUlT_E0_NS1_11comp_targetILNS1_3genE6ELNS1_11target_archE950ELNS1_3gpuE13ELNS1_3repE0EEENS1_52radix_sort_onesweep_histogram_config_static_selectorELNS0_4arch9wavefront6targetE1EEEvSE_, .Lfunc_end1608-_ZN7rocprim17ROCPRIM_400000_NS6detail17trampoline_kernelINS0_14default_configENS1_35radix_sort_onesweep_config_selectorIdlEEZNS1_34radix_sort_onesweep_global_offsetsIS3_Lb0EPdN6thrust23THRUST_200600_302600_NS10device_ptrIlEEjNS0_19identity_decomposerEEE10hipError_tT1_T2_PT3_SG_jT4_jjP12ihipStream_tbEUlT_E0_NS1_11comp_targetILNS1_3genE6ELNS1_11target_archE950ELNS1_3gpuE13ELNS1_3repE0EEENS1_52radix_sort_onesweep_histogram_config_static_selectorELNS0_4arch9wavefront6targetE1EEEvSE_
                                        ; -- End function
	.set _ZN7rocprim17ROCPRIM_400000_NS6detail17trampoline_kernelINS0_14default_configENS1_35radix_sort_onesweep_config_selectorIdlEEZNS1_34radix_sort_onesweep_global_offsetsIS3_Lb0EPdN6thrust23THRUST_200600_302600_NS10device_ptrIlEEjNS0_19identity_decomposerEEE10hipError_tT1_T2_PT3_SG_jT4_jjP12ihipStream_tbEUlT_E0_NS1_11comp_targetILNS1_3genE6ELNS1_11target_archE950ELNS1_3gpuE13ELNS1_3repE0EEENS1_52radix_sort_onesweep_histogram_config_static_selectorELNS0_4arch9wavefront6targetE1EEEvSE_.num_vgpr, 0
	.set _ZN7rocprim17ROCPRIM_400000_NS6detail17trampoline_kernelINS0_14default_configENS1_35radix_sort_onesweep_config_selectorIdlEEZNS1_34radix_sort_onesweep_global_offsetsIS3_Lb0EPdN6thrust23THRUST_200600_302600_NS10device_ptrIlEEjNS0_19identity_decomposerEEE10hipError_tT1_T2_PT3_SG_jT4_jjP12ihipStream_tbEUlT_E0_NS1_11comp_targetILNS1_3genE6ELNS1_11target_archE950ELNS1_3gpuE13ELNS1_3repE0EEENS1_52radix_sort_onesweep_histogram_config_static_selectorELNS0_4arch9wavefront6targetE1EEEvSE_.num_agpr, 0
	.set _ZN7rocprim17ROCPRIM_400000_NS6detail17trampoline_kernelINS0_14default_configENS1_35radix_sort_onesweep_config_selectorIdlEEZNS1_34radix_sort_onesweep_global_offsetsIS3_Lb0EPdN6thrust23THRUST_200600_302600_NS10device_ptrIlEEjNS0_19identity_decomposerEEE10hipError_tT1_T2_PT3_SG_jT4_jjP12ihipStream_tbEUlT_E0_NS1_11comp_targetILNS1_3genE6ELNS1_11target_archE950ELNS1_3gpuE13ELNS1_3repE0EEENS1_52radix_sort_onesweep_histogram_config_static_selectorELNS0_4arch9wavefront6targetE1EEEvSE_.numbered_sgpr, 0
	.set _ZN7rocprim17ROCPRIM_400000_NS6detail17trampoline_kernelINS0_14default_configENS1_35radix_sort_onesweep_config_selectorIdlEEZNS1_34radix_sort_onesweep_global_offsetsIS3_Lb0EPdN6thrust23THRUST_200600_302600_NS10device_ptrIlEEjNS0_19identity_decomposerEEE10hipError_tT1_T2_PT3_SG_jT4_jjP12ihipStream_tbEUlT_E0_NS1_11comp_targetILNS1_3genE6ELNS1_11target_archE950ELNS1_3gpuE13ELNS1_3repE0EEENS1_52radix_sort_onesweep_histogram_config_static_selectorELNS0_4arch9wavefront6targetE1EEEvSE_.num_named_barrier, 0
	.set _ZN7rocprim17ROCPRIM_400000_NS6detail17trampoline_kernelINS0_14default_configENS1_35radix_sort_onesweep_config_selectorIdlEEZNS1_34radix_sort_onesweep_global_offsetsIS3_Lb0EPdN6thrust23THRUST_200600_302600_NS10device_ptrIlEEjNS0_19identity_decomposerEEE10hipError_tT1_T2_PT3_SG_jT4_jjP12ihipStream_tbEUlT_E0_NS1_11comp_targetILNS1_3genE6ELNS1_11target_archE950ELNS1_3gpuE13ELNS1_3repE0EEENS1_52radix_sort_onesweep_histogram_config_static_selectorELNS0_4arch9wavefront6targetE1EEEvSE_.private_seg_size, 0
	.set _ZN7rocprim17ROCPRIM_400000_NS6detail17trampoline_kernelINS0_14default_configENS1_35radix_sort_onesweep_config_selectorIdlEEZNS1_34radix_sort_onesweep_global_offsetsIS3_Lb0EPdN6thrust23THRUST_200600_302600_NS10device_ptrIlEEjNS0_19identity_decomposerEEE10hipError_tT1_T2_PT3_SG_jT4_jjP12ihipStream_tbEUlT_E0_NS1_11comp_targetILNS1_3genE6ELNS1_11target_archE950ELNS1_3gpuE13ELNS1_3repE0EEENS1_52radix_sort_onesweep_histogram_config_static_selectorELNS0_4arch9wavefront6targetE1EEEvSE_.uses_vcc, 0
	.set _ZN7rocprim17ROCPRIM_400000_NS6detail17trampoline_kernelINS0_14default_configENS1_35radix_sort_onesweep_config_selectorIdlEEZNS1_34radix_sort_onesweep_global_offsetsIS3_Lb0EPdN6thrust23THRUST_200600_302600_NS10device_ptrIlEEjNS0_19identity_decomposerEEE10hipError_tT1_T2_PT3_SG_jT4_jjP12ihipStream_tbEUlT_E0_NS1_11comp_targetILNS1_3genE6ELNS1_11target_archE950ELNS1_3gpuE13ELNS1_3repE0EEENS1_52radix_sort_onesweep_histogram_config_static_selectorELNS0_4arch9wavefront6targetE1EEEvSE_.uses_flat_scratch, 0
	.set _ZN7rocprim17ROCPRIM_400000_NS6detail17trampoline_kernelINS0_14default_configENS1_35radix_sort_onesweep_config_selectorIdlEEZNS1_34radix_sort_onesweep_global_offsetsIS3_Lb0EPdN6thrust23THRUST_200600_302600_NS10device_ptrIlEEjNS0_19identity_decomposerEEE10hipError_tT1_T2_PT3_SG_jT4_jjP12ihipStream_tbEUlT_E0_NS1_11comp_targetILNS1_3genE6ELNS1_11target_archE950ELNS1_3gpuE13ELNS1_3repE0EEENS1_52radix_sort_onesweep_histogram_config_static_selectorELNS0_4arch9wavefront6targetE1EEEvSE_.has_dyn_sized_stack, 0
	.set _ZN7rocprim17ROCPRIM_400000_NS6detail17trampoline_kernelINS0_14default_configENS1_35radix_sort_onesweep_config_selectorIdlEEZNS1_34radix_sort_onesweep_global_offsetsIS3_Lb0EPdN6thrust23THRUST_200600_302600_NS10device_ptrIlEEjNS0_19identity_decomposerEEE10hipError_tT1_T2_PT3_SG_jT4_jjP12ihipStream_tbEUlT_E0_NS1_11comp_targetILNS1_3genE6ELNS1_11target_archE950ELNS1_3gpuE13ELNS1_3repE0EEENS1_52radix_sort_onesweep_histogram_config_static_selectorELNS0_4arch9wavefront6targetE1EEEvSE_.has_recursion, 0
	.set _ZN7rocprim17ROCPRIM_400000_NS6detail17trampoline_kernelINS0_14default_configENS1_35radix_sort_onesweep_config_selectorIdlEEZNS1_34radix_sort_onesweep_global_offsetsIS3_Lb0EPdN6thrust23THRUST_200600_302600_NS10device_ptrIlEEjNS0_19identity_decomposerEEE10hipError_tT1_T2_PT3_SG_jT4_jjP12ihipStream_tbEUlT_E0_NS1_11comp_targetILNS1_3genE6ELNS1_11target_archE950ELNS1_3gpuE13ELNS1_3repE0EEENS1_52radix_sort_onesweep_histogram_config_static_selectorELNS0_4arch9wavefront6targetE1EEEvSE_.has_indirect_call, 0
	.section	.AMDGPU.csdata,"",@progbits
; Kernel info:
; codeLenInByte = 0
; TotalNumSgprs: 4
; NumVgprs: 0
; ScratchSize: 0
; MemoryBound: 0
; FloatMode: 240
; IeeeMode: 1
; LDSByteSize: 0 bytes/workgroup (compile time only)
; SGPRBlocks: 0
; VGPRBlocks: 0
; NumSGPRsForWavesPerEU: 4
; NumVGPRsForWavesPerEU: 1
; Occupancy: 10
; WaveLimiterHint : 0
; COMPUTE_PGM_RSRC2:SCRATCH_EN: 0
; COMPUTE_PGM_RSRC2:USER_SGPR: 6
; COMPUTE_PGM_RSRC2:TRAP_HANDLER: 0
; COMPUTE_PGM_RSRC2:TGID_X_EN: 1
; COMPUTE_PGM_RSRC2:TGID_Y_EN: 0
; COMPUTE_PGM_RSRC2:TGID_Z_EN: 0
; COMPUTE_PGM_RSRC2:TIDIG_COMP_CNT: 0
	.section	.text._ZN7rocprim17ROCPRIM_400000_NS6detail17trampoline_kernelINS0_14default_configENS1_35radix_sort_onesweep_config_selectorIdlEEZNS1_34radix_sort_onesweep_global_offsetsIS3_Lb0EPdN6thrust23THRUST_200600_302600_NS10device_ptrIlEEjNS0_19identity_decomposerEEE10hipError_tT1_T2_PT3_SG_jT4_jjP12ihipStream_tbEUlT_E0_NS1_11comp_targetILNS1_3genE5ELNS1_11target_archE942ELNS1_3gpuE9ELNS1_3repE0EEENS1_52radix_sort_onesweep_histogram_config_static_selectorELNS0_4arch9wavefront6targetE1EEEvSE_,"axG",@progbits,_ZN7rocprim17ROCPRIM_400000_NS6detail17trampoline_kernelINS0_14default_configENS1_35radix_sort_onesweep_config_selectorIdlEEZNS1_34radix_sort_onesweep_global_offsetsIS3_Lb0EPdN6thrust23THRUST_200600_302600_NS10device_ptrIlEEjNS0_19identity_decomposerEEE10hipError_tT1_T2_PT3_SG_jT4_jjP12ihipStream_tbEUlT_E0_NS1_11comp_targetILNS1_3genE5ELNS1_11target_archE942ELNS1_3gpuE9ELNS1_3repE0EEENS1_52radix_sort_onesweep_histogram_config_static_selectorELNS0_4arch9wavefront6targetE1EEEvSE_,comdat
	.protected	_ZN7rocprim17ROCPRIM_400000_NS6detail17trampoline_kernelINS0_14default_configENS1_35radix_sort_onesweep_config_selectorIdlEEZNS1_34radix_sort_onesweep_global_offsetsIS3_Lb0EPdN6thrust23THRUST_200600_302600_NS10device_ptrIlEEjNS0_19identity_decomposerEEE10hipError_tT1_T2_PT3_SG_jT4_jjP12ihipStream_tbEUlT_E0_NS1_11comp_targetILNS1_3genE5ELNS1_11target_archE942ELNS1_3gpuE9ELNS1_3repE0EEENS1_52radix_sort_onesweep_histogram_config_static_selectorELNS0_4arch9wavefront6targetE1EEEvSE_ ; -- Begin function _ZN7rocprim17ROCPRIM_400000_NS6detail17trampoline_kernelINS0_14default_configENS1_35radix_sort_onesweep_config_selectorIdlEEZNS1_34radix_sort_onesweep_global_offsetsIS3_Lb0EPdN6thrust23THRUST_200600_302600_NS10device_ptrIlEEjNS0_19identity_decomposerEEE10hipError_tT1_T2_PT3_SG_jT4_jjP12ihipStream_tbEUlT_E0_NS1_11comp_targetILNS1_3genE5ELNS1_11target_archE942ELNS1_3gpuE9ELNS1_3repE0EEENS1_52radix_sort_onesweep_histogram_config_static_selectorELNS0_4arch9wavefront6targetE1EEEvSE_
	.globl	_ZN7rocprim17ROCPRIM_400000_NS6detail17trampoline_kernelINS0_14default_configENS1_35radix_sort_onesweep_config_selectorIdlEEZNS1_34radix_sort_onesweep_global_offsetsIS3_Lb0EPdN6thrust23THRUST_200600_302600_NS10device_ptrIlEEjNS0_19identity_decomposerEEE10hipError_tT1_T2_PT3_SG_jT4_jjP12ihipStream_tbEUlT_E0_NS1_11comp_targetILNS1_3genE5ELNS1_11target_archE942ELNS1_3gpuE9ELNS1_3repE0EEENS1_52radix_sort_onesweep_histogram_config_static_selectorELNS0_4arch9wavefront6targetE1EEEvSE_
	.p2align	8
	.type	_ZN7rocprim17ROCPRIM_400000_NS6detail17trampoline_kernelINS0_14default_configENS1_35radix_sort_onesweep_config_selectorIdlEEZNS1_34radix_sort_onesweep_global_offsetsIS3_Lb0EPdN6thrust23THRUST_200600_302600_NS10device_ptrIlEEjNS0_19identity_decomposerEEE10hipError_tT1_T2_PT3_SG_jT4_jjP12ihipStream_tbEUlT_E0_NS1_11comp_targetILNS1_3genE5ELNS1_11target_archE942ELNS1_3gpuE9ELNS1_3repE0EEENS1_52radix_sort_onesweep_histogram_config_static_selectorELNS0_4arch9wavefront6targetE1EEEvSE_,@function
_ZN7rocprim17ROCPRIM_400000_NS6detail17trampoline_kernelINS0_14default_configENS1_35radix_sort_onesweep_config_selectorIdlEEZNS1_34radix_sort_onesweep_global_offsetsIS3_Lb0EPdN6thrust23THRUST_200600_302600_NS10device_ptrIlEEjNS0_19identity_decomposerEEE10hipError_tT1_T2_PT3_SG_jT4_jjP12ihipStream_tbEUlT_E0_NS1_11comp_targetILNS1_3genE5ELNS1_11target_archE942ELNS1_3gpuE9ELNS1_3repE0EEENS1_52radix_sort_onesweep_histogram_config_static_selectorELNS0_4arch9wavefront6targetE1EEEvSE_: ; @_ZN7rocprim17ROCPRIM_400000_NS6detail17trampoline_kernelINS0_14default_configENS1_35radix_sort_onesweep_config_selectorIdlEEZNS1_34radix_sort_onesweep_global_offsetsIS3_Lb0EPdN6thrust23THRUST_200600_302600_NS10device_ptrIlEEjNS0_19identity_decomposerEEE10hipError_tT1_T2_PT3_SG_jT4_jjP12ihipStream_tbEUlT_E0_NS1_11comp_targetILNS1_3genE5ELNS1_11target_archE942ELNS1_3gpuE9ELNS1_3repE0EEENS1_52radix_sort_onesweep_histogram_config_static_selectorELNS0_4arch9wavefront6targetE1EEEvSE_
; %bb.0:
	.section	.rodata,"a",@progbits
	.p2align	6, 0x0
	.amdhsa_kernel _ZN7rocprim17ROCPRIM_400000_NS6detail17trampoline_kernelINS0_14default_configENS1_35radix_sort_onesweep_config_selectorIdlEEZNS1_34radix_sort_onesweep_global_offsetsIS3_Lb0EPdN6thrust23THRUST_200600_302600_NS10device_ptrIlEEjNS0_19identity_decomposerEEE10hipError_tT1_T2_PT3_SG_jT4_jjP12ihipStream_tbEUlT_E0_NS1_11comp_targetILNS1_3genE5ELNS1_11target_archE942ELNS1_3gpuE9ELNS1_3repE0EEENS1_52radix_sort_onesweep_histogram_config_static_selectorELNS0_4arch9wavefront6targetE1EEEvSE_
		.amdhsa_group_segment_fixed_size 0
		.amdhsa_private_segment_fixed_size 0
		.amdhsa_kernarg_size 8
		.amdhsa_user_sgpr_count 6
		.amdhsa_user_sgpr_private_segment_buffer 1
		.amdhsa_user_sgpr_dispatch_ptr 0
		.amdhsa_user_sgpr_queue_ptr 0
		.amdhsa_user_sgpr_kernarg_segment_ptr 1
		.amdhsa_user_sgpr_dispatch_id 0
		.amdhsa_user_sgpr_flat_scratch_init 0
		.amdhsa_user_sgpr_private_segment_size 0
		.amdhsa_uses_dynamic_stack 0
		.amdhsa_system_sgpr_private_segment_wavefront_offset 0
		.amdhsa_system_sgpr_workgroup_id_x 1
		.amdhsa_system_sgpr_workgroup_id_y 0
		.amdhsa_system_sgpr_workgroup_id_z 0
		.amdhsa_system_sgpr_workgroup_info 0
		.amdhsa_system_vgpr_workitem_id 0
		.amdhsa_next_free_vgpr 1
		.amdhsa_next_free_sgpr 0
		.amdhsa_reserve_vcc 0
		.amdhsa_reserve_flat_scratch 0
		.amdhsa_float_round_mode_32 0
		.amdhsa_float_round_mode_16_64 0
		.amdhsa_float_denorm_mode_32 3
		.amdhsa_float_denorm_mode_16_64 3
		.amdhsa_dx10_clamp 1
		.amdhsa_ieee_mode 1
		.amdhsa_fp16_overflow 0
		.amdhsa_exception_fp_ieee_invalid_op 0
		.amdhsa_exception_fp_denorm_src 0
		.amdhsa_exception_fp_ieee_div_zero 0
		.amdhsa_exception_fp_ieee_overflow 0
		.amdhsa_exception_fp_ieee_underflow 0
		.amdhsa_exception_fp_ieee_inexact 0
		.amdhsa_exception_int_div_zero 0
	.end_amdhsa_kernel
	.section	.text._ZN7rocprim17ROCPRIM_400000_NS6detail17trampoline_kernelINS0_14default_configENS1_35radix_sort_onesweep_config_selectorIdlEEZNS1_34radix_sort_onesweep_global_offsetsIS3_Lb0EPdN6thrust23THRUST_200600_302600_NS10device_ptrIlEEjNS0_19identity_decomposerEEE10hipError_tT1_T2_PT3_SG_jT4_jjP12ihipStream_tbEUlT_E0_NS1_11comp_targetILNS1_3genE5ELNS1_11target_archE942ELNS1_3gpuE9ELNS1_3repE0EEENS1_52radix_sort_onesweep_histogram_config_static_selectorELNS0_4arch9wavefront6targetE1EEEvSE_,"axG",@progbits,_ZN7rocprim17ROCPRIM_400000_NS6detail17trampoline_kernelINS0_14default_configENS1_35radix_sort_onesweep_config_selectorIdlEEZNS1_34radix_sort_onesweep_global_offsetsIS3_Lb0EPdN6thrust23THRUST_200600_302600_NS10device_ptrIlEEjNS0_19identity_decomposerEEE10hipError_tT1_T2_PT3_SG_jT4_jjP12ihipStream_tbEUlT_E0_NS1_11comp_targetILNS1_3genE5ELNS1_11target_archE942ELNS1_3gpuE9ELNS1_3repE0EEENS1_52radix_sort_onesweep_histogram_config_static_selectorELNS0_4arch9wavefront6targetE1EEEvSE_,comdat
.Lfunc_end1609:
	.size	_ZN7rocprim17ROCPRIM_400000_NS6detail17trampoline_kernelINS0_14default_configENS1_35radix_sort_onesweep_config_selectorIdlEEZNS1_34radix_sort_onesweep_global_offsetsIS3_Lb0EPdN6thrust23THRUST_200600_302600_NS10device_ptrIlEEjNS0_19identity_decomposerEEE10hipError_tT1_T2_PT3_SG_jT4_jjP12ihipStream_tbEUlT_E0_NS1_11comp_targetILNS1_3genE5ELNS1_11target_archE942ELNS1_3gpuE9ELNS1_3repE0EEENS1_52radix_sort_onesweep_histogram_config_static_selectorELNS0_4arch9wavefront6targetE1EEEvSE_, .Lfunc_end1609-_ZN7rocprim17ROCPRIM_400000_NS6detail17trampoline_kernelINS0_14default_configENS1_35radix_sort_onesweep_config_selectorIdlEEZNS1_34radix_sort_onesweep_global_offsetsIS3_Lb0EPdN6thrust23THRUST_200600_302600_NS10device_ptrIlEEjNS0_19identity_decomposerEEE10hipError_tT1_T2_PT3_SG_jT4_jjP12ihipStream_tbEUlT_E0_NS1_11comp_targetILNS1_3genE5ELNS1_11target_archE942ELNS1_3gpuE9ELNS1_3repE0EEENS1_52radix_sort_onesweep_histogram_config_static_selectorELNS0_4arch9wavefront6targetE1EEEvSE_
                                        ; -- End function
	.set _ZN7rocprim17ROCPRIM_400000_NS6detail17trampoline_kernelINS0_14default_configENS1_35radix_sort_onesweep_config_selectorIdlEEZNS1_34radix_sort_onesweep_global_offsetsIS3_Lb0EPdN6thrust23THRUST_200600_302600_NS10device_ptrIlEEjNS0_19identity_decomposerEEE10hipError_tT1_T2_PT3_SG_jT4_jjP12ihipStream_tbEUlT_E0_NS1_11comp_targetILNS1_3genE5ELNS1_11target_archE942ELNS1_3gpuE9ELNS1_3repE0EEENS1_52radix_sort_onesweep_histogram_config_static_selectorELNS0_4arch9wavefront6targetE1EEEvSE_.num_vgpr, 0
	.set _ZN7rocprim17ROCPRIM_400000_NS6detail17trampoline_kernelINS0_14default_configENS1_35radix_sort_onesweep_config_selectorIdlEEZNS1_34radix_sort_onesweep_global_offsetsIS3_Lb0EPdN6thrust23THRUST_200600_302600_NS10device_ptrIlEEjNS0_19identity_decomposerEEE10hipError_tT1_T2_PT3_SG_jT4_jjP12ihipStream_tbEUlT_E0_NS1_11comp_targetILNS1_3genE5ELNS1_11target_archE942ELNS1_3gpuE9ELNS1_3repE0EEENS1_52radix_sort_onesweep_histogram_config_static_selectorELNS0_4arch9wavefront6targetE1EEEvSE_.num_agpr, 0
	.set _ZN7rocprim17ROCPRIM_400000_NS6detail17trampoline_kernelINS0_14default_configENS1_35radix_sort_onesweep_config_selectorIdlEEZNS1_34radix_sort_onesweep_global_offsetsIS3_Lb0EPdN6thrust23THRUST_200600_302600_NS10device_ptrIlEEjNS0_19identity_decomposerEEE10hipError_tT1_T2_PT3_SG_jT4_jjP12ihipStream_tbEUlT_E0_NS1_11comp_targetILNS1_3genE5ELNS1_11target_archE942ELNS1_3gpuE9ELNS1_3repE0EEENS1_52radix_sort_onesweep_histogram_config_static_selectorELNS0_4arch9wavefront6targetE1EEEvSE_.numbered_sgpr, 0
	.set _ZN7rocprim17ROCPRIM_400000_NS6detail17trampoline_kernelINS0_14default_configENS1_35radix_sort_onesweep_config_selectorIdlEEZNS1_34radix_sort_onesweep_global_offsetsIS3_Lb0EPdN6thrust23THRUST_200600_302600_NS10device_ptrIlEEjNS0_19identity_decomposerEEE10hipError_tT1_T2_PT3_SG_jT4_jjP12ihipStream_tbEUlT_E0_NS1_11comp_targetILNS1_3genE5ELNS1_11target_archE942ELNS1_3gpuE9ELNS1_3repE0EEENS1_52radix_sort_onesweep_histogram_config_static_selectorELNS0_4arch9wavefront6targetE1EEEvSE_.num_named_barrier, 0
	.set _ZN7rocprim17ROCPRIM_400000_NS6detail17trampoline_kernelINS0_14default_configENS1_35radix_sort_onesweep_config_selectorIdlEEZNS1_34radix_sort_onesweep_global_offsetsIS3_Lb0EPdN6thrust23THRUST_200600_302600_NS10device_ptrIlEEjNS0_19identity_decomposerEEE10hipError_tT1_T2_PT3_SG_jT4_jjP12ihipStream_tbEUlT_E0_NS1_11comp_targetILNS1_3genE5ELNS1_11target_archE942ELNS1_3gpuE9ELNS1_3repE0EEENS1_52radix_sort_onesweep_histogram_config_static_selectorELNS0_4arch9wavefront6targetE1EEEvSE_.private_seg_size, 0
	.set _ZN7rocprim17ROCPRIM_400000_NS6detail17trampoline_kernelINS0_14default_configENS1_35radix_sort_onesweep_config_selectorIdlEEZNS1_34radix_sort_onesweep_global_offsetsIS3_Lb0EPdN6thrust23THRUST_200600_302600_NS10device_ptrIlEEjNS0_19identity_decomposerEEE10hipError_tT1_T2_PT3_SG_jT4_jjP12ihipStream_tbEUlT_E0_NS1_11comp_targetILNS1_3genE5ELNS1_11target_archE942ELNS1_3gpuE9ELNS1_3repE0EEENS1_52radix_sort_onesweep_histogram_config_static_selectorELNS0_4arch9wavefront6targetE1EEEvSE_.uses_vcc, 0
	.set _ZN7rocprim17ROCPRIM_400000_NS6detail17trampoline_kernelINS0_14default_configENS1_35radix_sort_onesweep_config_selectorIdlEEZNS1_34radix_sort_onesweep_global_offsetsIS3_Lb0EPdN6thrust23THRUST_200600_302600_NS10device_ptrIlEEjNS0_19identity_decomposerEEE10hipError_tT1_T2_PT3_SG_jT4_jjP12ihipStream_tbEUlT_E0_NS1_11comp_targetILNS1_3genE5ELNS1_11target_archE942ELNS1_3gpuE9ELNS1_3repE0EEENS1_52radix_sort_onesweep_histogram_config_static_selectorELNS0_4arch9wavefront6targetE1EEEvSE_.uses_flat_scratch, 0
	.set _ZN7rocprim17ROCPRIM_400000_NS6detail17trampoline_kernelINS0_14default_configENS1_35radix_sort_onesweep_config_selectorIdlEEZNS1_34radix_sort_onesweep_global_offsetsIS3_Lb0EPdN6thrust23THRUST_200600_302600_NS10device_ptrIlEEjNS0_19identity_decomposerEEE10hipError_tT1_T2_PT3_SG_jT4_jjP12ihipStream_tbEUlT_E0_NS1_11comp_targetILNS1_3genE5ELNS1_11target_archE942ELNS1_3gpuE9ELNS1_3repE0EEENS1_52radix_sort_onesweep_histogram_config_static_selectorELNS0_4arch9wavefront6targetE1EEEvSE_.has_dyn_sized_stack, 0
	.set _ZN7rocprim17ROCPRIM_400000_NS6detail17trampoline_kernelINS0_14default_configENS1_35radix_sort_onesweep_config_selectorIdlEEZNS1_34radix_sort_onesweep_global_offsetsIS3_Lb0EPdN6thrust23THRUST_200600_302600_NS10device_ptrIlEEjNS0_19identity_decomposerEEE10hipError_tT1_T2_PT3_SG_jT4_jjP12ihipStream_tbEUlT_E0_NS1_11comp_targetILNS1_3genE5ELNS1_11target_archE942ELNS1_3gpuE9ELNS1_3repE0EEENS1_52radix_sort_onesweep_histogram_config_static_selectorELNS0_4arch9wavefront6targetE1EEEvSE_.has_recursion, 0
	.set _ZN7rocprim17ROCPRIM_400000_NS6detail17trampoline_kernelINS0_14default_configENS1_35radix_sort_onesweep_config_selectorIdlEEZNS1_34radix_sort_onesweep_global_offsetsIS3_Lb0EPdN6thrust23THRUST_200600_302600_NS10device_ptrIlEEjNS0_19identity_decomposerEEE10hipError_tT1_T2_PT3_SG_jT4_jjP12ihipStream_tbEUlT_E0_NS1_11comp_targetILNS1_3genE5ELNS1_11target_archE942ELNS1_3gpuE9ELNS1_3repE0EEENS1_52radix_sort_onesweep_histogram_config_static_selectorELNS0_4arch9wavefront6targetE1EEEvSE_.has_indirect_call, 0
	.section	.AMDGPU.csdata,"",@progbits
; Kernel info:
; codeLenInByte = 0
; TotalNumSgprs: 4
; NumVgprs: 0
; ScratchSize: 0
; MemoryBound: 0
; FloatMode: 240
; IeeeMode: 1
; LDSByteSize: 0 bytes/workgroup (compile time only)
; SGPRBlocks: 0
; VGPRBlocks: 0
; NumSGPRsForWavesPerEU: 4
; NumVGPRsForWavesPerEU: 1
; Occupancy: 10
; WaveLimiterHint : 0
; COMPUTE_PGM_RSRC2:SCRATCH_EN: 0
; COMPUTE_PGM_RSRC2:USER_SGPR: 6
; COMPUTE_PGM_RSRC2:TRAP_HANDLER: 0
; COMPUTE_PGM_RSRC2:TGID_X_EN: 1
; COMPUTE_PGM_RSRC2:TGID_Y_EN: 0
; COMPUTE_PGM_RSRC2:TGID_Z_EN: 0
; COMPUTE_PGM_RSRC2:TIDIG_COMP_CNT: 0
	.section	.text._ZN7rocprim17ROCPRIM_400000_NS6detail17trampoline_kernelINS0_14default_configENS1_35radix_sort_onesweep_config_selectorIdlEEZNS1_34radix_sort_onesweep_global_offsetsIS3_Lb0EPdN6thrust23THRUST_200600_302600_NS10device_ptrIlEEjNS0_19identity_decomposerEEE10hipError_tT1_T2_PT3_SG_jT4_jjP12ihipStream_tbEUlT_E0_NS1_11comp_targetILNS1_3genE2ELNS1_11target_archE906ELNS1_3gpuE6ELNS1_3repE0EEENS1_52radix_sort_onesweep_histogram_config_static_selectorELNS0_4arch9wavefront6targetE1EEEvSE_,"axG",@progbits,_ZN7rocprim17ROCPRIM_400000_NS6detail17trampoline_kernelINS0_14default_configENS1_35radix_sort_onesweep_config_selectorIdlEEZNS1_34radix_sort_onesweep_global_offsetsIS3_Lb0EPdN6thrust23THRUST_200600_302600_NS10device_ptrIlEEjNS0_19identity_decomposerEEE10hipError_tT1_T2_PT3_SG_jT4_jjP12ihipStream_tbEUlT_E0_NS1_11comp_targetILNS1_3genE2ELNS1_11target_archE906ELNS1_3gpuE6ELNS1_3repE0EEENS1_52radix_sort_onesweep_histogram_config_static_selectorELNS0_4arch9wavefront6targetE1EEEvSE_,comdat
	.protected	_ZN7rocprim17ROCPRIM_400000_NS6detail17trampoline_kernelINS0_14default_configENS1_35radix_sort_onesweep_config_selectorIdlEEZNS1_34radix_sort_onesweep_global_offsetsIS3_Lb0EPdN6thrust23THRUST_200600_302600_NS10device_ptrIlEEjNS0_19identity_decomposerEEE10hipError_tT1_T2_PT3_SG_jT4_jjP12ihipStream_tbEUlT_E0_NS1_11comp_targetILNS1_3genE2ELNS1_11target_archE906ELNS1_3gpuE6ELNS1_3repE0EEENS1_52radix_sort_onesweep_histogram_config_static_selectorELNS0_4arch9wavefront6targetE1EEEvSE_ ; -- Begin function _ZN7rocprim17ROCPRIM_400000_NS6detail17trampoline_kernelINS0_14default_configENS1_35radix_sort_onesweep_config_selectorIdlEEZNS1_34radix_sort_onesweep_global_offsetsIS3_Lb0EPdN6thrust23THRUST_200600_302600_NS10device_ptrIlEEjNS0_19identity_decomposerEEE10hipError_tT1_T2_PT3_SG_jT4_jjP12ihipStream_tbEUlT_E0_NS1_11comp_targetILNS1_3genE2ELNS1_11target_archE906ELNS1_3gpuE6ELNS1_3repE0EEENS1_52radix_sort_onesweep_histogram_config_static_selectorELNS0_4arch9wavefront6targetE1EEEvSE_
	.globl	_ZN7rocprim17ROCPRIM_400000_NS6detail17trampoline_kernelINS0_14default_configENS1_35radix_sort_onesweep_config_selectorIdlEEZNS1_34radix_sort_onesweep_global_offsetsIS3_Lb0EPdN6thrust23THRUST_200600_302600_NS10device_ptrIlEEjNS0_19identity_decomposerEEE10hipError_tT1_T2_PT3_SG_jT4_jjP12ihipStream_tbEUlT_E0_NS1_11comp_targetILNS1_3genE2ELNS1_11target_archE906ELNS1_3gpuE6ELNS1_3repE0EEENS1_52radix_sort_onesweep_histogram_config_static_selectorELNS0_4arch9wavefront6targetE1EEEvSE_
	.p2align	8
	.type	_ZN7rocprim17ROCPRIM_400000_NS6detail17trampoline_kernelINS0_14default_configENS1_35radix_sort_onesweep_config_selectorIdlEEZNS1_34radix_sort_onesweep_global_offsetsIS3_Lb0EPdN6thrust23THRUST_200600_302600_NS10device_ptrIlEEjNS0_19identity_decomposerEEE10hipError_tT1_T2_PT3_SG_jT4_jjP12ihipStream_tbEUlT_E0_NS1_11comp_targetILNS1_3genE2ELNS1_11target_archE906ELNS1_3gpuE6ELNS1_3repE0EEENS1_52radix_sort_onesweep_histogram_config_static_selectorELNS0_4arch9wavefront6targetE1EEEvSE_,@function
_ZN7rocprim17ROCPRIM_400000_NS6detail17trampoline_kernelINS0_14default_configENS1_35radix_sort_onesweep_config_selectorIdlEEZNS1_34radix_sort_onesweep_global_offsetsIS3_Lb0EPdN6thrust23THRUST_200600_302600_NS10device_ptrIlEEjNS0_19identity_decomposerEEE10hipError_tT1_T2_PT3_SG_jT4_jjP12ihipStream_tbEUlT_E0_NS1_11comp_targetILNS1_3genE2ELNS1_11target_archE906ELNS1_3gpuE6ELNS1_3repE0EEENS1_52radix_sort_onesweep_histogram_config_static_selectorELNS0_4arch9wavefront6targetE1EEEvSE_: ; @_ZN7rocprim17ROCPRIM_400000_NS6detail17trampoline_kernelINS0_14default_configENS1_35radix_sort_onesweep_config_selectorIdlEEZNS1_34radix_sort_onesweep_global_offsetsIS3_Lb0EPdN6thrust23THRUST_200600_302600_NS10device_ptrIlEEjNS0_19identity_decomposerEEE10hipError_tT1_T2_PT3_SG_jT4_jjP12ihipStream_tbEUlT_E0_NS1_11comp_targetILNS1_3genE2ELNS1_11target_archE906ELNS1_3gpuE6ELNS1_3repE0EEENS1_52radix_sort_onesweep_histogram_config_static_selectorELNS0_4arch9wavefront6targetE1EEEvSE_
; %bb.0:
	s_load_dwordx2 s[0:1], s[4:5], 0x0
	s_lshl_b32 s2, s6, 8
	s_mov_b32 s3, 0
	s_lshl_b64 s[2:3], s[2:3], 2
	v_lshlrev_b32_e32 v1, 2, v0
	s_waitcnt lgkmcnt(0)
	s_add_u32 s2, s0, s2
	s_movk_i32 s0, 0x100
	s_addc_u32 s3, s1, s3
	v_cmp_gt_u32_e32 vcc, s0, v0
                                        ; implicit-def: $vgpr3
	s_and_saveexec_b64 s[0:1], vcc
	s_cbranch_execz .LBB1610_2
; %bb.1:
	global_load_dword v3, v1, s[2:3]
.LBB1610_2:
	s_or_b64 exec, exec, s[0:1]
	v_mbcnt_lo_u32_b32 v2, -1, 0
	v_mbcnt_hi_u32_b32 v2, -1, v2
	v_and_b32_e32 v4, 15, v2
	s_waitcnt vmcnt(0)
	v_mov_b32_dpp v5, v3 row_shr:1 row_mask:0xf bank_mask:0xf
	v_cmp_ne_u32_e64 s[0:1], 0, v4
	v_cndmask_b32_e64 v5, 0, v5, s[0:1]
	v_add_u32_e32 v3, v5, v3
	v_cmp_lt_u32_e64 s[0:1], 1, v4
	s_nop 0
	v_mov_b32_dpp v5, v3 row_shr:2 row_mask:0xf bank_mask:0xf
	v_cndmask_b32_e64 v5, 0, v5, s[0:1]
	v_add_u32_e32 v3, v3, v5
	v_cmp_lt_u32_e64 s[0:1], 3, v4
	s_nop 0
	v_mov_b32_dpp v5, v3 row_shr:4 row_mask:0xf bank_mask:0xf
	;; [unrolled: 5-line block ×3, first 2 shown]
	v_cndmask_b32_e64 v4, 0, v5, s[0:1]
	v_add_u32_e32 v3, v3, v4
	v_bfe_i32 v5, v2, 4, 1
	v_cmp_lt_u32_e64 s[0:1], 31, v2
	v_mov_b32_dpp v4, v3 row_bcast:15 row_mask:0xf bank_mask:0xf
	v_and_b32_e32 v4, v5, v4
	v_add_u32_e32 v3, v3, v4
	v_or_b32_e32 v5, 63, v0
	s_nop 0
	v_mov_b32_dpp v4, v3 row_bcast:31 row_mask:0xf bank_mask:0xf
	v_cndmask_b32_e64 v4, 0, v4, s[0:1]
	v_add_u32_e32 v3, v3, v4
	v_lshrrev_b32_e32 v4, 6, v0
	v_cmp_eq_u32_e64 s[0:1], v0, v5
	s_and_saveexec_b64 s[4:5], s[0:1]
; %bb.3:
	v_lshlrev_b32_e32 v5, 2, v4
	ds_write_b32 v5, v3
; %bb.4:
	s_or_b64 exec, exec, s[4:5]
	v_cmp_gt_u32_e64 s[0:1], 8, v0
	s_waitcnt lgkmcnt(0)
	s_barrier
	s_and_saveexec_b64 s[4:5], s[0:1]
	s_cbranch_execz .LBB1610_6
; %bb.5:
	ds_read_b32 v5, v1
	v_and_b32_e32 v6, 7, v2
	v_cmp_ne_u32_e64 s[0:1], 0, v6
	s_waitcnt lgkmcnt(0)
	v_mov_b32_dpp v7, v5 row_shr:1 row_mask:0xf bank_mask:0xf
	v_cndmask_b32_e64 v7, 0, v7, s[0:1]
	v_add_u32_e32 v5, v7, v5
	v_cmp_lt_u32_e64 s[0:1], 1, v6
	s_nop 0
	v_mov_b32_dpp v7, v5 row_shr:2 row_mask:0xf bank_mask:0xf
	v_cndmask_b32_e64 v7, 0, v7, s[0:1]
	v_add_u32_e32 v5, v5, v7
	v_cmp_lt_u32_e64 s[0:1], 3, v6
	s_nop 0
	v_mov_b32_dpp v7, v5 row_shr:4 row_mask:0xf bank_mask:0xf
	v_cndmask_b32_e64 v6, 0, v7, s[0:1]
	v_add_u32_e32 v5, v5, v6
	ds_write_b32 v1, v5
.LBB1610_6:
	s_or_b64 exec, exec, s[4:5]
	v_cmp_lt_u32_e64 s[0:1], 63, v0
	v_mov_b32_e32 v0, 0
	s_waitcnt lgkmcnt(0)
	s_barrier
	s_and_saveexec_b64 s[4:5], s[0:1]
; %bb.7:
	v_lshl_add_u32 v0, v4, 2, -4
	ds_read_b32 v0, v0
; %bb.8:
	s_or_b64 exec, exec, s[4:5]
	v_add_u32_e32 v4, -1, v2
	v_and_b32_e32 v5, 64, v2
	v_cmp_lt_i32_e64 s[0:1], v4, v5
	v_cndmask_b32_e64 v4, v4, v2, s[0:1]
	s_waitcnt lgkmcnt(0)
	v_add_u32_e32 v3, v0, v3
	v_lshlrev_b32_e32 v4, 2, v4
	ds_bpermute_b32 v3, v4, v3
	s_and_saveexec_b64 s[0:1], vcc
	s_cbranch_execz .LBB1610_10
; %bb.9:
	v_cmp_eq_u32_e32 vcc, 0, v2
	s_waitcnt lgkmcnt(0)
	v_cndmask_b32_e32 v0, v3, v0, vcc
	global_store_dword v1, v0, s[2:3]
.LBB1610_10:
	s_endpgm
	.section	.rodata,"a",@progbits
	.p2align	6, 0x0
	.amdhsa_kernel _ZN7rocprim17ROCPRIM_400000_NS6detail17trampoline_kernelINS0_14default_configENS1_35radix_sort_onesweep_config_selectorIdlEEZNS1_34radix_sort_onesweep_global_offsetsIS3_Lb0EPdN6thrust23THRUST_200600_302600_NS10device_ptrIlEEjNS0_19identity_decomposerEEE10hipError_tT1_T2_PT3_SG_jT4_jjP12ihipStream_tbEUlT_E0_NS1_11comp_targetILNS1_3genE2ELNS1_11target_archE906ELNS1_3gpuE6ELNS1_3repE0EEENS1_52radix_sort_onesweep_histogram_config_static_selectorELNS0_4arch9wavefront6targetE1EEEvSE_
		.amdhsa_group_segment_fixed_size 32
		.amdhsa_private_segment_fixed_size 0
		.amdhsa_kernarg_size 8
		.amdhsa_user_sgpr_count 6
		.amdhsa_user_sgpr_private_segment_buffer 1
		.amdhsa_user_sgpr_dispatch_ptr 0
		.amdhsa_user_sgpr_queue_ptr 0
		.amdhsa_user_sgpr_kernarg_segment_ptr 1
		.amdhsa_user_sgpr_dispatch_id 0
		.amdhsa_user_sgpr_flat_scratch_init 0
		.amdhsa_user_sgpr_private_segment_size 0
		.amdhsa_uses_dynamic_stack 0
		.amdhsa_system_sgpr_private_segment_wavefront_offset 0
		.amdhsa_system_sgpr_workgroup_id_x 1
		.amdhsa_system_sgpr_workgroup_id_y 0
		.amdhsa_system_sgpr_workgroup_id_z 0
		.amdhsa_system_sgpr_workgroup_info 0
		.amdhsa_system_vgpr_workitem_id 0
		.amdhsa_next_free_vgpr 8
		.amdhsa_next_free_sgpr 7
		.amdhsa_reserve_vcc 1
		.amdhsa_reserve_flat_scratch 0
		.amdhsa_float_round_mode_32 0
		.amdhsa_float_round_mode_16_64 0
		.amdhsa_float_denorm_mode_32 3
		.amdhsa_float_denorm_mode_16_64 3
		.amdhsa_dx10_clamp 1
		.amdhsa_ieee_mode 1
		.amdhsa_fp16_overflow 0
		.amdhsa_exception_fp_ieee_invalid_op 0
		.amdhsa_exception_fp_denorm_src 0
		.amdhsa_exception_fp_ieee_div_zero 0
		.amdhsa_exception_fp_ieee_overflow 0
		.amdhsa_exception_fp_ieee_underflow 0
		.amdhsa_exception_fp_ieee_inexact 0
		.amdhsa_exception_int_div_zero 0
	.end_amdhsa_kernel
	.section	.text._ZN7rocprim17ROCPRIM_400000_NS6detail17trampoline_kernelINS0_14default_configENS1_35radix_sort_onesweep_config_selectorIdlEEZNS1_34radix_sort_onesweep_global_offsetsIS3_Lb0EPdN6thrust23THRUST_200600_302600_NS10device_ptrIlEEjNS0_19identity_decomposerEEE10hipError_tT1_T2_PT3_SG_jT4_jjP12ihipStream_tbEUlT_E0_NS1_11comp_targetILNS1_3genE2ELNS1_11target_archE906ELNS1_3gpuE6ELNS1_3repE0EEENS1_52radix_sort_onesweep_histogram_config_static_selectorELNS0_4arch9wavefront6targetE1EEEvSE_,"axG",@progbits,_ZN7rocprim17ROCPRIM_400000_NS6detail17trampoline_kernelINS0_14default_configENS1_35radix_sort_onesweep_config_selectorIdlEEZNS1_34radix_sort_onesweep_global_offsetsIS3_Lb0EPdN6thrust23THRUST_200600_302600_NS10device_ptrIlEEjNS0_19identity_decomposerEEE10hipError_tT1_T2_PT3_SG_jT4_jjP12ihipStream_tbEUlT_E0_NS1_11comp_targetILNS1_3genE2ELNS1_11target_archE906ELNS1_3gpuE6ELNS1_3repE0EEENS1_52radix_sort_onesweep_histogram_config_static_selectorELNS0_4arch9wavefront6targetE1EEEvSE_,comdat
.Lfunc_end1610:
	.size	_ZN7rocprim17ROCPRIM_400000_NS6detail17trampoline_kernelINS0_14default_configENS1_35radix_sort_onesweep_config_selectorIdlEEZNS1_34radix_sort_onesweep_global_offsetsIS3_Lb0EPdN6thrust23THRUST_200600_302600_NS10device_ptrIlEEjNS0_19identity_decomposerEEE10hipError_tT1_T2_PT3_SG_jT4_jjP12ihipStream_tbEUlT_E0_NS1_11comp_targetILNS1_3genE2ELNS1_11target_archE906ELNS1_3gpuE6ELNS1_3repE0EEENS1_52radix_sort_onesweep_histogram_config_static_selectorELNS0_4arch9wavefront6targetE1EEEvSE_, .Lfunc_end1610-_ZN7rocprim17ROCPRIM_400000_NS6detail17trampoline_kernelINS0_14default_configENS1_35radix_sort_onesweep_config_selectorIdlEEZNS1_34radix_sort_onesweep_global_offsetsIS3_Lb0EPdN6thrust23THRUST_200600_302600_NS10device_ptrIlEEjNS0_19identity_decomposerEEE10hipError_tT1_T2_PT3_SG_jT4_jjP12ihipStream_tbEUlT_E0_NS1_11comp_targetILNS1_3genE2ELNS1_11target_archE906ELNS1_3gpuE6ELNS1_3repE0EEENS1_52radix_sort_onesweep_histogram_config_static_selectorELNS0_4arch9wavefront6targetE1EEEvSE_
                                        ; -- End function
	.set _ZN7rocprim17ROCPRIM_400000_NS6detail17trampoline_kernelINS0_14default_configENS1_35radix_sort_onesweep_config_selectorIdlEEZNS1_34radix_sort_onesweep_global_offsetsIS3_Lb0EPdN6thrust23THRUST_200600_302600_NS10device_ptrIlEEjNS0_19identity_decomposerEEE10hipError_tT1_T2_PT3_SG_jT4_jjP12ihipStream_tbEUlT_E0_NS1_11comp_targetILNS1_3genE2ELNS1_11target_archE906ELNS1_3gpuE6ELNS1_3repE0EEENS1_52radix_sort_onesweep_histogram_config_static_selectorELNS0_4arch9wavefront6targetE1EEEvSE_.num_vgpr, 8
	.set _ZN7rocprim17ROCPRIM_400000_NS6detail17trampoline_kernelINS0_14default_configENS1_35radix_sort_onesweep_config_selectorIdlEEZNS1_34radix_sort_onesweep_global_offsetsIS3_Lb0EPdN6thrust23THRUST_200600_302600_NS10device_ptrIlEEjNS0_19identity_decomposerEEE10hipError_tT1_T2_PT3_SG_jT4_jjP12ihipStream_tbEUlT_E0_NS1_11comp_targetILNS1_3genE2ELNS1_11target_archE906ELNS1_3gpuE6ELNS1_3repE0EEENS1_52radix_sort_onesweep_histogram_config_static_selectorELNS0_4arch9wavefront6targetE1EEEvSE_.num_agpr, 0
	.set _ZN7rocprim17ROCPRIM_400000_NS6detail17trampoline_kernelINS0_14default_configENS1_35radix_sort_onesweep_config_selectorIdlEEZNS1_34radix_sort_onesweep_global_offsetsIS3_Lb0EPdN6thrust23THRUST_200600_302600_NS10device_ptrIlEEjNS0_19identity_decomposerEEE10hipError_tT1_T2_PT3_SG_jT4_jjP12ihipStream_tbEUlT_E0_NS1_11comp_targetILNS1_3genE2ELNS1_11target_archE906ELNS1_3gpuE6ELNS1_3repE0EEENS1_52radix_sort_onesweep_histogram_config_static_selectorELNS0_4arch9wavefront6targetE1EEEvSE_.numbered_sgpr, 7
	.set _ZN7rocprim17ROCPRIM_400000_NS6detail17trampoline_kernelINS0_14default_configENS1_35radix_sort_onesweep_config_selectorIdlEEZNS1_34radix_sort_onesweep_global_offsetsIS3_Lb0EPdN6thrust23THRUST_200600_302600_NS10device_ptrIlEEjNS0_19identity_decomposerEEE10hipError_tT1_T2_PT3_SG_jT4_jjP12ihipStream_tbEUlT_E0_NS1_11comp_targetILNS1_3genE2ELNS1_11target_archE906ELNS1_3gpuE6ELNS1_3repE0EEENS1_52radix_sort_onesweep_histogram_config_static_selectorELNS0_4arch9wavefront6targetE1EEEvSE_.num_named_barrier, 0
	.set _ZN7rocprim17ROCPRIM_400000_NS6detail17trampoline_kernelINS0_14default_configENS1_35radix_sort_onesweep_config_selectorIdlEEZNS1_34radix_sort_onesweep_global_offsetsIS3_Lb0EPdN6thrust23THRUST_200600_302600_NS10device_ptrIlEEjNS0_19identity_decomposerEEE10hipError_tT1_T2_PT3_SG_jT4_jjP12ihipStream_tbEUlT_E0_NS1_11comp_targetILNS1_3genE2ELNS1_11target_archE906ELNS1_3gpuE6ELNS1_3repE0EEENS1_52radix_sort_onesweep_histogram_config_static_selectorELNS0_4arch9wavefront6targetE1EEEvSE_.private_seg_size, 0
	.set _ZN7rocprim17ROCPRIM_400000_NS6detail17trampoline_kernelINS0_14default_configENS1_35radix_sort_onesweep_config_selectorIdlEEZNS1_34radix_sort_onesweep_global_offsetsIS3_Lb0EPdN6thrust23THRUST_200600_302600_NS10device_ptrIlEEjNS0_19identity_decomposerEEE10hipError_tT1_T2_PT3_SG_jT4_jjP12ihipStream_tbEUlT_E0_NS1_11comp_targetILNS1_3genE2ELNS1_11target_archE906ELNS1_3gpuE6ELNS1_3repE0EEENS1_52radix_sort_onesweep_histogram_config_static_selectorELNS0_4arch9wavefront6targetE1EEEvSE_.uses_vcc, 1
	.set _ZN7rocprim17ROCPRIM_400000_NS6detail17trampoline_kernelINS0_14default_configENS1_35radix_sort_onesweep_config_selectorIdlEEZNS1_34radix_sort_onesweep_global_offsetsIS3_Lb0EPdN6thrust23THRUST_200600_302600_NS10device_ptrIlEEjNS0_19identity_decomposerEEE10hipError_tT1_T2_PT3_SG_jT4_jjP12ihipStream_tbEUlT_E0_NS1_11comp_targetILNS1_3genE2ELNS1_11target_archE906ELNS1_3gpuE6ELNS1_3repE0EEENS1_52radix_sort_onesweep_histogram_config_static_selectorELNS0_4arch9wavefront6targetE1EEEvSE_.uses_flat_scratch, 0
	.set _ZN7rocprim17ROCPRIM_400000_NS6detail17trampoline_kernelINS0_14default_configENS1_35radix_sort_onesweep_config_selectorIdlEEZNS1_34radix_sort_onesweep_global_offsetsIS3_Lb0EPdN6thrust23THRUST_200600_302600_NS10device_ptrIlEEjNS0_19identity_decomposerEEE10hipError_tT1_T2_PT3_SG_jT4_jjP12ihipStream_tbEUlT_E0_NS1_11comp_targetILNS1_3genE2ELNS1_11target_archE906ELNS1_3gpuE6ELNS1_3repE0EEENS1_52radix_sort_onesweep_histogram_config_static_selectorELNS0_4arch9wavefront6targetE1EEEvSE_.has_dyn_sized_stack, 0
	.set _ZN7rocprim17ROCPRIM_400000_NS6detail17trampoline_kernelINS0_14default_configENS1_35radix_sort_onesweep_config_selectorIdlEEZNS1_34radix_sort_onesweep_global_offsetsIS3_Lb0EPdN6thrust23THRUST_200600_302600_NS10device_ptrIlEEjNS0_19identity_decomposerEEE10hipError_tT1_T2_PT3_SG_jT4_jjP12ihipStream_tbEUlT_E0_NS1_11comp_targetILNS1_3genE2ELNS1_11target_archE906ELNS1_3gpuE6ELNS1_3repE0EEENS1_52radix_sort_onesweep_histogram_config_static_selectorELNS0_4arch9wavefront6targetE1EEEvSE_.has_recursion, 0
	.set _ZN7rocprim17ROCPRIM_400000_NS6detail17trampoline_kernelINS0_14default_configENS1_35radix_sort_onesweep_config_selectorIdlEEZNS1_34radix_sort_onesweep_global_offsetsIS3_Lb0EPdN6thrust23THRUST_200600_302600_NS10device_ptrIlEEjNS0_19identity_decomposerEEE10hipError_tT1_T2_PT3_SG_jT4_jjP12ihipStream_tbEUlT_E0_NS1_11comp_targetILNS1_3genE2ELNS1_11target_archE906ELNS1_3gpuE6ELNS1_3repE0EEENS1_52radix_sort_onesweep_histogram_config_static_selectorELNS0_4arch9wavefront6targetE1EEEvSE_.has_indirect_call, 0
	.section	.AMDGPU.csdata,"",@progbits
; Kernel info:
; codeLenInByte = 568
; TotalNumSgprs: 11
; NumVgprs: 8
; ScratchSize: 0
; MemoryBound: 0
; FloatMode: 240
; IeeeMode: 1
; LDSByteSize: 32 bytes/workgroup (compile time only)
; SGPRBlocks: 1
; VGPRBlocks: 1
; NumSGPRsForWavesPerEU: 11
; NumVGPRsForWavesPerEU: 8
; Occupancy: 10
; WaveLimiterHint : 0
; COMPUTE_PGM_RSRC2:SCRATCH_EN: 0
; COMPUTE_PGM_RSRC2:USER_SGPR: 6
; COMPUTE_PGM_RSRC2:TRAP_HANDLER: 0
; COMPUTE_PGM_RSRC2:TGID_X_EN: 1
; COMPUTE_PGM_RSRC2:TGID_Y_EN: 0
; COMPUTE_PGM_RSRC2:TGID_Z_EN: 0
; COMPUTE_PGM_RSRC2:TIDIG_COMP_CNT: 0
	.section	.text._ZN7rocprim17ROCPRIM_400000_NS6detail17trampoline_kernelINS0_14default_configENS1_35radix_sort_onesweep_config_selectorIdlEEZNS1_34radix_sort_onesweep_global_offsetsIS3_Lb0EPdN6thrust23THRUST_200600_302600_NS10device_ptrIlEEjNS0_19identity_decomposerEEE10hipError_tT1_T2_PT3_SG_jT4_jjP12ihipStream_tbEUlT_E0_NS1_11comp_targetILNS1_3genE4ELNS1_11target_archE910ELNS1_3gpuE8ELNS1_3repE0EEENS1_52radix_sort_onesweep_histogram_config_static_selectorELNS0_4arch9wavefront6targetE1EEEvSE_,"axG",@progbits,_ZN7rocprim17ROCPRIM_400000_NS6detail17trampoline_kernelINS0_14default_configENS1_35radix_sort_onesweep_config_selectorIdlEEZNS1_34radix_sort_onesweep_global_offsetsIS3_Lb0EPdN6thrust23THRUST_200600_302600_NS10device_ptrIlEEjNS0_19identity_decomposerEEE10hipError_tT1_T2_PT3_SG_jT4_jjP12ihipStream_tbEUlT_E0_NS1_11comp_targetILNS1_3genE4ELNS1_11target_archE910ELNS1_3gpuE8ELNS1_3repE0EEENS1_52radix_sort_onesweep_histogram_config_static_selectorELNS0_4arch9wavefront6targetE1EEEvSE_,comdat
	.protected	_ZN7rocprim17ROCPRIM_400000_NS6detail17trampoline_kernelINS0_14default_configENS1_35radix_sort_onesweep_config_selectorIdlEEZNS1_34radix_sort_onesweep_global_offsetsIS3_Lb0EPdN6thrust23THRUST_200600_302600_NS10device_ptrIlEEjNS0_19identity_decomposerEEE10hipError_tT1_T2_PT3_SG_jT4_jjP12ihipStream_tbEUlT_E0_NS1_11comp_targetILNS1_3genE4ELNS1_11target_archE910ELNS1_3gpuE8ELNS1_3repE0EEENS1_52radix_sort_onesweep_histogram_config_static_selectorELNS0_4arch9wavefront6targetE1EEEvSE_ ; -- Begin function _ZN7rocprim17ROCPRIM_400000_NS6detail17trampoline_kernelINS0_14default_configENS1_35radix_sort_onesweep_config_selectorIdlEEZNS1_34radix_sort_onesweep_global_offsetsIS3_Lb0EPdN6thrust23THRUST_200600_302600_NS10device_ptrIlEEjNS0_19identity_decomposerEEE10hipError_tT1_T2_PT3_SG_jT4_jjP12ihipStream_tbEUlT_E0_NS1_11comp_targetILNS1_3genE4ELNS1_11target_archE910ELNS1_3gpuE8ELNS1_3repE0EEENS1_52radix_sort_onesweep_histogram_config_static_selectorELNS0_4arch9wavefront6targetE1EEEvSE_
	.globl	_ZN7rocprim17ROCPRIM_400000_NS6detail17trampoline_kernelINS0_14default_configENS1_35radix_sort_onesweep_config_selectorIdlEEZNS1_34radix_sort_onesweep_global_offsetsIS3_Lb0EPdN6thrust23THRUST_200600_302600_NS10device_ptrIlEEjNS0_19identity_decomposerEEE10hipError_tT1_T2_PT3_SG_jT4_jjP12ihipStream_tbEUlT_E0_NS1_11comp_targetILNS1_3genE4ELNS1_11target_archE910ELNS1_3gpuE8ELNS1_3repE0EEENS1_52radix_sort_onesweep_histogram_config_static_selectorELNS0_4arch9wavefront6targetE1EEEvSE_
	.p2align	8
	.type	_ZN7rocprim17ROCPRIM_400000_NS6detail17trampoline_kernelINS0_14default_configENS1_35radix_sort_onesweep_config_selectorIdlEEZNS1_34radix_sort_onesweep_global_offsetsIS3_Lb0EPdN6thrust23THRUST_200600_302600_NS10device_ptrIlEEjNS0_19identity_decomposerEEE10hipError_tT1_T2_PT3_SG_jT4_jjP12ihipStream_tbEUlT_E0_NS1_11comp_targetILNS1_3genE4ELNS1_11target_archE910ELNS1_3gpuE8ELNS1_3repE0EEENS1_52radix_sort_onesweep_histogram_config_static_selectorELNS0_4arch9wavefront6targetE1EEEvSE_,@function
_ZN7rocprim17ROCPRIM_400000_NS6detail17trampoline_kernelINS0_14default_configENS1_35radix_sort_onesweep_config_selectorIdlEEZNS1_34radix_sort_onesweep_global_offsetsIS3_Lb0EPdN6thrust23THRUST_200600_302600_NS10device_ptrIlEEjNS0_19identity_decomposerEEE10hipError_tT1_T2_PT3_SG_jT4_jjP12ihipStream_tbEUlT_E0_NS1_11comp_targetILNS1_3genE4ELNS1_11target_archE910ELNS1_3gpuE8ELNS1_3repE0EEENS1_52radix_sort_onesweep_histogram_config_static_selectorELNS0_4arch9wavefront6targetE1EEEvSE_: ; @_ZN7rocprim17ROCPRIM_400000_NS6detail17trampoline_kernelINS0_14default_configENS1_35radix_sort_onesweep_config_selectorIdlEEZNS1_34radix_sort_onesweep_global_offsetsIS3_Lb0EPdN6thrust23THRUST_200600_302600_NS10device_ptrIlEEjNS0_19identity_decomposerEEE10hipError_tT1_T2_PT3_SG_jT4_jjP12ihipStream_tbEUlT_E0_NS1_11comp_targetILNS1_3genE4ELNS1_11target_archE910ELNS1_3gpuE8ELNS1_3repE0EEENS1_52radix_sort_onesweep_histogram_config_static_selectorELNS0_4arch9wavefront6targetE1EEEvSE_
; %bb.0:
	.section	.rodata,"a",@progbits
	.p2align	6, 0x0
	.amdhsa_kernel _ZN7rocprim17ROCPRIM_400000_NS6detail17trampoline_kernelINS0_14default_configENS1_35radix_sort_onesweep_config_selectorIdlEEZNS1_34radix_sort_onesweep_global_offsetsIS3_Lb0EPdN6thrust23THRUST_200600_302600_NS10device_ptrIlEEjNS0_19identity_decomposerEEE10hipError_tT1_T2_PT3_SG_jT4_jjP12ihipStream_tbEUlT_E0_NS1_11comp_targetILNS1_3genE4ELNS1_11target_archE910ELNS1_3gpuE8ELNS1_3repE0EEENS1_52radix_sort_onesweep_histogram_config_static_selectorELNS0_4arch9wavefront6targetE1EEEvSE_
		.amdhsa_group_segment_fixed_size 0
		.amdhsa_private_segment_fixed_size 0
		.amdhsa_kernarg_size 8
		.amdhsa_user_sgpr_count 6
		.amdhsa_user_sgpr_private_segment_buffer 1
		.amdhsa_user_sgpr_dispatch_ptr 0
		.amdhsa_user_sgpr_queue_ptr 0
		.amdhsa_user_sgpr_kernarg_segment_ptr 1
		.amdhsa_user_sgpr_dispatch_id 0
		.amdhsa_user_sgpr_flat_scratch_init 0
		.amdhsa_user_sgpr_private_segment_size 0
		.amdhsa_uses_dynamic_stack 0
		.amdhsa_system_sgpr_private_segment_wavefront_offset 0
		.amdhsa_system_sgpr_workgroup_id_x 1
		.amdhsa_system_sgpr_workgroup_id_y 0
		.amdhsa_system_sgpr_workgroup_id_z 0
		.amdhsa_system_sgpr_workgroup_info 0
		.amdhsa_system_vgpr_workitem_id 0
		.amdhsa_next_free_vgpr 1
		.amdhsa_next_free_sgpr 0
		.amdhsa_reserve_vcc 0
		.amdhsa_reserve_flat_scratch 0
		.amdhsa_float_round_mode_32 0
		.amdhsa_float_round_mode_16_64 0
		.amdhsa_float_denorm_mode_32 3
		.amdhsa_float_denorm_mode_16_64 3
		.amdhsa_dx10_clamp 1
		.amdhsa_ieee_mode 1
		.amdhsa_fp16_overflow 0
		.amdhsa_exception_fp_ieee_invalid_op 0
		.amdhsa_exception_fp_denorm_src 0
		.amdhsa_exception_fp_ieee_div_zero 0
		.amdhsa_exception_fp_ieee_overflow 0
		.amdhsa_exception_fp_ieee_underflow 0
		.amdhsa_exception_fp_ieee_inexact 0
		.amdhsa_exception_int_div_zero 0
	.end_amdhsa_kernel
	.section	.text._ZN7rocprim17ROCPRIM_400000_NS6detail17trampoline_kernelINS0_14default_configENS1_35radix_sort_onesweep_config_selectorIdlEEZNS1_34radix_sort_onesweep_global_offsetsIS3_Lb0EPdN6thrust23THRUST_200600_302600_NS10device_ptrIlEEjNS0_19identity_decomposerEEE10hipError_tT1_T2_PT3_SG_jT4_jjP12ihipStream_tbEUlT_E0_NS1_11comp_targetILNS1_3genE4ELNS1_11target_archE910ELNS1_3gpuE8ELNS1_3repE0EEENS1_52radix_sort_onesweep_histogram_config_static_selectorELNS0_4arch9wavefront6targetE1EEEvSE_,"axG",@progbits,_ZN7rocprim17ROCPRIM_400000_NS6detail17trampoline_kernelINS0_14default_configENS1_35radix_sort_onesweep_config_selectorIdlEEZNS1_34radix_sort_onesweep_global_offsetsIS3_Lb0EPdN6thrust23THRUST_200600_302600_NS10device_ptrIlEEjNS0_19identity_decomposerEEE10hipError_tT1_T2_PT3_SG_jT4_jjP12ihipStream_tbEUlT_E0_NS1_11comp_targetILNS1_3genE4ELNS1_11target_archE910ELNS1_3gpuE8ELNS1_3repE0EEENS1_52radix_sort_onesweep_histogram_config_static_selectorELNS0_4arch9wavefront6targetE1EEEvSE_,comdat
.Lfunc_end1611:
	.size	_ZN7rocprim17ROCPRIM_400000_NS6detail17trampoline_kernelINS0_14default_configENS1_35radix_sort_onesweep_config_selectorIdlEEZNS1_34radix_sort_onesweep_global_offsetsIS3_Lb0EPdN6thrust23THRUST_200600_302600_NS10device_ptrIlEEjNS0_19identity_decomposerEEE10hipError_tT1_T2_PT3_SG_jT4_jjP12ihipStream_tbEUlT_E0_NS1_11comp_targetILNS1_3genE4ELNS1_11target_archE910ELNS1_3gpuE8ELNS1_3repE0EEENS1_52radix_sort_onesweep_histogram_config_static_selectorELNS0_4arch9wavefront6targetE1EEEvSE_, .Lfunc_end1611-_ZN7rocprim17ROCPRIM_400000_NS6detail17trampoline_kernelINS0_14default_configENS1_35radix_sort_onesweep_config_selectorIdlEEZNS1_34radix_sort_onesweep_global_offsetsIS3_Lb0EPdN6thrust23THRUST_200600_302600_NS10device_ptrIlEEjNS0_19identity_decomposerEEE10hipError_tT1_T2_PT3_SG_jT4_jjP12ihipStream_tbEUlT_E0_NS1_11comp_targetILNS1_3genE4ELNS1_11target_archE910ELNS1_3gpuE8ELNS1_3repE0EEENS1_52radix_sort_onesweep_histogram_config_static_selectorELNS0_4arch9wavefront6targetE1EEEvSE_
                                        ; -- End function
	.set _ZN7rocprim17ROCPRIM_400000_NS6detail17trampoline_kernelINS0_14default_configENS1_35radix_sort_onesweep_config_selectorIdlEEZNS1_34radix_sort_onesweep_global_offsetsIS3_Lb0EPdN6thrust23THRUST_200600_302600_NS10device_ptrIlEEjNS0_19identity_decomposerEEE10hipError_tT1_T2_PT3_SG_jT4_jjP12ihipStream_tbEUlT_E0_NS1_11comp_targetILNS1_3genE4ELNS1_11target_archE910ELNS1_3gpuE8ELNS1_3repE0EEENS1_52radix_sort_onesweep_histogram_config_static_selectorELNS0_4arch9wavefront6targetE1EEEvSE_.num_vgpr, 0
	.set _ZN7rocprim17ROCPRIM_400000_NS6detail17trampoline_kernelINS0_14default_configENS1_35radix_sort_onesweep_config_selectorIdlEEZNS1_34radix_sort_onesweep_global_offsetsIS3_Lb0EPdN6thrust23THRUST_200600_302600_NS10device_ptrIlEEjNS0_19identity_decomposerEEE10hipError_tT1_T2_PT3_SG_jT4_jjP12ihipStream_tbEUlT_E0_NS1_11comp_targetILNS1_3genE4ELNS1_11target_archE910ELNS1_3gpuE8ELNS1_3repE0EEENS1_52radix_sort_onesweep_histogram_config_static_selectorELNS0_4arch9wavefront6targetE1EEEvSE_.num_agpr, 0
	.set _ZN7rocprim17ROCPRIM_400000_NS6detail17trampoline_kernelINS0_14default_configENS1_35radix_sort_onesweep_config_selectorIdlEEZNS1_34radix_sort_onesweep_global_offsetsIS3_Lb0EPdN6thrust23THRUST_200600_302600_NS10device_ptrIlEEjNS0_19identity_decomposerEEE10hipError_tT1_T2_PT3_SG_jT4_jjP12ihipStream_tbEUlT_E0_NS1_11comp_targetILNS1_3genE4ELNS1_11target_archE910ELNS1_3gpuE8ELNS1_3repE0EEENS1_52radix_sort_onesweep_histogram_config_static_selectorELNS0_4arch9wavefront6targetE1EEEvSE_.numbered_sgpr, 0
	.set _ZN7rocprim17ROCPRIM_400000_NS6detail17trampoline_kernelINS0_14default_configENS1_35radix_sort_onesweep_config_selectorIdlEEZNS1_34radix_sort_onesweep_global_offsetsIS3_Lb0EPdN6thrust23THRUST_200600_302600_NS10device_ptrIlEEjNS0_19identity_decomposerEEE10hipError_tT1_T2_PT3_SG_jT4_jjP12ihipStream_tbEUlT_E0_NS1_11comp_targetILNS1_3genE4ELNS1_11target_archE910ELNS1_3gpuE8ELNS1_3repE0EEENS1_52radix_sort_onesweep_histogram_config_static_selectorELNS0_4arch9wavefront6targetE1EEEvSE_.num_named_barrier, 0
	.set _ZN7rocprim17ROCPRIM_400000_NS6detail17trampoline_kernelINS0_14default_configENS1_35radix_sort_onesweep_config_selectorIdlEEZNS1_34radix_sort_onesweep_global_offsetsIS3_Lb0EPdN6thrust23THRUST_200600_302600_NS10device_ptrIlEEjNS0_19identity_decomposerEEE10hipError_tT1_T2_PT3_SG_jT4_jjP12ihipStream_tbEUlT_E0_NS1_11comp_targetILNS1_3genE4ELNS1_11target_archE910ELNS1_3gpuE8ELNS1_3repE0EEENS1_52radix_sort_onesweep_histogram_config_static_selectorELNS0_4arch9wavefront6targetE1EEEvSE_.private_seg_size, 0
	.set _ZN7rocprim17ROCPRIM_400000_NS6detail17trampoline_kernelINS0_14default_configENS1_35radix_sort_onesweep_config_selectorIdlEEZNS1_34radix_sort_onesweep_global_offsetsIS3_Lb0EPdN6thrust23THRUST_200600_302600_NS10device_ptrIlEEjNS0_19identity_decomposerEEE10hipError_tT1_T2_PT3_SG_jT4_jjP12ihipStream_tbEUlT_E0_NS1_11comp_targetILNS1_3genE4ELNS1_11target_archE910ELNS1_3gpuE8ELNS1_3repE0EEENS1_52radix_sort_onesweep_histogram_config_static_selectorELNS0_4arch9wavefront6targetE1EEEvSE_.uses_vcc, 0
	.set _ZN7rocprim17ROCPRIM_400000_NS6detail17trampoline_kernelINS0_14default_configENS1_35radix_sort_onesweep_config_selectorIdlEEZNS1_34radix_sort_onesweep_global_offsetsIS3_Lb0EPdN6thrust23THRUST_200600_302600_NS10device_ptrIlEEjNS0_19identity_decomposerEEE10hipError_tT1_T2_PT3_SG_jT4_jjP12ihipStream_tbEUlT_E0_NS1_11comp_targetILNS1_3genE4ELNS1_11target_archE910ELNS1_3gpuE8ELNS1_3repE0EEENS1_52radix_sort_onesweep_histogram_config_static_selectorELNS0_4arch9wavefront6targetE1EEEvSE_.uses_flat_scratch, 0
	.set _ZN7rocprim17ROCPRIM_400000_NS6detail17trampoline_kernelINS0_14default_configENS1_35radix_sort_onesweep_config_selectorIdlEEZNS1_34radix_sort_onesweep_global_offsetsIS3_Lb0EPdN6thrust23THRUST_200600_302600_NS10device_ptrIlEEjNS0_19identity_decomposerEEE10hipError_tT1_T2_PT3_SG_jT4_jjP12ihipStream_tbEUlT_E0_NS1_11comp_targetILNS1_3genE4ELNS1_11target_archE910ELNS1_3gpuE8ELNS1_3repE0EEENS1_52radix_sort_onesweep_histogram_config_static_selectorELNS0_4arch9wavefront6targetE1EEEvSE_.has_dyn_sized_stack, 0
	.set _ZN7rocprim17ROCPRIM_400000_NS6detail17trampoline_kernelINS0_14default_configENS1_35radix_sort_onesweep_config_selectorIdlEEZNS1_34radix_sort_onesweep_global_offsetsIS3_Lb0EPdN6thrust23THRUST_200600_302600_NS10device_ptrIlEEjNS0_19identity_decomposerEEE10hipError_tT1_T2_PT3_SG_jT4_jjP12ihipStream_tbEUlT_E0_NS1_11comp_targetILNS1_3genE4ELNS1_11target_archE910ELNS1_3gpuE8ELNS1_3repE0EEENS1_52radix_sort_onesweep_histogram_config_static_selectorELNS0_4arch9wavefront6targetE1EEEvSE_.has_recursion, 0
	.set _ZN7rocprim17ROCPRIM_400000_NS6detail17trampoline_kernelINS0_14default_configENS1_35radix_sort_onesweep_config_selectorIdlEEZNS1_34radix_sort_onesweep_global_offsetsIS3_Lb0EPdN6thrust23THRUST_200600_302600_NS10device_ptrIlEEjNS0_19identity_decomposerEEE10hipError_tT1_T2_PT3_SG_jT4_jjP12ihipStream_tbEUlT_E0_NS1_11comp_targetILNS1_3genE4ELNS1_11target_archE910ELNS1_3gpuE8ELNS1_3repE0EEENS1_52radix_sort_onesweep_histogram_config_static_selectorELNS0_4arch9wavefront6targetE1EEEvSE_.has_indirect_call, 0
	.section	.AMDGPU.csdata,"",@progbits
; Kernel info:
; codeLenInByte = 0
; TotalNumSgprs: 4
; NumVgprs: 0
; ScratchSize: 0
; MemoryBound: 0
; FloatMode: 240
; IeeeMode: 1
; LDSByteSize: 0 bytes/workgroup (compile time only)
; SGPRBlocks: 0
; VGPRBlocks: 0
; NumSGPRsForWavesPerEU: 4
; NumVGPRsForWavesPerEU: 1
; Occupancy: 10
; WaveLimiterHint : 0
; COMPUTE_PGM_RSRC2:SCRATCH_EN: 0
; COMPUTE_PGM_RSRC2:USER_SGPR: 6
; COMPUTE_PGM_RSRC2:TRAP_HANDLER: 0
; COMPUTE_PGM_RSRC2:TGID_X_EN: 1
; COMPUTE_PGM_RSRC2:TGID_Y_EN: 0
; COMPUTE_PGM_RSRC2:TGID_Z_EN: 0
; COMPUTE_PGM_RSRC2:TIDIG_COMP_CNT: 0
	.section	.text._ZN7rocprim17ROCPRIM_400000_NS6detail17trampoline_kernelINS0_14default_configENS1_35radix_sort_onesweep_config_selectorIdlEEZNS1_34radix_sort_onesweep_global_offsetsIS3_Lb0EPdN6thrust23THRUST_200600_302600_NS10device_ptrIlEEjNS0_19identity_decomposerEEE10hipError_tT1_T2_PT3_SG_jT4_jjP12ihipStream_tbEUlT_E0_NS1_11comp_targetILNS1_3genE3ELNS1_11target_archE908ELNS1_3gpuE7ELNS1_3repE0EEENS1_52radix_sort_onesweep_histogram_config_static_selectorELNS0_4arch9wavefront6targetE1EEEvSE_,"axG",@progbits,_ZN7rocprim17ROCPRIM_400000_NS6detail17trampoline_kernelINS0_14default_configENS1_35radix_sort_onesweep_config_selectorIdlEEZNS1_34radix_sort_onesweep_global_offsetsIS3_Lb0EPdN6thrust23THRUST_200600_302600_NS10device_ptrIlEEjNS0_19identity_decomposerEEE10hipError_tT1_T2_PT3_SG_jT4_jjP12ihipStream_tbEUlT_E0_NS1_11comp_targetILNS1_3genE3ELNS1_11target_archE908ELNS1_3gpuE7ELNS1_3repE0EEENS1_52radix_sort_onesweep_histogram_config_static_selectorELNS0_4arch9wavefront6targetE1EEEvSE_,comdat
	.protected	_ZN7rocprim17ROCPRIM_400000_NS6detail17trampoline_kernelINS0_14default_configENS1_35radix_sort_onesweep_config_selectorIdlEEZNS1_34radix_sort_onesweep_global_offsetsIS3_Lb0EPdN6thrust23THRUST_200600_302600_NS10device_ptrIlEEjNS0_19identity_decomposerEEE10hipError_tT1_T2_PT3_SG_jT4_jjP12ihipStream_tbEUlT_E0_NS1_11comp_targetILNS1_3genE3ELNS1_11target_archE908ELNS1_3gpuE7ELNS1_3repE0EEENS1_52radix_sort_onesweep_histogram_config_static_selectorELNS0_4arch9wavefront6targetE1EEEvSE_ ; -- Begin function _ZN7rocprim17ROCPRIM_400000_NS6detail17trampoline_kernelINS0_14default_configENS1_35radix_sort_onesweep_config_selectorIdlEEZNS1_34radix_sort_onesweep_global_offsetsIS3_Lb0EPdN6thrust23THRUST_200600_302600_NS10device_ptrIlEEjNS0_19identity_decomposerEEE10hipError_tT1_T2_PT3_SG_jT4_jjP12ihipStream_tbEUlT_E0_NS1_11comp_targetILNS1_3genE3ELNS1_11target_archE908ELNS1_3gpuE7ELNS1_3repE0EEENS1_52radix_sort_onesweep_histogram_config_static_selectorELNS0_4arch9wavefront6targetE1EEEvSE_
	.globl	_ZN7rocprim17ROCPRIM_400000_NS6detail17trampoline_kernelINS0_14default_configENS1_35radix_sort_onesweep_config_selectorIdlEEZNS1_34radix_sort_onesweep_global_offsetsIS3_Lb0EPdN6thrust23THRUST_200600_302600_NS10device_ptrIlEEjNS0_19identity_decomposerEEE10hipError_tT1_T2_PT3_SG_jT4_jjP12ihipStream_tbEUlT_E0_NS1_11comp_targetILNS1_3genE3ELNS1_11target_archE908ELNS1_3gpuE7ELNS1_3repE0EEENS1_52radix_sort_onesweep_histogram_config_static_selectorELNS0_4arch9wavefront6targetE1EEEvSE_
	.p2align	8
	.type	_ZN7rocprim17ROCPRIM_400000_NS6detail17trampoline_kernelINS0_14default_configENS1_35radix_sort_onesweep_config_selectorIdlEEZNS1_34radix_sort_onesweep_global_offsetsIS3_Lb0EPdN6thrust23THRUST_200600_302600_NS10device_ptrIlEEjNS0_19identity_decomposerEEE10hipError_tT1_T2_PT3_SG_jT4_jjP12ihipStream_tbEUlT_E0_NS1_11comp_targetILNS1_3genE3ELNS1_11target_archE908ELNS1_3gpuE7ELNS1_3repE0EEENS1_52radix_sort_onesweep_histogram_config_static_selectorELNS0_4arch9wavefront6targetE1EEEvSE_,@function
_ZN7rocprim17ROCPRIM_400000_NS6detail17trampoline_kernelINS0_14default_configENS1_35radix_sort_onesweep_config_selectorIdlEEZNS1_34radix_sort_onesweep_global_offsetsIS3_Lb0EPdN6thrust23THRUST_200600_302600_NS10device_ptrIlEEjNS0_19identity_decomposerEEE10hipError_tT1_T2_PT3_SG_jT4_jjP12ihipStream_tbEUlT_E0_NS1_11comp_targetILNS1_3genE3ELNS1_11target_archE908ELNS1_3gpuE7ELNS1_3repE0EEENS1_52radix_sort_onesweep_histogram_config_static_selectorELNS0_4arch9wavefront6targetE1EEEvSE_: ; @_ZN7rocprim17ROCPRIM_400000_NS6detail17trampoline_kernelINS0_14default_configENS1_35radix_sort_onesweep_config_selectorIdlEEZNS1_34radix_sort_onesweep_global_offsetsIS3_Lb0EPdN6thrust23THRUST_200600_302600_NS10device_ptrIlEEjNS0_19identity_decomposerEEE10hipError_tT1_T2_PT3_SG_jT4_jjP12ihipStream_tbEUlT_E0_NS1_11comp_targetILNS1_3genE3ELNS1_11target_archE908ELNS1_3gpuE7ELNS1_3repE0EEENS1_52radix_sort_onesweep_histogram_config_static_selectorELNS0_4arch9wavefront6targetE1EEEvSE_
; %bb.0:
	.section	.rodata,"a",@progbits
	.p2align	6, 0x0
	.amdhsa_kernel _ZN7rocprim17ROCPRIM_400000_NS6detail17trampoline_kernelINS0_14default_configENS1_35radix_sort_onesweep_config_selectorIdlEEZNS1_34radix_sort_onesweep_global_offsetsIS3_Lb0EPdN6thrust23THRUST_200600_302600_NS10device_ptrIlEEjNS0_19identity_decomposerEEE10hipError_tT1_T2_PT3_SG_jT4_jjP12ihipStream_tbEUlT_E0_NS1_11comp_targetILNS1_3genE3ELNS1_11target_archE908ELNS1_3gpuE7ELNS1_3repE0EEENS1_52radix_sort_onesweep_histogram_config_static_selectorELNS0_4arch9wavefront6targetE1EEEvSE_
		.amdhsa_group_segment_fixed_size 0
		.amdhsa_private_segment_fixed_size 0
		.amdhsa_kernarg_size 8
		.amdhsa_user_sgpr_count 6
		.amdhsa_user_sgpr_private_segment_buffer 1
		.amdhsa_user_sgpr_dispatch_ptr 0
		.amdhsa_user_sgpr_queue_ptr 0
		.amdhsa_user_sgpr_kernarg_segment_ptr 1
		.amdhsa_user_sgpr_dispatch_id 0
		.amdhsa_user_sgpr_flat_scratch_init 0
		.amdhsa_user_sgpr_private_segment_size 0
		.amdhsa_uses_dynamic_stack 0
		.amdhsa_system_sgpr_private_segment_wavefront_offset 0
		.amdhsa_system_sgpr_workgroup_id_x 1
		.amdhsa_system_sgpr_workgroup_id_y 0
		.amdhsa_system_sgpr_workgroup_id_z 0
		.amdhsa_system_sgpr_workgroup_info 0
		.amdhsa_system_vgpr_workitem_id 0
		.amdhsa_next_free_vgpr 1
		.amdhsa_next_free_sgpr 0
		.amdhsa_reserve_vcc 0
		.amdhsa_reserve_flat_scratch 0
		.amdhsa_float_round_mode_32 0
		.amdhsa_float_round_mode_16_64 0
		.amdhsa_float_denorm_mode_32 3
		.amdhsa_float_denorm_mode_16_64 3
		.amdhsa_dx10_clamp 1
		.amdhsa_ieee_mode 1
		.amdhsa_fp16_overflow 0
		.amdhsa_exception_fp_ieee_invalid_op 0
		.amdhsa_exception_fp_denorm_src 0
		.amdhsa_exception_fp_ieee_div_zero 0
		.amdhsa_exception_fp_ieee_overflow 0
		.amdhsa_exception_fp_ieee_underflow 0
		.amdhsa_exception_fp_ieee_inexact 0
		.amdhsa_exception_int_div_zero 0
	.end_amdhsa_kernel
	.section	.text._ZN7rocprim17ROCPRIM_400000_NS6detail17trampoline_kernelINS0_14default_configENS1_35radix_sort_onesweep_config_selectorIdlEEZNS1_34radix_sort_onesweep_global_offsetsIS3_Lb0EPdN6thrust23THRUST_200600_302600_NS10device_ptrIlEEjNS0_19identity_decomposerEEE10hipError_tT1_T2_PT3_SG_jT4_jjP12ihipStream_tbEUlT_E0_NS1_11comp_targetILNS1_3genE3ELNS1_11target_archE908ELNS1_3gpuE7ELNS1_3repE0EEENS1_52radix_sort_onesweep_histogram_config_static_selectorELNS0_4arch9wavefront6targetE1EEEvSE_,"axG",@progbits,_ZN7rocprim17ROCPRIM_400000_NS6detail17trampoline_kernelINS0_14default_configENS1_35radix_sort_onesweep_config_selectorIdlEEZNS1_34radix_sort_onesweep_global_offsetsIS3_Lb0EPdN6thrust23THRUST_200600_302600_NS10device_ptrIlEEjNS0_19identity_decomposerEEE10hipError_tT1_T2_PT3_SG_jT4_jjP12ihipStream_tbEUlT_E0_NS1_11comp_targetILNS1_3genE3ELNS1_11target_archE908ELNS1_3gpuE7ELNS1_3repE0EEENS1_52radix_sort_onesweep_histogram_config_static_selectorELNS0_4arch9wavefront6targetE1EEEvSE_,comdat
.Lfunc_end1612:
	.size	_ZN7rocprim17ROCPRIM_400000_NS6detail17trampoline_kernelINS0_14default_configENS1_35radix_sort_onesweep_config_selectorIdlEEZNS1_34radix_sort_onesweep_global_offsetsIS3_Lb0EPdN6thrust23THRUST_200600_302600_NS10device_ptrIlEEjNS0_19identity_decomposerEEE10hipError_tT1_T2_PT3_SG_jT4_jjP12ihipStream_tbEUlT_E0_NS1_11comp_targetILNS1_3genE3ELNS1_11target_archE908ELNS1_3gpuE7ELNS1_3repE0EEENS1_52radix_sort_onesweep_histogram_config_static_selectorELNS0_4arch9wavefront6targetE1EEEvSE_, .Lfunc_end1612-_ZN7rocprim17ROCPRIM_400000_NS6detail17trampoline_kernelINS0_14default_configENS1_35radix_sort_onesweep_config_selectorIdlEEZNS1_34radix_sort_onesweep_global_offsetsIS3_Lb0EPdN6thrust23THRUST_200600_302600_NS10device_ptrIlEEjNS0_19identity_decomposerEEE10hipError_tT1_T2_PT3_SG_jT4_jjP12ihipStream_tbEUlT_E0_NS1_11comp_targetILNS1_3genE3ELNS1_11target_archE908ELNS1_3gpuE7ELNS1_3repE0EEENS1_52radix_sort_onesweep_histogram_config_static_selectorELNS0_4arch9wavefront6targetE1EEEvSE_
                                        ; -- End function
	.set _ZN7rocprim17ROCPRIM_400000_NS6detail17trampoline_kernelINS0_14default_configENS1_35radix_sort_onesweep_config_selectorIdlEEZNS1_34radix_sort_onesweep_global_offsetsIS3_Lb0EPdN6thrust23THRUST_200600_302600_NS10device_ptrIlEEjNS0_19identity_decomposerEEE10hipError_tT1_T2_PT3_SG_jT4_jjP12ihipStream_tbEUlT_E0_NS1_11comp_targetILNS1_3genE3ELNS1_11target_archE908ELNS1_3gpuE7ELNS1_3repE0EEENS1_52radix_sort_onesweep_histogram_config_static_selectorELNS0_4arch9wavefront6targetE1EEEvSE_.num_vgpr, 0
	.set _ZN7rocprim17ROCPRIM_400000_NS6detail17trampoline_kernelINS0_14default_configENS1_35radix_sort_onesweep_config_selectorIdlEEZNS1_34radix_sort_onesweep_global_offsetsIS3_Lb0EPdN6thrust23THRUST_200600_302600_NS10device_ptrIlEEjNS0_19identity_decomposerEEE10hipError_tT1_T2_PT3_SG_jT4_jjP12ihipStream_tbEUlT_E0_NS1_11comp_targetILNS1_3genE3ELNS1_11target_archE908ELNS1_3gpuE7ELNS1_3repE0EEENS1_52radix_sort_onesweep_histogram_config_static_selectorELNS0_4arch9wavefront6targetE1EEEvSE_.num_agpr, 0
	.set _ZN7rocprim17ROCPRIM_400000_NS6detail17trampoline_kernelINS0_14default_configENS1_35radix_sort_onesweep_config_selectorIdlEEZNS1_34radix_sort_onesweep_global_offsetsIS3_Lb0EPdN6thrust23THRUST_200600_302600_NS10device_ptrIlEEjNS0_19identity_decomposerEEE10hipError_tT1_T2_PT3_SG_jT4_jjP12ihipStream_tbEUlT_E0_NS1_11comp_targetILNS1_3genE3ELNS1_11target_archE908ELNS1_3gpuE7ELNS1_3repE0EEENS1_52radix_sort_onesweep_histogram_config_static_selectorELNS0_4arch9wavefront6targetE1EEEvSE_.numbered_sgpr, 0
	.set _ZN7rocprim17ROCPRIM_400000_NS6detail17trampoline_kernelINS0_14default_configENS1_35radix_sort_onesweep_config_selectorIdlEEZNS1_34radix_sort_onesweep_global_offsetsIS3_Lb0EPdN6thrust23THRUST_200600_302600_NS10device_ptrIlEEjNS0_19identity_decomposerEEE10hipError_tT1_T2_PT3_SG_jT4_jjP12ihipStream_tbEUlT_E0_NS1_11comp_targetILNS1_3genE3ELNS1_11target_archE908ELNS1_3gpuE7ELNS1_3repE0EEENS1_52radix_sort_onesweep_histogram_config_static_selectorELNS0_4arch9wavefront6targetE1EEEvSE_.num_named_barrier, 0
	.set _ZN7rocprim17ROCPRIM_400000_NS6detail17trampoline_kernelINS0_14default_configENS1_35radix_sort_onesweep_config_selectorIdlEEZNS1_34radix_sort_onesweep_global_offsetsIS3_Lb0EPdN6thrust23THRUST_200600_302600_NS10device_ptrIlEEjNS0_19identity_decomposerEEE10hipError_tT1_T2_PT3_SG_jT4_jjP12ihipStream_tbEUlT_E0_NS1_11comp_targetILNS1_3genE3ELNS1_11target_archE908ELNS1_3gpuE7ELNS1_3repE0EEENS1_52radix_sort_onesweep_histogram_config_static_selectorELNS0_4arch9wavefront6targetE1EEEvSE_.private_seg_size, 0
	.set _ZN7rocprim17ROCPRIM_400000_NS6detail17trampoline_kernelINS0_14default_configENS1_35radix_sort_onesweep_config_selectorIdlEEZNS1_34radix_sort_onesweep_global_offsetsIS3_Lb0EPdN6thrust23THRUST_200600_302600_NS10device_ptrIlEEjNS0_19identity_decomposerEEE10hipError_tT1_T2_PT3_SG_jT4_jjP12ihipStream_tbEUlT_E0_NS1_11comp_targetILNS1_3genE3ELNS1_11target_archE908ELNS1_3gpuE7ELNS1_3repE0EEENS1_52radix_sort_onesweep_histogram_config_static_selectorELNS0_4arch9wavefront6targetE1EEEvSE_.uses_vcc, 0
	.set _ZN7rocprim17ROCPRIM_400000_NS6detail17trampoline_kernelINS0_14default_configENS1_35radix_sort_onesweep_config_selectorIdlEEZNS1_34radix_sort_onesweep_global_offsetsIS3_Lb0EPdN6thrust23THRUST_200600_302600_NS10device_ptrIlEEjNS0_19identity_decomposerEEE10hipError_tT1_T2_PT3_SG_jT4_jjP12ihipStream_tbEUlT_E0_NS1_11comp_targetILNS1_3genE3ELNS1_11target_archE908ELNS1_3gpuE7ELNS1_3repE0EEENS1_52radix_sort_onesweep_histogram_config_static_selectorELNS0_4arch9wavefront6targetE1EEEvSE_.uses_flat_scratch, 0
	.set _ZN7rocprim17ROCPRIM_400000_NS6detail17trampoline_kernelINS0_14default_configENS1_35radix_sort_onesweep_config_selectorIdlEEZNS1_34radix_sort_onesweep_global_offsetsIS3_Lb0EPdN6thrust23THRUST_200600_302600_NS10device_ptrIlEEjNS0_19identity_decomposerEEE10hipError_tT1_T2_PT3_SG_jT4_jjP12ihipStream_tbEUlT_E0_NS1_11comp_targetILNS1_3genE3ELNS1_11target_archE908ELNS1_3gpuE7ELNS1_3repE0EEENS1_52radix_sort_onesweep_histogram_config_static_selectorELNS0_4arch9wavefront6targetE1EEEvSE_.has_dyn_sized_stack, 0
	.set _ZN7rocprim17ROCPRIM_400000_NS6detail17trampoline_kernelINS0_14default_configENS1_35radix_sort_onesweep_config_selectorIdlEEZNS1_34radix_sort_onesweep_global_offsetsIS3_Lb0EPdN6thrust23THRUST_200600_302600_NS10device_ptrIlEEjNS0_19identity_decomposerEEE10hipError_tT1_T2_PT3_SG_jT4_jjP12ihipStream_tbEUlT_E0_NS1_11comp_targetILNS1_3genE3ELNS1_11target_archE908ELNS1_3gpuE7ELNS1_3repE0EEENS1_52radix_sort_onesweep_histogram_config_static_selectorELNS0_4arch9wavefront6targetE1EEEvSE_.has_recursion, 0
	.set _ZN7rocprim17ROCPRIM_400000_NS6detail17trampoline_kernelINS0_14default_configENS1_35radix_sort_onesweep_config_selectorIdlEEZNS1_34radix_sort_onesweep_global_offsetsIS3_Lb0EPdN6thrust23THRUST_200600_302600_NS10device_ptrIlEEjNS0_19identity_decomposerEEE10hipError_tT1_T2_PT3_SG_jT4_jjP12ihipStream_tbEUlT_E0_NS1_11comp_targetILNS1_3genE3ELNS1_11target_archE908ELNS1_3gpuE7ELNS1_3repE0EEENS1_52radix_sort_onesweep_histogram_config_static_selectorELNS0_4arch9wavefront6targetE1EEEvSE_.has_indirect_call, 0
	.section	.AMDGPU.csdata,"",@progbits
; Kernel info:
; codeLenInByte = 0
; TotalNumSgprs: 4
; NumVgprs: 0
; ScratchSize: 0
; MemoryBound: 0
; FloatMode: 240
; IeeeMode: 1
; LDSByteSize: 0 bytes/workgroup (compile time only)
; SGPRBlocks: 0
; VGPRBlocks: 0
; NumSGPRsForWavesPerEU: 4
; NumVGPRsForWavesPerEU: 1
; Occupancy: 10
; WaveLimiterHint : 0
; COMPUTE_PGM_RSRC2:SCRATCH_EN: 0
; COMPUTE_PGM_RSRC2:USER_SGPR: 6
; COMPUTE_PGM_RSRC2:TRAP_HANDLER: 0
; COMPUTE_PGM_RSRC2:TGID_X_EN: 1
; COMPUTE_PGM_RSRC2:TGID_Y_EN: 0
; COMPUTE_PGM_RSRC2:TGID_Z_EN: 0
; COMPUTE_PGM_RSRC2:TIDIG_COMP_CNT: 0
	.section	.text._ZN7rocprim17ROCPRIM_400000_NS6detail17trampoline_kernelINS0_14default_configENS1_35radix_sort_onesweep_config_selectorIdlEEZNS1_34radix_sort_onesweep_global_offsetsIS3_Lb0EPdN6thrust23THRUST_200600_302600_NS10device_ptrIlEEjNS0_19identity_decomposerEEE10hipError_tT1_T2_PT3_SG_jT4_jjP12ihipStream_tbEUlT_E0_NS1_11comp_targetILNS1_3genE10ELNS1_11target_archE1201ELNS1_3gpuE5ELNS1_3repE0EEENS1_52radix_sort_onesweep_histogram_config_static_selectorELNS0_4arch9wavefront6targetE1EEEvSE_,"axG",@progbits,_ZN7rocprim17ROCPRIM_400000_NS6detail17trampoline_kernelINS0_14default_configENS1_35radix_sort_onesweep_config_selectorIdlEEZNS1_34radix_sort_onesweep_global_offsetsIS3_Lb0EPdN6thrust23THRUST_200600_302600_NS10device_ptrIlEEjNS0_19identity_decomposerEEE10hipError_tT1_T2_PT3_SG_jT4_jjP12ihipStream_tbEUlT_E0_NS1_11comp_targetILNS1_3genE10ELNS1_11target_archE1201ELNS1_3gpuE5ELNS1_3repE0EEENS1_52radix_sort_onesweep_histogram_config_static_selectorELNS0_4arch9wavefront6targetE1EEEvSE_,comdat
	.protected	_ZN7rocprim17ROCPRIM_400000_NS6detail17trampoline_kernelINS0_14default_configENS1_35radix_sort_onesweep_config_selectorIdlEEZNS1_34radix_sort_onesweep_global_offsetsIS3_Lb0EPdN6thrust23THRUST_200600_302600_NS10device_ptrIlEEjNS0_19identity_decomposerEEE10hipError_tT1_T2_PT3_SG_jT4_jjP12ihipStream_tbEUlT_E0_NS1_11comp_targetILNS1_3genE10ELNS1_11target_archE1201ELNS1_3gpuE5ELNS1_3repE0EEENS1_52radix_sort_onesweep_histogram_config_static_selectorELNS0_4arch9wavefront6targetE1EEEvSE_ ; -- Begin function _ZN7rocprim17ROCPRIM_400000_NS6detail17trampoline_kernelINS0_14default_configENS1_35radix_sort_onesweep_config_selectorIdlEEZNS1_34radix_sort_onesweep_global_offsetsIS3_Lb0EPdN6thrust23THRUST_200600_302600_NS10device_ptrIlEEjNS0_19identity_decomposerEEE10hipError_tT1_T2_PT3_SG_jT4_jjP12ihipStream_tbEUlT_E0_NS1_11comp_targetILNS1_3genE10ELNS1_11target_archE1201ELNS1_3gpuE5ELNS1_3repE0EEENS1_52radix_sort_onesweep_histogram_config_static_selectorELNS0_4arch9wavefront6targetE1EEEvSE_
	.globl	_ZN7rocprim17ROCPRIM_400000_NS6detail17trampoline_kernelINS0_14default_configENS1_35radix_sort_onesweep_config_selectorIdlEEZNS1_34radix_sort_onesweep_global_offsetsIS3_Lb0EPdN6thrust23THRUST_200600_302600_NS10device_ptrIlEEjNS0_19identity_decomposerEEE10hipError_tT1_T2_PT3_SG_jT4_jjP12ihipStream_tbEUlT_E0_NS1_11comp_targetILNS1_3genE10ELNS1_11target_archE1201ELNS1_3gpuE5ELNS1_3repE0EEENS1_52radix_sort_onesweep_histogram_config_static_selectorELNS0_4arch9wavefront6targetE1EEEvSE_
	.p2align	8
	.type	_ZN7rocprim17ROCPRIM_400000_NS6detail17trampoline_kernelINS0_14default_configENS1_35radix_sort_onesweep_config_selectorIdlEEZNS1_34radix_sort_onesweep_global_offsetsIS3_Lb0EPdN6thrust23THRUST_200600_302600_NS10device_ptrIlEEjNS0_19identity_decomposerEEE10hipError_tT1_T2_PT3_SG_jT4_jjP12ihipStream_tbEUlT_E0_NS1_11comp_targetILNS1_3genE10ELNS1_11target_archE1201ELNS1_3gpuE5ELNS1_3repE0EEENS1_52radix_sort_onesweep_histogram_config_static_selectorELNS0_4arch9wavefront6targetE1EEEvSE_,@function
_ZN7rocprim17ROCPRIM_400000_NS6detail17trampoline_kernelINS0_14default_configENS1_35radix_sort_onesweep_config_selectorIdlEEZNS1_34radix_sort_onesweep_global_offsetsIS3_Lb0EPdN6thrust23THRUST_200600_302600_NS10device_ptrIlEEjNS0_19identity_decomposerEEE10hipError_tT1_T2_PT3_SG_jT4_jjP12ihipStream_tbEUlT_E0_NS1_11comp_targetILNS1_3genE10ELNS1_11target_archE1201ELNS1_3gpuE5ELNS1_3repE0EEENS1_52radix_sort_onesweep_histogram_config_static_selectorELNS0_4arch9wavefront6targetE1EEEvSE_: ; @_ZN7rocprim17ROCPRIM_400000_NS6detail17trampoline_kernelINS0_14default_configENS1_35radix_sort_onesweep_config_selectorIdlEEZNS1_34radix_sort_onesweep_global_offsetsIS3_Lb0EPdN6thrust23THRUST_200600_302600_NS10device_ptrIlEEjNS0_19identity_decomposerEEE10hipError_tT1_T2_PT3_SG_jT4_jjP12ihipStream_tbEUlT_E0_NS1_11comp_targetILNS1_3genE10ELNS1_11target_archE1201ELNS1_3gpuE5ELNS1_3repE0EEENS1_52radix_sort_onesweep_histogram_config_static_selectorELNS0_4arch9wavefront6targetE1EEEvSE_
; %bb.0:
	.section	.rodata,"a",@progbits
	.p2align	6, 0x0
	.amdhsa_kernel _ZN7rocprim17ROCPRIM_400000_NS6detail17trampoline_kernelINS0_14default_configENS1_35radix_sort_onesweep_config_selectorIdlEEZNS1_34radix_sort_onesweep_global_offsetsIS3_Lb0EPdN6thrust23THRUST_200600_302600_NS10device_ptrIlEEjNS0_19identity_decomposerEEE10hipError_tT1_T2_PT3_SG_jT4_jjP12ihipStream_tbEUlT_E0_NS1_11comp_targetILNS1_3genE10ELNS1_11target_archE1201ELNS1_3gpuE5ELNS1_3repE0EEENS1_52radix_sort_onesweep_histogram_config_static_selectorELNS0_4arch9wavefront6targetE1EEEvSE_
		.amdhsa_group_segment_fixed_size 0
		.amdhsa_private_segment_fixed_size 0
		.amdhsa_kernarg_size 8
		.amdhsa_user_sgpr_count 6
		.amdhsa_user_sgpr_private_segment_buffer 1
		.amdhsa_user_sgpr_dispatch_ptr 0
		.amdhsa_user_sgpr_queue_ptr 0
		.amdhsa_user_sgpr_kernarg_segment_ptr 1
		.amdhsa_user_sgpr_dispatch_id 0
		.amdhsa_user_sgpr_flat_scratch_init 0
		.amdhsa_user_sgpr_private_segment_size 0
		.amdhsa_uses_dynamic_stack 0
		.amdhsa_system_sgpr_private_segment_wavefront_offset 0
		.amdhsa_system_sgpr_workgroup_id_x 1
		.amdhsa_system_sgpr_workgroup_id_y 0
		.amdhsa_system_sgpr_workgroup_id_z 0
		.amdhsa_system_sgpr_workgroup_info 0
		.amdhsa_system_vgpr_workitem_id 0
		.amdhsa_next_free_vgpr 1
		.amdhsa_next_free_sgpr 0
		.amdhsa_reserve_vcc 0
		.amdhsa_reserve_flat_scratch 0
		.amdhsa_float_round_mode_32 0
		.amdhsa_float_round_mode_16_64 0
		.amdhsa_float_denorm_mode_32 3
		.amdhsa_float_denorm_mode_16_64 3
		.amdhsa_dx10_clamp 1
		.amdhsa_ieee_mode 1
		.amdhsa_fp16_overflow 0
		.amdhsa_exception_fp_ieee_invalid_op 0
		.amdhsa_exception_fp_denorm_src 0
		.amdhsa_exception_fp_ieee_div_zero 0
		.amdhsa_exception_fp_ieee_overflow 0
		.amdhsa_exception_fp_ieee_underflow 0
		.amdhsa_exception_fp_ieee_inexact 0
		.amdhsa_exception_int_div_zero 0
	.end_amdhsa_kernel
	.section	.text._ZN7rocprim17ROCPRIM_400000_NS6detail17trampoline_kernelINS0_14default_configENS1_35radix_sort_onesweep_config_selectorIdlEEZNS1_34radix_sort_onesweep_global_offsetsIS3_Lb0EPdN6thrust23THRUST_200600_302600_NS10device_ptrIlEEjNS0_19identity_decomposerEEE10hipError_tT1_T2_PT3_SG_jT4_jjP12ihipStream_tbEUlT_E0_NS1_11comp_targetILNS1_3genE10ELNS1_11target_archE1201ELNS1_3gpuE5ELNS1_3repE0EEENS1_52radix_sort_onesweep_histogram_config_static_selectorELNS0_4arch9wavefront6targetE1EEEvSE_,"axG",@progbits,_ZN7rocprim17ROCPRIM_400000_NS6detail17trampoline_kernelINS0_14default_configENS1_35radix_sort_onesweep_config_selectorIdlEEZNS1_34radix_sort_onesweep_global_offsetsIS3_Lb0EPdN6thrust23THRUST_200600_302600_NS10device_ptrIlEEjNS0_19identity_decomposerEEE10hipError_tT1_T2_PT3_SG_jT4_jjP12ihipStream_tbEUlT_E0_NS1_11comp_targetILNS1_3genE10ELNS1_11target_archE1201ELNS1_3gpuE5ELNS1_3repE0EEENS1_52radix_sort_onesweep_histogram_config_static_selectorELNS0_4arch9wavefront6targetE1EEEvSE_,comdat
.Lfunc_end1613:
	.size	_ZN7rocprim17ROCPRIM_400000_NS6detail17trampoline_kernelINS0_14default_configENS1_35radix_sort_onesweep_config_selectorIdlEEZNS1_34radix_sort_onesweep_global_offsetsIS3_Lb0EPdN6thrust23THRUST_200600_302600_NS10device_ptrIlEEjNS0_19identity_decomposerEEE10hipError_tT1_T2_PT3_SG_jT4_jjP12ihipStream_tbEUlT_E0_NS1_11comp_targetILNS1_3genE10ELNS1_11target_archE1201ELNS1_3gpuE5ELNS1_3repE0EEENS1_52radix_sort_onesweep_histogram_config_static_selectorELNS0_4arch9wavefront6targetE1EEEvSE_, .Lfunc_end1613-_ZN7rocprim17ROCPRIM_400000_NS6detail17trampoline_kernelINS0_14default_configENS1_35radix_sort_onesweep_config_selectorIdlEEZNS1_34radix_sort_onesweep_global_offsetsIS3_Lb0EPdN6thrust23THRUST_200600_302600_NS10device_ptrIlEEjNS0_19identity_decomposerEEE10hipError_tT1_T2_PT3_SG_jT4_jjP12ihipStream_tbEUlT_E0_NS1_11comp_targetILNS1_3genE10ELNS1_11target_archE1201ELNS1_3gpuE5ELNS1_3repE0EEENS1_52radix_sort_onesweep_histogram_config_static_selectorELNS0_4arch9wavefront6targetE1EEEvSE_
                                        ; -- End function
	.set _ZN7rocprim17ROCPRIM_400000_NS6detail17trampoline_kernelINS0_14default_configENS1_35radix_sort_onesweep_config_selectorIdlEEZNS1_34radix_sort_onesweep_global_offsetsIS3_Lb0EPdN6thrust23THRUST_200600_302600_NS10device_ptrIlEEjNS0_19identity_decomposerEEE10hipError_tT1_T2_PT3_SG_jT4_jjP12ihipStream_tbEUlT_E0_NS1_11comp_targetILNS1_3genE10ELNS1_11target_archE1201ELNS1_3gpuE5ELNS1_3repE0EEENS1_52radix_sort_onesweep_histogram_config_static_selectorELNS0_4arch9wavefront6targetE1EEEvSE_.num_vgpr, 0
	.set _ZN7rocprim17ROCPRIM_400000_NS6detail17trampoline_kernelINS0_14default_configENS1_35radix_sort_onesweep_config_selectorIdlEEZNS1_34radix_sort_onesweep_global_offsetsIS3_Lb0EPdN6thrust23THRUST_200600_302600_NS10device_ptrIlEEjNS0_19identity_decomposerEEE10hipError_tT1_T2_PT3_SG_jT4_jjP12ihipStream_tbEUlT_E0_NS1_11comp_targetILNS1_3genE10ELNS1_11target_archE1201ELNS1_3gpuE5ELNS1_3repE0EEENS1_52radix_sort_onesweep_histogram_config_static_selectorELNS0_4arch9wavefront6targetE1EEEvSE_.num_agpr, 0
	.set _ZN7rocprim17ROCPRIM_400000_NS6detail17trampoline_kernelINS0_14default_configENS1_35radix_sort_onesweep_config_selectorIdlEEZNS1_34radix_sort_onesweep_global_offsetsIS3_Lb0EPdN6thrust23THRUST_200600_302600_NS10device_ptrIlEEjNS0_19identity_decomposerEEE10hipError_tT1_T2_PT3_SG_jT4_jjP12ihipStream_tbEUlT_E0_NS1_11comp_targetILNS1_3genE10ELNS1_11target_archE1201ELNS1_3gpuE5ELNS1_3repE0EEENS1_52radix_sort_onesweep_histogram_config_static_selectorELNS0_4arch9wavefront6targetE1EEEvSE_.numbered_sgpr, 0
	.set _ZN7rocprim17ROCPRIM_400000_NS6detail17trampoline_kernelINS0_14default_configENS1_35radix_sort_onesweep_config_selectorIdlEEZNS1_34radix_sort_onesweep_global_offsetsIS3_Lb0EPdN6thrust23THRUST_200600_302600_NS10device_ptrIlEEjNS0_19identity_decomposerEEE10hipError_tT1_T2_PT3_SG_jT4_jjP12ihipStream_tbEUlT_E0_NS1_11comp_targetILNS1_3genE10ELNS1_11target_archE1201ELNS1_3gpuE5ELNS1_3repE0EEENS1_52radix_sort_onesweep_histogram_config_static_selectorELNS0_4arch9wavefront6targetE1EEEvSE_.num_named_barrier, 0
	.set _ZN7rocprim17ROCPRIM_400000_NS6detail17trampoline_kernelINS0_14default_configENS1_35radix_sort_onesweep_config_selectorIdlEEZNS1_34radix_sort_onesweep_global_offsetsIS3_Lb0EPdN6thrust23THRUST_200600_302600_NS10device_ptrIlEEjNS0_19identity_decomposerEEE10hipError_tT1_T2_PT3_SG_jT4_jjP12ihipStream_tbEUlT_E0_NS1_11comp_targetILNS1_3genE10ELNS1_11target_archE1201ELNS1_3gpuE5ELNS1_3repE0EEENS1_52radix_sort_onesweep_histogram_config_static_selectorELNS0_4arch9wavefront6targetE1EEEvSE_.private_seg_size, 0
	.set _ZN7rocprim17ROCPRIM_400000_NS6detail17trampoline_kernelINS0_14default_configENS1_35radix_sort_onesweep_config_selectorIdlEEZNS1_34radix_sort_onesweep_global_offsetsIS3_Lb0EPdN6thrust23THRUST_200600_302600_NS10device_ptrIlEEjNS0_19identity_decomposerEEE10hipError_tT1_T2_PT3_SG_jT4_jjP12ihipStream_tbEUlT_E0_NS1_11comp_targetILNS1_3genE10ELNS1_11target_archE1201ELNS1_3gpuE5ELNS1_3repE0EEENS1_52radix_sort_onesweep_histogram_config_static_selectorELNS0_4arch9wavefront6targetE1EEEvSE_.uses_vcc, 0
	.set _ZN7rocprim17ROCPRIM_400000_NS6detail17trampoline_kernelINS0_14default_configENS1_35radix_sort_onesweep_config_selectorIdlEEZNS1_34radix_sort_onesweep_global_offsetsIS3_Lb0EPdN6thrust23THRUST_200600_302600_NS10device_ptrIlEEjNS0_19identity_decomposerEEE10hipError_tT1_T2_PT3_SG_jT4_jjP12ihipStream_tbEUlT_E0_NS1_11comp_targetILNS1_3genE10ELNS1_11target_archE1201ELNS1_3gpuE5ELNS1_3repE0EEENS1_52radix_sort_onesweep_histogram_config_static_selectorELNS0_4arch9wavefront6targetE1EEEvSE_.uses_flat_scratch, 0
	.set _ZN7rocprim17ROCPRIM_400000_NS6detail17trampoline_kernelINS0_14default_configENS1_35radix_sort_onesweep_config_selectorIdlEEZNS1_34radix_sort_onesweep_global_offsetsIS3_Lb0EPdN6thrust23THRUST_200600_302600_NS10device_ptrIlEEjNS0_19identity_decomposerEEE10hipError_tT1_T2_PT3_SG_jT4_jjP12ihipStream_tbEUlT_E0_NS1_11comp_targetILNS1_3genE10ELNS1_11target_archE1201ELNS1_3gpuE5ELNS1_3repE0EEENS1_52radix_sort_onesweep_histogram_config_static_selectorELNS0_4arch9wavefront6targetE1EEEvSE_.has_dyn_sized_stack, 0
	.set _ZN7rocprim17ROCPRIM_400000_NS6detail17trampoline_kernelINS0_14default_configENS1_35radix_sort_onesweep_config_selectorIdlEEZNS1_34radix_sort_onesweep_global_offsetsIS3_Lb0EPdN6thrust23THRUST_200600_302600_NS10device_ptrIlEEjNS0_19identity_decomposerEEE10hipError_tT1_T2_PT3_SG_jT4_jjP12ihipStream_tbEUlT_E0_NS1_11comp_targetILNS1_3genE10ELNS1_11target_archE1201ELNS1_3gpuE5ELNS1_3repE0EEENS1_52radix_sort_onesweep_histogram_config_static_selectorELNS0_4arch9wavefront6targetE1EEEvSE_.has_recursion, 0
	.set _ZN7rocprim17ROCPRIM_400000_NS6detail17trampoline_kernelINS0_14default_configENS1_35radix_sort_onesweep_config_selectorIdlEEZNS1_34radix_sort_onesweep_global_offsetsIS3_Lb0EPdN6thrust23THRUST_200600_302600_NS10device_ptrIlEEjNS0_19identity_decomposerEEE10hipError_tT1_T2_PT3_SG_jT4_jjP12ihipStream_tbEUlT_E0_NS1_11comp_targetILNS1_3genE10ELNS1_11target_archE1201ELNS1_3gpuE5ELNS1_3repE0EEENS1_52radix_sort_onesweep_histogram_config_static_selectorELNS0_4arch9wavefront6targetE1EEEvSE_.has_indirect_call, 0
	.section	.AMDGPU.csdata,"",@progbits
; Kernel info:
; codeLenInByte = 0
; TotalNumSgprs: 4
; NumVgprs: 0
; ScratchSize: 0
; MemoryBound: 0
; FloatMode: 240
; IeeeMode: 1
; LDSByteSize: 0 bytes/workgroup (compile time only)
; SGPRBlocks: 0
; VGPRBlocks: 0
; NumSGPRsForWavesPerEU: 4
; NumVGPRsForWavesPerEU: 1
; Occupancy: 10
; WaveLimiterHint : 0
; COMPUTE_PGM_RSRC2:SCRATCH_EN: 0
; COMPUTE_PGM_RSRC2:USER_SGPR: 6
; COMPUTE_PGM_RSRC2:TRAP_HANDLER: 0
; COMPUTE_PGM_RSRC2:TGID_X_EN: 1
; COMPUTE_PGM_RSRC2:TGID_Y_EN: 0
; COMPUTE_PGM_RSRC2:TGID_Z_EN: 0
; COMPUTE_PGM_RSRC2:TIDIG_COMP_CNT: 0
	.section	.text._ZN7rocprim17ROCPRIM_400000_NS6detail17trampoline_kernelINS0_14default_configENS1_35radix_sort_onesweep_config_selectorIdlEEZNS1_34radix_sort_onesweep_global_offsetsIS3_Lb0EPdN6thrust23THRUST_200600_302600_NS10device_ptrIlEEjNS0_19identity_decomposerEEE10hipError_tT1_T2_PT3_SG_jT4_jjP12ihipStream_tbEUlT_E0_NS1_11comp_targetILNS1_3genE9ELNS1_11target_archE1100ELNS1_3gpuE3ELNS1_3repE0EEENS1_52radix_sort_onesweep_histogram_config_static_selectorELNS0_4arch9wavefront6targetE1EEEvSE_,"axG",@progbits,_ZN7rocprim17ROCPRIM_400000_NS6detail17trampoline_kernelINS0_14default_configENS1_35radix_sort_onesweep_config_selectorIdlEEZNS1_34radix_sort_onesweep_global_offsetsIS3_Lb0EPdN6thrust23THRUST_200600_302600_NS10device_ptrIlEEjNS0_19identity_decomposerEEE10hipError_tT1_T2_PT3_SG_jT4_jjP12ihipStream_tbEUlT_E0_NS1_11comp_targetILNS1_3genE9ELNS1_11target_archE1100ELNS1_3gpuE3ELNS1_3repE0EEENS1_52radix_sort_onesweep_histogram_config_static_selectorELNS0_4arch9wavefront6targetE1EEEvSE_,comdat
	.protected	_ZN7rocprim17ROCPRIM_400000_NS6detail17trampoline_kernelINS0_14default_configENS1_35radix_sort_onesweep_config_selectorIdlEEZNS1_34radix_sort_onesweep_global_offsetsIS3_Lb0EPdN6thrust23THRUST_200600_302600_NS10device_ptrIlEEjNS0_19identity_decomposerEEE10hipError_tT1_T2_PT3_SG_jT4_jjP12ihipStream_tbEUlT_E0_NS1_11comp_targetILNS1_3genE9ELNS1_11target_archE1100ELNS1_3gpuE3ELNS1_3repE0EEENS1_52radix_sort_onesweep_histogram_config_static_selectorELNS0_4arch9wavefront6targetE1EEEvSE_ ; -- Begin function _ZN7rocprim17ROCPRIM_400000_NS6detail17trampoline_kernelINS0_14default_configENS1_35radix_sort_onesweep_config_selectorIdlEEZNS1_34radix_sort_onesweep_global_offsetsIS3_Lb0EPdN6thrust23THRUST_200600_302600_NS10device_ptrIlEEjNS0_19identity_decomposerEEE10hipError_tT1_T2_PT3_SG_jT4_jjP12ihipStream_tbEUlT_E0_NS1_11comp_targetILNS1_3genE9ELNS1_11target_archE1100ELNS1_3gpuE3ELNS1_3repE0EEENS1_52radix_sort_onesweep_histogram_config_static_selectorELNS0_4arch9wavefront6targetE1EEEvSE_
	.globl	_ZN7rocprim17ROCPRIM_400000_NS6detail17trampoline_kernelINS0_14default_configENS1_35radix_sort_onesweep_config_selectorIdlEEZNS1_34radix_sort_onesweep_global_offsetsIS3_Lb0EPdN6thrust23THRUST_200600_302600_NS10device_ptrIlEEjNS0_19identity_decomposerEEE10hipError_tT1_T2_PT3_SG_jT4_jjP12ihipStream_tbEUlT_E0_NS1_11comp_targetILNS1_3genE9ELNS1_11target_archE1100ELNS1_3gpuE3ELNS1_3repE0EEENS1_52radix_sort_onesweep_histogram_config_static_selectorELNS0_4arch9wavefront6targetE1EEEvSE_
	.p2align	8
	.type	_ZN7rocprim17ROCPRIM_400000_NS6detail17trampoline_kernelINS0_14default_configENS1_35radix_sort_onesweep_config_selectorIdlEEZNS1_34radix_sort_onesweep_global_offsetsIS3_Lb0EPdN6thrust23THRUST_200600_302600_NS10device_ptrIlEEjNS0_19identity_decomposerEEE10hipError_tT1_T2_PT3_SG_jT4_jjP12ihipStream_tbEUlT_E0_NS1_11comp_targetILNS1_3genE9ELNS1_11target_archE1100ELNS1_3gpuE3ELNS1_3repE0EEENS1_52radix_sort_onesweep_histogram_config_static_selectorELNS0_4arch9wavefront6targetE1EEEvSE_,@function
_ZN7rocprim17ROCPRIM_400000_NS6detail17trampoline_kernelINS0_14default_configENS1_35radix_sort_onesweep_config_selectorIdlEEZNS1_34radix_sort_onesweep_global_offsetsIS3_Lb0EPdN6thrust23THRUST_200600_302600_NS10device_ptrIlEEjNS0_19identity_decomposerEEE10hipError_tT1_T2_PT3_SG_jT4_jjP12ihipStream_tbEUlT_E0_NS1_11comp_targetILNS1_3genE9ELNS1_11target_archE1100ELNS1_3gpuE3ELNS1_3repE0EEENS1_52radix_sort_onesweep_histogram_config_static_selectorELNS0_4arch9wavefront6targetE1EEEvSE_: ; @_ZN7rocprim17ROCPRIM_400000_NS6detail17trampoline_kernelINS0_14default_configENS1_35radix_sort_onesweep_config_selectorIdlEEZNS1_34radix_sort_onesweep_global_offsetsIS3_Lb0EPdN6thrust23THRUST_200600_302600_NS10device_ptrIlEEjNS0_19identity_decomposerEEE10hipError_tT1_T2_PT3_SG_jT4_jjP12ihipStream_tbEUlT_E0_NS1_11comp_targetILNS1_3genE9ELNS1_11target_archE1100ELNS1_3gpuE3ELNS1_3repE0EEENS1_52radix_sort_onesweep_histogram_config_static_selectorELNS0_4arch9wavefront6targetE1EEEvSE_
; %bb.0:
	.section	.rodata,"a",@progbits
	.p2align	6, 0x0
	.amdhsa_kernel _ZN7rocprim17ROCPRIM_400000_NS6detail17trampoline_kernelINS0_14default_configENS1_35radix_sort_onesweep_config_selectorIdlEEZNS1_34radix_sort_onesweep_global_offsetsIS3_Lb0EPdN6thrust23THRUST_200600_302600_NS10device_ptrIlEEjNS0_19identity_decomposerEEE10hipError_tT1_T2_PT3_SG_jT4_jjP12ihipStream_tbEUlT_E0_NS1_11comp_targetILNS1_3genE9ELNS1_11target_archE1100ELNS1_3gpuE3ELNS1_3repE0EEENS1_52radix_sort_onesweep_histogram_config_static_selectorELNS0_4arch9wavefront6targetE1EEEvSE_
		.amdhsa_group_segment_fixed_size 0
		.amdhsa_private_segment_fixed_size 0
		.amdhsa_kernarg_size 8
		.amdhsa_user_sgpr_count 6
		.amdhsa_user_sgpr_private_segment_buffer 1
		.amdhsa_user_sgpr_dispatch_ptr 0
		.amdhsa_user_sgpr_queue_ptr 0
		.amdhsa_user_sgpr_kernarg_segment_ptr 1
		.amdhsa_user_sgpr_dispatch_id 0
		.amdhsa_user_sgpr_flat_scratch_init 0
		.amdhsa_user_sgpr_private_segment_size 0
		.amdhsa_uses_dynamic_stack 0
		.amdhsa_system_sgpr_private_segment_wavefront_offset 0
		.amdhsa_system_sgpr_workgroup_id_x 1
		.amdhsa_system_sgpr_workgroup_id_y 0
		.amdhsa_system_sgpr_workgroup_id_z 0
		.amdhsa_system_sgpr_workgroup_info 0
		.amdhsa_system_vgpr_workitem_id 0
		.amdhsa_next_free_vgpr 1
		.amdhsa_next_free_sgpr 0
		.amdhsa_reserve_vcc 0
		.amdhsa_reserve_flat_scratch 0
		.amdhsa_float_round_mode_32 0
		.amdhsa_float_round_mode_16_64 0
		.amdhsa_float_denorm_mode_32 3
		.amdhsa_float_denorm_mode_16_64 3
		.amdhsa_dx10_clamp 1
		.amdhsa_ieee_mode 1
		.amdhsa_fp16_overflow 0
		.amdhsa_exception_fp_ieee_invalid_op 0
		.amdhsa_exception_fp_denorm_src 0
		.amdhsa_exception_fp_ieee_div_zero 0
		.amdhsa_exception_fp_ieee_overflow 0
		.amdhsa_exception_fp_ieee_underflow 0
		.amdhsa_exception_fp_ieee_inexact 0
		.amdhsa_exception_int_div_zero 0
	.end_amdhsa_kernel
	.section	.text._ZN7rocprim17ROCPRIM_400000_NS6detail17trampoline_kernelINS0_14default_configENS1_35radix_sort_onesweep_config_selectorIdlEEZNS1_34radix_sort_onesweep_global_offsetsIS3_Lb0EPdN6thrust23THRUST_200600_302600_NS10device_ptrIlEEjNS0_19identity_decomposerEEE10hipError_tT1_T2_PT3_SG_jT4_jjP12ihipStream_tbEUlT_E0_NS1_11comp_targetILNS1_3genE9ELNS1_11target_archE1100ELNS1_3gpuE3ELNS1_3repE0EEENS1_52radix_sort_onesweep_histogram_config_static_selectorELNS0_4arch9wavefront6targetE1EEEvSE_,"axG",@progbits,_ZN7rocprim17ROCPRIM_400000_NS6detail17trampoline_kernelINS0_14default_configENS1_35radix_sort_onesweep_config_selectorIdlEEZNS1_34radix_sort_onesweep_global_offsetsIS3_Lb0EPdN6thrust23THRUST_200600_302600_NS10device_ptrIlEEjNS0_19identity_decomposerEEE10hipError_tT1_T2_PT3_SG_jT4_jjP12ihipStream_tbEUlT_E0_NS1_11comp_targetILNS1_3genE9ELNS1_11target_archE1100ELNS1_3gpuE3ELNS1_3repE0EEENS1_52radix_sort_onesweep_histogram_config_static_selectorELNS0_4arch9wavefront6targetE1EEEvSE_,comdat
.Lfunc_end1614:
	.size	_ZN7rocprim17ROCPRIM_400000_NS6detail17trampoline_kernelINS0_14default_configENS1_35radix_sort_onesweep_config_selectorIdlEEZNS1_34radix_sort_onesweep_global_offsetsIS3_Lb0EPdN6thrust23THRUST_200600_302600_NS10device_ptrIlEEjNS0_19identity_decomposerEEE10hipError_tT1_T2_PT3_SG_jT4_jjP12ihipStream_tbEUlT_E0_NS1_11comp_targetILNS1_3genE9ELNS1_11target_archE1100ELNS1_3gpuE3ELNS1_3repE0EEENS1_52radix_sort_onesweep_histogram_config_static_selectorELNS0_4arch9wavefront6targetE1EEEvSE_, .Lfunc_end1614-_ZN7rocprim17ROCPRIM_400000_NS6detail17trampoline_kernelINS0_14default_configENS1_35radix_sort_onesweep_config_selectorIdlEEZNS1_34radix_sort_onesweep_global_offsetsIS3_Lb0EPdN6thrust23THRUST_200600_302600_NS10device_ptrIlEEjNS0_19identity_decomposerEEE10hipError_tT1_T2_PT3_SG_jT4_jjP12ihipStream_tbEUlT_E0_NS1_11comp_targetILNS1_3genE9ELNS1_11target_archE1100ELNS1_3gpuE3ELNS1_3repE0EEENS1_52radix_sort_onesweep_histogram_config_static_selectorELNS0_4arch9wavefront6targetE1EEEvSE_
                                        ; -- End function
	.set _ZN7rocprim17ROCPRIM_400000_NS6detail17trampoline_kernelINS0_14default_configENS1_35radix_sort_onesweep_config_selectorIdlEEZNS1_34radix_sort_onesweep_global_offsetsIS3_Lb0EPdN6thrust23THRUST_200600_302600_NS10device_ptrIlEEjNS0_19identity_decomposerEEE10hipError_tT1_T2_PT3_SG_jT4_jjP12ihipStream_tbEUlT_E0_NS1_11comp_targetILNS1_3genE9ELNS1_11target_archE1100ELNS1_3gpuE3ELNS1_3repE0EEENS1_52radix_sort_onesweep_histogram_config_static_selectorELNS0_4arch9wavefront6targetE1EEEvSE_.num_vgpr, 0
	.set _ZN7rocprim17ROCPRIM_400000_NS6detail17trampoline_kernelINS0_14default_configENS1_35radix_sort_onesweep_config_selectorIdlEEZNS1_34radix_sort_onesweep_global_offsetsIS3_Lb0EPdN6thrust23THRUST_200600_302600_NS10device_ptrIlEEjNS0_19identity_decomposerEEE10hipError_tT1_T2_PT3_SG_jT4_jjP12ihipStream_tbEUlT_E0_NS1_11comp_targetILNS1_3genE9ELNS1_11target_archE1100ELNS1_3gpuE3ELNS1_3repE0EEENS1_52radix_sort_onesweep_histogram_config_static_selectorELNS0_4arch9wavefront6targetE1EEEvSE_.num_agpr, 0
	.set _ZN7rocprim17ROCPRIM_400000_NS6detail17trampoline_kernelINS0_14default_configENS1_35radix_sort_onesweep_config_selectorIdlEEZNS1_34radix_sort_onesweep_global_offsetsIS3_Lb0EPdN6thrust23THRUST_200600_302600_NS10device_ptrIlEEjNS0_19identity_decomposerEEE10hipError_tT1_T2_PT3_SG_jT4_jjP12ihipStream_tbEUlT_E0_NS1_11comp_targetILNS1_3genE9ELNS1_11target_archE1100ELNS1_3gpuE3ELNS1_3repE0EEENS1_52radix_sort_onesweep_histogram_config_static_selectorELNS0_4arch9wavefront6targetE1EEEvSE_.numbered_sgpr, 0
	.set _ZN7rocprim17ROCPRIM_400000_NS6detail17trampoline_kernelINS0_14default_configENS1_35radix_sort_onesweep_config_selectorIdlEEZNS1_34radix_sort_onesweep_global_offsetsIS3_Lb0EPdN6thrust23THRUST_200600_302600_NS10device_ptrIlEEjNS0_19identity_decomposerEEE10hipError_tT1_T2_PT3_SG_jT4_jjP12ihipStream_tbEUlT_E0_NS1_11comp_targetILNS1_3genE9ELNS1_11target_archE1100ELNS1_3gpuE3ELNS1_3repE0EEENS1_52radix_sort_onesweep_histogram_config_static_selectorELNS0_4arch9wavefront6targetE1EEEvSE_.num_named_barrier, 0
	.set _ZN7rocprim17ROCPRIM_400000_NS6detail17trampoline_kernelINS0_14default_configENS1_35radix_sort_onesweep_config_selectorIdlEEZNS1_34radix_sort_onesweep_global_offsetsIS3_Lb0EPdN6thrust23THRUST_200600_302600_NS10device_ptrIlEEjNS0_19identity_decomposerEEE10hipError_tT1_T2_PT3_SG_jT4_jjP12ihipStream_tbEUlT_E0_NS1_11comp_targetILNS1_3genE9ELNS1_11target_archE1100ELNS1_3gpuE3ELNS1_3repE0EEENS1_52radix_sort_onesweep_histogram_config_static_selectorELNS0_4arch9wavefront6targetE1EEEvSE_.private_seg_size, 0
	.set _ZN7rocprim17ROCPRIM_400000_NS6detail17trampoline_kernelINS0_14default_configENS1_35radix_sort_onesweep_config_selectorIdlEEZNS1_34radix_sort_onesweep_global_offsetsIS3_Lb0EPdN6thrust23THRUST_200600_302600_NS10device_ptrIlEEjNS0_19identity_decomposerEEE10hipError_tT1_T2_PT3_SG_jT4_jjP12ihipStream_tbEUlT_E0_NS1_11comp_targetILNS1_3genE9ELNS1_11target_archE1100ELNS1_3gpuE3ELNS1_3repE0EEENS1_52radix_sort_onesweep_histogram_config_static_selectorELNS0_4arch9wavefront6targetE1EEEvSE_.uses_vcc, 0
	.set _ZN7rocprim17ROCPRIM_400000_NS6detail17trampoline_kernelINS0_14default_configENS1_35radix_sort_onesweep_config_selectorIdlEEZNS1_34radix_sort_onesweep_global_offsetsIS3_Lb0EPdN6thrust23THRUST_200600_302600_NS10device_ptrIlEEjNS0_19identity_decomposerEEE10hipError_tT1_T2_PT3_SG_jT4_jjP12ihipStream_tbEUlT_E0_NS1_11comp_targetILNS1_3genE9ELNS1_11target_archE1100ELNS1_3gpuE3ELNS1_3repE0EEENS1_52radix_sort_onesweep_histogram_config_static_selectorELNS0_4arch9wavefront6targetE1EEEvSE_.uses_flat_scratch, 0
	.set _ZN7rocprim17ROCPRIM_400000_NS6detail17trampoline_kernelINS0_14default_configENS1_35radix_sort_onesweep_config_selectorIdlEEZNS1_34radix_sort_onesweep_global_offsetsIS3_Lb0EPdN6thrust23THRUST_200600_302600_NS10device_ptrIlEEjNS0_19identity_decomposerEEE10hipError_tT1_T2_PT3_SG_jT4_jjP12ihipStream_tbEUlT_E0_NS1_11comp_targetILNS1_3genE9ELNS1_11target_archE1100ELNS1_3gpuE3ELNS1_3repE0EEENS1_52radix_sort_onesweep_histogram_config_static_selectorELNS0_4arch9wavefront6targetE1EEEvSE_.has_dyn_sized_stack, 0
	.set _ZN7rocprim17ROCPRIM_400000_NS6detail17trampoline_kernelINS0_14default_configENS1_35radix_sort_onesweep_config_selectorIdlEEZNS1_34radix_sort_onesweep_global_offsetsIS3_Lb0EPdN6thrust23THRUST_200600_302600_NS10device_ptrIlEEjNS0_19identity_decomposerEEE10hipError_tT1_T2_PT3_SG_jT4_jjP12ihipStream_tbEUlT_E0_NS1_11comp_targetILNS1_3genE9ELNS1_11target_archE1100ELNS1_3gpuE3ELNS1_3repE0EEENS1_52radix_sort_onesweep_histogram_config_static_selectorELNS0_4arch9wavefront6targetE1EEEvSE_.has_recursion, 0
	.set _ZN7rocprim17ROCPRIM_400000_NS6detail17trampoline_kernelINS0_14default_configENS1_35radix_sort_onesweep_config_selectorIdlEEZNS1_34radix_sort_onesweep_global_offsetsIS3_Lb0EPdN6thrust23THRUST_200600_302600_NS10device_ptrIlEEjNS0_19identity_decomposerEEE10hipError_tT1_T2_PT3_SG_jT4_jjP12ihipStream_tbEUlT_E0_NS1_11comp_targetILNS1_3genE9ELNS1_11target_archE1100ELNS1_3gpuE3ELNS1_3repE0EEENS1_52radix_sort_onesweep_histogram_config_static_selectorELNS0_4arch9wavefront6targetE1EEEvSE_.has_indirect_call, 0
	.section	.AMDGPU.csdata,"",@progbits
; Kernel info:
; codeLenInByte = 0
; TotalNumSgprs: 4
; NumVgprs: 0
; ScratchSize: 0
; MemoryBound: 0
; FloatMode: 240
; IeeeMode: 1
; LDSByteSize: 0 bytes/workgroup (compile time only)
; SGPRBlocks: 0
; VGPRBlocks: 0
; NumSGPRsForWavesPerEU: 4
; NumVGPRsForWavesPerEU: 1
; Occupancy: 10
; WaveLimiterHint : 0
; COMPUTE_PGM_RSRC2:SCRATCH_EN: 0
; COMPUTE_PGM_RSRC2:USER_SGPR: 6
; COMPUTE_PGM_RSRC2:TRAP_HANDLER: 0
; COMPUTE_PGM_RSRC2:TGID_X_EN: 1
; COMPUTE_PGM_RSRC2:TGID_Y_EN: 0
; COMPUTE_PGM_RSRC2:TGID_Z_EN: 0
; COMPUTE_PGM_RSRC2:TIDIG_COMP_CNT: 0
	.section	.text._ZN7rocprim17ROCPRIM_400000_NS6detail17trampoline_kernelINS0_14default_configENS1_35radix_sort_onesweep_config_selectorIdlEEZNS1_34radix_sort_onesweep_global_offsetsIS3_Lb0EPdN6thrust23THRUST_200600_302600_NS10device_ptrIlEEjNS0_19identity_decomposerEEE10hipError_tT1_T2_PT3_SG_jT4_jjP12ihipStream_tbEUlT_E0_NS1_11comp_targetILNS1_3genE8ELNS1_11target_archE1030ELNS1_3gpuE2ELNS1_3repE0EEENS1_52radix_sort_onesweep_histogram_config_static_selectorELNS0_4arch9wavefront6targetE1EEEvSE_,"axG",@progbits,_ZN7rocprim17ROCPRIM_400000_NS6detail17trampoline_kernelINS0_14default_configENS1_35radix_sort_onesweep_config_selectorIdlEEZNS1_34radix_sort_onesweep_global_offsetsIS3_Lb0EPdN6thrust23THRUST_200600_302600_NS10device_ptrIlEEjNS0_19identity_decomposerEEE10hipError_tT1_T2_PT3_SG_jT4_jjP12ihipStream_tbEUlT_E0_NS1_11comp_targetILNS1_3genE8ELNS1_11target_archE1030ELNS1_3gpuE2ELNS1_3repE0EEENS1_52radix_sort_onesweep_histogram_config_static_selectorELNS0_4arch9wavefront6targetE1EEEvSE_,comdat
	.protected	_ZN7rocprim17ROCPRIM_400000_NS6detail17trampoline_kernelINS0_14default_configENS1_35radix_sort_onesweep_config_selectorIdlEEZNS1_34radix_sort_onesweep_global_offsetsIS3_Lb0EPdN6thrust23THRUST_200600_302600_NS10device_ptrIlEEjNS0_19identity_decomposerEEE10hipError_tT1_T2_PT3_SG_jT4_jjP12ihipStream_tbEUlT_E0_NS1_11comp_targetILNS1_3genE8ELNS1_11target_archE1030ELNS1_3gpuE2ELNS1_3repE0EEENS1_52radix_sort_onesweep_histogram_config_static_selectorELNS0_4arch9wavefront6targetE1EEEvSE_ ; -- Begin function _ZN7rocprim17ROCPRIM_400000_NS6detail17trampoline_kernelINS0_14default_configENS1_35radix_sort_onesweep_config_selectorIdlEEZNS1_34radix_sort_onesweep_global_offsetsIS3_Lb0EPdN6thrust23THRUST_200600_302600_NS10device_ptrIlEEjNS0_19identity_decomposerEEE10hipError_tT1_T2_PT3_SG_jT4_jjP12ihipStream_tbEUlT_E0_NS1_11comp_targetILNS1_3genE8ELNS1_11target_archE1030ELNS1_3gpuE2ELNS1_3repE0EEENS1_52radix_sort_onesweep_histogram_config_static_selectorELNS0_4arch9wavefront6targetE1EEEvSE_
	.globl	_ZN7rocprim17ROCPRIM_400000_NS6detail17trampoline_kernelINS0_14default_configENS1_35radix_sort_onesweep_config_selectorIdlEEZNS1_34radix_sort_onesweep_global_offsetsIS3_Lb0EPdN6thrust23THRUST_200600_302600_NS10device_ptrIlEEjNS0_19identity_decomposerEEE10hipError_tT1_T2_PT3_SG_jT4_jjP12ihipStream_tbEUlT_E0_NS1_11comp_targetILNS1_3genE8ELNS1_11target_archE1030ELNS1_3gpuE2ELNS1_3repE0EEENS1_52radix_sort_onesweep_histogram_config_static_selectorELNS0_4arch9wavefront6targetE1EEEvSE_
	.p2align	8
	.type	_ZN7rocprim17ROCPRIM_400000_NS6detail17trampoline_kernelINS0_14default_configENS1_35radix_sort_onesweep_config_selectorIdlEEZNS1_34radix_sort_onesweep_global_offsetsIS3_Lb0EPdN6thrust23THRUST_200600_302600_NS10device_ptrIlEEjNS0_19identity_decomposerEEE10hipError_tT1_T2_PT3_SG_jT4_jjP12ihipStream_tbEUlT_E0_NS1_11comp_targetILNS1_3genE8ELNS1_11target_archE1030ELNS1_3gpuE2ELNS1_3repE0EEENS1_52radix_sort_onesweep_histogram_config_static_selectorELNS0_4arch9wavefront6targetE1EEEvSE_,@function
_ZN7rocprim17ROCPRIM_400000_NS6detail17trampoline_kernelINS0_14default_configENS1_35radix_sort_onesweep_config_selectorIdlEEZNS1_34radix_sort_onesweep_global_offsetsIS3_Lb0EPdN6thrust23THRUST_200600_302600_NS10device_ptrIlEEjNS0_19identity_decomposerEEE10hipError_tT1_T2_PT3_SG_jT4_jjP12ihipStream_tbEUlT_E0_NS1_11comp_targetILNS1_3genE8ELNS1_11target_archE1030ELNS1_3gpuE2ELNS1_3repE0EEENS1_52radix_sort_onesweep_histogram_config_static_selectorELNS0_4arch9wavefront6targetE1EEEvSE_: ; @_ZN7rocprim17ROCPRIM_400000_NS6detail17trampoline_kernelINS0_14default_configENS1_35radix_sort_onesweep_config_selectorIdlEEZNS1_34radix_sort_onesweep_global_offsetsIS3_Lb0EPdN6thrust23THRUST_200600_302600_NS10device_ptrIlEEjNS0_19identity_decomposerEEE10hipError_tT1_T2_PT3_SG_jT4_jjP12ihipStream_tbEUlT_E0_NS1_11comp_targetILNS1_3genE8ELNS1_11target_archE1030ELNS1_3gpuE2ELNS1_3repE0EEENS1_52radix_sort_onesweep_histogram_config_static_selectorELNS0_4arch9wavefront6targetE1EEEvSE_
; %bb.0:
	.section	.rodata,"a",@progbits
	.p2align	6, 0x0
	.amdhsa_kernel _ZN7rocprim17ROCPRIM_400000_NS6detail17trampoline_kernelINS0_14default_configENS1_35radix_sort_onesweep_config_selectorIdlEEZNS1_34radix_sort_onesweep_global_offsetsIS3_Lb0EPdN6thrust23THRUST_200600_302600_NS10device_ptrIlEEjNS0_19identity_decomposerEEE10hipError_tT1_T2_PT3_SG_jT4_jjP12ihipStream_tbEUlT_E0_NS1_11comp_targetILNS1_3genE8ELNS1_11target_archE1030ELNS1_3gpuE2ELNS1_3repE0EEENS1_52radix_sort_onesweep_histogram_config_static_selectorELNS0_4arch9wavefront6targetE1EEEvSE_
		.amdhsa_group_segment_fixed_size 0
		.amdhsa_private_segment_fixed_size 0
		.amdhsa_kernarg_size 8
		.amdhsa_user_sgpr_count 6
		.amdhsa_user_sgpr_private_segment_buffer 1
		.amdhsa_user_sgpr_dispatch_ptr 0
		.amdhsa_user_sgpr_queue_ptr 0
		.amdhsa_user_sgpr_kernarg_segment_ptr 1
		.amdhsa_user_sgpr_dispatch_id 0
		.amdhsa_user_sgpr_flat_scratch_init 0
		.amdhsa_user_sgpr_private_segment_size 0
		.amdhsa_uses_dynamic_stack 0
		.amdhsa_system_sgpr_private_segment_wavefront_offset 0
		.amdhsa_system_sgpr_workgroup_id_x 1
		.amdhsa_system_sgpr_workgroup_id_y 0
		.amdhsa_system_sgpr_workgroup_id_z 0
		.amdhsa_system_sgpr_workgroup_info 0
		.amdhsa_system_vgpr_workitem_id 0
		.amdhsa_next_free_vgpr 1
		.amdhsa_next_free_sgpr 0
		.amdhsa_reserve_vcc 0
		.amdhsa_reserve_flat_scratch 0
		.amdhsa_float_round_mode_32 0
		.amdhsa_float_round_mode_16_64 0
		.amdhsa_float_denorm_mode_32 3
		.amdhsa_float_denorm_mode_16_64 3
		.amdhsa_dx10_clamp 1
		.amdhsa_ieee_mode 1
		.amdhsa_fp16_overflow 0
		.amdhsa_exception_fp_ieee_invalid_op 0
		.amdhsa_exception_fp_denorm_src 0
		.amdhsa_exception_fp_ieee_div_zero 0
		.amdhsa_exception_fp_ieee_overflow 0
		.amdhsa_exception_fp_ieee_underflow 0
		.amdhsa_exception_fp_ieee_inexact 0
		.amdhsa_exception_int_div_zero 0
	.end_amdhsa_kernel
	.section	.text._ZN7rocprim17ROCPRIM_400000_NS6detail17trampoline_kernelINS0_14default_configENS1_35radix_sort_onesweep_config_selectorIdlEEZNS1_34radix_sort_onesweep_global_offsetsIS3_Lb0EPdN6thrust23THRUST_200600_302600_NS10device_ptrIlEEjNS0_19identity_decomposerEEE10hipError_tT1_T2_PT3_SG_jT4_jjP12ihipStream_tbEUlT_E0_NS1_11comp_targetILNS1_3genE8ELNS1_11target_archE1030ELNS1_3gpuE2ELNS1_3repE0EEENS1_52radix_sort_onesweep_histogram_config_static_selectorELNS0_4arch9wavefront6targetE1EEEvSE_,"axG",@progbits,_ZN7rocprim17ROCPRIM_400000_NS6detail17trampoline_kernelINS0_14default_configENS1_35radix_sort_onesweep_config_selectorIdlEEZNS1_34radix_sort_onesweep_global_offsetsIS3_Lb0EPdN6thrust23THRUST_200600_302600_NS10device_ptrIlEEjNS0_19identity_decomposerEEE10hipError_tT1_T2_PT3_SG_jT4_jjP12ihipStream_tbEUlT_E0_NS1_11comp_targetILNS1_3genE8ELNS1_11target_archE1030ELNS1_3gpuE2ELNS1_3repE0EEENS1_52radix_sort_onesweep_histogram_config_static_selectorELNS0_4arch9wavefront6targetE1EEEvSE_,comdat
.Lfunc_end1615:
	.size	_ZN7rocprim17ROCPRIM_400000_NS6detail17trampoline_kernelINS0_14default_configENS1_35radix_sort_onesweep_config_selectorIdlEEZNS1_34radix_sort_onesweep_global_offsetsIS3_Lb0EPdN6thrust23THRUST_200600_302600_NS10device_ptrIlEEjNS0_19identity_decomposerEEE10hipError_tT1_T2_PT3_SG_jT4_jjP12ihipStream_tbEUlT_E0_NS1_11comp_targetILNS1_3genE8ELNS1_11target_archE1030ELNS1_3gpuE2ELNS1_3repE0EEENS1_52radix_sort_onesweep_histogram_config_static_selectorELNS0_4arch9wavefront6targetE1EEEvSE_, .Lfunc_end1615-_ZN7rocprim17ROCPRIM_400000_NS6detail17trampoline_kernelINS0_14default_configENS1_35radix_sort_onesweep_config_selectorIdlEEZNS1_34radix_sort_onesweep_global_offsetsIS3_Lb0EPdN6thrust23THRUST_200600_302600_NS10device_ptrIlEEjNS0_19identity_decomposerEEE10hipError_tT1_T2_PT3_SG_jT4_jjP12ihipStream_tbEUlT_E0_NS1_11comp_targetILNS1_3genE8ELNS1_11target_archE1030ELNS1_3gpuE2ELNS1_3repE0EEENS1_52radix_sort_onesweep_histogram_config_static_selectorELNS0_4arch9wavefront6targetE1EEEvSE_
                                        ; -- End function
	.set _ZN7rocprim17ROCPRIM_400000_NS6detail17trampoline_kernelINS0_14default_configENS1_35radix_sort_onesweep_config_selectorIdlEEZNS1_34radix_sort_onesweep_global_offsetsIS3_Lb0EPdN6thrust23THRUST_200600_302600_NS10device_ptrIlEEjNS0_19identity_decomposerEEE10hipError_tT1_T2_PT3_SG_jT4_jjP12ihipStream_tbEUlT_E0_NS1_11comp_targetILNS1_3genE8ELNS1_11target_archE1030ELNS1_3gpuE2ELNS1_3repE0EEENS1_52radix_sort_onesweep_histogram_config_static_selectorELNS0_4arch9wavefront6targetE1EEEvSE_.num_vgpr, 0
	.set _ZN7rocprim17ROCPRIM_400000_NS6detail17trampoline_kernelINS0_14default_configENS1_35radix_sort_onesweep_config_selectorIdlEEZNS1_34radix_sort_onesweep_global_offsetsIS3_Lb0EPdN6thrust23THRUST_200600_302600_NS10device_ptrIlEEjNS0_19identity_decomposerEEE10hipError_tT1_T2_PT3_SG_jT4_jjP12ihipStream_tbEUlT_E0_NS1_11comp_targetILNS1_3genE8ELNS1_11target_archE1030ELNS1_3gpuE2ELNS1_3repE0EEENS1_52radix_sort_onesweep_histogram_config_static_selectorELNS0_4arch9wavefront6targetE1EEEvSE_.num_agpr, 0
	.set _ZN7rocprim17ROCPRIM_400000_NS6detail17trampoline_kernelINS0_14default_configENS1_35radix_sort_onesweep_config_selectorIdlEEZNS1_34radix_sort_onesweep_global_offsetsIS3_Lb0EPdN6thrust23THRUST_200600_302600_NS10device_ptrIlEEjNS0_19identity_decomposerEEE10hipError_tT1_T2_PT3_SG_jT4_jjP12ihipStream_tbEUlT_E0_NS1_11comp_targetILNS1_3genE8ELNS1_11target_archE1030ELNS1_3gpuE2ELNS1_3repE0EEENS1_52radix_sort_onesweep_histogram_config_static_selectorELNS0_4arch9wavefront6targetE1EEEvSE_.numbered_sgpr, 0
	.set _ZN7rocprim17ROCPRIM_400000_NS6detail17trampoline_kernelINS0_14default_configENS1_35radix_sort_onesweep_config_selectorIdlEEZNS1_34radix_sort_onesweep_global_offsetsIS3_Lb0EPdN6thrust23THRUST_200600_302600_NS10device_ptrIlEEjNS0_19identity_decomposerEEE10hipError_tT1_T2_PT3_SG_jT4_jjP12ihipStream_tbEUlT_E0_NS1_11comp_targetILNS1_3genE8ELNS1_11target_archE1030ELNS1_3gpuE2ELNS1_3repE0EEENS1_52radix_sort_onesweep_histogram_config_static_selectorELNS0_4arch9wavefront6targetE1EEEvSE_.num_named_barrier, 0
	.set _ZN7rocprim17ROCPRIM_400000_NS6detail17trampoline_kernelINS0_14default_configENS1_35radix_sort_onesweep_config_selectorIdlEEZNS1_34radix_sort_onesweep_global_offsetsIS3_Lb0EPdN6thrust23THRUST_200600_302600_NS10device_ptrIlEEjNS0_19identity_decomposerEEE10hipError_tT1_T2_PT3_SG_jT4_jjP12ihipStream_tbEUlT_E0_NS1_11comp_targetILNS1_3genE8ELNS1_11target_archE1030ELNS1_3gpuE2ELNS1_3repE0EEENS1_52radix_sort_onesweep_histogram_config_static_selectorELNS0_4arch9wavefront6targetE1EEEvSE_.private_seg_size, 0
	.set _ZN7rocprim17ROCPRIM_400000_NS6detail17trampoline_kernelINS0_14default_configENS1_35radix_sort_onesweep_config_selectorIdlEEZNS1_34radix_sort_onesweep_global_offsetsIS3_Lb0EPdN6thrust23THRUST_200600_302600_NS10device_ptrIlEEjNS0_19identity_decomposerEEE10hipError_tT1_T2_PT3_SG_jT4_jjP12ihipStream_tbEUlT_E0_NS1_11comp_targetILNS1_3genE8ELNS1_11target_archE1030ELNS1_3gpuE2ELNS1_3repE0EEENS1_52radix_sort_onesweep_histogram_config_static_selectorELNS0_4arch9wavefront6targetE1EEEvSE_.uses_vcc, 0
	.set _ZN7rocprim17ROCPRIM_400000_NS6detail17trampoline_kernelINS0_14default_configENS1_35radix_sort_onesweep_config_selectorIdlEEZNS1_34radix_sort_onesweep_global_offsetsIS3_Lb0EPdN6thrust23THRUST_200600_302600_NS10device_ptrIlEEjNS0_19identity_decomposerEEE10hipError_tT1_T2_PT3_SG_jT4_jjP12ihipStream_tbEUlT_E0_NS1_11comp_targetILNS1_3genE8ELNS1_11target_archE1030ELNS1_3gpuE2ELNS1_3repE0EEENS1_52radix_sort_onesweep_histogram_config_static_selectorELNS0_4arch9wavefront6targetE1EEEvSE_.uses_flat_scratch, 0
	.set _ZN7rocprim17ROCPRIM_400000_NS6detail17trampoline_kernelINS0_14default_configENS1_35radix_sort_onesweep_config_selectorIdlEEZNS1_34radix_sort_onesweep_global_offsetsIS3_Lb0EPdN6thrust23THRUST_200600_302600_NS10device_ptrIlEEjNS0_19identity_decomposerEEE10hipError_tT1_T2_PT3_SG_jT4_jjP12ihipStream_tbEUlT_E0_NS1_11comp_targetILNS1_3genE8ELNS1_11target_archE1030ELNS1_3gpuE2ELNS1_3repE0EEENS1_52radix_sort_onesweep_histogram_config_static_selectorELNS0_4arch9wavefront6targetE1EEEvSE_.has_dyn_sized_stack, 0
	.set _ZN7rocprim17ROCPRIM_400000_NS6detail17trampoline_kernelINS0_14default_configENS1_35radix_sort_onesweep_config_selectorIdlEEZNS1_34radix_sort_onesweep_global_offsetsIS3_Lb0EPdN6thrust23THRUST_200600_302600_NS10device_ptrIlEEjNS0_19identity_decomposerEEE10hipError_tT1_T2_PT3_SG_jT4_jjP12ihipStream_tbEUlT_E0_NS1_11comp_targetILNS1_3genE8ELNS1_11target_archE1030ELNS1_3gpuE2ELNS1_3repE0EEENS1_52radix_sort_onesweep_histogram_config_static_selectorELNS0_4arch9wavefront6targetE1EEEvSE_.has_recursion, 0
	.set _ZN7rocprim17ROCPRIM_400000_NS6detail17trampoline_kernelINS0_14default_configENS1_35radix_sort_onesweep_config_selectorIdlEEZNS1_34radix_sort_onesweep_global_offsetsIS3_Lb0EPdN6thrust23THRUST_200600_302600_NS10device_ptrIlEEjNS0_19identity_decomposerEEE10hipError_tT1_T2_PT3_SG_jT4_jjP12ihipStream_tbEUlT_E0_NS1_11comp_targetILNS1_3genE8ELNS1_11target_archE1030ELNS1_3gpuE2ELNS1_3repE0EEENS1_52radix_sort_onesweep_histogram_config_static_selectorELNS0_4arch9wavefront6targetE1EEEvSE_.has_indirect_call, 0
	.section	.AMDGPU.csdata,"",@progbits
; Kernel info:
; codeLenInByte = 0
; TotalNumSgprs: 4
; NumVgprs: 0
; ScratchSize: 0
; MemoryBound: 0
; FloatMode: 240
; IeeeMode: 1
; LDSByteSize: 0 bytes/workgroup (compile time only)
; SGPRBlocks: 0
; VGPRBlocks: 0
; NumSGPRsForWavesPerEU: 4
; NumVGPRsForWavesPerEU: 1
; Occupancy: 10
; WaveLimiterHint : 0
; COMPUTE_PGM_RSRC2:SCRATCH_EN: 0
; COMPUTE_PGM_RSRC2:USER_SGPR: 6
; COMPUTE_PGM_RSRC2:TRAP_HANDLER: 0
; COMPUTE_PGM_RSRC2:TGID_X_EN: 1
; COMPUTE_PGM_RSRC2:TGID_Y_EN: 0
; COMPUTE_PGM_RSRC2:TGID_Z_EN: 0
; COMPUTE_PGM_RSRC2:TIDIG_COMP_CNT: 0
	.section	.text._ZN7rocprim17ROCPRIM_400000_NS6detail17trampoline_kernelINS0_14default_configENS1_35radix_sort_onesweep_config_selectorIdlEEZZNS1_29radix_sort_onesweep_iterationIS3_Lb0EPdS7_N6thrust23THRUST_200600_302600_NS10device_ptrIlEESB_jNS0_19identity_decomposerENS1_16block_id_wrapperIjLb1EEEEE10hipError_tT1_PNSt15iterator_traitsISG_E10value_typeET2_T3_PNSH_ISM_E10value_typeET4_T5_PSR_SS_PNS1_23onesweep_lookback_stateEbbT6_jjT7_P12ihipStream_tbENKUlT_T0_SG_SL_E_clIS7_S7_SB_SB_EEDaSZ_S10_SG_SL_EUlSZ_E_NS1_11comp_targetILNS1_3genE0ELNS1_11target_archE4294967295ELNS1_3gpuE0ELNS1_3repE0EEENS1_47radix_sort_onesweep_sort_config_static_selectorELNS0_4arch9wavefront6targetE1EEEvSG_,"axG",@progbits,_ZN7rocprim17ROCPRIM_400000_NS6detail17trampoline_kernelINS0_14default_configENS1_35radix_sort_onesweep_config_selectorIdlEEZZNS1_29radix_sort_onesweep_iterationIS3_Lb0EPdS7_N6thrust23THRUST_200600_302600_NS10device_ptrIlEESB_jNS0_19identity_decomposerENS1_16block_id_wrapperIjLb1EEEEE10hipError_tT1_PNSt15iterator_traitsISG_E10value_typeET2_T3_PNSH_ISM_E10value_typeET4_T5_PSR_SS_PNS1_23onesweep_lookback_stateEbbT6_jjT7_P12ihipStream_tbENKUlT_T0_SG_SL_E_clIS7_S7_SB_SB_EEDaSZ_S10_SG_SL_EUlSZ_E_NS1_11comp_targetILNS1_3genE0ELNS1_11target_archE4294967295ELNS1_3gpuE0ELNS1_3repE0EEENS1_47radix_sort_onesweep_sort_config_static_selectorELNS0_4arch9wavefront6targetE1EEEvSG_,comdat
	.protected	_ZN7rocprim17ROCPRIM_400000_NS6detail17trampoline_kernelINS0_14default_configENS1_35radix_sort_onesweep_config_selectorIdlEEZZNS1_29radix_sort_onesweep_iterationIS3_Lb0EPdS7_N6thrust23THRUST_200600_302600_NS10device_ptrIlEESB_jNS0_19identity_decomposerENS1_16block_id_wrapperIjLb1EEEEE10hipError_tT1_PNSt15iterator_traitsISG_E10value_typeET2_T3_PNSH_ISM_E10value_typeET4_T5_PSR_SS_PNS1_23onesweep_lookback_stateEbbT6_jjT7_P12ihipStream_tbENKUlT_T0_SG_SL_E_clIS7_S7_SB_SB_EEDaSZ_S10_SG_SL_EUlSZ_E_NS1_11comp_targetILNS1_3genE0ELNS1_11target_archE4294967295ELNS1_3gpuE0ELNS1_3repE0EEENS1_47radix_sort_onesweep_sort_config_static_selectorELNS0_4arch9wavefront6targetE1EEEvSG_ ; -- Begin function _ZN7rocprim17ROCPRIM_400000_NS6detail17trampoline_kernelINS0_14default_configENS1_35radix_sort_onesweep_config_selectorIdlEEZZNS1_29radix_sort_onesweep_iterationIS3_Lb0EPdS7_N6thrust23THRUST_200600_302600_NS10device_ptrIlEESB_jNS0_19identity_decomposerENS1_16block_id_wrapperIjLb1EEEEE10hipError_tT1_PNSt15iterator_traitsISG_E10value_typeET2_T3_PNSH_ISM_E10value_typeET4_T5_PSR_SS_PNS1_23onesweep_lookback_stateEbbT6_jjT7_P12ihipStream_tbENKUlT_T0_SG_SL_E_clIS7_S7_SB_SB_EEDaSZ_S10_SG_SL_EUlSZ_E_NS1_11comp_targetILNS1_3genE0ELNS1_11target_archE4294967295ELNS1_3gpuE0ELNS1_3repE0EEENS1_47radix_sort_onesweep_sort_config_static_selectorELNS0_4arch9wavefront6targetE1EEEvSG_
	.globl	_ZN7rocprim17ROCPRIM_400000_NS6detail17trampoline_kernelINS0_14default_configENS1_35radix_sort_onesweep_config_selectorIdlEEZZNS1_29radix_sort_onesweep_iterationIS3_Lb0EPdS7_N6thrust23THRUST_200600_302600_NS10device_ptrIlEESB_jNS0_19identity_decomposerENS1_16block_id_wrapperIjLb1EEEEE10hipError_tT1_PNSt15iterator_traitsISG_E10value_typeET2_T3_PNSH_ISM_E10value_typeET4_T5_PSR_SS_PNS1_23onesweep_lookback_stateEbbT6_jjT7_P12ihipStream_tbENKUlT_T0_SG_SL_E_clIS7_S7_SB_SB_EEDaSZ_S10_SG_SL_EUlSZ_E_NS1_11comp_targetILNS1_3genE0ELNS1_11target_archE4294967295ELNS1_3gpuE0ELNS1_3repE0EEENS1_47radix_sort_onesweep_sort_config_static_selectorELNS0_4arch9wavefront6targetE1EEEvSG_
	.p2align	8
	.type	_ZN7rocprim17ROCPRIM_400000_NS6detail17trampoline_kernelINS0_14default_configENS1_35radix_sort_onesweep_config_selectorIdlEEZZNS1_29radix_sort_onesweep_iterationIS3_Lb0EPdS7_N6thrust23THRUST_200600_302600_NS10device_ptrIlEESB_jNS0_19identity_decomposerENS1_16block_id_wrapperIjLb1EEEEE10hipError_tT1_PNSt15iterator_traitsISG_E10value_typeET2_T3_PNSH_ISM_E10value_typeET4_T5_PSR_SS_PNS1_23onesweep_lookback_stateEbbT6_jjT7_P12ihipStream_tbENKUlT_T0_SG_SL_E_clIS7_S7_SB_SB_EEDaSZ_S10_SG_SL_EUlSZ_E_NS1_11comp_targetILNS1_3genE0ELNS1_11target_archE4294967295ELNS1_3gpuE0ELNS1_3repE0EEENS1_47radix_sort_onesweep_sort_config_static_selectorELNS0_4arch9wavefront6targetE1EEEvSG_,@function
_ZN7rocprim17ROCPRIM_400000_NS6detail17trampoline_kernelINS0_14default_configENS1_35radix_sort_onesweep_config_selectorIdlEEZZNS1_29radix_sort_onesweep_iterationIS3_Lb0EPdS7_N6thrust23THRUST_200600_302600_NS10device_ptrIlEESB_jNS0_19identity_decomposerENS1_16block_id_wrapperIjLb1EEEEE10hipError_tT1_PNSt15iterator_traitsISG_E10value_typeET2_T3_PNSH_ISM_E10value_typeET4_T5_PSR_SS_PNS1_23onesweep_lookback_stateEbbT6_jjT7_P12ihipStream_tbENKUlT_T0_SG_SL_E_clIS7_S7_SB_SB_EEDaSZ_S10_SG_SL_EUlSZ_E_NS1_11comp_targetILNS1_3genE0ELNS1_11target_archE4294967295ELNS1_3gpuE0ELNS1_3repE0EEENS1_47radix_sort_onesweep_sort_config_static_selectorELNS0_4arch9wavefront6targetE1EEEvSG_: ; @_ZN7rocprim17ROCPRIM_400000_NS6detail17trampoline_kernelINS0_14default_configENS1_35radix_sort_onesweep_config_selectorIdlEEZZNS1_29radix_sort_onesweep_iterationIS3_Lb0EPdS7_N6thrust23THRUST_200600_302600_NS10device_ptrIlEESB_jNS0_19identity_decomposerENS1_16block_id_wrapperIjLb1EEEEE10hipError_tT1_PNSt15iterator_traitsISG_E10value_typeET2_T3_PNSH_ISM_E10value_typeET4_T5_PSR_SS_PNS1_23onesweep_lookback_stateEbbT6_jjT7_P12ihipStream_tbENKUlT_T0_SG_SL_E_clIS7_S7_SB_SB_EEDaSZ_S10_SG_SL_EUlSZ_E_NS1_11comp_targetILNS1_3genE0ELNS1_11target_archE4294967295ELNS1_3gpuE0ELNS1_3repE0EEENS1_47radix_sort_onesweep_sort_config_static_selectorELNS0_4arch9wavefront6targetE1EEEvSG_
; %bb.0:
	.section	.rodata,"a",@progbits
	.p2align	6, 0x0
	.amdhsa_kernel _ZN7rocprim17ROCPRIM_400000_NS6detail17trampoline_kernelINS0_14default_configENS1_35radix_sort_onesweep_config_selectorIdlEEZZNS1_29radix_sort_onesweep_iterationIS3_Lb0EPdS7_N6thrust23THRUST_200600_302600_NS10device_ptrIlEESB_jNS0_19identity_decomposerENS1_16block_id_wrapperIjLb1EEEEE10hipError_tT1_PNSt15iterator_traitsISG_E10value_typeET2_T3_PNSH_ISM_E10value_typeET4_T5_PSR_SS_PNS1_23onesweep_lookback_stateEbbT6_jjT7_P12ihipStream_tbENKUlT_T0_SG_SL_E_clIS7_S7_SB_SB_EEDaSZ_S10_SG_SL_EUlSZ_E_NS1_11comp_targetILNS1_3genE0ELNS1_11target_archE4294967295ELNS1_3gpuE0ELNS1_3repE0EEENS1_47radix_sort_onesweep_sort_config_static_selectorELNS0_4arch9wavefront6targetE1EEEvSG_
		.amdhsa_group_segment_fixed_size 0
		.amdhsa_private_segment_fixed_size 0
		.amdhsa_kernarg_size 88
		.amdhsa_user_sgpr_count 6
		.amdhsa_user_sgpr_private_segment_buffer 1
		.amdhsa_user_sgpr_dispatch_ptr 0
		.amdhsa_user_sgpr_queue_ptr 0
		.amdhsa_user_sgpr_kernarg_segment_ptr 1
		.amdhsa_user_sgpr_dispatch_id 0
		.amdhsa_user_sgpr_flat_scratch_init 0
		.amdhsa_user_sgpr_private_segment_size 0
		.amdhsa_uses_dynamic_stack 0
		.amdhsa_system_sgpr_private_segment_wavefront_offset 0
		.amdhsa_system_sgpr_workgroup_id_x 1
		.amdhsa_system_sgpr_workgroup_id_y 0
		.amdhsa_system_sgpr_workgroup_id_z 0
		.amdhsa_system_sgpr_workgroup_info 0
		.amdhsa_system_vgpr_workitem_id 0
		.amdhsa_next_free_vgpr 1
		.amdhsa_next_free_sgpr 0
		.amdhsa_reserve_vcc 0
		.amdhsa_reserve_flat_scratch 0
		.amdhsa_float_round_mode_32 0
		.amdhsa_float_round_mode_16_64 0
		.amdhsa_float_denorm_mode_32 3
		.amdhsa_float_denorm_mode_16_64 3
		.amdhsa_dx10_clamp 1
		.amdhsa_ieee_mode 1
		.amdhsa_fp16_overflow 0
		.amdhsa_exception_fp_ieee_invalid_op 0
		.amdhsa_exception_fp_denorm_src 0
		.amdhsa_exception_fp_ieee_div_zero 0
		.amdhsa_exception_fp_ieee_overflow 0
		.amdhsa_exception_fp_ieee_underflow 0
		.amdhsa_exception_fp_ieee_inexact 0
		.amdhsa_exception_int_div_zero 0
	.end_amdhsa_kernel
	.section	.text._ZN7rocprim17ROCPRIM_400000_NS6detail17trampoline_kernelINS0_14default_configENS1_35radix_sort_onesweep_config_selectorIdlEEZZNS1_29radix_sort_onesweep_iterationIS3_Lb0EPdS7_N6thrust23THRUST_200600_302600_NS10device_ptrIlEESB_jNS0_19identity_decomposerENS1_16block_id_wrapperIjLb1EEEEE10hipError_tT1_PNSt15iterator_traitsISG_E10value_typeET2_T3_PNSH_ISM_E10value_typeET4_T5_PSR_SS_PNS1_23onesweep_lookback_stateEbbT6_jjT7_P12ihipStream_tbENKUlT_T0_SG_SL_E_clIS7_S7_SB_SB_EEDaSZ_S10_SG_SL_EUlSZ_E_NS1_11comp_targetILNS1_3genE0ELNS1_11target_archE4294967295ELNS1_3gpuE0ELNS1_3repE0EEENS1_47radix_sort_onesweep_sort_config_static_selectorELNS0_4arch9wavefront6targetE1EEEvSG_,"axG",@progbits,_ZN7rocprim17ROCPRIM_400000_NS6detail17trampoline_kernelINS0_14default_configENS1_35radix_sort_onesweep_config_selectorIdlEEZZNS1_29radix_sort_onesweep_iterationIS3_Lb0EPdS7_N6thrust23THRUST_200600_302600_NS10device_ptrIlEESB_jNS0_19identity_decomposerENS1_16block_id_wrapperIjLb1EEEEE10hipError_tT1_PNSt15iterator_traitsISG_E10value_typeET2_T3_PNSH_ISM_E10value_typeET4_T5_PSR_SS_PNS1_23onesweep_lookback_stateEbbT6_jjT7_P12ihipStream_tbENKUlT_T0_SG_SL_E_clIS7_S7_SB_SB_EEDaSZ_S10_SG_SL_EUlSZ_E_NS1_11comp_targetILNS1_3genE0ELNS1_11target_archE4294967295ELNS1_3gpuE0ELNS1_3repE0EEENS1_47radix_sort_onesweep_sort_config_static_selectorELNS0_4arch9wavefront6targetE1EEEvSG_,comdat
.Lfunc_end1616:
	.size	_ZN7rocprim17ROCPRIM_400000_NS6detail17trampoline_kernelINS0_14default_configENS1_35radix_sort_onesweep_config_selectorIdlEEZZNS1_29radix_sort_onesweep_iterationIS3_Lb0EPdS7_N6thrust23THRUST_200600_302600_NS10device_ptrIlEESB_jNS0_19identity_decomposerENS1_16block_id_wrapperIjLb1EEEEE10hipError_tT1_PNSt15iterator_traitsISG_E10value_typeET2_T3_PNSH_ISM_E10value_typeET4_T5_PSR_SS_PNS1_23onesweep_lookback_stateEbbT6_jjT7_P12ihipStream_tbENKUlT_T0_SG_SL_E_clIS7_S7_SB_SB_EEDaSZ_S10_SG_SL_EUlSZ_E_NS1_11comp_targetILNS1_3genE0ELNS1_11target_archE4294967295ELNS1_3gpuE0ELNS1_3repE0EEENS1_47radix_sort_onesweep_sort_config_static_selectorELNS0_4arch9wavefront6targetE1EEEvSG_, .Lfunc_end1616-_ZN7rocprim17ROCPRIM_400000_NS6detail17trampoline_kernelINS0_14default_configENS1_35radix_sort_onesweep_config_selectorIdlEEZZNS1_29radix_sort_onesweep_iterationIS3_Lb0EPdS7_N6thrust23THRUST_200600_302600_NS10device_ptrIlEESB_jNS0_19identity_decomposerENS1_16block_id_wrapperIjLb1EEEEE10hipError_tT1_PNSt15iterator_traitsISG_E10value_typeET2_T3_PNSH_ISM_E10value_typeET4_T5_PSR_SS_PNS1_23onesweep_lookback_stateEbbT6_jjT7_P12ihipStream_tbENKUlT_T0_SG_SL_E_clIS7_S7_SB_SB_EEDaSZ_S10_SG_SL_EUlSZ_E_NS1_11comp_targetILNS1_3genE0ELNS1_11target_archE4294967295ELNS1_3gpuE0ELNS1_3repE0EEENS1_47radix_sort_onesweep_sort_config_static_selectorELNS0_4arch9wavefront6targetE1EEEvSG_
                                        ; -- End function
	.set _ZN7rocprim17ROCPRIM_400000_NS6detail17trampoline_kernelINS0_14default_configENS1_35radix_sort_onesweep_config_selectorIdlEEZZNS1_29radix_sort_onesweep_iterationIS3_Lb0EPdS7_N6thrust23THRUST_200600_302600_NS10device_ptrIlEESB_jNS0_19identity_decomposerENS1_16block_id_wrapperIjLb1EEEEE10hipError_tT1_PNSt15iterator_traitsISG_E10value_typeET2_T3_PNSH_ISM_E10value_typeET4_T5_PSR_SS_PNS1_23onesweep_lookback_stateEbbT6_jjT7_P12ihipStream_tbENKUlT_T0_SG_SL_E_clIS7_S7_SB_SB_EEDaSZ_S10_SG_SL_EUlSZ_E_NS1_11comp_targetILNS1_3genE0ELNS1_11target_archE4294967295ELNS1_3gpuE0ELNS1_3repE0EEENS1_47radix_sort_onesweep_sort_config_static_selectorELNS0_4arch9wavefront6targetE1EEEvSG_.num_vgpr, 0
	.set _ZN7rocprim17ROCPRIM_400000_NS6detail17trampoline_kernelINS0_14default_configENS1_35radix_sort_onesweep_config_selectorIdlEEZZNS1_29radix_sort_onesweep_iterationIS3_Lb0EPdS7_N6thrust23THRUST_200600_302600_NS10device_ptrIlEESB_jNS0_19identity_decomposerENS1_16block_id_wrapperIjLb1EEEEE10hipError_tT1_PNSt15iterator_traitsISG_E10value_typeET2_T3_PNSH_ISM_E10value_typeET4_T5_PSR_SS_PNS1_23onesweep_lookback_stateEbbT6_jjT7_P12ihipStream_tbENKUlT_T0_SG_SL_E_clIS7_S7_SB_SB_EEDaSZ_S10_SG_SL_EUlSZ_E_NS1_11comp_targetILNS1_3genE0ELNS1_11target_archE4294967295ELNS1_3gpuE0ELNS1_3repE0EEENS1_47radix_sort_onesweep_sort_config_static_selectorELNS0_4arch9wavefront6targetE1EEEvSG_.num_agpr, 0
	.set _ZN7rocprim17ROCPRIM_400000_NS6detail17trampoline_kernelINS0_14default_configENS1_35radix_sort_onesweep_config_selectorIdlEEZZNS1_29radix_sort_onesweep_iterationIS3_Lb0EPdS7_N6thrust23THRUST_200600_302600_NS10device_ptrIlEESB_jNS0_19identity_decomposerENS1_16block_id_wrapperIjLb1EEEEE10hipError_tT1_PNSt15iterator_traitsISG_E10value_typeET2_T3_PNSH_ISM_E10value_typeET4_T5_PSR_SS_PNS1_23onesweep_lookback_stateEbbT6_jjT7_P12ihipStream_tbENKUlT_T0_SG_SL_E_clIS7_S7_SB_SB_EEDaSZ_S10_SG_SL_EUlSZ_E_NS1_11comp_targetILNS1_3genE0ELNS1_11target_archE4294967295ELNS1_3gpuE0ELNS1_3repE0EEENS1_47radix_sort_onesweep_sort_config_static_selectorELNS0_4arch9wavefront6targetE1EEEvSG_.numbered_sgpr, 0
	.set _ZN7rocprim17ROCPRIM_400000_NS6detail17trampoline_kernelINS0_14default_configENS1_35radix_sort_onesweep_config_selectorIdlEEZZNS1_29radix_sort_onesweep_iterationIS3_Lb0EPdS7_N6thrust23THRUST_200600_302600_NS10device_ptrIlEESB_jNS0_19identity_decomposerENS1_16block_id_wrapperIjLb1EEEEE10hipError_tT1_PNSt15iterator_traitsISG_E10value_typeET2_T3_PNSH_ISM_E10value_typeET4_T5_PSR_SS_PNS1_23onesweep_lookback_stateEbbT6_jjT7_P12ihipStream_tbENKUlT_T0_SG_SL_E_clIS7_S7_SB_SB_EEDaSZ_S10_SG_SL_EUlSZ_E_NS1_11comp_targetILNS1_3genE0ELNS1_11target_archE4294967295ELNS1_3gpuE0ELNS1_3repE0EEENS1_47radix_sort_onesweep_sort_config_static_selectorELNS0_4arch9wavefront6targetE1EEEvSG_.num_named_barrier, 0
	.set _ZN7rocprim17ROCPRIM_400000_NS6detail17trampoline_kernelINS0_14default_configENS1_35radix_sort_onesweep_config_selectorIdlEEZZNS1_29radix_sort_onesweep_iterationIS3_Lb0EPdS7_N6thrust23THRUST_200600_302600_NS10device_ptrIlEESB_jNS0_19identity_decomposerENS1_16block_id_wrapperIjLb1EEEEE10hipError_tT1_PNSt15iterator_traitsISG_E10value_typeET2_T3_PNSH_ISM_E10value_typeET4_T5_PSR_SS_PNS1_23onesweep_lookback_stateEbbT6_jjT7_P12ihipStream_tbENKUlT_T0_SG_SL_E_clIS7_S7_SB_SB_EEDaSZ_S10_SG_SL_EUlSZ_E_NS1_11comp_targetILNS1_3genE0ELNS1_11target_archE4294967295ELNS1_3gpuE0ELNS1_3repE0EEENS1_47radix_sort_onesweep_sort_config_static_selectorELNS0_4arch9wavefront6targetE1EEEvSG_.private_seg_size, 0
	.set _ZN7rocprim17ROCPRIM_400000_NS6detail17trampoline_kernelINS0_14default_configENS1_35radix_sort_onesweep_config_selectorIdlEEZZNS1_29radix_sort_onesweep_iterationIS3_Lb0EPdS7_N6thrust23THRUST_200600_302600_NS10device_ptrIlEESB_jNS0_19identity_decomposerENS1_16block_id_wrapperIjLb1EEEEE10hipError_tT1_PNSt15iterator_traitsISG_E10value_typeET2_T3_PNSH_ISM_E10value_typeET4_T5_PSR_SS_PNS1_23onesweep_lookback_stateEbbT6_jjT7_P12ihipStream_tbENKUlT_T0_SG_SL_E_clIS7_S7_SB_SB_EEDaSZ_S10_SG_SL_EUlSZ_E_NS1_11comp_targetILNS1_3genE0ELNS1_11target_archE4294967295ELNS1_3gpuE0ELNS1_3repE0EEENS1_47radix_sort_onesweep_sort_config_static_selectorELNS0_4arch9wavefront6targetE1EEEvSG_.uses_vcc, 0
	.set _ZN7rocprim17ROCPRIM_400000_NS6detail17trampoline_kernelINS0_14default_configENS1_35radix_sort_onesweep_config_selectorIdlEEZZNS1_29radix_sort_onesweep_iterationIS3_Lb0EPdS7_N6thrust23THRUST_200600_302600_NS10device_ptrIlEESB_jNS0_19identity_decomposerENS1_16block_id_wrapperIjLb1EEEEE10hipError_tT1_PNSt15iterator_traitsISG_E10value_typeET2_T3_PNSH_ISM_E10value_typeET4_T5_PSR_SS_PNS1_23onesweep_lookback_stateEbbT6_jjT7_P12ihipStream_tbENKUlT_T0_SG_SL_E_clIS7_S7_SB_SB_EEDaSZ_S10_SG_SL_EUlSZ_E_NS1_11comp_targetILNS1_3genE0ELNS1_11target_archE4294967295ELNS1_3gpuE0ELNS1_3repE0EEENS1_47radix_sort_onesweep_sort_config_static_selectorELNS0_4arch9wavefront6targetE1EEEvSG_.uses_flat_scratch, 0
	.set _ZN7rocprim17ROCPRIM_400000_NS6detail17trampoline_kernelINS0_14default_configENS1_35radix_sort_onesweep_config_selectorIdlEEZZNS1_29radix_sort_onesweep_iterationIS3_Lb0EPdS7_N6thrust23THRUST_200600_302600_NS10device_ptrIlEESB_jNS0_19identity_decomposerENS1_16block_id_wrapperIjLb1EEEEE10hipError_tT1_PNSt15iterator_traitsISG_E10value_typeET2_T3_PNSH_ISM_E10value_typeET4_T5_PSR_SS_PNS1_23onesweep_lookback_stateEbbT6_jjT7_P12ihipStream_tbENKUlT_T0_SG_SL_E_clIS7_S7_SB_SB_EEDaSZ_S10_SG_SL_EUlSZ_E_NS1_11comp_targetILNS1_3genE0ELNS1_11target_archE4294967295ELNS1_3gpuE0ELNS1_3repE0EEENS1_47radix_sort_onesweep_sort_config_static_selectorELNS0_4arch9wavefront6targetE1EEEvSG_.has_dyn_sized_stack, 0
	.set _ZN7rocprim17ROCPRIM_400000_NS6detail17trampoline_kernelINS0_14default_configENS1_35radix_sort_onesweep_config_selectorIdlEEZZNS1_29radix_sort_onesweep_iterationIS3_Lb0EPdS7_N6thrust23THRUST_200600_302600_NS10device_ptrIlEESB_jNS0_19identity_decomposerENS1_16block_id_wrapperIjLb1EEEEE10hipError_tT1_PNSt15iterator_traitsISG_E10value_typeET2_T3_PNSH_ISM_E10value_typeET4_T5_PSR_SS_PNS1_23onesweep_lookback_stateEbbT6_jjT7_P12ihipStream_tbENKUlT_T0_SG_SL_E_clIS7_S7_SB_SB_EEDaSZ_S10_SG_SL_EUlSZ_E_NS1_11comp_targetILNS1_3genE0ELNS1_11target_archE4294967295ELNS1_3gpuE0ELNS1_3repE0EEENS1_47radix_sort_onesweep_sort_config_static_selectorELNS0_4arch9wavefront6targetE1EEEvSG_.has_recursion, 0
	.set _ZN7rocprim17ROCPRIM_400000_NS6detail17trampoline_kernelINS0_14default_configENS1_35radix_sort_onesweep_config_selectorIdlEEZZNS1_29radix_sort_onesweep_iterationIS3_Lb0EPdS7_N6thrust23THRUST_200600_302600_NS10device_ptrIlEESB_jNS0_19identity_decomposerENS1_16block_id_wrapperIjLb1EEEEE10hipError_tT1_PNSt15iterator_traitsISG_E10value_typeET2_T3_PNSH_ISM_E10value_typeET4_T5_PSR_SS_PNS1_23onesweep_lookback_stateEbbT6_jjT7_P12ihipStream_tbENKUlT_T0_SG_SL_E_clIS7_S7_SB_SB_EEDaSZ_S10_SG_SL_EUlSZ_E_NS1_11comp_targetILNS1_3genE0ELNS1_11target_archE4294967295ELNS1_3gpuE0ELNS1_3repE0EEENS1_47radix_sort_onesweep_sort_config_static_selectorELNS0_4arch9wavefront6targetE1EEEvSG_.has_indirect_call, 0
	.section	.AMDGPU.csdata,"",@progbits
; Kernel info:
; codeLenInByte = 0
; TotalNumSgprs: 4
; NumVgprs: 0
; ScratchSize: 0
; MemoryBound: 0
; FloatMode: 240
; IeeeMode: 1
; LDSByteSize: 0 bytes/workgroup (compile time only)
; SGPRBlocks: 0
; VGPRBlocks: 0
; NumSGPRsForWavesPerEU: 4
; NumVGPRsForWavesPerEU: 1
; Occupancy: 10
; WaveLimiterHint : 0
; COMPUTE_PGM_RSRC2:SCRATCH_EN: 0
; COMPUTE_PGM_RSRC2:USER_SGPR: 6
; COMPUTE_PGM_RSRC2:TRAP_HANDLER: 0
; COMPUTE_PGM_RSRC2:TGID_X_EN: 1
; COMPUTE_PGM_RSRC2:TGID_Y_EN: 0
; COMPUTE_PGM_RSRC2:TGID_Z_EN: 0
; COMPUTE_PGM_RSRC2:TIDIG_COMP_CNT: 0
	.section	.text._ZN7rocprim17ROCPRIM_400000_NS6detail17trampoline_kernelINS0_14default_configENS1_35radix_sort_onesweep_config_selectorIdlEEZZNS1_29radix_sort_onesweep_iterationIS3_Lb0EPdS7_N6thrust23THRUST_200600_302600_NS10device_ptrIlEESB_jNS0_19identity_decomposerENS1_16block_id_wrapperIjLb1EEEEE10hipError_tT1_PNSt15iterator_traitsISG_E10value_typeET2_T3_PNSH_ISM_E10value_typeET4_T5_PSR_SS_PNS1_23onesweep_lookback_stateEbbT6_jjT7_P12ihipStream_tbENKUlT_T0_SG_SL_E_clIS7_S7_SB_SB_EEDaSZ_S10_SG_SL_EUlSZ_E_NS1_11comp_targetILNS1_3genE6ELNS1_11target_archE950ELNS1_3gpuE13ELNS1_3repE0EEENS1_47radix_sort_onesweep_sort_config_static_selectorELNS0_4arch9wavefront6targetE1EEEvSG_,"axG",@progbits,_ZN7rocprim17ROCPRIM_400000_NS6detail17trampoline_kernelINS0_14default_configENS1_35radix_sort_onesweep_config_selectorIdlEEZZNS1_29radix_sort_onesweep_iterationIS3_Lb0EPdS7_N6thrust23THRUST_200600_302600_NS10device_ptrIlEESB_jNS0_19identity_decomposerENS1_16block_id_wrapperIjLb1EEEEE10hipError_tT1_PNSt15iterator_traitsISG_E10value_typeET2_T3_PNSH_ISM_E10value_typeET4_T5_PSR_SS_PNS1_23onesweep_lookback_stateEbbT6_jjT7_P12ihipStream_tbENKUlT_T0_SG_SL_E_clIS7_S7_SB_SB_EEDaSZ_S10_SG_SL_EUlSZ_E_NS1_11comp_targetILNS1_3genE6ELNS1_11target_archE950ELNS1_3gpuE13ELNS1_3repE0EEENS1_47radix_sort_onesweep_sort_config_static_selectorELNS0_4arch9wavefront6targetE1EEEvSG_,comdat
	.protected	_ZN7rocprim17ROCPRIM_400000_NS6detail17trampoline_kernelINS0_14default_configENS1_35radix_sort_onesweep_config_selectorIdlEEZZNS1_29radix_sort_onesweep_iterationIS3_Lb0EPdS7_N6thrust23THRUST_200600_302600_NS10device_ptrIlEESB_jNS0_19identity_decomposerENS1_16block_id_wrapperIjLb1EEEEE10hipError_tT1_PNSt15iterator_traitsISG_E10value_typeET2_T3_PNSH_ISM_E10value_typeET4_T5_PSR_SS_PNS1_23onesweep_lookback_stateEbbT6_jjT7_P12ihipStream_tbENKUlT_T0_SG_SL_E_clIS7_S7_SB_SB_EEDaSZ_S10_SG_SL_EUlSZ_E_NS1_11comp_targetILNS1_3genE6ELNS1_11target_archE950ELNS1_3gpuE13ELNS1_3repE0EEENS1_47radix_sort_onesweep_sort_config_static_selectorELNS0_4arch9wavefront6targetE1EEEvSG_ ; -- Begin function _ZN7rocprim17ROCPRIM_400000_NS6detail17trampoline_kernelINS0_14default_configENS1_35radix_sort_onesweep_config_selectorIdlEEZZNS1_29radix_sort_onesweep_iterationIS3_Lb0EPdS7_N6thrust23THRUST_200600_302600_NS10device_ptrIlEESB_jNS0_19identity_decomposerENS1_16block_id_wrapperIjLb1EEEEE10hipError_tT1_PNSt15iterator_traitsISG_E10value_typeET2_T3_PNSH_ISM_E10value_typeET4_T5_PSR_SS_PNS1_23onesweep_lookback_stateEbbT6_jjT7_P12ihipStream_tbENKUlT_T0_SG_SL_E_clIS7_S7_SB_SB_EEDaSZ_S10_SG_SL_EUlSZ_E_NS1_11comp_targetILNS1_3genE6ELNS1_11target_archE950ELNS1_3gpuE13ELNS1_3repE0EEENS1_47radix_sort_onesweep_sort_config_static_selectorELNS0_4arch9wavefront6targetE1EEEvSG_
	.globl	_ZN7rocprim17ROCPRIM_400000_NS6detail17trampoline_kernelINS0_14default_configENS1_35radix_sort_onesweep_config_selectorIdlEEZZNS1_29radix_sort_onesweep_iterationIS3_Lb0EPdS7_N6thrust23THRUST_200600_302600_NS10device_ptrIlEESB_jNS0_19identity_decomposerENS1_16block_id_wrapperIjLb1EEEEE10hipError_tT1_PNSt15iterator_traitsISG_E10value_typeET2_T3_PNSH_ISM_E10value_typeET4_T5_PSR_SS_PNS1_23onesweep_lookback_stateEbbT6_jjT7_P12ihipStream_tbENKUlT_T0_SG_SL_E_clIS7_S7_SB_SB_EEDaSZ_S10_SG_SL_EUlSZ_E_NS1_11comp_targetILNS1_3genE6ELNS1_11target_archE950ELNS1_3gpuE13ELNS1_3repE0EEENS1_47radix_sort_onesweep_sort_config_static_selectorELNS0_4arch9wavefront6targetE1EEEvSG_
	.p2align	8
	.type	_ZN7rocprim17ROCPRIM_400000_NS6detail17trampoline_kernelINS0_14default_configENS1_35radix_sort_onesweep_config_selectorIdlEEZZNS1_29radix_sort_onesweep_iterationIS3_Lb0EPdS7_N6thrust23THRUST_200600_302600_NS10device_ptrIlEESB_jNS0_19identity_decomposerENS1_16block_id_wrapperIjLb1EEEEE10hipError_tT1_PNSt15iterator_traitsISG_E10value_typeET2_T3_PNSH_ISM_E10value_typeET4_T5_PSR_SS_PNS1_23onesweep_lookback_stateEbbT6_jjT7_P12ihipStream_tbENKUlT_T0_SG_SL_E_clIS7_S7_SB_SB_EEDaSZ_S10_SG_SL_EUlSZ_E_NS1_11comp_targetILNS1_3genE6ELNS1_11target_archE950ELNS1_3gpuE13ELNS1_3repE0EEENS1_47radix_sort_onesweep_sort_config_static_selectorELNS0_4arch9wavefront6targetE1EEEvSG_,@function
_ZN7rocprim17ROCPRIM_400000_NS6detail17trampoline_kernelINS0_14default_configENS1_35radix_sort_onesweep_config_selectorIdlEEZZNS1_29radix_sort_onesweep_iterationIS3_Lb0EPdS7_N6thrust23THRUST_200600_302600_NS10device_ptrIlEESB_jNS0_19identity_decomposerENS1_16block_id_wrapperIjLb1EEEEE10hipError_tT1_PNSt15iterator_traitsISG_E10value_typeET2_T3_PNSH_ISM_E10value_typeET4_T5_PSR_SS_PNS1_23onesweep_lookback_stateEbbT6_jjT7_P12ihipStream_tbENKUlT_T0_SG_SL_E_clIS7_S7_SB_SB_EEDaSZ_S10_SG_SL_EUlSZ_E_NS1_11comp_targetILNS1_3genE6ELNS1_11target_archE950ELNS1_3gpuE13ELNS1_3repE0EEENS1_47radix_sort_onesweep_sort_config_static_selectorELNS0_4arch9wavefront6targetE1EEEvSG_: ; @_ZN7rocprim17ROCPRIM_400000_NS6detail17trampoline_kernelINS0_14default_configENS1_35radix_sort_onesweep_config_selectorIdlEEZZNS1_29radix_sort_onesweep_iterationIS3_Lb0EPdS7_N6thrust23THRUST_200600_302600_NS10device_ptrIlEESB_jNS0_19identity_decomposerENS1_16block_id_wrapperIjLb1EEEEE10hipError_tT1_PNSt15iterator_traitsISG_E10value_typeET2_T3_PNSH_ISM_E10value_typeET4_T5_PSR_SS_PNS1_23onesweep_lookback_stateEbbT6_jjT7_P12ihipStream_tbENKUlT_T0_SG_SL_E_clIS7_S7_SB_SB_EEDaSZ_S10_SG_SL_EUlSZ_E_NS1_11comp_targetILNS1_3genE6ELNS1_11target_archE950ELNS1_3gpuE13ELNS1_3repE0EEENS1_47radix_sort_onesweep_sort_config_static_selectorELNS0_4arch9wavefront6targetE1EEEvSG_
; %bb.0:
	.section	.rodata,"a",@progbits
	.p2align	6, 0x0
	.amdhsa_kernel _ZN7rocprim17ROCPRIM_400000_NS6detail17trampoline_kernelINS0_14default_configENS1_35radix_sort_onesweep_config_selectorIdlEEZZNS1_29radix_sort_onesweep_iterationIS3_Lb0EPdS7_N6thrust23THRUST_200600_302600_NS10device_ptrIlEESB_jNS0_19identity_decomposerENS1_16block_id_wrapperIjLb1EEEEE10hipError_tT1_PNSt15iterator_traitsISG_E10value_typeET2_T3_PNSH_ISM_E10value_typeET4_T5_PSR_SS_PNS1_23onesweep_lookback_stateEbbT6_jjT7_P12ihipStream_tbENKUlT_T0_SG_SL_E_clIS7_S7_SB_SB_EEDaSZ_S10_SG_SL_EUlSZ_E_NS1_11comp_targetILNS1_3genE6ELNS1_11target_archE950ELNS1_3gpuE13ELNS1_3repE0EEENS1_47radix_sort_onesweep_sort_config_static_selectorELNS0_4arch9wavefront6targetE1EEEvSG_
		.amdhsa_group_segment_fixed_size 0
		.amdhsa_private_segment_fixed_size 0
		.amdhsa_kernarg_size 88
		.amdhsa_user_sgpr_count 6
		.amdhsa_user_sgpr_private_segment_buffer 1
		.amdhsa_user_sgpr_dispatch_ptr 0
		.amdhsa_user_sgpr_queue_ptr 0
		.amdhsa_user_sgpr_kernarg_segment_ptr 1
		.amdhsa_user_sgpr_dispatch_id 0
		.amdhsa_user_sgpr_flat_scratch_init 0
		.amdhsa_user_sgpr_private_segment_size 0
		.amdhsa_uses_dynamic_stack 0
		.amdhsa_system_sgpr_private_segment_wavefront_offset 0
		.amdhsa_system_sgpr_workgroup_id_x 1
		.amdhsa_system_sgpr_workgroup_id_y 0
		.amdhsa_system_sgpr_workgroup_id_z 0
		.amdhsa_system_sgpr_workgroup_info 0
		.amdhsa_system_vgpr_workitem_id 0
		.amdhsa_next_free_vgpr 1
		.amdhsa_next_free_sgpr 0
		.amdhsa_reserve_vcc 0
		.amdhsa_reserve_flat_scratch 0
		.amdhsa_float_round_mode_32 0
		.amdhsa_float_round_mode_16_64 0
		.amdhsa_float_denorm_mode_32 3
		.amdhsa_float_denorm_mode_16_64 3
		.amdhsa_dx10_clamp 1
		.amdhsa_ieee_mode 1
		.amdhsa_fp16_overflow 0
		.amdhsa_exception_fp_ieee_invalid_op 0
		.amdhsa_exception_fp_denorm_src 0
		.amdhsa_exception_fp_ieee_div_zero 0
		.amdhsa_exception_fp_ieee_overflow 0
		.amdhsa_exception_fp_ieee_underflow 0
		.amdhsa_exception_fp_ieee_inexact 0
		.amdhsa_exception_int_div_zero 0
	.end_amdhsa_kernel
	.section	.text._ZN7rocprim17ROCPRIM_400000_NS6detail17trampoline_kernelINS0_14default_configENS1_35radix_sort_onesweep_config_selectorIdlEEZZNS1_29radix_sort_onesweep_iterationIS3_Lb0EPdS7_N6thrust23THRUST_200600_302600_NS10device_ptrIlEESB_jNS0_19identity_decomposerENS1_16block_id_wrapperIjLb1EEEEE10hipError_tT1_PNSt15iterator_traitsISG_E10value_typeET2_T3_PNSH_ISM_E10value_typeET4_T5_PSR_SS_PNS1_23onesweep_lookback_stateEbbT6_jjT7_P12ihipStream_tbENKUlT_T0_SG_SL_E_clIS7_S7_SB_SB_EEDaSZ_S10_SG_SL_EUlSZ_E_NS1_11comp_targetILNS1_3genE6ELNS1_11target_archE950ELNS1_3gpuE13ELNS1_3repE0EEENS1_47radix_sort_onesweep_sort_config_static_selectorELNS0_4arch9wavefront6targetE1EEEvSG_,"axG",@progbits,_ZN7rocprim17ROCPRIM_400000_NS6detail17trampoline_kernelINS0_14default_configENS1_35radix_sort_onesweep_config_selectorIdlEEZZNS1_29radix_sort_onesweep_iterationIS3_Lb0EPdS7_N6thrust23THRUST_200600_302600_NS10device_ptrIlEESB_jNS0_19identity_decomposerENS1_16block_id_wrapperIjLb1EEEEE10hipError_tT1_PNSt15iterator_traitsISG_E10value_typeET2_T3_PNSH_ISM_E10value_typeET4_T5_PSR_SS_PNS1_23onesweep_lookback_stateEbbT6_jjT7_P12ihipStream_tbENKUlT_T0_SG_SL_E_clIS7_S7_SB_SB_EEDaSZ_S10_SG_SL_EUlSZ_E_NS1_11comp_targetILNS1_3genE6ELNS1_11target_archE950ELNS1_3gpuE13ELNS1_3repE0EEENS1_47radix_sort_onesweep_sort_config_static_selectorELNS0_4arch9wavefront6targetE1EEEvSG_,comdat
.Lfunc_end1617:
	.size	_ZN7rocprim17ROCPRIM_400000_NS6detail17trampoline_kernelINS0_14default_configENS1_35radix_sort_onesweep_config_selectorIdlEEZZNS1_29radix_sort_onesweep_iterationIS3_Lb0EPdS7_N6thrust23THRUST_200600_302600_NS10device_ptrIlEESB_jNS0_19identity_decomposerENS1_16block_id_wrapperIjLb1EEEEE10hipError_tT1_PNSt15iterator_traitsISG_E10value_typeET2_T3_PNSH_ISM_E10value_typeET4_T5_PSR_SS_PNS1_23onesweep_lookback_stateEbbT6_jjT7_P12ihipStream_tbENKUlT_T0_SG_SL_E_clIS7_S7_SB_SB_EEDaSZ_S10_SG_SL_EUlSZ_E_NS1_11comp_targetILNS1_3genE6ELNS1_11target_archE950ELNS1_3gpuE13ELNS1_3repE0EEENS1_47radix_sort_onesweep_sort_config_static_selectorELNS0_4arch9wavefront6targetE1EEEvSG_, .Lfunc_end1617-_ZN7rocprim17ROCPRIM_400000_NS6detail17trampoline_kernelINS0_14default_configENS1_35radix_sort_onesweep_config_selectorIdlEEZZNS1_29radix_sort_onesweep_iterationIS3_Lb0EPdS7_N6thrust23THRUST_200600_302600_NS10device_ptrIlEESB_jNS0_19identity_decomposerENS1_16block_id_wrapperIjLb1EEEEE10hipError_tT1_PNSt15iterator_traitsISG_E10value_typeET2_T3_PNSH_ISM_E10value_typeET4_T5_PSR_SS_PNS1_23onesweep_lookback_stateEbbT6_jjT7_P12ihipStream_tbENKUlT_T0_SG_SL_E_clIS7_S7_SB_SB_EEDaSZ_S10_SG_SL_EUlSZ_E_NS1_11comp_targetILNS1_3genE6ELNS1_11target_archE950ELNS1_3gpuE13ELNS1_3repE0EEENS1_47radix_sort_onesweep_sort_config_static_selectorELNS0_4arch9wavefront6targetE1EEEvSG_
                                        ; -- End function
	.set _ZN7rocprim17ROCPRIM_400000_NS6detail17trampoline_kernelINS0_14default_configENS1_35radix_sort_onesweep_config_selectorIdlEEZZNS1_29radix_sort_onesweep_iterationIS3_Lb0EPdS7_N6thrust23THRUST_200600_302600_NS10device_ptrIlEESB_jNS0_19identity_decomposerENS1_16block_id_wrapperIjLb1EEEEE10hipError_tT1_PNSt15iterator_traitsISG_E10value_typeET2_T3_PNSH_ISM_E10value_typeET4_T5_PSR_SS_PNS1_23onesweep_lookback_stateEbbT6_jjT7_P12ihipStream_tbENKUlT_T0_SG_SL_E_clIS7_S7_SB_SB_EEDaSZ_S10_SG_SL_EUlSZ_E_NS1_11comp_targetILNS1_3genE6ELNS1_11target_archE950ELNS1_3gpuE13ELNS1_3repE0EEENS1_47radix_sort_onesweep_sort_config_static_selectorELNS0_4arch9wavefront6targetE1EEEvSG_.num_vgpr, 0
	.set _ZN7rocprim17ROCPRIM_400000_NS6detail17trampoline_kernelINS0_14default_configENS1_35radix_sort_onesweep_config_selectorIdlEEZZNS1_29radix_sort_onesweep_iterationIS3_Lb0EPdS7_N6thrust23THRUST_200600_302600_NS10device_ptrIlEESB_jNS0_19identity_decomposerENS1_16block_id_wrapperIjLb1EEEEE10hipError_tT1_PNSt15iterator_traitsISG_E10value_typeET2_T3_PNSH_ISM_E10value_typeET4_T5_PSR_SS_PNS1_23onesweep_lookback_stateEbbT6_jjT7_P12ihipStream_tbENKUlT_T0_SG_SL_E_clIS7_S7_SB_SB_EEDaSZ_S10_SG_SL_EUlSZ_E_NS1_11comp_targetILNS1_3genE6ELNS1_11target_archE950ELNS1_3gpuE13ELNS1_3repE0EEENS1_47radix_sort_onesweep_sort_config_static_selectorELNS0_4arch9wavefront6targetE1EEEvSG_.num_agpr, 0
	.set _ZN7rocprim17ROCPRIM_400000_NS6detail17trampoline_kernelINS0_14default_configENS1_35radix_sort_onesweep_config_selectorIdlEEZZNS1_29radix_sort_onesweep_iterationIS3_Lb0EPdS7_N6thrust23THRUST_200600_302600_NS10device_ptrIlEESB_jNS0_19identity_decomposerENS1_16block_id_wrapperIjLb1EEEEE10hipError_tT1_PNSt15iterator_traitsISG_E10value_typeET2_T3_PNSH_ISM_E10value_typeET4_T5_PSR_SS_PNS1_23onesweep_lookback_stateEbbT6_jjT7_P12ihipStream_tbENKUlT_T0_SG_SL_E_clIS7_S7_SB_SB_EEDaSZ_S10_SG_SL_EUlSZ_E_NS1_11comp_targetILNS1_3genE6ELNS1_11target_archE950ELNS1_3gpuE13ELNS1_3repE0EEENS1_47radix_sort_onesweep_sort_config_static_selectorELNS0_4arch9wavefront6targetE1EEEvSG_.numbered_sgpr, 0
	.set _ZN7rocprim17ROCPRIM_400000_NS6detail17trampoline_kernelINS0_14default_configENS1_35radix_sort_onesweep_config_selectorIdlEEZZNS1_29radix_sort_onesweep_iterationIS3_Lb0EPdS7_N6thrust23THRUST_200600_302600_NS10device_ptrIlEESB_jNS0_19identity_decomposerENS1_16block_id_wrapperIjLb1EEEEE10hipError_tT1_PNSt15iterator_traitsISG_E10value_typeET2_T3_PNSH_ISM_E10value_typeET4_T5_PSR_SS_PNS1_23onesweep_lookback_stateEbbT6_jjT7_P12ihipStream_tbENKUlT_T0_SG_SL_E_clIS7_S7_SB_SB_EEDaSZ_S10_SG_SL_EUlSZ_E_NS1_11comp_targetILNS1_3genE6ELNS1_11target_archE950ELNS1_3gpuE13ELNS1_3repE0EEENS1_47radix_sort_onesweep_sort_config_static_selectorELNS0_4arch9wavefront6targetE1EEEvSG_.num_named_barrier, 0
	.set _ZN7rocprim17ROCPRIM_400000_NS6detail17trampoline_kernelINS0_14default_configENS1_35radix_sort_onesweep_config_selectorIdlEEZZNS1_29radix_sort_onesweep_iterationIS3_Lb0EPdS7_N6thrust23THRUST_200600_302600_NS10device_ptrIlEESB_jNS0_19identity_decomposerENS1_16block_id_wrapperIjLb1EEEEE10hipError_tT1_PNSt15iterator_traitsISG_E10value_typeET2_T3_PNSH_ISM_E10value_typeET4_T5_PSR_SS_PNS1_23onesweep_lookback_stateEbbT6_jjT7_P12ihipStream_tbENKUlT_T0_SG_SL_E_clIS7_S7_SB_SB_EEDaSZ_S10_SG_SL_EUlSZ_E_NS1_11comp_targetILNS1_3genE6ELNS1_11target_archE950ELNS1_3gpuE13ELNS1_3repE0EEENS1_47radix_sort_onesweep_sort_config_static_selectorELNS0_4arch9wavefront6targetE1EEEvSG_.private_seg_size, 0
	.set _ZN7rocprim17ROCPRIM_400000_NS6detail17trampoline_kernelINS0_14default_configENS1_35radix_sort_onesweep_config_selectorIdlEEZZNS1_29radix_sort_onesweep_iterationIS3_Lb0EPdS7_N6thrust23THRUST_200600_302600_NS10device_ptrIlEESB_jNS0_19identity_decomposerENS1_16block_id_wrapperIjLb1EEEEE10hipError_tT1_PNSt15iterator_traitsISG_E10value_typeET2_T3_PNSH_ISM_E10value_typeET4_T5_PSR_SS_PNS1_23onesweep_lookback_stateEbbT6_jjT7_P12ihipStream_tbENKUlT_T0_SG_SL_E_clIS7_S7_SB_SB_EEDaSZ_S10_SG_SL_EUlSZ_E_NS1_11comp_targetILNS1_3genE6ELNS1_11target_archE950ELNS1_3gpuE13ELNS1_3repE0EEENS1_47radix_sort_onesweep_sort_config_static_selectorELNS0_4arch9wavefront6targetE1EEEvSG_.uses_vcc, 0
	.set _ZN7rocprim17ROCPRIM_400000_NS6detail17trampoline_kernelINS0_14default_configENS1_35radix_sort_onesweep_config_selectorIdlEEZZNS1_29radix_sort_onesweep_iterationIS3_Lb0EPdS7_N6thrust23THRUST_200600_302600_NS10device_ptrIlEESB_jNS0_19identity_decomposerENS1_16block_id_wrapperIjLb1EEEEE10hipError_tT1_PNSt15iterator_traitsISG_E10value_typeET2_T3_PNSH_ISM_E10value_typeET4_T5_PSR_SS_PNS1_23onesweep_lookback_stateEbbT6_jjT7_P12ihipStream_tbENKUlT_T0_SG_SL_E_clIS7_S7_SB_SB_EEDaSZ_S10_SG_SL_EUlSZ_E_NS1_11comp_targetILNS1_3genE6ELNS1_11target_archE950ELNS1_3gpuE13ELNS1_3repE0EEENS1_47radix_sort_onesweep_sort_config_static_selectorELNS0_4arch9wavefront6targetE1EEEvSG_.uses_flat_scratch, 0
	.set _ZN7rocprim17ROCPRIM_400000_NS6detail17trampoline_kernelINS0_14default_configENS1_35radix_sort_onesweep_config_selectorIdlEEZZNS1_29radix_sort_onesweep_iterationIS3_Lb0EPdS7_N6thrust23THRUST_200600_302600_NS10device_ptrIlEESB_jNS0_19identity_decomposerENS1_16block_id_wrapperIjLb1EEEEE10hipError_tT1_PNSt15iterator_traitsISG_E10value_typeET2_T3_PNSH_ISM_E10value_typeET4_T5_PSR_SS_PNS1_23onesweep_lookback_stateEbbT6_jjT7_P12ihipStream_tbENKUlT_T0_SG_SL_E_clIS7_S7_SB_SB_EEDaSZ_S10_SG_SL_EUlSZ_E_NS1_11comp_targetILNS1_3genE6ELNS1_11target_archE950ELNS1_3gpuE13ELNS1_3repE0EEENS1_47radix_sort_onesweep_sort_config_static_selectorELNS0_4arch9wavefront6targetE1EEEvSG_.has_dyn_sized_stack, 0
	.set _ZN7rocprim17ROCPRIM_400000_NS6detail17trampoline_kernelINS0_14default_configENS1_35radix_sort_onesweep_config_selectorIdlEEZZNS1_29radix_sort_onesweep_iterationIS3_Lb0EPdS7_N6thrust23THRUST_200600_302600_NS10device_ptrIlEESB_jNS0_19identity_decomposerENS1_16block_id_wrapperIjLb1EEEEE10hipError_tT1_PNSt15iterator_traitsISG_E10value_typeET2_T3_PNSH_ISM_E10value_typeET4_T5_PSR_SS_PNS1_23onesweep_lookback_stateEbbT6_jjT7_P12ihipStream_tbENKUlT_T0_SG_SL_E_clIS7_S7_SB_SB_EEDaSZ_S10_SG_SL_EUlSZ_E_NS1_11comp_targetILNS1_3genE6ELNS1_11target_archE950ELNS1_3gpuE13ELNS1_3repE0EEENS1_47radix_sort_onesweep_sort_config_static_selectorELNS0_4arch9wavefront6targetE1EEEvSG_.has_recursion, 0
	.set _ZN7rocprim17ROCPRIM_400000_NS6detail17trampoline_kernelINS0_14default_configENS1_35radix_sort_onesweep_config_selectorIdlEEZZNS1_29radix_sort_onesweep_iterationIS3_Lb0EPdS7_N6thrust23THRUST_200600_302600_NS10device_ptrIlEESB_jNS0_19identity_decomposerENS1_16block_id_wrapperIjLb1EEEEE10hipError_tT1_PNSt15iterator_traitsISG_E10value_typeET2_T3_PNSH_ISM_E10value_typeET4_T5_PSR_SS_PNS1_23onesweep_lookback_stateEbbT6_jjT7_P12ihipStream_tbENKUlT_T0_SG_SL_E_clIS7_S7_SB_SB_EEDaSZ_S10_SG_SL_EUlSZ_E_NS1_11comp_targetILNS1_3genE6ELNS1_11target_archE950ELNS1_3gpuE13ELNS1_3repE0EEENS1_47radix_sort_onesweep_sort_config_static_selectorELNS0_4arch9wavefront6targetE1EEEvSG_.has_indirect_call, 0
	.section	.AMDGPU.csdata,"",@progbits
; Kernel info:
; codeLenInByte = 0
; TotalNumSgprs: 4
; NumVgprs: 0
; ScratchSize: 0
; MemoryBound: 0
; FloatMode: 240
; IeeeMode: 1
; LDSByteSize: 0 bytes/workgroup (compile time only)
; SGPRBlocks: 0
; VGPRBlocks: 0
; NumSGPRsForWavesPerEU: 4
; NumVGPRsForWavesPerEU: 1
; Occupancy: 10
; WaveLimiterHint : 0
; COMPUTE_PGM_RSRC2:SCRATCH_EN: 0
; COMPUTE_PGM_RSRC2:USER_SGPR: 6
; COMPUTE_PGM_RSRC2:TRAP_HANDLER: 0
; COMPUTE_PGM_RSRC2:TGID_X_EN: 1
; COMPUTE_PGM_RSRC2:TGID_Y_EN: 0
; COMPUTE_PGM_RSRC2:TGID_Z_EN: 0
; COMPUTE_PGM_RSRC2:TIDIG_COMP_CNT: 0
	.section	.text._ZN7rocprim17ROCPRIM_400000_NS6detail17trampoline_kernelINS0_14default_configENS1_35radix_sort_onesweep_config_selectorIdlEEZZNS1_29radix_sort_onesweep_iterationIS3_Lb0EPdS7_N6thrust23THRUST_200600_302600_NS10device_ptrIlEESB_jNS0_19identity_decomposerENS1_16block_id_wrapperIjLb1EEEEE10hipError_tT1_PNSt15iterator_traitsISG_E10value_typeET2_T3_PNSH_ISM_E10value_typeET4_T5_PSR_SS_PNS1_23onesweep_lookback_stateEbbT6_jjT7_P12ihipStream_tbENKUlT_T0_SG_SL_E_clIS7_S7_SB_SB_EEDaSZ_S10_SG_SL_EUlSZ_E_NS1_11comp_targetILNS1_3genE5ELNS1_11target_archE942ELNS1_3gpuE9ELNS1_3repE0EEENS1_47radix_sort_onesweep_sort_config_static_selectorELNS0_4arch9wavefront6targetE1EEEvSG_,"axG",@progbits,_ZN7rocprim17ROCPRIM_400000_NS6detail17trampoline_kernelINS0_14default_configENS1_35radix_sort_onesweep_config_selectorIdlEEZZNS1_29radix_sort_onesweep_iterationIS3_Lb0EPdS7_N6thrust23THRUST_200600_302600_NS10device_ptrIlEESB_jNS0_19identity_decomposerENS1_16block_id_wrapperIjLb1EEEEE10hipError_tT1_PNSt15iterator_traitsISG_E10value_typeET2_T3_PNSH_ISM_E10value_typeET4_T5_PSR_SS_PNS1_23onesweep_lookback_stateEbbT6_jjT7_P12ihipStream_tbENKUlT_T0_SG_SL_E_clIS7_S7_SB_SB_EEDaSZ_S10_SG_SL_EUlSZ_E_NS1_11comp_targetILNS1_3genE5ELNS1_11target_archE942ELNS1_3gpuE9ELNS1_3repE0EEENS1_47radix_sort_onesweep_sort_config_static_selectorELNS0_4arch9wavefront6targetE1EEEvSG_,comdat
	.protected	_ZN7rocprim17ROCPRIM_400000_NS6detail17trampoline_kernelINS0_14default_configENS1_35radix_sort_onesweep_config_selectorIdlEEZZNS1_29radix_sort_onesweep_iterationIS3_Lb0EPdS7_N6thrust23THRUST_200600_302600_NS10device_ptrIlEESB_jNS0_19identity_decomposerENS1_16block_id_wrapperIjLb1EEEEE10hipError_tT1_PNSt15iterator_traitsISG_E10value_typeET2_T3_PNSH_ISM_E10value_typeET4_T5_PSR_SS_PNS1_23onesweep_lookback_stateEbbT6_jjT7_P12ihipStream_tbENKUlT_T0_SG_SL_E_clIS7_S7_SB_SB_EEDaSZ_S10_SG_SL_EUlSZ_E_NS1_11comp_targetILNS1_3genE5ELNS1_11target_archE942ELNS1_3gpuE9ELNS1_3repE0EEENS1_47radix_sort_onesweep_sort_config_static_selectorELNS0_4arch9wavefront6targetE1EEEvSG_ ; -- Begin function _ZN7rocprim17ROCPRIM_400000_NS6detail17trampoline_kernelINS0_14default_configENS1_35radix_sort_onesweep_config_selectorIdlEEZZNS1_29radix_sort_onesweep_iterationIS3_Lb0EPdS7_N6thrust23THRUST_200600_302600_NS10device_ptrIlEESB_jNS0_19identity_decomposerENS1_16block_id_wrapperIjLb1EEEEE10hipError_tT1_PNSt15iterator_traitsISG_E10value_typeET2_T3_PNSH_ISM_E10value_typeET4_T5_PSR_SS_PNS1_23onesweep_lookback_stateEbbT6_jjT7_P12ihipStream_tbENKUlT_T0_SG_SL_E_clIS7_S7_SB_SB_EEDaSZ_S10_SG_SL_EUlSZ_E_NS1_11comp_targetILNS1_3genE5ELNS1_11target_archE942ELNS1_3gpuE9ELNS1_3repE0EEENS1_47radix_sort_onesweep_sort_config_static_selectorELNS0_4arch9wavefront6targetE1EEEvSG_
	.globl	_ZN7rocprim17ROCPRIM_400000_NS6detail17trampoline_kernelINS0_14default_configENS1_35radix_sort_onesweep_config_selectorIdlEEZZNS1_29radix_sort_onesweep_iterationIS3_Lb0EPdS7_N6thrust23THRUST_200600_302600_NS10device_ptrIlEESB_jNS0_19identity_decomposerENS1_16block_id_wrapperIjLb1EEEEE10hipError_tT1_PNSt15iterator_traitsISG_E10value_typeET2_T3_PNSH_ISM_E10value_typeET4_T5_PSR_SS_PNS1_23onesweep_lookback_stateEbbT6_jjT7_P12ihipStream_tbENKUlT_T0_SG_SL_E_clIS7_S7_SB_SB_EEDaSZ_S10_SG_SL_EUlSZ_E_NS1_11comp_targetILNS1_3genE5ELNS1_11target_archE942ELNS1_3gpuE9ELNS1_3repE0EEENS1_47radix_sort_onesweep_sort_config_static_selectorELNS0_4arch9wavefront6targetE1EEEvSG_
	.p2align	8
	.type	_ZN7rocprim17ROCPRIM_400000_NS6detail17trampoline_kernelINS0_14default_configENS1_35radix_sort_onesweep_config_selectorIdlEEZZNS1_29radix_sort_onesweep_iterationIS3_Lb0EPdS7_N6thrust23THRUST_200600_302600_NS10device_ptrIlEESB_jNS0_19identity_decomposerENS1_16block_id_wrapperIjLb1EEEEE10hipError_tT1_PNSt15iterator_traitsISG_E10value_typeET2_T3_PNSH_ISM_E10value_typeET4_T5_PSR_SS_PNS1_23onesweep_lookback_stateEbbT6_jjT7_P12ihipStream_tbENKUlT_T0_SG_SL_E_clIS7_S7_SB_SB_EEDaSZ_S10_SG_SL_EUlSZ_E_NS1_11comp_targetILNS1_3genE5ELNS1_11target_archE942ELNS1_3gpuE9ELNS1_3repE0EEENS1_47radix_sort_onesweep_sort_config_static_selectorELNS0_4arch9wavefront6targetE1EEEvSG_,@function
_ZN7rocprim17ROCPRIM_400000_NS6detail17trampoline_kernelINS0_14default_configENS1_35radix_sort_onesweep_config_selectorIdlEEZZNS1_29radix_sort_onesweep_iterationIS3_Lb0EPdS7_N6thrust23THRUST_200600_302600_NS10device_ptrIlEESB_jNS0_19identity_decomposerENS1_16block_id_wrapperIjLb1EEEEE10hipError_tT1_PNSt15iterator_traitsISG_E10value_typeET2_T3_PNSH_ISM_E10value_typeET4_T5_PSR_SS_PNS1_23onesweep_lookback_stateEbbT6_jjT7_P12ihipStream_tbENKUlT_T0_SG_SL_E_clIS7_S7_SB_SB_EEDaSZ_S10_SG_SL_EUlSZ_E_NS1_11comp_targetILNS1_3genE5ELNS1_11target_archE942ELNS1_3gpuE9ELNS1_3repE0EEENS1_47radix_sort_onesweep_sort_config_static_selectorELNS0_4arch9wavefront6targetE1EEEvSG_: ; @_ZN7rocprim17ROCPRIM_400000_NS6detail17trampoline_kernelINS0_14default_configENS1_35radix_sort_onesweep_config_selectorIdlEEZZNS1_29radix_sort_onesweep_iterationIS3_Lb0EPdS7_N6thrust23THRUST_200600_302600_NS10device_ptrIlEESB_jNS0_19identity_decomposerENS1_16block_id_wrapperIjLb1EEEEE10hipError_tT1_PNSt15iterator_traitsISG_E10value_typeET2_T3_PNSH_ISM_E10value_typeET4_T5_PSR_SS_PNS1_23onesweep_lookback_stateEbbT6_jjT7_P12ihipStream_tbENKUlT_T0_SG_SL_E_clIS7_S7_SB_SB_EEDaSZ_S10_SG_SL_EUlSZ_E_NS1_11comp_targetILNS1_3genE5ELNS1_11target_archE942ELNS1_3gpuE9ELNS1_3repE0EEENS1_47radix_sort_onesweep_sort_config_static_selectorELNS0_4arch9wavefront6targetE1EEEvSG_
; %bb.0:
	.section	.rodata,"a",@progbits
	.p2align	6, 0x0
	.amdhsa_kernel _ZN7rocprim17ROCPRIM_400000_NS6detail17trampoline_kernelINS0_14default_configENS1_35radix_sort_onesweep_config_selectorIdlEEZZNS1_29radix_sort_onesweep_iterationIS3_Lb0EPdS7_N6thrust23THRUST_200600_302600_NS10device_ptrIlEESB_jNS0_19identity_decomposerENS1_16block_id_wrapperIjLb1EEEEE10hipError_tT1_PNSt15iterator_traitsISG_E10value_typeET2_T3_PNSH_ISM_E10value_typeET4_T5_PSR_SS_PNS1_23onesweep_lookback_stateEbbT6_jjT7_P12ihipStream_tbENKUlT_T0_SG_SL_E_clIS7_S7_SB_SB_EEDaSZ_S10_SG_SL_EUlSZ_E_NS1_11comp_targetILNS1_3genE5ELNS1_11target_archE942ELNS1_3gpuE9ELNS1_3repE0EEENS1_47radix_sort_onesweep_sort_config_static_selectorELNS0_4arch9wavefront6targetE1EEEvSG_
		.amdhsa_group_segment_fixed_size 0
		.amdhsa_private_segment_fixed_size 0
		.amdhsa_kernarg_size 88
		.amdhsa_user_sgpr_count 6
		.amdhsa_user_sgpr_private_segment_buffer 1
		.amdhsa_user_sgpr_dispatch_ptr 0
		.amdhsa_user_sgpr_queue_ptr 0
		.amdhsa_user_sgpr_kernarg_segment_ptr 1
		.amdhsa_user_sgpr_dispatch_id 0
		.amdhsa_user_sgpr_flat_scratch_init 0
		.amdhsa_user_sgpr_private_segment_size 0
		.amdhsa_uses_dynamic_stack 0
		.amdhsa_system_sgpr_private_segment_wavefront_offset 0
		.amdhsa_system_sgpr_workgroup_id_x 1
		.amdhsa_system_sgpr_workgroup_id_y 0
		.amdhsa_system_sgpr_workgroup_id_z 0
		.amdhsa_system_sgpr_workgroup_info 0
		.amdhsa_system_vgpr_workitem_id 0
		.amdhsa_next_free_vgpr 1
		.amdhsa_next_free_sgpr 0
		.amdhsa_reserve_vcc 0
		.amdhsa_reserve_flat_scratch 0
		.amdhsa_float_round_mode_32 0
		.amdhsa_float_round_mode_16_64 0
		.amdhsa_float_denorm_mode_32 3
		.amdhsa_float_denorm_mode_16_64 3
		.amdhsa_dx10_clamp 1
		.amdhsa_ieee_mode 1
		.amdhsa_fp16_overflow 0
		.amdhsa_exception_fp_ieee_invalid_op 0
		.amdhsa_exception_fp_denorm_src 0
		.amdhsa_exception_fp_ieee_div_zero 0
		.amdhsa_exception_fp_ieee_overflow 0
		.amdhsa_exception_fp_ieee_underflow 0
		.amdhsa_exception_fp_ieee_inexact 0
		.amdhsa_exception_int_div_zero 0
	.end_amdhsa_kernel
	.section	.text._ZN7rocprim17ROCPRIM_400000_NS6detail17trampoline_kernelINS0_14default_configENS1_35radix_sort_onesweep_config_selectorIdlEEZZNS1_29radix_sort_onesweep_iterationIS3_Lb0EPdS7_N6thrust23THRUST_200600_302600_NS10device_ptrIlEESB_jNS0_19identity_decomposerENS1_16block_id_wrapperIjLb1EEEEE10hipError_tT1_PNSt15iterator_traitsISG_E10value_typeET2_T3_PNSH_ISM_E10value_typeET4_T5_PSR_SS_PNS1_23onesweep_lookback_stateEbbT6_jjT7_P12ihipStream_tbENKUlT_T0_SG_SL_E_clIS7_S7_SB_SB_EEDaSZ_S10_SG_SL_EUlSZ_E_NS1_11comp_targetILNS1_3genE5ELNS1_11target_archE942ELNS1_3gpuE9ELNS1_3repE0EEENS1_47radix_sort_onesweep_sort_config_static_selectorELNS0_4arch9wavefront6targetE1EEEvSG_,"axG",@progbits,_ZN7rocprim17ROCPRIM_400000_NS6detail17trampoline_kernelINS0_14default_configENS1_35radix_sort_onesweep_config_selectorIdlEEZZNS1_29radix_sort_onesweep_iterationIS3_Lb0EPdS7_N6thrust23THRUST_200600_302600_NS10device_ptrIlEESB_jNS0_19identity_decomposerENS1_16block_id_wrapperIjLb1EEEEE10hipError_tT1_PNSt15iterator_traitsISG_E10value_typeET2_T3_PNSH_ISM_E10value_typeET4_T5_PSR_SS_PNS1_23onesweep_lookback_stateEbbT6_jjT7_P12ihipStream_tbENKUlT_T0_SG_SL_E_clIS7_S7_SB_SB_EEDaSZ_S10_SG_SL_EUlSZ_E_NS1_11comp_targetILNS1_3genE5ELNS1_11target_archE942ELNS1_3gpuE9ELNS1_3repE0EEENS1_47radix_sort_onesweep_sort_config_static_selectorELNS0_4arch9wavefront6targetE1EEEvSG_,comdat
.Lfunc_end1618:
	.size	_ZN7rocprim17ROCPRIM_400000_NS6detail17trampoline_kernelINS0_14default_configENS1_35radix_sort_onesweep_config_selectorIdlEEZZNS1_29radix_sort_onesweep_iterationIS3_Lb0EPdS7_N6thrust23THRUST_200600_302600_NS10device_ptrIlEESB_jNS0_19identity_decomposerENS1_16block_id_wrapperIjLb1EEEEE10hipError_tT1_PNSt15iterator_traitsISG_E10value_typeET2_T3_PNSH_ISM_E10value_typeET4_T5_PSR_SS_PNS1_23onesweep_lookback_stateEbbT6_jjT7_P12ihipStream_tbENKUlT_T0_SG_SL_E_clIS7_S7_SB_SB_EEDaSZ_S10_SG_SL_EUlSZ_E_NS1_11comp_targetILNS1_3genE5ELNS1_11target_archE942ELNS1_3gpuE9ELNS1_3repE0EEENS1_47radix_sort_onesweep_sort_config_static_selectorELNS0_4arch9wavefront6targetE1EEEvSG_, .Lfunc_end1618-_ZN7rocprim17ROCPRIM_400000_NS6detail17trampoline_kernelINS0_14default_configENS1_35radix_sort_onesweep_config_selectorIdlEEZZNS1_29radix_sort_onesweep_iterationIS3_Lb0EPdS7_N6thrust23THRUST_200600_302600_NS10device_ptrIlEESB_jNS0_19identity_decomposerENS1_16block_id_wrapperIjLb1EEEEE10hipError_tT1_PNSt15iterator_traitsISG_E10value_typeET2_T3_PNSH_ISM_E10value_typeET4_T5_PSR_SS_PNS1_23onesweep_lookback_stateEbbT6_jjT7_P12ihipStream_tbENKUlT_T0_SG_SL_E_clIS7_S7_SB_SB_EEDaSZ_S10_SG_SL_EUlSZ_E_NS1_11comp_targetILNS1_3genE5ELNS1_11target_archE942ELNS1_3gpuE9ELNS1_3repE0EEENS1_47radix_sort_onesweep_sort_config_static_selectorELNS0_4arch9wavefront6targetE1EEEvSG_
                                        ; -- End function
	.set _ZN7rocprim17ROCPRIM_400000_NS6detail17trampoline_kernelINS0_14default_configENS1_35radix_sort_onesweep_config_selectorIdlEEZZNS1_29radix_sort_onesweep_iterationIS3_Lb0EPdS7_N6thrust23THRUST_200600_302600_NS10device_ptrIlEESB_jNS0_19identity_decomposerENS1_16block_id_wrapperIjLb1EEEEE10hipError_tT1_PNSt15iterator_traitsISG_E10value_typeET2_T3_PNSH_ISM_E10value_typeET4_T5_PSR_SS_PNS1_23onesweep_lookback_stateEbbT6_jjT7_P12ihipStream_tbENKUlT_T0_SG_SL_E_clIS7_S7_SB_SB_EEDaSZ_S10_SG_SL_EUlSZ_E_NS1_11comp_targetILNS1_3genE5ELNS1_11target_archE942ELNS1_3gpuE9ELNS1_3repE0EEENS1_47radix_sort_onesweep_sort_config_static_selectorELNS0_4arch9wavefront6targetE1EEEvSG_.num_vgpr, 0
	.set _ZN7rocprim17ROCPRIM_400000_NS6detail17trampoline_kernelINS0_14default_configENS1_35radix_sort_onesweep_config_selectorIdlEEZZNS1_29radix_sort_onesweep_iterationIS3_Lb0EPdS7_N6thrust23THRUST_200600_302600_NS10device_ptrIlEESB_jNS0_19identity_decomposerENS1_16block_id_wrapperIjLb1EEEEE10hipError_tT1_PNSt15iterator_traitsISG_E10value_typeET2_T3_PNSH_ISM_E10value_typeET4_T5_PSR_SS_PNS1_23onesweep_lookback_stateEbbT6_jjT7_P12ihipStream_tbENKUlT_T0_SG_SL_E_clIS7_S7_SB_SB_EEDaSZ_S10_SG_SL_EUlSZ_E_NS1_11comp_targetILNS1_3genE5ELNS1_11target_archE942ELNS1_3gpuE9ELNS1_3repE0EEENS1_47radix_sort_onesweep_sort_config_static_selectorELNS0_4arch9wavefront6targetE1EEEvSG_.num_agpr, 0
	.set _ZN7rocprim17ROCPRIM_400000_NS6detail17trampoline_kernelINS0_14default_configENS1_35radix_sort_onesweep_config_selectorIdlEEZZNS1_29radix_sort_onesweep_iterationIS3_Lb0EPdS7_N6thrust23THRUST_200600_302600_NS10device_ptrIlEESB_jNS0_19identity_decomposerENS1_16block_id_wrapperIjLb1EEEEE10hipError_tT1_PNSt15iterator_traitsISG_E10value_typeET2_T3_PNSH_ISM_E10value_typeET4_T5_PSR_SS_PNS1_23onesweep_lookback_stateEbbT6_jjT7_P12ihipStream_tbENKUlT_T0_SG_SL_E_clIS7_S7_SB_SB_EEDaSZ_S10_SG_SL_EUlSZ_E_NS1_11comp_targetILNS1_3genE5ELNS1_11target_archE942ELNS1_3gpuE9ELNS1_3repE0EEENS1_47radix_sort_onesweep_sort_config_static_selectorELNS0_4arch9wavefront6targetE1EEEvSG_.numbered_sgpr, 0
	.set _ZN7rocprim17ROCPRIM_400000_NS6detail17trampoline_kernelINS0_14default_configENS1_35radix_sort_onesweep_config_selectorIdlEEZZNS1_29radix_sort_onesweep_iterationIS3_Lb0EPdS7_N6thrust23THRUST_200600_302600_NS10device_ptrIlEESB_jNS0_19identity_decomposerENS1_16block_id_wrapperIjLb1EEEEE10hipError_tT1_PNSt15iterator_traitsISG_E10value_typeET2_T3_PNSH_ISM_E10value_typeET4_T5_PSR_SS_PNS1_23onesweep_lookback_stateEbbT6_jjT7_P12ihipStream_tbENKUlT_T0_SG_SL_E_clIS7_S7_SB_SB_EEDaSZ_S10_SG_SL_EUlSZ_E_NS1_11comp_targetILNS1_3genE5ELNS1_11target_archE942ELNS1_3gpuE9ELNS1_3repE0EEENS1_47radix_sort_onesweep_sort_config_static_selectorELNS0_4arch9wavefront6targetE1EEEvSG_.num_named_barrier, 0
	.set _ZN7rocprim17ROCPRIM_400000_NS6detail17trampoline_kernelINS0_14default_configENS1_35radix_sort_onesweep_config_selectorIdlEEZZNS1_29radix_sort_onesweep_iterationIS3_Lb0EPdS7_N6thrust23THRUST_200600_302600_NS10device_ptrIlEESB_jNS0_19identity_decomposerENS1_16block_id_wrapperIjLb1EEEEE10hipError_tT1_PNSt15iterator_traitsISG_E10value_typeET2_T3_PNSH_ISM_E10value_typeET4_T5_PSR_SS_PNS1_23onesweep_lookback_stateEbbT6_jjT7_P12ihipStream_tbENKUlT_T0_SG_SL_E_clIS7_S7_SB_SB_EEDaSZ_S10_SG_SL_EUlSZ_E_NS1_11comp_targetILNS1_3genE5ELNS1_11target_archE942ELNS1_3gpuE9ELNS1_3repE0EEENS1_47radix_sort_onesweep_sort_config_static_selectorELNS0_4arch9wavefront6targetE1EEEvSG_.private_seg_size, 0
	.set _ZN7rocprim17ROCPRIM_400000_NS6detail17trampoline_kernelINS0_14default_configENS1_35radix_sort_onesweep_config_selectorIdlEEZZNS1_29radix_sort_onesweep_iterationIS3_Lb0EPdS7_N6thrust23THRUST_200600_302600_NS10device_ptrIlEESB_jNS0_19identity_decomposerENS1_16block_id_wrapperIjLb1EEEEE10hipError_tT1_PNSt15iterator_traitsISG_E10value_typeET2_T3_PNSH_ISM_E10value_typeET4_T5_PSR_SS_PNS1_23onesweep_lookback_stateEbbT6_jjT7_P12ihipStream_tbENKUlT_T0_SG_SL_E_clIS7_S7_SB_SB_EEDaSZ_S10_SG_SL_EUlSZ_E_NS1_11comp_targetILNS1_3genE5ELNS1_11target_archE942ELNS1_3gpuE9ELNS1_3repE0EEENS1_47radix_sort_onesweep_sort_config_static_selectorELNS0_4arch9wavefront6targetE1EEEvSG_.uses_vcc, 0
	.set _ZN7rocprim17ROCPRIM_400000_NS6detail17trampoline_kernelINS0_14default_configENS1_35radix_sort_onesweep_config_selectorIdlEEZZNS1_29radix_sort_onesweep_iterationIS3_Lb0EPdS7_N6thrust23THRUST_200600_302600_NS10device_ptrIlEESB_jNS0_19identity_decomposerENS1_16block_id_wrapperIjLb1EEEEE10hipError_tT1_PNSt15iterator_traitsISG_E10value_typeET2_T3_PNSH_ISM_E10value_typeET4_T5_PSR_SS_PNS1_23onesweep_lookback_stateEbbT6_jjT7_P12ihipStream_tbENKUlT_T0_SG_SL_E_clIS7_S7_SB_SB_EEDaSZ_S10_SG_SL_EUlSZ_E_NS1_11comp_targetILNS1_3genE5ELNS1_11target_archE942ELNS1_3gpuE9ELNS1_3repE0EEENS1_47radix_sort_onesweep_sort_config_static_selectorELNS0_4arch9wavefront6targetE1EEEvSG_.uses_flat_scratch, 0
	.set _ZN7rocprim17ROCPRIM_400000_NS6detail17trampoline_kernelINS0_14default_configENS1_35radix_sort_onesweep_config_selectorIdlEEZZNS1_29radix_sort_onesweep_iterationIS3_Lb0EPdS7_N6thrust23THRUST_200600_302600_NS10device_ptrIlEESB_jNS0_19identity_decomposerENS1_16block_id_wrapperIjLb1EEEEE10hipError_tT1_PNSt15iterator_traitsISG_E10value_typeET2_T3_PNSH_ISM_E10value_typeET4_T5_PSR_SS_PNS1_23onesweep_lookback_stateEbbT6_jjT7_P12ihipStream_tbENKUlT_T0_SG_SL_E_clIS7_S7_SB_SB_EEDaSZ_S10_SG_SL_EUlSZ_E_NS1_11comp_targetILNS1_3genE5ELNS1_11target_archE942ELNS1_3gpuE9ELNS1_3repE0EEENS1_47radix_sort_onesweep_sort_config_static_selectorELNS0_4arch9wavefront6targetE1EEEvSG_.has_dyn_sized_stack, 0
	.set _ZN7rocprim17ROCPRIM_400000_NS6detail17trampoline_kernelINS0_14default_configENS1_35radix_sort_onesweep_config_selectorIdlEEZZNS1_29radix_sort_onesweep_iterationIS3_Lb0EPdS7_N6thrust23THRUST_200600_302600_NS10device_ptrIlEESB_jNS0_19identity_decomposerENS1_16block_id_wrapperIjLb1EEEEE10hipError_tT1_PNSt15iterator_traitsISG_E10value_typeET2_T3_PNSH_ISM_E10value_typeET4_T5_PSR_SS_PNS1_23onesweep_lookback_stateEbbT6_jjT7_P12ihipStream_tbENKUlT_T0_SG_SL_E_clIS7_S7_SB_SB_EEDaSZ_S10_SG_SL_EUlSZ_E_NS1_11comp_targetILNS1_3genE5ELNS1_11target_archE942ELNS1_3gpuE9ELNS1_3repE0EEENS1_47radix_sort_onesweep_sort_config_static_selectorELNS0_4arch9wavefront6targetE1EEEvSG_.has_recursion, 0
	.set _ZN7rocprim17ROCPRIM_400000_NS6detail17trampoline_kernelINS0_14default_configENS1_35radix_sort_onesweep_config_selectorIdlEEZZNS1_29radix_sort_onesweep_iterationIS3_Lb0EPdS7_N6thrust23THRUST_200600_302600_NS10device_ptrIlEESB_jNS0_19identity_decomposerENS1_16block_id_wrapperIjLb1EEEEE10hipError_tT1_PNSt15iterator_traitsISG_E10value_typeET2_T3_PNSH_ISM_E10value_typeET4_T5_PSR_SS_PNS1_23onesweep_lookback_stateEbbT6_jjT7_P12ihipStream_tbENKUlT_T0_SG_SL_E_clIS7_S7_SB_SB_EEDaSZ_S10_SG_SL_EUlSZ_E_NS1_11comp_targetILNS1_3genE5ELNS1_11target_archE942ELNS1_3gpuE9ELNS1_3repE0EEENS1_47radix_sort_onesweep_sort_config_static_selectorELNS0_4arch9wavefront6targetE1EEEvSG_.has_indirect_call, 0
	.section	.AMDGPU.csdata,"",@progbits
; Kernel info:
; codeLenInByte = 0
; TotalNumSgprs: 4
; NumVgprs: 0
; ScratchSize: 0
; MemoryBound: 0
; FloatMode: 240
; IeeeMode: 1
; LDSByteSize: 0 bytes/workgroup (compile time only)
; SGPRBlocks: 0
; VGPRBlocks: 0
; NumSGPRsForWavesPerEU: 4
; NumVGPRsForWavesPerEU: 1
; Occupancy: 10
; WaveLimiterHint : 0
; COMPUTE_PGM_RSRC2:SCRATCH_EN: 0
; COMPUTE_PGM_RSRC2:USER_SGPR: 6
; COMPUTE_PGM_RSRC2:TRAP_HANDLER: 0
; COMPUTE_PGM_RSRC2:TGID_X_EN: 1
; COMPUTE_PGM_RSRC2:TGID_Y_EN: 0
; COMPUTE_PGM_RSRC2:TGID_Z_EN: 0
; COMPUTE_PGM_RSRC2:TIDIG_COMP_CNT: 0
	.section	.text._ZN7rocprim17ROCPRIM_400000_NS6detail17trampoline_kernelINS0_14default_configENS1_35radix_sort_onesweep_config_selectorIdlEEZZNS1_29radix_sort_onesweep_iterationIS3_Lb0EPdS7_N6thrust23THRUST_200600_302600_NS10device_ptrIlEESB_jNS0_19identity_decomposerENS1_16block_id_wrapperIjLb1EEEEE10hipError_tT1_PNSt15iterator_traitsISG_E10value_typeET2_T3_PNSH_ISM_E10value_typeET4_T5_PSR_SS_PNS1_23onesweep_lookback_stateEbbT6_jjT7_P12ihipStream_tbENKUlT_T0_SG_SL_E_clIS7_S7_SB_SB_EEDaSZ_S10_SG_SL_EUlSZ_E_NS1_11comp_targetILNS1_3genE2ELNS1_11target_archE906ELNS1_3gpuE6ELNS1_3repE0EEENS1_47radix_sort_onesweep_sort_config_static_selectorELNS0_4arch9wavefront6targetE1EEEvSG_,"axG",@progbits,_ZN7rocprim17ROCPRIM_400000_NS6detail17trampoline_kernelINS0_14default_configENS1_35radix_sort_onesweep_config_selectorIdlEEZZNS1_29radix_sort_onesweep_iterationIS3_Lb0EPdS7_N6thrust23THRUST_200600_302600_NS10device_ptrIlEESB_jNS0_19identity_decomposerENS1_16block_id_wrapperIjLb1EEEEE10hipError_tT1_PNSt15iterator_traitsISG_E10value_typeET2_T3_PNSH_ISM_E10value_typeET4_T5_PSR_SS_PNS1_23onesweep_lookback_stateEbbT6_jjT7_P12ihipStream_tbENKUlT_T0_SG_SL_E_clIS7_S7_SB_SB_EEDaSZ_S10_SG_SL_EUlSZ_E_NS1_11comp_targetILNS1_3genE2ELNS1_11target_archE906ELNS1_3gpuE6ELNS1_3repE0EEENS1_47radix_sort_onesweep_sort_config_static_selectorELNS0_4arch9wavefront6targetE1EEEvSG_,comdat
	.protected	_ZN7rocprim17ROCPRIM_400000_NS6detail17trampoline_kernelINS0_14default_configENS1_35radix_sort_onesweep_config_selectorIdlEEZZNS1_29radix_sort_onesweep_iterationIS3_Lb0EPdS7_N6thrust23THRUST_200600_302600_NS10device_ptrIlEESB_jNS0_19identity_decomposerENS1_16block_id_wrapperIjLb1EEEEE10hipError_tT1_PNSt15iterator_traitsISG_E10value_typeET2_T3_PNSH_ISM_E10value_typeET4_T5_PSR_SS_PNS1_23onesweep_lookback_stateEbbT6_jjT7_P12ihipStream_tbENKUlT_T0_SG_SL_E_clIS7_S7_SB_SB_EEDaSZ_S10_SG_SL_EUlSZ_E_NS1_11comp_targetILNS1_3genE2ELNS1_11target_archE906ELNS1_3gpuE6ELNS1_3repE0EEENS1_47radix_sort_onesweep_sort_config_static_selectorELNS0_4arch9wavefront6targetE1EEEvSG_ ; -- Begin function _ZN7rocprim17ROCPRIM_400000_NS6detail17trampoline_kernelINS0_14default_configENS1_35radix_sort_onesweep_config_selectorIdlEEZZNS1_29radix_sort_onesweep_iterationIS3_Lb0EPdS7_N6thrust23THRUST_200600_302600_NS10device_ptrIlEESB_jNS0_19identity_decomposerENS1_16block_id_wrapperIjLb1EEEEE10hipError_tT1_PNSt15iterator_traitsISG_E10value_typeET2_T3_PNSH_ISM_E10value_typeET4_T5_PSR_SS_PNS1_23onesweep_lookback_stateEbbT6_jjT7_P12ihipStream_tbENKUlT_T0_SG_SL_E_clIS7_S7_SB_SB_EEDaSZ_S10_SG_SL_EUlSZ_E_NS1_11comp_targetILNS1_3genE2ELNS1_11target_archE906ELNS1_3gpuE6ELNS1_3repE0EEENS1_47radix_sort_onesweep_sort_config_static_selectorELNS0_4arch9wavefront6targetE1EEEvSG_
	.globl	_ZN7rocprim17ROCPRIM_400000_NS6detail17trampoline_kernelINS0_14default_configENS1_35radix_sort_onesweep_config_selectorIdlEEZZNS1_29radix_sort_onesweep_iterationIS3_Lb0EPdS7_N6thrust23THRUST_200600_302600_NS10device_ptrIlEESB_jNS0_19identity_decomposerENS1_16block_id_wrapperIjLb1EEEEE10hipError_tT1_PNSt15iterator_traitsISG_E10value_typeET2_T3_PNSH_ISM_E10value_typeET4_T5_PSR_SS_PNS1_23onesweep_lookback_stateEbbT6_jjT7_P12ihipStream_tbENKUlT_T0_SG_SL_E_clIS7_S7_SB_SB_EEDaSZ_S10_SG_SL_EUlSZ_E_NS1_11comp_targetILNS1_3genE2ELNS1_11target_archE906ELNS1_3gpuE6ELNS1_3repE0EEENS1_47radix_sort_onesweep_sort_config_static_selectorELNS0_4arch9wavefront6targetE1EEEvSG_
	.p2align	8
	.type	_ZN7rocprim17ROCPRIM_400000_NS6detail17trampoline_kernelINS0_14default_configENS1_35radix_sort_onesweep_config_selectorIdlEEZZNS1_29radix_sort_onesweep_iterationIS3_Lb0EPdS7_N6thrust23THRUST_200600_302600_NS10device_ptrIlEESB_jNS0_19identity_decomposerENS1_16block_id_wrapperIjLb1EEEEE10hipError_tT1_PNSt15iterator_traitsISG_E10value_typeET2_T3_PNSH_ISM_E10value_typeET4_T5_PSR_SS_PNS1_23onesweep_lookback_stateEbbT6_jjT7_P12ihipStream_tbENKUlT_T0_SG_SL_E_clIS7_S7_SB_SB_EEDaSZ_S10_SG_SL_EUlSZ_E_NS1_11comp_targetILNS1_3genE2ELNS1_11target_archE906ELNS1_3gpuE6ELNS1_3repE0EEENS1_47radix_sort_onesweep_sort_config_static_selectorELNS0_4arch9wavefront6targetE1EEEvSG_,@function
_ZN7rocprim17ROCPRIM_400000_NS6detail17trampoline_kernelINS0_14default_configENS1_35radix_sort_onesweep_config_selectorIdlEEZZNS1_29radix_sort_onesweep_iterationIS3_Lb0EPdS7_N6thrust23THRUST_200600_302600_NS10device_ptrIlEESB_jNS0_19identity_decomposerENS1_16block_id_wrapperIjLb1EEEEE10hipError_tT1_PNSt15iterator_traitsISG_E10value_typeET2_T3_PNSH_ISM_E10value_typeET4_T5_PSR_SS_PNS1_23onesweep_lookback_stateEbbT6_jjT7_P12ihipStream_tbENKUlT_T0_SG_SL_E_clIS7_S7_SB_SB_EEDaSZ_S10_SG_SL_EUlSZ_E_NS1_11comp_targetILNS1_3genE2ELNS1_11target_archE906ELNS1_3gpuE6ELNS1_3repE0EEENS1_47radix_sort_onesweep_sort_config_static_selectorELNS0_4arch9wavefront6targetE1EEEvSG_: ; @_ZN7rocprim17ROCPRIM_400000_NS6detail17trampoline_kernelINS0_14default_configENS1_35radix_sort_onesweep_config_selectorIdlEEZZNS1_29radix_sort_onesweep_iterationIS3_Lb0EPdS7_N6thrust23THRUST_200600_302600_NS10device_ptrIlEESB_jNS0_19identity_decomposerENS1_16block_id_wrapperIjLb1EEEEE10hipError_tT1_PNSt15iterator_traitsISG_E10value_typeET2_T3_PNSH_ISM_E10value_typeET4_T5_PSR_SS_PNS1_23onesweep_lookback_stateEbbT6_jjT7_P12ihipStream_tbENKUlT_T0_SG_SL_E_clIS7_S7_SB_SB_EEDaSZ_S10_SG_SL_EUlSZ_E_NS1_11comp_targetILNS1_3genE2ELNS1_11target_archE906ELNS1_3gpuE6ELNS1_3repE0EEENS1_47radix_sort_onesweep_sort_config_static_selectorELNS0_4arch9wavefront6targetE1EEEvSG_
; %bb.0:
	s_load_dwordx4 s[28:31], s[4:5], 0x28
	s_load_dwordx2 s[26:27], s[4:5], 0x38
	s_load_dwordx4 s[44:47], s[4:5], 0x44
	s_add_u32 s0, s0, s7
	s_addc_u32 s1, s1, 0
	v_cmp_eq_u32_e64 s[22:23], 0, v0
	s_and_saveexec_b64 s[8:9], s[22:23]
	s_cbranch_execz .LBB1619_4
; %bb.1:
	s_mov_b64 s[12:13], exec
	v_mbcnt_lo_u32_b32 v3, s12, 0
	v_mbcnt_hi_u32_b32 v3, s13, v3
	v_cmp_eq_u32_e32 vcc, 0, v3
                                        ; implicit-def: $vgpr4
	s_and_saveexec_b64 s[10:11], vcc
	s_cbranch_execz .LBB1619_3
; %bb.2:
	s_load_dwordx2 s[14:15], s[4:5], 0x50
	s_bcnt1_i32_b64 s7, s[12:13]
	v_mov_b32_e32 v4, 0
	v_mov_b32_e32 v5, s7
	s_waitcnt lgkmcnt(0)
	global_atomic_add v4, v4, v5, s[14:15] glc
.LBB1619_3:
	s_or_b64 exec, exec, s[10:11]
	s_waitcnt vmcnt(0)
	v_readfirstlane_b32 s7, v4
	v_add_u32_e32 v3, s7, v3
	v_mov_b32_e32 v4, 0
	ds_write_b32 v4, v3 offset:10272
.LBB1619_4:
	s_or_b64 exec, exec, s[8:9]
	v_mov_b32_e32 v3, 0
	s_load_dwordx8 s[36:43], s[4:5], 0x0
	s_load_dword s7, s[4:5], 0x20
	s_waitcnt lgkmcnt(0)
	s_barrier
	ds_read_b32 v3, v3 offset:10272
	s_mov_b64 s[8:9], -1
	v_mbcnt_lo_u32_b32 v21, -1, 0
	s_waitcnt lgkmcnt(0)
	s_barrier
	v_readfirstlane_b32 s33, v3
	v_cmp_le_u32_e32 vcc, s46, v3
	s_mul_i32 s34, s33, 0xc00
	s_cbranch_vccz .LBB1619_76
; %bb.5:
	s_mul_i32 s8, s46, 0xfffff400
	s_mov_b32 s35, 0
	s_add_i32 s7, s8, s7
	s_lshl_b64 s[46:47], s[34:35], 3
	v_mbcnt_hi_u32_b32 v19, -1, v21
	s_add_u32 s8, s36, s46
	v_and_b32_e32 v3, 63, v19
	s_addc_u32 s9, s37, s47
	v_and_b32_e32 v20, 0x1c0, v0
	v_lshlrev_b32_e32 v22, 3, v3
	v_mul_u32_u24_e32 v4, 6, v20
	v_mov_b32_e32 v5, s9
	v_add_co_u32_e32 v6, vcc, s8, v22
	v_addc_co_u32_e32 v5, vcc, 0, v5, vcc
	v_lshlrev_b32_e32 v23, 3, v4
	v_add_co_u32_e32 v15, vcc, v6, v23
	v_addc_co_u32_e32 v16, vcc, 0, v5, vcc
	v_mov_b32_e32 v5, -1
	v_or_b32_e32 v17, v3, v4
	v_bfrev_b32_e32 v6, -2
	v_mov_b32_e32 v3, v5
	v_cmp_gt_u32_e32 vcc, s7, v17
	v_mov_b32_e32 v4, v6
	s_and_saveexec_b64 s[8:9], vcc
	s_cbranch_execz .LBB1619_7
; %bb.6:
	global_load_dwordx2 v[3:4], v[15:16], off
.LBB1619_7:
	s_or_b64 exec, exec, s[8:9]
	v_or_b32_e32 v7, 64, v17
	v_cmp_gt_u32_e64 s[8:9], s7, v7
	s_and_saveexec_b64 s[10:11], s[8:9]
	s_cbranch_execz .LBB1619_9
; %bb.8:
	global_load_dwordx2 v[5:6], v[15:16], off offset:512
.LBB1619_9:
	s_or_b64 exec, exec, s[10:11]
	v_add_u32_e32 v7, 0x80, v17
	v_mov_b32_e32 v9, -1
	v_cmp_gt_u32_e64 s[10:11], s7, v7
	v_bfrev_b32_e32 v10, -2
	v_mov_b32_e32 v7, v9
	v_mov_b32_e32 v8, v10
	s_and_saveexec_b64 s[12:13], s[10:11]
	s_cbranch_execz .LBB1619_11
; %bb.10:
	global_load_dwordx2 v[7:8], v[15:16], off offset:1024
.LBB1619_11:
	s_or_b64 exec, exec, s[12:13]
	v_add_u32_e32 v11, 0xc0, v17
	v_cmp_gt_u32_e64 s[12:13], s7, v11
	s_and_saveexec_b64 s[14:15], s[12:13]
	s_cbranch_execz .LBB1619_13
; %bb.12:
	global_load_dwordx2 v[9:10], v[15:16], off offset:1536
.LBB1619_13:
	s_or_b64 exec, exec, s[14:15]
	v_add_u32_e32 v11, 0x100, v17
	v_bfrev_b32_e32 v12, -2
	v_cmp_gt_u32_e64 s[14:15], s7, v11
	v_mov_b32_e32 v11, -1
	v_mov_b32_e32 v14, v12
	v_mov_b32_e32 v13, v11
	s_and_saveexec_b64 s[16:17], s[14:15]
	s_cbranch_execz .LBB1619_15
; %bb.14:
	global_load_dwordx2 v[13:14], v[15:16], off offset:2048
.LBB1619_15:
	s_or_b64 exec, exec, s[16:17]
	v_add_u32_e32 v17, 0x140, v17
	s_mov_b32 s20, -1
	v_cmp_gt_u32_e64 s[16:17], s7, v17
	s_brev_b32 s21, -2
	s_and_saveexec_b64 s[18:19], s[16:17]
	s_cbranch_execz .LBB1619_17
; %bb.16:
	global_load_dwordx2 v[11:12], v[15:16], off offset:2560
.LBB1619_17:
	s_or_b64 exec, exec, s[18:19]
	s_load_dword s18, s[4:5], 0x64
	s_load_dword s35, s[4:5], 0x58
	s_add_u32 s19, s4, 0x58
	s_addc_u32 s24, s5, 0
	v_mov_b32_e32 v15, 0
	s_waitcnt lgkmcnt(0)
	s_lshr_b32 s25, s18, 16
	s_cmp_lt_u32 s6, s35
	s_cselect_b32 s18, 12, 18
	s_add_u32 s18, s19, s18
	s_addc_u32 s19, s24, 0
	global_load_ushort v18, v15, s[18:19]
	s_waitcnt vmcnt(1)
	v_cmp_lt_i64_e64 s[18:19], -1, v[3:4]
	v_bfrev_b32_e32 v26, 1
	v_ashrrev_i32_e32 v16, 31, v4
	v_cndmask_b32_e64 v17, -1, v26, s[18:19]
	v_xor_b32_e32 v3, v16, v3
	v_xor_b32_e32 v4, v17, v4
	v_cmp_ne_u64_e64 s[18:19], s[20:21], v[3:4]
	v_mad_u32_u24 v24, v2, s25, v1
	v_cndmask_b32_e64 v17, v26, v4, s[18:19]
	v_cndmask_b32_e64 v16, 0, v3, s[18:19]
	v_lshrrev_b64 v[16:17], s44, v[16:17]
	s_lshl_b32 s18, -1, s45
	s_not_b32 s54, s18
	v_and_b32_e32 v17, s54, v16
	v_and_b32_e32 v28, 1, v17
	v_add_co_u32_e64 v29, s[18:19], -1, v28
	v_lshlrev_b32_e32 v16, 30, v17
	v_addc_co_u32_e64 v30, s[18:19], 0, -1, s[18:19]
	v_cmp_ne_u32_e64 s[18:19], 0, v28
	v_cmp_gt_i64_e64 s[20:21], 0, v[15:16]
	v_not_b32_e32 v28, v16
	v_lshlrev_b32_e32 v16, 29, v17
	v_xor_b32_e32 v30, s19, v30
	v_xor_b32_e32 v29, s18, v29
	v_ashrrev_i32_e32 v28, 31, v28
	v_cmp_gt_i64_e64 s[18:19], 0, v[15:16]
	v_not_b32_e32 v31, v16
	v_lshlrev_b32_e32 v16, 28, v17
	v_and_b32_e32 v30, exec_hi, v30
	v_and_b32_e32 v29, exec_lo, v29
	v_xor_b32_e32 v32, s21, v28
	v_xor_b32_e32 v28, s20, v28
	v_ashrrev_i32_e32 v31, 31, v31
	v_cmp_gt_i64_e64 s[20:21], 0, v[15:16]
	v_not_b32_e32 v33, v16
	v_lshlrev_b32_e32 v16, 27, v17
	v_and_b32_e32 v30, v30, v32
	v_and_b32_e32 v28, v29, v28
	v_xor_b32_e32 v29, s19, v31
	v_xor_b32_e32 v31, s18, v31
	v_ashrrev_i32_e32 v32, 31, v33
	v_cmp_gt_i64_e64 s[18:19], 0, v[15:16]
	v_not_b32_e32 v33, v16
	v_lshlrev_b32_e32 v16, 26, v17
	v_and_b32_e32 v29, v30, v29
	v_and_b32_e32 v28, v28, v31
	;; [unrolled: 8-line block ×3, first 2 shown]
	v_xor_b32_e32 v30, s19, v32
	v_xor_b32_e32 v31, s18, v32
	v_ashrrev_i32_e32 v32, 31, v33
	v_mul_lo_u32 v27, v17, 36
	v_cmp_gt_i64_e64 s[18:19], 0, v[15:16]
	v_not_b32_e32 v33, v16
	v_lshlrev_b32_e32 v16, 24, v17
	v_and_b32_e32 v17, v29, v30
	v_xor_b32_e32 v29, s21, v32
	v_xor_b32_e32 v30, s20, v32
	v_and_b32_e32 v29, v17, v29
	v_and_b32_e32 v28, v28, v31
	v_ashrrev_i32_e32 v31, 31, v33
	v_and_b32_e32 v28, v28, v30
	v_xor_b32_e32 v30, s19, v31
	v_mul_u32_u24_e32 v25, 20, v0
	ds_write2_b32 v25, v15, v15 offset0:8 offset1:9
	ds_write2_b32 v25, v15, v15 offset0:10 offset1:11
	ds_write_b32 v25, v15 offset:48
	s_waitcnt vmcnt(0) lgkmcnt(0)
	s_barrier
	; wave barrier
	v_mad_u64_u32 v[17:18], s[20:21], v24, v18, v[0:1]
	v_xor_b32_e32 v18, s18, v31
	v_cmp_gt_i64_e64 s[18:19], 0, v[15:16]
	v_not_b32_e32 v16, v16
	v_ashrrev_i32_e32 v16, 31, v16
	v_and_b32_e32 v24, v29, v30
	v_and_b32_e32 v29, v28, v18
	v_lshrrev_b32_e32 v18, 6, v17
	v_xor_b32_e32 v17, s19, v16
	v_xor_b32_e32 v16, s18, v16
	v_and_b32_e32 v16, v29, v16
	v_and_b32_e32 v17, v24, v17
	v_mbcnt_lo_u32_b32 v24, v16, 0
	v_mbcnt_hi_u32_b32 v24, v17, v24
	v_cmp_ne_u64_e64 s[18:19], 0, v[16:17]
	v_cmp_eq_u32_e64 s[20:21], 0, v24
	v_lshl_add_u32 v28, v18, 2, v27
	s_and_b64 s[20:21], s[18:19], s[20:21]
	s_and_saveexec_b64 s[18:19], s[20:21]
; %bb.18:
	v_bcnt_u32_b32 v16, v16, 0
	v_bcnt_u32_b32 v16, v17, v16
	ds_write_b32 v28, v16 offset:32
; %bb.19:
	s_or_b64 exec, exec, s[18:19]
	v_cmp_lt_i64_e64 s[18:19], -1, v[5:6]
	s_mov_b32 s24, -1
	v_cndmask_b32_e64 v16, -1, v26, s[18:19]
	v_ashrrev_i32_e32 v17, 31, v6
	s_brev_b32 s25, -2
	v_xor_b32_e32 v6, v16, v6
	v_xor_b32_e32 v5, v17, v5
	v_cmp_ne_u64_e64 s[18:19], s[24:25], v[5:6]
	v_cndmask_b32_e64 v17, v26, v6, s[18:19]
	v_cndmask_b32_e64 v16, 0, v5, s[18:19]
	v_lshrrev_b64 v[16:17], s44, v[16:17]
	; wave barrier
	v_and_b32_e32 v17, s54, v16
	v_mul_lo_u32 v16, v17, 36
	v_lshl_add_u32 v30, v18, 2, v16
	v_and_b32_e32 v16, 1, v17
	v_add_co_u32_e64 v27, s[18:19], -1, v16
	v_addc_co_u32_e64 v29, s[18:19], 0, -1, s[18:19]
	v_cmp_ne_u32_e64 s[18:19], 0, v16
	v_xor_b32_e32 v16, s19, v29
	v_and_b32_e32 v29, exec_hi, v16
	v_lshlrev_b32_e32 v16, 30, v17
	v_xor_b32_e32 v27, s18, v27
	v_cmp_gt_i64_e64 s[18:19], 0, v[15:16]
	v_not_b32_e32 v16, v16
	v_ashrrev_i32_e32 v16, 31, v16
	v_and_b32_e32 v27, exec_lo, v27
	v_xor_b32_e32 v31, s19, v16
	v_xor_b32_e32 v16, s18, v16
	v_and_b32_e32 v27, v27, v16
	v_lshlrev_b32_e32 v16, 29, v17
	v_cmp_gt_i64_e64 s[18:19], 0, v[15:16]
	v_not_b32_e32 v16, v16
	v_ashrrev_i32_e32 v16, 31, v16
	v_and_b32_e32 v29, v29, v31
	v_xor_b32_e32 v31, s19, v16
	v_xor_b32_e32 v16, s18, v16
	v_and_b32_e32 v27, v27, v16
	v_lshlrev_b32_e32 v16, 28, v17
	v_cmp_gt_i64_e64 s[18:19], 0, v[15:16]
	v_not_b32_e32 v16, v16
	v_ashrrev_i32_e32 v16, 31, v16
	v_and_b32_e32 v29, v29, v31
	;; [unrolled: 8-line block ×5, first 2 shown]
	v_xor_b32_e32 v31, s19, v16
	v_xor_b32_e32 v16, s18, v16
	v_and_b32_e32 v27, v27, v16
	v_lshlrev_b32_e32 v16, 24, v17
	v_cmp_gt_i64_e64 s[18:19], 0, v[15:16]
	v_not_b32_e32 v15, v16
	v_ashrrev_i32_e32 v15, 31, v15
	v_xor_b32_e32 v16, s19, v15
	v_xor_b32_e32 v15, s18, v15
	ds_read_b32 v26, v30 offset:32
	v_and_b32_e32 v29, v29, v31
	v_and_b32_e32 v15, v27, v15
	;; [unrolled: 1-line block ×3, first 2 shown]
	v_mbcnt_lo_u32_b32 v17, v15, 0
	v_mbcnt_hi_u32_b32 v27, v16, v17
	v_cmp_ne_u64_e64 s[18:19], 0, v[15:16]
	v_cmp_eq_u32_e64 s[20:21], 0, v27
	s_and_b64 s[20:21], s[18:19], s[20:21]
	; wave barrier
	s_and_saveexec_b64 s[18:19], s[20:21]
	s_cbranch_execz .LBB1619_21
; %bb.20:
	v_bcnt_u32_b32 v15, v15, 0
	v_bcnt_u32_b32 v15, v16, v15
	s_waitcnt lgkmcnt(0)
	v_add_u32_e32 v15, v26, v15
	ds_write_b32 v30, v15 offset:32
.LBB1619_21:
	s_or_b64 exec, exec, s[18:19]
	v_cmp_lt_i64_e64 s[18:19], -1, v[7:8]
	v_bfrev_b32_e32 v32, 1
	v_cndmask_b32_e64 v15, -1, v32, s[18:19]
	v_ashrrev_i32_e32 v16, 31, v8
	v_xor_b32_e32 v8, v15, v8
	v_xor_b32_e32 v7, v16, v7
	v_cmp_ne_u64_e64 s[18:19], s[24:25], v[7:8]
	v_cndmask_b32_e64 v16, v32, v8, s[18:19]
	v_cndmask_b32_e64 v15, 0, v7, s[18:19]
	v_lshrrev_b64 v[15:16], s44, v[15:16]
	; wave barrier
	v_and_b32_e32 v17, s54, v15
	v_and_b32_e32 v16, 1, v17
	v_mul_lo_u32 v15, v17, 36
	v_add_co_u32_e64 v31, s[18:19], -1, v16
	v_addc_co_u32_e64 v34, s[18:19], 0, -1, s[18:19]
	v_cmp_ne_u32_e64 s[18:19], 0, v16
	v_xor_b32_e32 v16, s19, v34
	v_lshl_add_u32 v33, v18, 2, v15
	v_mov_b32_e32 v15, 0
	v_and_b32_e32 v34, exec_hi, v16
	v_lshlrev_b32_e32 v16, 30, v17
	v_xor_b32_e32 v31, s18, v31
	v_cmp_gt_i64_e64 s[18:19], 0, v[15:16]
	v_not_b32_e32 v16, v16
	v_ashrrev_i32_e32 v16, 31, v16
	v_and_b32_e32 v31, exec_lo, v31
	v_xor_b32_e32 v35, s19, v16
	v_xor_b32_e32 v16, s18, v16
	v_and_b32_e32 v31, v31, v16
	v_lshlrev_b32_e32 v16, 29, v17
	v_cmp_gt_i64_e64 s[18:19], 0, v[15:16]
	v_not_b32_e32 v16, v16
	v_ashrrev_i32_e32 v16, 31, v16
	v_and_b32_e32 v34, v34, v35
	v_xor_b32_e32 v35, s19, v16
	v_xor_b32_e32 v16, s18, v16
	v_and_b32_e32 v31, v31, v16
	v_lshlrev_b32_e32 v16, 28, v17
	v_cmp_gt_i64_e64 s[18:19], 0, v[15:16]
	v_not_b32_e32 v16, v16
	v_ashrrev_i32_e32 v16, 31, v16
	v_and_b32_e32 v34, v34, v35
	;; [unrolled: 8-line block ×5, first 2 shown]
	v_xor_b32_e32 v35, s19, v16
	v_xor_b32_e32 v16, s18, v16
	v_and_b32_e32 v31, v31, v16
	v_lshlrev_b32_e32 v16, 24, v17
	v_cmp_gt_i64_e64 s[18:19], 0, v[15:16]
	v_not_b32_e32 v16, v16
	v_ashrrev_i32_e32 v16, 31, v16
	v_xor_b32_e32 v17, s19, v16
	v_xor_b32_e32 v16, s18, v16
	ds_read_b32 v29, v33 offset:32
	v_and_b32_e32 v34, v34, v35
	v_and_b32_e32 v16, v31, v16
	;; [unrolled: 1-line block ×3, first 2 shown]
	v_mbcnt_lo_u32_b32 v31, v16, 0
	v_mbcnt_hi_u32_b32 v31, v17, v31
	v_cmp_ne_u64_e64 s[18:19], 0, v[16:17]
	v_cmp_eq_u32_e64 s[20:21], 0, v31
	s_and_b64 s[20:21], s[18:19], s[20:21]
	; wave barrier
	s_and_saveexec_b64 s[18:19], s[20:21]
	s_cbranch_execz .LBB1619_23
; %bb.22:
	v_bcnt_u32_b32 v16, v16, 0
	v_bcnt_u32_b32 v16, v17, v16
	s_waitcnt lgkmcnt(0)
	v_add_u32_e32 v16, v29, v16
	ds_write_b32 v33, v16 offset:32
.LBB1619_23:
	s_or_b64 exec, exec, s[18:19]
	v_cmp_lt_i64_e64 s[18:19], -1, v[9:10]
	v_ashrrev_i32_e32 v17, 31, v10
	v_cndmask_b32_e64 v16, -1, v32, s[18:19]
	v_xor_b32_e32 v10, v16, v10
	v_xor_b32_e32 v9, v17, v9
	v_cmp_ne_u64_e64 s[18:19], s[24:25], v[9:10]
	v_cndmask_b32_e64 v17, v32, v10, s[18:19]
	v_cndmask_b32_e64 v16, 0, v9, s[18:19]
	v_lshrrev_b64 v[16:17], s44, v[16:17]
	; wave barrier
	v_and_b32_e32 v17, s54, v16
	v_mul_lo_u32 v16, v17, 36
	v_lshl_add_u32 v36, v18, 2, v16
	v_and_b32_e32 v16, 1, v17
	v_add_co_u32_e64 v34, s[18:19], -1, v16
	v_addc_co_u32_e64 v35, s[18:19], 0, -1, s[18:19]
	v_cmp_ne_u32_e64 s[18:19], 0, v16
	v_xor_b32_e32 v16, s19, v35
	v_and_b32_e32 v35, exec_hi, v16
	v_lshlrev_b32_e32 v16, 30, v17
	v_xor_b32_e32 v34, s18, v34
	v_cmp_gt_i64_e64 s[18:19], 0, v[15:16]
	v_not_b32_e32 v16, v16
	v_ashrrev_i32_e32 v16, 31, v16
	v_and_b32_e32 v34, exec_lo, v34
	v_xor_b32_e32 v37, s19, v16
	v_xor_b32_e32 v16, s18, v16
	v_and_b32_e32 v34, v34, v16
	v_lshlrev_b32_e32 v16, 29, v17
	v_cmp_gt_i64_e64 s[18:19], 0, v[15:16]
	v_not_b32_e32 v16, v16
	v_ashrrev_i32_e32 v16, 31, v16
	v_and_b32_e32 v35, v35, v37
	v_xor_b32_e32 v37, s19, v16
	v_xor_b32_e32 v16, s18, v16
	v_and_b32_e32 v34, v34, v16
	v_lshlrev_b32_e32 v16, 28, v17
	v_cmp_gt_i64_e64 s[18:19], 0, v[15:16]
	v_not_b32_e32 v16, v16
	v_ashrrev_i32_e32 v16, 31, v16
	v_and_b32_e32 v35, v35, v37
	;; [unrolled: 8-line block ×5, first 2 shown]
	v_xor_b32_e32 v37, s19, v16
	v_xor_b32_e32 v16, s18, v16
	v_and_b32_e32 v34, v34, v16
	v_lshlrev_b32_e32 v16, 24, v17
	v_cmp_gt_i64_e64 s[18:19], 0, v[15:16]
	v_not_b32_e32 v15, v16
	v_ashrrev_i32_e32 v15, 31, v15
	v_xor_b32_e32 v16, s19, v15
	v_xor_b32_e32 v15, s18, v15
	ds_read_b32 v32, v36 offset:32
	v_and_b32_e32 v35, v35, v37
	v_and_b32_e32 v15, v34, v15
	;; [unrolled: 1-line block ×3, first 2 shown]
	v_mbcnt_lo_u32_b32 v17, v15, 0
	v_mbcnt_hi_u32_b32 v34, v16, v17
	v_cmp_ne_u64_e64 s[18:19], 0, v[15:16]
	v_cmp_eq_u32_e64 s[20:21], 0, v34
	s_and_b64 s[20:21], s[18:19], s[20:21]
	; wave barrier
	s_and_saveexec_b64 s[18:19], s[20:21]
	s_cbranch_execz .LBB1619_25
; %bb.24:
	v_bcnt_u32_b32 v15, v15, 0
	v_bcnt_u32_b32 v15, v16, v15
	s_waitcnt lgkmcnt(0)
	v_add_u32_e32 v15, v32, v15
	ds_write_b32 v36, v15 offset:32
.LBB1619_25:
	s_or_b64 exec, exec, s[18:19]
	v_cmp_lt_i64_e64 s[18:19], -1, v[13:14]
	v_bfrev_b32_e32 v38, 1
	v_cndmask_b32_e64 v15, -1, v38, s[18:19]
	v_ashrrev_i32_e32 v16, 31, v14
	v_xor_b32_e32 v14, v15, v14
	v_xor_b32_e32 v13, v16, v13
	v_cmp_ne_u64_e64 s[18:19], s[24:25], v[13:14]
	v_cndmask_b32_e64 v16, v38, v14, s[18:19]
	v_cndmask_b32_e64 v15, 0, v13, s[18:19]
	v_lshrrev_b64 v[15:16], s44, v[15:16]
	; wave barrier
	v_and_b32_e32 v17, s54, v15
	v_and_b32_e32 v16, 1, v17
	v_mul_lo_u32 v15, v17, 36
	v_add_co_u32_e64 v37, s[18:19], -1, v16
	v_addc_co_u32_e64 v40, s[18:19], 0, -1, s[18:19]
	v_cmp_ne_u32_e64 s[18:19], 0, v16
	v_xor_b32_e32 v16, s19, v40
	v_lshl_add_u32 v39, v18, 2, v15
	v_mov_b32_e32 v15, 0
	v_and_b32_e32 v40, exec_hi, v16
	v_lshlrev_b32_e32 v16, 30, v17
	v_xor_b32_e32 v37, s18, v37
	v_cmp_gt_i64_e64 s[18:19], 0, v[15:16]
	v_not_b32_e32 v16, v16
	v_ashrrev_i32_e32 v16, 31, v16
	v_and_b32_e32 v37, exec_lo, v37
	v_xor_b32_e32 v41, s19, v16
	v_xor_b32_e32 v16, s18, v16
	v_and_b32_e32 v37, v37, v16
	v_lshlrev_b32_e32 v16, 29, v17
	v_cmp_gt_i64_e64 s[18:19], 0, v[15:16]
	v_not_b32_e32 v16, v16
	v_ashrrev_i32_e32 v16, 31, v16
	v_and_b32_e32 v40, v40, v41
	v_xor_b32_e32 v41, s19, v16
	v_xor_b32_e32 v16, s18, v16
	v_and_b32_e32 v37, v37, v16
	v_lshlrev_b32_e32 v16, 28, v17
	v_cmp_gt_i64_e64 s[18:19], 0, v[15:16]
	v_not_b32_e32 v16, v16
	v_ashrrev_i32_e32 v16, 31, v16
	v_and_b32_e32 v40, v40, v41
	;; [unrolled: 8-line block ×5, first 2 shown]
	v_xor_b32_e32 v41, s19, v16
	v_xor_b32_e32 v16, s18, v16
	v_and_b32_e32 v37, v37, v16
	v_lshlrev_b32_e32 v16, 24, v17
	v_cmp_gt_i64_e64 s[18:19], 0, v[15:16]
	v_not_b32_e32 v16, v16
	v_ashrrev_i32_e32 v16, 31, v16
	v_xor_b32_e32 v17, s19, v16
	v_xor_b32_e32 v16, s18, v16
	ds_read_b32 v35, v39 offset:32
	v_and_b32_e32 v40, v40, v41
	v_and_b32_e32 v16, v37, v16
	;; [unrolled: 1-line block ×3, first 2 shown]
	v_mbcnt_lo_u32_b32 v37, v16, 0
	v_mbcnt_hi_u32_b32 v37, v17, v37
	v_cmp_ne_u64_e64 s[18:19], 0, v[16:17]
	v_cmp_eq_u32_e64 s[20:21], 0, v37
	s_and_b64 s[20:21], s[18:19], s[20:21]
	; wave barrier
	s_and_saveexec_b64 s[18:19], s[20:21]
	s_cbranch_execz .LBB1619_27
; %bb.26:
	v_bcnt_u32_b32 v16, v16, 0
	v_bcnt_u32_b32 v16, v17, v16
	s_waitcnt lgkmcnt(0)
	v_add_u32_e32 v16, v35, v16
	ds_write_b32 v39, v16 offset:32
.LBB1619_27:
	s_or_b64 exec, exec, s[18:19]
	v_cmp_lt_i64_e64 s[18:19], -1, v[11:12]
	s_mov_b32 s20, -1
	v_cndmask_b32_e64 v16, -1, v38, s[18:19]
	v_ashrrev_i32_e32 v17, 31, v12
	s_brev_b32 s21, -2
	v_xor_b32_e32 v12, v16, v12
	v_xor_b32_e32 v11, v17, v11
	v_cmp_ne_u64_e64 s[18:19], s[20:21], v[11:12]
	v_cndmask_b32_e64 v17, v38, v12, s[18:19]
	v_cndmask_b32_e64 v16, 0, v11, s[18:19]
	v_lshrrev_b64 v[16:17], s44, v[16:17]
	; wave barrier
	v_and_b32_e32 v17, s54, v16
	v_mul_lo_u32 v16, v17, 36
	v_lshl_add_u32 v41, v18, 2, v16
	v_and_b32_e32 v16, 1, v17
	v_add_co_u32_e64 v18, s[18:19], -1, v16
	v_addc_co_u32_e64 v40, s[18:19], 0, -1, s[18:19]
	v_cmp_ne_u32_e64 s[18:19], 0, v16
	v_xor_b32_e32 v16, s19, v40
	v_and_b32_e32 v40, exec_hi, v16
	v_lshlrev_b32_e32 v16, 30, v17
	v_xor_b32_e32 v18, s18, v18
	v_cmp_gt_i64_e64 s[18:19], 0, v[15:16]
	v_not_b32_e32 v16, v16
	v_ashrrev_i32_e32 v16, 31, v16
	v_and_b32_e32 v18, exec_lo, v18
	v_xor_b32_e32 v42, s19, v16
	v_xor_b32_e32 v16, s18, v16
	v_and_b32_e32 v18, v18, v16
	v_lshlrev_b32_e32 v16, 29, v17
	v_cmp_gt_i64_e64 s[18:19], 0, v[15:16]
	v_not_b32_e32 v16, v16
	v_ashrrev_i32_e32 v16, 31, v16
	v_and_b32_e32 v40, v40, v42
	v_xor_b32_e32 v42, s19, v16
	v_xor_b32_e32 v16, s18, v16
	v_and_b32_e32 v18, v18, v16
	v_lshlrev_b32_e32 v16, 28, v17
	v_cmp_gt_i64_e64 s[18:19], 0, v[15:16]
	v_not_b32_e32 v16, v16
	v_ashrrev_i32_e32 v16, 31, v16
	v_and_b32_e32 v40, v40, v42
	;; [unrolled: 8-line block ×5, first 2 shown]
	v_xor_b32_e32 v42, s19, v16
	v_xor_b32_e32 v16, s18, v16
	v_and_b32_e32 v18, v18, v16
	v_lshlrev_b32_e32 v16, 24, v17
	v_cmp_gt_i64_e64 s[18:19], 0, v[15:16]
	v_not_b32_e32 v15, v16
	v_ashrrev_i32_e32 v15, 31, v15
	v_xor_b32_e32 v16, s19, v15
	v_xor_b32_e32 v15, s18, v15
	ds_read_b32 v38, v41 offset:32
	v_and_b32_e32 v40, v40, v42
	v_and_b32_e32 v15, v18, v15
	;; [unrolled: 1-line block ×3, first 2 shown]
	v_mbcnt_lo_u32_b32 v17, v15, 0
	v_mbcnt_hi_u32_b32 v40, v16, v17
	v_cmp_ne_u64_e64 s[18:19], 0, v[15:16]
	v_cmp_eq_u32_e64 s[20:21], 0, v40
	s_and_b64 s[20:21], s[18:19], s[20:21]
	; wave barrier
	s_and_saveexec_b64 s[18:19], s[20:21]
	s_cbranch_execz .LBB1619_29
; %bb.28:
	v_bcnt_u32_b32 v15, v15, 0
	v_bcnt_u32_b32 v15, v16, v15
	s_waitcnt lgkmcnt(0)
	v_add_u32_e32 v15, v38, v15
	ds_write_b32 v41, v15 offset:32
.LBB1619_29:
	s_or_b64 exec, exec, s[18:19]
	; wave barrier
	s_waitcnt lgkmcnt(0)
	s_barrier
	ds_read2_b32 v[17:18], v25 offset0:8 offset1:9
	ds_read2_b32 v[15:16], v25 offset0:10 offset1:11
	ds_read_b32 v42, v25 offset:48
	v_min_u32_e32 v20, 0x1c0, v20
	v_or_b32_e32 v20, 63, v20
	s_waitcnt lgkmcnt(1)
	v_add3_u32 v43, v18, v17, v15
	s_waitcnt lgkmcnt(0)
	v_add3_u32 v42, v43, v16, v42
	v_and_b32_e32 v43, 15, v19
	v_cmp_ne_u32_e64 s[18:19], 0, v43
	v_mov_b32_dpp v44, v42 row_shr:1 row_mask:0xf bank_mask:0xf
	v_cndmask_b32_e64 v44, 0, v44, s[18:19]
	v_add_u32_e32 v42, v44, v42
	v_cmp_lt_u32_e64 s[18:19], 1, v43
	s_nop 0
	v_mov_b32_dpp v44, v42 row_shr:2 row_mask:0xf bank_mask:0xf
	v_cndmask_b32_e64 v44, 0, v44, s[18:19]
	v_add_u32_e32 v42, v42, v44
	v_cmp_lt_u32_e64 s[18:19], 3, v43
	s_nop 0
	;; [unrolled: 5-line block ×3, first 2 shown]
	v_mov_b32_dpp v44, v42 row_shr:8 row_mask:0xf bank_mask:0xf
	v_cndmask_b32_e64 v43, 0, v44, s[18:19]
	v_add_u32_e32 v42, v42, v43
	v_bfe_i32 v44, v19, 4, 1
	v_cmp_lt_u32_e64 s[18:19], 31, v19
	v_mov_b32_dpp v43, v42 row_bcast:15 row_mask:0xf bank_mask:0xf
	v_and_b32_e32 v43, v44, v43
	v_add_u32_e32 v42, v42, v43
	s_nop 1
	v_mov_b32_dpp v43, v42 row_bcast:31 row_mask:0xf bank_mask:0xf
	v_cndmask_b32_e64 v43, 0, v43, s[18:19]
	v_add_u32_e32 v42, v42, v43
	v_lshrrev_b32_e32 v43, 6, v0
	v_cmp_eq_u32_e64 s[18:19], v0, v20
	s_and_saveexec_b64 s[20:21], s[18:19]
; %bb.30:
	v_lshlrev_b32_e32 v20, 2, v43
	ds_write_b32 v20, v42
; %bb.31:
	s_or_b64 exec, exec, s[20:21]
	v_cmp_gt_u32_e64 s[18:19], 8, v0
	s_waitcnt lgkmcnt(0)
	s_barrier
	s_and_saveexec_b64 s[20:21], s[18:19]
	s_cbranch_execz .LBB1619_33
; %bb.32:
	v_lshlrev_b32_e32 v20, 2, v0
	ds_read_b32 v44, v20
	v_and_b32_e32 v45, 7, v19
	v_cmp_ne_u32_e64 s[18:19], 0, v45
	s_waitcnt lgkmcnt(0)
	v_mov_b32_dpp v46, v44 row_shr:1 row_mask:0xf bank_mask:0xf
	v_cndmask_b32_e64 v46, 0, v46, s[18:19]
	v_add_u32_e32 v44, v46, v44
	v_cmp_lt_u32_e64 s[18:19], 1, v45
	s_nop 0
	v_mov_b32_dpp v46, v44 row_shr:2 row_mask:0xf bank_mask:0xf
	v_cndmask_b32_e64 v46, 0, v46, s[18:19]
	v_add_u32_e32 v44, v44, v46
	v_cmp_lt_u32_e64 s[18:19], 3, v45
	s_nop 0
	v_mov_b32_dpp v46, v44 row_shr:4 row_mask:0xf bank_mask:0xf
	v_cndmask_b32_e64 v45, 0, v46, s[18:19]
	v_add_u32_e32 v44, v44, v45
	ds_write_b32 v20, v44
.LBB1619_33:
	s_or_b64 exec, exec, s[20:21]
	v_cmp_lt_u32_e64 s[18:19], 63, v0
	v_mov_b32_e32 v20, 0
	s_waitcnt lgkmcnt(0)
	s_barrier
	s_and_saveexec_b64 s[20:21], s[18:19]
; %bb.34:
	v_lshl_add_u32 v20, v43, 2, -4
	ds_read_b32 v20, v20
; %bb.35:
	s_or_b64 exec, exec, s[20:21]
	v_subrev_co_u32_e64 v43, s[18:19], 1, v19
	v_and_b32_e32 v44, 64, v19
	v_cmp_lt_i32_e64 s[20:21], v43, v44
	v_cndmask_b32_e64 v19, v43, v19, s[20:21]
	s_waitcnt lgkmcnt(0)
	v_add_u32_e32 v42, v20, v42
	v_lshlrev_b32_e32 v19, 2, v19
	ds_bpermute_b32 v19, v19, v42
	s_movk_i32 s24, 0x100
	v_cmp_gt_u32_e64 s[20:21], s24, v0
	s_waitcnt lgkmcnt(0)
	v_cndmask_b32_e64 v19, v19, v20, s[18:19]
	v_cndmask_b32_e64 v19, v19, 0, s[22:23]
	v_add_u32_e32 v17, v19, v17
	v_add_u32_e32 v18, v17, v18
	;; [unrolled: 1-line block ×4, first 2 shown]
	ds_write2_b32 v25, v19, v17 offset0:8 offset1:9
	ds_write2_b32 v25, v18, v15 offset0:10 offset1:11
	ds_write_b32 v25, v16 offset:48
	s_waitcnt lgkmcnt(0)
	s_barrier
	ds_read_b32 v43, v28 offset:32
	ds_read_b32 v42, v30 offset:32
	;; [unrolled: 1-line block ×6, first 2 shown]
	s_movk_i32 s18, 0xff
	v_cmp_lt_u32_e64 s[18:19], s18, v0
                                        ; implicit-def: $vgpr25
                                        ; implicit-def: $vgpr28
	s_and_saveexec_b64 s[48:49], s[20:21]
	s_cbranch_execz .LBB1619_39
; %bb.36:
	v_mul_u32_u24_e32 v15, 36, v0
	ds_read_b32 v25, v15 offset:32
	v_add_u32_e32 v16, 1, v0
	v_cmp_ne_u32_e64 s[24:25], s24, v16
	v_mov_b32_e32 v15, 0xc00
	s_and_saveexec_b64 s[50:51], s[24:25]
; %bb.37:
	v_mul_u32_u24_e32 v15, 36, v16
	ds_read_b32 v15, v15 offset:32
; %bb.38:
	s_or_b64 exec, exec, s[50:51]
	s_waitcnt lgkmcnt(0)
	v_sub_u32_e32 v28, v15, v25
.LBB1619_39:
	s_or_b64 exec, exec, s[48:49]
	v_mov_b32_e32 v16, 0
	v_lshlrev_b32_e32 v30, 2, v0
	s_waitcnt lgkmcnt(0)
	s_barrier
	s_and_saveexec_b64 s[24:25], s[20:21]
	s_cbranch_execz .LBB1619_49
; %bb.40:
	v_lshl_add_u32 v15, s33, 8, v0
	v_lshlrev_b64 v[17:18], 2, v[15:16]
	v_mov_b32_e32 v44, s27
	v_add_co_u32_e64 v17, s[20:21], s26, v17
	v_addc_co_u32_e64 v18, s[20:21], v44, v18, s[20:21]
	v_or_b32_e32 v15, 2.0, v28
	s_mov_b64 s[48:49], 0
	s_brev_b32 s55, -4
	s_mov_b32 s56, s33
	v_mov_b32_e32 v45, 0
	global_store_dword v[17:18], v15, off
                                        ; implicit-def: $sgpr20_sgpr21
	s_branch .LBB1619_43
.LBB1619_41:                            ;   in Loop: Header=BB1619_43 Depth=1
	s_or_b64 exec, exec, s[52:53]
.LBB1619_42:                            ;   in Loop: Header=BB1619_43 Depth=1
	s_or_b64 exec, exec, s[50:51]
	v_and_b32_e32 v19, 0x3fffffff, v15
	v_add_u32_e32 v45, v19, v45
	v_cmp_gt_i32_e64 s[20:21], -2.0, v15
	s_and_b64 s[50:51], exec, s[20:21]
	s_or_b64 s[48:49], s[50:51], s[48:49]
	s_andn2_b64 exec, exec, s[48:49]
	s_cbranch_execz .LBB1619_48
.LBB1619_43:                            ; =>This Loop Header: Depth=1
                                        ;     Child Loop BB1619_46 Depth 2
	s_or_b64 s[20:21], s[20:21], exec
	s_cmp_eq_u32 s56, 0
	s_cbranch_scc1 .LBB1619_47
; %bb.44:                               ;   in Loop: Header=BB1619_43 Depth=1
	s_add_i32 s56, s56, -1
	v_lshl_or_b32 v15, s56, 8, v0
	v_lshlrev_b64 v[19:20], 2, v[15:16]
	v_add_co_u32_e64 v19, s[20:21], s26, v19
	v_addc_co_u32_e64 v20, s[20:21], v44, v20, s[20:21]
	global_load_dword v15, v[19:20], off glc
	s_waitcnt vmcnt(0)
	v_cmp_gt_u32_e64 s[20:21], 2.0, v15
	s_and_saveexec_b64 s[50:51], s[20:21]
	s_cbranch_execz .LBB1619_42
; %bb.45:                               ;   in Loop: Header=BB1619_43 Depth=1
	s_mov_b64 s[52:53], 0
.LBB1619_46:                            ;   Parent Loop BB1619_43 Depth=1
                                        ; =>  This Inner Loop Header: Depth=2
	global_load_dword v15, v[19:20], off glc
	s_waitcnt vmcnt(0)
	v_cmp_lt_u32_e64 s[20:21], s55, v15
	s_or_b64 s[52:53], s[20:21], s[52:53]
	s_andn2_b64 exec, exec, s[52:53]
	s_cbranch_execnz .LBB1619_46
	s_branch .LBB1619_41
.LBB1619_47:                            ;   in Loop: Header=BB1619_43 Depth=1
                                        ; implicit-def: $sgpr56
	s_and_b64 s[50:51], exec, s[20:21]
	s_or_b64 s[48:49], s[50:51], s[48:49]
	s_andn2_b64 exec, exec, s[48:49]
	s_cbranch_execnz .LBB1619_43
.LBB1619_48:
	s_or_b64 exec, exec, s[48:49]
	v_add_u32_e32 v15, v45, v28
	v_or_b32_e32 v15, 0x80000000, v15
	global_store_dword v[17:18], v15, off
	global_load_dword v15, v30, s[28:29]
	v_sub_u32_e32 v16, v45, v25
	s_waitcnt vmcnt(0)
	v_add_u32_e32 v15, v16, v15
	ds_write_b32 v30, v15
.LBB1619_49:
	s_or_b64 exec, exec, s[24:25]
	s_mov_b32 s24, -1
	v_add_u32_e32 v17, v43, v24
	v_add3_u32 v18, v40, v41, v38
	v_add3_u32 v19, v37, v39, v35
	;; [unrolled: 1-line block ×5, first 2 shown]
	s_mov_b32 s50, 0
	s_mov_b32 s51, 0
	v_add_u32_e32 v27, v30, v30
	s_brev_b32 s25, -2
	v_mov_b32_e32 v16, 0
	s_movk_i32 s52, 0x200
	v_bfrev_b32_e32 v29, 1
	v_mov_b32_e32 v31, v0
	s_branch .LBB1619_51
.LBB1619_50:                            ;   in Loop: Header=BB1619_51 Depth=1
	s_or_b64 exec, exec, s[48:49]
	s_addk_i32 s51, 0xfc00
	s_add_i32 s50, s50, 8
	s_cmpk_eq_i32 s51, 0xf400
	v_add_u32_e32 v31, 0x400, v31
	s_waitcnt vmcnt(0)
	s_barrier
	s_cbranch_scc1 .LBB1619_55
.LBB1619_51:                            ; =>This Inner Loop Header: Depth=1
	v_add_u32_e32 v15, s51, v17
	v_min_u32_e32 v15, 0x400, v15
	v_lshlrev_b32_e32 v15, 3, v15
	ds_write_b64 v15, v[3:4] offset:1024
	v_add_u32_e32 v15, s51, v26
	v_min_u32_e32 v15, 0x400, v15
	v_lshlrev_b32_e32 v15, 3, v15
	ds_write_b64 v15, v[5:6] offset:1024
	;; [unrolled: 4-line block ×5, first 2 shown]
	v_add_u32_e32 v15, s51, v18
	v_min_u32_e32 v15, 0x400, v15
	v_lshlrev_b32_e32 v15, 3, v15
	v_cmp_gt_u32_e64 s[20:21], s7, v31
	ds_write_b64 v15, v[11:12] offset:1024
	s_waitcnt lgkmcnt(0)
	s_barrier
	s_and_saveexec_b64 s[48:49], s[20:21]
	s_cbranch_execz .LBB1619_53
; %bb.52:                               ;   in Loop: Header=BB1619_51 Depth=1
	ds_read_b64 v[32:33], v27 offset:1024
	v_mov_b32_e32 v36, s39
	s_waitcnt lgkmcnt(0)
	v_cmp_ne_u64_e64 s[20:21], s[24:25], v[32:33]
	v_cndmask_b32_e64 v35, v29, v33, s[20:21]
	v_cndmask_b32_e64 v34, 0, v32, s[20:21]
	v_lshrrev_b64 v[34:35], s44, v[34:35]
	v_cmp_lt_i64_e64 s[20:21], -1, v[32:33]
	v_and_b32_e32 v37, s54, v34
	v_lshlrev_b32_e32 v34, 2, v37
	ds_read_b32 v34, v34
	v_cndmask_b32_e64 v15, v29, -1, s[20:21]
	v_ashrrev_i32_e32 v35, 31, v33
	v_not_b32_e32 v35, v35
	v_xor_b32_e32 v33, v15, v33
	s_waitcnt lgkmcnt(0)
	v_add_u32_e32 v15, v31, v34
	v_xor_b32_e32 v32, v35, v32
	v_lshlrev_b64 v[34:35], 3, v[15:16]
	v_mov_b32_e32 v15, s50
	v_add_co_u32_e64 v34, s[20:21], s38, v34
	v_addc_co_u32_e64 v35, s[20:21], v36, v35, s[20:21]
	global_store_dwordx2 v[34:35], v[32:33], off
	buffer_store_dword v37, v15, s[0:3], 0 offen
.LBB1619_53:                            ;   in Loop: Header=BB1619_51 Depth=1
	s_or_b64 exec, exec, s[48:49]
	v_add_u32_e32 v15, 0x200, v31
	v_cmp_gt_u32_e64 s[20:21], s7, v15
	s_and_saveexec_b64 s[48:49], s[20:21]
	s_cbranch_execz .LBB1619_50
; %bb.54:                               ;   in Loop: Header=BB1619_51 Depth=1
	ds_read_b64 v[32:33], v27 offset:5120
	v_mov_b32_e32 v36, s39
	s_waitcnt lgkmcnt(0)
	v_cmp_ne_u64_e64 s[20:21], s[24:25], v[32:33]
	v_cndmask_b32_e64 v35, v29, v33, s[20:21]
	v_cndmask_b32_e64 v34, 0, v32, s[20:21]
	v_lshrrev_b64 v[34:35], s44, v[34:35]
	v_cmp_lt_i64_e64 s[20:21], -1, v[32:33]
	v_and_b32_e32 v37, s54, v34
	v_lshlrev_b32_e32 v34, 2, v37
	ds_read_b32 v34, v34
	v_cndmask_b32_e64 v15, v29, -1, s[20:21]
	v_ashrrev_i32_e32 v35, 31, v33
	v_not_b32_e32 v35, v35
	v_xor_b32_e32 v33, v15, v33
	s_waitcnt lgkmcnt(0)
	v_add3_u32 v15, v31, v34, s52
	v_xor_b32_e32 v32, v35, v32
	v_lshlrev_b64 v[34:35], 3, v[15:16]
	v_mov_b32_e32 v15, s50
	v_add_co_u32_e64 v34, s[20:21], s38, v34
	v_addc_co_u32_e64 v35, s[20:21], v36, v35, s[20:21]
	global_store_dwordx2 v[34:35], v[32:33], off
	buffer_store_dword v37, v15, s[0:3], 0 offen offset:4
	s_branch .LBB1619_50
.LBB1619_55:
	s_add_u32 s20, s40, s46
	s_addc_u32 s21, s41, s47
	v_mov_b32_e32 v3, s21
	v_add_co_u32_e64 v4, s[20:21], s20, v22
	v_addc_co_u32_e64 v3, s[20:21], 0, v3, s[20:21]
	v_add_co_u32_e64 v15, s[20:21], v4, v23
	v_addc_co_u32_e64 v16, s[20:21], 0, v3, s[20:21]
                                        ; implicit-def: $vgpr3_vgpr4
	s_and_saveexec_b64 s[20:21], vcc
	s_cbranch_execz .LBB1619_61
; %bb.56:
	global_load_dwordx2 v[3:4], v[15:16], off
	s_or_b64 exec, exec, s[20:21]
                                        ; implicit-def: $vgpr5_vgpr6
	s_and_saveexec_b64 s[20:21], s[8:9]
	s_cbranch_execnz .LBB1619_62
.LBB1619_57:
	s_or_b64 exec, exec, s[20:21]
                                        ; implicit-def: $vgpr7_vgpr8
	s_and_saveexec_b64 s[8:9], s[10:11]
	s_cbranch_execz .LBB1619_63
.LBB1619_58:
	global_load_dwordx2 v[7:8], v[15:16], off offset:1024
	s_or_b64 exec, exec, s[8:9]
                                        ; implicit-def: $vgpr9_vgpr10
	s_and_saveexec_b64 s[8:9], s[12:13]
	s_cbranch_execnz .LBB1619_64
.LBB1619_59:
	s_or_b64 exec, exec, s[8:9]
                                        ; implicit-def: $vgpr11_vgpr12
	s_and_saveexec_b64 s[8:9], s[14:15]
	s_cbranch_execz .LBB1619_65
.LBB1619_60:
	global_load_dwordx2 v[11:12], v[15:16], off offset:2048
	s_or_b64 exec, exec, s[8:9]
                                        ; implicit-def: $vgpr13_vgpr14
	s_and_saveexec_b64 s[8:9], s[16:17]
	s_cbranch_execnz .LBB1619_66
	s_branch .LBB1619_67
.LBB1619_61:
	s_or_b64 exec, exec, s[20:21]
                                        ; implicit-def: $vgpr5_vgpr6
	s_and_saveexec_b64 s[20:21], s[8:9]
	s_cbranch_execz .LBB1619_57
.LBB1619_62:
	global_load_dwordx2 v[5:6], v[15:16], off offset:512
	s_or_b64 exec, exec, s[20:21]
                                        ; implicit-def: $vgpr7_vgpr8
	s_and_saveexec_b64 s[8:9], s[10:11]
	s_cbranch_execnz .LBB1619_58
.LBB1619_63:
	s_or_b64 exec, exec, s[8:9]
                                        ; implicit-def: $vgpr9_vgpr10
	s_and_saveexec_b64 s[8:9], s[12:13]
	s_cbranch_execz .LBB1619_59
.LBB1619_64:
	global_load_dwordx2 v[9:10], v[15:16], off offset:1536
	s_or_b64 exec, exec, s[8:9]
                                        ; implicit-def: $vgpr11_vgpr12
	s_and_saveexec_b64 s[8:9], s[14:15]
	s_cbranch_execnz .LBB1619_60
.LBB1619_65:
	s_or_b64 exec, exec, s[8:9]
                                        ; implicit-def: $vgpr13_vgpr14
	s_and_saveexec_b64 s[8:9], s[16:17]
	s_cbranch_execz .LBB1619_67
.LBB1619_66:
	global_load_dwordx2 v[13:14], v[15:16], off offset:2560
.LBB1619_67:
	s_or_b64 exec, exec, s[8:9]
	s_mov_b32 s10, 0
	s_mov_b32 s11, 0
	v_mov_b32_e32 v16, 0
	s_movk_i32 s12, 0x200
	v_mov_b32_e32 v22, v0
	s_branch .LBB1619_69
.LBB1619_68:                            ;   in Loop: Header=BB1619_69 Depth=1
	s_or_b64 exec, exec, s[8:9]
	s_addk_i32 s11, 0xfc00
	s_add_i32 s10, s10, 8
	s_cmpk_eq_i32 s11, 0xf400
	v_add_u32_e32 v22, 0x400, v22
	s_waitcnt vmcnt(0)
	s_barrier
	s_cbranch_scc1 .LBB1619_73
.LBB1619_69:                            ; =>This Inner Loop Header: Depth=1
	v_add_u32_e32 v15, s11, v17
	v_min_u32_e32 v15, 0x400, v15
	v_lshlrev_b32_e32 v15, 3, v15
	s_waitcnt vmcnt(0)
	ds_write_b64 v15, v[3:4] offset:1024
	v_add_u32_e32 v15, s11, v26
	v_min_u32_e32 v15, 0x400, v15
	v_lshlrev_b32_e32 v15, 3, v15
	ds_write_b64 v15, v[5:6] offset:1024
	v_add_u32_e32 v15, s11, v24
	v_min_u32_e32 v15, 0x400, v15
	v_lshlrev_b32_e32 v15, 3, v15
	;; [unrolled: 4-line block ×5, first 2 shown]
	v_cmp_gt_u32_e32 vcc, s7, v22
	ds_write_b64 v15, v[13:14] offset:1024
	s_waitcnt lgkmcnt(0)
	s_barrier
	s_and_saveexec_b64 s[8:9], vcc
	s_cbranch_execz .LBB1619_71
; %bb.70:                               ;   in Loop: Header=BB1619_69 Depth=1
	v_mov_b32_e32 v15, s10
	buffer_load_dword v15, v15, s[0:3], 0 offen
	v_mov_b32_e32 v23, s43
	s_waitcnt vmcnt(0)
	v_lshlrev_b32_e32 v15, 2, v15
	ds_read_b32 v15, v15
	ds_read_b64 v[31:32], v27 offset:1024
	s_waitcnt lgkmcnt(1)
	v_add_u32_e32 v15, v22, v15
	v_lshlrev_b64 v[33:34], 3, v[15:16]
	v_add_co_u32_e32 v33, vcc, s42, v33
	v_addc_co_u32_e32 v34, vcc, v23, v34, vcc
	s_waitcnt lgkmcnt(0)
	global_store_dwordx2 v[33:34], v[31:32], off
.LBB1619_71:                            ;   in Loop: Header=BB1619_69 Depth=1
	s_or_b64 exec, exec, s[8:9]
	v_add_u32_e32 v15, 0x200, v22
	v_cmp_gt_u32_e32 vcc, s7, v15
	s_and_saveexec_b64 s[8:9], vcc
	s_cbranch_execz .LBB1619_68
; %bb.72:                               ;   in Loop: Header=BB1619_69 Depth=1
	v_mov_b32_e32 v15, s10
	buffer_load_dword v15, v15, s[0:3], 0 offen offset:4
	v_mov_b32_e32 v23, s43
	s_waitcnt vmcnt(0)
	v_lshlrev_b32_e32 v15, 2, v15
	ds_read_b32 v15, v15
	ds_read_b64 v[31:32], v27 offset:5120
	s_waitcnt lgkmcnt(1)
	v_add3_u32 v15, v22, v15, s12
	v_lshlrev_b64 v[33:34], 3, v[15:16]
	v_add_co_u32_e32 v33, vcc, s42, v33
	v_addc_co_u32_e32 v34, vcc, v23, v34, vcc
	s_waitcnt lgkmcnt(0)
	global_store_dwordx2 v[33:34], v[31:32], off
	s_branch .LBB1619_68
.LBB1619_73:
	s_add_i32 s35, s35, -1
	s_cmp_eq_u32 s33, s35
	s_cselect_b64 s[8:9], -1, 0
	s_xor_b64 s[10:11], s[18:19], -1
	s_and_b64 s[10:11], s[10:11], s[8:9]
	s_and_saveexec_b64 s[8:9], s[10:11]
	s_cbranch_execz .LBB1619_75
; %bb.74:
	ds_read_b32 v3, v30
	s_waitcnt lgkmcnt(0)
	v_add3_u32 v3, v25, v28, v3
	global_store_dword v30, v3, s[30:31]
.LBB1619_75:
	s_or_b64 exec, exec, s[8:9]
	s_mov_b64 s[8:9], 0
.LBB1619_76:
	s_and_b64 vcc, exec, s[8:9]
	s_cbranch_vccz .LBB1619_115
; %bb.77:
	s_mov_b32 s35, 0
	s_lshl_b64 s[10:11], s[34:35], 3
	v_mbcnt_hi_u32_b32 v17, -1, v21
	s_add_u32 s7, s36, s10
	v_and_b32_e32 v3, 63, v17
	s_addc_u32 s8, s37, s11
	v_and_b32_e32 v18, 0x1c0, v0
	v_lshlrev_b32_e32 v19, 3, v3
	v_mul_u32_u24_e32 v4, 6, v18
	v_mov_b32_e32 v3, s8
	v_add_co_u32_e32 v5, vcc, s7, v19
	v_addc_co_u32_e32 v6, vcc, 0, v3, vcc
	v_lshlrev_b32_e32 v20, 3, v4
	v_add_co_u32_e32 v3, vcc, v5, v20
	v_addc_co_u32_e32 v4, vcc, 0, v6, vcc
	global_load_dwordx2 v[23:24], v[3:4], off
	s_load_dword s16, s[4:5], 0x58
	s_load_dword s7, s[4:5], 0x64
	s_add_u32 s4, s4, 0x58
	s_addc_u32 s5, s5, 0
	v_mov_b32_e32 v13, 0
	global_load_dwordx2 v[15:16], v[3:4], off offset:512
	global_load_dwordx2 v[5:6], v[3:4], off offset:1024
	;; [unrolled: 1-line block ×3, first 2 shown]
	s_waitcnt lgkmcnt(0)
	s_lshr_b32 s12, s7, 16
	s_cmp_lt_u32 s6, s16
	s_cselect_b32 s6, 12, 18
	s_add_u32 s4, s4, s6
	s_addc_u32 s5, s5, 0
	global_load_ushort v21, v13, s[4:5]
	global_load_dwordx2 v[9:10], v[3:4], off offset:2048
	global_load_dwordx2 v[11:12], v[3:4], off offset:2560
	v_bfrev_b32_e32 v22, 1
	s_mov_b32 s8, -1
	s_brev_b32 s9, -2
	s_lshl_b32 s4, -1, s45
	s_not_b32 s17, s4
	v_mad_u32_u24 v1, v2, s12, v1
	s_waitcnt vmcnt(6)
	v_cmp_lt_i64_e32 vcc, -1, v[23:24]
	v_ashrrev_i32_e32 v14, 31, v24
	v_cndmask_b32_e32 v3, -1, v22, vcc
	v_xor_b32_e32 v4, v3, v24
	v_xor_b32_e32 v3, v14, v23
	v_cmp_ne_u64_e32 vcc, s[8:9], v[3:4]
	v_cndmask_b32_e32 v24, v22, v4, vcc
	v_cndmask_b32_e32 v23, 0, v3, vcc
	v_lshrrev_b64 v[23:24], s44, v[23:24]
	v_and_b32_e32 v25, s17, v23
	v_and_b32_e32 v23, 1, v25
	v_lshlrev_b32_e32 v14, 30, v25
	v_cmp_ne_u32_e32 vcc, 0, v23
	v_add_co_u32_e64 v23, s[6:7], -1, v23
	v_cmp_gt_i64_e64 s[4:5], 0, v[13:14]
	v_addc_co_u32_e64 v24, s[6:7], 0, -1, s[6:7]
	v_not_b32_e32 v26, v14
	v_lshlrev_b32_e32 v14, 29, v25
	v_xor_b32_e32 v24, vcc_hi, v24
	v_ashrrev_i32_e32 v26, 31, v26
	v_xor_b32_e32 v23, vcc_lo, v23
	v_cmp_gt_i64_e32 vcc, 0, v[13:14]
	v_not_b32_e32 v27, v14
	v_lshlrev_b32_e32 v14, 28, v25
	v_and_b32_e32 v24, exec_hi, v24
	v_xor_b32_e32 v28, s5, v26
	v_and_b32_e32 v23, exec_lo, v23
	v_xor_b32_e32 v26, s4, v26
	v_ashrrev_i32_e32 v27, 31, v27
	v_cmp_gt_i64_e64 s[4:5], 0, v[13:14]
	v_not_b32_e32 v29, v14
	v_lshlrev_b32_e32 v14, 27, v25
	v_and_b32_e32 v24, v24, v28
	v_and_b32_e32 v23, v23, v26
	v_xor_b32_e32 v26, vcc_hi, v27
	v_xor_b32_e32 v27, vcc_lo, v27
	v_ashrrev_i32_e32 v28, 31, v29
	v_cmp_gt_i64_e32 vcc, 0, v[13:14]
	v_not_b32_e32 v29, v14
	v_lshlrev_b32_e32 v14, 26, v25
	v_and_b32_e32 v24, v24, v26
	v_and_b32_e32 v23, v23, v27
	v_xor_b32_e32 v26, s5, v28
	v_xor_b32_e32 v27, s4, v28
	v_ashrrev_i32_e32 v28, 31, v29
	v_cmp_gt_i64_e64 s[4:5], 0, v[13:14]
	v_not_b32_e32 v29, v14
	v_lshlrev_b32_e32 v14, 25, v25
	v_and_b32_e32 v24, v24, v26
	v_and_b32_e32 v23, v23, v27
	v_xor_b32_e32 v26, vcc_hi, v28
	v_xor_b32_e32 v27, vcc_lo, v28
	v_ashrrev_i32_e32 v28, 31, v29
	v_cmp_gt_i64_e32 vcc, 0, v[13:14]
	v_not_b32_e32 v14, v14
	v_and_b32_e32 v24, v24, v26
	v_and_b32_e32 v23, v23, v27
	v_xor_b32_e32 v26, s5, v28
	v_xor_b32_e32 v27, s4, v28
	v_ashrrev_i32_e32 v14, 31, v14
	v_and_b32_e32 v24, v24, v26
	v_and_b32_e32 v23, v23, v27
	v_xor_b32_e32 v26, vcc_hi, v14
	v_xor_b32_e32 v14, vcc_lo, v14
	v_and_b32_e32 v27, v23, v14
	v_lshlrev_b32_e32 v14, 24, v25
	v_cmp_gt_i64_e32 vcc, 0, v[13:14]
	v_not_b32_e32 v14, v14
	v_and_b32_e32 v26, v24, v26
	v_ashrrev_i32_e32 v14, 31, v14
	s_waitcnt vmcnt(2)
	v_mad_u64_u32 v[23:24], s[4:5], v1, v21, v[0:1]
	v_xor_b32_e32 v28, vcc_hi, v14
	v_xor_b32_e32 v1, vcc_lo, v14
	v_mul_lo_u32 v14, v25, 36
	v_and_b32_e32 v1, v27, v1
	v_lshrrev_b32_e32 v31, 6, v23
	v_and_b32_e32 v2, v26, v28
	v_lshl_add_u32 v25, v31, 2, v14
	v_mbcnt_lo_u32_b32 v14, v1, 0
	v_mbcnt_hi_u32_b32 v21, v2, v14
	v_cmp_ne_u64_e32 vcc, 0, v[1:2]
	v_cmp_eq_u32_e64 s[4:5], 0, v21
	v_mul_u32_u24_e32 v24, 20, v0
	s_and_b64 s[6:7], vcc, s[4:5]
	ds_write2_b32 v24, v13, v13 offset0:8 offset1:9
	ds_write2_b32 v24, v13, v13 offset0:10 offset1:11
	ds_write_b32 v24, v13 offset:48
	s_waitcnt vmcnt(0) lgkmcnt(0)
	s_barrier
	; wave barrier
	s_and_saveexec_b64 s[4:5], s[6:7]
; %bb.78:
	v_bcnt_u32_b32 v1, v1, 0
	v_bcnt_u32_b32 v1, v2, v1
	ds_write_b32 v25, v1 offset:32
; %bb.79:
	s_or_b64 exec, exec, s[4:5]
	v_cmp_lt_i64_e32 vcc, -1, v[15:16]
	v_ashrrev_i32_e32 v14, 31, v16
	v_cndmask_b32_e32 v1, -1, v22, vcc
	v_xor_b32_e32 v2, v1, v16
	v_xor_b32_e32 v1, v14, v15
	v_cmp_ne_u64_e32 vcc, s[8:9], v[1:2]
	v_cndmask_b32_e32 v15, v22, v2, vcc
	v_cndmask_b32_e32 v14, 0, v1, vcc
	v_lshrrev_b64 v[14:15], s44, v[14:15]
	; wave barrier
	v_and_b32_e32 v15, s17, v14
	v_mul_lo_u32 v14, v15, 36
	v_lshl_add_u32 v27, v31, 2, v14
	v_and_b32_e32 v14, 1, v15
	v_add_co_u32_e32 v16, vcc, -1, v14
	v_addc_co_u32_e64 v23, s[4:5], 0, -1, vcc
	v_cmp_ne_u32_e32 vcc, 0, v14
	v_xor_b32_e32 v14, vcc_hi, v23
	v_and_b32_e32 v23, exec_hi, v14
	v_lshlrev_b32_e32 v14, 30, v15
	v_xor_b32_e32 v16, vcc_lo, v16
	v_cmp_gt_i64_e32 vcc, 0, v[13:14]
	v_not_b32_e32 v14, v14
	v_ashrrev_i32_e32 v14, 31, v14
	v_and_b32_e32 v16, exec_lo, v16
	v_xor_b32_e32 v26, vcc_hi, v14
	v_xor_b32_e32 v14, vcc_lo, v14
	v_and_b32_e32 v16, v16, v14
	v_lshlrev_b32_e32 v14, 29, v15
	v_cmp_gt_i64_e32 vcc, 0, v[13:14]
	v_not_b32_e32 v14, v14
	v_ashrrev_i32_e32 v14, 31, v14
	v_and_b32_e32 v23, v23, v26
	v_xor_b32_e32 v26, vcc_hi, v14
	v_xor_b32_e32 v14, vcc_lo, v14
	v_and_b32_e32 v16, v16, v14
	v_lshlrev_b32_e32 v14, 28, v15
	v_cmp_gt_i64_e32 vcc, 0, v[13:14]
	v_not_b32_e32 v14, v14
	v_ashrrev_i32_e32 v14, 31, v14
	v_and_b32_e32 v23, v23, v26
	;; [unrolled: 8-line block ×5, first 2 shown]
	v_xor_b32_e32 v26, vcc_hi, v14
	v_xor_b32_e32 v14, vcc_lo, v14
	v_and_b32_e32 v16, v16, v14
	v_lshlrev_b32_e32 v14, 24, v15
	v_cmp_gt_i64_e32 vcc, 0, v[13:14]
	v_not_b32_e32 v13, v14
	v_ashrrev_i32_e32 v13, 31, v13
	v_xor_b32_e32 v14, vcc_hi, v13
	v_xor_b32_e32 v13, vcc_lo, v13
	ds_read_b32 v22, v27 offset:32
	v_and_b32_e32 v23, v23, v26
	v_and_b32_e32 v13, v16, v13
	;; [unrolled: 1-line block ×3, first 2 shown]
	v_mbcnt_lo_u32_b32 v15, v13, 0
	v_mbcnt_hi_u32_b32 v23, v14, v15
	v_cmp_ne_u64_e32 vcc, 0, v[13:14]
	v_cmp_eq_u32_e64 s[4:5], 0, v23
	s_and_b64 s[6:7], vcc, s[4:5]
	; wave barrier
	s_and_saveexec_b64 s[4:5], s[6:7]
	s_cbranch_execz .LBB1619_81
; %bb.80:
	v_bcnt_u32_b32 v13, v13, 0
	v_bcnt_u32_b32 v13, v14, v13
	s_waitcnt lgkmcnt(0)
	v_add_u32_e32 v13, v22, v13
	ds_write_b32 v27, v13 offset:32
.LBB1619_81:
	s_or_b64 exec, exec, s[4:5]
	v_cmp_lt_i64_e32 vcc, -1, v[5:6]
	v_bfrev_b32_e32 v16, 1
	s_mov_b32 s6, -1
	v_cndmask_b32_e32 v13, -1, v16, vcc
	v_ashrrev_i32_e32 v14, 31, v6
	s_brev_b32 s7, -2
	v_xor_b32_e32 v6, v13, v6
	v_xor_b32_e32 v5, v14, v5
	v_cmp_ne_u64_e32 vcc, s[6:7], v[5:6]
	v_cndmask_b32_e32 v14, v16, v6, vcc
	v_cndmask_b32_e32 v13, 0, v5, vcc
	v_lshrrev_b64 v[13:14], s44, v[13:14]
	; wave barrier
	v_and_b32_e32 v15, s17, v13
	v_mul_lo_u32 v13, v15, 36
	v_and_b32_e32 v14, 1, v15
	v_add_co_u32_e32 v28, vcc, -1, v14
	v_addc_co_u32_e64 v29, s[4:5], 0, -1, vcc
	v_cmp_ne_u32_e32 vcc, 0, v14
	v_xor_b32_e32 v14, vcc_hi, v29
	v_lshl_add_u32 v30, v31, 2, v13
	v_mov_b32_e32 v13, 0
	v_and_b32_e32 v29, exec_hi, v14
	v_lshlrev_b32_e32 v14, 30, v15
	v_xor_b32_e32 v28, vcc_lo, v28
	v_cmp_gt_i64_e32 vcc, 0, v[13:14]
	v_not_b32_e32 v14, v14
	v_ashrrev_i32_e32 v14, 31, v14
	v_and_b32_e32 v28, exec_lo, v28
	v_xor_b32_e32 v32, vcc_hi, v14
	v_xor_b32_e32 v14, vcc_lo, v14
	v_and_b32_e32 v28, v28, v14
	v_lshlrev_b32_e32 v14, 29, v15
	v_cmp_gt_i64_e32 vcc, 0, v[13:14]
	v_not_b32_e32 v14, v14
	v_ashrrev_i32_e32 v14, 31, v14
	v_and_b32_e32 v29, v29, v32
	v_xor_b32_e32 v32, vcc_hi, v14
	v_xor_b32_e32 v14, vcc_lo, v14
	v_and_b32_e32 v28, v28, v14
	v_lshlrev_b32_e32 v14, 28, v15
	v_cmp_gt_i64_e32 vcc, 0, v[13:14]
	v_not_b32_e32 v14, v14
	v_ashrrev_i32_e32 v14, 31, v14
	v_and_b32_e32 v29, v29, v32
	;; [unrolled: 8-line block ×5, first 2 shown]
	v_xor_b32_e32 v32, vcc_hi, v14
	v_xor_b32_e32 v14, vcc_lo, v14
	v_and_b32_e32 v28, v28, v14
	v_lshlrev_b32_e32 v14, 24, v15
	v_cmp_gt_i64_e32 vcc, 0, v[13:14]
	v_not_b32_e32 v14, v14
	v_ashrrev_i32_e32 v14, 31, v14
	v_xor_b32_e32 v15, vcc_hi, v14
	v_xor_b32_e32 v14, vcc_lo, v14
	ds_read_b32 v26, v30 offset:32
	v_and_b32_e32 v29, v29, v32
	v_and_b32_e32 v14, v28, v14
	;; [unrolled: 1-line block ×3, first 2 shown]
	v_mbcnt_lo_u32_b32 v28, v14, 0
	v_mbcnt_hi_u32_b32 v28, v15, v28
	v_cmp_ne_u64_e32 vcc, 0, v[14:15]
	v_cmp_eq_u32_e64 s[4:5], 0, v28
	s_and_b64 s[8:9], vcc, s[4:5]
	; wave barrier
	s_and_saveexec_b64 s[4:5], s[8:9]
	s_cbranch_execz .LBB1619_83
; %bb.82:
	v_bcnt_u32_b32 v14, v14, 0
	v_bcnt_u32_b32 v14, v15, v14
	s_waitcnt lgkmcnt(0)
	v_add_u32_e32 v14, v26, v14
	ds_write_b32 v30, v14 offset:32
.LBB1619_83:
	s_or_b64 exec, exec, s[4:5]
	v_cmp_lt_i64_e32 vcc, -1, v[7:8]
	v_ashrrev_i32_e32 v15, 31, v8
	v_cndmask_b32_e32 v14, -1, v16, vcc
	v_xor_b32_e32 v8, v14, v8
	v_xor_b32_e32 v7, v15, v7
	v_cmp_ne_u64_e32 vcc, s[6:7], v[7:8]
	v_cndmask_b32_e32 v15, v16, v8, vcc
	v_cndmask_b32_e32 v14, 0, v7, vcc
	v_lshrrev_b64 v[14:15], s44, v[14:15]
	; wave barrier
	v_and_b32_e32 v15, s17, v14
	v_mul_lo_u32 v14, v15, 36
	v_lshl_add_u32 v34, v31, 2, v14
	v_and_b32_e32 v14, 1, v15
	v_add_co_u32_e32 v16, vcc, -1, v14
	v_addc_co_u32_e64 v32, s[4:5], 0, -1, vcc
	v_cmp_ne_u32_e32 vcc, 0, v14
	v_xor_b32_e32 v14, vcc_hi, v32
	v_and_b32_e32 v32, exec_hi, v14
	v_lshlrev_b32_e32 v14, 30, v15
	v_xor_b32_e32 v16, vcc_lo, v16
	v_cmp_gt_i64_e32 vcc, 0, v[13:14]
	v_not_b32_e32 v14, v14
	v_ashrrev_i32_e32 v14, 31, v14
	v_and_b32_e32 v16, exec_lo, v16
	v_xor_b32_e32 v33, vcc_hi, v14
	v_xor_b32_e32 v14, vcc_lo, v14
	v_and_b32_e32 v16, v16, v14
	v_lshlrev_b32_e32 v14, 29, v15
	v_cmp_gt_i64_e32 vcc, 0, v[13:14]
	v_not_b32_e32 v14, v14
	v_ashrrev_i32_e32 v14, 31, v14
	v_and_b32_e32 v32, v32, v33
	v_xor_b32_e32 v33, vcc_hi, v14
	v_xor_b32_e32 v14, vcc_lo, v14
	v_and_b32_e32 v16, v16, v14
	v_lshlrev_b32_e32 v14, 28, v15
	v_cmp_gt_i64_e32 vcc, 0, v[13:14]
	v_not_b32_e32 v14, v14
	v_ashrrev_i32_e32 v14, 31, v14
	v_and_b32_e32 v32, v32, v33
	;; [unrolled: 8-line block ×5, first 2 shown]
	v_xor_b32_e32 v33, vcc_hi, v14
	v_xor_b32_e32 v14, vcc_lo, v14
	v_and_b32_e32 v16, v16, v14
	v_lshlrev_b32_e32 v14, 24, v15
	v_cmp_gt_i64_e32 vcc, 0, v[13:14]
	v_not_b32_e32 v13, v14
	v_ashrrev_i32_e32 v13, 31, v13
	v_xor_b32_e32 v14, vcc_hi, v13
	v_xor_b32_e32 v13, vcc_lo, v13
	ds_read_b32 v29, v34 offset:32
	v_and_b32_e32 v32, v32, v33
	v_and_b32_e32 v13, v16, v13
	;; [unrolled: 1-line block ×3, first 2 shown]
	v_mbcnt_lo_u32_b32 v15, v13, 0
	v_mbcnt_hi_u32_b32 v32, v14, v15
	v_cmp_ne_u64_e32 vcc, 0, v[13:14]
	v_cmp_eq_u32_e64 s[4:5], 0, v32
	s_and_b64 s[6:7], vcc, s[4:5]
	; wave barrier
	s_and_saveexec_b64 s[4:5], s[6:7]
	s_cbranch_execz .LBB1619_85
; %bb.84:
	v_bcnt_u32_b32 v13, v13, 0
	v_bcnt_u32_b32 v13, v14, v13
	s_waitcnt lgkmcnt(0)
	v_add_u32_e32 v13, v29, v13
	ds_write_b32 v34, v13 offset:32
.LBB1619_85:
	s_or_b64 exec, exec, s[4:5]
	v_cmp_lt_i64_e32 vcc, -1, v[9:10]
	v_bfrev_b32_e32 v16, 1
	s_mov_b32 s6, -1
	v_cndmask_b32_e32 v13, -1, v16, vcc
	v_ashrrev_i32_e32 v14, 31, v10
	s_brev_b32 s7, -2
	v_xor_b32_e32 v10, v13, v10
	v_xor_b32_e32 v9, v14, v9
	v_cmp_ne_u64_e32 vcc, s[6:7], v[9:10]
	v_cndmask_b32_e32 v14, v16, v10, vcc
	v_cndmask_b32_e32 v13, 0, v9, vcc
	v_lshrrev_b64 v[13:14], s44, v[13:14]
	; wave barrier
	v_and_b32_e32 v15, s17, v13
	v_mul_lo_u32 v13, v15, 36
	v_and_b32_e32 v14, 1, v15
	v_add_co_u32_e32 v35, vcc, -1, v14
	v_addc_co_u32_e64 v36, s[4:5], 0, -1, vcc
	v_cmp_ne_u32_e32 vcc, 0, v14
	v_xor_b32_e32 v14, vcc_hi, v36
	v_lshl_add_u32 v37, v31, 2, v13
	v_mov_b32_e32 v13, 0
	v_and_b32_e32 v36, exec_hi, v14
	v_lshlrev_b32_e32 v14, 30, v15
	v_xor_b32_e32 v35, vcc_lo, v35
	v_cmp_gt_i64_e32 vcc, 0, v[13:14]
	v_not_b32_e32 v14, v14
	v_ashrrev_i32_e32 v14, 31, v14
	v_and_b32_e32 v35, exec_lo, v35
	v_xor_b32_e32 v38, vcc_hi, v14
	v_xor_b32_e32 v14, vcc_lo, v14
	v_and_b32_e32 v35, v35, v14
	v_lshlrev_b32_e32 v14, 29, v15
	v_cmp_gt_i64_e32 vcc, 0, v[13:14]
	v_not_b32_e32 v14, v14
	v_ashrrev_i32_e32 v14, 31, v14
	v_and_b32_e32 v36, v36, v38
	v_xor_b32_e32 v38, vcc_hi, v14
	v_xor_b32_e32 v14, vcc_lo, v14
	v_and_b32_e32 v35, v35, v14
	v_lshlrev_b32_e32 v14, 28, v15
	v_cmp_gt_i64_e32 vcc, 0, v[13:14]
	v_not_b32_e32 v14, v14
	v_ashrrev_i32_e32 v14, 31, v14
	v_and_b32_e32 v36, v36, v38
	;; [unrolled: 8-line block ×5, first 2 shown]
	v_xor_b32_e32 v38, vcc_hi, v14
	v_xor_b32_e32 v14, vcc_lo, v14
	v_and_b32_e32 v35, v35, v14
	v_lshlrev_b32_e32 v14, 24, v15
	v_cmp_gt_i64_e32 vcc, 0, v[13:14]
	v_not_b32_e32 v14, v14
	v_ashrrev_i32_e32 v14, 31, v14
	v_xor_b32_e32 v15, vcc_hi, v14
	v_xor_b32_e32 v14, vcc_lo, v14
	ds_read_b32 v33, v37 offset:32
	v_and_b32_e32 v36, v36, v38
	v_and_b32_e32 v14, v35, v14
	;; [unrolled: 1-line block ×3, first 2 shown]
	v_mbcnt_lo_u32_b32 v35, v14, 0
	v_mbcnt_hi_u32_b32 v35, v15, v35
	v_cmp_ne_u64_e32 vcc, 0, v[14:15]
	v_cmp_eq_u32_e64 s[4:5], 0, v35
	s_and_b64 s[8:9], vcc, s[4:5]
	; wave barrier
	s_and_saveexec_b64 s[4:5], s[8:9]
	s_cbranch_execz .LBB1619_87
; %bb.86:
	v_bcnt_u32_b32 v14, v14, 0
	v_bcnt_u32_b32 v14, v15, v14
	s_waitcnt lgkmcnt(0)
	v_add_u32_e32 v14, v33, v14
	ds_write_b32 v37, v14 offset:32
.LBB1619_87:
	s_or_b64 exec, exec, s[4:5]
	v_cmp_lt_i64_e32 vcc, -1, v[11:12]
	v_ashrrev_i32_e32 v14, 31, v12
	v_cndmask_b32_e32 v15, -1, v16, vcc
	v_xor_b32_e32 v12, v15, v12
	v_xor_b32_e32 v11, v14, v11
	v_cmp_ne_u64_e32 vcc, s[6:7], v[11:12]
	v_cndmask_b32_e32 v15, v16, v12, vcc
	v_cndmask_b32_e32 v14, 0, v11, vcc
	v_lshrrev_b64 v[14:15], s44, v[14:15]
	; wave barrier
	v_and_b32_e32 v15, s17, v14
	v_mul_lo_u32 v14, v15, 36
	v_and_b32_e32 v16, 1, v15
	v_lshl_add_u32 v39, v31, 2, v14
	v_add_co_u32_e32 v14, vcc, -1, v16
	v_addc_co_u32_e64 v31, s[4:5], 0, -1, vcc
	v_cmp_ne_u32_e32 vcc, 0, v16
	v_xor_b32_e32 v14, vcc_lo, v14
	v_xor_b32_e32 v16, vcc_hi, v31
	v_and_b32_e32 v31, exec_lo, v14
	v_lshlrev_b32_e32 v14, 30, v15
	v_cmp_gt_i64_e32 vcc, 0, v[13:14]
	v_not_b32_e32 v14, v14
	v_ashrrev_i32_e32 v14, 31, v14
	v_xor_b32_e32 v38, vcc_hi, v14
	v_xor_b32_e32 v14, vcc_lo, v14
	v_and_b32_e32 v31, v31, v14
	v_lshlrev_b32_e32 v14, 29, v15
	v_cmp_gt_i64_e32 vcc, 0, v[13:14]
	v_not_b32_e32 v14, v14
	v_and_b32_e32 v16, exec_hi, v16
	v_ashrrev_i32_e32 v14, 31, v14
	v_and_b32_e32 v16, v16, v38
	v_xor_b32_e32 v38, vcc_hi, v14
	v_xor_b32_e32 v14, vcc_lo, v14
	v_and_b32_e32 v31, v31, v14
	v_lshlrev_b32_e32 v14, 28, v15
	v_cmp_gt_i64_e32 vcc, 0, v[13:14]
	v_not_b32_e32 v14, v14
	v_ashrrev_i32_e32 v14, 31, v14
	v_and_b32_e32 v16, v16, v38
	v_xor_b32_e32 v38, vcc_hi, v14
	v_xor_b32_e32 v14, vcc_lo, v14
	v_and_b32_e32 v31, v31, v14
	v_lshlrev_b32_e32 v14, 27, v15
	v_cmp_gt_i64_e32 vcc, 0, v[13:14]
	v_not_b32_e32 v14, v14
	;; [unrolled: 8-line block ×5, first 2 shown]
	v_ashrrev_i32_e32 v13, 31, v13
	v_xor_b32_e32 v14, vcc_hi, v13
	v_xor_b32_e32 v13, vcc_lo, v13
	ds_read_b32 v36, v39 offset:32
	v_and_b32_e32 v16, v16, v38
	v_and_b32_e32 v13, v31, v13
	;; [unrolled: 1-line block ×3, first 2 shown]
	v_mbcnt_lo_u32_b32 v15, v13, 0
	v_mbcnt_hi_u32_b32 v38, v14, v15
	v_cmp_ne_u64_e32 vcc, 0, v[13:14]
	v_cmp_eq_u32_e64 s[4:5], 0, v38
	s_and_b64 s[6:7], vcc, s[4:5]
	; wave barrier
	s_and_saveexec_b64 s[4:5], s[6:7]
	s_cbranch_execz .LBB1619_89
; %bb.88:
	v_bcnt_u32_b32 v13, v13, 0
	v_bcnt_u32_b32 v13, v14, v13
	s_waitcnt lgkmcnt(0)
	v_add_u32_e32 v13, v36, v13
	ds_write_b32 v39, v13 offset:32
.LBB1619_89:
	s_or_b64 exec, exec, s[4:5]
	; wave barrier
	s_waitcnt lgkmcnt(0)
	s_barrier
	ds_read2_b32 v[15:16], v24 offset0:8 offset1:9
	ds_read2_b32 v[13:14], v24 offset0:10 offset1:11
	ds_read_b32 v31, v24 offset:48
	v_min_u32_e32 v18, 0x1c0, v18
	v_or_b32_e32 v18, 63, v18
	s_waitcnt lgkmcnt(1)
	v_add3_u32 v40, v16, v15, v13
	s_waitcnt lgkmcnt(0)
	v_add3_u32 v31, v40, v14, v31
	v_and_b32_e32 v40, 15, v17
	v_cmp_ne_u32_e32 vcc, 0, v40
	v_mov_b32_dpp v41, v31 row_shr:1 row_mask:0xf bank_mask:0xf
	v_cndmask_b32_e32 v41, 0, v41, vcc
	v_add_u32_e32 v31, v41, v31
	v_cmp_lt_u32_e32 vcc, 1, v40
	s_nop 0
	v_mov_b32_dpp v41, v31 row_shr:2 row_mask:0xf bank_mask:0xf
	v_cndmask_b32_e32 v41, 0, v41, vcc
	v_add_u32_e32 v31, v31, v41
	v_cmp_lt_u32_e32 vcc, 3, v40
	s_nop 0
	;; [unrolled: 5-line block ×3, first 2 shown]
	v_mov_b32_dpp v41, v31 row_shr:8 row_mask:0xf bank_mask:0xf
	v_cndmask_b32_e32 v40, 0, v41, vcc
	v_add_u32_e32 v31, v31, v40
	v_bfe_i32 v41, v17, 4, 1
	v_cmp_lt_u32_e32 vcc, 31, v17
	v_mov_b32_dpp v40, v31 row_bcast:15 row_mask:0xf bank_mask:0xf
	v_and_b32_e32 v40, v41, v40
	v_add_u32_e32 v31, v31, v40
	v_lshrrev_b32_e32 v41, 6, v0
	s_nop 0
	v_mov_b32_dpp v40, v31 row_bcast:31 row_mask:0xf bank_mask:0xf
	v_cndmask_b32_e32 v40, 0, v40, vcc
	v_add_u32_e32 v40, v31, v40
	v_cmp_eq_u32_e32 vcc, v0, v18
	s_and_saveexec_b64 s[4:5], vcc
; %bb.90:
	v_lshlrev_b32_e32 v18, 2, v41
	ds_write_b32 v18, v40
; %bb.91:
	s_or_b64 exec, exec, s[4:5]
	v_cmp_gt_u32_e32 vcc, 8, v0
	v_lshlrev_b32_e32 v31, 2, v0
	s_waitcnt lgkmcnt(0)
	s_barrier
	s_and_saveexec_b64 s[4:5], vcc
	s_cbranch_execz .LBB1619_93
; %bb.92:
	ds_read_b32 v18, v31
	v_and_b32_e32 v42, 7, v17
	v_cmp_ne_u32_e32 vcc, 0, v42
	s_waitcnt lgkmcnt(0)
	v_mov_b32_dpp v43, v18 row_shr:1 row_mask:0xf bank_mask:0xf
	v_cndmask_b32_e32 v43, 0, v43, vcc
	v_add_u32_e32 v18, v43, v18
	v_cmp_lt_u32_e32 vcc, 1, v42
	s_nop 0
	v_mov_b32_dpp v43, v18 row_shr:2 row_mask:0xf bank_mask:0xf
	v_cndmask_b32_e32 v43, 0, v43, vcc
	v_add_u32_e32 v18, v18, v43
	v_cmp_lt_u32_e32 vcc, 3, v42
	s_nop 0
	v_mov_b32_dpp v43, v18 row_shr:4 row_mask:0xf bank_mask:0xf
	v_cndmask_b32_e32 v42, 0, v43, vcc
	v_add_u32_e32 v18, v18, v42
	ds_write_b32 v31, v18
.LBB1619_93:
	s_or_b64 exec, exec, s[4:5]
	v_cmp_lt_u32_e32 vcc, 63, v0
	v_mov_b32_e32 v18, 0
	s_waitcnt lgkmcnt(0)
	s_barrier
	s_and_saveexec_b64 s[4:5], vcc
; %bb.94:
	v_lshl_add_u32 v18, v41, 2, -4
	ds_read_b32 v18, v18
; %bb.95:
	s_or_b64 exec, exec, s[4:5]
	v_subrev_co_u32_e32 v41, vcc, 1, v17
	v_and_b32_e32 v42, 64, v17
	v_cmp_lt_i32_e64 s[4:5], v41, v42
	v_cndmask_b32_e64 v17, v41, v17, s[4:5]
	s_waitcnt lgkmcnt(0)
	v_add_u32_e32 v40, v18, v40
	v_lshlrev_b32_e32 v17, 2, v17
	ds_bpermute_b32 v17, v17, v40
	s_movk_i32 s4, 0xff
	s_movk_i32 s6, 0x100
	s_waitcnt lgkmcnt(0)
	v_cndmask_b32_e32 v17, v17, v18, vcc
	v_cndmask_b32_e64 v17, v17, 0, s[22:23]
	v_add_u32_e32 v15, v17, v15
	v_add_u32_e32 v16, v15, v16
	;; [unrolled: 1-line block ×4, first 2 shown]
	ds_write2_b32 v24, v17, v15 offset0:8 offset1:9
	ds_write2_b32 v24, v16, v13 offset0:10 offset1:11
	ds_write_b32 v24, v14 offset:48
	s_waitcnt lgkmcnt(0)
	s_barrier
	ds_read_b32 v40, v25 offset:32
	ds_read_b32 v27, v27 offset:32
	;; [unrolled: 1-line block ×6, first 2 shown]
	v_cmp_lt_u32_e32 vcc, s4, v0
	v_cmp_gt_u32_e64 s[4:5], s6, v0
                                        ; implicit-def: $vgpr24
                                        ; implicit-def: $vgpr25
	s_and_saveexec_b64 s[8:9], s[4:5]
	s_cbranch_execz .LBB1619_99
; %bb.96:
	v_mul_u32_u24_e32 v13, 36, v0
	ds_read_b32 v24, v13 offset:32
	v_add_u32_e32 v14, 1, v0
	v_cmp_ne_u32_e64 s[6:7], s6, v14
	v_mov_b32_e32 v13, 0xc00
	s_and_saveexec_b64 s[12:13], s[6:7]
; %bb.97:
	v_mul_u32_u24_e32 v13, 36, v14
	ds_read_b32 v13, v13 offset:32
; %bb.98:
	s_or_b64 exec, exec, s[12:13]
	s_waitcnt lgkmcnt(0)
	v_sub_u32_e32 v25, v13, v24
.LBB1619_99:
	s_or_b64 exec, exec, s[8:9]
	v_mov_b32_e32 v14, 0
	s_waitcnt lgkmcnt(0)
	s_barrier
	s_and_saveexec_b64 s[6:7], s[4:5]
	s_cbranch_execz .LBB1619_109
; %bb.100:
	v_lshl_add_u32 v13, s33, 8, v0
	v_lshlrev_b64 v[15:16], 2, v[13:14]
	v_mov_b32_e32 v41, s27
	v_add_co_u32_e64 v15, s[4:5], s26, v15
	v_addc_co_u32_e64 v16, s[4:5], v41, v16, s[4:5]
	v_or_b32_e32 v13, 2.0, v25
	s_mov_b64 s[8:9], 0
	s_brev_b32 s18, -4
	s_mov_b32 s19, s33
	v_mov_b32_e32 v42, 0
	global_store_dword v[15:16], v13, off
                                        ; implicit-def: $sgpr4_sgpr5
	s_branch .LBB1619_103
.LBB1619_101:                           ;   in Loop: Header=BB1619_103 Depth=1
	s_or_b64 exec, exec, s[14:15]
.LBB1619_102:                           ;   in Loop: Header=BB1619_103 Depth=1
	s_or_b64 exec, exec, s[12:13]
	v_and_b32_e32 v17, 0x3fffffff, v13
	v_add_u32_e32 v42, v17, v42
	v_cmp_gt_i32_e64 s[4:5], -2.0, v13
	s_and_b64 s[12:13], exec, s[4:5]
	s_or_b64 s[8:9], s[12:13], s[8:9]
	s_andn2_b64 exec, exec, s[8:9]
	s_cbranch_execz .LBB1619_108
.LBB1619_103:                           ; =>This Loop Header: Depth=1
                                        ;     Child Loop BB1619_106 Depth 2
	s_or_b64 s[4:5], s[4:5], exec
	s_cmp_eq_u32 s19, 0
	s_cbranch_scc1 .LBB1619_107
; %bb.104:                              ;   in Loop: Header=BB1619_103 Depth=1
	s_add_i32 s19, s19, -1
	v_lshl_or_b32 v13, s19, 8, v0
	v_lshlrev_b64 v[17:18], 2, v[13:14]
	v_add_co_u32_e64 v17, s[4:5], s26, v17
	v_addc_co_u32_e64 v18, s[4:5], v41, v18, s[4:5]
	global_load_dword v13, v[17:18], off glc
	s_waitcnt vmcnt(0)
	v_cmp_gt_u32_e64 s[4:5], 2.0, v13
	s_and_saveexec_b64 s[12:13], s[4:5]
	s_cbranch_execz .LBB1619_102
; %bb.105:                              ;   in Loop: Header=BB1619_103 Depth=1
	s_mov_b64 s[14:15], 0
.LBB1619_106:                           ;   Parent Loop BB1619_103 Depth=1
                                        ; =>  This Inner Loop Header: Depth=2
	global_load_dword v13, v[17:18], off glc
	s_waitcnt vmcnt(0)
	v_cmp_lt_u32_e64 s[4:5], s18, v13
	s_or_b64 s[14:15], s[4:5], s[14:15]
	s_andn2_b64 exec, exec, s[14:15]
	s_cbranch_execnz .LBB1619_106
	s_branch .LBB1619_101
.LBB1619_107:                           ;   in Loop: Header=BB1619_103 Depth=1
                                        ; implicit-def: $sgpr19
	s_and_b64 s[12:13], exec, s[4:5]
	s_or_b64 s[8:9], s[12:13], s[8:9]
	s_andn2_b64 exec, exec, s[8:9]
	s_cbranch_execnz .LBB1619_103
.LBB1619_108:
	s_or_b64 exec, exec, s[8:9]
	v_add_u32_e32 v13, v42, v25
	v_or_b32_e32 v13, 0x80000000, v13
	global_store_dword v[15:16], v13, off
	global_load_dword v13, v31, s[28:29]
	v_sub_u32_e32 v14, v42, v24
	s_waitcnt vmcnt(0)
	v_add_u32_e32 v13, v14, v13
	ds_write_b32 v31, v13
.LBB1619_109:
	s_or_b64 exec, exec, s[6:7]
	s_mov_b32 s12, -1
	v_add_u32_e32 v15, v40, v21
	v_add3_u32 v16, v38, v39, v36
	v_add3_u32 v17, v35, v37, v33
	;; [unrolled: 1-line block ×5, first 2 shown]
	s_mov_b32 s14, 0
	s_mov_b32 s15, 0
	v_add_u32_e32 v23, v31, v31
	s_brev_b32 s13, -2
	v_bfrev_b32_e32 v26, 1
	v_mov_b32_e32 v14, 0
	v_mov_b32_e32 v27, s39
	s_movk_i32 s18, 0x200
	v_mov_b32_e32 v28, v0
.LBB1619_110:                           ; =>This Inner Loop Header: Depth=1
	v_add_u32_e32 v13, s15, v15
	v_add_u32_e32 v32, s15, v18
	;; [unrolled: 1-line block ×6, first 2 shown]
	v_min_u32_e32 v13, 0x400, v13
	v_min_u32_e32 v32, 0x400, v32
	;; [unrolled: 1-line block ×6, first 2 shown]
	v_lshlrev_b32_e32 v13, 3, v13
	v_lshlrev_b32_e32 v32, 3, v32
	;; [unrolled: 1-line block ×6, first 2 shown]
	ds_write_b64 v13, v[3:4] offset:1024
	ds_write_b64 v29, v[1:2] offset:1024
	;; [unrolled: 1-line block ×6, first 2 shown]
	s_waitcnt lgkmcnt(0)
	s_barrier
	ds_read2st64_b64 v[32:35], v23 offset0:2 offset1:10
	v_mov_b32_e32 v39, s14
	s_addk_i32 s15, 0xfc00
	s_add_i32 s14, s14, 8
	s_cmpk_lg_i32 s15, 0xf400
	s_waitcnt lgkmcnt(0)
	v_cmp_lt_i64_e64 s[6:7], -1, v[32:33]
	v_cmp_lt_i64_e64 s[8:9], -1, v[34:35]
	v_cmp_ne_u64_e64 s[4:5], s[12:13], v[32:33]
	v_cndmask_b32_e64 v13, v26, -1, s[6:7]
	v_cmp_ne_u64_e64 s[6:7], s[12:13], v[34:35]
	v_ashrrev_i32_e32 v29, 31, v33
	v_cndmask_b32_e64 v37, v26, -1, s[8:9]
	v_ashrrev_i32_e32 v38, 31, v35
	v_cndmask_b32_e64 v30, v26, v33, s[4:5]
	v_cndmask_b32_e64 v36, v26, v35, s[6:7]
	v_not_b32_e32 v40, v29
	v_xor_b32_e32 v33, v13, v33
	v_not_b32_e32 v13, v38
	v_xor_b32_e32 v38, v37, v35
	v_cndmask_b32_e64 v29, 0, v32, s[4:5]
	v_cndmask_b32_e64 v35, 0, v34, s[6:7]
	v_xor_b32_e32 v37, v13, v34
	v_lshrrev_b64 v[29:30], s44, v[29:30]
	v_lshrrev_b64 v[34:35], s44, v[35:36]
	v_and_b32_e32 v13, s17, v29
	v_and_b32_e32 v29, s17, v34
	v_lshlrev_b32_e32 v30, 2, v13
	buffer_store_dword v13, v39, s[0:3], 0 offen
	buffer_store_dword v29, v39, s[0:3], 0 offen offset:4
	v_lshlrev_b32_e32 v13, 2, v29
	ds_read_b32 v29, v30
	ds_read_b32 v34, v13
	v_xor_b32_e32 v32, v40, v32
	s_waitcnt lgkmcnt(1)
	v_add_u32_e32 v13, v28, v29
	v_lshlrev_b64 v[29:30], 3, v[13:14]
	s_waitcnt lgkmcnt(0)
	v_add3_u32 v13, v28, v34, s18
	v_lshlrev_b64 v[34:35], 3, v[13:14]
	v_add_co_u32_e64 v29, s[4:5], s38, v29
	v_addc_co_u32_e64 v30, s[4:5], v27, v30, s[4:5]
	global_store_dwordx2 v[29:30], v[32:33], off
	v_add_co_u32_e64 v29, s[4:5], s38, v34
	v_add_u32_e32 v28, 0x400, v28
	v_addc_co_u32_e64 v30, s[4:5], v27, v35, s[4:5]
	global_store_dwordx2 v[29:30], v[37:38], off
	s_waitcnt vmcnt(0)
	s_barrier
	s_cbranch_scc1 .LBB1619_110
; %bb.111:
	s_add_u32 s4, s40, s10
	s_addc_u32 s5, s41, s11
	v_mov_b32_e32 v1, s5
	v_add_co_u32_e64 v2, s[4:5], s4, v19
	v_addc_co_u32_e64 v1, s[4:5], 0, v1, s[4:5]
	v_add_co_u32_e64 v13, s[4:5], v2, v20
	v_addc_co_u32_e64 v14, s[4:5], 0, v1, s[4:5]
	global_load_dwordx2 v[1:2], v[13:14], off
	global_load_dwordx2 v[3:4], v[13:14], off offset:512
	global_load_dwordx2 v[5:6], v[13:14], off offset:1024
	;; [unrolled: 1-line block ×5, first 2 shown]
	v_mov_b32_e32 v14, 0
	s_mov_b32 s6, 0
	s_mov_b32 s7, 0
	v_mov_b32_e32 v19, s43
	s_movk_i32 s8, 0x200
.LBB1619_112:                           ; =>This Inner Loop Header: Depth=1
	v_add_u32_e32 v13, s7, v15
	v_add_u32_e32 v20, s7, v22
	;; [unrolled: 1-line block ×6, first 2 shown]
	v_min_u32_e32 v13, 0x400, v13
	v_min_u32_e32 v20, 0x400, v20
	v_mov_b32_e32 v30, s6
	v_min_u32_e32 v26, 0x400, v26
	v_min_u32_e32 v27, 0x400, v27
	;; [unrolled: 1-line block ×4, first 2 shown]
	v_lshlrev_b32_e32 v13, 3, v13
	v_lshlrev_b32_e32 v20, 3, v20
	;; [unrolled: 1-line block ×6, first 2 shown]
	s_waitcnt vmcnt(5)
	ds_write_b64 v13, v[1:2] offset:1024
	s_waitcnt vmcnt(4)
	ds_write_b64 v20, v[3:4] offset:1024
	;; [unrolled: 2-line block ×6, first 2 shown]
	s_waitcnt lgkmcnt(0)
	s_barrier
	buffer_load_dword v13, v30, s[0:3], 0 offen
	buffer_load_dword v20, v30, s[0:3], 0 offen offset:4
	ds_read2st64_b64 v[26:29], v23 offset0:2 offset1:10
	s_addk_i32 s7, 0xfc00
	s_add_i32 s6, s6, 8
	s_cmpk_lg_i32 s7, 0xf400
	s_waitcnt vmcnt(1)
	v_lshlrev_b32_e32 v13, 2, v13
	s_waitcnt vmcnt(0)
	v_lshlrev_b32_e32 v20, 2, v20
	ds_read_b32 v13, v13
	ds_read_b32 v20, v20
	s_waitcnt lgkmcnt(1)
	v_add_u32_e32 v13, v0, v13
	v_lshlrev_b64 v[32:33], 3, v[13:14]
	s_waitcnt lgkmcnt(0)
	v_add3_u32 v13, v0, v20, s8
	v_lshlrev_b64 v[34:35], 3, v[13:14]
	v_add_co_u32_e64 v32, s[4:5], s42, v32
	v_addc_co_u32_e64 v33, s[4:5], v19, v33, s[4:5]
	global_store_dwordx2 v[32:33], v[26:27], off
	v_add_co_u32_e64 v26, s[4:5], s42, v34
	v_add_u32_e32 v0, 0x400, v0
	v_addc_co_u32_e64 v27, s[4:5], v19, v35, s[4:5]
	global_store_dwordx2 v[26:27], v[28:29], off
	s_waitcnt vmcnt(0)
	s_barrier
	s_cbranch_scc1 .LBB1619_112
; %bb.113:
	s_add_i32 s16, s16, -1
	s_cmp_eq_u32 s33, s16
	s_cselect_b64 s[4:5], -1, 0
	s_xor_b64 s[6:7], vcc, -1
	s_and_b64 s[4:5], s[6:7], s[4:5]
	s_and_saveexec_b64 s[6:7], s[4:5]
	s_cbranch_execz .LBB1619_115
; %bb.114:
	ds_read_b32 v0, v31
	s_waitcnt lgkmcnt(0)
	v_add3_u32 v0, v24, v25, v0
	global_store_dword v31, v0, s[30:31]
.LBB1619_115:
	s_endpgm
	.section	.rodata,"a",@progbits
	.p2align	6, 0x0
	.amdhsa_kernel _ZN7rocprim17ROCPRIM_400000_NS6detail17trampoline_kernelINS0_14default_configENS1_35radix_sort_onesweep_config_selectorIdlEEZZNS1_29radix_sort_onesweep_iterationIS3_Lb0EPdS7_N6thrust23THRUST_200600_302600_NS10device_ptrIlEESB_jNS0_19identity_decomposerENS1_16block_id_wrapperIjLb1EEEEE10hipError_tT1_PNSt15iterator_traitsISG_E10value_typeET2_T3_PNSH_ISM_E10value_typeET4_T5_PSR_SS_PNS1_23onesweep_lookback_stateEbbT6_jjT7_P12ihipStream_tbENKUlT_T0_SG_SL_E_clIS7_S7_SB_SB_EEDaSZ_S10_SG_SL_EUlSZ_E_NS1_11comp_targetILNS1_3genE2ELNS1_11target_archE906ELNS1_3gpuE6ELNS1_3repE0EEENS1_47radix_sort_onesweep_sort_config_static_selectorELNS0_4arch9wavefront6targetE1EEEvSG_
		.amdhsa_group_segment_fixed_size 10280
		.amdhsa_private_segment_fixed_size 32
		.amdhsa_kernarg_size 344
		.amdhsa_user_sgpr_count 6
		.amdhsa_user_sgpr_private_segment_buffer 1
		.amdhsa_user_sgpr_dispatch_ptr 0
		.amdhsa_user_sgpr_queue_ptr 0
		.amdhsa_user_sgpr_kernarg_segment_ptr 1
		.amdhsa_user_sgpr_dispatch_id 0
		.amdhsa_user_sgpr_flat_scratch_init 0
		.amdhsa_user_sgpr_private_segment_size 0
		.amdhsa_uses_dynamic_stack 0
		.amdhsa_system_sgpr_private_segment_wavefront_offset 1
		.amdhsa_system_sgpr_workgroup_id_x 1
		.amdhsa_system_sgpr_workgroup_id_y 0
		.amdhsa_system_sgpr_workgroup_id_z 0
		.amdhsa_system_sgpr_workgroup_info 0
		.amdhsa_system_vgpr_workitem_id 2
		.amdhsa_next_free_vgpr 47
		.amdhsa_next_free_sgpr 57
		.amdhsa_reserve_vcc 1
		.amdhsa_reserve_flat_scratch 0
		.amdhsa_float_round_mode_32 0
		.amdhsa_float_round_mode_16_64 0
		.amdhsa_float_denorm_mode_32 3
		.amdhsa_float_denorm_mode_16_64 3
		.amdhsa_dx10_clamp 1
		.amdhsa_ieee_mode 1
		.amdhsa_fp16_overflow 0
		.amdhsa_exception_fp_ieee_invalid_op 0
		.amdhsa_exception_fp_denorm_src 0
		.amdhsa_exception_fp_ieee_div_zero 0
		.amdhsa_exception_fp_ieee_overflow 0
		.amdhsa_exception_fp_ieee_underflow 0
		.amdhsa_exception_fp_ieee_inexact 0
		.amdhsa_exception_int_div_zero 0
	.end_amdhsa_kernel
	.section	.text._ZN7rocprim17ROCPRIM_400000_NS6detail17trampoline_kernelINS0_14default_configENS1_35radix_sort_onesweep_config_selectorIdlEEZZNS1_29radix_sort_onesweep_iterationIS3_Lb0EPdS7_N6thrust23THRUST_200600_302600_NS10device_ptrIlEESB_jNS0_19identity_decomposerENS1_16block_id_wrapperIjLb1EEEEE10hipError_tT1_PNSt15iterator_traitsISG_E10value_typeET2_T3_PNSH_ISM_E10value_typeET4_T5_PSR_SS_PNS1_23onesweep_lookback_stateEbbT6_jjT7_P12ihipStream_tbENKUlT_T0_SG_SL_E_clIS7_S7_SB_SB_EEDaSZ_S10_SG_SL_EUlSZ_E_NS1_11comp_targetILNS1_3genE2ELNS1_11target_archE906ELNS1_3gpuE6ELNS1_3repE0EEENS1_47radix_sort_onesweep_sort_config_static_selectorELNS0_4arch9wavefront6targetE1EEEvSG_,"axG",@progbits,_ZN7rocprim17ROCPRIM_400000_NS6detail17trampoline_kernelINS0_14default_configENS1_35radix_sort_onesweep_config_selectorIdlEEZZNS1_29radix_sort_onesweep_iterationIS3_Lb0EPdS7_N6thrust23THRUST_200600_302600_NS10device_ptrIlEESB_jNS0_19identity_decomposerENS1_16block_id_wrapperIjLb1EEEEE10hipError_tT1_PNSt15iterator_traitsISG_E10value_typeET2_T3_PNSH_ISM_E10value_typeET4_T5_PSR_SS_PNS1_23onesweep_lookback_stateEbbT6_jjT7_P12ihipStream_tbENKUlT_T0_SG_SL_E_clIS7_S7_SB_SB_EEDaSZ_S10_SG_SL_EUlSZ_E_NS1_11comp_targetILNS1_3genE2ELNS1_11target_archE906ELNS1_3gpuE6ELNS1_3repE0EEENS1_47radix_sort_onesweep_sort_config_static_selectorELNS0_4arch9wavefront6targetE1EEEvSG_,comdat
.Lfunc_end1619:
	.size	_ZN7rocprim17ROCPRIM_400000_NS6detail17trampoline_kernelINS0_14default_configENS1_35radix_sort_onesweep_config_selectorIdlEEZZNS1_29radix_sort_onesweep_iterationIS3_Lb0EPdS7_N6thrust23THRUST_200600_302600_NS10device_ptrIlEESB_jNS0_19identity_decomposerENS1_16block_id_wrapperIjLb1EEEEE10hipError_tT1_PNSt15iterator_traitsISG_E10value_typeET2_T3_PNSH_ISM_E10value_typeET4_T5_PSR_SS_PNS1_23onesweep_lookback_stateEbbT6_jjT7_P12ihipStream_tbENKUlT_T0_SG_SL_E_clIS7_S7_SB_SB_EEDaSZ_S10_SG_SL_EUlSZ_E_NS1_11comp_targetILNS1_3genE2ELNS1_11target_archE906ELNS1_3gpuE6ELNS1_3repE0EEENS1_47radix_sort_onesweep_sort_config_static_selectorELNS0_4arch9wavefront6targetE1EEEvSG_, .Lfunc_end1619-_ZN7rocprim17ROCPRIM_400000_NS6detail17trampoline_kernelINS0_14default_configENS1_35radix_sort_onesweep_config_selectorIdlEEZZNS1_29radix_sort_onesweep_iterationIS3_Lb0EPdS7_N6thrust23THRUST_200600_302600_NS10device_ptrIlEESB_jNS0_19identity_decomposerENS1_16block_id_wrapperIjLb1EEEEE10hipError_tT1_PNSt15iterator_traitsISG_E10value_typeET2_T3_PNSH_ISM_E10value_typeET4_T5_PSR_SS_PNS1_23onesweep_lookback_stateEbbT6_jjT7_P12ihipStream_tbENKUlT_T0_SG_SL_E_clIS7_S7_SB_SB_EEDaSZ_S10_SG_SL_EUlSZ_E_NS1_11comp_targetILNS1_3genE2ELNS1_11target_archE906ELNS1_3gpuE6ELNS1_3repE0EEENS1_47radix_sort_onesweep_sort_config_static_selectorELNS0_4arch9wavefront6targetE1EEEvSG_
                                        ; -- End function
	.set _ZN7rocprim17ROCPRIM_400000_NS6detail17trampoline_kernelINS0_14default_configENS1_35radix_sort_onesweep_config_selectorIdlEEZZNS1_29radix_sort_onesweep_iterationIS3_Lb0EPdS7_N6thrust23THRUST_200600_302600_NS10device_ptrIlEESB_jNS0_19identity_decomposerENS1_16block_id_wrapperIjLb1EEEEE10hipError_tT1_PNSt15iterator_traitsISG_E10value_typeET2_T3_PNSH_ISM_E10value_typeET4_T5_PSR_SS_PNS1_23onesweep_lookback_stateEbbT6_jjT7_P12ihipStream_tbENKUlT_T0_SG_SL_E_clIS7_S7_SB_SB_EEDaSZ_S10_SG_SL_EUlSZ_E_NS1_11comp_targetILNS1_3genE2ELNS1_11target_archE906ELNS1_3gpuE6ELNS1_3repE0EEENS1_47radix_sort_onesweep_sort_config_static_selectorELNS0_4arch9wavefront6targetE1EEEvSG_.num_vgpr, 47
	.set _ZN7rocprim17ROCPRIM_400000_NS6detail17trampoline_kernelINS0_14default_configENS1_35radix_sort_onesweep_config_selectorIdlEEZZNS1_29radix_sort_onesweep_iterationIS3_Lb0EPdS7_N6thrust23THRUST_200600_302600_NS10device_ptrIlEESB_jNS0_19identity_decomposerENS1_16block_id_wrapperIjLb1EEEEE10hipError_tT1_PNSt15iterator_traitsISG_E10value_typeET2_T3_PNSH_ISM_E10value_typeET4_T5_PSR_SS_PNS1_23onesweep_lookback_stateEbbT6_jjT7_P12ihipStream_tbENKUlT_T0_SG_SL_E_clIS7_S7_SB_SB_EEDaSZ_S10_SG_SL_EUlSZ_E_NS1_11comp_targetILNS1_3genE2ELNS1_11target_archE906ELNS1_3gpuE6ELNS1_3repE0EEENS1_47radix_sort_onesweep_sort_config_static_selectorELNS0_4arch9wavefront6targetE1EEEvSG_.num_agpr, 0
	.set _ZN7rocprim17ROCPRIM_400000_NS6detail17trampoline_kernelINS0_14default_configENS1_35radix_sort_onesweep_config_selectorIdlEEZZNS1_29radix_sort_onesweep_iterationIS3_Lb0EPdS7_N6thrust23THRUST_200600_302600_NS10device_ptrIlEESB_jNS0_19identity_decomposerENS1_16block_id_wrapperIjLb1EEEEE10hipError_tT1_PNSt15iterator_traitsISG_E10value_typeET2_T3_PNSH_ISM_E10value_typeET4_T5_PSR_SS_PNS1_23onesweep_lookback_stateEbbT6_jjT7_P12ihipStream_tbENKUlT_T0_SG_SL_E_clIS7_S7_SB_SB_EEDaSZ_S10_SG_SL_EUlSZ_E_NS1_11comp_targetILNS1_3genE2ELNS1_11target_archE906ELNS1_3gpuE6ELNS1_3repE0EEENS1_47radix_sort_onesweep_sort_config_static_selectorELNS0_4arch9wavefront6targetE1EEEvSG_.numbered_sgpr, 57
	.set _ZN7rocprim17ROCPRIM_400000_NS6detail17trampoline_kernelINS0_14default_configENS1_35radix_sort_onesweep_config_selectorIdlEEZZNS1_29radix_sort_onesweep_iterationIS3_Lb0EPdS7_N6thrust23THRUST_200600_302600_NS10device_ptrIlEESB_jNS0_19identity_decomposerENS1_16block_id_wrapperIjLb1EEEEE10hipError_tT1_PNSt15iterator_traitsISG_E10value_typeET2_T3_PNSH_ISM_E10value_typeET4_T5_PSR_SS_PNS1_23onesweep_lookback_stateEbbT6_jjT7_P12ihipStream_tbENKUlT_T0_SG_SL_E_clIS7_S7_SB_SB_EEDaSZ_S10_SG_SL_EUlSZ_E_NS1_11comp_targetILNS1_3genE2ELNS1_11target_archE906ELNS1_3gpuE6ELNS1_3repE0EEENS1_47radix_sort_onesweep_sort_config_static_selectorELNS0_4arch9wavefront6targetE1EEEvSG_.num_named_barrier, 0
	.set _ZN7rocprim17ROCPRIM_400000_NS6detail17trampoline_kernelINS0_14default_configENS1_35radix_sort_onesweep_config_selectorIdlEEZZNS1_29radix_sort_onesweep_iterationIS3_Lb0EPdS7_N6thrust23THRUST_200600_302600_NS10device_ptrIlEESB_jNS0_19identity_decomposerENS1_16block_id_wrapperIjLb1EEEEE10hipError_tT1_PNSt15iterator_traitsISG_E10value_typeET2_T3_PNSH_ISM_E10value_typeET4_T5_PSR_SS_PNS1_23onesweep_lookback_stateEbbT6_jjT7_P12ihipStream_tbENKUlT_T0_SG_SL_E_clIS7_S7_SB_SB_EEDaSZ_S10_SG_SL_EUlSZ_E_NS1_11comp_targetILNS1_3genE2ELNS1_11target_archE906ELNS1_3gpuE6ELNS1_3repE0EEENS1_47radix_sort_onesweep_sort_config_static_selectorELNS0_4arch9wavefront6targetE1EEEvSG_.private_seg_size, 32
	.set _ZN7rocprim17ROCPRIM_400000_NS6detail17trampoline_kernelINS0_14default_configENS1_35radix_sort_onesweep_config_selectorIdlEEZZNS1_29radix_sort_onesweep_iterationIS3_Lb0EPdS7_N6thrust23THRUST_200600_302600_NS10device_ptrIlEESB_jNS0_19identity_decomposerENS1_16block_id_wrapperIjLb1EEEEE10hipError_tT1_PNSt15iterator_traitsISG_E10value_typeET2_T3_PNSH_ISM_E10value_typeET4_T5_PSR_SS_PNS1_23onesweep_lookback_stateEbbT6_jjT7_P12ihipStream_tbENKUlT_T0_SG_SL_E_clIS7_S7_SB_SB_EEDaSZ_S10_SG_SL_EUlSZ_E_NS1_11comp_targetILNS1_3genE2ELNS1_11target_archE906ELNS1_3gpuE6ELNS1_3repE0EEENS1_47radix_sort_onesweep_sort_config_static_selectorELNS0_4arch9wavefront6targetE1EEEvSG_.uses_vcc, 1
	.set _ZN7rocprim17ROCPRIM_400000_NS6detail17trampoline_kernelINS0_14default_configENS1_35radix_sort_onesweep_config_selectorIdlEEZZNS1_29radix_sort_onesweep_iterationIS3_Lb0EPdS7_N6thrust23THRUST_200600_302600_NS10device_ptrIlEESB_jNS0_19identity_decomposerENS1_16block_id_wrapperIjLb1EEEEE10hipError_tT1_PNSt15iterator_traitsISG_E10value_typeET2_T3_PNSH_ISM_E10value_typeET4_T5_PSR_SS_PNS1_23onesweep_lookback_stateEbbT6_jjT7_P12ihipStream_tbENKUlT_T0_SG_SL_E_clIS7_S7_SB_SB_EEDaSZ_S10_SG_SL_EUlSZ_E_NS1_11comp_targetILNS1_3genE2ELNS1_11target_archE906ELNS1_3gpuE6ELNS1_3repE0EEENS1_47radix_sort_onesweep_sort_config_static_selectorELNS0_4arch9wavefront6targetE1EEEvSG_.uses_flat_scratch, 0
	.set _ZN7rocprim17ROCPRIM_400000_NS6detail17trampoline_kernelINS0_14default_configENS1_35radix_sort_onesweep_config_selectorIdlEEZZNS1_29radix_sort_onesweep_iterationIS3_Lb0EPdS7_N6thrust23THRUST_200600_302600_NS10device_ptrIlEESB_jNS0_19identity_decomposerENS1_16block_id_wrapperIjLb1EEEEE10hipError_tT1_PNSt15iterator_traitsISG_E10value_typeET2_T3_PNSH_ISM_E10value_typeET4_T5_PSR_SS_PNS1_23onesweep_lookback_stateEbbT6_jjT7_P12ihipStream_tbENKUlT_T0_SG_SL_E_clIS7_S7_SB_SB_EEDaSZ_S10_SG_SL_EUlSZ_E_NS1_11comp_targetILNS1_3genE2ELNS1_11target_archE906ELNS1_3gpuE6ELNS1_3repE0EEENS1_47radix_sort_onesweep_sort_config_static_selectorELNS0_4arch9wavefront6targetE1EEEvSG_.has_dyn_sized_stack, 0
	.set _ZN7rocprim17ROCPRIM_400000_NS6detail17trampoline_kernelINS0_14default_configENS1_35radix_sort_onesweep_config_selectorIdlEEZZNS1_29radix_sort_onesweep_iterationIS3_Lb0EPdS7_N6thrust23THRUST_200600_302600_NS10device_ptrIlEESB_jNS0_19identity_decomposerENS1_16block_id_wrapperIjLb1EEEEE10hipError_tT1_PNSt15iterator_traitsISG_E10value_typeET2_T3_PNSH_ISM_E10value_typeET4_T5_PSR_SS_PNS1_23onesweep_lookback_stateEbbT6_jjT7_P12ihipStream_tbENKUlT_T0_SG_SL_E_clIS7_S7_SB_SB_EEDaSZ_S10_SG_SL_EUlSZ_E_NS1_11comp_targetILNS1_3genE2ELNS1_11target_archE906ELNS1_3gpuE6ELNS1_3repE0EEENS1_47radix_sort_onesweep_sort_config_static_selectorELNS0_4arch9wavefront6targetE1EEEvSG_.has_recursion, 0
	.set _ZN7rocprim17ROCPRIM_400000_NS6detail17trampoline_kernelINS0_14default_configENS1_35radix_sort_onesweep_config_selectorIdlEEZZNS1_29radix_sort_onesweep_iterationIS3_Lb0EPdS7_N6thrust23THRUST_200600_302600_NS10device_ptrIlEESB_jNS0_19identity_decomposerENS1_16block_id_wrapperIjLb1EEEEE10hipError_tT1_PNSt15iterator_traitsISG_E10value_typeET2_T3_PNSH_ISM_E10value_typeET4_T5_PSR_SS_PNS1_23onesweep_lookback_stateEbbT6_jjT7_P12ihipStream_tbENKUlT_T0_SG_SL_E_clIS7_S7_SB_SB_EEDaSZ_S10_SG_SL_EUlSZ_E_NS1_11comp_targetILNS1_3genE2ELNS1_11target_archE906ELNS1_3gpuE6ELNS1_3repE0EEENS1_47radix_sort_onesweep_sort_config_static_selectorELNS0_4arch9wavefront6targetE1EEEvSG_.has_indirect_call, 0
	.section	.AMDGPU.csdata,"",@progbits
; Kernel info:
; codeLenInByte = 10636
; TotalNumSgprs: 61
; NumVgprs: 47
; ScratchSize: 32
; MemoryBound: 0
; FloatMode: 240
; IeeeMode: 1
; LDSByteSize: 10280 bytes/workgroup (compile time only)
; SGPRBlocks: 7
; VGPRBlocks: 11
; NumSGPRsForWavesPerEU: 61
; NumVGPRsForWavesPerEU: 47
; Occupancy: 5
; WaveLimiterHint : 1
; COMPUTE_PGM_RSRC2:SCRATCH_EN: 1
; COMPUTE_PGM_RSRC2:USER_SGPR: 6
; COMPUTE_PGM_RSRC2:TRAP_HANDLER: 0
; COMPUTE_PGM_RSRC2:TGID_X_EN: 1
; COMPUTE_PGM_RSRC2:TGID_Y_EN: 0
; COMPUTE_PGM_RSRC2:TGID_Z_EN: 0
; COMPUTE_PGM_RSRC2:TIDIG_COMP_CNT: 2
	.section	.text._ZN7rocprim17ROCPRIM_400000_NS6detail17trampoline_kernelINS0_14default_configENS1_35radix_sort_onesweep_config_selectorIdlEEZZNS1_29radix_sort_onesweep_iterationIS3_Lb0EPdS7_N6thrust23THRUST_200600_302600_NS10device_ptrIlEESB_jNS0_19identity_decomposerENS1_16block_id_wrapperIjLb1EEEEE10hipError_tT1_PNSt15iterator_traitsISG_E10value_typeET2_T3_PNSH_ISM_E10value_typeET4_T5_PSR_SS_PNS1_23onesweep_lookback_stateEbbT6_jjT7_P12ihipStream_tbENKUlT_T0_SG_SL_E_clIS7_S7_SB_SB_EEDaSZ_S10_SG_SL_EUlSZ_E_NS1_11comp_targetILNS1_3genE4ELNS1_11target_archE910ELNS1_3gpuE8ELNS1_3repE0EEENS1_47radix_sort_onesweep_sort_config_static_selectorELNS0_4arch9wavefront6targetE1EEEvSG_,"axG",@progbits,_ZN7rocprim17ROCPRIM_400000_NS6detail17trampoline_kernelINS0_14default_configENS1_35radix_sort_onesweep_config_selectorIdlEEZZNS1_29radix_sort_onesweep_iterationIS3_Lb0EPdS7_N6thrust23THRUST_200600_302600_NS10device_ptrIlEESB_jNS0_19identity_decomposerENS1_16block_id_wrapperIjLb1EEEEE10hipError_tT1_PNSt15iterator_traitsISG_E10value_typeET2_T3_PNSH_ISM_E10value_typeET4_T5_PSR_SS_PNS1_23onesweep_lookback_stateEbbT6_jjT7_P12ihipStream_tbENKUlT_T0_SG_SL_E_clIS7_S7_SB_SB_EEDaSZ_S10_SG_SL_EUlSZ_E_NS1_11comp_targetILNS1_3genE4ELNS1_11target_archE910ELNS1_3gpuE8ELNS1_3repE0EEENS1_47radix_sort_onesweep_sort_config_static_selectorELNS0_4arch9wavefront6targetE1EEEvSG_,comdat
	.protected	_ZN7rocprim17ROCPRIM_400000_NS6detail17trampoline_kernelINS0_14default_configENS1_35radix_sort_onesweep_config_selectorIdlEEZZNS1_29radix_sort_onesweep_iterationIS3_Lb0EPdS7_N6thrust23THRUST_200600_302600_NS10device_ptrIlEESB_jNS0_19identity_decomposerENS1_16block_id_wrapperIjLb1EEEEE10hipError_tT1_PNSt15iterator_traitsISG_E10value_typeET2_T3_PNSH_ISM_E10value_typeET4_T5_PSR_SS_PNS1_23onesweep_lookback_stateEbbT6_jjT7_P12ihipStream_tbENKUlT_T0_SG_SL_E_clIS7_S7_SB_SB_EEDaSZ_S10_SG_SL_EUlSZ_E_NS1_11comp_targetILNS1_3genE4ELNS1_11target_archE910ELNS1_3gpuE8ELNS1_3repE0EEENS1_47radix_sort_onesweep_sort_config_static_selectorELNS0_4arch9wavefront6targetE1EEEvSG_ ; -- Begin function _ZN7rocprim17ROCPRIM_400000_NS6detail17trampoline_kernelINS0_14default_configENS1_35radix_sort_onesweep_config_selectorIdlEEZZNS1_29radix_sort_onesweep_iterationIS3_Lb0EPdS7_N6thrust23THRUST_200600_302600_NS10device_ptrIlEESB_jNS0_19identity_decomposerENS1_16block_id_wrapperIjLb1EEEEE10hipError_tT1_PNSt15iterator_traitsISG_E10value_typeET2_T3_PNSH_ISM_E10value_typeET4_T5_PSR_SS_PNS1_23onesweep_lookback_stateEbbT6_jjT7_P12ihipStream_tbENKUlT_T0_SG_SL_E_clIS7_S7_SB_SB_EEDaSZ_S10_SG_SL_EUlSZ_E_NS1_11comp_targetILNS1_3genE4ELNS1_11target_archE910ELNS1_3gpuE8ELNS1_3repE0EEENS1_47radix_sort_onesweep_sort_config_static_selectorELNS0_4arch9wavefront6targetE1EEEvSG_
	.globl	_ZN7rocprim17ROCPRIM_400000_NS6detail17trampoline_kernelINS0_14default_configENS1_35radix_sort_onesweep_config_selectorIdlEEZZNS1_29radix_sort_onesweep_iterationIS3_Lb0EPdS7_N6thrust23THRUST_200600_302600_NS10device_ptrIlEESB_jNS0_19identity_decomposerENS1_16block_id_wrapperIjLb1EEEEE10hipError_tT1_PNSt15iterator_traitsISG_E10value_typeET2_T3_PNSH_ISM_E10value_typeET4_T5_PSR_SS_PNS1_23onesweep_lookback_stateEbbT6_jjT7_P12ihipStream_tbENKUlT_T0_SG_SL_E_clIS7_S7_SB_SB_EEDaSZ_S10_SG_SL_EUlSZ_E_NS1_11comp_targetILNS1_3genE4ELNS1_11target_archE910ELNS1_3gpuE8ELNS1_3repE0EEENS1_47radix_sort_onesweep_sort_config_static_selectorELNS0_4arch9wavefront6targetE1EEEvSG_
	.p2align	8
	.type	_ZN7rocprim17ROCPRIM_400000_NS6detail17trampoline_kernelINS0_14default_configENS1_35radix_sort_onesweep_config_selectorIdlEEZZNS1_29radix_sort_onesweep_iterationIS3_Lb0EPdS7_N6thrust23THRUST_200600_302600_NS10device_ptrIlEESB_jNS0_19identity_decomposerENS1_16block_id_wrapperIjLb1EEEEE10hipError_tT1_PNSt15iterator_traitsISG_E10value_typeET2_T3_PNSH_ISM_E10value_typeET4_T5_PSR_SS_PNS1_23onesweep_lookback_stateEbbT6_jjT7_P12ihipStream_tbENKUlT_T0_SG_SL_E_clIS7_S7_SB_SB_EEDaSZ_S10_SG_SL_EUlSZ_E_NS1_11comp_targetILNS1_3genE4ELNS1_11target_archE910ELNS1_3gpuE8ELNS1_3repE0EEENS1_47radix_sort_onesweep_sort_config_static_selectorELNS0_4arch9wavefront6targetE1EEEvSG_,@function
_ZN7rocprim17ROCPRIM_400000_NS6detail17trampoline_kernelINS0_14default_configENS1_35radix_sort_onesweep_config_selectorIdlEEZZNS1_29radix_sort_onesweep_iterationIS3_Lb0EPdS7_N6thrust23THRUST_200600_302600_NS10device_ptrIlEESB_jNS0_19identity_decomposerENS1_16block_id_wrapperIjLb1EEEEE10hipError_tT1_PNSt15iterator_traitsISG_E10value_typeET2_T3_PNSH_ISM_E10value_typeET4_T5_PSR_SS_PNS1_23onesweep_lookback_stateEbbT6_jjT7_P12ihipStream_tbENKUlT_T0_SG_SL_E_clIS7_S7_SB_SB_EEDaSZ_S10_SG_SL_EUlSZ_E_NS1_11comp_targetILNS1_3genE4ELNS1_11target_archE910ELNS1_3gpuE8ELNS1_3repE0EEENS1_47radix_sort_onesweep_sort_config_static_selectorELNS0_4arch9wavefront6targetE1EEEvSG_: ; @_ZN7rocprim17ROCPRIM_400000_NS6detail17trampoline_kernelINS0_14default_configENS1_35radix_sort_onesweep_config_selectorIdlEEZZNS1_29radix_sort_onesweep_iterationIS3_Lb0EPdS7_N6thrust23THRUST_200600_302600_NS10device_ptrIlEESB_jNS0_19identity_decomposerENS1_16block_id_wrapperIjLb1EEEEE10hipError_tT1_PNSt15iterator_traitsISG_E10value_typeET2_T3_PNSH_ISM_E10value_typeET4_T5_PSR_SS_PNS1_23onesweep_lookback_stateEbbT6_jjT7_P12ihipStream_tbENKUlT_T0_SG_SL_E_clIS7_S7_SB_SB_EEDaSZ_S10_SG_SL_EUlSZ_E_NS1_11comp_targetILNS1_3genE4ELNS1_11target_archE910ELNS1_3gpuE8ELNS1_3repE0EEENS1_47radix_sort_onesweep_sort_config_static_selectorELNS0_4arch9wavefront6targetE1EEEvSG_
; %bb.0:
	.section	.rodata,"a",@progbits
	.p2align	6, 0x0
	.amdhsa_kernel _ZN7rocprim17ROCPRIM_400000_NS6detail17trampoline_kernelINS0_14default_configENS1_35radix_sort_onesweep_config_selectorIdlEEZZNS1_29radix_sort_onesweep_iterationIS3_Lb0EPdS7_N6thrust23THRUST_200600_302600_NS10device_ptrIlEESB_jNS0_19identity_decomposerENS1_16block_id_wrapperIjLb1EEEEE10hipError_tT1_PNSt15iterator_traitsISG_E10value_typeET2_T3_PNSH_ISM_E10value_typeET4_T5_PSR_SS_PNS1_23onesweep_lookback_stateEbbT6_jjT7_P12ihipStream_tbENKUlT_T0_SG_SL_E_clIS7_S7_SB_SB_EEDaSZ_S10_SG_SL_EUlSZ_E_NS1_11comp_targetILNS1_3genE4ELNS1_11target_archE910ELNS1_3gpuE8ELNS1_3repE0EEENS1_47radix_sort_onesweep_sort_config_static_selectorELNS0_4arch9wavefront6targetE1EEEvSG_
		.amdhsa_group_segment_fixed_size 0
		.amdhsa_private_segment_fixed_size 0
		.amdhsa_kernarg_size 88
		.amdhsa_user_sgpr_count 6
		.amdhsa_user_sgpr_private_segment_buffer 1
		.amdhsa_user_sgpr_dispatch_ptr 0
		.amdhsa_user_sgpr_queue_ptr 0
		.amdhsa_user_sgpr_kernarg_segment_ptr 1
		.amdhsa_user_sgpr_dispatch_id 0
		.amdhsa_user_sgpr_flat_scratch_init 0
		.amdhsa_user_sgpr_private_segment_size 0
		.amdhsa_uses_dynamic_stack 0
		.amdhsa_system_sgpr_private_segment_wavefront_offset 0
		.amdhsa_system_sgpr_workgroup_id_x 1
		.amdhsa_system_sgpr_workgroup_id_y 0
		.amdhsa_system_sgpr_workgroup_id_z 0
		.amdhsa_system_sgpr_workgroup_info 0
		.amdhsa_system_vgpr_workitem_id 0
		.amdhsa_next_free_vgpr 1
		.amdhsa_next_free_sgpr 0
		.amdhsa_reserve_vcc 0
		.amdhsa_reserve_flat_scratch 0
		.amdhsa_float_round_mode_32 0
		.amdhsa_float_round_mode_16_64 0
		.amdhsa_float_denorm_mode_32 3
		.amdhsa_float_denorm_mode_16_64 3
		.amdhsa_dx10_clamp 1
		.amdhsa_ieee_mode 1
		.amdhsa_fp16_overflow 0
		.amdhsa_exception_fp_ieee_invalid_op 0
		.amdhsa_exception_fp_denorm_src 0
		.amdhsa_exception_fp_ieee_div_zero 0
		.amdhsa_exception_fp_ieee_overflow 0
		.amdhsa_exception_fp_ieee_underflow 0
		.amdhsa_exception_fp_ieee_inexact 0
		.amdhsa_exception_int_div_zero 0
	.end_amdhsa_kernel
	.section	.text._ZN7rocprim17ROCPRIM_400000_NS6detail17trampoline_kernelINS0_14default_configENS1_35radix_sort_onesweep_config_selectorIdlEEZZNS1_29radix_sort_onesweep_iterationIS3_Lb0EPdS7_N6thrust23THRUST_200600_302600_NS10device_ptrIlEESB_jNS0_19identity_decomposerENS1_16block_id_wrapperIjLb1EEEEE10hipError_tT1_PNSt15iterator_traitsISG_E10value_typeET2_T3_PNSH_ISM_E10value_typeET4_T5_PSR_SS_PNS1_23onesweep_lookback_stateEbbT6_jjT7_P12ihipStream_tbENKUlT_T0_SG_SL_E_clIS7_S7_SB_SB_EEDaSZ_S10_SG_SL_EUlSZ_E_NS1_11comp_targetILNS1_3genE4ELNS1_11target_archE910ELNS1_3gpuE8ELNS1_3repE0EEENS1_47radix_sort_onesweep_sort_config_static_selectorELNS0_4arch9wavefront6targetE1EEEvSG_,"axG",@progbits,_ZN7rocprim17ROCPRIM_400000_NS6detail17trampoline_kernelINS0_14default_configENS1_35radix_sort_onesweep_config_selectorIdlEEZZNS1_29radix_sort_onesweep_iterationIS3_Lb0EPdS7_N6thrust23THRUST_200600_302600_NS10device_ptrIlEESB_jNS0_19identity_decomposerENS1_16block_id_wrapperIjLb1EEEEE10hipError_tT1_PNSt15iterator_traitsISG_E10value_typeET2_T3_PNSH_ISM_E10value_typeET4_T5_PSR_SS_PNS1_23onesweep_lookback_stateEbbT6_jjT7_P12ihipStream_tbENKUlT_T0_SG_SL_E_clIS7_S7_SB_SB_EEDaSZ_S10_SG_SL_EUlSZ_E_NS1_11comp_targetILNS1_3genE4ELNS1_11target_archE910ELNS1_3gpuE8ELNS1_3repE0EEENS1_47radix_sort_onesweep_sort_config_static_selectorELNS0_4arch9wavefront6targetE1EEEvSG_,comdat
.Lfunc_end1620:
	.size	_ZN7rocprim17ROCPRIM_400000_NS6detail17trampoline_kernelINS0_14default_configENS1_35radix_sort_onesweep_config_selectorIdlEEZZNS1_29radix_sort_onesweep_iterationIS3_Lb0EPdS7_N6thrust23THRUST_200600_302600_NS10device_ptrIlEESB_jNS0_19identity_decomposerENS1_16block_id_wrapperIjLb1EEEEE10hipError_tT1_PNSt15iterator_traitsISG_E10value_typeET2_T3_PNSH_ISM_E10value_typeET4_T5_PSR_SS_PNS1_23onesweep_lookback_stateEbbT6_jjT7_P12ihipStream_tbENKUlT_T0_SG_SL_E_clIS7_S7_SB_SB_EEDaSZ_S10_SG_SL_EUlSZ_E_NS1_11comp_targetILNS1_3genE4ELNS1_11target_archE910ELNS1_3gpuE8ELNS1_3repE0EEENS1_47radix_sort_onesweep_sort_config_static_selectorELNS0_4arch9wavefront6targetE1EEEvSG_, .Lfunc_end1620-_ZN7rocprim17ROCPRIM_400000_NS6detail17trampoline_kernelINS0_14default_configENS1_35radix_sort_onesweep_config_selectorIdlEEZZNS1_29radix_sort_onesweep_iterationIS3_Lb0EPdS7_N6thrust23THRUST_200600_302600_NS10device_ptrIlEESB_jNS0_19identity_decomposerENS1_16block_id_wrapperIjLb1EEEEE10hipError_tT1_PNSt15iterator_traitsISG_E10value_typeET2_T3_PNSH_ISM_E10value_typeET4_T5_PSR_SS_PNS1_23onesweep_lookback_stateEbbT6_jjT7_P12ihipStream_tbENKUlT_T0_SG_SL_E_clIS7_S7_SB_SB_EEDaSZ_S10_SG_SL_EUlSZ_E_NS1_11comp_targetILNS1_3genE4ELNS1_11target_archE910ELNS1_3gpuE8ELNS1_3repE0EEENS1_47radix_sort_onesweep_sort_config_static_selectorELNS0_4arch9wavefront6targetE1EEEvSG_
                                        ; -- End function
	.set _ZN7rocprim17ROCPRIM_400000_NS6detail17trampoline_kernelINS0_14default_configENS1_35radix_sort_onesweep_config_selectorIdlEEZZNS1_29radix_sort_onesweep_iterationIS3_Lb0EPdS7_N6thrust23THRUST_200600_302600_NS10device_ptrIlEESB_jNS0_19identity_decomposerENS1_16block_id_wrapperIjLb1EEEEE10hipError_tT1_PNSt15iterator_traitsISG_E10value_typeET2_T3_PNSH_ISM_E10value_typeET4_T5_PSR_SS_PNS1_23onesweep_lookback_stateEbbT6_jjT7_P12ihipStream_tbENKUlT_T0_SG_SL_E_clIS7_S7_SB_SB_EEDaSZ_S10_SG_SL_EUlSZ_E_NS1_11comp_targetILNS1_3genE4ELNS1_11target_archE910ELNS1_3gpuE8ELNS1_3repE0EEENS1_47radix_sort_onesweep_sort_config_static_selectorELNS0_4arch9wavefront6targetE1EEEvSG_.num_vgpr, 0
	.set _ZN7rocprim17ROCPRIM_400000_NS6detail17trampoline_kernelINS0_14default_configENS1_35radix_sort_onesweep_config_selectorIdlEEZZNS1_29radix_sort_onesweep_iterationIS3_Lb0EPdS7_N6thrust23THRUST_200600_302600_NS10device_ptrIlEESB_jNS0_19identity_decomposerENS1_16block_id_wrapperIjLb1EEEEE10hipError_tT1_PNSt15iterator_traitsISG_E10value_typeET2_T3_PNSH_ISM_E10value_typeET4_T5_PSR_SS_PNS1_23onesweep_lookback_stateEbbT6_jjT7_P12ihipStream_tbENKUlT_T0_SG_SL_E_clIS7_S7_SB_SB_EEDaSZ_S10_SG_SL_EUlSZ_E_NS1_11comp_targetILNS1_3genE4ELNS1_11target_archE910ELNS1_3gpuE8ELNS1_3repE0EEENS1_47radix_sort_onesweep_sort_config_static_selectorELNS0_4arch9wavefront6targetE1EEEvSG_.num_agpr, 0
	.set _ZN7rocprim17ROCPRIM_400000_NS6detail17trampoline_kernelINS0_14default_configENS1_35radix_sort_onesweep_config_selectorIdlEEZZNS1_29radix_sort_onesweep_iterationIS3_Lb0EPdS7_N6thrust23THRUST_200600_302600_NS10device_ptrIlEESB_jNS0_19identity_decomposerENS1_16block_id_wrapperIjLb1EEEEE10hipError_tT1_PNSt15iterator_traitsISG_E10value_typeET2_T3_PNSH_ISM_E10value_typeET4_T5_PSR_SS_PNS1_23onesweep_lookback_stateEbbT6_jjT7_P12ihipStream_tbENKUlT_T0_SG_SL_E_clIS7_S7_SB_SB_EEDaSZ_S10_SG_SL_EUlSZ_E_NS1_11comp_targetILNS1_3genE4ELNS1_11target_archE910ELNS1_3gpuE8ELNS1_3repE0EEENS1_47radix_sort_onesweep_sort_config_static_selectorELNS0_4arch9wavefront6targetE1EEEvSG_.numbered_sgpr, 0
	.set _ZN7rocprim17ROCPRIM_400000_NS6detail17trampoline_kernelINS0_14default_configENS1_35radix_sort_onesweep_config_selectorIdlEEZZNS1_29radix_sort_onesweep_iterationIS3_Lb0EPdS7_N6thrust23THRUST_200600_302600_NS10device_ptrIlEESB_jNS0_19identity_decomposerENS1_16block_id_wrapperIjLb1EEEEE10hipError_tT1_PNSt15iterator_traitsISG_E10value_typeET2_T3_PNSH_ISM_E10value_typeET4_T5_PSR_SS_PNS1_23onesweep_lookback_stateEbbT6_jjT7_P12ihipStream_tbENKUlT_T0_SG_SL_E_clIS7_S7_SB_SB_EEDaSZ_S10_SG_SL_EUlSZ_E_NS1_11comp_targetILNS1_3genE4ELNS1_11target_archE910ELNS1_3gpuE8ELNS1_3repE0EEENS1_47radix_sort_onesweep_sort_config_static_selectorELNS0_4arch9wavefront6targetE1EEEvSG_.num_named_barrier, 0
	.set _ZN7rocprim17ROCPRIM_400000_NS6detail17trampoline_kernelINS0_14default_configENS1_35radix_sort_onesweep_config_selectorIdlEEZZNS1_29radix_sort_onesweep_iterationIS3_Lb0EPdS7_N6thrust23THRUST_200600_302600_NS10device_ptrIlEESB_jNS0_19identity_decomposerENS1_16block_id_wrapperIjLb1EEEEE10hipError_tT1_PNSt15iterator_traitsISG_E10value_typeET2_T3_PNSH_ISM_E10value_typeET4_T5_PSR_SS_PNS1_23onesweep_lookback_stateEbbT6_jjT7_P12ihipStream_tbENKUlT_T0_SG_SL_E_clIS7_S7_SB_SB_EEDaSZ_S10_SG_SL_EUlSZ_E_NS1_11comp_targetILNS1_3genE4ELNS1_11target_archE910ELNS1_3gpuE8ELNS1_3repE0EEENS1_47radix_sort_onesweep_sort_config_static_selectorELNS0_4arch9wavefront6targetE1EEEvSG_.private_seg_size, 0
	.set _ZN7rocprim17ROCPRIM_400000_NS6detail17trampoline_kernelINS0_14default_configENS1_35radix_sort_onesweep_config_selectorIdlEEZZNS1_29radix_sort_onesweep_iterationIS3_Lb0EPdS7_N6thrust23THRUST_200600_302600_NS10device_ptrIlEESB_jNS0_19identity_decomposerENS1_16block_id_wrapperIjLb1EEEEE10hipError_tT1_PNSt15iterator_traitsISG_E10value_typeET2_T3_PNSH_ISM_E10value_typeET4_T5_PSR_SS_PNS1_23onesweep_lookback_stateEbbT6_jjT7_P12ihipStream_tbENKUlT_T0_SG_SL_E_clIS7_S7_SB_SB_EEDaSZ_S10_SG_SL_EUlSZ_E_NS1_11comp_targetILNS1_3genE4ELNS1_11target_archE910ELNS1_3gpuE8ELNS1_3repE0EEENS1_47radix_sort_onesweep_sort_config_static_selectorELNS0_4arch9wavefront6targetE1EEEvSG_.uses_vcc, 0
	.set _ZN7rocprim17ROCPRIM_400000_NS6detail17trampoline_kernelINS0_14default_configENS1_35radix_sort_onesweep_config_selectorIdlEEZZNS1_29radix_sort_onesweep_iterationIS3_Lb0EPdS7_N6thrust23THRUST_200600_302600_NS10device_ptrIlEESB_jNS0_19identity_decomposerENS1_16block_id_wrapperIjLb1EEEEE10hipError_tT1_PNSt15iterator_traitsISG_E10value_typeET2_T3_PNSH_ISM_E10value_typeET4_T5_PSR_SS_PNS1_23onesweep_lookback_stateEbbT6_jjT7_P12ihipStream_tbENKUlT_T0_SG_SL_E_clIS7_S7_SB_SB_EEDaSZ_S10_SG_SL_EUlSZ_E_NS1_11comp_targetILNS1_3genE4ELNS1_11target_archE910ELNS1_3gpuE8ELNS1_3repE0EEENS1_47radix_sort_onesweep_sort_config_static_selectorELNS0_4arch9wavefront6targetE1EEEvSG_.uses_flat_scratch, 0
	.set _ZN7rocprim17ROCPRIM_400000_NS6detail17trampoline_kernelINS0_14default_configENS1_35radix_sort_onesweep_config_selectorIdlEEZZNS1_29radix_sort_onesweep_iterationIS3_Lb0EPdS7_N6thrust23THRUST_200600_302600_NS10device_ptrIlEESB_jNS0_19identity_decomposerENS1_16block_id_wrapperIjLb1EEEEE10hipError_tT1_PNSt15iterator_traitsISG_E10value_typeET2_T3_PNSH_ISM_E10value_typeET4_T5_PSR_SS_PNS1_23onesweep_lookback_stateEbbT6_jjT7_P12ihipStream_tbENKUlT_T0_SG_SL_E_clIS7_S7_SB_SB_EEDaSZ_S10_SG_SL_EUlSZ_E_NS1_11comp_targetILNS1_3genE4ELNS1_11target_archE910ELNS1_3gpuE8ELNS1_3repE0EEENS1_47radix_sort_onesweep_sort_config_static_selectorELNS0_4arch9wavefront6targetE1EEEvSG_.has_dyn_sized_stack, 0
	.set _ZN7rocprim17ROCPRIM_400000_NS6detail17trampoline_kernelINS0_14default_configENS1_35radix_sort_onesweep_config_selectorIdlEEZZNS1_29radix_sort_onesweep_iterationIS3_Lb0EPdS7_N6thrust23THRUST_200600_302600_NS10device_ptrIlEESB_jNS0_19identity_decomposerENS1_16block_id_wrapperIjLb1EEEEE10hipError_tT1_PNSt15iterator_traitsISG_E10value_typeET2_T3_PNSH_ISM_E10value_typeET4_T5_PSR_SS_PNS1_23onesweep_lookback_stateEbbT6_jjT7_P12ihipStream_tbENKUlT_T0_SG_SL_E_clIS7_S7_SB_SB_EEDaSZ_S10_SG_SL_EUlSZ_E_NS1_11comp_targetILNS1_3genE4ELNS1_11target_archE910ELNS1_3gpuE8ELNS1_3repE0EEENS1_47radix_sort_onesweep_sort_config_static_selectorELNS0_4arch9wavefront6targetE1EEEvSG_.has_recursion, 0
	.set _ZN7rocprim17ROCPRIM_400000_NS6detail17trampoline_kernelINS0_14default_configENS1_35radix_sort_onesweep_config_selectorIdlEEZZNS1_29radix_sort_onesweep_iterationIS3_Lb0EPdS7_N6thrust23THRUST_200600_302600_NS10device_ptrIlEESB_jNS0_19identity_decomposerENS1_16block_id_wrapperIjLb1EEEEE10hipError_tT1_PNSt15iterator_traitsISG_E10value_typeET2_T3_PNSH_ISM_E10value_typeET4_T5_PSR_SS_PNS1_23onesweep_lookback_stateEbbT6_jjT7_P12ihipStream_tbENKUlT_T0_SG_SL_E_clIS7_S7_SB_SB_EEDaSZ_S10_SG_SL_EUlSZ_E_NS1_11comp_targetILNS1_3genE4ELNS1_11target_archE910ELNS1_3gpuE8ELNS1_3repE0EEENS1_47radix_sort_onesweep_sort_config_static_selectorELNS0_4arch9wavefront6targetE1EEEvSG_.has_indirect_call, 0
	.section	.AMDGPU.csdata,"",@progbits
; Kernel info:
; codeLenInByte = 0
; TotalNumSgprs: 4
; NumVgprs: 0
; ScratchSize: 0
; MemoryBound: 0
; FloatMode: 240
; IeeeMode: 1
; LDSByteSize: 0 bytes/workgroup (compile time only)
; SGPRBlocks: 0
; VGPRBlocks: 0
; NumSGPRsForWavesPerEU: 4
; NumVGPRsForWavesPerEU: 1
; Occupancy: 10
; WaveLimiterHint : 0
; COMPUTE_PGM_RSRC2:SCRATCH_EN: 0
; COMPUTE_PGM_RSRC2:USER_SGPR: 6
; COMPUTE_PGM_RSRC2:TRAP_HANDLER: 0
; COMPUTE_PGM_RSRC2:TGID_X_EN: 1
; COMPUTE_PGM_RSRC2:TGID_Y_EN: 0
; COMPUTE_PGM_RSRC2:TGID_Z_EN: 0
; COMPUTE_PGM_RSRC2:TIDIG_COMP_CNT: 0
	.section	.text._ZN7rocprim17ROCPRIM_400000_NS6detail17trampoline_kernelINS0_14default_configENS1_35radix_sort_onesweep_config_selectorIdlEEZZNS1_29radix_sort_onesweep_iterationIS3_Lb0EPdS7_N6thrust23THRUST_200600_302600_NS10device_ptrIlEESB_jNS0_19identity_decomposerENS1_16block_id_wrapperIjLb1EEEEE10hipError_tT1_PNSt15iterator_traitsISG_E10value_typeET2_T3_PNSH_ISM_E10value_typeET4_T5_PSR_SS_PNS1_23onesweep_lookback_stateEbbT6_jjT7_P12ihipStream_tbENKUlT_T0_SG_SL_E_clIS7_S7_SB_SB_EEDaSZ_S10_SG_SL_EUlSZ_E_NS1_11comp_targetILNS1_3genE3ELNS1_11target_archE908ELNS1_3gpuE7ELNS1_3repE0EEENS1_47radix_sort_onesweep_sort_config_static_selectorELNS0_4arch9wavefront6targetE1EEEvSG_,"axG",@progbits,_ZN7rocprim17ROCPRIM_400000_NS6detail17trampoline_kernelINS0_14default_configENS1_35radix_sort_onesweep_config_selectorIdlEEZZNS1_29radix_sort_onesweep_iterationIS3_Lb0EPdS7_N6thrust23THRUST_200600_302600_NS10device_ptrIlEESB_jNS0_19identity_decomposerENS1_16block_id_wrapperIjLb1EEEEE10hipError_tT1_PNSt15iterator_traitsISG_E10value_typeET2_T3_PNSH_ISM_E10value_typeET4_T5_PSR_SS_PNS1_23onesweep_lookback_stateEbbT6_jjT7_P12ihipStream_tbENKUlT_T0_SG_SL_E_clIS7_S7_SB_SB_EEDaSZ_S10_SG_SL_EUlSZ_E_NS1_11comp_targetILNS1_3genE3ELNS1_11target_archE908ELNS1_3gpuE7ELNS1_3repE0EEENS1_47radix_sort_onesweep_sort_config_static_selectorELNS0_4arch9wavefront6targetE1EEEvSG_,comdat
	.protected	_ZN7rocprim17ROCPRIM_400000_NS6detail17trampoline_kernelINS0_14default_configENS1_35radix_sort_onesweep_config_selectorIdlEEZZNS1_29radix_sort_onesweep_iterationIS3_Lb0EPdS7_N6thrust23THRUST_200600_302600_NS10device_ptrIlEESB_jNS0_19identity_decomposerENS1_16block_id_wrapperIjLb1EEEEE10hipError_tT1_PNSt15iterator_traitsISG_E10value_typeET2_T3_PNSH_ISM_E10value_typeET4_T5_PSR_SS_PNS1_23onesweep_lookback_stateEbbT6_jjT7_P12ihipStream_tbENKUlT_T0_SG_SL_E_clIS7_S7_SB_SB_EEDaSZ_S10_SG_SL_EUlSZ_E_NS1_11comp_targetILNS1_3genE3ELNS1_11target_archE908ELNS1_3gpuE7ELNS1_3repE0EEENS1_47radix_sort_onesweep_sort_config_static_selectorELNS0_4arch9wavefront6targetE1EEEvSG_ ; -- Begin function _ZN7rocprim17ROCPRIM_400000_NS6detail17trampoline_kernelINS0_14default_configENS1_35radix_sort_onesweep_config_selectorIdlEEZZNS1_29radix_sort_onesweep_iterationIS3_Lb0EPdS7_N6thrust23THRUST_200600_302600_NS10device_ptrIlEESB_jNS0_19identity_decomposerENS1_16block_id_wrapperIjLb1EEEEE10hipError_tT1_PNSt15iterator_traitsISG_E10value_typeET2_T3_PNSH_ISM_E10value_typeET4_T5_PSR_SS_PNS1_23onesweep_lookback_stateEbbT6_jjT7_P12ihipStream_tbENKUlT_T0_SG_SL_E_clIS7_S7_SB_SB_EEDaSZ_S10_SG_SL_EUlSZ_E_NS1_11comp_targetILNS1_3genE3ELNS1_11target_archE908ELNS1_3gpuE7ELNS1_3repE0EEENS1_47radix_sort_onesweep_sort_config_static_selectorELNS0_4arch9wavefront6targetE1EEEvSG_
	.globl	_ZN7rocprim17ROCPRIM_400000_NS6detail17trampoline_kernelINS0_14default_configENS1_35radix_sort_onesweep_config_selectorIdlEEZZNS1_29radix_sort_onesweep_iterationIS3_Lb0EPdS7_N6thrust23THRUST_200600_302600_NS10device_ptrIlEESB_jNS0_19identity_decomposerENS1_16block_id_wrapperIjLb1EEEEE10hipError_tT1_PNSt15iterator_traitsISG_E10value_typeET2_T3_PNSH_ISM_E10value_typeET4_T5_PSR_SS_PNS1_23onesweep_lookback_stateEbbT6_jjT7_P12ihipStream_tbENKUlT_T0_SG_SL_E_clIS7_S7_SB_SB_EEDaSZ_S10_SG_SL_EUlSZ_E_NS1_11comp_targetILNS1_3genE3ELNS1_11target_archE908ELNS1_3gpuE7ELNS1_3repE0EEENS1_47radix_sort_onesweep_sort_config_static_selectorELNS0_4arch9wavefront6targetE1EEEvSG_
	.p2align	8
	.type	_ZN7rocprim17ROCPRIM_400000_NS6detail17trampoline_kernelINS0_14default_configENS1_35radix_sort_onesweep_config_selectorIdlEEZZNS1_29radix_sort_onesweep_iterationIS3_Lb0EPdS7_N6thrust23THRUST_200600_302600_NS10device_ptrIlEESB_jNS0_19identity_decomposerENS1_16block_id_wrapperIjLb1EEEEE10hipError_tT1_PNSt15iterator_traitsISG_E10value_typeET2_T3_PNSH_ISM_E10value_typeET4_T5_PSR_SS_PNS1_23onesweep_lookback_stateEbbT6_jjT7_P12ihipStream_tbENKUlT_T0_SG_SL_E_clIS7_S7_SB_SB_EEDaSZ_S10_SG_SL_EUlSZ_E_NS1_11comp_targetILNS1_3genE3ELNS1_11target_archE908ELNS1_3gpuE7ELNS1_3repE0EEENS1_47radix_sort_onesweep_sort_config_static_selectorELNS0_4arch9wavefront6targetE1EEEvSG_,@function
_ZN7rocprim17ROCPRIM_400000_NS6detail17trampoline_kernelINS0_14default_configENS1_35radix_sort_onesweep_config_selectorIdlEEZZNS1_29radix_sort_onesweep_iterationIS3_Lb0EPdS7_N6thrust23THRUST_200600_302600_NS10device_ptrIlEESB_jNS0_19identity_decomposerENS1_16block_id_wrapperIjLb1EEEEE10hipError_tT1_PNSt15iterator_traitsISG_E10value_typeET2_T3_PNSH_ISM_E10value_typeET4_T5_PSR_SS_PNS1_23onesweep_lookback_stateEbbT6_jjT7_P12ihipStream_tbENKUlT_T0_SG_SL_E_clIS7_S7_SB_SB_EEDaSZ_S10_SG_SL_EUlSZ_E_NS1_11comp_targetILNS1_3genE3ELNS1_11target_archE908ELNS1_3gpuE7ELNS1_3repE0EEENS1_47radix_sort_onesweep_sort_config_static_selectorELNS0_4arch9wavefront6targetE1EEEvSG_: ; @_ZN7rocprim17ROCPRIM_400000_NS6detail17trampoline_kernelINS0_14default_configENS1_35radix_sort_onesweep_config_selectorIdlEEZZNS1_29radix_sort_onesweep_iterationIS3_Lb0EPdS7_N6thrust23THRUST_200600_302600_NS10device_ptrIlEESB_jNS0_19identity_decomposerENS1_16block_id_wrapperIjLb1EEEEE10hipError_tT1_PNSt15iterator_traitsISG_E10value_typeET2_T3_PNSH_ISM_E10value_typeET4_T5_PSR_SS_PNS1_23onesweep_lookback_stateEbbT6_jjT7_P12ihipStream_tbENKUlT_T0_SG_SL_E_clIS7_S7_SB_SB_EEDaSZ_S10_SG_SL_EUlSZ_E_NS1_11comp_targetILNS1_3genE3ELNS1_11target_archE908ELNS1_3gpuE7ELNS1_3repE0EEENS1_47radix_sort_onesweep_sort_config_static_selectorELNS0_4arch9wavefront6targetE1EEEvSG_
; %bb.0:
	.section	.rodata,"a",@progbits
	.p2align	6, 0x0
	.amdhsa_kernel _ZN7rocprim17ROCPRIM_400000_NS6detail17trampoline_kernelINS0_14default_configENS1_35radix_sort_onesweep_config_selectorIdlEEZZNS1_29radix_sort_onesweep_iterationIS3_Lb0EPdS7_N6thrust23THRUST_200600_302600_NS10device_ptrIlEESB_jNS0_19identity_decomposerENS1_16block_id_wrapperIjLb1EEEEE10hipError_tT1_PNSt15iterator_traitsISG_E10value_typeET2_T3_PNSH_ISM_E10value_typeET4_T5_PSR_SS_PNS1_23onesweep_lookback_stateEbbT6_jjT7_P12ihipStream_tbENKUlT_T0_SG_SL_E_clIS7_S7_SB_SB_EEDaSZ_S10_SG_SL_EUlSZ_E_NS1_11comp_targetILNS1_3genE3ELNS1_11target_archE908ELNS1_3gpuE7ELNS1_3repE0EEENS1_47radix_sort_onesweep_sort_config_static_selectorELNS0_4arch9wavefront6targetE1EEEvSG_
		.amdhsa_group_segment_fixed_size 0
		.amdhsa_private_segment_fixed_size 0
		.amdhsa_kernarg_size 88
		.amdhsa_user_sgpr_count 6
		.amdhsa_user_sgpr_private_segment_buffer 1
		.amdhsa_user_sgpr_dispatch_ptr 0
		.amdhsa_user_sgpr_queue_ptr 0
		.amdhsa_user_sgpr_kernarg_segment_ptr 1
		.amdhsa_user_sgpr_dispatch_id 0
		.amdhsa_user_sgpr_flat_scratch_init 0
		.amdhsa_user_sgpr_private_segment_size 0
		.amdhsa_uses_dynamic_stack 0
		.amdhsa_system_sgpr_private_segment_wavefront_offset 0
		.amdhsa_system_sgpr_workgroup_id_x 1
		.amdhsa_system_sgpr_workgroup_id_y 0
		.amdhsa_system_sgpr_workgroup_id_z 0
		.amdhsa_system_sgpr_workgroup_info 0
		.amdhsa_system_vgpr_workitem_id 0
		.amdhsa_next_free_vgpr 1
		.amdhsa_next_free_sgpr 0
		.amdhsa_reserve_vcc 0
		.amdhsa_reserve_flat_scratch 0
		.amdhsa_float_round_mode_32 0
		.amdhsa_float_round_mode_16_64 0
		.amdhsa_float_denorm_mode_32 3
		.amdhsa_float_denorm_mode_16_64 3
		.amdhsa_dx10_clamp 1
		.amdhsa_ieee_mode 1
		.amdhsa_fp16_overflow 0
		.amdhsa_exception_fp_ieee_invalid_op 0
		.amdhsa_exception_fp_denorm_src 0
		.amdhsa_exception_fp_ieee_div_zero 0
		.amdhsa_exception_fp_ieee_overflow 0
		.amdhsa_exception_fp_ieee_underflow 0
		.amdhsa_exception_fp_ieee_inexact 0
		.amdhsa_exception_int_div_zero 0
	.end_amdhsa_kernel
	.section	.text._ZN7rocprim17ROCPRIM_400000_NS6detail17trampoline_kernelINS0_14default_configENS1_35radix_sort_onesweep_config_selectorIdlEEZZNS1_29radix_sort_onesweep_iterationIS3_Lb0EPdS7_N6thrust23THRUST_200600_302600_NS10device_ptrIlEESB_jNS0_19identity_decomposerENS1_16block_id_wrapperIjLb1EEEEE10hipError_tT1_PNSt15iterator_traitsISG_E10value_typeET2_T3_PNSH_ISM_E10value_typeET4_T5_PSR_SS_PNS1_23onesweep_lookback_stateEbbT6_jjT7_P12ihipStream_tbENKUlT_T0_SG_SL_E_clIS7_S7_SB_SB_EEDaSZ_S10_SG_SL_EUlSZ_E_NS1_11comp_targetILNS1_3genE3ELNS1_11target_archE908ELNS1_3gpuE7ELNS1_3repE0EEENS1_47radix_sort_onesweep_sort_config_static_selectorELNS0_4arch9wavefront6targetE1EEEvSG_,"axG",@progbits,_ZN7rocprim17ROCPRIM_400000_NS6detail17trampoline_kernelINS0_14default_configENS1_35radix_sort_onesweep_config_selectorIdlEEZZNS1_29radix_sort_onesweep_iterationIS3_Lb0EPdS7_N6thrust23THRUST_200600_302600_NS10device_ptrIlEESB_jNS0_19identity_decomposerENS1_16block_id_wrapperIjLb1EEEEE10hipError_tT1_PNSt15iterator_traitsISG_E10value_typeET2_T3_PNSH_ISM_E10value_typeET4_T5_PSR_SS_PNS1_23onesweep_lookback_stateEbbT6_jjT7_P12ihipStream_tbENKUlT_T0_SG_SL_E_clIS7_S7_SB_SB_EEDaSZ_S10_SG_SL_EUlSZ_E_NS1_11comp_targetILNS1_3genE3ELNS1_11target_archE908ELNS1_3gpuE7ELNS1_3repE0EEENS1_47radix_sort_onesweep_sort_config_static_selectorELNS0_4arch9wavefront6targetE1EEEvSG_,comdat
.Lfunc_end1621:
	.size	_ZN7rocprim17ROCPRIM_400000_NS6detail17trampoline_kernelINS0_14default_configENS1_35radix_sort_onesweep_config_selectorIdlEEZZNS1_29radix_sort_onesweep_iterationIS3_Lb0EPdS7_N6thrust23THRUST_200600_302600_NS10device_ptrIlEESB_jNS0_19identity_decomposerENS1_16block_id_wrapperIjLb1EEEEE10hipError_tT1_PNSt15iterator_traitsISG_E10value_typeET2_T3_PNSH_ISM_E10value_typeET4_T5_PSR_SS_PNS1_23onesweep_lookback_stateEbbT6_jjT7_P12ihipStream_tbENKUlT_T0_SG_SL_E_clIS7_S7_SB_SB_EEDaSZ_S10_SG_SL_EUlSZ_E_NS1_11comp_targetILNS1_3genE3ELNS1_11target_archE908ELNS1_3gpuE7ELNS1_3repE0EEENS1_47radix_sort_onesweep_sort_config_static_selectorELNS0_4arch9wavefront6targetE1EEEvSG_, .Lfunc_end1621-_ZN7rocprim17ROCPRIM_400000_NS6detail17trampoline_kernelINS0_14default_configENS1_35radix_sort_onesweep_config_selectorIdlEEZZNS1_29radix_sort_onesweep_iterationIS3_Lb0EPdS7_N6thrust23THRUST_200600_302600_NS10device_ptrIlEESB_jNS0_19identity_decomposerENS1_16block_id_wrapperIjLb1EEEEE10hipError_tT1_PNSt15iterator_traitsISG_E10value_typeET2_T3_PNSH_ISM_E10value_typeET4_T5_PSR_SS_PNS1_23onesweep_lookback_stateEbbT6_jjT7_P12ihipStream_tbENKUlT_T0_SG_SL_E_clIS7_S7_SB_SB_EEDaSZ_S10_SG_SL_EUlSZ_E_NS1_11comp_targetILNS1_3genE3ELNS1_11target_archE908ELNS1_3gpuE7ELNS1_3repE0EEENS1_47radix_sort_onesweep_sort_config_static_selectorELNS0_4arch9wavefront6targetE1EEEvSG_
                                        ; -- End function
	.set _ZN7rocprim17ROCPRIM_400000_NS6detail17trampoline_kernelINS0_14default_configENS1_35radix_sort_onesweep_config_selectorIdlEEZZNS1_29radix_sort_onesweep_iterationIS3_Lb0EPdS7_N6thrust23THRUST_200600_302600_NS10device_ptrIlEESB_jNS0_19identity_decomposerENS1_16block_id_wrapperIjLb1EEEEE10hipError_tT1_PNSt15iterator_traitsISG_E10value_typeET2_T3_PNSH_ISM_E10value_typeET4_T5_PSR_SS_PNS1_23onesweep_lookback_stateEbbT6_jjT7_P12ihipStream_tbENKUlT_T0_SG_SL_E_clIS7_S7_SB_SB_EEDaSZ_S10_SG_SL_EUlSZ_E_NS1_11comp_targetILNS1_3genE3ELNS1_11target_archE908ELNS1_3gpuE7ELNS1_3repE0EEENS1_47radix_sort_onesweep_sort_config_static_selectorELNS0_4arch9wavefront6targetE1EEEvSG_.num_vgpr, 0
	.set _ZN7rocprim17ROCPRIM_400000_NS6detail17trampoline_kernelINS0_14default_configENS1_35radix_sort_onesweep_config_selectorIdlEEZZNS1_29radix_sort_onesweep_iterationIS3_Lb0EPdS7_N6thrust23THRUST_200600_302600_NS10device_ptrIlEESB_jNS0_19identity_decomposerENS1_16block_id_wrapperIjLb1EEEEE10hipError_tT1_PNSt15iterator_traitsISG_E10value_typeET2_T3_PNSH_ISM_E10value_typeET4_T5_PSR_SS_PNS1_23onesweep_lookback_stateEbbT6_jjT7_P12ihipStream_tbENKUlT_T0_SG_SL_E_clIS7_S7_SB_SB_EEDaSZ_S10_SG_SL_EUlSZ_E_NS1_11comp_targetILNS1_3genE3ELNS1_11target_archE908ELNS1_3gpuE7ELNS1_3repE0EEENS1_47radix_sort_onesweep_sort_config_static_selectorELNS0_4arch9wavefront6targetE1EEEvSG_.num_agpr, 0
	.set _ZN7rocprim17ROCPRIM_400000_NS6detail17trampoline_kernelINS0_14default_configENS1_35radix_sort_onesweep_config_selectorIdlEEZZNS1_29radix_sort_onesweep_iterationIS3_Lb0EPdS7_N6thrust23THRUST_200600_302600_NS10device_ptrIlEESB_jNS0_19identity_decomposerENS1_16block_id_wrapperIjLb1EEEEE10hipError_tT1_PNSt15iterator_traitsISG_E10value_typeET2_T3_PNSH_ISM_E10value_typeET4_T5_PSR_SS_PNS1_23onesweep_lookback_stateEbbT6_jjT7_P12ihipStream_tbENKUlT_T0_SG_SL_E_clIS7_S7_SB_SB_EEDaSZ_S10_SG_SL_EUlSZ_E_NS1_11comp_targetILNS1_3genE3ELNS1_11target_archE908ELNS1_3gpuE7ELNS1_3repE0EEENS1_47radix_sort_onesweep_sort_config_static_selectorELNS0_4arch9wavefront6targetE1EEEvSG_.numbered_sgpr, 0
	.set _ZN7rocprim17ROCPRIM_400000_NS6detail17trampoline_kernelINS0_14default_configENS1_35radix_sort_onesweep_config_selectorIdlEEZZNS1_29radix_sort_onesweep_iterationIS3_Lb0EPdS7_N6thrust23THRUST_200600_302600_NS10device_ptrIlEESB_jNS0_19identity_decomposerENS1_16block_id_wrapperIjLb1EEEEE10hipError_tT1_PNSt15iterator_traitsISG_E10value_typeET2_T3_PNSH_ISM_E10value_typeET4_T5_PSR_SS_PNS1_23onesweep_lookback_stateEbbT6_jjT7_P12ihipStream_tbENKUlT_T0_SG_SL_E_clIS7_S7_SB_SB_EEDaSZ_S10_SG_SL_EUlSZ_E_NS1_11comp_targetILNS1_3genE3ELNS1_11target_archE908ELNS1_3gpuE7ELNS1_3repE0EEENS1_47radix_sort_onesweep_sort_config_static_selectorELNS0_4arch9wavefront6targetE1EEEvSG_.num_named_barrier, 0
	.set _ZN7rocprim17ROCPRIM_400000_NS6detail17trampoline_kernelINS0_14default_configENS1_35radix_sort_onesweep_config_selectorIdlEEZZNS1_29radix_sort_onesweep_iterationIS3_Lb0EPdS7_N6thrust23THRUST_200600_302600_NS10device_ptrIlEESB_jNS0_19identity_decomposerENS1_16block_id_wrapperIjLb1EEEEE10hipError_tT1_PNSt15iterator_traitsISG_E10value_typeET2_T3_PNSH_ISM_E10value_typeET4_T5_PSR_SS_PNS1_23onesweep_lookback_stateEbbT6_jjT7_P12ihipStream_tbENKUlT_T0_SG_SL_E_clIS7_S7_SB_SB_EEDaSZ_S10_SG_SL_EUlSZ_E_NS1_11comp_targetILNS1_3genE3ELNS1_11target_archE908ELNS1_3gpuE7ELNS1_3repE0EEENS1_47radix_sort_onesweep_sort_config_static_selectorELNS0_4arch9wavefront6targetE1EEEvSG_.private_seg_size, 0
	.set _ZN7rocprim17ROCPRIM_400000_NS6detail17trampoline_kernelINS0_14default_configENS1_35radix_sort_onesweep_config_selectorIdlEEZZNS1_29radix_sort_onesweep_iterationIS3_Lb0EPdS7_N6thrust23THRUST_200600_302600_NS10device_ptrIlEESB_jNS0_19identity_decomposerENS1_16block_id_wrapperIjLb1EEEEE10hipError_tT1_PNSt15iterator_traitsISG_E10value_typeET2_T3_PNSH_ISM_E10value_typeET4_T5_PSR_SS_PNS1_23onesweep_lookback_stateEbbT6_jjT7_P12ihipStream_tbENKUlT_T0_SG_SL_E_clIS7_S7_SB_SB_EEDaSZ_S10_SG_SL_EUlSZ_E_NS1_11comp_targetILNS1_3genE3ELNS1_11target_archE908ELNS1_3gpuE7ELNS1_3repE0EEENS1_47radix_sort_onesweep_sort_config_static_selectorELNS0_4arch9wavefront6targetE1EEEvSG_.uses_vcc, 0
	.set _ZN7rocprim17ROCPRIM_400000_NS6detail17trampoline_kernelINS0_14default_configENS1_35radix_sort_onesweep_config_selectorIdlEEZZNS1_29radix_sort_onesweep_iterationIS3_Lb0EPdS7_N6thrust23THRUST_200600_302600_NS10device_ptrIlEESB_jNS0_19identity_decomposerENS1_16block_id_wrapperIjLb1EEEEE10hipError_tT1_PNSt15iterator_traitsISG_E10value_typeET2_T3_PNSH_ISM_E10value_typeET4_T5_PSR_SS_PNS1_23onesweep_lookback_stateEbbT6_jjT7_P12ihipStream_tbENKUlT_T0_SG_SL_E_clIS7_S7_SB_SB_EEDaSZ_S10_SG_SL_EUlSZ_E_NS1_11comp_targetILNS1_3genE3ELNS1_11target_archE908ELNS1_3gpuE7ELNS1_3repE0EEENS1_47radix_sort_onesweep_sort_config_static_selectorELNS0_4arch9wavefront6targetE1EEEvSG_.uses_flat_scratch, 0
	.set _ZN7rocprim17ROCPRIM_400000_NS6detail17trampoline_kernelINS0_14default_configENS1_35radix_sort_onesweep_config_selectorIdlEEZZNS1_29radix_sort_onesweep_iterationIS3_Lb0EPdS7_N6thrust23THRUST_200600_302600_NS10device_ptrIlEESB_jNS0_19identity_decomposerENS1_16block_id_wrapperIjLb1EEEEE10hipError_tT1_PNSt15iterator_traitsISG_E10value_typeET2_T3_PNSH_ISM_E10value_typeET4_T5_PSR_SS_PNS1_23onesweep_lookback_stateEbbT6_jjT7_P12ihipStream_tbENKUlT_T0_SG_SL_E_clIS7_S7_SB_SB_EEDaSZ_S10_SG_SL_EUlSZ_E_NS1_11comp_targetILNS1_3genE3ELNS1_11target_archE908ELNS1_3gpuE7ELNS1_3repE0EEENS1_47radix_sort_onesweep_sort_config_static_selectorELNS0_4arch9wavefront6targetE1EEEvSG_.has_dyn_sized_stack, 0
	.set _ZN7rocprim17ROCPRIM_400000_NS6detail17trampoline_kernelINS0_14default_configENS1_35radix_sort_onesweep_config_selectorIdlEEZZNS1_29radix_sort_onesweep_iterationIS3_Lb0EPdS7_N6thrust23THRUST_200600_302600_NS10device_ptrIlEESB_jNS0_19identity_decomposerENS1_16block_id_wrapperIjLb1EEEEE10hipError_tT1_PNSt15iterator_traitsISG_E10value_typeET2_T3_PNSH_ISM_E10value_typeET4_T5_PSR_SS_PNS1_23onesweep_lookback_stateEbbT6_jjT7_P12ihipStream_tbENKUlT_T0_SG_SL_E_clIS7_S7_SB_SB_EEDaSZ_S10_SG_SL_EUlSZ_E_NS1_11comp_targetILNS1_3genE3ELNS1_11target_archE908ELNS1_3gpuE7ELNS1_3repE0EEENS1_47radix_sort_onesweep_sort_config_static_selectorELNS0_4arch9wavefront6targetE1EEEvSG_.has_recursion, 0
	.set _ZN7rocprim17ROCPRIM_400000_NS6detail17trampoline_kernelINS0_14default_configENS1_35radix_sort_onesweep_config_selectorIdlEEZZNS1_29radix_sort_onesweep_iterationIS3_Lb0EPdS7_N6thrust23THRUST_200600_302600_NS10device_ptrIlEESB_jNS0_19identity_decomposerENS1_16block_id_wrapperIjLb1EEEEE10hipError_tT1_PNSt15iterator_traitsISG_E10value_typeET2_T3_PNSH_ISM_E10value_typeET4_T5_PSR_SS_PNS1_23onesweep_lookback_stateEbbT6_jjT7_P12ihipStream_tbENKUlT_T0_SG_SL_E_clIS7_S7_SB_SB_EEDaSZ_S10_SG_SL_EUlSZ_E_NS1_11comp_targetILNS1_3genE3ELNS1_11target_archE908ELNS1_3gpuE7ELNS1_3repE0EEENS1_47radix_sort_onesweep_sort_config_static_selectorELNS0_4arch9wavefront6targetE1EEEvSG_.has_indirect_call, 0
	.section	.AMDGPU.csdata,"",@progbits
; Kernel info:
; codeLenInByte = 0
; TotalNumSgprs: 4
; NumVgprs: 0
; ScratchSize: 0
; MemoryBound: 0
; FloatMode: 240
; IeeeMode: 1
; LDSByteSize: 0 bytes/workgroup (compile time only)
; SGPRBlocks: 0
; VGPRBlocks: 0
; NumSGPRsForWavesPerEU: 4
; NumVGPRsForWavesPerEU: 1
; Occupancy: 10
; WaveLimiterHint : 0
; COMPUTE_PGM_RSRC2:SCRATCH_EN: 0
; COMPUTE_PGM_RSRC2:USER_SGPR: 6
; COMPUTE_PGM_RSRC2:TRAP_HANDLER: 0
; COMPUTE_PGM_RSRC2:TGID_X_EN: 1
; COMPUTE_PGM_RSRC2:TGID_Y_EN: 0
; COMPUTE_PGM_RSRC2:TGID_Z_EN: 0
; COMPUTE_PGM_RSRC2:TIDIG_COMP_CNT: 0
	.section	.text._ZN7rocprim17ROCPRIM_400000_NS6detail17trampoline_kernelINS0_14default_configENS1_35radix_sort_onesweep_config_selectorIdlEEZZNS1_29radix_sort_onesweep_iterationIS3_Lb0EPdS7_N6thrust23THRUST_200600_302600_NS10device_ptrIlEESB_jNS0_19identity_decomposerENS1_16block_id_wrapperIjLb1EEEEE10hipError_tT1_PNSt15iterator_traitsISG_E10value_typeET2_T3_PNSH_ISM_E10value_typeET4_T5_PSR_SS_PNS1_23onesweep_lookback_stateEbbT6_jjT7_P12ihipStream_tbENKUlT_T0_SG_SL_E_clIS7_S7_SB_SB_EEDaSZ_S10_SG_SL_EUlSZ_E_NS1_11comp_targetILNS1_3genE10ELNS1_11target_archE1201ELNS1_3gpuE5ELNS1_3repE0EEENS1_47radix_sort_onesweep_sort_config_static_selectorELNS0_4arch9wavefront6targetE1EEEvSG_,"axG",@progbits,_ZN7rocprim17ROCPRIM_400000_NS6detail17trampoline_kernelINS0_14default_configENS1_35radix_sort_onesweep_config_selectorIdlEEZZNS1_29radix_sort_onesweep_iterationIS3_Lb0EPdS7_N6thrust23THRUST_200600_302600_NS10device_ptrIlEESB_jNS0_19identity_decomposerENS1_16block_id_wrapperIjLb1EEEEE10hipError_tT1_PNSt15iterator_traitsISG_E10value_typeET2_T3_PNSH_ISM_E10value_typeET4_T5_PSR_SS_PNS1_23onesweep_lookback_stateEbbT6_jjT7_P12ihipStream_tbENKUlT_T0_SG_SL_E_clIS7_S7_SB_SB_EEDaSZ_S10_SG_SL_EUlSZ_E_NS1_11comp_targetILNS1_3genE10ELNS1_11target_archE1201ELNS1_3gpuE5ELNS1_3repE0EEENS1_47radix_sort_onesweep_sort_config_static_selectorELNS0_4arch9wavefront6targetE1EEEvSG_,comdat
	.protected	_ZN7rocprim17ROCPRIM_400000_NS6detail17trampoline_kernelINS0_14default_configENS1_35radix_sort_onesweep_config_selectorIdlEEZZNS1_29radix_sort_onesweep_iterationIS3_Lb0EPdS7_N6thrust23THRUST_200600_302600_NS10device_ptrIlEESB_jNS0_19identity_decomposerENS1_16block_id_wrapperIjLb1EEEEE10hipError_tT1_PNSt15iterator_traitsISG_E10value_typeET2_T3_PNSH_ISM_E10value_typeET4_T5_PSR_SS_PNS1_23onesweep_lookback_stateEbbT6_jjT7_P12ihipStream_tbENKUlT_T0_SG_SL_E_clIS7_S7_SB_SB_EEDaSZ_S10_SG_SL_EUlSZ_E_NS1_11comp_targetILNS1_3genE10ELNS1_11target_archE1201ELNS1_3gpuE5ELNS1_3repE0EEENS1_47radix_sort_onesweep_sort_config_static_selectorELNS0_4arch9wavefront6targetE1EEEvSG_ ; -- Begin function _ZN7rocprim17ROCPRIM_400000_NS6detail17trampoline_kernelINS0_14default_configENS1_35radix_sort_onesweep_config_selectorIdlEEZZNS1_29radix_sort_onesweep_iterationIS3_Lb0EPdS7_N6thrust23THRUST_200600_302600_NS10device_ptrIlEESB_jNS0_19identity_decomposerENS1_16block_id_wrapperIjLb1EEEEE10hipError_tT1_PNSt15iterator_traitsISG_E10value_typeET2_T3_PNSH_ISM_E10value_typeET4_T5_PSR_SS_PNS1_23onesweep_lookback_stateEbbT6_jjT7_P12ihipStream_tbENKUlT_T0_SG_SL_E_clIS7_S7_SB_SB_EEDaSZ_S10_SG_SL_EUlSZ_E_NS1_11comp_targetILNS1_3genE10ELNS1_11target_archE1201ELNS1_3gpuE5ELNS1_3repE0EEENS1_47radix_sort_onesweep_sort_config_static_selectorELNS0_4arch9wavefront6targetE1EEEvSG_
	.globl	_ZN7rocprim17ROCPRIM_400000_NS6detail17trampoline_kernelINS0_14default_configENS1_35radix_sort_onesweep_config_selectorIdlEEZZNS1_29radix_sort_onesweep_iterationIS3_Lb0EPdS7_N6thrust23THRUST_200600_302600_NS10device_ptrIlEESB_jNS0_19identity_decomposerENS1_16block_id_wrapperIjLb1EEEEE10hipError_tT1_PNSt15iterator_traitsISG_E10value_typeET2_T3_PNSH_ISM_E10value_typeET4_T5_PSR_SS_PNS1_23onesweep_lookback_stateEbbT6_jjT7_P12ihipStream_tbENKUlT_T0_SG_SL_E_clIS7_S7_SB_SB_EEDaSZ_S10_SG_SL_EUlSZ_E_NS1_11comp_targetILNS1_3genE10ELNS1_11target_archE1201ELNS1_3gpuE5ELNS1_3repE0EEENS1_47radix_sort_onesweep_sort_config_static_selectorELNS0_4arch9wavefront6targetE1EEEvSG_
	.p2align	8
	.type	_ZN7rocprim17ROCPRIM_400000_NS6detail17trampoline_kernelINS0_14default_configENS1_35radix_sort_onesweep_config_selectorIdlEEZZNS1_29radix_sort_onesweep_iterationIS3_Lb0EPdS7_N6thrust23THRUST_200600_302600_NS10device_ptrIlEESB_jNS0_19identity_decomposerENS1_16block_id_wrapperIjLb1EEEEE10hipError_tT1_PNSt15iterator_traitsISG_E10value_typeET2_T3_PNSH_ISM_E10value_typeET4_T5_PSR_SS_PNS1_23onesweep_lookback_stateEbbT6_jjT7_P12ihipStream_tbENKUlT_T0_SG_SL_E_clIS7_S7_SB_SB_EEDaSZ_S10_SG_SL_EUlSZ_E_NS1_11comp_targetILNS1_3genE10ELNS1_11target_archE1201ELNS1_3gpuE5ELNS1_3repE0EEENS1_47radix_sort_onesweep_sort_config_static_selectorELNS0_4arch9wavefront6targetE1EEEvSG_,@function
_ZN7rocprim17ROCPRIM_400000_NS6detail17trampoline_kernelINS0_14default_configENS1_35radix_sort_onesweep_config_selectorIdlEEZZNS1_29radix_sort_onesweep_iterationIS3_Lb0EPdS7_N6thrust23THRUST_200600_302600_NS10device_ptrIlEESB_jNS0_19identity_decomposerENS1_16block_id_wrapperIjLb1EEEEE10hipError_tT1_PNSt15iterator_traitsISG_E10value_typeET2_T3_PNSH_ISM_E10value_typeET4_T5_PSR_SS_PNS1_23onesweep_lookback_stateEbbT6_jjT7_P12ihipStream_tbENKUlT_T0_SG_SL_E_clIS7_S7_SB_SB_EEDaSZ_S10_SG_SL_EUlSZ_E_NS1_11comp_targetILNS1_3genE10ELNS1_11target_archE1201ELNS1_3gpuE5ELNS1_3repE0EEENS1_47radix_sort_onesweep_sort_config_static_selectorELNS0_4arch9wavefront6targetE1EEEvSG_: ; @_ZN7rocprim17ROCPRIM_400000_NS6detail17trampoline_kernelINS0_14default_configENS1_35radix_sort_onesweep_config_selectorIdlEEZZNS1_29radix_sort_onesweep_iterationIS3_Lb0EPdS7_N6thrust23THRUST_200600_302600_NS10device_ptrIlEESB_jNS0_19identity_decomposerENS1_16block_id_wrapperIjLb1EEEEE10hipError_tT1_PNSt15iterator_traitsISG_E10value_typeET2_T3_PNSH_ISM_E10value_typeET4_T5_PSR_SS_PNS1_23onesweep_lookback_stateEbbT6_jjT7_P12ihipStream_tbENKUlT_T0_SG_SL_E_clIS7_S7_SB_SB_EEDaSZ_S10_SG_SL_EUlSZ_E_NS1_11comp_targetILNS1_3genE10ELNS1_11target_archE1201ELNS1_3gpuE5ELNS1_3repE0EEENS1_47radix_sort_onesweep_sort_config_static_selectorELNS0_4arch9wavefront6targetE1EEEvSG_
; %bb.0:
	.section	.rodata,"a",@progbits
	.p2align	6, 0x0
	.amdhsa_kernel _ZN7rocprim17ROCPRIM_400000_NS6detail17trampoline_kernelINS0_14default_configENS1_35radix_sort_onesweep_config_selectorIdlEEZZNS1_29radix_sort_onesweep_iterationIS3_Lb0EPdS7_N6thrust23THRUST_200600_302600_NS10device_ptrIlEESB_jNS0_19identity_decomposerENS1_16block_id_wrapperIjLb1EEEEE10hipError_tT1_PNSt15iterator_traitsISG_E10value_typeET2_T3_PNSH_ISM_E10value_typeET4_T5_PSR_SS_PNS1_23onesweep_lookback_stateEbbT6_jjT7_P12ihipStream_tbENKUlT_T0_SG_SL_E_clIS7_S7_SB_SB_EEDaSZ_S10_SG_SL_EUlSZ_E_NS1_11comp_targetILNS1_3genE10ELNS1_11target_archE1201ELNS1_3gpuE5ELNS1_3repE0EEENS1_47radix_sort_onesweep_sort_config_static_selectorELNS0_4arch9wavefront6targetE1EEEvSG_
		.amdhsa_group_segment_fixed_size 0
		.amdhsa_private_segment_fixed_size 0
		.amdhsa_kernarg_size 88
		.amdhsa_user_sgpr_count 6
		.amdhsa_user_sgpr_private_segment_buffer 1
		.amdhsa_user_sgpr_dispatch_ptr 0
		.amdhsa_user_sgpr_queue_ptr 0
		.amdhsa_user_sgpr_kernarg_segment_ptr 1
		.amdhsa_user_sgpr_dispatch_id 0
		.amdhsa_user_sgpr_flat_scratch_init 0
		.amdhsa_user_sgpr_private_segment_size 0
		.amdhsa_uses_dynamic_stack 0
		.amdhsa_system_sgpr_private_segment_wavefront_offset 0
		.amdhsa_system_sgpr_workgroup_id_x 1
		.amdhsa_system_sgpr_workgroup_id_y 0
		.amdhsa_system_sgpr_workgroup_id_z 0
		.amdhsa_system_sgpr_workgroup_info 0
		.amdhsa_system_vgpr_workitem_id 0
		.amdhsa_next_free_vgpr 1
		.amdhsa_next_free_sgpr 0
		.amdhsa_reserve_vcc 0
		.amdhsa_reserve_flat_scratch 0
		.amdhsa_float_round_mode_32 0
		.amdhsa_float_round_mode_16_64 0
		.amdhsa_float_denorm_mode_32 3
		.amdhsa_float_denorm_mode_16_64 3
		.amdhsa_dx10_clamp 1
		.amdhsa_ieee_mode 1
		.amdhsa_fp16_overflow 0
		.amdhsa_exception_fp_ieee_invalid_op 0
		.amdhsa_exception_fp_denorm_src 0
		.amdhsa_exception_fp_ieee_div_zero 0
		.amdhsa_exception_fp_ieee_overflow 0
		.amdhsa_exception_fp_ieee_underflow 0
		.amdhsa_exception_fp_ieee_inexact 0
		.amdhsa_exception_int_div_zero 0
	.end_amdhsa_kernel
	.section	.text._ZN7rocprim17ROCPRIM_400000_NS6detail17trampoline_kernelINS0_14default_configENS1_35radix_sort_onesweep_config_selectorIdlEEZZNS1_29radix_sort_onesweep_iterationIS3_Lb0EPdS7_N6thrust23THRUST_200600_302600_NS10device_ptrIlEESB_jNS0_19identity_decomposerENS1_16block_id_wrapperIjLb1EEEEE10hipError_tT1_PNSt15iterator_traitsISG_E10value_typeET2_T3_PNSH_ISM_E10value_typeET4_T5_PSR_SS_PNS1_23onesweep_lookback_stateEbbT6_jjT7_P12ihipStream_tbENKUlT_T0_SG_SL_E_clIS7_S7_SB_SB_EEDaSZ_S10_SG_SL_EUlSZ_E_NS1_11comp_targetILNS1_3genE10ELNS1_11target_archE1201ELNS1_3gpuE5ELNS1_3repE0EEENS1_47radix_sort_onesweep_sort_config_static_selectorELNS0_4arch9wavefront6targetE1EEEvSG_,"axG",@progbits,_ZN7rocprim17ROCPRIM_400000_NS6detail17trampoline_kernelINS0_14default_configENS1_35radix_sort_onesweep_config_selectorIdlEEZZNS1_29radix_sort_onesweep_iterationIS3_Lb0EPdS7_N6thrust23THRUST_200600_302600_NS10device_ptrIlEESB_jNS0_19identity_decomposerENS1_16block_id_wrapperIjLb1EEEEE10hipError_tT1_PNSt15iterator_traitsISG_E10value_typeET2_T3_PNSH_ISM_E10value_typeET4_T5_PSR_SS_PNS1_23onesweep_lookback_stateEbbT6_jjT7_P12ihipStream_tbENKUlT_T0_SG_SL_E_clIS7_S7_SB_SB_EEDaSZ_S10_SG_SL_EUlSZ_E_NS1_11comp_targetILNS1_3genE10ELNS1_11target_archE1201ELNS1_3gpuE5ELNS1_3repE0EEENS1_47radix_sort_onesweep_sort_config_static_selectorELNS0_4arch9wavefront6targetE1EEEvSG_,comdat
.Lfunc_end1622:
	.size	_ZN7rocprim17ROCPRIM_400000_NS6detail17trampoline_kernelINS0_14default_configENS1_35radix_sort_onesweep_config_selectorIdlEEZZNS1_29radix_sort_onesweep_iterationIS3_Lb0EPdS7_N6thrust23THRUST_200600_302600_NS10device_ptrIlEESB_jNS0_19identity_decomposerENS1_16block_id_wrapperIjLb1EEEEE10hipError_tT1_PNSt15iterator_traitsISG_E10value_typeET2_T3_PNSH_ISM_E10value_typeET4_T5_PSR_SS_PNS1_23onesweep_lookback_stateEbbT6_jjT7_P12ihipStream_tbENKUlT_T0_SG_SL_E_clIS7_S7_SB_SB_EEDaSZ_S10_SG_SL_EUlSZ_E_NS1_11comp_targetILNS1_3genE10ELNS1_11target_archE1201ELNS1_3gpuE5ELNS1_3repE0EEENS1_47radix_sort_onesweep_sort_config_static_selectorELNS0_4arch9wavefront6targetE1EEEvSG_, .Lfunc_end1622-_ZN7rocprim17ROCPRIM_400000_NS6detail17trampoline_kernelINS0_14default_configENS1_35radix_sort_onesweep_config_selectorIdlEEZZNS1_29radix_sort_onesweep_iterationIS3_Lb0EPdS7_N6thrust23THRUST_200600_302600_NS10device_ptrIlEESB_jNS0_19identity_decomposerENS1_16block_id_wrapperIjLb1EEEEE10hipError_tT1_PNSt15iterator_traitsISG_E10value_typeET2_T3_PNSH_ISM_E10value_typeET4_T5_PSR_SS_PNS1_23onesweep_lookback_stateEbbT6_jjT7_P12ihipStream_tbENKUlT_T0_SG_SL_E_clIS7_S7_SB_SB_EEDaSZ_S10_SG_SL_EUlSZ_E_NS1_11comp_targetILNS1_3genE10ELNS1_11target_archE1201ELNS1_3gpuE5ELNS1_3repE0EEENS1_47radix_sort_onesweep_sort_config_static_selectorELNS0_4arch9wavefront6targetE1EEEvSG_
                                        ; -- End function
	.set _ZN7rocprim17ROCPRIM_400000_NS6detail17trampoline_kernelINS0_14default_configENS1_35radix_sort_onesweep_config_selectorIdlEEZZNS1_29radix_sort_onesweep_iterationIS3_Lb0EPdS7_N6thrust23THRUST_200600_302600_NS10device_ptrIlEESB_jNS0_19identity_decomposerENS1_16block_id_wrapperIjLb1EEEEE10hipError_tT1_PNSt15iterator_traitsISG_E10value_typeET2_T3_PNSH_ISM_E10value_typeET4_T5_PSR_SS_PNS1_23onesweep_lookback_stateEbbT6_jjT7_P12ihipStream_tbENKUlT_T0_SG_SL_E_clIS7_S7_SB_SB_EEDaSZ_S10_SG_SL_EUlSZ_E_NS1_11comp_targetILNS1_3genE10ELNS1_11target_archE1201ELNS1_3gpuE5ELNS1_3repE0EEENS1_47radix_sort_onesweep_sort_config_static_selectorELNS0_4arch9wavefront6targetE1EEEvSG_.num_vgpr, 0
	.set _ZN7rocprim17ROCPRIM_400000_NS6detail17trampoline_kernelINS0_14default_configENS1_35radix_sort_onesweep_config_selectorIdlEEZZNS1_29radix_sort_onesweep_iterationIS3_Lb0EPdS7_N6thrust23THRUST_200600_302600_NS10device_ptrIlEESB_jNS0_19identity_decomposerENS1_16block_id_wrapperIjLb1EEEEE10hipError_tT1_PNSt15iterator_traitsISG_E10value_typeET2_T3_PNSH_ISM_E10value_typeET4_T5_PSR_SS_PNS1_23onesweep_lookback_stateEbbT6_jjT7_P12ihipStream_tbENKUlT_T0_SG_SL_E_clIS7_S7_SB_SB_EEDaSZ_S10_SG_SL_EUlSZ_E_NS1_11comp_targetILNS1_3genE10ELNS1_11target_archE1201ELNS1_3gpuE5ELNS1_3repE0EEENS1_47radix_sort_onesweep_sort_config_static_selectorELNS0_4arch9wavefront6targetE1EEEvSG_.num_agpr, 0
	.set _ZN7rocprim17ROCPRIM_400000_NS6detail17trampoline_kernelINS0_14default_configENS1_35radix_sort_onesweep_config_selectorIdlEEZZNS1_29radix_sort_onesweep_iterationIS3_Lb0EPdS7_N6thrust23THRUST_200600_302600_NS10device_ptrIlEESB_jNS0_19identity_decomposerENS1_16block_id_wrapperIjLb1EEEEE10hipError_tT1_PNSt15iterator_traitsISG_E10value_typeET2_T3_PNSH_ISM_E10value_typeET4_T5_PSR_SS_PNS1_23onesweep_lookback_stateEbbT6_jjT7_P12ihipStream_tbENKUlT_T0_SG_SL_E_clIS7_S7_SB_SB_EEDaSZ_S10_SG_SL_EUlSZ_E_NS1_11comp_targetILNS1_3genE10ELNS1_11target_archE1201ELNS1_3gpuE5ELNS1_3repE0EEENS1_47radix_sort_onesweep_sort_config_static_selectorELNS0_4arch9wavefront6targetE1EEEvSG_.numbered_sgpr, 0
	.set _ZN7rocprim17ROCPRIM_400000_NS6detail17trampoline_kernelINS0_14default_configENS1_35radix_sort_onesweep_config_selectorIdlEEZZNS1_29radix_sort_onesweep_iterationIS3_Lb0EPdS7_N6thrust23THRUST_200600_302600_NS10device_ptrIlEESB_jNS0_19identity_decomposerENS1_16block_id_wrapperIjLb1EEEEE10hipError_tT1_PNSt15iterator_traitsISG_E10value_typeET2_T3_PNSH_ISM_E10value_typeET4_T5_PSR_SS_PNS1_23onesweep_lookback_stateEbbT6_jjT7_P12ihipStream_tbENKUlT_T0_SG_SL_E_clIS7_S7_SB_SB_EEDaSZ_S10_SG_SL_EUlSZ_E_NS1_11comp_targetILNS1_3genE10ELNS1_11target_archE1201ELNS1_3gpuE5ELNS1_3repE0EEENS1_47radix_sort_onesweep_sort_config_static_selectorELNS0_4arch9wavefront6targetE1EEEvSG_.num_named_barrier, 0
	.set _ZN7rocprim17ROCPRIM_400000_NS6detail17trampoline_kernelINS0_14default_configENS1_35radix_sort_onesweep_config_selectorIdlEEZZNS1_29radix_sort_onesweep_iterationIS3_Lb0EPdS7_N6thrust23THRUST_200600_302600_NS10device_ptrIlEESB_jNS0_19identity_decomposerENS1_16block_id_wrapperIjLb1EEEEE10hipError_tT1_PNSt15iterator_traitsISG_E10value_typeET2_T3_PNSH_ISM_E10value_typeET4_T5_PSR_SS_PNS1_23onesweep_lookback_stateEbbT6_jjT7_P12ihipStream_tbENKUlT_T0_SG_SL_E_clIS7_S7_SB_SB_EEDaSZ_S10_SG_SL_EUlSZ_E_NS1_11comp_targetILNS1_3genE10ELNS1_11target_archE1201ELNS1_3gpuE5ELNS1_3repE0EEENS1_47radix_sort_onesweep_sort_config_static_selectorELNS0_4arch9wavefront6targetE1EEEvSG_.private_seg_size, 0
	.set _ZN7rocprim17ROCPRIM_400000_NS6detail17trampoline_kernelINS0_14default_configENS1_35radix_sort_onesweep_config_selectorIdlEEZZNS1_29radix_sort_onesweep_iterationIS3_Lb0EPdS7_N6thrust23THRUST_200600_302600_NS10device_ptrIlEESB_jNS0_19identity_decomposerENS1_16block_id_wrapperIjLb1EEEEE10hipError_tT1_PNSt15iterator_traitsISG_E10value_typeET2_T3_PNSH_ISM_E10value_typeET4_T5_PSR_SS_PNS1_23onesweep_lookback_stateEbbT6_jjT7_P12ihipStream_tbENKUlT_T0_SG_SL_E_clIS7_S7_SB_SB_EEDaSZ_S10_SG_SL_EUlSZ_E_NS1_11comp_targetILNS1_3genE10ELNS1_11target_archE1201ELNS1_3gpuE5ELNS1_3repE0EEENS1_47radix_sort_onesweep_sort_config_static_selectorELNS0_4arch9wavefront6targetE1EEEvSG_.uses_vcc, 0
	.set _ZN7rocprim17ROCPRIM_400000_NS6detail17trampoline_kernelINS0_14default_configENS1_35radix_sort_onesweep_config_selectorIdlEEZZNS1_29radix_sort_onesweep_iterationIS3_Lb0EPdS7_N6thrust23THRUST_200600_302600_NS10device_ptrIlEESB_jNS0_19identity_decomposerENS1_16block_id_wrapperIjLb1EEEEE10hipError_tT1_PNSt15iterator_traitsISG_E10value_typeET2_T3_PNSH_ISM_E10value_typeET4_T5_PSR_SS_PNS1_23onesweep_lookback_stateEbbT6_jjT7_P12ihipStream_tbENKUlT_T0_SG_SL_E_clIS7_S7_SB_SB_EEDaSZ_S10_SG_SL_EUlSZ_E_NS1_11comp_targetILNS1_3genE10ELNS1_11target_archE1201ELNS1_3gpuE5ELNS1_3repE0EEENS1_47radix_sort_onesweep_sort_config_static_selectorELNS0_4arch9wavefront6targetE1EEEvSG_.uses_flat_scratch, 0
	.set _ZN7rocprim17ROCPRIM_400000_NS6detail17trampoline_kernelINS0_14default_configENS1_35radix_sort_onesweep_config_selectorIdlEEZZNS1_29radix_sort_onesweep_iterationIS3_Lb0EPdS7_N6thrust23THRUST_200600_302600_NS10device_ptrIlEESB_jNS0_19identity_decomposerENS1_16block_id_wrapperIjLb1EEEEE10hipError_tT1_PNSt15iterator_traitsISG_E10value_typeET2_T3_PNSH_ISM_E10value_typeET4_T5_PSR_SS_PNS1_23onesweep_lookback_stateEbbT6_jjT7_P12ihipStream_tbENKUlT_T0_SG_SL_E_clIS7_S7_SB_SB_EEDaSZ_S10_SG_SL_EUlSZ_E_NS1_11comp_targetILNS1_3genE10ELNS1_11target_archE1201ELNS1_3gpuE5ELNS1_3repE0EEENS1_47radix_sort_onesweep_sort_config_static_selectorELNS0_4arch9wavefront6targetE1EEEvSG_.has_dyn_sized_stack, 0
	.set _ZN7rocprim17ROCPRIM_400000_NS6detail17trampoline_kernelINS0_14default_configENS1_35radix_sort_onesweep_config_selectorIdlEEZZNS1_29radix_sort_onesweep_iterationIS3_Lb0EPdS7_N6thrust23THRUST_200600_302600_NS10device_ptrIlEESB_jNS0_19identity_decomposerENS1_16block_id_wrapperIjLb1EEEEE10hipError_tT1_PNSt15iterator_traitsISG_E10value_typeET2_T3_PNSH_ISM_E10value_typeET4_T5_PSR_SS_PNS1_23onesweep_lookback_stateEbbT6_jjT7_P12ihipStream_tbENKUlT_T0_SG_SL_E_clIS7_S7_SB_SB_EEDaSZ_S10_SG_SL_EUlSZ_E_NS1_11comp_targetILNS1_3genE10ELNS1_11target_archE1201ELNS1_3gpuE5ELNS1_3repE0EEENS1_47radix_sort_onesweep_sort_config_static_selectorELNS0_4arch9wavefront6targetE1EEEvSG_.has_recursion, 0
	.set _ZN7rocprim17ROCPRIM_400000_NS6detail17trampoline_kernelINS0_14default_configENS1_35radix_sort_onesweep_config_selectorIdlEEZZNS1_29radix_sort_onesweep_iterationIS3_Lb0EPdS7_N6thrust23THRUST_200600_302600_NS10device_ptrIlEESB_jNS0_19identity_decomposerENS1_16block_id_wrapperIjLb1EEEEE10hipError_tT1_PNSt15iterator_traitsISG_E10value_typeET2_T3_PNSH_ISM_E10value_typeET4_T5_PSR_SS_PNS1_23onesweep_lookback_stateEbbT6_jjT7_P12ihipStream_tbENKUlT_T0_SG_SL_E_clIS7_S7_SB_SB_EEDaSZ_S10_SG_SL_EUlSZ_E_NS1_11comp_targetILNS1_3genE10ELNS1_11target_archE1201ELNS1_3gpuE5ELNS1_3repE0EEENS1_47radix_sort_onesweep_sort_config_static_selectorELNS0_4arch9wavefront6targetE1EEEvSG_.has_indirect_call, 0
	.section	.AMDGPU.csdata,"",@progbits
; Kernel info:
; codeLenInByte = 0
; TotalNumSgprs: 4
; NumVgprs: 0
; ScratchSize: 0
; MemoryBound: 0
; FloatMode: 240
; IeeeMode: 1
; LDSByteSize: 0 bytes/workgroup (compile time only)
; SGPRBlocks: 0
; VGPRBlocks: 0
; NumSGPRsForWavesPerEU: 4
; NumVGPRsForWavesPerEU: 1
; Occupancy: 10
; WaveLimiterHint : 0
; COMPUTE_PGM_RSRC2:SCRATCH_EN: 0
; COMPUTE_PGM_RSRC2:USER_SGPR: 6
; COMPUTE_PGM_RSRC2:TRAP_HANDLER: 0
; COMPUTE_PGM_RSRC2:TGID_X_EN: 1
; COMPUTE_PGM_RSRC2:TGID_Y_EN: 0
; COMPUTE_PGM_RSRC2:TGID_Z_EN: 0
; COMPUTE_PGM_RSRC2:TIDIG_COMP_CNT: 0
	.section	.text._ZN7rocprim17ROCPRIM_400000_NS6detail17trampoline_kernelINS0_14default_configENS1_35radix_sort_onesweep_config_selectorIdlEEZZNS1_29radix_sort_onesweep_iterationIS3_Lb0EPdS7_N6thrust23THRUST_200600_302600_NS10device_ptrIlEESB_jNS0_19identity_decomposerENS1_16block_id_wrapperIjLb1EEEEE10hipError_tT1_PNSt15iterator_traitsISG_E10value_typeET2_T3_PNSH_ISM_E10value_typeET4_T5_PSR_SS_PNS1_23onesweep_lookback_stateEbbT6_jjT7_P12ihipStream_tbENKUlT_T0_SG_SL_E_clIS7_S7_SB_SB_EEDaSZ_S10_SG_SL_EUlSZ_E_NS1_11comp_targetILNS1_3genE9ELNS1_11target_archE1100ELNS1_3gpuE3ELNS1_3repE0EEENS1_47radix_sort_onesweep_sort_config_static_selectorELNS0_4arch9wavefront6targetE1EEEvSG_,"axG",@progbits,_ZN7rocprim17ROCPRIM_400000_NS6detail17trampoline_kernelINS0_14default_configENS1_35radix_sort_onesweep_config_selectorIdlEEZZNS1_29radix_sort_onesweep_iterationIS3_Lb0EPdS7_N6thrust23THRUST_200600_302600_NS10device_ptrIlEESB_jNS0_19identity_decomposerENS1_16block_id_wrapperIjLb1EEEEE10hipError_tT1_PNSt15iterator_traitsISG_E10value_typeET2_T3_PNSH_ISM_E10value_typeET4_T5_PSR_SS_PNS1_23onesweep_lookback_stateEbbT6_jjT7_P12ihipStream_tbENKUlT_T0_SG_SL_E_clIS7_S7_SB_SB_EEDaSZ_S10_SG_SL_EUlSZ_E_NS1_11comp_targetILNS1_3genE9ELNS1_11target_archE1100ELNS1_3gpuE3ELNS1_3repE0EEENS1_47radix_sort_onesweep_sort_config_static_selectorELNS0_4arch9wavefront6targetE1EEEvSG_,comdat
	.protected	_ZN7rocprim17ROCPRIM_400000_NS6detail17trampoline_kernelINS0_14default_configENS1_35radix_sort_onesweep_config_selectorIdlEEZZNS1_29radix_sort_onesweep_iterationIS3_Lb0EPdS7_N6thrust23THRUST_200600_302600_NS10device_ptrIlEESB_jNS0_19identity_decomposerENS1_16block_id_wrapperIjLb1EEEEE10hipError_tT1_PNSt15iterator_traitsISG_E10value_typeET2_T3_PNSH_ISM_E10value_typeET4_T5_PSR_SS_PNS1_23onesweep_lookback_stateEbbT6_jjT7_P12ihipStream_tbENKUlT_T0_SG_SL_E_clIS7_S7_SB_SB_EEDaSZ_S10_SG_SL_EUlSZ_E_NS1_11comp_targetILNS1_3genE9ELNS1_11target_archE1100ELNS1_3gpuE3ELNS1_3repE0EEENS1_47radix_sort_onesweep_sort_config_static_selectorELNS0_4arch9wavefront6targetE1EEEvSG_ ; -- Begin function _ZN7rocprim17ROCPRIM_400000_NS6detail17trampoline_kernelINS0_14default_configENS1_35radix_sort_onesweep_config_selectorIdlEEZZNS1_29radix_sort_onesweep_iterationIS3_Lb0EPdS7_N6thrust23THRUST_200600_302600_NS10device_ptrIlEESB_jNS0_19identity_decomposerENS1_16block_id_wrapperIjLb1EEEEE10hipError_tT1_PNSt15iterator_traitsISG_E10value_typeET2_T3_PNSH_ISM_E10value_typeET4_T5_PSR_SS_PNS1_23onesweep_lookback_stateEbbT6_jjT7_P12ihipStream_tbENKUlT_T0_SG_SL_E_clIS7_S7_SB_SB_EEDaSZ_S10_SG_SL_EUlSZ_E_NS1_11comp_targetILNS1_3genE9ELNS1_11target_archE1100ELNS1_3gpuE3ELNS1_3repE0EEENS1_47radix_sort_onesweep_sort_config_static_selectorELNS0_4arch9wavefront6targetE1EEEvSG_
	.globl	_ZN7rocprim17ROCPRIM_400000_NS6detail17trampoline_kernelINS0_14default_configENS1_35radix_sort_onesweep_config_selectorIdlEEZZNS1_29radix_sort_onesweep_iterationIS3_Lb0EPdS7_N6thrust23THRUST_200600_302600_NS10device_ptrIlEESB_jNS0_19identity_decomposerENS1_16block_id_wrapperIjLb1EEEEE10hipError_tT1_PNSt15iterator_traitsISG_E10value_typeET2_T3_PNSH_ISM_E10value_typeET4_T5_PSR_SS_PNS1_23onesweep_lookback_stateEbbT6_jjT7_P12ihipStream_tbENKUlT_T0_SG_SL_E_clIS7_S7_SB_SB_EEDaSZ_S10_SG_SL_EUlSZ_E_NS1_11comp_targetILNS1_3genE9ELNS1_11target_archE1100ELNS1_3gpuE3ELNS1_3repE0EEENS1_47radix_sort_onesweep_sort_config_static_selectorELNS0_4arch9wavefront6targetE1EEEvSG_
	.p2align	8
	.type	_ZN7rocprim17ROCPRIM_400000_NS6detail17trampoline_kernelINS0_14default_configENS1_35radix_sort_onesweep_config_selectorIdlEEZZNS1_29radix_sort_onesweep_iterationIS3_Lb0EPdS7_N6thrust23THRUST_200600_302600_NS10device_ptrIlEESB_jNS0_19identity_decomposerENS1_16block_id_wrapperIjLb1EEEEE10hipError_tT1_PNSt15iterator_traitsISG_E10value_typeET2_T3_PNSH_ISM_E10value_typeET4_T5_PSR_SS_PNS1_23onesweep_lookback_stateEbbT6_jjT7_P12ihipStream_tbENKUlT_T0_SG_SL_E_clIS7_S7_SB_SB_EEDaSZ_S10_SG_SL_EUlSZ_E_NS1_11comp_targetILNS1_3genE9ELNS1_11target_archE1100ELNS1_3gpuE3ELNS1_3repE0EEENS1_47radix_sort_onesweep_sort_config_static_selectorELNS0_4arch9wavefront6targetE1EEEvSG_,@function
_ZN7rocprim17ROCPRIM_400000_NS6detail17trampoline_kernelINS0_14default_configENS1_35radix_sort_onesweep_config_selectorIdlEEZZNS1_29radix_sort_onesweep_iterationIS3_Lb0EPdS7_N6thrust23THRUST_200600_302600_NS10device_ptrIlEESB_jNS0_19identity_decomposerENS1_16block_id_wrapperIjLb1EEEEE10hipError_tT1_PNSt15iterator_traitsISG_E10value_typeET2_T3_PNSH_ISM_E10value_typeET4_T5_PSR_SS_PNS1_23onesweep_lookback_stateEbbT6_jjT7_P12ihipStream_tbENKUlT_T0_SG_SL_E_clIS7_S7_SB_SB_EEDaSZ_S10_SG_SL_EUlSZ_E_NS1_11comp_targetILNS1_3genE9ELNS1_11target_archE1100ELNS1_3gpuE3ELNS1_3repE0EEENS1_47radix_sort_onesweep_sort_config_static_selectorELNS0_4arch9wavefront6targetE1EEEvSG_: ; @_ZN7rocprim17ROCPRIM_400000_NS6detail17trampoline_kernelINS0_14default_configENS1_35radix_sort_onesweep_config_selectorIdlEEZZNS1_29radix_sort_onesweep_iterationIS3_Lb0EPdS7_N6thrust23THRUST_200600_302600_NS10device_ptrIlEESB_jNS0_19identity_decomposerENS1_16block_id_wrapperIjLb1EEEEE10hipError_tT1_PNSt15iterator_traitsISG_E10value_typeET2_T3_PNSH_ISM_E10value_typeET4_T5_PSR_SS_PNS1_23onesweep_lookback_stateEbbT6_jjT7_P12ihipStream_tbENKUlT_T0_SG_SL_E_clIS7_S7_SB_SB_EEDaSZ_S10_SG_SL_EUlSZ_E_NS1_11comp_targetILNS1_3genE9ELNS1_11target_archE1100ELNS1_3gpuE3ELNS1_3repE0EEENS1_47radix_sort_onesweep_sort_config_static_selectorELNS0_4arch9wavefront6targetE1EEEvSG_
; %bb.0:
	.section	.rodata,"a",@progbits
	.p2align	6, 0x0
	.amdhsa_kernel _ZN7rocprim17ROCPRIM_400000_NS6detail17trampoline_kernelINS0_14default_configENS1_35radix_sort_onesweep_config_selectorIdlEEZZNS1_29radix_sort_onesweep_iterationIS3_Lb0EPdS7_N6thrust23THRUST_200600_302600_NS10device_ptrIlEESB_jNS0_19identity_decomposerENS1_16block_id_wrapperIjLb1EEEEE10hipError_tT1_PNSt15iterator_traitsISG_E10value_typeET2_T3_PNSH_ISM_E10value_typeET4_T5_PSR_SS_PNS1_23onesweep_lookback_stateEbbT6_jjT7_P12ihipStream_tbENKUlT_T0_SG_SL_E_clIS7_S7_SB_SB_EEDaSZ_S10_SG_SL_EUlSZ_E_NS1_11comp_targetILNS1_3genE9ELNS1_11target_archE1100ELNS1_3gpuE3ELNS1_3repE0EEENS1_47radix_sort_onesweep_sort_config_static_selectorELNS0_4arch9wavefront6targetE1EEEvSG_
		.amdhsa_group_segment_fixed_size 0
		.amdhsa_private_segment_fixed_size 0
		.amdhsa_kernarg_size 88
		.amdhsa_user_sgpr_count 6
		.amdhsa_user_sgpr_private_segment_buffer 1
		.amdhsa_user_sgpr_dispatch_ptr 0
		.amdhsa_user_sgpr_queue_ptr 0
		.amdhsa_user_sgpr_kernarg_segment_ptr 1
		.amdhsa_user_sgpr_dispatch_id 0
		.amdhsa_user_sgpr_flat_scratch_init 0
		.amdhsa_user_sgpr_private_segment_size 0
		.amdhsa_uses_dynamic_stack 0
		.amdhsa_system_sgpr_private_segment_wavefront_offset 0
		.amdhsa_system_sgpr_workgroup_id_x 1
		.amdhsa_system_sgpr_workgroup_id_y 0
		.amdhsa_system_sgpr_workgroup_id_z 0
		.amdhsa_system_sgpr_workgroup_info 0
		.amdhsa_system_vgpr_workitem_id 0
		.amdhsa_next_free_vgpr 1
		.amdhsa_next_free_sgpr 0
		.amdhsa_reserve_vcc 0
		.amdhsa_reserve_flat_scratch 0
		.amdhsa_float_round_mode_32 0
		.amdhsa_float_round_mode_16_64 0
		.amdhsa_float_denorm_mode_32 3
		.amdhsa_float_denorm_mode_16_64 3
		.amdhsa_dx10_clamp 1
		.amdhsa_ieee_mode 1
		.amdhsa_fp16_overflow 0
		.amdhsa_exception_fp_ieee_invalid_op 0
		.amdhsa_exception_fp_denorm_src 0
		.amdhsa_exception_fp_ieee_div_zero 0
		.amdhsa_exception_fp_ieee_overflow 0
		.amdhsa_exception_fp_ieee_underflow 0
		.amdhsa_exception_fp_ieee_inexact 0
		.amdhsa_exception_int_div_zero 0
	.end_amdhsa_kernel
	.section	.text._ZN7rocprim17ROCPRIM_400000_NS6detail17trampoline_kernelINS0_14default_configENS1_35radix_sort_onesweep_config_selectorIdlEEZZNS1_29radix_sort_onesweep_iterationIS3_Lb0EPdS7_N6thrust23THRUST_200600_302600_NS10device_ptrIlEESB_jNS0_19identity_decomposerENS1_16block_id_wrapperIjLb1EEEEE10hipError_tT1_PNSt15iterator_traitsISG_E10value_typeET2_T3_PNSH_ISM_E10value_typeET4_T5_PSR_SS_PNS1_23onesweep_lookback_stateEbbT6_jjT7_P12ihipStream_tbENKUlT_T0_SG_SL_E_clIS7_S7_SB_SB_EEDaSZ_S10_SG_SL_EUlSZ_E_NS1_11comp_targetILNS1_3genE9ELNS1_11target_archE1100ELNS1_3gpuE3ELNS1_3repE0EEENS1_47radix_sort_onesweep_sort_config_static_selectorELNS0_4arch9wavefront6targetE1EEEvSG_,"axG",@progbits,_ZN7rocprim17ROCPRIM_400000_NS6detail17trampoline_kernelINS0_14default_configENS1_35radix_sort_onesweep_config_selectorIdlEEZZNS1_29radix_sort_onesweep_iterationIS3_Lb0EPdS7_N6thrust23THRUST_200600_302600_NS10device_ptrIlEESB_jNS0_19identity_decomposerENS1_16block_id_wrapperIjLb1EEEEE10hipError_tT1_PNSt15iterator_traitsISG_E10value_typeET2_T3_PNSH_ISM_E10value_typeET4_T5_PSR_SS_PNS1_23onesweep_lookback_stateEbbT6_jjT7_P12ihipStream_tbENKUlT_T0_SG_SL_E_clIS7_S7_SB_SB_EEDaSZ_S10_SG_SL_EUlSZ_E_NS1_11comp_targetILNS1_3genE9ELNS1_11target_archE1100ELNS1_3gpuE3ELNS1_3repE0EEENS1_47radix_sort_onesweep_sort_config_static_selectorELNS0_4arch9wavefront6targetE1EEEvSG_,comdat
.Lfunc_end1623:
	.size	_ZN7rocprim17ROCPRIM_400000_NS6detail17trampoline_kernelINS0_14default_configENS1_35radix_sort_onesweep_config_selectorIdlEEZZNS1_29radix_sort_onesweep_iterationIS3_Lb0EPdS7_N6thrust23THRUST_200600_302600_NS10device_ptrIlEESB_jNS0_19identity_decomposerENS1_16block_id_wrapperIjLb1EEEEE10hipError_tT1_PNSt15iterator_traitsISG_E10value_typeET2_T3_PNSH_ISM_E10value_typeET4_T5_PSR_SS_PNS1_23onesweep_lookback_stateEbbT6_jjT7_P12ihipStream_tbENKUlT_T0_SG_SL_E_clIS7_S7_SB_SB_EEDaSZ_S10_SG_SL_EUlSZ_E_NS1_11comp_targetILNS1_3genE9ELNS1_11target_archE1100ELNS1_3gpuE3ELNS1_3repE0EEENS1_47radix_sort_onesweep_sort_config_static_selectorELNS0_4arch9wavefront6targetE1EEEvSG_, .Lfunc_end1623-_ZN7rocprim17ROCPRIM_400000_NS6detail17trampoline_kernelINS0_14default_configENS1_35radix_sort_onesweep_config_selectorIdlEEZZNS1_29radix_sort_onesweep_iterationIS3_Lb0EPdS7_N6thrust23THRUST_200600_302600_NS10device_ptrIlEESB_jNS0_19identity_decomposerENS1_16block_id_wrapperIjLb1EEEEE10hipError_tT1_PNSt15iterator_traitsISG_E10value_typeET2_T3_PNSH_ISM_E10value_typeET4_T5_PSR_SS_PNS1_23onesweep_lookback_stateEbbT6_jjT7_P12ihipStream_tbENKUlT_T0_SG_SL_E_clIS7_S7_SB_SB_EEDaSZ_S10_SG_SL_EUlSZ_E_NS1_11comp_targetILNS1_3genE9ELNS1_11target_archE1100ELNS1_3gpuE3ELNS1_3repE0EEENS1_47radix_sort_onesweep_sort_config_static_selectorELNS0_4arch9wavefront6targetE1EEEvSG_
                                        ; -- End function
	.set _ZN7rocprim17ROCPRIM_400000_NS6detail17trampoline_kernelINS0_14default_configENS1_35radix_sort_onesweep_config_selectorIdlEEZZNS1_29radix_sort_onesweep_iterationIS3_Lb0EPdS7_N6thrust23THRUST_200600_302600_NS10device_ptrIlEESB_jNS0_19identity_decomposerENS1_16block_id_wrapperIjLb1EEEEE10hipError_tT1_PNSt15iterator_traitsISG_E10value_typeET2_T3_PNSH_ISM_E10value_typeET4_T5_PSR_SS_PNS1_23onesweep_lookback_stateEbbT6_jjT7_P12ihipStream_tbENKUlT_T0_SG_SL_E_clIS7_S7_SB_SB_EEDaSZ_S10_SG_SL_EUlSZ_E_NS1_11comp_targetILNS1_3genE9ELNS1_11target_archE1100ELNS1_3gpuE3ELNS1_3repE0EEENS1_47radix_sort_onesweep_sort_config_static_selectorELNS0_4arch9wavefront6targetE1EEEvSG_.num_vgpr, 0
	.set _ZN7rocprim17ROCPRIM_400000_NS6detail17trampoline_kernelINS0_14default_configENS1_35radix_sort_onesweep_config_selectorIdlEEZZNS1_29radix_sort_onesweep_iterationIS3_Lb0EPdS7_N6thrust23THRUST_200600_302600_NS10device_ptrIlEESB_jNS0_19identity_decomposerENS1_16block_id_wrapperIjLb1EEEEE10hipError_tT1_PNSt15iterator_traitsISG_E10value_typeET2_T3_PNSH_ISM_E10value_typeET4_T5_PSR_SS_PNS1_23onesweep_lookback_stateEbbT6_jjT7_P12ihipStream_tbENKUlT_T0_SG_SL_E_clIS7_S7_SB_SB_EEDaSZ_S10_SG_SL_EUlSZ_E_NS1_11comp_targetILNS1_3genE9ELNS1_11target_archE1100ELNS1_3gpuE3ELNS1_3repE0EEENS1_47radix_sort_onesweep_sort_config_static_selectorELNS0_4arch9wavefront6targetE1EEEvSG_.num_agpr, 0
	.set _ZN7rocprim17ROCPRIM_400000_NS6detail17trampoline_kernelINS0_14default_configENS1_35radix_sort_onesweep_config_selectorIdlEEZZNS1_29radix_sort_onesweep_iterationIS3_Lb0EPdS7_N6thrust23THRUST_200600_302600_NS10device_ptrIlEESB_jNS0_19identity_decomposerENS1_16block_id_wrapperIjLb1EEEEE10hipError_tT1_PNSt15iterator_traitsISG_E10value_typeET2_T3_PNSH_ISM_E10value_typeET4_T5_PSR_SS_PNS1_23onesweep_lookback_stateEbbT6_jjT7_P12ihipStream_tbENKUlT_T0_SG_SL_E_clIS7_S7_SB_SB_EEDaSZ_S10_SG_SL_EUlSZ_E_NS1_11comp_targetILNS1_3genE9ELNS1_11target_archE1100ELNS1_3gpuE3ELNS1_3repE0EEENS1_47radix_sort_onesweep_sort_config_static_selectorELNS0_4arch9wavefront6targetE1EEEvSG_.numbered_sgpr, 0
	.set _ZN7rocprim17ROCPRIM_400000_NS6detail17trampoline_kernelINS0_14default_configENS1_35radix_sort_onesweep_config_selectorIdlEEZZNS1_29radix_sort_onesweep_iterationIS3_Lb0EPdS7_N6thrust23THRUST_200600_302600_NS10device_ptrIlEESB_jNS0_19identity_decomposerENS1_16block_id_wrapperIjLb1EEEEE10hipError_tT1_PNSt15iterator_traitsISG_E10value_typeET2_T3_PNSH_ISM_E10value_typeET4_T5_PSR_SS_PNS1_23onesweep_lookback_stateEbbT6_jjT7_P12ihipStream_tbENKUlT_T0_SG_SL_E_clIS7_S7_SB_SB_EEDaSZ_S10_SG_SL_EUlSZ_E_NS1_11comp_targetILNS1_3genE9ELNS1_11target_archE1100ELNS1_3gpuE3ELNS1_3repE0EEENS1_47radix_sort_onesweep_sort_config_static_selectorELNS0_4arch9wavefront6targetE1EEEvSG_.num_named_barrier, 0
	.set _ZN7rocprim17ROCPRIM_400000_NS6detail17trampoline_kernelINS0_14default_configENS1_35radix_sort_onesweep_config_selectorIdlEEZZNS1_29radix_sort_onesweep_iterationIS3_Lb0EPdS7_N6thrust23THRUST_200600_302600_NS10device_ptrIlEESB_jNS0_19identity_decomposerENS1_16block_id_wrapperIjLb1EEEEE10hipError_tT1_PNSt15iterator_traitsISG_E10value_typeET2_T3_PNSH_ISM_E10value_typeET4_T5_PSR_SS_PNS1_23onesweep_lookback_stateEbbT6_jjT7_P12ihipStream_tbENKUlT_T0_SG_SL_E_clIS7_S7_SB_SB_EEDaSZ_S10_SG_SL_EUlSZ_E_NS1_11comp_targetILNS1_3genE9ELNS1_11target_archE1100ELNS1_3gpuE3ELNS1_3repE0EEENS1_47radix_sort_onesweep_sort_config_static_selectorELNS0_4arch9wavefront6targetE1EEEvSG_.private_seg_size, 0
	.set _ZN7rocprim17ROCPRIM_400000_NS6detail17trampoline_kernelINS0_14default_configENS1_35radix_sort_onesweep_config_selectorIdlEEZZNS1_29radix_sort_onesweep_iterationIS3_Lb0EPdS7_N6thrust23THRUST_200600_302600_NS10device_ptrIlEESB_jNS0_19identity_decomposerENS1_16block_id_wrapperIjLb1EEEEE10hipError_tT1_PNSt15iterator_traitsISG_E10value_typeET2_T3_PNSH_ISM_E10value_typeET4_T5_PSR_SS_PNS1_23onesweep_lookback_stateEbbT6_jjT7_P12ihipStream_tbENKUlT_T0_SG_SL_E_clIS7_S7_SB_SB_EEDaSZ_S10_SG_SL_EUlSZ_E_NS1_11comp_targetILNS1_3genE9ELNS1_11target_archE1100ELNS1_3gpuE3ELNS1_3repE0EEENS1_47radix_sort_onesweep_sort_config_static_selectorELNS0_4arch9wavefront6targetE1EEEvSG_.uses_vcc, 0
	.set _ZN7rocprim17ROCPRIM_400000_NS6detail17trampoline_kernelINS0_14default_configENS1_35radix_sort_onesweep_config_selectorIdlEEZZNS1_29radix_sort_onesweep_iterationIS3_Lb0EPdS7_N6thrust23THRUST_200600_302600_NS10device_ptrIlEESB_jNS0_19identity_decomposerENS1_16block_id_wrapperIjLb1EEEEE10hipError_tT1_PNSt15iterator_traitsISG_E10value_typeET2_T3_PNSH_ISM_E10value_typeET4_T5_PSR_SS_PNS1_23onesweep_lookback_stateEbbT6_jjT7_P12ihipStream_tbENKUlT_T0_SG_SL_E_clIS7_S7_SB_SB_EEDaSZ_S10_SG_SL_EUlSZ_E_NS1_11comp_targetILNS1_3genE9ELNS1_11target_archE1100ELNS1_3gpuE3ELNS1_3repE0EEENS1_47radix_sort_onesweep_sort_config_static_selectorELNS0_4arch9wavefront6targetE1EEEvSG_.uses_flat_scratch, 0
	.set _ZN7rocprim17ROCPRIM_400000_NS6detail17trampoline_kernelINS0_14default_configENS1_35radix_sort_onesweep_config_selectorIdlEEZZNS1_29radix_sort_onesweep_iterationIS3_Lb0EPdS7_N6thrust23THRUST_200600_302600_NS10device_ptrIlEESB_jNS0_19identity_decomposerENS1_16block_id_wrapperIjLb1EEEEE10hipError_tT1_PNSt15iterator_traitsISG_E10value_typeET2_T3_PNSH_ISM_E10value_typeET4_T5_PSR_SS_PNS1_23onesweep_lookback_stateEbbT6_jjT7_P12ihipStream_tbENKUlT_T0_SG_SL_E_clIS7_S7_SB_SB_EEDaSZ_S10_SG_SL_EUlSZ_E_NS1_11comp_targetILNS1_3genE9ELNS1_11target_archE1100ELNS1_3gpuE3ELNS1_3repE0EEENS1_47radix_sort_onesweep_sort_config_static_selectorELNS0_4arch9wavefront6targetE1EEEvSG_.has_dyn_sized_stack, 0
	.set _ZN7rocprim17ROCPRIM_400000_NS6detail17trampoline_kernelINS0_14default_configENS1_35radix_sort_onesweep_config_selectorIdlEEZZNS1_29radix_sort_onesweep_iterationIS3_Lb0EPdS7_N6thrust23THRUST_200600_302600_NS10device_ptrIlEESB_jNS0_19identity_decomposerENS1_16block_id_wrapperIjLb1EEEEE10hipError_tT1_PNSt15iterator_traitsISG_E10value_typeET2_T3_PNSH_ISM_E10value_typeET4_T5_PSR_SS_PNS1_23onesweep_lookback_stateEbbT6_jjT7_P12ihipStream_tbENKUlT_T0_SG_SL_E_clIS7_S7_SB_SB_EEDaSZ_S10_SG_SL_EUlSZ_E_NS1_11comp_targetILNS1_3genE9ELNS1_11target_archE1100ELNS1_3gpuE3ELNS1_3repE0EEENS1_47radix_sort_onesweep_sort_config_static_selectorELNS0_4arch9wavefront6targetE1EEEvSG_.has_recursion, 0
	.set _ZN7rocprim17ROCPRIM_400000_NS6detail17trampoline_kernelINS0_14default_configENS1_35radix_sort_onesweep_config_selectorIdlEEZZNS1_29radix_sort_onesweep_iterationIS3_Lb0EPdS7_N6thrust23THRUST_200600_302600_NS10device_ptrIlEESB_jNS0_19identity_decomposerENS1_16block_id_wrapperIjLb1EEEEE10hipError_tT1_PNSt15iterator_traitsISG_E10value_typeET2_T3_PNSH_ISM_E10value_typeET4_T5_PSR_SS_PNS1_23onesweep_lookback_stateEbbT6_jjT7_P12ihipStream_tbENKUlT_T0_SG_SL_E_clIS7_S7_SB_SB_EEDaSZ_S10_SG_SL_EUlSZ_E_NS1_11comp_targetILNS1_3genE9ELNS1_11target_archE1100ELNS1_3gpuE3ELNS1_3repE0EEENS1_47radix_sort_onesweep_sort_config_static_selectorELNS0_4arch9wavefront6targetE1EEEvSG_.has_indirect_call, 0
	.section	.AMDGPU.csdata,"",@progbits
; Kernel info:
; codeLenInByte = 0
; TotalNumSgprs: 4
; NumVgprs: 0
; ScratchSize: 0
; MemoryBound: 0
; FloatMode: 240
; IeeeMode: 1
; LDSByteSize: 0 bytes/workgroup (compile time only)
; SGPRBlocks: 0
; VGPRBlocks: 0
; NumSGPRsForWavesPerEU: 4
; NumVGPRsForWavesPerEU: 1
; Occupancy: 10
; WaveLimiterHint : 0
; COMPUTE_PGM_RSRC2:SCRATCH_EN: 0
; COMPUTE_PGM_RSRC2:USER_SGPR: 6
; COMPUTE_PGM_RSRC2:TRAP_HANDLER: 0
; COMPUTE_PGM_RSRC2:TGID_X_EN: 1
; COMPUTE_PGM_RSRC2:TGID_Y_EN: 0
; COMPUTE_PGM_RSRC2:TGID_Z_EN: 0
; COMPUTE_PGM_RSRC2:TIDIG_COMP_CNT: 0
	.section	.text._ZN7rocprim17ROCPRIM_400000_NS6detail17trampoline_kernelINS0_14default_configENS1_35radix_sort_onesweep_config_selectorIdlEEZZNS1_29radix_sort_onesweep_iterationIS3_Lb0EPdS7_N6thrust23THRUST_200600_302600_NS10device_ptrIlEESB_jNS0_19identity_decomposerENS1_16block_id_wrapperIjLb1EEEEE10hipError_tT1_PNSt15iterator_traitsISG_E10value_typeET2_T3_PNSH_ISM_E10value_typeET4_T5_PSR_SS_PNS1_23onesweep_lookback_stateEbbT6_jjT7_P12ihipStream_tbENKUlT_T0_SG_SL_E_clIS7_S7_SB_SB_EEDaSZ_S10_SG_SL_EUlSZ_E_NS1_11comp_targetILNS1_3genE8ELNS1_11target_archE1030ELNS1_3gpuE2ELNS1_3repE0EEENS1_47radix_sort_onesweep_sort_config_static_selectorELNS0_4arch9wavefront6targetE1EEEvSG_,"axG",@progbits,_ZN7rocprim17ROCPRIM_400000_NS6detail17trampoline_kernelINS0_14default_configENS1_35radix_sort_onesweep_config_selectorIdlEEZZNS1_29radix_sort_onesweep_iterationIS3_Lb0EPdS7_N6thrust23THRUST_200600_302600_NS10device_ptrIlEESB_jNS0_19identity_decomposerENS1_16block_id_wrapperIjLb1EEEEE10hipError_tT1_PNSt15iterator_traitsISG_E10value_typeET2_T3_PNSH_ISM_E10value_typeET4_T5_PSR_SS_PNS1_23onesweep_lookback_stateEbbT6_jjT7_P12ihipStream_tbENKUlT_T0_SG_SL_E_clIS7_S7_SB_SB_EEDaSZ_S10_SG_SL_EUlSZ_E_NS1_11comp_targetILNS1_3genE8ELNS1_11target_archE1030ELNS1_3gpuE2ELNS1_3repE0EEENS1_47radix_sort_onesweep_sort_config_static_selectorELNS0_4arch9wavefront6targetE1EEEvSG_,comdat
	.protected	_ZN7rocprim17ROCPRIM_400000_NS6detail17trampoline_kernelINS0_14default_configENS1_35radix_sort_onesweep_config_selectorIdlEEZZNS1_29radix_sort_onesweep_iterationIS3_Lb0EPdS7_N6thrust23THRUST_200600_302600_NS10device_ptrIlEESB_jNS0_19identity_decomposerENS1_16block_id_wrapperIjLb1EEEEE10hipError_tT1_PNSt15iterator_traitsISG_E10value_typeET2_T3_PNSH_ISM_E10value_typeET4_T5_PSR_SS_PNS1_23onesweep_lookback_stateEbbT6_jjT7_P12ihipStream_tbENKUlT_T0_SG_SL_E_clIS7_S7_SB_SB_EEDaSZ_S10_SG_SL_EUlSZ_E_NS1_11comp_targetILNS1_3genE8ELNS1_11target_archE1030ELNS1_3gpuE2ELNS1_3repE0EEENS1_47radix_sort_onesweep_sort_config_static_selectorELNS0_4arch9wavefront6targetE1EEEvSG_ ; -- Begin function _ZN7rocprim17ROCPRIM_400000_NS6detail17trampoline_kernelINS0_14default_configENS1_35radix_sort_onesweep_config_selectorIdlEEZZNS1_29radix_sort_onesweep_iterationIS3_Lb0EPdS7_N6thrust23THRUST_200600_302600_NS10device_ptrIlEESB_jNS0_19identity_decomposerENS1_16block_id_wrapperIjLb1EEEEE10hipError_tT1_PNSt15iterator_traitsISG_E10value_typeET2_T3_PNSH_ISM_E10value_typeET4_T5_PSR_SS_PNS1_23onesweep_lookback_stateEbbT6_jjT7_P12ihipStream_tbENKUlT_T0_SG_SL_E_clIS7_S7_SB_SB_EEDaSZ_S10_SG_SL_EUlSZ_E_NS1_11comp_targetILNS1_3genE8ELNS1_11target_archE1030ELNS1_3gpuE2ELNS1_3repE0EEENS1_47radix_sort_onesweep_sort_config_static_selectorELNS0_4arch9wavefront6targetE1EEEvSG_
	.globl	_ZN7rocprim17ROCPRIM_400000_NS6detail17trampoline_kernelINS0_14default_configENS1_35radix_sort_onesweep_config_selectorIdlEEZZNS1_29radix_sort_onesweep_iterationIS3_Lb0EPdS7_N6thrust23THRUST_200600_302600_NS10device_ptrIlEESB_jNS0_19identity_decomposerENS1_16block_id_wrapperIjLb1EEEEE10hipError_tT1_PNSt15iterator_traitsISG_E10value_typeET2_T3_PNSH_ISM_E10value_typeET4_T5_PSR_SS_PNS1_23onesweep_lookback_stateEbbT6_jjT7_P12ihipStream_tbENKUlT_T0_SG_SL_E_clIS7_S7_SB_SB_EEDaSZ_S10_SG_SL_EUlSZ_E_NS1_11comp_targetILNS1_3genE8ELNS1_11target_archE1030ELNS1_3gpuE2ELNS1_3repE0EEENS1_47radix_sort_onesweep_sort_config_static_selectorELNS0_4arch9wavefront6targetE1EEEvSG_
	.p2align	8
	.type	_ZN7rocprim17ROCPRIM_400000_NS6detail17trampoline_kernelINS0_14default_configENS1_35radix_sort_onesweep_config_selectorIdlEEZZNS1_29radix_sort_onesweep_iterationIS3_Lb0EPdS7_N6thrust23THRUST_200600_302600_NS10device_ptrIlEESB_jNS0_19identity_decomposerENS1_16block_id_wrapperIjLb1EEEEE10hipError_tT1_PNSt15iterator_traitsISG_E10value_typeET2_T3_PNSH_ISM_E10value_typeET4_T5_PSR_SS_PNS1_23onesweep_lookback_stateEbbT6_jjT7_P12ihipStream_tbENKUlT_T0_SG_SL_E_clIS7_S7_SB_SB_EEDaSZ_S10_SG_SL_EUlSZ_E_NS1_11comp_targetILNS1_3genE8ELNS1_11target_archE1030ELNS1_3gpuE2ELNS1_3repE0EEENS1_47radix_sort_onesweep_sort_config_static_selectorELNS0_4arch9wavefront6targetE1EEEvSG_,@function
_ZN7rocprim17ROCPRIM_400000_NS6detail17trampoline_kernelINS0_14default_configENS1_35radix_sort_onesweep_config_selectorIdlEEZZNS1_29radix_sort_onesweep_iterationIS3_Lb0EPdS7_N6thrust23THRUST_200600_302600_NS10device_ptrIlEESB_jNS0_19identity_decomposerENS1_16block_id_wrapperIjLb1EEEEE10hipError_tT1_PNSt15iterator_traitsISG_E10value_typeET2_T3_PNSH_ISM_E10value_typeET4_T5_PSR_SS_PNS1_23onesweep_lookback_stateEbbT6_jjT7_P12ihipStream_tbENKUlT_T0_SG_SL_E_clIS7_S7_SB_SB_EEDaSZ_S10_SG_SL_EUlSZ_E_NS1_11comp_targetILNS1_3genE8ELNS1_11target_archE1030ELNS1_3gpuE2ELNS1_3repE0EEENS1_47radix_sort_onesweep_sort_config_static_selectorELNS0_4arch9wavefront6targetE1EEEvSG_: ; @_ZN7rocprim17ROCPRIM_400000_NS6detail17trampoline_kernelINS0_14default_configENS1_35radix_sort_onesweep_config_selectorIdlEEZZNS1_29radix_sort_onesweep_iterationIS3_Lb0EPdS7_N6thrust23THRUST_200600_302600_NS10device_ptrIlEESB_jNS0_19identity_decomposerENS1_16block_id_wrapperIjLb1EEEEE10hipError_tT1_PNSt15iterator_traitsISG_E10value_typeET2_T3_PNSH_ISM_E10value_typeET4_T5_PSR_SS_PNS1_23onesweep_lookback_stateEbbT6_jjT7_P12ihipStream_tbENKUlT_T0_SG_SL_E_clIS7_S7_SB_SB_EEDaSZ_S10_SG_SL_EUlSZ_E_NS1_11comp_targetILNS1_3genE8ELNS1_11target_archE1030ELNS1_3gpuE2ELNS1_3repE0EEENS1_47radix_sort_onesweep_sort_config_static_selectorELNS0_4arch9wavefront6targetE1EEEvSG_
; %bb.0:
	.section	.rodata,"a",@progbits
	.p2align	6, 0x0
	.amdhsa_kernel _ZN7rocprim17ROCPRIM_400000_NS6detail17trampoline_kernelINS0_14default_configENS1_35radix_sort_onesweep_config_selectorIdlEEZZNS1_29radix_sort_onesweep_iterationIS3_Lb0EPdS7_N6thrust23THRUST_200600_302600_NS10device_ptrIlEESB_jNS0_19identity_decomposerENS1_16block_id_wrapperIjLb1EEEEE10hipError_tT1_PNSt15iterator_traitsISG_E10value_typeET2_T3_PNSH_ISM_E10value_typeET4_T5_PSR_SS_PNS1_23onesweep_lookback_stateEbbT6_jjT7_P12ihipStream_tbENKUlT_T0_SG_SL_E_clIS7_S7_SB_SB_EEDaSZ_S10_SG_SL_EUlSZ_E_NS1_11comp_targetILNS1_3genE8ELNS1_11target_archE1030ELNS1_3gpuE2ELNS1_3repE0EEENS1_47radix_sort_onesweep_sort_config_static_selectorELNS0_4arch9wavefront6targetE1EEEvSG_
		.amdhsa_group_segment_fixed_size 0
		.amdhsa_private_segment_fixed_size 0
		.amdhsa_kernarg_size 88
		.amdhsa_user_sgpr_count 6
		.amdhsa_user_sgpr_private_segment_buffer 1
		.amdhsa_user_sgpr_dispatch_ptr 0
		.amdhsa_user_sgpr_queue_ptr 0
		.amdhsa_user_sgpr_kernarg_segment_ptr 1
		.amdhsa_user_sgpr_dispatch_id 0
		.amdhsa_user_sgpr_flat_scratch_init 0
		.amdhsa_user_sgpr_private_segment_size 0
		.amdhsa_uses_dynamic_stack 0
		.amdhsa_system_sgpr_private_segment_wavefront_offset 0
		.amdhsa_system_sgpr_workgroup_id_x 1
		.amdhsa_system_sgpr_workgroup_id_y 0
		.amdhsa_system_sgpr_workgroup_id_z 0
		.amdhsa_system_sgpr_workgroup_info 0
		.amdhsa_system_vgpr_workitem_id 0
		.amdhsa_next_free_vgpr 1
		.amdhsa_next_free_sgpr 0
		.amdhsa_reserve_vcc 0
		.amdhsa_reserve_flat_scratch 0
		.amdhsa_float_round_mode_32 0
		.amdhsa_float_round_mode_16_64 0
		.amdhsa_float_denorm_mode_32 3
		.amdhsa_float_denorm_mode_16_64 3
		.amdhsa_dx10_clamp 1
		.amdhsa_ieee_mode 1
		.amdhsa_fp16_overflow 0
		.amdhsa_exception_fp_ieee_invalid_op 0
		.amdhsa_exception_fp_denorm_src 0
		.amdhsa_exception_fp_ieee_div_zero 0
		.amdhsa_exception_fp_ieee_overflow 0
		.amdhsa_exception_fp_ieee_underflow 0
		.amdhsa_exception_fp_ieee_inexact 0
		.amdhsa_exception_int_div_zero 0
	.end_amdhsa_kernel
	.section	.text._ZN7rocprim17ROCPRIM_400000_NS6detail17trampoline_kernelINS0_14default_configENS1_35radix_sort_onesweep_config_selectorIdlEEZZNS1_29radix_sort_onesweep_iterationIS3_Lb0EPdS7_N6thrust23THRUST_200600_302600_NS10device_ptrIlEESB_jNS0_19identity_decomposerENS1_16block_id_wrapperIjLb1EEEEE10hipError_tT1_PNSt15iterator_traitsISG_E10value_typeET2_T3_PNSH_ISM_E10value_typeET4_T5_PSR_SS_PNS1_23onesweep_lookback_stateEbbT6_jjT7_P12ihipStream_tbENKUlT_T0_SG_SL_E_clIS7_S7_SB_SB_EEDaSZ_S10_SG_SL_EUlSZ_E_NS1_11comp_targetILNS1_3genE8ELNS1_11target_archE1030ELNS1_3gpuE2ELNS1_3repE0EEENS1_47radix_sort_onesweep_sort_config_static_selectorELNS0_4arch9wavefront6targetE1EEEvSG_,"axG",@progbits,_ZN7rocprim17ROCPRIM_400000_NS6detail17trampoline_kernelINS0_14default_configENS1_35radix_sort_onesweep_config_selectorIdlEEZZNS1_29radix_sort_onesweep_iterationIS3_Lb0EPdS7_N6thrust23THRUST_200600_302600_NS10device_ptrIlEESB_jNS0_19identity_decomposerENS1_16block_id_wrapperIjLb1EEEEE10hipError_tT1_PNSt15iterator_traitsISG_E10value_typeET2_T3_PNSH_ISM_E10value_typeET4_T5_PSR_SS_PNS1_23onesweep_lookback_stateEbbT6_jjT7_P12ihipStream_tbENKUlT_T0_SG_SL_E_clIS7_S7_SB_SB_EEDaSZ_S10_SG_SL_EUlSZ_E_NS1_11comp_targetILNS1_3genE8ELNS1_11target_archE1030ELNS1_3gpuE2ELNS1_3repE0EEENS1_47radix_sort_onesweep_sort_config_static_selectorELNS0_4arch9wavefront6targetE1EEEvSG_,comdat
.Lfunc_end1624:
	.size	_ZN7rocprim17ROCPRIM_400000_NS6detail17trampoline_kernelINS0_14default_configENS1_35radix_sort_onesweep_config_selectorIdlEEZZNS1_29radix_sort_onesweep_iterationIS3_Lb0EPdS7_N6thrust23THRUST_200600_302600_NS10device_ptrIlEESB_jNS0_19identity_decomposerENS1_16block_id_wrapperIjLb1EEEEE10hipError_tT1_PNSt15iterator_traitsISG_E10value_typeET2_T3_PNSH_ISM_E10value_typeET4_T5_PSR_SS_PNS1_23onesweep_lookback_stateEbbT6_jjT7_P12ihipStream_tbENKUlT_T0_SG_SL_E_clIS7_S7_SB_SB_EEDaSZ_S10_SG_SL_EUlSZ_E_NS1_11comp_targetILNS1_3genE8ELNS1_11target_archE1030ELNS1_3gpuE2ELNS1_3repE0EEENS1_47radix_sort_onesweep_sort_config_static_selectorELNS0_4arch9wavefront6targetE1EEEvSG_, .Lfunc_end1624-_ZN7rocprim17ROCPRIM_400000_NS6detail17trampoline_kernelINS0_14default_configENS1_35radix_sort_onesweep_config_selectorIdlEEZZNS1_29radix_sort_onesweep_iterationIS3_Lb0EPdS7_N6thrust23THRUST_200600_302600_NS10device_ptrIlEESB_jNS0_19identity_decomposerENS1_16block_id_wrapperIjLb1EEEEE10hipError_tT1_PNSt15iterator_traitsISG_E10value_typeET2_T3_PNSH_ISM_E10value_typeET4_T5_PSR_SS_PNS1_23onesweep_lookback_stateEbbT6_jjT7_P12ihipStream_tbENKUlT_T0_SG_SL_E_clIS7_S7_SB_SB_EEDaSZ_S10_SG_SL_EUlSZ_E_NS1_11comp_targetILNS1_3genE8ELNS1_11target_archE1030ELNS1_3gpuE2ELNS1_3repE0EEENS1_47radix_sort_onesweep_sort_config_static_selectorELNS0_4arch9wavefront6targetE1EEEvSG_
                                        ; -- End function
	.set _ZN7rocprim17ROCPRIM_400000_NS6detail17trampoline_kernelINS0_14default_configENS1_35radix_sort_onesweep_config_selectorIdlEEZZNS1_29radix_sort_onesweep_iterationIS3_Lb0EPdS7_N6thrust23THRUST_200600_302600_NS10device_ptrIlEESB_jNS0_19identity_decomposerENS1_16block_id_wrapperIjLb1EEEEE10hipError_tT1_PNSt15iterator_traitsISG_E10value_typeET2_T3_PNSH_ISM_E10value_typeET4_T5_PSR_SS_PNS1_23onesweep_lookback_stateEbbT6_jjT7_P12ihipStream_tbENKUlT_T0_SG_SL_E_clIS7_S7_SB_SB_EEDaSZ_S10_SG_SL_EUlSZ_E_NS1_11comp_targetILNS1_3genE8ELNS1_11target_archE1030ELNS1_3gpuE2ELNS1_3repE0EEENS1_47radix_sort_onesweep_sort_config_static_selectorELNS0_4arch9wavefront6targetE1EEEvSG_.num_vgpr, 0
	.set _ZN7rocprim17ROCPRIM_400000_NS6detail17trampoline_kernelINS0_14default_configENS1_35radix_sort_onesweep_config_selectorIdlEEZZNS1_29radix_sort_onesweep_iterationIS3_Lb0EPdS7_N6thrust23THRUST_200600_302600_NS10device_ptrIlEESB_jNS0_19identity_decomposerENS1_16block_id_wrapperIjLb1EEEEE10hipError_tT1_PNSt15iterator_traitsISG_E10value_typeET2_T3_PNSH_ISM_E10value_typeET4_T5_PSR_SS_PNS1_23onesweep_lookback_stateEbbT6_jjT7_P12ihipStream_tbENKUlT_T0_SG_SL_E_clIS7_S7_SB_SB_EEDaSZ_S10_SG_SL_EUlSZ_E_NS1_11comp_targetILNS1_3genE8ELNS1_11target_archE1030ELNS1_3gpuE2ELNS1_3repE0EEENS1_47radix_sort_onesweep_sort_config_static_selectorELNS0_4arch9wavefront6targetE1EEEvSG_.num_agpr, 0
	.set _ZN7rocprim17ROCPRIM_400000_NS6detail17trampoline_kernelINS0_14default_configENS1_35radix_sort_onesweep_config_selectorIdlEEZZNS1_29radix_sort_onesweep_iterationIS3_Lb0EPdS7_N6thrust23THRUST_200600_302600_NS10device_ptrIlEESB_jNS0_19identity_decomposerENS1_16block_id_wrapperIjLb1EEEEE10hipError_tT1_PNSt15iterator_traitsISG_E10value_typeET2_T3_PNSH_ISM_E10value_typeET4_T5_PSR_SS_PNS1_23onesweep_lookback_stateEbbT6_jjT7_P12ihipStream_tbENKUlT_T0_SG_SL_E_clIS7_S7_SB_SB_EEDaSZ_S10_SG_SL_EUlSZ_E_NS1_11comp_targetILNS1_3genE8ELNS1_11target_archE1030ELNS1_3gpuE2ELNS1_3repE0EEENS1_47radix_sort_onesweep_sort_config_static_selectorELNS0_4arch9wavefront6targetE1EEEvSG_.numbered_sgpr, 0
	.set _ZN7rocprim17ROCPRIM_400000_NS6detail17trampoline_kernelINS0_14default_configENS1_35radix_sort_onesweep_config_selectorIdlEEZZNS1_29radix_sort_onesweep_iterationIS3_Lb0EPdS7_N6thrust23THRUST_200600_302600_NS10device_ptrIlEESB_jNS0_19identity_decomposerENS1_16block_id_wrapperIjLb1EEEEE10hipError_tT1_PNSt15iterator_traitsISG_E10value_typeET2_T3_PNSH_ISM_E10value_typeET4_T5_PSR_SS_PNS1_23onesweep_lookback_stateEbbT6_jjT7_P12ihipStream_tbENKUlT_T0_SG_SL_E_clIS7_S7_SB_SB_EEDaSZ_S10_SG_SL_EUlSZ_E_NS1_11comp_targetILNS1_3genE8ELNS1_11target_archE1030ELNS1_3gpuE2ELNS1_3repE0EEENS1_47radix_sort_onesweep_sort_config_static_selectorELNS0_4arch9wavefront6targetE1EEEvSG_.num_named_barrier, 0
	.set _ZN7rocprim17ROCPRIM_400000_NS6detail17trampoline_kernelINS0_14default_configENS1_35radix_sort_onesweep_config_selectorIdlEEZZNS1_29radix_sort_onesweep_iterationIS3_Lb0EPdS7_N6thrust23THRUST_200600_302600_NS10device_ptrIlEESB_jNS0_19identity_decomposerENS1_16block_id_wrapperIjLb1EEEEE10hipError_tT1_PNSt15iterator_traitsISG_E10value_typeET2_T3_PNSH_ISM_E10value_typeET4_T5_PSR_SS_PNS1_23onesweep_lookback_stateEbbT6_jjT7_P12ihipStream_tbENKUlT_T0_SG_SL_E_clIS7_S7_SB_SB_EEDaSZ_S10_SG_SL_EUlSZ_E_NS1_11comp_targetILNS1_3genE8ELNS1_11target_archE1030ELNS1_3gpuE2ELNS1_3repE0EEENS1_47radix_sort_onesweep_sort_config_static_selectorELNS0_4arch9wavefront6targetE1EEEvSG_.private_seg_size, 0
	.set _ZN7rocprim17ROCPRIM_400000_NS6detail17trampoline_kernelINS0_14default_configENS1_35radix_sort_onesweep_config_selectorIdlEEZZNS1_29radix_sort_onesweep_iterationIS3_Lb0EPdS7_N6thrust23THRUST_200600_302600_NS10device_ptrIlEESB_jNS0_19identity_decomposerENS1_16block_id_wrapperIjLb1EEEEE10hipError_tT1_PNSt15iterator_traitsISG_E10value_typeET2_T3_PNSH_ISM_E10value_typeET4_T5_PSR_SS_PNS1_23onesweep_lookback_stateEbbT6_jjT7_P12ihipStream_tbENKUlT_T0_SG_SL_E_clIS7_S7_SB_SB_EEDaSZ_S10_SG_SL_EUlSZ_E_NS1_11comp_targetILNS1_3genE8ELNS1_11target_archE1030ELNS1_3gpuE2ELNS1_3repE0EEENS1_47radix_sort_onesweep_sort_config_static_selectorELNS0_4arch9wavefront6targetE1EEEvSG_.uses_vcc, 0
	.set _ZN7rocprim17ROCPRIM_400000_NS6detail17trampoline_kernelINS0_14default_configENS1_35radix_sort_onesweep_config_selectorIdlEEZZNS1_29radix_sort_onesweep_iterationIS3_Lb0EPdS7_N6thrust23THRUST_200600_302600_NS10device_ptrIlEESB_jNS0_19identity_decomposerENS1_16block_id_wrapperIjLb1EEEEE10hipError_tT1_PNSt15iterator_traitsISG_E10value_typeET2_T3_PNSH_ISM_E10value_typeET4_T5_PSR_SS_PNS1_23onesweep_lookback_stateEbbT6_jjT7_P12ihipStream_tbENKUlT_T0_SG_SL_E_clIS7_S7_SB_SB_EEDaSZ_S10_SG_SL_EUlSZ_E_NS1_11comp_targetILNS1_3genE8ELNS1_11target_archE1030ELNS1_3gpuE2ELNS1_3repE0EEENS1_47radix_sort_onesweep_sort_config_static_selectorELNS0_4arch9wavefront6targetE1EEEvSG_.uses_flat_scratch, 0
	.set _ZN7rocprim17ROCPRIM_400000_NS6detail17trampoline_kernelINS0_14default_configENS1_35radix_sort_onesweep_config_selectorIdlEEZZNS1_29radix_sort_onesweep_iterationIS3_Lb0EPdS7_N6thrust23THRUST_200600_302600_NS10device_ptrIlEESB_jNS0_19identity_decomposerENS1_16block_id_wrapperIjLb1EEEEE10hipError_tT1_PNSt15iterator_traitsISG_E10value_typeET2_T3_PNSH_ISM_E10value_typeET4_T5_PSR_SS_PNS1_23onesweep_lookback_stateEbbT6_jjT7_P12ihipStream_tbENKUlT_T0_SG_SL_E_clIS7_S7_SB_SB_EEDaSZ_S10_SG_SL_EUlSZ_E_NS1_11comp_targetILNS1_3genE8ELNS1_11target_archE1030ELNS1_3gpuE2ELNS1_3repE0EEENS1_47radix_sort_onesweep_sort_config_static_selectorELNS0_4arch9wavefront6targetE1EEEvSG_.has_dyn_sized_stack, 0
	.set _ZN7rocprim17ROCPRIM_400000_NS6detail17trampoline_kernelINS0_14default_configENS1_35radix_sort_onesweep_config_selectorIdlEEZZNS1_29radix_sort_onesweep_iterationIS3_Lb0EPdS7_N6thrust23THRUST_200600_302600_NS10device_ptrIlEESB_jNS0_19identity_decomposerENS1_16block_id_wrapperIjLb1EEEEE10hipError_tT1_PNSt15iterator_traitsISG_E10value_typeET2_T3_PNSH_ISM_E10value_typeET4_T5_PSR_SS_PNS1_23onesweep_lookback_stateEbbT6_jjT7_P12ihipStream_tbENKUlT_T0_SG_SL_E_clIS7_S7_SB_SB_EEDaSZ_S10_SG_SL_EUlSZ_E_NS1_11comp_targetILNS1_3genE8ELNS1_11target_archE1030ELNS1_3gpuE2ELNS1_3repE0EEENS1_47radix_sort_onesweep_sort_config_static_selectorELNS0_4arch9wavefront6targetE1EEEvSG_.has_recursion, 0
	.set _ZN7rocprim17ROCPRIM_400000_NS6detail17trampoline_kernelINS0_14default_configENS1_35radix_sort_onesweep_config_selectorIdlEEZZNS1_29radix_sort_onesweep_iterationIS3_Lb0EPdS7_N6thrust23THRUST_200600_302600_NS10device_ptrIlEESB_jNS0_19identity_decomposerENS1_16block_id_wrapperIjLb1EEEEE10hipError_tT1_PNSt15iterator_traitsISG_E10value_typeET2_T3_PNSH_ISM_E10value_typeET4_T5_PSR_SS_PNS1_23onesweep_lookback_stateEbbT6_jjT7_P12ihipStream_tbENKUlT_T0_SG_SL_E_clIS7_S7_SB_SB_EEDaSZ_S10_SG_SL_EUlSZ_E_NS1_11comp_targetILNS1_3genE8ELNS1_11target_archE1030ELNS1_3gpuE2ELNS1_3repE0EEENS1_47radix_sort_onesweep_sort_config_static_selectorELNS0_4arch9wavefront6targetE1EEEvSG_.has_indirect_call, 0
	.section	.AMDGPU.csdata,"",@progbits
; Kernel info:
; codeLenInByte = 0
; TotalNumSgprs: 4
; NumVgprs: 0
; ScratchSize: 0
; MemoryBound: 0
; FloatMode: 240
; IeeeMode: 1
; LDSByteSize: 0 bytes/workgroup (compile time only)
; SGPRBlocks: 0
; VGPRBlocks: 0
; NumSGPRsForWavesPerEU: 4
; NumVGPRsForWavesPerEU: 1
; Occupancy: 10
; WaveLimiterHint : 0
; COMPUTE_PGM_RSRC2:SCRATCH_EN: 0
; COMPUTE_PGM_RSRC2:USER_SGPR: 6
; COMPUTE_PGM_RSRC2:TRAP_HANDLER: 0
; COMPUTE_PGM_RSRC2:TGID_X_EN: 1
; COMPUTE_PGM_RSRC2:TGID_Y_EN: 0
; COMPUTE_PGM_RSRC2:TGID_Z_EN: 0
; COMPUTE_PGM_RSRC2:TIDIG_COMP_CNT: 0
	.section	.text._ZN7rocprim17ROCPRIM_400000_NS6detail17trampoline_kernelINS0_14default_configENS1_35radix_sort_onesweep_config_selectorIdlEEZZNS1_29radix_sort_onesweep_iterationIS3_Lb0EPdS7_N6thrust23THRUST_200600_302600_NS10device_ptrIlEESB_jNS0_19identity_decomposerENS1_16block_id_wrapperIjLb1EEEEE10hipError_tT1_PNSt15iterator_traitsISG_E10value_typeET2_T3_PNSH_ISM_E10value_typeET4_T5_PSR_SS_PNS1_23onesweep_lookback_stateEbbT6_jjT7_P12ihipStream_tbENKUlT_T0_SG_SL_E_clIS7_S7_SB_PlEEDaSZ_S10_SG_SL_EUlSZ_E_NS1_11comp_targetILNS1_3genE0ELNS1_11target_archE4294967295ELNS1_3gpuE0ELNS1_3repE0EEENS1_47radix_sort_onesweep_sort_config_static_selectorELNS0_4arch9wavefront6targetE1EEEvSG_,"axG",@progbits,_ZN7rocprim17ROCPRIM_400000_NS6detail17trampoline_kernelINS0_14default_configENS1_35radix_sort_onesweep_config_selectorIdlEEZZNS1_29radix_sort_onesweep_iterationIS3_Lb0EPdS7_N6thrust23THRUST_200600_302600_NS10device_ptrIlEESB_jNS0_19identity_decomposerENS1_16block_id_wrapperIjLb1EEEEE10hipError_tT1_PNSt15iterator_traitsISG_E10value_typeET2_T3_PNSH_ISM_E10value_typeET4_T5_PSR_SS_PNS1_23onesweep_lookback_stateEbbT6_jjT7_P12ihipStream_tbENKUlT_T0_SG_SL_E_clIS7_S7_SB_PlEEDaSZ_S10_SG_SL_EUlSZ_E_NS1_11comp_targetILNS1_3genE0ELNS1_11target_archE4294967295ELNS1_3gpuE0ELNS1_3repE0EEENS1_47radix_sort_onesweep_sort_config_static_selectorELNS0_4arch9wavefront6targetE1EEEvSG_,comdat
	.protected	_ZN7rocprim17ROCPRIM_400000_NS6detail17trampoline_kernelINS0_14default_configENS1_35radix_sort_onesweep_config_selectorIdlEEZZNS1_29radix_sort_onesweep_iterationIS3_Lb0EPdS7_N6thrust23THRUST_200600_302600_NS10device_ptrIlEESB_jNS0_19identity_decomposerENS1_16block_id_wrapperIjLb1EEEEE10hipError_tT1_PNSt15iterator_traitsISG_E10value_typeET2_T3_PNSH_ISM_E10value_typeET4_T5_PSR_SS_PNS1_23onesweep_lookback_stateEbbT6_jjT7_P12ihipStream_tbENKUlT_T0_SG_SL_E_clIS7_S7_SB_PlEEDaSZ_S10_SG_SL_EUlSZ_E_NS1_11comp_targetILNS1_3genE0ELNS1_11target_archE4294967295ELNS1_3gpuE0ELNS1_3repE0EEENS1_47radix_sort_onesweep_sort_config_static_selectorELNS0_4arch9wavefront6targetE1EEEvSG_ ; -- Begin function _ZN7rocprim17ROCPRIM_400000_NS6detail17trampoline_kernelINS0_14default_configENS1_35radix_sort_onesweep_config_selectorIdlEEZZNS1_29radix_sort_onesweep_iterationIS3_Lb0EPdS7_N6thrust23THRUST_200600_302600_NS10device_ptrIlEESB_jNS0_19identity_decomposerENS1_16block_id_wrapperIjLb1EEEEE10hipError_tT1_PNSt15iterator_traitsISG_E10value_typeET2_T3_PNSH_ISM_E10value_typeET4_T5_PSR_SS_PNS1_23onesweep_lookback_stateEbbT6_jjT7_P12ihipStream_tbENKUlT_T0_SG_SL_E_clIS7_S7_SB_PlEEDaSZ_S10_SG_SL_EUlSZ_E_NS1_11comp_targetILNS1_3genE0ELNS1_11target_archE4294967295ELNS1_3gpuE0ELNS1_3repE0EEENS1_47radix_sort_onesweep_sort_config_static_selectorELNS0_4arch9wavefront6targetE1EEEvSG_
	.globl	_ZN7rocprim17ROCPRIM_400000_NS6detail17trampoline_kernelINS0_14default_configENS1_35radix_sort_onesweep_config_selectorIdlEEZZNS1_29radix_sort_onesweep_iterationIS3_Lb0EPdS7_N6thrust23THRUST_200600_302600_NS10device_ptrIlEESB_jNS0_19identity_decomposerENS1_16block_id_wrapperIjLb1EEEEE10hipError_tT1_PNSt15iterator_traitsISG_E10value_typeET2_T3_PNSH_ISM_E10value_typeET4_T5_PSR_SS_PNS1_23onesweep_lookback_stateEbbT6_jjT7_P12ihipStream_tbENKUlT_T0_SG_SL_E_clIS7_S7_SB_PlEEDaSZ_S10_SG_SL_EUlSZ_E_NS1_11comp_targetILNS1_3genE0ELNS1_11target_archE4294967295ELNS1_3gpuE0ELNS1_3repE0EEENS1_47radix_sort_onesweep_sort_config_static_selectorELNS0_4arch9wavefront6targetE1EEEvSG_
	.p2align	8
	.type	_ZN7rocprim17ROCPRIM_400000_NS6detail17trampoline_kernelINS0_14default_configENS1_35radix_sort_onesweep_config_selectorIdlEEZZNS1_29radix_sort_onesweep_iterationIS3_Lb0EPdS7_N6thrust23THRUST_200600_302600_NS10device_ptrIlEESB_jNS0_19identity_decomposerENS1_16block_id_wrapperIjLb1EEEEE10hipError_tT1_PNSt15iterator_traitsISG_E10value_typeET2_T3_PNSH_ISM_E10value_typeET4_T5_PSR_SS_PNS1_23onesweep_lookback_stateEbbT6_jjT7_P12ihipStream_tbENKUlT_T0_SG_SL_E_clIS7_S7_SB_PlEEDaSZ_S10_SG_SL_EUlSZ_E_NS1_11comp_targetILNS1_3genE0ELNS1_11target_archE4294967295ELNS1_3gpuE0ELNS1_3repE0EEENS1_47radix_sort_onesweep_sort_config_static_selectorELNS0_4arch9wavefront6targetE1EEEvSG_,@function
_ZN7rocprim17ROCPRIM_400000_NS6detail17trampoline_kernelINS0_14default_configENS1_35radix_sort_onesweep_config_selectorIdlEEZZNS1_29radix_sort_onesweep_iterationIS3_Lb0EPdS7_N6thrust23THRUST_200600_302600_NS10device_ptrIlEESB_jNS0_19identity_decomposerENS1_16block_id_wrapperIjLb1EEEEE10hipError_tT1_PNSt15iterator_traitsISG_E10value_typeET2_T3_PNSH_ISM_E10value_typeET4_T5_PSR_SS_PNS1_23onesweep_lookback_stateEbbT6_jjT7_P12ihipStream_tbENKUlT_T0_SG_SL_E_clIS7_S7_SB_PlEEDaSZ_S10_SG_SL_EUlSZ_E_NS1_11comp_targetILNS1_3genE0ELNS1_11target_archE4294967295ELNS1_3gpuE0ELNS1_3repE0EEENS1_47radix_sort_onesweep_sort_config_static_selectorELNS0_4arch9wavefront6targetE1EEEvSG_: ; @_ZN7rocprim17ROCPRIM_400000_NS6detail17trampoline_kernelINS0_14default_configENS1_35radix_sort_onesweep_config_selectorIdlEEZZNS1_29radix_sort_onesweep_iterationIS3_Lb0EPdS7_N6thrust23THRUST_200600_302600_NS10device_ptrIlEESB_jNS0_19identity_decomposerENS1_16block_id_wrapperIjLb1EEEEE10hipError_tT1_PNSt15iterator_traitsISG_E10value_typeET2_T3_PNSH_ISM_E10value_typeET4_T5_PSR_SS_PNS1_23onesweep_lookback_stateEbbT6_jjT7_P12ihipStream_tbENKUlT_T0_SG_SL_E_clIS7_S7_SB_PlEEDaSZ_S10_SG_SL_EUlSZ_E_NS1_11comp_targetILNS1_3genE0ELNS1_11target_archE4294967295ELNS1_3gpuE0ELNS1_3repE0EEENS1_47radix_sort_onesweep_sort_config_static_selectorELNS0_4arch9wavefront6targetE1EEEvSG_
; %bb.0:
	.section	.rodata,"a",@progbits
	.p2align	6, 0x0
	.amdhsa_kernel _ZN7rocprim17ROCPRIM_400000_NS6detail17trampoline_kernelINS0_14default_configENS1_35radix_sort_onesweep_config_selectorIdlEEZZNS1_29radix_sort_onesweep_iterationIS3_Lb0EPdS7_N6thrust23THRUST_200600_302600_NS10device_ptrIlEESB_jNS0_19identity_decomposerENS1_16block_id_wrapperIjLb1EEEEE10hipError_tT1_PNSt15iterator_traitsISG_E10value_typeET2_T3_PNSH_ISM_E10value_typeET4_T5_PSR_SS_PNS1_23onesweep_lookback_stateEbbT6_jjT7_P12ihipStream_tbENKUlT_T0_SG_SL_E_clIS7_S7_SB_PlEEDaSZ_S10_SG_SL_EUlSZ_E_NS1_11comp_targetILNS1_3genE0ELNS1_11target_archE4294967295ELNS1_3gpuE0ELNS1_3repE0EEENS1_47radix_sort_onesweep_sort_config_static_selectorELNS0_4arch9wavefront6targetE1EEEvSG_
		.amdhsa_group_segment_fixed_size 0
		.amdhsa_private_segment_fixed_size 0
		.amdhsa_kernarg_size 88
		.amdhsa_user_sgpr_count 6
		.amdhsa_user_sgpr_private_segment_buffer 1
		.amdhsa_user_sgpr_dispatch_ptr 0
		.amdhsa_user_sgpr_queue_ptr 0
		.amdhsa_user_sgpr_kernarg_segment_ptr 1
		.amdhsa_user_sgpr_dispatch_id 0
		.amdhsa_user_sgpr_flat_scratch_init 0
		.amdhsa_user_sgpr_private_segment_size 0
		.amdhsa_uses_dynamic_stack 0
		.amdhsa_system_sgpr_private_segment_wavefront_offset 0
		.amdhsa_system_sgpr_workgroup_id_x 1
		.amdhsa_system_sgpr_workgroup_id_y 0
		.amdhsa_system_sgpr_workgroup_id_z 0
		.amdhsa_system_sgpr_workgroup_info 0
		.amdhsa_system_vgpr_workitem_id 0
		.amdhsa_next_free_vgpr 1
		.amdhsa_next_free_sgpr 0
		.amdhsa_reserve_vcc 0
		.amdhsa_reserve_flat_scratch 0
		.amdhsa_float_round_mode_32 0
		.amdhsa_float_round_mode_16_64 0
		.amdhsa_float_denorm_mode_32 3
		.amdhsa_float_denorm_mode_16_64 3
		.amdhsa_dx10_clamp 1
		.amdhsa_ieee_mode 1
		.amdhsa_fp16_overflow 0
		.amdhsa_exception_fp_ieee_invalid_op 0
		.amdhsa_exception_fp_denorm_src 0
		.amdhsa_exception_fp_ieee_div_zero 0
		.amdhsa_exception_fp_ieee_overflow 0
		.amdhsa_exception_fp_ieee_underflow 0
		.amdhsa_exception_fp_ieee_inexact 0
		.amdhsa_exception_int_div_zero 0
	.end_amdhsa_kernel
	.section	.text._ZN7rocprim17ROCPRIM_400000_NS6detail17trampoline_kernelINS0_14default_configENS1_35radix_sort_onesweep_config_selectorIdlEEZZNS1_29radix_sort_onesweep_iterationIS3_Lb0EPdS7_N6thrust23THRUST_200600_302600_NS10device_ptrIlEESB_jNS0_19identity_decomposerENS1_16block_id_wrapperIjLb1EEEEE10hipError_tT1_PNSt15iterator_traitsISG_E10value_typeET2_T3_PNSH_ISM_E10value_typeET4_T5_PSR_SS_PNS1_23onesweep_lookback_stateEbbT6_jjT7_P12ihipStream_tbENKUlT_T0_SG_SL_E_clIS7_S7_SB_PlEEDaSZ_S10_SG_SL_EUlSZ_E_NS1_11comp_targetILNS1_3genE0ELNS1_11target_archE4294967295ELNS1_3gpuE0ELNS1_3repE0EEENS1_47radix_sort_onesweep_sort_config_static_selectorELNS0_4arch9wavefront6targetE1EEEvSG_,"axG",@progbits,_ZN7rocprim17ROCPRIM_400000_NS6detail17trampoline_kernelINS0_14default_configENS1_35radix_sort_onesweep_config_selectorIdlEEZZNS1_29radix_sort_onesweep_iterationIS3_Lb0EPdS7_N6thrust23THRUST_200600_302600_NS10device_ptrIlEESB_jNS0_19identity_decomposerENS1_16block_id_wrapperIjLb1EEEEE10hipError_tT1_PNSt15iterator_traitsISG_E10value_typeET2_T3_PNSH_ISM_E10value_typeET4_T5_PSR_SS_PNS1_23onesweep_lookback_stateEbbT6_jjT7_P12ihipStream_tbENKUlT_T0_SG_SL_E_clIS7_S7_SB_PlEEDaSZ_S10_SG_SL_EUlSZ_E_NS1_11comp_targetILNS1_3genE0ELNS1_11target_archE4294967295ELNS1_3gpuE0ELNS1_3repE0EEENS1_47radix_sort_onesweep_sort_config_static_selectorELNS0_4arch9wavefront6targetE1EEEvSG_,comdat
.Lfunc_end1625:
	.size	_ZN7rocprim17ROCPRIM_400000_NS6detail17trampoline_kernelINS0_14default_configENS1_35radix_sort_onesweep_config_selectorIdlEEZZNS1_29radix_sort_onesweep_iterationIS3_Lb0EPdS7_N6thrust23THRUST_200600_302600_NS10device_ptrIlEESB_jNS0_19identity_decomposerENS1_16block_id_wrapperIjLb1EEEEE10hipError_tT1_PNSt15iterator_traitsISG_E10value_typeET2_T3_PNSH_ISM_E10value_typeET4_T5_PSR_SS_PNS1_23onesweep_lookback_stateEbbT6_jjT7_P12ihipStream_tbENKUlT_T0_SG_SL_E_clIS7_S7_SB_PlEEDaSZ_S10_SG_SL_EUlSZ_E_NS1_11comp_targetILNS1_3genE0ELNS1_11target_archE4294967295ELNS1_3gpuE0ELNS1_3repE0EEENS1_47radix_sort_onesweep_sort_config_static_selectorELNS0_4arch9wavefront6targetE1EEEvSG_, .Lfunc_end1625-_ZN7rocprim17ROCPRIM_400000_NS6detail17trampoline_kernelINS0_14default_configENS1_35radix_sort_onesweep_config_selectorIdlEEZZNS1_29radix_sort_onesweep_iterationIS3_Lb0EPdS7_N6thrust23THRUST_200600_302600_NS10device_ptrIlEESB_jNS0_19identity_decomposerENS1_16block_id_wrapperIjLb1EEEEE10hipError_tT1_PNSt15iterator_traitsISG_E10value_typeET2_T3_PNSH_ISM_E10value_typeET4_T5_PSR_SS_PNS1_23onesweep_lookback_stateEbbT6_jjT7_P12ihipStream_tbENKUlT_T0_SG_SL_E_clIS7_S7_SB_PlEEDaSZ_S10_SG_SL_EUlSZ_E_NS1_11comp_targetILNS1_3genE0ELNS1_11target_archE4294967295ELNS1_3gpuE0ELNS1_3repE0EEENS1_47radix_sort_onesweep_sort_config_static_selectorELNS0_4arch9wavefront6targetE1EEEvSG_
                                        ; -- End function
	.set _ZN7rocprim17ROCPRIM_400000_NS6detail17trampoline_kernelINS0_14default_configENS1_35radix_sort_onesweep_config_selectorIdlEEZZNS1_29radix_sort_onesweep_iterationIS3_Lb0EPdS7_N6thrust23THRUST_200600_302600_NS10device_ptrIlEESB_jNS0_19identity_decomposerENS1_16block_id_wrapperIjLb1EEEEE10hipError_tT1_PNSt15iterator_traitsISG_E10value_typeET2_T3_PNSH_ISM_E10value_typeET4_T5_PSR_SS_PNS1_23onesweep_lookback_stateEbbT6_jjT7_P12ihipStream_tbENKUlT_T0_SG_SL_E_clIS7_S7_SB_PlEEDaSZ_S10_SG_SL_EUlSZ_E_NS1_11comp_targetILNS1_3genE0ELNS1_11target_archE4294967295ELNS1_3gpuE0ELNS1_3repE0EEENS1_47radix_sort_onesweep_sort_config_static_selectorELNS0_4arch9wavefront6targetE1EEEvSG_.num_vgpr, 0
	.set _ZN7rocprim17ROCPRIM_400000_NS6detail17trampoline_kernelINS0_14default_configENS1_35radix_sort_onesweep_config_selectorIdlEEZZNS1_29radix_sort_onesweep_iterationIS3_Lb0EPdS7_N6thrust23THRUST_200600_302600_NS10device_ptrIlEESB_jNS0_19identity_decomposerENS1_16block_id_wrapperIjLb1EEEEE10hipError_tT1_PNSt15iterator_traitsISG_E10value_typeET2_T3_PNSH_ISM_E10value_typeET4_T5_PSR_SS_PNS1_23onesweep_lookback_stateEbbT6_jjT7_P12ihipStream_tbENKUlT_T0_SG_SL_E_clIS7_S7_SB_PlEEDaSZ_S10_SG_SL_EUlSZ_E_NS1_11comp_targetILNS1_3genE0ELNS1_11target_archE4294967295ELNS1_3gpuE0ELNS1_3repE0EEENS1_47radix_sort_onesweep_sort_config_static_selectorELNS0_4arch9wavefront6targetE1EEEvSG_.num_agpr, 0
	.set _ZN7rocprim17ROCPRIM_400000_NS6detail17trampoline_kernelINS0_14default_configENS1_35radix_sort_onesweep_config_selectorIdlEEZZNS1_29radix_sort_onesweep_iterationIS3_Lb0EPdS7_N6thrust23THRUST_200600_302600_NS10device_ptrIlEESB_jNS0_19identity_decomposerENS1_16block_id_wrapperIjLb1EEEEE10hipError_tT1_PNSt15iterator_traitsISG_E10value_typeET2_T3_PNSH_ISM_E10value_typeET4_T5_PSR_SS_PNS1_23onesweep_lookback_stateEbbT6_jjT7_P12ihipStream_tbENKUlT_T0_SG_SL_E_clIS7_S7_SB_PlEEDaSZ_S10_SG_SL_EUlSZ_E_NS1_11comp_targetILNS1_3genE0ELNS1_11target_archE4294967295ELNS1_3gpuE0ELNS1_3repE0EEENS1_47radix_sort_onesweep_sort_config_static_selectorELNS0_4arch9wavefront6targetE1EEEvSG_.numbered_sgpr, 0
	.set _ZN7rocprim17ROCPRIM_400000_NS6detail17trampoline_kernelINS0_14default_configENS1_35radix_sort_onesweep_config_selectorIdlEEZZNS1_29radix_sort_onesweep_iterationIS3_Lb0EPdS7_N6thrust23THRUST_200600_302600_NS10device_ptrIlEESB_jNS0_19identity_decomposerENS1_16block_id_wrapperIjLb1EEEEE10hipError_tT1_PNSt15iterator_traitsISG_E10value_typeET2_T3_PNSH_ISM_E10value_typeET4_T5_PSR_SS_PNS1_23onesweep_lookback_stateEbbT6_jjT7_P12ihipStream_tbENKUlT_T0_SG_SL_E_clIS7_S7_SB_PlEEDaSZ_S10_SG_SL_EUlSZ_E_NS1_11comp_targetILNS1_3genE0ELNS1_11target_archE4294967295ELNS1_3gpuE0ELNS1_3repE0EEENS1_47radix_sort_onesweep_sort_config_static_selectorELNS0_4arch9wavefront6targetE1EEEvSG_.num_named_barrier, 0
	.set _ZN7rocprim17ROCPRIM_400000_NS6detail17trampoline_kernelINS0_14default_configENS1_35radix_sort_onesweep_config_selectorIdlEEZZNS1_29radix_sort_onesweep_iterationIS3_Lb0EPdS7_N6thrust23THRUST_200600_302600_NS10device_ptrIlEESB_jNS0_19identity_decomposerENS1_16block_id_wrapperIjLb1EEEEE10hipError_tT1_PNSt15iterator_traitsISG_E10value_typeET2_T3_PNSH_ISM_E10value_typeET4_T5_PSR_SS_PNS1_23onesweep_lookback_stateEbbT6_jjT7_P12ihipStream_tbENKUlT_T0_SG_SL_E_clIS7_S7_SB_PlEEDaSZ_S10_SG_SL_EUlSZ_E_NS1_11comp_targetILNS1_3genE0ELNS1_11target_archE4294967295ELNS1_3gpuE0ELNS1_3repE0EEENS1_47radix_sort_onesweep_sort_config_static_selectorELNS0_4arch9wavefront6targetE1EEEvSG_.private_seg_size, 0
	.set _ZN7rocprim17ROCPRIM_400000_NS6detail17trampoline_kernelINS0_14default_configENS1_35radix_sort_onesweep_config_selectorIdlEEZZNS1_29radix_sort_onesweep_iterationIS3_Lb0EPdS7_N6thrust23THRUST_200600_302600_NS10device_ptrIlEESB_jNS0_19identity_decomposerENS1_16block_id_wrapperIjLb1EEEEE10hipError_tT1_PNSt15iterator_traitsISG_E10value_typeET2_T3_PNSH_ISM_E10value_typeET4_T5_PSR_SS_PNS1_23onesweep_lookback_stateEbbT6_jjT7_P12ihipStream_tbENKUlT_T0_SG_SL_E_clIS7_S7_SB_PlEEDaSZ_S10_SG_SL_EUlSZ_E_NS1_11comp_targetILNS1_3genE0ELNS1_11target_archE4294967295ELNS1_3gpuE0ELNS1_3repE0EEENS1_47radix_sort_onesweep_sort_config_static_selectorELNS0_4arch9wavefront6targetE1EEEvSG_.uses_vcc, 0
	.set _ZN7rocprim17ROCPRIM_400000_NS6detail17trampoline_kernelINS0_14default_configENS1_35radix_sort_onesweep_config_selectorIdlEEZZNS1_29radix_sort_onesweep_iterationIS3_Lb0EPdS7_N6thrust23THRUST_200600_302600_NS10device_ptrIlEESB_jNS0_19identity_decomposerENS1_16block_id_wrapperIjLb1EEEEE10hipError_tT1_PNSt15iterator_traitsISG_E10value_typeET2_T3_PNSH_ISM_E10value_typeET4_T5_PSR_SS_PNS1_23onesweep_lookback_stateEbbT6_jjT7_P12ihipStream_tbENKUlT_T0_SG_SL_E_clIS7_S7_SB_PlEEDaSZ_S10_SG_SL_EUlSZ_E_NS1_11comp_targetILNS1_3genE0ELNS1_11target_archE4294967295ELNS1_3gpuE0ELNS1_3repE0EEENS1_47radix_sort_onesweep_sort_config_static_selectorELNS0_4arch9wavefront6targetE1EEEvSG_.uses_flat_scratch, 0
	.set _ZN7rocprim17ROCPRIM_400000_NS6detail17trampoline_kernelINS0_14default_configENS1_35radix_sort_onesweep_config_selectorIdlEEZZNS1_29radix_sort_onesweep_iterationIS3_Lb0EPdS7_N6thrust23THRUST_200600_302600_NS10device_ptrIlEESB_jNS0_19identity_decomposerENS1_16block_id_wrapperIjLb1EEEEE10hipError_tT1_PNSt15iterator_traitsISG_E10value_typeET2_T3_PNSH_ISM_E10value_typeET4_T5_PSR_SS_PNS1_23onesweep_lookback_stateEbbT6_jjT7_P12ihipStream_tbENKUlT_T0_SG_SL_E_clIS7_S7_SB_PlEEDaSZ_S10_SG_SL_EUlSZ_E_NS1_11comp_targetILNS1_3genE0ELNS1_11target_archE4294967295ELNS1_3gpuE0ELNS1_3repE0EEENS1_47radix_sort_onesweep_sort_config_static_selectorELNS0_4arch9wavefront6targetE1EEEvSG_.has_dyn_sized_stack, 0
	.set _ZN7rocprim17ROCPRIM_400000_NS6detail17trampoline_kernelINS0_14default_configENS1_35radix_sort_onesweep_config_selectorIdlEEZZNS1_29radix_sort_onesweep_iterationIS3_Lb0EPdS7_N6thrust23THRUST_200600_302600_NS10device_ptrIlEESB_jNS0_19identity_decomposerENS1_16block_id_wrapperIjLb1EEEEE10hipError_tT1_PNSt15iterator_traitsISG_E10value_typeET2_T3_PNSH_ISM_E10value_typeET4_T5_PSR_SS_PNS1_23onesweep_lookback_stateEbbT6_jjT7_P12ihipStream_tbENKUlT_T0_SG_SL_E_clIS7_S7_SB_PlEEDaSZ_S10_SG_SL_EUlSZ_E_NS1_11comp_targetILNS1_3genE0ELNS1_11target_archE4294967295ELNS1_3gpuE0ELNS1_3repE0EEENS1_47radix_sort_onesweep_sort_config_static_selectorELNS0_4arch9wavefront6targetE1EEEvSG_.has_recursion, 0
	.set _ZN7rocprim17ROCPRIM_400000_NS6detail17trampoline_kernelINS0_14default_configENS1_35radix_sort_onesweep_config_selectorIdlEEZZNS1_29radix_sort_onesweep_iterationIS3_Lb0EPdS7_N6thrust23THRUST_200600_302600_NS10device_ptrIlEESB_jNS0_19identity_decomposerENS1_16block_id_wrapperIjLb1EEEEE10hipError_tT1_PNSt15iterator_traitsISG_E10value_typeET2_T3_PNSH_ISM_E10value_typeET4_T5_PSR_SS_PNS1_23onesweep_lookback_stateEbbT6_jjT7_P12ihipStream_tbENKUlT_T0_SG_SL_E_clIS7_S7_SB_PlEEDaSZ_S10_SG_SL_EUlSZ_E_NS1_11comp_targetILNS1_3genE0ELNS1_11target_archE4294967295ELNS1_3gpuE0ELNS1_3repE0EEENS1_47radix_sort_onesweep_sort_config_static_selectorELNS0_4arch9wavefront6targetE1EEEvSG_.has_indirect_call, 0
	.section	.AMDGPU.csdata,"",@progbits
; Kernel info:
; codeLenInByte = 0
; TotalNumSgprs: 4
; NumVgprs: 0
; ScratchSize: 0
; MemoryBound: 0
; FloatMode: 240
; IeeeMode: 1
; LDSByteSize: 0 bytes/workgroup (compile time only)
; SGPRBlocks: 0
; VGPRBlocks: 0
; NumSGPRsForWavesPerEU: 4
; NumVGPRsForWavesPerEU: 1
; Occupancy: 10
; WaveLimiterHint : 0
; COMPUTE_PGM_RSRC2:SCRATCH_EN: 0
; COMPUTE_PGM_RSRC2:USER_SGPR: 6
; COMPUTE_PGM_RSRC2:TRAP_HANDLER: 0
; COMPUTE_PGM_RSRC2:TGID_X_EN: 1
; COMPUTE_PGM_RSRC2:TGID_Y_EN: 0
; COMPUTE_PGM_RSRC2:TGID_Z_EN: 0
; COMPUTE_PGM_RSRC2:TIDIG_COMP_CNT: 0
	.section	.text._ZN7rocprim17ROCPRIM_400000_NS6detail17trampoline_kernelINS0_14default_configENS1_35radix_sort_onesweep_config_selectorIdlEEZZNS1_29radix_sort_onesweep_iterationIS3_Lb0EPdS7_N6thrust23THRUST_200600_302600_NS10device_ptrIlEESB_jNS0_19identity_decomposerENS1_16block_id_wrapperIjLb1EEEEE10hipError_tT1_PNSt15iterator_traitsISG_E10value_typeET2_T3_PNSH_ISM_E10value_typeET4_T5_PSR_SS_PNS1_23onesweep_lookback_stateEbbT6_jjT7_P12ihipStream_tbENKUlT_T0_SG_SL_E_clIS7_S7_SB_PlEEDaSZ_S10_SG_SL_EUlSZ_E_NS1_11comp_targetILNS1_3genE6ELNS1_11target_archE950ELNS1_3gpuE13ELNS1_3repE0EEENS1_47radix_sort_onesweep_sort_config_static_selectorELNS0_4arch9wavefront6targetE1EEEvSG_,"axG",@progbits,_ZN7rocprim17ROCPRIM_400000_NS6detail17trampoline_kernelINS0_14default_configENS1_35radix_sort_onesweep_config_selectorIdlEEZZNS1_29radix_sort_onesweep_iterationIS3_Lb0EPdS7_N6thrust23THRUST_200600_302600_NS10device_ptrIlEESB_jNS0_19identity_decomposerENS1_16block_id_wrapperIjLb1EEEEE10hipError_tT1_PNSt15iterator_traitsISG_E10value_typeET2_T3_PNSH_ISM_E10value_typeET4_T5_PSR_SS_PNS1_23onesweep_lookback_stateEbbT6_jjT7_P12ihipStream_tbENKUlT_T0_SG_SL_E_clIS7_S7_SB_PlEEDaSZ_S10_SG_SL_EUlSZ_E_NS1_11comp_targetILNS1_3genE6ELNS1_11target_archE950ELNS1_3gpuE13ELNS1_3repE0EEENS1_47radix_sort_onesweep_sort_config_static_selectorELNS0_4arch9wavefront6targetE1EEEvSG_,comdat
	.protected	_ZN7rocprim17ROCPRIM_400000_NS6detail17trampoline_kernelINS0_14default_configENS1_35radix_sort_onesweep_config_selectorIdlEEZZNS1_29radix_sort_onesweep_iterationIS3_Lb0EPdS7_N6thrust23THRUST_200600_302600_NS10device_ptrIlEESB_jNS0_19identity_decomposerENS1_16block_id_wrapperIjLb1EEEEE10hipError_tT1_PNSt15iterator_traitsISG_E10value_typeET2_T3_PNSH_ISM_E10value_typeET4_T5_PSR_SS_PNS1_23onesweep_lookback_stateEbbT6_jjT7_P12ihipStream_tbENKUlT_T0_SG_SL_E_clIS7_S7_SB_PlEEDaSZ_S10_SG_SL_EUlSZ_E_NS1_11comp_targetILNS1_3genE6ELNS1_11target_archE950ELNS1_3gpuE13ELNS1_3repE0EEENS1_47radix_sort_onesweep_sort_config_static_selectorELNS0_4arch9wavefront6targetE1EEEvSG_ ; -- Begin function _ZN7rocprim17ROCPRIM_400000_NS6detail17trampoline_kernelINS0_14default_configENS1_35radix_sort_onesweep_config_selectorIdlEEZZNS1_29radix_sort_onesweep_iterationIS3_Lb0EPdS7_N6thrust23THRUST_200600_302600_NS10device_ptrIlEESB_jNS0_19identity_decomposerENS1_16block_id_wrapperIjLb1EEEEE10hipError_tT1_PNSt15iterator_traitsISG_E10value_typeET2_T3_PNSH_ISM_E10value_typeET4_T5_PSR_SS_PNS1_23onesweep_lookback_stateEbbT6_jjT7_P12ihipStream_tbENKUlT_T0_SG_SL_E_clIS7_S7_SB_PlEEDaSZ_S10_SG_SL_EUlSZ_E_NS1_11comp_targetILNS1_3genE6ELNS1_11target_archE950ELNS1_3gpuE13ELNS1_3repE0EEENS1_47radix_sort_onesweep_sort_config_static_selectorELNS0_4arch9wavefront6targetE1EEEvSG_
	.globl	_ZN7rocprim17ROCPRIM_400000_NS6detail17trampoline_kernelINS0_14default_configENS1_35radix_sort_onesweep_config_selectorIdlEEZZNS1_29radix_sort_onesweep_iterationIS3_Lb0EPdS7_N6thrust23THRUST_200600_302600_NS10device_ptrIlEESB_jNS0_19identity_decomposerENS1_16block_id_wrapperIjLb1EEEEE10hipError_tT1_PNSt15iterator_traitsISG_E10value_typeET2_T3_PNSH_ISM_E10value_typeET4_T5_PSR_SS_PNS1_23onesweep_lookback_stateEbbT6_jjT7_P12ihipStream_tbENKUlT_T0_SG_SL_E_clIS7_S7_SB_PlEEDaSZ_S10_SG_SL_EUlSZ_E_NS1_11comp_targetILNS1_3genE6ELNS1_11target_archE950ELNS1_3gpuE13ELNS1_3repE0EEENS1_47radix_sort_onesweep_sort_config_static_selectorELNS0_4arch9wavefront6targetE1EEEvSG_
	.p2align	8
	.type	_ZN7rocprim17ROCPRIM_400000_NS6detail17trampoline_kernelINS0_14default_configENS1_35radix_sort_onesweep_config_selectorIdlEEZZNS1_29radix_sort_onesweep_iterationIS3_Lb0EPdS7_N6thrust23THRUST_200600_302600_NS10device_ptrIlEESB_jNS0_19identity_decomposerENS1_16block_id_wrapperIjLb1EEEEE10hipError_tT1_PNSt15iterator_traitsISG_E10value_typeET2_T3_PNSH_ISM_E10value_typeET4_T5_PSR_SS_PNS1_23onesweep_lookback_stateEbbT6_jjT7_P12ihipStream_tbENKUlT_T0_SG_SL_E_clIS7_S7_SB_PlEEDaSZ_S10_SG_SL_EUlSZ_E_NS1_11comp_targetILNS1_3genE6ELNS1_11target_archE950ELNS1_3gpuE13ELNS1_3repE0EEENS1_47radix_sort_onesweep_sort_config_static_selectorELNS0_4arch9wavefront6targetE1EEEvSG_,@function
_ZN7rocprim17ROCPRIM_400000_NS6detail17trampoline_kernelINS0_14default_configENS1_35radix_sort_onesweep_config_selectorIdlEEZZNS1_29radix_sort_onesweep_iterationIS3_Lb0EPdS7_N6thrust23THRUST_200600_302600_NS10device_ptrIlEESB_jNS0_19identity_decomposerENS1_16block_id_wrapperIjLb1EEEEE10hipError_tT1_PNSt15iterator_traitsISG_E10value_typeET2_T3_PNSH_ISM_E10value_typeET4_T5_PSR_SS_PNS1_23onesweep_lookback_stateEbbT6_jjT7_P12ihipStream_tbENKUlT_T0_SG_SL_E_clIS7_S7_SB_PlEEDaSZ_S10_SG_SL_EUlSZ_E_NS1_11comp_targetILNS1_3genE6ELNS1_11target_archE950ELNS1_3gpuE13ELNS1_3repE0EEENS1_47radix_sort_onesweep_sort_config_static_selectorELNS0_4arch9wavefront6targetE1EEEvSG_: ; @_ZN7rocprim17ROCPRIM_400000_NS6detail17trampoline_kernelINS0_14default_configENS1_35radix_sort_onesweep_config_selectorIdlEEZZNS1_29radix_sort_onesweep_iterationIS3_Lb0EPdS7_N6thrust23THRUST_200600_302600_NS10device_ptrIlEESB_jNS0_19identity_decomposerENS1_16block_id_wrapperIjLb1EEEEE10hipError_tT1_PNSt15iterator_traitsISG_E10value_typeET2_T3_PNSH_ISM_E10value_typeET4_T5_PSR_SS_PNS1_23onesweep_lookback_stateEbbT6_jjT7_P12ihipStream_tbENKUlT_T0_SG_SL_E_clIS7_S7_SB_PlEEDaSZ_S10_SG_SL_EUlSZ_E_NS1_11comp_targetILNS1_3genE6ELNS1_11target_archE950ELNS1_3gpuE13ELNS1_3repE0EEENS1_47radix_sort_onesweep_sort_config_static_selectorELNS0_4arch9wavefront6targetE1EEEvSG_
; %bb.0:
	.section	.rodata,"a",@progbits
	.p2align	6, 0x0
	.amdhsa_kernel _ZN7rocprim17ROCPRIM_400000_NS6detail17trampoline_kernelINS0_14default_configENS1_35radix_sort_onesweep_config_selectorIdlEEZZNS1_29radix_sort_onesweep_iterationIS3_Lb0EPdS7_N6thrust23THRUST_200600_302600_NS10device_ptrIlEESB_jNS0_19identity_decomposerENS1_16block_id_wrapperIjLb1EEEEE10hipError_tT1_PNSt15iterator_traitsISG_E10value_typeET2_T3_PNSH_ISM_E10value_typeET4_T5_PSR_SS_PNS1_23onesweep_lookback_stateEbbT6_jjT7_P12ihipStream_tbENKUlT_T0_SG_SL_E_clIS7_S7_SB_PlEEDaSZ_S10_SG_SL_EUlSZ_E_NS1_11comp_targetILNS1_3genE6ELNS1_11target_archE950ELNS1_3gpuE13ELNS1_3repE0EEENS1_47radix_sort_onesweep_sort_config_static_selectorELNS0_4arch9wavefront6targetE1EEEvSG_
		.amdhsa_group_segment_fixed_size 0
		.amdhsa_private_segment_fixed_size 0
		.amdhsa_kernarg_size 88
		.amdhsa_user_sgpr_count 6
		.amdhsa_user_sgpr_private_segment_buffer 1
		.amdhsa_user_sgpr_dispatch_ptr 0
		.amdhsa_user_sgpr_queue_ptr 0
		.amdhsa_user_sgpr_kernarg_segment_ptr 1
		.amdhsa_user_sgpr_dispatch_id 0
		.amdhsa_user_sgpr_flat_scratch_init 0
		.amdhsa_user_sgpr_private_segment_size 0
		.amdhsa_uses_dynamic_stack 0
		.amdhsa_system_sgpr_private_segment_wavefront_offset 0
		.amdhsa_system_sgpr_workgroup_id_x 1
		.amdhsa_system_sgpr_workgroup_id_y 0
		.amdhsa_system_sgpr_workgroup_id_z 0
		.amdhsa_system_sgpr_workgroup_info 0
		.amdhsa_system_vgpr_workitem_id 0
		.amdhsa_next_free_vgpr 1
		.amdhsa_next_free_sgpr 0
		.amdhsa_reserve_vcc 0
		.amdhsa_reserve_flat_scratch 0
		.amdhsa_float_round_mode_32 0
		.amdhsa_float_round_mode_16_64 0
		.amdhsa_float_denorm_mode_32 3
		.amdhsa_float_denorm_mode_16_64 3
		.amdhsa_dx10_clamp 1
		.amdhsa_ieee_mode 1
		.amdhsa_fp16_overflow 0
		.amdhsa_exception_fp_ieee_invalid_op 0
		.amdhsa_exception_fp_denorm_src 0
		.amdhsa_exception_fp_ieee_div_zero 0
		.amdhsa_exception_fp_ieee_overflow 0
		.amdhsa_exception_fp_ieee_underflow 0
		.amdhsa_exception_fp_ieee_inexact 0
		.amdhsa_exception_int_div_zero 0
	.end_amdhsa_kernel
	.section	.text._ZN7rocprim17ROCPRIM_400000_NS6detail17trampoline_kernelINS0_14default_configENS1_35radix_sort_onesweep_config_selectorIdlEEZZNS1_29radix_sort_onesweep_iterationIS3_Lb0EPdS7_N6thrust23THRUST_200600_302600_NS10device_ptrIlEESB_jNS0_19identity_decomposerENS1_16block_id_wrapperIjLb1EEEEE10hipError_tT1_PNSt15iterator_traitsISG_E10value_typeET2_T3_PNSH_ISM_E10value_typeET4_T5_PSR_SS_PNS1_23onesweep_lookback_stateEbbT6_jjT7_P12ihipStream_tbENKUlT_T0_SG_SL_E_clIS7_S7_SB_PlEEDaSZ_S10_SG_SL_EUlSZ_E_NS1_11comp_targetILNS1_3genE6ELNS1_11target_archE950ELNS1_3gpuE13ELNS1_3repE0EEENS1_47radix_sort_onesweep_sort_config_static_selectorELNS0_4arch9wavefront6targetE1EEEvSG_,"axG",@progbits,_ZN7rocprim17ROCPRIM_400000_NS6detail17trampoline_kernelINS0_14default_configENS1_35radix_sort_onesweep_config_selectorIdlEEZZNS1_29radix_sort_onesweep_iterationIS3_Lb0EPdS7_N6thrust23THRUST_200600_302600_NS10device_ptrIlEESB_jNS0_19identity_decomposerENS1_16block_id_wrapperIjLb1EEEEE10hipError_tT1_PNSt15iterator_traitsISG_E10value_typeET2_T3_PNSH_ISM_E10value_typeET4_T5_PSR_SS_PNS1_23onesweep_lookback_stateEbbT6_jjT7_P12ihipStream_tbENKUlT_T0_SG_SL_E_clIS7_S7_SB_PlEEDaSZ_S10_SG_SL_EUlSZ_E_NS1_11comp_targetILNS1_3genE6ELNS1_11target_archE950ELNS1_3gpuE13ELNS1_3repE0EEENS1_47radix_sort_onesweep_sort_config_static_selectorELNS0_4arch9wavefront6targetE1EEEvSG_,comdat
.Lfunc_end1626:
	.size	_ZN7rocprim17ROCPRIM_400000_NS6detail17trampoline_kernelINS0_14default_configENS1_35radix_sort_onesweep_config_selectorIdlEEZZNS1_29radix_sort_onesweep_iterationIS3_Lb0EPdS7_N6thrust23THRUST_200600_302600_NS10device_ptrIlEESB_jNS0_19identity_decomposerENS1_16block_id_wrapperIjLb1EEEEE10hipError_tT1_PNSt15iterator_traitsISG_E10value_typeET2_T3_PNSH_ISM_E10value_typeET4_T5_PSR_SS_PNS1_23onesweep_lookback_stateEbbT6_jjT7_P12ihipStream_tbENKUlT_T0_SG_SL_E_clIS7_S7_SB_PlEEDaSZ_S10_SG_SL_EUlSZ_E_NS1_11comp_targetILNS1_3genE6ELNS1_11target_archE950ELNS1_3gpuE13ELNS1_3repE0EEENS1_47radix_sort_onesweep_sort_config_static_selectorELNS0_4arch9wavefront6targetE1EEEvSG_, .Lfunc_end1626-_ZN7rocprim17ROCPRIM_400000_NS6detail17trampoline_kernelINS0_14default_configENS1_35radix_sort_onesweep_config_selectorIdlEEZZNS1_29radix_sort_onesweep_iterationIS3_Lb0EPdS7_N6thrust23THRUST_200600_302600_NS10device_ptrIlEESB_jNS0_19identity_decomposerENS1_16block_id_wrapperIjLb1EEEEE10hipError_tT1_PNSt15iterator_traitsISG_E10value_typeET2_T3_PNSH_ISM_E10value_typeET4_T5_PSR_SS_PNS1_23onesweep_lookback_stateEbbT6_jjT7_P12ihipStream_tbENKUlT_T0_SG_SL_E_clIS7_S7_SB_PlEEDaSZ_S10_SG_SL_EUlSZ_E_NS1_11comp_targetILNS1_3genE6ELNS1_11target_archE950ELNS1_3gpuE13ELNS1_3repE0EEENS1_47radix_sort_onesweep_sort_config_static_selectorELNS0_4arch9wavefront6targetE1EEEvSG_
                                        ; -- End function
	.set _ZN7rocprim17ROCPRIM_400000_NS6detail17trampoline_kernelINS0_14default_configENS1_35radix_sort_onesweep_config_selectorIdlEEZZNS1_29radix_sort_onesweep_iterationIS3_Lb0EPdS7_N6thrust23THRUST_200600_302600_NS10device_ptrIlEESB_jNS0_19identity_decomposerENS1_16block_id_wrapperIjLb1EEEEE10hipError_tT1_PNSt15iterator_traitsISG_E10value_typeET2_T3_PNSH_ISM_E10value_typeET4_T5_PSR_SS_PNS1_23onesweep_lookback_stateEbbT6_jjT7_P12ihipStream_tbENKUlT_T0_SG_SL_E_clIS7_S7_SB_PlEEDaSZ_S10_SG_SL_EUlSZ_E_NS1_11comp_targetILNS1_3genE6ELNS1_11target_archE950ELNS1_3gpuE13ELNS1_3repE0EEENS1_47radix_sort_onesweep_sort_config_static_selectorELNS0_4arch9wavefront6targetE1EEEvSG_.num_vgpr, 0
	.set _ZN7rocprim17ROCPRIM_400000_NS6detail17trampoline_kernelINS0_14default_configENS1_35radix_sort_onesweep_config_selectorIdlEEZZNS1_29radix_sort_onesweep_iterationIS3_Lb0EPdS7_N6thrust23THRUST_200600_302600_NS10device_ptrIlEESB_jNS0_19identity_decomposerENS1_16block_id_wrapperIjLb1EEEEE10hipError_tT1_PNSt15iterator_traitsISG_E10value_typeET2_T3_PNSH_ISM_E10value_typeET4_T5_PSR_SS_PNS1_23onesweep_lookback_stateEbbT6_jjT7_P12ihipStream_tbENKUlT_T0_SG_SL_E_clIS7_S7_SB_PlEEDaSZ_S10_SG_SL_EUlSZ_E_NS1_11comp_targetILNS1_3genE6ELNS1_11target_archE950ELNS1_3gpuE13ELNS1_3repE0EEENS1_47radix_sort_onesweep_sort_config_static_selectorELNS0_4arch9wavefront6targetE1EEEvSG_.num_agpr, 0
	.set _ZN7rocprim17ROCPRIM_400000_NS6detail17trampoline_kernelINS0_14default_configENS1_35radix_sort_onesweep_config_selectorIdlEEZZNS1_29radix_sort_onesweep_iterationIS3_Lb0EPdS7_N6thrust23THRUST_200600_302600_NS10device_ptrIlEESB_jNS0_19identity_decomposerENS1_16block_id_wrapperIjLb1EEEEE10hipError_tT1_PNSt15iterator_traitsISG_E10value_typeET2_T3_PNSH_ISM_E10value_typeET4_T5_PSR_SS_PNS1_23onesweep_lookback_stateEbbT6_jjT7_P12ihipStream_tbENKUlT_T0_SG_SL_E_clIS7_S7_SB_PlEEDaSZ_S10_SG_SL_EUlSZ_E_NS1_11comp_targetILNS1_3genE6ELNS1_11target_archE950ELNS1_3gpuE13ELNS1_3repE0EEENS1_47radix_sort_onesweep_sort_config_static_selectorELNS0_4arch9wavefront6targetE1EEEvSG_.numbered_sgpr, 0
	.set _ZN7rocprim17ROCPRIM_400000_NS6detail17trampoline_kernelINS0_14default_configENS1_35radix_sort_onesweep_config_selectorIdlEEZZNS1_29radix_sort_onesweep_iterationIS3_Lb0EPdS7_N6thrust23THRUST_200600_302600_NS10device_ptrIlEESB_jNS0_19identity_decomposerENS1_16block_id_wrapperIjLb1EEEEE10hipError_tT1_PNSt15iterator_traitsISG_E10value_typeET2_T3_PNSH_ISM_E10value_typeET4_T5_PSR_SS_PNS1_23onesweep_lookback_stateEbbT6_jjT7_P12ihipStream_tbENKUlT_T0_SG_SL_E_clIS7_S7_SB_PlEEDaSZ_S10_SG_SL_EUlSZ_E_NS1_11comp_targetILNS1_3genE6ELNS1_11target_archE950ELNS1_3gpuE13ELNS1_3repE0EEENS1_47radix_sort_onesweep_sort_config_static_selectorELNS0_4arch9wavefront6targetE1EEEvSG_.num_named_barrier, 0
	.set _ZN7rocprim17ROCPRIM_400000_NS6detail17trampoline_kernelINS0_14default_configENS1_35radix_sort_onesweep_config_selectorIdlEEZZNS1_29radix_sort_onesweep_iterationIS3_Lb0EPdS7_N6thrust23THRUST_200600_302600_NS10device_ptrIlEESB_jNS0_19identity_decomposerENS1_16block_id_wrapperIjLb1EEEEE10hipError_tT1_PNSt15iterator_traitsISG_E10value_typeET2_T3_PNSH_ISM_E10value_typeET4_T5_PSR_SS_PNS1_23onesweep_lookback_stateEbbT6_jjT7_P12ihipStream_tbENKUlT_T0_SG_SL_E_clIS7_S7_SB_PlEEDaSZ_S10_SG_SL_EUlSZ_E_NS1_11comp_targetILNS1_3genE6ELNS1_11target_archE950ELNS1_3gpuE13ELNS1_3repE0EEENS1_47radix_sort_onesweep_sort_config_static_selectorELNS0_4arch9wavefront6targetE1EEEvSG_.private_seg_size, 0
	.set _ZN7rocprim17ROCPRIM_400000_NS6detail17trampoline_kernelINS0_14default_configENS1_35radix_sort_onesweep_config_selectorIdlEEZZNS1_29radix_sort_onesweep_iterationIS3_Lb0EPdS7_N6thrust23THRUST_200600_302600_NS10device_ptrIlEESB_jNS0_19identity_decomposerENS1_16block_id_wrapperIjLb1EEEEE10hipError_tT1_PNSt15iterator_traitsISG_E10value_typeET2_T3_PNSH_ISM_E10value_typeET4_T5_PSR_SS_PNS1_23onesweep_lookback_stateEbbT6_jjT7_P12ihipStream_tbENKUlT_T0_SG_SL_E_clIS7_S7_SB_PlEEDaSZ_S10_SG_SL_EUlSZ_E_NS1_11comp_targetILNS1_3genE6ELNS1_11target_archE950ELNS1_3gpuE13ELNS1_3repE0EEENS1_47radix_sort_onesweep_sort_config_static_selectorELNS0_4arch9wavefront6targetE1EEEvSG_.uses_vcc, 0
	.set _ZN7rocprim17ROCPRIM_400000_NS6detail17trampoline_kernelINS0_14default_configENS1_35radix_sort_onesweep_config_selectorIdlEEZZNS1_29radix_sort_onesweep_iterationIS3_Lb0EPdS7_N6thrust23THRUST_200600_302600_NS10device_ptrIlEESB_jNS0_19identity_decomposerENS1_16block_id_wrapperIjLb1EEEEE10hipError_tT1_PNSt15iterator_traitsISG_E10value_typeET2_T3_PNSH_ISM_E10value_typeET4_T5_PSR_SS_PNS1_23onesweep_lookback_stateEbbT6_jjT7_P12ihipStream_tbENKUlT_T0_SG_SL_E_clIS7_S7_SB_PlEEDaSZ_S10_SG_SL_EUlSZ_E_NS1_11comp_targetILNS1_3genE6ELNS1_11target_archE950ELNS1_3gpuE13ELNS1_3repE0EEENS1_47radix_sort_onesweep_sort_config_static_selectorELNS0_4arch9wavefront6targetE1EEEvSG_.uses_flat_scratch, 0
	.set _ZN7rocprim17ROCPRIM_400000_NS6detail17trampoline_kernelINS0_14default_configENS1_35radix_sort_onesweep_config_selectorIdlEEZZNS1_29radix_sort_onesweep_iterationIS3_Lb0EPdS7_N6thrust23THRUST_200600_302600_NS10device_ptrIlEESB_jNS0_19identity_decomposerENS1_16block_id_wrapperIjLb1EEEEE10hipError_tT1_PNSt15iterator_traitsISG_E10value_typeET2_T3_PNSH_ISM_E10value_typeET4_T5_PSR_SS_PNS1_23onesweep_lookback_stateEbbT6_jjT7_P12ihipStream_tbENKUlT_T0_SG_SL_E_clIS7_S7_SB_PlEEDaSZ_S10_SG_SL_EUlSZ_E_NS1_11comp_targetILNS1_3genE6ELNS1_11target_archE950ELNS1_3gpuE13ELNS1_3repE0EEENS1_47radix_sort_onesweep_sort_config_static_selectorELNS0_4arch9wavefront6targetE1EEEvSG_.has_dyn_sized_stack, 0
	.set _ZN7rocprim17ROCPRIM_400000_NS6detail17trampoline_kernelINS0_14default_configENS1_35radix_sort_onesweep_config_selectorIdlEEZZNS1_29radix_sort_onesweep_iterationIS3_Lb0EPdS7_N6thrust23THRUST_200600_302600_NS10device_ptrIlEESB_jNS0_19identity_decomposerENS1_16block_id_wrapperIjLb1EEEEE10hipError_tT1_PNSt15iterator_traitsISG_E10value_typeET2_T3_PNSH_ISM_E10value_typeET4_T5_PSR_SS_PNS1_23onesweep_lookback_stateEbbT6_jjT7_P12ihipStream_tbENKUlT_T0_SG_SL_E_clIS7_S7_SB_PlEEDaSZ_S10_SG_SL_EUlSZ_E_NS1_11comp_targetILNS1_3genE6ELNS1_11target_archE950ELNS1_3gpuE13ELNS1_3repE0EEENS1_47radix_sort_onesweep_sort_config_static_selectorELNS0_4arch9wavefront6targetE1EEEvSG_.has_recursion, 0
	.set _ZN7rocprim17ROCPRIM_400000_NS6detail17trampoline_kernelINS0_14default_configENS1_35radix_sort_onesweep_config_selectorIdlEEZZNS1_29radix_sort_onesweep_iterationIS3_Lb0EPdS7_N6thrust23THRUST_200600_302600_NS10device_ptrIlEESB_jNS0_19identity_decomposerENS1_16block_id_wrapperIjLb1EEEEE10hipError_tT1_PNSt15iterator_traitsISG_E10value_typeET2_T3_PNSH_ISM_E10value_typeET4_T5_PSR_SS_PNS1_23onesweep_lookback_stateEbbT6_jjT7_P12ihipStream_tbENKUlT_T0_SG_SL_E_clIS7_S7_SB_PlEEDaSZ_S10_SG_SL_EUlSZ_E_NS1_11comp_targetILNS1_3genE6ELNS1_11target_archE950ELNS1_3gpuE13ELNS1_3repE0EEENS1_47radix_sort_onesweep_sort_config_static_selectorELNS0_4arch9wavefront6targetE1EEEvSG_.has_indirect_call, 0
	.section	.AMDGPU.csdata,"",@progbits
; Kernel info:
; codeLenInByte = 0
; TotalNumSgprs: 4
; NumVgprs: 0
; ScratchSize: 0
; MemoryBound: 0
; FloatMode: 240
; IeeeMode: 1
; LDSByteSize: 0 bytes/workgroup (compile time only)
; SGPRBlocks: 0
; VGPRBlocks: 0
; NumSGPRsForWavesPerEU: 4
; NumVGPRsForWavesPerEU: 1
; Occupancy: 10
; WaveLimiterHint : 0
; COMPUTE_PGM_RSRC2:SCRATCH_EN: 0
; COMPUTE_PGM_RSRC2:USER_SGPR: 6
; COMPUTE_PGM_RSRC2:TRAP_HANDLER: 0
; COMPUTE_PGM_RSRC2:TGID_X_EN: 1
; COMPUTE_PGM_RSRC2:TGID_Y_EN: 0
; COMPUTE_PGM_RSRC2:TGID_Z_EN: 0
; COMPUTE_PGM_RSRC2:TIDIG_COMP_CNT: 0
	.section	.text._ZN7rocprim17ROCPRIM_400000_NS6detail17trampoline_kernelINS0_14default_configENS1_35radix_sort_onesweep_config_selectorIdlEEZZNS1_29radix_sort_onesweep_iterationIS3_Lb0EPdS7_N6thrust23THRUST_200600_302600_NS10device_ptrIlEESB_jNS0_19identity_decomposerENS1_16block_id_wrapperIjLb1EEEEE10hipError_tT1_PNSt15iterator_traitsISG_E10value_typeET2_T3_PNSH_ISM_E10value_typeET4_T5_PSR_SS_PNS1_23onesweep_lookback_stateEbbT6_jjT7_P12ihipStream_tbENKUlT_T0_SG_SL_E_clIS7_S7_SB_PlEEDaSZ_S10_SG_SL_EUlSZ_E_NS1_11comp_targetILNS1_3genE5ELNS1_11target_archE942ELNS1_3gpuE9ELNS1_3repE0EEENS1_47radix_sort_onesweep_sort_config_static_selectorELNS0_4arch9wavefront6targetE1EEEvSG_,"axG",@progbits,_ZN7rocprim17ROCPRIM_400000_NS6detail17trampoline_kernelINS0_14default_configENS1_35radix_sort_onesweep_config_selectorIdlEEZZNS1_29radix_sort_onesweep_iterationIS3_Lb0EPdS7_N6thrust23THRUST_200600_302600_NS10device_ptrIlEESB_jNS0_19identity_decomposerENS1_16block_id_wrapperIjLb1EEEEE10hipError_tT1_PNSt15iterator_traitsISG_E10value_typeET2_T3_PNSH_ISM_E10value_typeET4_T5_PSR_SS_PNS1_23onesweep_lookback_stateEbbT6_jjT7_P12ihipStream_tbENKUlT_T0_SG_SL_E_clIS7_S7_SB_PlEEDaSZ_S10_SG_SL_EUlSZ_E_NS1_11comp_targetILNS1_3genE5ELNS1_11target_archE942ELNS1_3gpuE9ELNS1_3repE0EEENS1_47radix_sort_onesweep_sort_config_static_selectorELNS0_4arch9wavefront6targetE1EEEvSG_,comdat
	.protected	_ZN7rocprim17ROCPRIM_400000_NS6detail17trampoline_kernelINS0_14default_configENS1_35radix_sort_onesweep_config_selectorIdlEEZZNS1_29radix_sort_onesweep_iterationIS3_Lb0EPdS7_N6thrust23THRUST_200600_302600_NS10device_ptrIlEESB_jNS0_19identity_decomposerENS1_16block_id_wrapperIjLb1EEEEE10hipError_tT1_PNSt15iterator_traitsISG_E10value_typeET2_T3_PNSH_ISM_E10value_typeET4_T5_PSR_SS_PNS1_23onesweep_lookback_stateEbbT6_jjT7_P12ihipStream_tbENKUlT_T0_SG_SL_E_clIS7_S7_SB_PlEEDaSZ_S10_SG_SL_EUlSZ_E_NS1_11comp_targetILNS1_3genE5ELNS1_11target_archE942ELNS1_3gpuE9ELNS1_3repE0EEENS1_47radix_sort_onesweep_sort_config_static_selectorELNS0_4arch9wavefront6targetE1EEEvSG_ ; -- Begin function _ZN7rocprim17ROCPRIM_400000_NS6detail17trampoline_kernelINS0_14default_configENS1_35radix_sort_onesweep_config_selectorIdlEEZZNS1_29radix_sort_onesweep_iterationIS3_Lb0EPdS7_N6thrust23THRUST_200600_302600_NS10device_ptrIlEESB_jNS0_19identity_decomposerENS1_16block_id_wrapperIjLb1EEEEE10hipError_tT1_PNSt15iterator_traitsISG_E10value_typeET2_T3_PNSH_ISM_E10value_typeET4_T5_PSR_SS_PNS1_23onesweep_lookback_stateEbbT6_jjT7_P12ihipStream_tbENKUlT_T0_SG_SL_E_clIS7_S7_SB_PlEEDaSZ_S10_SG_SL_EUlSZ_E_NS1_11comp_targetILNS1_3genE5ELNS1_11target_archE942ELNS1_3gpuE9ELNS1_3repE0EEENS1_47radix_sort_onesweep_sort_config_static_selectorELNS0_4arch9wavefront6targetE1EEEvSG_
	.globl	_ZN7rocprim17ROCPRIM_400000_NS6detail17trampoline_kernelINS0_14default_configENS1_35radix_sort_onesweep_config_selectorIdlEEZZNS1_29radix_sort_onesweep_iterationIS3_Lb0EPdS7_N6thrust23THRUST_200600_302600_NS10device_ptrIlEESB_jNS0_19identity_decomposerENS1_16block_id_wrapperIjLb1EEEEE10hipError_tT1_PNSt15iterator_traitsISG_E10value_typeET2_T3_PNSH_ISM_E10value_typeET4_T5_PSR_SS_PNS1_23onesweep_lookback_stateEbbT6_jjT7_P12ihipStream_tbENKUlT_T0_SG_SL_E_clIS7_S7_SB_PlEEDaSZ_S10_SG_SL_EUlSZ_E_NS1_11comp_targetILNS1_3genE5ELNS1_11target_archE942ELNS1_3gpuE9ELNS1_3repE0EEENS1_47radix_sort_onesweep_sort_config_static_selectorELNS0_4arch9wavefront6targetE1EEEvSG_
	.p2align	8
	.type	_ZN7rocprim17ROCPRIM_400000_NS6detail17trampoline_kernelINS0_14default_configENS1_35radix_sort_onesweep_config_selectorIdlEEZZNS1_29radix_sort_onesweep_iterationIS3_Lb0EPdS7_N6thrust23THRUST_200600_302600_NS10device_ptrIlEESB_jNS0_19identity_decomposerENS1_16block_id_wrapperIjLb1EEEEE10hipError_tT1_PNSt15iterator_traitsISG_E10value_typeET2_T3_PNSH_ISM_E10value_typeET4_T5_PSR_SS_PNS1_23onesweep_lookback_stateEbbT6_jjT7_P12ihipStream_tbENKUlT_T0_SG_SL_E_clIS7_S7_SB_PlEEDaSZ_S10_SG_SL_EUlSZ_E_NS1_11comp_targetILNS1_3genE5ELNS1_11target_archE942ELNS1_3gpuE9ELNS1_3repE0EEENS1_47radix_sort_onesweep_sort_config_static_selectorELNS0_4arch9wavefront6targetE1EEEvSG_,@function
_ZN7rocprim17ROCPRIM_400000_NS6detail17trampoline_kernelINS0_14default_configENS1_35radix_sort_onesweep_config_selectorIdlEEZZNS1_29radix_sort_onesweep_iterationIS3_Lb0EPdS7_N6thrust23THRUST_200600_302600_NS10device_ptrIlEESB_jNS0_19identity_decomposerENS1_16block_id_wrapperIjLb1EEEEE10hipError_tT1_PNSt15iterator_traitsISG_E10value_typeET2_T3_PNSH_ISM_E10value_typeET4_T5_PSR_SS_PNS1_23onesweep_lookback_stateEbbT6_jjT7_P12ihipStream_tbENKUlT_T0_SG_SL_E_clIS7_S7_SB_PlEEDaSZ_S10_SG_SL_EUlSZ_E_NS1_11comp_targetILNS1_3genE5ELNS1_11target_archE942ELNS1_3gpuE9ELNS1_3repE0EEENS1_47radix_sort_onesweep_sort_config_static_selectorELNS0_4arch9wavefront6targetE1EEEvSG_: ; @_ZN7rocprim17ROCPRIM_400000_NS6detail17trampoline_kernelINS0_14default_configENS1_35radix_sort_onesweep_config_selectorIdlEEZZNS1_29radix_sort_onesweep_iterationIS3_Lb0EPdS7_N6thrust23THRUST_200600_302600_NS10device_ptrIlEESB_jNS0_19identity_decomposerENS1_16block_id_wrapperIjLb1EEEEE10hipError_tT1_PNSt15iterator_traitsISG_E10value_typeET2_T3_PNSH_ISM_E10value_typeET4_T5_PSR_SS_PNS1_23onesweep_lookback_stateEbbT6_jjT7_P12ihipStream_tbENKUlT_T0_SG_SL_E_clIS7_S7_SB_PlEEDaSZ_S10_SG_SL_EUlSZ_E_NS1_11comp_targetILNS1_3genE5ELNS1_11target_archE942ELNS1_3gpuE9ELNS1_3repE0EEENS1_47radix_sort_onesweep_sort_config_static_selectorELNS0_4arch9wavefront6targetE1EEEvSG_
; %bb.0:
	.section	.rodata,"a",@progbits
	.p2align	6, 0x0
	.amdhsa_kernel _ZN7rocprim17ROCPRIM_400000_NS6detail17trampoline_kernelINS0_14default_configENS1_35radix_sort_onesweep_config_selectorIdlEEZZNS1_29radix_sort_onesweep_iterationIS3_Lb0EPdS7_N6thrust23THRUST_200600_302600_NS10device_ptrIlEESB_jNS0_19identity_decomposerENS1_16block_id_wrapperIjLb1EEEEE10hipError_tT1_PNSt15iterator_traitsISG_E10value_typeET2_T3_PNSH_ISM_E10value_typeET4_T5_PSR_SS_PNS1_23onesweep_lookback_stateEbbT6_jjT7_P12ihipStream_tbENKUlT_T0_SG_SL_E_clIS7_S7_SB_PlEEDaSZ_S10_SG_SL_EUlSZ_E_NS1_11comp_targetILNS1_3genE5ELNS1_11target_archE942ELNS1_3gpuE9ELNS1_3repE0EEENS1_47radix_sort_onesweep_sort_config_static_selectorELNS0_4arch9wavefront6targetE1EEEvSG_
		.amdhsa_group_segment_fixed_size 0
		.amdhsa_private_segment_fixed_size 0
		.amdhsa_kernarg_size 88
		.amdhsa_user_sgpr_count 6
		.amdhsa_user_sgpr_private_segment_buffer 1
		.amdhsa_user_sgpr_dispatch_ptr 0
		.amdhsa_user_sgpr_queue_ptr 0
		.amdhsa_user_sgpr_kernarg_segment_ptr 1
		.amdhsa_user_sgpr_dispatch_id 0
		.amdhsa_user_sgpr_flat_scratch_init 0
		.amdhsa_user_sgpr_private_segment_size 0
		.amdhsa_uses_dynamic_stack 0
		.amdhsa_system_sgpr_private_segment_wavefront_offset 0
		.amdhsa_system_sgpr_workgroup_id_x 1
		.amdhsa_system_sgpr_workgroup_id_y 0
		.amdhsa_system_sgpr_workgroup_id_z 0
		.amdhsa_system_sgpr_workgroup_info 0
		.amdhsa_system_vgpr_workitem_id 0
		.amdhsa_next_free_vgpr 1
		.amdhsa_next_free_sgpr 0
		.amdhsa_reserve_vcc 0
		.amdhsa_reserve_flat_scratch 0
		.amdhsa_float_round_mode_32 0
		.amdhsa_float_round_mode_16_64 0
		.amdhsa_float_denorm_mode_32 3
		.amdhsa_float_denorm_mode_16_64 3
		.amdhsa_dx10_clamp 1
		.amdhsa_ieee_mode 1
		.amdhsa_fp16_overflow 0
		.amdhsa_exception_fp_ieee_invalid_op 0
		.amdhsa_exception_fp_denorm_src 0
		.amdhsa_exception_fp_ieee_div_zero 0
		.amdhsa_exception_fp_ieee_overflow 0
		.amdhsa_exception_fp_ieee_underflow 0
		.amdhsa_exception_fp_ieee_inexact 0
		.amdhsa_exception_int_div_zero 0
	.end_amdhsa_kernel
	.section	.text._ZN7rocprim17ROCPRIM_400000_NS6detail17trampoline_kernelINS0_14default_configENS1_35radix_sort_onesweep_config_selectorIdlEEZZNS1_29radix_sort_onesweep_iterationIS3_Lb0EPdS7_N6thrust23THRUST_200600_302600_NS10device_ptrIlEESB_jNS0_19identity_decomposerENS1_16block_id_wrapperIjLb1EEEEE10hipError_tT1_PNSt15iterator_traitsISG_E10value_typeET2_T3_PNSH_ISM_E10value_typeET4_T5_PSR_SS_PNS1_23onesweep_lookback_stateEbbT6_jjT7_P12ihipStream_tbENKUlT_T0_SG_SL_E_clIS7_S7_SB_PlEEDaSZ_S10_SG_SL_EUlSZ_E_NS1_11comp_targetILNS1_3genE5ELNS1_11target_archE942ELNS1_3gpuE9ELNS1_3repE0EEENS1_47radix_sort_onesweep_sort_config_static_selectorELNS0_4arch9wavefront6targetE1EEEvSG_,"axG",@progbits,_ZN7rocprim17ROCPRIM_400000_NS6detail17trampoline_kernelINS0_14default_configENS1_35radix_sort_onesweep_config_selectorIdlEEZZNS1_29radix_sort_onesweep_iterationIS3_Lb0EPdS7_N6thrust23THRUST_200600_302600_NS10device_ptrIlEESB_jNS0_19identity_decomposerENS1_16block_id_wrapperIjLb1EEEEE10hipError_tT1_PNSt15iterator_traitsISG_E10value_typeET2_T3_PNSH_ISM_E10value_typeET4_T5_PSR_SS_PNS1_23onesweep_lookback_stateEbbT6_jjT7_P12ihipStream_tbENKUlT_T0_SG_SL_E_clIS7_S7_SB_PlEEDaSZ_S10_SG_SL_EUlSZ_E_NS1_11comp_targetILNS1_3genE5ELNS1_11target_archE942ELNS1_3gpuE9ELNS1_3repE0EEENS1_47radix_sort_onesweep_sort_config_static_selectorELNS0_4arch9wavefront6targetE1EEEvSG_,comdat
.Lfunc_end1627:
	.size	_ZN7rocprim17ROCPRIM_400000_NS6detail17trampoline_kernelINS0_14default_configENS1_35radix_sort_onesweep_config_selectorIdlEEZZNS1_29radix_sort_onesweep_iterationIS3_Lb0EPdS7_N6thrust23THRUST_200600_302600_NS10device_ptrIlEESB_jNS0_19identity_decomposerENS1_16block_id_wrapperIjLb1EEEEE10hipError_tT1_PNSt15iterator_traitsISG_E10value_typeET2_T3_PNSH_ISM_E10value_typeET4_T5_PSR_SS_PNS1_23onesweep_lookback_stateEbbT6_jjT7_P12ihipStream_tbENKUlT_T0_SG_SL_E_clIS7_S7_SB_PlEEDaSZ_S10_SG_SL_EUlSZ_E_NS1_11comp_targetILNS1_3genE5ELNS1_11target_archE942ELNS1_3gpuE9ELNS1_3repE0EEENS1_47radix_sort_onesweep_sort_config_static_selectorELNS0_4arch9wavefront6targetE1EEEvSG_, .Lfunc_end1627-_ZN7rocprim17ROCPRIM_400000_NS6detail17trampoline_kernelINS0_14default_configENS1_35radix_sort_onesweep_config_selectorIdlEEZZNS1_29radix_sort_onesweep_iterationIS3_Lb0EPdS7_N6thrust23THRUST_200600_302600_NS10device_ptrIlEESB_jNS0_19identity_decomposerENS1_16block_id_wrapperIjLb1EEEEE10hipError_tT1_PNSt15iterator_traitsISG_E10value_typeET2_T3_PNSH_ISM_E10value_typeET4_T5_PSR_SS_PNS1_23onesweep_lookback_stateEbbT6_jjT7_P12ihipStream_tbENKUlT_T0_SG_SL_E_clIS7_S7_SB_PlEEDaSZ_S10_SG_SL_EUlSZ_E_NS1_11comp_targetILNS1_3genE5ELNS1_11target_archE942ELNS1_3gpuE9ELNS1_3repE0EEENS1_47radix_sort_onesweep_sort_config_static_selectorELNS0_4arch9wavefront6targetE1EEEvSG_
                                        ; -- End function
	.set _ZN7rocprim17ROCPRIM_400000_NS6detail17trampoline_kernelINS0_14default_configENS1_35radix_sort_onesweep_config_selectorIdlEEZZNS1_29radix_sort_onesweep_iterationIS3_Lb0EPdS7_N6thrust23THRUST_200600_302600_NS10device_ptrIlEESB_jNS0_19identity_decomposerENS1_16block_id_wrapperIjLb1EEEEE10hipError_tT1_PNSt15iterator_traitsISG_E10value_typeET2_T3_PNSH_ISM_E10value_typeET4_T5_PSR_SS_PNS1_23onesweep_lookback_stateEbbT6_jjT7_P12ihipStream_tbENKUlT_T0_SG_SL_E_clIS7_S7_SB_PlEEDaSZ_S10_SG_SL_EUlSZ_E_NS1_11comp_targetILNS1_3genE5ELNS1_11target_archE942ELNS1_3gpuE9ELNS1_3repE0EEENS1_47radix_sort_onesweep_sort_config_static_selectorELNS0_4arch9wavefront6targetE1EEEvSG_.num_vgpr, 0
	.set _ZN7rocprim17ROCPRIM_400000_NS6detail17trampoline_kernelINS0_14default_configENS1_35radix_sort_onesweep_config_selectorIdlEEZZNS1_29radix_sort_onesweep_iterationIS3_Lb0EPdS7_N6thrust23THRUST_200600_302600_NS10device_ptrIlEESB_jNS0_19identity_decomposerENS1_16block_id_wrapperIjLb1EEEEE10hipError_tT1_PNSt15iterator_traitsISG_E10value_typeET2_T3_PNSH_ISM_E10value_typeET4_T5_PSR_SS_PNS1_23onesweep_lookback_stateEbbT6_jjT7_P12ihipStream_tbENKUlT_T0_SG_SL_E_clIS7_S7_SB_PlEEDaSZ_S10_SG_SL_EUlSZ_E_NS1_11comp_targetILNS1_3genE5ELNS1_11target_archE942ELNS1_3gpuE9ELNS1_3repE0EEENS1_47radix_sort_onesweep_sort_config_static_selectorELNS0_4arch9wavefront6targetE1EEEvSG_.num_agpr, 0
	.set _ZN7rocprim17ROCPRIM_400000_NS6detail17trampoline_kernelINS0_14default_configENS1_35radix_sort_onesweep_config_selectorIdlEEZZNS1_29radix_sort_onesweep_iterationIS3_Lb0EPdS7_N6thrust23THRUST_200600_302600_NS10device_ptrIlEESB_jNS0_19identity_decomposerENS1_16block_id_wrapperIjLb1EEEEE10hipError_tT1_PNSt15iterator_traitsISG_E10value_typeET2_T3_PNSH_ISM_E10value_typeET4_T5_PSR_SS_PNS1_23onesweep_lookback_stateEbbT6_jjT7_P12ihipStream_tbENKUlT_T0_SG_SL_E_clIS7_S7_SB_PlEEDaSZ_S10_SG_SL_EUlSZ_E_NS1_11comp_targetILNS1_3genE5ELNS1_11target_archE942ELNS1_3gpuE9ELNS1_3repE0EEENS1_47radix_sort_onesweep_sort_config_static_selectorELNS0_4arch9wavefront6targetE1EEEvSG_.numbered_sgpr, 0
	.set _ZN7rocprim17ROCPRIM_400000_NS6detail17trampoline_kernelINS0_14default_configENS1_35radix_sort_onesweep_config_selectorIdlEEZZNS1_29radix_sort_onesweep_iterationIS3_Lb0EPdS7_N6thrust23THRUST_200600_302600_NS10device_ptrIlEESB_jNS0_19identity_decomposerENS1_16block_id_wrapperIjLb1EEEEE10hipError_tT1_PNSt15iterator_traitsISG_E10value_typeET2_T3_PNSH_ISM_E10value_typeET4_T5_PSR_SS_PNS1_23onesweep_lookback_stateEbbT6_jjT7_P12ihipStream_tbENKUlT_T0_SG_SL_E_clIS7_S7_SB_PlEEDaSZ_S10_SG_SL_EUlSZ_E_NS1_11comp_targetILNS1_3genE5ELNS1_11target_archE942ELNS1_3gpuE9ELNS1_3repE0EEENS1_47radix_sort_onesweep_sort_config_static_selectorELNS0_4arch9wavefront6targetE1EEEvSG_.num_named_barrier, 0
	.set _ZN7rocprim17ROCPRIM_400000_NS6detail17trampoline_kernelINS0_14default_configENS1_35radix_sort_onesweep_config_selectorIdlEEZZNS1_29radix_sort_onesweep_iterationIS3_Lb0EPdS7_N6thrust23THRUST_200600_302600_NS10device_ptrIlEESB_jNS0_19identity_decomposerENS1_16block_id_wrapperIjLb1EEEEE10hipError_tT1_PNSt15iterator_traitsISG_E10value_typeET2_T3_PNSH_ISM_E10value_typeET4_T5_PSR_SS_PNS1_23onesweep_lookback_stateEbbT6_jjT7_P12ihipStream_tbENKUlT_T0_SG_SL_E_clIS7_S7_SB_PlEEDaSZ_S10_SG_SL_EUlSZ_E_NS1_11comp_targetILNS1_3genE5ELNS1_11target_archE942ELNS1_3gpuE9ELNS1_3repE0EEENS1_47radix_sort_onesweep_sort_config_static_selectorELNS0_4arch9wavefront6targetE1EEEvSG_.private_seg_size, 0
	.set _ZN7rocprim17ROCPRIM_400000_NS6detail17trampoline_kernelINS0_14default_configENS1_35radix_sort_onesweep_config_selectorIdlEEZZNS1_29radix_sort_onesweep_iterationIS3_Lb0EPdS7_N6thrust23THRUST_200600_302600_NS10device_ptrIlEESB_jNS0_19identity_decomposerENS1_16block_id_wrapperIjLb1EEEEE10hipError_tT1_PNSt15iterator_traitsISG_E10value_typeET2_T3_PNSH_ISM_E10value_typeET4_T5_PSR_SS_PNS1_23onesweep_lookback_stateEbbT6_jjT7_P12ihipStream_tbENKUlT_T0_SG_SL_E_clIS7_S7_SB_PlEEDaSZ_S10_SG_SL_EUlSZ_E_NS1_11comp_targetILNS1_3genE5ELNS1_11target_archE942ELNS1_3gpuE9ELNS1_3repE0EEENS1_47radix_sort_onesweep_sort_config_static_selectorELNS0_4arch9wavefront6targetE1EEEvSG_.uses_vcc, 0
	.set _ZN7rocprim17ROCPRIM_400000_NS6detail17trampoline_kernelINS0_14default_configENS1_35radix_sort_onesweep_config_selectorIdlEEZZNS1_29radix_sort_onesweep_iterationIS3_Lb0EPdS7_N6thrust23THRUST_200600_302600_NS10device_ptrIlEESB_jNS0_19identity_decomposerENS1_16block_id_wrapperIjLb1EEEEE10hipError_tT1_PNSt15iterator_traitsISG_E10value_typeET2_T3_PNSH_ISM_E10value_typeET4_T5_PSR_SS_PNS1_23onesweep_lookback_stateEbbT6_jjT7_P12ihipStream_tbENKUlT_T0_SG_SL_E_clIS7_S7_SB_PlEEDaSZ_S10_SG_SL_EUlSZ_E_NS1_11comp_targetILNS1_3genE5ELNS1_11target_archE942ELNS1_3gpuE9ELNS1_3repE0EEENS1_47radix_sort_onesweep_sort_config_static_selectorELNS0_4arch9wavefront6targetE1EEEvSG_.uses_flat_scratch, 0
	.set _ZN7rocprim17ROCPRIM_400000_NS6detail17trampoline_kernelINS0_14default_configENS1_35radix_sort_onesweep_config_selectorIdlEEZZNS1_29radix_sort_onesweep_iterationIS3_Lb0EPdS7_N6thrust23THRUST_200600_302600_NS10device_ptrIlEESB_jNS0_19identity_decomposerENS1_16block_id_wrapperIjLb1EEEEE10hipError_tT1_PNSt15iterator_traitsISG_E10value_typeET2_T3_PNSH_ISM_E10value_typeET4_T5_PSR_SS_PNS1_23onesweep_lookback_stateEbbT6_jjT7_P12ihipStream_tbENKUlT_T0_SG_SL_E_clIS7_S7_SB_PlEEDaSZ_S10_SG_SL_EUlSZ_E_NS1_11comp_targetILNS1_3genE5ELNS1_11target_archE942ELNS1_3gpuE9ELNS1_3repE0EEENS1_47radix_sort_onesweep_sort_config_static_selectorELNS0_4arch9wavefront6targetE1EEEvSG_.has_dyn_sized_stack, 0
	.set _ZN7rocprim17ROCPRIM_400000_NS6detail17trampoline_kernelINS0_14default_configENS1_35radix_sort_onesweep_config_selectorIdlEEZZNS1_29radix_sort_onesweep_iterationIS3_Lb0EPdS7_N6thrust23THRUST_200600_302600_NS10device_ptrIlEESB_jNS0_19identity_decomposerENS1_16block_id_wrapperIjLb1EEEEE10hipError_tT1_PNSt15iterator_traitsISG_E10value_typeET2_T3_PNSH_ISM_E10value_typeET4_T5_PSR_SS_PNS1_23onesweep_lookback_stateEbbT6_jjT7_P12ihipStream_tbENKUlT_T0_SG_SL_E_clIS7_S7_SB_PlEEDaSZ_S10_SG_SL_EUlSZ_E_NS1_11comp_targetILNS1_3genE5ELNS1_11target_archE942ELNS1_3gpuE9ELNS1_3repE0EEENS1_47radix_sort_onesweep_sort_config_static_selectorELNS0_4arch9wavefront6targetE1EEEvSG_.has_recursion, 0
	.set _ZN7rocprim17ROCPRIM_400000_NS6detail17trampoline_kernelINS0_14default_configENS1_35radix_sort_onesweep_config_selectorIdlEEZZNS1_29radix_sort_onesweep_iterationIS3_Lb0EPdS7_N6thrust23THRUST_200600_302600_NS10device_ptrIlEESB_jNS0_19identity_decomposerENS1_16block_id_wrapperIjLb1EEEEE10hipError_tT1_PNSt15iterator_traitsISG_E10value_typeET2_T3_PNSH_ISM_E10value_typeET4_T5_PSR_SS_PNS1_23onesweep_lookback_stateEbbT6_jjT7_P12ihipStream_tbENKUlT_T0_SG_SL_E_clIS7_S7_SB_PlEEDaSZ_S10_SG_SL_EUlSZ_E_NS1_11comp_targetILNS1_3genE5ELNS1_11target_archE942ELNS1_3gpuE9ELNS1_3repE0EEENS1_47radix_sort_onesweep_sort_config_static_selectorELNS0_4arch9wavefront6targetE1EEEvSG_.has_indirect_call, 0
	.section	.AMDGPU.csdata,"",@progbits
; Kernel info:
; codeLenInByte = 0
; TotalNumSgprs: 4
; NumVgprs: 0
; ScratchSize: 0
; MemoryBound: 0
; FloatMode: 240
; IeeeMode: 1
; LDSByteSize: 0 bytes/workgroup (compile time only)
; SGPRBlocks: 0
; VGPRBlocks: 0
; NumSGPRsForWavesPerEU: 4
; NumVGPRsForWavesPerEU: 1
; Occupancy: 10
; WaveLimiterHint : 0
; COMPUTE_PGM_RSRC2:SCRATCH_EN: 0
; COMPUTE_PGM_RSRC2:USER_SGPR: 6
; COMPUTE_PGM_RSRC2:TRAP_HANDLER: 0
; COMPUTE_PGM_RSRC2:TGID_X_EN: 1
; COMPUTE_PGM_RSRC2:TGID_Y_EN: 0
; COMPUTE_PGM_RSRC2:TGID_Z_EN: 0
; COMPUTE_PGM_RSRC2:TIDIG_COMP_CNT: 0
	.section	.text._ZN7rocprim17ROCPRIM_400000_NS6detail17trampoline_kernelINS0_14default_configENS1_35radix_sort_onesweep_config_selectorIdlEEZZNS1_29radix_sort_onesweep_iterationIS3_Lb0EPdS7_N6thrust23THRUST_200600_302600_NS10device_ptrIlEESB_jNS0_19identity_decomposerENS1_16block_id_wrapperIjLb1EEEEE10hipError_tT1_PNSt15iterator_traitsISG_E10value_typeET2_T3_PNSH_ISM_E10value_typeET4_T5_PSR_SS_PNS1_23onesweep_lookback_stateEbbT6_jjT7_P12ihipStream_tbENKUlT_T0_SG_SL_E_clIS7_S7_SB_PlEEDaSZ_S10_SG_SL_EUlSZ_E_NS1_11comp_targetILNS1_3genE2ELNS1_11target_archE906ELNS1_3gpuE6ELNS1_3repE0EEENS1_47radix_sort_onesweep_sort_config_static_selectorELNS0_4arch9wavefront6targetE1EEEvSG_,"axG",@progbits,_ZN7rocprim17ROCPRIM_400000_NS6detail17trampoline_kernelINS0_14default_configENS1_35radix_sort_onesweep_config_selectorIdlEEZZNS1_29radix_sort_onesweep_iterationIS3_Lb0EPdS7_N6thrust23THRUST_200600_302600_NS10device_ptrIlEESB_jNS0_19identity_decomposerENS1_16block_id_wrapperIjLb1EEEEE10hipError_tT1_PNSt15iterator_traitsISG_E10value_typeET2_T3_PNSH_ISM_E10value_typeET4_T5_PSR_SS_PNS1_23onesweep_lookback_stateEbbT6_jjT7_P12ihipStream_tbENKUlT_T0_SG_SL_E_clIS7_S7_SB_PlEEDaSZ_S10_SG_SL_EUlSZ_E_NS1_11comp_targetILNS1_3genE2ELNS1_11target_archE906ELNS1_3gpuE6ELNS1_3repE0EEENS1_47radix_sort_onesweep_sort_config_static_selectorELNS0_4arch9wavefront6targetE1EEEvSG_,comdat
	.protected	_ZN7rocprim17ROCPRIM_400000_NS6detail17trampoline_kernelINS0_14default_configENS1_35radix_sort_onesweep_config_selectorIdlEEZZNS1_29radix_sort_onesweep_iterationIS3_Lb0EPdS7_N6thrust23THRUST_200600_302600_NS10device_ptrIlEESB_jNS0_19identity_decomposerENS1_16block_id_wrapperIjLb1EEEEE10hipError_tT1_PNSt15iterator_traitsISG_E10value_typeET2_T3_PNSH_ISM_E10value_typeET4_T5_PSR_SS_PNS1_23onesweep_lookback_stateEbbT6_jjT7_P12ihipStream_tbENKUlT_T0_SG_SL_E_clIS7_S7_SB_PlEEDaSZ_S10_SG_SL_EUlSZ_E_NS1_11comp_targetILNS1_3genE2ELNS1_11target_archE906ELNS1_3gpuE6ELNS1_3repE0EEENS1_47radix_sort_onesweep_sort_config_static_selectorELNS0_4arch9wavefront6targetE1EEEvSG_ ; -- Begin function _ZN7rocprim17ROCPRIM_400000_NS6detail17trampoline_kernelINS0_14default_configENS1_35radix_sort_onesweep_config_selectorIdlEEZZNS1_29radix_sort_onesweep_iterationIS3_Lb0EPdS7_N6thrust23THRUST_200600_302600_NS10device_ptrIlEESB_jNS0_19identity_decomposerENS1_16block_id_wrapperIjLb1EEEEE10hipError_tT1_PNSt15iterator_traitsISG_E10value_typeET2_T3_PNSH_ISM_E10value_typeET4_T5_PSR_SS_PNS1_23onesweep_lookback_stateEbbT6_jjT7_P12ihipStream_tbENKUlT_T0_SG_SL_E_clIS7_S7_SB_PlEEDaSZ_S10_SG_SL_EUlSZ_E_NS1_11comp_targetILNS1_3genE2ELNS1_11target_archE906ELNS1_3gpuE6ELNS1_3repE0EEENS1_47radix_sort_onesweep_sort_config_static_selectorELNS0_4arch9wavefront6targetE1EEEvSG_
	.globl	_ZN7rocprim17ROCPRIM_400000_NS6detail17trampoline_kernelINS0_14default_configENS1_35radix_sort_onesweep_config_selectorIdlEEZZNS1_29radix_sort_onesweep_iterationIS3_Lb0EPdS7_N6thrust23THRUST_200600_302600_NS10device_ptrIlEESB_jNS0_19identity_decomposerENS1_16block_id_wrapperIjLb1EEEEE10hipError_tT1_PNSt15iterator_traitsISG_E10value_typeET2_T3_PNSH_ISM_E10value_typeET4_T5_PSR_SS_PNS1_23onesweep_lookback_stateEbbT6_jjT7_P12ihipStream_tbENKUlT_T0_SG_SL_E_clIS7_S7_SB_PlEEDaSZ_S10_SG_SL_EUlSZ_E_NS1_11comp_targetILNS1_3genE2ELNS1_11target_archE906ELNS1_3gpuE6ELNS1_3repE0EEENS1_47radix_sort_onesweep_sort_config_static_selectorELNS0_4arch9wavefront6targetE1EEEvSG_
	.p2align	8
	.type	_ZN7rocprim17ROCPRIM_400000_NS6detail17trampoline_kernelINS0_14default_configENS1_35radix_sort_onesweep_config_selectorIdlEEZZNS1_29radix_sort_onesweep_iterationIS3_Lb0EPdS7_N6thrust23THRUST_200600_302600_NS10device_ptrIlEESB_jNS0_19identity_decomposerENS1_16block_id_wrapperIjLb1EEEEE10hipError_tT1_PNSt15iterator_traitsISG_E10value_typeET2_T3_PNSH_ISM_E10value_typeET4_T5_PSR_SS_PNS1_23onesweep_lookback_stateEbbT6_jjT7_P12ihipStream_tbENKUlT_T0_SG_SL_E_clIS7_S7_SB_PlEEDaSZ_S10_SG_SL_EUlSZ_E_NS1_11comp_targetILNS1_3genE2ELNS1_11target_archE906ELNS1_3gpuE6ELNS1_3repE0EEENS1_47radix_sort_onesweep_sort_config_static_selectorELNS0_4arch9wavefront6targetE1EEEvSG_,@function
_ZN7rocprim17ROCPRIM_400000_NS6detail17trampoline_kernelINS0_14default_configENS1_35radix_sort_onesweep_config_selectorIdlEEZZNS1_29radix_sort_onesweep_iterationIS3_Lb0EPdS7_N6thrust23THRUST_200600_302600_NS10device_ptrIlEESB_jNS0_19identity_decomposerENS1_16block_id_wrapperIjLb1EEEEE10hipError_tT1_PNSt15iterator_traitsISG_E10value_typeET2_T3_PNSH_ISM_E10value_typeET4_T5_PSR_SS_PNS1_23onesweep_lookback_stateEbbT6_jjT7_P12ihipStream_tbENKUlT_T0_SG_SL_E_clIS7_S7_SB_PlEEDaSZ_S10_SG_SL_EUlSZ_E_NS1_11comp_targetILNS1_3genE2ELNS1_11target_archE906ELNS1_3gpuE6ELNS1_3repE0EEENS1_47radix_sort_onesweep_sort_config_static_selectorELNS0_4arch9wavefront6targetE1EEEvSG_: ; @_ZN7rocprim17ROCPRIM_400000_NS6detail17trampoline_kernelINS0_14default_configENS1_35radix_sort_onesweep_config_selectorIdlEEZZNS1_29radix_sort_onesweep_iterationIS3_Lb0EPdS7_N6thrust23THRUST_200600_302600_NS10device_ptrIlEESB_jNS0_19identity_decomposerENS1_16block_id_wrapperIjLb1EEEEE10hipError_tT1_PNSt15iterator_traitsISG_E10value_typeET2_T3_PNSH_ISM_E10value_typeET4_T5_PSR_SS_PNS1_23onesweep_lookback_stateEbbT6_jjT7_P12ihipStream_tbENKUlT_T0_SG_SL_E_clIS7_S7_SB_PlEEDaSZ_S10_SG_SL_EUlSZ_E_NS1_11comp_targetILNS1_3genE2ELNS1_11target_archE906ELNS1_3gpuE6ELNS1_3repE0EEENS1_47radix_sort_onesweep_sort_config_static_selectorELNS0_4arch9wavefront6targetE1EEEvSG_
; %bb.0:
	s_load_dwordx4 s[28:31], s[4:5], 0x28
	s_load_dwordx2 s[26:27], s[4:5], 0x38
	s_load_dwordx4 s[44:47], s[4:5], 0x44
	s_add_u32 s0, s0, s7
	s_addc_u32 s1, s1, 0
	v_cmp_eq_u32_e64 s[22:23], 0, v0
	s_and_saveexec_b64 s[8:9], s[22:23]
	s_cbranch_execz .LBB1628_4
; %bb.1:
	s_mov_b64 s[12:13], exec
	v_mbcnt_lo_u32_b32 v3, s12, 0
	v_mbcnt_hi_u32_b32 v3, s13, v3
	v_cmp_eq_u32_e32 vcc, 0, v3
                                        ; implicit-def: $vgpr4
	s_and_saveexec_b64 s[10:11], vcc
	s_cbranch_execz .LBB1628_3
; %bb.2:
	s_load_dwordx2 s[14:15], s[4:5], 0x50
	s_bcnt1_i32_b64 s7, s[12:13]
	v_mov_b32_e32 v4, 0
	v_mov_b32_e32 v5, s7
	s_waitcnt lgkmcnt(0)
	global_atomic_add v4, v4, v5, s[14:15] glc
.LBB1628_3:
	s_or_b64 exec, exec, s[10:11]
	s_waitcnt vmcnt(0)
	v_readfirstlane_b32 s7, v4
	v_add_u32_e32 v3, s7, v3
	v_mov_b32_e32 v4, 0
	ds_write_b32 v4, v3 offset:10272
.LBB1628_4:
	s_or_b64 exec, exec, s[8:9]
	v_mov_b32_e32 v3, 0
	s_load_dwordx8 s[36:43], s[4:5], 0x0
	s_load_dword s7, s[4:5], 0x20
	s_waitcnt lgkmcnt(0)
	s_barrier
	ds_read_b32 v3, v3 offset:10272
	s_mov_b64 s[8:9], -1
	v_mbcnt_lo_u32_b32 v21, -1, 0
	s_waitcnt lgkmcnt(0)
	s_barrier
	v_readfirstlane_b32 s33, v3
	v_cmp_le_u32_e32 vcc, s46, v3
	s_mul_i32 s34, s33, 0xc00
	s_cbranch_vccz .LBB1628_76
; %bb.5:
	s_mul_i32 s8, s46, 0xfffff400
	s_mov_b32 s35, 0
	s_add_i32 s7, s8, s7
	s_lshl_b64 s[46:47], s[34:35], 3
	v_mbcnt_hi_u32_b32 v19, -1, v21
	s_add_u32 s8, s36, s46
	v_and_b32_e32 v3, 63, v19
	s_addc_u32 s9, s37, s47
	v_and_b32_e32 v20, 0x1c0, v0
	v_lshlrev_b32_e32 v22, 3, v3
	v_mul_u32_u24_e32 v4, 6, v20
	v_mov_b32_e32 v5, s9
	v_add_co_u32_e32 v6, vcc, s8, v22
	v_addc_co_u32_e32 v5, vcc, 0, v5, vcc
	v_lshlrev_b32_e32 v23, 3, v4
	v_add_co_u32_e32 v15, vcc, v6, v23
	v_addc_co_u32_e32 v16, vcc, 0, v5, vcc
	v_mov_b32_e32 v5, -1
	v_or_b32_e32 v17, v3, v4
	v_bfrev_b32_e32 v6, -2
	v_mov_b32_e32 v3, v5
	v_cmp_gt_u32_e32 vcc, s7, v17
	v_mov_b32_e32 v4, v6
	s_and_saveexec_b64 s[8:9], vcc
	s_cbranch_execz .LBB1628_7
; %bb.6:
	global_load_dwordx2 v[3:4], v[15:16], off
.LBB1628_7:
	s_or_b64 exec, exec, s[8:9]
	v_or_b32_e32 v7, 64, v17
	v_cmp_gt_u32_e64 s[8:9], s7, v7
	s_and_saveexec_b64 s[10:11], s[8:9]
	s_cbranch_execz .LBB1628_9
; %bb.8:
	global_load_dwordx2 v[5:6], v[15:16], off offset:512
.LBB1628_9:
	s_or_b64 exec, exec, s[10:11]
	v_add_u32_e32 v7, 0x80, v17
	v_mov_b32_e32 v9, -1
	v_cmp_gt_u32_e64 s[10:11], s7, v7
	v_bfrev_b32_e32 v10, -2
	v_mov_b32_e32 v7, v9
	v_mov_b32_e32 v8, v10
	s_and_saveexec_b64 s[12:13], s[10:11]
	s_cbranch_execz .LBB1628_11
; %bb.10:
	global_load_dwordx2 v[7:8], v[15:16], off offset:1024
.LBB1628_11:
	s_or_b64 exec, exec, s[12:13]
	v_add_u32_e32 v11, 0xc0, v17
	v_cmp_gt_u32_e64 s[12:13], s7, v11
	s_and_saveexec_b64 s[14:15], s[12:13]
	s_cbranch_execz .LBB1628_13
; %bb.12:
	global_load_dwordx2 v[9:10], v[15:16], off offset:1536
.LBB1628_13:
	s_or_b64 exec, exec, s[14:15]
	v_add_u32_e32 v11, 0x100, v17
	v_bfrev_b32_e32 v12, -2
	v_cmp_gt_u32_e64 s[14:15], s7, v11
	v_mov_b32_e32 v11, -1
	v_mov_b32_e32 v14, v12
	v_mov_b32_e32 v13, v11
	s_and_saveexec_b64 s[16:17], s[14:15]
	s_cbranch_execz .LBB1628_15
; %bb.14:
	global_load_dwordx2 v[13:14], v[15:16], off offset:2048
.LBB1628_15:
	s_or_b64 exec, exec, s[16:17]
	v_add_u32_e32 v17, 0x140, v17
	s_mov_b32 s20, -1
	v_cmp_gt_u32_e64 s[16:17], s7, v17
	s_brev_b32 s21, -2
	s_and_saveexec_b64 s[18:19], s[16:17]
	s_cbranch_execz .LBB1628_17
; %bb.16:
	global_load_dwordx2 v[11:12], v[15:16], off offset:2560
.LBB1628_17:
	s_or_b64 exec, exec, s[18:19]
	s_load_dword s18, s[4:5], 0x64
	s_load_dword s35, s[4:5], 0x58
	s_add_u32 s19, s4, 0x58
	s_addc_u32 s24, s5, 0
	v_mov_b32_e32 v15, 0
	s_waitcnt lgkmcnt(0)
	s_lshr_b32 s25, s18, 16
	s_cmp_lt_u32 s6, s35
	s_cselect_b32 s18, 12, 18
	s_add_u32 s18, s19, s18
	s_addc_u32 s19, s24, 0
	global_load_ushort v18, v15, s[18:19]
	s_waitcnt vmcnt(1)
	v_cmp_lt_i64_e64 s[18:19], -1, v[3:4]
	v_bfrev_b32_e32 v26, 1
	v_ashrrev_i32_e32 v16, 31, v4
	v_cndmask_b32_e64 v17, -1, v26, s[18:19]
	v_xor_b32_e32 v3, v16, v3
	v_xor_b32_e32 v4, v17, v4
	v_cmp_ne_u64_e64 s[18:19], s[20:21], v[3:4]
	v_mad_u32_u24 v24, v2, s25, v1
	v_cndmask_b32_e64 v17, v26, v4, s[18:19]
	v_cndmask_b32_e64 v16, 0, v3, s[18:19]
	v_lshrrev_b64 v[16:17], s44, v[16:17]
	s_lshl_b32 s18, -1, s45
	s_not_b32 s54, s18
	v_and_b32_e32 v17, s54, v16
	v_and_b32_e32 v28, 1, v17
	v_add_co_u32_e64 v29, s[18:19], -1, v28
	v_lshlrev_b32_e32 v16, 30, v17
	v_addc_co_u32_e64 v30, s[18:19], 0, -1, s[18:19]
	v_cmp_ne_u32_e64 s[18:19], 0, v28
	v_cmp_gt_i64_e64 s[20:21], 0, v[15:16]
	v_not_b32_e32 v28, v16
	v_lshlrev_b32_e32 v16, 29, v17
	v_xor_b32_e32 v30, s19, v30
	v_xor_b32_e32 v29, s18, v29
	v_ashrrev_i32_e32 v28, 31, v28
	v_cmp_gt_i64_e64 s[18:19], 0, v[15:16]
	v_not_b32_e32 v31, v16
	v_lshlrev_b32_e32 v16, 28, v17
	v_and_b32_e32 v30, exec_hi, v30
	v_and_b32_e32 v29, exec_lo, v29
	v_xor_b32_e32 v32, s21, v28
	v_xor_b32_e32 v28, s20, v28
	v_ashrrev_i32_e32 v31, 31, v31
	v_cmp_gt_i64_e64 s[20:21], 0, v[15:16]
	v_not_b32_e32 v33, v16
	v_lshlrev_b32_e32 v16, 27, v17
	v_and_b32_e32 v30, v30, v32
	v_and_b32_e32 v28, v29, v28
	v_xor_b32_e32 v29, s19, v31
	v_xor_b32_e32 v31, s18, v31
	v_ashrrev_i32_e32 v32, 31, v33
	v_cmp_gt_i64_e64 s[18:19], 0, v[15:16]
	v_not_b32_e32 v33, v16
	v_lshlrev_b32_e32 v16, 26, v17
	v_and_b32_e32 v29, v30, v29
	v_and_b32_e32 v28, v28, v31
	;; [unrolled: 8-line block ×3, first 2 shown]
	v_xor_b32_e32 v30, s19, v32
	v_xor_b32_e32 v31, s18, v32
	v_ashrrev_i32_e32 v32, 31, v33
	v_mul_lo_u32 v27, v17, 36
	v_cmp_gt_i64_e64 s[18:19], 0, v[15:16]
	v_not_b32_e32 v33, v16
	v_lshlrev_b32_e32 v16, 24, v17
	v_and_b32_e32 v17, v29, v30
	v_xor_b32_e32 v29, s21, v32
	v_xor_b32_e32 v30, s20, v32
	v_and_b32_e32 v29, v17, v29
	v_and_b32_e32 v28, v28, v31
	v_ashrrev_i32_e32 v31, 31, v33
	v_and_b32_e32 v28, v28, v30
	v_xor_b32_e32 v30, s19, v31
	v_mul_u32_u24_e32 v25, 20, v0
	ds_write2_b32 v25, v15, v15 offset0:8 offset1:9
	ds_write2_b32 v25, v15, v15 offset0:10 offset1:11
	ds_write_b32 v25, v15 offset:48
	s_waitcnt vmcnt(0) lgkmcnt(0)
	s_barrier
	; wave barrier
	v_mad_u64_u32 v[17:18], s[20:21], v24, v18, v[0:1]
	v_xor_b32_e32 v18, s18, v31
	v_cmp_gt_i64_e64 s[18:19], 0, v[15:16]
	v_not_b32_e32 v16, v16
	v_ashrrev_i32_e32 v16, 31, v16
	v_and_b32_e32 v24, v29, v30
	v_and_b32_e32 v29, v28, v18
	v_lshrrev_b32_e32 v18, 6, v17
	v_xor_b32_e32 v17, s19, v16
	v_xor_b32_e32 v16, s18, v16
	v_and_b32_e32 v16, v29, v16
	v_and_b32_e32 v17, v24, v17
	v_mbcnt_lo_u32_b32 v24, v16, 0
	v_mbcnt_hi_u32_b32 v24, v17, v24
	v_cmp_ne_u64_e64 s[18:19], 0, v[16:17]
	v_cmp_eq_u32_e64 s[20:21], 0, v24
	v_lshl_add_u32 v28, v18, 2, v27
	s_and_b64 s[20:21], s[18:19], s[20:21]
	s_and_saveexec_b64 s[18:19], s[20:21]
; %bb.18:
	v_bcnt_u32_b32 v16, v16, 0
	v_bcnt_u32_b32 v16, v17, v16
	ds_write_b32 v28, v16 offset:32
; %bb.19:
	s_or_b64 exec, exec, s[18:19]
	v_cmp_lt_i64_e64 s[18:19], -1, v[5:6]
	s_mov_b32 s24, -1
	v_cndmask_b32_e64 v16, -1, v26, s[18:19]
	v_ashrrev_i32_e32 v17, 31, v6
	s_brev_b32 s25, -2
	v_xor_b32_e32 v6, v16, v6
	v_xor_b32_e32 v5, v17, v5
	v_cmp_ne_u64_e64 s[18:19], s[24:25], v[5:6]
	v_cndmask_b32_e64 v17, v26, v6, s[18:19]
	v_cndmask_b32_e64 v16, 0, v5, s[18:19]
	v_lshrrev_b64 v[16:17], s44, v[16:17]
	; wave barrier
	v_and_b32_e32 v17, s54, v16
	v_mul_lo_u32 v16, v17, 36
	v_lshl_add_u32 v30, v18, 2, v16
	v_and_b32_e32 v16, 1, v17
	v_add_co_u32_e64 v27, s[18:19], -1, v16
	v_addc_co_u32_e64 v29, s[18:19], 0, -1, s[18:19]
	v_cmp_ne_u32_e64 s[18:19], 0, v16
	v_xor_b32_e32 v16, s19, v29
	v_and_b32_e32 v29, exec_hi, v16
	v_lshlrev_b32_e32 v16, 30, v17
	v_xor_b32_e32 v27, s18, v27
	v_cmp_gt_i64_e64 s[18:19], 0, v[15:16]
	v_not_b32_e32 v16, v16
	v_ashrrev_i32_e32 v16, 31, v16
	v_and_b32_e32 v27, exec_lo, v27
	v_xor_b32_e32 v31, s19, v16
	v_xor_b32_e32 v16, s18, v16
	v_and_b32_e32 v27, v27, v16
	v_lshlrev_b32_e32 v16, 29, v17
	v_cmp_gt_i64_e64 s[18:19], 0, v[15:16]
	v_not_b32_e32 v16, v16
	v_ashrrev_i32_e32 v16, 31, v16
	v_and_b32_e32 v29, v29, v31
	v_xor_b32_e32 v31, s19, v16
	v_xor_b32_e32 v16, s18, v16
	v_and_b32_e32 v27, v27, v16
	v_lshlrev_b32_e32 v16, 28, v17
	v_cmp_gt_i64_e64 s[18:19], 0, v[15:16]
	v_not_b32_e32 v16, v16
	v_ashrrev_i32_e32 v16, 31, v16
	v_and_b32_e32 v29, v29, v31
	;; [unrolled: 8-line block ×5, first 2 shown]
	v_xor_b32_e32 v31, s19, v16
	v_xor_b32_e32 v16, s18, v16
	v_and_b32_e32 v27, v27, v16
	v_lshlrev_b32_e32 v16, 24, v17
	v_cmp_gt_i64_e64 s[18:19], 0, v[15:16]
	v_not_b32_e32 v15, v16
	v_ashrrev_i32_e32 v15, 31, v15
	v_xor_b32_e32 v16, s19, v15
	v_xor_b32_e32 v15, s18, v15
	ds_read_b32 v26, v30 offset:32
	v_and_b32_e32 v29, v29, v31
	v_and_b32_e32 v15, v27, v15
	;; [unrolled: 1-line block ×3, first 2 shown]
	v_mbcnt_lo_u32_b32 v17, v15, 0
	v_mbcnt_hi_u32_b32 v27, v16, v17
	v_cmp_ne_u64_e64 s[18:19], 0, v[15:16]
	v_cmp_eq_u32_e64 s[20:21], 0, v27
	s_and_b64 s[20:21], s[18:19], s[20:21]
	; wave barrier
	s_and_saveexec_b64 s[18:19], s[20:21]
	s_cbranch_execz .LBB1628_21
; %bb.20:
	v_bcnt_u32_b32 v15, v15, 0
	v_bcnt_u32_b32 v15, v16, v15
	s_waitcnt lgkmcnt(0)
	v_add_u32_e32 v15, v26, v15
	ds_write_b32 v30, v15 offset:32
.LBB1628_21:
	s_or_b64 exec, exec, s[18:19]
	v_cmp_lt_i64_e64 s[18:19], -1, v[7:8]
	v_bfrev_b32_e32 v32, 1
	v_cndmask_b32_e64 v15, -1, v32, s[18:19]
	v_ashrrev_i32_e32 v16, 31, v8
	v_xor_b32_e32 v8, v15, v8
	v_xor_b32_e32 v7, v16, v7
	v_cmp_ne_u64_e64 s[18:19], s[24:25], v[7:8]
	v_cndmask_b32_e64 v16, v32, v8, s[18:19]
	v_cndmask_b32_e64 v15, 0, v7, s[18:19]
	v_lshrrev_b64 v[15:16], s44, v[15:16]
	; wave barrier
	v_and_b32_e32 v17, s54, v15
	v_and_b32_e32 v16, 1, v17
	v_mul_lo_u32 v15, v17, 36
	v_add_co_u32_e64 v31, s[18:19], -1, v16
	v_addc_co_u32_e64 v34, s[18:19], 0, -1, s[18:19]
	v_cmp_ne_u32_e64 s[18:19], 0, v16
	v_xor_b32_e32 v16, s19, v34
	v_lshl_add_u32 v33, v18, 2, v15
	v_mov_b32_e32 v15, 0
	v_and_b32_e32 v34, exec_hi, v16
	v_lshlrev_b32_e32 v16, 30, v17
	v_xor_b32_e32 v31, s18, v31
	v_cmp_gt_i64_e64 s[18:19], 0, v[15:16]
	v_not_b32_e32 v16, v16
	v_ashrrev_i32_e32 v16, 31, v16
	v_and_b32_e32 v31, exec_lo, v31
	v_xor_b32_e32 v35, s19, v16
	v_xor_b32_e32 v16, s18, v16
	v_and_b32_e32 v31, v31, v16
	v_lshlrev_b32_e32 v16, 29, v17
	v_cmp_gt_i64_e64 s[18:19], 0, v[15:16]
	v_not_b32_e32 v16, v16
	v_ashrrev_i32_e32 v16, 31, v16
	v_and_b32_e32 v34, v34, v35
	v_xor_b32_e32 v35, s19, v16
	v_xor_b32_e32 v16, s18, v16
	v_and_b32_e32 v31, v31, v16
	v_lshlrev_b32_e32 v16, 28, v17
	v_cmp_gt_i64_e64 s[18:19], 0, v[15:16]
	v_not_b32_e32 v16, v16
	v_ashrrev_i32_e32 v16, 31, v16
	v_and_b32_e32 v34, v34, v35
	;; [unrolled: 8-line block ×5, first 2 shown]
	v_xor_b32_e32 v35, s19, v16
	v_xor_b32_e32 v16, s18, v16
	v_and_b32_e32 v31, v31, v16
	v_lshlrev_b32_e32 v16, 24, v17
	v_cmp_gt_i64_e64 s[18:19], 0, v[15:16]
	v_not_b32_e32 v16, v16
	v_ashrrev_i32_e32 v16, 31, v16
	v_xor_b32_e32 v17, s19, v16
	v_xor_b32_e32 v16, s18, v16
	ds_read_b32 v29, v33 offset:32
	v_and_b32_e32 v34, v34, v35
	v_and_b32_e32 v16, v31, v16
	;; [unrolled: 1-line block ×3, first 2 shown]
	v_mbcnt_lo_u32_b32 v31, v16, 0
	v_mbcnt_hi_u32_b32 v31, v17, v31
	v_cmp_ne_u64_e64 s[18:19], 0, v[16:17]
	v_cmp_eq_u32_e64 s[20:21], 0, v31
	s_and_b64 s[20:21], s[18:19], s[20:21]
	; wave barrier
	s_and_saveexec_b64 s[18:19], s[20:21]
	s_cbranch_execz .LBB1628_23
; %bb.22:
	v_bcnt_u32_b32 v16, v16, 0
	v_bcnt_u32_b32 v16, v17, v16
	s_waitcnt lgkmcnt(0)
	v_add_u32_e32 v16, v29, v16
	ds_write_b32 v33, v16 offset:32
.LBB1628_23:
	s_or_b64 exec, exec, s[18:19]
	v_cmp_lt_i64_e64 s[18:19], -1, v[9:10]
	v_ashrrev_i32_e32 v17, 31, v10
	v_cndmask_b32_e64 v16, -1, v32, s[18:19]
	v_xor_b32_e32 v10, v16, v10
	v_xor_b32_e32 v9, v17, v9
	v_cmp_ne_u64_e64 s[18:19], s[24:25], v[9:10]
	v_cndmask_b32_e64 v17, v32, v10, s[18:19]
	v_cndmask_b32_e64 v16, 0, v9, s[18:19]
	v_lshrrev_b64 v[16:17], s44, v[16:17]
	; wave barrier
	v_and_b32_e32 v17, s54, v16
	v_mul_lo_u32 v16, v17, 36
	v_lshl_add_u32 v36, v18, 2, v16
	v_and_b32_e32 v16, 1, v17
	v_add_co_u32_e64 v34, s[18:19], -1, v16
	v_addc_co_u32_e64 v35, s[18:19], 0, -1, s[18:19]
	v_cmp_ne_u32_e64 s[18:19], 0, v16
	v_xor_b32_e32 v16, s19, v35
	v_and_b32_e32 v35, exec_hi, v16
	v_lshlrev_b32_e32 v16, 30, v17
	v_xor_b32_e32 v34, s18, v34
	v_cmp_gt_i64_e64 s[18:19], 0, v[15:16]
	v_not_b32_e32 v16, v16
	v_ashrrev_i32_e32 v16, 31, v16
	v_and_b32_e32 v34, exec_lo, v34
	v_xor_b32_e32 v37, s19, v16
	v_xor_b32_e32 v16, s18, v16
	v_and_b32_e32 v34, v34, v16
	v_lshlrev_b32_e32 v16, 29, v17
	v_cmp_gt_i64_e64 s[18:19], 0, v[15:16]
	v_not_b32_e32 v16, v16
	v_ashrrev_i32_e32 v16, 31, v16
	v_and_b32_e32 v35, v35, v37
	v_xor_b32_e32 v37, s19, v16
	v_xor_b32_e32 v16, s18, v16
	v_and_b32_e32 v34, v34, v16
	v_lshlrev_b32_e32 v16, 28, v17
	v_cmp_gt_i64_e64 s[18:19], 0, v[15:16]
	v_not_b32_e32 v16, v16
	v_ashrrev_i32_e32 v16, 31, v16
	v_and_b32_e32 v35, v35, v37
	v_xor_b32_e32 v37, s19, v16
	v_xor_b32_e32 v16, s18, v16
	v_and_b32_e32 v34, v34, v16
	v_lshlrev_b32_e32 v16, 27, v17
	v_cmp_gt_i64_e64 s[18:19], 0, v[15:16]
	v_not_b32_e32 v16, v16
	v_ashrrev_i32_e32 v16, 31, v16
	v_and_b32_e32 v35, v35, v37
	v_xor_b32_e32 v37, s19, v16
	v_xor_b32_e32 v16, s18, v16
	v_and_b32_e32 v34, v34, v16
	v_lshlrev_b32_e32 v16, 26, v17
	v_cmp_gt_i64_e64 s[18:19], 0, v[15:16]
	v_not_b32_e32 v16, v16
	v_ashrrev_i32_e32 v16, 31, v16
	v_and_b32_e32 v35, v35, v37
	v_xor_b32_e32 v37, s19, v16
	v_xor_b32_e32 v16, s18, v16
	v_and_b32_e32 v34, v34, v16
	v_lshlrev_b32_e32 v16, 25, v17
	v_cmp_gt_i64_e64 s[18:19], 0, v[15:16]
	v_not_b32_e32 v16, v16
	v_ashrrev_i32_e32 v16, 31, v16
	v_and_b32_e32 v35, v35, v37
	v_xor_b32_e32 v37, s19, v16
	v_xor_b32_e32 v16, s18, v16
	v_and_b32_e32 v34, v34, v16
	v_lshlrev_b32_e32 v16, 24, v17
	v_cmp_gt_i64_e64 s[18:19], 0, v[15:16]
	v_not_b32_e32 v15, v16
	v_ashrrev_i32_e32 v15, 31, v15
	v_xor_b32_e32 v16, s19, v15
	v_xor_b32_e32 v15, s18, v15
	ds_read_b32 v32, v36 offset:32
	v_and_b32_e32 v35, v35, v37
	v_and_b32_e32 v15, v34, v15
	;; [unrolled: 1-line block ×3, first 2 shown]
	v_mbcnt_lo_u32_b32 v17, v15, 0
	v_mbcnt_hi_u32_b32 v34, v16, v17
	v_cmp_ne_u64_e64 s[18:19], 0, v[15:16]
	v_cmp_eq_u32_e64 s[20:21], 0, v34
	s_and_b64 s[20:21], s[18:19], s[20:21]
	; wave barrier
	s_and_saveexec_b64 s[18:19], s[20:21]
	s_cbranch_execz .LBB1628_25
; %bb.24:
	v_bcnt_u32_b32 v15, v15, 0
	v_bcnt_u32_b32 v15, v16, v15
	s_waitcnt lgkmcnt(0)
	v_add_u32_e32 v15, v32, v15
	ds_write_b32 v36, v15 offset:32
.LBB1628_25:
	s_or_b64 exec, exec, s[18:19]
	v_cmp_lt_i64_e64 s[18:19], -1, v[13:14]
	v_bfrev_b32_e32 v38, 1
	v_cndmask_b32_e64 v15, -1, v38, s[18:19]
	v_ashrrev_i32_e32 v16, 31, v14
	v_xor_b32_e32 v14, v15, v14
	v_xor_b32_e32 v13, v16, v13
	v_cmp_ne_u64_e64 s[18:19], s[24:25], v[13:14]
	v_cndmask_b32_e64 v16, v38, v14, s[18:19]
	v_cndmask_b32_e64 v15, 0, v13, s[18:19]
	v_lshrrev_b64 v[15:16], s44, v[15:16]
	; wave barrier
	v_and_b32_e32 v17, s54, v15
	v_and_b32_e32 v16, 1, v17
	v_mul_lo_u32 v15, v17, 36
	v_add_co_u32_e64 v37, s[18:19], -1, v16
	v_addc_co_u32_e64 v40, s[18:19], 0, -1, s[18:19]
	v_cmp_ne_u32_e64 s[18:19], 0, v16
	v_xor_b32_e32 v16, s19, v40
	v_lshl_add_u32 v39, v18, 2, v15
	v_mov_b32_e32 v15, 0
	v_and_b32_e32 v40, exec_hi, v16
	v_lshlrev_b32_e32 v16, 30, v17
	v_xor_b32_e32 v37, s18, v37
	v_cmp_gt_i64_e64 s[18:19], 0, v[15:16]
	v_not_b32_e32 v16, v16
	v_ashrrev_i32_e32 v16, 31, v16
	v_and_b32_e32 v37, exec_lo, v37
	v_xor_b32_e32 v41, s19, v16
	v_xor_b32_e32 v16, s18, v16
	v_and_b32_e32 v37, v37, v16
	v_lshlrev_b32_e32 v16, 29, v17
	v_cmp_gt_i64_e64 s[18:19], 0, v[15:16]
	v_not_b32_e32 v16, v16
	v_ashrrev_i32_e32 v16, 31, v16
	v_and_b32_e32 v40, v40, v41
	v_xor_b32_e32 v41, s19, v16
	v_xor_b32_e32 v16, s18, v16
	v_and_b32_e32 v37, v37, v16
	v_lshlrev_b32_e32 v16, 28, v17
	v_cmp_gt_i64_e64 s[18:19], 0, v[15:16]
	v_not_b32_e32 v16, v16
	v_ashrrev_i32_e32 v16, 31, v16
	v_and_b32_e32 v40, v40, v41
	;; [unrolled: 8-line block ×5, first 2 shown]
	v_xor_b32_e32 v41, s19, v16
	v_xor_b32_e32 v16, s18, v16
	v_and_b32_e32 v37, v37, v16
	v_lshlrev_b32_e32 v16, 24, v17
	v_cmp_gt_i64_e64 s[18:19], 0, v[15:16]
	v_not_b32_e32 v16, v16
	v_ashrrev_i32_e32 v16, 31, v16
	v_xor_b32_e32 v17, s19, v16
	v_xor_b32_e32 v16, s18, v16
	ds_read_b32 v35, v39 offset:32
	v_and_b32_e32 v40, v40, v41
	v_and_b32_e32 v16, v37, v16
	v_and_b32_e32 v17, v40, v17
	v_mbcnt_lo_u32_b32 v37, v16, 0
	v_mbcnt_hi_u32_b32 v37, v17, v37
	v_cmp_ne_u64_e64 s[18:19], 0, v[16:17]
	v_cmp_eq_u32_e64 s[20:21], 0, v37
	s_and_b64 s[20:21], s[18:19], s[20:21]
	; wave barrier
	s_and_saveexec_b64 s[18:19], s[20:21]
	s_cbranch_execz .LBB1628_27
; %bb.26:
	v_bcnt_u32_b32 v16, v16, 0
	v_bcnt_u32_b32 v16, v17, v16
	s_waitcnt lgkmcnt(0)
	v_add_u32_e32 v16, v35, v16
	ds_write_b32 v39, v16 offset:32
.LBB1628_27:
	s_or_b64 exec, exec, s[18:19]
	v_cmp_lt_i64_e64 s[18:19], -1, v[11:12]
	s_mov_b32 s20, -1
	v_cndmask_b32_e64 v16, -1, v38, s[18:19]
	v_ashrrev_i32_e32 v17, 31, v12
	s_brev_b32 s21, -2
	v_xor_b32_e32 v12, v16, v12
	v_xor_b32_e32 v11, v17, v11
	v_cmp_ne_u64_e64 s[18:19], s[20:21], v[11:12]
	v_cndmask_b32_e64 v17, v38, v12, s[18:19]
	v_cndmask_b32_e64 v16, 0, v11, s[18:19]
	v_lshrrev_b64 v[16:17], s44, v[16:17]
	; wave barrier
	v_and_b32_e32 v17, s54, v16
	v_mul_lo_u32 v16, v17, 36
	v_lshl_add_u32 v41, v18, 2, v16
	v_and_b32_e32 v16, 1, v17
	v_add_co_u32_e64 v18, s[18:19], -1, v16
	v_addc_co_u32_e64 v40, s[18:19], 0, -1, s[18:19]
	v_cmp_ne_u32_e64 s[18:19], 0, v16
	v_xor_b32_e32 v16, s19, v40
	v_and_b32_e32 v40, exec_hi, v16
	v_lshlrev_b32_e32 v16, 30, v17
	v_xor_b32_e32 v18, s18, v18
	v_cmp_gt_i64_e64 s[18:19], 0, v[15:16]
	v_not_b32_e32 v16, v16
	v_ashrrev_i32_e32 v16, 31, v16
	v_and_b32_e32 v18, exec_lo, v18
	v_xor_b32_e32 v42, s19, v16
	v_xor_b32_e32 v16, s18, v16
	v_and_b32_e32 v18, v18, v16
	v_lshlrev_b32_e32 v16, 29, v17
	v_cmp_gt_i64_e64 s[18:19], 0, v[15:16]
	v_not_b32_e32 v16, v16
	v_ashrrev_i32_e32 v16, 31, v16
	v_and_b32_e32 v40, v40, v42
	v_xor_b32_e32 v42, s19, v16
	v_xor_b32_e32 v16, s18, v16
	v_and_b32_e32 v18, v18, v16
	v_lshlrev_b32_e32 v16, 28, v17
	v_cmp_gt_i64_e64 s[18:19], 0, v[15:16]
	v_not_b32_e32 v16, v16
	v_ashrrev_i32_e32 v16, 31, v16
	v_and_b32_e32 v40, v40, v42
	;; [unrolled: 8-line block ×5, first 2 shown]
	v_xor_b32_e32 v42, s19, v16
	v_xor_b32_e32 v16, s18, v16
	v_and_b32_e32 v18, v18, v16
	v_lshlrev_b32_e32 v16, 24, v17
	v_cmp_gt_i64_e64 s[18:19], 0, v[15:16]
	v_not_b32_e32 v15, v16
	v_ashrrev_i32_e32 v15, 31, v15
	v_xor_b32_e32 v16, s19, v15
	v_xor_b32_e32 v15, s18, v15
	ds_read_b32 v38, v41 offset:32
	v_and_b32_e32 v40, v40, v42
	v_and_b32_e32 v15, v18, v15
	v_and_b32_e32 v16, v40, v16
	v_mbcnt_lo_u32_b32 v17, v15, 0
	v_mbcnt_hi_u32_b32 v40, v16, v17
	v_cmp_ne_u64_e64 s[18:19], 0, v[15:16]
	v_cmp_eq_u32_e64 s[20:21], 0, v40
	s_and_b64 s[20:21], s[18:19], s[20:21]
	; wave barrier
	s_and_saveexec_b64 s[18:19], s[20:21]
	s_cbranch_execz .LBB1628_29
; %bb.28:
	v_bcnt_u32_b32 v15, v15, 0
	v_bcnt_u32_b32 v15, v16, v15
	s_waitcnt lgkmcnt(0)
	v_add_u32_e32 v15, v38, v15
	ds_write_b32 v41, v15 offset:32
.LBB1628_29:
	s_or_b64 exec, exec, s[18:19]
	; wave barrier
	s_waitcnt lgkmcnt(0)
	s_barrier
	ds_read2_b32 v[17:18], v25 offset0:8 offset1:9
	ds_read2_b32 v[15:16], v25 offset0:10 offset1:11
	ds_read_b32 v42, v25 offset:48
	v_min_u32_e32 v20, 0x1c0, v20
	v_or_b32_e32 v20, 63, v20
	s_waitcnt lgkmcnt(1)
	v_add3_u32 v43, v18, v17, v15
	s_waitcnt lgkmcnt(0)
	v_add3_u32 v42, v43, v16, v42
	v_and_b32_e32 v43, 15, v19
	v_cmp_ne_u32_e64 s[18:19], 0, v43
	v_mov_b32_dpp v44, v42 row_shr:1 row_mask:0xf bank_mask:0xf
	v_cndmask_b32_e64 v44, 0, v44, s[18:19]
	v_add_u32_e32 v42, v44, v42
	v_cmp_lt_u32_e64 s[18:19], 1, v43
	s_nop 0
	v_mov_b32_dpp v44, v42 row_shr:2 row_mask:0xf bank_mask:0xf
	v_cndmask_b32_e64 v44, 0, v44, s[18:19]
	v_add_u32_e32 v42, v42, v44
	v_cmp_lt_u32_e64 s[18:19], 3, v43
	s_nop 0
	;; [unrolled: 5-line block ×3, first 2 shown]
	v_mov_b32_dpp v44, v42 row_shr:8 row_mask:0xf bank_mask:0xf
	v_cndmask_b32_e64 v43, 0, v44, s[18:19]
	v_add_u32_e32 v42, v42, v43
	v_bfe_i32 v44, v19, 4, 1
	v_cmp_lt_u32_e64 s[18:19], 31, v19
	v_mov_b32_dpp v43, v42 row_bcast:15 row_mask:0xf bank_mask:0xf
	v_and_b32_e32 v43, v44, v43
	v_add_u32_e32 v42, v42, v43
	s_nop 1
	v_mov_b32_dpp v43, v42 row_bcast:31 row_mask:0xf bank_mask:0xf
	v_cndmask_b32_e64 v43, 0, v43, s[18:19]
	v_add_u32_e32 v42, v42, v43
	v_lshrrev_b32_e32 v43, 6, v0
	v_cmp_eq_u32_e64 s[18:19], v0, v20
	s_and_saveexec_b64 s[20:21], s[18:19]
; %bb.30:
	v_lshlrev_b32_e32 v20, 2, v43
	ds_write_b32 v20, v42
; %bb.31:
	s_or_b64 exec, exec, s[20:21]
	v_cmp_gt_u32_e64 s[18:19], 8, v0
	s_waitcnt lgkmcnt(0)
	s_barrier
	s_and_saveexec_b64 s[20:21], s[18:19]
	s_cbranch_execz .LBB1628_33
; %bb.32:
	v_lshlrev_b32_e32 v20, 2, v0
	ds_read_b32 v44, v20
	v_and_b32_e32 v45, 7, v19
	v_cmp_ne_u32_e64 s[18:19], 0, v45
	s_waitcnt lgkmcnt(0)
	v_mov_b32_dpp v46, v44 row_shr:1 row_mask:0xf bank_mask:0xf
	v_cndmask_b32_e64 v46, 0, v46, s[18:19]
	v_add_u32_e32 v44, v46, v44
	v_cmp_lt_u32_e64 s[18:19], 1, v45
	s_nop 0
	v_mov_b32_dpp v46, v44 row_shr:2 row_mask:0xf bank_mask:0xf
	v_cndmask_b32_e64 v46, 0, v46, s[18:19]
	v_add_u32_e32 v44, v44, v46
	v_cmp_lt_u32_e64 s[18:19], 3, v45
	s_nop 0
	v_mov_b32_dpp v46, v44 row_shr:4 row_mask:0xf bank_mask:0xf
	v_cndmask_b32_e64 v45, 0, v46, s[18:19]
	v_add_u32_e32 v44, v44, v45
	ds_write_b32 v20, v44
.LBB1628_33:
	s_or_b64 exec, exec, s[20:21]
	v_cmp_lt_u32_e64 s[18:19], 63, v0
	v_mov_b32_e32 v20, 0
	s_waitcnt lgkmcnt(0)
	s_barrier
	s_and_saveexec_b64 s[20:21], s[18:19]
; %bb.34:
	v_lshl_add_u32 v20, v43, 2, -4
	ds_read_b32 v20, v20
; %bb.35:
	s_or_b64 exec, exec, s[20:21]
	v_subrev_co_u32_e64 v43, s[18:19], 1, v19
	v_and_b32_e32 v44, 64, v19
	v_cmp_lt_i32_e64 s[20:21], v43, v44
	v_cndmask_b32_e64 v19, v43, v19, s[20:21]
	s_waitcnt lgkmcnt(0)
	v_add_u32_e32 v42, v20, v42
	v_lshlrev_b32_e32 v19, 2, v19
	ds_bpermute_b32 v19, v19, v42
	s_movk_i32 s24, 0x100
	v_cmp_gt_u32_e64 s[20:21], s24, v0
	s_waitcnt lgkmcnt(0)
	v_cndmask_b32_e64 v19, v19, v20, s[18:19]
	v_cndmask_b32_e64 v19, v19, 0, s[22:23]
	v_add_u32_e32 v17, v19, v17
	v_add_u32_e32 v18, v17, v18
	;; [unrolled: 1-line block ×4, first 2 shown]
	ds_write2_b32 v25, v19, v17 offset0:8 offset1:9
	ds_write2_b32 v25, v18, v15 offset0:10 offset1:11
	ds_write_b32 v25, v16 offset:48
	s_waitcnt lgkmcnt(0)
	s_barrier
	ds_read_b32 v43, v28 offset:32
	ds_read_b32 v42, v30 offset:32
	;; [unrolled: 1-line block ×6, first 2 shown]
	s_movk_i32 s18, 0xff
	v_cmp_lt_u32_e64 s[18:19], s18, v0
                                        ; implicit-def: $vgpr25
                                        ; implicit-def: $vgpr28
	s_and_saveexec_b64 s[48:49], s[20:21]
	s_cbranch_execz .LBB1628_39
; %bb.36:
	v_mul_u32_u24_e32 v15, 36, v0
	ds_read_b32 v25, v15 offset:32
	v_add_u32_e32 v16, 1, v0
	v_cmp_ne_u32_e64 s[24:25], s24, v16
	v_mov_b32_e32 v15, 0xc00
	s_and_saveexec_b64 s[50:51], s[24:25]
; %bb.37:
	v_mul_u32_u24_e32 v15, 36, v16
	ds_read_b32 v15, v15 offset:32
; %bb.38:
	s_or_b64 exec, exec, s[50:51]
	s_waitcnt lgkmcnt(0)
	v_sub_u32_e32 v28, v15, v25
.LBB1628_39:
	s_or_b64 exec, exec, s[48:49]
	v_mov_b32_e32 v16, 0
	v_lshlrev_b32_e32 v30, 2, v0
	s_waitcnt lgkmcnt(0)
	s_barrier
	s_and_saveexec_b64 s[24:25], s[20:21]
	s_cbranch_execz .LBB1628_49
; %bb.40:
	v_lshl_add_u32 v15, s33, 8, v0
	v_lshlrev_b64 v[17:18], 2, v[15:16]
	v_mov_b32_e32 v44, s27
	v_add_co_u32_e64 v17, s[20:21], s26, v17
	v_addc_co_u32_e64 v18, s[20:21], v44, v18, s[20:21]
	v_or_b32_e32 v15, 2.0, v28
	s_mov_b64 s[48:49], 0
	s_brev_b32 s55, -4
	s_mov_b32 s56, s33
	v_mov_b32_e32 v45, 0
	global_store_dword v[17:18], v15, off
                                        ; implicit-def: $sgpr20_sgpr21
	s_branch .LBB1628_43
.LBB1628_41:                            ;   in Loop: Header=BB1628_43 Depth=1
	s_or_b64 exec, exec, s[52:53]
.LBB1628_42:                            ;   in Loop: Header=BB1628_43 Depth=1
	s_or_b64 exec, exec, s[50:51]
	v_and_b32_e32 v19, 0x3fffffff, v15
	v_add_u32_e32 v45, v19, v45
	v_cmp_gt_i32_e64 s[20:21], -2.0, v15
	s_and_b64 s[50:51], exec, s[20:21]
	s_or_b64 s[48:49], s[50:51], s[48:49]
	s_andn2_b64 exec, exec, s[48:49]
	s_cbranch_execz .LBB1628_48
.LBB1628_43:                            ; =>This Loop Header: Depth=1
                                        ;     Child Loop BB1628_46 Depth 2
	s_or_b64 s[20:21], s[20:21], exec
	s_cmp_eq_u32 s56, 0
	s_cbranch_scc1 .LBB1628_47
; %bb.44:                               ;   in Loop: Header=BB1628_43 Depth=1
	s_add_i32 s56, s56, -1
	v_lshl_or_b32 v15, s56, 8, v0
	v_lshlrev_b64 v[19:20], 2, v[15:16]
	v_add_co_u32_e64 v19, s[20:21], s26, v19
	v_addc_co_u32_e64 v20, s[20:21], v44, v20, s[20:21]
	global_load_dword v15, v[19:20], off glc
	s_waitcnt vmcnt(0)
	v_cmp_gt_u32_e64 s[20:21], 2.0, v15
	s_and_saveexec_b64 s[50:51], s[20:21]
	s_cbranch_execz .LBB1628_42
; %bb.45:                               ;   in Loop: Header=BB1628_43 Depth=1
	s_mov_b64 s[52:53], 0
.LBB1628_46:                            ;   Parent Loop BB1628_43 Depth=1
                                        ; =>  This Inner Loop Header: Depth=2
	global_load_dword v15, v[19:20], off glc
	s_waitcnt vmcnt(0)
	v_cmp_lt_u32_e64 s[20:21], s55, v15
	s_or_b64 s[52:53], s[20:21], s[52:53]
	s_andn2_b64 exec, exec, s[52:53]
	s_cbranch_execnz .LBB1628_46
	s_branch .LBB1628_41
.LBB1628_47:                            ;   in Loop: Header=BB1628_43 Depth=1
                                        ; implicit-def: $sgpr56
	s_and_b64 s[50:51], exec, s[20:21]
	s_or_b64 s[48:49], s[50:51], s[48:49]
	s_andn2_b64 exec, exec, s[48:49]
	s_cbranch_execnz .LBB1628_43
.LBB1628_48:
	s_or_b64 exec, exec, s[48:49]
	v_add_u32_e32 v15, v45, v28
	v_or_b32_e32 v15, 0x80000000, v15
	global_store_dword v[17:18], v15, off
	global_load_dword v15, v30, s[28:29]
	v_sub_u32_e32 v16, v45, v25
	s_waitcnt vmcnt(0)
	v_add_u32_e32 v15, v16, v15
	ds_write_b32 v30, v15
.LBB1628_49:
	s_or_b64 exec, exec, s[24:25]
	s_mov_b32 s24, -1
	v_add_u32_e32 v17, v43, v24
	v_add3_u32 v18, v40, v41, v38
	v_add3_u32 v19, v37, v39, v35
	;; [unrolled: 1-line block ×5, first 2 shown]
	s_mov_b32 s50, 0
	s_mov_b32 s51, 0
	v_add_u32_e32 v27, v30, v30
	s_brev_b32 s25, -2
	v_mov_b32_e32 v16, 0
	s_movk_i32 s52, 0x200
	v_bfrev_b32_e32 v29, 1
	v_mov_b32_e32 v31, v0
	s_branch .LBB1628_51
.LBB1628_50:                            ;   in Loop: Header=BB1628_51 Depth=1
	s_or_b64 exec, exec, s[48:49]
	s_addk_i32 s51, 0xfc00
	s_add_i32 s50, s50, 8
	s_cmpk_eq_i32 s51, 0xf400
	v_add_u32_e32 v31, 0x400, v31
	s_waitcnt vmcnt(0)
	s_barrier
	s_cbranch_scc1 .LBB1628_55
.LBB1628_51:                            ; =>This Inner Loop Header: Depth=1
	v_add_u32_e32 v15, s51, v17
	v_min_u32_e32 v15, 0x400, v15
	v_lshlrev_b32_e32 v15, 3, v15
	ds_write_b64 v15, v[3:4] offset:1024
	v_add_u32_e32 v15, s51, v26
	v_min_u32_e32 v15, 0x400, v15
	v_lshlrev_b32_e32 v15, 3, v15
	ds_write_b64 v15, v[5:6] offset:1024
	;; [unrolled: 4-line block ×5, first 2 shown]
	v_add_u32_e32 v15, s51, v18
	v_min_u32_e32 v15, 0x400, v15
	v_lshlrev_b32_e32 v15, 3, v15
	v_cmp_gt_u32_e64 s[20:21], s7, v31
	ds_write_b64 v15, v[11:12] offset:1024
	s_waitcnt lgkmcnt(0)
	s_barrier
	s_and_saveexec_b64 s[48:49], s[20:21]
	s_cbranch_execz .LBB1628_53
; %bb.52:                               ;   in Loop: Header=BB1628_51 Depth=1
	ds_read_b64 v[32:33], v27 offset:1024
	v_mov_b32_e32 v36, s39
	s_waitcnt lgkmcnt(0)
	v_cmp_ne_u64_e64 s[20:21], s[24:25], v[32:33]
	v_cndmask_b32_e64 v35, v29, v33, s[20:21]
	v_cndmask_b32_e64 v34, 0, v32, s[20:21]
	v_lshrrev_b64 v[34:35], s44, v[34:35]
	v_cmp_lt_i64_e64 s[20:21], -1, v[32:33]
	v_and_b32_e32 v37, s54, v34
	v_lshlrev_b32_e32 v34, 2, v37
	ds_read_b32 v34, v34
	v_cndmask_b32_e64 v15, v29, -1, s[20:21]
	v_ashrrev_i32_e32 v35, 31, v33
	v_not_b32_e32 v35, v35
	v_xor_b32_e32 v33, v15, v33
	s_waitcnt lgkmcnt(0)
	v_add_u32_e32 v15, v31, v34
	v_xor_b32_e32 v32, v35, v32
	v_lshlrev_b64 v[34:35], 3, v[15:16]
	v_mov_b32_e32 v15, s50
	v_add_co_u32_e64 v34, s[20:21], s38, v34
	v_addc_co_u32_e64 v35, s[20:21], v36, v35, s[20:21]
	global_store_dwordx2 v[34:35], v[32:33], off
	buffer_store_dword v37, v15, s[0:3], 0 offen
.LBB1628_53:                            ;   in Loop: Header=BB1628_51 Depth=1
	s_or_b64 exec, exec, s[48:49]
	v_add_u32_e32 v15, 0x200, v31
	v_cmp_gt_u32_e64 s[20:21], s7, v15
	s_and_saveexec_b64 s[48:49], s[20:21]
	s_cbranch_execz .LBB1628_50
; %bb.54:                               ;   in Loop: Header=BB1628_51 Depth=1
	ds_read_b64 v[32:33], v27 offset:5120
	v_mov_b32_e32 v36, s39
	s_waitcnt lgkmcnt(0)
	v_cmp_ne_u64_e64 s[20:21], s[24:25], v[32:33]
	v_cndmask_b32_e64 v35, v29, v33, s[20:21]
	v_cndmask_b32_e64 v34, 0, v32, s[20:21]
	v_lshrrev_b64 v[34:35], s44, v[34:35]
	v_cmp_lt_i64_e64 s[20:21], -1, v[32:33]
	v_and_b32_e32 v37, s54, v34
	v_lshlrev_b32_e32 v34, 2, v37
	ds_read_b32 v34, v34
	v_cndmask_b32_e64 v15, v29, -1, s[20:21]
	v_ashrrev_i32_e32 v35, 31, v33
	v_not_b32_e32 v35, v35
	v_xor_b32_e32 v33, v15, v33
	s_waitcnt lgkmcnt(0)
	v_add3_u32 v15, v31, v34, s52
	v_xor_b32_e32 v32, v35, v32
	v_lshlrev_b64 v[34:35], 3, v[15:16]
	v_mov_b32_e32 v15, s50
	v_add_co_u32_e64 v34, s[20:21], s38, v34
	v_addc_co_u32_e64 v35, s[20:21], v36, v35, s[20:21]
	global_store_dwordx2 v[34:35], v[32:33], off
	buffer_store_dword v37, v15, s[0:3], 0 offen offset:4
	s_branch .LBB1628_50
.LBB1628_55:
	s_add_u32 s20, s40, s46
	s_addc_u32 s21, s41, s47
	v_mov_b32_e32 v3, s21
	v_add_co_u32_e64 v4, s[20:21], s20, v22
	v_addc_co_u32_e64 v3, s[20:21], 0, v3, s[20:21]
	v_add_co_u32_e64 v15, s[20:21], v4, v23
	v_addc_co_u32_e64 v16, s[20:21], 0, v3, s[20:21]
                                        ; implicit-def: $vgpr3_vgpr4
	s_and_saveexec_b64 s[20:21], vcc
	s_cbranch_execz .LBB1628_61
; %bb.56:
	global_load_dwordx2 v[3:4], v[15:16], off
	s_or_b64 exec, exec, s[20:21]
                                        ; implicit-def: $vgpr5_vgpr6
	s_and_saveexec_b64 s[20:21], s[8:9]
	s_cbranch_execnz .LBB1628_62
.LBB1628_57:
	s_or_b64 exec, exec, s[20:21]
                                        ; implicit-def: $vgpr7_vgpr8
	s_and_saveexec_b64 s[8:9], s[10:11]
	s_cbranch_execz .LBB1628_63
.LBB1628_58:
	global_load_dwordx2 v[7:8], v[15:16], off offset:1024
	s_or_b64 exec, exec, s[8:9]
                                        ; implicit-def: $vgpr9_vgpr10
	s_and_saveexec_b64 s[8:9], s[12:13]
	s_cbranch_execnz .LBB1628_64
.LBB1628_59:
	s_or_b64 exec, exec, s[8:9]
                                        ; implicit-def: $vgpr11_vgpr12
	s_and_saveexec_b64 s[8:9], s[14:15]
	s_cbranch_execz .LBB1628_65
.LBB1628_60:
	global_load_dwordx2 v[11:12], v[15:16], off offset:2048
	s_or_b64 exec, exec, s[8:9]
                                        ; implicit-def: $vgpr13_vgpr14
	s_and_saveexec_b64 s[8:9], s[16:17]
	s_cbranch_execnz .LBB1628_66
	s_branch .LBB1628_67
.LBB1628_61:
	s_or_b64 exec, exec, s[20:21]
                                        ; implicit-def: $vgpr5_vgpr6
	s_and_saveexec_b64 s[20:21], s[8:9]
	s_cbranch_execz .LBB1628_57
.LBB1628_62:
	global_load_dwordx2 v[5:6], v[15:16], off offset:512
	s_or_b64 exec, exec, s[20:21]
                                        ; implicit-def: $vgpr7_vgpr8
	s_and_saveexec_b64 s[8:9], s[10:11]
	s_cbranch_execnz .LBB1628_58
.LBB1628_63:
	s_or_b64 exec, exec, s[8:9]
                                        ; implicit-def: $vgpr9_vgpr10
	s_and_saveexec_b64 s[8:9], s[12:13]
	s_cbranch_execz .LBB1628_59
.LBB1628_64:
	global_load_dwordx2 v[9:10], v[15:16], off offset:1536
	s_or_b64 exec, exec, s[8:9]
                                        ; implicit-def: $vgpr11_vgpr12
	s_and_saveexec_b64 s[8:9], s[14:15]
	s_cbranch_execnz .LBB1628_60
.LBB1628_65:
	s_or_b64 exec, exec, s[8:9]
                                        ; implicit-def: $vgpr13_vgpr14
	s_and_saveexec_b64 s[8:9], s[16:17]
	s_cbranch_execz .LBB1628_67
.LBB1628_66:
	global_load_dwordx2 v[13:14], v[15:16], off offset:2560
.LBB1628_67:
	s_or_b64 exec, exec, s[8:9]
	s_mov_b32 s10, 0
	s_mov_b32 s11, 0
	v_mov_b32_e32 v16, 0
	s_movk_i32 s12, 0x200
	v_mov_b32_e32 v22, v0
	s_branch .LBB1628_69
.LBB1628_68:                            ;   in Loop: Header=BB1628_69 Depth=1
	s_or_b64 exec, exec, s[8:9]
	s_addk_i32 s11, 0xfc00
	s_add_i32 s10, s10, 8
	s_cmpk_eq_i32 s11, 0xf400
	v_add_u32_e32 v22, 0x400, v22
	s_waitcnt vmcnt(0)
	s_barrier
	s_cbranch_scc1 .LBB1628_73
.LBB1628_69:                            ; =>This Inner Loop Header: Depth=1
	v_add_u32_e32 v15, s11, v17
	v_min_u32_e32 v15, 0x400, v15
	v_lshlrev_b32_e32 v15, 3, v15
	s_waitcnt vmcnt(0)
	ds_write_b64 v15, v[3:4] offset:1024
	v_add_u32_e32 v15, s11, v26
	v_min_u32_e32 v15, 0x400, v15
	v_lshlrev_b32_e32 v15, 3, v15
	ds_write_b64 v15, v[5:6] offset:1024
	v_add_u32_e32 v15, s11, v24
	v_min_u32_e32 v15, 0x400, v15
	v_lshlrev_b32_e32 v15, 3, v15
	;; [unrolled: 4-line block ×5, first 2 shown]
	v_cmp_gt_u32_e32 vcc, s7, v22
	ds_write_b64 v15, v[13:14] offset:1024
	s_waitcnt lgkmcnt(0)
	s_barrier
	s_and_saveexec_b64 s[8:9], vcc
	s_cbranch_execz .LBB1628_71
; %bb.70:                               ;   in Loop: Header=BB1628_69 Depth=1
	v_mov_b32_e32 v15, s10
	buffer_load_dword v15, v15, s[0:3], 0 offen
	v_mov_b32_e32 v23, s43
	s_waitcnt vmcnt(0)
	v_lshlrev_b32_e32 v15, 2, v15
	ds_read_b32 v15, v15
	ds_read_b64 v[31:32], v27 offset:1024
	s_waitcnt lgkmcnt(1)
	v_add_u32_e32 v15, v22, v15
	v_lshlrev_b64 v[33:34], 3, v[15:16]
	v_add_co_u32_e32 v33, vcc, s42, v33
	v_addc_co_u32_e32 v34, vcc, v23, v34, vcc
	s_waitcnt lgkmcnt(0)
	global_store_dwordx2 v[33:34], v[31:32], off
.LBB1628_71:                            ;   in Loop: Header=BB1628_69 Depth=1
	s_or_b64 exec, exec, s[8:9]
	v_add_u32_e32 v15, 0x200, v22
	v_cmp_gt_u32_e32 vcc, s7, v15
	s_and_saveexec_b64 s[8:9], vcc
	s_cbranch_execz .LBB1628_68
; %bb.72:                               ;   in Loop: Header=BB1628_69 Depth=1
	v_mov_b32_e32 v15, s10
	buffer_load_dword v15, v15, s[0:3], 0 offen offset:4
	v_mov_b32_e32 v23, s43
	s_waitcnt vmcnt(0)
	v_lshlrev_b32_e32 v15, 2, v15
	ds_read_b32 v15, v15
	ds_read_b64 v[31:32], v27 offset:5120
	s_waitcnt lgkmcnt(1)
	v_add3_u32 v15, v22, v15, s12
	v_lshlrev_b64 v[33:34], 3, v[15:16]
	v_add_co_u32_e32 v33, vcc, s42, v33
	v_addc_co_u32_e32 v34, vcc, v23, v34, vcc
	s_waitcnt lgkmcnt(0)
	global_store_dwordx2 v[33:34], v[31:32], off
	s_branch .LBB1628_68
.LBB1628_73:
	s_add_i32 s35, s35, -1
	s_cmp_eq_u32 s33, s35
	s_cselect_b64 s[8:9], -1, 0
	s_xor_b64 s[10:11], s[18:19], -1
	s_and_b64 s[10:11], s[10:11], s[8:9]
	s_and_saveexec_b64 s[8:9], s[10:11]
	s_cbranch_execz .LBB1628_75
; %bb.74:
	ds_read_b32 v3, v30
	s_waitcnt lgkmcnt(0)
	v_add3_u32 v3, v25, v28, v3
	global_store_dword v30, v3, s[30:31]
.LBB1628_75:
	s_or_b64 exec, exec, s[8:9]
	s_mov_b64 s[8:9], 0
.LBB1628_76:
	s_and_b64 vcc, exec, s[8:9]
	s_cbranch_vccz .LBB1628_115
; %bb.77:
	s_mov_b32 s35, 0
	s_lshl_b64 s[10:11], s[34:35], 3
	v_mbcnt_hi_u32_b32 v17, -1, v21
	s_add_u32 s7, s36, s10
	v_and_b32_e32 v3, 63, v17
	s_addc_u32 s8, s37, s11
	v_and_b32_e32 v18, 0x1c0, v0
	v_lshlrev_b32_e32 v19, 3, v3
	v_mul_u32_u24_e32 v4, 6, v18
	v_mov_b32_e32 v3, s8
	v_add_co_u32_e32 v5, vcc, s7, v19
	v_addc_co_u32_e32 v6, vcc, 0, v3, vcc
	v_lshlrev_b32_e32 v20, 3, v4
	v_add_co_u32_e32 v3, vcc, v5, v20
	v_addc_co_u32_e32 v4, vcc, 0, v6, vcc
	global_load_dwordx2 v[23:24], v[3:4], off
	s_load_dword s16, s[4:5], 0x58
	s_load_dword s7, s[4:5], 0x64
	s_add_u32 s4, s4, 0x58
	s_addc_u32 s5, s5, 0
	v_mov_b32_e32 v13, 0
	global_load_dwordx2 v[15:16], v[3:4], off offset:512
	global_load_dwordx2 v[5:6], v[3:4], off offset:1024
	;; [unrolled: 1-line block ×3, first 2 shown]
	s_waitcnt lgkmcnt(0)
	s_lshr_b32 s12, s7, 16
	s_cmp_lt_u32 s6, s16
	s_cselect_b32 s6, 12, 18
	s_add_u32 s4, s4, s6
	s_addc_u32 s5, s5, 0
	global_load_ushort v21, v13, s[4:5]
	global_load_dwordx2 v[9:10], v[3:4], off offset:2048
	global_load_dwordx2 v[11:12], v[3:4], off offset:2560
	v_bfrev_b32_e32 v22, 1
	s_mov_b32 s8, -1
	s_brev_b32 s9, -2
	s_lshl_b32 s4, -1, s45
	s_not_b32 s17, s4
	v_mad_u32_u24 v1, v2, s12, v1
	s_waitcnt vmcnt(6)
	v_cmp_lt_i64_e32 vcc, -1, v[23:24]
	v_ashrrev_i32_e32 v14, 31, v24
	v_cndmask_b32_e32 v3, -1, v22, vcc
	v_xor_b32_e32 v4, v3, v24
	v_xor_b32_e32 v3, v14, v23
	v_cmp_ne_u64_e32 vcc, s[8:9], v[3:4]
	v_cndmask_b32_e32 v24, v22, v4, vcc
	v_cndmask_b32_e32 v23, 0, v3, vcc
	v_lshrrev_b64 v[23:24], s44, v[23:24]
	v_and_b32_e32 v25, s17, v23
	v_and_b32_e32 v23, 1, v25
	v_lshlrev_b32_e32 v14, 30, v25
	v_cmp_ne_u32_e32 vcc, 0, v23
	v_add_co_u32_e64 v23, s[6:7], -1, v23
	v_cmp_gt_i64_e64 s[4:5], 0, v[13:14]
	v_addc_co_u32_e64 v24, s[6:7], 0, -1, s[6:7]
	v_not_b32_e32 v26, v14
	v_lshlrev_b32_e32 v14, 29, v25
	v_xor_b32_e32 v24, vcc_hi, v24
	v_ashrrev_i32_e32 v26, 31, v26
	v_xor_b32_e32 v23, vcc_lo, v23
	v_cmp_gt_i64_e32 vcc, 0, v[13:14]
	v_not_b32_e32 v27, v14
	v_lshlrev_b32_e32 v14, 28, v25
	v_and_b32_e32 v24, exec_hi, v24
	v_xor_b32_e32 v28, s5, v26
	v_and_b32_e32 v23, exec_lo, v23
	v_xor_b32_e32 v26, s4, v26
	v_ashrrev_i32_e32 v27, 31, v27
	v_cmp_gt_i64_e64 s[4:5], 0, v[13:14]
	v_not_b32_e32 v29, v14
	v_lshlrev_b32_e32 v14, 27, v25
	v_and_b32_e32 v24, v24, v28
	v_and_b32_e32 v23, v23, v26
	v_xor_b32_e32 v26, vcc_hi, v27
	v_xor_b32_e32 v27, vcc_lo, v27
	v_ashrrev_i32_e32 v28, 31, v29
	v_cmp_gt_i64_e32 vcc, 0, v[13:14]
	v_not_b32_e32 v29, v14
	v_lshlrev_b32_e32 v14, 26, v25
	v_and_b32_e32 v24, v24, v26
	v_and_b32_e32 v23, v23, v27
	v_xor_b32_e32 v26, s5, v28
	v_xor_b32_e32 v27, s4, v28
	v_ashrrev_i32_e32 v28, 31, v29
	v_cmp_gt_i64_e64 s[4:5], 0, v[13:14]
	v_not_b32_e32 v29, v14
	v_lshlrev_b32_e32 v14, 25, v25
	v_and_b32_e32 v24, v24, v26
	v_and_b32_e32 v23, v23, v27
	v_xor_b32_e32 v26, vcc_hi, v28
	v_xor_b32_e32 v27, vcc_lo, v28
	v_ashrrev_i32_e32 v28, 31, v29
	v_cmp_gt_i64_e32 vcc, 0, v[13:14]
	v_not_b32_e32 v14, v14
	v_and_b32_e32 v24, v24, v26
	v_and_b32_e32 v23, v23, v27
	v_xor_b32_e32 v26, s5, v28
	v_xor_b32_e32 v27, s4, v28
	v_ashrrev_i32_e32 v14, 31, v14
	v_and_b32_e32 v24, v24, v26
	v_and_b32_e32 v23, v23, v27
	v_xor_b32_e32 v26, vcc_hi, v14
	v_xor_b32_e32 v14, vcc_lo, v14
	v_and_b32_e32 v27, v23, v14
	v_lshlrev_b32_e32 v14, 24, v25
	v_cmp_gt_i64_e32 vcc, 0, v[13:14]
	v_not_b32_e32 v14, v14
	v_and_b32_e32 v26, v24, v26
	v_ashrrev_i32_e32 v14, 31, v14
	s_waitcnt vmcnt(2)
	v_mad_u64_u32 v[23:24], s[4:5], v1, v21, v[0:1]
	v_xor_b32_e32 v28, vcc_hi, v14
	v_xor_b32_e32 v1, vcc_lo, v14
	v_mul_lo_u32 v14, v25, 36
	v_and_b32_e32 v1, v27, v1
	v_lshrrev_b32_e32 v31, 6, v23
	v_and_b32_e32 v2, v26, v28
	v_lshl_add_u32 v25, v31, 2, v14
	v_mbcnt_lo_u32_b32 v14, v1, 0
	v_mbcnt_hi_u32_b32 v21, v2, v14
	v_cmp_ne_u64_e32 vcc, 0, v[1:2]
	v_cmp_eq_u32_e64 s[4:5], 0, v21
	v_mul_u32_u24_e32 v24, 20, v0
	s_and_b64 s[6:7], vcc, s[4:5]
	ds_write2_b32 v24, v13, v13 offset0:8 offset1:9
	ds_write2_b32 v24, v13, v13 offset0:10 offset1:11
	ds_write_b32 v24, v13 offset:48
	s_waitcnt vmcnt(0) lgkmcnt(0)
	s_barrier
	; wave barrier
	s_and_saveexec_b64 s[4:5], s[6:7]
; %bb.78:
	v_bcnt_u32_b32 v1, v1, 0
	v_bcnt_u32_b32 v1, v2, v1
	ds_write_b32 v25, v1 offset:32
; %bb.79:
	s_or_b64 exec, exec, s[4:5]
	v_cmp_lt_i64_e32 vcc, -1, v[15:16]
	v_ashrrev_i32_e32 v14, 31, v16
	v_cndmask_b32_e32 v1, -1, v22, vcc
	v_xor_b32_e32 v2, v1, v16
	v_xor_b32_e32 v1, v14, v15
	v_cmp_ne_u64_e32 vcc, s[8:9], v[1:2]
	v_cndmask_b32_e32 v15, v22, v2, vcc
	v_cndmask_b32_e32 v14, 0, v1, vcc
	v_lshrrev_b64 v[14:15], s44, v[14:15]
	; wave barrier
	v_and_b32_e32 v15, s17, v14
	v_mul_lo_u32 v14, v15, 36
	v_lshl_add_u32 v27, v31, 2, v14
	v_and_b32_e32 v14, 1, v15
	v_add_co_u32_e32 v16, vcc, -1, v14
	v_addc_co_u32_e64 v23, s[4:5], 0, -1, vcc
	v_cmp_ne_u32_e32 vcc, 0, v14
	v_xor_b32_e32 v14, vcc_hi, v23
	v_and_b32_e32 v23, exec_hi, v14
	v_lshlrev_b32_e32 v14, 30, v15
	v_xor_b32_e32 v16, vcc_lo, v16
	v_cmp_gt_i64_e32 vcc, 0, v[13:14]
	v_not_b32_e32 v14, v14
	v_ashrrev_i32_e32 v14, 31, v14
	v_and_b32_e32 v16, exec_lo, v16
	v_xor_b32_e32 v26, vcc_hi, v14
	v_xor_b32_e32 v14, vcc_lo, v14
	v_and_b32_e32 v16, v16, v14
	v_lshlrev_b32_e32 v14, 29, v15
	v_cmp_gt_i64_e32 vcc, 0, v[13:14]
	v_not_b32_e32 v14, v14
	v_ashrrev_i32_e32 v14, 31, v14
	v_and_b32_e32 v23, v23, v26
	v_xor_b32_e32 v26, vcc_hi, v14
	v_xor_b32_e32 v14, vcc_lo, v14
	v_and_b32_e32 v16, v16, v14
	v_lshlrev_b32_e32 v14, 28, v15
	v_cmp_gt_i64_e32 vcc, 0, v[13:14]
	v_not_b32_e32 v14, v14
	v_ashrrev_i32_e32 v14, 31, v14
	v_and_b32_e32 v23, v23, v26
	;; [unrolled: 8-line block ×5, first 2 shown]
	v_xor_b32_e32 v26, vcc_hi, v14
	v_xor_b32_e32 v14, vcc_lo, v14
	v_and_b32_e32 v16, v16, v14
	v_lshlrev_b32_e32 v14, 24, v15
	v_cmp_gt_i64_e32 vcc, 0, v[13:14]
	v_not_b32_e32 v13, v14
	v_ashrrev_i32_e32 v13, 31, v13
	v_xor_b32_e32 v14, vcc_hi, v13
	v_xor_b32_e32 v13, vcc_lo, v13
	ds_read_b32 v22, v27 offset:32
	v_and_b32_e32 v23, v23, v26
	v_and_b32_e32 v13, v16, v13
	v_and_b32_e32 v14, v23, v14
	v_mbcnt_lo_u32_b32 v15, v13, 0
	v_mbcnt_hi_u32_b32 v23, v14, v15
	v_cmp_ne_u64_e32 vcc, 0, v[13:14]
	v_cmp_eq_u32_e64 s[4:5], 0, v23
	s_and_b64 s[6:7], vcc, s[4:5]
	; wave barrier
	s_and_saveexec_b64 s[4:5], s[6:7]
	s_cbranch_execz .LBB1628_81
; %bb.80:
	v_bcnt_u32_b32 v13, v13, 0
	v_bcnt_u32_b32 v13, v14, v13
	s_waitcnt lgkmcnt(0)
	v_add_u32_e32 v13, v22, v13
	ds_write_b32 v27, v13 offset:32
.LBB1628_81:
	s_or_b64 exec, exec, s[4:5]
	v_cmp_lt_i64_e32 vcc, -1, v[5:6]
	v_bfrev_b32_e32 v16, 1
	s_mov_b32 s6, -1
	v_cndmask_b32_e32 v13, -1, v16, vcc
	v_ashrrev_i32_e32 v14, 31, v6
	s_brev_b32 s7, -2
	v_xor_b32_e32 v6, v13, v6
	v_xor_b32_e32 v5, v14, v5
	v_cmp_ne_u64_e32 vcc, s[6:7], v[5:6]
	v_cndmask_b32_e32 v14, v16, v6, vcc
	v_cndmask_b32_e32 v13, 0, v5, vcc
	v_lshrrev_b64 v[13:14], s44, v[13:14]
	; wave barrier
	v_and_b32_e32 v15, s17, v13
	v_mul_lo_u32 v13, v15, 36
	v_and_b32_e32 v14, 1, v15
	v_add_co_u32_e32 v28, vcc, -1, v14
	v_addc_co_u32_e64 v29, s[4:5], 0, -1, vcc
	v_cmp_ne_u32_e32 vcc, 0, v14
	v_xor_b32_e32 v14, vcc_hi, v29
	v_lshl_add_u32 v30, v31, 2, v13
	v_mov_b32_e32 v13, 0
	v_and_b32_e32 v29, exec_hi, v14
	v_lshlrev_b32_e32 v14, 30, v15
	v_xor_b32_e32 v28, vcc_lo, v28
	v_cmp_gt_i64_e32 vcc, 0, v[13:14]
	v_not_b32_e32 v14, v14
	v_ashrrev_i32_e32 v14, 31, v14
	v_and_b32_e32 v28, exec_lo, v28
	v_xor_b32_e32 v32, vcc_hi, v14
	v_xor_b32_e32 v14, vcc_lo, v14
	v_and_b32_e32 v28, v28, v14
	v_lshlrev_b32_e32 v14, 29, v15
	v_cmp_gt_i64_e32 vcc, 0, v[13:14]
	v_not_b32_e32 v14, v14
	v_ashrrev_i32_e32 v14, 31, v14
	v_and_b32_e32 v29, v29, v32
	v_xor_b32_e32 v32, vcc_hi, v14
	v_xor_b32_e32 v14, vcc_lo, v14
	v_and_b32_e32 v28, v28, v14
	v_lshlrev_b32_e32 v14, 28, v15
	v_cmp_gt_i64_e32 vcc, 0, v[13:14]
	v_not_b32_e32 v14, v14
	v_ashrrev_i32_e32 v14, 31, v14
	v_and_b32_e32 v29, v29, v32
	;; [unrolled: 8-line block ×5, first 2 shown]
	v_xor_b32_e32 v32, vcc_hi, v14
	v_xor_b32_e32 v14, vcc_lo, v14
	v_and_b32_e32 v28, v28, v14
	v_lshlrev_b32_e32 v14, 24, v15
	v_cmp_gt_i64_e32 vcc, 0, v[13:14]
	v_not_b32_e32 v14, v14
	v_ashrrev_i32_e32 v14, 31, v14
	v_xor_b32_e32 v15, vcc_hi, v14
	v_xor_b32_e32 v14, vcc_lo, v14
	ds_read_b32 v26, v30 offset:32
	v_and_b32_e32 v29, v29, v32
	v_and_b32_e32 v14, v28, v14
	;; [unrolled: 1-line block ×3, first 2 shown]
	v_mbcnt_lo_u32_b32 v28, v14, 0
	v_mbcnt_hi_u32_b32 v28, v15, v28
	v_cmp_ne_u64_e32 vcc, 0, v[14:15]
	v_cmp_eq_u32_e64 s[4:5], 0, v28
	s_and_b64 s[8:9], vcc, s[4:5]
	; wave barrier
	s_and_saveexec_b64 s[4:5], s[8:9]
	s_cbranch_execz .LBB1628_83
; %bb.82:
	v_bcnt_u32_b32 v14, v14, 0
	v_bcnt_u32_b32 v14, v15, v14
	s_waitcnt lgkmcnt(0)
	v_add_u32_e32 v14, v26, v14
	ds_write_b32 v30, v14 offset:32
.LBB1628_83:
	s_or_b64 exec, exec, s[4:5]
	v_cmp_lt_i64_e32 vcc, -1, v[7:8]
	v_ashrrev_i32_e32 v15, 31, v8
	v_cndmask_b32_e32 v14, -1, v16, vcc
	v_xor_b32_e32 v8, v14, v8
	v_xor_b32_e32 v7, v15, v7
	v_cmp_ne_u64_e32 vcc, s[6:7], v[7:8]
	v_cndmask_b32_e32 v15, v16, v8, vcc
	v_cndmask_b32_e32 v14, 0, v7, vcc
	v_lshrrev_b64 v[14:15], s44, v[14:15]
	; wave barrier
	v_and_b32_e32 v15, s17, v14
	v_mul_lo_u32 v14, v15, 36
	v_lshl_add_u32 v34, v31, 2, v14
	v_and_b32_e32 v14, 1, v15
	v_add_co_u32_e32 v16, vcc, -1, v14
	v_addc_co_u32_e64 v32, s[4:5], 0, -1, vcc
	v_cmp_ne_u32_e32 vcc, 0, v14
	v_xor_b32_e32 v14, vcc_hi, v32
	v_and_b32_e32 v32, exec_hi, v14
	v_lshlrev_b32_e32 v14, 30, v15
	v_xor_b32_e32 v16, vcc_lo, v16
	v_cmp_gt_i64_e32 vcc, 0, v[13:14]
	v_not_b32_e32 v14, v14
	v_ashrrev_i32_e32 v14, 31, v14
	v_and_b32_e32 v16, exec_lo, v16
	v_xor_b32_e32 v33, vcc_hi, v14
	v_xor_b32_e32 v14, vcc_lo, v14
	v_and_b32_e32 v16, v16, v14
	v_lshlrev_b32_e32 v14, 29, v15
	v_cmp_gt_i64_e32 vcc, 0, v[13:14]
	v_not_b32_e32 v14, v14
	v_ashrrev_i32_e32 v14, 31, v14
	v_and_b32_e32 v32, v32, v33
	v_xor_b32_e32 v33, vcc_hi, v14
	v_xor_b32_e32 v14, vcc_lo, v14
	v_and_b32_e32 v16, v16, v14
	v_lshlrev_b32_e32 v14, 28, v15
	v_cmp_gt_i64_e32 vcc, 0, v[13:14]
	v_not_b32_e32 v14, v14
	v_ashrrev_i32_e32 v14, 31, v14
	v_and_b32_e32 v32, v32, v33
	;; [unrolled: 8-line block ×5, first 2 shown]
	v_xor_b32_e32 v33, vcc_hi, v14
	v_xor_b32_e32 v14, vcc_lo, v14
	v_and_b32_e32 v16, v16, v14
	v_lshlrev_b32_e32 v14, 24, v15
	v_cmp_gt_i64_e32 vcc, 0, v[13:14]
	v_not_b32_e32 v13, v14
	v_ashrrev_i32_e32 v13, 31, v13
	v_xor_b32_e32 v14, vcc_hi, v13
	v_xor_b32_e32 v13, vcc_lo, v13
	ds_read_b32 v29, v34 offset:32
	v_and_b32_e32 v32, v32, v33
	v_and_b32_e32 v13, v16, v13
	;; [unrolled: 1-line block ×3, first 2 shown]
	v_mbcnt_lo_u32_b32 v15, v13, 0
	v_mbcnt_hi_u32_b32 v32, v14, v15
	v_cmp_ne_u64_e32 vcc, 0, v[13:14]
	v_cmp_eq_u32_e64 s[4:5], 0, v32
	s_and_b64 s[6:7], vcc, s[4:5]
	; wave barrier
	s_and_saveexec_b64 s[4:5], s[6:7]
	s_cbranch_execz .LBB1628_85
; %bb.84:
	v_bcnt_u32_b32 v13, v13, 0
	v_bcnt_u32_b32 v13, v14, v13
	s_waitcnt lgkmcnt(0)
	v_add_u32_e32 v13, v29, v13
	ds_write_b32 v34, v13 offset:32
.LBB1628_85:
	s_or_b64 exec, exec, s[4:5]
	v_cmp_lt_i64_e32 vcc, -1, v[9:10]
	v_bfrev_b32_e32 v16, 1
	s_mov_b32 s6, -1
	v_cndmask_b32_e32 v13, -1, v16, vcc
	v_ashrrev_i32_e32 v14, 31, v10
	s_brev_b32 s7, -2
	v_xor_b32_e32 v10, v13, v10
	v_xor_b32_e32 v9, v14, v9
	v_cmp_ne_u64_e32 vcc, s[6:7], v[9:10]
	v_cndmask_b32_e32 v14, v16, v10, vcc
	v_cndmask_b32_e32 v13, 0, v9, vcc
	v_lshrrev_b64 v[13:14], s44, v[13:14]
	; wave barrier
	v_and_b32_e32 v15, s17, v13
	v_mul_lo_u32 v13, v15, 36
	v_and_b32_e32 v14, 1, v15
	v_add_co_u32_e32 v35, vcc, -1, v14
	v_addc_co_u32_e64 v36, s[4:5], 0, -1, vcc
	v_cmp_ne_u32_e32 vcc, 0, v14
	v_xor_b32_e32 v14, vcc_hi, v36
	v_lshl_add_u32 v37, v31, 2, v13
	v_mov_b32_e32 v13, 0
	v_and_b32_e32 v36, exec_hi, v14
	v_lshlrev_b32_e32 v14, 30, v15
	v_xor_b32_e32 v35, vcc_lo, v35
	v_cmp_gt_i64_e32 vcc, 0, v[13:14]
	v_not_b32_e32 v14, v14
	v_ashrrev_i32_e32 v14, 31, v14
	v_and_b32_e32 v35, exec_lo, v35
	v_xor_b32_e32 v38, vcc_hi, v14
	v_xor_b32_e32 v14, vcc_lo, v14
	v_and_b32_e32 v35, v35, v14
	v_lshlrev_b32_e32 v14, 29, v15
	v_cmp_gt_i64_e32 vcc, 0, v[13:14]
	v_not_b32_e32 v14, v14
	v_ashrrev_i32_e32 v14, 31, v14
	v_and_b32_e32 v36, v36, v38
	v_xor_b32_e32 v38, vcc_hi, v14
	v_xor_b32_e32 v14, vcc_lo, v14
	v_and_b32_e32 v35, v35, v14
	v_lshlrev_b32_e32 v14, 28, v15
	v_cmp_gt_i64_e32 vcc, 0, v[13:14]
	v_not_b32_e32 v14, v14
	v_ashrrev_i32_e32 v14, 31, v14
	v_and_b32_e32 v36, v36, v38
	;; [unrolled: 8-line block ×5, first 2 shown]
	v_xor_b32_e32 v38, vcc_hi, v14
	v_xor_b32_e32 v14, vcc_lo, v14
	v_and_b32_e32 v35, v35, v14
	v_lshlrev_b32_e32 v14, 24, v15
	v_cmp_gt_i64_e32 vcc, 0, v[13:14]
	v_not_b32_e32 v14, v14
	v_ashrrev_i32_e32 v14, 31, v14
	v_xor_b32_e32 v15, vcc_hi, v14
	v_xor_b32_e32 v14, vcc_lo, v14
	ds_read_b32 v33, v37 offset:32
	v_and_b32_e32 v36, v36, v38
	v_and_b32_e32 v14, v35, v14
	;; [unrolled: 1-line block ×3, first 2 shown]
	v_mbcnt_lo_u32_b32 v35, v14, 0
	v_mbcnt_hi_u32_b32 v35, v15, v35
	v_cmp_ne_u64_e32 vcc, 0, v[14:15]
	v_cmp_eq_u32_e64 s[4:5], 0, v35
	s_and_b64 s[8:9], vcc, s[4:5]
	; wave barrier
	s_and_saveexec_b64 s[4:5], s[8:9]
	s_cbranch_execz .LBB1628_87
; %bb.86:
	v_bcnt_u32_b32 v14, v14, 0
	v_bcnt_u32_b32 v14, v15, v14
	s_waitcnt lgkmcnt(0)
	v_add_u32_e32 v14, v33, v14
	ds_write_b32 v37, v14 offset:32
.LBB1628_87:
	s_or_b64 exec, exec, s[4:5]
	v_cmp_lt_i64_e32 vcc, -1, v[11:12]
	v_ashrrev_i32_e32 v14, 31, v12
	v_cndmask_b32_e32 v15, -1, v16, vcc
	v_xor_b32_e32 v12, v15, v12
	v_xor_b32_e32 v11, v14, v11
	v_cmp_ne_u64_e32 vcc, s[6:7], v[11:12]
	v_cndmask_b32_e32 v15, v16, v12, vcc
	v_cndmask_b32_e32 v14, 0, v11, vcc
	v_lshrrev_b64 v[14:15], s44, v[14:15]
	; wave barrier
	v_and_b32_e32 v15, s17, v14
	v_mul_lo_u32 v14, v15, 36
	v_and_b32_e32 v16, 1, v15
	v_lshl_add_u32 v39, v31, 2, v14
	v_add_co_u32_e32 v14, vcc, -1, v16
	v_addc_co_u32_e64 v31, s[4:5], 0, -1, vcc
	v_cmp_ne_u32_e32 vcc, 0, v16
	v_xor_b32_e32 v14, vcc_lo, v14
	v_xor_b32_e32 v16, vcc_hi, v31
	v_and_b32_e32 v31, exec_lo, v14
	v_lshlrev_b32_e32 v14, 30, v15
	v_cmp_gt_i64_e32 vcc, 0, v[13:14]
	v_not_b32_e32 v14, v14
	v_ashrrev_i32_e32 v14, 31, v14
	v_xor_b32_e32 v38, vcc_hi, v14
	v_xor_b32_e32 v14, vcc_lo, v14
	v_and_b32_e32 v31, v31, v14
	v_lshlrev_b32_e32 v14, 29, v15
	v_cmp_gt_i64_e32 vcc, 0, v[13:14]
	v_not_b32_e32 v14, v14
	v_and_b32_e32 v16, exec_hi, v16
	v_ashrrev_i32_e32 v14, 31, v14
	v_and_b32_e32 v16, v16, v38
	v_xor_b32_e32 v38, vcc_hi, v14
	v_xor_b32_e32 v14, vcc_lo, v14
	v_and_b32_e32 v31, v31, v14
	v_lshlrev_b32_e32 v14, 28, v15
	v_cmp_gt_i64_e32 vcc, 0, v[13:14]
	v_not_b32_e32 v14, v14
	v_ashrrev_i32_e32 v14, 31, v14
	v_and_b32_e32 v16, v16, v38
	v_xor_b32_e32 v38, vcc_hi, v14
	v_xor_b32_e32 v14, vcc_lo, v14
	v_and_b32_e32 v31, v31, v14
	v_lshlrev_b32_e32 v14, 27, v15
	v_cmp_gt_i64_e32 vcc, 0, v[13:14]
	v_not_b32_e32 v14, v14
	v_ashrrev_i32_e32 v14, 31, v14
	v_and_b32_e32 v16, v16, v38
	v_xor_b32_e32 v38, vcc_hi, v14
	v_xor_b32_e32 v14, vcc_lo, v14
	v_and_b32_e32 v31, v31, v14
	v_lshlrev_b32_e32 v14, 26, v15
	v_cmp_gt_i64_e32 vcc, 0, v[13:14]
	v_not_b32_e32 v14, v14
	v_ashrrev_i32_e32 v14, 31, v14
	v_and_b32_e32 v16, v16, v38
	v_xor_b32_e32 v38, vcc_hi, v14
	v_xor_b32_e32 v14, vcc_lo, v14
	v_and_b32_e32 v31, v31, v14
	v_lshlrev_b32_e32 v14, 25, v15
	v_cmp_gt_i64_e32 vcc, 0, v[13:14]
	v_not_b32_e32 v14, v14
	v_ashrrev_i32_e32 v14, 31, v14
	v_and_b32_e32 v16, v16, v38
	v_xor_b32_e32 v38, vcc_hi, v14
	v_xor_b32_e32 v14, vcc_lo, v14
	v_and_b32_e32 v31, v31, v14
	v_lshlrev_b32_e32 v14, 24, v15
	v_cmp_gt_i64_e32 vcc, 0, v[13:14]
	v_not_b32_e32 v13, v14
	v_ashrrev_i32_e32 v13, 31, v13
	v_xor_b32_e32 v14, vcc_hi, v13
	v_xor_b32_e32 v13, vcc_lo, v13
	ds_read_b32 v36, v39 offset:32
	v_and_b32_e32 v16, v16, v38
	v_and_b32_e32 v13, v31, v13
	;; [unrolled: 1-line block ×3, first 2 shown]
	v_mbcnt_lo_u32_b32 v15, v13, 0
	v_mbcnt_hi_u32_b32 v38, v14, v15
	v_cmp_ne_u64_e32 vcc, 0, v[13:14]
	v_cmp_eq_u32_e64 s[4:5], 0, v38
	s_and_b64 s[6:7], vcc, s[4:5]
	; wave barrier
	s_and_saveexec_b64 s[4:5], s[6:7]
	s_cbranch_execz .LBB1628_89
; %bb.88:
	v_bcnt_u32_b32 v13, v13, 0
	v_bcnt_u32_b32 v13, v14, v13
	s_waitcnt lgkmcnt(0)
	v_add_u32_e32 v13, v36, v13
	ds_write_b32 v39, v13 offset:32
.LBB1628_89:
	s_or_b64 exec, exec, s[4:5]
	; wave barrier
	s_waitcnt lgkmcnt(0)
	s_barrier
	ds_read2_b32 v[15:16], v24 offset0:8 offset1:9
	ds_read2_b32 v[13:14], v24 offset0:10 offset1:11
	ds_read_b32 v31, v24 offset:48
	v_min_u32_e32 v18, 0x1c0, v18
	v_or_b32_e32 v18, 63, v18
	s_waitcnt lgkmcnt(1)
	v_add3_u32 v40, v16, v15, v13
	s_waitcnt lgkmcnt(0)
	v_add3_u32 v31, v40, v14, v31
	v_and_b32_e32 v40, 15, v17
	v_cmp_ne_u32_e32 vcc, 0, v40
	v_mov_b32_dpp v41, v31 row_shr:1 row_mask:0xf bank_mask:0xf
	v_cndmask_b32_e32 v41, 0, v41, vcc
	v_add_u32_e32 v31, v41, v31
	v_cmp_lt_u32_e32 vcc, 1, v40
	s_nop 0
	v_mov_b32_dpp v41, v31 row_shr:2 row_mask:0xf bank_mask:0xf
	v_cndmask_b32_e32 v41, 0, v41, vcc
	v_add_u32_e32 v31, v31, v41
	v_cmp_lt_u32_e32 vcc, 3, v40
	s_nop 0
	;; [unrolled: 5-line block ×3, first 2 shown]
	v_mov_b32_dpp v41, v31 row_shr:8 row_mask:0xf bank_mask:0xf
	v_cndmask_b32_e32 v40, 0, v41, vcc
	v_add_u32_e32 v31, v31, v40
	v_bfe_i32 v41, v17, 4, 1
	v_cmp_lt_u32_e32 vcc, 31, v17
	v_mov_b32_dpp v40, v31 row_bcast:15 row_mask:0xf bank_mask:0xf
	v_and_b32_e32 v40, v41, v40
	v_add_u32_e32 v31, v31, v40
	v_lshrrev_b32_e32 v41, 6, v0
	s_nop 0
	v_mov_b32_dpp v40, v31 row_bcast:31 row_mask:0xf bank_mask:0xf
	v_cndmask_b32_e32 v40, 0, v40, vcc
	v_add_u32_e32 v40, v31, v40
	v_cmp_eq_u32_e32 vcc, v0, v18
	s_and_saveexec_b64 s[4:5], vcc
; %bb.90:
	v_lshlrev_b32_e32 v18, 2, v41
	ds_write_b32 v18, v40
; %bb.91:
	s_or_b64 exec, exec, s[4:5]
	v_cmp_gt_u32_e32 vcc, 8, v0
	v_lshlrev_b32_e32 v31, 2, v0
	s_waitcnt lgkmcnt(0)
	s_barrier
	s_and_saveexec_b64 s[4:5], vcc
	s_cbranch_execz .LBB1628_93
; %bb.92:
	ds_read_b32 v18, v31
	v_and_b32_e32 v42, 7, v17
	v_cmp_ne_u32_e32 vcc, 0, v42
	s_waitcnt lgkmcnt(0)
	v_mov_b32_dpp v43, v18 row_shr:1 row_mask:0xf bank_mask:0xf
	v_cndmask_b32_e32 v43, 0, v43, vcc
	v_add_u32_e32 v18, v43, v18
	v_cmp_lt_u32_e32 vcc, 1, v42
	s_nop 0
	v_mov_b32_dpp v43, v18 row_shr:2 row_mask:0xf bank_mask:0xf
	v_cndmask_b32_e32 v43, 0, v43, vcc
	v_add_u32_e32 v18, v18, v43
	v_cmp_lt_u32_e32 vcc, 3, v42
	s_nop 0
	v_mov_b32_dpp v43, v18 row_shr:4 row_mask:0xf bank_mask:0xf
	v_cndmask_b32_e32 v42, 0, v43, vcc
	v_add_u32_e32 v18, v18, v42
	ds_write_b32 v31, v18
.LBB1628_93:
	s_or_b64 exec, exec, s[4:5]
	v_cmp_lt_u32_e32 vcc, 63, v0
	v_mov_b32_e32 v18, 0
	s_waitcnt lgkmcnt(0)
	s_barrier
	s_and_saveexec_b64 s[4:5], vcc
; %bb.94:
	v_lshl_add_u32 v18, v41, 2, -4
	ds_read_b32 v18, v18
; %bb.95:
	s_or_b64 exec, exec, s[4:5]
	v_subrev_co_u32_e32 v41, vcc, 1, v17
	v_and_b32_e32 v42, 64, v17
	v_cmp_lt_i32_e64 s[4:5], v41, v42
	v_cndmask_b32_e64 v17, v41, v17, s[4:5]
	s_waitcnt lgkmcnt(0)
	v_add_u32_e32 v40, v18, v40
	v_lshlrev_b32_e32 v17, 2, v17
	ds_bpermute_b32 v17, v17, v40
	s_movk_i32 s4, 0xff
	s_movk_i32 s6, 0x100
	s_waitcnt lgkmcnt(0)
	v_cndmask_b32_e32 v17, v17, v18, vcc
	v_cndmask_b32_e64 v17, v17, 0, s[22:23]
	v_add_u32_e32 v15, v17, v15
	v_add_u32_e32 v16, v15, v16
	v_add_u32_e32 v13, v16, v13
	v_add_u32_e32 v14, v13, v14
	ds_write2_b32 v24, v17, v15 offset0:8 offset1:9
	ds_write2_b32 v24, v16, v13 offset0:10 offset1:11
	ds_write_b32 v24, v14 offset:48
	s_waitcnt lgkmcnt(0)
	s_barrier
	ds_read_b32 v40, v25 offset:32
	ds_read_b32 v27, v27 offset:32
	;; [unrolled: 1-line block ×6, first 2 shown]
	v_cmp_lt_u32_e32 vcc, s4, v0
	v_cmp_gt_u32_e64 s[4:5], s6, v0
                                        ; implicit-def: $vgpr24
                                        ; implicit-def: $vgpr25
	s_and_saveexec_b64 s[8:9], s[4:5]
	s_cbranch_execz .LBB1628_99
; %bb.96:
	v_mul_u32_u24_e32 v13, 36, v0
	ds_read_b32 v24, v13 offset:32
	v_add_u32_e32 v14, 1, v0
	v_cmp_ne_u32_e64 s[6:7], s6, v14
	v_mov_b32_e32 v13, 0xc00
	s_and_saveexec_b64 s[12:13], s[6:7]
; %bb.97:
	v_mul_u32_u24_e32 v13, 36, v14
	ds_read_b32 v13, v13 offset:32
; %bb.98:
	s_or_b64 exec, exec, s[12:13]
	s_waitcnt lgkmcnt(0)
	v_sub_u32_e32 v25, v13, v24
.LBB1628_99:
	s_or_b64 exec, exec, s[8:9]
	v_mov_b32_e32 v14, 0
	s_waitcnt lgkmcnt(0)
	s_barrier
	s_and_saveexec_b64 s[6:7], s[4:5]
	s_cbranch_execz .LBB1628_109
; %bb.100:
	v_lshl_add_u32 v13, s33, 8, v0
	v_lshlrev_b64 v[15:16], 2, v[13:14]
	v_mov_b32_e32 v41, s27
	v_add_co_u32_e64 v15, s[4:5], s26, v15
	v_addc_co_u32_e64 v16, s[4:5], v41, v16, s[4:5]
	v_or_b32_e32 v13, 2.0, v25
	s_mov_b64 s[8:9], 0
	s_brev_b32 s18, -4
	s_mov_b32 s19, s33
	v_mov_b32_e32 v42, 0
	global_store_dword v[15:16], v13, off
                                        ; implicit-def: $sgpr4_sgpr5
	s_branch .LBB1628_103
.LBB1628_101:                           ;   in Loop: Header=BB1628_103 Depth=1
	s_or_b64 exec, exec, s[14:15]
.LBB1628_102:                           ;   in Loop: Header=BB1628_103 Depth=1
	s_or_b64 exec, exec, s[12:13]
	v_and_b32_e32 v17, 0x3fffffff, v13
	v_add_u32_e32 v42, v17, v42
	v_cmp_gt_i32_e64 s[4:5], -2.0, v13
	s_and_b64 s[12:13], exec, s[4:5]
	s_or_b64 s[8:9], s[12:13], s[8:9]
	s_andn2_b64 exec, exec, s[8:9]
	s_cbranch_execz .LBB1628_108
.LBB1628_103:                           ; =>This Loop Header: Depth=1
                                        ;     Child Loop BB1628_106 Depth 2
	s_or_b64 s[4:5], s[4:5], exec
	s_cmp_eq_u32 s19, 0
	s_cbranch_scc1 .LBB1628_107
; %bb.104:                              ;   in Loop: Header=BB1628_103 Depth=1
	s_add_i32 s19, s19, -1
	v_lshl_or_b32 v13, s19, 8, v0
	v_lshlrev_b64 v[17:18], 2, v[13:14]
	v_add_co_u32_e64 v17, s[4:5], s26, v17
	v_addc_co_u32_e64 v18, s[4:5], v41, v18, s[4:5]
	global_load_dword v13, v[17:18], off glc
	s_waitcnt vmcnt(0)
	v_cmp_gt_u32_e64 s[4:5], 2.0, v13
	s_and_saveexec_b64 s[12:13], s[4:5]
	s_cbranch_execz .LBB1628_102
; %bb.105:                              ;   in Loop: Header=BB1628_103 Depth=1
	s_mov_b64 s[14:15], 0
.LBB1628_106:                           ;   Parent Loop BB1628_103 Depth=1
                                        ; =>  This Inner Loop Header: Depth=2
	global_load_dword v13, v[17:18], off glc
	s_waitcnt vmcnt(0)
	v_cmp_lt_u32_e64 s[4:5], s18, v13
	s_or_b64 s[14:15], s[4:5], s[14:15]
	s_andn2_b64 exec, exec, s[14:15]
	s_cbranch_execnz .LBB1628_106
	s_branch .LBB1628_101
.LBB1628_107:                           ;   in Loop: Header=BB1628_103 Depth=1
                                        ; implicit-def: $sgpr19
	s_and_b64 s[12:13], exec, s[4:5]
	s_or_b64 s[8:9], s[12:13], s[8:9]
	s_andn2_b64 exec, exec, s[8:9]
	s_cbranch_execnz .LBB1628_103
.LBB1628_108:
	s_or_b64 exec, exec, s[8:9]
	v_add_u32_e32 v13, v42, v25
	v_or_b32_e32 v13, 0x80000000, v13
	global_store_dword v[15:16], v13, off
	global_load_dword v13, v31, s[28:29]
	v_sub_u32_e32 v14, v42, v24
	s_waitcnt vmcnt(0)
	v_add_u32_e32 v13, v14, v13
	ds_write_b32 v31, v13
.LBB1628_109:
	s_or_b64 exec, exec, s[6:7]
	s_mov_b32 s12, -1
	v_add_u32_e32 v15, v40, v21
	v_add3_u32 v16, v38, v39, v36
	v_add3_u32 v17, v35, v37, v33
	;; [unrolled: 1-line block ×5, first 2 shown]
	s_mov_b32 s14, 0
	s_mov_b32 s15, 0
	v_add_u32_e32 v23, v31, v31
	s_brev_b32 s13, -2
	v_bfrev_b32_e32 v26, 1
	v_mov_b32_e32 v14, 0
	v_mov_b32_e32 v27, s39
	s_movk_i32 s18, 0x200
	v_mov_b32_e32 v28, v0
.LBB1628_110:                           ; =>This Inner Loop Header: Depth=1
	v_add_u32_e32 v13, s15, v15
	v_add_u32_e32 v32, s15, v18
	;; [unrolled: 1-line block ×6, first 2 shown]
	v_min_u32_e32 v13, 0x400, v13
	v_min_u32_e32 v32, 0x400, v32
	;; [unrolled: 1-line block ×6, first 2 shown]
	v_lshlrev_b32_e32 v13, 3, v13
	v_lshlrev_b32_e32 v32, 3, v32
	;; [unrolled: 1-line block ×6, first 2 shown]
	ds_write_b64 v13, v[3:4] offset:1024
	ds_write_b64 v29, v[1:2] offset:1024
	;; [unrolled: 1-line block ×6, first 2 shown]
	s_waitcnt lgkmcnt(0)
	s_barrier
	ds_read2st64_b64 v[32:35], v23 offset0:2 offset1:10
	v_mov_b32_e32 v39, s14
	s_addk_i32 s15, 0xfc00
	s_add_i32 s14, s14, 8
	s_cmpk_lg_i32 s15, 0xf400
	s_waitcnt lgkmcnt(0)
	v_cmp_lt_i64_e64 s[6:7], -1, v[32:33]
	v_cmp_lt_i64_e64 s[8:9], -1, v[34:35]
	v_cmp_ne_u64_e64 s[4:5], s[12:13], v[32:33]
	v_cndmask_b32_e64 v13, v26, -1, s[6:7]
	v_cmp_ne_u64_e64 s[6:7], s[12:13], v[34:35]
	v_ashrrev_i32_e32 v29, 31, v33
	v_cndmask_b32_e64 v37, v26, -1, s[8:9]
	v_ashrrev_i32_e32 v38, 31, v35
	v_cndmask_b32_e64 v30, v26, v33, s[4:5]
	v_cndmask_b32_e64 v36, v26, v35, s[6:7]
	v_not_b32_e32 v40, v29
	v_xor_b32_e32 v33, v13, v33
	v_not_b32_e32 v13, v38
	v_xor_b32_e32 v38, v37, v35
	v_cndmask_b32_e64 v29, 0, v32, s[4:5]
	v_cndmask_b32_e64 v35, 0, v34, s[6:7]
	v_xor_b32_e32 v37, v13, v34
	v_lshrrev_b64 v[29:30], s44, v[29:30]
	v_lshrrev_b64 v[34:35], s44, v[35:36]
	v_and_b32_e32 v13, s17, v29
	v_and_b32_e32 v29, s17, v34
	v_lshlrev_b32_e32 v30, 2, v13
	buffer_store_dword v13, v39, s[0:3], 0 offen
	buffer_store_dword v29, v39, s[0:3], 0 offen offset:4
	v_lshlrev_b32_e32 v13, 2, v29
	ds_read_b32 v29, v30
	ds_read_b32 v34, v13
	v_xor_b32_e32 v32, v40, v32
	s_waitcnt lgkmcnt(1)
	v_add_u32_e32 v13, v28, v29
	v_lshlrev_b64 v[29:30], 3, v[13:14]
	s_waitcnt lgkmcnt(0)
	v_add3_u32 v13, v28, v34, s18
	v_lshlrev_b64 v[34:35], 3, v[13:14]
	v_add_co_u32_e64 v29, s[4:5], s38, v29
	v_addc_co_u32_e64 v30, s[4:5], v27, v30, s[4:5]
	global_store_dwordx2 v[29:30], v[32:33], off
	v_add_co_u32_e64 v29, s[4:5], s38, v34
	v_add_u32_e32 v28, 0x400, v28
	v_addc_co_u32_e64 v30, s[4:5], v27, v35, s[4:5]
	global_store_dwordx2 v[29:30], v[37:38], off
	s_waitcnt vmcnt(0)
	s_barrier
	s_cbranch_scc1 .LBB1628_110
; %bb.111:
	s_add_u32 s4, s40, s10
	s_addc_u32 s5, s41, s11
	v_mov_b32_e32 v1, s5
	v_add_co_u32_e64 v2, s[4:5], s4, v19
	v_addc_co_u32_e64 v1, s[4:5], 0, v1, s[4:5]
	v_add_co_u32_e64 v13, s[4:5], v2, v20
	v_addc_co_u32_e64 v14, s[4:5], 0, v1, s[4:5]
	global_load_dwordx2 v[1:2], v[13:14], off
	global_load_dwordx2 v[3:4], v[13:14], off offset:512
	global_load_dwordx2 v[5:6], v[13:14], off offset:1024
	;; [unrolled: 1-line block ×5, first 2 shown]
	v_mov_b32_e32 v14, 0
	s_mov_b32 s6, 0
	s_mov_b32 s7, 0
	v_mov_b32_e32 v19, s43
	s_movk_i32 s8, 0x200
.LBB1628_112:                           ; =>This Inner Loop Header: Depth=1
	v_add_u32_e32 v13, s7, v15
	v_add_u32_e32 v20, s7, v22
	v_add_u32_e32 v26, s7, v21
	v_add_u32_e32 v27, s7, v18
	v_add_u32_e32 v28, s7, v17
	v_add_u32_e32 v29, s7, v16
	v_min_u32_e32 v13, 0x400, v13
	v_min_u32_e32 v20, 0x400, v20
	v_mov_b32_e32 v30, s6
	v_min_u32_e32 v26, 0x400, v26
	v_min_u32_e32 v27, 0x400, v27
	;; [unrolled: 1-line block ×4, first 2 shown]
	v_lshlrev_b32_e32 v13, 3, v13
	v_lshlrev_b32_e32 v20, 3, v20
	;; [unrolled: 1-line block ×6, first 2 shown]
	s_waitcnt vmcnt(5)
	ds_write_b64 v13, v[1:2] offset:1024
	s_waitcnt vmcnt(4)
	ds_write_b64 v20, v[3:4] offset:1024
	;; [unrolled: 2-line block ×6, first 2 shown]
	s_waitcnt lgkmcnt(0)
	s_barrier
	buffer_load_dword v13, v30, s[0:3], 0 offen
	buffer_load_dword v20, v30, s[0:3], 0 offen offset:4
	ds_read2st64_b64 v[26:29], v23 offset0:2 offset1:10
	s_addk_i32 s7, 0xfc00
	s_add_i32 s6, s6, 8
	s_cmpk_lg_i32 s7, 0xf400
	s_waitcnt vmcnt(1)
	v_lshlrev_b32_e32 v13, 2, v13
	s_waitcnt vmcnt(0)
	v_lshlrev_b32_e32 v20, 2, v20
	ds_read_b32 v13, v13
	ds_read_b32 v20, v20
	s_waitcnt lgkmcnt(1)
	v_add_u32_e32 v13, v0, v13
	v_lshlrev_b64 v[32:33], 3, v[13:14]
	s_waitcnt lgkmcnt(0)
	v_add3_u32 v13, v0, v20, s8
	v_lshlrev_b64 v[34:35], 3, v[13:14]
	v_add_co_u32_e64 v32, s[4:5], s42, v32
	v_addc_co_u32_e64 v33, s[4:5], v19, v33, s[4:5]
	global_store_dwordx2 v[32:33], v[26:27], off
	v_add_co_u32_e64 v26, s[4:5], s42, v34
	v_add_u32_e32 v0, 0x400, v0
	v_addc_co_u32_e64 v27, s[4:5], v19, v35, s[4:5]
	global_store_dwordx2 v[26:27], v[28:29], off
	s_waitcnt vmcnt(0)
	s_barrier
	s_cbranch_scc1 .LBB1628_112
; %bb.113:
	s_add_i32 s16, s16, -1
	s_cmp_eq_u32 s33, s16
	s_cselect_b64 s[4:5], -1, 0
	s_xor_b64 s[6:7], vcc, -1
	s_and_b64 s[4:5], s[6:7], s[4:5]
	s_and_saveexec_b64 s[6:7], s[4:5]
	s_cbranch_execz .LBB1628_115
; %bb.114:
	ds_read_b32 v0, v31
	s_waitcnt lgkmcnt(0)
	v_add3_u32 v0, v24, v25, v0
	global_store_dword v31, v0, s[30:31]
.LBB1628_115:
	s_endpgm
	.section	.rodata,"a",@progbits
	.p2align	6, 0x0
	.amdhsa_kernel _ZN7rocprim17ROCPRIM_400000_NS6detail17trampoline_kernelINS0_14default_configENS1_35radix_sort_onesweep_config_selectorIdlEEZZNS1_29radix_sort_onesweep_iterationIS3_Lb0EPdS7_N6thrust23THRUST_200600_302600_NS10device_ptrIlEESB_jNS0_19identity_decomposerENS1_16block_id_wrapperIjLb1EEEEE10hipError_tT1_PNSt15iterator_traitsISG_E10value_typeET2_T3_PNSH_ISM_E10value_typeET4_T5_PSR_SS_PNS1_23onesweep_lookback_stateEbbT6_jjT7_P12ihipStream_tbENKUlT_T0_SG_SL_E_clIS7_S7_SB_PlEEDaSZ_S10_SG_SL_EUlSZ_E_NS1_11comp_targetILNS1_3genE2ELNS1_11target_archE906ELNS1_3gpuE6ELNS1_3repE0EEENS1_47radix_sort_onesweep_sort_config_static_selectorELNS0_4arch9wavefront6targetE1EEEvSG_
		.amdhsa_group_segment_fixed_size 10280
		.amdhsa_private_segment_fixed_size 32
		.amdhsa_kernarg_size 344
		.amdhsa_user_sgpr_count 6
		.amdhsa_user_sgpr_private_segment_buffer 1
		.amdhsa_user_sgpr_dispatch_ptr 0
		.amdhsa_user_sgpr_queue_ptr 0
		.amdhsa_user_sgpr_kernarg_segment_ptr 1
		.amdhsa_user_sgpr_dispatch_id 0
		.amdhsa_user_sgpr_flat_scratch_init 0
		.amdhsa_user_sgpr_private_segment_size 0
		.amdhsa_uses_dynamic_stack 0
		.amdhsa_system_sgpr_private_segment_wavefront_offset 1
		.amdhsa_system_sgpr_workgroup_id_x 1
		.amdhsa_system_sgpr_workgroup_id_y 0
		.amdhsa_system_sgpr_workgroup_id_z 0
		.amdhsa_system_sgpr_workgroup_info 0
		.amdhsa_system_vgpr_workitem_id 2
		.amdhsa_next_free_vgpr 47
		.amdhsa_next_free_sgpr 57
		.amdhsa_reserve_vcc 1
		.amdhsa_reserve_flat_scratch 0
		.amdhsa_float_round_mode_32 0
		.amdhsa_float_round_mode_16_64 0
		.amdhsa_float_denorm_mode_32 3
		.amdhsa_float_denorm_mode_16_64 3
		.amdhsa_dx10_clamp 1
		.amdhsa_ieee_mode 1
		.amdhsa_fp16_overflow 0
		.amdhsa_exception_fp_ieee_invalid_op 0
		.amdhsa_exception_fp_denorm_src 0
		.amdhsa_exception_fp_ieee_div_zero 0
		.amdhsa_exception_fp_ieee_overflow 0
		.amdhsa_exception_fp_ieee_underflow 0
		.amdhsa_exception_fp_ieee_inexact 0
		.amdhsa_exception_int_div_zero 0
	.end_amdhsa_kernel
	.section	.text._ZN7rocprim17ROCPRIM_400000_NS6detail17trampoline_kernelINS0_14default_configENS1_35radix_sort_onesweep_config_selectorIdlEEZZNS1_29radix_sort_onesweep_iterationIS3_Lb0EPdS7_N6thrust23THRUST_200600_302600_NS10device_ptrIlEESB_jNS0_19identity_decomposerENS1_16block_id_wrapperIjLb1EEEEE10hipError_tT1_PNSt15iterator_traitsISG_E10value_typeET2_T3_PNSH_ISM_E10value_typeET4_T5_PSR_SS_PNS1_23onesweep_lookback_stateEbbT6_jjT7_P12ihipStream_tbENKUlT_T0_SG_SL_E_clIS7_S7_SB_PlEEDaSZ_S10_SG_SL_EUlSZ_E_NS1_11comp_targetILNS1_3genE2ELNS1_11target_archE906ELNS1_3gpuE6ELNS1_3repE0EEENS1_47radix_sort_onesweep_sort_config_static_selectorELNS0_4arch9wavefront6targetE1EEEvSG_,"axG",@progbits,_ZN7rocprim17ROCPRIM_400000_NS6detail17trampoline_kernelINS0_14default_configENS1_35radix_sort_onesweep_config_selectorIdlEEZZNS1_29radix_sort_onesweep_iterationIS3_Lb0EPdS7_N6thrust23THRUST_200600_302600_NS10device_ptrIlEESB_jNS0_19identity_decomposerENS1_16block_id_wrapperIjLb1EEEEE10hipError_tT1_PNSt15iterator_traitsISG_E10value_typeET2_T3_PNSH_ISM_E10value_typeET4_T5_PSR_SS_PNS1_23onesweep_lookback_stateEbbT6_jjT7_P12ihipStream_tbENKUlT_T0_SG_SL_E_clIS7_S7_SB_PlEEDaSZ_S10_SG_SL_EUlSZ_E_NS1_11comp_targetILNS1_3genE2ELNS1_11target_archE906ELNS1_3gpuE6ELNS1_3repE0EEENS1_47radix_sort_onesweep_sort_config_static_selectorELNS0_4arch9wavefront6targetE1EEEvSG_,comdat
.Lfunc_end1628:
	.size	_ZN7rocprim17ROCPRIM_400000_NS6detail17trampoline_kernelINS0_14default_configENS1_35radix_sort_onesweep_config_selectorIdlEEZZNS1_29radix_sort_onesweep_iterationIS3_Lb0EPdS7_N6thrust23THRUST_200600_302600_NS10device_ptrIlEESB_jNS0_19identity_decomposerENS1_16block_id_wrapperIjLb1EEEEE10hipError_tT1_PNSt15iterator_traitsISG_E10value_typeET2_T3_PNSH_ISM_E10value_typeET4_T5_PSR_SS_PNS1_23onesweep_lookback_stateEbbT6_jjT7_P12ihipStream_tbENKUlT_T0_SG_SL_E_clIS7_S7_SB_PlEEDaSZ_S10_SG_SL_EUlSZ_E_NS1_11comp_targetILNS1_3genE2ELNS1_11target_archE906ELNS1_3gpuE6ELNS1_3repE0EEENS1_47radix_sort_onesweep_sort_config_static_selectorELNS0_4arch9wavefront6targetE1EEEvSG_, .Lfunc_end1628-_ZN7rocprim17ROCPRIM_400000_NS6detail17trampoline_kernelINS0_14default_configENS1_35radix_sort_onesweep_config_selectorIdlEEZZNS1_29radix_sort_onesweep_iterationIS3_Lb0EPdS7_N6thrust23THRUST_200600_302600_NS10device_ptrIlEESB_jNS0_19identity_decomposerENS1_16block_id_wrapperIjLb1EEEEE10hipError_tT1_PNSt15iterator_traitsISG_E10value_typeET2_T3_PNSH_ISM_E10value_typeET4_T5_PSR_SS_PNS1_23onesweep_lookback_stateEbbT6_jjT7_P12ihipStream_tbENKUlT_T0_SG_SL_E_clIS7_S7_SB_PlEEDaSZ_S10_SG_SL_EUlSZ_E_NS1_11comp_targetILNS1_3genE2ELNS1_11target_archE906ELNS1_3gpuE6ELNS1_3repE0EEENS1_47radix_sort_onesweep_sort_config_static_selectorELNS0_4arch9wavefront6targetE1EEEvSG_
                                        ; -- End function
	.set _ZN7rocprim17ROCPRIM_400000_NS6detail17trampoline_kernelINS0_14default_configENS1_35radix_sort_onesweep_config_selectorIdlEEZZNS1_29radix_sort_onesweep_iterationIS3_Lb0EPdS7_N6thrust23THRUST_200600_302600_NS10device_ptrIlEESB_jNS0_19identity_decomposerENS1_16block_id_wrapperIjLb1EEEEE10hipError_tT1_PNSt15iterator_traitsISG_E10value_typeET2_T3_PNSH_ISM_E10value_typeET4_T5_PSR_SS_PNS1_23onesweep_lookback_stateEbbT6_jjT7_P12ihipStream_tbENKUlT_T0_SG_SL_E_clIS7_S7_SB_PlEEDaSZ_S10_SG_SL_EUlSZ_E_NS1_11comp_targetILNS1_3genE2ELNS1_11target_archE906ELNS1_3gpuE6ELNS1_3repE0EEENS1_47radix_sort_onesweep_sort_config_static_selectorELNS0_4arch9wavefront6targetE1EEEvSG_.num_vgpr, 47
	.set _ZN7rocprim17ROCPRIM_400000_NS6detail17trampoline_kernelINS0_14default_configENS1_35radix_sort_onesweep_config_selectorIdlEEZZNS1_29radix_sort_onesweep_iterationIS3_Lb0EPdS7_N6thrust23THRUST_200600_302600_NS10device_ptrIlEESB_jNS0_19identity_decomposerENS1_16block_id_wrapperIjLb1EEEEE10hipError_tT1_PNSt15iterator_traitsISG_E10value_typeET2_T3_PNSH_ISM_E10value_typeET4_T5_PSR_SS_PNS1_23onesweep_lookback_stateEbbT6_jjT7_P12ihipStream_tbENKUlT_T0_SG_SL_E_clIS7_S7_SB_PlEEDaSZ_S10_SG_SL_EUlSZ_E_NS1_11comp_targetILNS1_3genE2ELNS1_11target_archE906ELNS1_3gpuE6ELNS1_3repE0EEENS1_47radix_sort_onesweep_sort_config_static_selectorELNS0_4arch9wavefront6targetE1EEEvSG_.num_agpr, 0
	.set _ZN7rocprim17ROCPRIM_400000_NS6detail17trampoline_kernelINS0_14default_configENS1_35radix_sort_onesweep_config_selectorIdlEEZZNS1_29radix_sort_onesweep_iterationIS3_Lb0EPdS7_N6thrust23THRUST_200600_302600_NS10device_ptrIlEESB_jNS0_19identity_decomposerENS1_16block_id_wrapperIjLb1EEEEE10hipError_tT1_PNSt15iterator_traitsISG_E10value_typeET2_T3_PNSH_ISM_E10value_typeET4_T5_PSR_SS_PNS1_23onesweep_lookback_stateEbbT6_jjT7_P12ihipStream_tbENKUlT_T0_SG_SL_E_clIS7_S7_SB_PlEEDaSZ_S10_SG_SL_EUlSZ_E_NS1_11comp_targetILNS1_3genE2ELNS1_11target_archE906ELNS1_3gpuE6ELNS1_3repE0EEENS1_47radix_sort_onesweep_sort_config_static_selectorELNS0_4arch9wavefront6targetE1EEEvSG_.numbered_sgpr, 57
	.set _ZN7rocprim17ROCPRIM_400000_NS6detail17trampoline_kernelINS0_14default_configENS1_35radix_sort_onesweep_config_selectorIdlEEZZNS1_29radix_sort_onesweep_iterationIS3_Lb0EPdS7_N6thrust23THRUST_200600_302600_NS10device_ptrIlEESB_jNS0_19identity_decomposerENS1_16block_id_wrapperIjLb1EEEEE10hipError_tT1_PNSt15iterator_traitsISG_E10value_typeET2_T3_PNSH_ISM_E10value_typeET4_T5_PSR_SS_PNS1_23onesweep_lookback_stateEbbT6_jjT7_P12ihipStream_tbENKUlT_T0_SG_SL_E_clIS7_S7_SB_PlEEDaSZ_S10_SG_SL_EUlSZ_E_NS1_11comp_targetILNS1_3genE2ELNS1_11target_archE906ELNS1_3gpuE6ELNS1_3repE0EEENS1_47radix_sort_onesweep_sort_config_static_selectorELNS0_4arch9wavefront6targetE1EEEvSG_.num_named_barrier, 0
	.set _ZN7rocprim17ROCPRIM_400000_NS6detail17trampoline_kernelINS0_14default_configENS1_35radix_sort_onesweep_config_selectorIdlEEZZNS1_29radix_sort_onesweep_iterationIS3_Lb0EPdS7_N6thrust23THRUST_200600_302600_NS10device_ptrIlEESB_jNS0_19identity_decomposerENS1_16block_id_wrapperIjLb1EEEEE10hipError_tT1_PNSt15iterator_traitsISG_E10value_typeET2_T3_PNSH_ISM_E10value_typeET4_T5_PSR_SS_PNS1_23onesweep_lookback_stateEbbT6_jjT7_P12ihipStream_tbENKUlT_T0_SG_SL_E_clIS7_S7_SB_PlEEDaSZ_S10_SG_SL_EUlSZ_E_NS1_11comp_targetILNS1_3genE2ELNS1_11target_archE906ELNS1_3gpuE6ELNS1_3repE0EEENS1_47radix_sort_onesweep_sort_config_static_selectorELNS0_4arch9wavefront6targetE1EEEvSG_.private_seg_size, 32
	.set _ZN7rocprim17ROCPRIM_400000_NS6detail17trampoline_kernelINS0_14default_configENS1_35radix_sort_onesweep_config_selectorIdlEEZZNS1_29radix_sort_onesweep_iterationIS3_Lb0EPdS7_N6thrust23THRUST_200600_302600_NS10device_ptrIlEESB_jNS0_19identity_decomposerENS1_16block_id_wrapperIjLb1EEEEE10hipError_tT1_PNSt15iterator_traitsISG_E10value_typeET2_T3_PNSH_ISM_E10value_typeET4_T5_PSR_SS_PNS1_23onesweep_lookback_stateEbbT6_jjT7_P12ihipStream_tbENKUlT_T0_SG_SL_E_clIS7_S7_SB_PlEEDaSZ_S10_SG_SL_EUlSZ_E_NS1_11comp_targetILNS1_3genE2ELNS1_11target_archE906ELNS1_3gpuE6ELNS1_3repE0EEENS1_47radix_sort_onesweep_sort_config_static_selectorELNS0_4arch9wavefront6targetE1EEEvSG_.uses_vcc, 1
	.set _ZN7rocprim17ROCPRIM_400000_NS6detail17trampoline_kernelINS0_14default_configENS1_35radix_sort_onesweep_config_selectorIdlEEZZNS1_29radix_sort_onesweep_iterationIS3_Lb0EPdS7_N6thrust23THRUST_200600_302600_NS10device_ptrIlEESB_jNS0_19identity_decomposerENS1_16block_id_wrapperIjLb1EEEEE10hipError_tT1_PNSt15iterator_traitsISG_E10value_typeET2_T3_PNSH_ISM_E10value_typeET4_T5_PSR_SS_PNS1_23onesweep_lookback_stateEbbT6_jjT7_P12ihipStream_tbENKUlT_T0_SG_SL_E_clIS7_S7_SB_PlEEDaSZ_S10_SG_SL_EUlSZ_E_NS1_11comp_targetILNS1_3genE2ELNS1_11target_archE906ELNS1_3gpuE6ELNS1_3repE0EEENS1_47radix_sort_onesweep_sort_config_static_selectorELNS0_4arch9wavefront6targetE1EEEvSG_.uses_flat_scratch, 0
	.set _ZN7rocprim17ROCPRIM_400000_NS6detail17trampoline_kernelINS0_14default_configENS1_35radix_sort_onesweep_config_selectorIdlEEZZNS1_29radix_sort_onesweep_iterationIS3_Lb0EPdS7_N6thrust23THRUST_200600_302600_NS10device_ptrIlEESB_jNS0_19identity_decomposerENS1_16block_id_wrapperIjLb1EEEEE10hipError_tT1_PNSt15iterator_traitsISG_E10value_typeET2_T3_PNSH_ISM_E10value_typeET4_T5_PSR_SS_PNS1_23onesweep_lookback_stateEbbT6_jjT7_P12ihipStream_tbENKUlT_T0_SG_SL_E_clIS7_S7_SB_PlEEDaSZ_S10_SG_SL_EUlSZ_E_NS1_11comp_targetILNS1_3genE2ELNS1_11target_archE906ELNS1_3gpuE6ELNS1_3repE0EEENS1_47radix_sort_onesweep_sort_config_static_selectorELNS0_4arch9wavefront6targetE1EEEvSG_.has_dyn_sized_stack, 0
	.set _ZN7rocprim17ROCPRIM_400000_NS6detail17trampoline_kernelINS0_14default_configENS1_35radix_sort_onesweep_config_selectorIdlEEZZNS1_29radix_sort_onesweep_iterationIS3_Lb0EPdS7_N6thrust23THRUST_200600_302600_NS10device_ptrIlEESB_jNS0_19identity_decomposerENS1_16block_id_wrapperIjLb1EEEEE10hipError_tT1_PNSt15iterator_traitsISG_E10value_typeET2_T3_PNSH_ISM_E10value_typeET4_T5_PSR_SS_PNS1_23onesweep_lookback_stateEbbT6_jjT7_P12ihipStream_tbENKUlT_T0_SG_SL_E_clIS7_S7_SB_PlEEDaSZ_S10_SG_SL_EUlSZ_E_NS1_11comp_targetILNS1_3genE2ELNS1_11target_archE906ELNS1_3gpuE6ELNS1_3repE0EEENS1_47radix_sort_onesweep_sort_config_static_selectorELNS0_4arch9wavefront6targetE1EEEvSG_.has_recursion, 0
	.set _ZN7rocprim17ROCPRIM_400000_NS6detail17trampoline_kernelINS0_14default_configENS1_35radix_sort_onesweep_config_selectorIdlEEZZNS1_29radix_sort_onesweep_iterationIS3_Lb0EPdS7_N6thrust23THRUST_200600_302600_NS10device_ptrIlEESB_jNS0_19identity_decomposerENS1_16block_id_wrapperIjLb1EEEEE10hipError_tT1_PNSt15iterator_traitsISG_E10value_typeET2_T3_PNSH_ISM_E10value_typeET4_T5_PSR_SS_PNS1_23onesweep_lookback_stateEbbT6_jjT7_P12ihipStream_tbENKUlT_T0_SG_SL_E_clIS7_S7_SB_PlEEDaSZ_S10_SG_SL_EUlSZ_E_NS1_11comp_targetILNS1_3genE2ELNS1_11target_archE906ELNS1_3gpuE6ELNS1_3repE0EEENS1_47radix_sort_onesweep_sort_config_static_selectorELNS0_4arch9wavefront6targetE1EEEvSG_.has_indirect_call, 0
	.section	.AMDGPU.csdata,"",@progbits
; Kernel info:
; codeLenInByte = 10636
; TotalNumSgprs: 61
; NumVgprs: 47
; ScratchSize: 32
; MemoryBound: 0
; FloatMode: 240
; IeeeMode: 1
; LDSByteSize: 10280 bytes/workgroup (compile time only)
; SGPRBlocks: 7
; VGPRBlocks: 11
; NumSGPRsForWavesPerEU: 61
; NumVGPRsForWavesPerEU: 47
; Occupancy: 5
; WaveLimiterHint : 1
; COMPUTE_PGM_RSRC2:SCRATCH_EN: 1
; COMPUTE_PGM_RSRC2:USER_SGPR: 6
; COMPUTE_PGM_RSRC2:TRAP_HANDLER: 0
; COMPUTE_PGM_RSRC2:TGID_X_EN: 1
; COMPUTE_PGM_RSRC2:TGID_Y_EN: 0
; COMPUTE_PGM_RSRC2:TGID_Z_EN: 0
; COMPUTE_PGM_RSRC2:TIDIG_COMP_CNT: 2
	.section	.text._ZN7rocprim17ROCPRIM_400000_NS6detail17trampoline_kernelINS0_14default_configENS1_35radix_sort_onesweep_config_selectorIdlEEZZNS1_29radix_sort_onesweep_iterationIS3_Lb0EPdS7_N6thrust23THRUST_200600_302600_NS10device_ptrIlEESB_jNS0_19identity_decomposerENS1_16block_id_wrapperIjLb1EEEEE10hipError_tT1_PNSt15iterator_traitsISG_E10value_typeET2_T3_PNSH_ISM_E10value_typeET4_T5_PSR_SS_PNS1_23onesweep_lookback_stateEbbT6_jjT7_P12ihipStream_tbENKUlT_T0_SG_SL_E_clIS7_S7_SB_PlEEDaSZ_S10_SG_SL_EUlSZ_E_NS1_11comp_targetILNS1_3genE4ELNS1_11target_archE910ELNS1_3gpuE8ELNS1_3repE0EEENS1_47radix_sort_onesweep_sort_config_static_selectorELNS0_4arch9wavefront6targetE1EEEvSG_,"axG",@progbits,_ZN7rocprim17ROCPRIM_400000_NS6detail17trampoline_kernelINS0_14default_configENS1_35radix_sort_onesweep_config_selectorIdlEEZZNS1_29radix_sort_onesweep_iterationIS3_Lb0EPdS7_N6thrust23THRUST_200600_302600_NS10device_ptrIlEESB_jNS0_19identity_decomposerENS1_16block_id_wrapperIjLb1EEEEE10hipError_tT1_PNSt15iterator_traitsISG_E10value_typeET2_T3_PNSH_ISM_E10value_typeET4_T5_PSR_SS_PNS1_23onesweep_lookback_stateEbbT6_jjT7_P12ihipStream_tbENKUlT_T0_SG_SL_E_clIS7_S7_SB_PlEEDaSZ_S10_SG_SL_EUlSZ_E_NS1_11comp_targetILNS1_3genE4ELNS1_11target_archE910ELNS1_3gpuE8ELNS1_3repE0EEENS1_47radix_sort_onesweep_sort_config_static_selectorELNS0_4arch9wavefront6targetE1EEEvSG_,comdat
	.protected	_ZN7rocprim17ROCPRIM_400000_NS6detail17trampoline_kernelINS0_14default_configENS1_35radix_sort_onesweep_config_selectorIdlEEZZNS1_29radix_sort_onesweep_iterationIS3_Lb0EPdS7_N6thrust23THRUST_200600_302600_NS10device_ptrIlEESB_jNS0_19identity_decomposerENS1_16block_id_wrapperIjLb1EEEEE10hipError_tT1_PNSt15iterator_traitsISG_E10value_typeET2_T3_PNSH_ISM_E10value_typeET4_T5_PSR_SS_PNS1_23onesweep_lookback_stateEbbT6_jjT7_P12ihipStream_tbENKUlT_T0_SG_SL_E_clIS7_S7_SB_PlEEDaSZ_S10_SG_SL_EUlSZ_E_NS1_11comp_targetILNS1_3genE4ELNS1_11target_archE910ELNS1_3gpuE8ELNS1_3repE0EEENS1_47radix_sort_onesweep_sort_config_static_selectorELNS0_4arch9wavefront6targetE1EEEvSG_ ; -- Begin function _ZN7rocprim17ROCPRIM_400000_NS6detail17trampoline_kernelINS0_14default_configENS1_35radix_sort_onesweep_config_selectorIdlEEZZNS1_29radix_sort_onesweep_iterationIS3_Lb0EPdS7_N6thrust23THRUST_200600_302600_NS10device_ptrIlEESB_jNS0_19identity_decomposerENS1_16block_id_wrapperIjLb1EEEEE10hipError_tT1_PNSt15iterator_traitsISG_E10value_typeET2_T3_PNSH_ISM_E10value_typeET4_T5_PSR_SS_PNS1_23onesweep_lookback_stateEbbT6_jjT7_P12ihipStream_tbENKUlT_T0_SG_SL_E_clIS7_S7_SB_PlEEDaSZ_S10_SG_SL_EUlSZ_E_NS1_11comp_targetILNS1_3genE4ELNS1_11target_archE910ELNS1_3gpuE8ELNS1_3repE0EEENS1_47radix_sort_onesweep_sort_config_static_selectorELNS0_4arch9wavefront6targetE1EEEvSG_
	.globl	_ZN7rocprim17ROCPRIM_400000_NS6detail17trampoline_kernelINS0_14default_configENS1_35radix_sort_onesweep_config_selectorIdlEEZZNS1_29radix_sort_onesweep_iterationIS3_Lb0EPdS7_N6thrust23THRUST_200600_302600_NS10device_ptrIlEESB_jNS0_19identity_decomposerENS1_16block_id_wrapperIjLb1EEEEE10hipError_tT1_PNSt15iterator_traitsISG_E10value_typeET2_T3_PNSH_ISM_E10value_typeET4_T5_PSR_SS_PNS1_23onesweep_lookback_stateEbbT6_jjT7_P12ihipStream_tbENKUlT_T0_SG_SL_E_clIS7_S7_SB_PlEEDaSZ_S10_SG_SL_EUlSZ_E_NS1_11comp_targetILNS1_3genE4ELNS1_11target_archE910ELNS1_3gpuE8ELNS1_3repE0EEENS1_47radix_sort_onesweep_sort_config_static_selectorELNS0_4arch9wavefront6targetE1EEEvSG_
	.p2align	8
	.type	_ZN7rocprim17ROCPRIM_400000_NS6detail17trampoline_kernelINS0_14default_configENS1_35radix_sort_onesweep_config_selectorIdlEEZZNS1_29radix_sort_onesweep_iterationIS3_Lb0EPdS7_N6thrust23THRUST_200600_302600_NS10device_ptrIlEESB_jNS0_19identity_decomposerENS1_16block_id_wrapperIjLb1EEEEE10hipError_tT1_PNSt15iterator_traitsISG_E10value_typeET2_T3_PNSH_ISM_E10value_typeET4_T5_PSR_SS_PNS1_23onesweep_lookback_stateEbbT6_jjT7_P12ihipStream_tbENKUlT_T0_SG_SL_E_clIS7_S7_SB_PlEEDaSZ_S10_SG_SL_EUlSZ_E_NS1_11comp_targetILNS1_3genE4ELNS1_11target_archE910ELNS1_3gpuE8ELNS1_3repE0EEENS1_47radix_sort_onesweep_sort_config_static_selectorELNS0_4arch9wavefront6targetE1EEEvSG_,@function
_ZN7rocprim17ROCPRIM_400000_NS6detail17trampoline_kernelINS0_14default_configENS1_35radix_sort_onesweep_config_selectorIdlEEZZNS1_29radix_sort_onesweep_iterationIS3_Lb0EPdS7_N6thrust23THRUST_200600_302600_NS10device_ptrIlEESB_jNS0_19identity_decomposerENS1_16block_id_wrapperIjLb1EEEEE10hipError_tT1_PNSt15iterator_traitsISG_E10value_typeET2_T3_PNSH_ISM_E10value_typeET4_T5_PSR_SS_PNS1_23onesweep_lookback_stateEbbT6_jjT7_P12ihipStream_tbENKUlT_T0_SG_SL_E_clIS7_S7_SB_PlEEDaSZ_S10_SG_SL_EUlSZ_E_NS1_11comp_targetILNS1_3genE4ELNS1_11target_archE910ELNS1_3gpuE8ELNS1_3repE0EEENS1_47radix_sort_onesweep_sort_config_static_selectorELNS0_4arch9wavefront6targetE1EEEvSG_: ; @_ZN7rocprim17ROCPRIM_400000_NS6detail17trampoline_kernelINS0_14default_configENS1_35radix_sort_onesweep_config_selectorIdlEEZZNS1_29radix_sort_onesweep_iterationIS3_Lb0EPdS7_N6thrust23THRUST_200600_302600_NS10device_ptrIlEESB_jNS0_19identity_decomposerENS1_16block_id_wrapperIjLb1EEEEE10hipError_tT1_PNSt15iterator_traitsISG_E10value_typeET2_T3_PNSH_ISM_E10value_typeET4_T5_PSR_SS_PNS1_23onesweep_lookback_stateEbbT6_jjT7_P12ihipStream_tbENKUlT_T0_SG_SL_E_clIS7_S7_SB_PlEEDaSZ_S10_SG_SL_EUlSZ_E_NS1_11comp_targetILNS1_3genE4ELNS1_11target_archE910ELNS1_3gpuE8ELNS1_3repE0EEENS1_47radix_sort_onesweep_sort_config_static_selectorELNS0_4arch9wavefront6targetE1EEEvSG_
; %bb.0:
	.section	.rodata,"a",@progbits
	.p2align	6, 0x0
	.amdhsa_kernel _ZN7rocprim17ROCPRIM_400000_NS6detail17trampoline_kernelINS0_14default_configENS1_35radix_sort_onesweep_config_selectorIdlEEZZNS1_29radix_sort_onesweep_iterationIS3_Lb0EPdS7_N6thrust23THRUST_200600_302600_NS10device_ptrIlEESB_jNS0_19identity_decomposerENS1_16block_id_wrapperIjLb1EEEEE10hipError_tT1_PNSt15iterator_traitsISG_E10value_typeET2_T3_PNSH_ISM_E10value_typeET4_T5_PSR_SS_PNS1_23onesweep_lookback_stateEbbT6_jjT7_P12ihipStream_tbENKUlT_T0_SG_SL_E_clIS7_S7_SB_PlEEDaSZ_S10_SG_SL_EUlSZ_E_NS1_11comp_targetILNS1_3genE4ELNS1_11target_archE910ELNS1_3gpuE8ELNS1_3repE0EEENS1_47radix_sort_onesweep_sort_config_static_selectorELNS0_4arch9wavefront6targetE1EEEvSG_
		.amdhsa_group_segment_fixed_size 0
		.amdhsa_private_segment_fixed_size 0
		.amdhsa_kernarg_size 88
		.amdhsa_user_sgpr_count 6
		.amdhsa_user_sgpr_private_segment_buffer 1
		.amdhsa_user_sgpr_dispatch_ptr 0
		.amdhsa_user_sgpr_queue_ptr 0
		.amdhsa_user_sgpr_kernarg_segment_ptr 1
		.amdhsa_user_sgpr_dispatch_id 0
		.amdhsa_user_sgpr_flat_scratch_init 0
		.amdhsa_user_sgpr_private_segment_size 0
		.amdhsa_uses_dynamic_stack 0
		.amdhsa_system_sgpr_private_segment_wavefront_offset 0
		.amdhsa_system_sgpr_workgroup_id_x 1
		.amdhsa_system_sgpr_workgroup_id_y 0
		.amdhsa_system_sgpr_workgroup_id_z 0
		.amdhsa_system_sgpr_workgroup_info 0
		.amdhsa_system_vgpr_workitem_id 0
		.amdhsa_next_free_vgpr 1
		.amdhsa_next_free_sgpr 0
		.amdhsa_reserve_vcc 0
		.amdhsa_reserve_flat_scratch 0
		.amdhsa_float_round_mode_32 0
		.amdhsa_float_round_mode_16_64 0
		.amdhsa_float_denorm_mode_32 3
		.amdhsa_float_denorm_mode_16_64 3
		.amdhsa_dx10_clamp 1
		.amdhsa_ieee_mode 1
		.amdhsa_fp16_overflow 0
		.amdhsa_exception_fp_ieee_invalid_op 0
		.amdhsa_exception_fp_denorm_src 0
		.amdhsa_exception_fp_ieee_div_zero 0
		.amdhsa_exception_fp_ieee_overflow 0
		.amdhsa_exception_fp_ieee_underflow 0
		.amdhsa_exception_fp_ieee_inexact 0
		.amdhsa_exception_int_div_zero 0
	.end_amdhsa_kernel
	.section	.text._ZN7rocprim17ROCPRIM_400000_NS6detail17trampoline_kernelINS0_14default_configENS1_35radix_sort_onesweep_config_selectorIdlEEZZNS1_29radix_sort_onesweep_iterationIS3_Lb0EPdS7_N6thrust23THRUST_200600_302600_NS10device_ptrIlEESB_jNS0_19identity_decomposerENS1_16block_id_wrapperIjLb1EEEEE10hipError_tT1_PNSt15iterator_traitsISG_E10value_typeET2_T3_PNSH_ISM_E10value_typeET4_T5_PSR_SS_PNS1_23onesweep_lookback_stateEbbT6_jjT7_P12ihipStream_tbENKUlT_T0_SG_SL_E_clIS7_S7_SB_PlEEDaSZ_S10_SG_SL_EUlSZ_E_NS1_11comp_targetILNS1_3genE4ELNS1_11target_archE910ELNS1_3gpuE8ELNS1_3repE0EEENS1_47radix_sort_onesweep_sort_config_static_selectorELNS0_4arch9wavefront6targetE1EEEvSG_,"axG",@progbits,_ZN7rocprim17ROCPRIM_400000_NS6detail17trampoline_kernelINS0_14default_configENS1_35radix_sort_onesweep_config_selectorIdlEEZZNS1_29radix_sort_onesweep_iterationIS3_Lb0EPdS7_N6thrust23THRUST_200600_302600_NS10device_ptrIlEESB_jNS0_19identity_decomposerENS1_16block_id_wrapperIjLb1EEEEE10hipError_tT1_PNSt15iterator_traitsISG_E10value_typeET2_T3_PNSH_ISM_E10value_typeET4_T5_PSR_SS_PNS1_23onesweep_lookback_stateEbbT6_jjT7_P12ihipStream_tbENKUlT_T0_SG_SL_E_clIS7_S7_SB_PlEEDaSZ_S10_SG_SL_EUlSZ_E_NS1_11comp_targetILNS1_3genE4ELNS1_11target_archE910ELNS1_3gpuE8ELNS1_3repE0EEENS1_47radix_sort_onesweep_sort_config_static_selectorELNS0_4arch9wavefront6targetE1EEEvSG_,comdat
.Lfunc_end1629:
	.size	_ZN7rocprim17ROCPRIM_400000_NS6detail17trampoline_kernelINS0_14default_configENS1_35radix_sort_onesweep_config_selectorIdlEEZZNS1_29radix_sort_onesweep_iterationIS3_Lb0EPdS7_N6thrust23THRUST_200600_302600_NS10device_ptrIlEESB_jNS0_19identity_decomposerENS1_16block_id_wrapperIjLb1EEEEE10hipError_tT1_PNSt15iterator_traitsISG_E10value_typeET2_T3_PNSH_ISM_E10value_typeET4_T5_PSR_SS_PNS1_23onesweep_lookback_stateEbbT6_jjT7_P12ihipStream_tbENKUlT_T0_SG_SL_E_clIS7_S7_SB_PlEEDaSZ_S10_SG_SL_EUlSZ_E_NS1_11comp_targetILNS1_3genE4ELNS1_11target_archE910ELNS1_3gpuE8ELNS1_3repE0EEENS1_47radix_sort_onesweep_sort_config_static_selectorELNS0_4arch9wavefront6targetE1EEEvSG_, .Lfunc_end1629-_ZN7rocprim17ROCPRIM_400000_NS6detail17trampoline_kernelINS0_14default_configENS1_35radix_sort_onesweep_config_selectorIdlEEZZNS1_29radix_sort_onesweep_iterationIS3_Lb0EPdS7_N6thrust23THRUST_200600_302600_NS10device_ptrIlEESB_jNS0_19identity_decomposerENS1_16block_id_wrapperIjLb1EEEEE10hipError_tT1_PNSt15iterator_traitsISG_E10value_typeET2_T3_PNSH_ISM_E10value_typeET4_T5_PSR_SS_PNS1_23onesweep_lookback_stateEbbT6_jjT7_P12ihipStream_tbENKUlT_T0_SG_SL_E_clIS7_S7_SB_PlEEDaSZ_S10_SG_SL_EUlSZ_E_NS1_11comp_targetILNS1_3genE4ELNS1_11target_archE910ELNS1_3gpuE8ELNS1_3repE0EEENS1_47radix_sort_onesweep_sort_config_static_selectorELNS0_4arch9wavefront6targetE1EEEvSG_
                                        ; -- End function
	.set _ZN7rocprim17ROCPRIM_400000_NS6detail17trampoline_kernelINS0_14default_configENS1_35radix_sort_onesweep_config_selectorIdlEEZZNS1_29radix_sort_onesweep_iterationIS3_Lb0EPdS7_N6thrust23THRUST_200600_302600_NS10device_ptrIlEESB_jNS0_19identity_decomposerENS1_16block_id_wrapperIjLb1EEEEE10hipError_tT1_PNSt15iterator_traitsISG_E10value_typeET2_T3_PNSH_ISM_E10value_typeET4_T5_PSR_SS_PNS1_23onesweep_lookback_stateEbbT6_jjT7_P12ihipStream_tbENKUlT_T0_SG_SL_E_clIS7_S7_SB_PlEEDaSZ_S10_SG_SL_EUlSZ_E_NS1_11comp_targetILNS1_3genE4ELNS1_11target_archE910ELNS1_3gpuE8ELNS1_3repE0EEENS1_47radix_sort_onesweep_sort_config_static_selectorELNS0_4arch9wavefront6targetE1EEEvSG_.num_vgpr, 0
	.set _ZN7rocprim17ROCPRIM_400000_NS6detail17trampoline_kernelINS0_14default_configENS1_35radix_sort_onesweep_config_selectorIdlEEZZNS1_29radix_sort_onesweep_iterationIS3_Lb0EPdS7_N6thrust23THRUST_200600_302600_NS10device_ptrIlEESB_jNS0_19identity_decomposerENS1_16block_id_wrapperIjLb1EEEEE10hipError_tT1_PNSt15iterator_traitsISG_E10value_typeET2_T3_PNSH_ISM_E10value_typeET4_T5_PSR_SS_PNS1_23onesweep_lookback_stateEbbT6_jjT7_P12ihipStream_tbENKUlT_T0_SG_SL_E_clIS7_S7_SB_PlEEDaSZ_S10_SG_SL_EUlSZ_E_NS1_11comp_targetILNS1_3genE4ELNS1_11target_archE910ELNS1_3gpuE8ELNS1_3repE0EEENS1_47radix_sort_onesweep_sort_config_static_selectorELNS0_4arch9wavefront6targetE1EEEvSG_.num_agpr, 0
	.set _ZN7rocprim17ROCPRIM_400000_NS6detail17trampoline_kernelINS0_14default_configENS1_35radix_sort_onesweep_config_selectorIdlEEZZNS1_29radix_sort_onesweep_iterationIS3_Lb0EPdS7_N6thrust23THRUST_200600_302600_NS10device_ptrIlEESB_jNS0_19identity_decomposerENS1_16block_id_wrapperIjLb1EEEEE10hipError_tT1_PNSt15iterator_traitsISG_E10value_typeET2_T3_PNSH_ISM_E10value_typeET4_T5_PSR_SS_PNS1_23onesweep_lookback_stateEbbT6_jjT7_P12ihipStream_tbENKUlT_T0_SG_SL_E_clIS7_S7_SB_PlEEDaSZ_S10_SG_SL_EUlSZ_E_NS1_11comp_targetILNS1_3genE4ELNS1_11target_archE910ELNS1_3gpuE8ELNS1_3repE0EEENS1_47radix_sort_onesweep_sort_config_static_selectorELNS0_4arch9wavefront6targetE1EEEvSG_.numbered_sgpr, 0
	.set _ZN7rocprim17ROCPRIM_400000_NS6detail17trampoline_kernelINS0_14default_configENS1_35radix_sort_onesweep_config_selectorIdlEEZZNS1_29radix_sort_onesweep_iterationIS3_Lb0EPdS7_N6thrust23THRUST_200600_302600_NS10device_ptrIlEESB_jNS0_19identity_decomposerENS1_16block_id_wrapperIjLb1EEEEE10hipError_tT1_PNSt15iterator_traitsISG_E10value_typeET2_T3_PNSH_ISM_E10value_typeET4_T5_PSR_SS_PNS1_23onesweep_lookback_stateEbbT6_jjT7_P12ihipStream_tbENKUlT_T0_SG_SL_E_clIS7_S7_SB_PlEEDaSZ_S10_SG_SL_EUlSZ_E_NS1_11comp_targetILNS1_3genE4ELNS1_11target_archE910ELNS1_3gpuE8ELNS1_3repE0EEENS1_47radix_sort_onesweep_sort_config_static_selectorELNS0_4arch9wavefront6targetE1EEEvSG_.num_named_barrier, 0
	.set _ZN7rocprim17ROCPRIM_400000_NS6detail17trampoline_kernelINS0_14default_configENS1_35radix_sort_onesweep_config_selectorIdlEEZZNS1_29radix_sort_onesweep_iterationIS3_Lb0EPdS7_N6thrust23THRUST_200600_302600_NS10device_ptrIlEESB_jNS0_19identity_decomposerENS1_16block_id_wrapperIjLb1EEEEE10hipError_tT1_PNSt15iterator_traitsISG_E10value_typeET2_T3_PNSH_ISM_E10value_typeET4_T5_PSR_SS_PNS1_23onesweep_lookback_stateEbbT6_jjT7_P12ihipStream_tbENKUlT_T0_SG_SL_E_clIS7_S7_SB_PlEEDaSZ_S10_SG_SL_EUlSZ_E_NS1_11comp_targetILNS1_3genE4ELNS1_11target_archE910ELNS1_3gpuE8ELNS1_3repE0EEENS1_47radix_sort_onesweep_sort_config_static_selectorELNS0_4arch9wavefront6targetE1EEEvSG_.private_seg_size, 0
	.set _ZN7rocprim17ROCPRIM_400000_NS6detail17trampoline_kernelINS0_14default_configENS1_35radix_sort_onesweep_config_selectorIdlEEZZNS1_29radix_sort_onesweep_iterationIS3_Lb0EPdS7_N6thrust23THRUST_200600_302600_NS10device_ptrIlEESB_jNS0_19identity_decomposerENS1_16block_id_wrapperIjLb1EEEEE10hipError_tT1_PNSt15iterator_traitsISG_E10value_typeET2_T3_PNSH_ISM_E10value_typeET4_T5_PSR_SS_PNS1_23onesweep_lookback_stateEbbT6_jjT7_P12ihipStream_tbENKUlT_T0_SG_SL_E_clIS7_S7_SB_PlEEDaSZ_S10_SG_SL_EUlSZ_E_NS1_11comp_targetILNS1_3genE4ELNS1_11target_archE910ELNS1_3gpuE8ELNS1_3repE0EEENS1_47radix_sort_onesweep_sort_config_static_selectorELNS0_4arch9wavefront6targetE1EEEvSG_.uses_vcc, 0
	.set _ZN7rocprim17ROCPRIM_400000_NS6detail17trampoline_kernelINS0_14default_configENS1_35radix_sort_onesweep_config_selectorIdlEEZZNS1_29radix_sort_onesweep_iterationIS3_Lb0EPdS7_N6thrust23THRUST_200600_302600_NS10device_ptrIlEESB_jNS0_19identity_decomposerENS1_16block_id_wrapperIjLb1EEEEE10hipError_tT1_PNSt15iterator_traitsISG_E10value_typeET2_T3_PNSH_ISM_E10value_typeET4_T5_PSR_SS_PNS1_23onesweep_lookback_stateEbbT6_jjT7_P12ihipStream_tbENKUlT_T0_SG_SL_E_clIS7_S7_SB_PlEEDaSZ_S10_SG_SL_EUlSZ_E_NS1_11comp_targetILNS1_3genE4ELNS1_11target_archE910ELNS1_3gpuE8ELNS1_3repE0EEENS1_47radix_sort_onesweep_sort_config_static_selectorELNS0_4arch9wavefront6targetE1EEEvSG_.uses_flat_scratch, 0
	.set _ZN7rocprim17ROCPRIM_400000_NS6detail17trampoline_kernelINS0_14default_configENS1_35radix_sort_onesweep_config_selectorIdlEEZZNS1_29radix_sort_onesweep_iterationIS3_Lb0EPdS7_N6thrust23THRUST_200600_302600_NS10device_ptrIlEESB_jNS0_19identity_decomposerENS1_16block_id_wrapperIjLb1EEEEE10hipError_tT1_PNSt15iterator_traitsISG_E10value_typeET2_T3_PNSH_ISM_E10value_typeET4_T5_PSR_SS_PNS1_23onesweep_lookback_stateEbbT6_jjT7_P12ihipStream_tbENKUlT_T0_SG_SL_E_clIS7_S7_SB_PlEEDaSZ_S10_SG_SL_EUlSZ_E_NS1_11comp_targetILNS1_3genE4ELNS1_11target_archE910ELNS1_3gpuE8ELNS1_3repE0EEENS1_47radix_sort_onesweep_sort_config_static_selectorELNS0_4arch9wavefront6targetE1EEEvSG_.has_dyn_sized_stack, 0
	.set _ZN7rocprim17ROCPRIM_400000_NS6detail17trampoline_kernelINS0_14default_configENS1_35radix_sort_onesweep_config_selectorIdlEEZZNS1_29radix_sort_onesweep_iterationIS3_Lb0EPdS7_N6thrust23THRUST_200600_302600_NS10device_ptrIlEESB_jNS0_19identity_decomposerENS1_16block_id_wrapperIjLb1EEEEE10hipError_tT1_PNSt15iterator_traitsISG_E10value_typeET2_T3_PNSH_ISM_E10value_typeET4_T5_PSR_SS_PNS1_23onesweep_lookback_stateEbbT6_jjT7_P12ihipStream_tbENKUlT_T0_SG_SL_E_clIS7_S7_SB_PlEEDaSZ_S10_SG_SL_EUlSZ_E_NS1_11comp_targetILNS1_3genE4ELNS1_11target_archE910ELNS1_3gpuE8ELNS1_3repE0EEENS1_47radix_sort_onesweep_sort_config_static_selectorELNS0_4arch9wavefront6targetE1EEEvSG_.has_recursion, 0
	.set _ZN7rocprim17ROCPRIM_400000_NS6detail17trampoline_kernelINS0_14default_configENS1_35radix_sort_onesweep_config_selectorIdlEEZZNS1_29radix_sort_onesweep_iterationIS3_Lb0EPdS7_N6thrust23THRUST_200600_302600_NS10device_ptrIlEESB_jNS0_19identity_decomposerENS1_16block_id_wrapperIjLb1EEEEE10hipError_tT1_PNSt15iterator_traitsISG_E10value_typeET2_T3_PNSH_ISM_E10value_typeET4_T5_PSR_SS_PNS1_23onesweep_lookback_stateEbbT6_jjT7_P12ihipStream_tbENKUlT_T0_SG_SL_E_clIS7_S7_SB_PlEEDaSZ_S10_SG_SL_EUlSZ_E_NS1_11comp_targetILNS1_3genE4ELNS1_11target_archE910ELNS1_3gpuE8ELNS1_3repE0EEENS1_47radix_sort_onesweep_sort_config_static_selectorELNS0_4arch9wavefront6targetE1EEEvSG_.has_indirect_call, 0
	.section	.AMDGPU.csdata,"",@progbits
; Kernel info:
; codeLenInByte = 0
; TotalNumSgprs: 4
; NumVgprs: 0
; ScratchSize: 0
; MemoryBound: 0
; FloatMode: 240
; IeeeMode: 1
; LDSByteSize: 0 bytes/workgroup (compile time only)
; SGPRBlocks: 0
; VGPRBlocks: 0
; NumSGPRsForWavesPerEU: 4
; NumVGPRsForWavesPerEU: 1
; Occupancy: 10
; WaveLimiterHint : 0
; COMPUTE_PGM_RSRC2:SCRATCH_EN: 0
; COMPUTE_PGM_RSRC2:USER_SGPR: 6
; COMPUTE_PGM_RSRC2:TRAP_HANDLER: 0
; COMPUTE_PGM_RSRC2:TGID_X_EN: 1
; COMPUTE_PGM_RSRC2:TGID_Y_EN: 0
; COMPUTE_PGM_RSRC2:TGID_Z_EN: 0
; COMPUTE_PGM_RSRC2:TIDIG_COMP_CNT: 0
	.section	.text._ZN7rocprim17ROCPRIM_400000_NS6detail17trampoline_kernelINS0_14default_configENS1_35radix_sort_onesweep_config_selectorIdlEEZZNS1_29radix_sort_onesweep_iterationIS3_Lb0EPdS7_N6thrust23THRUST_200600_302600_NS10device_ptrIlEESB_jNS0_19identity_decomposerENS1_16block_id_wrapperIjLb1EEEEE10hipError_tT1_PNSt15iterator_traitsISG_E10value_typeET2_T3_PNSH_ISM_E10value_typeET4_T5_PSR_SS_PNS1_23onesweep_lookback_stateEbbT6_jjT7_P12ihipStream_tbENKUlT_T0_SG_SL_E_clIS7_S7_SB_PlEEDaSZ_S10_SG_SL_EUlSZ_E_NS1_11comp_targetILNS1_3genE3ELNS1_11target_archE908ELNS1_3gpuE7ELNS1_3repE0EEENS1_47radix_sort_onesweep_sort_config_static_selectorELNS0_4arch9wavefront6targetE1EEEvSG_,"axG",@progbits,_ZN7rocprim17ROCPRIM_400000_NS6detail17trampoline_kernelINS0_14default_configENS1_35radix_sort_onesweep_config_selectorIdlEEZZNS1_29radix_sort_onesweep_iterationIS3_Lb0EPdS7_N6thrust23THRUST_200600_302600_NS10device_ptrIlEESB_jNS0_19identity_decomposerENS1_16block_id_wrapperIjLb1EEEEE10hipError_tT1_PNSt15iterator_traitsISG_E10value_typeET2_T3_PNSH_ISM_E10value_typeET4_T5_PSR_SS_PNS1_23onesweep_lookback_stateEbbT6_jjT7_P12ihipStream_tbENKUlT_T0_SG_SL_E_clIS7_S7_SB_PlEEDaSZ_S10_SG_SL_EUlSZ_E_NS1_11comp_targetILNS1_3genE3ELNS1_11target_archE908ELNS1_3gpuE7ELNS1_3repE0EEENS1_47radix_sort_onesweep_sort_config_static_selectorELNS0_4arch9wavefront6targetE1EEEvSG_,comdat
	.protected	_ZN7rocprim17ROCPRIM_400000_NS6detail17trampoline_kernelINS0_14default_configENS1_35radix_sort_onesweep_config_selectorIdlEEZZNS1_29radix_sort_onesweep_iterationIS3_Lb0EPdS7_N6thrust23THRUST_200600_302600_NS10device_ptrIlEESB_jNS0_19identity_decomposerENS1_16block_id_wrapperIjLb1EEEEE10hipError_tT1_PNSt15iterator_traitsISG_E10value_typeET2_T3_PNSH_ISM_E10value_typeET4_T5_PSR_SS_PNS1_23onesweep_lookback_stateEbbT6_jjT7_P12ihipStream_tbENKUlT_T0_SG_SL_E_clIS7_S7_SB_PlEEDaSZ_S10_SG_SL_EUlSZ_E_NS1_11comp_targetILNS1_3genE3ELNS1_11target_archE908ELNS1_3gpuE7ELNS1_3repE0EEENS1_47radix_sort_onesweep_sort_config_static_selectorELNS0_4arch9wavefront6targetE1EEEvSG_ ; -- Begin function _ZN7rocprim17ROCPRIM_400000_NS6detail17trampoline_kernelINS0_14default_configENS1_35radix_sort_onesweep_config_selectorIdlEEZZNS1_29radix_sort_onesweep_iterationIS3_Lb0EPdS7_N6thrust23THRUST_200600_302600_NS10device_ptrIlEESB_jNS0_19identity_decomposerENS1_16block_id_wrapperIjLb1EEEEE10hipError_tT1_PNSt15iterator_traitsISG_E10value_typeET2_T3_PNSH_ISM_E10value_typeET4_T5_PSR_SS_PNS1_23onesweep_lookback_stateEbbT6_jjT7_P12ihipStream_tbENKUlT_T0_SG_SL_E_clIS7_S7_SB_PlEEDaSZ_S10_SG_SL_EUlSZ_E_NS1_11comp_targetILNS1_3genE3ELNS1_11target_archE908ELNS1_3gpuE7ELNS1_3repE0EEENS1_47radix_sort_onesweep_sort_config_static_selectorELNS0_4arch9wavefront6targetE1EEEvSG_
	.globl	_ZN7rocprim17ROCPRIM_400000_NS6detail17trampoline_kernelINS0_14default_configENS1_35radix_sort_onesweep_config_selectorIdlEEZZNS1_29radix_sort_onesweep_iterationIS3_Lb0EPdS7_N6thrust23THRUST_200600_302600_NS10device_ptrIlEESB_jNS0_19identity_decomposerENS1_16block_id_wrapperIjLb1EEEEE10hipError_tT1_PNSt15iterator_traitsISG_E10value_typeET2_T3_PNSH_ISM_E10value_typeET4_T5_PSR_SS_PNS1_23onesweep_lookback_stateEbbT6_jjT7_P12ihipStream_tbENKUlT_T0_SG_SL_E_clIS7_S7_SB_PlEEDaSZ_S10_SG_SL_EUlSZ_E_NS1_11comp_targetILNS1_3genE3ELNS1_11target_archE908ELNS1_3gpuE7ELNS1_3repE0EEENS1_47radix_sort_onesweep_sort_config_static_selectorELNS0_4arch9wavefront6targetE1EEEvSG_
	.p2align	8
	.type	_ZN7rocprim17ROCPRIM_400000_NS6detail17trampoline_kernelINS0_14default_configENS1_35radix_sort_onesweep_config_selectorIdlEEZZNS1_29radix_sort_onesweep_iterationIS3_Lb0EPdS7_N6thrust23THRUST_200600_302600_NS10device_ptrIlEESB_jNS0_19identity_decomposerENS1_16block_id_wrapperIjLb1EEEEE10hipError_tT1_PNSt15iterator_traitsISG_E10value_typeET2_T3_PNSH_ISM_E10value_typeET4_T5_PSR_SS_PNS1_23onesweep_lookback_stateEbbT6_jjT7_P12ihipStream_tbENKUlT_T0_SG_SL_E_clIS7_S7_SB_PlEEDaSZ_S10_SG_SL_EUlSZ_E_NS1_11comp_targetILNS1_3genE3ELNS1_11target_archE908ELNS1_3gpuE7ELNS1_3repE0EEENS1_47radix_sort_onesweep_sort_config_static_selectorELNS0_4arch9wavefront6targetE1EEEvSG_,@function
_ZN7rocprim17ROCPRIM_400000_NS6detail17trampoline_kernelINS0_14default_configENS1_35radix_sort_onesweep_config_selectorIdlEEZZNS1_29radix_sort_onesweep_iterationIS3_Lb0EPdS7_N6thrust23THRUST_200600_302600_NS10device_ptrIlEESB_jNS0_19identity_decomposerENS1_16block_id_wrapperIjLb1EEEEE10hipError_tT1_PNSt15iterator_traitsISG_E10value_typeET2_T3_PNSH_ISM_E10value_typeET4_T5_PSR_SS_PNS1_23onesweep_lookback_stateEbbT6_jjT7_P12ihipStream_tbENKUlT_T0_SG_SL_E_clIS7_S7_SB_PlEEDaSZ_S10_SG_SL_EUlSZ_E_NS1_11comp_targetILNS1_3genE3ELNS1_11target_archE908ELNS1_3gpuE7ELNS1_3repE0EEENS1_47radix_sort_onesweep_sort_config_static_selectorELNS0_4arch9wavefront6targetE1EEEvSG_: ; @_ZN7rocprim17ROCPRIM_400000_NS6detail17trampoline_kernelINS0_14default_configENS1_35radix_sort_onesweep_config_selectorIdlEEZZNS1_29radix_sort_onesweep_iterationIS3_Lb0EPdS7_N6thrust23THRUST_200600_302600_NS10device_ptrIlEESB_jNS0_19identity_decomposerENS1_16block_id_wrapperIjLb1EEEEE10hipError_tT1_PNSt15iterator_traitsISG_E10value_typeET2_T3_PNSH_ISM_E10value_typeET4_T5_PSR_SS_PNS1_23onesweep_lookback_stateEbbT6_jjT7_P12ihipStream_tbENKUlT_T0_SG_SL_E_clIS7_S7_SB_PlEEDaSZ_S10_SG_SL_EUlSZ_E_NS1_11comp_targetILNS1_3genE3ELNS1_11target_archE908ELNS1_3gpuE7ELNS1_3repE0EEENS1_47radix_sort_onesweep_sort_config_static_selectorELNS0_4arch9wavefront6targetE1EEEvSG_
; %bb.0:
	.section	.rodata,"a",@progbits
	.p2align	6, 0x0
	.amdhsa_kernel _ZN7rocprim17ROCPRIM_400000_NS6detail17trampoline_kernelINS0_14default_configENS1_35radix_sort_onesweep_config_selectorIdlEEZZNS1_29radix_sort_onesweep_iterationIS3_Lb0EPdS7_N6thrust23THRUST_200600_302600_NS10device_ptrIlEESB_jNS0_19identity_decomposerENS1_16block_id_wrapperIjLb1EEEEE10hipError_tT1_PNSt15iterator_traitsISG_E10value_typeET2_T3_PNSH_ISM_E10value_typeET4_T5_PSR_SS_PNS1_23onesweep_lookback_stateEbbT6_jjT7_P12ihipStream_tbENKUlT_T0_SG_SL_E_clIS7_S7_SB_PlEEDaSZ_S10_SG_SL_EUlSZ_E_NS1_11comp_targetILNS1_3genE3ELNS1_11target_archE908ELNS1_3gpuE7ELNS1_3repE0EEENS1_47radix_sort_onesweep_sort_config_static_selectorELNS0_4arch9wavefront6targetE1EEEvSG_
		.amdhsa_group_segment_fixed_size 0
		.amdhsa_private_segment_fixed_size 0
		.amdhsa_kernarg_size 88
		.amdhsa_user_sgpr_count 6
		.amdhsa_user_sgpr_private_segment_buffer 1
		.amdhsa_user_sgpr_dispatch_ptr 0
		.amdhsa_user_sgpr_queue_ptr 0
		.amdhsa_user_sgpr_kernarg_segment_ptr 1
		.amdhsa_user_sgpr_dispatch_id 0
		.amdhsa_user_sgpr_flat_scratch_init 0
		.amdhsa_user_sgpr_private_segment_size 0
		.amdhsa_uses_dynamic_stack 0
		.amdhsa_system_sgpr_private_segment_wavefront_offset 0
		.amdhsa_system_sgpr_workgroup_id_x 1
		.amdhsa_system_sgpr_workgroup_id_y 0
		.amdhsa_system_sgpr_workgroup_id_z 0
		.amdhsa_system_sgpr_workgroup_info 0
		.amdhsa_system_vgpr_workitem_id 0
		.amdhsa_next_free_vgpr 1
		.amdhsa_next_free_sgpr 0
		.amdhsa_reserve_vcc 0
		.amdhsa_reserve_flat_scratch 0
		.amdhsa_float_round_mode_32 0
		.amdhsa_float_round_mode_16_64 0
		.amdhsa_float_denorm_mode_32 3
		.amdhsa_float_denorm_mode_16_64 3
		.amdhsa_dx10_clamp 1
		.amdhsa_ieee_mode 1
		.amdhsa_fp16_overflow 0
		.amdhsa_exception_fp_ieee_invalid_op 0
		.amdhsa_exception_fp_denorm_src 0
		.amdhsa_exception_fp_ieee_div_zero 0
		.amdhsa_exception_fp_ieee_overflow 0
		.amdhsa_exception_fp_ieee_underflow 0
		.amdhsa_exception_fp_ieee_inexact 0
		.amdhsa_exception_int_div_zero 0
	.end_amdhsa_kernel
	.section	.text._ZN7rocprim17ROCPRIM_400000_NS6detail17trampoline_kernelINS0_14default_configENS1_35radix_sort_onesweep_config_selectorIdlEEZZNS1_29radix_sort_onesweep_iterationIS3_Lb0EPdS7_N6thrust23THRUST_200600_302600_NS10device_ptrIlEESB_jNS0_19identity_decomposerENS1_16block_id_wrapperIjLb1EEEEE10hipError_tT1_PNSt15iterator_traitsISG_E10value_typeET2_T3_PNSH_ISM_E10value_typeET4_T5_PSR_SS_PNS1_23onesweep_lookback_stateEbbT6_jjT7_P12ihipStream_tbENKUlT_T0_SG_SL_E_clIS7_S7_SB_PlEEDaSZ_S10_SG_SL_EUlSZ_E_NS1_11comp_targetILNS1_3genE3ELNS1_11target_archE908ELNS1_3gpuE7ELNS1_3repE0EEENS1_47radix_sort_onesweep_sort_config_static_selectorELNS0_4arch9wavefront6targetE1EEEvSG_,"axG",@progbits,_ZN7rocprim17ROCPRIM_400000_NS6detail17trampoline_kernelINS0_14default_configENS1_35radix_sort_onesweep_config_selectorIdlEEZZNS1_29radix_sort_onesweep_iterationIS3_Lb0EPdS7_N6thrust23THRUST_200600_302600_NS10device_ptrIlEESB_jNS0_19identity_decomposerENS1_16block_id_wrapperIjLb1EEEEE10hipError_tT1_PNSt15iterator_traitsISG_E10value_typeET2_T3_PNSH_ISM_E10value_typeET4_T5_PSR_SS_PNS1_23onesweep_lookback_stateEbbT6_jjT7_P12ihipStream_tbENKUlT_T0_SG_SL_E_clIS7_S7_SB_PlEEDaSZ_S10_SG_SL_EUlSZ_E_NS1_11comp_targetILNS1_3genE3ELNS1_11target_archE908ELNS1_3gpuE7ELNS1_3repE0EEENS1_47radix_sort_onesweep_sort_config_static_selectorELNS0_4arch9wavefront6targetE1EEEvSG_,comdat
.Lfunc_end1630:
	.size	_ZN7rocprim17ROCPRIM_400000_NS6detail17trampoline_kernelINS0_14default_configENS1_35radix_sort_onesweep_config_selectorIdlEEZZNS1_29radix_sort_onesweep_iterationIS3_Lb0EPdS7_N6thrust23THRUST_200600_302600_NS10device_ptrIlEESB_jNS0_19identity_decomposerENS1_16block_id_wrapperIjLb1EEEEE10hipError_tT1_PNSt15iterator_traitsISG_E10value_typeET2_T3_PNSH_ISM_E10value_typeET4_T5_PSR_SS_PNS1_23onesweep_lookback_stateEbbT6_jjT7_P12ihipStream_tbENKUlT_T0_SG_SL_E_clIS7_S7_SB_PlEEDaSZ_S10_SG_SL_EUlSZ_E_NS1_11comp_targetILNS1_3genE3ELNS1_11target_archE908ELNS1_3gpuE7ELNS1_3repE0EEENS1_47radix_sort_onesweep_sort_config_static_selectorELNS0_4arch9wavefront6targetE1EEEvSG_, .Lfunc_end1630-_ZN7rocprim17ROCPRIM_400000_NS6detail17trampoline_kernelINS0_14default_configENS1_35radix_sort_onesweep_config_selectorIdlEEZZNS1_29radix_sort_onesweep_iterationIS3_Lb0EPdS7_N6thrust23THRUST_200600_302600_NS10device_ptrIlEESB_jNS0_19identity_decomposerENS1_16block_id_wrapperIjLb1EEEEE10hipError_tT1_PNSt15iterator_traitsISG_E10value_typeET2_T3_PNSH_ISM_E10value_typeET4_T5_PSR_SS_PNS1_23onesweep_lookback_stateEbbT6_jjT7_P12ihipStream_tbENKUlT_T0_SG_SL_E_clIS7_S7_SB_PlEEDaSZ_S10_SG_SL_EUlSZ_E_NS1_11comp_targetILNS1_3genE3ELNS1_11target_archE908ELNS1_3gpuE7ELNS1_3repE0EEENS1_47radix_sort_onesweep_sort_config_static_selectorELNS0_4arch9wavefront6targetE1EEEvSG_
                                        ; -- End function
	.set _ZN7rocprim17ROCPRIM_400000_NS6detail17trampoline_kernelINS0_14default_configENS1_35radix_sort_onesweep_config_selectorIdlEEZZNS1_29radix_sort_onesweep_iterationIS3_Lb0EPdS7_N6thrust23THRUST_200600_302600_NS10device_ptrIlEESB_jNS0_19identity_decomposerENS1_16block_id_wrapperIjLb1EEEEE10hipError_tT1_PNSt15iterator_traitsISG_E10value_typeET2_T3_PNSH_ISM_E10value_typeET4_T5_PSR_SS_PNS1_23onesweep_lookback_stateEbbT6_jjT7_P12ihipStream_tbENKUlT_T0_SG_SL_E_clIS7_S7_SB_PlEEDaSZ_S10_SG_SL_EUlSZ_E_NS1_11comp_targetILNS1_3genE3ELNS1_11target_archE908ELNS1_3gpuE7ELNS1_3repE0EEENS1_47radix_sort_onesweep_sort_config_static_selectorELNS0_4arch9wavefront6targetE1EEEvSG_.num_vgpr, 0
	.set _ZN7rocprim17ROCPRIM_400000_NS6detail17trampoline_kernelINS0_14default_configENS1_35radix_sort_onesweep_config_selectorIdlEEZZNS1_29radix_sort_onesweep_iterationIS3_Lb0EPdS7_N6thrust23THRUST_200600_302600_NS10device_ptrIlEESB_jNS0_19identity_decomposerENS1_16block_id_wrapperIjLb1EEEEE10hipError_tT1_PNSt15iterator_traitsISG_E10value_typeET2_T3_PNSH_ISM_E10value_typeET4_T5_PSR_SS_PNS1_23onesweep_lookback_stateEbbT6_jjT7_P12ihipStream_tbENKUlT_T0_SG_SL_E_clIS7_S7_SB_PlEEDaSZ_S10_SG_SL_EUlSZ_E_NS1_11comp_targetILNS1_3genE3ELNS1_11target_archE908ELNS1_3gpuE7ELNS1_3repE0EEENS1_47radix_sort_onesweep_sort_config_static_selectorELNS0_4arch9wavefront6targetE1EEEvSG_.num_agpr, 0
	.set _ZN7rocprim17ROCPRIM_400000_NS6detail17trampoline_kernelINS0_14default_configENS1_35radix_sort_onesweep_config_selectorIdlEEZZNS1_29radix_sort_onesweep_iterationIS3_Lb0EPdS7_N6thrust23THRUST_200600_302600_NS10device_ptrIlEESB_jNS0_19identity_decomposerENS1_16block_id_wrapperIjLb1EEEEE10hipError_tT1_PNSt15iterator_traitsISG_E10value_typeET2_T3_PNSH_ISM_E10value_typeET4_T5_PSR_SS_PNS1_23onesweep_lookback_stateEbbT6_jjT7_P12ihipStream_tbENKUlT_T0_SG_SL_E_clIS7_S7_SB_PlEEDaSZ_S10_SG_SL_EUlSZ_E_NS1_11comp_targetILNS1_3genE3ELNS1_11target_archE908ELNS1_3gpuE7ELNS1_3repE0EEENS1_47radix_sort_onesweep_sort_config_static_selectorELNS0_4arch9wavefront6targetE1EEEvSG_.numbered_sgpr, 0
	.set _ZN7rocprim17ROCPRIM_400000_NS6detail17trampoline_kernelINS0_14default_configENS1_35radix_sort_onesweep_config_selectorIdlEEZZNS1_29radix_sort_onesweep_iterationIS3_Lb0EPdS7_N6thrust23THRUST_200600_302600_NS10device_ptrIlEESB_jNS0_19identity_decomposerENS1_16block_id_wrapperIjLb1EEEEE10hipError_tT1_PNSt15iterator_traitsISG_E10value_typeET2_T3_PNSH_ISM_E10value_typeET4_T5_PSR_SS_PNS1_23onesweep_lookback_stateEbbT6_jjT7_P12ihipStream_tbENKUlT_T0_SG_SL_E_clIS7_S7_SB_PlEEDaSZ_S10_SG_SL_EUlSZ_E_NS1_11comp_targetILNS1_3genE3ELNS1_11target_archE908ELNS1_3gpuE7ELNS1_3repE0EEENS1_47radix_sort_onesweep_sort_config_static_selectorELNS0_4arch9wavefront6targetE1EEEvSG_.num_named_barrier, 0
	.set _ZN7rocprim17ROCPRIM_400000_NS6detail17trampoline_kernelINS0_14default_configENS1_35radix_sort_onesweep_config_selectorIdlEEZZNS1_29radix_sort_onesweep_iterationIS3_Lb0EPdS7_N6thrust23THRUST_200600_302600_NS10device_ptrIlEESB_jNS0_19identity_decomposerENS1_16block_id_wrapperIjLb1EEEEE10hipError_tT1_PNSt15iterator_traitsISG_E10value_typeET2_T3_PNSH_ISM_E10value_typeET4_T5_PSR_SS_PNS1_23onesweep_lookback_stateEbbT6_jjT7_P12ihipStream_tbENKUlT_T0_SG_SL_E_clIS7_S7_SB_PlEEDaSZ_S10_SG_SL_EUlSZ_E_NS1_11comp_targetILNS1_3genE3ELNS1_11target_archE908ELNS1_3gpuE7ELNS1_3repE0EEENS1_47radix_sort_onesweep_sort_config_static_selectorELNS0_4arch9wavefront6targetE1EEEvSG_.private_seg_size, 0
	.set _ZN7rocprim17ROCPRIM_400000_NS6detail17trampoline_kernelINS0_14default_configENS1_35radix_sort_onesweep_config_selectorIdlEEZZNS1_29radix_sort_onesweep_iterationIS3_Lb0EPdS7_N6thrust23THRUST_200600_302600_NS10device_ptrIlEESB_jNS0_19identity_decomposerENS1_16block_id_wrapperIjLb1EEEEE10hipError_tT1_PNSt15iterator_traitsISG_E10value_typeET2_T3_PNSH_ISM_E10value_typeET4_T5_PSR_SS_PNS1_23onesweep_lookback_stateEbbT6_jjT7_P12ihipStream_tbENKUlT_T0_SG_SL_E_clIS7_S7_SB_PlEEDaSZ_S10_SG_SL_EUlSZ_E_NS1_11comp_targetILNS1_3genE3ELNS1_11target_archE908ELNS1_3gpuE7ELNS1_3repE0EEENS1_47radix_sort_onesweep_sort_config_static_selectorELNS0_4arch9wavefront6targetE1EEEvSG_.uses_vcc, 0
	.set _ZN7rocprim17ROCPRIM_400000_NS6detail17trampoline_kernelINS0_14default_configENS1_35radix_sort_onesweep_config_selectorIdlEEZZNS1_29radix_sort_onesweep_iterationIS3_Lb0EPdS7_N6thrust23THRUST_200600_302600_NS10device_ptrIlEESB_jNS0_19identity_decomposerENS1_16block_id_wrapperIjLb1EEEEE10hipError_tT1_PNSt15iterator_traitsISG_E10value_typeET2_T3_PNSH_ISM_E10value_typeET4_T5_PSR_SS_PNS1_23onesweep_lookback_stateEbbT6_jjT7_P12ihipStream_tbENKUlT_T0_SG_SL_E_clIS7_S7_SB_PlEEDaSZ_S10_SG_SL_EUlSZ_E_NS1_11comp_targetILNS1_3genE3ELNS1_11target_archE908ELNS1_3gpuE7ELNS1_3repE0EEENS1_47radix_sort_onesweep_sort_config_static_selectorELNS0_4arch9wavefront6targetE1EEEvSG_.uses_flat_scratch, 0
	.set _ZN7rocprim17ROCPRIM_400000_NS6detail17trampoline_kernelINS0_14default_configENS1_35radix_sort_onesweep_config_selectorIdlEEZZNS1_29radix_sort_onesweep_iterationIS3_Lb0EPdS7_N6thrust23THRUST_200600_302600_NS10device_ptrIlEESB_jNS0_19identity_decomposerENS1_16block_id_wrapperIjLb1EEEEE10hipError_tT1_PNSt15iterator_traitsISG_E10value_typeET2_T3_PNSH_ISM_E10value_typeET4_T5_PSR_SS_PNS1_23onesweep_lookback_stateEbbT6_jjT7_P12ihipStream_tbENKUlT_T0_SG_SL_E_clIS7_S7_SB_PlEEDaSZ_S10_SG_SL_EUlSZ_E_NS1_11comp_targetILNS1_3genE3ELNS1_11target_archE908ELNS1_3gpuE7ELNS1_3repE0EEENS1_47radix_sort_onesweep_sort_config_static_selectorELNS0_4arch9wavefront6targetE1EEEvSG_.has_dyn_sized_stack, 0
	.set _ZN7rocprim17ROCPRIM_400000_NS6detail17trampoline_kernelINS0_14default_configENS1_35radix_sort_onesweep_config_selectorIdlEEZZNS1_29radix_sort_onesweep_iterationIS3_Lb0EPdS7_N6thrust23THRUST_200600_302600_NS10device_ptrIlEESB_jNS0_19identity_decomposerENS1_16block_id_wrapperIjLb1EEEEE10hipError_tT1_PNSt15iterator_traitsISG_E10value_typeET2_T3_PNSH_ISM_E10value_typeET4_T5_PSR_SS_PNS1_23onesweep_lookback_stateEbbT6_jjT7_P12ihipStream_tbENKUlT_T0_SG_SL_E_clIS7_S7_SB_PlEEDaSZ_S10_SG_SL_EUlSZ_E_NS1_11comp_targetILNS1_3genE3ELNS1_11target_archE908ELNS1_3gpuE7ELNS1_3repE0EEENS1_47radix_sort_onesweep_sort_config_static_selectorELNS0_4arch9wavefront6targetE1EEEvSG_.has_recursion, 0
	.set _ZN7rocprim17ROCPRIM_400000_NS6detail17trampoline_kernelINS0_14default_configENS1_35radix_sort_onesweep_config_selectorIdlEEZZNS1_29radix_sort_onesweep_iterationIS3_Lb0EPdS7_N6thrust23THRUST_200600_302600_NS10device_ptrIlEESB_jNS0_19identity_decomposerENS1_16block_id_wrapperIjLb1EEEEE10hipError_tT1_PNSt15iterator_traitsISG_E10value_typeET2_T3_PNSH_ISM_E10value_typeET4_T5_PSR_SS_PNS1_23onesweep_lookback_stateEbbT6_jjT7_P12ihipStream_tbENKUlT_T0_SG_SL_E_clIS7_S7_SB_PlEEDaSZ_S10_SG_SL_EUlSZ_E_NS1_11comp_targetILNS1_3genE3ELNS1_11target_archE908ELNS1_3gpuE7ELNS1_3repE0EEENS1_47radix_sort_onesweep_sort_config_static_selectorELNS0_4arch9wavefront6targetE1EEEvSG_.has_indirect_call, 0
	.section	.AMDGPU.csdata,"",@progbits
; Kernel info:
; codeLenInByte = 0
; TotalNumSgprs: 4
; NumVgprs: 0
; ScratchSize: 0
; MemoryBound: 0
; FloatMode: 240
; IeeeMode: 1
; LDSByteSize: 0 bytes/workgroup (compile time only)
; SGPRBlocks: 0
; VGPRBlocks: 0
; NumSGPRsForWavesPerEU: 4
; NumVGPRsForWavesPerEU: 1
; Occupancy: 10
; WaveLimiterHint : 0
; COMPUTE_PGM_RSRC2:SCRATCH_EN: 0
; COMPUTE_PGM_RSRC2:USER_SGPR: 6
; COMPUTE_PGM_RSRC2:TRAP_HANDLER: 0
; COMPUTE_PGM_RSRC2:TGID_X_EN: 1
; COMPUTE_PGM_RSRC2:TGID_Y_EN: 0
; COMPUTE_PGM_RSRC2:TGID_Z_EN: 0
; COMPUTE_PGM_RSRC2:TIDIG_COMP_CNT: 0
	.section	.text._ZN7rocprim17ROCPRIM_400000_NS6detail17trampoline_kernelINS0_14default_configENS1_35radix_sort_onesweep_config_selectorIdlEEZZNS1_29radix_sort_onesweep_iterationIS3_Lb0EPdS7_N6thrust23THRUST_200600_302600_NS10device_ptrIlEESB_jNS0_19identity_decomposerENS1_16block_id_wrapperIjLb1EEEEE10hipError_tT1_PNSt15iterator_traitsISG_E10value_typeET2_T3_PNSH_ISM_E10value_typeET4_T5_PSR_SS_PNS1_23onesweep_lookback_stateEbbT6_jjT7_P12ihipStream_tbENKUlT_T0_SG_SL_E_clIS7_S7_SB_PlEEDaSZ_S10_SG_SL_EUlSZ_E_NS1_11comp_targetILNS1_3genE10ELNS1_11target_archE1201ELNS1_3gpuE5ELNS1_3repE0EEENS1_47radix_sort_onesweep_sort_config_static_selectorELNS0_4arch9wavefront6targetE1EEEvSG_,"axG",@progbits,_ZN7rocprim17ROCPRIM_400000_NS6detail17trampoline_kernelINS0_14default_configENS1_35radix_sort_onesweep_config_selectorIdlEEZZNS1_29radix_sort_onesweep_iterationIS3_Lb0EPdS7_N6thrust23THRUST_200600_302600_NS10device_ptrIlEESB_jNS0_19identity_decomposerENS1_16block_id_wrapperIjLb1EEEEE10hipError_tT1_PNSt15iterator_traitsISG_E10value_typeET2_T3_PNSH_ISM_E10value_typeET4_T5_PSR_SS_PNS1_23onesweep_lookback_stateEbbT6_jjT7_P12ihipStream_tbENKUlT_T0_SG_SL_E_clIS7_S7_SB_PlEEDaSZ_S10_SG_SL_EUlSZ_E_NS1_11comp_targetILNS1_3genE10ELNS1_11target_archE1201ELNS1_3gpuE5ELNS1_3repE0EEENS1_47radix_sort_onesweep_sort_config_static_selectorELNS0_4arch9wavefront6targetE1EEEvSG_,comdat
	.protected	_ZN7rocprim17ROCPRIM_400000_NS6detail17trampoline_kernelINS0_14default_configENS1_35radix_sort_onesweep_config_selectorIdlEEZZNS1_29radix_sort_onesweep_iterationIS3_Lb0EPdS7_N6thrust23THRUST_200600_302600_NS10device_ptrIlEESB_jNS0_19identity_decomposerENS1_16block_id_wrapperIjLb1EEEEE10hipError_tT1_PNSt15iterator_traitsISG_E10value_typeET2_T3_PNSH_ISM_E10value_typeET4_T5_PSR_SS_PNS1_23onesweep_lookback_stateEbbT6_jjT7_P12ihipStream_tbENKUlT_T0_SG_SL_E_clIS7_S7_SB_PlEEDaSZ_S10_SG_SL_EUlSZ_E_NS1_11comp_targetILNS1_3genE10ELNS1_11target_archE1201ELNS1_3gpuE5ELNS1_3repE0EEENS1_47radix_sort_onesweep_sort_config_static_selectorELNS0_4arch9wavefront6targetE1EEEvSG_ ; -- Begin function _ZN7rocprim17ROCPRIM_400000_NS6detail17trampoline_kernelINS0_14default_configENS1_35radix_sort_onesweep_config_selectorIdlEEZZNS1_29radix_sort_onesweep_iterationIS3_Lb0EPdS7_N6thrust23THRUST_200600_302600_NS10device_ptrIlEESB_jNS0_19identity_decomposerENS1_16block_id_wrapperIjLb1EEEEE10hipError_tT1_PNSt15iterator_traitsISG_E10value_typeET2_T3_PNSH_ISM_E10value_typeET4_T5_PSR_SS_PNS1_23onesweep_lookback_stateEbbT6_jjT7_P12ihipStream_tbENKUlT_T0_SG_SL_E_clIS7_S7_SB_PlEEDaSZ_S10_SG_SL_EUlSZ_E_NS1_11comp_targetILNS1_3genE10ELNS1_11target_archE1201ELNS1_3gpuE5ELNS1_3repE0EEENS1_47radix_sort_onesweep_sort_config_static_selectorELNS0_4arch9wavefront6targetE1EEEvSG_
	.globl	_ZN7rocprim17ROCPRIM_400000_NS6detail17trampoline_kernelINS0_14default_configENS1_35radix_sort_onesweep_config_selectorIdlEEZZNS1_29radix_sort_onesweep_iterationIS3_Lb0EPdS7_N6thrust23THRUST_200600_302600_NS10device_ptrIlEESB_jNS0_19identity_decomposerENS1_16block_id_wrapperIjLb1EEEEE10hipError_tT1_PNSt15iterator_traitsISG_E10value_typeET2_T3_PNSH_ISM_E10value_typeET4_T5_PSR_SS_PNS1_23onesweep_lookback_stateEbbT6_jjT7_P12ihipStream_tbENKUlT_T0_SG_SL_E_clIS7_S7_SB_PlEEDaSZ_S10_SG_SL_EUlSZ_E_NS1_11comp_targetILNS1_3genE10ELNS1_11target_archE1201ELNS1_3gpuE5ELNS1_3repE0EEENS1_47radix_sort_onesweep_sort_config_static_selectorELNS0_4arch9wavefront6targetE1EEEvSG_
	.p2align	8
	.type	_ZN7rocprim17ROCPRIM_400000_NS6detail17trampoline_kernelINS0_14default_configENS1_35radix_sort_onesweep_config_selectorIdlEEZZNS1_29radix_sort_onesweep_iterationIS3_Lb0EPdS7_N6thrust23THRUST_200600_302600_NS10device_ptrIlEESB_jNS0_19identity_decomposerENS1_16block_id_wrapperIjLb1EEEEE10hipError_tT1_PNSt15iterator_traitsISG_E10value_typeET2_T3_PNSH_ISM_E10value_typeET4_T5_PSR_SS_PNS1_23onesweep_lookback_stateEbbT6_jjT7_P12ihipStream_tbENKUlT_T0_SG_SL_E_clIS7_S7_SB_PlEEDaSZ_S10_SG_SL_EUlSZ_E_NS1_11comp_targetILNS1_3genE10ELNS1_11target_archE1201ELNS1_3gpuE5ELNS1_3repE0EEENS1_47radix_sort_onesweep_sort_config_static_selectorELNS0_4arch9wavefront6targetE1EEEvSG_,@function
_ZN7rocprim17ROCPRIM_400000_NS6detail17trampoline_kernelINS0_14default_configENS1_35radix_sort_onesweep_config_selectorIdlEEZZNS1_29radix_sort_onesweep_iterationIS3_Lb0EPdS7_N6thrust23THRUST_200600_302600_NS10device_ptrIlEESB_jNS0_19identity_decomposerENS1_16block_id_wrapperIjLb1EEEEE10hipError_tT1_PNSt15iterator_traitsISG_E10value_typeET2_T3_PNSH_ISM_E10value_typeET4_T5_PSR_SS_PNS1_23onesweep_lookback_stateEbbT6_jjT7_P12ihipStream_tbENKUlT_T0_SG_SL_E_clIS7_S7_SB_PlEEDaSZ_S10_SG_SL_EUlSZ_E_NS1_11comp_targetILNS1_3genE10ELNS1_11target_archE1201ELNS1_3gpuE5ELNS1_3repE0EEENS1_47radix_sort_onesweep_sort_config_static_selectorELNS0_4arch9wavefront6targetE1EEEvSG_: ; @_ZN7rocprim17ROCPRIM_400000_NS6detail17trampoline_kernelINS0_14default_configENS1_35radix_sort_onesweep_config_selectorIdlEEZZNS1_29radix_sort_onesweep_iterationIS3_Lb0EPdS7_N6thrust23THRUST_200600_302600_NS10device_ptrIlEESB_jNS0_19identity_decomposerENS1_16block_id_wrapperIjLb1EEEEE10hipError_tT1_PNSt15iterator_traitsISG_E10value_typeET2_T3_PNSH_ISM_E10value_typeET4_T5_PSR_SS_PNS1_23onesweep_lookback_stateEbbT6_jjT7_P12ihipStream_tbENKUlT_T0_SG_SL_E_clIS7_S7_SB_PlEEDaSZ_S10_SG_SL_EUlSZ_E_NS1_11comp_targetILNS1_3genE10ELNS1_11target_archE1201ELNS1_3gpuE5ELNS1_3repE0EEENS1_47radix_sort_onesweep_sort_config_static_selectorELNS0_4arch9wavefront6targetE1EEEvSG_
; %bb.0:
	.section	.rodata,"a",@progbits
	.p2align	6, 0x0
	.amdhsa_kernel _ZN7rocprim17ROCPRIM_400000_NS6detail17trampoline_kernelINS0_14default_configENS1_35radix_sort_onesweep_config_selectorIdlEEZZNS1_29radix_sort_onesweep_iterationIS3_Lb0EPdS7_N6thrust23THRUST_200600_302600_NS10device_ptrIlEESB_jNS0_19identity_decomposerENS1_16block_id_wrapperIjLb1EEEEE10hipError_tT1_PNSt15iterator_traitsISG_E10value_typeET2_T3_PNSH_ISM_E10value_typeET4_T5_PSR_SS_PNS1_23onesweep_lookback_stateEbbT6_jjT7_P12ihipStream_tbENKUlT_T0_SG_SL_E_clIS7_S7_SB_PlEEDaSZ_S10_SG_SL_EUlSZ_E_NS1_11comp_targetILNS1_3genE10ELNS1_11target_archE1201ELNS1_3gpuE5ELNS1_3repE0EEENS1_47radix_sort_onesweep_sort_config_static_selectorELNS0_4arch9wavefront6targetE1EEEvSG_
		.amdhsa_group_segment_fixed_size 0
		.amdhsa_private_segment_fixed_size 0
		.amdhsa_kernarg_size 88
		.amdhsa_user_sgpr_count 6
		.amdhsa_user_sgpr_private_segment_buffer 1
		.amdhsa_user_sgpr_dispatch_ptr 0
		.amdhsa_user_sgpr_queue_ptr 0
		.amdhsa_user_sgpr_kernarg_segment_ptr 1
		.amdhsa_user_sgpr_dispatch_id 0
		.amdhsa_user_sgpr_flat_scratch_init 0
		.amdhsa_user_sgpr_private_segment_size 0
		.amdhsa_uses_dynamic_stack 0
		.amdhsa_system_sgpr_private_segment_wavefront_offset 0
		.amdhsa_system_sgpr_workgroup_id_x 1
		.amdhsa_system_sgpr_workgroup_id_y 0
		.amdhsa_system_sgpr_workgroup_id_z 0
		.amdhsa_system_sgpr_workgroup_info 0
		.amdhsa_system_vgpr_workitem_id 0
		.amdhsa_next_free_vgpr 1
		.amdhsa_next_free_sgpr 0
		.amdhsa_reserve_vcc 0
		.amdhsa_reserve_flat_scratch 0
		.amdhsa_float_round_mode_32 0
		.amdhsa_float_round_mode_16_64 0
		.amdhsa_float_denorm_mode_32 3
		.amdhsa_float_denorm_mode_16_64 3
		.amdhsa_dx10_clamp 1
		.amdhsa_ieee_mode 1
		.amdhsa_fp16_overflow 0
		.amdhsa_exception_fp_ieee_invalid_op 0
		.amdhsa_exception_fp_denorm_src 0
		.amdhsa_exception_fp_ieee_div_zero 0
		.amdhsa_exception_fp_ieee_overflow 0
		.amdhsa_exception_fp_ieee_underflow 0
		.amdhsa_exception_fp_ieee_inexact 0
		.amdhsa_exception_int_div_zero 0
	.end_amdhsa_kernel
	.section	.text._ZN7rocprim17ROCPRIM_400000_NS6detail17trampoline_kernelINS0_14default_configENS1_35radix_sort_onesweep_config_selectorIdlEEZZNS1_29radix_sort_onesweep_iterationIS3_Lb0EPdS7_N6thrust23THRUST_200600_302600_NS10device_ptrIlEESB_jNS0_19identity_decomposerENS1_16block_id_wrapperIjLb1EEEEE10hipError_tT1_PNSt15iterator_traitsISG_E10value_typeET2_T3_PNSH_ISM_E10value_typeET4_T5_PSR_SS_PNS1_23onesweep_lookback_stateEbbT6_jjT7_P12ihipStream_tbENKUlT_T0_SG_SL_E_clIS7_S7_SB_PlEEDaSZ_S10_SG_SL_EUlSZ_E_NS1_11comp_targetILNS1_3genE10ELNS1_11target_archE1201ELNS1_3gpuE5ELNS1_3repE0EEENS1_47radix_sort_onesweep_sort_config_static_selectorELNS0_4arch9wavefront6targetE1EEEvSG_,"axG",@progbits,_ZN7rocprim17ROCPRIM_400000_NS6detail17trampoline_kernelINS0_14default_configENS1_35radix_sort_onesweep_config_selectorIdlEEZZNS1_29radix_sort_onesweep_iterationIS3_Lb0EPdS7_N6thrust23THRUST_200600_302600_NS10device_ptrIlEESB_jNS0_19identity_decomposerENS1_16block_id_wrapperIjLb1EEEEE10hipError_tT1_PNSt15iterator_traitsISG_E10value_typeET2_T3_PNSH_ISM_E10value_typeET4_T5_PSR_SS_PNS1_23onesweep_lookback_stateEbbT6_jjT7_P12ihipStream_tbENKUlT_T0_SG_SL_E_clIS7_S7_SB_PlEEDaSZ_S10_SG_SL_EUlSZ_E_NS1_11comp_targetILNS1_3genE10ELNS1_11target_archE1201ELNS1_3gpuE5ELNS1_3repE0EEENS1_47radix_sort_onesweep_sort_config_static_selectorELNS0_4arch9wavefront6targetE1EEEvSG_,comdat
.Lfunc_end1631:
	.size	_ZN7rocprim17ROCPRIM_400000_NS6detail17trampoline_kernelINS0_14default_configENS1_35radix_sort_onesweep_config_selectorIdlEEZZNS1_29radix_sort_onesweep_iterationIS3_Lb0EPdS7_N6thrust23THRUST_200600_302600_NS10device_ptrIlEESB_jNS0_19identity_decomposerENS1_16block_id_wrapperIjLb1EEEEE10hipError_tT1_PNSt15iterator_traitsISG_E10value_typeET2_T3_PNSH_ISM_E10value_typeET4_T5_PSR_SS_PNS1_23onesweep_lookback_stateEbbT6_jjT7_P12ihipStream_tbENKUlT_T0_SG_SL_E_clIS7_S7_SB_PlEEDaSZ_S10_SG_SL_EUlSZ_E_NS1_11comp_targetILNS1_3genE10ELNS1_11target_archE1201ELNS1_3gpuE5ELNS1_3repE0EEENS1_47radix_sort_onesweep_sort_config_static_selectorELNS0_4arch9wavefront6targetE1EEEvSG_, .Lfunc_end1631-_ZN7rocprim17ROCPRIM_400000_NS6detail17trampoline_kernelINS0_14default_configENS1_35radix_sort_onesweep_config_selectorIdlEEZZNS1_29radix_sort_onesweep_iterationIS3_Lb0EPdS7_N6thrust23THRUST_200600_302600_NS10device_ptrIlEESB_jNS0_19identity_decomposerENS1_16block_id_wrapperIjLb1EEEEE10hipError_tT1_PNSt15iterator_traitsISG_E10value_typeET2_T3_PNSH_ISM_E10value_typeET4_T5_PSR_SS_PNS1_23onesweep_lookback_stateEbbT6_jjT7_P12ihipStream_tbENKUlT_T0_SG_SL_E_clIS7_S7_SB_PlEEDaSZ_S10_SG_SL_EUlSZ_E_NS1_11comp_targetILNS1_3genE10ELNS1_11target_archE1201ELNS1_3gpuE5ELNS1_3repE0EEENS1_47radix_sort_onesweep_sort_config_static_selectorELNS0_4arch9wavefront6targetE1EEEvSG_
                                        ; -- End function
	.set _ZN7rocprim17ROCPRIM_400000_NS6detail17trampoline_kernelINS0_14default_configENS1_35radix_sort_onesweep_config_selectorIdlEEZZNS1_29radix_sort_onesweep_iterationIS3_Lb0EPdS7_N6thrust23THRUST_200600_302600_NS10device_ptrIlEESB_jNS0_19identity_decomposerENS1_16block_id_wrapperIjLb1EEEEE10hipError_tT1_PNSt15iterator_traitsISG_E10value_typeET2_T3_PNSH_ISM_E10value_typeET4_T5_PSR_SS_PNS1_23onesweep_lookback_stateEbbT6_jjT7_P12ihipStream_tbENKUlT_T0_SG_SL_E_clIS7_S7_SB_PlEEDaSZ_S10_SG_SL_EUlSZ_E_NS1_11comp_targetILNS1_3genE10ELNS1_11target_archE1201ELNS1_3gpuE5ELNS1_3repE0EEENS1_47radix_sort_onesweep_sort_config_static_selectorELNS0_4arch9wavefront6targetE1EEEvSG_.num_vgpr, 0
	.set _ZN7rocprim17ROCPRIM_400000_NS6detail17trampoline_kernelINS0_14default_configENS1_35radix_sort_onesweep_config_selectorIdlEEZZNS1_29radix_sort_onesweep_iterationIS3_Lb0EPdS7_N6thrust23THRUST_200600_302600_NS10device_ptrIlEESB_jNS0_19identity_decomposerENS1_16block_id_wrapperIjLb1EEEEE10hipError_tT1_PNSt15iterator_traitsISG_E10value_typeET2_T3_PNSH_ISM_E10value_typeET4_T5_PSR_SS_PNS1_23onesweep_lookback_stateEbbT6_jjT7_P12ihipStream_tbENKUlT_T0_SG_SL_E_clIS7_S7_SB_PlEEDaSZ_S10_SG_SL_EUlSZ_E_NS1_11comp_targetILNS1_3genE10ELNS1_11target_archE1201ELNS1_3gpuE5ELNS1_3repE0EEENS1_47radix_sort_onesweep_sort_config_static_selectorELNS0_4arch9wavefront6targetE1EEEvSG_.num_agpr, 0
	.set _ZN7rocprim17ROCPRIM_400000_NS6detail17trampoline_kernelINS0_14default_configENS1_35radix_sort_onesweep_config_selectorIdlEEZZNS1_29radix_sort_onesweep_iterationIS3_Lb0EPdS7_N6thrust23THRUST_200600_302600_NS10device_ptrIlEESB_jNS0_19identity_decomposerENS1_16block_id_wrapperIjLb1EEEEE10hipError_tT1_PNSt15iterator_traitsISG_E10value_typeET2_T3_PNSH_ISM_E10value_typeET4_T5_PSR_SS_PNS1_23onesweep_lookback_stateEbbT6_jjT7_P12ihipStream_tbENKUlT_T0_SG_SL_E_clIS7_S7_SB_PlEEDaSZ_S10_SG_SL_EUlSZ_E_NS1_11comp_targetILNS1_3genE10ELNS1_11target_archE1201ELNS1_3gpuE5ELNS1_3repE0EEENS1_47radix_sort_onesweep_sort_config_static_selectorELNS0_4arch9wavefront6targetE1EEEvSG_.numbered_sgpr, 0
	.set _ZN7rocprim17ROCPRIM_400000_NS6detail17trampoline_kernelINS0_14default_configENS1_35radix_sort_onesweep_config_selectorIdlEEZZNS1_29radix_sort_onesweep_iterationIS3_Lb0EPdS7_N6thrust23THRUST_200600_302600_NS10device_ptrIlEESB_jNS0_19identity_decomposerENS1_16block_id_wrapperIjLb1EEEEE10hipError_tT1_PNSt15iterator_traitsISG_E10value_typeET2_T3_PNSH_ISM_E10value_typeET4_T5_PSR_SS_PNS1_23onesweep_lookback_stateEbbT6_jjT7_P12ihipStream_tbENKUlT_T0_SG_SL_E_clIS7_S7_SB_PlEEDaSZ_S10_SG_SL_EUlSZ_E_NS1_11comp_targetILNS1_3genE10ELNS1_11target_archE1201ELNS1_3gpuE5ELNS1_3repE0EEENS1_47radix_sort_onesweep_sort_config_static_selectorELNS0_4arch9wavefront6targetE1EEEvSG_.num_named_barrier, 0
	.set _ZN7rocprim17ROCPRIM_400000_NS6detail17trampoline_kernelINS0_14default_configENS1_35radix_sort_onesweep_config_selectorIdlEEZZNS1_29radix_sort_onesweep_iterationIS3_Lb0EPdS7_N6thrust23THRUST_200600_302600_NS10device_ptrIlEESB_jNS0_19identity_decomposerENS1_16block_id_wrapperIjLb1EEEEE10hipError_tT1_PNSt15iterator_traitsISG_E10value_typeET2_T3_PNSH_ISM_E10value_typeET4_T5_PSR_SS_PNS1_23onesweep_lookback_stateEbbT6_jjT7_P12ihipStream_tbENKUlT_T0_SG_SL_E_clIS7_S7_SB_PlEEDaSZ_S10_SG_SL_EUlSZ_E_NS1_11comp_targetILNS1_3genE10ELNS1_11target_archE1201ELNS1_3gpuE5ELNS1_3repE0EEENS1_47radix_sort_onesweep_sort_config_static_selectorELNS0_4arch9wavefront6targetE1EEEvSG_.private_seg_size, 0
	.set _ZN7rocprim17ROCPRIM_400000_NS6detail17trampoline_kernelINS0_14default_configENS1_35radix_sort_onesweep_config_selectorIdlEEZZNS1_29radix_sort_onesweep_iterationIS3_Lb0EPdS7_N6thrust23THRUST_200600_302600_NS10device_ptrIlEESB_jNS0_19identity_decomposerENS1_16block_id_wrapperIjLb1EEEEE10hipError_tT1_PNSt15iterator_traitsISG_E10value_typeET2_T3_PNSH_ISM_E10value_typeET4_T5_PSR_SS_PNS1_23onesweep_lookback_stateEbbT6_jjT7_P12ihipStream_tbENKUlT_T0_SG_SL_E_clIS7_S7_SB_PlEEDaSZ_S10_SG_SL_EUlSZ_E_NS1_11comp_targetILNS1_3genE10ELNS1_11target_archE1201ELNS1_3gpuE5ELNS1_3repE0EEENS1_47radix_sort_onesweep_sort_config_static_selectorELNS0_4arch9wavefront6targetE1EEEvSG_.uses_vcc, 0
	.set _ZN7rocprim17ROCPRIM_400000_NS6detail17trampoline_kernelINS0_14default_configENS1_35radix_sort_onesweep_config_selectorIdlEEZZNS1_29radix_sort_onesweep_iterationIS3_Lb0EPdS7_N6thrust23THRUST_200600_302600_NS10device_ptrIlEESB_jNS0_19identity_decomposerENS1_16block_id_wrapperIjLb1EEEEE10hipError_tT1_PNSt15iterator_traitsISG_E10value_typeET2_T3_PNSH_ISM_E10value_typeET4_T5_PSR_SS_PNS1_23onesweep_lookback_stateEbbT6_jjT7_P12ihipStream_tbENKUlT_T0_SG_SL_E_clIS7_S7_SB_PlEEDaSZ_S10_SG_SL_EUlSZ_E_NS1_11comp_targetILNS1_3genE10ELNS1_11target_archE1201ELNS1_3gpuE5ELNS1_3repE0EEENS1_47radix_sort_onesweep_sort_config_static_selectorELNS0_4arch9wavefront6targetE1EEEvSG_.uses_flat_scratch, 0
	.set _ZN7rocprim17ROCPRIM_400000_NS6detail17trampoline_kernelINS0_14default_configENS1_35radix_sort_onesweep_config_selectorIdlEEZZNS1_29radix_sort_onesweep_iterationIS3_Lb0EPdS7_N6thrust23THRUST_200600_302600_NS10device_ptrIlEESB_jNS0_19identity_decomposerENS1_16block_id_wrapperIjLb1EEEEE10hipError_tT1_PNSt15iterator_traitsISG_E10value_typeET2_T3_PNSH_ISM_E10value_typeET4_T5_PSR_SS_PNS1_23onesweep_lookback_stateEbbT6_jjT7_P12ihipStream_tbENKUlT_T0_SG_SL_E_clIS7_S7_SB_PlEEDaSZ_S10_SG_SL_EUlSZ_E_NS1_11comp_targetILNS1_3genE10ELNS1_11target_archE1201ELNS1_3gpuE5ELNS1_3repE0EEENS1_47radix_sort_onesweep_sort_config_static_selectorELNS0_4arch9wavefront6targetE1EEEvSG_.has_dyn_sized_stack, 0
	.set _ZN7rocprim17ROCPRIM_400000_NS6detail17trampoline_kernelINS0_14default_configENS1_35radix_sort_onesweep_config_selectorIdlEEZZNS1_29radix_sort_onesweep_iterationIS3_Lb0EPdS7_N6thrust23THRUST_200600_302600_NS10device_ptrIlEESB_jNS0_19identity_decomposerENS1_16block_id_wrapperIjLb1EEEEE10hipError_tT1_PNSt15iterator_traitsISG_E10value_typeET2_T3_PNSH_ISM_E10value_typeET4_T5_PSR_SS_PNS1_23onesweep_lookback_stateEbbT6_jjT7_P12ihipStream_tbENKUlT_T0_SG_SL_E_clIS7_S7_SB_PlEEDaSZ_S10_SG_SL_EUlSZ_E_NS1_11comp_targetILNS1_3genE10ELNS1_11target_archE1201ELNS1_3gpuE5ELNS1_3repE0EEENS1_47radix_sort_onesweep_sort_config_static_selectorELNS0_4arch9wavefront6targetE1EEEvSG_.has_recursion, 0
	.set _ZN7rocprim17ROCPRIM_400000_NS6detail17trampoline_kernelINS0_14default_configENS1_35radix_sort_onesweep_config_selectorIdlEEZZNS1_29radix_sort_onesweep_iterationIS3_Lb0EPdS7_N6thrust23THRUST_200600_302600_NS10device_ptrIlEESB_jNS0_19identity_decomposerENS1_16block_id_wrapperIjLb1EEEEE10hipError_tT1_PNSt15iterator_traitsISG_E10value_typeET2_T3_PNSH_ISM_E10value_typeET4_T5_PSR_SS_PNS1_23onesweep_lookback_stateEbbT6_jjT7_P12ihipStream_tbENKUlT_T0_SG_SL_E_clIS7_S7_SB_PlEEDaSZ_S10_SG_SL_EUlSZ_E_NS1_11comp_targetILNS1_3genE10ELNS1_11target_archE1201ELNS1_3gpuE5ELNS1_3repE0EEENS1_47radix_sort_onesweep_sort_config_static_selectorELNS0_4arch9wavefront6targetE1EEEvSG_.has_indirect_call, 0
	.section	.AMDGPU.csdata,"",@progbits
; Kernel info:
; codeLenInByte = 0
; TotalNumSgprs: 4
; NumVgprs: 0
; ScratchSize: 0
; MemoryBound: 0
; FloatMode: 240
; IeeeMode: 1
; LDSByteSize: 0 bytes/workgroup (compile time only)
; SGPRBlocks: 0
; VGPRBlocks: 0
; NumSGPRsForWavesPerEU: 4
; NumVGPRsForWavesPerEU: 1
; Occupancy: 10
; WaveLimiterHint : 0
; COMPUTE_PGM_RSRC2:SCRATCH_EN: 0
; COMPUTE_PGM_RSRC2:USER_SGPR: 6
; COMPUTE_PGM_RSRC2:TRAP_HANDLER: 0
; COMPUTE_PGM_RSRC2:TGID_X_EN: 1
; COMPUTE_PGM_RSRC2:TGID_Y_EN: 0
; COMPUTE_PGM_RSRC2:TGID_Z_EN: 0
; COMPUTE_PGM_RSRC2:TIDIG_COMP_CNT: 0
	.section	.text._ZN7rocprim17ROCPRIM_400000_NS6detail17trampoline_kernelINS0_14default_configENS1_35radix_sort_onesweep_config_selectorIdlEEZZNS1_29radix_sort_onesweep_iterationIS3_Lb0EPdS7_N6thrust23THRUST_200600_302600_NS10device_ptrIlEESB_jNS0_19identity_decomposerENS1_16block_id_wrapperIjLb1EEEEE10hipError_tT1_PNSt15iterator_traitsISG_E10value_typeET2_T3_PNSH_ISM_E10value_typeET4_T5_PSR_SS_PNS1_23onesweep_lookback_stateEbbT6_jjT7_P12ihipStream_tbENKUlT_T0_SG_SL_E_clIS7_S7_SB_PlEEDaSZ_S10_SG_SL_EUlSZ_E_NS1_11comp_targetILNS1_3genE9ELNS1_11target_archE1100ELNS1_3gpuE3ELNS1_3repE0EEENS1_47radix_sort_onesweep_sort_config_static_selectorELNS0_4arch9wavefront6targetE1EEEvSG_,"axG",@progbits,_ZN7rocprim17ROCPRIM_400000_NS6detail17trampoline_kernelINS0_14default_configENS1_35radix_sort_onesweep_config_selectorIdlEEZZNS1_29radix_sort_onesweep_iterationIS3_Lb0EPdS7_N6thrust23THRUST_200600_302600_NS10device_ptrIlEESB_jNS0_19identity_decomposerENS1_16block_id_wrapperIjLb1EEEEE10hipError_tT1_PNSt15iterator_traitsISG_E10value_typeET2_T3_PNSH_ISM_E10value_typeET4_T5_PSR_SS_PNS1_23onesweep_lookback_stateEbbT6_jjT7_P12ihipStream_tbENKUlT_T0_SG_SL_E_clIS7_S7_SB_PlEEDaSZ_S10_SG_SL_EUlSZ_E_NS1_11comp_targetILNS1_3genE9ELNS1_11target_archE1100ELNS1_3gpuE3ELNS1_3repE0EEENS1_47radix_sort_onesweep_sort_config_static_selectorELNS0_4arch9wavefront6targetE1EEEvSG_,comdat
	.protected	_ZN7rocprim17ROCPRIM_400000_NS6detail17trampoline_kernelINS0_14default_configENS1_35radix_sort_onesweep_config_selectorIdlEEZZNS1_29radix_sort_onesweep_iterationIS3_Lb0EPdS7_N6thrust23THRUST_200600_302600_NS10device_ptrIlEESB_jNS0_19identity_decomposerENS1_16block_id_wrapperIjLb1EEEEE10hipError_tT1_PNSt15iterator_traitsISG_E10value_typeET2_T3_PNSH_ISM_E10value_typeET4_T5_PSR_SS_PNS1_23onesweep_lookback_stateEbbT6_jjT7_P12ihipStream_tbENKUlT_T0_SG_SL_E_clIS7_S7_SB_PlEEDaSZ_S10_SG_SL_EUlSZ_E_NS1_11comp_targetILNS1_3genE9ELNS1_11target_archE1100ELNS1_3gpuE3ELNS1_3repE0EEENS1_47radix_sort_onesweep_sort_config_static_selectorELNS0_4arch9wavefront6targetE1EEEvSG_ ; -- Begin function _ZN7rocprim17ROCPRIM_400000_NS6detail17trampoline_kernelINS0_14default_configENS1_35radix_sort_onesweep_config_selectorIdlEEZZNS1_29radix_sort_onesweep_iterationIS3_Lb0EPdS7_N6thrust23THRUST_200600_302600_NS10device_ptrIlEESB_jNS0_19identity_decomposerENS1_16block_id_wrapperIjLb1EEEEE10hipError_tT1_PNSt15iterator_traitsISG_E10value_typeET2_T3_PNSH_ISM_E10value_typeET4_T5_PSR_SS_PNS1_23onesweep_lookback_stateEbbT6_jjT7_P12ihipStream_tbENKUlT_T0_SG_SL_E_clIS7_S7_SB_PlEEDaSZ_S10_SG_SL_EUlSZ_E_NS1_11comp_targetILNS1_3genE9ELNS1_11target_archE1100ELNS1_3gpuE3ELNS1_3repE0EEENS1_47radix_sort_onesweep_sort_config_static_selectorELNS0_4arch9wavefront6targetE1EEEvSG_
	.globl	_ZN7rocprim17ROCPRIM_400000_NS6detail17trampoline_kernelINS0_14default_configENS1_35radix_sort_onesweep_config_selectorIdlEEZZNS1_29radix_sort_onesweep_iterationIS3_Lb0EPdS7_N6thrust23THRUST_200600_302600_NS10device_ptrIlEESB_jNS0_19identity_decomposerENS1_16block_id_wrapperIjLb1EEEEE10hipError_tT1_PNSt15iterator_traitsISG_E10value_typeET2_T3_PNSH_ISM_E10value_typeET4_T5_PSR_SS_PNS1_23onesweep_lookback_stateEbbT6_jjT7_P12ihipStream_tbENKUlT_T0_SG_SL_E_clIS7_S7_SB_PlEEDaSZ_S10_SG_SL_EUlSZ_E_NS1_11comp_targetILNS1_3genE9ELNS1_11target_archE1100ELNS1_3gpuE3ELNS1_3repE0EEENS1_47radix_sort_onesweep_sort_config_static_selectorELNS0_4arch9wavefront6targetE1EEEvSG_
	.p2align	8
	.type	_ZN7rocprim17ROCPRIM_400000_NS6detail17trampoline_kernelINS0_14default_configENS1_35radix_sort_onesweep_config_selectorIdlEEZZNS1_29radix_sort_onesweep_iterationIS3_Lb0EPdS7_N6thrust23THRUST_200600_302600_NS10device_ptrIlEESB_jNS0_19identity_decomposerENS1_16block_id_wrapperIjLb1EEEEE10hipError_tT1_PNSt15iterator_traitsISG_E10value_typeET2_T3_PNSH_ISM_E10value_typeET4_T5_PSR_SS_PNS1_23onesweep_lookback_stateEbbT6_jjT7_P12ihipStream_tbENKUlT_T0_SG_SL_E_clIS7_S7_SB_PlEEDaSZ_S10_SG_SL_EUlSZ_E_NS1_11comp_targetILNS1_3genE9ELNS1_11target_archE1100ELNS1_3gpuE3ELNS1_3repE0EEENS1_47radix_sort_onesweep_sort_config_static_selectorELNS0_4arch9wavefront6targetE1EEEvSG_,@function
_ZN7rocprim17ROCPRIM_400000_NS6detail17trampoline_kernelINS0_14default_configENS1_35radix_sort_onesweep_config_selectorIdlEEZZNS1_29radix_sort_onesweep_iterationIS3_Lb0EPdS7_N6thrust23THRUST_200600_302600_NS10device_ptrIlEESB_jNS0_19identity_decomposerENS1_16block_id_wrapperIjLb1EEEEE10hipError_tT1_PNSt15iterator_traitsISG_E10value_typeET2_T3_PNSH_ISM_E10value_typeET4_T5_PSR_SS_PNS1_23onesweep_lookback_stateEbbT6_jjT7_P12ihipStream_tbENKUlT_T0_SG_SL_E_clIS7_S7_SB_PlEEDaSZ_S10_SG_SL_EUlSZ_E_NS1_11comp_targetILNS1_3genE9ELNS1_11target_archE1100ELNS1_3gpuE3ELNS1_3repE0EEENS1_47radix_sort_onesweep_sort_config_static_selectorELNS0_4arch9wavefront6targetE1EEEvSG_: ; @_ZN7rocprim17ROCPRIM_400000_NS6detail17trampoline_kernelINS0_14default_configENS1_35radix_sort_onesweep_config_selectorIdlEEZZNS1_29radix_sort_onesweep_iterationIS3_Lb0EPdS7_N6thrust23THRUST_200600_302600_NS10device_ptrIlEESB_jNS0_19identity_decomposerENS1_16block_id_wrapperIjLb1EEEEE10hipError_tT1_PNSt15iterator_traitsISG_E10value_typeET2_T3_PNSH_ISM_E10value_typeET4_T5_PSR_SS_PNS1_23onesweep_lookback_stateEbbT6_jjT7_P12ihipStream_tbENKUlT_T0_SG_SL_E_clIS7_S7_SB_PlEEDaSZ_S10_SG_SL_EUlSZ_E_NS1_11comp_targetILNS1_3genE9ELNS1_11target_archE1100ELNS1_3gpuE3ELNS1_3repE0EEENS1_47radix_sort_onesweep_sort_config_static_selectorELNS0_4arch9wavefront6targetE1EEEvSG_
; %bb.0:
	.section	.rodata,"a",@progbits
	.p2align	6, 0x0
	.amdhsa_kernel _ZN7rocprim17ROCPRIM_400000_NS6detail17trampoline_kernelINS0_14default_configENS1_35radix_sort_onesweep_config_selectorIdlEEZZNS1_29radix_sort_onesweep_iterationIS3_Lb0EPdS7_N6thrust23THRUST_200600_302600_NS10device_ptrIlEESB_jNS0_19identity_decomposerENS1_16block_id_wrapperIjLb1EEEEE10hipError_tT1_PNSt15iterator_traitsISG_E10value_typeET2_T3_PNSH_ISM_E10value_typeET4_T5_PSR_SS_PNS1_23onesweep_lookback_stateEbbT6_jjT7_P12ihipStream_tbENKUlT_T0_SG_SL_E_clIS7_S7_SB_PlEEDaSZ_S10_SG_SL_EUlSZ_E_NS1_11comp_targetILNS1_3genE9ELNS1_11target_archE1100ELNS1_3gpuE3ELNS1_3repE0EEENS1_47radix_sort_onesweep_sort_config_static_selectorELNS0_4arch9wavefront6targetE1EEEvSG_
		.amdhsa_group_segment_fixed_size 0
		.amdhsa_private_segment_fixed_size 0
		.amdhsa_kernarg_size 88
		.amdhsa_user_sgpr_count 6
		.amdhsa_user_sgpr_private_segment_buffer 1
		.amdhsa_user_sgpr_dispatch_ptr 0
		.amdhsa_user_sgpr_queue_ptr 0
		.amdhsa_user_sgpr_kernarg_segment_ptr 1
		.amdhsa_user_sgpr_dispatch_id 0
		.amdhsa_user_sgpr_flat_scratch_init 0
		.amdhsa_user_sgpr_private_segment_size 0
		.amdhsa_uses_dynamic_stack 0
		.amdhsa_system_sgpr_private_segment_wavefront_offset 0
		.amdhsa_system_sgpr_workgroup_id_x 1
		.amdhsa_system_sgpr_workgroup_id_y 0
		.amdhsa_system_sgpr_workgroup_id_z 0
		.amdhsa_system_sgpr_workgroup_info 0
		.amdhsa_system_vgpr_workitem_id 0
		.amdhsa_next_free_vgpr 1
		.amdhsa_next_free_sgpr 0
		.amdhsa_reserve_vcc 0
		.amdhsa_reserve_flat_scratch 0
		.amdhsa_float_round_mode_32 0
		.amdhsa_float_round_mode_16_64 0
		.amdhsa_float_denorm_mode_32 3
		.amdhsa_float_denorm_mode_16_64 3
		.amdhsa_dx10_clamp 1
		.amdhsa_ieee_mode 1
		.amdhsa_fp16_overflow 0
		.amdhsa_exception_fp_ieee_invalid_op 0
		.amdhsa_exception_fp_denorm_src 0
		.amdhsa_exception_fp_ieee_div_zero 0
		.amdhsa_exception_fp_ieee_overflow 0
		.amdhsa_exception_fp_ieee_underflow 0
		.amdhsa_exception_fp_ieee_inexact 0
		.amdhsa_exception_int_div_zero 0
	.end_amdhsa_kernel
	.section	.text._ZN7rocprim17ROCPRIM_400000_NS6detail17trampoline_kernelINS0_14default_configENS1_35radix_sort_onesweep_config_selectorIdlEEZZNS1_29radix_sort_onesweep_iterationIS3_Lb0EPdS7_N6thrust23THRUST_200600_302600_NS10device_ptrIlEESB_jNS0_19identity_decomposerENS1_16block_id_wrapperIjLb1EEEEE10hipError_tT1_PNSt15iterator_traitsISG_E10value_typeET2_T3_PNSH_ISM_E10value_typeET4_T5_PSR_SS_PNS1_23onesweep_lookback_stateEbbT6_jjT7_P12ihipStream_tbENKUlT_T0_SG_SL_E_clIS7_S7_SB_PlEEDaSZ_S10_SG_SL_EUlSZ_E_NS1_11comp_targetILNS1_3genE9ELNS1_11target_archE1100ELNS1_3gpuE3ELNS1_3repE0EEENS1_47radix_sort_onesweep_sort_config_static_selectorELNS0_4arch9wavefront6targetE1EEEvSG_,"axG",@progbits,_ZN7rocprim17ROCPRIM_400000_NS6detail17trampoline_kernelINS0_14default_configENS1_35radix_sort_onesweep_config_selectorIdlEEZZNS1_29radix_sort_onesweep_iterationIS3_Lb0EPdS7_N6thrust23THRUST_200600_302600_NS10device_ptrIlEESB_jNS0_19identity_decomposerENS1_16block_id_wrapperIjLb1EEEEE10hipError_tT1_PNSt15iterator_traitsISG_E10value_typeET2_T3_PNSH_ISM_E10value_typeET4_T5_PSR_SS_PNS1_23onesweep_lookback_stateEbbT6_jjT7_P12ihipStream_tbENKUlT_T0_SG_SL_E_clIS7_S7_SB_PlEEDaSZ_S10_SG_SL_EUlSZ_E_NS1_11comp_targetILNS1_3genE9ELNS1_11target_archE1100ELNS1_3gpuE3ELNS1_3repE0EEENS1_47radix_sort_onesweep_sort_config_static_selectorELNS0_4arch9wavefront6targetE1EEEvSG_,comdat
.Lfunc_end1632:
	.size	_ZN7rocprim17ROCPRIM_400000_NS6detail17trampoline_kernelINS0_14default_configENS1_35radix_sort_onesweep_config_selectorIdlEEZZNS1_29radix_sort_onesweep_iterationIS3_Lb0EPdS7_N6thrust23THRUST_200600_302600_NS10device_ptrIlEESB_jNS0_19identity_decomposerENS1_16block_id_wrapperIjLb1EEEEE10hipError_tT1_PNSt15iterator_traitsISG_E10value_typeET2_T3_PNSH_ISM_E10value_typeET4_T5_PSR_SS_PNS1_23onesweep_lookback_stateEbbT6_jjT7_P12ihipStream_tbENKUlT_T0_SG_SL_E_clIS7_S7_SB_PlEEDaSZ_S10_SG_SL_EUlSZ_E_NS1_11comp_targetILNS1_3genE9ELNS1_11target_archE1100ELNS1_3gpuE3ELNS1_3repE0EEENS1_47radix_sort_onesweep_sort_config_static_selectorELNS0_4arch9wavefront6targetE1EEEvSG_, .Lfunc_end1632-_ZN7rocprim17ROCPRIM_400000_NS6detail17trampoline_kernelINS0_14default_configENS1_35radix_sort_onesweep_config_selectorIdlEEZZNS1_29radix_sort_onesweep_iterationIS3_Lb0EPdS7_N6thrust23THRUST_200600_302600_NS10device_ptrIlEESB_jNS0_19identity_decomposerENS1_16block_id_wrapperIjLb1EEEEE10hipError_tT1_PNSt15iterator_traitsISG_E10value_typeET2_T3_PNSH_ISM_E10value_typeET4_T5_PSR_SS_PNS1_23onesweep_lookback_stateEbbT6_jjT7_P12ihipStream_tbENKUlT_T0_SG_SL_E_clIS7_S7_SB_PlEEDaSZ_S10_SG_SL_EUlSZ_E_NS1_11comp_targetILNS1_3genE9ELNS1_11target_archE1100ELNS1_3gpuE3ELNS1_3repE0EEENS1_47radix_sort_onesweep_sort_config_static_selectorELNS0_4arch9wavefront6targetE1EEEvSG_
                                        ; -- End function
	.set _ZN7rocprim17ROCPRIM_400000_NS6detail17trampoline_kernelINS0_14default_configENS1_35radix_sort_onesweep_config_selectorIdlEEZZNS1_29radix_sort_onesweep_iterationIS3_Lb0EPdS7_N6thrust23THRUST_200600_302600_NS10device_ptrIlEESB_jNS0_19identity_decomposerENS1_16block_id_wrapperIjLb1EEEEE10hipError_tT1_PNSt15iterator_traitsISG_E10value_typeET2_T3_PNSH_ISM_E10value_typeET4_T5_PSR_SS_PNS1_23onesweep_lookback_stateEbbT6_jjT7_P12ihipStream_tbENKUlT_T0_SG_SL_E_clIS7_S7_SB_PlEEDaSZ_S10_SG_SL_EUlSZ_E_NS1_11comp_targetILNS1_3genE9ELNS1_11target_archE1100ELNS1_3gpuE3ELNS1_3repE0EEENS1_47radix_sort_onesweep_sort_config_static_selectorELNS0_4arch9wavefront6targetE1EEEvSG_.num_vgpr, 0
	.set _ZN7rocprim17ROCPRIM_400000_NS6detail17trampoline_kernelINS0_14default_configENS1_35radix_sort_onesweep_config_selectorIdlEEZZNS1_29radix_sort_onesweep_iterationIS3_Lb0EPdS7_N6thrust23THRUST_200600_302600_NS10device_ptrIlEESB_jNS0_19identity_decomposerENS1_16block_id_wrapperIjLb1EEEEE10hipError_tT1_PNSt15iterator_traitsISG_E10value_typeET2_T3_PNSH_ISM_E10value_typeET4_T5_PSR_SS_PNS1_23onesweep_lookback_stateEbbT6_jjT7_P12ihipStream_tbENKUlT_T0_SG_SL_E_clIS7_S7_SB_PlEEDaSZ_S10_SG_SL_EUlSZ_E_NS1_11comp_targetILNS1_3genE9ELNS1_11target_archE1100ELNS1_3gpuE3ELNS1_3repE0EEENS1_47radix_sort_onesweep_sort_config_static_selectorELNS0_4arch9wavefront6targetE1EEEvSG_.num_agpr, 0
	.set _ZN7rocprim17ROCPRIM_400000_NS6detail17trampoline_kernelINS0_14default_configENS1_35radix_sort_onesweep_config_selectorIdlEEZZNS1_29radix_sort_onesweep_iterationIS3_Lb0EPdS7_N6thrust23THRUST_200600_302600_NS10device_ptrIlEESB_jNS0_19identity_decomposerENS1_16block_id_wrapperIjLb1EEEEE10hipError_tT1_PNSt15iterator_traitsISG_E10value_typeET2_T3_PNSH_ISM_E10value_typeET4_T5_PSR_SS_PNS1_23onesweep_lookback_stateEbbT6_jjT7_P12ihipStream_tbENKUlT_T0_SG_SL_E_clIS7_S7_SB_PlEEDaSZ_S10_SG_SL_EUlSZ_E_NS1_11comp_targetILNS1_3genE9ELNS1_11target_archE1100ELNS1_3gpuE3ELNS1_3repE0EEENS1_47radix_sort_onesweep_sort_config_static_selectorELNS0_4arch9wavefront6targetE1EEEvSG_.numbered_sgpr, 0
	.set _ZN7rocprim17ROCPRIM_400000_NS6detail17trampoline_kernelINS0_14default_configENS1_35radix_sort_onesweep_config_selectorIdlEEZZNS1_29radix_sort_onesweep_iterationIS3_Lb0EPdS7_N6thrust23THRUST_200600_302600_NS10device_ptrIlEESB_jNS0_19identity_decomposerENS1_16block_id_wrapperIjLb1EEEEE10hipError_tT1_PNSt15iterator_traitsISG_E10value_typeET2_T3_PNSH_ISM_E10value_typeET4_T5_PSR_SS_PNS1_23onesweep_lookback_stateEbbT6_jjT7_P12ihipStream_tbENKUlT_T0_SG_SL_E_clIS7_S7_SB_PlEEDaSZ_S10_SG_SL_EUlSZ_E_NS1_11comp_targetILNS1_3genE9ELNS1_11target_archE1100ELNS1_3gpuE3ELNS1_3repE0EEENS1_47radix_sort_onesweep_sort_config_static_selectorELNS0_4arch9wavefront6targetE1EEEvSG_.num_named_barrier, 0
	.set _ZN7rocprim17ROCPRIM_400000_NS6detail17trampoline_kernelINS0_14default_configENS1_35radix_sort_onesweep_config_selectorIdlEEZZNS1_29radix_sort_onesweep_iterationIS3_Lb0EPdS7_N6thrust23THRUST_200600_302600_NS10device_ptrIlEESB_jNS0_19identity_decomposerENS1_16block_id_wrapperIjLb1EEEEE10hipError_tT1_PNSt15iterator_traitsISG_E10value_typeET2_T3_PNSH_ISM_E10value_typeET4_T5_PSR_SS_PNS1_23onesweep_lookback_stateEbbT6_jjT7_P12ihipStream_tbENKUlT_T0_SG_SL_E_clIS7_S7_SB_PlEEDaSZ_S10_SG_SL_EUlSZ_E_NS1_11comp_targetILNS1_3genE9ELNS1_11target_archE1100ELNS1_3gpuE3ELNS1_3repE0EEENS1_47radix_sort_onesweep_sort_config_static_selectorELNS0_4arch9wavefront6targetE1EEEvSG_.private_seg_size, 0
	.set _ZN7rocprim17ROCPRIM_400000_NS6detail17trampoline_kernelINS0_14default_configENS1_35radix_sort_onesweep_config_selectorIdlEEZZNS1_29radix_sort_onesweep_iterationIS3_Lb0EPdS7_N6thrust23THRUST_200600_302600_NS10device_ptrIlEESB_jNS0_19identity_decomposerENS1_16block_id_wrapperIjLb1EEEEE10hipError_tT1_PNSt15iterator_traitsISG_E10value_typeET2_T3_PNSH_ISM_E10value_typeET4_T5_PSR_SS_PNS1_23onesweep_lookback_stateEbbT6_jjT7_P12ihipStream_tbENKUlT_T0_SG_SL_E_clIS7_S7_SB_PlEEDaSZ_S10_SG_SL_EUlSZ_E_NS1_11comp_targetILNS1_3genE9ELNS1_11target_archE1100ELNS1_3gpuE3ELNS1_3repE0EEENS1_47radix_sort_onesweep_sort_config_static_selectorELNS0_4arch9wavefront6targetE1EEEvSG_.uses_vcc, 0
	.set _ZN7rocprim17ROCPRIM_400000_NS6detail17trampoline_kernelINS0_14default_configENS1_35radix_sort_onesweep_config_selectorIdlEEZZNS1_29radix_sort_onesweep_iterationIS3_Lb0EPdS7_N6thrust23THRUST_200600_302600_NS10device_ptrIlEESB_jNS0_19identity_decomposerENS1_16block_id_wrapperIjLb1EEEEE10hipError_tT1_PNSt15iterator_traitsISG_E10value_typeET2_T3_PNSH_ISM_E10value_typeET4_T5_PSR_SS_PNS1_23onesweep_lookback_stateEbbT6_jjT7_P12ihipStream_tbENKUlT_T0_SG_SL_E_clIS7_S7_SB_PlEEDaSZ_S10_SG_SL_EUlSZ_E_NS1_11comp_targetILNS1_3genE9ELNS1_11target_archE1100ELNS1_3gpuE3ELNS1_3repE0EEENS1_47radix_sort_onesweep_sort_config_static_selectorELNS0_4arch9wavefront6targetE1EEEvSG_.uses_flat_scratch, 0
	.set _ZN7rocprim17ROCPRIM_400000_NS6detail17trampoline_kernelINS0_14default_configENS1_35radix_sort_onesweep_config_selectorIdlEEZZNS1_29radix_sort_onesweep_iterationIS3_Lb0EPdS7_N6thrust23THRUST_200600_302600_NS10device_ptrIlEESB_jNS0_19identity_decomposerENS1_16block_id_wrapperIjLb1EEEEE10hipError_tT1_PNSt15iterator_traitsISG_E10value_typeET2_T3_PNSH_ISM_E10value_typeET4_T5_PSR_SS_PNS1_23onesweep_lookback_stateEbbT6_jjT7_P12ihipStream_tbENKUlT_T0_SG_SL_E_clIS7_S7_SB_PlEEDaSZ_S10_SG_SL_EUlSZ_E_NS1_11comp_targetILNS1_3genE9ELNS1_11target_archE1100ELNS1_3gpuE3ELNS1_3repE0EEENS1_47radix_sort_onesweep_sort_config_static_selectorELNS0_4arch9wavefront6targetE1EEEvSG_.has_dyn_sized_stack, 0
	.set _ZN7rocprim17ROCPRIM_400000_NS6detail17trampoline_kernelINS0_14default_configENS1_35radix_sort_onesweep_config_selectorIdlEEZZNS1_29radix_sort_onesweep_iterationIS3_Lb0EPdS7_N6thrust23THRUST_200600_302600_NS10device_ptrIlEESB_jNS0_19identity_decomposerENS1_16block_id_wrapperIjLb1EEEEE10hipError_tT1_PNSt15iterator_traitsISG_E10value_typeET2_T3_PNSH_ISM_E10value_typeET4_T5_PSR_SS_PNS1_23onesweep_lookback_stateEbbT6_jjT7_P12ihipStream_tbENKUlT_T0_SG_SL_E_clIS7_S7_SB_PlEEDaSZ_S10_SG_SL_EUlSZ_E_NS1_11comp_targetILNS1_3genE9ELNS1_11target_archE1100ELNS1_3gpuE3ELNS1_3repE0EEENS1_47radix_sort_onesweep_sort_config_static_selectorELNS0_4arch9wavefront6targetE1EEEvSG_.has_recursion, 0
	.set _ZN7rocprim17ROCPRIM_400000_NS6detail17trampoline_kernelINS0_14default_configENS1_35radix_sort_onesweep_config_selectorIdlEEZZNS1_29radix_sort_onesweep_iterationIS3_Lb0EPdS7_N6thrust23THRUST_200600_302600_NS10device_ptrIlEESB_jNS0_19identity_decomposerENS1_16block_id_wrapperIjLb1EEEEE10hipError_tT1_PNSt15iterator_traitsISG_E10value_typeET2_T3_PNSH_ISM_E10value_typeET4_T5_PSR_SS_PNS1_23onesweep_lookback_stateEbbT6_jjT7_P12ihipStream_tbENKUlT_T0_SG_SL_E_clIS7_S7_SB_PlEEDaSZ_S10_SG_SL_EUlSZ_E_NS1_11comp_targetILNS1_3genE9ELNS1_11target_archE1100ELNS1_3gpuE3ELNS1_3repE0EEENS1_47radix_sort_onesweep_sort_config_static_selectorELNS0_4arch9wavefront6targetE1EEEvSG_.has_indirect_call, 0
	.section	.AMDGPU.csdata,"",@progbits
; Kernel info:
; codeLenInByte = 0
; TotalNumSgprs: 4
; NumVgprs: 0
; ScratchSize: 0
; MemoryBound: 0
; FloatMode: 240
; IeeeMode: 1
; LDSByteSize: 0 bytes/workgroup (compile time only)
; SGPRBlocks: 0
; VGPRBlocks: 0
; NumSGPRsForWavesPerEU: 4
; NumVGPRsForWavesPerEU: 1
; Occupancy: 10
; WaveLimiterHint : 0
; COMPUTE_PGM_RSRC2:SCRATCH_EN: 0
; COMPUTE_PGM_RSRC2:USER_SGPR: 6
; COMPUTE_PGM_RSRC2:TRAP_HANDLER: 0
; COMPUTE_PGM_RSRC2:TGID_X_EN: 1
; COMPUTE_PGM_RSRC2:TGID_Y_EN: 0
; COMPUTE_PGM_RSRC2:TGID_Z_EN: 0
; COMPUTE_PGM_RSRC2:TIDIG_COMP_CNT: 0
	.section	.text._ZN7rocprim17ROCPRIM_400000_NS6detail17trampoline_kernelINS0_14default_configENS1_35radix_sort_onesweep_config_selectorIdlEEZZNS1_29radix_sort_onesweep_iterationIS3_Lb0EPdS7_N6thrust23THRUST_200600_302600_NS10device_ptrIlEESB_jNS0_19identity_decomposerENS1_16block_id_wrapperIjLb1EEEEE10hipError_tT1_PNSt15iterator_traitsISG_E10value_typeET2_T3_PNSH_ISM_E10value_typeET4_T5_PSR_SS_PNS1_23onesweep_lookback_stateEbbT6_jjT7_P12ihipStream_tbENKUlT_T0_SG_SL_E_clIS7_S7_SB_PlEEDaSZ_S10_SG_SL_EUlSZ_E_NS1_11comp_targetILNS1_3genE8ELNS1_11target_archE1030ELNS1_3gpuE2ELNS1_3repE0EEENS1_47radix_sort_onesweep_sort_config_static_selectorELNS0_4arch9wavefront6targetE1EEEvSG_,"axG",@progbits,_ZN7rocprim17ROCPRIM_400000_NS6detail17trampoline_kernelINS0_14default_configENS1_35radix_sort_onesweep_config_selectorIdlEEZZNS1_29radix_sort_onesweep_iterationIS3_Lb0EPdS7_N6thrust23THRUST_200600_302600_NS10device_ptrIlEESB_jNS0_19identity_decomposerENS1_16block_id_wrapperIjLb1EEEEE10hipError_tT1_PNSt15iterator_traitsISG_E10value_typeET2_T3_PNSH_ISM_E10value_typeET4_T5_PSR_SS_PNS1_23onesweep_lookback_stateEbbT6_jjT7_P12ihipStream_tbENKUlT_T0_SG_SL_E_clIS7_S7_SB_PlEEDaSZ_S10_SG_SL_EUlSZ_E_NS1_11comp_targetILNS1_3genE8ELNS1_11target_archE1030ELNS1_3gpuE2ELNS1_3repE0EEENS1_47radix_sort_onesweep_sort_config_static_selectorELNS0_4arch9wavefront6targetE1EEEvSG_,comdat
	.protected	_ZN7rocprim17ROCPRIM_400000_NS6detail17trampoline_kernelINS0_14default_configENS1_35radix_sort_onesweep_config_selectorIdlEEZZNS1_29radix_sort_onesweep_iterationIS3_Lb0EPdS7_N6thrust23THRUST_200600_302600_NS10device_ptrIlEESB_jNS0_19identity_decomposerENS1_16block_id_wrapperIjLb1EEEEE10hipError_tT1_PNSt15iterator_traitsISG_E10value_typeET2_T3_PNSH_ISM_E10value_typeET4_T5_PSR_SS_PNS1_23onesweep_lookback_stateEbbT6_jjT7_P12ihipStream_tbENKUlT_T0_SG_SL_E_clIS7_S7_SB_PlEEDaSZ_S10_SG_SL_EUlSZ_E_NS1_11comp_targetILNS1_3genE8ELNS1_11target_archE1030ELNS1_3gpuE2ELNS1_3repE0EEENS1_47radix_sort_onesweep_sort_config_static_selectorELNS0_4arch9wavefront6targetE1EEEvSG_ ; -- Begin function _ZN7rocprim17ROCPRIM_400000_NS6detail17trampoline_kernelINS0_14default_configENS1_35radix_sort_onesweep_config_selectorIdlEEZZNS1_29radix_sort_onesweep_iterationIS3_Lb0EPdS7_N6thrust23THRUST_200600_302600_NS10device_ptrIlEESB_jNS0_19identity_decomposerENS1_16block_id_wrapperIjLb1EEEEE10hipError_tT1_PNSt15iterator_traitsISG_E10value_typeET2_T3_PNSH_ISM_E10value_typeET4_T5_PSR_SS_PNS1_23onesweep_lookback_stateEbbT6_jjT7_P12ihipStream_tbENKUlT_T0_SG_SL_E_clIS7_S7_SB_PlEEDaSZ_S10_SG_SL_EUlSZ_E_NS1_11comp_targetILNS1_3genE8ELNS1_11target_archE1030ELNS1_3gpuE2ELNS1_3repE0EEENS1_47radix_sort_onesweep_sort_config_static_selectorELNS0_4arch9wavefront6targetE1EEEvSG_
	.globl	_ZN7rocprim17ROCPRIM_400000_NS6detail17trampoline_kernelINS0_14default_configENS1_35radix_sort_onesweep_config_selectorIdlEEZZNS1_29radix_sort_onesweep_iterationIS3_Lb0EPdS7_N6thrust23THRUST_200600_302600_NS10device_ptrIlEESB_jNS0_19identity_decomposerENS1_16block_id_wrapperIjLb1EEEEE10hipError_tT1_PNSt15iterator_traitsISG_E10value_typeET2_T3_PNSH_ISM_E10value_typeET4_T5_PSR_SS_PNS1_23onesweep_lookback_stateEbbT6_jjT7_P12ihipStream_tbENKUlT_T0_SG_SL_E_clIS7_S7_SB_PlEEDaSZ_S10_SG_SL_EUlSZ_E_NS1_11comp_targetILNS1_3genE8ELNS1_11target_archE1030ELNS1_3gpuE2ELNS1_3repE0EEENS1_47radix_sort_onesweep_sort_config_static_selectorELNS0_4arch9wavefront6targetE1EEEvSG_
	.p2align	8
	.type	_ZN7rocprim17ROCPRIM_400000_NS6detail17trampoline_kernelINS0_14default_configENS1_35radix_sort_onesweep_config_selectorIdlEEZZNS1_29radix_sort_onesweep_iterationIS3_Lb0EPdS7_N6thrust23THRUST_200600_302600_NS10device_ptrIlEESB_jNS0_19identity_decomposerENS1_16block_id_wrapperIjLb1EEEEE10hipError_tT1_PNSt15iterator_traitsISG_E10value_typeET2_T3_PNSH_ISM_E10value_typeET4_T5_PSR_SS_PNS1_23onesweep_lookback_stateEbbT6_jjT7_P12ihipStream_tbENKUlT_T0_SG_SL_E_clIS7_S7_SB_PlEEDaSZ_S10_SG_SL_EUlSZ_E_NS1_11comp_targetILNS1_3genE8ELNS1_11target_archE1030ELNS1_3gpuE2ELNS1_3repE0EEENS1_47radix_sort_onesweep_sort_config_static_selectorELNS0_4arch9wavefront6targetE1EEEvSG_,@function
_ZN7rocprim17ROCPRIM_400000_NS6detail17trampoline_kernelINS0_14default_configENS1_35radix_sort_onesweep_config_selectorIdlEEZZNS1_29radix_sort_onesweep_iterationIS3_Lb0EPdS7_N6thrust23THRUST_200600_302600_NS10device_ptrIlEESB_jNS0_19identity_decomposerENS1_16block_id_wrapperIjLb1EEEEE10hipError_tT1_PNSt15iterator_traitsISG_E10value_typeET2_T3_PNSH_ISM_E10value_typeET4_T5_PSR_SS_PNS1_23onesweep_lookback_stateEbbT6_jjT7_P12ihipStream_tbENKUlT_T0_SG_SL_E_clIS7_S7_SB_PlEEDaSZ_S10_SG_SL_EUlSZ_E_NS1_11comp_targetILNS1_3genE8ELNS1_11target_archE1030ELNS1_3gpuE2ELNS1_3repE0EEENS1_47radix_sort_onesweep_sort_config_static_selectorELNS0_4arch9wavefront6targetE1EEEvSG_: ; @_ZN7rocprim17ROCPRIM_400000_NS6detail17trampoline_kernelINS0_14default_configENS1_35radix_sort_onesweep_config_selectorIdlEEZZNS1_29radix_sort_onesweep_iterationIS3_Lb0EPdS7_N6thrust23THRUST_200600_302600_NS10device_ptrIlEESB_jNS0_19identity_decomposerENS1_16block_id_wrapperIjLb1EEEEE10hipError_tT1_PNSt15iterator_traitsISG_E10value_typeET2_T3_PNSH_ISM_E10value_typeET4_T5_PSR_SS_PNS1_23onesweep_lookback_stateEbbT6_jjT7_P12ihipStream_tbENKUlT_T0_SG_SL_E_clIS7_S7_SB_PlEEDaSZ_S10_SG_SL_EUlSZ_E_NS1_11comp_targetILNS1_3genE8ELNS1_11target_archE1030ELNS1_3gpuE2ELNS1_3repE0EEENS1_47radix_sort_onesweep_sort_config_static_selectorELNS0_4arch9wavefront6targetE1EEEvSG_
; %bb.0:
	.section	.rodata,"a",@progbits
	.p2align	6, 0x0
	.amdhsa_kernel _ZN7rocprim17ROCPRIM_400000_NS6detail17trampoline_kernelINS0_14default_configENS1_35radix_sort_onesweep_config_selectorIdlEEZZNS1_29radix_sort_onesweep_iterationIS3_Lb0EPdS7_N6thrust23THRUST_200600_302600_NS10device_ptrIlEESB_jNS0_19identity_decomposerENS1_16block_id_wrapperIjLb1EEEEE10hipError_tT1_PNSt15iterator_traitsISG_E10value_typeET2_T3_PNSH_ISM_E10value_typeET4_T5_PSR_SS_PNS1_23onesweep_lookback_stateEbbT6_jjT7_P12ihipStream_tbENKUlT_T0_SG_SL_E_clIS7_S7_SB_PlEEDaSZ_S10_SG_SL_EUlSZ_E_NS1_11comp_targetILNS1_3genE8ELNS1_11target_archE1030ELNS1_3gpuE2ELNS1_3repE0EEENS1_47radix_sort_onesweep_sort_config_static_selectorELNS0_4arch9wavefront6targetE1EEEvSG_
		.amdhsa_group_segment_fixed_size 0
		.amdhsa_private_segment_fixed_size 0
		.amdhsa_kernarg_size 88
		.amdhsa_user_sgpr_count 6
		.amdhsa_user_sgpr_private_segment_buffer 1
		.amdhsa_user_sgpr_dispatch_ptr 0
		.amdhsa_user_sgpr_queue_ptr 0
		.amdhsa_user_sgpr_kernarg_segment_ptr 1
		.amdhsa_user_sgpr_dispatch_id 0
		.amdhsa_user_sgpr_flat_scratch_init 0
		.amdhsa_user_sgpr_private_segment_size 0
		.amdhsa_uses_dynamic_stack 0
		.amdhsa_system_sgpr_private_segment_wavefront_offset 0
		.amdhsa_system_sgpr_workgroup_id_x 1
		.amdhsa_system_sgpr_workgroup_id_y 0
		.amdhsa_system_sgpr_workgroup_id_z 0
		.amdhsa_system_sgpr_workgroup_info 0
		.amdhsa_system_vgpr_workitem_id 0
		.amdhsa_next_free_vgpr 1
		.amdhsa_next_free_sgpr 0
		.amdhsa_reserve_vcc 0
		.amdhsa_reserve_flat_scratch 0
		.amdhsa_float_round_mode_32 0
		.amdhsa_float_round_mode_16_64 0
		.amdhsa_float_denorm_mode_32 3
		.amdhsa_float_denorm_mode_16_64 3
		.amdhsa_dx10_clamp 1
		.amdhsa_ieee_mode 1
		.amdhsa_fp16_overflow 0
		.amdhsa_exception_fp_ieee_invalid_op 0
		.amdhsa_exception_fp_denorm_src 0
		.amdhsa_exception_fp_ieee_div_zero 0
		.amdhsa_exception_fp_ieee_overflow 0
		.amdhsa_exception_fp_ieee_underflow 0
		.amdhsa_exception_fp_ieee_inexact 0
		.amdhsa_exception_int_div_zero 0
	.end_amdhsa_kernel
	.section	.text._ZN7rocprim17ROCPRIM_400000_NS6detail17trampoline_kernelINS0_14default_configENS1_35radix_sort_onesweep_config_selectorIdlEEZZNS1_29radix_sort_onesweep_iterationIS3_Lb0EPdS7_N6thrust23THRUST_200600_302600_NS10device_ptrIlEESB_jNS0_19identity_decomposerENS1_16block_id_wrapperIjLb1EEEEE10hipError_tT1_PNSt15iterator_traitsISG_E10value_typeET2_T3_PNSH_ISM_E10value_typeET4_T5_PSR_SS_PNS1_23onesweep_lookback_stateEbbT6_jjT7_P12ihipStream_tbENKUlT_T0_SG_SL_E_clIS7_S7_SB_PlEEDaSZ_S10_SG_SL_EUlSZ_E_NS1_11comp_targetILNS1_3genE8ELNS1_11target_archE1030ELNS1_3gpuE2ELNS1_3repE0EEENS1_47radix_sort_onesweep_sort_config_static_selectorELNS0_4arch9wavefront6targetE1EEEvSG_,"axG",@progbits,_ZN7rocprim17ROCPRIM_400000_NS6detail17trampoline_kernelINS0_14default_configENS1_35radix_sort_onesweep_config_selectorIdlEEZZNS1_29radix_sort_onesweep_iterationIS3_Lb0EPdS7_N6thrust23THRUST_200600_302600_NS10device_ptrIlEESB_jNS0_19identity_decomposerENS1_16block_id_wrapperIjLb1EEEEE10hipError_tT1_PNSt15iterator_traitsISG_E10value_typeET2_T3_PNSH_ISM_E10value_typeET4_T5_PSR_SS_PNS1_23onesweep_lookback_stateEbbT6_jjT7_P12ihipStream_tbENKUlT_T0_SG_SL_E_clIS7_S7_SB_PlEEDaSZ_S10_SG_SL_EUlSZ_E_NS1_11comp_targetILNS1_3genE8ELNS1_11target_archE1030ELNS1_3gpuE2ELNS1_3repE0EEENS1_47radix_sort_onesweep_sort_config_static_selectorELNS0_4arch9wavefront6targetE1EEEvSG_,comdat
.Lfunc_end1633:
	.size	_ZN7rocprim17ROCPRIM_400000_NS6detail17trampoline_kernelINS0_14default_configENS1_35radix_sort_onesweep_config_selectorIdlEEZZNS1_29radix_sort_onesweep_iterationIS3_Lb0EPdS7_N6thrust23THRUST_200600_302600_NS10device_ptrIlEESB_jNS0_19identity_decomposerENS1_16block_id_wrapperIjLb1EEEEE10hipError_tT1_PNSt15iterator_traitsISG_E10value_typeET2_T3_PNSH_ISM_E10value_typeET4_T5_PSR_SS_PNS1_23onesweep_lookback_stateEbbT6_jjT7_P12ihipStream_tbENKUlT_T0_SG_SL_E_clIS7_S7_SB_PlEEDaSZ_S10_SG_SL_EUlSZ_E_NS1_11comp_targetILNS1_3genE8ELNS1_11target_archE1030ELNS1_3gpuE2ELNS1_3repE0EEENS1_47radix_sort_onesweep_sort_config_static_selectorELNS0_4arch9wavefront6targetE1EEEvSG_, .Lfunc_end1633-_ZN7rocprim17ROCPRIM_400000_NS6detail17trampoline_kernelINS0_14default_configENS1_35radix_sort_onesweep_config_selectorIdlEEZZNS1_29radix_sort_onesweep_iterationIS3_Lb0EPdS7_N6thrust23THRUST_200600_302600_NS10device_ptrIlEESB_jNS0_19identity_decomposerENS1_16block_id_wrapperIjLb1EEEEE10hipError_tT1_PNSt15iterator_traitsISG_E10value_typeET2_T3_PNSH_ISM_E10value_typeET4_T5_PSR_SS_PNS1_23onesweep_lookback_stateEbbT6_jjT7_P12ihipStream_tbENKUlT_T0_SG_SL_E_clIS7_S7_SB_PlEEDaSZ_S10_SG_SL_EUlSZ_E_NS1_11comp_targetILNS1_3genE8ELNS1_11target_archE1030ELNS1_3gpuE2ELNS1_3repE0EEENS1_47radix_sort_onesweep_sort_config_static_selectorELNS0_4arch9wavefront6targetE1EEEvSG_
                                        ; -- End function
	.set _ZN7rocprim17ROCPRIM_400000_NS6detail17trampoline_kernelINS0_14default_configENS1_35radix_sort_onesweep_config_selectorIdlEEZZNS1_29radix_sort_onesweep_iterationIS3_Lb0EPdS7_N6thrust23THRUST_200600_302600_NS10device_ptrIlEESB_jNS0_19identity_decomposerENS1_16block_id_wrapperIjLb1EEEEE10hipError_tT1_PNSt15iterator_traitsISG_E10value_typeET2_T3_PNSH_ISM_E10value_typeET4_T5_PSR_SS_PNS1_23onesweep_lookback_stateEbbT6_jjT7_P12ihipStream_tbENKUlT_T0_SG_SL_E_clIS7_S7_SB_PlEEDaSZ_S10_SG_SL_EUlSZ_E_NS1_11comp_targetILNS1_3genE8ELNS1_11target_archE1030ELNS1_3gpuE2ELNS1_3repE0EEENS1_47radix_sort_onesweep_sort_config_static_selectorELNS0_4arch9wavefront6targetE1EEEvSG_.num_vgpr, 0
	.set _ZN7rocprim17ROCPRIM_400000_NS6detail17trampoline_kernelINS0_14default_configENS1_35radix_sort_onesweep_config_selectorIdlEEZZNS1_29radix_sort_onesweep_iterationIS3_Lb0EPdS7_N6thrust23THRUST_200600_302600_NS10device_ptrIlEESB_jNS0_19identity_decomposerENS1_16block_id_wrapperIjLb1EEEEE10hipError_tT1_PNSt15iterator_traitsISG_E10value_typeET2_T3_PNSH_ISM_E10value_typeET4_T5_PSR_SS_PNS1_23onesweep_lookback_stateEbbT6_jjT7_P12ihipStream_tbENKUlT_T0_SG_SL_E_clIS7_S7_SB_PlEEDaSZ_S10_SG_SL_EUlSZ_E_NS1_11comp_targetILNS1_3genE8ELNS1_11target_archE1030ELNS1_3gpuE2ELNS1_3repE0EEENS1_47radix_sort_onesweep_sort_config_static_selectorELNS0_4arch9wavefront6targetE1EEEvSG_.num_agpr, 0
	.set _ZN7rocprim17ROCPRIM_400000_NS6detail17trampoline_kernelINS0_14default_configENS1_35radix_sort_onesweep_config_selectorIdlEEZZNS1_29radix_sort_onesweep_iterationIS3_Lb0EPdS7_N6thrust23THRUST_200600_302600_NS10device_ptrIlEESB_jNS0_19identity_decomposerENS1_16block_id_wrapperIjLb1EEEEE10hipError_tT1_PNSt15iterator_traitsISG_E10value_typeET2_T3_PNSH_ISM_E10value_typeET4_T5_PSR_SS_PNS1_23onesweep_lookback_stateEbbT6_jjT7_P12ihipStream_tbENKUlT_T0_SG_SL_E_clIS7_S7_SB_PlEEDaSZ_S10_SG_SL_EUlSZ_E_NS1_11comp_targetILNS1_3genE8ELNS1_11target_archE1030ELNS1_3gpuE2ELNS1_3repE0EEENS1_47radix_sort_onesweep_sort_config_static_selectorELNS0_4arch9wavefront6targetE1EEEvSG_.numbered_sgpr, 0
	.set _ZN7rocprim17ROCPRIM_400000_NS6detail17trampoline_kernelINS0_14default_configENS1_35radix_sort_onesweep_config_selectorIdlEEZZNS1_29radix_sort_onesweep_iterationIS3_Lb0EPdS7_N6thrust23THRUST_200600_302600_NS10device_ptrIlEESB_jNS0_19identity_decomposerENS1_16block_id_wrapperIjLb1EEEEE10hipError_tT1_PNSt15iterator_traitsISG_E10value_typeET2_T3_PNSH_ISM_E10value_typeET4_T5_PSR_SS_PNS1_23onesweep_lookback_stateEbbT6_jjT7_P12ihipStream_tbENKUlT_T0_SG_SL_E_clIS7_S7_SB_PlEEDaSZ_S10_SG_SL_EUlSZ_E_NS1_11comp_targetILNS1_3genE8ELNS1_11target_archE1030ELNS1_3gpuE2ELNS1_3repE0EEENS1_47radix_sort_onesweep_sort_config_static_selectorELNS0_4arch9wavefront6targetE1EEEvSG_.num_named_barrier, 0
	.set _ZN7rocprim17ROCPRIM_400000_NS6detail17trampoline_kernelINS0_14default_configENS1_35radix_sort_onesweep_config_selectorIdlEEZZNS1_29radix_sort_onesweep_iterationIS3_Lb0EPdS7_N6thrust23THRUST_200600_302600_NS10device_ptrIlEESB_jNS0_19identity_decomposerENS1_16block_id_wrapperIjLb1EEEEE10hipError_tT1_PNSt15iterator_traitsISG_E10value_typeET2_T3_PNSH_ISM_E10value_typeET4_T5_PSR_SS_PNS1_23onesweep_lookback_stateEbbT6_jjT7_P12ihipStream_tbENKUlT_T0_SG_SL_E_clIS7_S7_SB_PlEEDaSZ_S10_SG_SL_EUlSZ_E_NS1_11comp_targetILNS1_3genE8ELNS1_11target_archE1030ELNS1_3gpuE2ELNS1_3repE0EEENS1_47radix_sort_onesweep_sort_config_static_selectorELNS0_4arch9wavefront6targetE1EEEvSG_.private_seg_size, 0
	.set _ZN7rocprim17ROCPRIM_400000_NS6detail17trampoline_kernelINS0_14default_configENS1_35radix_sort_onesweep_config_selectorIdlEEZZNS1_29radix_sort_onesweep_iterationIS3_Lb0EPdS7_N6thrust23THRUST_200600_302600_NS10device_ptrIlEESB_jNS0_19identity_decomposerENS1_16block_id_wrapperIjLb1EEEEE10hipError_tT1_PNSt15iterator_traitsISG_E10value_typeET2_T3_PNSH_ISM_E10value_typeET4_T5_PSR_SS_PNS1_23onesweep_lookback_stateEbbT6_jjT7_P12ihipStream_tbENKUlT_T0_SG_SL_E_clIS7_S7_SB_PlEEDaSZ_S10_SG_SL_EUlSZ_E_NS1_11comp_targetILNS1_3genE8ELNS1_11target_archE1030ELNS1_3gpuE2ELNS1_3repE0EEENS1_47radix_sort_onesweep_sort_config_static_selectorELNS0_4arch9wavefront6targetE1EEEvSG_.uses_vcc, 0
	.set _ZN7rocprim17ROCPRIM_400000_NS6detail17trampoline_kernelINS0_14default_configENS1_35radix_sort_onesweep_config_selectorIdlEEZZNS1_29radix_sort_onesweep_iterationIS3_Lb0EPdS7_N6thrust23THRUST_200600_302600_NS10device_ptrIlEESB_jNS0_19identity_decomposerENS1_16block_id_wrapperIjLb1EEEEE10hipError_tT1_PNSt15iterator_traitsISG_E10value_typeET2_T3_PNSH_ISM_E10value_typeET4_T5_PSR_SS_PNS1_23onesweep_lookback_stateEbbT6_jjT7_P12ihipStream_tbENKUlT_T0_SG_SL_E_clIS7_S7_SB_PlEEDaSZ_S10_SG_SL_EUlSZ_E_NS1_11comp_targetILNS1_3genE8ELNS1_11target_archE1030ELNS1_3gpuE2ELNS1_3repE0EEENS1_47radix_sort_onesweep_sort_config_static_selectorELNS0_4arch9wavefront6targetE1EEEvSG_.uses_flat_scratch, 0
	.set _ZN7rocprim17ROCPRIM_400000_NS6detail17trampoline_kernelINS0_14default_configENS1_35radix_sort_onesweep_config_selectorIdlEEZZNS1_29radix_sort_onesweep_iterationIS3_Lb0EPdS7_N6thrust23THRUST_200600_302600_NS10device_ptrIlEESB_jNS0_19identity_decomposerENS1_16block_id_wrapperIjLb1EEEEE10hipError_tT1_PNSt15iterator_traitsISG_E10value_typeET2_T3_PNSH_ISM_E10value_typeET4_T5_PSR_SS_PNS1_23onesweep_lookback_stateEbbT6_jjT7_P12ihipStream_tbENKUlT_T0_SG_SL_E_clIS7_S7_SB_PlEEDaSZ_S10_SG_SL_EUlSZ_E_NS1_11comp_targetILNS1_3genE8ELNS1_11target_archE1030ELNS1_3gpuE2ELNS1_3repE0EEENS1_47radix_sort_onesweep_sort_config_static_selectorELNS0_4arch9wavefront6targetE1EEEvSG_.has_dyn_sized_stack, 0
	.set _ZN7rocprim17ROCPRIM_400000_NS6detail17trampoline_kernelINS0_14default_configENS1_35radix_sort_onesweep_config_selectorIdlEEZZNS1_29radix_sort_onesweep_iterationIS3_Lb0EPdS7_N6thrust23THRUST_200600_302600_NS10device_ptrIlEESB_jNS0_19identity_decomposerENS1_16block_id_wrapperIjLb1EEEEE10hipError_tT1_PNSt15iterator_traitsISG_E10value_typeET2_T3_PNSH_ISM_E10value_typeET4_T5_PSR_SS_PNS1_23onesweep_lookback_stateEbbT6_jjT7_P12ihipStream_tbENKUlT_T0_SG_SL_E_clIS7_S7_SB_PlEEDaSZ_S10_SG_SL_EUlSZ_E_NS1_11comp_targetILNS1_3genE8ELNS1_11target_archE1030ELNS1_3gpuE2ELNS1_3repE0EEENS1_47radix_sort_onesweep_sort_config_static_selectorELNS0_4arch9wavefront6targetE1EEEvSG_.has_recursion, 0
	.set _ZN7rocprim17ROCPRIM_400000_NS6detail17trampoline_kernelINS0_14default_configENS1_35radix_sort_onesweep_config_selectorIdlEEZZNS1_29radix_sort_onesweep_iterationIS3_Lb0EPdS7_N6thrust23THRUST_200600_302600_NS10device_ptrIlEESB_jNS0_19identity_decomposerENS1_16block_id_wrapperIjLb1EEEEE10hipError_tT1_PNSt15iterator_traitsISG_E10value_typeET2_T3_PNSH_ISM_E10value_typeET4_T5_PSR_SS_PNS1_23onesweep_lookback_stateEbbT6_jjT7_P12ihipStream_tbENKUlT_T0_SG_SL_E_clIS7_S7_SB_PlEEDaSZ_S10_SG_SL_EUlSZ_E_NS1_11comp_targetILNS1_3genE8ELNS1_11target_archE1030ELNS1_3gpuE2ELNS1_3repE0EEENS1_47radix_sort_onesweep_sort_config_static_selectorELNS0_4arch9wavefront6targetE1EEEvSG_.has_indirect_call, 0
	.section	.AMDGPU.csdata,"",@progbits
; Kernel info:
; codeLenInByte = 0
; TotalNumSgprs: 4
; NumVgprs: 0
; ScratchSize: 0
; MemoryBound: 0
; FloatMode: 240
; IeeeMode: 1
; LDSByteSize: 0 bytes/workgroup (compile time only)
; SGPRBlocks: 0
; VGPRBlocks: 0
; NumSGPRsForWavesPerEU: 4
; NumVGPRsForWavesPerEU: 1
; Occupancy: 10
; WaveLimiterHint : 0
; COMPUTE_PGM_RSRC2:SCRATCH_EN: 0
; COMPUTE_PGM_RSRC2:USER_SGPR: 6
; COMPUTE_PGM_RSRC2:TRAP_HANDLER: 0
; COMPUTE_PGM_RSRC2:TGID_X_EN: 1
; COMPUTE_PGM_RSRC2:TGID_Y_EN: 0
; COMPUTE_PGM_RSRC2:TGID_Z_EN: 0
; COMPUTE_PGM_RSRC2:TIDIG_COMP_CNT: 0
	.section	.text._ZN7rocprim17ROCPRIM_400000_NS6detail17trampoline_kernelINS0_14default_configENS1_35radix_sort_onesweep_config_selectorIdlEEZZNS1_29radix_sort_onesweep_iterationIS3_Lb0EPdS7_N6thrust23THRUST_200600_302600_NS10device_ptrIlEESB_jNS0_19identity_decomposerENS1_16block_id_wrapperIjLb1EEEEE10hipError_tT1_PNSt15iterator_traitsISG_E10value_typeET2_T3_PNSH_ISM_E10value_typeET4_T5_PSR_SS_PNS1_23onesweep_lookback_stateEbbT6_jjT7_P12ihipStream_tbENKUlT_T0_SG_SL_E_clIS7_S7_PlSB_EEDaSZ_S10_SG_SL_EUlSZ_E_NS1_11comp_targetILNS1_3genE0ELNS1_11target_archE4294967295ELNS1_3gpuE0ELNS1_3repE0EEENS1_47radix_sort_onesweep_sort_config_static_selectorELNS0_4arch9wavefront6targetE1EEEvSG_,"axG",@progbits,_ZN7rocprim17ROCPRIM_400000_NS6detail17trampoline_kernelINS0_14default_configENS1_35radix_sort_onesweep_config_selectorIdlEEZZNS1_29radix_sort_onesweep_iterationIS3_Lb0EPdS7_N6thrust23THRUST_200600_302600_NS10device_ptrIlEESB_jNS0_19identity_decomposerENS1_16block_id_wrapperIjLb1EEEEE10hipError_tT1_PNSt15iterator_traitsISG_E10value_typeET2_T3_PNSH_ISM_E10value_typeET4_T5_PSR_SS_PNS1_23onesweep_lookback_stateEbbT6_jjT7_P12ihipStream_tbENKUlT_T0_SG_SL_E_clIS7_S7_PlSB_EEDaSZ_S10_SG_SL_EUlSZ_E_NS1_11comp_targetILNS1_3genE0ELNS1_11target_archE4294967295ELNS1_3gpuE0ELNS1_3repE0EEENS1_47radix_sort_onesweep_sort_config_static_selectorELNS0_4arch9wavefront6targetE1EEEvSG_,comdat
	.protected	_ZN7rocprim17ROCPRIM_400000_NS6detail17trampoline_kernelINS0_14default_configENS1_35radix_sort_onesweep_config_selectorIdlEEZZNS1_29radix_sort_onesweep_iterationIS3_Lb0EPdS7_N6thrust23THRUST_200600_302600_NS10device_ptrIlEESB_jNS0_19identity_decomposerENS1_16block_id_wrapperIjLb1EEEEE10hipError_tT1_PNSt15iterator_traitsISG_E10value_typeET2_T3_PNSH_ISM_E10value_typeET4_T5_PSR_SS_PNS1_23onesweep_lookback_stateEbbT6_jjT7_P12ihipStream_tbENKUlT_T0_SG_SL_E_clIS7_S7_PlSB_EEDaSZ_S10_SG_SL_EUlSZ_E_NS1_11comp_targetILNS1_3genE0ELNS1_11target_archE4294967295ELNS1_3gpuE0ELNS1_3repE0EEENS1_47radix_sort_onesweep_sort_config_static_selectorELNS0_4arch9wavefront6targetE1EEEvSG_ ; -- Begin function _ZN7rocprim17ROCPRIM_400000_NS6detail17trampoline_kernelINS0_14default_configENS1_35radix_sort_onesweep_config_selectorIdlEEZZNS1_29radix_sort_onesweep_iterationIS3_Lb0EPdS7_N6thrust23THRUST_200600_302600_NS10device_ptrIlEESB_jNS0_19identity_decomposerENS1_16block_id_wrapperIjLb1EEEEE10hipError_tT1_PNSt15iterator_traitsISG_E10value_typeET2_T3_PNSH_ISM_E10value_typeET4_T5_PSR_SS_PNS1_23onesweep_lookback_stateEbbT6_jjT7_P12ihipStream_tbENKUlT_T0_SG_SL_E_clIS7_S7_PlSB_EEDaSZ_S10_SG_SL_EUlSZ_E_NS1_11comp_targetILNS1_3genE0ELNS1_11target_archE4294967295ELNS1_3gpuE0ELNS1_3repE0EEENS1_47radix_sort_onesweep_sort_config_static_selectorELNS0_4arch9wavefront6targetE1EEEvSG_
	.globl	_ZN7rocprim17ROCPRIM_400000_NS6detail17trampoline_kernelINS0_14default_configENS1_35radix_sort_onesweep_config_selectorIdlEEZZNS1_29radix_sort_onesweep_iterationIS3_Lb0EPdS7_N6thrust23THRUST_200600_302600_NS10device_ptrIlEESB_jNS0_19identity_decomposerENS1_16block_id_wrapperIjLb1EEEEE10hipError_tT1_PNSt15iterator_traitsISG_E10value_typeET2_T3_PNSH_ISM_E10value_typeET4_T5_PSR_SS_PNS1_23onesweep_lookback_stateEbbT6_jjT7_P12ihipStream_tbENKUlT_T0_SG_SL_E_clIS7_S7_PlSB_EEDaSZ_S10_SG_SL_EUlSZ_E_NS1_11comp_targetILNS1_3genE0ELNS1_11target_archE4294967295ELNS1_3gpuE0ELNS1_3repE0EEENS1_47radix_sort_onesweep_sort_config_static_selectorELNS0_4arch9wavefront6targetE1EEEvSG_
	.p2align	8
	.type	_ZN7rocprim17ROCPRIM_400000_NS6detail17trampoline_kernelINS0_14default_configENS1_35radix_sort_onesweep_config_selectorIdlEEZZNS1_29radix_sort_onesweep_iterationIS3_Lb0EPdS7_N6thrust23THRUST_200600_302600_NS10device_ptrIlEESB_jNS0_19identity_decomposerENS1_16block_id_wrapperIjLb1EEEEE10hipError_tT1_PNSt15iterator_traitsISG_E10value_typeET2_T3_PNSH_ISM_E10value_typeET4_T5_PSR_SS_PNS1_23onesweep_lookback_stateEbbT6_jjT7_P12ihipStream_tbENKUlT_T0_SG_SL_E_clIS7_S7_PlSB_EEDaSZ_S10_SG_SL_EUlSZ_E_NS1_11comp_targetILNS1_3genE0ELNS1_11target_archE4294967295ELNS1_3gpuE0ELNS1_3repE0EEENS1_47radix_sort_onesweep_sort_config_static_selectorELNS0_4arch9wavefront6targetE1EEEvSG_,@function
_ZN7rocprim17ROCPRIM_400000_NS6detail17trampoline_kernelINS0_14default_configENS1_35radix_sort_onesweep_config_selectorIdlEEZZNS1_29radix_sort_onesweep_iterationIS3_Lb0EPdS7_N6thrust23THRUST_200600_302600_NS10device_ptrIlEESB_jNS0_19identity_decomposerENS1_16block_id_wrapperIjLb1EEEEE10hipError_tT1_PNSt15iterator_traitsISG_E10value_typeET2_T3_PNSH_ISM_E10value_typeET4_T5_PSR_SS_PNS1_23onesweep_lookback_stateEbbT6_jjT7_P12ihipStream_tbENKUlT_T0_SG_SL_E_clIS7_S7_PlSB_EEDaSZ_S10_SG_SL_EUlSZ_E_NS1_11comp_targetILNS1_3genE0ELNS1_11target_archE4294967295ELNS1_3gpuE0ELNS1_3repE0EEENS1_47radix_sort_onesweep_sort_config_static_selectorELNS0_4arch9wavefront6targetE1EEEvSG_: ; @_ZN7rocprim17ROCPRIM_400000_NS6detail17trampoline_kernelINS0_14default_configENS1_35radix_sort_onesweep_config_selectorIdlEEZZNS1_29radix_sort_onesweep_iterationIS3_Lb0EPdS7_N6thrust23THRUST_200600_302600_NS10device_ptrIlEESB_jNS0_19identity_decomposerENS1_16block_id_wrapperIjLb1EEEEE10hipError_tT1_PNSt15iterator_traitsISG_E10value_typeET2_T3_PNSH_ISM_E10value_typeET4_T5_PSR_SS_PNS1_23onesweep_lookback_stateEbbT6_jjT7_P12ihipStream_tbENKUlT_T0_SG_SL_E_clIS7_S7_PlSB_EEDaSZ_S10_SG_SL_EUlSZ_E_NS1_11comp_targetILNS1_3genE0ELNS1_11target_archE4294967295ELNS1_3gpuE0ELNS1_3repE0EEENS1_47radix_sort_onesweep_sort_config_static_selectorELNS0_4arch9wavefront6targetE1EEEvSG_
; %bb.0:
	.section	.rodata,"a",@progbits
	.p2align	6, 0x0
	.amdhsa_kernel _ZN7rocprim17ROCPRIM_400000_NS6detail17trampoline_kernelINS0_14default_configENS1_35radix_sort_onesweep_config_selectorIdlEEZZNS1_29radix_sort_onesweep_iterationIS3_Lb0EPdS7_N6thrust23THRUST_200600_302600_NS10device_ptrIlEESB_jNS0_19identity_decomposerENS1_16block_id_wrapperIjLb1EEEEE10hipError_tT1_PNSt15iterator_traitsISG_E10value_typeET2_T3_PNSH_ISM_E10value_typeET4_T5_PSR_SS_PNS1_23onesweep_lookback_stateEbbT6_jjT7_P12ihipStream_tbENKUlT_T0_SG_SL_E_clIS7_S7_PlSB_EEDaSZ_S10_SG_SL_EUlSZ_E_NS1_11comp_targetILNS1_3genE0ELNS1_11target_archE4294967295ELNS1_3gpuE0ELNS1_3repE0EEENS1_47radix_sort_onesweep_sort_config_static_selectorELNS0_4arch9wavefront6targetE1EEEvSG_
		.amdhsa_group_segment_fixed_size 0
		.amdhsa_private_segment_fixed_size 0
		.amdhsa_kernarg_size 88
		.amdhsa_user_sgpr_count 6
		.amdhsa_user_sgpr_private_segment_buffer 1
		.amdhsa_user_sgpr_dispatch_ptr 0
		.amdhsa_user_sgpr_queue_ptr 0
		.amdhsa_user_sgpr_kernarg_segment_ptr 1
		.amdhsa_user_sgpr_dispatch_id 0
		.amdhsa_user_sgpr_flat_scratch_init 0
		.amdhsa_user_sgpr_private_segment_size 0
		.amdhsa_uses_dynamic_stack 0
		.amdhsa_system_sgpr_private_segment_wavefront_offset 0
		.amdhsa_system_sgpr_workgroup_id_x 1
		.amdhsa_system_sgpr_workgroup_id_y 0
		.amdhsa_system_sgpr_workgroup_id_z 0
		.amdhsa_system_sgpr_workgroup_info 0
		.amdhsa_system_vgpr_workitem_id 0
		.amdhsa_next_free_vgpr 1
		.amdhsa_next_free_sgpr 0
		.amdhsa_reserve_vcc 0
		.amdhsa_reserve_flat_scratch 0
		.amdhsa_float_round_mode_32 0
		.amdhsa_float_round_mode_16_64 0
		.amdhsa_float_denorm_mode_32 3
		.amdhsa_float_denorm_mode_16_64 3
		.amdhsa_dx10_clamp 1
		.amdhsa_ieee_mode 1
		.amdhsa_fp16_overflow 0
		.amdhsa_exception_fp_ieee_invalid_op 0
		.amdhsa_exception_fp_denorm_src 0
		.amdhsa_exception_fp_ieee_div_zero 0
		.amdhsa_exception_fp_ieee_overflow 0
		.amdhsa_exception_fp_ieee_underflow 0
		.amdhsa_exception_fp_ieee_inexact 0
		.amdhsa_exception_int_div_zero 0
	.end_amdhsa_kernel
	.section	.text._ZN7rocprim17ROCPRIM_400000_NS6detail17trampoline_kernelINS0_14default_configENS1_35radix_sort_onesweep_config_selectorIdlEEZZNS1_29radix_sort_onesweep_iterationIS3_Lb0EPdS7_N6thrust23THRUST_200600_302600_NS10device_ptrIlEESB_jNS0_19identity_decomposerENS1_16block_id_wrapperIjLb1EEEEE10hipError_tT1_PNSt15iterator_traitsISG_E10value_typeET2_T3_PNSH_ISM_E10value_typeET4_T5_PSR_SS_PNS1_23onesweep_lookback_stateEbbT6_jjT7_P12ihipStream_tbENKUlT_T0_SG_SL_E_clIS7_S7_PlSB_EEDaSZ_S10_SG_SL_EUlSZ_E_NS1_11comp_targetILNS1_3genE0ELNS1_11target_archE4294967295ELNS1_3gpuE0ELNS1_3repE0EEENS1_47radix_sort_onesweep_sort_config_static_selectorELNS0_4arch9wavefront6targetE1EEEvSG_,"axG",@progbits,_ZN7rocprim17ROCPRIM_400000_NS6detail17trampoline_kernelINS0_14default_configENS1_35radix_sort_onesweep_config_selectorIdlEEZZNS1_29radix_sort_onesweep_iterationIS3_Lb0EPdS7_N6thrust23THRUST_200600_302600_NS10device_ptrIlEESB_jNS0_19identity_decomposerENS1_16block_id_wrapperIjLb1EEEEE10hipError_tT1_PNSt15iterator_traitsISG_E10value_typeET2_T3_PNSH_ISM_E10value_typeET4_T5_PSR_SS_PNS1_23onesweep_lookback_stateEbbT6_jjT7_P12ihipStream_tbENKUlT_T0_SG_SL_E_clIS7_S7_PlSB_EEDaSZ_S10_SG_SL_EUlSZ_E_NS1_11comp_targetILNS1_3genE0ELNS1_11target_archE4294967295ELNS1_3gpuE0ELNS1_3repE0EEENS1_47radix_sort_onesweep_sort_config_static_selectorELNS0_4arch9wavefront6targetE1EEEvSG_,comdat
.Lfunc_end1634:
	.size	_ZN7rocprim17ROCPRIM_400000_NS6detail17trampoline_kernelINS0_14default_configENS1_35radix_sort_onesweep_config_selectorIdlEEZZNS1_29radix_sort_onesweep_iterationIS3_Lb0EPdS7_N6thrust23THRUST_200600_302600_NS10device_ptrIlEESB_jNS0_19identity_decomposerENS1_16block_id_wrapperIjLb1EEEEE10hipError_tT1_PNSt15iterator_traitsISG_E10value_typeET2_T3_PNSH_ISM_E10value_typeET4_T5_PSR_SS_PNS1_23onesweep_lookback_stateEbbT6_jjT7_P12ihipStream_tbENKUlT_T0_SG_SL_E_clIS7_S7_PlSB_EEDaSZ_S10_SG_SL_EUlSZ_E_NS1_11comp_targetILNS1_3genE0ELNS1_11target_archE4294967295ELNS1_3gpuE0ELNS1_3repE0EEENS1_47radix_sort_onesweep_sort_config_static_selectorELNS0_4arch9wavefront6targetE1EEEvSG_, .Lfunc_end1634-_ZN7rocprim17ROCPRIM_400000_NS6detail17trampoline_kernelINS0_14default_configENS1_35radix_sort_onesweep_config_selectorIdlEEZZNS1_29radix_sort_onesweep_iterationIS3_Lb0EPdS7_N6thrust23THRUST_200600_302600_NS10device_ptrIlEESB_jNS0_19identity_decomposerENS1_16block_id_wrapperIjLb1EEEEE10hipError_tT1_PNSt15iterator_traitsISG_E10value_typeET2_T3_PNSH_ISM_E10value_typeET4_T5_PSR_SS_PNS1_23onesweep_lookback_stateEbbT6_jjT7_P12ihipStream_tbENKUlT_T0_SG_SL_E_clIS7_S7_PlSB_EEDaSZ_S10_SG_SL_EUlSZ_E_NS1_11comp_targetILNS1_3genE0ELNS1_11target_archE4294967295ELNS1_3gpuE0ELNS1_3repE0EEENS1_47radix_sort_onesweep_sort_config_static_selectorELNS0_4arch9wavefront6targetE1EEEvSG_
                                        ; -- End function
	.set _ZN7rocprim17ROCPRIM_400000_NS6detail17trampoline_kernelINS0_14default_configENS1_35radix_sort_onesweep_config_selectorIdlEEZZNS1_29radix_sort_onesweep_iterationIS3_Lb0EPdS7_N6thrust23THRUST_200600_302600_NS10device_ptrIlEESB_jNS0_19identity_decomposerENS1_16block_id_wrapperIjLb1EEEEE10hipError_tT1_PNSt15iterator_traitsISG_E10value_typeET2_T3_PNSH_ISM_E10value_typeET4_T5_PSR_SS_PNS1_23onesweep_lookback_stateEbbT6_jjT7_P12ihipStream_tbENKUlT_T0_SG_SL_E_clIS7_S7_PlSB_EEDaSZ_S10_SG_SL_EUlSZ_E_NS1_11comp_targetILNS1_3genE0ELNS1_11target_archE4294967295ELNS1_3gpuE0ELNS1_3repE0EEENS1_47radix_sort_onesweep_sort_config_static_selectorELNS0_4arch9wavefront6targetE1EEEvSG_.num_vgpr, 0
	.set _ZN7rocprim17ROCPRIM_400000_NS6detail17trampoline_kernelINS0_14default_configENS1_35radix_sort_onesweep_config_selectorIdlEEZZNS1_29radix_sort_onesweep_iterationIS3_Lb0EPdS7_N6thrust23THRUST_200600_302600_NS10device_ptrIlEESB_jNS0_19identity_decomposerENS1_16block_id_wrapperIjLb1EEEEE10hipError_tT1_PNSt15iterator_traitsISG_E10value_typeET2_T3_PNSH_ISM_E10value_typeET4_T5_PSR_SS_PNS1_23onesweep_lookback_stateEbbT6_jjT7_P12ihipStream_tbENKUlT_T0_SG_SL_E_clIS7_S7_PlSB_EEDaSZ_S10_SG_SL_EUlSZ_E_NS1_11comp_targetILNS1_3genE0ELNS1_11target_archE4294967295ELNS1_3gpuE0ELNS1_3repE0EEENS1_47radix_sort_onesweep_sort_config_static_selectorELNS0_4arch9wavefront6targetE1EEEvSG_.num_agpr, 0
	.set _ZN7rocprim17ROCPRIM_400000_NS6detail17trampoline_kernelINS0_14default_configENS1_35radix_sort_onesweep_config_selectorIdlEEZZNS1_29radix_sort_onesweep_iterationIS3_Lb0EPdS7_N6thrust23THRUST_200600_302600_NS10device_ptrIlEESB_jNS0_19identity_decomposerENS1_16block_id_wrapperIjLb1EEEEE10hipError_tT1_PNSt15iterator_traitsISG_E10value_typeET2_T3_PNSH_ISM_E10value_typeET4_T5_PSR_SS_PNS1_23onesweep_lookback_stateEbbT6_jjT7_P12ihipStream_tbENKUlT_T0_SG_SL_E_clIS7_S7_PlSB_EEDaSZ_S10_SG_SL_EUlSZ_E_NS1_11comp_targetILNS1_3genE0ELNS1_11target_archE4294967295ELNS1_3gpuE0ELNS1_3repE0EEENS1_47radix_sort_onesweep_sort_config_static_selectorELNS0_4arch9wavefront6targetE1EEEvSG_.numbered_sgpr, 0
	.set _ZN7rocprim17ROCPRIM_400000_NS6detail17trampoline_kernelINS0_14default_configENS1_35radix_sort_onesweep_config_selectorIdlEEZZNS1_29radix_sort_onesweep_iterationIS3_Lb0EPdS7_N6thrust23THRUST_200600_302600_NS10device_ptrIlEESB_jNS0_19identity_decomposerENS1_16block_id_wrapperIjLb1EEEEE10hipError_tT1_PNSt15iterator_traitsISG_E10value_typeET2_T3_PNSH_ISM_E10value_typeET4_T5_PSR_SS_PNS1_23onesweep_lookback_stateEbbT6_jjT7_P12ihipStream_tbENKUlT_T0_SG_SL_E_clIS7_S7_PlSB_EEDaSZ_S10_SG_SL_EUlSZ_E_NS1_11comp_targetILNS1_3genE0ELNS1_11target_archE4294967295ELNS1_3gpuE0ELNS1_3repE0EEENS1_47radix_sort_onesweep_sort_config_static_selectorELNS0_4arch9wavefront6targetE1EEEvSG_.num_named_barrier, 0
	.set _ZN7rocprim17ROCPRIM_400000_NS6detail17trampoline_kernelINS0_14default_configENS1_35radix_sort_onesweep_config_selectorIdlEEZZNS1_29radix_sort_onesweep_iterationIS3_Lb0EPdS7_N6thrust23THRUST_200600_302600_NS10device_ptrIlEESB_jNS0_19identity_decomposerENS1_16block_id_wrapperIjLb1EEEEE10hipError_tT1_PNSt15iterator_traitsISG_E10value_typeET2_T3_PNSH_ISM_E10value_typeET4_T5_PSR_SS_PNS1_23onesweep_lookback_stateEbbT6_jjT7_P12ihipStream_tbENKUlT_T0_SG_SL_E_clIS7_S7_PlSB_EEDaSZ_S10_SG_SL_EUlSZ_E_NS1_11comp_targetILNS1_3genE0ELNS1_11target_archE4294967295ELNS1_3gpuE0ELNS1_3repE0EEENS1_47radix_sort_onesweep_sort_config_static_selectorELNS0_4arch9wavefront6targetE1EEEvSG_.private_seg_size, 0
	.set _ZN7rocprim17ROCPRIM_400000_NS6detail17trampoline_kernelINS0_14default_configENS1_35radix_sort_onesweep_config_selectorIdlEEZZNS1_29radix_sort_onesweep_iterationIS3_Lb0EPdS7_N6thrust23THRUST_200600_302600_NS10device_ptrIlEESB_jNS0_19identity_decomposerENS1_16block_id_wrapperIjLb1EEEEE10hipError_tT1_PNSt15iterator_traitsISG_E10value_typeET2_T3_PNSH_ISM_E10value_typeET4_T5_PSR_SS_PNS1_23onesweep_lookback_stateEbbT6_jjT7_P12ihipStream_tbENKUlT_T0_SG_SL_E_clIS7_S7_PlSB_EEDaSZ_S10_SG_SL_EUlSZ_E_NS1_11comp_targetILNS1_3genE0ELNS1_11target_archE4294967295ELNS1_3gpuE0ELNS1_3repE0EEENS1_47radix_sort_onesweep_sort_config_static_selectorELNS0_4arch9wavefront6targetE1EEEvSG_.uses_vcc, 0
	.set _ZN7rocprim17ROCPRIM_400000_NS6detail17trampoline_kernelINS0_14default_configENS1_35radix_sort_onesweep_config_selectorIdlEEZZNS1_29radix_sort_onesweep_iterationIS3_Lb0EPdS7_N6thrust23THRUST_200600_302600_NS10device_ptrIlEESB_jNS0_19identity_decomposerENS1_16block_id_wrapperIjLb1EEEEE10hipError_tT1_PNSt15iterator_traitsISG_E10value_typeET2_T3_PNSH_ISM_E10value_typeET4_T5_PSR_SS_PNS1_23onesweep_lookback_stateEbbT6_jjT7_P12ihipStream_tbENKUlT_T0_SG_SL_E_clIS7_S7_PlSB_EEDaSZ_S10_SG_SL_EUlSZ_E_NS1_11comp_targetILNS1_3genE0ELNS1_11target_archE4294967295ELNS1_3gpuE0ELNS1_3repE0EEENS1_47radix_sort_onesweep_sort_config_static_selectorELNS0_4arch9wavefront6targetE1EEEvSG_.uses_flat_scratch, 0
	.set _ZN7rocprim17ROCPRIM_400000_NS6detail17trampoline_kernelINS0_14default_configENS1_35radix_sort_onesweep_config_selectorIdlEEZZNS1_29radix_sort_onesweep_iterationIS3_Lb0EPdS7_N6thrust23THRUST_200600_302600_NS10device_ptrIlEESB_jNS0_19identity_decomposerENS1_16block_id_wrapperIjLb1EEEEE10hipError_tT1_PNSt15iterator_traitsISG_E10value_typeET2_T3_PNSH_ISM_E10value_typeET4_T5_PSR_SS_PNS1_23onesweep_lookback_stateEbbT6_jjT7_P12ihipStream_tbENKUlT_T0_SG_SL_E_clIS7_S7_PlSB_EEDaSZ_S10_SG_SL_EUlSZ_E_NS1_11comp_targetILNS1_3genE0ELNS1_11target_archE4294967295ELNS1_3gpuE0ELNS1_3repE0EEENS1_47radix_sort_onesweep_sort_config_static_selectorELNS0_4arch9wavefront6targetE1EEEvSG_.has_dyn_sized_stack, 0
	.set _ZN7rocprim17ROCPRIM_400000_NS6detail17trampoline_kernelINS0_14default_configENS1_35radix_sort_onesweep_config_selectorIdlEEZZNS1_29radix_sort_onesweep_iterationIS3_Lb0EPdS7_N6thrust23THRUST_200600_302600_NS10device_ptrIlEESB_jNS0_19identity_decomposerENS1_16block_id_wrapperIjLb1EEEEE10hipError_tT1_PNSt15iterator_traitsISG_E10value_typeET2_T3_PNSH_ISM_E10value_typeET4_T5_PSR_SS_PNS1_23onesweep_lookback_stateEbbT6_jjT7_P12ihipStream_tbENKUlT_T0_SG_SL_E_clIS7_S7_PlSB_EEDaSZ_S10_SG_SL_EUlSZ_E_NS1_11comp_targetILNS1_3genE0ELNS1_11target_archE4294967295ELNS1_3gpuE0ELNS1_3repE0EEENS1_47radix_sort_onesweep_sort_config_static_selectorELNS0_4arch9wavefront6targetE1EEEvSG_.has_recursion, 0
	.set _ZN7rocprim17ROCPRIM_400000_NS6detail17trampoline_kernelINS0_14default_configENS1_35radix_sort_onesweep_config_selectorIdlEEZZNS1_29radix_sort_onesweep_iterationIS3_Lb0EPdS7_N6thrust23THRUST_200600_302600_NS10device_ptrIlEESB_jNS0_19identity_decomposerENS1_16block_id_wrapperIjLb1EEEEE10hipError_tT1_PNSt15iterator_traitsISG_E10value_typeET2_T3_PNSH_ISM_E10value_typeET4_T5_PSR_SS_PNS1_23onesweep_lookback_stateEbbT6_jjT7_P12ihipStream_tbENKUlT_T0_SG_SL_E_clIS7_S7_PlSB_EEDaSZ_S10_SG_SL_EUlSZ_E_NS1_11comp_targetILNS1_3genE0ELNS1_11target_archE4294967295ELNS1_3gpuE0ELNS1_3repE0EEENS1_47radix_sort_onesweep_sort_config_static_selectorELNS0_4arch9wavefront6targetE1EEEvSG_.has_indirect_call, 0
	.section	.AMDGPU.csdata,"",@progbits
; Kernel info:
; codeLenInByte = 0
; TotalNumSgprs: 4
; NumVgprs: 0
; ScratchSize: 0
; MemoryBound: 0
; FloatMode: 240
; IeeeMode: 1
; LDSByteSize: 0 bytes/workgroup (compile time only)
; SGPRBlocks: 0
; VGPRBlocks: 0
; NumSGPRsForWavesPerEU: 4
; NumVGPRsForWavesPerEU: 1
; Occupancy: 10
; WaveLimiterHint : 0
; COMPUTE_PGM_RSRC2:SCRATCH_EN: 0
; COMPUTE_PGM_RSRC2:USER_SGPR: 6
; COMPUTE_PGM_RSRC2:TRAP_HANDLER: 0
; COMPUTE_PGM_RSRC2:TGID_X_EN: 1
; COMPUTE_PGM_RSRC2:TGID_Y_EN: 0
; COMPUTE_PGM_RSRC2:TGID_Z_EN: 0
; COMPUTE_PGM_RSRC2:TIDIG_COMP_CNT: 0
	.section	.text._ZN7rocprim17ROCPRIM_400000_NS6detail17trampoline_kernelINS0_14default_configENS1_35radix_sort_onesweep_config_selectorIdlEEZZNS1_29radix_sort_onesweep_iterationIS3_Lb0EPdS7_N6thrust23THRUST_200600_302600_NS10device_ptrIlEESB_jNS0_19identity_decomposerENS1_16block_id_wrapperIjLb1EEEEE10hipError_tT1_PNSt15iterator_traitsISG_E10value_typeET2_T3_PNSH_ISM_E10value_typeET4_T5_PSR_SS_PNS1_23onesweep_lookback_stateEbbT6_jjT7_P12ihipStream_tbENKUlT_T0_SG_SL_E_clIS7_S7_PlSB_EEDaSZ_S10_SG_SL_EUlSZ_E_NS1_11comp_targetILNS1_3genE6ELNS1_11target_archE950ELNS1_3gpuE13ELNS1_3repE0EEENS1_47radix_sort_onesweep_sort_config_static_selectorELNS0_4arch9wavefront6targetE1EEEvSG_,"axG",@progbits,_ZN7rocprim17ROCPRIM_400000_NS6detail17trampoline_kernelINS0_14default_configENS1_35radix_sort_onesweep_config_selectorIdlEEZZNS1_29radix_sort_onesweep_iterationIS3_Lb0EPdS7_N6thrust23THRUST_200600_302600_NS10device_ptrIlEESB_jNS0_19identity_decomposerENS1_16block_id_wrapperIjLb1EEEEE10hipError_tT1_PNSt15iterator_traitsISG_E10value_typeET2_T3_PNSH_ISM_E10value_typeET4_T5_PSR_SS_PNS1_23onesweep_lookback_stateEbbT6_jjT7_P12ihipStream_tbENKUlT_T0_SG_SL_E_clIS7_S7_PlSB_EEDaSZ_S10_SG_SL_EUlSZ_E_NS1_11comp_targetILNS1_3genE6ELNS1_11target_archE950ELNS1_3gpuE13ELNS1_3repE0EEENS1_47radix_sort_onesweep_sort_config_static_selectorELNS0_4arch9wavefront6targetE1EEEvSG_,comdat
	.protected	_ZN7rocprim17ROCPRIM_400000_NS6detail17trampoline_kernelINS0_14default_configENS1_35radix_sort_onesweep_config_selectorIdlEEZZNS1_29radix_sort_onesweep_iterationIS3_Lb0EPdS7_N6thrust23THRUST_200600_302600_NS10device_ptrIlEESB_jNS0_19identity_decomposerENS1_16block_id_wrapperIjLb1EEEEE10hipError_tT1_PNSt15iterator_traitsISG_E10value_typeET2_T3_PNSH_ISM_E10value_typeET4_T5_PSR_SS_PNS1_23onesweep_lookback_stateEbbT6_jjT7_P12ihipStream_tbENKUlT_T0_SG_SL_E_clIS7_S7_PlSB_EEDaSZ_S10_SG_SL_EUlSZ_E_NS1_11comp_targetILNS1_3genE6ELNS1_11target_archE950ELNS1_3gpuE13ELNS1_3repE0EEENS1_47radix_sort_onesweep_sort_config_static_selectorELNS0_4arch9wavefront6targetE1EEEvSG_ ; -- Begin function _ZN7rocprim17ROCPRIM_400000_NS6detail17trampoline_kernelINS0_14default_configENS1_35radix_sort_onesweep_config_selectorIdlEEZZNS1_29radix_sort_onesweep_iterationIS3_Lb0EPdS7_N6thrust23THRUST_200600_302600_NS10device_ptrIlEESB_jNS0_19identity_decomposerENS1_16block_id_wrapperIjLb1EEEEE10hipError_tT1_PNSt15iterator_traitsISG_E10value_typeET2_T3_PNSH_ISM_E10value_typeET4_T5_PSR_SS_PNS1_23onesweep_lookback_stateEbbT6_jjT7_P12ihipStream_tbENKUlT_T0_SG_SL_E_clIS7_S7_PlSB_EEDaSZ_S10_SG_SL_EUlSZ_E_NS1_11comp_targetILNS1_3genE6ELNS1_11target_archE950ELNS1_3gpuE13ELNS1_3repE0EEENS1_47radix_sort_onesweep_sort_config_static_selectorELNS0_4arch9wavefront6targetE1EEEvSG_
	.globl	_ZN7rocprim17ROCPRIM_400000_NS6detail17trampoline_kernelINS0_14default_configENS1_35radix_sort_onesweep_config_selectorIdlEEZZNS1_29radix_sort_onesweep_iterationIS3_Lb0EPdS7_N6thrust23THRUST_200600_302600_NS10device_ptrIlEESB_jNS0_19identity_decomposerENS1_16block_id_wrapperIjLb1EEEEE10hipError_tT1_PNSt15iterator_traitsISG_E10value_typeET2_T3_PNSH_ISM_E10value_typeET4_T5_PSR_SS_PNS1_23onesweep_lookback_stateEbbT6_jjT7_P12ihipStream_tbENKUlT_T0_SG_SL_E_clIS7_S7_PlSB_EEDaSZ_S10_SG_SL_EUlSZ_E_NS1_11comp_targetILNS1_3genE6ELNS1_11target_archE950ELNS1_3gpuE13ELNS1_3repE0EEENS1_47radix_sort_onesweep_sort_config_static_selectorELNS0_4arch9wavefront6targetE1EEEvSG_
	.p2align	8
	.type	_ZN7rocprim17ROCPRIM_400000_NS6detail17trampoline_kernelINS0_14default_configENS1_35radix_sort_onesweep_config_selectorIdlEEZZNS1_29radix_sort_onesweep_iterationIS3_Lb0EPdS7_N6thrust23THRUST_200600_302600_NS10device_ptrIlEESB_jNS0_19identity_decomposerENS1_16block_id_wrapperIjLb1EEEEE10hipError_tT1_PNSt15iterator_traitsISG_E10value_typeET2_T3_PNSH_ISM_E10value_typeET4_T5_PSR_SS_PNS1_23onesweep_lookback_stateEbbT6_jjT7_P12ihipStream_tbENKUlT_T0_SG_SL_E_clIS7_S7_PlSB_EEDaSZ_S10_SG_SL_EUlSZ_E_NS1_11comp_targetILNS1_3genE6ELNS1_11target_archE950ELNS1_3gpuE13ELNS1_3repE0EEENS1_47radix_sort_onesweep_sort_config_static_selectorELNS0_4arch9wavefront6targetE1EEEvSG_,@function
_ZN7rocprim17ROCPRIM_400000_NS6detail17trampoline_kernelINS0_14default_configENS1_35radix_sort_onesweep_config_selectorIdlEEZZNS1_29radix_sort_onesweep_iterationIS3_Lb0EPdS7_N6thrust23THRUST_200600_302600_NS10device_ptrIlEESB_jNS0_19identity_decomposerENS1_16block_id_wrapperIjLb1EEEEE10hipError_tT1_PNSt15iterator_traitsISG_E10value_typeET2_T3_PNSH_ISM_E10value_typeET4_T5_PSR_SS_PNS1_23onesweep_lookback_stateEbbT6_jjT7_P12ihipStream_tbENKUlT_T0_SG_SL_E_clIS7_S7_PlSB_EEDaSZ_S10_SG_SL_EUlSZ_E_NS1_11comp_targetILNS1_3genE6ELNS1_11target_archE950ELNS1_3gpuE13ELNS1_3repE0EEENS1_47radix_sort_onesweep_sort_config_static_selectorELNS0_4arch9wavefront6targetE1EEEvSG_: ; @_ZN7rocprim17ROCPRIM_400000_NS6detail17trampoline_kernelINS0_14default_configENS1_35radix_sort_onesweep_config_selectorIdlEEZZNS1_29radix_sort_onesweep_iterationIS3_Lb0EPdS7_N6thrust23THRUST_200600_302600_NS10device_ptrIlEESB_jNS0_19identity_decomposerENS1_16block_id_wrapperIjLb1EEEEE10hipError_tT1_PNSt15iterator_traitsISG_E10value_typeET2_T3_PNSH_ISM_E10value_typeET4_T5_PSR_SS_PNS1_23onesweep_lookback_stateEbbT6_jjT7_P12ihipStream_tbENKUlT_T0_SG_SL_E_clIS7_S7_PlSB_EEDaSZ_S10_SG_SL_EUlSZ_E_NS1_11comp_targetILNS1_3genE6ELNS1_11target_archE950ELNS1_3gpuE13ELNS1_3repE0EEENS1_47radix_sort_onesweep_sort_config_static_selectorELNS0_4arch9wavefront6targetE1EEEvSG_
; %bb.0:
	.section	.rodata,"a",@progbits
	.p2align	6, 0x0
	.amdhsa_kernel _ZN7rocprim17ROCPRIM_400000_NS6detail17trampoline_kernelINS0_14default_configENS1_35radix_sort_onesweep_config_selectorIdlEEZZNS1_29radix_sort_onesweep_iterationIS3_Lb0EPdS7_N6thrust23THRUST_200600_302600_NS10device_ptrIlEESB_jNS0_19identity_decomposerENS1_16block_id_wrapperIjLb1EEEEE10hipError_tT1_PNSt15iterator_traitsISG_E10value_typeET2_T3_PNSH_ISM_E10value_typeET4_T5_PSR_SS_PNS1_23onesweep_lookback_stateEbbT6_jjT7_P12ihipStream_tbENKUlT_T0_SG_SL_E_clIS7_S7_PlSB_EEDaSZ_S10_SG_SL_EUlSZ_E_NS1_11comp_targetILNS1_3genE6ELNS1_11target_archE950ELNS1_3gpuE13ELNS1_3repE0EEENS1_47radix_sort_onesweep_sort_config_static_selectorELNS0_4arch9wavefront6targetE1EEEvSG_
		.amdhsa_group_segment_fixed_size 0
		.amdhsa_private_segment_fixed_size 0
		.amdhsa_kernarg_size 88
		.amdhsa_user_sgpr_count 6
		.amdhsa_user_sgpr_private_segment_buffer 1
		.amdhsa_user_sgpr_dispatch_ptr 0
		.amdhsa_user_sgpr_queue_ptr 0
		.amdhsa_user_sgpr_kernarg_segment_ptr 1
		.amdhsa_user_sgpr_dispatch_id 0
		.amdhsa_user_sgpr_flat_scratch_init 0
		.amdhsa_user_sgpr_private_segment_size 0
		.amdhsa_uses_dynamic_stack 0
		.amdhsa_system_sgpr_private_segment_wavefront_offset 0
		.amdhsa_system_sgpr_workgroup_id_x 1
		.amdhsa_system_sgpr_workgroup_id_y 0
		.amdhsa_system_sgpr_workgroup_id_z 0
		.amdhsa_system_sgpr_workgroup_info 0
		.amdhsa_system_vgpr_workitem_id 0
		.amdhsa_next_free_vgpr 1
		.amdhsa_next_free_sgpr 0
		.amdhsa_reserve_vcc 0
		.amdhsa_reserve_flat_scratch 0
		.amdhsa_float_round_mode_32 0
		.amdhsa_float_round_mode_16_64 0
		.amdhsa_float_denorm_mode_32 3
		.amdhsa_float_denorm_mode_16_64 3
		.amdhsa_dx10_clamp 1
		.amdhsa_ieee_mode 1
		.amdhsa_fp16_overflow 0
		.amdhsa_exception_fp_ieee_invalid_op 0
		.amdhsa_exception_fp_denorm_src 0
		.amdhsa_exception_fp_ieee_div_zero 0
		.amdhsa_exception_fp_ieee_overflow 0
		.amdhsa_exception_fp_ieee_underflow 0
		.amdhsa_exception_fp_ieee_inexact 0
		.amdhsa_exception_int_div_zero 0
	.end_amdhsa_kernel
	.section	.text._ZN7rocprim17ROCPRIM_400000_NS6detail17trampoline_kernelINS0_14default_configENS1_35radix_sort_onesweep_config_selectorIdlEEZZNS1_29radix_sort_onesweep_iterationIS3_Lb0EPdS7_N6thrust23THRUST_200600_302600_NS10device_ptrIlEESB_jNS0_19identity_decomposerENS1_16block_id_wrapperIjLb1EEEEE10hipError_tT1_PNSt15iterator_traitsISG_E10value_typeET2_T3_PNSH_ISM_E10value_typeET4_T5_PSR_SS_PNS1_23onesweep_lookback_stateEbbT6_jjT7_P12ihipStream_tbENKUlT_T0_SG_SL_E_clIS7_S7_PlSB_EEDaSZ_S10_SG_SL_EUlSZ_E_NS1_11comp_targetILNS1_3genE6ELNS1_11target_archE950ELNS1_3gpuE13ELNS1_3repE0EEENS1_47radix_sort_onesweep_sort_config_static_selectorELNS0_4arch9wavefront6targetE1EEEvSG_,"axG",@progbits,_ZN7rocprim17ROCPRIM_400000_NS6detail17trampoline_kernelINS0_14default_configENS1_35radix_sort_onesweep_config_selectorIdlEEZZNS1_29radix_sort_onesweep_iterationIS3_Lb0EPdS7_N6thrust23THRUST_200600_302600_NS10device_ptrIlEESB_jNS0_19identity_decomposerENS1_16block_id_wrapperIjLb1EEEEE10hipError_tT1_PNSt15iterator_traitsISG_E10value_typeET2_T3_PNSH_ISM_E10value_typeET4_T5_PSR_SS_PNS1_23onesweep_lookback_stateEbbT6_jjT7_P12ihipStream_tbENKUlT_T0_SG_SL_E_clIS7_S7_PlSB_EEDaSZ_S10_SG_SL_EUlSZ_E_NS1_11comp_targetILNS1_3genE6ELNS1_11target_archE950ELNS1_3gpuE13ELNS1_3repE0EEENS1_47radix_sort_onesweep_sort_config_static_selectorELNS0_4arch9wavefront6targetE1EEEvSG_,comdat
.Lfunc_end1635:
	.size	_ZN7rocprim17ROCPRIM_400000_NS6detail17trampoline_kernelINS0_14default_configENS1_35radix_sort_onesweep_config_selectorIdlEEZZNS1_29radix_sort_onesweep_iterationIS3_Lb0EPdS7_N6thrust23THRUST_200600_302600_NS10device_ptrIlEESB_jNS0_19identity_decomposerENS1_16block_id_wrapperIjLb1EEEEE10hipError_tT1_PNSt15iterator_traitsISG_E10value_typeET2_T3_PNSH_ISM_E10value_typeET4_T5_PSR_SS_PNS1_23onesweep_lookback_stateEbbT6_jjT7_P12ihipStream_tbENKUlT_T0_SG_SL_E_clIS7_S7_PlSB_EEDaSZ_S10_SG_SL_EUlSZ_E_NS1_11comp_targetILNS1_3genE6ELNS1_11target_archE950ELNS1_3gpuE13ELNS1_3repE0EEENS1_47radix_sort_onesweep_sort_config_static_selectorELNS0_4arch9wavefront6targetE1EEEvSG_, .Lfunc_end1635-_ZN7rocprim17ROCPRIM_400000_NS6detail17trampoline_kernelINS0_14default_configENS1_35radix_sort_onesweep_config_selectorIdlEEZZNS1_29radix_sort_onesweep_iterationIS3_Lb0EPdS7_N6thrust23THRUST_200600_302600_NS10device_ptrIlEESB_jNS0_19identity_decomposerENS1_16block_id_wrapperIjLb1EEEEE10hipError_tT1_PNSt15iterator_traitsISG_E10value_typeET2_T3_PNSH_ISM_E10value_typeET4_T5_PSR_SS_PNS1_23onesweep_lookback_stateEbbT6_jjT7_P12ihipStream_tbENKUlT_T0_SG_SL_E_clIS7_S7_PlSB_EEDaSZ_S10_SG_SL_EUlSZ_E_NS1_11comp_targetILNS1_3genE6ELNS1_11target_archE950ELNS1_3gpuE13ELNS1_3repE0EEENS1_47radix_sort_onesweep_sort_config_static_selectorELNS0_4arch9wavefront6targetE1EEEvSG_
                                        ; -- End function
	.set _ZN7rocprim17ROCPRIM_400000_NS6detail17trampoline_kernelINS0_14default_configENS1_35radix_sort_onesweep_config_selectorIdlEEZZNS1_29radix_sort_onesweep_iterationIS3_Lb0EPdS7_N6thrust23THRUST_200600_302600_NS10device_ptrIlEESB_jNS0_19identity_decomposerENS1_16block_id_wrapperIjLb1EEEEE10hipError_tT1_PNSt15iterator_traitsISG_E10value_typeET2_T3_PNSH_ISM_E10value_typeET4_T5_PSR_SS_PNS1_23onesweep_lookback_stateEbbT6_jjT7_P12ihipStream_tbENKUlT_T0_SG_SL_E_clIS7_S7_PlSB_EEDaSZ_S10_SG_SL_EUlSZ_E_NS1_11comp_targetILNS1_3genE6ELNS1_11target_archE950ELNS1_3gpuE13ELNS1_3repE0EEENS1_47radix_sort_onesweep_sort_config_static_selectorELNS0_4arch9wavefront6targetE1EEEvSG_.num_vgpr, 0
	.set _ZN7rocprim17ROCPRIM_400000_NS6detail17trampoline_kernelINS0_14default_configENS1_35radix_sort_onesweep_config_selectorIdlEEZZNS1_29radix_sort_onesweep_iterationIS3_Lb0EPdS7_N6thrust23THRUST_200600_302600_NS10device_ptrIlEESB_jNS0_19identity_decomposerENS1_16block_id_wrapperIjLb1EEEEE10hipError_tT1_PNSt15iterator_traitsISG_E10value_typeET2_T3_PNSH_ISM_E10value_typeET4_T5_PSR_SS_PNS1_23onesweep_lookback_stateEbbT6_jjT7_P12ihipStream_tbENKUlT_T0_SG_SL_E_clIS7_S7_PlSB_EEDaSZ_S10_SG_SL_EUlSZ_E_NS1_11comp_targetILNS1_3genE6ELNS1_11target_archE950ELNS1_3gpuE13ELNS1_3repE0EEENS1_47radix_sort_onesweep_sort_config_static_selectorELNS0_4arch9wavefront6targetE1EEEvSG_.num_agpr, 0
	.set _ZN7rocprim17ROCPRIM_400000_NS6detail17trampoline_kernelINS0_14default_configENS1_35radix_sort_onesweep_config_selectorIdlEEZZNS1_29radix_sort_onesweep_iterationIS3_Lb0EPdS7_N6thrust23THRUST_200600_302600_NS10device_ptrIlEESB_jNS0_19identity_decomposerENS1_16block_id_wrapperIjLb1EEEEE10hipError_tT1_PNSt15iterator_traitsISG_E10value_typeET2_T3_PNSH_ISM_E10value_typeET4_T5_PSR_SS_PNS1_23onesweep_lookback_stateEbbT6_jjT7_P12ihipStream_tbENKUlT_T0_SG_SL_E_clIS7_S7_PlSB_EEDaSZ_S10_SG_SL_EUlSZ_E_NS1_11comp_targetILNS1_3genE6ELNS1_11target_archE950ELNS1_3gpuE13ELNS1_3repE0EEENS1_47radix_sort_onesweep_sort_config_static_selectorELNS0_4arch9wavefront6targetE1EEEvSG_.numbered_sgpr, 0
	.set _ZN7rocprim17ROCPRIM_400000_NS6detail17trampoline_kernelINS0_14default_configENS1_35radix_sort_onesweep_config_selectorIdlEEZZNS1_29radix_sort_onesweep_iterationIS3_Lb0EPdS7_N6thrust23THRUST_200600_302600_NS10device_ptrIlEESB_jNS0_19identity_decomposerENS1_16block_id_wrapperIjLb1EEEEE10hipError_tT1_PNSt15iterator_traitsISG_E10value_typeET2_T3_PNSH_ISM_E10value_typeET4_T5_PSR_SS_PNS1_23onesweep_lookback_stateEbbT6_jjT7_P12ihipStream_tbENKUlT_T0_SG_SL_E_clIS7_S7_PlSB_EEDaSZ_S10_SG_SL_EUlSZ_E_NS1_11comp_targetILNS1_3genE6ELNS1_11target_archE950ELNS1_3gpuE13ELNS1_3repE0EEENS1_47radix_sort_onesweep_sort_config_static_selectorELNS0_4arch9wavefront6targetE1EEEvSG_.num_named_barrier, 0
	.set _ZN7rocprim17ROCPRIM_400000_NS6detail17trampoline_kernelINS0_14default_configENS1_35radix_sort_onesweep_config_selectorIdlEEZZNS1_29radix_sort_onesweep_iterationIS3_Lb0EPdS7_N6thrust23THRUST_200600_302600_NS10device_ptrIlEESB_jNS0_19identity_decomposerENS1_16block_id_wrapperIjLb1EEEEE10hipError_tT1_PNSt15iterator_traitsISG_E10value_typeET2_T3_PNSH_ISM_E10value_typeET4_T5_PSR_SS_PNS1_23onesweep_lookback_stateEbbT6_jjT7_P12ihipStream_tbENKUlT_T0_SG_SL_E_clIS7_S7_PlSB_EEDaSZ_S10_SG_SL_EUlSZ_E_NS1_11comp_targetILNS1_3genE6ELNS1_11target_archE950ELNS1_3gpuE13ELNS1_3repE0EEENS1_47radix_sort_onesweep_sort_config_static_selectorELNS0_4arch9wavefront6targetE1EEEvSG_.private_seg_size, 0
	.set _ZN7rocprim17ROCPRIM_400000_NS6detail17trampoline_kernelINS0_14default_configENS1_35radix_sort_onesweep_config_selectorIdlEEZZNS1_29radix_sort_onesweep_iterationIS3_Lb0EPdS7_N6thrust23THRUST_200600_302600_NS10device_ptrIlEESB_jNS0_19identity_decomposerENS1_16block_id_wrapperIjLb1EEEEE10hipError_tT1_PNSt15iterator_traitsISG_E10value_typeET2_T3_PNSH_ISM_E10value_typeET4_T5_PSR_SS_PNS1_23onesweep_lookback_stateEbbT6_jjT7_P12ihipStream_tbENKUlT_T0_SG_SL_E_clIS7_S7_PlSB_EEDaSZ_S10_SG_SL_EUlSZ_E_NS1_11comp_targetILNS1_3genE6ELNS1_11target_archE950ELNS1_3gpuE13ELNS1_3repE0EEENS1_47radix_sort_onesweep_sort_config_static_selectorELNS0_4arch9wavefront6targetE1EEEvSG_.uses_vcc, 0
	.set _ZN7rocprim17ROCPRIM_400000_NS6detail17trampoline_kernelINS0_14default_configENS1_35radix_sort_onesweep_config_selectorIdlEEZZNS1_29radix_sort_onesweep_iterationIS3_Lb0EPdS7_N6thrust23THRUST_200600_302600_NS10device_ptrIlEESB_jNS0_19identity_decomposerENS1_16block_id_wrapperIjLb1EEEEE10hipError_tT1_PNSt15iterator_traitsISG_E10value_typeET2_T3_PNSH_ISM_E10value_typeET4_T5_PSR_SS_PNS1_23onesweep_lookback_stateEbbT6_jjT7_P12ihipStream_tbENKUlT_T0_SG_SL_E_clIS7_S7_PlSB_EEDaSZ_S10_SG_SL_EUlSZ_E_NS1_11comp_targetILNS1_3genE6ELNS1_11target_archE950ELNS1_3gpuE13ELNS1_3repE0EEENS1_47radix_sort_onesweep_sort_config_static_selectorELNS0_4arch9wavefront6targetE1EEEvSG_.uses_flat_scratch, 0
	.set _ZN7rocprim17ROCPRIM_400000_NS6detail17trampoline_kernelINS0_14default_configENS1_35radix_sort_onesweep_config_selectorIdlEEZZNS1_29radix_sort_onesweep_iterationIS3_Lb0EPdS7_N6thrust23THRUST_200600_302600_NS10device_ptrIlEESB_jNS0_19identity_decomposerENS1_16block_id_wrapperIjLb1EEEEE10hipError_tT1_PNSt15iterator_traitsISG_E10value_typeET2_T3_PNSH_ISM_E10value_typeET4_T5_PSR_SS_PNS1_23onesweep_lookback_stateEbbT6_jjT7_P12ihipStream_tbENKUlT_T0_SG_SL_E_clIS7_S7_PlSB_EEDaSZ_S10_SG_SL_EUlSZ_E_NS1_11comp_targetILNS1_3genE6ELNS1_11target_archE950ELNS1_3gpuE13ELNS1_3repE0EEENS1_47radix_sort_onesweep_sort_config_static_selectorELNS0_4arch9wavefront6targetE1EEEvSG_.has_dyn_sized_stack, 0
	.set _ZN7rocprim17ROCPRIM_400000_NS6detail17trampoline_kernelINS0_14default_configENS1_35radix_sort_onesweep_config_selectorIdlEEZZNS1_29radix_sort_onesweep_iterationIS3_Lb0EPdS7_N6thrust23THRUST_200600_302600_NS10device_ptrIlEESB_jNS0_19identity_decomposerENS1_16block_id_wrapperIjLb1EEEEE10hipError_tT1_PNSt15iterator_traitsISG_E10value_typeET2_T3_PNSH_ISM_E10value_typeET4_T5_PSR_SS_PNS1_23onesweep_lookback_stateEbbT6_jjT7_P12ihipStream_tbENKUlT_T0_SG_SL_E_clIS7_S7_PlSB_EEDaSZ_S10_SG_SL_EUlSZ_E_NS1_11comp_targetILNS1_3genE6ELNS1_11target_archE950ELNS1_3gpuE13ELNS1_3repE0EEENS1_47radix_sort_onesweep_sort_config_static_selectorELNS0_4arch9wavefront6targetE1EEEvSG_.has_recursion, 0
	.set _ZN7rocprim17ROCPRIM_400000_NS6detail17trampoline_kernelINS0_14default_configENS1_35radix_sort_onesweep_config_selectorIdlEEZZNS1_29radix_sort_onesweep_iterationIS3_Lb0EPdS7_N6thrust23THRUST_200600_302600_NS10device_ptrIlEESB_jNS0_19identity_decomposerENS1_16block_id_wrapperIjLb1EEEEE10hipError_tT1_PNSt15iterator_traitsISG_E10value_typeET2_T3_PNSH_ISM_E10value_typeET4_T5_PSR_SS_PNS1_23onesweep_lookback_stateEbbT6_jjT7_P12ihipStream_tbENKUlT_T0_SG_SL_E_clIS7_S7_PlSB_EEDaSZ_S10_SG_SL_EUlSZ_E_NS1_11comp_targetILNS1_3genE6ELNS1_11target_archE950ELNS1_3gpuE13ELNS1_3repE0EEENS1_47radix_sort_onesweep_sort_config_static_selectorELNS0_4arch9wavefront6targetE1EEEvSG_.has_indirect_call, 0
	.section	.AMDGPU.csdata,"",@progbits
; Kernel info:
; codeLenInByte = 0
; TotalNumSgprs: 4
; NumVgprs: 0
; ScratchSize: 0
; MemoryBound: 0
; FloatMode: 240
; IeeeMode: 1
; LDSByteSize: 0 bytes/workgroup (compile time only)
; SGPRBlocks: 0
; VGPRBlocks: 0
; NumSGPRsForWavesPerEU: 4
; NumVGPRsForWavesPerEU: 1
; Occupancy: 10
; WaveLimiterHint : 0
; COMPUTE_PGM_RSRC2:SCRATCH_EN: 0
; COMPUTE_PGM_RSRC2:USER_SGPR: 6
; COMPUTE_PGM_RSRC2:TRAP_HANDLER: 0
; COMPUTE_PGM_RSRC2:TGID_X_EN: 1
; COMPUTE_PGM_RSRC2:TGID_Y_EN: 0
; COMPUTE_PGM_RSRC2:TGID_Z_EN: 0
; COMPUTE_PGM_RSRC2:TIDIG_COMP_CNT: 0
	.section	.text._ZN7rocprim17ROCPRIM_400000_NS6detail17trampoline_kernelINS0_14default_configENS1_35radix_sort_onesweep_config_selectorIdlEEZZNS1_29radix_sort_onesweep_iterationIS3_Lb0EPdS7_N6thrust23THRUST_200600_302600_NS10device_ptrIlEESB_jNS0_19identity_decomposerENS1_16block_id_wrapperIjLb1EEEEE10hipError_tT1_PNSt15iterator_traitsISG_E10value_typeET2_T3_PNSH_ISM_E10value_typeET4_T5_PSR_SS_PNS1_23onesweep_lookback_stateEbbT6_jjT7_P12ihipStream_tbENKUlT_T0_SG_SL_E_clIS7_S7_PlSB_EEDaSZ_S10_SG_SL_EUlSZ_E_NS1_11comp_targetILNS1_3genE5ELNS1_11target_archE942ELNS1_3gpuE9ELNS1_3repE0EEENS1_47radix_sort_onesweep_sort_config_static_selectorELNS0_4arch9wavefront6targetE1EEEvSG_,"axG",@progbits,_ZN7rocprim17ROCPRIM_400000_NS6detail17trampoline_kernelINS0_14default_configENS1_35radix_sort_onesweep_config_selectorIdlEEZZNS1_29radix_sort_onesweep_iterationIS3_Lb0EPdS7_N6thrust23THRUST_200600_302600_NS10device_ptrIlEESB_jNS0_19identity_decomposerENS1_16block_id_wrapperIjLb1EEEEE10hipError_tT1_PNSt15iterator_traitsISG_E10value_typeET2_T3_PNSH_ISM_E10value_typeET4_T5_PSR_SS_PNS1_23onesweep_lookback_stateEbbT6_jjT7_P12ihipStream_tbENKUlT_T0_SG_SL_E_clIS7_S7_PlSB_EEDaSZ_S10_SG_SL_EUlSZ_E_NS1_11comp_targetILNS1_3genE5ELNS1_11target_archE942ELNS1_3gpuE9ELNS1_3repE0EEENS1_47radix_sort_onesweep_sort_config_static_selectorELNS0_4arch9wavefront6targetE1EEEvSG_,comdat
	.protected	_ZN7rocprim17ROCPRIM_400000_NS6detail17trampoline_kernelINS0_14default_configENS1_35radix_sort_onesweep_config_selectorIdlEEZZNS1_29radix_sort_onesweep_iterationIS3_Lb0EPdS7_N6thrust23THRUST_200600_302600_NS10device_ptrIlEESB_jNS0_19identity_decomposerENS1_16block_id_wrapperIjLb1EEEEE10hipError_tT1_PNSt15iterator_traitsISG_E10value_typeET2_T3_PNSH_ISM_E10value_typeET4_T5_PSR_SS_PNS1_23onesweep_lookback_stateEbbT6_jjT7_P12ihipStream_tbENKUlT_T0_SG_SL_E_clIS7_S7_PlSB_EEDaSZ_S10_SG_SL_EUlSZ_E_NS1_11comp_targetILNS1_3genE5ELNS1_11target_archE942ELNS1_3gpuE9ELNS1_3repE0EEENS1_47radix_sort_onesweep_sort_config_static_selectorELNS0_4arch9wavefront6targetE1EEEvSG_ ; -- Begin function _ZN7rocprim17ROCPRIM_400000_NS6detail17trampoline_kernelINS0_14default_configENS1_35radix_sort_onesweep_config_selectorIdlEEZZNS1_29radix_sort_onesweep_iterationIS3_Lb0EPdS7_N6thrust23THRUST_200600_302600_NS10device_ptrIlEESB_jNS0_19identity_decomposerENS1_16block_id_wrapperIjLb1EEEEE10hipError_tT1_PNSt15iterator_traitsISG_E10value_typeET2_T3_PNSH_ISM_E10value_typeET4_T5_PSR_SS_PNS1_23onesweep_lookback_stateEbbT6_jjT7_P12ihipStream_tbENKUlT_T0_SG_SL_E_clIS7_S7_PlSB_EEDaSZ_S10_SG_SL_EUlSZ_E_NS1_11comp_targetILNS1_3genE5ELNS1_11target_archE942ELNS1_3gpuE9ELNS1_3repE0EEENS1_47radix_sort_onesweep_sort_config_static_selectorELNS0_4arch9wavefront6targetE1EEEvSG_
	.globl	_ZN7rocprim17ROCPRIM_400000_NS6detail17trampoline_kernelINS0_14default_configENS1_35radix_sort_onesweep_config_selectorIdlEEZZNS1_29radix_sort_onesweep_iterationIS3_Lb0EPdS7_N6thrust23THRUST_200600_302600_NS10device_ptrIlEESB_jNS0_19identity_decomposerENS1_16block_id_wrapperIjLb1EEEEE10hipError_tT1_PNSt15iterator_traitsISG_E10value_typeET2_T3_PNSH_ISM_E10value_typeET4_T5_PSR_SS_PNS1_23onesweep_lookback_stateEbbT6_jjT7_P12ihipStream_tbENKUlT_T0_SG_SL_E_clIS7_S7_PlSB_EEDaSZ_S10_SG_SL_EUlSZ_E_NS1_11comp_targetILNS1_3genE5ELNS1_11target_archE942ELNS1_3gpuE9ELNS1_3repE0EEENS1_47radix_sort_onesweep_sort_config_static_selectorELNS0_4arch9wavefront6targetE1EEEvSG_
	.p2align	8
	.type	_ZN7rocprim17ROCPRIM_400000_NS6detail17trampoline_kernelINS0_14default_configENS1_35radix_sort_onesweep_config_selectorIdlEEZZNS1_29radix_sort_onesweep_iterationIS3_Lb0EPdS7_N6thrust23THRUST_200600_302600_NS10device_ptrIlEESB_jNS0_19identity_decomposerENS1_16block_id_wrapperIjLb1EEEEE10hipError_tT1_PNSt15iterator_traitsISG_E10value_typeET2_T3_PNSH_ISM_E10value_typeET4_T5_PSR_SS_PNS1_23onesweep_lookback_stateEbbT6_jjT7_P12ihipStream_tbENKUlT_T0_SG_SL_E_clIS7_S7_PlSB_EEDaSZ_S10_SG_SL_EUlSZ_E_NS1_11comp_targetILNS1_3genE5ELNS1_11target_archE942ELNS1_3gpuE9ELNS1_3repE0EEENS1_47radix_sort_onesweep_sort_config_static_selectorELNS0_4arch9wavefront6targetE1EEEvSG_,@function
_ZN7rocprim17ROCPRIM_400000_NS6detail17trampoline_kernelINS0_14default_configENS1_35radix_sort_onesweep_config_selectorIdlEEZZNS1_29radix_sort_onesweep_iterationIS3_Lb0EPdS7_N6thrust23THRUST_200600_302600_NS10device_ptrIlEESB_jNS0_19identity_decomposerENS1_16block_id_wrapperIjLb1EEEEE10hipError_tT1_PNSt15iterator_traitsISG_E10value_typeET2_T3_PNSH_ISM_E10value_typeET4_T5_PSR_SS_PNS1_23onesweep_lookback_stateEbbT6_jjT7_P12ihipStream_tbENKUlT_T0_SG_SL_E_clIS7_S7_PlSB_EEDaSZ_S10_SG_SL_EUlSZ_E_NS1_11comp_targetILNS1_3genE5ELNS1_11target_archE942ELNS1_3gpuE9ELNS1_3repE0EEENS1_47radix_sort_onesweep_sort_config_static_selectorELNS0_4arch9wavefront6targetE1EEEvSG_: ; @_ZN7rocprim17ROCPRIM_400000_NS6detail17trampoline_kernelINS0_14default_configENS1_35radix_sort_onesweep_config_selectorIdlEEZZNS1_29radix_sort_onesweep_iterationIS3_Lb0EPdS7_N6thrust23THRUST_200600_302600_NS10device_ptrIlEESB_jNS0_19identity_decomposerENS1_16block_id_wrapperIjLb1EEEEE10hipError_tT1_PNSt15iterator_traitsISG_E10value_typeET2_T3_PNSH_ISM_E10value_typeET4_T5_PSR_SS_PNS1_23onesweep_lookback_stateEbbT6_jjT7_P12ihipStream_tbENKUlT_T0_SG_SL_E_clIS7_S7_PlSB_EEDaSZ_S10_SG_SL_EUlSZ_E_NS1_11comp_targetILNS1_3genE5ELNS1_11target_archE942ELNS1_3gpuE9ELNS1_3repE0EEENS1_47radix_sort_onesweep_sort_config_static_selectorELNS0_4arch9wavefront6targetE1EEEvSG_
; %bb.0:
	.section	.rodata,"a",@progbits
	.p2align	6, 0x0
	.amdhsa_kernel _ZN7rocprim17ROCPRIM_400000_NS6detail17trampoline_kernelINS0_14default_configENS1_35radix_sort_onesweep_config_selectorIdlEEZZNS1_29radix_sort_onesweep_iterationIS3_Lb0EPdS7_N6thrust23THRUST_200600_302600_NS10device_ptrIlEESB_jNS0_19identity_decomposerENS1_16block_id_wrapperIjLb1EEEEE10hipError_tT1_PNSt15iterator_traitsISG_E10value_typeET2_T3_PNSH_ISM_E10value_typeET4_T5_PSR_SS_PNS1_23onesweep_lookback_stateEbbT6_jjT7_P12ihipStream_tbENKUlT_T0_SG_SL_E_clIS7_S7_PlSB_EEDaSZ_S10_SG_SL_EUlSZ_E_NS1_11comp_targetILNS1_3genE5ELNS1_11target_archE942ELNS1_3gpuE9ELNS1_3repE0EEENS1_47radix_sort_onesweep_sort_config_static_selectorELNS0_4arch9wavefront6targetE1EEEvSG_
		.amdhsa_group_segment_fixed_size 0
		.amdhsa_private_segment_fixed_size 0
		.amdhsa_kernarg_size 88
		.amdhsa_user_sgpr_count 6
		.amdhsa_user_sgpr_private_segment_buffer 1
		.amdhsa_user_sgpr_dispatch_ptr 0
		.amdhsa_user_sgpr_queue_ptr 0
		.amdhsa_user_sgpr_kernarg_segment_ptr 1
		.amdhsa_user_sgpr_dispatch_id 0
		.amdhsa_user_sgpr_flat_scratch_init 0
		.amdhsa_user_sgpr_private_segment_size 0
		.amdhsa_uses_dynamic_stack 0
		.amdhsa_system_sgpr_private_segment_wavefront_offset 0
		.amdhsa_system_sgpr_workgroup_id_x 1
		.amdhsa_system_sgpr_workgroup_id_y 0
		.amdhsa_system_sgpr_workgroup_id_z 0
		.amdhsa_system_sgpr_workgroup_info 0
		.amdhsa_system_vgpr_workitem_id 0
		.amdhsa_next_free_vgpr 1
		.amdhsa_next_free_sgpr 0
		.amdhsa_reserve_vcc 0
		.amdhsa_reserve_flat_scratch 0
		.amdhsa_float_round_mode_32 0
		.amdhsa_float_round_mode_16_64 0
		.amdhsa_float_denorm_mode_32 3
		.amdhsa_float_denorm_mode_16_64 3
		.amdhsa_dx10_clamp 1
		.amdhsa_ieee_mode 1
		.amdhsa_fp16_overflow 0
		.amdhsa_exception_fp_ieee_invalid_op 0
		.amdhsa_exception_fp_denorm_src 0
		.amdhsa_exception_fp_ieee_div_zero 0
		.amdhsa_exception_fp_ieee_overflow 0
		.amdhsa_exception_fp_ieee_underflow 0
		.amdhsa_exception_fp_ieee_inexact 0
		.amdhsa_exception_int_div_zero 0
	.end_amdhsa_kernel
	.section	.text._ZN7rocprim17ROCPRIM_400000_NS6detail17trampoline_kernelINS0_14default_configENS1_35radix_sort_onesweep_config_selectorIdlEEZZNS1_29radix_sort_onesweep_iterationIS3_Lb0EPdS7_N6thrust23THRUST_200600_302600_NS10device_ptrIlEESB_jNS0_19identity_decomposerENS1_16block_id_wrapperIjLb1EEEEE10hipError_tT1_PNSt15iterator_traitsISG_E10value_typeET2_T3_PNSH_ISM_E10value_typeET4_T5_PSR_SS_PNS1_23onesweep_lookback_stateEbbT6_jjT7_P12ihipStream_tbENKUlT_T0_SG_SL_E_clIS7_S7_PlSB_EEDaSZ_S10_SG_SL_EUlSZ_E_NS1_11comp_targetILNS1_3genE5ELNS1_11target_archE942ELNS1_3gpuE9ELNS1_3repE0EEENS1_47radix_sort_onesweep_sort_config_static_selectorELNS0_4arch9wavefront6targetE1EEEvSG_,"axG",@progbits,_ZN7rocprim17ROCPRIM_400000_NS6detail17trampoline_kernelINS0_14default_configENS1_35radix_sort_onesweep_config_selectorIdlEEZZNS1_29radix_sort_onesweep_iterationIS3_Lb0EPdS7_N6thrust23THRUST_200600_302600_NS10device_ptrIlEESB_jNS0_19identity_decomposerENS1_16block_id_wrapperIjLb1EEEEE10hipError_tT1_PNSt15iterator_traitsISG_E10value_typeET2_T3_PNSH_ISM_E10value_typeET4_T5_PSR_SS_PNS1_23onesweep_lookback_stateEbbT6_jjT7_P12ihipStream_tbENKUlT_T0_SG_SL_E_clIS7_S7_PlSB_EEDaSZ_S10_SG_SL_EUlSZ_E_NS1_11comp_targetILNS1_3genE5ELNS1_11target_archE942ELNS1_3gpuE9ELNS1_3repE0EEENS1_47radix_sort_onesweep_sort_config_static_selectorELNS0_4arch9wavefront6targetE1EEEvSG_,comdat
.Lfunc_end1636:
	.size	_ZN7rocprim17ROCPRIM_400000_NS6detail17trampoline_kernelINS0_14default_configENS1_35radix_sort_onesweep_config_selectorIdlEEZZNS1_29radix_sort_onesweep_iterationIS3_Lb0EPdS7_N6thrust23THRUST_200600_302600_NS10device_ptrIlEESB_jNS0_19identity_decomposerENS1_16block_id_wrapperIjLb1EEEEE10hipError_tT1_PNSt15iterator_traitsISG_E10value_typeET2_T3_PNSH_ISM_E10value_typeET4_T5_PSR_SS_PNS1_23onesweep_lookback_stateEbbT6_jjT7_P12ihipStream_tbENKUlT_T0_SG_SL_E_clIS7_S7_PlSB_EEDaSZ_S10_SG_SL_EUlSZ_E_NS1_11comp_targetILNS1_3genE5ELNS1_11target_archE942ELNS1_3gpuE9ELNS1_3repE0EEENS1_47radix_sort_onesweep_sort_config_static_selectorELNS0_4arch9wavefront6targetE1EEEvSG_, .Lfunc_end1636-_ZN7rocprim17ROCPRIM_400000_NS6detail17trampoline_kernelINS0_14default_configENS1_35radix_sort_onesweep_config_selectorIdlEEZZNS1_29radix_sort_onesweep_iterationIS3_Lb0EPdS7_N6thrust23THRUST_200600_302600_NS10device_ptrIlEESB_jNS0_19identity_decomposerENS1_16block_id_wrapperIjLb1EEEEE10hipError_tT1_PNSt15iterator_traitsISG_E10value_typeET2_T3_PNSH_ISM_E10value_typeET4_T5_PSR_SS_PNS1_23onesweep_lookback_stateEbbT6_jjT7_P12ihipStream_tbENKUlT_T0_SG_SL_E_clIS7_S7_PlSB_EEDaSZ_S10_SG_SL_EUlSZ_E_NS1_11comp_targetILNS1_3genE5ELNS1_11target_archE942ELNS1_3gpuE9ELNS1_3repE0EEENS1_47radix_sort_onesweep_sort_config_static_selectorELNS0_4arch9wavefront6targetE1EEEvSG_
                                        ; -- End function
	.set _ZN7rocprim17ROCPRIM_400000_NS6detail17trampoline_kernelINS0_14default_configENS1_35radix_sort_onesweep_config_selectorIdlEEZZNS1_29radix_sort_onesweep_iterationIS3_Lb0EPdS7_N6thrust23THRUST_200600_302600_NS10device_ptrIlEESB_jNS0_19identity_decomposerENS1_16block_id_wrapperIjLb1EEEEE10hipError_tT1_PNSt15iterator_traitsISG_E10value_typeET2_T3_PNSH_ISM_E10value_typeET4_T5_PSR_SS_PNS1_23onesweep_lookback_stateEbbT6_jjT7_P12ihipStream_tbENKUlT_T0_SG_SL_E_clIS7_S7_PlSB_EEDaSZ_S10_SG_SL_EUlSZ_E_NS1_11comp_targetILNS1_3genE5ELNS1_11target_archE942ELNS1_3gpuE9ELNS1_3repE0EEENS1_47radix_sort_onesweep_sort_config_static_selectorELNS0_4arch9wavefront6targetE1EEEvSG_.num_vgpr, 0
	.set _ZN7rocprim17ROCPRIM_400000_NS6detail17trampoline_kernelINS0_14default_configENS1_35radix_sort_onesweep_config_selectorIdlEEZZNS1_29radix_sort_onesweep_iterationIS3_Lb0EPdS7_N6thrust23THRUST_200600_302600_NS10device_ptrIlEESB_jNS0_19identity_decomposerENS1_16block_id_wrapperIjLb1EEEEE10hipError_tT1_PNSt15iterator_traitsISG_E10value_typeET2_T3_PNSH_ISM_E10value_typeET4_T5_PSR_SS_PNS1_23onesweep_lookback_stateEbbT6_jjT7_P12ihipStream_tbENKUlT_T0_SG_SL_E_clIS7_S7_PlSB_EEDaSZ_S10_SG_SL_EUlSZ_E_NS1_11comp_targetILNS1_3genE5ELNS1_11target_archE942ELNS1_3gpuE9ELNS1_3repE0EEENS1_47radix_sort_onesweep_sort_config_static_selectorELNS0_4arch9wavefront6targetE1EEEvSG_.num_agpr, 0
	.set _ZN7rocprim17ROCPRIM_400000_NS6detail17trampoline_kernelINS0_14default_configENS1_35radix_sort_onesweep_config_selectorIdlEEZZNS1_29radix_sort_onesweep_iterationIS3_Lb0EPdS7_N6thrust23THRUST_200600_302600_NS10device_ptrIlEESB_jNS0_19identity_decomposerENS1_16block_id_wrapperIjLb1EEEEE10hipError_tT1_PNSt15iterator_traitsISG_E10value_typeET2_T3_PNSH_ISM_E10value_typeET4_T5_PSR_SS_PNS1_23onesweep_lookback_stateEbbT6_jjT7_P12ihipStream_tbENKUlT_T0_SG_SL_E_clIS7_S7_PlSB_EEDaSZ_S10_SG_SL_EUlSZ_E_NS1_11comp_targetILNS1_3genE5ELNS1_11target_archE942ELNS1_3gpuE9ELNS1_3repE0EEENS1_47radix_sort_onesweep_sort_config_static_selectorELNS0_4arch9wavefront6targetE1EEEvSG_.numbered_sgpr, 0
	.set _ZN7rocprim17ROCPRIM_400000_NS6detail17trampoline_kernelINS0_14default_configENS1_35radix_sort_onesweep_config_selectorIdlEEZZNS1_29radix_sort_onesweep_iterationIS3_Lb0EPdS7_N6thrust23THRUST_200600_302600_NS10device_ptrIlEESB_jNS0_19identity_decomposerENS1_16block_id_wrapperIjLb1EEEEE10hipError_tT1_PNSt15iterator_traitsISG_E10value_typeET2_T3_PNSH_ISM_E10value_typeET4_T5_PSR_SS_PNS1_23onesweep_lookback_stateEbbT6_jjT7_P12ihipStream_tbENKUlT_T0_SG_SL_E_clIS7_S7_PlSB_EEDaSZ_S10_SG_SL_EUlSZ_E_NS1_11comp_targetILNS1_3genE5ELNS1_11target_archE942ELNS1_3gpuE9ELNS1_3repE0EEENS1_47radix_sort_onesweep_sort_config_static_selectorELNS0_4arch9wavefront6targetE1EEEvSG_.num_named_barrier, 0
	.set _ZN7rocprim17ROCPRIM_400000_NS6detail17trampoline_kernelINS0_14default_configENS1_35radix_sort_onesweep_config_selectorIdlEEZZNS1_29radix_sort_onesweep_iterationIS3_Lb0EPdS7_N6thrust23THRUST_200600_302600_NS10device_ptrIlEESB_jNS0_19identity_decomposerENS1_16block_id_wrapperIjLb1EEEEE10hipError_tT1_PNSt15iterator_traitsISG_E10value_typeET2_T3_PNSH_ISM_E10value_typeET4_T5_PSR_SS_PNS1_23onesweep_lookback_stateEbbT6_jjT7_P12ihipStream_tbENKUlT_T0_SG_SL_E_clIS7_S7_PlSB_EEDaSZ_S10_SG_SL_EUlSZ_E_NS1_11comp_targetILNS1_3genE5ELNS1_11target_archE942ELNS1_3gpuE9ELNS1_3repE0EEENS1_47radix_sort_onesweep_sort_config_static_selectorELNS0_4arch9wavefront6targetE1EEEvSG_.private_seg_size, 0
	.set _ZN7rocprim17ROCPRIM_400000_NS6detail17trampoline_kernelINS0_14default_configENS1_35radix_sort_onesweep_config_selectorIdlEEZZNS1_29radix_sort_onesweep_iterationIS3_Lb0EPdS7_N6thrust23THRUST_200600_302600_NS10device_ptrIlEESB_jNS0_19identity_decomposerENS1_16block_id_wrapperIjLb1EEEEE10hipError_tT1_PNSt15iterator_traitsISG_E10value_typeET2_T3_PNSH_ISM_E10value_typeET4_T5_PSR_SS_PNS1_23onesweep_lookback_stateEbbT6_jjT7_P12ihipStream_tbENKUlT_T0_SG_SL_E_clIS7_S7_PlSB_EEDaSZ_S10_SG_SL_EUlSZ_E_NS1_11comp_targetILNS1_3genE5ELNS1_11target_archE942ELNS1_3gpuE9ELNS1_3repE0EEENS1_47radix_sort_onesweep_sort_config_static_selectorELNS0_4arch9wavefront6targetE1EEEvSG_.uses_vcc, 0
	.set _ZN7rocprim17ROCPRIM_400000_NS6detail17trampoline_kernelINS0_14default_configENS1_35radix_sort_onesweep_config_selectorIdlEEZZNS1_29radix_sort_onesweep_iterationIS3_Lb0EPdS7_N6thrust23THRUST_200600_302600_NS10device_ptrIlEESB_jNS0_19identity_decomposerENS1_16block_id_wrapperIjLb1EEEEE10hipError_tT1_PNSt15iterator_traitsISG_E10value_typeET2_T3_PNSH_ISM_E10value_typeET4_T5_PSR_SS_PNS1_23onesweep_lookback_stateEbbT6_jjT7_P12ihipStream_tbENKUlT_T0_SG_SL_E_clIS7_S7_PlSB_EEDaSZ_S10_SG_SL_EUlSZ_E_NS1_11comp_targetILNS1_3genE5ELNS1_11target_archE942ELNS1_3gpuE9ELNS1_3repE0EEENS1_47radix_sort_onesweep_sort_config_static_selectorELNS0_4arch9wavefront6targetE1EEEvSG_.uses_flat_scratch, 0
	.set _ZN7rocprim17ROCPRIM_400000_NS6detail17trampoline_kernelINS0_14default_configENS1_35radix_sort_onesweep_config_selectorIdlEEZZNS1_29radix_sort_onesweep_iterationIS3_Lb0EPdS7_N6thrust23THRUST_200600_302600_NS10device_ptrIlEESB_jNS0_19identity_decomposerENS1_16block_id_wrapperIjLb1EEEEE10hipError_tT1_PNSt15iterator_traitsISG_E10value_typeET2_T3_PNSH_ISM_E10value_typeET4_T5_PSR_SS_PNS1_23onesweep_lookback_stateEbbT6_jjT7_P12ihipStream_tbENKUlT_T0_SG_SL_E_clIS7_S7_PlSB_EEDaSZ_S10_SG_SL_EUlSZ_E_NS1_11comp_targetILNS1_3genE5ELNS1_11target_archE942ELNS1_3gpuE9ELNS1_3repE0EEENS1_47radix_sort_onesweep_sort_config_static_selectorELNS0_4arch9wavefront6targetE1EEEvSG_.has_dyn_sized_stack, 0
	.set _ZN7rocprim17ROCPRIM_400000_NS6detail17trampoline_kernelINS0_14default_configENS1_35radix_sort_onesweep_config_selectorIdlEEZZNS1_29radix_sort_onesweep_iterationIS3_Lb0EPdS7_N6thrust23THRUST_200600_302600_NS10device_ptrIlEESB_jNS0_19identity_decomposerENS1_16block_id_wrapperIjLb1EEEEE10hipError_tT1_PNSt15iterator_traitsISG_E10value_typeET2_T3_PNSH_ISM_E10value_typeET4_T5_PSR_SS_PNS1_23onesweep_lookback_stateEbbT6_jjT7_P12ihipStream_tbENKUlT_T0_SG_SL_E_clIS7_S7_PlSB_EEDaSZ_S10_SG_SL_EUlSZ_E_NS1_11comp_targetILNS1_3genE5ELNS1_11target_archE942ELNS1_3gpuE9ELNS1_3repE0EEENS1_47radix_sort_onesweep_sort_config_static_selectorELNS0_4arch9wavefront6targetE1EEEvSG_.has_recursion, 0
	.set _ZN7rocprim17ROCPRIM_400000_NS6detail17trampoline_kernelINS0_14default_configENS1_35radix_sort_onesweep_config_selectorIdlEEZZNS1_29radix_sort_onesweep_iterationIS3_Lb0EPdS7_N6thrust23THRUST_200600_302600_NS10device_ptrIlEESB_jNS0_19identity_decomposerENS1_16block_id_wrapperIjLb1EEEEE10hipError_tT1_PNSt15iterator_traitsISG_E10value_typeET2_T3_PNSH_ISM_E10value_typeET4_T5_PSR_SS_PNS1_23onesweep_lookback_stateEbbT6_jjT7_P12ihipStream_tbENKUlT_T0_SG_SL_E_clIS7_S7_PlSB_EEDaSZ_S10_SG_SL_EUlSZ_E_NS1_11comp_targetILNS1_3genE5ELNS1_11target_archE942ELNS1_3gpuE9ELNS1_3repE0EEENS1_47radix_sort_onesweep_sort_config_static_selectorELNS0_4arch9wavefront6targetE1EEEvSG_.has_indirect_call, 0
	.section	.AMDGPU.csdata,"",@progbits
; Kernel info:
; codeLenInByte = 0
; TotalNumSgprs: 4
; NumVgprs: 0
; ScratchSize: 0
; MemoryBound: 0
; FloatMode: 240
; IeeeMode: 1
; LDSByteSize: 0 bytes/workgroup (compile time only)
; SGPRBlocks: 0
; VGPRBlocks: 0
; NumSGPRsForWavesPerEU: 4
; NumVGPRsForWavesPerEU: 1
; Occupancy: 10
; WaveLimiterHint : 0
; COMPUTE_PGM_RSRC2:SCRATCH_EN: 0
; COMPUTE_PGM_RSRC2:USER_SGPR: 6
; COMPUTE_PGM_RSRC2:TRAP_HANDLER: 0
; COMPUTE_PGM_RSRC2:TGID_X_EN: 1
; COMPUTE_PGM_RSRC2:TGID_Y_EN: 0
; COMPUTE_PGM_RSRC2:TGID_Z_EN: 0
; COMPUTE_PGM_RSRC2:TIDIG_COMP_CNT: 0
	.section	.text._ZN7rocprim17ROCPRIM_400000_NS6detail17trampoline_kernelINS0_14default_configENS1_35radix_sort_onesweep_config_selectorIdlEEZZNS1_29radix_sort_onesweep_iterationIS3_Lb0EPdS7_N6thrust23THRUST_200600_302600_NS10device_ptrIlEESB_jNS0_19identity_decomposerENS1_16block_id_wrapperIjLb1EEEEE10hipError_tT1_PNSt15iterator_traitsISG_E10value_typeET2_T3_PNSH_ISM_E10value_typeET4_T5_PSR_SS_PNS1_23onesweep_lookback_stateEbbT6_jjT7_P12ihipStream_tbENKUlT_T0_SG_SL_E_clIS7_S7_PlSB_EEDaSZ_S10_SG_SL_EUlSZ_E_NS1_11comp_targetILNS1_3genE2ELNS1_11target_archE906ELNS1_3gpuE6ELNS1_3repE0EEENS1_47radix_sort_onesweep_sort_config_static_selectorELNS0_4arch9wavefront6targetE1EEEvSG_,"axG",@progbits,_ZN7rocprim17ROCPRIM_400000_NS6detail17trampoline_kernelINS0_14default_configENS1_35radix_sort_onesweep_config_selectorIdlEEZZNS1_29radix_sort_onesweep_iterationIS3_Lb0EPdS7_N6thrust23THRUST_200600_302600_NS10device_ptrIlEESB_jNS0_19identity_decomposerENS1_16block_id_wrapperIjLb1EEEEE10hipError_tT1_PNSt15iterator_traitsISG_E10value_typeET2_T3_PNSH_ISM_E10value_typeET4_T5_PSR_SS_PNS1_23onesweep_lookback_stateEbbT6_jjT7_P12ihipStream_tbENKUlT_T0_SG_SL_E_clIS7_S7_PlSB_EEDaSZ_S10_SG_SL_EUlSZ_E_NS1_11comp_targetILNS1_3genE2ELNS1_11target_archE906ELNS1_3gpuE6ELNS1_3repE0EEENS1_47radix_sort_onesweep_sort_config_static_selectorELNS0_4arch9wavefront6targetE1EEEvSG_,comdat
	.protected	_ZN7rocprim17ROCPRIM_400000_NS6detail17trampoline_kernelINS0_14default_configENS1_35radix_sort_onesweep_config_selectorIdlEEZZNS1_29radix_sort_onesweep_iterationIS3_Lb0EPdS7_N6thrust23THRUST_200600_302600_NS10device_ptrIlEESB_jNS0_19identity_decomposerENS1_16block_id_wrapperIjLb1EEEEE10hipError_tT1_PNSt15iterator_traitsISG_E10value_typeET2_T3_PNSH_ISM_E10value_typeET4_T5_PSR_SS_PNS1_23onesweep_lookback_stateEbbT6_jjT7_P12ihipStream_tbENKUlT_T0_SG_SL_E_clIS7_S7_PlSB_EEDaSZ_S10_SG_SL_EUlSZ_E_NS1_11comp_targetILNS1_3genE2ELNS1_11target_archE906ELNS1_3gpuE6ELNS1_3repE0EEENS1_47radix_sort_onesweep_sort_config_static_selectorELNS0_4arch9wavefront6targetE1EEEvSG_ ; -- Begin function _ZN7rocprim17ROCPRIM_400000_NS6detail17trampoline_kernelINS0_14default_configENS1_35radix_sort_onesweep_config_selectorIdlEEZZNS1_29radix_sort_onesweep_iterationIS3_Lb0EPdS7_N6thrust23THRUST_200600_302600_NS10device_ptrIlEESB_jNS0_19identity_decomposerENS1_16block_id_wrapperIjLb1EEEEE10hipError_tT1_PNSt15iterator_traitsISG_E10value_typeET2_T3_PNSH_ISM_E10value_typeET4_T5_PSR_SS_PNS1_23onesweep_lookback_stateEbbT6_jjT7_P12ihipStream_tbENKUlT_T0_SG_SL_E_clIS7_S7_PlSB_EEDaSZ_S10_SG_SL_EUlSZ_E_NS1_11comp_targetILNS1_3genE2ELNS1_11target_archE906ELNS1_3gpuE6ELNS1_3repE0EEENS1_47radix_sort_onesweep_sort_config_static_selectorELNS0_4arch9wavefront6targetE1EEEvSG_
	.globl	_ZN7rocprim17ROCPRIM_400000_NS6detail17trampoline_kernelINS0_14default_configENS1_35radix_sort_onesweep_config_selectorIdlEEZZNS1_29radix_sort_onesweep_iterationIS3_Lb0EPdS7_N6thrust23THRUST_200600_302600_NS10device_ptrIlEESB_jNS0_19identity_decomposerENS1_16block_id_wrapperIjLb1EEEEE10hipError_tT1_PNSt15iterator_traitsISG_E10value_typeET2_T3_PNSH_ISM_E10value_typeET4_T5_PSR_SS_PNS1_23onesweep_lookback_stateEbbT6_jjT7_P12ihipStream_tbENKUlT_T0_SG_SL_E_clIS7_S7_PlSB_EEDaSZ_S10_SG_SL_EUlSZ_E_NS1_11comp_targetILNS1_3genE2ELNS1_11target_archE906ELNS1_3gpuE6ELNS1_3repE0EEENS1_47radix_sort_onesweep_sort_config_static_selectorELNS0_4arch9wavefront6targetE1EEEvSG_
	.p2align	8
	.type	_ZN7rocprim17ROCPRIM_400000_NS6detail17trampoline_kernelINS0_14default_configENS1_35radix_sort_onesweep_config_selectorIdlEEZZNS1_29radix_sort_onesweep_iterationIS3_Lb0EPdS7_N6thrust23THRUST_200600_302600_NS10device_ptrIlEESB_jNS0_19identity_decomposerENS1_16block_id_wrapperIjLb1EEEEE10hipError_tT1_PNSt15iterator_traitsISG_E10value_typeET2_T3_PNSH_ISM_E10value_typeET4_T5_PSR_SS_PNS1_23onesweep_lookback_stateEbbT6_jjT7_P12ihipStream_tbENKUlT_T0_SG_SL_E_clIS7_S7_PlSB_EEDaSZ_S10_SG_SL_EUlSZ_E_NS1_11comp_targetILNS1_3genE2ELNS1_11target_archE906ELNS1_3gpuE6ELNS1_3repE0EEENS1_47radix_sort_onesweep_sort_config_static_selectorELNS0_4arch9wavefront6targetE1EEEvSG_,@function
_ZN7rocprim17ROCPRIM_400000_NS6detail17trampoline_kernelINS0_14default_configENS1_35radix_sort_onesweep_config_selectorIdlEEZZNS1_29radix_sort_onesweep_iterationIS3_Lb0EPdS7_N6thrust23THRUST_200600_302600_NS10device_ptrIlEESB_jNS0_19identity_decomposerENS1_16block_id_wrapperIjLb1EEEEE10hipError_tT1_PNSt15iterator_traitsISG_E10value_typeET2_T3_PNSH_ISM_E10value_typeET4_T5_PSR_SS_PNS1_23onesweep_lookback_stateEbbT6_jjT7_P12ihipStream_tbENKUlT_T0_SG_SL_E_clIS7_S7_PlSB_EEDaSZ_S10_SG_SL_EUlSZ_E_NS1_11comp_targetILNS1_3genE2ELNS1_11target_archE906ELNS1_3gpuE6ELNS1_3repE0EEENS1_47radix_sort_onesweep_sort_config_static_selectorELNS0_4arch9wavefront6targetE1EEEvSG_: ; @_ZN7rocprim17ROCPRIM_400000_NS6detail17trampoline_kernelINS0_14default_configENS1_35radix_sort_onesweep_config_selectorIdlEEZZNS1_29radix_sort_onesweep_iterationIS3_Lb0EPdS7_N6thrust23THRUST_200600_302600_NS10device_ptrIlEESB_jNS0_19identity_decomposerENS1_16block_id_wrapperIjLb1EEEEE10hipError_tT1_PNSt15iterator_traitsISG_E10value_typeET2_T3_PNSH_ISM_E10value_typeET4_T5_PSR_SS_PNS1_23onesweep_lookback_stateEbbT6_jjT7_P12ihipStream_tbENKUlT_T0_SG_SL_E_clIS7_S7_PlSB_EEDaSZ_S10_SG_SL_EUlSZ_E_NS1_11comp_targetILNS1_3genE2ELNS1_11target_archE906ELNS1_3gpuE6ELNS1_3repE0EEENS1_47radix_sort_onesweep_sort_config_static_selectorELNS0_4arch9wavefront6targetE1EEEvSG_
; %bb.0:
	s_load_dwordx4 s[28:31], s[4:5], 0x28
	s_load_dwordx2 s[26:27], s[4:5], 0x38
	s_load_dwordx4 s[44:47], s[4:5], 0x44
	s_add_u32 s0, s0, s7
	s_addc_u32 s1, s1, 0
	v_cmp_eq_u32_e64 s[22:23], 0, v0
	s_and_saveexec_b64 s[8:9], s[22:23]
	s_cbranch_execz .LBB1637_4
; %bb.1:
	s_mov_b64 s[12:13], exec
	v_mbcnt_lo_u32_b32 v3, s12, 0
	v_mbcnt_hi_u32_b32 v3, s13, v3
	v_cmp_eq_u32_e32 vcc, 0, v3
                                        ; implicit-def: $vgpr4
	s_and_saveexec_b64 s[10:11], vcc
	s_cbranch_execz .LBB1637_3
; %bb.2:
	s_load_dwordx2 s[14:15], s[4:5], 0x50
	s_bcnt1_i32_b64 s7, s[12:13]
	v_mov_b32_e32 v4, 0
	v_mov_b32_e32 v5, s7
	s_waitcnt lgkmcnt(0)
	global_atomic_add v4, v4, v5, s[14:15] glc
.LBB1637_3:
	s_or_b64 exec, exec, s[10:11]
	s_waitcnt vmcnt(0)
	v_readfirstlane_b32 s7, v4
	v_add_u32_e32 v3, s7, v3
	v_mov_b32_e32 v4, 0
	ds_write_b32 v4, v3 offset:10272
.LBB1637_4:
	s_or_b64 exec, exec, s[8:9]
	v_mov_b32_e32 v3, 0
	s_load_dwordx8 s[36:43], s[4:5], 0x0
	s_load_dword s7, s[4:5], 0x20
	s_waitcnt lgkmcnt(0)
	s_barrier
	ds_read_b32 v3, v3 offset:10272
	s_mov_b64 s[8:9], -1
	v_mbcnt_lo_u32_b32 v21, -1, 0
	s_waitcnt lgkmcnt(0)
	s_barrier
	v_readfirstlane_b32 s33, v3
	v_cmp_le_u32_e32 vcc, s46, v3
	s_mul_i32 s34, s33, 0xc00
	s_cbranch_vccz .LBB1637_76
; %bb.5:
	s_mul_i32 s8, s46, 0xfffff400
	s_mov_b32 s35, 0
	s_add_i32 s7, s8, s7
	s_lshl_b64 s[46:47], s[34:35], 3
	v_mbcnt_hi_u32_b32 v19, -1, v21
	s_add_u32 s8, s36, s46
	v_and_b32_e32 v3, 63, v19
	s_addc_u32 s9, s37, s47
	v_and_b32_e32 v20, 0x1c0, v0
	v_lshlrev_b32_e32 v22, 3, v3
	v_mul_u32_u24_e32 v4, 6, v20
	v_mov_b32_e32 v5, s9
	v_add_co_u32_e32 v6, vcc, s8, v22
	v_addc_co_u32_e32 v5, vcc, 0, v5, vcc
	v_lshlrev_b32_e32 v23, 3, v4
	v_add_co_u32_e32 v15, vcc, v6, v23
	v_addc_co_u32_e32 v16, vcc, 0, v5, vcc
	v_mov_b32_e32 v5, -1
	v_or_b32_e32 v17, v3, v4
	v_bfrev_b32_e32 v6, -2
	v_mov_b32_e32 v3, v5
	v_cmp_gt_u32_e32 vcc, s7, v17
	v_mov_b32_e32 v4, v6
	s_and_saveexec_b64 s[8:9], vcc
	s_cbranch_execz .LBB1637_7
; %bb.6:
	global_load_dwordx2 v[3:4], v[15:16], off
.LBB1637_7:
	s_or_b64 exec, exec, s[8:9]
	v_or_b32_e32 v7, 64, v17
	v_cmp_gt_u32_e64 s[8:9], s7, v7
	s_and_saveexec_b64 s[10:11], s[8:9]
	s_cbranch_execz .LBB1637_9
; %bb.8:
	global_load_dwordx2 v[5:6], v[15:16], off offset:512
.LBB1637_9:
	s_or_b64 exec, exec, s[10:11]
	v_add_u32_e32 v7, 0x80, v17
	v_mov_b32_e32 v9, -1
	v_cmp_gt_u32_e64 s[10:11], s7, v7
	v_bfrev_b32_e32 v10, -2
	v_mov_b32_e32 v7, v9
	v_mov_b32_e32 v8, v10
	s_and_saveexec_b64 s[12:13], s[10:11]
	s_cbranch_execz .LBB1637_11
; %bb.10:
	global_load_dwordx2 v[7:8], v[15:16], off offset:1024
.LBB1637_11:
	s_or_b64 exec, exec, s[12:13]
	v_add_u32_e32 v11, 0xc0, v17
	v_cmp_gt_u32_e64 s[12:13], s7, v11
	s_and_saveexec_b64 s[14:15], s[12:13]
	s_cbranch_execz .LBB1637_13
; %bb.12:
	global_load_dwordx2 v[9:10], v[15:16], off offset:1536
.LBB1637_13:
	s_or_b64 exec, exec, s[14:15]
	v_add_u32_e32 v11, 0x100, v17
	v_bfrev_b32_e32 v12, -2
	v_cmp_gt_u32_e64 s[14:15], s7, v11
	v_mov_b32_e32 v11, -1
	v_mov_b32_e32 v14, v12
	v_mov_b32_e32 v13, v11
	s_and_saveexec_b64 s[16:17], s[14:15]
	s_cbranch_execz .LBB1637_15
; %bb.14:
	global_load_dwordx2 v[13:14], v[15:16], off offset:2048
.LBB1637_15:
	s_or_b64 exec, exec, s[16:17]
	v_add_u32_e32 v17, 0x140, v17
	s_mov_b32 s20, -1
	v_cmp_gt_u32_e64 s[16:17], s7, v17
	s_brev_b32 s21, -2
	s_and_saveexec_b64 s[18:19], s[16:17]
	s_cbranch_execz .LBB1637_17
; %bb.16:
	global_load_dwordx2 v[11:12], v[15:16], off offset:2560
.LBB1637_17:
	s_or_b64 exec, exec, s[18:19]
	s_load_dword s18, s[4:5], 0x64
	s_load_dword s35, s[4:5], 0x58
	s_add_u32 s19, s4, 0x58
	s_addc_u32 s24, s5, 0
	v_mov_b32_e32 v15, 0
	s_waitcnt lgkmcnt(0)
	s_lshr_b32 s25, s18, 16
	s_cmp_lt_u32 s6, s35
	s_cselect_b32 s18, 12, 18
	s_add_u32 s18, s19, s18
	s_addc_u32 s19, s24, 0
	global_load_ushort v18, v15, s[18:19]
	s_waitcnt vmcnt(1)
	v_cmp_lt_i64_e64 s[18:19], -1, v[3:4]
	v_bfrev_b32_e32 v26, 1
	v_ashrrev_i32_e32 v16, 31, v4
	v_cndmask_b32_e64 v17, -1, v26, s[18:19]
	v_xor_b32_e32 v3, v16, v3
	v_xor_b32_e32 v4, v17, v4
	v_cmp_ne_u64_e64 s[18:19], s[20:21], v[3:4]
	v_mad_u32_u24 v24, v2, s25, v1
	v_cndmask_b32_e64 v17, v26, v4, s[18:19]
	v_cndmask_b32_e64 v16, 0, v3, s[18:19]
	v_lshrrev_b64 v[16:17], s44, v[16:17]
	s_lshl_b32 s18, -1, s45
	s_not_b32 s54, s18
	v_and_b32_e32 v17, s54, v16
	v_and_b32_e32 v28, 1, v17
	v_add_co_u32_e64 v29, s[18:19], -1, v28
	v_lshlrev_b32_e32 v16, 30, v17
	v_addc_co_u32_e64 v30, s[18:19], 0, -1, s[18:19]
	v_cmp_ne_u32_e64 s[18:19], 0, v28
	v_cmp_gt_i64_e64 s[20:21], 0, v[15:16]
	v_not_b32_e32 v28, v16
	v_lshlrev_b32_e32 v16, 29, v17
	v_xor_b32_e32 v30, s19, v30
	v_xor_b32_e32 v29, s18, v29
	v_ashrrev_i32_e32 v28, 31, v28
	v_cmp_gt_i64_e64 s[18:19], 0, v[15:16]
	v_not_b32_e32 v31, v16
	v_lshlrev_b32_e32 v16, 28, v17
	v_and_b32_e32 v30, exec_hi, v30
	v_and_b32_e32 v29, exec_lo, v29
	v_xor_b32_e32 v32, s21, v28
	v_xor_b32_e32 v28, s20, v28
	v_ashrrev_i32_e32 v31, 31, v31
	v_cmp_gt_i64_e64 s[20:21], 0, v[15:16]
	v_not_b32_e32 v33, v16
	v_lshlrev_b32_e32 v16, 27, v17
	v_and_b32_e32 v30, v30, v32
	v_and_b32_e32 v28, v29, v28
	v_xor_b32_e32 v29, s19, v31
	v_xor_b32_e32 v31, s18, v31
	v_ashrrev_i32_e32 v32, 31, v33
	v_cmp_gt_i64_e64 s[18:19], 0, v[15:16]
	v_not_b32_e32 v33, v16
	v_lshlrev_b32_e32 v16, 26, v17
	v_and_b32_e32 v29, v30, v29
	v_and_b32_e32 v28, v28, v31
	;; [unrolled: 8-line block ×3, first 2 shown]
	v_xor_b32_e32 v30, s19, v32
	v_xor_b32_e32 v31, s18, v32
	v_ashrrev_i32_e32 v32, 31, v33
	v_mul_lo_u32 v27, v17, 36
	v_cmp_gt_i64_e64 s[18:19], 0, v[15:16]
	v_not_b32_e32 v33, v16
	v_lshlrev_b32_e32 v16, 24, v17
	v_and_b32_e32 v17, v29, v30
	v_xor_b32_e32 v29, s21, v32
	v_xor_b32_e32 v30, s20, v32
	v_and_b32_e32 v29, v17, v29
	v_and_b32_e32 v28, v28, v31
	v_ashrrev_i32_e32 v31, 31, v33
	v_and_b32_e32 v28, v28, v30
	v_xor_b32_e32 v30, s19, v31
	v_mul_u32_u24_e32 v25, 20, v0
	ds_write2_b32 v25, v15, v15 offset0:8 offset1:9
	ds_write2_b32 v25, v15, v15 offset0:10 offset1:11
	ds_write_b32 v25, v15 offset:48
	s_waitcnt vmcnt(0) lgkmcnt(0)
	s_barrier
	; wave barrier
	v_mad_u64_u32 v[17:18], s[20:21], v24, v18, v[0:1]
	v_xor_b32_e32 v18, s18, v31
	v_cmp_gt_i64_e64 s[18:19], 0, v[15:16]
	v_not_b32_e32 v16, v16
	v_ashrrev_i32_e32 v16, 31, v16
	v_and_b32_e32 v24, v29, v30
	v_and_b32_e32 v29, v28, v18
	v_lshrrev_b32_e32 v18, 6, v17
	v_xor_b32_e32 v17, s19, v16
	v_xor_b32_e32 v16, s18, v16
	v_and_b32_e32 v16, v29, v16
	v_and_b32_e32 v17, v24, v17
	v_mbcnt_lo_u32_b32 v24, v16, 0
	v_mbcnt_hi_u32_b32 v24, v17, v24
	v_cmp_ne_u64_e64 s[18:19], 0, v[16:17]
	v_cmp_eq_u32_e64 s[20:21], 0, v24
	v_lshl_add_u32 v28, v18, 2, v27
	s_and_b64 s[20:21], s[18:19], s[20:21]
	s_and_saveexec_b64 s[18:19], s[20:21]
; %bb.18:
	v_bcnt_u32_b32 v16, v16, 0
	v_bcnt_u32_b32 v16, v17, v16
	ds_write_b32 v28, v16 offset:32
; %bb.19:
	s_or_b64 exec, exec, s[18:19]
	v_cmp_lt_i64_e64 s[18:19], -1, v[5:6]
	s_mov_b32 s24, -1
	v_cndmask_b32_e64 v16, -1, v26, s[18:19]
	v_ashrrev_i32_e32 v17, 31, v6
	s_brev_b32 s25, -2
	v_xor_b32_e32 v6, v16, v6
	v_xor_b32_e32 v5, v17, v5
	v_cmp_ne_u64_e64 s[18:19], s[24:25], v[5:6]
	v_cndmask_b32_e64 v17, v26, v6, s[18:19]
	v_cndmask_b32_e64 v16, 0, v5, s[18:19]
	v_lshrrev_b64 v[16:17], s44, v[16:17]
	; wave barrier
	v_and_b32_e32 v17, s54, v16
	v_mul_lo_u32 v16, v17, 36
	v_lshl_add_u32 v30, v18, 2, v16
	v_and_b32_e32 v16, 1, v17
	v_add_co_u32_e64 v27, s[18:19], -1, v16
	v_addc_co_u32_e64 v29, s[18:19], 0, -1, s[18:19]
	v_cmp_ne_u32_e64 s[18:19], 0, v16
	v_xor_b32_e32 v16, s19, v29
	v_and_b32_e32 v29, exec_hi, v16
	v_lshlrev_b32_e32 v16, 30, v17
	v_xor_b32_e32 v27, s18, v27
	v_cmp_gt_i64_e64 s[18:19], 0, v[15:16]
	v_not_b32_e32 v16, v16
	v_ashrrev_i32_e32 v16, 31, v16
	v_and_b32_e32 v27, exec_lo, v27
	v_xor_b32_e32 v31, s19, v16
	v_xor_b32_e32 v16, s18, v16
	v_and_b32_e32 v27, v27, v16
	v_lshlrev_b32_e32 v16, 29, v17
	v_cmp_gt_i64_e64 s[18:19], 0, v[15:16]
	v_not_b32_e32 v16, v16
	v_ashrrev_i32_e32 v16, 31, v16
	v_and_b32_e32 v29, v29, v31
	v_xor_b32_e32 v31, s19, v16
	v_xor_b32_e32 v16, s18, v16
	v_and_b32_e32 v27, v27, v16
	v_lshlrev_b32_e32 v16, 28, v17
	v_cmp_gt_i64_e64 s[18:19], 0, v[15:16]
	v_not_b32_e32 v16, v16
	v_ashrrev_i32_e32 v16, 31, v16
	v_and_b32_e32 v29, v29, v31
	;; [unrolled: 8-line block ×5, first 2 shown]
	v_xor_b32_e32 v31, s19, v16
	v_xor_b32_e32 v16, s18, v16
	v_and_b32_e32 v27, v27, v16
	v_lshlrev_b32_e32 v16, 24, v17
	v_cmp_gt_i64_e64 s[18:19], 0, v[15:16]
	v_not_b32_e32 v15, v16
	v_ashrrev_i32_e32 v15, 31, v15
	v_xor_b32_e32 v16, s19, v15
	v_xor_b32_e32 v15, s18, v15
	ds_read_b32 v26, v30 offset:32
	v_and_b32_e32 v29, v29, v31
	v_and_b32_e32 v15, v27, v15
	;; [unrolled: 1-line block ×3, first 2 shown]
	v_mbcnt_lo_u32_b32 v17, v15, 0
	v_mbcnt_hi_u32_b32 v27, v16, v17
	v_cmp_ne_u64_e64 s[18:19], 0, v[15:16]
	v_cmp_eq_u32_e64 s[20:21], 0, v27
	s_and_b64 s[20:21], s[18:19], s[20:21]
	; wave barrier
	s_and_saveexec_b64 s[18:19], s[20:21]
	s_cbranch_execz .LBB1637_21
; %bb.20:
	v_bcnt_u32_b32 v15, v15, 0
	v_bcnt_u32_b32 v15, v16, v15
	s_waitcnt lgkmcnt(0)
	v_add_u32_e32 v15, v26, v15
	ds_write_b32 v30, v15 offset:32
.LBB1637_21:
	s_or_b64 exec, exec, s[18:19]
	v_cmp_lt_i64_e64 s[18:19], -1, v[7:8]
	v_bfrev_b32_e32 v32, 1
	v_cndmask_b32_e64 v15, -1, v32, s[18:19]
	v_ashrrev_i32_e32 v16, 31, v8
	v_xor_b32_e32 v8, v15, v8
	v_xor_b32_e32 v7, v16, v7
	v_cmp_ne_u64_e64 s[18:19], s[24:25], v[7:8]
	v_cndmask_b32_e64 v16, v32, v8, s[18:19]
	v_cndmask_b32_e64 v15, 0, v7, s[18:19]
	v_lshrrev_b64 v[15:16], s44, v[15:16]
	; wave barrier
	v_and_b32_e32 v17, s54, v15
	v_and_b32_e32 v16, 1, v17
	v_mul_lo_u32 v15, v17, 36
	v_add_co_u32_e64 v31, s[18:19], -1, v16
	v_addc_co_u32_e64 v34, s[18:19], 0, -1, s[18:19]
	v_cmp_ne_u32_e64 s[18:19], 0, v16
	v_xor_b32_e32 v16, s19, v34
	v_lshl_add_u32 v33, v18, 2, v15
	v_mov_b32_e32 v15, 0
	v_and_b32_e32 v34, exec_hi, v16
	v_lshlrev_b32_e32 v16, 30, v17
	v_xor_b32_e32 v31, s18, v31
	v_cmp_gt_i64_e64 s[18:19], 0, v[15:16]
	v_not_b32_e32 v16, v16
	v_ashrrev_i32_e32 v16, 31, v16
	v_and_b32_e32 v31, exec_lo, v31
	v_xor_b32_e32 v35, s19, v16
	v_xor_b32_e32 v16, s18, v16
	v_and_b32_e32 v31, v31, v16
	v_lshlrev_b32_e32 v16, 29, v17
	v_cmp_gt_i64_e64 s[18:19], 0, v[15:16]
	v_not_b32_e32 v16, v16
	v_ashrrev_i32_e32 v16, 31, v16
	v_and_b32_e32 v34, v34, v35
	v_xor_b32_e32 v35, s19, v16
	v_xor_b32_e32 v16, s18, v16
	v_and_b32_e32 v31, v31, v16
	v_lshlrev_b32_e32 v16, 28, v17
	v_cmp_gt_i64_e64 s[18:19], 0, v[15:16]
	v_not_b32_e32 v16, v16
	v_ashrrev_i32_e32 v16, 31, v16
	v_and_b32_e32 v34, v34, v35
	;; [unrolled: 8-line block ×5, first 2 shown]
	v_xor_b32_e32 v35, s19, v16
	v_xor_b32_e32 v16, s18, v16
	v_and_b32_e32 v31, v31, v16
	v_lshlrev_b32_e32 v16, 24, v17
	v_cmp_gt_i64_e64 s[18:19], 0, v[15:16]
	v_not_b32_e32 v16, v16
	v_ashrrev_i32_e32 v16, 31, v16
	v_xor_b32_e32 v17, s19, v16
	v_xor_b32_e32 v16, s18, v16
	ds_read_b32 v29, v33 offset:32
	v_and_b32_e32 v34, v34, v35
	v_and_b32_e32 v16, v31, v16
	;; [unrolled: 1-line block ×3, first 2 shown]
	v_mbcnt_lo_u32_b32 v31, v16, 0
	v_mbcnt_hi_u32_b32 v31, v17, v31
	v_cmp_ne_u64_e64 s[18:19], 0, v[16:17]
	v_cmp_eq_u32_e64 s[20:21], 0, v31
	s_and_b64 s[20:21], s[18:19], s[20:21]
	; wave barrier
	s_and_saveexec_b64 s[18:19], s[20:21]
	s_cbranch_execz .LBB1637_23
; %bb.22:
	v_bcnt_u32_b32 v16, v16, 0
	v_bcnt_u32_b32 v16, v17, v16
	s_waitcnt lgkmcnt(0)
	v_add_u32_e32 v16, v29, v16
	ds_write_b32 v33, v16 offset:32
.LBB1637_23:
	s_or_b64 exec, exec, s[18:19]
	v_cmp_lt_i64_e64 s[18:19], -1, v[9:10]
	v_ashrrev_i32_e32 v17, 31, v10
	v_cndmask_b32_e64 v16, -1, v32, s[18:19]
	v_xor_b32_e32 v10, v16, v10
	v_xor_b32_e32 v9, v17, v9
	v_cmp_ne_u64_e64 s[18:19], s[24:25], v[9:10]
	v_cndmask_b32_e64 v17, v32, v10, s[18:19]
	v_cndmask_b32_e64 v16, 0, v9, s[18:19]
	v_lshrrev_b64 v[16:17], s44, v[16:17]
	; wave barrier
	v_and_b32_e32 v17, s54, v16
	v_mul_lo_u32 v16, v17, 36
	v_lshl_add_u32 v36, v18, 2, v16
	v_and_b32_e32 v16, 1, v17
	v_add_co_u32_e64 v34, s[18:19], -1, v16
	v_addc_co_u32_e64 v35, s[18:19], 0, -1, s[18:19]
	v_cmp_ne_u32_e64 s[18:19], 0, v16
	v_xor_b32_e32 v16, s19, v35
	v_and_b32_e32 v35, exec_hi, v16
	v_lshlrev_b32_e32 v16, 30, v17
	v_xor_b32_e32 v34, s18, v34
	v_cmp_gt_i64_e64 s[18:19], 0, v[15:16]
	v_not_b32_e32 v16, v16
	v_ashrrev_i32_e32 v16, 31, v16
	v_and_b32_e32 v34, exec_lo, v34
	v_xor_b32_e32 v37, s19, v16
	v_xor_b32_e32 v16, s18, v16
	v_and_b32_e32 v34, v34, v16
	v_lshlrev_b32_e32 v16, 29, v17
	v_cmp_gt_i64_e64 s[18:19], 0, v[15:16]
	v_not_b32_e32 v16, v16
	v_ashrrev_i32_e32 v16, 31, v16
	v_and_b32_e32 v35, v35, v37
	v_xor_b32_e32 v37, s19, v16
	v_xor_b32_e32 v16, s18, v16
	v_and_b32_e32 v34, v34, v16
	v_lshlrev_b32_e32 v16, 28, v17
	v_cmp_gt_i64_e64 s[18:19], 0, v[15:16]
	v_not_b32_e32 v16, v16
	v_ashrrev_i32_e32 v16, 31, v16
	v_and_b32_e32 v35, v35, v37
	;; [unrolled: 8-line block ×5, first 2 shown]
	v_xor_b32_e32 v37, s19, v16
	v_xor_b32_e32 v16, s18, v16
	v_and_b32_e32 v34, v34, v16
	v_lshlrev_b32_e32 v16, 24, v17
	v_cmp_gt_i64_e64 s[18:19], 0, v[15:16]
	v_not_b32_e32 v15, v16
	v_ashrrev_i32_e32 v15, 31, v15
	v_xor_b32_e32 v16, s19, v15
	v_xor_b32_e32 v15, s18, v15
	ds_read_b32 v32, v36 offset:32
	v_and_b32_e32 v35, v35, v37
	v_and_b32_e32 v15, v34, v15
	;; [unrolled: 1-line block ×3, first 2 shown]
	v_mbcnt_lo_u32_b32 v17, v15, 0
	v_mbcnt_hi_u32_b32 v34, v16, v17
	v_cmp_ne_u64_e64 s[18:19], 0, v[15:16]
	v_cmp_eq_u32_e64 s[20:21], 0, v34
	s_and_b64 s[20:21], s[18:19], s[20:21]
	; wave barrier
	s_and_saveexec_b64 s[18:19], s[20:21]
	s_cbranch_execz .LBB1637_25
; %bb.24:
	v_bcnt_u32_b32 v15, v15, 0
	v_bcnt_u32_b32 v15, v16, v15
	s_waitcnt lgkmcnt(0)
	v_add_u32_e32 v15, v32, v15
	ds_write_b32 v36, v15 offset:32
.LBB1637_25:
	s_or_b64 exec, exec, s[18:19]
	v_cmp_lt_i64_e64 s[18:19], -1, v[13:14]
	v_bfrev_b32_e32 v38, 1
	v_cndmask_b32_e64 v15, -1, v38, s[18:19]
	v_ashrrev_i32_e32 v16, 31, v14
	v_xor_b32_e32 v14, v15, v14
	v_xor_b32_e32 v13, v16, v13
	v_cmp_ne_u64_e64 s[18:19], s[24:25], v[13:14]
	v_cndmask_b32_e64 v16, v38, v14, s[18:19]
	v_cndmask_b32_e64 v15, 0, v13, s[18:19]
	v_lshrrev_b64 v[15:16], s44, v[15:16]
	; wave barrier
	v_and_b32_e32 v17, s54, v15
	v_and_b32_e32 v16, 1, v17
	v_mul_lo_u32 v15, v17, 36
	v_add_co_u32_e64 v37, s[18:19], -1, v16
	v_addc_co_u32_e64 v40, s[18:19], 0, -1, s[18:19]
	v_cmp_ne_u32_e64 s[18:19], 0, v16
	v_xor_b32_e32 v16, s19, v40
	v_lshl_add_u32 v39, v18, 2, v15
	v_mov_b32_e32 v15, 0
	v_and_b32_e32 v40, exec_hi, v16
	v_lshlrev_b32_e32 v16, 30, v17
	v_xor_b32_e32 v37, s18, v37
	v_cmp_gt_i64_e64 s[18:19], 0, v[15:16]
	v_not_b32_e32 v16, v16
	v_ashrrev_i32_e32 v16, 31, v16
	v_and_b32_e32 v37, exec_lo, v37
	v_xor_b32_e32 v41, s19, v16
	v_xor_b32_e32 v16, s18, v16
	v_and_b32_e32 v37, v37, v16
	v_lshlrev_b32_e32 v16, 29, v17
	v_cmp_gt_i64_e64 s[18:19], 0, v[15:16]
	v_not_b32_e32 v16, v16
	v_ashrrev_i32_e32 v16, 31, v16
	v_and_b32_e32 v40, v40, v41
	v_xor_b32_e32 v41, s19, v16
	v_xor_b32_e32 v16, s18, v16
	v_and_b32_e32 v37, v37, v16
	v_lshlrev_b32_e32 v16, 28, v17
	v_cmp_gt_i64_e64 s[18:19], 0, v[15:16]
	v_not_b32_e32 v16, v16
	v_ashrrev_i32_e32 v16, 31, v16
	v_and_b32_e32 v40, v40, v41
	;; [unrolled: 8-line block ×5, first 2 shown]
	v_xor_b32_e32 v41, s19, v16
	v_xor_b32_e32 v16, s18, v16
	v_and_b32_e32 v37, v37, v16
	v_lshlrev_b32_e32 v16, 24, v17
	v_cmp_gt_i64_e64 s[18:19], 0, v[15:16]
	v_not_b32_e32 v16, v16
	v_ashrrev_i32_e32 v16, 31, v16
	v_xor_b32_e32 v17, s19, v16
	v_xor_b32_e32 v16, s18, v16
	ds_read_b32 v35, v39 offset:32
	v_and_b32_e32 v40, v40, v41
	v_and_b32_e32 v16, v37, v16
	;; [unrolled: 1-line block ×3, first 2 shown]
	v_mbcnt_lo_u32_b32 v37, v16, 0
	v_mbcnt_hi_u32_b32 v37, v17, v37
	v_cmp_ne_u64_e64 s[18:19], 0, v[16:17]
	v_cmp_eq_u32_e64 s[20:21], 0, v37
	s_and_b64 s[20:21], s[18:19], s[20:21]
	; wave barrier
	s_and_saveexec_b64 s[18:19], s[20:21]
	s_cbranch_execz .LBB1637_27
; %bb.26:
	v_bcnt_u32_b32 v16, v16, 0
	v_bcnt_u32_b32 v16, v17, v16
	s_waitcnt lgkmcnt(0)
	v_add_u32_e32 v16, v35, v16
	ds_write_b32 v39, v16 offset:32
.LBB1637_27:
	s_or_b64 exec, exec, s[18:19]
	v_cmp_lt_i64_e64 s[18:19], -1, v[11:12]
	s_mov_b32 s20, -1
	v_cndmask_b32_e64 v16, -1, v38, s[18:19]
	v_ashrrev_i32_e32 v17, 31, v12
	s_brev_b32 s21, -2
	v_xor_b32_e32 v12, v16, v12
	v_xor_b32_e32 v11, v17, v11
	v_cmp_ne_u64_e64 s[18:19], s[20:21], v[11:12]
	v_cndmask_b32_e64 v17, v38, v12, s[18:19]
	v_cndmask_b32_e64 v16, 0, v11, s[18:19]
	v_lshrrev_b64 v[16:17], s44, v[16:17]
	; wave barrier
	v_and_b32_e32 v17, s54, v16
	v_mul_lo_u32 v16, v17, 36
	v_lshl_add_u32 v41, v18, 2, v16
	v_and_b32_e32 v16, 1, v17
	v_add_co_u32_e64 v18, s[18:19], -1, v16
	v_addc_co_u32_e64 v40, s[18:19], 0, -1, s[18:19]
	v_cmp_ne_u32_e64 s[18:19], 0, v16
	v_xor_b32_e32 v16, s19, v40
	v_and_b32_e32 v40, exec_hi, v16
	v_lshlrev_b32_e32 v16, 30, v17
	v_xor_b32_e32 v18, s18, v18
	v_cmp_gt_i64_e64 s[18:19], 0, v[15:16]
	v_not_b32_e32 v16, v16
	v_ashrrev_i32_e32 v16, 31, v16
	v_and_b32_e32 v18, exec_lo, v18
	v_xor_b32_e32 v42, s19, v16
	v_xor_b32_e32 v16, s18, v16
	v_and_b32_e32 v18, v18, v16
	v_lshlrev_b32_e32 v16, 29, v17
	v_cmp_gt_i64_e64 s[18:19], 0, v[15:16]
	v_not_b32_e32 v16, v16
	v_ashrrev_i32_e32 v16, 31, v16
	v_and_b32_e32 v40, v40, v42
	v_xor_b32_e32 v42, s19, v16
	v_xor_b32_e32 v16, s18, v16
	v_and_b32_e32 v18, v18, v16
	v_lshlrev_b32_e32 v16, 28, v17
	v_cmp_gt_i64_e64 s[18:19], 0, v[15:16]
	v_not_b32_e32 v16, v16
	v_ashrrev_i32_e32 v16, 31, v16
	v_and_b32_e32 v40, v40, v42
	;; [unrolled: 8-line block ×5, first 2 shown]
	v_xor_b32_e32 v42, s19, v16
	v_xor_b32_e32 v16, s18, v16
	v_and_b32_e32 v18, v18, v16
	v_lshlrev_b32_e32 v16, 24, v17
	v_cmp_gt_i64_e64 s[18:19], 0, v[15:16]
	v_not_b32_e32 v15, v16
	v_ashrrev_i32_e32 v15, 31, v15
	v_xor_b32_e32 v16, s19, v15
	v_xor_b32_e32 v15, s18, v15
	ds_read_b32 v38, v41 offset:32
	v_and_b32_e32 v40, v40, v42
	v_and_b32_e32 v15, v18, v15
	;; [unrolled: 1-line block ×3, first 2 shown]
	v_mbcnt_lo_u32_b32 v17, v15, 0
	v_mbcnt_hi_u32_b32 v40, v16, v17
	v_cmp_ne_u64_e64 s[18:19], 0, v[15:16]
	v_cmp_eq_u32_e64 s[20:21], 0, v40
	s_and_b64 s[20:21], s[18:19], s[20:21]
	; wave barrier
	s_and_saveexec_b64 s[18:19], s[20:21]
	s_cbranch_execz .LBB1637_29
; %bb.28:
	v_bcnt_u32_b32 v15, v15, 0
	v_bcnt_u32_b32 v15, v16, v15
	s_waitcnt lgkmcnt(0)
	v_add_u32_e32 v15, v38, v15
	ds_write_b32 v41, v15 offset:32
.LBB1637_29:
	s_or_b64 exec, exec, s[18:19]
	; wave barrier
	s_waitcnt lgkmcnt(0)
	s_barrier
	ds_read2_b32 v[17:18], v25 offset0:8 offset1:9
	ds_read2_b32 v[15:16], v25 offset0:10 offset1:11
	ds_read_b32 v42, v25 offset:48
	v_min_u32_e32 v20, 0x1c0, v20
	v_or_b32_e32 v20, 63, v20
	s_waitcnt lgkmcnt(1)
	v_add3_u32 v43, v18, v17, v15
	s_waitcnt lgkmcnt(0)
	v_add3_u32 v42, v43, v16, v42
	v_and_b32_e32 v43, 15, v19
	v_cmp_ne_u32_e64 s[18:19], 0, v43
	v_mov_b32_dpp v44, v42 row_shr:1 row_mask:0xf bank_mask:0xf
	v_cndmask_b32_e64 v44, 0, v44, s[18:19]
	v_add_u32_e32 v42, v44, v42
	v_cmp_lt_u32_e64 s[18:19], 1, v43
	s_nop 0
	v_mov_b32_dpp v44, v42 row_shr:2 row_mask:0xf bank_mask:0xf
	v_cndmask_b32_e64 v44, 0, v44, s[18:19]
	v_add_u32_e32 v42, v42, v44
	v_cmp_lt_u32_e64 s[18:19], 3, v43
	s_nop 0
	;; [unrolled: 5-line block ×3, first 2 shown]
	v_mov_b32_dpp v44, v42 row_shr:8 row_mask:0xf bank_mask:0xf
	v_cndmask_b32_e64 v43, 0, v44, s[18:19]
	v_add_u32_e32 v42, v42, v43
	v_bfe_i32 v44, v19, 4, 1
	v_cmp_lt_u32_e64 s[18:19], 31, v19
	v_mov_b32_dpp v43, v42 row_bcast:15 row_mask:0xf bank_mask:0xf
	v_and_b32_e32 v43, v44, v43
	v_add_u32_e32 v42, v42, v43
	s_nop 1
	v_mov_b32_dpp v43, v42 row_bcast:31 row_mask:0xf bank_mask:0xf
	v_cndmask_b32_e64 v43, 0, v43, s[18:19]
	v_add_u32_e32 v42, v42, v43
	v_lshrrev_b32_e32 v43, 6, v0
	v_cmp_eq_u32_e64 s[18:19], v0, v20
	s_and_saveexec_b64 s[20:21], s[18:19]
; %bb.30:
	v_lshlrev_b32_e32 v20, 2, v43
	ds_write_b32 v20, v42
; %bb.31:
	s_or_b64 exec, exec, s[20:21]
	v_cmp_gt_u32_e64 s[18:19], 8, v0
	s_waitcnt lgkmcnt(0)
	s_barrier
	s_and_saveexec_b64 s[20:21], s[18:19]
	s_cbranch_execz .LBB1637_33
; %bb.32:
	v_lshlrev_b32_e32 v20, 2, v0
	ds_read_b32 v44, v20
	v_and_b32_e32 v45, 7, v19
	v_cmp_ne_u32_e64 s[18:19], 0, v45
	s_waitcnt lgkmcnt(0)
	v_mov_b32_dpp v46, v44 row_shr:1 row_mask:0xf bank_mask:0xf
	v_cndmask_b32_e64 v46, 0, v46, s[18:19]
	v_add_u32_e32 v44, v46, v44
	v_cmp_lt_u32_e64 s[18:19], 1, v45
	s_nop 0
	v_mov_b32_dpp v46, v44 row_shr:2 row_mask:0xf bank_mask:0xf
	v_cndmask_b32_e64 v46, 0, v46, s[18:19]
	v_add_u32_e32 v44, v44, v46
	v_cmp_lt_u32_e64 s[18:19], 3, v45
	s_nop 0
	v_mov_b32_dpp v46, v44 row_shr:4 row_mask:0xf bank_mask:0xf
	v_cndmask_b32_e64 v45, 0, v46, s[18:19]
	v_add_u32_e32 v44, v44, v45
	ds_write_b32 v20, v44
.LBB1637_33:
	s_or_b64 exec, exec, s[20:21]
	v_cmp_lt_u32_e64 s[18:19], 63, v0
	v_mov_b32_e32 v20, 0
	s_waitcnt lgkmcnt(0)
	s_barrier
	s_and_saveexec_b64 s[20:21], s[18:19]
; %bb.34:
	v_lshl_add_u32 v20, v43, 2, -4
	ds_read_b32 v20, v20
; %bb.35:
	s_or_b64 exec, exec, s[20:21]
	v_subrev_co_u32_e64 v43, s[18:19], 1, v19
	v_and_b32_e32 v44, 64, v19
	v_cmp_lt_i32_e64 s[20:21], v43, v44
	v_cndmask_b32_e64 v19, v43, v19, s[20:21]
	s_waitcnt lgkmcnt(0)
	v_add_u32_e32 v42, v20, v42
	v_lshlrev_b32_e32 v19, 2, v19
	ds_bpermute_b32 v19, v19, v42
	s_movk_i32 s24, 0x100
	v_cmp_gt_u32_e64 s[20:21], s24, v0
	s_waitcnt lgkmcnt(0)
	v_cndmask_b32_e64 v19, v19, v20, s[18:19]
	v_cndmask_b32_e64 v19, v19, 0, s[22:23]
	v_add_u32_e32 v17, v19, v17
	v_add_u32_e32 v18, v17, v18
	;; [unrolled: 1-line block ×4, first 2 shown]
	ds_write2_b32 v25, v19, v17 offset0:8 offset1:9
	ds_write2_b32 v25, v18, v15 offset0:10 offset1:11
	ds_write_b32 v25, v16 offset:48
	s_waitcnt lgkmcnt(0)
	s_barrier
	ds_read_b32 v43, v28 offset:32
	ds_read_b32 v42, v30 offset:32
	;; [unrolled: 1-line block ×6, first 2 shown]
	s_movk_i32 s18, 0xff
	v_cmp_lt_u32_e64 s[18:19], s18, v0
                                        ; implicit-def: $vgpr25
                                        ; implicit-def: $vgpr28
	s_and_saveexec_b64 s[48:49], s[20:21]
	s_cbranch_execz .LBB1637_39
; %bb.36:
	v_mul_u32_u24_e32 v15, 36, v0
	ds_read_b32 v25, v15 offset:32
	v_add_u32_e32 v16, 1, v0
	v_cmp_ne_u32_e64 s[24:25], s24, v16
	v_mov_b32_e32 v15, 0xc00
	s_and_saveexec_b64 s[50:51], s[24:25]
; %bb.37:
	v_mul_u32_u24_e32 v15, 36, v16
	ds_read_b32 v15, v15 offset:32
; %bb.38:
	s_or_b64 exec, exec, s[50:51]
	s_waitcnt lgkmcnt(0)
	v_sub_u32_e32 v28, v15, v25
.LBB1637_39:
	s_or_b64 exec, exec, s[48:49]
	v_mov_b32_e32 v16, 0
	v_lshlrev_b32_e32 v30, 2, v0
	s_waitcnt lgkmcnt(0)
	s_barrier
	s_and_saveexec_b64 s[24:25], s[20:21]
	s_cbranch_execz .LBB1637_49
; %bb.40:
	v_lshl_add_u32 v15, s33, 8, v0
	v_lshlrev_b64 v[17:18], 2, v[15:16]
	v_mov_b32_e32 v44, s27
	v_add_co_u32_e64 v17, s[20:21], s26, v17
	v_addc_co_u32_e64 v18, s[20:21], v44, v18, s[20:21]
	v_or_b32_e32 v15, 2.0, v28
	s_mov_b64 s[48:49], 0
	s_brev_b32 s55, -4
	s_mov_b32 s56, s33
	v_mov_b32_e32 v45, 0
	global_store_dword v[17:18], v15, off
                                        ; implicit-def: $sgpr20_sgpr21
	s_branch .LBB1637_43
.LBB1637_41:                            ;   in Loop: Header=BB1637_43 Depth=1
	s_or_b64 exec, exec, s[52:53]
.LBB1637_42:                            ;   in Loop: Header=BB1637_43 Depth=1
	s_or_b64 exec, exec, s[50:51]
	v_and_b32_e32 v19, 0x3fffffff, v15
	v_add_u32_e32 v45, v19, v45
	v_cmp_gt_i32_e64 s[20:21], -2.0, v15
	s_and_b64 s[50:51], exec, s[20:21]
	s_or_b64 s[48:49], s[50:51], s[48:49]
	s_andn2_b64 exec, exec, s[48:49]
	s_cbranch_execz .LBB1637_48
.LBB1637_43:                            ; =>This Loop Header: Depth=1
                                        ;     Child Loop BB1637_46 Depth 2
	s_or_b64 s[20:21], s[20:21], exec
	s_cmp_eq_u32 s56, 0
	s_cbranch_scc1 .LBB1637_47
; %bb.44:                               ;   in Loop: Header=BB1637_43 Depth=1
	s_add_i32 s56, s56, -1
	v_lshl_or_b32 v15, s56, 8, v0
	v_lshlrev_b64 v[19:20], 2, v[15:16]
	v_add_co_u32_e64 v19, s[20:21], s26, v19
	v_addc_co_u32_e64 v20, s[20:21], v44, v20, s[20:21]
	global_load_dword v15, v[19:20], off glc
	s_waitcnt vmcnt(0)
	v_cmp_gt_u32_e64 s[20:21], 2.0, v15
	s_and_saveexec_b64 s[50:51], s[20:21]
	s_cbranch_execz .LBB1637_42
; %bb.45:                               ;   in Loop: Header=BB1637_43 Depth=1
	s_mov_b64 s[52:53], 0
.LBB1637_46:                            ;   Parent Loop BB1637_43 Depth=1
                                        ; =>  This Inner Loop Header: Depth=2
	global_load_dword v15, v[19:20], off glc
	s_waitcnt vmcnt(0)
	v_cmp_lt_u32_e64 s[20:21], s55, v15
	s_or_b64 s[52:53], s[20:21], s[52:53]
	s_andn2_b64 exec, exec, s[52:53]
	s_cbranch_execnz .LBB1637_46
	s_branch .LBB1637_41
.LBB1637_47:                            ;   in Loop: Header=BB1637_43 Depth=1
                                        ; implicit-def: $sgpr56
	s_and_b64 s[50:51], exec, s[20:21]
	s_or_b64 s[48:49], s[50:51], s[48:49]
	s_andn2_b64 exec, exec, s[48:49]
	s_cbranch_execnz .LBB1637_43
.LBB1637_48:
	s_or_b64 exec, exec, s[48:49]
	v_add_u32_e32 v15, v45, v28
	v_or_b32_e32 v15, 0x80000000, v15
	global_store_dword v[17:18], v15, off
	global_load_dword v15, v30, s[28:29]
	v_sub_u32_e32 v16, v45, v25
	s_waitcnt vmcnt(0)
	v_add_u32_e32 v15, v16, v15
	ds_write_b32 v30, v15
.LBB1637_49:
	s_or_b64 exec, exec, s[24:25]
	s_mov_b32 s24, -1
	v_add_u32_e32 v17, v43, v24
	v_add3_u32 v18, v40, v41, v38
	v_add3_u32 v19, v37, v39, v35
	;; [unrolled: 1-line block ×5, first 2 shown]
	s_mov_b32 s50, 0
	s_mov_b32 s51, 0
	v_add_u32_e32 v27, v30, v30
	s_brev_b32 s25, -2
	v_mov_b32_e32 v16, 0
	s_movk_i32 s52, 0x200
	v_bfrev_b32_e32 v29, 1
	v_mov_b32_e32 v31, v0
	s_branch .LBB1637_51
.LBB1637_50:                            ;   in Loop: Header=BB1637_51 Depth=1
	s_or_b64 exec, exec, s[48:49]
	s_addk_i32 s51, 0xfc00
	s_add_i32 s50, s50, 8
	s_cmpk_eq_i32 s51, 0xf400
	v_add_u32_e32 v31, 0x400, v31
	s_waitcnt vmcnt(0)
	s_barrier
	s_cbranch_scc1 .LBB1637_55
.LBB1637_51:                            ; =>This Inner Loop Header: Depth=1
	v_add_u32_e32 v15, s51, v17
	v_min_u32_e32 v15, 0x400, v15
	v_lshlrev_b32_e32 v15, 3, v15
	ds_write_b64 v15, v[3:4] offset:1024
	v_add_u32_e32 v15, s51, v26
	v_min_u32_e32 v15, 0x400, v15
	v_lshlrev_b32_e32 v15, 3, v15
	ds_write_b64 v15, v[5:6] offset:1024
	;; [unrolled: 4-line block ×5, first 2 shown]
	v_add_u32_e32 v15, s51, v18
	v_min_u32_e32 v15, 0x400, v15
	v_lshlrev_b32_e32 v15, 3, v15
	v_cmp_gt_u32_e64 s[20:21], s7, v31
	ds_write_b64 v15, v[11:12] offset:1024
	s_waitcnt lgkmcnt(0)
	s_barrier
	s_and_saveexec_b64 s[48:49], s[20:21]
	s_cbranch_execz .LBB1637_53
; %bb.52:                               ;   in Loop: Header=BB1637_51 Depth=1
	ds_read_b64 v[32:33], v27 offset:1024
	v_mov_b32_e32 v36, s39
	s_waitcnt lgkmcnt(0)
	v_cmp_ne_u64_e64 s[20:21], s[24:25], v[32:33]
	v_cndmask_b32_e64 v35, v29, v33, s[20:21]
	v_cndmask_b32_e64 v34, 0, v32, s[20:21]
	v_lshrrev_b64 v[34:35], s44, v[34:35]
	v_cmp_lt_i64_e64 s[20:21], -1, v[32:33]
	v_and_b32_e32 v37, s54, v34
	v_lshlrev_b32_e32 v34, 2, v37
	ds_read_b32 v34, v34
	v_cndmask_b32_e64 v15, v29, -1, s[20:21]
	v_ashrrev_i32_e32 v35, 31, v33
	v_not_b32_e32 v35, v35
	v_xor_b32_e32 v33, v15, v33
	s_waitcnt lgkmcnt(0)
	v_add_u32_e32 v15, v31, v34
	v_xor_b32_e32 v32, v35, v32
	v_lshlrev_b64 v[34:35], 3, v[15:16]
	v_mov_b32_e32 v15, s50
	v_add_co_u32_e64 v34, s[20:21], s38, v34
	v_addc_co_u32_e64 v35, s[20:21], v36, v35, s[20:21]
	global_store_dwordx2 v[34:35], v[32:33], off
	buffer_store_dword v37, v15, s[0:3], 0 offen
.LBB1637_53:                            ;   in Loop: Header=BB1637_51 Depth=1
	s_or_b64 exec, exec, s[48:49]
	v_add_u32_e32 v15, 0x200, v31
	v_cmp_gt_u32_e64 s[20:21], s7, v15
	s_and_saveexec_b64 s[48:49], s[20:21]
	s_cbranch_execz .LBB1637_50
; %bb.54:                               ;   in Loop: Header=BB1637_51 Depth=1
	ds_read_b64 v[32:33], v27 offset:5120
	v_mov_b32_e32 v36, s39
	s_waitcnt lgkmcnt(0)
	v_cmp_ne_u64_e64 s[20:21], s[24:25], v[32:33]
	v_cndmask_b32_e64 v35, v29, v33, s[20:21]
	v_cndmask_b32_e64 v34, 0, v32, s[20:21]
	v_lshrrev_b64 v[34:35], s44, v[34:35]
	v_cmp_lt_i64_e64 s[20:21], -1, v[32:33]
	v_and_b32_e32 v37, s54, v34
	v_lshlrev_b32_e32 v34, 2, v37
	ds_read_b32 v34, v34
	v_cndmask_b32_e64 v15, v29, -1, s[20:21]
	v_ashrrev_i32_e32 v35, 31, v33
	v_not_b32_e32 v35, v35
	v_xor_b32_e32 v33, v15, v33
	s_waitcnt lgkmcnt(0)
	v_add3_u32 v15, v31, v34, s52
	v_xor_b32_e32 v32, v35, v32
	v_lshlrev_b64 v[34:35], 3, v[15:16]
	v_mov_b32_e32 v15, s50
	v_add_co_u32_e64 v34, s[20:21], s38, v34
	v_addc_co_u32_e64 v35, s[20:21], v36, v35, s[20:21]
	global_store_dwordx2 v[34:35], v[32:33], off
	buffer_store_dword v37, v15, s[0:3], 0 offen offset:4
	s_branch .LBB1637_50
.LBB1637_55:
	s_add_u32 s20, s40, s46
	s_addc_u32 s21, s41, s47
	v_mov_b32_e32 v3, s21
	v_add_co_u32_e64 v4, s[20:21], s20, v22
	v_addc_co_u32_e64 v3, s[20:21], 0, v3, s[20:21]
	v_add_co_u32_e64 v15, s[20:21], v4, v23
	v_addc_co_u32_e64 v16, s[20:21], 0, v3, s[20:21]
                                        ; implicit-def: $vgpr3_vgpr4
	s_and_saveexec_b64 s[20:21], vcc
	s_cbranch_execz .LBB1637_61
; %bb.56:
	global_load_dwordx2 v[3:4], v[15:16], off
	s_or_b64 exec, exec, s[20:21]
                                        ; implicit-def: $vgpr5_vgpr6
	s_and_saveexec_b64 s[20:21], s[8:9]
	s_cbranch_execnz .LBB1637_62
.LBB1637_57:
	s_or_b64 exec, exec, s[20:21]
                                        ; implicit-def: $vgpr7_vgpr8
	s_and_saveexec_b64 s[8:9], s[10:11]
	s_cbranch_execz .LBB1637_63
.LBB1637_58:
	global_load_dwordx2 v[7:8], v[15:16], off offset:1024
	s_or_b64 exec, exec, s[8:9]
                                        ; implicit-def: $vgpr9_vgpr10
	s_and_saveexec_b64 s[8:9], s[12:13]
	s_cbranch_execnz .LBB1637_64
.LBB1637_59:
	s_or_b64 exec, exec, s[8:9]
                                        ; implicit-def: $vgpr11_vgpr12
	s_and_saveexec_b64 s[8:9], s[14:15]
	s_cbranch_execz .LBB1637_65
.LBB1637_60:
	global_load_dwordx2 v[11:12], v[15:16], off offset:2048
	s_or_b64 exec, exec, s[8:9]
                                        ; implicit-def: $vgpr13_vgpr14
	s_and_saveexec_b64 s[8:9], s[16:17]
	s_cbranch_execnz .LBB1637_66
	s_branch .LBB1637_67
.LBB1637_61:
	s_or_b64 exec, exec, s[20:21]
                                        ; implicit-def: $vgpr5_vgpr6
	s_and_saveexec_b64 s[20:21], s[8:9]
	s_cbranch_execz .LBB1637_57
.LBB1637_62:
	global_load_dwordx2 v[5:6], v[15:16], off offset:512
	s_or_b64 exec, exec, s[20:21]
                                        ; implicit-def: $vgpr7_vgpr8
	s_and_saveexec_b64 s[8:9], s[10:11]
	s_cbranch_execnz .LBB1637_58
.LBB1637_63:
	s_or_b64 exec, exec, s[8:9]
                                        ; implicit-def: $vgpr9_vgpr10
	s_and_saveexec_b64 s[8:9], s[12:13]
	s_cbranch_execz .LBB1637_59
.LBB1637_64:
	global_load_dwordx2 v[9:10], v[15:16], off offset:1536
	s_or_b64 exec, exec, s[8:9]
                                        ; implicit-def: $vgpr11_vgpr12
	s_and_saveexec_b64 s[8:9], s[14:15]
	s_cbranch_execnz .LBB1637_60
.LBB1637_65:
	s_or_b64 exec, exec, s[8:9]
                                        ; implicit-def: $vgpr13_vgpr14
	s_and_saveexec_b64 s[8:9], s[16:17]
	s_cbranch_execz .LBB1637_67
.LBB1637_66:
	global_load_dwordx2 v[13:14], v[15:16], off offset:2560
.LBB1637_67:
	s_or_b64 exec, exec, s[8:9]
	s_mov_b32 s10, 0
	s_mov_b32 s11, 0
	v_mov_b32_e32 v16, 0
	s_movk_i32 s12, 0x200
	v_mov_b32_e32 v22, v0
	s_branch .LBB1637_69
.LBB1637_68:                            ;   in Loop: Header=BB1637_69 Depth=1
	s_or_b64 exec, exec, s[8:9]
	s_addk_i32 s11, 0xfc00
	s_add_i32 s10, s10, 8
	s_cmpk_eq_i32 s11, 0xf400
	v_add_u32_e32 v22, 0x400, v22
	s_waitcnt vmcnt(0)
	s_barrier
	s_cbranch_scc1 .LBB1637_73
.LBB1637_69:                            ; =>This Inner Loop Header: Depth=1
	v_add_u32_e32 v15, s11, v17
	v_min_u32_e32 v15, 0x400, v15
	v_lshlrev_b32_e32 v15, 3, v15
	s_waitcnt vmcnt(0)
	ds_write_b64 v15, v[3:4] offset:1024
	v_add_u32_e32 v15, s11, v26
	v_min_u32_e32 v15, 0x400, v15
	v_lshlrev_b32_e32 v15, 3, v15
	ds_write_b64 v15, v[5:6] offset:1024
	v_add_u32_e32 v15, s11, v24
	v_min_u32_e32 v15, 0x400, v15
	v_lshlrev_b32_e32 v15, 3, v15
	;; [unrolled: 4-line block ×5, first 2 shown]
	v_cmp_gt_u32_e32 vcc, s7, v22
	ds_write_b64 v15, v[13:14] offset:1024
	s_waitcnt lgkmcnt(0)
	s_barrier
	s_and_saveexec_b64 s[8:9], vcc
	s_cbranch_execz .LBB1637_71
; %bb.70:                               ;   in Loop: Header=BB1637_69 Depth=1
	v_mov_b32_e32 v15, s10
	buffer_load_dword v15, v15, s[0:3], 0 offen
	v_mov_b32_e32 v23, s43
	s_waitcnt vmcnt(0)
	v_lshlrev_b32_e32 v15, 2, v15
	ds_read_b32 v15, v15
	ds_read_b64 v[31:32], v27 offset:1024
	s_waitcnt lgkmcnt(1)
	v_add_u32_e32 v15, v22, v15
	v_lshlrev_b64 v[33:34], 3, v[15:16]
	v_add_co_u32_e32 v33, vcc, s42, v33
	v_addc_co_u32_e32 v34, vcc, v23, v34, vcc
	s_waitcnt lgkmcnt(0)
	global_store_dwordx2 v[33:34], v[31:32], off
.LBB1637_71:                            ;   in Loop: Header=BB1637_69 Depth=1
	s_or_b64 exec, exec, s[8:9]
	v_add_u32_e32 v15, 0x200, v22
	v_cmp_gt_u32_e32 vcc, s7, v15
	s_and_saveexec_b64 s[8:9], vcc
	s_cbranch_execz .LBB1637_68
; %bb.72:                               ;   in Loop: Header=BB1637_69 Depth=1
	v_mov_b32_e32 v15, s10
	buffer_load_dword v15, v15, s[0:3], 0 offen offset:4
	v_mov_b32_e32 v23, s43
	s_waitcnt vmcnt(0)
	v_lshlrev_b32_e32 v15, 2, v15
	ds_read_b32 v15, v15
	ds_read_b64 v[31:32], v27 offset:5120
	s_waitcnt lgkmcnt(1)
	v_add3_u32 v15, v22, v15, s12
	v_lshlrev_b64 v[33:34], 3, v[15:16]
	v_add_co_u32_e32 v33, vcc, s42, v33
	v_addc_co_u32_e32 v34, vcc, v23, v34, vcc
	s_waitcnt lgkmcnt(0)
	global_store_dwordx2 v[33:34], v[31:32], off
	s_branch .LBB1637_68
.LBB1637_73:
	s_add_i32 s35, s35, -1
	s_cmp_eq_u32 s33, s35
	s_cselect_b64 s[8:9], -1, 0
	s_xor_b64 s[10:11], s[18:19], -1
	s_and_b64 s[10:11], s[10:11], s[8:9]
	s_and_saveexec_b64 s[8:9], s[10:11]
	s_cbranch_execz .LBB1637_75
; %bb.74:
	ds_read_b32 v3, v30
	s_waitcnt lgkmcnt(0)
	v_add3_u32 v3, v25, v28, v3
	global_store_dword v30, v3, s[30:31]
.LBB1637_75:
	s_or_b64 exec, exec, s[8:9]
	s_mov_b64 s[8:9], 0
.LBB1637_76:
	s_and_b64 vcc, exec, s[8:9]
	s_cbranch_vccz .LBB1637_115
; %bb.77:
	s_mov_b32 s35, 0
	s_lshl_b64 s[10:11], s[34:35], 3
	v_mbcnt_hi_u32_b32 v17, -1, v21
	s_add_u32 s7, s36, s10
	v_and_b32_e32 v3, 63, v17
	s_addc_u32 s8, s37, s11
	v_and_b32_e32 v18, 0x1c0, v0
	v_lshlrev_b32_e32 v19, 3, v3
	v_mul_u32_u24_e32 v4, 6, v18
	v_mov_b32_e32 v3, s8
	v_add_co_u32_e32 v5, vcc, s7, v19
	v_addc_co_u32_e32 v6, vcc, 0, v3, vcc
	v_lshlrev_b32_e32 v20, 3, v4
	v_add_co_u32_e32 v3, vcc, v5, v20
	v_addc_co_u32_e32 v4, vcc, 0, v6, vcc
	global_load_dwordx2 v[23:24], v[3:4], off
	s_load_dword s16, s[4:5], 0x58
	s_load_dword s7, s[4:5], 0x64
	s_add_u32 s4, s4, 0x58
	s_addc_u32 s5, s5, 0
	v_mov_b32_e32 v13, 0
	global_load_dwordx2 v[15:16], v[3:4], off offset:512
	global_load_dwordx2 v[5:6], v[3:4], off offset:1024
	;; [unrolled: 1-line block ×3, first 2 shown]
	s_waitcnt lgkmcnt(0)
	s_lshr_b32 s12, s7, 16
	s_cmp_lt_u32 s6, s16
	s_cselect_b32 s6, 12, 18
	s_add_u32 s4, s4, s6
	s_addc_u32 s5, s5, 0
	global_load_ushort v21, v13, s[4:5]
	global_load_dwordx2 v[9:10], v[3:4], off offset:2048
	global_load_dwordx2 v[11:12], v[3:4], off offset:2560
	v_bfrev_b32_e32 v22, 1
	s_mov_b32 s8, -1
	s_brev_b32 s9, -2
	s_lshl_b32 s4, -1, s45
	s_not_b32 s17, s4
	v_mad_u32_u24 v1, v2, s12, v1
	s_waitcnt vmcnt(6)
	v_cmp_lt_i64_e32 vcc, -1, v[23:24]
	v_ashrrev_i32_e32 v14, 31, v24
	v_cndmask_b32_e32 v3, -1, v22, vcc
	v_xor_b32_e32 v4, v3, v24
	v_xor_b32_e32 v3, v14, v23
	v_cmp_ne_u64_e32 vcc, s[8:9], v[3:4]
	v_cndmask_b32_e32 v24, v22, v4, vcc
	v_cndmask_b32_e32 v23, 0, v3, vcc
	v_lshrrev_b64 v[23:24], s44, v[23:24]
	v_and_b32_e32 v25, s17, v23
	v_and_b32_e32 v23, 1, v25
	v_lshlrev_b32_e32 v14, 30, v25
	v_cmp_ne_u32_e32 vcc, 0, v23
	v_add_co_u32_e64 v23, s[6:7], -1, v23
	v_cmp_gt_i64_e64 s[4:5], 0, v[13:14]
	v_addc_co_u32_e64 v24, s[6:7], 0, -1, s[6:7]
	v_not_b32_e32 v26, v14
	v_lshlrev_b32_e32 v14, 29, v25
	v_xor_b32_e32 v24, vcc_hi, v24
	v_ashrrev_i32_e32 v26, 31, v26
	v_xor_b32_e32 v23, vcc_lo, v23
	v_cmp_gt_i64_e32 vcc, 0, v[13:14]
	v_not_b32_e32 v27, v14
	v_lshlrev_b32_e32 v14, 28, v25
	v_and_b32_e32 v24, exec_hi, v24
	v_xor_b32_e32 v28, s5, v26
	v_and_b32_e32 v23, exec_lo, v23
	v_xor_b32_e32 v26, s4, v26
	v_ashrrev_i32_e32 v27, 31, v27
	v_cmp_gt_i64_e64 s[4:5], 0, v[13:14]
	v_not_b32_e32 v29, v14
	v_lshlrev_b32_e32 v14, 27, v25
	v_and_b32_e32 v24, v24, v28
	v_and_b32_e32 v23, v23, v26
	v_xor_b32_e32 v26, vcc_hi, v27
	v_xor_b32_e32 v27, vcc_lo, v27
	v_ashrrev_i32_e32 v28, 31, v29
	v_cmp_gt_i64_e32 vcc, 0, v[13:14]
	v_not_b32_e32 v29, v14
	v_lshlrev_b32_e32 v14, 26, v25
	v_and_b32_e32 v24, v24, v26
	v_and_b32_e32 v23, v23, v27
	v_xor_b32_e32 v26, s5, v28
	v_xor_b32_e32 v27, s4, v28
	v_ashrrev_i32_e32 v28, 31, v29
	v_cmp_gt_i64_e64 s[4:5], 0, v[13:14]
	v_not_b32_e32 v29, v14
	v_lshlrev_b32_e32 v14, 25, v25
	v_and_b32_e32 v24, v24, v26
	v_and_b32_e32 v23, v23, v27
	v_xor_b32_e32 v26, vcc_hi, v28
	v_xor_b32_e32 v27, vcc_lo, v28
	v_ashrrev_i32_e32 v28, 31, v29
	v_cmp_gt_i64_e32 vcc, 0, v[13:14]
	v_not_b32_e32 v14, v14
	v_and_b32_e32 v24, v24, v26
	v_and_b32_e32 v23, v23, v27
	v_xor_b32_e32 v26, s5, v28
	v_xor_b32_e32 v27, s4, v28
	v_ashrrev_i32_e32 v14, 31, v14
	v_and_b32_e32 v24, v24, v26
	v_and_b32_e32 v23, v23, v27
	v_xor_b32_e32 v26, vcc_hi, v14
	v_xor_b32_e32 v14, vcc_lo, v14
	v_and_b32_e32 v27, v23, v14
	v_lshlrev_b32_e32 v14, 24, v25
	v_cmp_gt_i64_e32 vcc, 0, v[13:14]
	v_not_b32_e32 v14, v14
	v_and_b32_e32 v26, v24, v26
	v_ashrrev_i32_e32 v14, 31, v14
	s_waitcnt vmcnt(2)
	v_mad_u64_u32 v[23:24], s[4:5], v1, v21, v[0:1]
	v_xor_b32_e32 v28, vcc_hi, v14
	v_xor_b32_e32 v1, vcc_lo, v14
	v_mul_lo_u32 v14, v25, 36
	v_and_b32_e32 v1, v27, v1
	v_lshrrev_b32_e32 v31, 6, v23
	v_and_b32_e32 v2, v26, v28
	v_lshl_add_u32 v25, v31, 2, v14
	v_mbcnt_lo_u32_b32 v14, v1, 0
	v_mbcnt_hi_u32_b32 v21, v2, v14
	v_cmp_ne_u64_e32 vcc, 0, v[1:2]
	v_cmp_eq_u32_e64 s[4:5], 0, v21
	v_mul_u32_u24_e32 v24, 20, v0
	s_and_b64 s[6:7], vcc, s[4:5]
	ds_write2_b32 v24, v13, v13 offset0:8 offset1:9
	ds_write2_b32 v24, v13, v13 offset0:10 offset1:11
	ds_write_b32 v24, v13 offset:48
	s_waitcnt vmcnt(0) lgkmcnt(0)
	s_barrier
	; wave barrier
	s_and_saveexec_b64 s[4:5], s[6:7]
; %bb.78:
	v_bcnt_u32_b32 v1, v1, 0
	v_bcnt_u32_b32 v1, v2, v1
	ds_write_b32 v25, v1 offset:32
; %bb.79:
	s_or_b64 exec, exec, s[4:5]
	v_cmp_lt_i64_e32 vcc, -1, v[15:16]
	v_ashrrev_i32_e32 v14, 31, v16
	v_cndmask_b32_e32 v1, -1, v22, vcc
	v_xor_b32_e32 v2, v1, v16
	v_xor_b32_e32 v1, v14, v15
	v_cmp_ne_u64_e32 vcc, s[8:9], v[1:2]
	v_cndmask_b32_e32 v15, v22, v2, vcc
	v_cndmask_b32_e32 v14, 0, v1, vcc
	v_lshrrev_b64 v[14:15], s44, v[14:15]
	; wave barrier
	v_and_b32_e32 v15, s17, v14
	v_mul_lo_u32 v14, v15, 36
	v_lshl_add_u32 v27, v31, 2, v14
	v_and_b32_e32 v14, 1, v15
	v_add_co_u32_e32 v16, vcc, -1, v14
	v_addc_co_u32_e64 v23, s[4:5], 0, -1, vcc
	v_cmp_ne_u32_e32 vcc, 0, v14
	v_xor_b32_e32 v14, vcc_hi, v23
	v_and_b32_e32 v23, exec_hi, v14
	v_lshlrev_b32_e32 v14, 30, v15
	v_xor_b32_e32 v16, vcc_lo, v16
	v_cmp_gt_i64_e32 vcc, 0, v[13:14]
	v_not_b32_e32 v14, v14
	v_ashrrev_i32_e32 v14, 31, v14
	v_and_b32_e32 v16, exec_lo, v16
	v_xor_b32_e32 v26, vcc_hi, v14
	v_xor_b32_e32 v14, vcc_lo, v14
	v_and_b32_e32 v16, v16, v14
	v_lshlrev_b32_e32 v14, 29, v15
	v_cmp_gt_i64_e32 vcc, 0, v[13:14]
	v_not_b32_e32 v14, v14
	v_ashrrev_i32_e32 v14, 31, v14
	v_and_b32_e32 v23, v23, v26
	v_xor_b32_e32 v26, vcc_hi, v14
	v_xor_b32_e32 v14, vcc_lo, v14
	v_and_b32_e32 v16, v16, v14
	v_lshlrev_b32_e32 v14, 28, v15
	v_cmp_gt_i64_e32 vcc, 0, v[13:14]
	v_not_b32_e32 v14, v14
	v_ashrrev_i32_e32 v14, 31, v14
	v_and_b32_e32 v23, v23, v26
	;; [unrolled: 8-line block ×5, first 2 shown]
	v_xor_b32_e32 v26, vcc_hi, v14
	v_xor_b32_e32 v14, vcc_lo, v14
	v_and_b32_e32 v16, v16, v14
	v_lshlrev_b32_e32 v14, 24, v15
	v_cmp_gt_i64_e32 vcc, 0, v[13:14]
	v_not_b32_e32 v13, v14
	v_ashrrev_i32_e32 v13, 31, v13
	v_xor_b32_e32 v14, vcc_hi, v13
	v_xor_b32_e32 v13, vcc_lo, v13
	ds_read_b32 v22, v27 offset:32
	v_and_b32_e32 v23, v23, v26
	v_and_b32_e32 v13, v16, v13
	;; [unrolled: 1-line block ×3, first 2 shown]
	v_mbcnt_lo_u32_b32 v15, v13, 0
	v_mbcnt_hi_u32_b32 v23, v14, v15
	v_cmp_ne_u64_e32 vcc, 0, v[13:14]
	v_cmp_eq_u32_e64 s[4:5], 0, v23
	s_and_b64 s[6:7], vcc, s[4:5]
	; wave barrier
	s_and_saveexec_b64 s[4:5], s[6:7]
	s_cbranch_execz .LBB1637_81
; %bb.80:
	v_bcnt_u32_b32 v13, v13, 0
	v_bcnt_u32_b32 v13, v14, v13
	s_waitcnt lgkmcnt(0)
	v_add_u32_e32 v13, v22, v13
	ds_write_b32 v27, v13 offset:32
.LBB1637_81:
	s_or_b64 exec, exec, s[4:5]
	v_cmp_lt_i64_e32 vcc, -1, v[5:6]
	v_bfrev_b32_e32 v16, 1
	s_mov_b32 s6, -1
	v_cndmask_b32_e32 v13, -1, v16, vcc
	v_ashrrev_i32_e32 v14, 31, v6
	s_brev_b32 s7, -2
	v_xor_b32_e32 v6, v13, v6
	v_xor_b32_e32 v5, v14, v5
	v_cmp_ne_u64_e32 vcc, s[6:7], v[5:6]
	v_cndmask_b32_e32 v14, v16, v6, vcc
	v_cndmask_b32_e32 v13, 0, v5, vcc
	v_lshrrev_b64 v[13:14], s44, v[13:14]
	; wave barrier
	v_and_b32_e32 v15, s17, v13
	v_mul_lo_u32 v13, v15, 36
	v_and_b32_e32 v14, 1, v15
	v_add_co_u32_e32 v28, vcc, -1, v14
	v_addc_co_u32_e64 v29, s[4:5], 0, -1, vcc
	v_cmp_ne_u32_e32 vcc, 0, v14
	v_xor_b32_e32 v14, vcc_hi, v29
	v_lshl_add_u32 v30, v31, 2, v13
	v_mov_b32_e32 v13, 0
	v_and_b32_e32 v29, exec_hi, v14
	v_lshlrev_b32_e32 v14, 30, v15
	v_xor_b32_e32 v28, vcc_lo, v28
	v_cmp_gt_i64_e32 vcc, 0, v[13:14]
	v_not_b32_e32 v14, v14
	v_ashrrev_i32_e32 v14, 31, v14
	v_and_b32_e32 v28, exec_lo, v28
	v_xor_b32_e32 v32, vcc_hi, v14
	v_xor_b32_e32 v14, vcc_lo, v14
	v_and_b32_e32 v28, v28, v14
	v_lshlrev_b32_e32 v14, 29, v15
	v_cmp_gt_i64_e32 vcc, 0, v[13:14]
	v_not_b32_e32 v14, v14
	v_ashrrev_i32_e32 v14, 31, v14
	v_and_b32_e32 v29, v29, v32
	v_xor_b32_e32 v32, vcc_hi, v14
	v_xor_b32_e32 v14, vcc_lo, v14
	v_and_b32_e32 v28, v28, v14
	v_lshlrev_b32_e32 v14, 28, v15
	v_cmp_gt_i64_e32 vcc, 0, v[13:14]
	v_not_b32_e32 v14, v14
	v_ashrrev_i32_e32 v14, 31, v14
	v_and_b32_e32 v29, v29, v32
	;; [unrolled: 8-line block ×5, first 2 shown]
	v_xor_b32_e32 v32, vcc_hi, v14
	v_xor_b32_e32 v14, vcc_lo, v14
	v_and_b32_e32 v28, v28, v14
	v_lshlrev_b32_e32 v14, 24, v15
	v_cmp_gt_i64_e32 vcc, 0, v[13:14]
	v_not_b32_e32 v14, v14
	v_ashrrev_i32_e32 v14, 31, v14
	v_xor_b32_e32 v15, vcc_hi, v14
	v_xor_b32_e32 v14, vcc_lo, v14
	ds_read_b32 v26, v30 offset:32
	v_and_b32_e32 v29, v29, v32
	v_and_b32_e32 v14, v28, v14
	;; [unrolled: 1-line block ×3, first 2 shown]
	v_mbcnt_lo_u32_b32 v28, v14, 0
	v_mbcnt_hi_u32_b32 v28, v15, v28
	v_cmp_ne_u64_e32 vcc, 0, v[14:15]
	v_cmp_eq_u32_e64 s[4:5], 0, v28
	s_and_b64 s[8:9], vcc, s[4:5]
	; wave barrier
	s_and_saveexec_b64 s[4:5], s[8:9]
	s_cbranch_execz .LBB1637_83
; %bb.82:
	v_bcnt_u32_b32 v14, v14, 0
	v_bcnt_u32_b32 v14, v15, v14
	s_waitcnt lgkmcnt(0)
	v_add_u32_e32 v14, v26, v14
	ds_write_b32 v30, v14 offset:32
.LBB1637_83:
	s_or_b64 exec, exec, s[4:5]
	v_cmp_lt_i64_e32 vcc, -1, v[7:8]
	v_ashrrev_i32_e32 v15, 31, v8
	v_cndmask_b32_e32 v14, -1, v16, vcc
	v_xor_b32_e32 v8, v14, v8
	v_xor_b32_e32 v7, v15, v7
	v_cmp_ne_u64_e32 vcc, s[6:7], v[7:8]
	v_cndmask_b32_e32 v15, v16, v8, vcc
	v_cndmask_b32_e32 v14, 0, v7, vcc
	v_lshrrev_b64 v[14:15], s44, v[14:15]
	; wave barrier
	v_and_b32_e32 v15, s17, v14
	v_mul_lo_u32 v14, v15, 36
	v_lshl_add_u32 v34, v31, 2, v14
	v_and_b32_e32 v14, 1, v15
	v_add_co_u32_e32 v16, vcc, -1, v14
	v_addc_co_u32_e64 v32, s[4:5], 0, -1, vcc
	v_cmp_ne_u32_e32 vcc, 0, v14
	v_xor_b32_e32 v14, vcc_hi, v32
	v_and_b32_e32 v32, exec_hi, v14
	v_lshlrev_b32_e32 v14, 30, v15
	v_xor_b32_e32 v16, vcc_lo, v16
	v_cmp_gt_i64_e32 vcc, 0, v[13:14]
	v_not_b32_e32 v14, v14
	v_ashrrev_i32_e32 v14, 31, v14
	v_and_b32_e32 v16, exec_lo, v16
	v_xor_b32_e32 v33, vcc_hi, v14
	v_xor_b32_e32 v14, vcc_lo, v14
	v_and_b32_e32 v16, v16, v14
	v_lshlrev_b32_e32 v14, 29, v15
	v_cmp_gt_i64_e32 vcc, 0, v[13:14]
	v_not_b32_e32 v14, v14
	v_ashrrev_i32_e32 v14, 31, v14
	v_and_b32_e32 v32, v32, v33
	v_xor_b32_e32 v33, vcc_hi, v14
	v_xor_b32_e32 v14, vcc_lo, v14
	v_and_b32_e32 v16, v16, v14
	v_lshlrev_b32_e32 v14, 28, v15
	v_cmp_gt_i64_e32 vcc, 0, v[13:14]
	v_not_b32_e32 v14, v14
	v_ashrrev_i32_e32 v14, 31, v14
	v_and_b32_e32 v32, v32, v33
	;; [unrolled: 8-line block ×5, first 2 shown]
	v_xor_b32_e32 v33, vcc_hi, v14
	v_xor_b32_e32 v14, vcc_lo, v14
	v_and_b32_e32 v16, v16, v14
	v_lshlrev_b32_e32 v14, 24, v15
	v_cmp_gt_i64_e32 vcc, 0, v[13:14]
	v_not_b32_e32 v13, v14
	v_ashrrev_i32_e32 v13, 31, v13
	v_xor_b32_e32 v14, vcc_hi, v13
	v_xor_b32_e32 v13, vcc_lo, v13
	ds_read_b32 v29, v34 offset:32
	v_and_b32_e32 v32, v32, v33
	v_and_b32_e32 v13, v16, v13
	;; [unrolled: 1-line block ×3, first 2 shown]
	v_mbcnt_lo_u32_b32 v15, v13, 0
	v_mbcnt_hi_u32_b32 v32, v14, v15
	v_cmp_ne_u64_e32 vcc, 0, v[13:14]
	v_cmp_eq_u32_e64 s[4:5], 0, v32
	s_and_b64 s[6:7], vcc, s[4:5]
	; wave barrier
	s_and_saveexec_b64 s[4:5], s[6:7]
	s_cbranch_execz .LBB1637_85
; %bb.84:
	v_bcnt_u32_b32 v13, v13, 0
	v_bcnt_u32_b32 v13, v14, v13
	s_waitcnt lgkmcnt(0)
	v_add_u32_e32 v13, v29, v13
	ds_write_b32 v34, v13 offset:32
.LBB1637_85:
	s_or_b64 exec, exec, s[4:5]
	v_cmp_lt_i64_e32 vcc, -1, v[9:10]
	v_bfrev_b32_e32 v16, 1
	s_mov_b32 s6, -1
	v_cndmask_b32_e32 v13, -1, v16, vcc
	v_ashrrev_i32_e32 v14, 31, v10
	s_brev_b32 s7, -2
	v_xor_b32_e32 v10, v13, v10
	v_xor_b32_e32 v9, v14, v9
	v_cmp_ne_u64_e32 vcc, s[6:7], v[9:10]
	v_cndmask_b32_e32 v14, v16, v10, vcc
	v_cndmask_b32_e32 v13, 0, v9, vcc
	v_lshrrev_b64 v[13:14], s44, v[13:14]
	; wave barrier
	v_and_b32_e32 v15, s17, v13
	v_mul_lo_u32 v13, v15, 36
	v_and_b32_e32 v14, 1, v15
	v_add_co_u32_e32 v35, vcc, -1, v14
	v_addc_co_u32_e64 v36, s[4:5], 0, -1, vcc
	v_cmp_ne_u32_e32 vcc, 0, v14
	v_xor_b32_e32 v14, vcc_hi, v36
	v_lshl_add_u32 v37, v31, 2, v13
	v_mov_b32_e32 v13, 0
	v_and_b32_e32 v36, exec_hi, v14
	v_lshlrev_b32_e32 v14, 30, v15
	v_xor_b32_e32 v35, vcc_lo, v35
	v_cmp_gt_i64_e32 vcc, 0, v[13:14]
	v_not_b32_e32 v14, v14
	v_ashrrev_i32_e32 v14, 31, v14
	v_and_b32_e32 v35, exec_lo, v35
	v_xor_b32_e32 v38, vcc_hi, v14
	v_xor_b32_e32 v14, vcc_lo, v14
	v_and_b32_e32 v35, v35, v14
	v_lshlrev_b32_e32 v14, 29, v15
	v_cmp_gt_i64_e32 vcc, 0, v[13:14]
	v_not_b32_e32 v14, v14
	v_ashrrev_i32_e32 v14, 31, v14
	v_and_b32_e32 v36, v36, v38
	v_xor_b32_e32 v38, vcc_hi, v14
	v_xor_b32_e32 v14, vcc_lo, v14
	v_and_b32_e32 v35, v35, v14
	v_lshlrev_b32_e32 v14, 28, v15
	v_cmp_gt_i64_e32 vcc, 0, v[13:14]
	v_not_b32_e32 v14, v14
	v_ashrrev_i32_e32 v14, 31, v14
	v_and_b32_e32 v36, v36, v38
	v_xor_b32_e32 v38, vcc_hi, v14
	v_xor_b32_e32 v14, vcc_lo, v14
	v_and_b32_e32 v35, v35, v14
	v_lshlrev_b32_e32 v14, 27, v15
	v_cmp_gt_i64_e32 vcc, 0, v[13:14]
	v_not_b32_e32 v14, v14
	v_ashrrev_i32_e32 v14, 31, v14
	v_and_b32_e32 v36, v36, v38
	v_xor_b32_e32 v38, vcc_hi, v14
	v_xor_b32_e32 v14, vcc_lo, v14
	v_and_b32_e32 v35, v35, v14
	v_lshlrev_b32_e32 v14, 26, v15
	v_cmp_gt_i64_e32 vcc, 0, v[13:14]
	v_not_b32_e32 v14, v14
	v_ashrrev_i32_e32 v14, 31, v14
	v_and_b32_e32 v36, v36, v38
	v_xor_b32_e32 v38, vcc_hi, v14
	v_xor_b32_e32 v14, vcc_lo, v14
	v_and_b32_e32 v35, v35, v14
	v_lshlrev_b32_e32 v14, 25, v15
	v_cmp_gt_i64_e32 vcc, 0, v[13:14]
	v_not_b32_e32 v14, v14
	v_ashrrev_i32_e32 v14, 31, v14
	v_and_b32_e32 v36, v36, v38
	v_xor_b32_e32 v38, vcc_hi, v14
	v_xor_b32_e32 v14, vcc_lo, v14
	v_and_b32_e32 v35, v35, v14
	v_lshlrev_b32_e32 v14, 24, v15
	v_cmp_gt_i64_e32 vcc, 0, v[13:14]
	v_not_b32_e32 v14, v14
	v_ashrrev_i32_e32 v14, 31, v14
	v_xor_b32_e32 v15, vcc_hi, v14
	v_xor_b32_e32 v14, vcc_lo, v14
	ds_read_b32 v33, v37 offset:32
	v_and_b32_e32 v36, v36, v38
	v_and_b32_e32 v14, v35, v14
	;; [unrolled: 1-line block ×3, first 2 shown]
	v_mbcnt_lo_u32_b32 v35, v14, 0
	v_mbcnt_hi_u32_b32 v35, v15, v35
	v_cmp_ne_u64_e32 vcc, 0, v[14:15]
	v_cmp_eq_u32_e64 s[4:5], 0, v35
	s_and_b64 s[8:9], vcc, s[4:5]
	; wave barrier
	s_and_saveexec_b64 s[4:5], s[8:9]
	s_cbranch_execz .LBB1637_87
; %bb.86:
	v_bcnt_u32_b32 v14, v14, 0
	v_bcnt_u32_b32 v14, v15, v14
	s_waitcnt lgkmcnt(0)
	v_add_u32_e32 v14, v33, v14
	ds_write_b32 v37, v14 offset:32
.LBB1637_87:
	s_or_b64 exec, exec, s[4:5]
	v_cmp_lt_i64_e32 vcc, -1, v[11:12]
	v_ashrrev_i32_e32 v14, 31, v12
	v_cndmask_b32_e32 v15, -1, v16, vcc
	v_xor_b32_e32 v12, v15, v12
	v_xor_b32_e32 v11, v14, v11
	v_cmp_ne_u64_e32 vcc, s[6:7], v[11:12]
	v_cndmask_b32_e32 v15, v16, v12, vcc
	v_cndmask_b32_e32 v14, 0, v11, vcc
	v_lshrrev_b64 v[14:15], s44, v[14:15]
	; wave barrier
	v_and_b32_e32 v15, s17, v14
	v_mul_lo_u32 v14, v15, 36
	v_and_b32_e32 v16, 1, v15
	v_lshl_add_u32 v39, v31, 2, v14
	v_add_co_u32_e32 v14, vcc, -1, v16
	v_addc_co_u32_e64 v31, s[4:5], 0, -1, vcc
	v_cmp_ne_u32_e32 vcc, 0, v16
	v_xor_b32_e32 v14, vcc_lo, v14
	v_xor_b32_e32 v16, vcc_hi, v31
	v_and_b32_e32 v31, exec_lo, v14
	v_lshlrev_b32_e32 v14, 30, v15
	v_cmp_gt_i64_e32 vcc, 0, v[13:14]
	v_not_b32_e32 v14, v14
	v_ashrrev_i32_e32 v14, 31, v14
	v_xor_b32_e32 v38, vcc_hi, v14
	v_xor_b32_e32 v14, vcc_lo, v14
	v_and_b32_e32 v31, v31, v14
	v_lshlrev_b32_e32 v14, 29, v15
	v_cmp_gt_i64_e32 vcc, 0, v[13:14]
	v_not_b32_e32 v14, v14
	v_and_b32_e32 v16, exec_hi, v16
	v_ashrrev_i32_e32 v14, 31, v14
	v_and_b32_e32 v16, v16, v38
	v_xor_b32_e32 v38, vcc_hi, v14
	v_xor_b32_e32 v14, vcc_lo, v14
	v_and_b32_e32 v31, v31, v14
	v_lshlrev_b32_e32 v14, 28, v15
	v_cmp_gt_i64_e32 vcc, 0, v[13:14]
	v_not_b32_e32 v14, v14
	v_ashrrev_i32_e32 v14, 31, v14
	v_and_b32_e32 v16, v16, v38
	v_xor_b32_e32 v38, vcc_hi, v14
	v_xor_b32_e32 v14, vcc_lo, v14
	v_and_b32_e32 v31, v31, v14
	v_lshlrev_b32_e32 v14, 27, v15
	v_cmp_gt_i64_e32 vcc, 0, v[13:14]
	v_not_b32_e32 v14, v14
	v_ashrrev_i32_e32 v14, 31, v14
	v_and_b32_e32 v16, v16, v38
	v_xor_b32_e32 v38, vcc_hi, v14
	v_xor_b32_e32 v14, vcc_lo, v14
	v_and_b32_e32 v31, v31, v14
	v_lshlrev_b32_e32 v14, 26, v15
	v_cmp_gt_i64_e32 vcc, 0, v[13:14]
	v_not_b32_e32 v14, v14
	v_ashrrev_i32_e32 v14, 31, v14
	v_and_b32_e32 v16, v16, v38
	v_xor_b32_e32 v38, vcc_hi, v14
	v_xor_b32_e32 v14, vcc_lo, v14
	v_and_b32_e32 v31, v31, v14
	v_lshlrev_b32_e32 v14, 25, v15
	v_cmp_gt_i64_e32 vcc, 0, v[13:14]
	v_not_b32_e32 v14, v14
	v_ashrrev_i32_e32 v14, 31, v14
	v_and_b32_e32 v16, v16, v38
	v_xor_b32_e32 v38, vcc_hi, v14
	v_xor_b32_e32 v14, vcc_lo, v14
	v_and_b32_e32 v31, v31, v14
	v_lshlrev_b32_e32 v14, 24, v15
	v_cmp_gt_i64_e32 vcc, 0, v[13:14]
	v_not_b32_e32 v13, v14
	v_ashrrev_i32_e32 v13, 31, v13
	v_xor_b32_e32 v14, vcc_hi, v13
	v_xor_b32_e32 v13, vcc_lo, v13
	ds_read_b32 v36, v39 offset:32
	v_and_b32_e32 v16, v16, v38
	v_and_b32_e32 v13, v31, v13
	;; [unrolled: 1-line block ×3, first 2 shown]
	v_mbcnt_lo_u32_b32 v15, v13, 0
	v_mbcnt_hi_u32_b32 v38, v14, v15
	v_cmp_ne_u64_e32 vcc, 0, v[13:14]
	v_cmp_eq_u32_e64 s[4:5], 0, v38
	s_and_b64 s[6:7], vcc, s[4:5]
	; wave barrier
	s_and_saveexec_b64 s[4:5], s[6:7]
	s_cbranch_execz .LBB1637_89
; %bb.88:
	v_bcnt_u32_b32 v13, v13, 0
	v_bcnt_u32_b32 v13, v14, v13
	s_waitcnt lgkmcnt(0)
	v_add_u32_e32 v13, v36, v13
	ds_write_b32 v39, v13 offset:32
.LBB1637_89:
	s_or_b64 exec, exec, s[4:5]
	; wave barrier
	s_waitcnt lgkmcnt(0)
	s_barrier
	ds_read2_b32 v[15:16], v24 offset0:8 offset1:9
	ds_read2_b32 v[13:14], v24 offset0:10 offset1:11
	ds_read_b32 v31, v24 offset:48
	v_min_u32_e32 v18, 0x1c0, v18
	v_or_b32_e32 v18, 63, v18
	s_waitcnt lgkmcnt(1)
	v_add3_u32 v40, v16, v15, v13
	s_waitcnt lgkmcnt(0)
	v_add3_u32 v31, v40, v14, v31
	v_and_b32_e32 v40, 15, v17
	v_cmp_ne_u32_e32 vcc, 0, v40
	v_mov_b32_dpp v41, v31 row_shr:1 row_mask:0xf bank_mask:0xf
	v_cndmask_b32_e32 v41, 0, v41, vcc
	v_add_u32_e32 v31, v41, v31
	v_cmp_lt_u32_e32 vcc, 1, v40
	s_nop 0
	v_mov_b32_dpp v41, v31 row_shr:2 row_mask:0xf bank_mask:0xf
	v_cndmask_b32_e32 v41, 0, v41, vcc
	v_add_u32_e32 v31, v31, v41
	v_cmp_lt_u32_e32 vcc, 3, v40
	s_nop 0
	;; [unrolled: 5-line block ×3, first 2 shown]
	v_mov_b32_dpp v41, v31 row_shr:8 row_mask:0xf bank_mask:0xf
	v_cndmask_b32_e32 v40, 0, v41, vcc
	v_add_u32_e32 v31, v31, v40
	v_bfe_i32 v41, v17, 4, 1
	v_cmp_lt_u32_e32 vcc, 31, v17
	v_mov_b32_dpp v40, v31 row_bcast:15 row_mask:0xf bank_mask:0xf
	v_and_b32_e32 v40, v41, v40
	v_add_u32_e32 v31, v31, v40
	v_lshrrev_b32_e32 v41, 6, v0
	s_nop 0
	v_mov_b32_dpp v40, v31 row_bcast:31 row_mask:0xf bank_mask:0xf
	v_cndmask_b32_e32 v40, 0, v40, vcc
	v_add_u32_e32 v40, v31, v40
	v_cmp_eq_u32_e32 vcc, v0, v18
	s_and_saveexec_b64 s[4:5], vcc
; %bb.90:
	v_lshlrev_b32_e32 v18, 2, v41
	ds_write_b32 v18, v40
; %bb.91:
	s_or_b64 exec, exec, s[4:5]
	v_cmp_gt_u32_e32 vcc, 8, v0
	v_lshlrev_b32_e32 v31, 2, v0
	s_waitcnt lgkmcnt(0)
	s_barrier
	s_and_saveexec_b64 s[4:5], vcc
	s_cbranch_execz .LBB1637_93
; %bb.92:
	ds_read_b32 v18, v31
	v_and_b32_e32 v42, 7, v17
	v_cmp_ne_u32_e32 vcc, 0, v42
	s_waitcnt lgkmcnt(0)
	v_mov_b32_dpp v43, v18 row_shr:1 row_mask:0xf bank_mask:0xf
	v_cndmask_b32_e32 v43, 0, v43, vcc
	v_add_u32_e32 v18, v43, v18
	v_cmp_lt_u32_e32 vcc, 1, v42
	s_nop 0
	v_mov_b32_dpp v43, v18 row_shr:2 row_mask:0xf bank_mask:0xf
	v_cndmask_b32_e32 v43, 0, v43, vcc
	v_add_u32_e32 v18, v18, v43
	v_cmp_lt_u32_e32 vcc, 3, v42
	s_nop 0
	v_mov_b32_dpp v43, v18 row_shr:4 row_mask:0xf bank_mask:0xf
	v_cndmask_b32_e32 v42, 0, v43, vcc
	v_add_u32_e32 v18, v18, v42
	ds_write_b32 v31, v18
.LBB1637_93:
	s_or_b64 exec, exec, s[4:5]
	v_cmp_lt_u32_e32 vcc, 63, v0
	v_mov_b32_e32 v18, 0
	s_waitcnt lgkmcnt(0)
	s_barrier
	s_and_saveexec_b64 s[4:5], vcc
; %bb.94:
	v_lshl_add_u32 v18, v41, 2, -4
	ds_read_b32 v18, v18
; %bb.95:
	s_or_b64 exec, exec, s[4:5]
	v_subrev_co_u32_e32 v41, vcc, 1, v17
	v_and_b32_e32 v42, 64, v17
	v_cmp_lt_i32_e64 s[4:5], v41, v42
	v_cndmask_b32_e64 v17, v41, v17, s[4:5]
	s_waitcnt lgkmcnt(0)
	v_add_u32_e32 v40, v18, v40
	v_lshlrev_b32_e32 v17, 2, v17
	ds_bpermute_b32 v17, v17, v40
	s_movk_i32 s4, 0xff
	s_movk_i32 s6, 0x100
	s_waitcnt lgkmcnt(0)
	v_cndmask_b32_e32 v17, v17, v18, vcc
	v_cndmask_b32_e64 v17, v17, 0, s[22:23]
	v_add_u32_e32 v15, v17, v15
	v_add_u32_e32 v16, v15, v16
	;; [unrolled: 1-line block ×4, first 2 shown]
	ds_write2_b32 v24, v17, v15 offset0:8 offset1:9
	ds_write2_b32 v24, v16, v13 offset0:10 offset1:11
	ds_write_b32 v24, v14 offset:48
	s_waitcnt lgkmcnt(0)
	s_barrier
	ds_read_b32 v40, v25 offset:32
	ds_read_b32 v27, v27 offset:32
	;; [unrolled: 1-line block ×6, first 2 shown]
	v_cmp_lt_u32_e32 vcc, s4, v0
	v_cmp_gt_u32_e64 s[4:5], s6, v0
                                        ; implicit-def: $vgpr24
                                        ; implicit-def: $vgpr25
	s_and_saveexec_b64 s[8:9], s[4:5]
	s_cbranch_execz .LBB1637_99
; %bb.96:
	v_mul_u32_u24_e32 v13, 36, v0
	ds_read_b32 v24, v13 offset:32
	v_add_u32_e32 v14, 1, v0
	v_cmp_ne_u32_e64 s[6:7], s6, v14
	v_mov_b32_e32 v13, 0xc00
	s_and_saveexec_b64 s[12:13], s[6:7]
; %bb.97:
	v_mul_u32_u24_e32 v13, 36, v14
	ds_read_b32 v13, v13 offset:32
; %bb.98:
	s_or_b64 exec, exec, s[12:13]
	s_waitcnt lgkmcnt(0)
	v_sub_u32_e32 v25, v13, v24
.LBB1637_99:
	s_or_b64 exec, exec, s[8:9]
	v_mov_b32_e32 v14, 0
	s_waitcnt lgkmcnt(0)
	s_barrier
	s_and_saveexec_b64 s[6:7], s[4:5]
	s_cbranch_execz .LBB1637_109
; %bb.100:
	v_lshl_add_u32 v13, s33, 8, v0
	v_lshlrev_b64 v[15:16], 2, v[13:14]
	v_mov_b32_e32 v41, s27
	v_add_co_u32_e64 v15, s[4:5], s26, v15
	v_addc_co_u32_e64 v16, s[4:5], v41, v16, s[4:5]
	v_or_b32_e32 v13, 2.0, v25
	s_mov_b64 s[8:9], 0
	s_brev_b32 s18, -4
	s_mov_b32 s19, s33
	v_mov_b32_e32 v42, 0
	global_store_dword v[15:16], v13, off
                                        ; implicit-def: $sgpr4_sgpr5
	s_branch .LBB1637_103
.LBB1637_101:                           ;   in Loop: Header=BB1637_103 Depth=1
	s_or_b64 exec, exec, s[14:15]
.LBB1637_102:                           ;   in Loop: Header=BB1637_103 Depth=1
	s_or_b64 exec, exec, s[12:13]
	v_and_b32_e32 v17, 0x3fffffff, v13
	v_add_u32_e32 v42, v17, v42
	v_cmp_gt_i32_e64 s[4:5], -2.0, v13
	s_and_b64 s[12:13], exec, s[4:5]
	s_or_b64 s[8:9], s[12:13], s[8:9]
	s_andn2_b64 exec, exec, s[8:9]
	s_cbranch_execz .LBB1637_108
.LBB1637_103:                           ; =>This Loop Header: Depth=1
                                        ;     Child Loop BB1637_106 Depth 2
	s_or_b64 s[4:5], s[4:5], exec
	s_cmp_eq_u32 s19, 0
	s_cbranch_scc1 .LBB1637_107
; %bb.104:                              ;   in Loop: Header=BB1637_103 Depth=1
	s_add_i32 s19, s19, -1
	v_lshl_or_b32 v13, s19, 8, v0
	v_lshlrev_b64 v[17:18], 2, v[13:14]
	v_add_co_u32_e64 v17, s[4:5], s26, v17
	v_addc_co_u32_e64 v18, s[4:5], v41, v18, s[4:5]
	global_load_dword v13, v[17:18], off glc
	s_waitcnt vmcnt(0)
	v_cmp_gt_u32_e64 s[4:5], 2.0, v13
	s_and_saveexec_b64 s[12:13], s[4:5]
	s_cbranch_execz .LBB1637_102
; %bb.105:                              ;   in Loop: Header=BB1637_103 Depth=1
	s_mov_b64 s[14:15], 0
.LBB1637_106:                           ;   Parent Loop BB1637_103 Depth=1
                                        ; =>  This Inner Loop Header: Depth=2
	global_load_dword v13, v[17:18], off glc
	s_waitcnt vmcnt(0)
	v_cmp_lt_u32_e64 s[4:5], s18, v13
	s_or_b64 s[14:15], s[4:5], s[14:15]
	s_andn2_b64 exec, exec, s[14:15]
	s_cbranch_execnz .LBB1637_106
	s_branch .LBB1637_101
.LBB1637_107:                           ;   in Loop: Header=BB1637_103 Depth=1
                                        ; implicit-def: $sgpr19
	s_and_b64 s[12:13], exec, s[4:5]
	s_or_b64 s[8:9], s[12:13], s[8:9]
	s_andn2_b64 exec, exec, s[8:9]
	s_cbranch_execnz .LBB1637_103
.LBB1637_108:
	s_or_b64 exec, exec, s[8:9]
	v_add_u32_e32 v13, v42, v25
	v_or_b32_e32 v13, 0x80000000, v13
	global_store_dword v[15:16], v13, off
	global_load_dword v13, v31, s[28:29]
	v_sub_u32_e32 v14, v42, v24
	s_waitcnt vmcnt(0)
	v_add_u32_e32 v13, v14, v13
	ds_write_b32 v31, v13
.LBB1637_109:
	s_or_b64 exec, exec, s[6:7]
	s_mov_b32 s12, -1
	v_add_u32_e32 v15, v40, v21
	v_add3_u32 v16, v38, v39, v36
	v_add3_u32 v17, v35, v37, v33
	;; [unrolled: 1-line block ×5, first 2 shown]
	s_mov_b32 s14, 0
	s_mov_b32 s15, 0
	v_add_u32_e32 v23, v31, v31
	s_brev_b32 s13, -2
	v_bfrev_b32_e32 v26, 1
	v_mov_b32_e32 v14, 0
	v_mov_b32_e32 v27, s39
	s_movk_i32 s18, 0x200
	v_mov_b32_e32 v28, v0
.LBB1637_110:                           ; =>This Inner Loop Header: Depth=1
	v_add_u32_e32 v13, s15, v15
	v_add_u32_e32 v32, s15, v18
	;; [unrolled: 1-line block ×6, first 2 shown]
	v_min_u32_e32 v13, 0x400, v13
	v_min_u32_e32 v32, 0x400, v32
	;; [unrolled: 1-line block ×6, first 2 shown]
	v_lshlrev_b32_e32 v13, 3, v13
	v_lshlrev_b32_e32 v32, 3, v32
	;; [unrolled: 1-line block ×6, first 2 shown]
	ds_write_b64 v13, v[3:4] offset:1024
	ds_write_b64 v29, v[1:2] offset:1024
	;; [unrolled: 1-line block ×6, first 2 shown]
	s_waitcnt lgkmcnt(0)
	s_barrier
	ds_read2st64_b64 v[32:35], v23 offset0:2 offset1:10
	v_mov_b32_e32 v39, s14
	s_addk_i32 s15, 0xfc00
	s_add_i32 s14, s14, 8
	s_cmpk_lg_i32 s15, 0xf400
	s_waitcnt lgkmcnt(0)
	v_cmp_lt_i64_e64 s[6:7], -1, v[32:33]
	v_cmp_lt_i64_e64 s[8:9], -1, v[34:35]
	v_cmp_ne_u64_e64 s[4:5], s[12:13], v[32:33]
	v_cndmask_b32_e64 v13, v26, -1, s[6:7]
	v_cmp_ne_u64_e64 s[6:7], s[12:13], v[34:35]
	v_ashrrev_i32_e32 v29, 31, v33
	v_cndmask_b32_e64 v37, v26, -1, s[8:9]
	v_ashrrev_i32_e32 v38, 31, v35
	v_cndmask_b32_e64 v30, v26, v33, s[4:5]
	v_cndmask_b32_e64 v36, v26, v35, s[6:7]
	v_not_b32_e32 v40, v29
	v_xor_b32_e32 v33, v13, v33
	v_not_b32_e32 v13, v38
	v_xor_b32_e32 v38, v37, v35
	v_cndmask_b32_e64 v29, 0, v32, s[4:5]
	v_cndmask_b32_e64 v35, 0, v34, s[6:7]
	v_xor_b32_e32 v37, v13, v34
	v_lshrrev_b64 v[29:30], s44, v[29:30]
	v_lshrrev_b64 v[34:35], s44, v[35:36]
	v_and_b32_e32 v13, s17, v29
	v_and_b32_e32 v29, s17, v34
	v_lshlrev_b32_e32 v30, 2, v13
	buffer_store_dword v13, v39, s[0:3], 0 offen
	buffer_store_dword v29, v39, s[0:3], 0 offen offset:4
	v_lshlrev_b32_e32 v13, 2, v29
	ds_read_b32 v29, v30
	ds_read_b32 v34, v13
	v_xor_b32_e32 v32, v40, v32
	s_waitcnt lgkmcnt(1)
	v_add_u32_e32 v13, v28, v29
	v_lshlrev_b64 v[29:30], 3, v[13:14]
	s_waitcnt lgkmcnt(0)
	v_add3_u32 v13, v28, v34, s18
	v_lshlrev_b64 v[34:35], 3, v[13:14]
	v_add_co_u32_e64 v29, s[4:5], s38, v29
	v_addc_co_u32_e64 v30, s[4:5], v27, v30, s[4:5]
	global_store_dwordx2 v[29:30], v[32:33], off
	v_add_co_u32_e64 v29, s[4:5], s38, v34
	v_add_u32_e32 v28, 0x400, v28
	v_addc_co_u32_e64 v30, s[4:5], v27, v35, s[4:5]
	global_store_dwordx2 v[29:30], v[37:38], off
	s_waitcnt vmcnt(0)
	s_barrier
	s_cbranch_scc1 .LBB1637_110
; %bb.111:
	s_add_u32 s4, s40, s10
	s_addc_u32 s5, s41, s11
	v_mov_b32_e32 v1, s5
	v_add_co_u32_e64 v2, s[4:5], s4, v19
	v_addc_co_u32_e64 v1, s[4:5], 0, v1, s[4:5]
	v_add_co_u32_e64 v13, s[4:5], v2, v20
	v_addc_co_u32_e64 v14, s[4:5], 0, v1, s[4:5]
	global_load_dwordx2 v[1:2], v[13:14], off
	global_load_dwordx2 v[3:4], v[13:14], off offset:512
	global_load_dwordx2 v[5:6], v[13:14], off offset:1024
	;; [unrolled: 1-line block ×5, first 2 shown]
	v_mov_b32_e32 v14, 0
	s_mov_b32 s6, 0
	s_mov_b32 s7, 0
	v_mov_b32_e32 v19, s43
	s_movk_i32 s8, 0x200
.LBB1637_112:                           ; =>This Inner Loop Header: Depth=1
	v_add_u32_e32 v13, s7, v15
	v_add_u32_e32 v20, s7, v22
	;; [unrolled: 1-line block ×6, first 2 shown]
	v_min_u32_e32 v13, 0x400, v13
	v_min_u32_e32 v20, 0x400, v20
	v_mov_b32_e32 v30, s6
	v_min_u32_e32 v26, 0x400, v26
	v_min_u32_e32 v27, 0x400, v27
	;; [unrolled: 1-line block ×4, first 2 shown]
	v_lshlrev_b32_e32 v13, 3, v13
	v_lshlrev_b32_e32 v20, 3, v20
	;; [unrolled: 1-line block ×6, first 2 shown]
	s_waitcnt vmcnt(5)
	ds_write_b64 v13, v[1:2] offset:1024
	s_waitcnt vmcnt(4)
	ds_write_b64 v20, v[3:4] offset:1024
	;; [unrolled: 2-line block ×6, first 2 shown]
	s_waitcnt lgkmcnt(0)
	s_barrier
	buffer_load_dword v13, v30, s[0:3], 0 offen
	buffer_load_dword v20, v30, s[0:3], 0 offen offset:4
	ds_read2st64_b64 v[26:29], v23 offset0:2 offset1:10
	s_addk_i32 s7, 0xfc00
	s_add_i32 s6, s6, 8
	s_cmpk_lg_i32 s7, 0xf400
	s_waitcnt vmcnt(1)
	v_lshlrev_b32_e32 v13, 2, v13
	s_waitcnt vmcnt(0)
	v_lshlrev_b32_e32 v20, 2, v20
	ds_read_b32 v13, v13
	ds_read_b32 v20, v20
	s_waitcnt lgkmcnt(1)
	v_add_u32_e32 v13, v0, v13
	v_lshlrev_b64 v[32:33], 3, v[13:14]
	s_waitcnt lgkmcnt(0)
	v_add3_u32 v13, v0, v20, s8
	v_lshlrev_b64 v[34:35], 3, v[13:14]
	v_add_co_u32_e64 v32, s[4:5], s42, v32
	v_addc_co_u32_e64 v33, s[4:5], v19, v33, s[4:5]
	global_store_dwordx2 v[32:33], v[26:27], off
	v_add_co_u32_e64 v26, s[4:5], s42, v34
	v_add_u32_e32 v0, 0x400, v0
	v_addc_co_u32_e64 v27, s[4:5], v19, v35, s[4:5]
	global_store_dwordx2 v[26:27], v[28:29], off
	s_waitcnt vmcnt(0)
	s_barrier
	s_cbranch_scc1 .LBB1637_112
; %bb.113:
	s_add_i32 s16, s16, -1
	s_cmp_eq_u32 s33, s16
	s_cselect_b64 s[4:5], -1, 0
	s_xor_b64 s[6:7], vcc, -1
	s_and_b64 s[4:5], s[6:7], s[4:5]
	s_and_saveexec_b64 s[6:7], s[4:5]
	s_cbranch_execz .LBB1637_115
; %bb.114:
	ds_read_b32 v0, v31
	s_waitcnt lgkmcnt(0)
	v_add3_u32 v0, v24, v25, v0
	global_store_dword v31, v0, s[30:31]
.LBB1637_115:
	s_endpgm
	.section	.rodata,"a",@progbits
	.p2align	6, 0x0
	.amdhsa_kernel _ZN7rocprim17ROCPRIM_400000_NS6detail17trampoline_kernelINS0_14default_configENS1_35radix_sort_onesweep_config_selectorIdlEEZZNS1_29radix_sort_onesweep_iterationIS3_Lb0EPdS7_N6thrust23THRUST_200600_302600_NS10device_ptrIlEESB_jNS0_19identity_decomposerENS1_16block_id_wrapperIjLb1EEEEE10hipError_tT1_PNSt15iterator_traitsISG_E10value_typeET2_T3_PNSH_ISM_E10value_typeET4_T5_PSR_SS_PNS1_23onesweep_lookback_stateEbbT6_jjT7_P12ihipStream_tbENKUlT_T0_SG_SL_E_clIS7_S7_PlSB_EEDaSZ_S10_SG_SL_EUlSZ_E_NS1_11comp_targetILNS1_3genE2ELNS1_11target_archE906ELNS1_3gpuE6ELNS1_3repE0EEENS1_47radix_sort_onesweep_sort_config_static_selectorELNS0_4arch9wavefront6targetE1EEEvSG_
		.amdhsa_group_segment_fixed_size 10280
		.amdhsa_private_segment_fixed_size 32
		.amdhsa_kernarg_size 344
		.amdhsa_user_sgpr_count 6
		.amdhsa_user_sgpr_private_segment_buffer 1
		.amdhsa_user_sgpr_dispatch_ptr 0
		.amdhsa_user_sgpr_queue_ptr 0
		.amdhsa_user_sgpr_kernarg_segment_ptr 1
		.amdhsa_user_sgpr_dispatch_id 0
		.amdhsa_user_sgpr_flat_scratch_init 0
		.amdhsa_user_sgpr_private_segment_size 0
		.amdhsa_uses_dynamic_stack 0
		.amdhsa_system_sgpr_private_segment_wavefront_offset 1
		.amdhsa_system_sgpr_workgroup_id_x 1
		.amdhsa_system_sgpr_workgroup_id_y 0
		.amdhsa_system_sgpr_workgroup_id_z 0
		.amdhsa_system_sgpr_workgroup_info 0
		.amdhsa_system_vgpr_workitem_id 2
		.amdhsa_next_free_vgpr 47
		.amdhsa_next_free_sgpr 57
		.amdhsa_reserve_vcc 1
		.amdhsa_reserve_flat_scratch 0
		.amdhsa_float_round_mode_32 0
		.amdhsa_float_round_mode_16_64 0
		.amdhsa_float_denorm_mode_32 3
		.amdhsa_float_denorm_mode_16_64 3
		.amdhsa_dx10_clamp 1
		.amdhsa_ieee_mode 1
		.amdhsa_fp16_overflow 0
		.amdhsa_exception_fp_ieee_invalid_op 0
		.amdhsa_exception_fp_denorm_src 0
		.amdhsa_exception_fp_ieee_div_zero 0
		.amdhsa_exception_fp_ieee_overflow 0
		.amdhsa_exception_fp_ieee_underflow 0
		.amdhsa_exception_fp_ieee_inexact 0
		.amdhsa_exception_int_div_zero 0
	.end_amdhsa_kernel
	.section	.text._ZN7rocprim17ROCPRIM_400000_NS6detail17trampoline_kernelINS0_14default_configENS1_35radix_sort_onesweep_config_selectorIdlEEZZNS1_29radix_sort_onesweep_iterationIS3_Lb0EPdS7_N6thrust23THRUST_200600_302600_NS10device_ptrIlEESB_jNS0_19identity_decomposerENS1_16block_id_wrapperIjLb1EEEEE10hipError_tT1_PNSt15iterator_traitsISG_E10value_typeET2_T3_PNSH_ISM_E10value_typeET4_T5_PSR_SS_PNS1_23onesweep_lookback_stateEbbT6_jjT7_P12ihipStream_tbENKUlT_T0_SG_SL_E_clIS7_S7_PlSB_EEDaSZ_S10_SG_SL_EUlSZ_E_NS1_11comp_targetILNS1_3genE2ELNS1_11target_archE906ELNS1_3gpuE6ELNS1_3repE0EEENS1_47radix_sort_onesweep_sort_config_static_selectorELNS0_4arch9wavefront6targetE1EEEvSG_,"axG",@progbits,_ZN7rocprim17ROCPRIM_400000_NS6detail17trampoline_kernelINS0_14default_configENS1_35radix_sort_onesweep_config_selectorIdlEEZZNS1_29radix_sort_onesweep_iterationIS3_Lb0EPdS7_N6thrust23THRUST_200600_302600_NS10device_ptrIlEESB_jNS0_19identity_decomposerENS1_16block_id_wrapperIjLb1EEEEE10hipError_tT1_PNSt15iterator_traitsISG_E10value_typeET2_T3_PNSH_ISM_E10value_typeET4_T5_PSR_SS_PNS1_23onesweep_lookback_stateEbbT6_jjT7_P12ihipStream_tbENKUlT_T0_SG_SL_E_clIS7_S7_PlSB_EEDaSZ_S10_SG_SL_EUlSZ_E_NS1_11comp_targetILNS1_3genE2ELNS1_11target_archE906ELNS1_3gpuE6ELNS1_3repE0EEENS1_47radix_sort_onesweep_sort_config_static_selectorELNS0_4arch9wavefront6targetE1EEEvSG_,comdat
.Lfunc_end1637:
	.size	_ZN7rocprim17ROCPRIM_400000_NS6detail17trampoline_kernelINS0_14default_configENS1_35radix_sort_onesweep_config_selectorIdlEEZZNS1_29radix_sort_onesweep_iterationIS3_Lb0EPdS7_N6thrust23THRUST_200600_302600_NS10device_ptrIlEESB_jNS0_19identity_decomposerENS1_16block_id_wrapperIjLb1EEEEE10hipError_tT1_PNSt15iterator_traitsISG_E10value_typeET2_T3_PNSH_ISM_E10value_typeET4_T5_PSR_SS_PNS1_23onesweep_lookback_stateEbbT6_jjT7_P12ihipStream_tbENKUlT_T0_SG_SL_E_clIS7_S7_PlSB_EEDaSZ_S10_SG_SL_EUlSZ_E_NS1_11comp_targetILNS1_3genE2ELNS1_11target_archE906ELNS1_3gpuE6ELNS1_3repE0EEENS1_47radix_sort_onesweep_sort_config_static_selectorELNS0_4arch9wavefront6targetE1EEEvSG_, .Lfunc_end1637-_ZN7rocprim17ROCPRIM_400000_NS6detail17trampoline_kernelINS0_14default_configENS1_35radix_sort_onesweep_config_selectorIdlEEZZNS1_29radix_sort_onesweep_iterationIS3_Lb0EPdS7_N6thrust23THRUST_200600_302600_NS10device_ptrIlEESB_jNS0_19identity_decomposerENS1_16block_id_wrapperIjLb1EEEEE10hipError_tT1_PNSt15iterator_traitsISG_E10value_typeET2_T3_PNSH_ISM_E10value_typeET4_T5_PSR_SS_PNS1_23onesweep_lookback_stateEbbT6_jjT7_P12ihipStream_tbENKUlT_T0_SG_SL_E_clIS7_S7_PlSB_EEDaSZ_S10_SG_SL_EUlSZ_E_NS1_11comp_targetILNS1_3genE2ELNS1_11target_archE906ELNS1_3gpuE6ELNS1_3repE0EEENS1_47radix_sort_onesweep_sort_config_static_selectorELNS0_4arch9wavefront6targetE1EEEvSG_
                                        ; -- End function
	.set _ZN7rocprim17ROCPRIM_400000_NS6detail17trampoline_kernelINS0_14default_configENS1_35radix_sort_onesweep_config_selectorIdlEEZZNS1_29radix_sort_onesweep_iterationIS3_Lb0EPdS7_N6thrust23THRUST_200600_302600_NS10device_ptrIlEESB_jNS0_19identity_decomposerENS1_16block_id_wrapperIjLb1EEEEE10hipError_tT1_PNSt15iterator_traitsISG_E10value_typeET2_T3_PNSH_ISM_E10value_typeET4_T5_PSR_SS_PNS1_23onesweep_lookback_stateEbbT6_jjT7_P12ihipStream_tbENKUlT_T0_SG_SL_E_clIS7_S7_PlSB_EEDaSZ_S10_SG_SL_EUlSZ_E_NS1_11comp_targetILNS1_3genE2ELNS1_11target_archE906ELNS1_3gpuE6ELNS1_3repE0EEENS1_47radix_sort_onesweep_sort_config_static_selectorELNS0_4arch9wavefront6targetE1EEEvSG_.num_vgpr, 47
	.set _ZN7rocprim17ROCPRIM_400000_NS6detail17trampoline_kernelINS0_14default_configENS1_35radix_sort_onesweep_config_selectorIdlEEZZNS1_29radix_sort_onesweep_iterationIS3_Lb0EPdS7_N6thrust23THRUST_200600_302600_NS10device_ptrIlEESB_jNS0_19identity_decomposerENS1_16block_id_wrapperIjLb1EEEEE10hipError_tT1_PNSt15iterator_traitsISG_E10value_typeET2_T3_PNSH_ISM_E10value_typeET4_T5_PSR_SS_PNS1_23onesweep_lookback_stateEbbT6_jjT7_P12ihipStream_tbENKUlT_T0_SG_SL_E_clIS7_S7_PlSB_EEDaSZ_S10_SG_SL_EUlSZ_E_NS1_11comp_targetILNS1_3genE2ELNS1_11target_archE906ELNS1_3gpuE6ELNS1_3repE0EEENS1_47radix_sort_onesweep_sort_config_static_selectorELNS0_4arch9wavefront6targetE1EEEvSG_.num_agpr, 0
	.set _ZN7rocprim17ROCPRIM_400000_NS6detail17trampoline_kernelINS0_14default_configENS1_35radix_sort_onesweep_config_selectorIdlEEZZNS1_29radix_sort_onesweep_iterationIS3_Lb0EPdS7_N6thrust23THRUST_200600_302600_NS10device_ptrIlEESB_jNS0_19identity_decomposerENS1_16block_id_wrapperIjLb1EEEEE10hipError_tT1_PNSt15iterator_traitsISG_E10value_typeET2_T3_PNSH_ISM_E10value_typeET4_T5_PSR_SS_PNS1_23onesweep_lookback_stateEbbT6_jjT7_P12ihipStream_tbENKUlT_T0_SG_SL_E_clIS7_S7_PlSB_EEDaSZ_S10_SG_SL_EUlSZ_E_NS1_11comp_targetILNS1_3genE2ELNS1_11target_archE906ELNS1_3gpuE6ELNS1_3repE0EEENS1_47radix_sort_onesweep_sort_config_static_selectorELNS0_4arch9wavefront6targetE1EEEvSG_.numbered_sgpr, 57
	.set _ZN7rocprim17ROCPRIM_400000_NS6detail17trampoline_kernelINS0_14default_configENS1_35radix_sort_onesweep_config_selectorIdlEEZZNS1_29radix_sort_onesweep_iterationIS3_Lb0EPdS7_N6thrust23THRUST_200600_302600_NS10device_ptrIlEESB_jNS0_19identity_decomposerENS1_16block_id_wrapperIjLb1EEEEE10hipError_tT1_PNSt15iterator_traitsISG_E10value_typeET2_T3_PNSH_ISM_E10value_typeET4_T5_PSR_SS_PNS1_23onesweep_lookback_stateEbbT6_jjT7_P12ihipStream_tbENKUlT_T0_SG_SL_E_clIS7_S7_PlSB_EEDaSZ_S10_SG_SL_EUlSZ_E_NS1_11comp_targetILNS1_3genE2ELNS1_11target_archE906ELNS1_3gpuE6ELNS1_3repE0EEENS1_47radix_sort_onesweep_sort_config_static_selectorELNS0_4arch9wavefront6targetE1EEEvSG_.num_named_barrier, 0
	.set _ZN7rocprim17ROCPRIM_400000_NS6detail17trampoline_kernelINS0_14default_configENS1_35radix_sort_onesweep_config_selectorIdlEEZZNS1_29radix_sort_onesweep_iterationIS3_Lb0EPdS7_N6thrust23THRUST_200600_302600_NS10device_ptrIlEESB_jNS0_19identity_decomposerENS1_16block_id_wrapperIjLb1EEEEE10hipError_tT1_PNSt15iterator_traitsISG_E10value_typeET2_T3_PNSH_ISM_E10value_typeET4_T5_PSR_SS_PNS1_23onesweep_lookback_stateEbbT6_jjT7_P12ihipStream_tbENKUlT_T0_SG_SL_E_clIS7_S7_PlSB_EEDaSZ_S10_SG_SL_EUlSZ_E_NS1_11comp_targetILNS1_3genE2ELNS1_11target_archE906ELNS1_3gpuE6ELNS1_3repE0EEENS1_47radix_sort_onesweep_sort_config_static_selectorELNS0_4arch9wavefront6targetE1EEEvSG_.private_seg_size, 32
	.set _ZN7rocprim17ROCPRIM_400000_NS6detail17trampoline_kernelINS0_14default_configENS1_35radix_sort_onesweep_config_selectorIdlEEZZNS1_29radix_sort_onesweep_iterationIS3_Lb0EPdS7_N6thrust23THRUST_200600_302600_NS10device_ptrIlEESB_jNS0_19identity_decomposerENS1_16block_id_wrapperIjLb1EEEEE10hipError_tT1_PNSt15iterator_traitsISG_E10value_typeET2_T3_PNSH_ISM_E10value_typeET4_T5_PSR_SS_PNS1_23onesweep_lookback_stateEbbT6_jjT7_P12ihipStream_tbENKUlT_T0_SG_SL_E_clIS7_S7_PlSB_EEDaSZ_S10_SG_SL_EUlSZ_E_NS1_11comp_targetILNS1_3genE2ELNS1_11target_archE906ELNS1_3gpuE6ELNS1_3repE0EEENS1_47radix_sort_onesweep_sort_config_static_selectorELNS0_4arch9wavefront6targetE1EEEvSG_.uses_vcc, 1
	.set _ZN7rocprim17ROCPRIM_400000_NS6detail17trampoline_kernelINS0_14default_configENS1_35radix_sort_onesweep_config_selectorIdlEEZZNS1_29radix_sort_onesweep_iterationIS3_Lb0EPdS7_N6thrust23THRUST_200600_302600_NS10device_ptrIlEESB_jNS0_19identity_decomposerENS1_16block_id_wrapperIjLb1EEEEE10hipError_tT1_PNSt15iterator_traitsISG_E10value_typeET2_T3_PNSH_ISM_E10value_typeET4_T5_PSR_SS_PNS1_23onesweep_lookback_stateEbbT6_jjT7_P12ihipStream_tbENKUlT_T0_SG_SL_E_clIS7_S7_PlSB_EEDaSZ_S10_SG_SL_EUlSZ_E_NS1_11comp_targetILNS1_3genE2ELNS1_11target_archE906ELNS1_3gpuE6ELNS1_3repE0EEENS1_47radix_sort_onesweep_sort_config_static_selectorELNS0_4arch9wavefront6targetE1EEEvSG_.uses_flat_scratch, 0
	.set _ZN7rocprim17ROCPRIM_400000_NS6detail17trampoline_kernelINS0_14default_configENS1_35radix_sort_onesweep_config_selectorIdlEEZZNS1_29radix_sort_onesweep_iterationIS3_Lb0EPdS7_N6thrust23THRUST_200600_302600_NS10device_ptrIlEESB_jNS0_19identity_decomposerENS1_16block_id_wrapperIjLb1EEEEE10hipError_tT1_PNSt15iterator_traitsISG_E10value_typeET2_T3_PNSH_ISM_E10value_typeET4_T5_PSR_SS_PNS1_23onesweep_lookback_stateEbbT6_jjT7_P12ihipStream_tbENKUlT_T0_SG_SL_E_clIS7_S7_PlSB_EEDaSZ_S10_SG_SL_EUlSZ_E_NS1_11comp_targetILNS1_3genE2ELNS1_11target_archE906ELNS1_3gpuE6ELNS1_3repE0EEENS1_47radix_sort_onesweep_sort_config_static_selectorELNS0_4arch9wavefront6targetE1EEEvSG_.has_dyn_sized_stack, 0
	.set _ZN7rocprim17ROCPRIM_400000_NS6detail17trampoline_kernelINS0_14default_configENS1_35radix_sort_onesweep_config_selectorIdlEEZZNS1_29radix_sort_onesweep_iterationIS3_Lb0EPdS7_N6thrust23THRUST_200600_302600_NS10device_ptrIlEESB_jNS0_19identity_decomposerENS1_16block_id_wrapperIjLb1EEEEE10hipError_tT1_PNSt15iterator_traitsISG_E10value_typeET2_T3_PNSH_ISM_E10value_typeET4_T5_PSR_SS_PNS1_23onesweep_lookback_stateEbbT6_jjT7_P12ihipStream_tbENKUlT_T0_SG_SL_E_clIS7_S7_PlSB_EEDaSZ_S10_SG_SL_EUlSZ_E_NS1_11comp_targetILNS1_3genE2ELNS1_11target_archE906ELNS1_3gpuE6ELNS1_3repE0EEENS1_47radix_sort_onesweep_sort_config_static_selectorELNS0_4arch9wavefront6targetE1EEEvSG_.has_recursion, 0
	.set _ZN7rocprim17ROCPRIM_400000_NS6detail17trampoline_kernelINS0_14default_configENS1_35radix_sort_onesweep_config_selectorIdlEEZZNS1_29radix_sort_onesweep_iterationIS3_Lb0EPdS7_N6thrust23THRUST_200600_302600_NS10device_ptrIlEESB_jNS0_19identity_decomposerENS1_16block_id_wrapperIjLb1EEEEE10hipError_tT1_PNSt15iterator_traitsISG_E10value_typeET2_T3_PNSH_ISM_E10value_typeET4_T5_PSR_SS_PNS1_23onesweep_lookback_stateEbbT6_jjT7_P12ihipStream_tbENKUlT_T0_SG_SL_E_clIS7_S7_PlSB_EEDaSZ_S10_SG_SL_EUlSZ_E_NS1_11comp_targetILNS1_3genE2ELNS1_11target_archE906ELNS1_3gpuE6ELNS1_3repE0EEENS1_47radix_sort_onesweep_sort_config_static_selectorELNS0_4arch9wavefront6targetE1EEEvSG_.has_indirect_call, 0
	.section	.AMDGPU.csdata,"",@progbits
; Kernel info:
; codeLenInByte = 10636
; TotalNumSgprs: 61
; NumVgprs: 47
; ScratchSize: 32
; MemoryBound: 0
; FloatMode: 240
; IeeeMode: 1
; LDSByteSize: 10280 bytes/workgroup (compile time only)
; SGPRBlocks: 7
; VGPRBlocks: 11
; NumSGPRsForWavesPerEU: 61
; NumVGPRsForWavesPerEU: 47
; Occupancy: 5
; WaveLimiterHint : 1
; COMPUTE_PGM_RSRC2:SCRATCH_EN: 1
; COMPUTE_PGM_RSRC2:USER_SGPR: 6
; COMPUTE_PGM_RSRC2:TRAP_HANDLER: 0
; COMPUTE_PGM_RSRC2:TGID_X_EN: 1
; COMPUTE_PGM_RSRC2:TGID_Y_EN: 0
; COMPUTE_PGM_RSRC2:TGID_Z_EN: 0
; COMPUTE_PGM_RSRC2:TIDIG_COMP_CNT: 2
	.section	.text._ZN7rocprim17ROCPRIM_400000_NS6detail17trampoline_kernelINS0_14default_configENS1_35radix_sort_onesweep_config_selectorIdlEEZZNS1_29radix_sort_onesweep_iterationIS3_Lb0EPdS7_N6thrust23THRUST_200600_302600_NS10device_ptrIlEESB_jNS0_19identity_decomposerENS1_16block_id_wrapperIjLb1EEEEE10hipError_tT1_PNSt15iterator_traitsISG_E10value_typeET2_T3_PNSH_ISM_E10value_typeET4_T5_PSR_SS_PNS1_23onesweep_lookback_stateEbbT6_jjT7_P12ihipStream_tbENKUlT_T0_SG_SL_E_clIS7_S7_PlSB_EEDaSZ_S10_SG_SL_EUlSZ_E_NS1_11comp_targetILNS1_3genE4ELNS1_11target_archE910ELNS1_3gpuE8ELNS1_3repE0EEENS1_47radix_sort_onesweep_sort_config_static_selectorELNS0_4arch9wavefront6targetE1EEEvSG_,"axG",@progbits,_ZN7rocprim17ROCPRIM_400000_NS6detail17trampoline_kernelINS0_14default_configENS1_35radix_sort_onesweep_config_selectorIdlEEZZNS1_29radix_sort_onesweep_iterationIS3_Lb0EPdS7_N6thrust23THRUST_200600_302600_NS10device_ptrIlEESB_jNS0_19identity_decomposerENS1_16block_id_wrapperIjLb1EEEEE10hipError_tT1_PNSt15iterator_traitsISG_E10value_typeET2_T3_PNSH_ISM_E10value_typeET4_T5_PSR_SS_PNS1_23onesweep_lookback_stateEbbT6_jjT7_P12ihipStream_tbENKUlT_T0_SG_SL_E_clIS7_S7_PlSB_EEDaSZ_S10_SG_SL_EUlSZ_E_NS1_11comp_targetILNS1_3genE4ELNS1_11target_archE910ELNS1_3gpuE8ELNS1_3repE0EEENS1_47radix_sort_onesweep_sort_config_static_selectorELNS0_4arch9wavefront6targetE1EEEvSG_,comdat
	.protected	_ZN7rocprim17ROCPRIM_400000_NS6detail17trampoline_kernelINS0_14default_configENS1_35radix_sort_onesweep_config_selectorIdlEEZZNS1_29radix_sort_onesweep_iterationIS3_Lb0EPdS7_N6thrust23THRUST_200600_302600_NS10device_ptrIlEESB_jNS0_19identity_decomposerENS1_16block_id_wrapperIjLb1EEEEE10hipError_tT1_PNSt15iterator_traitsISG_E10value_typeET2_T3_PNSH_ISM_E10value_typeET4_T5_PSR_SS_PNS1_23onesweep_lookback_stateEbbT6_jjT7_P12ihipStream_tbENKUlT_T0_SG_SL_E_clIS7_S7_PlSB_EEDaSZ_S10_SG_SL_EUlSZ_E_NS1_11comp_targetILNS1_3genE4ELNS1_11target_archE910ELNS1_3gpuE8ELNS1_3repE0EEENS1_47radix_sort_onesweep_sort_config_static_selectorELNS0_4arch9wavefront6targetE1EEEvSG_ ; -- Begin function _ZN7rocprim17ROCPRIM_400000_NS6detail17trampoline_kernelINS0_14default_configENS1_35radix_sort_onesweep_config_selectorIdlEEZZNS1_29radix_sort_onesweep_iterationIS3_Lb0EPdS7_N6thrust23THRUST_200600_302600_NS10device_ptrIlEESB_jNS0_19identity_decomposerENS1_16block_id_wrapperIjLb1EEEEE10hipError_tT1_PNSt15iterator_traitsISG_E10value_typeET2_T3_PNSH_ISM_E10value_typeET4_T5_PSR_SS_PNS1_23onesweep_lookback_stateEbbT6_jjT7_P12ihipStream_tbENKUlT_T0_SG_SL_E_clIS7_S7_PlSB_EEDaSZ_S10_SG_SL_EUlSZ_E_NS1_11comp_targetILNS1_3genE4ELNS1_11target_archE910ELNS1_3gpuE8ELNS1_3repE0EEENS1_47radix_sort_onesweep_sort_config_static_selectorELNS0_4arch9wavefront6targetE1EEEvSG_
	.globl	_ZN7rocprim17ROCPRIM_400000_NS6detail17trampoline_kernelINS0_14default_configENS1_35radix_sort_onesweep_config_selectorIdlEEZZNS1_29radix_sort_onesweep_iterationIS3_Lb0EPdS7_N6thrust23THRUST_200600_302600_NS10device_ptrIlEESB_jNS0_19identity_decomposerENS1_16block_id_wrapperIjLb1EEEEE10hipError_tT1_PNSt15iterator_traitsISG_E10value_typeET2_T3_PNSH_ISM_E10value_typeET4_T5_PSR_SS_PNS1_23onesweep_lookback_stateEbbT6_jjT7_P12ihipStream_tbENKUlT_T0_SG_SL_E_clIS7_S7_PlSB_EEDaSZ_S10_SG_SL_EUlSZ_E_NS1_11comp_targetILNS1_3genE4ELNS1_11target_archE910ELNS1_3gpuE8ELNS1_3repE0EEENS1_47radix_sort_onesweep_sort_config_static_selectorELNS0_4arch9wavefront6targetE1EEEvSG_
	.p2align	8
	.type	_ZN7rocprim17ROCPRIM_400000_NS6detail17trampoline_kernelINS0_14default_configENS1_35radix_sort_onesweep_config_selectorIdlEEZZNS1_29radix_sort_onesweep_iterationIS3_Lb0EPdS7_N6thrust23THRUST_200600_302600_NS10device_ptrIlEESB_jNS0_19identity_decomposerENS1_16block_id_wrapperIjLb1EEEEE10hipError_tT1_PNSt15iterator_traitsISG_E10value_typeET2_T3_PNSH_ISM_E10value_typeET4_T5_PSR_SS_PNS1_23onesweep_lookback_stateEbbT6_jjT7_P12ihipStream_tbENKUlT_T0_SG_SL_E_clIS7_S7_PlSB_EEDaSZ_S10_SG_SL_EUlSZ_E_NS1_11comp_targetILNS1_3genE4ELNS1_11target_archE910ELNS1_3gpuE8ELNS1_3repE0EEENS1_47radix_sort_onesweep_sort_config_static_selectorELNS0_4arch9wavefront6targetE1EEEvSG_,@function
_ZN7rocprim17ROCPRIM_400000_NS6detail17trampoline_kernelINS0_14default_configENS1_35radix_sort_onesweep_config_selectorIdlEEZZNS1_29radix_sort_onesweep_iterationIS3_Lb0EPdS7_N6thrust23THRUST_200600_302600_NS10device_ptrIlEESB_jNS0_19identity_decomposerENS1_16block_id_wrapperIjLb1EEEEE10hipError_tT1_PNSt15iterator_traitsISG_E10value_typeET2_T3_PNSH_ISM_E10value_typeET4_T5_PSR_SS_PNS1_23onesweep_lookback_stateEbbT6_jjT7_P12ihipStream_tbENKUlT_T0_SG_SL_E_clIS7_S7_PlSB_EEDaSZ_S10_SG_SL_EUlSZ_E_NS1_11comp_targetILNS1_3genE4ELNS1_11target_archE910ELNS1_3gpuE8ELNS1_3repE0EEENS1_47radix_sort_onesweep_sort_config_static_selectorELNS0_4arch9wavefront6targetE1EEEvSG_: ; @_ZN7rocprim17ROCPRIM_400000_NS6detail17trampoline_kernelINS0_14default_configENS1_35radix_sort_onesweep_config_selectorIdlEEZZNS1_29radix_sort_onesweep_iterationIS3_Lb0EPdS7_N6thrust23THRUST_200600_302600_NS10device_ptrIlEESB_jNS0_19identity_decomposerENS1_16block_id_wrapperIjLb1EEEEE10hipError_tT1_PNSt15iterator_traitsISG_E10value_typeET2_T3_PNSH_ISM_E10value_typeET4_T5_PSR_SS_PNS1_23onesweep_lookback_stateEbbT6_jjT7_P12ihipStream_tbENKUlT_T0_SG_SL_E_clIS7_S7_PlSB_EEDaSZ_S10_SG_SL_EUlSZ_E_NS1_11comp_targetILNS1_3genE4ELNS1_11target_archE910ELNS1_3gpuE8ELNS1_3repE0EEENS1_47radix_sort_onesweep_sort_config_static_selectorELNS0_4arch9wavefront6targetE1EEEvSG_
; %bb.0:
	.section	.rodata,"a",@progbits
	.p2align	6, 0x0
	.amdhsa_kernel _ZN7rocprim17ROCPRIM_400000_NS6detail17trampoline_kernelINS0_14default_configENS1_35radix_sort_onesweep_config_selectorIdlEEZZNS1_29radix_sort_onesweep_iterationIS3_Lb0EPdS7_N6thrust23THRUST_200600_302600_NS10device_ptrIlEESB_jNS0_19identity_decomposerENS1_16block_id_wrapperIjLb1EEEEE10hipError_tT1_PNSt15iterator_traitsISG_E10value_typeET2_T3_PNSH_ISM_E10value_typeET4_T5_PSR_SS_PNS1_23onesweep_lookback_stateEbbT6_jjT7_P12ihipStream_tbENKUlT_T0_SG_SL_E_clIS7_S7_PlSB_EEDaSZ_S10_SG_SL_EUlSZ_E_NS1_11comp_targetILNS1_3genE4ELNS1_11target_archE910ELNS1_3gpuE8ELNS1_3repE0EEENS1_47radix_sort_onesweep_sort_config_static_selectorELNS0_4arch9wavefront6targetE1EEEvSG_
		.amdhsa_group_segment_fixed_size 0
		.amdhsa_private_segment_fixed_size 0
		.amdhsa_kernarg_size 88
		.amdhsa_user_sgpr_count 6
		.amdhsa_user_sgpr_private_segment_buffer 1
		.amdhsa_user_sgpr_dispatch_ptr 0
		.amdhsa_user_sgpr_queue_ptr 0
		.amdhsa_user_sgpr_kernarg_segment_ptr 1
		.amdhsa_user_sgpr_dispatch_id 0
		.amdhsa_user_sgpr_flat_scratch_init 0
		.amdhsa_user_sgpr_private_segment_size 0
		.amdhsa_uses_dynamic_stack 0
		.amdhsa_system_sgpr_private_segment_wavefront_offset 0
		.amdhsa_system_sgpr_workgroup_id_x 1
		.amdhsa_system_sgpr_workgroup_id_y 0
		.amdhsa_system_sgpr_workgroup_id_z 0
		.amdhsa_system_sgpr_workgroup_info 0
		.amdhsa_system_vgpr_workitem_id 0
		.amdhsa_next_free_vgpr 1
		.amdhsa_next_free_sgpr 0
		.amdhsa_reserve_vcc 0
		.amdhsa_reserve_flat_scratch 0
		.amdhsa_float_round_mode_32 0
		.amdhsa_float_round_mode_16_64 0
		.amdhsa_float_denorm_mode_32 3
		.amdhsa_float_denorm_mode_16_64 3
		.amdhsa_dx10_clamp 1
		.amdhsa_ieee_mode 1
		.amdhsa_fp16_overflow 0
		.amdhsa_exception_fp_ieee_invalid_op 0
		.amdhsa_exception_fp_denorm_src 0
		.amdhsa_exception_fp_ieee_div_zero 0
		.amdhsa_exception_fp_ieee_overflow 0
		.amdhsa_exception_fp_ieee_underflow 0
		.amdhsa_exception_fp_ieee_inexact 0
		.amdhsa_exception_int_div_zero 0
	.end_amdhsa_kernel
	.section	.text._ZN7rocprim17ROCPRIM_400000_NS6detail17trampoline_kernelINS0_14default_configENS1_35radix_sort_onesweep_config_selectorIdlEEZZNS1_29radix_sort_onesweep_iterationIS3_Lb0EPdS7_N6thrust23THRUST_200600_302600_NS10device_ptrIlEESB_jNS0_19identity_decomposerENS1_16block_id_wrapperIjLb1EEEEE10hipError_tT1_PNSt15iterator_traitsISG_E10value_typeET2_T3_PNSH_ISM_E10value_typeET4_T5_PSR_SS_PNS1_23onesweep_lookback_stateEbbT6_jjT7_P12ihipStream_tbENKUlT_T0_SG_SL_E_clIS7_S7_PlSB_EEDaSZ_S10_SG_SL_EUlSZ_E_NS1_11comp_targetILNS1_3genE4ELNS1_11target_archE910ELNS1_3gpuE8ELNS1_3repE0EEENS1_47radix_sort_onesweep_sort_config_static_selectorELNS0_4arch9wavefront6targetE1EEEvSG_,"axG",@progbits,_ZN7rocprim17ROCPRIM_400000_NS6detail17trampoline_kernelINS0_14default_configENS1_35radix_sort_onesweep_config_selectorIdlEEZZNS1_29radix_sort_onesweep_iterationIS3_Lb0EPdS7_N6thrust23THRUST_200600_302600_NS10device_ptrIlEESB_jNS0_19identity_decomposerENS1_16block_id_wrapperIjLb1EEEEE10hipError_tT1_PNSt15iterator_traitsISG_E10value_typeET2_T3_PNSH_ISM_E10value_typeET4_T5_PSR_SS_PNS1_23onesweep_lookback_stateEbbT6_jjT7_P12ihipStream_tbENKUlT_T0_SG_SL_E_clIS7_S7_PlSB_EEDaSZ_S10_SG_SL_EUlSZ_E_NS1_11comp_targetILNS1_3genE4ELNS1_11target_archE910ELNS1_3gpuE8ELNS1_3repE0EEENS1_47radix_sort_onesweep_sort_config_static_selectorELNS0_4arch9wavefront6targetE1EEEvSG_,comdat
.Lfunc_end1638:
	.size	_ZN7rocprim17ROCPRIM_400000_NS6detail17trampoline_kernelINS0_14default_configENS1_35radix_sort_onesweep_config_selectorIdlEEZZNS1_29radix_sort_onesweep_iterationIS3_Lb0EPdS7_N6thrust23THRUST_200600_302600_NS10device_ptrIlEESB_jNS0_19identity_decomposerENS1_16block_id_wrapperIjLb1EEEEE10hipError_tT1_PNSt15iterator_traitsISG_E10value_typeET2_T3_PNSH_ISM_E10value_typeET4_T5_PSR_SS_PNS1_23onesweep_lookback_stateEbbT6_jjT7_P12ihipStream_tbENKUlT_T0_SG_SL_E_clIS7_S7_PlSB_EEDaSZ_S10_SG_SL_EUlSZ_E_NS1_11comp_targetILNS1_3genE4ELNS1_11target_archE910ELNS1_3gpuE8ELNS1_3repE0EEENS1_47radix_sort_onesweep_sort_config_static_selectorELNS0_4arch9wavefront6targetE1EEEvSG_, .Lfunc_end1638-_ZN7rocprim17ROCPRIM_400000_NS6detail17trampoline_kernelINS0_14default_configENS1_35radix_sort_onesweep_config_selectorIdlEEZZNS1_29radix_sort_onesweep_iterationIS3_Lb0EPdS7_N6thrust23THRUST_200600_302600_NS10device_ptrIlEESB_jNS0_19identity_decomposerENS1_16block_id_wrapperIjLb1EEEEE10hipError_tT1_PNSt15iterator_traitsISG_E10value_typeET2_T3_PNSH_ISM_E10value_typeET4_T5_PSR_SS_PNS1_23onesweep_lookback_stateEbbT6_jjT7_P12ihipStream_tbENKUlT_T0_SG_SL_E_clIS7_S7_PlSB_EEDaSZ_S10_SG_SL_EUlSZ_E_NS1_11comp_targetILNS1_3genE4ELNS1_11target_archE910ELNS1_3gpuE8ELNS1_3repE0EEENS1_47radix_sort_onesweep_sort_config_static_selectorELNS0_4arch9wavefront6targetE1EEEvSG_
                                        ; -- End function
	.set _ZN7rocprim17ROCPRIM_400000_NS6detail17trampoline_kernelINS0_14default_configENS1_35radix_sort_onesweep_config_selectorIdlEEZZNS1_29radix_sort_onesweep_iterationIS3_Lb0EPdS7_N6thrust23THRUST_200600_302600_NS10device_ptrIlEESB_jNS0_19identity_decomposerENS1_16block_id_wrapperIjLb1EEEEE10hipError_tT1_PNSt15iterator_traitsISG_E10value_typeET2_T3_PNSH_ISM_E10value_typeET4_T5_PSR_SS_PNS1_23onesweep_lookback_stateEbbT6_jjT7_P12ihipStream_tbENKUlT_T0_SG_SL_E_clIS7_S7_PlSB_EEDaSZ_S10_SG_SL_EUlSZ_E_NS1_11comp_targetILNS1_3genE4ELNS1_11target_archE910ELNS1_3gpuE8ELNS1_3repE0EEENS1_47radix_sort_onesweep_sort_config_static_selectorELNS0_4arch9wavefront6targetE1EEEvSG_.num_vgpr, 0
	.set _ZN7rocprim17ROCPRIM_400000_NS6detail17trampoline_kernelINS0_14default_configENS1_35radix_sort_onesweep_config_selectorIdlEEZZNS1_29radix_sort_onesweep_iterationIS3_Lb0EPdS7_N6thrust23THRUST_200600_302600_NS10device_ptrIlEESB_jNS0_19identity_decomposerENS1_16block_id_wrapperIjLb1EEEEE10hipError_tT1_PNSt15iterator_traitsISG_E10value_typeET2_T3_PNSH_ISM_E10value_typeET4_T5_PSR_SS_PNS1_23onesweep_lookback_stateEbbT6_jjT7_P12ihipStream_tbENKUlT_T0_SG_SL_E_clIS7_S7_PlSB_EEDaSZ_S10_SG_SL_EUlSZ_E_NS1_11comp_targetILNS1_3genE4ELNS1_11target_archE910ELNS1_3gpuE8ELNS1_3repE0EEENS1_47radix_sort_onesweep_sort_config_static_selectorELNS0_4arch9wavefront6targetE1EEEvSG_.num_agpr, 0
	.set _ZN7rocprim17ROCPRIM_400000_NS6detail17trampoline_kernelINS0_14default_configENS1_35radix_sort_onesweep_config_selectorIdlEEZZNS1_29radix_sort_onesweep_iterationIS3_Lb0EPdS7_N6thrust23THRUST_200600_302600_NS10device_ptrIlEESB_jNS0_19identity_decomposerENS1_16block_id_wrapperIjLb1EEEEE10hipError_tT1_PNSt15iterator_traitsISG_E10value_typeET2_T3_PNSH_ISM_E10value_typeET4_T5_PSR_SS_PNS1_23onesweep_lookback_stateEbbT6_jjT7_P12ihipStream_tbENKUlT_T0_SG_SL_E_clIS7_S7_PlSB_EEDaSZ_S10_SG_SL_EUlSZ_E_NS1_11comp_targetILNS1_3genE4ELNS1_11target_archE910ELNS1_3gpuE8ELNS1_3repE0EEENS1_47radix_sort_onesweep_sort_config_static_selectorELNS0_4arch9wavefront6targetE1EEEvSG_.numbered_sgpr, 0
	.set _ZN7rocprim17ROCPRIM_400000_NS6detail17trampoline_kernelINS0_14default_configENS1_35radix_sort_onesweep_config_selectorIdlEEZZNS1_29radix_sort_onesweep_iterationIS3_Lb0EPdS7_N6thrust23THRUST_200600_302600_NS10device_ptrIlEESB_jNS0_19identity_decomposerENS1_16block_id_wrapperIjLb1EEEEE10hipError_tT1_PNSt15iterator_traitsISG_E10value_typeET2_T3_PNSH_ISM_E10value_typeET4_T5_PSR_SS_PNS1_23onesweep_lookback_stateEbbT6_jjT7_P12ihipStream_tbENKUlT_T0_SG_SL_E_clIS7_S7_PlSB_EEDaSZ_S10_SG_SL_EUlSZ_E_NS1_11comp_targetILNS1_3genE4ELNS1_11target_archE910ELNS1_3gpuE8ELNS1_3repE0EEENS1_47radix_sort_onesweep_sort_config_static_selectorELNS0_4arch9wavefront6targetE1EEEvSG_.num_named_barrier, 0
	.set _ZN7rocprim17ROCPRIM_400000_NS6detail17trampoline_kernelINS0_14default_configENS1_35radix_sort_onesweep_config_selectorIdlEEZZNS1_29radix_sort_onesweep_iterationIS3_Lb0EPdS7_N6thrust23THRUST_200600_302600_NS10device_ptrIlEESB_jNS0_19identity_decomposerENS1_16block_id_wrapperIjLb1EEEEE10hipError_tT1_PNSt15iterator_traitsISG_E10value_typeET2_T3_PNSH_ISM_E10value_typeET4_T5_PSR_SS_PNS1_23onesweep_lookback_stateEbbT6_jjT7_P12ihipStream_tbENKUlT_T0_SG_SL_E_clIS7_S7_PlSB_EEDaSZ_S10_SG_SL_EUlSZ_E_NS1_11comp_targetILNS1_3genE4ELNS1_11target_archE910ELNS1_3gpuE8ELNS1_3repE0EEENS1_47radix_sort_onesweep_sort_config_static_selectorELNS0_4arch9wavefront6targetE1EEEvSG_.private_seg_size, 0
	.set _ZN7rocprim17ROCPRIM_400000_NS6detail17trampoline_kernelINS0_14default_configENS1_35radix_sort_onesweep_config_selectorIdlEEZZNS1_29radix_sort_onesweep_iterationIS3_Lb0EPdS7_N6thrust23THRUST_200600_302600_NS10device_ptrIlEESB_jNS0_19identity_decomposerENS1_16block_id_wrapperIjLb1EEEEE10hipError_tT1_PNSt15iterator_traitsISG_E10value_typeET2_T3_PNSH_ISM_E10value_typeET4_T5_PSR_SS_PNS1_23onesweep_lookback_stateEbbT6_jjT7_P12ihipStream_tbENKUlT_T0_SG_SL_E_clIS7_S7_PlSB_EEDaSZ_S10_SG_SL_EUlSZ_E_NS1_11comp_targetILNS1_3genE4ELNS1_11target_archE910ELNS1_3gpuE8ELNS1_3repE0EEENS1_47radix_sort_onesweep_sort_config_static_selectorELNS0_4arch9wavefront6targetE1EEEvSG_.uses_vcc, 0
	.set _ZN7rocprim17ROCPRIM_400000_NS6detail17trampoline_kernelINS0_14default_configENS1_35radix_sort_onesweep_config_selectorIdlEEZZNS1_29radix_sort_onesweep_iterationIS3_Lb0EPdS7_N6thrust23THRUST_200600_302600_NS10device_ptrIlEESB_jNS0_19identity_decomposerENS1_16block_id_wrapperIjLb1EEEEE10hipError_tT1_PNSt15iterator_traitsISG_E10value_typeET2_T3_PNSH_ISM_E10value_typeET4_T5_PSR_SS_PNS1_23onesweep_lookback_stateEbbT6_jjT7_P12ihipStream_tbENKUlT_T0_SG_SL_E_clIS7_S7_PlSB_EEDaSZ_S10_SG_SL_EUlSZ_E_NS1_11comp_targetILNS1_3genE4ELNS1_11target_archE910ELNS1_3gpuE8ELNS1_3repE0EEENS1_47radix_sort_onesweep_sort_config_static_selectorELNS0_4arch9wavefront6targetE1EEEvSG_.uses_flat_scratch, 0
	.set _ZN7rocprim17ROCPRIM_400000_NS6detail17trampoline_kernelINS0_14default_configENS1_35radix_sort_onesweep_config_selectorIdlEEZZNS1_29radix_sort_onesweep_iterationIS3_Lb0EPdS7_N6thrust23THRUST_200600_302600_NS10device_ptrIlEESB_jNS0_19identity_decomposerENS1_16block_id_wrapperIjLb1EEEEE10hipError_tT1_PNSt15iterator_traitsISG_E10value_typeET2_T3_PNSH_ISM_E10value_typeET4_T5_PSR_SS_PNS1_23onesweep_lookback_stateEbbT6_jjT7_P12ihipStream_tbENKUlT_T0_SG_SL_E_clIS7_S7_PlSB_EEDaSZ_S10_SG_SL_EUlSZ_E_NS1_11comp_targetILNS1_3genE4ELNS1_11target_archE910ELNS1_3gpuE8ELNS1_3repE0EEENS1_47radix_sort_onesweep_sort_config_static_selectorELNS0_4arch9wavefront6targetE1EEEvSG_.has_dyn_sized_stack, 0
	.set _ZN7rocprim17ROCPRIM_400000_NS6detail17trampoline_kernelINS0_14default_configENS1_35radix_sort_onesweep_config_selectorIdlEEZZNS1_29radix_sort_onesweep_iterationIS3_Lb0EPdS7_N6thrust23THRUST_200600_302600_NS10device_ptrIlEESB_jNS0_19identity_decomposerENS1_16block_id_wrapperIjLb1EEEEE10hipError_tT1_PNSt15iterator_traitsISG_E10value_typeET2_T3_PNSH_ISM_E10value_typeET4_T5_PSR_SS_PNS1_23onesweep_lookback_stateEbbT6_jjT7_P12ihipStream_tbENKUlT_T0_SG_SL_E_clIS7_S7_PlSB_EEDaSZ_S10_SG_SL_EUlSZ_E_NS1_11comp_targetILNS1_3genE4ELNS1_11target_archE910ELNS1_3gpuE8ELNS1_3repE0EEENS1_47radix_sort_onesweep_sort_config_static_selectorELNS0_4arch9wavefront6targetE1EEEvSG_.has_recursion, 0
	.set _ZN7rocprim17ROCPRIM_400000_NS6detail17trampoline_kernelINS0_14default_configENS1_35radix_sort_onesweep_config_selectorIdlEEZZNS1_29radix_sort_onesweep_iterationIS3_Lb0EPdS7_N6thrust23THRUST_200600_302600_NS10device_ptrIlEESB_jNS0_19identity_decomposerENS1_16block_id_wrapperIjLb1EEEEE10hipError_tT1_PNSt15iterator_traitsISG_E10value_typeET2_T3_PNSH_ISM_E10value_typeET4_T5_PSR_SS_PNS1_23onesweep_lookback_stateEbbT6_jjT7_P12ihipStream_tbENKUlT_T0_SG_SL_E_clIS7_S7_PlSB_EEDaSZ_S10_SG_SL_EUlSZ_E_NS1_11comp_targetILNS1_3genE4ELNS1_11target_archE910ELNS1_3gpuE8ELNS1_3repE0EEENS1_47radix_sort_onesweep_sort_config_static_selectorELNS0_4arch9wavefront6targetE1EEEvSG_.has_indirect_call, 0
	.section	.AMDGPU.csdata,"",@progbits
; Kernel info:
; codeLenInByte = 0
; TotalNumSgprs: 4
; NumVgprs: 0
; ScratchSize: 0
; MemoryBound: 0
; FloatMode: 240
; IeeeMode: 1
; LDSByteSize: 0 bytes/workgroup (compile time only)
; SGPRBlocks: 0
; VGPRBlocks: 0
; NumSGPRsForWavesPerEU: 4
; NumVGPRsForWavesPerEU: 1
; Occupancy: 10
; WaveLimiterHint : 0
; COMPUTE_PGM_RSRC2:SCRATCH_EN: 0
; COMPUTE_PGM_RSRC2:USER_SGPR: 6
; COMPUTE_PGM_RSRC2:TRAP_HANDLER: 0
; COMPUTE_PGM_RSRC2:TGID_X_EN: 1
; COMPUTE_PGM_RSRC2:TGID_Y_EN: 0
; COMPUTE_PGM_RSRC2:TGID_Z_EN: 0
; COMPUTE_PGM_RSRC2:TIDIG_COMP_CNT: 0
	.section	.text._ZN7rocprim17ROCPRIM_400000_NS6detail17trampoline_kernelINS0_14default_configENS1_35radix_sort_onesweep_config_selectorIdlEEZZNS1_29radix_sort_onesweep_iterationIS3_Lb0EPdS7_N6thrust23THRUST_200600_302600_NS10device_ptrIlEESB_jNS0_19identity_decomposerENS1_16block_id_wrapperIjLb1EEEEE10hipError_tT1_PNSt15iterator_traitsISG_E10value_typeET2_T3_PNSH_ISM_E10value_typeET4_T5_PSR_SS_PNS1_23onesweep_lookback_stateEbbT6_jjT7_P12ihipStream_tbENKUlT_T0_SG_SL_E_clIS7_S7_PlSB_EEDaSZ_S10_SG_SL_EUlSZ_E_NS1_11comp_targetILNS1_3genE3ELNS1_11target_archE908ELNS1_3gpuE7ELNS1_3repE0EEENS1_47radix_sort_onesweep_sort_config_static_selectorELNS0_4arch9wavefront6targetE1EEEvSG_,"axG",@progbits,_ZN7rocprim17ROCPRIM_400000_NS6detail17trampoline_kernelINS0_14default_configENS1_35radix_sort_onesweep_config_selectorIdlEEZZNS1_29radix_sort_onesweep_iterationIS3_Lb0EPdS7_N6thrust23THRUST_200600_302600_NS10device_ptrIlEESB_jNS0_19identity_decomposerENS1_16block_id_wrapperIjLb1EEEEE10hipError_tT1_PNSt15iterator_traitsISG_E10value_typeET2_T3_PNSH_ISM_E10value_typeET4_T5_PSR_SS_PNS1_23onesweep_lookback_stateEbbT6_jjT7_P12ihipStream_tbENKUlT_T0_SG_SL_E_clIS7_S7_PlSB_EEDaSZ_S10_SG_SL_EUlSZ_E_NS1_11comp_targetILNS1_3genE3ELNS1_11target_archE908ELNS1_3gpuE7ELNS1_3repE0EEENS1_47radix_sort_onesweep_sort_config_static_selectorELNS0_4arch9wavefront6targetE1EEEvSG_,comdat
	.protected	_ZN7rocprim17ROCPRIM_400000_NS6detail17trampoline_kernelINS0_14default_configENS1_35radix_sort_onesweep_config_selectorIdlEEZZNS1_29radix_sort_onesweep_iterationIS3_Lb0EPdS7_N6thrust23THRUST_200600_302600_NS10device_ptrIlEESB_jNS0_19identity_decomposerENS1_16block_id_wrapperIjLb1EEEEE10hipError_tT1_PNSt15iterator_traitsISG_E10value_typeET2_T3_PNSH_ISM_E10value_typeET4_T5_PSR_SS_PNS1_23onesweep_lookback_stateEbbT6_jjT7_P12ihipStream_tbENKUlT_T0_SG_SL_E_clIS7_S7_PlSB_EEDaSZ_S10_SG_SL_EUlSZ_E_NS1_11comp_targetILNS1_3genE3ELNS1_11target_archE908ELNS1_3gpuE7ELNS1_3repE0EEENS1_47radix_sort_onesweep_sort_config_static_selectorELNS0_4arch9wavefront6targetE1EEEvSG_ ; -- Begin function _ZN7rocprim17ROCPRIM_400000_NS6detail17trampoline_kernelINS0_14default_configENS1_35radix_sort_onesweep_config_selectorIdlEEZZNS1_29radix_sort_onesweep_iterationIS3_Lb0EPdS7_N6thrust23THRUST_200600_302600_NS10device_ptrIlEESB_jNS0_19identity_decomposerENS1_16block_id_wrapperIjLb1EEEEE10hipError_tT1_PNSt15iterator_traitsISG_E10value_typeET2_T3_PNSH_ISM_E10value_typeET4_T5_PSR_SS_PNS1_23onesweep_lookback_stateEbbT6_jjT7_P12ihipStream_tbENKUlT_T0_SG_SL_E_clIS7_S7_PlSB_EEDaSZ_S10_SG_SL_EUlSZ_E_NS1_11comp_targetILNS1_3genE3ELNS1_11target_archE908ELNS1_3gpuE7ELNS1_3repE0EEENS1_47radix_sort_onesweep_sort_config_static_selectorELNS0_4arch9wavefront6targetE1EEEvSG_
	.globl	_ZN7rocprim17ROCPRIM_400000_NS6detail17trampoline_kernelINS0_14default_configENS1_35radix_sort_onesweep_config_selectorIdlEEZZNS1_29radix_sort_onesweep_iterationIS3_Lb0EPdS7_N6thrust23THRUST_200600_302600_NS10device_ptrIlEESB_jNS0_19identity_decomposerENS1_16block_id_wrapperIjLb1EEEEE10hipError_tT1_PNSt15iterator_traitsISG_E10value_typeET2_T3_PNSH_ISM_E10value_typeET4_T5_PSR_SS_PNS1_23onesweep_lookback_stateEbbT6_jjT7_P12ihipStream_tbENKUlT_T0_SG_SL_E_clIS7_S7_PlSB_EEDaSZ_S10_SG_SL_EUlSZ_E_NS1_11comp_targetILNS1_3genE3ELNS1_11target_archE908ELNS1_3gpuE7ELNS1_3repE0EEENS1_47radix_sort_onesweep_sort_config_static_selectorELNS0_4arch9wavefront6targetE1EEEvSG_
	.p2align	8
	.type	_ZN7rocprim17ROCPRIM_400000_NS6detail17trampoline_kernelINS0_14default_configENS1_35radix_sort_onesweep_config_selectorIdlEEZZNS1_29radix_sort_onesweep_iterationIS3_Lb0EPdS7_N6thrust23THRUST_200600_302600_NS10device_ptrIlEESB_jNS0_19identity_decomposerENS1_16block_id_wrapperIjLb1EEEEE10hipError_tT1_PNSt15iterator_traitsISG_E10value_typeET2_T3_PNSH_ISM_E10value_typeET4_T5_PSR_SS_PNS1_23onesweep_lookback_stateEbbT6_jjT7_P12ihipStream_tbENKUlT_T0_SG_SL_E_clIS7_S7_PlSB_EEDaSZ_S10_SG_SL_EUlSZ_E_NS1_11comp_targetILNS1_3genE3ELNS1_11target_archE908ELNS1_3gpuE7ELNS1_3repE0EEENS1_47radix_sort_onesweep_sort_config_static_selectorELNS0_4arch9wavefront6targetE1EEEvSG_,@function
_ZN7rocprim17ROCPRIM_400000_NS6detail17trampoline_kernelINS0_14default_configENS1_35radix_sort_onesweep_config_selectorIdlEEZZNS1_29radix_sort_onesweep_iterationIS3_Lb0EPdS7_N6thrust23THRUST_200600_302600_NS10device_ptrIlEESB_jNS0_19identity_decomposerENS1_16block_id_wrapperIjLb1EEEEE10hipError_tT1_PNSt15iterator_traitsISG_E10value_typeET2_T3_PNSH_ISM_E10value_typeET4_T5_PSR_SS_PNS1_23onesweep_lookback_stateEbbT6_jjT7_P12ihipStream_tbENKUlT_T0_SG_SL_E_clIS7_S7_PlSB_EEDaSZ_S10_SG_SL_EUlSZ_E_NS1_11comp_targetILNS1_3genE3ELNS1_11target_archE908ELNS1_3gpuE7ELNS1_3repE0EEENS1_47radix_sort_onesweep_sort_config_static_selectorELNS0_4arch9wavefront6targetE1EEEvSG_: ; @_ZN7rocprim17ROCPRIM_400000_NS6detail17trampoline_kernelINS0_14default_configENS1_35radix_sort_onesweep_config_selectorIdlEEZZNS1_29radix_sort_onesweep_iterationIS3_Lb0EPdS7_N6thrust23THRUST_200600_302600_NS10device_ptrIlEESB_jNS0_19identity_decomposerENS1_16block_id_wrapperIjLb1EEEEE10hipError_tT1_PNSt15iterator_traitsISG_E10value_typeET2_T3_PNSH_ISM_E10value_typeET4_T5_PSR_SS_PNS1_23onesweep_lookback_stateEbbT6_jjT7_P12ihipStream_tbENKUlT_T0_SG_SL_E_clIS7_S7_PlSB_EEDaSZ_S10_SG_SL_EUlSZ_E_NS1_11comp_targetILNS1_3genE3ELNS1_11target_archE908ELNS1_3gpuE7ELNS1_3repE0EEENS1_47radix_sort_onesweep_sort_config_static_selectorELNS0_4arch9wavefront6targetE1EEEvSG_
; %bb.0:
	.section	.rodata,"a",@progbits
	.p2align	6, 0x0
	.amdhsa_kernel _ZN7rocprim17ROCPRIM_400000_NS6detail17trampoline_kernelINS0_14default_configENS1_35radix_sort_onesweep_config_selectorIdlEEZZNS1_29radix_sort_onesweep_iterationIS3_Lb0EPdS7_N6thrust23THRUST_200600_302600_NS10device_ptrIlEESB_jNS0_19identity_decomposerENS1_16block_id_wrapperIjLb1EEEEE10hipError_tT1_PNSt15iterator_traitsISG_E10value_typeET2_T3_PNSH_ISM_E10value_typeET4_T5_PSR_SS_PNS1_23onesweep_lookback_stateEbbT6_jjT7_P12ihipStream_tbENKUlT_T0_SG_SL_E_clIS7_S7_PlSB_EEDaSZ_S10_SG_SL_EUlSZ_E_NS1_11comp_targetILNS1_3genE3ELNS1_11target_archE908ELNS1_3gpuE7ELNS1_3repE0EEENS1_47radix_sort_onesweep_sort_config_static_selectorELNS0_4arch9wavefront6targetE1EEEvSG_
		.amdhsa_group_segment_fixed_size 0
		.amdhsa_private_segment_fixed_size 0
		.amdhsa_kernarg_size 88
		.amdhsa_user_sgpr_count 6
		.amdhsa_user_sgpr_private_segment_buffer 1
		.amdhsa_user_sgpr_dispatch_ptr 0
		.amdhsa_user_sgpr_queue_ptr 0
		.amdhsa_user_sgpr_kernarg_segment_ptr 1
		.amdhsa_user_sgpr_dispatch_id 0
		.amdhsa_user_sgpr_flat_scratch_init 0
		.amdhsa_user_sgpr_private_segment_size 0
		.amdhsa_uses_dynamic_stack 0
		.amdhsa_system_sgpr_private_segment_wavefront_offset 0
		.amdhsa_system_sgpr_workgroup_id_x 1
		.amdhsa_system_sgpr_workgroup_id_y 0
		.amdhsa_system_sgpr_workgroup_id_z 0
		.amdhsa_system_sgpr_workgroup_info 0
		.amdhsa_system_vgpr_workitem_id 0
		.amdhsa_next_free_vgpr 1
		.amdhsa_next_free_sgpr 0
		.amdhsa_reserve_vcc 0
		.amdhsa_reserve_flat_scratch 0
		.amdhsa_float_round_mode_32 0
		.amdhsa_float_round_mode_16_64 0
		.amdhsa_float_denorm_mode_32 3
		.amdhsa_float_denorm_mode_16_64 3
		.amdhsa_dx10_clamp 1
		.amdhsa_ieee_mode 1
		.amdhsa_fp16_overflow 0
		.amdhsa_exception_fp_ieee_invalid_op 0
		.amdhsa_exception_fp_denorm_src 0
		.amdhsa_exception_fp_ieee_div_zero 0
		.amdhsa_exception_fp_ieee_overflow 0
		.amdhsa_exception_fp_ieee_underflow 0
		.amdhsa_exception_fp_ieee_inexact 0
		.amdhsa_exception_int_div_zero 0
	.end_amdhsa_kernel
	.section	.text._ZN7rocprim17ROCPRIM_400000_NS6detail17trampoline_kernelINS0_14default_configENS1_35radix_sort_onesweep_config_selectorIdlEEZZNS1_29radix_sort_onesweep_iterationIS3_Lb0EPdS7_N6thrust23THRUST_200600_302600_NS10device_ptrIlEESB_jNS0_19identity_decomposerENS1_16block_id_wrapperIjLb1EEEEE10hipError_tT1_PNSt15iterator_traitsISG_E10value_typeET2_T3_PNSH_ISM_E10value_typeET4_T5_PSR_SS_PNS1_23onesweep_lookback_stateEbbT6_jjT7_P12ihipStream_tbENKUlT_T0_SG_SL_E_clIS7_S7_PlSB_EEDaSZ_S10_SG_SL_EUlSZ_E_NS1_11comp_targetILNS1_3genE3ELNS1_11target_archE908ELNS1_3gpuE7ELNS1_3repE0EEENS1_47radix_sort_onesweep_sort_config_static_selectorELNS0_4arch9wavefront6targetE1EEEvSG_,"axG",@progbits,_ZN7rocprim17ROCPRIM_400000_NS6detail17trampoline_kernelINS0_14default_configENS1_35radix_sort_onesweep_config_selectorIdlEEZZNS1_29radix_sort_onesweep_iterationIS3_Lb0EPdS7_N6thrust23THRUST_200600_302600_NS10device_ptrIlEESB_jNS0_19identity_decomposerENS1_16block_id_wrapperIjLb1EEEEE10hipError_tT1_PNSt15iterator_traitsISG_E10value_typeET2_T3_PNSH_ISM_E10value_typeET4_T5_PSR_SS_PNS1_23onesweep_lookback_stateEbbT6_jjT7_P12ihipStream_tbENKUlT_T0_SG_SL_E_clIS7_S7_PlSB_EEDaSZ_S10_SG_SL_EUlSZ_E_NS1_11comp_targetILNS1_3genE3ELNS1_11target_archE908ELNS1_3gpuE7ELNS1_3repE0EEENS1_47radix_sort_onesweep_sort_config_static_selectorELNS0_4arch9wavefront6targetE1EEEvSG_,comdat
.Lfunc_end1639:
	.size	_ZN7rocprim17ROCPRIM_400000_NS6detail17trampoline_kernelINS0_14default_configENS1_35radix_sort_onesweep_config_selectorIdlEEZZNS1_29radix_sort_onesweep_iterationIS3_Lb0EPdS7_N6thrust23THRUST_200600_302600_NS10device_ptrIlEESB_jNS0_19identity_decomposerENS1_16block_id_wrapperIjLb1EEEEE10hipError_tT1_PNSt15iterator_traitsISG_E10value_typeET2_T3_PNSH_ISM_E10value_typeET4_T5_PSR_SS_PNS1_23onesweep_lookback_stateEbbT6_jjT7_P12ihipStream_tbENKUlT_T0_SG_SL_E_clIS7_S7_PlSB_EEDaSZ_S10_SG_SL_EUlSZ_E_NS1_11comp_targetILNS1_3genE3ELNS1_11target_archE908ELNS1_3gpuE7ELNS1_3repE0EEENS1_47radix_sort_onesweep_sort_config_static_selectorELNS0_4arch9wavefront6targetE1EEEvSG_, .Lfunc_end1639-_ZN7rocprim17ROCPRIM_400000_NS6detail17trampoline_kernelINS0_14default_configENS1_35radix_sort_onesweep_config_selectorIdlEEZZNS1_29radix_sort_onesweep_iterationIS3_Lb0EPdS7_N6thrust23THRUST_200600_302600_NS10device_ptrIlEESB_jNS0_19identity_decomposerENS1_16block_id_wrapperIjLb1EEEEE10hipError_tT1_PNSt15iterator_traitsISG_E10value_typeET2_T3_PNSH_ISM_E10value_typeET4_T5_PSR_SS_PNS1_23onesweep_lookback_stateEbbT6_jjT7_P12ihipStream_tbENKUlT_T0_SG_SL_E_clIS7_S7_PlSB_EEDaSZ_S10_SG_SL_EUlSZ_E_NS1_11comp_targetILNS1_3genE3ELNS1_11target_archE908ELNS1_3gpuE7ELNS1_3repE0EEENS1_47radix_sort_onesweep_sort_config_static_selectorELNS0_4arch9wavefront6targetE1EEEvSG_
                                        ; -- End function
	.set _ZN7rocprim17ROCPRIM_400000_NS6detail17trampoline_kernelINS0_14default_configENS1_35radix_sort_onesweep_config_selectorIdlEEZZNS1_29radix_sort_onesweep_iterationIS3_Lb0EPdS7_N6thrust23THRUST_200600_302600_NS10device_ptrIlEESB_jNS0_19identity_decomposerENS1_16block_id_wrapperIjLb1EEEEE10hipError_tT1_PNSt15iterator_traitsISG_E10value_typeET2_T3_PNSH_ISM_E10value_typeET4_T5_PSR_SS_PNS1_23onesweep_lookback_stateEbbT6_jjT7_P12ihipStream_tbENKUlT_T0_SG_SL_E_clIS7_S7_PlSB_EEDaSZ_S10_SG_SL_EUlSZ_E_NS1_11comp_targetILNS1_3genE3ELNS1_11target_archE908ELNS1_3gpuE7ELNS1_3repE0EEENS1_47radix_sort_onesweep_sort_config_static_selectorELNS0_4arch9wavefront6targetE1EEEvSG_.num_vgpr, 0
	.set _ZN7rocprim17ROCPRIM_400000_NS6detail17trampoline_kernelINS0_14default_configENS1_35radix_sort_onesweep_config_selectorIdlEEZZNS1_29radix_sort_onesweep_iterationIS3_Lb0EPdS7_N6thrust23THRUST_200600_302600_NS10device_ptrIlEESB_jNS0_19identity_decomposerENS1_16block_id_wrapperIjLb1EEEEE10hipError_tT1_PNSt15iterator_traitsISG_E10value_typeET2_T3_PNSH_ISM_E10value_typeET4_T5_PSR_SS_PNS1_23onesweep_lookback_stateEbbT6_jjT7_P12ihipStream_tbENKUlT_T0_SG_SL_E_clIS7_S7_PlSB_EEDaSZ_S10_SG_SL_EUlSZ_E_NS1_11comp_targetILNS1_3genE3ELNS1_11target_archE908ELNS1_3gpuE7ELNS1_3repE0EEENS1_47radix_sort_onesweep_sort_config_static_selectorELNS0_4arch9wavefront6targetE1EEEvSG_.num_agpr, 0
	.set _ZN7rocprim17ROCPRIM_400000_NS6detail17trampoline_kernelINS0_14default_configENS1_35radix_sort_onesweep_config_selectorIdlEEZZNS1_29radix_sort_onesweep_iterationIS3_Lb0EPdS7_N6thrust23THRUST_200600_302600_NS10device_ptrIlEESB_jNS0_19identity_decomposerENS1_16block_id_wrapperIjLb1EEEEE10hipError_tT1_PNSt15iterator_traitsISG_E10value_typeET2_T3_PNSH_ISM_E10value_typeET4_T5_PSR_SS_PNS1_23onesweep_lookback_stateEbbT6_jjT7_P12ihipStream_tbENKUlT_T0_SG_SL_E_clIS7_S7_PlSB_EEDaSZ_S10_SG_SL_EUlSZ_E_NS1_11comp_targetILNS1_3genE3ELNS1_11target_archE908ELNS1_3gpuE7ELNS1_3repE0EEENS1_47radix_sort_onesweep_sort_config_static_selectorELNS0_4arch9wavefront6targetE1EEEvSG_.numbered_sgpr, 0
	.set _ZN7rocprim17ROCPRIM_400000_NS6detail17trampoline_kernelINS0_14default_configENS1_35radix_sort_onesweep_config_selectorIdlEEZZNS1_29radix_sort_onesweep_iterationIS3_Lb0EPdS7_N6thrust23THRUST_200600_302600_NS10device_ptrIlEESB_jNS0_19identity_decomposerENS1_16block_id_wrapperIjLb1EEEEE10hipError_tT1_PNSt15iterator_traitsISG_E10value_typeET2_T3_PNSH_ISM_E10value_typeET4_T5_PSR_SS_PNS1_23onesweep_lookback_stateEbbT6_jjT7_P12ihipStream_tbENKUlT_T0_SG_SL_E_clIS7_S7_PlSB_EEDaSZ_S10_SG_SL_EUlSZ_E_NS1_11comp_targetILNS1_3genE3ELNS1_11target_archE908ELNS1_3gpuE7ELNS1_3repE0EEENS1_47radix_sort_onesweep_sort_config_static_selectorELNS0_4arch9wavefront6targetE1EEEvSG_.num_named_barrier, 0
	.set _ZN7rocprim17ROCPRIM_400000_NS6detail17trampoline_kernelINS0_14default_configENS1_35radix_sort_onesweep_config_selectorIdlEEZZNS1_29radix_sort_onesweep_iterationIS3_Lb0EPdS7_N6thrust23THRUST_200600_302600_NS10device_ptrIlEESB_jNS0_19identity_decomposerENS1_16block_id_wrapperIjLb1EEEEE10hipError_tT1_PNSt15iterator_traitsISG_E10value_typeET2_T3_PNSH_ISM_E10value_typeET4_T5_PSR_SS_PNS1_23onesweep_lookback_stateEbbT6_jjT7_P12ihipStream_tbENKUlT_T0_SG_SL_E_clIS7_S7_PlSB_EEDaSZ_S10_SG_SL_EUlSZ_E_NS1_11comp_targetILNS1_3genE3ELNS1_11target_archE908ELNS1_3gpuE7ELNS1_3repE0EEENS1_47radix_sort_onesweep_sort_config_static_selectorELNS0_4arch9wavefront6targetE1EEEvSG_.private_seg_size, 0
	.set _ZN7rocprim17ROCPRIM_400000_NS6detail17trampoline_kernelINS0_14default_configENS1_35radix_sort_onesweep_config_selectorIdlEEZZNS1_29radix_sort_onesweep_iterationIS3_Lb0EPdS7_N6thrust23THRUST_200600_302600_NS10device_ptrIlEESB_jNS0_19identity_decomposerENS1_16block_id_wrapperIjLb1EEEEE10hipError_tT1_PNSt15iterator_traitsISG_E10value_typeET2_T3_PNSH_ISM_E10value_typeET4_T5_PSR_SS_PNS1_23onesweep_lookback_stateEbbT6_jjT7_P12ihipStream_tbENKUlT_T0_SG_SL_E_clIS7_S7_PlSB_EEDaSZ_S10_SG_SL_EUlSZ_E_NS1_11comp_targetILNS1_3genE3ELNS1_11target_archE908ELNS1_3gpuE7ELNS1_3repE0EEENS1_47radix_sort_onesweep_sort_config_static_selectorELNS0_4arch9wavefront6targetE1EEEvSG_.uses_vcc, 0
	.set _ZN7rocprim17ROCPRIM_400000_NS6detail17trampoline_kernelINS0_14default_configENS1_35radix_sort_onesweep_config_selectorIdlEEZZNS1_29radix_sort_onesweep_iterationIS3_Lb0EPdS7_N6thrust23THRUST_200600_302600_NS10device_ptrIlEESB_jNS0_19identity_decomposerENS1_16block_id_wrapperIjLb1EEEEE10hipError_tT1_PNSt15iterator_traitsISG_E10value_typeET2_T3_PNSH_ISM_E10value_typeET4_T5_PSR_SS_PNS1_23onesweep_lookback_stateEbbT6_jjT7_P12ihipStream_tbENKUlT_T0_SG_SL_E_clIS7_S7_PlSB_EEDaSZ_S10_SG_SL_EUlSZ_E_NS1_11comp_targetILNS1_3genE3ELNS1_11target_archE908ELNS1_3gpuE7ELNS1_3repE0EEENS1_47radix_sort_onesweep_sort_config_static_selectorELNS0_4arch9wavefront6targetE1EEEvSG_.uses_flat_scratch, 0
	.set _ZN7rocprim17ROCPRIM_400000_NS6detail17trampoline_kernelINS0_14default_configENS1_35radix_sort_onesweep_config_selectorIdlEEZZNS1_29radix_sort_onesweep_iterationIS3_Lb0EPdS7_N6thrust23THRUST_200600_302600_NS10device_ptrIlEESB_jNS0_19identity_decomposerENS1_16block_id_wrapperIjLb1EEEEE10hipError_tT1_PNSt15iterator_traitsISG_E10value_typeET2_T3_PNSH_ISM_E10value_typeET4_T5_PSR_SS_PNS1_23onesweep_lookback_stateEbbT6_jjT7_P12ihipStream_tbENKUlT_T0_SG_SL_E_clIS7_S7_PlSB_EEDaSZ_S10_SG_SL_EUlSZ_E_NS1_11comp_targetILNS1_3genE3ELNS1_11target_archE908ELNS1_3gpuE7ELNS1_3repE0EEENS1_47radix_sort_onesweep_sort_config_static_selectorELNS0_4arch9wavefront6targetE1EEEvSG_.has_dyn_sized_stack, 0
	.set _ZN7rocprim17ROCPRIM_400000_NS6detail17trampoline_kernelINS0_14default_configENS1_35radix_sort_onesweep_config_selectorIdlEEZZNS1_29radix_sort_onesweep_iterationIS3_Lb0EPdS7_N6thrust23THRUST_200600_302600_NS10device_ptrIlEESB_jNS0_19identity_decomposerENS1_16block_id_wrapperIjLb1EEEEE10hipError_tT1_PNSt15iterator_traitsISG_E10value_typeET2_T3_PNSH_ISM_E10value_typeET4_T5_PSR_SS_PNS1_23onesweep_lookback_stateEbbT6_jjT7_P12ihipStream_tbENKUlT_T0_SG_SL_E_clIS7_S7_PlSB_EEDaSZ_S10_SG_SL_EUlSZ_E_NS1_11comp_targetILNS1_3genE3ELNS1_11target_archE908ELNS1_3gpuE7ELNS1_3repE0EEENS1_47radix_sort_onesweep_sort_config_static_selectorELNS0_4arch9wavefront6targetE1EEEvSG_.has_recursion, 0
	.set _ZN7rocprim17ROCPRIM_400000_NS6detail17trampoline_kernelINS0_14default_configENS1_35radix_sort_onesweep_config_selectorIdlEEZZNS1_29radix_sort_onesweep_iterationIS3_Lb0EPdS7_N6thrust23THRUST_200600_302600_NS10device_ptrIlEESB_jNS0_19identity_decomposerENS1_16block_id_wrapperIjLb1EEEEE10hipError_tT1_PNSt15iterator_traitsISG_E10value_typeET2_T3_PNSH_ISM_E10value_typeET4_T5_PSR_SS_PNS1_23onesweep_lookback_stateEbbT6_jjT7_P12ihipStream_tbENKUlT_T0_SG_SL_E_clIS7_S7_PlSB_EEDaSZ_S10_SG_SL_EUlSZ_E_NS1_11comp_targetILNS1_3genE3ELNS1_11target_archE908ELNS1_3gpuE7ELNS1_3repE0EEENS1_47radix_sort_onesweep_sort_config_static_selectorELNS0_4arch9wavefront6targetE1EEEvSG_.has_indirect_call, 0
	.section	.AMDGPU.csdata,"",@progbits
; Kernel info:
; codeLenInByte = 0
; TotalNumSgprs: 4
; NumVgprs: 0
; ScratchSize: 0
; MemoryBound: 0
; FloatMode: 240
; IeeeMode: 1
; LDSByteSize: 0 bytes/workgroup (compile time only)
; SGPRBlocks: 0
; VGPRBlocks: 0
; NumSGPRsForWavesPerEU: 4
; NumVGPRsForWavesPerEU: 1
; Occupancy: 10
; WaveLimiterHint : 0
; COMPUTE_PGM_RSRC2:SCRATCH_EN: 0
; COMPUTE_PGM_RSRC2:USER_SGPR: 6
; COMPUTE_PGM_RSRC2:TRAP_HANDLER: 0
; COMPUTE_PGM_RSRC2:TGID_X_EN: 1
; COMPUTE_PGM_RSRC2:TGID_Y_EN: 0
; COMPUTE_PGM_RSRC2:TGID_Z_EN: 0
; COMPUTE_PGM_RSRC2:TIDIG_COMP_CNT: 0
	.section	.text._ZN7rocprim17ROCPRIM_400000_NS6detail17trampoline_kernelINS0_14default_configENS1_35radix_sort_onesweep_config_selectorIdlEEZZNS1_29radix_sort_onesweep_iterationIS3_Lb0EPdS7_N6thrust23THRUST_200600_302600_NS10device_ptrIlEESB_jNS0_19identity_decomposerENS1_16block_id_wrapperIjLb1EEEEE10hipError_tT1_PNSt15iterator_traitsISG_E10value_typeET2_T3_PNSH_ISM_E10value_typeET4_T5_PSR_SS_PNS1_23onesweep_lookback_stateEbbT6_jjT7_P12ihipStream_tbENKUlT_T0_SG_SL_E_clIS7_S7_PlSB_EEDaSZ_S10_SG_SL_EUlSZ_E_NS1_11comp_targetILNS1_3genE10ELNS1_11target_archE1201ELNS1_3gpuE5ELNS1_3repE0EEENS1_47radix_sort_onesweep_sort_config_static_selectorELNS0_4arch9wavefront6targetE1EEEvSG_,"axG",@progbits,_ZN7rocprim17ROCPRIM_400000_NS6detail17trampoline_kernelINS0_14default_configENS1_35radix_sort_onesweep_config_selectorIdlEEZZNS1_29radix_sort_onesweep_iterationIS3_Lb0EPdS7_N6thrust23THRUST_200600_302600_NS10device_ptrIlEESB_jNS0_19identity_decomposerENS1_16block_id_wrapperIjLb1EEEEE10hipError_tT1_PNSt15iterator_traitsISG_E10value_typeET2_T3_PNSH_ISM_E10value_typeET4_T5_PSR_SS_PNS1_23onesweep_lookback_stateEbbT6_jjT7_P12ihipStream_tbENKUlT_T0_SG_SL_E_clIS7_S7_PlSB_EEDaSZ_S10_SG_SL_EUlSZ_E_NS1_11comp_targetILNS1_3genE10ELNS1_11target_archE1201ELNS1_3gpuE5ELNS1_3repE0EEENS1_47radix_sort_onesweep_sort_config_static_selectorELNS0_4arch9wavefront6targetE1EEEvSG_,comdat
	.protected	_ZN7rocprim17ROCPRIM_400000_NS6detail17trampoline_kernelINS0_14default_configENS1_35radix_sort_onesweep_config_selectorIdlEEZZNS1_29radix_sort_onesweep_iterationIS3_Lb0EPdS7_N6thrust23THRUST_200600_302600_NS10device_ptrIlEESB_jNS0_19identity_decomposerENS1_16block_id_wrapperIjLb1EEEEE10hipError_tT1_PNSt15iterator_traitsISG_E10value_typeET2_T3_PNSH_ISM_E10value_typeET4_T5_PSR_SS_PNS1_23onesweep_lookback_stateEbbT6_jjT7_P12ihipStream_tbENKUlT_T0_SG_SL_E_clIS7_S7_PlSB_EEDaSZ_S10_SG_SL_EUlSZ_E_NS1_11comp_targetILNS1_3genE10ELNS1_11target_archE1201ELNS1_3gpuE5ELNS1_3repE0EEENS1_47radix_sort_onesweep_sort_config_static_selectorELNS0_4arch9wavefront6targetE1EEEvSG_ ; -- Begin function _ZN7rocprim17ROCPRIM_400000_NS6detail17trampoline_kernelINS0_14default_configENS1_35radix_sort_onesweep_config_selectorIdlEEZZNS1_29radix_sort_onesweep_iterationIS3_Lb0EPdS7_N6thrust23THRUST_200600_302600_NS10device_ptrIlEESB_jNS0_19identity_decomposerENS1_16block_id_wrapperIjLb1EEEEE10hipError_tT1_PNSt15iterator_traitsISG_E10value_typeET2_T3_PNSH_ISM_E10value_typeET4_T5_PSR_SS_PNS1_23onesweep_lookback_stateEbbT6_jjT7_P12ihipStream_tbENKUlT_T0_SG_SL_E_clIS7_S7_PlSB_EEDaSZ_S10_SG_SL_EUlSZ_E_NS1_11comp_targetILNS1_3genE10ELNS1_11target_archE1201ELNS1_3gpuE5ELNS1_3repE0EEENS1_47radix_sort_onesweep_sort_config_static_selectorELNS0_4arch9wavefront6targetE1EEEvSG_
	.globl	_ZN7rocprim17ROCPRIM_400000_NS6detail17trampoline_kernelINS0_14default_configENS1_35radix_sort_onesweep_config_selectorIdlEEZZNS1_29radix_sort_onesweep_iterationIS3_Lb0EPdS7_N6thrust23THRUST_200600_302600_NS10device_ptrIlEESB_jNS0_19identity_decomposerENS1_16block_id_wrapperIjLb1EEEEE10hipError_tT1_PNSt15iterator_traitsISG_E10value_typeET2_T3_PNSH_ISM_E10value_typeET4_T5_PSR_SS_PNS1_23onesweep_lookback_stateEbbT6_jjT7_P12ihipStream_tbENKUlT_T0_SG_SL_E_clIS7_S7_PlSB_EEDaSZ_S10_SG_SL_EUlSZ_E_NS1_11comp_targetILNS1_3genE10ELNS1_11target_archE1201ELNS1_3gpuE5ELNS1_3repE0EEENS1_47radix_sort_onesweep_sort_config_static_selectorELNS0_4arch9wavefront6targetE1EEEvSG_
	.p2align	8
	.type	_ZN7rocprim17ROCPRIM_400000_NS6detail17trampoline_kernelINS0_14default_configENS1_35radix_sort_onesweep_config_selectorIdlEEZZNS1_29radix_sort_onesweep_iterationIS3_Lb0EPdS7_N6thrust23THRUST_200600_302600_NS10device_ptrIlEESB_jNS0_19identity_decomposerENS1_16block_id_wrapperIjLb1EEEEE10hipError_tT1_PNSt15iterator_traitsISG_E10value_typeET2_T3_PNSH_ISM_E10value_typeET4_T5_PSR_SS_PNS1_23onesweep_lookback_stateEbbT6_jjT7_P12ihipStream_tbENKUlT_T0_SG_SL_E_clIS7_S7_PlSB_EEDaSZ_S10_SG_SL_EUlSZ_E_NS1_11comp_targetILNS1_3genE10ELNS1_11target_archE1201ELNS1_3gpuE5ELNS1_3repE0EEENS1_47radix_sort_onesweep_sort_config_static_selectorELNS0_4arch9wavefront6targetE1EEEvSG_,@function
_ZN7rocprim17ROCPRIM_400000_NS6detail17trampoline_kernelINS0_14default_configENS1_35radix_sort_onesweep_config_selectorIdlEEZZNS1_29radix_sort_onesweep_iterationIS3_Lb0EPdS7_N6thrust23THRUST_200600_302600_NS10device_ptrIlEESB_jNS0_19identity_decomposerENS1_16block_id_wrapperIjLb1EEEEE10hipError_tT1_PNSt15iterator_traitsISG_E10value_typeET2_T3_PNSH_ISM_E10value_typeET4_T5_PSR_SS_PNS1_23onesweep_lookback_stateEbbT6_jjT7_P12ihipStream_tbENKUlT_T0_SG_SL_E_clIS7_S7_PlSB_EEDaSZ_S10_SG_SL_EUlSZ_E_NS1_11comp_targetILNS1_3genE10ELNS1_11target_archE1201ELNS1_3gpuE5ELNS1_3repE0EEENS1_47radix_sort_onesweep_sort_config_static_selectorELNS0_4arch9wavefront6targetE1EEEvSG_: ; @_ZN7rocprim17ROCPRIM_400000_NS6detail17trampoline_kernelINS0_14default_configENS1_35radix_sort_onesweep_config_selectorIdlEEZZNS1_29radix_sort_onesweep_iterationIS3_Lb0EPdS7_N6thrust23THRUST_200600_302600_NS10device_ptrIlEESB_jNS0_19identity_decomposerENS1_16block_id_wrapperIjLb1EEEEE10hipError_tT1_PNSt15iterator_traitsISG_E10value_typeET2_T3_PNSH_ISM_E10value_typeET4_T5_PSR_SS_PNS1_23onesweep_lookback_stateEbbT6_jjT7_P12ihipStream_tbENKUlT_T0_SG_SL_E_clIS7_S7_PlSB_EEDaSZ_S10_SG_SL_EUlSZ_E_NS1_11comp_targetILNS1_3genE10ELNS1_11target_archE1201ELNS1_3gpuE5ELNS1_3repE0EEENS1_47radix_sort_onesweep_sort_config_static_selectorELNS0_4arch9wavefront6targetE1EEEvSG_
; %bb.0:
	.section	.rodata,"a",@progbits
	.p2align	6, 0x0
	.amdhsa_kernel _ZN7rocprim17ROCPRIM_400000_NS6detail17trampoline_kernelINS0_14default_configENS1_35radix_sort_onesweep_config_selectorIdlEEZZNS1_29radix_sort_onesweep_iterationIS3_Lb0EPdS7_N6thrust23THRUST_200600_302600_NS10device_ptrIlEESB_jNS0_19identity_decomposerENS1_16block_id_wrapperIjLb1EEEEE10hipError_tT1_PNSt15iterator_traitsISG_E10value_typeET2_T3_PNSH_ISM_E10value_typeET4_T5_PSR_SS_PNS1_23onesweep_lookback_stateEbbT6_jjT7_P12ihipStream_tbENKUlT_T0_SG_SL_E_clIS7_S7_PlSB_EEDaSZ_S10_SG_SL_EUlSZ_E_NS1_11comp_targetILNS1_3genE10ELNS1_11target_archE1201ELNS1_3gpuE5ELNS1_3repE0EEENS1_47radix_sort_onesweep_sort_config_static_selectorELNS0_4arch9wavefront6targetE1EEEvSG_
		.amdhsa_group_segment_fixed_size 0
		.amdhsa_private_segment_fixed_size 0
		.amdhsa_kernarg_size 88
		.amdhsa_user_sgpr_count 6
		.amdhsa_user_sgpr_private_segment_buffer 1
		.amdhsa_user_sgpr_dispatch_ptr 0
		.amdhsa_user_sgpr_queue_ptr 0
		.amdhsa_user_sgpr_kernarg_segment_ptr 1
		.amdhsa_user_sgpr_dispatch_id 0
		.amdhsa_user_sgpr_flat_scratch_init 0
		.amdhsa_user_sgpr_private_segment_size 0
		.amdhsa_uses_dynamic_stack 0
		.amdhsa_system_sgpr_private_segment_wavefront_offset 0
		.amdhsa_system_sgpr_workgroup_id_x 1
		.amdhsa_system_sgpr_workgroup_id_y 0
		.amdhsa_system_sgpr_workgroup_id_z 0
		.amdhsa_system_sgpr_workgroup_info 0
		.amdhsa_system_vgpr_workitem_id 0
		.amdhsa_next_free_vgpr 1
		.amdhsa_next_free_sgpr 0
		.amdhsa_reserve_vcc 0
		.amdhsa_reserve_flat_scratch 0
		.amdhsa_float_round_mode_32 0
		.amdhsa_float_round_mode_16_64 0
		.amdhsa_float_denorm_mode_32 3
		.amdhsa_float_denorm_mode_16_64 3
		.amdhsa_dx10_clamp 1
		.amdhsa_ieee_mode 1
		.amdhsa_fp16_overflow 0
		.amdhsa_exception_fp_ieee_invalid_op 0
		.amdhsa_exception_fp_denorm_src 0
		.amdhsa_exception_fp_ieee_div_zero 0
		.amdhsa_exception_fp_ieee_overflow 0
		.amdhsa_exception_fp_ieee_underflow 0
		.amdhsa_exception_fp_ieee_inexact 0
		.amdhsa_exception_int_div_zero 0
	.end_amdhsa_kernel
	.section	.text._ZN7rocprim17ROCPRIM_400000_NS6detail17trampoline_kernelINS0_14default_configENS1_35radix_sort_onesweep_config_selectorIdlEEZZNS1_29radix_sort_onesweep_iterationIS3_Lb0EPdS7_N6thrust23THRUST_200600_302600_NS10device_ptrIlEESB_jNS0_19identity_decomposerENS1_16block_id_wrapperIjLb1EEEEE10hipError_tT1_PNSt15iterator_traitsISG_E10value_typeET2_T3_PNSH_ISM_E10value_typeET4_T5_PSR_SS_PNS1_23onesweep_lookback_stateEbbT6_jjT7_P12ihipStream_tbENKUlT_T0_SG_SL_E_clIS7_S7_PlSB_EEDaSZ_S10_SG_SL_EUlSZ_E_NS1_11comp_targetILNS1_3genE10ELNS1_11target_archE1201ELNS1_3gpuE5ELNS1_3repE0EEENS1_47radix_sort_onesweep_sort_config_static_selectorELNS0_4arch9wavefront6targetE1EEEvSG_,"axG",@progbits,_ZN7rocprim17ROCPRIM_400000_NS6detail17trampoline_kernelINS0_14default_configENS1_35radix_sort_onesweep_config_selectorIdlEEZZNS1_29radix_sort_onesweep_iterationIS3_Lb0EPdS7_N6thrust23THRUST_200600_302600_NS10device_ptrIlEESB_jNS0_19identity_decomposerENS1_16block_id_wrapperIjLb1EEEEE10hipError_tT1_PNSt15iterator_traitsISG_E10value_typeET2_T3_PNSH_ISM_E10value_typeET4_T5_PSR_SS_PNS1_23onesweep_lookback_stateEbbT6_jjT7_P12ihipStream_tbENKUlT_T0_SG_SL_E_clIS7_S7_PlSB_EEDaSZ_S10_SG_SL_EUlSZ_E_NS1_11comp_targetILNS1_3genE10ELNS1_11target_archE1201ELNS1_3gpuE5ELNS1_3repE0EEENS1_47radix_sort_onesweep_sort_config_static_selectorELNS0_4arch9wavefront6targetE1EEEvSG_,comdat
.Lfunc_end1640:
	.size	_ZN7rocprim17ROCPRIM_400000_NS6detail17trampoline_kernelINS0_14default_configENS1_35radix_sort_onesweep_config_selectorIdlEEZZNS1_29radix_sort_onesweep_iterationIS3_Lb0EPdS7_N6thrust23THRUST_200600_302600_NS10device_ptrIlEESB_jNS0_19identity_decomposerENS1_16block_id_wrapperIjLb1EEEEE10hipError_tT1_PNSt15iterator_traitsISG_E10value_typeET2_T3_PNSH_ISM_E10value_typeET4_T5_PSR_SS_PNS1_23onesweep_lookback_stateEbbT6_jjT7_P12ihipStream_tbENKUlT_T0_SG_SL_E_clIS7_S7_PlSB_EEDaSZ_S10_SG_SL_EUlSZ_E_NS1_11comp_targetILNS1_3genE10ELNS1_11target_archE1201ELNS1_3gpuE5ELNS1_3repE0EEENS1_47radix_sort_onesweep_sort_config_static_selectorELNS0_4arch9wavefront6targetE1EEEvSG_, .Lfunc_end1640-_ZN7rocprim17ROCPRIM_400000_NS6detail17trampoline_kernelINS0_14default_configENS1_35radix_sort_onesweep_config_selectorIdlEEZZNS1_29radix_sort_onesweep_iterationIS3_Lb0EPdS7_N6thrust23THRUST_200600_302600_NS10device_ptrIlEESB_jNS0_19identity_decomposerENS1_16block_id_wrapperIjLb1EEEEE10hipError_tT1_PNSt15iterator_traitsISG_E10value_typeET2_T3_PNSH_ISM_E10value_typeET4_T5_PSR_SS_PNS1_23onesweep_lookback_stateEbbT6_jjT7_P12ihipStream_tbENKUlT_T0_SG_SL_E_clIS7_S7_PlSB_EEDaSZ_S10_SG_SL_EUlSZ_E_NS1_11comp_targetILNS1_3genE10ELNS1_11target_archE1201ELNS1_3gpuE5ELNS1_3repE0EEENS1_47radix_sort_onesweep_sort_config_static_selectorELNS0_4arch9wavefront6targetE1EEEvSG_
                                        ; -- End function
	.set _ZN7rocprim17ROCPRIM_400000_NS6detail17trampoline_kernelINS0_14default_configENS1_35radix_sort_onesweep_config_selectorIdlEEZZNS1_29radix_sort_onesweep_iterationIS3_Lb0EPdS7_N6thrust23THRUST_200600_302600_NS10device_ptrIlEESB_jNS0_19identity_decomposerENS1_16block_id_wrapperIjLb1EEEEE10hipError_tT1_PNSt15iterator_traitsISG_E10value_typeET2_T3_PNSH_ISM_E10value_typeET4_T5_PSR_SS_PNS1_23onesweep_lookback_stateEbbT6_jjT7_P12ihipStream_tbENKUlT_T0_SG_SL_E_clIS7_S7_PlSB_EEDaSZ_S10_SG_SL_EUlSZ_E_NS1_11comp_targetILNS1_3genE10ELNS1_11target_archE1201ELNS1_3gpuE5ELNS1_3repE0EEENS1_47radix_sort_onesweep_sort_config_static_selectorELNS0_4arch9wavefront6targetE1EEEvSG_.num_vgpr, 0
	.set _ZN7rocprim17ROCPRIM_400000_NS6detail17trampoline_kernelINS0_14default_configENS1_35radix_sort_onesweep_config_selectorIdlEEZZNS1_29radix_sort_onesweep_iterationIS3_Lb0EPdS7_N6thrust23THRUST_200600_302600_NS10device_ptrIlEESB_jNS0_19identity_decomposerENS1_16block_id_wrapperIjLb1EEEEE10hipError_tT1_PNSt15iterator_traitsISG_E10value_typeET2_T3_PNSH_ISM_E10value_typeET4_T5_PSR_SS_PNS1_23onesweep_lookback_stateEbbT6_jjT7_P12ihipStream_tbENKUlT_T0_SG_SL_E_clIS7_S7_PlSB_EEDaSZ_S10_SG_SL_EUlSZ_E_NS1_11comp_targetILNS1_3genE10ELNS1_11target_archE1201ELNS1_3gpuE5ELNS1_3repE0EEENS1_47radix_sort_onesweep_sort_config_static_selectorELNS0_4arch9wavefront6targetE1EEEvSG_.num_agpr, 0
	.set _ZN7rocprim17ROCPRIM_400000_NS6detail17trampoline_kernelINS0_14default_configENS1_35radix_sort_onesweep_config_selectorIdlEEZZNS1_29radix_sort_onesweep_iterationIS3_Lb0EPdS7_N6thrust23THRUST_200600_302600_NS10device_ptrIlEESB_jNS0_19identity_decomposerENS1_16block_id_wrapperIjLb1EEEEE10hipError_tT1_PNSt15iterator_traitsISG_E10value_typeET2_T3_PNSH_ISM_E10value_typeET4_T5_PSR_SS_PNS1_23onesweep_lookback_stateEbbT6_jjT7_P12ihipStream_tbENKUlT_T0_SG_SL_E_clIS7_S7_PlSB_EEDaSZ_S10_SG_SL_EUlSZ_E_NS1_11comp_targetILNS1_3genE10ELNS1_11target_archE1201ELNS1_3gpuE5ELNS1_3repE0EEENS1_47radix_sort_onesweep_sort_config_static_selectorELNS0_4arch9wavefront6targetE1EEEvSG_.numbered_sgpr, 0
	.set _ZN7rocprim17ROCPRIM_400000_NS6detail17trampoline_kernelINS0_14default_configENS1_35radix_sort_onesweep_config_selectorIdlEEZZNS1_29radix_sort_onesweep_iterationIS3_Lb0EPdS7_N6thrust23THRUST_200600_302600_NS10device_ptrIlEESB_jNS0_19identity_decomposerENS1_16block_id_wrapperIjLb1EEEEE10hipError_tT1_PNSt15iterator_traitsISG_E10value_typeET2_T3_PNSH_ISM_E10value_typeET4_T5_PSR_SS_PNS1_23onesweep_lookback_stateEbbT6_jjT7_P12ihipStream_tbENKUlT_T0_SG_SL_E_clIS7_S7_PlSB_EEDaSZ_S10_SG_SL_EUlSZ_E_NS1_11comp_targetILNS1_3genE10ELNS1_11target_archE1201ELNS1_3gpuE5ELNS1_3repE0EEENS1_47radix_sort_onesweep_sort_config_static_selectorELNS0_4arch9wavefront6targetE1EEEvSG_.num_named_barrier, 0
	.set _ZN7rocprim17ROCPRIM_400000_NS6detail17trampoline_kernelINS0_14default_configENS1_35radix_sort_onesweep_config_selectorIdlEEZZNS1_29radix_sort_onesweep_iterationIS3_Lb0EPdS7_N6thrust23THRUST_200600_302600_NS10device_ptrIlEESB_jNS0_19identity_decomposerENS1_16block_id_wrapperIjLb1EEEEE10hipError_tT1_PNSt15iterator_traitsISG_E10value_typeET2_T3_PNSH_ISM_E10value_typeET4_T5_PSR_SS_PNS1_23onesweep_lookback_stateEbbT6_jjT7_P12ihipStream_tbENKUlT_T0_SG_SL_E_clIS7_S7_PlSB_EEDaSZ_S10_SG_SL_EUlSZ_E_NS1_11comp_targetILNS1_3genE10ELNS1_11target_archE1201ELNS1_3gpuE5ELNS1_3repE0EEENS1_47radix_sort_onesweep_sort_config_static_selectorELNS0_4arch9wavefront6targetE1EEEvSG_.private_seg_size, 0
	.set _ZN7rocprim17ROCPRIM_400000_NS6detail17trampoline_kernelINS0_14default_configENS1_35radix_sort_onesweep_config_selectorIdlEEZZNS1_29radix_sort_onesweep_iterationIS3_Lb0EPdS7_N6thrust23THRUST_200600_302600_NS10device_ptrIlEESB_jNS0_19identity_decomposerENS1_16block_id_wrapperIjLb1EEEEE10hipError_tT1_PNSt15iterator_traitsISG_E10value_typeET2_T3_PNSH_ISM_E10value_typeET4_T5_PSR_SS_PNS1_23onesweep_lookback_stateEbbT6_jjT7_P12ihipStream_tbENKUlT_T0_SG_SL_E_clIS7_S7_PlSB_EEDaSZ_S10_SG_SL_EUlSZ_E_NS1_11comp_targetILNS1_3genE10ELNS1_11target_archE1201ELNS1_3gpuE5ELNS1_3repE0EEENS1_47radix_sort_onesweep_sort_config_static_selectorELNS0_4arch9wavefront6targetE1EEEvSG_.uses_vcc, 0
	.set _ZN7rocprim17ROCPRIM_400000_NS6detail17trampoline_kernelINS0_14default_configENS1_35radix_sort_onesweep_config_selectorIdlEEZZNS1_29radix_sort_onesweep_iterationIS3_Lb0EPdS7_N6thrust23THRUST_200600_302600_NS10device_ptrIlEESB_jNS0_19identity_decomposerENS1_16block_id_wrapperIjLb1EEEEE10hipError_tT1_PNSt15iterator_traitsISG_E10value_typeET2_T3_PNSH_ISM_E10value_typeET4_T5_PSR_SS_PNS1_23onesweep_lookback_stateEbbT6_jjT7_P12ihipStream_tbENKUlT_T0_SG_SL_E_clIS7_S7_PlSB_EEDaSZ_S10_SG_SL_EUlSZ_E_NS1_11comp_targetILNS1_3genE10ELNS1_11target_archE1201ELNS1_3gpuE5ELNS1_3repE0EEENS1_47radix_sort_onesweep_sort_config_static_selectorELNS0_4arch9wavefront6targetE1EEEvSG_.uses_flat_scratch, 0
	.set _ZN7rocprim17ROCPRIM_400000_NS6detail17trampoline_kernelINS0_14default_configENS1_35radix_sort_onesweep_config_selectorIdlEEZZNS1_29radix_sort_onesweep_iterationIS3_Lb0EPdS7_N6thrust23THRUST_200600_302600_NS10device_ptrIlEESB_jNS0_19identity_decomposerENS1_16block_id_wrapperIjLb1EEEEE10hipError_tT1_PNSt15iterator_traitsISG_E10value_typeET2_T3_PNSH_ISM_E10value_typeET4_T5_PSR_SS_PNS1_23onesweep_lookback_stateEbbT6_jjT7_P12ihipStream_tbENKUlT_T0_SG_SL_E_clIS7_S7_PlSB_EEDaSZ_S10_SG_SL_EUlSZ_E_NS1_11comp_targetILNS1_3genE10ELNS1_11target_archE1201ELNS1_3gpuE5ELNS1_3repE0EEENS1_47radix_sort_onesweep_sort_config_static_selectorELNS0_4arch9wavefront6targetE1EEEvSG_.has_dyn_sized_stack, 0
	.set _ZN7rocprim17ROCPRIM_400000_NS6detail17trampoline_kernelINS0_14default_configENS1_35radix_sort_onesweep_config_selectorIdlEEZZNS1_29radix_sort_onesweep_iterationIS3_Lb0EPdS7_N6thrust23THRUST_200600_302600_NS10device_ptrIlEESB_jNS0_19identity_decomposerENS1_16block_id_wrapperIjLb1EEEEE10hipError_tT1_PNSt15iterator_traitsISG_E10value_typeET2_T3_PNSH_ISM_E10value_typeET4_T5_PSR_SS_PNS1_23onesweep_lookback_stateEbbT6_jjT7_P12ihipStream_tbENKUlT_T0_SG_SL_E_clIS7_S7_PlSB_EEDaSZ_S10_SG_SL_EUlSZ_E_NS1_11comp_targetILNS1_3genE10ELNS1_11target_archE1201ELNS1_3gpuE5ELNS1_3repE0EEENS1_47radix_sort_onesweep_sort_config_static_selectorELNS0_4arch9wavefront6targetE1EEEvSG_.has_recursion, 0
	.set _ZN7rocprim17ROCPRIM_400000_NS6detail17trampoline_kernelINS0_14default_configENS1_35radix_sort_onesweep_config_selectorIdlEEZZNS1_29radix_sort_onesweep_iterationIS3_Lb0EPdS7_N6thrust23THRUST_200600_302600_NS10device_ptrIlEESB_jNS0_19identity_decomposerENS1_16block_id_wrapperIjLb1EEEEE10hipError_tT1_PNSt15iterator_traitsISG_E10value_typeET2_T3_PNSH_ISM_E10value_typeET4_T5_PSR_SS_PNS1_23onesweep_lookback_stateEbbT6_jjT7_P12ihipStream_tbENKUlT_T0_SG_SL_E_clIS7_S7_PlSB_EEDaSZ_S10_SG_SL_EUlSZ_E_NS1_11comp_targetILNS1_3genE10ELNS1_11target_archE1201ELNS1_3gpuE5ELNS1_3repE0EEENS1_47radix_sort_onesweep_sort_config_static_selectorELNS0_4arch9wavefront6targetE1EEEvSG_.has_indirect_call, 0
	.section	.AMDGPU.csdata,"",@progbits
; Kernel info:
; codeLenInByte = 0
; TotalNumSgprs: 4
; NumVgprs: 0
; ScratchSize: 0
; MemoryBound: 0
; FloatMode: 240
; IeeeMode: 1
; LDSByteSize: 0 bytes/workgroup (compile time only)
; SGPRBlocks: 0
; VGPRBlocks: 0
; NumSGPRsForWavesPerEU: 4
; NumVGPRsForWavesPerEU: 1
; Occupancy: 10
; WaveLimiterHint : 0
; COMPUTE_PGM_RSRC2:SCRATCH_EN: 0
; COMPUTE_PGM_RSRC2:USER_SGPR: 6
; COMPUTE_PGM_RSRC2:TRAP_HANDLER: 0
; COMPUTE_PGM_RSRC2:TGID_X_EN: 1
; COMPUTE_PGM_RSRC2:TGID_Y_EN: 0
; COMPUTE_PGM_RSRC2:TGID_Z_EN: 0
; COMPUTE_PGM_RSRC2:TIDIG_COMP_CNT: 0
	.section	.text._ZN7rocprim17ROCPRIM_400000_NS6detail17trampoline_kernelINS0_14default_configENS1_35radix_sort_onesweep_config_selectorIdlEEZZNS1_29radix_sort_onesweep_iterationIS3_Lb0EPdS7_N6thrust23THRUST_200600_302600_NS10device_ptrIlEESB_jNS0_19identity_decomposerENS1_16block_id_wrapperIjLb1EEEEE10hipError_tT1_PNSt15iterator_traitsISG_E10value_typeET2_T3_PNSH_ISM_E10value_typeET4_T5_PSR_SS_PNS1_23onesweep_lookback_stateEbbT6_jjT7_P12ihipStream_tbENKUlT_T0_SG_SL_E_clIS7_S7_PlSB_EEDaSZ_S10_SG_SL_EUlSZ_E_NS1_11comp_targetILNS1_3genE9ELNS1_11target_archE1100ELNS1_3gpuE3ELNS1_3repE0EEENS1_47radix_sort_onesweep_sort_config_static_selectorELNS0_4arch9wavefront6targetE1EEEvSG_,"axG",@progbits,_ZN7rocprim17ROCPRIM_400000_NS6detail17trampoline_kernelINS0_14default_configENS1_35radix_sort_onesweep_config_selectorIdlEEZZNS1_29radix_sort_onesweep_iterationIS3_Lb0EPdS7_N6thrust23THRUST_200600_302600_NS10device_ptrIlEESB_jNS0_19identity_decomposerENS1_16block_id_wrapperIjLb1EEEEE10hipError_tT1_PNSt15iterator_traitsISG_E10value_typeET2_T3_PNSH_ISM_E10value_typeET4_T5_PSR_SS_PNS1_23onesweep_lookback_stateEbbT6_jjT7_P12ihipStream_tbENKUlT_T0_SG_SL_E_clIS7_S7_PlSB_EEDaSZ_S10_SG_SL_EUlSZ_E_NS1_11comp_targetILNS1_3genE9ELNS1_11target_archE1100ELNS1_3gpuE3ELNS1_3repE0EEENS1_47radix_sort_onesweep_sort_config_static_selectorELNS0_4arch9wavefront6targetE1EEEvSG_,comdat
	.protected	_ZN7rocprim17ROCPRIM_400000_NS6detail17trampoline_kernelINS0_14default_configENS1_35radix_sort_onesweep_config_selectorIdlEEZZNS1_29radix_sort_onesweep_iterationIS3_Lb0EPdS7_N6thrust23THRUST_200600_302600_NS10device_ptrIlEESB_jNS0_19identity_decomposerENS1_16block_id_wrapperIjLb1EEEEE10hipError_tT1_PNSt15iterator_traitsISG_E10value_typeET2_T3_PNSH_ISM_E10value_typeET4_T5_PSR_SS_PNS1_23onesweep_lookback_stateEbbT6_jjT7_P12ihipStream_tbENKUlT_T0_SG_SL_E_clIS7_S7_PlSB_EEDaSZ_S10_SG_SL_EUlSZ_E_NS1_11comp_targetILNS1_3genE9ELNS1_11target_archE1100ELNS1_3gpuE3ELNS1_3repE0EEENS1_47radix_sort_onesweep_sort_config_static_selectorELNS0_4arch9wavefront6targetE1EEEvSG_ ; -- Begin function _ZN7rocprim17ROCPRIM_400000_NS6detail17trampoline_kernelINS0_14default_configENS1_35radix_sort_onesweep_config_selectorIdlEEZZNS1_29radix_sort_onesweep_iterationIS3_Lb0EPdS7_N6thrust23THRUST_200600_302600_NS10device_ptrIlEESB_jNS0_19identity_decomposerENS1_16block_id_wrapperIjLb1EEEEE10hipError_tT1_PNSt15iterator_traitsISG_E10value_typeET2_T3_PNSH_ISM_E10value_typeET4_T5_PSR_SS_PNS1_23onesweep_lookback_stateEbbT6_jjT7_P12ihipStream_tbENKUlT_T0_SG_SL_E_clIS7_S7_PlSB_EEDaSZ_S10_SG_SL_EUlSZ_E_NS1_11comp_targetILNS1_3genE9ELNS1_11target_archE1100ELNS1_3gpuE3ELNS1_3repE0EEENS1_47radix_sort_onesweep_sort_config_static_selectorELNS0_4arch9wavefront6targetE1EEEvSG_
	.globl	_ZN7rocprim17ROCPRIM_400000_NS6detail17trampoline_kernelINS0_14default_configENS1_35radix_sort_onesweep_config_selectorIdlEEZZNS1_29radix_sort_onesweep_iterationIS3_Lb0EPdS7_N6thrust23THRUST_200600_302600_NS10device_ptrIlEESB_jNS0_19identity_decomposerENS1_16block_id_wrapperIjLb1EEEEE10hipError_tT1_PNSt15iterator_traitsISG_E10value_typeET2_T3_PNSH_ISM_E10value_typeET4_T5_PSR_SS_PNS1_23onesweep_lookback_stateEbbT6_jjT7_P12ihipStream_tbENKUlT_T0_SG_SL_E_clIS7_S7_PlSB_EEDaSZ_S10_SG_SL_EUlSZ_E_NS1_11comp_targetILNS1_3genE9ELNS1_11target_archE1100ELNS1_3gpuE3ELNS1_3repE0EEENS1_47radix_sort_onesweep_sort_config_static_selectorELNS0_4arch9wavefront6targetE1EEEvSG_
	.p2align	8
	.type	_ZN7rocprim17ROCPRIM_400000_NS6detail17trampoline_kernelINS0_14default_configENS1_35radix_sort_onesweep_config_selectorIdlEEZZNS1_29radix_sort_onesweep_iterationIS3_Lb0EPdS7_N6thrust23THRUST_200600_302600_NS10device_ptrIlEESB_jNS0_19identity_decomposerENS1_16block_id_wrapperIjLb1EEEEE10hipError_tT1_PNSt15iterator_traitsISG_E10value_typeET2_T3_PNSH_ISM_E10value_typeET4_T5_PSR_SS_PNS1_23onesweep_lookback_stateEbbT6_jjT7_P12ihipStream_tbENKUlT_T0_SG_SL_E_clIS7_S7_PlSB_EEDaSZ_S10_SG_SL_EUlSZ_E_NS1_11comp_targetILNS1_3genE9ELNS1_11target_archE1100ELNS1_3gpuE3ELNS1_3repE0EEENS1_47radix_sort_onesweep_sort_config_static_selectorELNS0_4arch9wavefront6targetE1EEEvSG_,@function
_ZN7rocprim17ROCPRIM_400000_NS6detail17trampoline_kernelINS0_14default_configENS1_35radix_sort_onesweep_config_selectorIdlEEZZNS1_29radix_sort_onesweep_iterationIS3_Lb0EPdS7_N6thrust23THRUST_200600_302600_NS10device_ptrIlEESB_jNS0_19identity_decomposerENS1_16block_id_wrapperIjLb1EEEEE10hipError_tT1_PNSt15iterator_traitsISG_E10value_typeET2_T3_PNSH_ISM_E10value_typeET4_T5_PSR_SS_PNS1_23onesweep_lookback_stateEbbT6_jjT7_P12ihipStream_tbENKUlT_T0_SG_SL_E_clIS7_S7_PlSB_EEDaSZ_S10_SG_SL_EUlSZ_E_NS1_11comp_targetILNS1_3genE9ELNS1_11target_archE1100ELNS1_3gpuE3ELNS1_3repE0EEENS1_47radix_sort_onesweep_sort_config_static_selectorELNS0_4arch9wavefront6targetE1EEEvSG_: ; @_ZN7rocprim17ROCPRIM_400000_NS6detail17trampoline_kernelINS0_14default_configENS1_35radix_sort_onesweep_config_selectorIdlEEZZNS1_29radix_sort_onesweep_iterationIS3_Lb0EPdS7_N6thrust23THRUST_200600_302600_NS10device_ptrIlEESB_jNS0_19identity_decomposerENS1_16block_id_wrapperIjLb1EEEEE10hipError_tT1_PNSt15iterator_traitsISG_E10value_typeET2_T3_PNSH_ISM_E10value_typeET4_T5_PSR_SS_PNS1_23onesweep_lookback_stateEbbT6_jjT7_P12ihipStream_tbENKUlT_T0_SG_SL_E_clIS7_S7_PlSB_EEDaSZ_S10_SG_SL_EUlSZ_E_NS1_11comp_targetILNS1_3genE9ELNS1_11target_archE1100ELNS1_3gpuE3ELNS1_3repE0EEENS1_47radix_sort_onesweep_sort_config_static_selectorELNS0_4arch9wavefront6targetE1EEEvSG_
; %bb.0:
	.section	.rodata,"a",@progbits
	.p2align	6, 0x0
	.amdhsa_kernel _ZN7rocprim17ROCPRIM_400000_NS6detail17trampoline_kernelINS0_14default_configENS1_35radix_sort_onesweep_config_selectorIdlEEZZNS1_29radix_sort_onesweep_iterationIS3_Lb0EPdS7_N6thrust23THRUST_200600_302600_NS10device_ptrIlEESB_jNS0_19identity_decomposerENS1_16block_id_wrapperIjLb1EEEEE10hipError_tT1_PNSt15iterator_traitsISG_E10value_typeET2_T3_PNSH_ISM_E10value_typeET4_T5_PSR_SS_PNS1_23onesweep_lookback_stateEbbT6_jjT7_P12ihipStream_tbENKUlT_T0_SG_SL_E_clIS7_S7_PlSB_EEDaSZ_S10_SG_SL_EUlSZ_E_NS1_11comp_targetILNS1_3genE9ELNS1_11target_archE1100ELNS1_3gpuE3ELNS1_3repE0EEENS1_47radix_sort_onesweep_sort_config_static_selectorELNS0_4arch9wavefront6targetE1EEEvSG_
		.amdhsa_group_segment_fixed_size 0
		.amdhsa_private_segment_fixed_size 0
		.amdhsa_kernarg_size 88
		.amdhsa_user_sgpr_count 6
		.amdhsa_user_sgpr_private_segment_buffer 1
		.amdhsa_user_sgpr_dispatch_ptr 0
		.amdhsa_user_sgpr_queue_ptr 0
		.amdhsa_user_sgpr_kernarg_segment_ptr 1
		.amdhsa_user_sgpr_dispatch_id 0
		.amdhsa_user_sgpr_flat_scratch_init 0
		.amdhsa_user_sgpr_private_segment_size 0
		.amdhsa_uses_dynamic_stack 0
		.amdhsa_system_sgpr_private_segment_wavefront_offset 0
		.amdhsa_system_sgpr_workgroup_id_x 1
		.amdhsa_system_sgpr_workgroup_id_y 0
		.amdhsa_system_sgpr_workgroup_id_z 0
		.amdhsa_system_sgpr_workgroup_info 0
		.amdhsa_system_vgpr_workitem_id 0
		.amdhsa_next_free_vgpr 1
		.amdhsa_next_free_sgpr 0
		.amdhsa_reserve_vcc 0
		.amdhsa_reserve_flat_scratch 0
		.amdhsa_float_round_mode_32 0
		.amdhsa_float_round_mode_16_64 0
		.amdhsa_float_denorm_mode_32 3
		.amdhsa_float_denorm_mode_16_64 3
		.amdhsa_dx10_clamp 1
		.amdhsa_ieee_mode 1
		.amdhsa_fp16_overflow 0
		.amdhsa_exception_fp_ieee_invalid_op 0
		.amdhsa_exception_fp_denorm_src 0
		.amdhsa_exception_fp_ieee_div_zero 0
		.amdhsa_exception_fp_ieee_overflow 0
		.amdhsa_exception_fp_ieee_underflow 0
		.amdhsa_exception_fp_ieee_inexact 0
		.amdhsa_exception_int_div_zero 0
	.end_amdhsa_kernel
	.section	.text._ZN7rocprim17ROCPRIM_400000_NS6detail17trampoline_kernelINS0_14default_configENS1_35radix_sort_onesweep_config_selectorIdlEEZZNS1_29radix_sort_onesweep_iterationIS3_Lb0EPdS7_N6thrust23THRUST_200600_302600_NS10device_ptrIlEESB_jNS0_19identity_decomposerENS1_16block_id_wrapperIjLb1EEEEE10hipError_tT1_PNSt15iterator_traitsISG_E10value_typeET2_T3_PNSH_ISM_E10value_typeET4_T5_PSR_SS_PNS1_23onesweep_lookback_stateEbbT6_jjT7_P12ihipStream_tbENKUlT_T0_SG_SL_E_clIS7_S7_PlSB_EEDaSZ_S10_SG_SL_EUlSZ_E_NS1_11comp_targetILNS1_3genE9ELNS1_11target_archE1100ELNS1_3gpuE3ELNS1_3repE0EEENS1_47radix_sort_onesweep_sort_config_static_selectorELNS0_4arch9wavefront6targetE1EEEvSG_,"axG",@progbits,_ZN7rocprim17ROCPRIM_400000_NS6detail17trampoline_kernelINS0_14default_configENS1_35radix_sort_onesweep_config_selectorIdlEEZZNS1_29radix_sort_onesweep_iterationIS3_Lb0EPdS7_N6thrust23THRUST_200600_302600_NS10device_ptrIlEESB_jNS0_19identity_decomposerENS1_16block_id_wrapperIjLb1EEEEE10hipError_tT1_PNSt15iterator_traitsISG_E10value_typeET2_T3_PNSH_ISM_E10value_typeET4_T5_PSR_SS_PNS1_23onesweep_lookback_stateEbbT6_jjT7_P12ihipStream_tbENKUlT_T0_SG_SL_E_clIS7_S7_PlSB_EEDaSZ_S10_SG_SL_EUlSZ_E_NS1_11comp_targetILNS1_3genE9ELNS1_11target_archE1100ELNS1_3gpuE3ELNS1_3repE0EEENS1_47radix_sort_onesweep_sort_config_static_selectorELNS0_4arch9wavefront6targetE1EEEvSG_,comdat
.Lfunc_end1641:
	.size	_ZN7rocprim17ROCPRIM_400000_NS6detail17trampoline_kernelINS0_14default_configENS1_35radix_sort_onesweep_config_selectorIdlEEZZNS1_29radix_sort_onesweep_iterationIS3_Lb0EPdS7_N6thrust23THRUST_200600_302600_NS10device_ptrIlEESB_jNS0_19identity_decomposerENS1_16block_id_wrapperIjLb1EEEEE10hipError_tT1_PNSt15iterator_traitsISG_E10value_typeET2_T3_PNSH_ISM_E10value_typeET4_T5_PSR_SS_PNS1_23onesweep_lookback_stateEbbT6_jjT7_P12ihipStream_tbENKUlT_T0_SG_SL_E_clIS7_S7_PlSB_EEDaSZ_S10_SG_SL_EUlSZ_E_NS1_11comp_targetILNS1_3genE9ELNS1_11target_archE1100ELNS1_3gpuE3ELNS1_3repE0EEENS1_47radix_sort_onesweep_sort_config_static_selectorELNS0_4arch9wavefront6targetE1EEEvSG_, .Lfunc_end1641-_ZN7rocprim17ROCPRIM_400000_NS6detail17trampoline_kernelINS0_14default_configENS1_35radix_sort_onesweep_config_selectorIdlEEZZNS1_29radix_sort_onesweep_iterationIS3_Lb0EPdS7_N6thrust23THRUST_200600_302600_NS10device_ptrIlEESB_jNS0_19identity_decomposerENS1_16block_id_wrapperIjLb1EEEEE10hipError_tT1_PNSt15iterator_traitsISG_E10value_typeET2_T3_PNSH_ISM_E10value_typeET4_T5_PSR_SS_PNS1_23onesweep_lookback_stateEbbT6_jjT7_P12ihipStream_tbENKUlT_T0_SG_SL_E_clIS7_S7_PlSB_EEDaSZ_S10_SG_SL_EUlSZ_E_NS1_11comp_targetILNS1_3genE9ELNS1_11target_archE1100ELNS1_3gpuE3ELNS1_3repE0EEENS1_47radix_sort_onesweep_sort_config_static_selectorELNS0_4arch9wavefront6targetE1EEEvSG_
                                        ; -- End function
	.set _ZN7rocprim17ROCPRIM_400000_NS6detail17trampoline_kernelINS0_14default_configENS1_35radix_sort_onesweep_config_selectorIdlEEZZNS1_29radix_sort_onesweep_iterationIS3_Lb0EPdS7_N6thrust23THRUST_200600_302600_NS10device_ptrIlEESB_jNS0_19identity_decomposerENS1_16block_id_wrapperIjLb1EEEEE10hipError_tT1_PNSt15iterator_traitsISG_E10value_typeET2_T3_PNSH_ISM_E10value_typeET4_T5_PSR_SS_PNS1_23onesweep_lookback_stateEbbT6_jjT7_P12ihipStream_tbENKUlT_T0_SG_SL_E_clIS7_S7_PlSB_EEDaSZ_S10_SG_SL_EUlSZ_E_NS1_11comp_targetILNS1_3genE9ELNS1_11target_archE1100ELNS1_3gpuE3ELNS1_3repE0EEENS1_47radix_sort_onesweep_sort_config_static_selectorELNS0_4arch9wavefront6targetE1EEEvSG_.num_vgpr, 0
	.set _ZN7rocprim17ROCPRIM_400000_NS6detail17trampoline_kernelINS0_14default_configENS1_35radix_sort_onesweep_config_selectorIdlEEZZNS1_29radix_sort_onesweep_iterationIS3_Lb0EPdS7_N6thrust23THRUST_200600_302600_NS10device_ptrIlEESB_jNS0_19identity_decomposerENS1_16block_id_wrapperIjLb1EEEEE10hipError_tT1_PNSt15iterator_traitsISG_E10value_typeET2_T3_PNSH_ISM_E10value_typeET4_T5_PSR_SS_PNS1_23onesweep_lookback_stateEbbT6_jjT7_P12ihipStream_tbENKUlT_T0_SG_SL_E_clIS7_S7_PlSB_EEDaSZ_S10_SG_SL_EUlSZ_E_NS1_11comp_targetILNS1_3genE9ELNS1_11target_archE1100ELNS1_3gpuE3ELNS1_3repE0EEENS1_47radix_sort_onesweep_sort_config_static_selectorELNS0_4arch9wavefront6targetE1EEEvSG_.num_agpr, 0
	.set _ZN7rocprim17ROCPRIM_400000_NS6detail17trampoline_kernelINS0_14default_configENS1_35radix_sort_onesweep_config_selectorIdlEEZZNS1_29radix_sort_onesweep_iterationIS3_Lb0EPdS7_N6thrust23THRUST_200600_302600_NS10device_ptrIlEESB_jNS0_19identity_decomposerENS1_16block_id_wrapperIjLb1EEEEE10hipError_tT1_PNSt15iterator_traitsISG_E10value_typeET2_T3_PNSH_ISM_E10value_typeET4_T5_PSR_SS_PNS1_23onesweep_lookback_stateEbbT6_jjT7_P12ihipStream_tbENKUlT_T0_SG_SL_E_clIS7_S7_PlSB_EEDaSZ_S10_SG_SL_EUlSZ_E_NS1_11comp_targetILNS1_3genE9ELNS1_11target_archE1100ELNS1_3gpuE3ELNS1_3repE0EEENS1_47radix_sort_onesweep_sort_config_static_selectorELNS0_4arch9wavefront6targetE1EEEvSG_.numbered_sgpr, 0
	.set _ZN7rocprim17ROCPRIM_400000_NS6detail17trampoline_kernelINS0_14default_configENS1_35radix_sort_onesweep_config_selectorIdlEEZZNS1_29radix_sort_onesweep_iterationIS3_Lb0EPdS7_N6thrust23THRUST_200600_302600_NS10device_ptrIlEESB_jNS0_19identity_decomposerENS1_16block_id_wrapperIjLb1EEEEE10hipError_tT1_PNSt15iterator_traitsISG_E10value_typeET2_T3_PNSH_ISM_E10value_typeET4_T5_PSR_SS_PNS1_23onesweep_lookback_stateEbbT6_jjT7_P12ihipStream_tbENKUlT_T0_SG_SL_E_clIS7_S7_PlSB_EEDaSZ_S10_SG_SL_EUlSZ_E_NS1_11comp_targetILNS1_3genE9ELNS1_11target_archE1100ELNS1_3gpuE3ELNS1_3repE0EEENS1_47radix_sort_onesweep_sort_config_static_selectorELNS0_4arch9wavefront6targetE1EEEvSG_.num_named_barrier, 0
	.set _ZN7rocprim17ROCPRIM_400000_NS6detail17trampoline_kernelINS0_14default_configENS1_35radix_sort_onesweep_config_selectorIdlEEZZNS1_29radix_sort_onesweep_iterationIS3_Lb0EPdS7_N6thrust23THRUST_200600_302600_NS10device_ptrIlEESB_jNS0_19identity_decomposerENS1_16block_id_wrapperIjLb1EEEEE10hipError_tT1_PNSt15iterator_traitsISG_E10value_typeET2_T3_PNSH_ISM_E10value_typeET4_T5_PSR_SS_PNS1_23onesweep_lookback_stateEbbT6_jjT7_P12ihipStream_tbENKUlT_T0_SG_SL_E_clIS7_S7_PlSB_EEDaSZ_S10_SG_SL_EUlSZ_E_NS1_11comp_targetILNS1_3genE9ELNS1_11target_archE1100ELNS1_3gpuE3ELNS1_3repE0EEENS1_47radix_sort_onesweep_sort_config_static_selectorELNS0_4arch9wavefront6targetE1EEEvSG_.private_seg_size, 0
	.set _ZN7rocprim17ROCPRIM_400000_NS6detail17trampoline_kernelINS0_14default_configENS1_35radix_sort_onesweep_config_selectorIdlEEZZNS1_29radix_sort_onesweep_iterationIS3_Lb0EPdS7_N6thrust23THRUST_200600_302600_NS10device_ptrIlEESB_jNS0_19identity_decomposerENS1_16block_id_wrapperIjLb1EEEEE10hipError_tT1_PNSt15iterator_traitsISG_E10value_typeET2_T3_PNSH_ISM_E10value_typeET4_T5_PSR_SS_PNS1_23onesweep_lookback_stateEbbT6_jjT7_P12ihipStream_tbENKUlT_T0_SG_SL_E_clIS7_S7_PlSB_EEDaSZ_S10_SG_SL_EUlSZ_E_NS1_11comp_targetILNS1_3genE9ELNS1_11target_archE1100ELNS1_3gpuE3ELNS1_3repE0EEENS1_47radix_sort_onesweep_sort_config_static_selectorELNS0_4arch9wavefront6targetE1EEEvSG_.uses_vcc, 0
	.set _ZN7rocprim17ROCPRIM_400000_NS6detail17trampoline_kernelINS0_14default_configENS1_35radix_sort_onesweep_config_selectorIdlEEZZNS1_29radix_sort_onesweep_iterationIS3_Lb0EPdS7_N6thrust23THRUST_200600_302600_NS10device_ptrIlEESB_jNS0_19identity_decomposerENS1_16block_id_wrapperIjLb1EEEEE10hipError_tT1_PNSt15iterator_traitsISG_E10value_typeET2_T3_PNSH_ISM_E10value_typeET4_T5_PSR_SS_PNS1_23onesweep_lookback_stateEbbT6_jjT7_P12ihipStream_tbENKUlT_T0_SG_SL_E_clIS7_S7_PlSB_EEDaSZ_S10_SG_SL_EUlSZ_E_NS1_11comp_targetILNS1_3genE9ELNS1_11target_archE1100ELNS1_3gpuE3ELNS1_3repE0EEENS1_47radix_sort_onesweep_sort_config_static_selectorELNS0_4arch9wavefront6targetE1EEEvSG_.uses_flat_scratch, 0
	.set _ZN7rocprim17ROCPRIM_400000_NS6detail17trampoline_kernelINS0_14default_configENS1_35radix_sort_onesweep_config_selectorIdlEEZZNS1_29radix_sort_onesweep_iterationIS3_Lb0EPdS7_N6thrust23THRUST_200600_302600_NS10device_ptrIlEESB_jNS0_19identity_decomposerENS1_16block_id_wrapperIjLb1EEEEE10hipError_tT1_PNSt15iterator_traitsISG_E10value_typeET2_T3_PNSH_ISM_E10value_typeET4_T5_PSR_SS_PNS1_23onesweep_lookback_stateEbbT6_jjT7_P12ihipStream_tbENKUlT_T0_SG_SL_E_clIS7_S7_PlSB_EEDaSZ_S10_SG_SL_EUlSZ_E_NS1_11comp_targetILNS1_3genE9ELNS1_11target_archE1100ELNS1_3gpuE3ELNS1_3repE0EEENS1_47radix_sort_onesweep_sort_config_static_selectorELNS0_4arch9wavefront6targetE1EEEvSG_.has_dyn_sized_stack, 0
	.set _ZN7rocprim17ROCPRIM_400000_NS6detail17trampoline_kernelINS0_14default_configENS1_35radix_sort_onesweep_config_selectorIdlEEZZNS1_29radix_sort_onesweep_iterationIS3_Lb0EPdS7_N6thrust23THRUST_200600_302600_NS10device_ptrIlEESB_jNS0_19identity_decomposerENS1_16block_id_wrapperIjLb1EEEEE10hipError_tT1_PNSt15iterator_traitsISG_E10value_typeET2_T3_PNSH_ISM_E10value_typeET4_T5_PSR_SS_PNS1_23onesweep_lookback_stateEbbT6_jjT7_P12ihipStream_tbENKUlT_T0_SG_SL_E_clIS7_S7_PlSB_EEDaSZ_S10_SG_SL_EUlSZ_E_NS1_11comp_targetILNS1_3genE9ELNS1_11target_archE1100ELNS1_3gpuE3ELNS1_3repE0EEENS1_47radix_sort_onesweep_sort_config_static_selectorELNS0_4arch9wavefront6targetE1EEEvSG_.has_recursion, 0
	.set _ZN7rocprim17ROCPRIM_400000_NS6detail17trampoline_kernelINS0_14default_configENS1_35radix_sort_onesweep_config_selectorIdlEEZZNS1_29radix_sort_onesweep_iterationIS3_Lb0EPdS7_N6thrust23THRUST_200600_302600_NS10device_ptrIlEESB_jNS0_19identity_decomposerENS1_16block_id_wrapperIjLb1EEEEE10hipError_tT1_PNSt15iterator_traitsISG_E10value_typeET2_T3_PNSH_ISM_E10value_typeET4_T5_PSR_SS_PNS1_23onesweep_lookback_stateEbbT6_jjT7_P12ihipStream_tbENKUlT_T0_SG_SL_E_clIS7_S7_PlSB_EEDaSZ_S10_SG_SL_EUlSZ_E_NS1_11comp_targetILNS1_3genE9ELNS1_11target_archE1100ELNS1_3gpuE3ELNS1_3repE0EEENS1_47radix_sort_onesweep_sort_config_static_selectorELNS0_4arch9wavefront6targetE1EEEvSG_.has_indirect_call, 0
	.section	.AMDGPU.csdata,"",@progbits
; Kernel info:
; codeLenInByte = 0
; TotalNumSgprs: 4
; NumVgprs: 0
; ScratchSize: 0
; MemoryBound: 0
; FloatMode: 240
; IeeeMode: 1
; LDSByteSize: 0 bytes/workgroup (compile time only)
; SGPRBlocks: 0
; VGPRBlocks: 0
; NumSGPRsForWavesPerEU: 4
; NumVGPRsForWavesPerEU: 1
; Occupancy: 10
; WaveLimiterHint : 0
; COMPUTE_PGM_RSRC2:SCRATCH_EN: 0
; COMPUTE_PGM_RSRC2:USER_SGPR: 6
; COMPUTE_PGM_RSRC2:TRAP_HANDLER: 0
; COMPUTE_PGM_RSRC2:TGID_X_EN: 1
; COMPUTE_PGM_RSRC2:TGID_Y_EN: 0
; COMPUTE_PGM_RSRC2:TGID_Z_EN: 0
; COMPUTE_PGM_RSRC2:TIDIG_COMP_CNT: 0
	.section	.text._ZN7rocprim17ROCPRIM_400000_NS6detail17trampoline_kernelINS0_14default_configENS1_35radix_sort_onesweep_config_selectorIdlEEZZNS1_29radix_sort_onesweep_iterationIS3_Lb0EPdS7_N6thrust23THRUST_200600_302600_NS10device_ptrIlEESB_jNS0_19identity_decomposerENS1_16block_id_wrapperIjLb1EEEEE10hipError_tT1_PNSt15iterator_traitsISG_E10value_typeET2_T3_PNSH_ISM_E10value_typeET4_T5_PSR_SS_PNS1_23onesweep_lookback_stateEbbT6_jjT7_P12ihipStream_tbENKUlT_T0_SG_SL_E_clIS7_S7_PlSB_EEDaSZ_S10_SG_SL_EUlSZ_E_NS1_11comp_targetILNS1_3genE8ELNS1_11target_archE1030ELNS1_3gpuE2ELNS1_3repE0EEENS1_47radix_sort_onesweep_sort_config_static_selectorELNS0_4arch9wavefront6targetE1EEEvSG_,"axG",@progbits,_ZN7rocprim17ROCPRIM_400000_NS6detail17trampoline_kernelINS0_14default_configENS1_35radix_sort_onesweep_config_selectorIdlEEZZNS1_29radix_sort_onesweep_iterationIS3_Lb0EPdS7_N6thrust23THRUST_200600_302600_NS10device_ptrIlEESB_jNS0_19identity_decomposerENS1_16block_id_wrapperIjLb1EEEEE10hipError_tT1_PNSt15iterator_traitsISG_E10value_typeET2_T3_PNSH_ISM_E10value_typeET4_T5_PSR_SS_PNS1_23onesweep_lookback_stateEbbT6_jjT7_P12ihipStream_tbENKUlT_T0_SG_SL_E_clIS7_S7_PlSB_EEDaSZ_S10_SG_SL_EUlSZ_E_NS1_11comp_targetILNS1_3genE8ELNS1_11target_archE1030ELNS1_3gpuE2ELNS1_3repE0EEENS1_47radix_sort_onesweep_sort_config_static_selectorELNS0_4arch9wavefront6targetE1EEEvSG_,comdat
	.protected	_ZN7rocprim17ROCPRIM_400000_NS6detail17trampoline_kernelINS0_14default_configENS1_35radix_sort_onesweep_config_selectorIdlEEZZNS1_29radix_sort_onesweep_iterationIS3_Lb0EPdS7_N6thrust23THRUST_200600_302600_NS10device_ptrIlEESB_jNS0_19identity_decomposerENS1_16block_id_wrapperIjLb1EEEEE10hipError_tT1_PNSt15iterator_traitsISG_E10value_typeET2_T3_PNSH_ISM_E10value_typeET4_T5_PSR_SS_PNS1_23onesweep_lookback_stateEbbT6_jjT7_P12ihipStream_tbENKUlT_T0_SG_SL_E_clIS7_S7_PlSB_EEDaSZ_S10_SG_SL_EUlSZ_E_NS1_11comp_targetILNS1_3genE8ELNS1_11target_archE1030ELNS1_3gpuE2ELNS1_3repE0EEENS1_47radix_sort_onesweep_sort_config_static_selectorELNS0_4arch9wavefront6targetE1EEEvSG_ ; -- Begin function _ZN7rocprim17ROCPRIM_400000_NS6detail17trampoline_kernelINS0_14default_configENS1_35radix_sort_onesweep_config_selectorIdlEEZZNS1_29radix_sort_onesweep_iterationIS3_Lb0EPdS7_N6thrust23THRUST_200600_302600_NS10device_ptrIlEESB_jNS0_19identity_decomposerENS1_16block_id_wrapperIjLb1EEEEE10hipError_tT1_PNSt15iterator_traitsISG_E10value_typeET2_T3_PNSH_ISM_E10value_typeET4_T5_PSR_SS_PNS1_23onesweep_lookback_stateEbbT6_jjT7_P12ihipStream_tbENKUlT_T0_SG_SL_E_clIS7_S7_PlSB_EEDaSZ_S10_SG_SL_EUlSZ_E_NS1_11comp_targetILNS1_3genE8ELNS1_11target_archE1030ELNS1_3gpuE2ELNS1_3repE0EEENS1_47radix_sort_onesweep_sort_config_static_selectorELNS0_4arch9wavefront6targetE1EEEvSG_
	.globl	_ZN7rocprim17ROCPRIM_400000_NS6detail17trampoline_kernelINS0_14default_configENS1_35radix_sort_onesweep_config_selectorIdlEEZZNS1_29radix_sort_onesweep_iterationIS3_Lb0EPdS7_N6thrust23THRUST_200600_302600_NS10device_ptrIlEESB_jNS0_19identity_decomposerENS1_16block_id_wrapperIjLb1EEEEE10hipError_tT1_PNSt15iterator_traitsISG_E10value_typeET2_T3_PNSH_ISM_E10value_typeET4_T5_PSR_SS_PNS1_23onesweep_lookback_stateEbbT6_jjT7_P12ihipStream_tbENKUlT_T0_SG_SL_E_clIS7_S7_PlSB_EEDaSZ_S10_SG_SL_EUlSZ_E_NS1_11comp_targetILNS1_3genE8ELNS1_11target_archE1030ELNS1_3gpuE2ELNS1_3repE0EEENS1_47radix_sort_onesweep_sort_config_static_selectorELNS0_4arch9wavefront6targetE1EEEvSG_
	.p2align	8
	.type	_ZN7rocprim17ROCPRIM_400000_NS6detail17trampoline_kernelINS0_14default_configENS1_35radix_sort_onesweep_config_selectorIdlEEZZNS1_29radix_sort_onesweep_iterationIS3_Lb0EPdS7_N6thrust23THRUST_200600_302600_NS10device_ptrIlEESB_jNS0_19identity_decomposerENS1_16block_id_wrapperIjLb1EEEEE10hipError_tT1_PNSt15iterator_traitsISG_E10value_typeET2_T3_PNSH_ISM_E10value_typeET4_T5_PSR_SS_PNS1_23onesweep_lookback_stateEbbT6_jjT7_P12ihipStream_tbENKUlT_T0_SG_SL_E_clIS7_S7_PlSB_EEDaSZ_S10_SG_SL_EUlSZ_E_NS1_11comp_targetILNS1_3genE8ELNS1_11target_archE1030ELNS1_3gpuE2ELNS1_3repE0EEENS1_47radix_sort_onesweep_sort_config_static_selectorELNS0_4arch9wavefront6targetE1EEEvSG_,@function
_ZN7rocprim17ROCPRIM_400000_NS6detail17trampoline_kernelINS0_14default_configENS1_35radix_sort_onesweep_config_selectorIdlEEZZNS1_29radix_sort_onesweep_iterationIS3_Lb0EPdS7_N6thrust23THRUST_200600_302600_NS10device_ptrIlEESB_jNS0_19identity_decomposerENS1_16block_id_wrapperIjLb1EEEEE10hipError_tT1_PNSt15iterator_traitsISG_E10value_typeET2_T3_PNSH_ISM_E10value_typeET4_T5_PSR_SS_PNS1_23onesweep_lookback_stateEbbT6_jjT7_P12ihipStream_tbENKUlT_T0_SG_SL_E_clIS7_S7_PlSB_EEDaSZ_S10_SG_SL_EUlSZ_E_NS1_11comp_targetILNS1_3genE8ELNS1_11target_archE1030ELNS1_3gpuE2ELNS1_3repE0EEENS1_47radix_sort_onesweep_sort_config_static_selectorELNS0_4arch9wavefront6targetE1EEEvSG_: ; @_ZN7rocprim17ROCPRIM_400000_NS6detail17trampoline_kernelINS0_14default_configENS1_35radix_sort_onesweep_config_selectorIdlEEZZNS1_29radix_sort_onesweep_iterationIS3_Lb0EPdS7_N6thrust23THRUST_200600_302600_NS10device_ptrIlEESB_jNS0_19identity_decomposerENS1_16block_id_wrapperIjLb1EEEEE10hipError_tT1_PNSt15iterator_traitsISG_E10value_typeET2_T3_PNSH_ISM_E10value_typeET4_T5_PSR_SS_PNS1_23onesweep_lookback_stateEbbT6_jjT7_P12ihipStream_tbENKUlT_T0_SG_SL_E_clIS7_S7_PlSB_EEDaSZ_S10_SG_SL_EUlSZ_E_NS1_11comp_targetILNS1_3genE8ELNS1_11target_archE1030ELNS1_3gpuE2ELNS1_3repE0EEENS1_47radix_sort_onesweep_sort_config_static_selectorELNS0_4arch9wavefront6targetE1EEEvSG_
; %bb.0:
	.section	.rodata,"a",@progbits
	.p2align	6, 0x0
	.amdhsa_kernel _ZN7rocprim17ROCPRIM_400000_NS6detail17trampoline_kernelINS0_14default_configENS1_35radix_sort_onesweep_config_selectorIdlEEZZNS1_29radix_sort_onesweep_iterationIS3_Lb0EPdS7_N6thrust23THRUST_200600_302600_NS10device_ptrIlEESB_jNS0_19identity_decomposerENS1_16block_id_wrapperIjLb1EEEEE10hipError_tT1_PNSt15iterator_traitsISG_E10value_typeET2_T3_PNSH_ISM_E10value_typeET4_T5_PSR_SS_PNS1_23onesweep_lookback_stateEbbT6_jjT7_P12ihipStream_tbENKUlT_T0_SG_SL_E_clIS7_S7_PlSB_EEDaSZ_S10_SG_SL_EUlSZ_E_NS1_11comp_targetILNS1_3genE8ELNS1_11target_archE1030ELNS1_3gpuE2ELNS1_3repE0EEENS1_47radix_sort_onesweep_sort_config_static_selectorELNS0_4arch9wavefront6targetE1EEEvSG_
		.amdhsa_group_segment_fixed_size 0
		.amdhsa_private_segment_fixed_size 0
		.amdhsa_kernarg_size 88
		.amdhsa_user_sgpr_count 6
		.amdhsa_user_sgpr_private_segment_buffer 1
		.amdhsa_user_sgpr_dispatch_ptr 0
		.amdhsa_user_sgpr_queue_ptr 0
		.amdhsa_user_sgpr_kernarg_segment_ptr 1
		.amdhsa_user_sgpr_dispatch_id 0
		.amdhsa_user_sgpr_flat_scratch_init 0
		.amdhsa_user_sgpr_private_segment_size 0
		.amdhsa_uses_dynamic_stack 0
		.amdhsa_system_sgpr_private_segment_wavefront_offset 0
		.amdhsa_system_sgpr_workgroup_id_x 1
		.amdhsa_system_sgpr_workgroup_id_y 0
		.amdhsa_system_sgpr_workgroup_id_z 0
		.amdhsa_system_sgpr_workgroup_info 0
		.amdhsa_system_vgpr_workitem_id 0
		.amdhsa_next_free_vgpr 1
		.amdhsa_next_free_sgpr 0
		.amdhsa_reserve_vcc 0
		.amdhsa_reserve_flat_scratch 0
		.amdhsa_float_round_mode_32 0
		.amdhsa_float_round_mode_16_64 0
		.amdhsa_float_denorm_mode_32 3
		.amdhsa_float_denorm_mode_16_64 3
		.amdhsa_dx10_clamp 1
		.amdhsa_ieee_mode 1
		.amdhsa_fp16_overflow 0
		.amdhsa_exception_fp_ieee_invalid_op 0
		.amdhsa_exception_fp_denorm_src 0
		.amdhsa_exception_fp_ieee_div_zero 0
		.amdhsa_exception_fp_ieee_overflow 0
		.amdhsa_exception_fp_ieee_underflow 0
		.amdhsa_exception_fp_ieee_inexact 0
		.amdhsa_exception_int_div_zero 0
	.end_amdhsa_kernel
	.section	.text._ZN7rocprim17ROCPRIM_400000_NS6detail17trampoline_kernelINS0_14default_configENS1_35radix_sort_onesweep_config_selectorIdlEEZZNS1_29radix_sort_onesweep_iterationIS3_Lb0EPdS7_N6thrust23THRUST_200600_302600_NS10device_ptrIlEESB_jNS0_19identity_decomposerENS1_16block_id_wrapperIjLb1EEEEE10hipError_tT1_PNSt15iterator_traitsISG_E10value_typeET2_T3_PNSH_ISM_E10value_typeET4_T5_PSR_SS_PNS1_23onesweep_lookback_stateEbbT6_jjT7_P12ihipStream_tbENKUlT_T0_SG_SL_E_clIS7_S7_PlSB_EEDaSZ_S10_SG_SL_EUlSZ_E_NS1_11comp_targetILNS1_3genE8ELNS1_11target_archE1030ELNS1_3gpuE2ELNS1_3repE0EEENS1_47radix_sort_onesweep_sort_config_static_selectorELNS0_4arch9wavefront6targetE1EEEvSG_,"axG",@progbits,_ZN7rocprim17ROCPRIM_400000_NS6detail17trampoline_kernelINS0_14default_configENS1_35radix_sort_onesweep_config_selectorIdlEEZZNS1_29radix_sort_onesweep_iterationIS3_Lb0EPdS7_N6thrust23THRUST_200600_302600_NS10device_ptrIlEESB_jNS0_19identity_decomposerENS1_16block_id_wrapperIjLb1EEEEE10hipError_tT1_PNSt15iterator_traitsISG_E10value_typeET2_T3_PNSH_ISM_E10value_typeET4_T5_PSR_SS_PNS1_23onesweep_lookback_stateEbbT6_jjT7_P12ihipStream_tbENKUlT_T0_SG_SL_E_clIS7_S7_PlSB_EEDaSZ_S10_SG_SL_EUlSZ_E_NS1_11comp_targetILNS1_3genE8ELNS1_11target_archE1030ELNS1_3gpuE2ELNS1_3repE0EEENS1_47radix_sort_onesweep_sort_config_static_selectorELNS0_4arch9wavefront6targetE1EEEvSG_,comdat
.Lfunc_end1642:
	.size	_ZN7rocprim17ROCPRIM_400000_NS6detail17trampoline_kernelINS0_14default_configENS1_35radix_sort_onesweep_config_selectorIdlEEZZNS1_29radix_sort_onesweep_iterationIS3_Lb0EPdS7_N6thrust23THRUST_200600_302600_NS10device_ptrIlEESB_jNS0_19identity_decomposerENS1_16block_id_wrapperIjLb1EEEEE10hipError_tT1_PNSt15iterator_traitsISG_E10value_typeET2_T3_PNSH_ISM_E10value_typeET4_T5_PSR_SS_PNS1_23onesweep_lookback_stateEbbT6_jjT7_P12ihipStream_tbENKUlT_T0_SG_SL_E_clIS7_S7_PlSB_EEDaSZ_S10_SG_SL_EUlSZ_E_NS1_11comp_targetILNS1_3genE8ELNS1_11target_archE1030ELNS1_3gpuE2ELNS1_3repE0EEENS1_47radix_sort_onesweep_sort_config_static_selectorELNS0_4arch9wavefront6targetE1EEEvSG_, .Lfunc_end1642-_ZN7rocprim17ROCPRIM_400000_NS6detail17trampoline_kernelINS0_14default_configENS1_35radix_sort_onesweep_config_selectorIdlEEZZNS1_29radix_sort_onesweep_iterationIS3_Lb0EPdS7_N6thrust23THRUST_200600_302600_NS10device_ptrIlEESB_jNS0_19identity_decomposerENS1_16block_id_wrapperIjLb1EEEEE10hipError_tT1_PNSt15iterator_traitsISG_E10value_typeET2_T3_PNSH_ISM_E10value_typeET4_T5_PSR_SS_PNS1_23onesweep_lookback_stateEbbT6_jjT7_P12ihipStream_tbENKUlT_T0_SG_SL_E_clIS7_S7_PlSB_EEDaSZ_S10_SG_SL_EUlSZ_E_NS1_11comp_targetILNS1_3genE8ELNS1_11target_archE1030ELNS1_3gpuE2ELNS1_3repE0EEENS1_47radix_sort_onesweep_sort_config_static_selectorELNS0_4arch9wavefront6targetE1EEEvSG_
                                        ; -- End function
	.set _ZN7rocprim17ROCPRIM_400000_NS6detail17trampoline_kernelINS0_14default_configENS1_35radix_sort_onesweep_config_selectorIdlEEZZNS1_29radix_sort_onesweep_iterationIS3_Lb0EPdS7_N6thrust23THRUST_200600_302600_NS10device_ptrIlEESB_jNS0_19identity_decomposerENS1_16block_id_wrapperIjLb1EEEEE10hipError_tT1_PNSt15iterator_traitsISG_E10value_typeET2_T3_PNSH_ISM_E10value_typeET4_T5_PSR_SS_PNS1_23onesweep_lookback_stateEbbT6_jjT7_P12ihipStream_tbENKUlT_T0_SG_SL_E_clIS7_S7_PlSB_EEDaSZ_S10_SG_SL_EUlSZ_E_NS1_11comp_targetILNS1_3genE8ELNS1_11target_archE1030ELNS1_3gpuE2ELNS1_3repE0EEENS1_47radix_sort_onesweep_sort_config_static_selectorELNS0_4arch9wavefront6targetE1EEEvSG_.num_vgpr, 0
	.set _ZN7rocprim17ROCPRIM_400000_NS6detail17trampoline_kernelINS0_14default_configENS1_35radix_sort_onesweep_config_selectorIdlEEZZNS1_29radix_sort_onesweep_iterationIS3_Lb0EPdS7_N6thrust23THRUST_200600_302600_NS10device_ptrIlEESB_jNS0_19identity_decomposerENS1_16block_id_wrapperIjLb1EEEEE10hipError_tT1_PNSt15iterator_traitsISG_E10value_typeET2_T3_PNSH_ISM_E10value_typeET4_T5_PSR_SS_PNS1_23onesweep_lookback_stateEbbT6_jjT7_P12ihipStream_tbENKUlT_T0_SG_SL_E_clIS7_S7_PlSB_EEDaSZ_S10_SG_SL_EUlSZ_E_NS1_11comp_targetILNS1_3genE8ELNS1_11target_archE1030ELNS1_3gpuE2ELNS1_3repE0EEENS1_47radix_sort_onesweep_sort_config_static_selectorELNS0_4arch9wavefront6targetE1EEEvSG_.num_agpr, 0
	.set _ZN7rocprim17ROCPRIM_400000_NS6detail17trampoline_kernelINS0_14default_configENS1_35radix_sort_onesweep_config_selectorIdlEEZZNS1_29radix_sort_onesweep_iterationIS3_Lb0EPdS7_N6thrust23THRUST_200600_302600_NS10device_ptrIlEESB_jNS0_19identity_decomposerENS1_16block_id_wrapperIjLb1EEEEE10hipError_tT1_PNSt15iterator_traitsISG_E10value_typeET2_T3_PNSH_ISM_E10value_typeET4_T5_PSR_SS_PNS1_23onesweep_lookback_stateEbbT6_jjT7_P12ihipStream_tbENKUlT_T0_SG_SL_E_clIS7_S7_PlSB_EEDaSZ_S10_SG_SL_EUlSZ_E_NS1_11comp_targetILNS1_3genE8ELNS1_11target_archE1030ELNS1_3gpuE2ELNS1_3repE0EEENS1_47radix_sort_onesweep_sort_config_static_selectorELNS0_4arch9wavefront6targetE1EEEvSG_.numbered_sgpr, 0
	.set _ZN7rocprim17ROCPRIM_400000_NS6detail17trampoline_kernelINS0_14default_configENS1_35radix_sort_onesweep_config_selectorIdlEEZZNS1_29radix_sort_onesweep_iterationIS3_Lb0EPdS7_N6thrust23THRUST_200600_302600_NS10device_ptrIlEESB_jNS0_19identity_decomposerENS1_16block_id_wrapperIjLb1EEEEE10hipError_tT1_PNSt15iterator_traitsISG_E10value_typeET2_T3_PNSH_ISM_E10value_typeET4_T5_PSR_SS_PNS1_23onesweep_lookback_stateEbbT6_jjT7_P12ihipStream_tbENKUlT_T0_SG_SL_E_clIS7_S7_PlSB_EEDaSZ_S10_SG_SL_EUlSZ_E_NS1_11comp_targetILNS1_3genE8ELNS1_11target_archE1030ELNS1_3gpuE2ELNS1_3repE0EEENS1_47radix_sort_onesweep_sort_config_static_selectorELNS0_4arch9wavefront6targetE1EEEvSG_.num_named_barrier, 0
	.set _ZN7rocprim17ROCPRIM_400000_NS6detail17trampoline_kernelINS0_14default_configENS1_35radix_sort_onesweep_config_selectorIdlEEZZNS1_29radix_sort_onesweep_iterationIS3_Lb0EPdS7_N6thrust23THRUST_200600_302600_NS10device_ptrIlEESB_jNS0_19identity_decomposerENS1_16block_id_wrapperIjLb1EEEEE10hipError_tT1_PNSt15iterator_traitsISG_E10value_typeET2_T3_PNSH_ISM_E10value_typeET4_T5_PSR_SS_PNS1_23onesweep_lookback_stateEbbT6_jjT7_P12ihipStream_tbENKUlT_T0_SG_SL_E_clIS7_S7_PlSB_EEDaSZ_S10_SG_SL_EUlSZ_E_NS1_11comp_targetILNS1_3genE8ELNS1_11target_archE1030ELNS1_3gpuE2ELNS1_3repE0EEENS1_47radix_sort_onesweep_sort_config_static_selectorELNS0_4arch9wavefront6targetE1EEEvSG_.private_seg_size, 0
	.set _ZN7rocprim17ROCPRIM_400000_NS6detail17trampoline_kernelINS0_14default_configENS1_35radix_sort_onesweep_config_selectorIdlEEZZNS1_29radix_sort_onesweep_iterationIS3_Lb0EPdS7_N6thrust23THRUST_200600_302600_NS10device_ptrIlEESB_jNS0_19identity_decomposerENS1_16block_id_wrapperIjLb1EEEEE10hipError_tT1_PNSt15iterator_traitsISG_E10value_typeET2_T3_PNSH_ISM_E10value_typeET4_T5_PSR_SS_PNS1_23onesweep_lookback_stateEbbT6_jjT7_P12ihipStream_tbENKUlT_T0_SG_SL_E_clIS7_S7_PlSB_EEDaSZ_S10_SG_SL_EUlSZ_E_NS1_11comp_targetILNS1_3genE8ELNS1_11target_archE1030ELNS1_3gpuE2ELNS1_3repE0EEENS1_47radix_sort_onesweep_sort_config_static_selectorELNS0_4arch9wavefront6targetE1EEEvSG_.uses_vcc, 0
	.set _ZN7rocprim17ROCPRIM_400000_NS6detail17trampoline_kernelINS0_14default_configENS1_35radix_sort_onesweep_config_selectorIdlEEZZNS1_29radix_sort_onesweep_iterationIS3_Lb0EPdS7_N6thrust23THRUST_200600_302600_NS10device_ptrIlEESB_jNS0_19identity_decomposerENS1_16block_id_wrapperIjLb1EEEEE10hipError_tT1_PNSt15iterator_traitsISG_E10value_typeET2_T3_PNSH_ISM_E10value_typeET4_T5_PSR_SS_PNS1_23onesweep_lookback_stateEbbT6_jjT7_P12ihipStream_tbENKUlT_T0_SG_SL_E_clIS7_S7_PlSB_EEDaSZ_S10_SG_SL_EUlSZ_E_NS1_11comp_targetILNS1_3genE8ELNS1_11target_archE1030ELNS1_3gpuE2ELNS1_3repE0EEENS1_47radix_sort_onesweep_sort_config_static_selectorELNS0_4arch9wavefront6targetE1EEEvSG_.uses_flat_scratch, 0
	.set _ZN7rocprim17ROCPRIM_400000_NS6detail17trampoline_kernelINS0_14default_configENS1_35radix_sort_onesweep_config_selectorIdlEEZZNS1_29radix_sort_onesweep_iterationIS3_Lb0EPdS7_N6thrust23THRUST_200600_302600_NS10device_ptrIlEESB_jNS0_19identity_decomposerENS1_16block_id_wrapperIjLb1EEEEE10hipError_tT1_PNSt15iterator_traitsISG_E10value_typeET2_T3_PNSH_ISM_E10value_typeET4_T5_PSR_SS_PNS1_23onesweep_lookback_stateEbbT6_jjT7_P12ihipStream_tbENKUlT_T0_SG_SL_E_clIS7_S7_PlSB_EEDaSZ_S10_SG_SL_EUlSZ_E_NS1_11comp_targetILNS1_3genE8ELNS1_11target_archE1030ELNS1_3gpuE2ELNS1_3repE0EEENS1_47radix_sort_onesweep_sort_config_static_selectorELNS0_4arch9wavefront6targetE1EEEvSG_.has_dyn_sized_stack, 0
	.set _ZN7rocprim17ROCPRIM_400000_NS6detail17trampoline_kernelINS0_14default_configENS1_35radix_sort_onesweep_config_selectorIdlEEZZNS1_29radix_sort_onesweep_iterationIS3_Lb0EPdS7_N6thrust23THRUST_200600_302600_NS10device_ptrIlEESB_jNS0_19identity_decomposerENS1_16block_id_wrapperIjLb1EEEEE10hipError_tT1_PNSt15iterator_traitsISG_E10value_typeET2_T3_PNSH_ISM_E10value_typeET4_T5_PSR_SS_PNS1_23onesweep_lookback_stateEbbT6_jjT7_P12ihipStream_tbENKUlT_T0_SG_SL_E_clIS7_S7_PlSB_EEDaSZ_S10_SG_SL_EUlSZ_E_NS1_11comp_targetILNS1_3genE8ELNS1_11target_archE1030ELNS1_3gpuE2ELNS1_3repE0EEENS1_47radix_sort_onesweep_sort_config_static_selectorELNS0_4arch9wavefront6targetE1EEEvSG_.has_recursion, 0
	.set _ZN7rocprim17ROCPRIM_400000_NS6detail17trampoline_kernelINS0_14default_configENS1_35radix_sort_onesweep_config_selectorIdlEEZZNS1_29radix_sort_onesweep_iterationIS3_Lb0EPdS7_N6thrust23THRUST_200600_302600_NS10device_ptrIlEESB_jNS0_19identity_decomposerENS1_16block_id_wrapperIjLb1EEEEE10hipError_tT1_PNSt15iterator_traitsISG_E10value_typeET2_T3_PNSH_ISM_E10value_typeET4_T5_PSR_SS_PNS1_23onesweep_lookback_stateEbbT6_jjT7_P12ihipStream_tbENKUlT_T0_SG_SL_E_clIS7_S7_PlSB_EEDaSZ_S10_SG_SL_EUlSZ_E_NS1_11comp_targetILNS1_3genE8ELNS1_11target_archE1030ELNS1_3gpuE2ELNS1_3repE0EEENS1_47radix_sort_onesweep_sort_config_static_selectorELNS0_4arch9wavefront6targetE1EEEvSG_.has_indirect_call, 0
	.section	.AMDGPU.csdata,"",@progbits
; Kernel info:
; codeLenInByte = 0
; TotalNumSgprs: 4
; NumVgprs: 0
; ScratchSize: 0
; MemoryBound: 0
; FloatMode: 240
; IeeeMode: 1
; LDSByteSize: 0 bytes/workgroup (compile time only)
; SGPRBlocks: 0
; VGPRBlocks: 0
; NumSGPRsForWavesPerEU: 4
; NumVGPRsForWavesPerEU: 1
; Occupancy: 10
; WaveLimiterHint : 0
; COMPUTE_PGM_RSRC2:SCRATCH_EN: 0
; COMPUTE_PGM_RSRC2:USER_SGPR: 6
; COMPUTE_PGM_RSRC2:TRAP_HANDLER: 0
; COMPUTE_PGM_RSRC2:TGID_X_EN: 1
; COMPUTE_PGM_RSRC2:TGID_Y_EN: 0
; COMPUTE_PGM_RSRC2:TGID_Z_EN: 0
; COMPUTE_PGM_RSRC2:TIDIG_COMP_CNT: 0
	.section	.text._ZN7rocprim17ROCPRIM_400000_NS6detail17trampoline_kernelINS0_14default_configENS1_35radix_sort_onesweep_config_selectorIdlEEZZNS1_29radix_sort_onesweep_iterationIS3_Lb0EPdS7_N6thrust23THRUST_200600_302600_NS10device_ptrIlEESB_jNS0_19identity_decomposerENS1_16block_id_wrapperIjLb0EEEEE10hipError_tT1_PNSt15iterator_traitsISG_E10value_typeET2_T3_PNSH_ISM_E10value_typeET4_T5_PSR_SS_PNS1_23onesweep_lookback_stateEbbT6_jjT7_P12ihipStream_tbENKUlT_T0_SG_SL_E_clIS7_S7_SB_SB_EEDaSZ_S10_SG_SL_EUlSZ_E_NS1_11comp_targetILNS1_3genE0ELNS1_11target_archE4294967295ELNS1_3gpuE0ELNS1_3repE0EEENS1_47radix_sort_onesweep_sort_config_static_selectorELNS0_4arch9wavefront6targetE1EEEvSG_,"axG",@progbits,_ZN7rocprim17ROCPRIM_400000_NS6detail17trampoline_kernelINS0_14default_configENS1_35radix_sort_onesweep_config_selectorIdlEEZZNS1_29radix_sort_onesweep_iterationIS3_Lb0EPdS7_N6thrust23THRUST_200600_302600_NS10device_ptrIlEESB_jNS0_19identity_decomposerENS1_16block_id_wrapperIjLb0EEEEE10hipError_tT1_PNSt15iterator_traitsISG_E10value_typeET2_T3_PNSH_ISM_E10value_typeET4_T5_PSR_SS_PNS1_23onesweep_lookback_stateEbbT6_jjT7_P12ihipStream_tbENKUlT_T0_SG_SL_E_clIS7_S7_SB_SB_EEDaSZ_S10_SG_SL_EUlSZ_E_NS1_11comp_targetILNS1_3genE0ELNS1_11target_archE4294967295ELNS1_3gpuE0ELNS1_3repE0EEENS1_47radix_sort_onesweep_sort_config_static_selectorELNS0_4arch9wavefront6targetE1EEEvSG_,comdat
	.protected	_ZN7rocprim17ROCPRIM_400000_NS6detail17trampoline_kernelINS0_14default_configENS1_35radix_sort_onesweep_config_selectorIdlEEZZNS1_29radix_sort_onesweep_iterationIS3_Lb0EPdS7_N6thrust23THRUST_200600_302600_NS10device_ptrIlEESB_jNS0_19identity_decomposerENS1_16block_id_wrapperIjLb0EEEEE10hipError_tT1_PNSt15iterator_traitsISG_E10value_typeET2_T3_PNSH_ISM_E10value_typeET4_T5_PSR_SS_PNS1_23onesweep_lookback_stateEbbT6_jjT7_P12ihipStream_tbENKUlT_T0_SG_SL_E_clIS7_S7_SB_SB_EEDaSZ_S10_SG_SL_EUlSZ_E_NS1_11comp_targetILNS1_3genE0ELNS1_11target_archE4294967295ELNS1_3gpuE0ELNS1_3repE0EEENS1_47radix_sort_onesweep_sort_config_static_selectorELNS0_4arch9wavefront6targetE1EEEvSG_ ; -- Begin function _ZN7rocprim17ROCPRIM_400000_NS6detail17trampoline_kernelINS0_14default_configENS1_35radix_sort_onesweep_config_selectorIdlEEZZNS1_29radix_sort_onesweep_iterationIS3_Lb0EPdS7_N6thrust23THRUST_200600_302600_NS10device_ptrIlEESB_jNS0_19identity_decomposerENS1_16block_id_wrapperIjLb0EEEEE10hipError_tT1_PNSt15iterator_traitsISG_E10value_typeET2_T3_PNSH_ISM_E10value_typeET4_T5_PSR_SS_PNS1_23onesweep_lookback_stateEbbT6_jjT7_P12ihipStream_tbENKUlT_T0_SG_SL_E_clIS7_S7_SB_SB_EEDaSZ_S10_SG_SL_EUlSZ_E_NS1_11comp_targetILNS1_3genE0ELNS1_11target_archE4294967295ELNS1_3gpuE0ELNS1_3repE0EEENS1_47radix_sort_onesweep_sort_config_static_selectorELNS0_4arch9wavefront6targetE1EEEvSG_
	.globl	_ZN7rocprim17ROCPRIM_400000_NS6detail17trampoline_kernelINS0_14default_configENS1_35radix_sort_onesweep_config_selectorIdlEEZZNS1_29radix_sort_onesweep_iterationIS3_Lb0EPdS7_N6thrust23THRUST_200600_302600_NS10device_ptrIlEESB_jNS0_19identity_decomposerENS1_16block_id_wrapperIjLb0EEEEE10hipError_tT1_PNSt15iterator_traitsISG_E10value_typeET2_T3_PNSH_ISM_E10value_typeET4_T5_PSR_SS_PNS1_23onesweep_lookback_stateEbbT6_jjT7_P12ihipStream_tbENKUlT_T0_SG_SL_E_clIS7_S7_SB_SB_EEDaSZ_S10_SG_SL_EUlSZ_E_NS1_11comp_targetILNS1_3genE0ELNS1_11target_archE4294967295ELNS1_3gpuE0ELNS1_3repE0EEENS1_47radix_sort_onesweep_sort_config_static_selectorELNS0_4arch9wavefront6targetE1EEEvSG_
	.p2align	8
	.type	_ZN7rocprim17ROCPRIM_400000_NS6detail17trampoline_kernelINS0_14default_configENS1_35radix_sort_onesweep_config_selectorIdlEEZZNS1_29radix_sort_onesweep_iterationIS3_Lb0EPdS7_N6thrust23THRUST_200600_302600_NS10device_ptrIlEESB_jNS0_19identity_decomposerENS1_16block_id_wrapperIjLb0EEEEE10hipError_tT1_PNSt15iterator_traitsISG_E10value_typeET2_T3_PNSH_ISM_E10value_typeET4_T5_PSR_SS_PNS1_23onesweep_lookback_stateEbbT6_jjT7_P12ihipStream_tbENKUlT_T0_SG_SL_E_clIS7_S7_SB_SB_EEDaSZ_S10_SG_SL_EUlSZ_E_NS1_11comp_targetILNS1_3genE0ELNS1_11target_archE4294967295ELNS1_3gpuE0ELNS1_3repE0EEENS1_47radix_sort_onesweep_sort_config_static_selectorELNS0_4arch9wavefront6targetE1EEEvSG_,@function
_ZN7rocprim17ROCPRIM_400000_NS6detail17trampoline_kernelINS0_14default_configENS1_35radix_sort_onesweep_config_selectorIdlEEZZNS1_29radix_sort_onesweep_iterationIS3_Lb0EPdS7_N6thrust23THRUST_200600_302600_NS10device_ptrIlEESB_jNS0_19identity_decomposerENS1_16block_id_wrapperIjLb0EEEEE10hipError_tT1_PNSt15iterator_traitsISG_E10value_typeET2_T3_PNSH_ISM_E10value_typeET4_T5_PSR_SS_PNS1_23onesweep_lookback_stateEbbT6_jjT7_P12ihipStream_tbENKUlT_T0_SG_SL_E_clIS7_S7_SB_SB_EEDaSZ_S10_SG_SL_EUlSZ_E_NS1_11comp_targetILNS1_3genE0ELNS1_11target_archE4294967295ELNS1_3gpuE0ELNS1_3repE0EEENS1_47radix_sort_onesweep_sort_config_static_selectorELNS0_4arch9wavefront6targetE1EEEvSG_: ; @_ZN7rocprim17ROCPRIM_400000_NS6detail17trampoline_kernelINS0_14default_configENS1_35radix_sort_onesweep_config_selectorIdlEEZZNS1_29radix_sort_onesweep_iterationIS3_Lb0EPdS7_N6thrust23THRUST_200600_302600_NS10device_ptrIlEESB_jNS0_19identity_decomposerENS1_16block_id_wrapperIjLb0EEEEE10hipError_tT1_PNSt15iterator_traitsISG_E10value_typeET2_T3_PNSH_ISM_E10value_typeET4_T5_PSR_SS_PNS1_23onesweep_lookback_stateEbbT6_jjT7_P12ihipStream_tbENKUlT_T0_SG_SL_E_clIS7_S7_SB_SB_EEDaSZ_S10_SG_SL_EUlSZ_E_NS1_11comp_targetILNS1_3genE0ELNS1_11target_archE4294967295ELNS1_3gpuE0ELNS1_3repE0EEENS1_47radix_sort_onesweep_sort_config_static_selectorELNS0_4arch9wavefront6targetE1EEEvSG_
; %bb.0:
	.section	.rodata,"a",@progbits
	.p2align	6, 0x0
	.amdhsa_kernel _ZN7rocprim17ROCPRIM_400000_NS6detail17trampoline_kernelINS0_14default_configENS1_35radix_sort_onesweep_config_selectorIdlEEZZNS1_29radix_sort_onesweep_iterationIS3_Lb0EPdS7_N6thrust23THRUST_200600_302600_NS10device_ptrIlEESB_jNS0_19identity_decomposerENS1_16block_id_wrapperIjLb0EEEEE10hipError_tT1_PNSt15iterator_traitsISG_E10value_typeET2_T3_PNSH_ISM_E10value_typeET4_T5_PSR_SS_PNS1_23onesweep_lookback_stateEbbT6_jjT7_P12ihipStream_tbENKUlT_T0_SG_SL_E_clIS7_S7_SB_SB_EEDaSZ_S10_SG_SL_EUlSZ_E_NS1_11comp_targetILNS1_3genE0ELNS1_11target_archE4294967295ELNS1_3gpuE0ELNS1_3repE0EEENS1_47radix_sort_onesweep_sort_config_static_selectorELNS0_4arch9wavefront6targetE1EEEvSG_
		.amdhsa_group_segment_fixed_size 0
		.amdhsa_private_segment_fixed_size 0
		.amdhsa_kernarg_size 88
		.amdhsa_user_sgpr_count 6
		.amdhsa_user_sgpr_private_segment_buffer 1
		.amdhsa_user_sgpr_dispatch_ptr 0
		.amdhsa_user_sgpr_queue_ptr 0
		.amdhsa_user_sgpr_kernarg_segment_ptr 1
		.amdhsa_user_sgpr_dispatch_id 0
		.amdhsa_user_sgpr_flat_scratch_init 0
		.amdhsa_user_sgpr_private_segment_size 0
		.amdhsa_uses_dynamic_stack 0
		.amdhsa_system_sgpr_private_segment_wavefront_offset 0
		.amdhsa_system_sgpr_workgroup_id_x 1
		.amdhsa_system_sgpr_workgroup_id_y 0
		.amdhsa_system_sgpr_workgroup_id_z 0
		.amdhsa_system_sgpr_workgroup_info 0
		.amdhsa_system_vgpr_workitem_id 0
		.amdhsa_next_free_vgpr 1
		.amdhsa_next_free_sgpr 0
		.amdhsa_reserve_vcc 0
		.amdhsa_reserve_flat_scratch 0
		.amdhsa_float_round_mode_32 0
		.amdhsa_float_round_mode_16_64 0
		.amdhsa_float_denorm_mode_32 3
		.amdhsa_float_denorm_mode_16_64 3
		.amdhsa_dx10_clamp 1
		.amdhsa_ieee_mode 1
		.amdhsa_fp16_overflow 0
		.amdhsa_exception_fp_ieee_invalid_op 0
		.amdhsa_exception_fp_denorm_src 0
		.amdhsa_exception_fp_ieee_div_zero 0
		.amdhsa_exception_fp_ieee_overflow 0
		.amdhsa_exception_fp_ieee_underflow 0
		.amdhsa_exception_fp_ieee_inexact 0
		.amdhsa_exception_int_div_zero 0
	.end_amdhsa_kernel
	.section	.text._ZN7rocprim17ROCPRIM_400000_NS6detail17trampoline_kernelINS0_14default_configENS1_35radix_sort_onesweep_config_selectorIdlEEZZNS1_29radix_sort_onesweep_iterationIS3_Lb0EPdS7_N6thrust23THRUST_200600_302600_NS10device_ptrIlEESB_jNS0_19identity_decomposerENS1_16block_id_wrapperIjLb0EEEEE10hipError_tT1_PNSt15iterator_traitsISG_E10value_typeET2_T3_PNSH_ISM_E10value_typeET4_T5_PSR_SS_PNS1_23onesweep_lookback_stateEbbT6_jjT7_P12ihipStream_tbENKUlT_T0_SG_SL_E_clIS7_S7_SB_SB_EEDaSZ_S10_SG_SL_EUlSZ_E_NS1_11comp_targetILNS1_3genE0ELNS1_11target_archE4294967295ELNS1_3gpuE0ELNS1_3repE0EEENS1_47radix_sort_onesweep_sort_config_static_selectorELNS0_4arch9wavefront6targetE1EEEvSG_,"axG",@progbits,_ZN7rocprim17ROCPRIM_400000_NS6detail17trampoline_kernelINS0_14default_configENS1_35radix_sort_onesweep_config_selectorIdlEEZZNS1_29radix_sort_onesweep_iterationIS3_Lb0EPdS7_N6thrust23THRUST_200600_302600_NS10device_ptrIlEESB_jNS0_19identity_decomposerENS1_16block_id_wrapperIjLb0EEEEE10hipError_tT1_PNSt15iterator_traitsISG_E10value_typeET2_T3_PNSH_ISM_E10value_typeET4_T5_PSR_SS_PNS1_23onesweep_lookback_stateEbbT6_jjT7_P12ihipStream_tbENKUlT_T0_SG_SL_E_clIS7_S7_SB_SB_EEDaSZ_S10_SG_SL_EUlSZ_E_NS1_11comp_targetILNS1_3genE0ELNS1_11target_archE4294967295ELNS1_3gpuE0ELNS1_3repE0EEENS1_47radix_sort_onesweep_sort_config_static_selectorELNS0_4arch9wavefront6targetE1EEEvSG_,comdat
.Lfunc_end1643:
	.size	_ZN7rocprim17ROCPRIM_400000_NS6detail17trampoline_kernelINS0_14default_configENS1_35radix_sort_onesweep_config_selectorIdlEEZZNS1_29radix_sort_onesweep_iterationIS3_Lb0EPdS7_N6thrust23THRUST_200600_302600_NS10device_ptrIlEESB_jNS0_19identity_decomposerENS1_16block_id_wrapperIjLb0EEEEE10hipError_tT1_PNSt15iterator_traitsISG_E10value_typeET2_T3_PNSH_ISM_E10value_typeET4_T5_PSR_SS_PNS1_23onesweep_lookback_stateEbbT6_jjT7_P12ihipStream_tbENKUlT_T0_SG_SL_E_clIS7_S7_SB_SB_EEDaSZ_S10_SG_SL_EUlSZ_E_NS1_11comp_targetILNS1_3genE0ELNS1_11target_archE4294967295ELNS1_3gpuE0ELNS1_3repE0EEENS1_47radix_sort_onesweep_sort_config_static_selectorELNS0_4arch9wavefront6targetE1EEEvSG_, .Lfunc_end1643-_ZN7rocprim17ROCPRIM_400000_NS6detail17trampoline_kernelINS0_14default_configENS1_35radix_sort_onesweep_config_selectorIdlEEZZNS1_29radix_sort_onesweep_iterationIS3_Lb0EPdS7_N6thrust23THRUST_200600_302600_NS10device_ptrIlEESB_jNS0_19identity_decomposerENS1_16block_id_wrapperIjLb0EEEEE10hipError_tT1_PNSt15iterator_traitsISG_E10value_typeET2_T3_PNSH_ISM_E10value_typeET4_T5_PSR_SS_PNS1_23onesweep_lookback_stateEbbT6_jjT7_P12ihipStream_tbENKUlT_T0_SG_SL_E_clIS7_S7_SB_SB_EEDaSZ_S10_SG_SL_EUlSZ_E_NS1_11comp_targetILNS1_3genE0ELNS1_11target_archE4294967295ELNS1_3gpuE0ELNS1_3repE0EEENS1_47radix_sort_onesweep_sort_config_static_selectorELNS0_4arch9wavefront6targetE1EEEvSG_
                                        ; -- End function
	.set _ZN7rocprim17ROCPRIM_400000_NS6detail17trampoline_kernelINS0_14default_configENS1_35radix_sort_onesweep_config_selectorIdlEEZZNS1_29radix_sort_onesweep_iterationIS3_Lb0EPdS7_N6thrust23THRUST_200600_302600_NS10device_ptrIlEESB_jNS0_19identity_decomposerENS1_16block_id_wrapperIjLb0EEEEE10hipError_tT1_PNSt15iterator_traitsISG_E10value_typeET2_T3_PNSH_ISM_E10value_typeET4_T5_PSR_SS_PNS1_23onesweep_lookback_stateEbbT6_jjT7_P12ihipStream_tbENKUlT_T0_SG_SL_E_clIS7_S7_SB_SB_EEDaSZ_S10_SG_SL_EUlSZ_E_NS1_11comp_targetILNS1_3genE0ELNS1_11target_archE4294967295ELNS1_3gpuE0ELNS1_3repE0EEENS1_47radix_sort_onesweep_sort_config_static_selectorELNS0_4arch9wavefront6targetE1EEEvSG_.num_vgpr, 0
	.set _ZN7rocprim17ROCPRIM_400000_NS6detail17trampoline_kernelINS0_14default_configENS1_35radix_sort_onesweep_config_selectorIdlEEZZNS1_29radix_sort_onesweep_iterationIS3_Lb0EPdS7_N6thrust23THRUST_200600_302600_NS10device_ptrIlEESB_jNS0_19identity_decomposerENS1_16block_id_wrapperIjLb0EEEEE10hipError_tT1_PNSt15iterator_traitsISG_E10value_typeET2_T3_PNSH_ISM_E10value_typeET4_T5_PSR_SS_PNS1_23onesweep_lookback_stateEbbT6_jjT7_P12ihipStream_tbENKUlT_T0_SG_SL_E_clIS7_S7_SB_SB_EEDaSZ_S10_SG_SL_EUlSZ_E_NS1_11comp_targetILNS1_3genE0ELNS1_11target_archE4294967295ELNS1_3gpuE0ELNS1_3repE0EEENS1_47radix_sort_onesweep_sort_config_static_selectorELNS0_4arch9wavefront6targetE1EEEvSG_.num_agpr, 0
	.set _ZN7rocprim17ROCPRIM_400000_NS6detail17trampoline_kernelINS0_14default_configENS1_35radix_sort_onesweep_config_selectorIdlEEZZNS1_29radix_sort_onesweep_iterationIS3_Lb0EPdS7_N6thrust23THRUST_200600_302600_NS10device_ptrIlEESB_jNS0_19identity_decomposerENS1_16block_id_wrapperIjLb0EEEEE10hipError_tT1_PNSt15iterator_traitsISG_E10value_typeET2_T3_PNSH_ISM_E10value_typeET4_T5_PSR_SS_PNS1_23onesweep_lookback_stateEbbT6_jjT7_P12ihipStream_tbENKUlT_T0_SG_SL_E_clIS7_S7_SB_SB_EEDaSZ_S10_SG_SL_EUlSZ_E_NS1_11comp_targetILNS1_3genE0ELNS1_11target_archE4294967295ELNS1_3gpuE0ELNS1_3repE0EEENS1_47radix_sort_onesweep_sort_config_static_selectorELNS0_4arch9wavefront6targetE1EEEvSG_.numbered_sgpr, 0
	.set _ZN7rocprim17ROCPRIM_400000_NS6detail17trampoline_kernelINS0_14default_configENS1_35radix_sort_onesweep_config_selectorIdlEEZZNS1_29radix_sort_onesweep_iterationIS3_Lb0EPdS7_N6thrust23THRUST_200600_302600_NS10device_ptrIlEESB_jNS0_19identity_decomposerENS1_16block_id_wrapperIjLb0EEEEE10hipError_tT1_PNSt15iterator_traitsISG_E10value_typeET2_T3_PNSH_ISM_E10value_typeET4_T5_PSR_SS_PNS1_23onesweep_lookback_stateEbbT6_jjT7_P12ihipStream_tbENKUlT_T0_SG_SL_E_clIS7_S7_SB_SB_EEDaSZ_S10_SG_SL_EUlSZ_E_NS1_11comp_targetILNS1_3genE0ELNS1_11target_archE4294967295ELNS1_3gpuE0ELNS1_3repE0EEENS1_47radix_sort_onesweep_sort_config_static_selectorELNS0_4arch9wavefront6targetE1EEEvSG_.num_named_barrier, 0
	.set _ZN7rocprim17ROCPRIM_400000_NS6detail17trampoline_kernelINS0_14default_configENS1_35radix_sort_onesweep_config_selectorIdlEEZZNS1_29radix_sort_onesweep_iterationIS3_Lb0EPdS7_N6thrust23THRUST_200600_302600_NS10device_ptrIlEESB_jNS0_19identity_decomposerENS1_16block_id_wrapperIjLb0EEEEE10hipError_tT1_PNSt15iterator_traitsISG_E10value_typeET2_T3_PNSH_ISM_E10value_typeET4_T5_PSR_SS_PNS1_23onesweep_lookback_stateEbbT6_jjT7_P12ihipStream_tbENKUlT_T0_SG_SL_E_clIS7_S7_SB_SB_EEDaSZ_S10_SG_SL_EUlSZ_E_NS1_11comp_targetILNS1_3genE0ELNS1_11target_archE4294967295ELNS1_3gpuE0ELNS1_3repE0EEENS1_47radix_sort_onesweep_sort_config_static_selectorELNS0_4arch9wavefront6targetE1EEEvSG_.private_seg_size, 0
	.set _ZN7rocprim17ROCPRIM_400000_NS6detail17trampoline_kernelINS0_14default_configENS1_35radix_sort_onesweep_config_selectorIdlEEZZNS1_29radix_sort_onesweep_iterationIS3_Lb0EPdS7_N6thrust23THRUST_200600_302600_NS10device_ptrIlEESB_jNS0_19identity_decomposerENS1_16block_id_wrapperIjLb0EEEEE10hipError_tT1_PNSt15iterator_traitsISG_E10value_typeET2_T3_PNSH_ISM_E10value_typeET4_T5_PSR_SS_PNS1_23onesweep_lookback_stateEbbT6_jjT7_P12ihipStream_tbENKUlT_T0_SG_SL_E_clIS7_S7_SB_SB_EEDaSZ_S10_SG_SL_EUlSZ_E_NS1_11comp_targetILNS1_3genE0ELNS1_11target_archE4294967295ELNS1_3gpuE0ELNS1_3repE0EEENS1_47radix_sort_onesweep_sort_config_static_selectorELNS0_4arch9wavefront6targetE1EEEvSG_.uses_vcc, 0
	.set _ZN7rocprim17ROCPRIM_400000_NS6detail17trampoline_kernelINS0_14default_configENS1_35radix_sort_onesweep_config_selectorIdlEEZZNS1_29radix_sort_onesweep_iterationIS3_Lb0EPdS7_N6thrust23THRUST_200600_302600_NS10device_ptrIlEESB_jNS0_19identity_decomposerENS1_16block_id_wrapperIjLb0EEEEE10hipError_tT1_PNSt15iterator_traitsISG_E10value_typeET2_T3_PNSH_ISM_E10value_typeET4_T5_PSR_SS_PNS1_23onesweep_lookback_stateEbbT6_jjT7_P12ihipStream_tbENKUlT_T0_SG_SL_E_clIS7_S7_SB_SB_EEDaSZ_S10_SG_SL_EUlSZ_E_NS1_11comp_targetILNS1_3genE0ELNS1_11target_archE4294967295ELNS1_3gpuE0ELNS1_3repE0EEENS1_47radix_sort_onesweep_sort_config_static_selectorELNS0_4arch9wavefront6targetE1EEEvSG_.uses_flat_scratch, 0
	.set _ZN7rocprim17ROCPRIM_400000_NS6detail17trampoline_kernelINS0_14default_configENS1_35radix_sort_onesweep_config_selectorIdlEEZZNS1_29radix_sort_onesweep_iterationIS3_Lb0EPdS7_N6thrust23THRUST_200600_302600_NS10device_ptrIlEESB_jNS0_19identity_decomposerENS1_16block_id_wrapperIjLb0EEEEE10hipError_tT1_PNSt15iterator_traitsISG_E10value_typeET2_T3_PNSH_ISM_E10value_typeET4_T5_PSR_SS_PNS1_23onesweep_lookback_stateEbbT6_jjT7_P12ihipStream_tbENKUlT_T0_SG_SL_E_clIS7_S7_SB_SB_EEDaSZ_S10_SG_SL_EUlSZ_E_NS1_11comp_targetILNS1_3genE0ELNS1_11target_archE4294967295ELNS1_3gpuE0ELNS1_3repE0EEENS1_47radix_sort_onesweep_sort_config_static_selectorELNS0_4arch9wavefront6targetE1EEEvSG_.has_dyn_sized_stack, 0
	.set _ZN7rocprim17ROCPRIM_400000_NS6detail17trampoline_kernelINS0_14default_configENS1_35radix_sort_onesweep_config_selectorIdlEEZZNS1_29radix_sort_onesweep_iterationIS3_Lb0EPdS7_N6thrust23THRUST_200600_302600_NS10device_ptrIlEESB_jNS0_19identity_decomposerENS1_16block_id_wrapperIjLb0EEEEE10hipError_tT1_PNSt15iterator_traitsISG_E10value_typeET2_T3_PNSH_ISM_E10value_typeET4_T5_PSR_SS_PNS1_23onesweep_lookback_stateEbbT6_jjT7_P12ihipStream_tbENKUlT_T0_SG_SL_E_clIS7_S7_SB_SB_EEDaSZ_S10_SG_SL_EUlSZ_E_NS1_11comp_targetILNS1_3genE0ELNS1_11target_archE4294967295ELNS1_3gpuE0ELNS1_3repE0EEENS1_47radix_sort_onesweep_sort_config_static_selectorELNS0_4arch9wavefront6targetE1EEEvSG_.has_recursion, 0
	.set _ZN7rocprim17ROCPRIM_400000_NS6detail17trampoline_kernelINS0_14default_configENS1_35radix_sort_onesweep_config_selectorIdlEEZZNS1_29radix_sort_onesweep_iterationIS3_Lb0EPdS7_N6thrust23THRUST_200600_302600_NS10device_ptrIlEESB_jNS0_19identity_decomposerENS1_16block_id_wrapperIjLb0EEEEE10hipError_tT1_PNSt15iterator_traitsISG_E10value_typeET2_T3_PNSH_ISM_E10value_typeET4_T5_PSR_SS_PNS1_23onesweep_lookback_stateEbbT6_jjT7_P12ihipStream_tbENKUlT_T0_SG_SL_E_clIS7_S7_SB_SB_EEDaSZ_S10_SG_SL_EUlSZ_E_NS1_11comp_targetILNS1_3genE0ELNS1_11target_archE4294967295ELNS1_3gpuE0ELNS1_3repE0EEENS1_47radix_sort_onesweep_sort_config_static_selectorELNS0_4arch9wavefront6targetE1EEEvSG_.has_indirect_call, 0
	.section	.AMDGPU.csdata,"",@progbits
; Kernel info:
; codeLenInByte = 0
; TotalNumSgprs: 4
; NumVgprs: 0
; ScratchSize: 0
; MemoryBound: 0
; FloatMode: 240
; IeeeMode: 1
; LDSByteSize: 0 bytes/workgroup (compile time only)
; SGPRBlocks: 0
; VGPRBlocks: 0
; NumSGPRsForWavesPerEU: 4
; NumVGPRsForWavesPerEU: 1
; Occupancy: 10
; WaveLimiterHint : 0
; COMPUTE_PGM_RSRC2:SCRATCH_EN: 0
; COMPUTE_PGM_RSRC2:USER_SGPR: 6
; COMPUTE_PGM_RSRC2:TRAP_HANDLER: 0
; COMPUTE_PGM_RSRC2:TGID_X_EN: 1
; COMPUTE_PGM_RSRC2:TGID_Y_EN: 0
; COMPUTE_PGM_RSRC2:TGID_Z_EN: 0
; COMPUTE_PGM_RSRC2:TIDIG_COMP_CNT: 0
	.section	.text._ZN7rocprim17ROCPRIM_400000_NS6detail17trampoline_kernelINS0_14default_configENS1_35radix_sort_onesweep_config_selectorIdlEEZZNS1_29radix_sort_onesweep_iterationIS3_Lb0EPdS7_N6thrust23THRUST_200600_302600_NS10device_ptrIlEESB_jNS0_19identity_decomposerENS1_16block_id_wrapperIjLb0EEEEE10hipError_tT1_PNSt15iterator_traitsISG_E10value_typeET2_T3_PNSH_ISM_E10value_typeET4_T5_PSR_SS_PNS1_23onesweep_lookback_stateEbbT6_jjT7_P12ihipStream_tbENKUlT_T0_SG_SL_E_clIS7_S7_SB_SB_EEDaSZ_S10_SG_SL_EUlSZ_E_NS1_11comp_targetILNS1_3genE6ELNS1_11target_archE950ELNS1_3gpuE13ELNS1_3repE0EEENS1_47radix_sort_onesweep_sort_config_static_selectorELNS0_4arch9wavefront6targetE1EEEvSG_,"axG",@progbits,_ZN7rocprim17ROCPRIM_400000_NS6detail17trampoline_kernelINS0_14default_configENS1_35radix_sort_onesweep_config_selectorIdlEEZZNS1_29radix_sort_onesweep_iterationIS3_Lb0EPdS7_N6thrust23THRUST_200600_302600_NS10device_ptrIlEESB_jNS0_19identity_decomposerENS1_16block_id_wrapperIjLb0EEEEE10hipError_tT1_PNSt15iterator_traitsISG_E10value_typeET2_T3_PNSH_ISM_E10value_typeET4_T5_PSR_SS_PNS1_23onesweep_lookback_stateEbbT6_jjT7_P12ihipStream_tbENKUlT_T0_SG_SL_E_clIS7_S7_SB_SB_EEDaSZ_S10_SG_SL_EUlSZ_E_NS1_11comp_targetILNS1_3genE6ELNS1_11target_archE950ELNS1_3gpuE13ELNS1_3repE0EEENS1_47radix_sort_onesweep_sort_config_static_selectorELNS0_4arch9wavefront6targetE1EEEvSG_,comdat
	.protected	_ZN7rocprim17ROCPRIM_400000_NS6detail17trampoline_kernelINS0_14default_configENS1_35radix_sort_onesweep_config_selectorIdlEEZZNS1_29radix_sort_onesweep_iterationIS3_Lb0EPdS7_N6thrust23THRUST_200600_302600_NS10device_ptrIlEESB_jNS0_19identity_decomposerENS1_16block_id_wrapperIjLb0EEEEE10hipError_tT1_PNSt15iterator_traitsISG_E10value_typeET2_T3_PNSH_ISM_E10value_typeET4_T5_PSR_SS_PNS1_23onesweep_lookback_stateEbbT6_jjT7_P12ihipStream_tbENKUlT_T0_SG_SL_E_clIS7_S7_SB_SB_EEDaSZ_S10_SG_SL_EUlSZ_E_NS1_11comp_targetILNS1_3genE6ELNS1_11target_archE950ELNS1_3gpuE13ELNS1_3repE0EEENS1_47radix_sort_onesweep_sort_config_static_selectorELNS0_4arch9wavefront6targetE1EEEvSG_ ; -- Begin function _ZN7rocprim17ROCPRIM_400000_NS6detail17trampoline_kernelINS0_14default_configENS1_35radix_sort_onesweep_config_selectorIdlEEZZNS1_29radix_sort_onesweep_iterationIS3_Lb0EPdS7_N6thrust23THRUST_200600_302600_NS10device_ptrIlEESB_jNS0_19identity_decomposerENS1_16block_id_wrapperIjLb0EEEEE10hipError_tT1_PNSt15iterator_traitsISG_E10value_typeET2_T3_PNSH_ISM_E10value_typeET4_T5_PSR_SS_PNS1_23onesweep_lookback_stateEbbT6_jjT7_P12ihipStream_tbENKUlT_T0_SG_SL_E_clIS7_S7_SB_SB_EEDaSZ_S10_SG_SL_EUlSZ_E_NS1_11comp_targetILNS1_3genE6ELNS1_11target_archE950ELNS1_3gpuE13ELNS1_3repE0EEENS1_47radix_sort_onesweep_sort_config_static_selectorELNS0_4arch9wavefront6targetE1EEEvSG_
	.globl	_ZN7rocprim17ROCPRIM_400000_NS6detail17trampoline_kernelINS0_14default_configENS1_35radix_sort_onesweep_config_selectorIdlEEZZNS1_29radix_sort_onesweep_iterationIS3_Lb0EPdS7_N6thrust23THRUST_200600_302600_NS10device_ptrIlEESB_jNS0_19identity_decomposerENS1_16block_id_wrapperIjLb0EEEEE10hipError_tT1_PNSt15iterator_traitsISG_E10value_typeET2_T3_PNSH_ISM_E10value_typeET4_T5_PSR_SS_PNS1_23onesweep_lookback_stateEbbT6_jjT7_P12ihipStream_tbENKUlT_T0_SG_SL_E_clIS7_S7_SB_SB_EEDaSZ_S10_SG_SL_EUlSZ_E_NS1_11comp_targetILNS1_3genE6ELNS1_11target_archE950ELNS1_3gpuE13ELNS1_3repE0EEENS1_47radix_sort_onesweep_sort_config_static_selectorELNS0_4arch9wavefront6targetE1EEEvSG_
	.p2align	8
	.type	_ZN7rocprim17ROCPRIM_400000_NS6detail17trampoline_kernelINS0_14default_configENS1_35radix_sort_onesweep_config_selectorIdlEEZZNS1_29radix_sort_onesweep_iterationIS3_Lb0EPdS7_N6thrust23THRUST_200600_302600_NS10device_ptrIlEESB_jNS0_19identity_decomposerENS1_16block_id_wrapperIjLb0EEEEE10hipError_tT1_PNSt15iterator_traitsISG_E10value_typeET2_T3_PNSH_ISM_E10value_typeET4_T5_PSR_SS_PNS1_23onesweep_lookback_stateEbbT6_jjT7_P12ihipStream_tbENKUlT_T0_SG_SL_E_clIS7_S7_SB_SB_EEDaSZ_S10_SG_SL_EUlSZ_E_NS1_11comp_targetILNS1_3genE6ELNS1_11target_archE950ELNS1_3gpuE13ELNS1_3repE0EEENS1_47radix_sort_onesweep_sort_config_static_selectorELNS0_4arch9wavefront6targetE1EEEvSG_,@function
_ZN7rocprim17ROCPRIM_400000_NS6detail17trampoline_kernelINS0_14default_configENS1_35radix_sort_onesweep_config_selectorIdlEEZZNS1_29radix_sort_onesweep_iterationIS3_Lb0EPdS7_N6thrust23THRUST_200600_302600_NS10device_ptrIlEESB_jNS0_19identity_decomposerENS1_16block_id_wrapperIjLb0EEEEE10hipError_tT1_PNSt15iterator_traitsISG_E10value_typeET2_T3_PNSH_ISM_E10value_typeET4_T5_PSR_SS_PNS1_23onesweep_lookback_stateEbbT6_jjT7_P12ihipStream_tbENKUlT_T0_SG_SL_E_clIS7_S7_SB_SB_EEDaSZ_S10_SG_SL_EUlSZ_E_NS1_11comp_targetILNS1_3genE6ELNS1_11target_archE950ELNS1_3gpuE13ELNS1_3repE0EEENS1_47radix_sort_onesweep_sort_config_static_selectorELNS0_4arch9wavefront6targetE1EEEvSG_: ; @_ZN7rocprim17ROCPRIM_400000_NS6detail17trampoline_kernelINS0_14default_configENS1_35radix_sort_onesweep_config_selectorIdlEEZZNS1_29radix_sort_onesweep_iterationIS3_Lb0EPdS7_N6thrust23THRUST_200600_302600_NS10device_ptrIlEESB_jNS0_19identity_decomposerENS1_16block_id_wrapperIjLb0EEEEE10hipError_tT1_PNSt15iterator_traitsISG_E10value_typeET2_T3_PNSH_ISM_E10value_typeET4_T5_PSR_SS_PNS1_23onesweep_lookback_stateEbbT6_jjT7_P12ihipStream_tbENKUlT_T0_SG_SL_E_clIS7_S7_SB_SB_EEDaSZ_S10_SG_SL_EUlSZ_E_NS1_11comp_targetILNS1_3genE6ELNS1_11target_archE950ELNS1_3gpuE13ELNS1_3repE0EEENS1_47radix_sort_onesweep_sort_config_static_selectorELNS0_4arch9wavefront6targetE1EEEvSG_
; %bb.0:
	.section	.rodata,"a",@progbits
	.p2align	6, 0x0
	.amdhsa_kernel _ZN7rocprim17ROCPRIM_400000_NS6detail17trampoline_kernelINS0_14default_configENS1_35radix_sort_onesweep_config_selectorIdlEEZZNS1_29radix_sort_onesweep_iterationIS3_Lb0EPdS7_N6thrust23THRUST_200600_302600_NS10device_ptrIlEESB_jNS0_19identity_decomposerENS1_16block_id_wrapperIjLb0EEEEE10hipError_tT1_PNSt15iterator_traitsISG_E10value_typeET2_T3_PNSH_ISM_E10value_typeET4_T5_PSR_SS_PNS1_23onesweep_lookback_stateEbbT6_jjT7_P12ihipStream_tbENKUlT_T0_SG_SL_E_clIS7_S7_SB_SB_EEDaSZ_S10_SG_SL_EUlSZ_E_NS1_11comp_targetILNS1_3genE6ELNS1_11target_archE950ELNS1_3gpuE13ELNS1_3repE0EEENS1_47radix_sort_onesweep_sort_config_static_selectorELNS0_4arch9wavefront6targetE1EEEvSG_
		.amdhsa_group_segment_fixed_size 0
		.amdhsa_private_segment_fixed_size 0
		.amdhsa_kernarg_size 88
		.amdhsa_user_sgpr_count 6
		.amdhsa_user_sgpr_private_segment_buffer 1
		.amdhsa_user_sgpr_dispatch_ptr 0
		.amdhsa_user_sgpr_queue_ptr 0
		.amdhsa_user_sgpr_kernarg_segment_ptr 1
		.amdhsa_user_sgpr_dispatch_id 0
		.amdhsa_user_sgpr_flat_scratch_init 0
		.amdhsa_user_sgpr_private_segment_size 0
		.amdhsa_uses_dynamic_stack 0
		.amdhsa_system_sgpr_private_segment_wavefront_offset 0
		.amdhsa_system_sgpr_workgroup_id_x 1
		.amdhsa_system_sgpr_workgroup_id_y 0
		.amdhsa_system_sgpr_workgroup_id_z 0
		.amdhsa_system_sgpr_workgroup_info 0
		.amdhsa_system_vgpr_workitem_id 0
		.amdhsa_next_free_vgpr 1
		.amdhsa_next_free_sgpr 0
		.amdhsa_reserve_vcc 0
		.amdhsa_reserve_flat_scratch 0
		.amdhsa_float_round_mode_32 0
		.amdhsa_float_round_mode_16_64 0
		.amdhsa_float_denorm_mode_32 3
		.amdhsa_float_denorm_mode_16_64 3
		.amdhsa_dx10_clamp 1
		.amdhsa_ieee_mode 1
		.amdhsa_fp16_overflow 0
		.amdhsa_exception_fp_ieee_invalid_op 0
		.amdhsa_exception_fp_denorm_src 0
		.amdhsa_exception_fp_ieee_div_zero 0
		.amdhsa_exception_fp_ieee_overflow 0
		.amdhsa_exception_fp_ieee_underflow 0
		.amdhsa_exception_fp_ieee_inexact 0
		.amdhsa_exception_int_div_zero 0
	.end_amdhsa_kernel
	.section	.text._ZN7rocprim17ROCPRIM_400000_NS6detail17trampoline_kernelINS0_14default_configENS1_35radix_sort_onesweep_config_selectorIdlEEZZNS1_29radix_sort_onesweep_iterationIS3_Lb0EPdS7_N6thrust23THRUST_200600_302600_NS10device_ptrIlEESB_jNS0_19identity_decomposerENS1_16block_id_wrapperIjLb0EEEEE10hipError_tT1_PNSt15iterator_traitsISG_E10value_typeET2_T3_PNSH_ISM_E10value_typeET4_T5_PSR_SS_PNS1_23onesweep_lookback_stateEbbT6_jjT7_P12ihipStream_tbENKUlT_T0_SG_SL_E_clIS7_S7_SB_SB_EEDaSZ_S10_SG_SL_EUlSZ_E_NS1_11comp_targetILNS1_3genE6ELNS1_11target_archE950ELNS1_3gpuE13ELNS1_3repE0EEENS1_47radix_sort_onesweep_sort_config_static_selectorELNS0_4arch9wavefront6targetE1EEEvSG_,"axG",@progbits,_ZN7rocprim17ROCPRIM_400000_NS6detail17trampoline_kernelINS0_14default_configENS1_35radix_sort_onesweep_config_selectorIdlEEZZNS1_29radix_sort_onesweep_iterationIS3_Lb0EPdS7_N6thrust23THRUST_200600_302600_NS10device_ptrIlEESB_jNS0_19identity_decomposerENS1_16block_id_wrapperIjLb0EEEEE10hipError_tT1_PNSt15iterator_traitsISG_E10value_typeET2_T3_PNSH_ISM_E10value_typeET4_T5_PSR_SS_PNS1_23onesweep_lookback_stateEbbT6_jjT7_P12ihipStream_tbENKUlT_T0_SG_SL_E_clIS7_S7_SB_SB_EEDaSZ_S10_SG_SL_EUlSZ_E_NS1_11comp_targetILNS1_3genE6ELNS1_11target_archE950ELNS1_3gpuE13ELNS1_3repE0EEENS1_47radix_sort_onesweep_sort_config_static_selectorELNS0_4arch9wavefront6targetE1EEEvSG_,comdat
.Lfunc_end1644:
	.size	_ZN7rocprim17ROCPRIM_400000_NS6detail17trampoline_kernelINS0_14default_configENS1_35radix_sort_onesweep_config_selectorIdlEEZZNS1_29radix_sort_onesweep_iterationIS3_Lb0EPdS7_N6thrust23THRUST_200600_302600_NS10device_ptrIlEESB_jNS0_19identity_decomposerENS1_16block_id_wrapperIjLb0EEEEE10hipError_tT1_PNSt15iterator_traitsISG_E10value_typeET2_T3_PNSH_ISM_E10value_typeET4_T5_PSR_SS_PNS1_23onesweep_lookback_stateEbbT6_jjT7_P12ihipStream_tbENKUlT_T0_SG_SL_E_clIS7_S7_SB_SB_EEDaSZ_S10_SG_SL_EUlSZ_E_NS1_11comp_targetILNS1_3genE6ELNS1_11target_archE950ELNS1_3gpuE13ELNS1_3repE0EEENS1_47radix_sort_onesweep_sort_config_static_selectorELNS0_4arch9wavefront6targetE1EEEvSG_, .Lfunc_end1644-_ZN7rocprim17ROCPRIM_400000_NS6detail17trampoline_kernelINS0_14default_configENS1_35radix_sort_onesweep_config_selectorIdlEEZZNS1_29radix_sort_onesweep_iterationIS3_Lb0EPdS7_N6thrust23THRUST_200600_302600_NS10device_ptrIlEESB_jNS0_19identity_decomposerENS1_16block_id_wrapperIjLb0EEEEE10hipError_tT1_PNSt15iterator_traitsISG_E10value_typeET2_T3_PNSH_ISM_E10value_typeET4_T5_PSR_SS_PNS1_23onesweep_lookback_stateEbbT6_jjT7_P12ihipStream_tbENKUlT_T0_SG_SL_E_clIS7_S7_SB_SB_EEDaSZ_S10_SG_SL_EUlSZ_E_NS1_11comp_targetILNS1_3genE6ELNS1_11target_archE950ELNS1_3gpuE13ELNS1_3repE0EEENS1_47radix_sort_onesweep_sort_config_static_selectorELNS0_4arch9wavefront6targetE1EEEvSG_
                                        ; -- End function
	.set _ZN7rocprim17ROCPRIM_400000_NS6detail17trampoline_kernelINS0_14default_configENS1_35radix_sort_onesweep_config_selectorIdlEEZZNS1_29radix_sort_onesweep_iterationIS3_Lb0EPdS7_N6thrust23THRUST_200600_302600_NS10device_ptrIlEESB_jNS0_19identity_decomposerENS1_16block_id_wrapperIjLb0EEEEE10hipError_tT1_PNSt15iterator_traitsISG_E10value_typeET2_T3_PNSH_ISM_E10value_typeET4_T5_PSR_SS_PNS1_23onesweep_lookback_stateEbbT6_jjT7_P12ihipStream_tbENKUlT_T0_SG_SL_E_clIS7_S7_SB_SB_EEDaSZ_S10_SG_SL_EUlSZ_E_NS1_11comp_targetILNS1_3genE6ELNS1_11target_archE950ELNS1_3gpuE13ELNS1_3repE0EEENS1_47radix_sort_onesweep_sort_config_static_selectorELNS0_4arch9wavefront6targetE1EEEvSG_.num_vgpr, 0
	.set _ZN7rocprim17ROCPRIM_400000_NS6detail17trampoline_kernelINS0_14default_configENS1_35radix_sort_onesweep_config_selectorIdlEEZZNS1_29radix_sort_onesweep_iterationIS3_Lb0EPdS7_N6thrust23THRUST_200600_302600_NS10device_ptrIlEESB_jNS0_19identity_decomposerENS1_16block_id_wrapperIjLb0EEEEE10hipError_tT1_PNSt15iterator_traitsISG_E10value_typeET2_T3_PNSH_ISM_E10value_typeET4_T5_PSR_SS_PNS1_23onesweep_lookback_stateEbbT6_jjT7_P12ihipStream_tbENKUlT_T0_SG_SL_E_clIS7_S7_SB_SB_EEDaSZ_S10_SG_SL_EUlSZ_E_NS1_11comp_targetILNS1_3genE6ELNS1_11target_archE950ELNS1_3gpuE13ELNS1_3repE0EEENS1_47radix_sort_onesweep_sort_config_static_selectorELNS0_4arch9wavefront6targetE1EEEvSG_.num_agpr, 0
	.set _ZN7rocprim17ROCPRIM_400000_NS6detail17trampoline_kernelINS0_14default_configENS1_35radix_sort_onesweep_config_selectorIdlEEZZNS1_29radix_sort_onesweep_iterationIS3_Lb0EPdS7_N6thrust23THRUST_200600_302600_NS10device_ptrIlEESB_jNS0_19identity_decomposerENS1_16block_id_wrapperIjLb0EEEEE10hipError_tT1_PNSt15iterator_traitsISG_E10value_typeET2_T3_PNSH_ISM_E10value_typeET4_T5_PSR_SS_PNS1_23onesweep_lookback_stateEbbT6_jjT7_P12ihipStream_tbENKUlT_T0_SG_SL_E_clIS7_S7_SB_SB_EEDaSZ_S10_SG_SL_EUlSZ_E_NS1_11comp_targetILNS1_3genE6ELNS1_11target_archE950ELNS1_3gpuE13ELNS1_3repE0EEENS1_47radix_sort_onesweep_sort_config_static_selectorELNS0_4arch9wavefront6targetE1EEEvSG_.numbered_sgpr, 0
	.set _ZN7rocprim17ROCPRIM_400000_NS6detail17trampoline_kernelINS0_14default_configENS1_35radix_sort_onesweep_config_selectorIdlEEZZNS1_29radix_sort_onesweep_iterationIS3_Lb0EPdS7_N6thrust23THRUST_200600_302600_NS10device_ptrIlEESB_jNS0_19identity_decomposerENS1_16block_id_wrapperIjLb0EEEEE10hipError_tT1_PNSt15iterator_traitsISG_E10value_typeET2_T3_PNSH_ISM_E10value_typeET4_T5_PSR_SS_PNS1_23onesweep_lookback_stateEbbT6_jjT7_P12ihipStream_tbENKUlT_T0_SG_SL_E_clIS7_S7_SB_SB_EEDaSZ_S10_SG_SL_EUlSZ_E_NS1_11comp_targetILNS1_3genE6ELNS1_11target_archE950ELNS1_3gpuE13ELNS1_3repE0EEENS1_47radix_sort_onesweep_sort_config_static_selectorELNS0_4arch9wavefront6targetE1EEEvSG_.num_named_barrier, 0
	.set _ZN7rocprim17ROCPRIM_400000_NS6detail17trampoline_kernelINS0_14default_configENS1_35radix_sort_onesweep_config_selectorIdlEEZZNS1_29radix_sort_onesweep_iterationIS3_Lb0EPdS7_N6thrust23THRUST_200600_302600_NS10device_ptrIlEESB_jNS0_19identity_decomposerENS1_16block_id_wrapperIjLb0EEEEE10hipError_tT1_PNSt15iterator_traitsISG_E10value_typeET2_T3_PNSH_ISM_E10value_typeET4_T5_PSR_SS_PNS1_23onesweep_lookback_stateEbbT6_jjT7_P12ihipStream_tbENKUlT_T0_SG_SL_E_clIS7_S7_SB_SB_EEDaSZ_S10_SG_SL_EUlSZ_E_NS1_11comp_targetILNS1_3genE6ELNS1_11target_archE950ELNS1_3gpuE13ELNS1_3repE0EEENS1_47radix_sort_onesweep_sort_config_static_selectorELNS0_4arch9wavefront6targetE1EEEvSG_.private_seg_size, 0
	.set _ZN7rocprim17ROCPRIM_400000_NS6detail17trampoline_kernelINS0_14default_configENS1_35radix_sort_onesweep_config_selectorIdlEEZZNS1_29radix_sort_onesweep_iterationIS3_Lb0EPdS7_N6thrust23THRUST_200600_302600_NS10device_ptrIlEESB_jNS0_19identity_decomposerENS1_16block_id_wrapperIjLb0EEEEE10hipError_tT1_PNSt15iterator_traitsISG_E10value_typeET2_T3_PNSH_ISM_E10value_typeET4_T5_PSR_SS_PNS1_23onesweep_lookback_stateEbbT6_jjT7_P12ihipStream_tbENKUlT_T0_SG_SL_E_clIS7_S7_SB_SB_EEDaSZ_S10_SG_SL_EUlSZ_E_NS1_11comp_targetILNS1_3genE6ELNS1_11target_archE950ELNS1_3gpuE13ELNS1_3repE0EEENS1_47radix_sort_onesweep_sort_config_static_selectorELNS0_4arch9wavefront6targetE1EEEvSG_.uses_vcc, 0
	.set _ZN7rocprim17ROCPRIM_400000_NS6detail17trampoline_kernelINS0_14default_configENS1_35radix_sort_onesweep_config_selectorIdlEEZZNS1_29radix_sort_onesweep_iterationIS3_Lb0EPdS7_N6thrust23THRUST_200600_302600_NS10device_ptrIlEESB_jNS0_19identity_decomposerENS1_16block_id_wrapperIjLb0EEEEE10hipError_tT1_PNSt15iterator_traitsISG_E10value_typeET2_T3_PNSH_ISM_E10value_typeET4_T5_PSR_SS_PNS1_23onesweep_lookback_stateEbbT6_jjT7_P12ihipStream_tbENKUlT_T0_SG_SL_E_clIS7_S7_SB_SB_EEDaSZ_S10_SG_SL_EUlSZ_E_NS1_11comp_targetILNS1_3genE6ELNS1_11target_archE950ELNS1_3gpuE13ELNS1_3repE0EEENS1_47radix_sort_onesweep_sort_config_static_selectorELNS0_4arch9wavefront6targetE1EEEvSG_.uses_flat_scratch, 0
	.set _ZN7rocprim17ROCPRIM_400000_NS6detail17trampoline_kernelINS0_14default_configENS1_35radix_sort_onesweep_config_selectorIdlEEZZNS1_29radix_sort_onesweep_iterationIS3_Lb0EPdS7_N6thrust23THRUST_200600_302600_NS10device_ptrIlEESB_jNS0_19identity_decomposerENS1_16block_id_wrapperIjLb0EEEEE10hipError_tT1_PNSt15iterator_traitsISG_E10value_typeET2_T3_PNSH_ISM_E10value_typeET4_T5_PSR_SS_PNS1_23onesweep_lookback_stateEbbT6_jjT7_P12ihipStream_tbENKUlT_T0_SG_SL_E_clIS7_S7_SB_SB_EEDaSZ_S10_SG_SL_EUlSZ_E_NS1_11comp_targetILNS1_3genE6ELNS1_11target_archE950ELNS1_3gpuE13ELNS1_3repE0EEENS1_47radix_sort_onesweep_sort_config_static_selectorELNS0_4arch9wavefront6targetE1EEEvSG_.has_dyn_sized_stack, 0
	.set _ZN7rocprim17ROCPRIM_400000_NS6detail17trampoline_kernelINS0_14default_configENS1_35radix_sort_onesweep_config_selectorIdlEEZZNS1_29radix_sort_onesweep_iterationIS3_Lb0EPdS7_N6thrust23THRUST_200600_302600_NS10device_ptrIlEESB_jNS0_19identity_decomposerENS1_16block_id_wrapperIjLb0EEEEE10hipError_tT1_PNSt15iterator_traitsISG_E10value_typeET2_T3_PNSH_ISM_E10value_typeET4_T5_PSR_SS_PNS1_23onesweep_lookback_stateEbbT6_jjT7_P12ihipStream_tbENKUlT_T0_SG_SL_E_clIS7_S7_SB_SB_EEDaSZ_S10_SG_SL_EUlSZ_E_NS1_11comp_targetILNS1_3genE6ELNS1_11target_archE950ELNS1_3gpuE13ELNS1_3repE0EEENS1_47radix_sort_onesweep_sort_config_static_selectorELNS0_4arch9wavefront6targetE1EEEvSG_.has_recursion, 0
	.set _ZN7rocprim17ROCPRIM_400000_NS6detail17trampoline_kernelINS0_14default_configENS1_35radix_sort_onesweep_config_selectorIdlEEZZNS1_29radix_sort_onesweep_iterationIS3_Lb0EPdS7_N6thrust23THRUST_200600_302600_NS10device_ptrIlEESB_jNS0_19identity_decomposerENS1_16block_id_wrapperIjLb0EEEEE10hipError_tT1_PNSt15iterator_traitsISG_E10value_typeET2_T3_PNSH_ISM_E10value_typeET4_T5_PSR_SS_PNS1_23onesweep_lookback_stateEbbT6_jjT7_P12ihipStream_tbENKUlT_T0_SG_SL_E_clIS7_S7_SB_SB_EEDaSZ_S10_SG_SL_EUlSZ_E_NS1_11comp_targetILNS1_3genE6ELNS1_11target_archE950ELNS1_3gpuE13ELNS1_3repE0EEENS1_47radix_sort_onesweep_sort_config_static_selectorELNS0_4arch9wavefront6targetE1EEEvSG_.has_indirect_call, 0
	.section	.AMDGPU.csdata,"",@progbits
; Kernel info:
; codeLenInByte = 0
; TotalNumSgprs: 4
; NumVgprs: 0
; ScratchSize: 0
; MemoryBound: 0
; FloatMode: 240
; IeeeMode: 1
; LDSByteSize: 0 bytes/workgroup (compile time only)
; SGPRBlocks: 0
; VGPRBlocks: 0
; NumSGPRsForWavesPerEU: 4
; NumVGPRsForWavesPerEU: 1
; Occupancy: 10
; WaveLimiterHint : 0
; COMPUTE_PGM_RSRC2:SCRATCH_EN: 0
; COMPUTE_PGM_RSRC2:USER_SGPR: 6
; COMPUTE_PGM_RSRC2:TRAP_HANDLER: 0
; COMPUTE_PGM_RSRC2:TGID_X_EN: 1
; COMPUTE_PGM_RSRC2:TGID_Y_EN: 0
; COMPUTE_PGM_RSRC2:TGID_Z_EN: 0
; COMPUTE_PGM_RSRC2:TIDIG_COMP_CNT: 0
	.section	.text._ZN7rocprim17ROCPRIM_400000_NS6detail17trampoline_kernelINS0_14default_configENS1_35radix_sort_onesweep_config_selectorIdlEEZZNS1_29radix_sort_onesweep_iterationIS3_Lb0EPdS7_N6thrust23THRUST_200600_302600_NS10device_ptrIlEESB_jNS0_19identity_decomposerENS1_16block_id_wrapperIjLb0EEEEE10hipError_tT1_PNSt15iterator_traitsISG_E10value_typeET2_T3_PNSH_ISM_E10value_typeET4_T5_PSR_SS_PNS1_23onesweep_lookback_stateEbbT6_jjT7_P12ihipStream_tbENKUlT_T0_SG_SL_E_clIS7_S7_SB_SB_EEDaSZ_S10_SG_SL_EUlSZ_E_NS1_11comp_targetILNS1_3genE5ELNS1_11target_archE942ELNS1_3gpuE9ELNS1_3repE0EEENS1_47radix_sort_onesweep_sort_config_static_selectorELNS0_4arch9wavefront6targetE1EEEvSG_,"axG",@progbits,_ZN7rocprim17ROCPRIM_400000_NS6detail17trampoline_kernelINS0_14default_configENS1_35radix_sort_onesweep_config_selectorIdlEEZZNS1_29radix_sort_onesweep_iterationIS3_Lb0EPdS7_N6thrust23THRUST_200600_302600_NS10device_ptrIlEESB_jNS0_19identity_decomposerENS1_16block_id_wrapperIjLb0EEEEE10hipError_tT1_PNSt15iterator_traitsISG_E10value_typeET2_T3_PNSH_ISM_E10value_typeET4_T5_PSR_SS_PNS1_23onesweep_lookback_stateEbbT6_jjT7_P12ihipStream_tbENKUlT_T0_SG_SL_E_clIS7_S7_SB_SB_EEDaSZ_S10_SG_SL_EUlSZ_E_NS1_11comp_targetILNS1_3genE5ELNS1_11target_archE942ELNS1_3gpuE9ELNS1_3repE0EEENS1_47radix_sort_onesweep_sort_config_static_selectorELNS0_4arch9wavefront6targetE1EEEvSG_,comdat
	.protected	_ZN7rocprim17ROCPRIM_400000_NS6detail17trampoline_kernelINS0_14default_configENS1_35radix_sort_onesweep_config_selectorIdlEEZZNS1_29radix_sort_onesweep_iterationIS3_Lb0EPdS7_N6thrust23THRUST_200600_302600_NS10device_ptrIlEESB_jNS0_19identity_decomposerENS1_16block_id_wrapperIjLb0EEEEE10hipError_tT1_PNSt15iterator_traitsISG_E10value_typeET2_T3_PNSH_ISM_E10value_typeET4_T5_PSR_SS_PNS1_23onesweep_lookback_stateEbbT6_jjT7_P12ihipStream_tbENKUlT_T0_SG_SL_E_clIS7_S7_SB_SB_EEDaSZ_S10_SG_SL_EUlSZ_E_NS1_11comp_targetILNS1_3genE5ELNS1_11target_archE942ELNS1_3gpuE9ELNS1_3repE0EEENS1_47radix_sort_onesweep_sort_config_static_selectorELNS0_4arch9wavefront6targetE1EEEvSG_ ; -- Begin function _ZN7rocprim17ROCPRIM_400000_NS6detail17trampoline_kernelINS0_14default_configENS1_35radix_sort_onesweep_config_selectorIdlEEZZNS1_29radix_sort_onesweep_iterationIS3_Lb0EPdS7_N6thrust23THRUST_200600_302600_NS10device_ptrIlEESB_jNS0_19identity_decomposerENS1_16block_id_wrapperIjLb0EEEEE10hipError_tT1_PNSt15iterator_traitsISG_E10value_typeET2_T3_PNSH_ISM_E10value_typeET4_T5_PSR_SS_PNS1_23onesweep_lookback_stateEbbT6_jjT7_P12ihipStream_tbENKUlT_T0_SG_SL_E_clIS7_S7_SB_SB_EEDaSZ_S10_SG_SL_EUlSZ_E_NS1_11comp_targetILNS1_3genE5ELNS1_11target_archE942ELNS1_3gpuE9ELNS1_3repE0EEENS1_47radix_sort_onesweep_sort_config_static_selectorELNS0_4arch9wavefront6targetE1EEEvSG_
	.globl	_ZN7rocprim17ROCPRIM_400000_NS6detail17trampoline_kernelINS0_14default_configENS1_35radix_sort_onesweep_config_selectorIdlEEZZNS1_29radix_sort_onesweep_iterationIS3_Lb0EPdS7_N6thrust23THRUST_200600_302600_NS10device_ptrIlEESB_jNS0_19identity_decomposerENS1_16block_id_wrapperIjLb0EEEEE10hipError_tT1_PNSt15iterator_traitsISG_E10value_typeET2_T3_PNSH_ISM_E10value_typeET4_T5_PSR_SS_PNS1_23onesweep_lookback_stateEbbT6_jjT7_P12ihipStream_tbENKUlT_T0_SG_SL_E_clIS7_S7_SB_SB_EEDaSZ_S10_SG_SL_EUlSZ_E_NS1_11comp_targetILNS1_3genE5ELNS1_11target_archE942ELNS1_3gpuE9ELNS1_3repE0EEENS1_47radix_sort_onesweep_sort_config_static_selectorELNS0_4arch9wavefront6targetE1EEEvSG_
	.p2align	8
	.type	_ZN7rocprim17ROCPRIM_400000_NS6detail17trampoline_kernelINS0_14default_configENS1_35radix_sort_onesweep_config_selectorIdlEEZZNS1_29radix_sort_onesweep_iterationIS3_Lb0EPdS7_N6thrust23THRUST_200600_302600_NS10device_ptrIlEESB_jNS0_19identity_decomposerENS1_16block_id_wrapperIjLb0EEEEE10hipError_tT1_PNSt15iterator_traitsISG_E10value_typeET2_T3_PNSH_ISM_E10value_typeET4_T5_PSR_SS_PNS1_23onesweep_lookback_stateEbbT6_jjT7_P12ihipStream_tbENKUlT_T0_SG_SL_E_clIS7_S7_SB_SB_EEDaSZ_S10_SG_SL_EUlSZ_E_NS1_11comp_targetILNS1_3genE5ELNS1_11target_archE942ELNS1_3gpuE9ELNS1_3repE0EEENS1_47radix_sort_onesweep_sort_config_static_selectorELNS0_4arch9wavefront6targetE1EEEvSG_,@function
_ZN7rocprim17ROCPRIM_400000_NS6detail17trampoline_kernelINS0_14default_configENS1_35radix_sort_onesweep_config_selectorIdlEEZZNS1_29radix_sort_onesweep_iterationIS3_Lb0EPdS7_N6thrust23THRUST_200600_302600_NS10device_ptrIlEESB_jNS0_19identity_decomposerENS1_16block_id_wrapperIjLb0EEEEE10hipError_tT1_PNSt15iterator_traitsISG_E10value_typeET2_T3_PNSH_ISM_E10value_typeET4_T5_PSR_SS_PNS1_23onesweep_lookback_stateEbbT6_jjT7_P12ihipStream_tbENKUlT_T0_SG_SL_E_clIS7_S7_SB_SB_EEDaSZ_S10_SG_SL_EUlSZ_E_NS1_11comp_targetILNS1_3genE5ELNS1_11target_archE942ELNS1_3gpuE9ELNS1_3repE0EEENS1_47radix_sort_onesweep_sort_config_static_selectorELNS0_4arch9wavefront6targetE1EEEvSG_: ; @_ZN7rocprim17ROCPRIM_400000_NS6detail17trampoline_kernelINS0_14default_configENS1_35radix_sort_onesweep_config_selectorIdlEEZZNS1_29radix_sort_onesweep_iterationIS3_Lb0EPdS7_N6thrust23THRUST_200600_302600_NS10device_ptrIlEESB_jNS0_19identity_decomposerENS1_16block_id_wrapperIjLb0EEEEE10hipError_tT1_PNSt15iterator_traitsISG_E10value_typeET2_T3_PNSH_ISM_E10value_typeET4_T5_PSR_SS_PNS1_23onesweep_lookback_stateEbbT6_jjT7_P12ihipStream_tbENKUlT_T0_SG_SL_E_clIS7_S7_SB_SB_EEDaSZ_S10_SG_SL_EUlSZ_E_NS1_11comp_targetILNS1_3genE5ELNS1_11target_archE942ELNS1_3gpuE9ELNS1_3repE0EEENS1_47radix_sort_onesweep_sort_config_static_selectorELNS0_4arch9wavefront6targetE1EEEvSG_
; %bb.0:
	.section	.rodata,"a",@progbits
	.p2align	6, 0x0
	.amdhsa_kernel _ZN7rocprim17ROCPRIM_400000_NS6detail17trampoline_kernelINS0_14default_configENS1_35radix_sort_onesweep_config_selectorIdlEEZZNS1_29radix_sort_onesweep_iterationIS3_Lb0EPdS7_N6thrust23THRUST_200600_302600_NS10device_ptrIlEESB_jNS0_19identity_decomposerENS1_16block_id_wrapperIjLb0EEEEE10hipError_tT1_PNSt15iterator_traitsISG_E10value_typeET2_T3_PNSH_ISM_E10value_typeET4_T5_PSR_SS_PNS1_23onesweep_lookback_stateEbbT6_jjT7_P12ihipStream_tbENKUlT_T0_SG_SL_E_clIS7_S7_SB_SB_EEDaSZ_S10_SG_SL_EUlSZ_E_NS1_11comp_targetILNS1_3genE5ELNS1_11target_archE942ELNS1_3gpuE9ELNS1_3repE0EEENS1_47radix_sort_onesweep_sort_config_static_selectorELNS0_4arch9wavefront6targetE1EEEvSG_
		.amdhsa_group_segment_fixed_size 0
		.amdhsa_private_segment_fixed_size 0
		.amdhsa_kernarg_size 88
		.amdhsa_user_sgpr_count 6
		.amdhsa_user_sgpr_private_segment_buffer 1
		.amdhsa_user_sgpr_dispatch_ptr 0
		.amdhsa_user_sgpr_queue_ptr 0
		.amdhsa_user_sgpr_kernarg_segment_ptr 1
		.amdhsa_user_sgpr_dispatch_id 0
		.amdhsa_user_sgpr_flat_scratch_init 0
		.amdhsa_user_sgpr_private_segment_size 0
		.amdhsa_uses_dynamic_stack 0
		.amdhsa_system_sgpr_private_segment_wavefront_offset 0
		.amdhsa_system_sgpr_workgroup_id_x 1
		.amdhsa_system_sgpr_workgroup_id_y 0
		.amdhsa_system_sgpr_workgroup_id_z 0
		.amdhsa_system_sgpr_workgroup_info 0
		.amdhsa_system_vgpr_workitem_id 0
		.amdhsa_next_free_vgpr 1
		.amdhsa_next_free_sgpr 0
		.amdhsa_reserve_vcc 0
		.amdhsa_reserve_flat_scratch 0
		.amdhsa_float_round_mode_32 0
		.amdhsa_float_round_mode_16_64 0
		.amdhsa_float_denorm_mode_32 3
		.amdhsa_float_denorm_mode_16_64 3
		.amdhsa_dx10_clamp 1
		.amdhsa_ieee_mode 1
		.amdhsa_fp16_overflow 0
		.amdhsa_exception_fp_ieee_invalid_op 0
		.amdhsa_exception_fp_denorm_src 0
		.amdhsa_exception_fp_ieee_div_zero 0
		.amdhsa_exception_fp_ieee_overflow 0
		.amdhsa_exception_fp_ieee_underflow 0
		.amdhsa_exception_fp_ieee_inexact 0
		.amdhsa_exception_int_div_zero 0
	.end_amdhsa_kernel
	.section	.text._ZN7rocprim17ROCPRIM_400000_NS6detail17trampoline_kernelINS0_14default_configENS1_35radix_sort_onesweep_config_selectorIdlEEZZNS1_29radix_sort_onesweep_iterationIS3_Lb0EPdS7_N6thrust23THRUST_200600_302600_NS10device_ptrIlEESB_jNS0_19identity_decomposerENS1_16block_id_wrapperIjLb0EEEEE10hipError_tT1_PNSt15iterator_traitsISG_E10value_typeET2_T3_PNSH_ISM_E10value_typeET4_T5_PSR_SS_PNS1_23onesweep_lookback_stateEbbT6_jjT7_P12ihipStream_tbENKUlT_T0_SG_SL_E_clIS7_S7_SB_SB_EEDaSZ_S10_SG_SL_EUlSZ_E_NS1_11comp_targetILNS1_3genE5ELNS1_11target_archE942ELNS1_3gpuE9ELNS1_3repE0EEENS1_47radix_sort_onesweep_sort_config_static_selectorELNS0_4arch9wavefront6targetE1EEEvSG_,"axG",@progbits,_ZN7rocprim17ROCPRIM_400000_NS6detail17trampoline_kernelINS0_14default_configENS1_35radix_sort_onesweep_config_selectorIdlEEZZNS1_29radix_sort_onesweep_iterationIS3_Lb0EPdS7_N6thrust23THRUST_200600_302600_NS10device_ptrIlEESB_jNS0_19identity_decomposerENS1_16block_id_wrapperIjLb0EEEEE10hipError_tT1_PNSt15iterator_traitsISG_E10value_typeET2_T3_PNSH_ISM_E10value_typeET4_T5_PSR_SS_PNS1_23onesweep_lookback_stateEbbT6_jjT7_P12ihipStream_tbENKUlT_T0_SG_SL_E_clIS7_S7_SB_SB_EEDaSZ_S10_SG_SL_EUlSZ_E_NS1_11comp_targetILNS1_3genE5ELNS1_11target_archE942ELNS1_3gpuE9ELNS1_3repE0EEENS1_47radix_sort_onesweep_sort_config_static_selectorELNS0_4arch9wavefront6targetE1EEEvSG_,comdat
.Lfunc_end1645:
	.size	_ZN7rocprim17ROCPRIM_400000_NS6detail17trampoline_kernelINS0_14default_configENS1_35radix_sort_onesweep_config_selectorIdlEEZZNS1_29radix_sort_onesweep_iterationIS3_Lb0EPdS7_N6thrust23THRUST_200600_302600_NS10device_ptrIlEESB_jNS0_19identity_decomposerENS1_16block_id_wrapperIjLb0EEEEE10hipError_tT1_PNSt15iterator_traitsISG_E10value_typeET2_T3_PNSH_ISM_E10value_typeET4_T5_PSR_SS_PNS1_23onesweep_lookback_stateEbbT6_jjT7_P12ihipStream_tbENKUlT_T0_SG_SL_E_clIS7_S7_SB_SB_EEDaSZ_S10_SG_SL_EUlSZ_E_NS1_11comp_targetILNS1_3genE5ELNS1_11target_archE942ELNS1_3gpuE9ELNS1_3repE0EEENS1_47radix_sort_onesweep_sort_config_static_selectorELNS0_4arch9wavefront6targetE1EEEvSG_, .Lfunc_end1645-_ZN7rocprim17ROCPRIM_400000_NS6detail17trampoline_kernelINS0_14default_configENS1_35radix_sort_onesweep_config_selectorIdlEEZZNS1_29radix_sort_onesweep_iterationIS3_Lb0EPdS7_N6thrust23THRUST_200600_302600_NS10device_ptrIlEESB_jNS0_19identity_decomposerENS1_16block_id_wrapperIjLb0EEEEE10hipError_tT1_PNSt15iterator_traitsISG_E10value_typeET2_T3_PNSH_ISM_E10value_typeET4_T5_PSR_SS_PNS1_23onesweep_lookback_stateEbbT6_jjT7_P12ihipStream_tbENKUlT_T0_SG_SL_E_clIS7_S7_SB_SB_EEDaSZ_S10_SG_SL_EUlSZ_E_NS1_11comp_targetILNS1_3genE5ELNS1_11target_archE942ELNS1_3gpuE9ELNS1_3repE0EEENS1_47radix_sort_onesweep_sort_config_static_selectorELNS0_4arch9wavefront6targetE1EEEvSG_
                                        ; -- End function
	.set _ZN7rocprim17ROCPRIM_400000_NS6detail17trampoline_kernelINS0_14default_configENS1_35radix_sort_onesweep_config_selectorIdlEEZZNS1_29radix_sort_onesweep_iterationIS3_Lb0EPdS7_N6thrust23THRUST_200600_302600_NS10device_ptrIlEESB_jNS0_19identity_decomposerENS1_16block_id_wrapperIjLb0EEEEE10hipError_tT1_PNSt15iterator_traitsISG_E10value_typeET2_T3_PNSH_ISM_E10value_typeET4_T5_PSR_SS_PNS1_23onesweep_lookback_stateEbbT6_jjT7_P12ihipStream_tbENKUlT_T0_SG_SL_E_clIS7_S7_SB_SB_EEDaSZ_S10_SG_SL_EUlSZ_E_NS1_11comp_targetILNS1_3genE5ELNS1_11target_archE942ELNS1_3gpuE9ELNS1_3repE0EEENS1_47radix_sort_onesweep_sort_config_static_selectorELNS0_4arch9wavefront6targetE1EEEvSG_.num_vgpr, 0
	.set _ZN7rocprim17ROCPRIM_400000_NS6detail17trampoline_kernelINS0_14default_configENS1_35radix_sort_onesweep_config_selectorIdlEEZZNS1_29radix_sort_onesweep_iterationIS3_Lb0EPdS7_N6thrust23THRUST_200600_302600_NS10device_ptrIlEESB_jNS0_19identity_decomposerENS1_16block_id_wrapperIjLb0EEEEE10hipError_tT1_PNSt15iterator_traitsISG_E10value_typeET2_T3_PNSH_ISM_E10value_typeET4_T5_PSR_SS_PNS1_23onesweep_lookback_stateEbbT6_jjT7_P12ihipStream_tbENKUlT_T0_SG_SL_E_clIS7_S7_SB_SB_EEDaSZ_S10_SG_SL_EUlSZ_E_NS1_11comp_targetILNS1_3genE5ELNS1_11target_archE942ELNS1_3gpuE9ELNS1_3repE0EEENS1_47radix_sort_onesweep_sort_config_static_selectorELNS0_4arch9wavefront6targetE1EEEvSG_.num_agpr, 0
	.set _ZN7rocprim17ROCPRIM_400000_NS6detail17trampoline_kernelINS0_14default_configENS1_35radix_sort_onesweep_config_selectorIdlEEZZNS1_29radix_sort_onesweep_iterationIS3_Lb0EPdS7_N6thrust23THRUST_200600_302600_NS10device_ptrIlEESB_jNS0_19identity_decomposerENS1_16block_id_wrapperIjLb0EEEEE10hipError_tT1_PNSt15iterator_traitsISG_E10value_typeET2_T3_PNSH_ISM_E10value_typeET4_T5_PSR_SS_PNS1_23onesweep_lookback_stateEbbT6_jjT7_P12ihipStream_tbENKUlT_T0_SG_SL_E_clIS7_S7_SB_SB_EEDaSZ_S10_SG_SL_EUlSZ_E_NS1_11comp_targetILNS1_3genE5ELNS1_11target_archE942ELNS1_3gpuE9ELNS1_3repE0EEENS1_47radix_sort_onesweep_sort_config_static_selectorELNS0_4arch9wavefront6targetE1EEEvSG_.numbered_sgpr, 0
	.set _ZN7rocprim17ROCPRIM_400000_NS6detail17trampoline_kernelINS0_14default_configENS1_35radix_sort_onesweep_config_selectorIdlEEZZNS1_29radix_sort_onesweep_iterationIS3_Lb0EPdS7_N6thrust23THRUST_200600_302600_NS10device_ptrIlEESB_jNS0_19identity_decomposerENS1_16block_id_wrapperIjLb0EEEEE10hipError_tT1_PNSt15iterator_traitsISG_E10value_typeET2_T3_PNSH_ISM_E10value_typeET4_T5_PSR_SS_PNS1_23onesweep_lookback_stateEbbT6_jjT7_P12ihipStream_tbENKUlT_T0_SG_SL_E_clIS7_S7_SB_SB_EEDaSZ_S10_SG_SL_EUlSZ_E_NS1_11comp_targetILNS1_3genE5ELNS1_11target_archE942ELNS1_3gpuE9ELNS1_3repE0EEENS1_47radix_sort_onesweep_sort_config_static_selectorELNS0_4arch9wavefront6targetE1EEEvSG_.num_named_barrier, 0
	.set _ZN7rocprim17ROCPRIM_400000_NS6detail17trampoline_kernelINS0_14default_configENS1_35radix_sort_onesweep_config_selectorIdlEEZZNS1_29radix_sort_onesweep_iterationIS3_Lb0EPdS7_N6thrust23THRUST_200600_302600_NS10device_ptrIlEESB_jNS0_19identity_decomposerENS1_16block_id_wrapperIjLb0EEEEE10hipError_tT1_PNSt15iterator_traitsISG_E10value_typeET2_T3_PNSH_ISM_E10value_typeET4_T5_PSR_SS_PNS1_23onesweep_lookback_stateEbbT6_jjT7_P12ihipStream_tbENKUlT_T0_SG_SL_E_clIS7_S7_SB_SB_EEDaSZ_S10_SG_SL_EUlSZ_E_NS1_11comp_targetILNS1_3genE5ELNS1_11target_archE942ELNS1_3gpuE9ELNS1_3repE0EEENS1_47radix_sort_onesweep_sort_config_static_selectorELNS0_4arch9wavefront6targetE1EEEvSG_.private_seg_size, 0
	.set _ZN7rocprim17ROCPRIM_400000_NS6detail17trampoline_kernelINS0_14default_configENS1_35radix_sort_onesweep_config_selectorIdlEEZZNS1_29radix_sort_onesweep_iterationIS3_Lb0EPdS7_N6thrust23THRUST_200600_302600_NS10device_ptrIlEESB_jNS0_19identity_decomposerENS1_16block_id_wrapperIjLb0EEEEE10hipError_tT1_PNSt15iterator_traitsISG_E10value_typeET2_T3_PNSH_ISM_E10value_typeET4_T5_PSR_SS_PNS1_23onesweep_lookback_stateEbbT6_jjT7_P12ihipStream_tbENKUlT_T0_SG_SL_E_clIS7_S7_SB_SB_EEDaSZ_S10_SG_SL_EUlSZ_E_NS1_11comp_targetILNS1_3genE5ELNS1_11target_archE942ELNS1_3gpuE9ELNS1_3repE0EEENS1_47radix_sort_onesweep_sort_config_static_selectorELNS0_4arch9wavefront6targetE1EEEvSG_.uses_vcc, 0
	.set _ZN7rocprim17ROCPRIM_400000_NS6detail17trampoline_kernelINS0_14default_configENS1_35radix_sort_onesweep_config_selectorIdlEEZZNS1_29radix_sort_onesweep_iterationIS3_Lb0EPdS7_N6thrust23THRUST_200600_302600_NS10device_ptrIlEESB_jNS0_19identity_decomposerENS1_16block_id_wrapperIjLb0EEEEE10hipError_tT1_PNSt15iterator_traitsISG_E10value_typeET2_T3_PNSH_ISM_E10value_typeET4_T5_PSR_SS_PNS1_23onesweep_lookback_stateEbbT6_jjT7_P12ihipStream_tbENKUlT_T0_SG_SL_E_clIS7_S7_SB_SB_EEDaSZ_S10_SG_SL_EUlSZ_E_NS1_11comp_targetILNS1_3genE5ELNS1_11target_archE942ELNS1_3gpuE9ELNS1_3repE0EEENS1_47radix_sort_onesweep_sort_config_static_selectorELNS0_4arch9wavefront6targetE1EEEvSG_.uses_flat_scratch, 0
	.set _ZN7rocprim17ROCPRIM_400000_NS6detail17trampoline_kernelINS0_14default_configENS1_35radix_sort_onesweep_config_selectorIdlEEZZNS1_29radix_sort_onesweep_iterationIS3_Lb0EPdS7_N6thrust23THRUST_200600_302600_NS10device_ptrIlEESB_jNS0_19identity_decomposerENS1_16block_id_wrapperIjLb0EEEEE10hipError_tT1_PNSt15iterator_traitsISG_E10value_typeET2_T3_PNSH_ISM_E10value_typeET4_T5_PSR_SS_PNS1_23onesweep_lookback_stateEbbT6_jjT7_P12ihipStream_tbENKUlT_T0_SG_SL_E_clIS7_S7_SB_SB_EEDaSZ_S10_SG_SL_EUlSZ_E_NS1_11comp_targetILNS1_3genE5ELNS1_11target_archE942ELNS1_3gpuE9ELNS1_3repE0EEENS1_47radix_sort_onesweep_sort_config_static_selectorELNS0_4arch9wavefront6targetE1EEEvSG_.has_dyn_sized_stack, 0
	.set _ZN7rocprim17ROCPRIM_400000_NS6detail17trampoline_kernelINS0_14default_configENS1_35radix_sort_onesweep_config_selectorIdlEEZZNS1_29radix_sort_onesweep_iterationIS3_Lb0EPdS7_N6thrust23THRUST_200600_302600_NS10device_ptrIlEESB_jNS0_19identity_decomposerENS1_16block_id_wrapperIjLb0EEEEE10hipError_tT1_PNSt15iterator_traitsISG_E10value_typeET2_T3_PNSH_ISM_E10value_typeET4_T5_PSR_SS_PNS1_23onesweep_lookback_stateEbbT6_jjT7_P12ihipStream_tbENKUlT_T0_SG_SL_E_clIS7_S7_SB_SB_EEDaSZ_S10_SG_SL_EUlSZ_E_NS1_11comp_targetILNS1_3genE5ELNS1_11target_archE942ELNS1_3gpuE9ELNS1_3repE0EEENS1_47radix_sort_onesweep_sort_config_static_selectorELNS0_4arch9wavefront6targetE1EEEvSG_.has_recursion, 0
	.set _ZN7rocprim17ROCPRIM_400000_NS6detail17trampoline_kernelINS0_14default_configENS1_35radix_sort_onesweep_config_selectorIdlEEZZNS1_29radix_sort_onesweep_iterationIS3_Lb0EPdS7_N6thrust23THRUST_200600_302600_NS10device_ptrIlEESB_jNS0_19identity_decomposerENS1_16block_id_wrapperIjLb0EEEEE10hipError_tT1_PNSt15iterator_traitsISG_E10value_typeET2_T3_PNSH_ISM_E10value_typeET4_T5_PSR_SS_PNS1_23onesweep_lookback_stateEbbT6_jjT7_P12ihipStream_tbENKUlT_T0_SG_SL_E_clIS7_S7_SB_SB_EEDaSZ_S10_SG_SL_EUlSZ_E_NS1_11comp_targetILNS1_3genE5ELNS1_11target_archE942ELNS1_3gpuE9ELNS1_3repE0EEENS1_47radix_sort_onesweep_sort_config_static_selectorELNS0_4arch9wavefront6targetE1EEEvSG_.has_indirect_call, 0
	.section	.AMDGPU.csdata,"",@progbits
; Kernel info:
; codeLenInByte = 0
; TotalNumSgprs: 4
; NumVgprs: 0
; ScratchSize: 0
; MemoryBound: 0
; FloatMode: 240
; IeeeMode: 1
; LDSByteSize: 0 bytes/workgroup (compile time only)
; SGPRBlocks: 0
; VGPRBlocks: 0
; NumSGPRsForWavesPerEU: 4
; NumVGPRsForWavesPerEU: 1
; Occupancy: 10
; WaveLimiterHint : 0
; COMPUTE_PGM_RSRC2:SCRATCH_EN: 0
; COMPUTE_PGM_RSRC2:USER_SGPR: 6
; COMPUTE_PGM_RSRC2:TRAP_HANDLER: 0
; COMPUTE_PGM_RSRC2:TGID_X_EN: 1
; COMPUTE_PGM_RSRC2:TGID_Y_EN: 0
; COMPUTE_PGM_RSRC2:TGID_Z_EN: 0
; COMPUTE_PGM_RSRC2:TIDIG_COMP_CNT: 0
	.section	.text._ZN7rocprim17ROCPRIM_400000_NS6detail17trampoline_kernelINS0_14default_configENS1_35radix_sort_onesweep_config_selectorIdlEEZZNS1_29radix_sort_onesweep_iterationIS3_Lb0EPdS7_N6thrust23THRUST_200600_302600_NS10device_ptrIlEESB_jNS0_19identity_decomposerENS1_16block_id_wrapperIjLb0EEEEE10hipError_tT1_PNSt15iterator_traitsISG_E10value_typeET2_T3_PNSH_ISM_E10value_typeET4_T5_PSR_SS_PNS1_23onesweep_lookback_stateEbbT6_jjT7_P12ihipStream_tbENKUlT_T0_SG_SL_E_clIS7_S7_SB_SB_EEDaSZ_S10_SG_SL_EUlSZ_E_NS1_11comp_targetILNS1_3genE2ELNS1_11target_archE906ELNS1_3gpuE6ELNS1_3repE0EEENS1_47radix_sort_onesweep_sort_config_static_selectorELNS0_4arch9wavefront6targetE1EEEvSG_,"axG",@progbits,_ZN7rocprim17ROCPRIM_400000_NS6detail17trampoline_kernelINS0_14default_configENS1_35radix_sort_onesweep_config_selectorIdlEEZZNS1_29radix_sort_onesweep_iterationIS3_Lb0EPdS7_N6thrust23THRUST_200600_302600_NS10device_ptrIlEESB_jNS0_19identity_decomposerENS1_16block_id_wrapperIjLb0EEEEE10hipError_tT1_PNSt15iterator_traitsISG_E10value_typeET2_T3_PNSH_ISM_E10value_typeET4_T5_PSR_SS_PNS1_23onesweep_lookback_stateEbbT6_jjT7_P12ihipStream_tbENKUlT_T0_SG_SL_E_clIS7_S7_SB_SB_EEDaSZ_S10_SG_SL_EUlSZ_E_NS1_11comp_targetILNS1_3genE2ELNS1_11target_archE906ELNS1_3gpuE6ELNS1_3repE0EEENS1_47radix_sort_onesweep_sort_config_static_selectorELNS0_4arch9wavefront6targetE1EEEvSG_,comdat
	.protected	_ZN7rocprim17ROCPRIM_400000_NS6detail17trampoline_kernelINS0_14default_configENS1_35radix_sort_onesweep_config_selectorIdlEEZZNS1_29radix_sort_onesweep_iterationIS3_Lb0EPdS7_N6thrust23THRUST_200600_302600_NS10device_ptrIlEESB_jNS0_19identity_decomposerENS1_16block_id_wrapperIjLb0EEEEE10hipError_tT1_PNSt15iterator_traitsISG_E10value_typeET2_T3_PNSH_ISM_E10value_typeET4_T5_PSR_SS_PNS1_23onesweep_lookback_stateEbbT6_jjT7_P12ihipStream_tbENKUlT_T0_SG_SL_E_clIS7_S7_SB_SB_EEDaSZ_S10_SG_SL_EUlSZ_E_NS1_11comp_targetILNS1_3genE2ELNS1_11target_archE906ELNS1_3gpuE6ELNS1_3repE0EEENS1_47radix_sort_onesweep_sort_config_static_selectorELNS0_4arch9wavefront6targetE1EEEvSG_ ; -- Begin function _ZN7rocprim17ROCPRIM_400000_NS6detail17trampoline_kernelINS0_14default_configENS1_35radix_sort_onesweep_config_selectorIdlEEZZNS1_29radix_sort_onesweep_iterationIS3_Lb0EPdS7_N6thrust23THRUST_200600_302600_NS10device_ptrIlEESB_jNS0_19identity_decomposerENS1_16block_id_wrapperIjLb0EEEEE10hipError_tT1_PNSt15iterator_traitsISG_E10value_typeET2_T3_PNSH_ISM_E10value_typeET4_T5_PSR_SS_PNS1_23onesweep_lookback_stateEbbT6_jjT7_P12ihipStream_tbENKUlT_T0_SG_SL_E_clIS7_S7_SB_SB_EEDaSZ_S10_SG_SL_EUlSZ_E_NS1_11comp_targetILNS1_3genE2ELNS1_11target_archE906ELNS1_3gpuE6ELNS1_3repE0EEENS1_47radix_sort_onesweep_sort_config_static_selectorELNS0_4arch9wavefront6targetE1EEEvSG_
	.globl	_ZN7rocprim17ROCPRIM_400000_NS6detail17trampoline_kernelINS0_14default_configENS1_35radix_sort_onesweep_config_selectorIdlEEZZNS1_29radix_sort_onesweep_iterationIS3_Lb0EPdS7_N6thrust23THRUST_200600_302600_NS10device_ptrIlEESB_jNS0_19identity_decomposerENS1_16block_id_wrapperIjLb0EEEEE10hipError_tT1_PNSt15iterator_traitsISG_E10value_typeET2_T3_PNSH_ISM_E10value_typeET4_T5_PSR_SS_PNS1_23onesweep_lookback_stateEbbT6_jjT7_P12ihipStream_tbENKUlT_T0_SG_SL_E_clIS7_S7_SB_SB_EEDaSZ_S10_SG_SL_EUlSZ_E_NS1_11comp_targetILNS1_3genE2ELNS1_11target_archE906ELNS1_3gpuE6ELNS1_3repE0EEENS1_47radix_sort_onesweep_sort_config_static_selectorELNS0_4arch9wavefront6targetE1EEEvSG_
	.p2align	8
	.type	_ZN7rocprim17ROCPRIM_400000_NS6detail17trampoline_kernelINS0_14default_configENS1_35radix_sort_onesweep_config_selectorIdlEEZZNS1_29radix_sort_onesweep_iterationIS3_Lb0EPdS7_N6thrust23THRUST_200600_302600_NS10device_ptrIlEESB_jNS0_19identity_decomposerENS1_16block_id_wrapperIjLb0EEEEE10hipError_tT1_PNSt15iterator_traitsISG_E10value_typeET2_T3_PNSH_ISM_E10value_typeET4_T5_PSR_SS_PNS1_23onesweep_lookback_stateEbbT6_jjT7_P12ihipStream_tbENKUlT_T0_SG_SL_E_clIS7_S7_SB_SB_EEDaSZ_S10_SG_SL_EUlSZ_E_NS1_11comp_targetILNS1_3genE2ELNS1_11target_archE906ELNS1_3gpuE6ELNS1_3repE0EEENS1_47radix_sort_onesweep_sort_config_static_selectorELNS0_4arch9wavefront6targetE1EEEvSG_,@function
_ZN7rocprim17ROCPRIM_400000_NS6detail17trampoline_kernelINS0_14default_configENS1_35radix_sort_onesweep_config_selectorIdlEEZZNS1_29radix_sort_onesweep_iterationIS3_Lb0EPdS7_N6thrust23THRUST_200600_302600_NS10device_ptrIlEESB_jNS0_19identity_decomposerENS1_16block_id_wrapperIjLb0EEEEE10hipError_tT1_PNSt15iterator_traitsISG_E10value_typeET2_T3_PNSH_ISM_E10value_typeET4_T5_PSR_SS_PNS1_23onesweep_lookback_stateEbbT6_jjT7_P12ihipStream_tbENKUlT_T0_SG_SL_E_clIS7_S7_SB_SB_EEDaSZ_S10_SG_SL_EUlSZ_E_NS1_11comp_targetILNS1_3genE2ELNS1_11target_archE906ELNS1_3gpuE6ELNS1_3repE0EEENS1_47radix_sort_onesweep_sort_config_static_selectorELNS0_4arch9wavefront6targetE1EEEvSG_: ; @_ZN7rocprim17ROCPRIM_400000_NS6detail17trampoline_kernelINS0_14default_configENS1_35radix_sort_onesweep_config_selectorIdlEEZZNS1_29radix_sort_onesweep_iterationIS3_Lb0EPdS7_N6thrust23THRUST_200600_302600_NS10device_ptrIlEESB_jNS0_19identity_decomposerENS1_16block_id_wrapperIjLb0EEEEE10hipError_tT1_PNSt15iterator_traitsISG_E10value_typeET2_T3_PNSH_ISM_E10value_typeET4_T5_PSR_SS_PNS1_23onesweep_lookback_stateEbbT6_jjT7_P12ihipStream_tbENKUlT_T0_SG_SL_E_clIS7_S7_SB_SB_EEDaSZ_S10_SG_SL_EUlSZ_E_NS1_11comp_targetILNS1_3genE2ELNS1_11target_archE906ELNS1_3gpuE6ELNS1_3repE0EEENS1_47radix_sort_onesweep_sort_config_static_selectorELNS0_4arch9wavefront6targetE1EEEvSG_
; %bb.0:
	s_add_u32 s0, s0, s7
	s_load_dwordx4 s[40:43], s[4:5], 0x44
	s_load_dwordx8 s[24:31], s[4:5], 0x0
	s_load_dwordx4 s[36:39], s[4:5], 0x28
	s_load_dwordx2 s[34:35], s[4:5], 0x38
	s_addc_u32 s1, s1, 0
	s_mov_b64 s[8:9], -1
	s_waitcnt lgkmcnt(0)
	s_cmp_ge_u32 s6, s42
	s_mul_i32 s44, s6, 0xc00
	v_mbcnt_lo_u32_b32 v21, -1, 0
	s_cbranch_scc0 .LBB1646_72
; %bb.1:
	s_load_dword s7, s[4:5], 0x20
	s_mul_i32 s8, s42, 0xfffff400
	s_mov_b32 s45, 0
	v_mbcnt_hi_u32_b32 v19, -1, v21
	s_lshl_b64 s[42:43], s[44:45], 3
	s_waitcnt lgkmcnt(0)
	s_add_i32 s7, s7, s8
	s_add_u32 s8, s24, s42
	v_and_b32_e32 v3, 63, v19
	s_addc_u32 s9, s25, s43
	v_and_b32_e32 v20, 0x1c0, v0
	v_lshlrev_b32_e32 v22, 3, v3
	v_mul_u32_u24_e32 v4, 6, v20
	v_mov_b32_e32 v5, s9
	v_add_co_u32_e32 v6, vcc, s8, v22
	v_addc_co_u32_e32 v5, vcc, 0, v5, vcc
	v_lshlrev_b32_e32 v23, 3, v4
	v_add_co_u32_e32 v15, vcc, v6, v23
	v_addc_co_u32_e32 v16, vcc, 0, v5, vcc
	v_mov_b32_e32 v5, -1
	v_or_b32_e32 v17, v3, v4
	v_bfrev_b32_e32 v6, -2
	v_mov_b32_e32 v3, v5
	v_cmp_gt_u32_e32 vcc, s7, v17
	v_mov_b32_e32 v4, v6
	s_and_saveexec_b64 s[8:9], vcc
	s_cbranch_execz .LBB1646_3
; %bb.2:
	global_load_dwordx2 v[3:4], v[15:16], off
.LBB1646_3:
	s_or_b64 exec, exec, s[8:9]
	v_or_b32_e32 v7, 64, v17
	v_cmp_gt_u32_e64 s[20:21], s7, v7
	s_and_saveexec_b64 s[8:9], s[20:21]
	s_cbranch_execz .LBB1646_5
; %bb.4:
	global_load_dwordx2 v[5:6], v[15:16], off offset:512
.LBB1646_5:
	s_or_b64 exec, exec, s[8:9]
	v_add_u32_e32 v7, 0x80, v17
	v_mov_b32_e32 v9, -1
	v_cmp_gt_u32_e64 s[8:9], s7, v7
	v_bfrev_b32_e32 v10, -2
	v_mov_b32_e32 v7, v9
	v_mov_b32_e32 v8, v10
	s_and_saveexec_b64 s[10:11], s[8:9]
	s_cbranch_execz .LBB1646_7
; %bb.6:
	global_load_dwordx2 v[7:8], v[15:16], off offset:1024
.LBB1646_7:
	s_or_b64 exec, exec, s[10:11]
	v_add_u32_e32 v11, 0xc0, v17
	v_cmp_gt_u32_e64 s[10:11], s7, v11
	s_and_saveexec_b64 s[12:13], s[10:11]
	s_cbranch_execz .LBB1646_9
; %bb.8:
	global_load_dwordx2 v[9:10], v[15:16], off offset:1536
.LBB1646_9:
	s_or_b64 exec, exec, s[12:13]
	v_add_u32_e32 v11, 0x100, v17
	v_bfrev_b32_e32 v12, -2
	v_cmp_gt_u32_e64 s[12:13], s7, v11
	v_mov_b32_e32 v11, -1
	v_mov_b32_e32 v14, v12
	v_mov_b32_e32 v13, v11
	s_and_saveexec_b64 s[14:15], s[12:13]
	s_cbranch_execz .LBB1646_11
; %bb.10:
	global_load_dwordx2 v[13:14], v[15:16], off offset:2048
.LBB1646_11:
	s_or_b64 exec, exec, s[14:15]
	v_add_u32_e32 v17, 0x140, v17
	s_mov_b32 s18, -1
	v_cmp_gt_u32_e64 s[14:15], s7, v17
	s_brev_b32 s19, -2
	s_and_saveexec_b64 s[16:17], s[14:15]
	s_cbranch_execz .LBB1646_13
; %bb.12:
	global_load_dwordx2 v[11:12], v[15:16], off offset:2560
.LBB1646_13:
	s_or_b64 exec, exec, s[16:17]
	s_load_dword s16, s[4:5], 0x64
	s_load_dword s33, s[4:5], 0x58
	s_add_u32 s17, s4, 0x58
	s_addc_u32 s22, s5, 0
	v_mov_b32_e32 v15, 0
	s_waitcnt lgkmcnt(0)
	s_lshr_b32 s23, s16, 16
	s_cmp_lt_u32 s6, s33
	s_cselect_b32 s16, 12, 18
	s_add_u32 s16, s17, s16
	s_addc_u32 s17, s22, 0
	global_load_ushort v18, v15, s[16:17]
	s_waitcnt vmcnt(1)
	v_cmp_lt_i64_e64 s[16:17], -1, v[3:4]
	v_bfrev_b32_e32 v26, 1
	v_ashrrev_i32_e32 v16, 31, v4
	v_cndmask_b32_e64 v17, -1, v26, s[16:17]
	v_xor_b32_e32 v3, v16, v3
	v_xor_b32_e32 v4, v17, v4
	v_cmp_ne_u64_e64 s[16:17], s[18:19], v[3:4]
	v_mad_u32_u24 v24, v2, s23, v1
	v_cndmask_b32_e64 v17, v26, v4, s[16:17]
	v_cndmask_b32_e64 v16, 0, v3, s[16:17]
	v_lshrrev_b64 v[16:17], s40, v[16:17]
	s_lshl_b32 s16, -1, s41
	s_not_b32 s45, s16
	v_and_b32_e32 v17, s45, v16
	v_and_b32_e32 v28, 1, v17
	v_add_co_u32_e64 v29, s[16:17], -1, v28
	v_lshlrev_b32_e32 v16, 30, v17
	v_addc_co_u32_e64 v30, s[16:17], 0, -1, s[16:17]
	v_cmp_ne_u32_e64 s[16:17], 0, v28
	v_cmp_gt_i64_e64 s[18:19], 0, v[15:16]
	v_not_b32_e32 v28, v16
	v_lshlrev_b32_e32 v16, 29, v17
	v_xor_b32_e32 v30, s17, v30
	v_xor_b32_e32 v29, s16, v29
	v_ashrrev_i32_e32 v28, 31, v28
	v_cmp_gt_i64_e64 s[16:17], 0, v[15:16]
	v_not_b32_e32 v31, v16
	v_lshlrev_b32_e32 v16, 28, v17
	v_and_b32_e32 v30, exec_hi, v30
	v_and_b32_e32 v29, exec_lo, v29
	v_xor_b32_e32 v32, s19, v28
	v_xor_b32_e32 v28, s18, v28
	v_ashrrev_i32_e32 v31, 31, v31
	v_cmp_gt_i64_e64 s[18:19], 0, v[15:16]
	v_not_b32_e32 v33, v16
	v_lshlrev_b32_e32 v16, 27, v17
	v_and_b32_e32 v30, v30, v32
	v_and_b32_e32 v28, v29, v28
	v_xor_b32_e32 v29, s17, v31
	v_xor_b32_e32 v31, s16, v31
	v_ashrrev_i32_e32 v32, 31, v33
	v_cmp_gt_i64_e64 s[16:17], 0, v[15:16]
	v_not_b32_e32 v33, v16
	v_lshlrev_b32_e32 v16, 26, v17
	v_and_b32_e32 v29, v30, v29
	v_and_b32_e32 v28, v28, v31
	;; [unrolled: 8-line block ×3, first 2 shown]
	v_xor_b32_e32 v30, s17, v32
	v_xor_b32_e32 v31, s16, v32
	v_ashrrev_i32_e32 v32, 31, v33
	v_mul_lo_u32 v27, v17, 36
	v_cmp_gt_i64_e64 s[16:17], 0, v[15:16]
	v_not_b32_e32 v33, v16
	v_lshlrev_b32_e32 v16, 24, v17
	v_and_b32_e32 v17, v29, v30
	v_xor_b32_e32 v29, s19, v32
	v_xor_b32_e32 v30, s18, v32
	v_and_b32_e32 v29, v17, v29
	v_and_b32_e32 v28, v28, v31
	v_ashrrev_i32_e32 v31, 31, v33
	v_and_b32_e32 v28, v28, v30
	v_xor_b32_e32 v30, s17, v31
	v_mul_u32_u24_e32 v25, 20, v0
	ds_write2_b32 v25, v15, v15 offset0:8 offset1:9
	ds_write2_b32 v25, v15, v15 offset0:10 offset1:11
	ds_write_b32 v25, v15 offset:48
	s_waitcnt vmcnt(0) lgkmcnt(0)
	s_barrier
	; wave barrier
	v_mad_u64_u32 v[17:18], s[18:19], v24, v18, v[0:1]
	v_xor_b32_e32 v18, s16, v31
	v_cmp_gt_i64_e64 s[16:17], 0, v[15:16]
	v_not_b32_e32 v16, v16
	v_ashrrev_i32_e32 v16, 31, v16
	v_and_b32_e32 v24, v29, v30
	v_and_b32_e32 v29, v28, v18
	v_lshrrev_b32_e32 v18, 6, v17
	v_xor_b32_e32 v17, s17, v16
	v_xor_b32_e32 v16, s16, v16
	v_and_b32_e32 v16, v29, v16
	v_and_b32_e32 v17, v24, v17
	v_mbcnt_lo_u32_b32 v24, v16, 0
	v_mbcnt_hi_u32_b32 v24, v17, v24
	v_cmp_ne_u64_e64 s[16:17], 0, v[16:17]
	v_cmp_eq_u32_e64 s[18:19], 0, v24
	v_lshl_add_u32 v28, v18, 2, v27
	s_and_b64 s[18:19], s[16:17], s[18:19]
	s_and_saveexec_b64 s[16:17], s[18:19]
; %bb.14:
	v_bcnt_u32_b32 v16, v16, 0
	v_bcnt_u32_b32 v16, v17, v16
	ds_write_b32 v28, v16 offset:32
; %bb.15:
	s_or_b64 exec, exec, s[16:17]
	v_cmp_lt_i64_e64 s[16:17], -1, v[5:6]
	s_mov_b32 s22, -1
	v_cndmask_b32_e64 v16, -1, v26, s[16:17]
	v_ashrrev_i32_e32 v17, 31, v6
	s_brev_b32 s23, -2
	v_xor_b32_e32 v6, v16, v6
	v_xor_b32_e32 v5, v17, v5
	v_cmp_ne_u64_e64 s[16:17], s[22:23], v[5:6]
	v_cndmask_b32_e64 v17, v26, v6, s[16:17]
	v_cndmask_b32_e64 v16, 0, v5, s[16:17]
	v_lshrrev_b64 v[16:17], s40, v[16:17]
	; wave barrier
	v_and_b32_e32 v17, s45, v16
	v_mul_lo_u32 v16, v17, 36
	v_lshl_add_u32 v30, v18, 2, v16
	v_and_b32_e32 v16, 1, v17
	v_add_co_u32_e64 v27, s[16:17], -1, v16
	v_addc_co_u32_e64 v29, s[16:17], 0, -1, s[16:17]
	v_cmp_ne_u32_e64 s[16:17], 0, v16
	v_xor_b32_e32 v16, s17, v29
	v_and_b32_e32 v29, exec_hi, v16
	v_lshlrev_b32_e32 v16, 30, v17
	v_xor_b32_e32 v27, s16, v27
	v_cmp_gt_i64_e64 s[16:17], 0, v[15:16]
	v_not_b32_e32 v16, v16
	v_ashrrev_i32_e32 v16, 31, v16
	v_and_b32_e32 v27, exec_lo, v27
	v_xor_b32_e32 v31, s17, v16
	v_xor_b32_e32 v16, s16, v16
	v_and_b32_e32 v27, v27, v16
	v_lshlrev_b32_e32 v16, 29, v17
	v_cmp_gt_i64_e64 s[16:17], 0, v[15:16]
	v_not_b32_e32 v16, v16
	v_ashrrev_i32_e32 v16, 31, v16
	v_and_b32_e32 v29, v29, v31
	v_xor_b32_e32 v31, s17, v16
	v_xor_b32_e32 v16, s16, v16
	v_and_b32_e32 v27, v27, v16
	v_lshlrev_b32_e32 v16, 28, v17
	v_cmp_gt_i64_e64 s[16:17], 0, v[15:16]
	v_not_b32_e32 v16, v16
	v_ashrrev_i32_e32 v16, 31, v16
	v_and_b32_e32 v29, v29, v31
	v_xor_b32_e32 v31, s17, v16
	v_xor_b32_e32 v16, s16, v16
	v_and_b32_e32 v27, v27, v16
	v_lshlrev_b32_e32 v16, 27, v17
	v_cmp_gt_i64_e64 s[16:17], 0, v[15:16]
	v_not_b32_e32 v16, v16
	v_ashrrev_i32_e32 v16, 31, v16
	v_and_b32_e32 v29, v29, v31
	v_xor_b32_e32 v31, s17, v16
	v_xor_b32_e32 v16, s16, v16
	v_and_b32_e32 v27, v27, v16
	v_lshlrev_b32_e32 v16, 26, v17
	v_cmp_gt_i64_e64 s[16:17], 0, v[15:16]
	v_not_b32_e32 v16, v16
	v_ashrrev_i32_e32 v16, 31, v16
	v_and_b32_e32 v29, v29, v31
	v_xor_b32_e32 v31, s17, v16
	v_xor_b32_e32 v16, s16, v16
	v_and_b32_e32 v27, v27, v16
	v_lshlrev_b32_e32 v16, 25, v17
	v_cmp_gt_i64_e64 s[16:17], 0, v[15:16]
	v_not_b32_e32 v16, v16
	v_ashrrev_i32_e32 v16, 31, v16
	v_and_b32_e32 v29, v29, v31
	v_xor_b32_e32 v31, s17, v16
	v_xor_b32_e32 v16, s16, v16
	v_and_b32_e32 v27, v27, v16
	v_lshlrev_b32_e32 v16, 24, v17
	v_cmp_gt_i64_e64 s[16:17], 0, v[15:16]
	v_not_b32_e32 v15, v16
	v_ashrrev_i32_e32 v15, 31, v15
	v_xor_b32_e32 v16, s17, v15
	v_xor_b32_e32 v15, s16, v15
	ds_read_b32 v26, v30 offset:32
	v_and_b32_e32 v29, v29, v31
	v_and_b32_e32 v15, v27, v15
	;; [unrolled: 1-line block ×3, first 2 shown]
	v_mbcnt_lo_u32_b32 v17, v15, 0
	v_mbcnt_hi_u32_b32 v27, v16, v17
	v_cmp_ne_u64_e64 s[16:17], 0, v[15:16]
	v_cmp_eq_u32_e64 s[18:19], 0, v27
	s_and_b64 s[18:19], s[16:17], s[18:19]
	; wave barrier
	s_and_saveexec_b64 s[16:17], s[18:19]
	s_cbranch_execz .LBB1646_17
; %bb.16:
	v_bcnt_u32_b32 v15, v15, 0
	v_bcnt_u32_b32 v15, v16, v15
	s_waitcnt lgkmcnt(0)
	v_add_u32_e32 v15, v26, v15
	ds_write_b32 v30, v15 offset:32
.LBB1646_17:
	s_or_b64 exec, exec, s[16:17]
	v_cmp_lt_i64_e64 s[16:17], -1, v[7:8]
	v_bfrev_b32_e32 v32, 1
	v_cndmask_b32_e64 v15, -1, v32, s[16:17]
	v_ashrrev_i32_e32 v16, 31, v8
	v_xor_b32_e32 v8, v15, v8
	v_xor_b32_e32 v7, v16, v7
	v_cmp_ne_u64_e64 s[16:17], s[22:23], v[7:8]
	v_cndmask_b32_e64 v16, v32, v8, s[16:17]
	v_cndmask_b32_e64 v15, 0, v7, s[16:17]
	v_lshrrev_b64 v[15:16], s40, v[15:16]
	; wave barrier
	v_and_b32_e32 v17, s45, v15
	v_and_b32_e32 v16, 1, v17
	v_mul_lo_u32 v15, v17, 36
	v_add_co_u32_e64 v31, s[16:17], -1, v16
	v_addc_co_u32_e64 v34, s[16:17], 0, -1, s[16:17]
	v_cmp_ne_u32_e64 s[16:17], 0, v16
	v_xor_b32_e32 v16, s17, v34
	v_lshl_add_u32 v33, v18, 2, v15
	v_mov_b32_e32 v15, 0
	v_and_b32_e32 v34, exec_hi, v16
	v_lshlrev_b32_e32 v16, 30, v17
	v_xor_b32_e32 v31, s16, v31
	v_cmp_gt_i64_e64 s[16:17], 0, v[15:16]
	v_not_b32_e32 v16, v16
	v_ashrrev_i32_e32 v16, 31, v16
	v_and_b32_e32 v31, exec_lo, v31
	v_xor_b32_e32 v35, s17, v16
	v_xor_b32_e32 v16, s16, v16
	v_and_b32_e32 v31, v31, v16
	v_lshlrev_b32_e32 v16, 29, v17
	v_cmp_gt_i64_e64 s[16:17], 0, v[15:16]
	v_not_b32_e32 v16, v16
	v_ashrrev_i32_e32 v16, 31, v16
	v_and_b32_e32 v34, v34, v35
	v_xor_b32_e32 v35, s17, v16
	v_xor_b32_e32 v16, s16, v16
	v_and_b32_e32 v31, v31, v16
	v_lshlrev_b32_e32 v16, 28, v17
	v_cmp_gt_i64_e64 s[16:17], 0, v[15:16]
	v_not_b32_e32 v16, v16
	v_ashrrev_i32_e32 v16, 31, v16
	v_and_b32_e32 v34, v34, v35
	;; [unrolled: 8-line block ×5, first 2 shown]
	v_xor_b32_e32 v35, s17, v16
	v_xor_b32_e32 v16, s16, v16
	v_and_b32_e32 v31, v31, v16
	v_lshlrev_b32_e32 v16, 24, v17
	v_cmp_gt_i64_e64 s[16:17], 0, v[15:16]
	v_not_b32_e32 v16, v16
	v_ashrrev_i32_e32 v16, 31, v16
	v_xor_b32_e32 v17, s17, v16
	v_xor_b32_e32 v16, s16, v16
	ds_read_b32 v29, v33 offset:32
	v_and_b32_e32 v34, v34, v35
	v_and_b32_e32 v16, v31, v16
	;; [unrolled: 1-line block ×3, first 2 shown]
	v_mbcnt_lo_u32_b32 v31, v16, 0
	v_mbcnt_hi_u32_b32 v31, v17, v31
	v_cmp_ne_u64_e64 s[16:17], 0, v[16:17]
	v_cmp_eq_u32_e64 s[18:19], 0, v31
	s_and_b64 s[18:19], s[16:17], s[18:19]
	; wave barrier
	s_and_saveexec_b64 s[16:17], s[18:19]
	s_cbranch_execz .LBB1646_19
; %bb.18:
	v_bcnt_u32_b32 v16, v16, 0
	v_bcnt_u32_b32 v16, v17, v16
	s_waitcnt lgkmcnt(0)
	v_add_u32_e32 v16, v29, v16
	ds_write_b32 v33, v16 offset:32
.LBB1646_19:
	s_or_b64 exec, exec, s[16:17]
	v_cmp_lt_i64_e64 s[16:17], -1, v[9:10]
	v_ashrrev_i32_e32 v17, 31, v10
	v_cndmask_b32_e64 v16, -1, v32, s[16:17]
	v_xor_b32_e32 v10, v16, v10
	v_xor_b32_e32 v9, v17, v9
	v_cmp_ne_u64_e64 s[16:17], s[22:23], v[9:10]
	v_cndmask_b32_e64 v17, v32, v10, s[16:17]
	v_cndmask_b32_e64 v16, 0, v9, s[16:17]
	v_lshrrev_b64 v[16:17], s40, v[16:17]
	; wave barrier
	v_and_b32_e32 v17, s45, v16
	v_mul_lo_u32 v16, v17, 36
	v_lshl_add_u32 v36, v18, 2, v16
	v_and_b32_e32 v16, 1, v17
	v_add_co_u32_e64 v34, s[16:17], -1, v16
	v_addc_co_u32_e64 v35, s[16:17], 0, -1, s[16:17]
	v_cmp_ne_u32_e64 s[16:17], 0, v16
	v_xor_b32_e32 v16, s17, v35
	v_and_b32_e32 v35, exec_hi, v16
	v_lshlrev_b32_e32 v16, 30, v17
	v_xor_b32_e32 v34, s16, v34
	v_cmp_gt_i64_e64 s[16:17], 0, v[15:16]
	v_not_b32_e32 v16, v16
	v_ashrrev_i32_e32 v16, 31, v16
	v_and_b32_e32 v34, exec_lo, v34
	v_xor_b32_e32 v37, s17, v16
	v_xor_b32_e32 v16, s16, v16
	v_and_b32_e32 v34, v34, v16
	v_lshlrev_b32_e32 v16, 29, v17
	v_cmp_gt_i64_e64 s[16:17], 0, v[15:16]
	v_not_b32_e32 v16, v16
	v_ashrrev_i32_e32 v16, 31, v16
	v_and_b32_e32 v35, v35, v37
	v_xor_b32_e32 v37, s17, v16
	v_xor_b32_e32 v16, s16, v16
	v_and_b32_e32 v34, v34, v16
	v_lshlrev_b32_e32 v16, 28, v17
	v_cmp_gt_i64_e64 s[16:17], 0, v[15:16]
	v_not_b32_e32 v16, v16
	v_ashrrev_i32_e32 v16, 31, v16
	v_and_b32_e32 v35, v35, v37
	;; [unrolled: 8-line block ×5, first 2 shown]
	v_xor_b32_e32 v37, s17, v16
	v_xor_b32_e32 v16, s16, v16
	v_and_b32_e32 v34, v34, v16
	v_lshlrev_b32_e32 v16, 24, v17
	v_cmp_gt_i64_e64 s[16:17], 0, v[15:16]
	v_not_b32_e32 v15, v16
	v_ashrrev_i32_e32 v15, 31, v15
	v_xor_b32_e32 v16, s17, v15
	v_xor_b32_e32 v15, s16, v15
	ds_read_b32 v32, v36 offset:32
	v_and_b32_e32 v35, v35, v37
	v_and_b32_e32 v15, v34, v15
	;; [unrolled: 1-line block ×3, first 2 shown]
	v_mbcnt_lo_u32_b32 v17, v15, 0
	v_mbcnt_hi_u32_b32 v34, v16, v17
	v_cmp_ne_u64_e64 s[16:17], 0, v[15:16]
	v_cmp_eq_u32_e64 s[18:19], 0, v34
	s_and_b64 s[18:19], s[16:17], s[18:19]
	; wave barrier
	s_and_saveexec_b64 s[16:17], s[18:19]
	s_cbranch_execz .LBB1646_21
; %bb.20:
	v_bcnt_u32_b32 v15, v15, 0
	v_bcnt_u32_b32 v15, v16, v15
	s_waitcnt lgkmcnt(0)
	v_add_u32_e32 v15, v32, v15
	ds_write_b32 v36, v15 offset:32
.LBB1646_21:
	s_or_b64 exec, exec, s[16:17]
	v_cmp_lt_i64_e64 s[16:17], -1, v[13:14]
	v_bfrev_b32_e32 v38, 1
	v_cndmask_b32_e64 v15, -1, v38, s[16:17]
	v_ashrrev_i32_e32 v16, 31, v14
	v_xor_b32_e32 v14, v15, v14
	v_xor_b32_e32 v13, v16, v13
	v_cmp_ne_u64_e64 s[16:17], s[22:23], v[13:14]
	v_cndmask_b32_e64 v16, v38, v14, s[16:17]
	v_cndmask_b32_e64 v15, 0, v13, s[16:17]
	v_lshrrev_b64 v[15:16], s40, v[15:16]
	; wave barrier
	v_and_b32_e32 v17, s45, v15
	v_and_b32_e32 v16, 1, v17
	v_mul_lo_u32 v15, v17, 36
	v_add_co_u32_e64 v37, s[16:17], -1, v16
	v_addc_co_u32_e64 v40, s[16:17], 0, -1, s[16:17]
	v_cmp_ne_u32_e64 s[16:17], 0, v16
	v_xor_b32_e32 v16, s17, v40
	v_lshl_add_u32 v39, v18, 2, v15
	v_mov_b32_e32 v15, 0
	v_and_b32_e32 v40, exec_hi, v16
	v_lshlrev_b32_e32 v16, 30, v17
	v_xor_b32_e32 v37, s16, v37
	v_cmp_gt_i64_e64 s[16:17], 0, v[15:16]
	v_not_b32_e32 v16, v16
	v_ashrrev_i32_e32 v16, 31, v16
	v_and_b32_e32 v37, exec_lo, v37
	v_xor_b32_e32 v41, s17, v16
	v_xor_b32_e32 v16, s16, v16
	v_and_b32_e32 v37, v37, v16
	v_lshlrev_b32_e32 v16, 29, v17
	v_cmp_gt_i64_e64 s[16:17], 0, v[15:16]
	v_not_b32_e32 v16, v16
	v_ashrrev_i32_e32 v16, 31, v16
	v_and_b32_e32 v40, v40, v41
	v_xor_b32_e32 v41, s17, v16
	v_xor_b32_e32 v16, s16, v16
	v_and_b32_e32 v37, v37, v16
	v_lshlrev_b32_e32 v16, 28, v17
	v_cmp_gt_i64_e64 s[16:17], 0, v[15:16]
	v_not_b32_e32 v16, v16
	v_ashrrev_i32_e32 v16, 31, v16
	v_and_b32_e32 v40, v40, v41
	;; [unrolled: 8-line block ×5, first 2 shown]
	v_xor_b32_e32 v41, s17, v16
	v_xor_b32_e32 v16, s16, v16
	v_and_b32_e32 v37, v37, v16
	v_lshlrev_b32_e32 v16, 24, v17
	v_cmp_gt_i64_e64 s[16:17], 0, v[15:16]
	v_not_b32_e32 v16, v16
	v_ashrrev_i32_e32 v16, 31, v16
	v_xor_b32_e32 v17, s17, v16
	v_xor_b32_e32 v16, s16, v16
	ds_read_b32 v35, v39 offset:32
	v_and_b32_e32 v40, v40, v41
	v_and_b32_e32 v16, v37, v16
	;; [unrolled: 1-line block ×3, first 2 shown]
	v_mbcnt_lo_u32_b32 v37, v16, 0
	v_mbcnt_hi_u32_b32 v37, v17, v37
	v_cmp_ne_u64_e64 s[16:17], 0, v[16:17]
	v_cmp_eq_u32_e64 s[18:19], 0, v37
	s_and_b64 s[18:19], s[16:17], s[18:19]
	; wave barrier
	s_and_saveexec_b64 s[16:17], s[18:19]
	s_cbranch_execz .LBB1646_23
; %bb.22:
	v_bcnt_u32_b32 v16, v16, 0
	v_bcnt_u32_b32 v16, v17, v16
	s_waitcnt lgkmcnt(0)
	v_add_u32_e32 v16, v35, v16
	ds_write_b32 v39, v16 offset:32
.LBB1646_23:
	s_or_b64 exec, exec, s[16:17]
	v_cmp_lt_i64_e64 s[16:17], -1, v[11:12]
	s_mov_b32 s18, -1
	v_cndmask_b32_e64 v16, -1, v38, s[16:17]
	v_ashrrev_i32_e32 v17, 31, v12
	s_brev_b32 s19, -2
	v_xor_b32_e32 v12, v16, v12
	v_xor_b32_e32 v11, v17, v11
	v_cmp_ne_u64_e64 s[16:17], s[18:19], v[11:12]
	v_cndmask_b32_e64 v17, v38, v12, s[16:17]
	v_cndmask_b32_e64 v16, 0, v11, s[16:17]
	v_lshrrev_b64 v[16:17], s40, v[16:17]
	; wave barrier
	v_and_b32_e32 v17, s45, v16
	v_mul_lo_u32 v16, v17, 36
	v_lshl_add_u32 v41, v18, 2, v16
	v_and_b32_e32 v16, 1, v17
	v_add_co_u32_e64 v18, s[16:17], -1, v16
	v_addc_co_u32_e64 v40, s[16:17], 0, -1, s[16:17]
	v_cmp_ne_u32_e64 s[16:17], 0, v16
	v_xor_b32_e32 v16, s17, v40
	v_and_b32_e32 v40, exec_hi, v16
	v_lshlrev_b32_e32 v16, 30, v17
	v_xor_b32_e32 v18, s16, v18
	v_cmp_gt_i64_e64 s[16:17], 0, v[15:16]
	v_not_b32_e32 v16, v16
	v_ashrrev_i32_e32 v16, 31, v16
	v_and_b32_e32 v18, exec_lo, v18
	v_xor_b32_e32 v42, s17, v16
	v_xor_b32_e32 v16, s16, v16
	v_and_b32_e32 v18, v18, v16
	v_lshlrev_b32_e32 v16, 29, v17
	v_cmp_gt_i64_e64 s[16:17], 0, v[15:16]
	v_not_b32_e32 v16, v16
	v_ashrrev_i32_e32 v16, 31, v16
	v_and_b32_e32 v40, v40, v42
	v_xor_b32_e32 v42, s17, v16
	v_xor_b32_e32 v16, s16, v16
	v_and_b32_e32 v18, v18, v16
	v_lshlrev_b32_e32 v16, 28, v17
	v_cmp_gt_i64_e64 s[16:17], 0, v[15:16]
	v_not_b32_e32 v16, v16
	v_ashrrev_i32_e32 v16, 31, v16
	v_and_b32_e32 v40, v40, v42
	;; [unrolled: 8-line block ×5, first 2 shown]
	v_xor_b32_e32 v42, s17, v16
	v_xor_b32_e32 v16, s16, v16
	v_and_b32_e32 v18, v18, v16
	v_lshlrev_b32_e32 v16, 24, v17
	v_cmp_gt_i64_e64 s[16:17], 0, v[15:16]
	v_not_b32_e32 v15, v16
	v_ashrrev_i32_e32 v15, 31, v15
	v_xor_b32_e32 v16, s17, v15
	v_xor_b32_e32 v15, s16, v15
	ds_read_b32 v38, v41 offset:32
	v_and_b32_e32 v40, v40, v42
	v_and_b32_e32 v15, v18, v15
	;; [unrolled: 1-line block ×3, first 2 shown]
	v_mbcnt_lo_u32_b32 v17, v15, 0
	v_mbcnt_hi_u32_b32 v40, v16, v17
	v_cmp_ne_u64_e64 s[16:17], 0, v[15:16]
	v_cmp_eq_u32_e64 s[18:19], 0, v40
	s_and_b64 s[18:19], s[16:17], s[18:19]
	; wave barrier
	s_and_saveexec_b64 s[16:17], s[18:19]
	s_cbranch_execz .LBB1646_25
; %bb.24:
	v_bcnt_u32_b32 v15, v15, 0
	v_bcnt_u32_b32 v15, v16, v15
	s_waitcnt lgkmcnt(0)
	v_add_u32_e32 v15, v38, v15
	ds_write_b32 v41, v15 offset:32
.LBB1646_25:
	s_or_b64 exec, exec, s[16:17]
	; wave barrier
	s_waitcnt lgkmcnt(0)
	s_barrier
	ds_read2_b32 v[17:18], v25 offset0:8 offset1:9
	ds_read2_b32 v[15:16], v25 offset0:10 offset1:11
	ds_read_b32 v42, v25 offset:48
	v_min_u32_e32 v20, 0x1c0, v20
	v_or_b32_e32 v20, 63, v20
	s_waitcnt lgkmcnt(1)
	v_add3_u32 v43, v18, v17, v15
	s_waitcnt lgkmcnt(0)
	v_add3_u32 v42, v43, v16, v42
	v_and_b32_e32 v43, 15, v19
	v_cmp_ne_u32_e64 s[16:17], 0, v43
	v_mov_b32_dpp v44, v42 row_shr:1 row_mask:0xf bank_mask:0xf
	v_cndmask_b32_e64 v44, 0, v44, s[16:17]
	v_add_u32_e32 v42, v44, v42
	v_cmp_lt_u32_e64 s[16:17], 1, v43
	s_nop 0
	v_mov_b32_dpp v44, v42 row_shr:2 row_mask:0xf bank_mask:0xf
	v_cndmask_b32_e64 v44, 0, v44, s[16:17]
	v_add_u32_e32 v42, v42, v44
	v_cmp_lt_u32_e64 s[16:17], 3, v43
	s_nop 0
	;; [unrolled: 5-line block ×3, first 2 shown]
	v_mov_b32_dpp v44, v42 row_shr:8 row_mask:0xf bank_mask:0xf
	v_cndmask_b32_e64 v43, 0, v44, s[16:17]
	v_add_u32_e32 v42, v42, v43
	v_bfe_i32 v44, v19, 4, 1
	v_cmp_lt_u32_e64 s[16:17], 31, v19
	v_mov_b32_dpp v43, v42 row_bcast:15 row_mask:0xf bank_mask:0xf
	v_and_b32_e32 v43, v44, v43
	v_add_u32_e32 v42, v42, v43
	s_nop 1
	v_mov_b32_dpp v43, v42 row_bcast:31 row_mask:0xf bank_mask:0xf
	v_cndmask_b32_e64 v43, 0, v43, s[16:17]
	v_add_u32_e32 v42, v42, v43
	v_lshrrev_b32_e32 v43, 6, v0
	v_cmp_eq_u32_e64 s[16:17], v0, v20
	s_and_saveexec_b64 s[18:19], s[16:17]
; %bb.26:
	v_lshlrev_b32_e32 v20, 2, v43
	ds_write_b32 v20, v42
; %bb.27:
	s_or_b64 exec, exec, s[18:19]
	v_cmp_gt_u32_e64 s[16:17], 8, v0
	s_waitcnt lgkmcnt(0)
	s_barrier
	s_and_saveexec_b64 s[18:19], s[16:17]
	s_cbranch_execz .LBB1646_29
; %bb.28:
	v_lshlrev_b32_e32 v20, 2, v0
	ds_read_b32 v44, v20
	v_and_b32_e32 v45, 7, v19
	v_cmp_ne_u32_e64 s[16:17], 0, v45
	s_waitcnt lgkmcnt(0)
	v_mov_b32_dpp v46, v44 row_shr:1 row_mask:0xf bank_mask:0xf
	v_cndmask_b32_e64 v46, 0, v46, s[16:17]
	v_add_u32_e32 v44, v46, v44
	v_cmp_lt_u32_e64 s[16:17], 1, v45
	s_nop 0
	v_mov_b32_dpp v46, v44 row_shr:2 row_mask:0xf bank_mask:0xf
	v_cndmask_b32_e64 v46, 0, v46, s[16:17]
	v_add_u32_e32 v44, v44, v46
	v_cmp_lt_u32_e64 s[16:17], 3, v45
	s_nop 0
	v_mov_b32_dpp v46, v44 row_shr:4 row_mask:0xf bank_mask:0xf
	v_cndmask_b32_e64 v45, 0, v46, s[16:17]
	v_add_u32_e32 v44, v44, v45
	ds_write_b32 v20, v44
.LBB1646_29:
	s_or_b64 exec, exec, s[18:19]
	v_cmp_lt_u32_e64 s[16:17], 63, v0
	v_mov_b32_e32 v20, 0
	s_waitcnt lgkmcnt(0)
	s_barrier
	s_and_saveexec_b64 s[18:19], s[16:17]
; %bb.30:
	v_lshl_add_u32 v20, v43, 2, -4
	ds_read_b32 v20, v20
; %bb.31:
	s_or_b64 exec, exec, s[18:19]
	v_subrev_co_u32_e64 v43, s[16:17], 1, v19
	v_and_b32_e32 v44, 64, v19
	v_cmp_lt_i32_e64 s[18:19], v43, v44
	v_cndmask_b32_e64 v19, v43, v19, s[18:19]
	s_waitcnt lgkmcnt(0)
	v_add_u32_e32 v42, v20, v42
	v_lshlrev_b32_e32 v19, 2, v19
	ds_bpermute_b32 v19, v19, v42
	s_movk_i32 s22, 0x100
	v_cmp_gt_u32_e64 s[18:19], s22, v0
	s_waitcnt lgkmcnt(0)
	v_cndmask_b32_e64 v19, v19, v20, s[16:17]
	v_cmp_ne_u32_e64 s[16:17], 0, v0
	v_cndmask_b32_e64 v19, 0, v19, s[16:17]
	v_add_u32_e32 v17, v19, v17
	v_add_u32_e32 v18, v17, v18
	;; [unrolled: 1-line block ×4, first 2 shown]
	ds_write2_b32 v25, v19, v17 offset0:8 offset1:9
	ds_write2_b32 v25, v18, v15 offset0:10 offset1:11
	ds_write_b32 v25, v16 offset:48
	s_waitcnt lgkmcnt(0)
	s_barrier
	ds_read_b32 v43, v28 offset:32
	ds_read_b32 v42, v30 offset:32
	;; [unrolled: 1-line block ×6, first 2 shown]
	s_movk_i32 s16, 0xff
	v_cmp_lt_u32_e64 s[16:17], s16, v0
                                        ; implicit-def: $vgpr25
                                        ; implicit-def: $vgpr28
	s_and_saveexec_b64 s[46:47], s[18:19]
	s_cbranch_execz .LBB1646_35
; %bb.32:
	v_mul_u32_u24_e32 v15, 36, v0
	ds_read_b32 v25, v15 offset:32
	v_add_u32_e32 v16, 1, v0
	v_cmp_ne_u32_e64 s[22:23], s22, v16
	v_mov_b32_e32 v15, 0xc00
	s_and_saveexec_b64 s[48:49], s[22:23]
; %bb.33:
	v_mul_u32_u24_e32 v15, 36, v16
	ds_read_b32 v15, v15 offset:32
; %bb.34:
	s_or_b64 exec, exec, s[48:49]
	s_waitcnt lgkmcnt(0)
	v_sub_u32_e32 v28, v15, v25
.LBB1646_35:
	s_or_b64 exec, exec, s[46:47]
	v_mov_b32_e32 v16, 0
	v_lshlrev_b32_e32 v30, 2, v0
	s_waitcnt lgkmcnt(0)
	s_barrier
	s_and_saveexec_b64 s[22:23], s[18:19]
	s_cbranch_execz .LBB1646_45
; %bb.36:
	v_lshl_add_u32 v15, s6, 8, v0
	v_lshlrev_b64 v[17:18], 2, v[15:16]
	v_mov_b32_e32 v44, s35
	v_add_co_u32_e64 v17, s[18:19], s34, v17
	v_addc_co_u32_e64 v18, s[18:19], v44, v18, s[18:19]
	v_or_b32_e32 v15, 2.0, v28
	s_mov_b64 s[46:47], 0
	s_brev_b32 s52, -4
	s_mov_b32 s53, s6
	v_mov_b32_e32 v45, 0
	global_store_dword v[17:18], v15, off
                                        ; implicit-def: $sgpr18_sgpr19
	s_branch .LBB1646_39
.LBB1646_37:                            ;   in Loop: Header=BB1646_39 Depth=1
	s_or_b64 exec, exec, s[50:51]
.LBB1646_38:                            ;   in Loop: Header=BB1646_39 Depth=1
	s_or_b64 exec, exec, s[48:49]
	v_and_b32_e32 v19, 0x3fffffff, v15
	v_add_u32_e32 v45, v19, v45
	v_cmp_gt_i32_e64 s[18:19], -2.0, v15
	s_and_b64 s[48:49], exec, s[18:19]
	s_or_b64 s[46:47], s[48:49], s[46:47]
	s_andn2_b64 exec, exec, s[46:47]
	s_cbranch_execz .LBB1646_44
.LBB1646_39:                            ; =>This Loop Header: Depth=1
                                        ;     Child Loop BB1646_42 Depth 2
	s_or_b64 s[18:19], s[18:19], exec
	s_cmp_eq_u32 s53, 0
	s_cbranch_scc1 .LBB1646_43
; %bb.40:                               ;   in Loop: Header=BB1646_39 Depth=1
	s_add_i32 s53, s53, -1
	v_lshl_or_b32 v15, s53, 8, v0
	v_lshlrev_b64 v[19:20], 2, v[15:16]
	v_add_co_u32_e64 v19, s[18:19], s34, v19
	v_addc_co_u32_e64 v20, s[18:19], v44, v20, s[18:19]
	global_load_dword v15, v[19:20], off glc
	s_waitcnt vmcnt(0)
	v_cmp_gt_u32_e64 s[18:19], 2.0, v15
	s_and_saveexec_b64 s[48:49], s[18:19]
	s_cbranch_execz .LBB1646_38
; %bb.41:                               ;   in Loop: Header=BB1646_39 Depth=1
	s_mov_b64 s[50:51], 0
.LBB1646_42:                            ;   Parent Loop BB1646_39 Depth=1
                                        ; =>  This Inner Loop Header: Depth=2
	global_load_dword v15, v[19:20], off glc
	s_waitcnt vmcnt(0)
	v_cmp_lt_u32_e64 s[18:19], s52, v15
	s_or_b64 s[50:51], s[18:19], s[50:51]
	s_andn2_b64 exec, exec, s[50:51]
	s_cbranch_execnz .LBB1646_42
	s_branch .LBB1646_37
.LBB1646_43:                            ;   in Loop: Header=BB1646_39 Depth=1
                                        ; implicit-def: $sgpr53
	s_and_b64 s[48:49], exec, s[18:19]
	s_or_b64 s[46:47], s[48:49], s[46:47]
	s_andn2_b64 exec, exec, s[46:47]
	s_cbranch_execnz .LBB1646_39
.LBB1646_44:
	s_or_b64 exec, exec, s[46:47]
	v_add_u32_e32 v15, v45, v28
	v_or_b32_e32 v15, 0x80000000, v15
	global_store_dword v[17:18], v15, off
	global_load_dword v15, v30, s[36:37]
	v_sub_u32_e32 v16, v45, v25
	s_waitcnt vmcnt(0)
	v_add_u32_e32 v15, v16, v15
	ds_write_b32 v30, v15
.LBB1646_45:
	s_or_b64 exec, exec, s[22:23]
	s_mov_b32 s22, -1
	v_add_u32_e32 v17, v43, v24
	v_add3_u32 v18, v40, v41, v38
	v_add3_u32 v19, v37, v39, v35
	;; [unrolled: 1-line block ×5, first 2 shown]
	s_mov_b32 s48, 0
	s_mov_b32 s49, 0
	v_add_u32_e32 v27, v30, v30
	s_brev_b32 s23, -2
	v_mov_b32_e32 v16, 0
	s_movk_i32 s50, 0x200
	v_bfrev_b32_e32 v29, 1
	v_mov_b32_e32 v31, v0
	s_branch .LBB1646_47
.LBB1646_46:                            ;   in Loop: Header=BB1646_47 Depth=1
	s_or_b64 exec, exec, s[46:47]
	s_addk_i32 s49, 0xfc00
	s_add_i32 s48, s48, 8
	s_cmpk_eq_i32 s49, 0xf400
	v_add_u32_e32 v31, 0x400, v31
	s_waitcnt vmcnt(0)
	s_barrier
	s_cbranch_scc1 .LBB1646_51
.LBB1646_47:                            ; =>This Inner Loop Header: Depth=1
	v_add_u32_e32 v15, s49, v17
	v_min_u32_e32 v15, 0x400, v15
	v_lshlrev_b32_e32 v15, 3, v15
	ds_write_b64 v15, v[3:4] offset:1024
	v_add_u32_e32 v15, s49, v26
	v_min_u32_e32 v15, 0x400, v15
	v_lshlrev_b32_e32 v15, 3, v15
	ds_write_b64 v15, v[5:6] offset:1024
	;; [unrolled: 4-line block ×5, first 2 shown]
	v_add_u32_e32 v15, s49, v18
	v_min_u32_e32 v15, 0x400, v15
	v_lshlrev_b32_e32 v15, 3, v15
	v_cmp_gt_u32_e64 s[18:19], s7, v31
	ds_write_b64 v15, v[11:12] offset:1024
	s_waitcnt lgkmcnt(0)
	s_barrier
	s_and_saveexec_b64 s[46:47], s[18:19]
	s_cbranch_execz .LBB1646_49
; %bb.48:                               ;   in Loop: Header=BB1646_47 Depth=1
	ds_read_b64 v[32:33], v27 offset:1024
	v_mov_b32_e32 v36, s27
	s_waitcnt lgkmcnt(0)
	v_cmp_ne_u64_e64 s[18:19], s[22:23], v[32:33]
	v_cndmask_b32_e64 v35, v29, v33, s[18:19]
	v_cndmask_b32_e64 v34, 0, v32, s[18:19]
	v_lshrrev_b64 v[34:35], s40, v[34:35]
	v_cmp_lt_i64_e64 s[18:19], -1, v[32:33]
	v_and_b32_e32 v37, s45, v34
	v_lshlrev_b32_e32 v34, 2, v37
	ds_read_b32 v34, v34
	v_cndmask_b32_e64 v15, v29, -1, s[18:19]
	v_ashrrev_i32_e32 v35, 31, v33
	v_not_b32_e32 v35, v35
	v_xor_b32_e32 v33, v15, v33
	s_waitcnt lgkmcnt(0)
	v_add_u32_e32 v15, v31, v34
	v_xor_b32_e32 v32, v35, v32
	v_lshlrev_b64 v[34:35], 3, v[15:16]
	v_mov_b32_e32 v15, s48
	v_add_co_u32_e64 v34, s[18:19], s26, v34
	v_addc_co_u32_e64 v35, s[18:19], v36, v35, s[18:19]
	global_store_dwordx2 v[34:35], v[32:33], off
	buffer_store_dword v37, v15, s[0:3], 0 offen
.LBB1646_49:                            ;   in Loop: Header=BB1646_47 Depth=1
	s_or_b64 exec, exec, s[46:47]
	v_add_u32_e32 v15, 0x200, v31
	v_cmp_gt_u32_e64 s[18:19], s7, v15
	s_and_saveexec_b64 s[46:47], s[18:19]
	s_cbranch_execz .LBB1646_46
; %bb.50:                               ;   in Loop: Header=BB1646_47 Depth=1
	ds_read_b64 v[32:33], v27 offset:5120
	v_mov_b32_e32 v36, s27
	s_waitcnt lgkmcnt(0)
	v_cmp_ne_u64_e64 s[18:19], s[22:23], v[32:33]
	v_cndmask_b32_e64 v35, v29, v33, s[18:19]
	v_cndmask_b32_e64 v34, 0, v32, s[18:19]
	v_lshrrev_b64 v[34:35], s40, v[34:35]
	v_cmp_lt_i64_e64 s[18:19], -1, v[32:33]
	v_and_b32_e32 v37, s45, v34
	v_lshlrev_b32_e32 v34, 2, v37
	ds_read_b32 v34, v34
	v_cndmask_b32_e64 v15, v29, -1, s[18:19]
	v_ashrrev_i32_e32 v35, 31, v33
	v_not_b32_e32 v35, v35
	v_xor_b32_e32 v33, v15, v33
	s_waitcnt lgkmcnt(0)
	v_add3_u32 v15, v31, v34, s50
	v_xor_b32_e32 v32, v35, v32
	v_lshlrev_b64 v[34:35], 3, v[15:16]
	v_mov_b32_e32 v15, s48
	v_add_co_u32_e64 v34, s[18:19], s26, v34
	v_addc_co_u32_e64 v35, s[18:19], v36, v35, s[18:19]
	global_store_dwordx2 v[34:35], v[32:33], off
	buffer_store_dword v37, v15, s[0:3], 0 offen offset:4
	s_branch .LBB1646_46
.LBB1646_51:
	s_add_u32 s18, s28, s42
	s_addc_u32 s19, s29, s43
	v_mov_b32_e32 v3, s19
	v_add_co_u32_e64 v4, s[18:19], s18, v22
	v_addc_co_u32_e64 v3, s[18:19], 0, v3, s[18:19]
	v_add_co_u32_e64 v15, s[18:19], v4, v23
	v_addc_co_u32_e64 v16, s[18:19], 0, v3, s[18:19]
                                        ; implicit-def: $vgpr3_vgpr4
	s_and_saveexec_b64 s[18:19], vcc
	s_cbranch_execz .LBB1646_57
; %bb.52:
	global_load_dwordx2 v[3:4], v[15:16], off
	s_or_b64 exec, exec, s[18:19]
                                        ; implicit-def: $vgpr5_vgpr6
	s_and_saveexec_b64 s[18:19], s[20:21]
	s_cbranch_execnz .LBB1646_58
.LBB1646_53:
	s_or_b64 exec, exec, s[18:19]
                                        ; implicit-def: $vgpr7_vgpr8
	s_and_saveexec_b64 s[18:19], s[8:9]
	s_cbranch_execz .LBB1646_59
.LBB1646_54:
	global_load_dwordx2 v[7:8], v[15:16], off offset:1024
	s_or_b64 exec, exec, s[18:19]
                                        ; implicit-def: $vgpr9_vgpr10
	s_and_saveexec_b64 s[8:9], s[10:11]
	s_cbranch_execnz .LBB1646_60
.LBB1646_55:
	s_or_b64 exec, exec, s[8:9]
                                        ; implicit-def: $vgpr11_vgpr12
	s_and_saveexec_b64 s[8:9], s[12:13]
	s_cbranch_execz .LBB1646_61
.LBB1646_56:
	global_load_dwordx2 v[11:12], v[15:16], off offset:2048
	s_or_b64 exec, exec, s[8:9]
                                        ; implicit-def: $vgpr13_vgpr14
	s_and_saveexec_b64 s[8:9], s[14:15]
	s_cbranch_execnz .LBB1646_62
	s_branch .LBB1646_63
.LBB1646_57:
	s_or_b64 exec, exec, s[18:19]
                                        ; implicit-def: $vgpr5_vgpr6
	s_and_saveexec_b64 s[18:19], s[20:21]
	s_cbranch_execz .LBB1646_53
.LBB1646_58:
	global_load_dwordx2 v[5:6], v[15:16], off offset:512
	s_or_b64 exec, exec, s[18:19]
                                        ; implicit-def: $vgpr7_vgpr8
	s_and_saveexec_b64 s[18:19], s[8:9]
	s_cbranch_execnz .LBB1646_54
.LBB1646_59:
	s_or_b64 exec, exec, s[18:19]
                                        ; implicit-def: $vgpr9_vgpr10
	s_and_saveexec_b64 s[8:9], s[10:11]
	s_cbranch_execz .LBB1646_55
.LBB1646_60:
	global_load_dwordx2 v[9:10], v[15:16], off offset:1536
	s_or_b64 exec, exec, s[8:9]
                                        ; implicit-def: $vgpr11_vgpr12
	s_and_saveexec_b64 s[8:9], s[12:13]
	s_cbranch_execnz .LBB1646_56
.LBB1646_61:
	s_or_b64 exec, exec, s[8:9]
                                        ; implicit-def: $vgpr13_vgpr14
	s_and_saveexec_b64 s[8:9], s[14:15]
	s_cbranch_execz .LBB1646_63
.LBB1646_62:
	global_load_dwordx2 v[13:14], v[15:16], off offset:2560
.LBB1646_63:
	s_or_b64 exec, exec, s[8:9]
	s_mov_b32 s10, 0
	s_mov_b32 s11, 0
	v_mov_b32_e32 v16, 0
	s_movk_i32 s12, 0x200
	v_mov_b32_e32 v22, v0
	s_branch .LBB1646_65
.LBB1646_64:                            ;   in Loop: Header=BB1646_65 Depth=1
	s_or_b64 exec, exec, s[8:9]
	s_addk_i32 s11, 0xfc00
	s_add_i32 s10, s10, 8
	s_cmpk_eq_i32 s11, 0xf400
	v_add_u32_e32 v22, 0x400, v22
	s_waitcnt vmcnt(0)
	s_barrier
	s_cbranch_scc1 .LBB1646_69
.LBB1646_65:                            ; =>This Inner Loop Header: Depth=1
	v_add_u32_e32 v15, s11, v17
	v_min_u32_e32 v15, 0x400, v15
	v_lshlrev_b32_e32 v15, 3, v15
	s_waitcnt vmcnt(0)
	ds_write_b64 v15, v[3:4] offset:1024
	v_add_u32_e32 v15, s11, v26
	v_min_u32_e32 v15, 0x400, v15
	v_lshlrev_b32_e32 v15, 3, v15
	ds_write_b64 v15, v[5:6] offset:1024
	v_add_u32_e32 v15, s11, v24
	v_min_u32_e32 v15, 0x400, v15
	v_lshlrev_b32_e32 v15, 3, v15
	;; [unrolled: 4-line block ×5, first 2 shown]
	v_cmp_gt_u32_e32 vcc, s7, v22
	ds_write_b64 v15, v[13:14] offset:1024
	s_waitcnt lgkmcnt(0)
	s_barrier
	s_and_saveexec_b64 s[8:9], vcc
	s_cbranch_execz .LBB1646_67
; %bb.66:                               ;   in Loop: Header=BB1646_65 Depth=1
	v_mov_b32_e32 v15, s10
	buffer_load_dword v15, v15, s[0:3], 0 offen
	v_mov_b32_e32 v23, s31
	s_waitcnt vmcnt(0)
	v_lshlrev_b32_e32 v15, 2, v15
	ds_read_b32 v15, v15
	ds_read_b64 v[31:32], v27 offset:1024
	s_waitcnt lgkmcnt(1)
	v_add_u32_e32 v15, v22, v15
	v_lshlrev_b64 v[33:34], 3, v[15:16]
	v_add_co_u32_e32 v33, vcc, s30, v33
	v_addc_co_u32_e32 v34, vcc, v23, v34, vcc
	s_waitcnt lgkmcnt(0)
	global_store_dwordx2 v[33:34], v[31:32], off
.LBB1646_67:                            ;   in Loop: Header=BB1646_65 Depth=1
	s_or_b64 exec, exec, s[8:9]
	v_add_u32_e32 v15, 0x200, v22
	v_cmp_gt_u32_e32 vcc, s7, v15
	s_and_saveexec_b64 s[8:9], vcc
	s_cbranch_execz .LBB1646_64
; %bb.68:                               ;   in Loop: Header=BB1646_65 Depth=1
	v_mov_b32_e32 v15, s10
	buffer_load_dword v15, v15, s[0:3], 0 offen offset:4
	v_mov_b32_e32 v23, s31
	s_waitcnt vmcnt(0)
	v_lshlrev_b32_e32 v15, 2, v15
	ds_read_b32 v15, v15
	ds_read_b64 v[31:32], v27 offset:5120
	s_waitcnt lgkmcnt(1)
	v_add3_u32 v15, v22, v15, s12
	v_lshlrev_b64 v[33:34], 3, v[15:16]
	v_add_co_u32_e32 v33, vcc, s30, v33
	v_addc_co_u32_e32 v34, vcc, v23, v34, vcc
	s_waitcnt lgkmcnt(0)
	global_store_dwordx2 v[33:34], v[31:32], off
	s_branch .LBB1646_64
.LBB1646_69:
	s_add_i32 s33, s33, -1
	s_cmp_eq_u32 s6, s33
	s_cselect_b64 s[8:9], -1, 0
	s_xor_b64 s[10:11], s[16:17], -1
	s_and_b64 s[10:11], s[10:11], s[8:9]
	s_and_saveexec_b64 s[8:9], s[10:11]
	s_cbranch_execz .LBB1646_71
; %bb.70:
	ds_read_b32 v3, v30
	s_waitcnt lgkmcnt(0)
	v_add3_u32 v3, v25, v28, v3
	global_store_dword v30, v3, s[38:39]
.LBB1646_71:
	s_or_b64 exec, exec, s[8:9]
	s_mov_b64 s[8:9], 0
.LBB1646_72:
	s_and_b64 vcc, exec, s[8:9]
	s_cbranch_vccz .LBB1646_111
; %bb.73:
	s_mov_b32 s45, 0
	s_lshl_b64 s[12:13], s[44:45], 3
	v_mbcnt_hi_u32_b32 v17, -1, v21
	s_add_u32 s7, s24, s12
	v_and_b32_e32 v3, 63, v17
	s_addc_u32 s8, s25, s13
	v_and_b32_e32 v18, 0x1c0, v0
	v_lshlrev_b32_e32 v19, 3, v3
	v_mul_u32_u24_e32 v4, 6, v18
	v_mov_b32_e32 v3, s8
	v_add_co_u32_e32 v5, vcc, s7, v19
	v_addc_co_u32_e32 v6, vcc, 0, v3, vcc
	v_lshlrev_b32_e32 v20, 3, v4
	v_add_co_u32_e32 v3, vcc, v5, v20
	v_addc_co_u32_e32 v4, vcc, 0, v6, vcc
	global_load_dwordx2 v[23:24], v[3:4], off
	s_load_dword s7, s[4:5], 0x58
	s_load_dword s8, s[4:5], 0x64
	s_add_u32 s4, s4, 0x58
	s_addc_u32 s5, s5, 0
	v_mov_b32_e32 v13, 0
	global_load_dwordx2 v[15:16], v[3:4], off offset:512
	global_load_dwordx2 v[5:6], v[3:4], off offset:1024
	;; [unrolled: 1-line block ×3, first 2 shown]
	s_waitcnt lgkmcnt(0)
	s_lshr_b32 s14, s8, 16
	s_cmp_lt_u32 s6, s7
	s_cselect_b32 s8, 12, 18
	s_add_u32 s4, s4, s8
	s_addc_u32 s5, s5, 0
	global_load_ushort v21, v13, s[4:5]
	global_load_dwordx2 v[9:10], v[3:4], off offset:2048
	global_load_dwordx2 v[11:12], v[3:4], off offset:2560
	v_bfrev_b32_e32 v22, 1
	s_mov_b32 s10, -1
	s_brev_b32 s11, -2
	s_lshl_b32 s4, -1, s41
	s_not_b32 s18, s4
	v_mad_u32_u24 v1, v2, s14, v1
	s_waitcnt vmcnt(6)
	v_cmp_lt_i64_e32 vcc, -1, v[23:24]
	v_ashrrev_i32_e32 v14, 31, v24
	v_cndmask_b32_e32 v3, -1, v22, vcc
	v_xor_b32_e32 v4, v3, v24
	v_xor_b32_e32 v3, v14, v23
	v_cmp_ne_u64_e32 vcc, s[10:11], v[3:4]
	v_cndmask_b32_e32 v24, v22, v4, vcc
	v_cndmask_b32_e32 v23, 0, v3, vcc
	v_lshrrev_b64 v[23:24], s40, v[23:24]
	v_and_b32_e32 v25, s18, v23
	v_and_b32_e32 v23, 1, v25
	v_lshlrev_b32_e32 v14, 30, v25
	v_cmp_ne_u32_e32 vcc, 0, v23
	v_add_co_u32_e64 v23, s[8:9], -1, v23
	v_cmp_gt_i64_e64 s[4:5], 0, v[13:14]
	v_addc_co_u32_e64 v24, s[8:9], 0, -1, s[8:9]
	v_not_b32_e32 v26, v14
	v_lshlrev_b32_e32 v14, 29, v25
	v_xor_b32_e32 v24, vcc_hi, v24
	v_ashrrev_i32_e32 v26, 31, v26
	v_xor_b32_e32 v23, vcc_lo, v23
	v_cmp_gt_i64_e32 vcc, 0, v[13:14]
	v_not_b32_e32 v27, v14
	v_lshlrev_b32_e32 v14, 28, v25
	v_and_b32_e32 v24, exec_hi, v24
	v_xor_b32_e32 v28, s5, v26
	v_and_b32_e32 v23, exec_lo, v23
	v_xor_b32_e32 v26, s4, v26
	v_ashrrev_i32_e32 v27, 31, v27
	v_cmp_gt_i64_e64 s[4:5], 0, v[13:14]
	v_not_b32_e32 v29, v14
	v_lshlrev_b32_e32 v14, 27, v25
	v_and_b32_e32 v24, v24, v28
	v_and_b32_e32 v23, v23, v26
	v_xor_b32_e32 v26, vcc_hi, v27
	v_xor_b32_e32 v27, vcc_lo, v27
	v_ashrrev_i32_e32 v28, 31, v29
	v_cmp_gt_i64_e32 vcc, 0, v[13:14]
	v_not_b32_e32 v29, v14
	v_lshlrev_b32_e32 v14, 26, v25
	v_and_b32_e32 v24, v24, v26
	v_and_b32_e32 v23, v23, v27
	v_xor_b32_e32 v26, s5, v28
	v_xor_b32_e32 v27, s4, v28
	v_ashrrev_i32_e32 v28, 31, v29
	v_cmp_gt_i64_e64 s[4:5], 0, v[13:14]
	v_not_b32_e32 v29, v14
	v_lshlrev_b32_e32 v14, 25, v25
	v_and_b32_e32 v24, v24, v26
	v_and_b32_e32 v23, v23, v27
	v_xor_b32_e32 v26, vcc_hi, v28
	v_xor_b32_e32 v27, vcc_lo, v28
	v_ashrrev_i32_e32 v28, 31, v29
	v_cmp_gt_i64_e32 vcc, 0, v[13:14]
	v_not_b32_e32 v14, v14
	v_and_b32_e32 v24, v24, v26
	v_and_b32_e32 v23, v23, v27
	v_xor_b32_e32 v26, s5, v28
	v_xor_b32_e32 v27, s4, v28
	v_ashrrev_i32_e32 v14, 31, v14
	v_and_b32_e32 v24, v24, v26
	v_and_b32_e32 v23, v23, v27
	v_xor_b32_e32 v26, vcc_hi, v14
	v_xor_b32_e32 v14, vcc_lo, v14
	v_and_b32_e32 v27, v23, v14
	v_lshlrev_b32_e32 v14, 24, v25
	v_cmp_gt_i64_e32 vcc, 0, v[13:14]
	v_not_b32_e32 v14, v14
	v_and_b32_e32 v26, v24, v26
	v_ashrrev_i32_e32 v14, 31, v14
	s_waitcnt vmcnt(2)
	v_mad_u64_u32 v[23:24], s[4:5], v1, v21, v[0:1]
	v_xor_b32_e32 v28, vcc_hi, v14
	v_xor_b32_e32 v1, vcc_lo, v14
	v_mul_lo_u32 v14, v25, 36
	v_and_b32_e32 v1, v27, v1
	v_lshrrev_b32_e32 v31, 6, v23
	v_and_b32_e32 v2, v26, v28
	v_lshl_add_u32 v25, v31, 2, v14
	v_mbcnt_lo_u32_b32 v14, v1, 0
	v_mbcnt_hi_u32_b32 v21, v2, v14
	v_cmp_ne_u64_e32 vcc, 0, v[1:2]
	v_cmp_eq_u32_e64 s[4:5], 0, v21
	v_mul_u32_u24_e32 v24, 20, v0
	s_and_b64 s[8:9], vcc, s[4:5]
	ds_write2_b32 v24, v13, v13 offset0:8 offset1:9
	ds_write2_b32 v24, v13, v13 offset0:10 offset1:11
	ds_write_b32 v24, v13 offset:48
	s_waitcnt vmcnt(0) lgkmcnt(0)
	s_barrier
	; wave barrier
	s_and_saveexec_b64 s[4:5], s[8:9]
; %bb.74:
	v_bcnt_u32_b32 v1, v1, 0
	v_bcnt_u32_b32 v1, v2, v1
	ds_write_b32 v25, v1 offset:32
; %bb.75:
	s_or_b64 exec, exec, s[4:5]
	v_cmp_lt_i64_e32 vcc, -1, v[15:16]
	v_ashrrev_i32_e32 v14, 31, v16
	v_cndmask_b32_e32 v1, -1, v22, vcc
	v_xor_b32_e32 v2, v1, v16
	v_xor_b32_e32 v1, v14, v15
	v_cmp_ne_u64_e32 vcc, s[10:11], v[1:2]
	v_cndmask_b32_e32 v15, v22, v2, vcc
	v_cndmask_b32_e32 v14, 0, v1, vcc
	v_lshrrev_b64 v[14:15], s40, v[14:15]
	; wave barrier
	v_and_b32_e32 v15, s18, v14
	v_mul_lo_u32 v14, v15, 36
	v_lshl_add_u32 v27, v31, 2, v14
	v_and_b32_e32 v14, 1, v15
	v_add_co_u32_e32 v16, vcc, -1, v14
	v_addc_co_u32_e64 v23, s[4:5], 0, -1, vcc
	v_cmp_ne_u32_e32 vcc, 0, v14
	v_xor_b32_e32 v14, vcc_hi, v23
	v_and_b32_e32 v23, exec_hi, v14
	v_lshlrev_b32_e32 v14, 30, v15
	v_xor_b32_e32 v16, vcc_lo, v16
	v_cmp_gt_i64_e32 vcc, 0, v[13:14]
	v_not_b32_e32 v14, v14
	v_ashrrev_i32_e32 v14, 31, v14
	v_and_b32_e32 v16, exec_lo, v16
	v_xor_b32_e32 v26, vcc_hi, v14
	v_xor_b32_e32 v14, vcc_lo, v14
	v_and_b32_e32 v16, v16, v14
	v_lshlrev_b32_e32 v14, 29, v15
	v_cmp_gt_i64_e32 vcc, 0, v[13:14]
	v_not_b32_e32 v14, v14
	v_ashrrev_i32_e32 v14, 31, v14
	v_and_b32_e32 v23, v23, v26
	v_xor_b32_e32 v26, vcc_hi, v14
	v_xor_b32_e32 v14, vcc_lo, v14
	v_and_b32_e32 v16, v16, v14
	v_lshlrev_b32_e32 v14, 28, v15
	v_cmp_gt_i64_e32 vcc, 0, v[13:14]
	v_not_b32_e32 v14, v14
	v_ashrrev_i32_e32 v14, 31, v14
	v_and_b32_e32 v23, v23, v26
	v_xor_b32_e32 v26, vcc_hi, v14
	v_xor_b32_e32 v14, vcc_lo, v14
	v_and_b32_e32 v16, v16, v14
	v_lshlrev_b32_e32 v14, 27, v15
	v_cmp_gt_i64_e32 vcc, 0, v[13:14]
	v_not_b32_e32 v14, v14
	v_ashrrev_i32_e32 v14, 31, v14
	v_and_b32_e32 v23, v23, v26
	v_xor_b32_e32 v26, vcc_hi, v14
	v_xor_b32_e32 v14, vcc_lo, v14
	v_and_b32_e32 v16, v16, v14
	v_lshlrev_b32_e32 v14, 26, v15
	v_cmp_gt_i64_e32 vcc, 0, v[13:14]
	v_not_b32_e32 v14, v14
	v_ashrrev_i32_e32 v14, 31, v14
	v_and_b32_e32 v23, v23, v26
	v_xor_b32_e32 v26, vcc_hi, v14
	v_xor_b32_e32 v14, vcc_lo, v14
	v_and_b32_e32 v16, v16, v14
	v_lshlrev_b32_e32 v14, 25, v15
	v_cmp_gt_i64_e32 vcc, 0, v[13:14]
	v_not_b32_e32 v14, v14
	v_ashrrev_i32_e32 v14, 31, v14
	v_and_b32_e32 v23, v23, v26
	v_xor_b32_e32 v26, vcc_hi, v14
	v_xor_b32_e32 v14, vcc_lo, v14
	v_and_b32_e32 v16, v16, v14
	v_lshlrev_b32_e32 v14, 24, v15
	v_cmp_gt_i64_e32 vcc, 0, v[13:14]
	v_not_b32_e32 v13, v14
	v_ashrrev_i32_e32 v13, 31, v13
	v_xor_b32_e32 v14, vcc_hi, v13
	v_xor_b32_e32 v13, vcc_lo, v13
	ds_read_b32 v22, v27 offset:32
	v_and_b32_e32 v23, v23, v26
	v_and_b32_e32 v13, v16, v13
	;; [unrolled: 1-line block ×3, first 2 shown]
	v_mbcnt_lo_u32_b32 v15, v13, 0
	v_mbcnt_hi_u32_b32 v23, v14, v15
	v_cmp_ne_u64_e32 vcc, 0, v[13:14]
	v_cmp_eq_u32_e64 s[4:5], 0, v23
	s_and_b64 s[8:9], vcc, s[4:5]
	; wave barrier
	s_and_saveexec_b64 s[4:5], s[8:9]
	s_cbranch_execz .LBB1646_77
; %bb.76:
	v_bcnt_u32_b32 v13, v13, 0
	v_bcnt_u32_b32 v13, v14, v13
	s_waitcnt lgkmcnt(0)
	v_add_u32_e32 v13, v22, v13
	ds_write_b32 v27, v13 offset:32
.LBB1646_77:
	s_or_b64 exec, exec, s[4:5]
	v_cmp_lt_i64_e32 vcc, -1, v[5:6]
	v_bfrev_b32_e32 v16, 1
	s_mov_b32 s8, -1
	v_cndmask_b32_e32 v13, -1, v16, vcc
	v_ashrrev_i32_e32 v14, 31, v6
	s_brev_b32 s9, -2
	v_xor_b32_e32 v6, v13, v6
	v_xor_b32_e32 v5, v14, v5
	v_cmp_ne_u64_e32 vcc, s[8:9], v[5:6]
	v_cndmask_b32_e32 v14, v16, v6, vcc
	v_cndmask_b32_e32 v13, 0, v5, vcc
	v_lshrrev_b64 v[13:14], s40, v[13:14]
	; wave barrier
	v_and_b32_e32 v15, s18, v13
	v_mul_lo_u32 v13, v15, 36
	v_and_b32_e32 v14, 1, v15
	v_add_co_u32_e32 v28, vcc, -1, v14
	v_addc_co_u32_e64 v29, s[4:5], 0, -1, vcc
	v_cmp_ne_u32_e32 vcc, 0, v14
	v_xor_b32_e32 v14, vcc_hi, v29
	v_lshl_add_u32 v30, v31, 2, v13
	v_mov_b32_e32 v13, 0
	v_and_b32_e32 v29, exec_hi, v14
	v_lshlrev_b32_e32 v14, 30, v15
	v_xor_b32_e32 v28, vcc_lo, v28
	v_cmp_gt_i64_e32 vcc, 0, v[13:14]
	v_not_b32_e32 v14, v14
	v_ashrrev_i32_e32 v14, 31, v14
	v_and_b32_e32 v28, exec_lo, v28
	v_xor_b32_e32 v32, vcc_hi, v14
	v_xor_b32_e32 v14, vcc_lo, v14
	v_and_b32_e32 v28, v28, v14
	v_lshlrev_b32_e32 v14, 29, v15
	v_cmp_gt_i64_e32 vcc, 0, v[13:14]
	v_not_b32_e32 v14, v14
	v_ashrrev_i32_e32 v14, 31, v14
	v_and_b32_e32 v29, v29, v32
	v_xor_b32_e32 v32, vcc_hi, v14
	v_xor_b32_e32 v14, vcc_lo, v14
	v_and_b32_e32 v28, v28, v14
	v_lshlrev_b32_e32 v14, 28, v15
	v_cmp_gt_i64_e32 vcc, 0, v[13:14]
	v_not_b32_e32 v14, v14
	v_ashrrev_i32_e32 v14, 31, v14
	v_and_b32_e32 v29, v29, v32
	;; [unrolled: 8-line block ×5, first 2 shown]
	v_xor_b32_e32 v32, vcc_hi, v14
	v_xor_b32_e32 v14, vcc_lo, v14
	v_and_b32_e32 v28, v28, v14
	v_lshlrev_b32_e32 v14, 24, v15
	v_cmp_gt_i64_e32 vcc, 0, v[13:14]
	v_not_b32_e32 v14, v14
	v_ashrrev_i32_e32 v14, 31, v14
	v_xor_b32_e32 v15, vcc_hi, v14
	v_xor_b32_e32 v14, vcc_lo, v14
	ds_read_b32 v26, v30 offset:32
	v_and_b32_e32 v29, v29, v32
	v_and_b32_e32 v14, v28, v14
	;; [unrolled: 1-line block ×3, first 2 shown]
	v_mbcnt_lo_u32_b32 v28, v14, 0
	v_mbcnt_hi_u32_b32 v28, v15, v28
	v_cmp_ne_u64_e32 vcc, 0, v[14:15]
	v_cmp_eq_u32_e64 s[4:5], 0, v28
	s_and_b64 s[10:11], vcc, s[4:5]
	; wave barrier
	s_and_saveexec_b64 s[4:5], s[10:11]
	s_cbranch_execz .LBB1646_79
; %bb.78:
	v_bcnt_u32_b32 v14, v14, 0
	v_bcnt_u32_b32 v14, v15, v14
	s_waitcnt lgkmcnt(0)
	v_add_u32_e32 v14, v26, v14
	ds_write_b32 v30, v14 offset:32
.LBB1646_79:
	s_or_b64 exec, exec, s[4:5]
	v_cmp_lt_i64_e32 vcc, -1, v[7:8]
	v_ashrrev_i32_e32 v15, 31, v8
	v_cndmask_b32_e32 v14, -1, v16, vcc
	v_xor_b32_e32 v8, v14, v8
	v_xor_b32_e32 v7, v15, v7
	v_cmp_ne_u64_e32 vcc, s[8:9], v[7:8]
	v_cndmask_b32_e32 v15, v16, v8, vcc
	v_cndmask_b32_e32 v14, 0, v7, vcc
	v_lshrrev_b64 v[14:15], s40, v[14:15]
	; wave barrier
	v_and_b32_e32 v15, s18, v14
	v_mul_lo_u32 v14, v15, 36
	v_lshl_add_u32 v34, v31, 2, v14
	v_and_b32_e32 v14, 1, v15
	v_add_co_u32_e32 v16, vcc, -1, v14
	v_addc_co_u32_e64 v32, s[4:5], 0, -1, vcc
	v_cmp_ne_u32_e32 vcc, 0, v14
	v_xor_b32_e32 v14, vcc_hi, v32
	v_and_b32_e32 v32, exec_hi, v14
	v_lshlrev_b32_e32 v14, 30, v15
	v_xor_b32_e32 v16, vcc_lo, v16
	v_cmp_gt_i64_e32 vcc, 0, v[13:14]
	v_not_b32_e32 v14, v14
	v_ashrrev_i32_e32 v14, 31, v14
	v_and_b32_e32 v16, exec_lo, v16
	v_xor_b32_e32 v33, vcc_hi, v14
	v_xor_b32_e32 v14, vcc_lo, v14
	v_and_b32_e32 v16, v16, v14
	v_lshlrev_b32_e32 v14, 29, v15
	v_cmp_gt_i64_e32 vcc, 0, v[13:14]
	v_not_b32_e32 v14, v14
	v_ashrrev_i32_e32 v14, 31, v14
	v_and_b32_e32 v32, v32, v33
	v_xor_b32_e32 v33, vcc_hi, v14
	v_xor_b32_e32 v14, vcc_lo, v14
	v_and_b32_e32 v16, v16, v14
	v_lshlrev_b32_e32 v14, 28, v15
	v_cmp_gt_i64_e32 vcc, 0, v[13:14]
	v_not_b32_e32 v14, v14
	v_ashrrev_i32_e32 v14, 31, v14
	v_and_b32_e32 v32, v32, v33
	;; [unrolled: 8-line block ×5, first 2 shown]
	v_xor_b32_e32 v33, vcc_hi, v14
	v_xor_b32_e32 v14, vcc_lo, v14
	v_and_b32_e32 v16, v16, v14
	v_lshlrev_b32_e32 v14, 24, v15
	v_cmp_gt_i64_e32 vcc, 0, v[13:14]
	v_not_b32_e32 v13, v14
	v_ashrrev_i32_e32 v13, 31, v13
	v_xor_b32_e32 v14, vcc_hi, v13
	v_xor_b32_e32 v13, vcc_lo, v13
	ds_read_b32 v29, v34 offset:32
	v_and_b32_e32 v32, v32, v33
	v_and_b32_e32 v13, v16, v13
	;; [unrolled: 1-line block ×3, first 2 shown]
	v_mbcnt_lo_u32_b32 v15, v13, 0
	v_mbcnt_hi_u32_b32 v32, v14, v15
	v_cmp_ne_u64_e32 vcc, 0, v[13:14]
	v_cmp_eq_u32_e64 s[4:5], 0, v32
	s_and_b64 s[8:9], vcc, s[4:5]
	; wave barrier
	s_and_saveexec_b64 s[4:5], s[8:9]
	s_cbranch_execz .LBB1646_81
; %bb.80:
	v_bcnt_u32_b32 v13, v13, 0
	v_bcnt_u32_b32 v13, v14, v13
	s_waitcnt lgkmcnt(0)
	v_add_u32_e32 v13, v29, v13
	ds_write_b32 v34, v13 offset:32
.LBB1646_81:
	s_or_b64 exec, exec, s[4:5]
	v_cmp_lt_i64_e32 vcc, -1, v[9:10]
	v_bfrev_b32_e32 v16, 1
	s_mov_b32 s8, -1
	v_cndmask_b32_e32 v13, -1, v16, vcc
	v_ashrrev_i32_e32 v14, 31, v10
	s_brev_b32 s9, -2
	v_xor_b32_e32 v10, v13, v10
	v_xor_b32_e32 v9, v14, v9
	v_cmp_ne_u64_e32 vcc, s[8:9], v[9:10]
	v_cndmask_b32_e32 v14, v16, v10, vcc
	v_cndmask_b32_e32 v13, 0, v9, vcc
	v_lshrrev_b64 v[13:14], s40, v[13:14]
	; wave barrier
	v_and_b32_e32 v15, s18, v13
	v_mul_lo_u32 v13, v15, 36
	v_and_b32_e32 v14, 1, v15
	v_add_co_u32_e32 v35, vcc, -1, v14
	v_addc_co_u32_e64 v36, s[4:5], 0, -1, vcc
	v_cmp_ne_u32_e32 vcc, 0, v14
	v_xor_b32_e32 v14, vcc_hi, v36
	v_lshl_add_u32 v37, v31, 2, v13
	v_mov_b32_e32 v13, 0
	v_and_b32_e32 v36, exec_hi, v14
	v_lshlrev_b32_e32 v14, 30, v15
	v_xor_b32_e32 v35, vcc_lo, v35
	v_cmp_gt_i64_e32 vcc, 0, v[13:14]
	v_not_b32_e32 v14, v14
	v_ashrrev_i32_e32 v14, 31, v14
	v_and_b32_e32 v35, exec_lo, v35
	v_xor_b32_e32 v38, vcc_hi, v14
	v_xor_b32_e32 v14, vcc_lo, v14
	v_and_b32_e32 v35, v35, v14
	v_lshlrev_b32_e32 v14, 29, v15
	v_cmp_gt_i64_e32 vcc, 0, v[13:14]
	v_not_b32_e32 v14, v14
	v_ashrrev_i32_e32 v14, 31, v14
	v_and_b32_e32 v36, v36, v38
	v_xor_b32_e32 v38, vcc_hi, v14
	v_xor_b32_e32 v14, vcc_lo, v14
	v_and_b32_e32 v35, v35, v14
	v_lshlrev_b32_e32 v14, 28, v15
	v_cmp_gt_i64_e32 vcc, 0, v[13:14]
	v_not_b32_e32 v14, v14
	v_ashrrev_i32_e32 v14, 31, v14
	v_and_b32_e32 v36, v36, v38
	;; [unrolled: 8-line block ×5, first 2 shown]
	v_xor_b32_e32 v38, vcc_hi, v14
	v_xor_b32_e32 v14, vcc_lo, v14
	v_and_b32_e32 v35, v35, v14
	v_lshlrev_b32_e32 v14, 24, v15
	v_cmp_gt_i64_e32 vcc, 0, v[13:14]
	v_not_b32_e32 v14, v14
	v_ashrrev_i32_e32 v14, 31, v14
	v_xor_b32_e32 v15, vcc_hi, v14
	v_xor_b32_e32 v14, vcc_lo, v14
	ds_read_b32 v33, v37 offset:32
	v_and_b32_e32 v36, v36, v38
	v_and_b32_e32 v14, v35, v14
	;; [unrolled: 1-line block ×3, first 2 shown]
	v_mbcnt_lo_u32_b32 v35, v14, 0
	v_mbcnt_hi_u32_b32 v35, v15, v35
	v_cmp_ne_u64_e32 vcc, 0, v[14:15]
	v_cmp_eq_u32_e64 s[4:5], 0, v35
	s_and_b64 s[10:11], vcc, s[4:5]
	; wave barrier
	s_and_saveexec_b64 s[4:5], s[10:11]
	s_cbranch_execz .LBB1646_83
; %bb.82:
	v_bcnt_u32_b32 v14, v14, 0
	v_bcnt_u32_b32 v14, v15, v14
	s_waitcnt lgkmcnt(0)
	v_add_u32_e32 v14, v33, v14
	ds_write_b32 v37, v14 offset:32
.LBB1646_83:
	s_or_b64 exec, exec, s[4:5]
	v_cmp_lt_i64_e32 vcc, -1, v[11:12]
	v_ashrrev_i32_e32 v14, 31, v12
	v_cndmask_b32_e32 v15, -1, v16, vcc
	v_xor_b32_e32 v12, v15, v12
	v_xor_b32_e32 v11, v14, v11
	v_cmp_ne_u64_e32 vcc, s[8:9], v[11:12]
	v_cndmask_b32_e32 v15, v16, v12, vcc
	v_cndmask_b32_e32 v14, 0, v11, vcc
	v_lshrrev_b64 v[14:15], s40, v[14:15]
	; wave barrier
	v_and_b32_e32 v15, s18, v14
	v_mul_lo_u32 v14, v15, 36
	v_and_b32_e32 v16, 1, v15
	v_lshl_add_u32 v39, v31, 2, v14
	v_add_co_u32_e32 v14, vcc, -1, v16
	v_addc_co_u32_e64 v31, s[4:5], 0, -1, vcc
	v_cmp_ne_u32_e32 vcc, 0, v16
	v_xor_b32_e32 v14, vcc_lo, v14
	v_xor_b32_e32 v16, vcc_hi, v31
	v_and_b32_e32 v31, exec_lo, v14
	v_lshlrev_b32_e32 v14, 30, v15
	v_cmp_gt_i64_e32 vcc, 0, v[13:14]
	v_not_b32_e32 v14, v14
	v_ashrrev_i32_e32 v14, 31, v14
	v_xor_b32_e32 v38, vcc_hi, v14
	v_xor_b32_e32 v14, vcc_lo, v14
	v_and_b32_e32 v31, v31, v14
	v_lshlrev_b32_e32 v14, 29, v15
	v_cmp_gt_i64_e32 vcc, 0, v[13:14]
	v_not_b32_e32 v14, v14
	v_and_b32_e32 v16, exec_hi, v16
	v_ashrrev_i32_e32 v14, 31, v14
	v_and_b32_e32 v16, v16, v38
	v_xor_b32_e32 v38, vcc_hi, v14
	v_xor_b32_e32 v14, vcc_lo, v14
	v_and_b32_e32 v31, v31, v14
	v_lshlrev_b32_e32 v14, 28, v15
	v_cmp_gt_i64_e32 vcc, 0, v[13:14]
	v_not_b32_e32 v14, v14
	v_ashrrev_i32_e32 v14, 31, v14
	v_and_b32_e32 v16, v16, v38
	v_xor_b32_e32 v38, vcc_hi, v14
	v_xor_b32_e32 v14, vcc_lo, v14
	v_and_b32_e32 v31, v31, v14
	v_lshlrev_b32_e32 v14, 27, v15
	v_cmp_gt_i64_e32 vcc, 0, v[13:14]
	v_not_b32_e32 v14, v14
	;; [unrolled: 8-line block ×5, first 2 shown]
	v_ashrrev_i32_e32 v13, 31, v13
	v_xor_b32_e32 v14, vcc_hi, v13
	v_xor_b32_e32 v13, vcc_lo, v13
	ds_read_b32 v36, v39 offset:32
	v_and_b32_e32 v16, v16, v38
	v_and_b32_e32 v13, v31, v13
	;; [unrolled: 1-line block ×3, first 2 shown]
	v_mbcnt_lo_u32_b32 v15, v13, 0
	v_mbcnt_hi_u32_b32 v38, v14, v15
	v_cmp_ne_u64_e32 vcc, 0, v[13:14]
	v_cmp_eq_u32_e64 s[4:5], 0, v38
	s_and_b64 s[8:9], vcc, s[4:5]
	; wave barrier
	s_and_saveexec_b64 s[4:5], s[8:9]
	s_cbranch_execz .LBB1646_85
; %bb.84:
	v_bcnt_u32_b32 v13, v13, 0
	v_bcnt_u32_b32 v13, v14, v13
	s_waitcnt lgkmcnt(0)
	v_add_u32_e32 v13, v36, v13
	ds_write_b32 v39, v13 offset:32
.LBB1646_85:
	s_or_b64 exec, exec, s[4:5]
	; wave barrier
	s_waitcnt lgkmcnt(0)
	s_barrier
	ds_read2_b32 v[15:16], v24 offset0:8 offset1:9
	ds_read2_b32 v[13:14], v24 offset0:10 offset1:11
	ds_read_b32 v31, v24 offset:48
	v_min_u32_e32 v18, 0x1c0, v18
	v_or_b32_e32 v18, 63, v18
	s_waitcnt lgkmcnt(1)
	v_add3_u32 v40, v16, v15, v13
	s_waitcnt lgkmcnt(0)
	v_add3_u32 v31, v40, v14, v31
	v_and_b32_e32 v40, 15, v17
	v_cmp_ne_u32_e32 vcc, 0, v40
	v_mov_b32_dpp v41, v31 row_shr:1 row_mask:0xf bank_mask:0xf
	v_cndmask_b32_e32 v41, 0, v41, vcc
	v_add_u32_e32 v31, v41, v31
	v_cmp_lt_u32_e32 vcc, 1, v40
	s_nop 0
	v_mov_b32_dpp v41, v31 row_shr:2 row_mask:0xf bank_mask:0xf
	v_cndmask_b32_e32 v41, 0, v41, vcc
	v_add_u32_e32 v31, v31, v41
	v_cmp_lt_u32_e32 vcc, 3, v40
	s_nop 0
	;; [unrolled: 5-line block ×3, first 2 shown]
	v_mov_b32_dpp v41, v31 row_shr:8 row_mask:0xf bank_mask:0xf
	v_cndmask_b32_e32 v40, 0, v41, vcc
	v_add_u32_e32 v31, v31, v40
	v_bfe_i32 v41, v17, 4, 1
	v_cmp_lt_u32_e32 vcc, 31, v17
	v_mov_b32_dpp v40, v31 row_bcast:15 row_mask:0xf bank_mask:0xf
	v_and_b32_e32 v40, v41, v40
	v_add_u32_e32 v31, v31, v40
	v_lshrrev_b32_e32 v41, 6, v0
	s_nop 0
	v_mov_b32_dpp v40, v31 row_bcast:31 row_mask:0xf bank_mask:0xf
	v_cndmask_b32_e32 v40, 0, v40, vcc
	v_add_u32_e32 v40, v31, v40
	v_cmp_eq_u32_e32 vcc, v0, v18
	s_and_saveexec_b64 s[4:5], vcc
; %bb.86:
	v_lshlrev_b32_e32 v18, 2, v41
	ds_write_b32 v18, v40
; %bb.87:
	s_or_b64 exec, exec, s[4:5]
	v_cmp_gt_u32_e32 vcc, 8, v0
	v_lshlrev_b32_e32 v31, 2, v0
	s_waitcnt lgkmcnt(0)
	s_barrier
	s_and_saveexec_b64 s[4:5], vcc
	s_cbranch_execz .LBB1646_89
; %bb.88:
	ds_read_b32 v18, v31
	v_and_b32_e32 v42, 7, v17
	v_cmp_ne_u32_e32 vcc, 0, v42
	s_waitcnt lgkmcnt(0)
	v_mov_b32_dpp v43, v18 row_shr:1 row_mask:0xf bank_mask:0xf
	v_cndmask_b32_e32 v43, 0, v43, vcc
	v_add_u32_e32 v18, v43, v18
	v_cmp_lt_u32_e32 vcc, 1, v42
	s_nop 0
	v_mov_b32_dpp v43, v18 row_shr:2 row_mask:0xf bank_mask:0xf
	v_cndmask_b32_e32 v43, 0, v43, vcc
	v_add_u32_e32 v18, v18, v43
	v_cmp_lt_u32_e32 vcc, 3, v42
	s_nop 0
	v_mov_b32_dpp v43, v18 row_shr:4 row_mask:0xf bank_mask:0xf
	v_cndmask_b32_e32 v42, 0, v43, vcc
	v_add_u32_e32 v18, v18, v42
	ds_write_b32 v31, v18
.LBB1646_89:
	s_or_b64 exec, exec, s[4:5]
	v_cmp_lt_u32_e32 vcc, 63, v0
	v_mov_b32_e32 v18, 0
	s_waitcnt lgkmcnt(0)
	s_barrier
	s_and_saveexec_b64 s[4:5], vcc
; %bb.90:
	v_lshl_add_u32 v18, v41, 2, -4
	ds_read_b32 v18, v18
; %bb.91:
	s_or_b64 exec, exec, s[4:5]
	v_subrev_co_u32_e32 v41, vcc, 1, v17
	v_and_b32_e32 v42, 64, v17
	v_cmp_lt_i32_e64 s[4:5], v41, v42
	v_cndmask_b32_e64 v17, v41, v17, s[4:5]
	s_waitcnt lgkmcnt(0)
	v_add_u32_e32 v40, v18, v40
	v_lshlrev_b32_e32 v17, 2, v17
	ds_bpermute_b32 v17, v17, v40
	s_movk_i32 s4, 0xff
	s_movk_i32 s8, 0x100
	s_waitcnt lgkmcnt(0)
	v_cndmask_b32_e32 v17, v17, v18, vcc
	v_cmp_ne_u32_e32 vcc, 0, v0
	v_cndmask_b32_e32 v17, 0, v17, vcc
	v_add_u32_e32 v15, v17, v15
	v_add_u32_e32 v16, v15, v16
	;; [unrolled: 1-line block ×4, first 2 shown]
	ds_write2_b32 v24, v17, v15 offset0:8 offset1:9
	ds_write2_b32 v24, v16, v13 offset0:10 offset1:11
	ds_write_b32 v24, v14 offset:48
	s_waitcnt lgkmcnt(0)
	s_barrier
	ds_read_b32 v40, v25 offset:32
	ds_read_b32 v27, v27 offset:32
	;; [unrolled: 1-line block ×6, first 2 shown]
	v_cmp_lt_u32_e32 vcc, s4, v0
	v_cmp_gt_u32_e64 s[4:5], s8, v0
                                        ; implicit-def: $vgpr24
                                        ; implicit-def: $vgpr25
	s_and_saveexec_b64 s[10:11], s[4:5]
	s_cbranch_execz .LBB1646_95
; %bb.92:
	v_mul_u32_u24_e32 v13, 36, v0
	ds_read_b32 v24, v13 offset:32
	v_add_u32_e32 v14, 1, v0
	v_cmp_ne_u32_e64 s[8:9], s8, v14
	v_mov_b32_e32 v13, 0xc00
	s_and_saveexec_b64 s[14:15], s[8:9]
; %bb.93:
	v_mul_u32_u24_e32 v13, 36, v14
	ds_read_b32 v13, v13 offset:32
; %bb.94:
	s_or_b64 exec, exec, s[14:15]
	s_waitcnt lgkmcnt(0)
	v_sub_u32_e32 v25, v13, v24
.LBB1646_95:
	s_or_b64 exec, exec, s[10:11]
	v_mov_b32_e32 v14, 0
	s_waitcnt lgkmcnt(0)
	s_barrier
	s_and_saveexec_b64 s[8:9], s[4:5]
	s_cbranch_execz .LBB1646_105
; %bb.96:
	v_lshl_add_u32 v13, s6, 8, v0
	v_lshlrev_b64 v[15:16], 2, v[13:14]
	v_mov_b32_e32 v41, s35
	v_add_co_u32_e64 v15, s[4:5], s34, v15
	v_addc_co_u32_e64 v16, s[4:5], v41, v16, s[4:5]
	v_or_b32_e32 v13, 2.0, v25
	s_mov_b64 s[10:11], 0
	s_brev_b32 s19, -4
	s_mov_b32 s20, s6
	v_mov_b32_e32 v42, 0
	global_store_dword v[15:16], v13, off
                                        ; implicit-def: $sgpr4_sgpr5
	s_branch .LBB1646_99
.LBB1646_97:                            ;   in Loop: Header=BB1646_99 Depth=1
	s_or_b64 exec, exec, s[16:17]
.LBB1646_98:                            ;   in Loop: Header=BB1646_99 Depth=1
	s_or_b64 exec, exec, s[14:15]
	v_and_b32_e32 v17, 0x3fffffff, v13
	v_add_u32_e32 v42, v17, v42
	v_cmp_gt_i32_e64 s[4:5], -2.0, v13
	s_and_b64 s[14:15], exec, s[4:5]
	s_or_b64 s[10:11], s[14:15], s[10:11]
	s_andn2_b64 exec, exec, s[10:11]
	s_cbranch_execz .LBB1646_104
.LBB1646_99:                            ; =>This Loop Header: Depth=1
                                        ;     Child Loop BB1646_102 Depth 2
	s_or_b64 s[4:5], s[4:5], exec
	s_cmp_eq_u32 s20, 0
	s_cbranch_scc1 .LBB1646_103
; %bb.100:                              ;   in Loop: Header=BB1646_99 Depth=1
	s_add_i32 s20, s20, -1
	v_lshl_or_b32 v13, s20, 8, v0
	v_lshlrev_b64 v[17:18], 2, v[13:14]
	v_add_co_u32_e64 v17, s[4:5], s34, v17
	v_addc_co_u32_e64 v18, s[4:5], v41, v18, s[4:5]
	global_load_dword v13, v[17:18], off glc
	s_waitcnt vmcnt(0)
	v_cmp_gt_u32_e64 s[4:5], 2.0, v13
	s_and_saveexec_b64 s[14:15], s[4:5]
	s_cbranch_execz .LBB1646_98
; %bb.101:                              ;   in Loop: Header=BB1646_99 Depth=1
	s_mov_b64 s[16:17], 0
.LBB1646_102:                           ;   Parent Loop BB1646_99 Depth=1
                                        ; =>  This Inner Loop Header: Depth=2
	global_load_dword v13, v[17:18], off glc
	s_waitcnt vmcnt(0)
	v_cmp_lt_u32_e64 s[4:5], s19, v13
	s_or_b64 s[16:17], s[4:5], s[16:17]
	s_andn2_b64 exec, exec, s[16:17]
	s_cbranch_execnz .LBB1646_102
	s_branch .LBB1646_97
.LBB1646_103:                           ;   in Loop: Header=BB1646_99 Depth=1
                                        ; implicit-def: $sgpr20
	s_and_b64 s[14:15], exec, s[4:5]
	s_or_b64 s[10:11], s[14:15], s[10:11]
	s_andn2_b64 exec, exec, s[10:11]
	s_cbranch_execnz .LBB1646_99
.LBB1646_104:
	s_or_b64 exec, exec, s[10:11]
	v_add_u32_e32 v13, v42, v25
	v_or_b32_e32 v13, 0x80000000, v13
	global_store_dword v[15:16], v13, off
	global_load_dword v13, v31, s[36:37]
	v_sub_u32_e32 v14, v42, v24
	s_waitcnt vmcnt(0)
	v_add_u32_e32 v13, v14, v13
	ds_write_b32 v31, v13
.LBB1646_105:
	s_or_b64 exec, exec, s[8:9]
	s_mov_b32 s14, -1
	v_add_u32_e32 v15, v40, v21
	v_add3_u32 v16, v38, v39, v36
	v_add3_u32 v17, v35, v37, v33
	;; [unrolled: 1-line block ×5, first 2 shown]
	s_mov_b32 s16, 0
	s_mov_b32 s17, 0
	v_add_u32_e32 v23, v31, v31
	s_brev_b32 s15, -2
	v_bfrev_b32_e32 v26, 1
	v_mov_b32_e32 v14, 0
	v_mov_b32_e32 v27, s27
	s_movk_i32 s19, 0x200
	v_mov_b32_e32 v28, v0
.LBB1646_106:                           ; =>This Inner Loop Header: Depth=1
	v_add_u32_e32 v13, s17, v15
	v_add_u32_e32 v32, s17, v18
	;; [unrolled: 1-line block ×6, first 2 shown]
	v_min_u32_e32 v13, 0x400, v13
	v_min_u32_e32 v32, 0x400, v32
	;; [unrolled: 1-line block ×6, first 2 shown]
	v_lshlrev_b32_e32 v13, 3, v13
	v_lshlrev_b32_e32 v32, 3, v32
	;; [unrolled: 1-line block ×6, first 2 shown]
	ds_write_b64 v13, v[3:4] offset:1024
	ds_write_b64 v29, v[1:2] offset:1024
	;; [unrolled: 1-line block ×6, first 2 shown]
	s_waitcnt lgkmcnt(0)
	s_barrier
	ds_read2st64_b64 v[32:35], v23 offset0:2 offset1:10
	v_mov_b32_e32 v39, s16
	s_addk_i32 s17, 0xfc00
	s_add_i32 s16, s16, 8
	s_cmpk_lg_i32 s17, 0xf400
	s_waitcnt lgkmcnt(0)
	v_cmp_lt_i64_e64 s[8:9], -1, v[32:33]
	v_cmp_lt_i64_e64 s[10:11], -1, v[34:35]
	v_cmp_ne_u64_e64 s[4:5], s[14:15], v[32:33]
	v_cndmask_b32_e64 v13, v26, -1, s[8:9]
	v_cmp_ne_u64_e64 s[8:9], s[14:15], v[34:35]
	v_ashrrev_i32_e32 v29, 31, v33
	v_cndmask_b32_e64 v37, v26, -1, s[10:11]
	v_ashrrev_i32_e32 v38, 31, v35
	v_cndmask_b32_e64 v30, v26, v33, s[4:5]
	v_cndmask_b32_e64 v36, v26, v35, s[8:9]
	v_not_b32_e32 v40, v29
	v_xor_b32_e32 v33, v13, v33
	v_not_b32_e32 v13, v38
	v_xor_b32_e32 v38, v37, v35
	v_cndmask_b32_e64 v29, 0, v32, s[4:5]
	v_cndmask_b32_e64 v35, 0, v34, s[8:9]
	v_xor_b32_e32 v37, v13, v34
	v_lshrrev_b64 v[29:30], s40, v[29:30]
	v_lshrrev_b64 v[34:35], s40, v[35:36]
	v_and_b32_e32 v13, s18, v29
	v_and_b32_e32 v29, s18, v34
	v_lshlrev_b32_e32 v30, 2, v13
	buffer_store_dword v13, v39, s[0:3], 0 offen
	buffer_store_dword v29, v39, s[0:3], 0 offen offset:4
	v_lshlrev_b32_e32 v13, 2, v29
	ds_read_b32 v29, v30
	ds_read_b32 v34, v13
	v_xor_b32_e32 v32, v40, v32
	s_waitcnt lgkmcnt(1)
	v_add_u32_e32 v13, v28, v29
	v_lshlrev_b64 v[29:30], 3, v[13:14]
	s_waitcnt lgkmcnt(0)
	v_add3_u32 v13, v28, v34, s19
	v_lshlrev_b64 v[34:35], 3, v[13:14]
	v_add_co_u32_e64 v29, s[4:5], s26, v29
	v_addc_co_u32_e64 v30, s[4:5], v27, v30, s[4:5]
	global_store_dwordx2 v[29:30], v[32:33], off
	v_add_co_u32_e64 v29, s[4:5], s26, v34
	v_add_u32_e32 v28, 0x400, v28
	v_addc_co_u32_e64 v30, s[4:5], v27, v35, s[4:5]
	global_store_dwordx2 v[29:30], v[37:38], off
	s_waitcnt vmcnt(0)
	s_barrier
	s_cbranch_scc1 .LBB1646_106
; %bb.107:
	s_add_u32 s4, s28, s12
	s_addc_u32 s5, s29, s13
	v_mov_b32_e32 v1, s5
	v_add_co_u32_e64 v2, s[4:5], s4, v19
	v_addc_co_u32_e64 v1, s[4:5], 0, v1, s[4:5]
	v_add_co_u32_e64 v13, s[4:5], v2, v20
	v_addc_co_u32_e64 v14, s[4:5], 0, v1, s[4:5]
	global_load_dwordx2 v[1:2], v[13:14], off
	global_load_dwordx2 v[3:4], v[13:14], off offset:512
	global_load_dwordx2 v[5:6], v[13:14], off offset:1024
	;; [unrolled: 1-line block ×5, first 2 shown]
	v_mov_b32_e32 v14, 0
	s_mov_b32 s8, 0
	s_mov_b32 s9, 0
	v_mov_b32_e32 v19, s31
	s_movk_i32 s10, 0x200
.LBB1646_108:                           ; =>This Inner Loop Header: Depth=1
	v_add_u32_e32 v13, s9, v15
	v_add_u32_e32 v20, s9, v22
	;; [unrolled: 1-line block ×6, first 2 shown]
	v_min_u32_e32 v13, 0x400, v13
	v_min_u32_e32 v20, 0x400, v20
	v_mov_b32_e32 v30, s8
	v_min_u32_e32 v26, 0x400, v26
	v_min_u32_e32 v27, 0x400, v27
	;; [unrolled: 1-line block ×4, first 2 shown]
	v_lshlrev_b32_e32 v13, 3, v13
	v_lshlrev_b32_e32 v20, 3, v20
	;; [unrolled: 1-line block ×6, first 2 shown]
	s_waitcnt vmcnt(5)
	ds_write_b64 v13, v[1:2] offset:1024
	s_waitcnt vmcnt(4)
	ds_write_b64 v20, v[3:4] offset:1024
	;; [unrolled: 2-line block ×6, first 2 shown]
	s_waitcnt lgkmcnt(0)
	s_barrier
	buffer_load_dword v13, v30, s[0:3], 0 offen
	buffer_load_dword v20, v30, s[0:3], 0 offen offset:4
	ds_read2st64_b64 v[26:29], v23 offset0:2 offset1:10
	s_addk_i32 s9, 0xfc00
	s_add_i32 s8, s8, 8
	s_cmpk_lg_i32 s9, 0xf400
	s_waitcnt vmcnt(1)
	v_lshlrev_b32_e32 v13, 2, v13
	s_waitcnt vmcnt(0)
	v_lshlrev_b32_e32 v20, 2, v20
	ds_read_b32 v13, v13
	ds_read_b32 v20, v20
	s_waitcnt lgkmcnt(1)
	v_add_u32_e32 v13, v0, v13
	v_lshlrev_b64 v[32:33], 3, v[13:14]
	s_waitcnt lgkmcnt(0)
	v_add3_u32 v13, v0, v20, s10
	v_lshlrev_b64 v[34:35], 3, v[13:14]
	v_add_co_u32_e64 v32, s[4:5], s30, v32
	v_addc_co_u32_e64 v33, s[4:5], v19, v33, s[4:5]
	global_store_dwordx2 v[32:33], v[26:27], off
	v_add_co_u32_e64 v26, s[4:5], s30, v34
	v_add_u32_e32 v0, 0x400, v0
	v_addc_co_u32_e64 v27, s[4:5], v19, v35, s[4:5]
	global_store_dwordx2 v[26:27], v[28:29], off
	s_waitcnt vmcnt(0)
	s_barrier
	s_cbranch_scc1 .LBB1646_108
; %bb.109:
	s_add_i32 s7, s7, -1
	s_cmp_eq_u32 s6, s7
	s_cselect_b64 s[4:5], -1, 0
	s_xor_b64 s[6:7], vcc, -1
	s_and_b64 s[4:5], s[6:7], s[4:5]
	s_and_saveexec_b64 s[6:7], s[4:5]
	s_cbranch_execz .LBB1646_111
; %bb.110:
	ds_read_b32 v0, v31
	s_waitcnt lgkmcnt(0)
	v_add3_u32 v0, v24, v25, v0
	global_store_dword v31, v0, s[38:39]
.LBB1646_111:
	s_endpgm
	.section	.rodata,"a",@progbits
	.p2align	6, 0x0
	.amdhsa_kernel _ZN7rocprim17ROCPRIM_400000_NS6detail17trampoline_kernelINS0_14default_configENS1_35radix_sort_onesweep_config_selectorIdlEEZZNS1_29radix_sort_onesweep_iterationIS3_Lb0EPdS7_N6thrust23THRUST_200600_302600_NS10device_ptrIlEESB_jNS0_19identity_decomposerENS1_16block_id_wrapperIjLb0EEEEE10hipError_tT1_PNSt15iterator_traitsISG_E10value_typeET2_T3_PNSH_ISM_E10value_typeET4_T5_PSR_SS_PNS1_23onesweep_lookback_stateEbbT6_jjT7_P12ihipStream_tbENKUlT_T0_SG_SL_E_clIS7_S7_SB_SB_EEDaSZ_S10_SG_SL_EUlSZ_E_NS1_11comp_targetILNS1_3genE2ELNS1_11target_archE906ELNS1_3gpuE6ELNS1_3repE0EEENS1_47radix_sort_onesweep_sort_config_static_selectorELNS0_4arch9wavefront6targetE1EEEvSG_
		.amdhsa_group_segment_fixed_size 10280
		.amdhsa_private_segment_fixed_size 32
		.amdhsa_kernarg_size 344
		.amdhsa_user_sgpr_count 6
		.amdhsa_user_sgpr_private_segment_buffer 1
		.amdhsa_user_sgpr_dispatch_ptr 0
		.amdhsa_user_sgpr_queue_ptr 0
		.amdhsa_user_sgpr_kernarg_segment_ptr 1
		.amdhsa_user_sgpr_dispatch_id 0
		.amdhsa_user_sgpr_flat_scratch_init 0
		.amdhsa_user_sgpr_private_segment_size 0
		.amdhsa_uses_dynamic_stack 0
		.amdhsa_system_sgpr_private_segment_wavefront_offset 1
		.amdhsa_system_sgpr_workgroup_id_x 1
		.amdhsa_system_sgpr_workgroup_id_y 0
		.amdhsa_system_sgpr_workgroup_id_z 0
		.amdhsa_system_sgpr_workgroup_info 0
		.amdhsa_system_vgpr_workitem_id 2
		.amdhsa_next_free_vgpr 47
		.amdhsa_next_free_sgpr 54
		.amdhsa_reserve_vcc 1
		.amdhsa_reserve_flat_scratch 0
		.amdhsa_float_round_mode_32 0
		.amdhsa_float_round_mode_16_64 0
		.amdhsa_float_denorm_mode_32 3
		.amdhsa_float_denorm_mode_16_64 3
		.amdhsa_dx10_clamp 1
		.amdhsa_ieee_mode 1
		.amdhsa_fp16_overflow 0
		.amdhsa_exception_fp_ieee_invalid_op 0
		.amdhsa_exception_fp_denorm_src 0
		.amdhsa_exception_fp_ieee_div_zero 0
		.amdhsa_exception_fp_ieee_overflow 0
		.amdhsa_exception_fp_ieee_underflow 0
		.amdhsa_exception_fp_ieee_inexact 0
		.amdhsa_exception_int_div_zero 0
	.end_amdhsa_kernel
	.section	.text._ZN7rocprim17ROCPRIM_400000_NS6detail17trampoline_kernelINS0_14default_configENS1_35radix_sort_onesweep_config_selectorIdlEEZZNS1_29radix_sort_onesweep_iterationIS3_Lb0EPdS7_N6thrust23THRUST_200600_302600_NS10device_ptrIlEESB_jNS0_19identity_decomposerENS1_16block_id_wrapperIjLb0EEEEE10hipError_tT1_PNSt15iterator_traitsISG_E10value_typeET2_T3_PNSH_ISM_E10value_typeET4_T5_PSR_SS_PNS1_23onesweep_lookback_stateEbbT6_jjT7_P12ihipStream_tbENKUlT_T0_SG_SL_E_clIS7_S7_SB_SB_EEDaSZ_S10_SG_SL_EUlSZ_E_NS1_11comp_targetILNS1_3genE2ELNS1_11target_archE906ELNS1_3gpuE6ELNS1_3repE0EEENS1_47radix_sort_onesweep_sort_config_static_selectorELNS0_4arch9wavefront6targetE1EEEvSG_,"axG",@progbits,_ZN7rocprim17ROCPRIM_400000_NS6detail17trampoline_kernelINS0_14default_configENS1_35radix_sort_onesweep_config_selectorIdlEEZZNS1_29radix_sort_onesweep_iterationIS3_Lb0EPdS7_N6thrust23THRUST_200600_302600_NS10device_ptrIlEESB_jNS0_19identity_decomposerENS1_16block_id_wrapperIjLb0EEEEE10hipError_tT1_PNSt15iterator_traitsISG_E10value_typeET2_T3_PNSH_ISM_E10value_typeET4_T5_PSR_SS_PNS1_23onesweep_lookback_stateEbbT6_jjT7_P12ihipStream_tbENKUlT_T0_SG_SL_E_clIS7_S7_SB_SB_EEDaSZ_S10_SG_SL_EUlSZ_E_NS1_11comp_targetILNS1_3genE2ELNS1_11target_archE906ELNS1_3gpuE6ELNS1_3repE0EEENS1_47radix_sort_onesweep_sort_config_static_selectorELNS0_4arch9wavefront6targetE1EEEvSG_,comdat
.Lfunc_end1646:
	.size	_ZN7rocprim17ROCPRIM_400000_NS6detail17trampoline_kernelINS0_14default_configENS1_35radix_sort_onesweep_config_selectorIdlEEZZNS1_29radix_sort_onesweep_iterationIS3_Lb0EPdS7_N6thrust23THRUST_200600_302600_NS10device_ptrIlEESB_jNS0_19identity_decomposerENS1_16block_id_wrapperIjLb0EEEEE10hipError_tT1_PNSt15iterator_traitsISG_E10value_typeET2_T3_PNSH_ISM_E10value_typeET4_T5_PSR_SS_PNS1_23onesweep_lookback_stateEbbT6_jjT7_P12ihipStream_tbENKUlT_T0_SG_SL_E_clIS7_S7_SB_SB_EEDaSZ_S10_SG_SL_EUlSZ_E_NS1_11comp_targetILNS1_3genE2ELNS1_11target_archE906ELNS1_3gpuE6ELNS1_3repE0EEENS1_47radix_sort_onesweep_sort_config_static_selectorELNS0_4arch9wavefront6targetE1EEEvSG_, .Lfunc_end1646-_ZN7rocprim17ROCPRIM_400000_NS6detail17trampoline_kernelINS0_14default_configENS1_35radix_sort_onesweep_config_selectorIdlEEZZNS1_29radix_sort_onesweep_iterationIS3_Lb0EPdS7_N6thrust23THRUST_200600_302600_NS10device_ptrIlEESB_jNS0_19identity_decomposerENS1_16block_id_wrapperIjLb0EEEEE10hipError_tT1_PNSt15iterator_traitsISG_E10value_typeET2_T3_PNSH_ISM_E10value_typeET4_T5_PSR_SS_PNS1_23onesweep_lookback_stateEbbT6_jjT7_P12ihipStream_tbENKUlT_T0_SG_SL_E_clIS7_S7_SB_SB_EEDaSZ_S10_SG_SL_EUlSZ_E_NS1_11comp_targetILNS1_3genE2ELNS1_11target_archE906ELNS1_3gpuE6ELNS1_3repE0EEENS1_47radix_sort_onesweep_sort_config_static_selectorELNS0_4arch9wavefront6targetE1EEEvSG_
                                        ; -- End function
	.set _ZN7rocprim17ROCPRIM_400000_NS6detail17trampoline_kernelINS0_14default_configENS1_35radix_sort_onesweep_config_selectorIdlEEZZNS1_29radix_sort_onesweep_iterationIS3_Lb0EPdS7_N6thrust23THRUST_200600_302600_NS10device_ptrIlEESB_jNS0_19identity_decomposerENS1_16block_id_wrapperIjLb0EEEEE10hipError_tT1_PNSt15iterator_traitsISG_E10value_typeET2_T3_PNSH_ISM_E10value_typeET4_T5_PSR_SS_PNS1_23onesweep_lookback_stateEbbT6_jjT7_P12ihipStream_tbENKUlT_T0_SG_SL_E_clIS7_S7_SB_SB_EEDaSZ_S10_SG_SL_EUlSZ_E_NS1_11comp_targetILNS1_3genE2ELNS1_11target_archE906ELNS1_3gpuE6ELNS1_3repE0EEENS1_47radix_sort_onesweep_sort_config_static_selectorELNS0_4arch9wavefront6targetE1EEEvSG_.num_vgpr, 47
	.set _ZN7rocprim17ROCPRIM_400000_NS6detail17trampoline_kernelINS0_14default_configENS1_35radix_sort_onesweep_config_selectorIdlEEZZNS1_29radix_sort_onesweep_iterationIS3_Lb0EPdS7_N6thrust23THRUST_200600_302600_NS10device_ptrIlEESB_jNS0_19identity_decomposerENS1_16block_id_wrapperIjLb0EEEEE10hipError_tT1_PNSt15iterator_traitsISG_E10value_typeET2_T3_PNSH_ISM_E10value_typeET4_T5_PSR_SS_PNS1_23onesweep_lookback_stateEbbT6_jjT7_P12ihipStream_tbENKUlT_T0_SG_SL_E_clIS7_S7_SB_SB_EEDaSZ_S10_SG_SL_EUlSZ_E_NS1_11comp_targetILNS1_3genE2ELNS1_11target_archE906ELNS1_3gpuE6ELNS1_3repE0EEENS1_47radix_sort_onesweep_sort_config_static_selectorELNS0_4arch9wavefront6targetE1EEEvSG_.num_agpr, 0
	.set _ZN7rocprim17ROCPRIM_400000_NS6detail17trampoline_kernelINS0_14default_configENS1_35radix_sort_onesweep_config_selectorIdlEEZZNS1_29radix_sort_onesweep_iterationIS3_Lb0EPdS7_N6thrust23THRUST_200600_302600_NS10device_ptrIlEESB_jNS0_19identity_decomposerENS1_16block_id_wrapperIjLb0EEEEE10hipError_tT1_PNSt15iterator_traitsISG_E10value_typeET2_T3_PNSH_ISM_E10value_typeET4_T5_PSR_SS_PNS1_23onesweep_lookback_stateEbbT6_jjT7_P12ihipStream_tbENKUlT_T0_SG_SL_E_clIS7_S7_SB_SB_EEDaSZ_S10_SG_SL_EUlSZ_E_NS1_11comp_targetILNS1_3genE2ELNS1_11target_archE906ELNS1_3gpuE6ELNS1_3repE0EEENS1_47radix_sort_onesweep_sort_config_static_selectorELNS0_4arch9wavefront6targetE1EEEvSG_.numbered_sgpr, 54
	.set _ZN7rocprim17ROCPRIM_400000_NS6detail17trampoline_kernelINS0_14default_configENS1_35radix_sort_onesweep_config_selectorIdlEEZZNS1_29radix_sort_onesweep_iterationIS3_Lb0EPdS7_N6thrust23THRUST_200600_302600_NS10device_ptrIlEESB_jNS0_19identity_decomposerENS1_16block_id_wrapperIjLb0EEEEE10hipError_tT1_PNSt15iterator_traitsISG_E10value_typeET2_T3_PNSH_ISM_E10value_typeET4_T5_PSR_SS_PNS1_23onesweep_lookback_stateEbbT6_jjT7_P12ihipStream_tbENKUlT_T0_SG_SL_E_clIS7_S7_SB_SB_EEDaSZ_S10_SG_SL_EUlSZ_E_NS1_11comp_targetILNS1_3genE2ELNS1_11target_archE906ELNS1_3gpuE6ELNS1_3repE0EEENS1_47radix_sort_onesweep_sort_config_static_selectorELNS0_4arch9wavefront6targetE1EEEvSG_.num_named_barrier, 0
	.set _ZN7rocprim17ROCPRIM_400000_NS6detail17trampoline_kernelINS0_14default_configENS1_35radix_sort_onesweep_config_selectorIdlEEZZNS1_29radix_sort_onesweep_iterationIS3_Lb0EPdS7_N6thrust23THRUST_200600_302600_NS10device_ptrIlEESB_jNS0_19identity_decomposerENS1_16block_id_wrapperIjLb0EEEEE10hipError_tT1_PNSt15iterator_traitsISG_E10value_typeET2_T3_PNSH_ISM_E10value_typeET4_T5_PSR_SS_PNS1_23onesweep_lookback_stateEbbT6_jjT7_P12ihipStream_tbENKUlT_T0_SG_SL_E_clIS7_S7_SB_SB_EEDaSZ_S10_SG_SL_EUlSZ_E_NS1_11comp_targetILNS1_3genE2ELNS1_11target_archE906ELNS1_3gpuE6ELNS1_3repE0EEENS1_47radix_sort_onesweep_sort_config_static_selectorELNS0_4arch9wavefront6targetE1EEEvSG_.private_seg_size, 32
	.set _ZN7rocprim17ROCPRIM_400000_NS6detail17trampoline_kernelINS0_14default_configENS1_35radix_sort_onesweep_config_selectorIdlEEZZNS1_29radix_sort_onesweep_iterationIS3_Lb0EPdS7_N6thrust23THRUST_200600_302600_NS10device_ptrIlEESB_jNS0_19identity_decomposerENS1_16block_id_wrapperIjLb0EEEEE10hipError_tT1_PNSt15iterator_traitsISG_E10value_typeET2_T3_PNSH_ISM_E10value_typeET4_T5_PSR_SS_PNS1_23onesweep_lookback_stateEbbT6_jjT7_P12ihipStream_tbENKUlT_T0_SG_SL_E_clIS7_S7_SB_SB_EEDaSZ_S10_SG_SL_EUlSZ_E_NS1_11comp_targetILNS1_3genE2ELNS1_11target_archE906ELNS1_3gpuE6ELNS1_3repE0EEENS1_47radix_sort_onesweep_sort_config_static_selectorELNS0_4arch9wavefront6targetE1EEEvSG_.uses_vcc, 1
	.set _ZN7rocprim17ROCPRIM_400000_NS6detail17trampoline_kernelINS0_14default_configENS1_35radix_sort_onesweep_config_selectorIdlEEZZNS1_29radix_sort_onesweep_iterationIS3_Lb0EPdS7_N6thrust23THRUST_200600_302600_NS10device_ptrIlEESB_jNS0_19identity_decomposerENS1_16block_id_wrapperIjLb0EEEEE10hipError_tT1_PNSt15iterator_traitsISG_E10value_typeET2_T3_PNSH_ISM_E10value_typeET4_T5_PSR_SS_PNS1_23onesweep_lookback_stateEbbT6_jjT7_P12ihipStream_tbENKUlT_T0_SG_SL_E_clIS7_S7_SB_SB_EEDaSZ_S10_SG_SL_EUlSZ_E_NS1_11comp_targetILNS1_3genE2ELNS1_11target_archE906ELNS1_3gpuE6ELNS1_3repE0EEENS1_47radix_sort_onesweep_sort_config_static_selectorELNS0_4arch9wavefront6targetE1EEEvSG_.uses_flat_scratch, 0
	.set _ZN7rocprim17ROCPRIM_400000_NS6detail17trampoline_kernelINS0_14default_configENS1_35radix_sort_onesweep_config_selectorIdlEEZZNS1_29radix_sort_onesweep_iterationIS3_Lb0EPdS7_N6thrust23THRUST_200600_302600_NS10device_ptrIlEESB_jNS0_19identity_decomposerENS1_16block_id_wrapperIjLb0EEEEE10hipError_tT1_PNSt15iterator_traitsISG_E10value_typeET2_T3_PNSH_ISM_E10value_typeET4_T5_PSR_SS_PNS1_23onesweep_lookback_stateEbbT6_jjT7_P12ihipStream_tbENKUlT_T0_SG_SL_E_clIS7_S7_SB_SB_EEDaSZ_S10_SG_SL_EUlSZ_E_NS1_11comp_targetILNS1_3genE2ELNS1_11target_archE906ELNS1_3gpuE6ELNS1_3repE0EEENS1_47radix_sort_onesweep_sort_config_static_selectorELNS0_4arch9wavefront6targetE1EEEvSG_.has_dyn_sized_stack, 0
	.set _ZN7rocprim17ROCPRIM_400000_NS6detail17trampoline_kernelINS0_14default_configENS1_35radix_sort_onesweep_config_selectorIdlEEZZNS1_29radix_sort_onesweep_iterationIS3_Lb0EPdS7_N6thrust23THRUST_200600_302600_NS10device_ptrIlEESB_jNS0_19identity_decomposerENS1_16block_id_wrapperIjLb0EEEEE10hipError_tT1_PNSt15iterator_traitsISG_E10value_typeET2_T3_PNSH_ISM_E10value_typeET4_T5_PSR_SS_PNS1_23onesweep_lookback_stateEbbT6_jjT7_P12ihipStream_tbENKUlT_T0_SG_SL_E_clIS7_S7_SB_SB_EEDaSZ_S10_SG_SL_EUlSZ_E_NS1_11comp_targetILNS1_3genE2ELNS1_11target_archE906ELNS1_3gpuE6ELNS1_3repE0EEENS1_47radix_sort_onesweep_sort_config_static_selectorELNS0_4arch9wavefront6targetE1EEEvSG_.has_recursion, 0
	.set _ZN7rocprim17ROCPRIM_400000_NS6detail17trampoline_kernelINS0_14default_configENS1_35radix_sort_onesweep_config_selectorIdlEEZZNS1_29radix_sort_onesweep_iterationIS3_Lb0EPdS7_N6thrust23THRUST_200600_302600_NS10device_ptrIlEESB_jNS0_19identity_decomposerENS1_16block_id_wrapperIjLb0EEEEE10hipError_tT1_PNSt15iterator_traitsISG_E10value_typeET2_T3_PNSH_ISM_E10value_typeET4_T5_PSR_SS_PNS1_23onesweep_lookback_stateEbbT6_jjT7_P12ihipStream_tbENKUlT_T0_SG_SL_E_clIS7_S7_SB_SB_EEDaSZ_S10_SG_SL_EUlSZ_E_NS1_11comp_targetILNS1_3genE2ELNS1_11target_archE906ELNS1_3gpuE6ELNS1_3repE0EEENS1_47radix_sort_onesweep_sort_config_static_selectorELNS0_4arch9wavefront6targetE1EEEvSG_.has_indirect_call, 0
	.section	.AMDGPU.csdata,"",@progbits
; Kernel info:
; codeLenInByte = 10508
; TotalNumSgprs: 58
; NumVgprs: 47
; ScratchSize: 32
; MemoryBound: 0
; FloatMode: 240
; IeeeMode: 1
; LDSByteSize: 10280 bytes/workgroup (compile time only)
; SGPRBlocks: 7
; VGPRBlocks: 11
; NumSGPRsForWavesPerEU: 58
; NumVGPRsForWavesPerEU: 47
; Occupancy: 5
; WaveLimiterHint : 1
; COMPUTE_PGM_RSRC2:SCRATCH_EN: 1
; COMPUTE_PGM_RSRC2:USER_SGPR: 6
; COMPUTE_PGM_RSRC2:TRAP_HANDLER: 0
; COMPUTE_PGM_RSRC2:TGID_X_EN: 1
; COMPUTE_PGM_RSRC2:TGID_Y_EN: 0
; COMPUTE_PGM_RSRC2:TGID_Z_EN: 0
; COMPUTE_PGM_RSRC2:TIDIG_COMP_CNT: 2
	.section	.text._ZN7rocprim17ROCPRIM_400000_NS6detail17trampoline_kernelINS0_14default_configENS1_35radix_sort_onesweep_config_selectorIdlEEZZNS1_29radix_sort_onesweep_iterationIS3_Lb0EPdS7_N6thrust23THRUST_200600_302600_NS10device_ptrIlEESB_jNS0_19identity_decomposerENS1_16block_id_wrapperIjLb0EEEEE10hipError_tT1_PNSt15iterator_traitsISG_E10value_typeET2_T3_PNSH_ISM_E10value_typeET4_T5_PSR_SS_PNS1_23onesweep_lookback_stateEbbT6_jjT7_P12ihipStream_tbENKUlT_T0_SG_SL_E_clIS7_S7_SB_SB_EEDaSZ_S10_SG_SL_EUlSZ_E_NS1_11comp_targetILNS1_3genE4ELNS1_11target_archE910ELNS1_3gpuE8ELNS1_3repE0EEENS1_47radix_sort_onesweep_sort_config_static_selectorELNS0_4arch9wavefront6targetE1EEEvSG_,"axG",@progbits,_ZN7rocprim17ROCPRIM_400000_NS6detail17trampoline_kernelINS0_14default_configENS1_35radix_sort_onesweep_config_selectorIdlEEZZNS1_29radix_sort_onesweep_iterationIS3_Lb0EPdS7_N6thrust23THRUST_200600_302600_NS10device_ptrIlEESB_jNS0_19identity_decomposerENS1_16block_id_wrapperIjLb0EEEEE10hipError_tT1_PNSt15iterator_traitsISG_E10value_typeET2_T3_PNSH_ISM_E10value_typeET4_T5_PSR_SS_PNS1_23onesweep_lookback_stateEbbT6_jjT7_P12ihipStream_tbENKUlT_T0_SG_SL_E_clIS7_S7_SB_SB_EEDaSZ_S10_SG_SL_EUlSZ_E_NS1_11comp_targetILNS1_3genE4ELNS1_11target_archE910ELNS1_3gpuE8ELNS1_3repE0EEENS1_47radix_sort_onesweep_sort_config_static_selectorELNS0_4arch9wavefront6targetE1EEEvSG_,comdat
	.protected	_ZN7rocprim17ROCPRIM_400000_NS6detail17trampoline_kernelINS0_14default_configENS1_35radix_sort_onesweep_config_selectorIdlEEZZNS1_29radix_sort_onesweep_iterationIS3_Lb0EPdS7_N6thrust23THRUST_200600_302600_NS10device_ptrIlEESB_jNS0_19identity_decomposerENS1_16block_id_wrapperIjLb0EEEEE10hipError_tT1_PNSt15iterator_traitsISG_E10value_typeET2_T3_PNSH_ISM_E10value_typeET4_T5_PSR_SS_PNS1_23onesweep_lookback_stateEbbT6_jjT7_P12ihipStream_tbENKUlT_T0_SG_SL_E_clIS7_S7_SB_SB_EEDaSZ_S10_SG_SL_EUlSZ_E_NS1_11comp_targetILNS1_3genE4ELNS1_11target_archE910ELNS1_3gpuE8ELNS1_3repE0EEENS1_47radix_sort_onesweep_sort_config_static_selectorELNS0_4arch9wavefront6targetE1EEEvSG_ ; -- Begin function _ZN7rocprim17ROCPRIM_400000_NS6detail17trampoline_kernelINS0_14default_configENS1_35radix_sort_onesweep_config_selectorIdlEEZZNS1_29radix_sort_onesweep_iterationIS3_Lb0EPdS7_N6thrust23THRUST_200600_302600_NS10device_ptrIlEESB_jNS0_19identity_decomposerENS1_16block_id_wrapperIjLb0EEEEE10hipError_tT1_PNSt15iterator_traitsISG_E10value_typeET2_T3_PNSH_ISM_E10value_typeET4_T5_PSR_SS_PNS1_23onesweep_lookback_stateEbbT6_jjT7_P12ihipStream_tbENKUlT_T0_SG_SL_E_clIS7_S7_SB_SB_EEDaSZ_S10_SG_SL_EUlSZ_E_NS1_11comp_targetILNS1_3genE4ELNS1_11target_archE910ELNS1_3gpuE8ELNS1_3repE0EEENS1_47radix_sort_onesweep_sort_config_static_selectorELNS0_4arch9wavefront6targetE1EEEvSG_
	.globl	_ZN7rocprim17ROCPRIM_400000_NS6detail17trampoline_kernelINS0_14default_configENS1_35radix_sort_onesweep_config_selectorIdlEEZZNS1_29radix_sort_onesweep_iterationIS3_Lb0EPdS7_N6thrust23THRUST_200600_302600_NS10device_ptrIlEESB_jNS0_19identity_decomposerENS1_16block_id_wrapperIjLb0EEEEE10hipError_tT1_PNSt15iterator_traitsISG_E10value_typeET2_T3_PNSH_ISM_E10value_typeET4_T5_PSR_SS_PNS1_23onesweep_lookback_stateEbbT6_jjT7_P12ihipStream_tbENKUlT_T0_SG_SL_E_clIS7_S7_SB_SB_EEDaSZ_S10_SG_SL_EUlSZ_E_NS1_11comp_targetILNS1_3genE4ELNS1_11target_archE910ELNS1_3gpuE8ELNS1_3repE0EEENS1_47radix_sort_onesweep_sort_config_static_selectorELNS0_4arch9wavefront6targetE1EEEvSG_
	.p2align	8
	.type	_ZN7rocprim17ROCPRIM_400000_NS6detail17trampoline_kernelINS0_14default_configENS1_35radix_sort_onesweep_config_selectorIdlEEZZNS1_29radix_sort_onesweep_iterationIS3_Lb0EPdS7_N6thrust23THRUST_200600_302600_NS10device_ptrIlEESB_jNS0_19identity_decomposerENS1_16block_id_wrapperIjLb0EEEEE10hipError_tT1_PNSt15iterator_traitsISG_E10value_typeET2_T3_PNSH_ISM_E10value_typeET4_T5_PSR_SS_PNS1_23onesweep_lookback_stateEbbT6_jjT7_P12ihipStream_tbENKUlT_T0_SG_SL_E_clIS7_S7_SB_SB_EEDaSZ_S10_SG_SL_EUlSZ_E_NS1_11comp_targetILNS1_3genE4ELNS1_11target_archE910ELNS1_3gpuE8ELNS1_3repE0EEENS1_47radix_sort_onesweep_sort_config_static_selectorELNS0_4arch9wavefront6targetE1EEEvSG_,@function
_ZN7rocprim17ROCPRIM_400000_NS6detail17trampoline_kernelINS0_14default_configENS1_35radix_sort_onesweep_config_selectorIdlEEZZNS1_29radix_sort_onesweep_iterationIS3_Lb0EPdS7_N6thrust23THRUST_200600_302600_NS10device_ptrIlEESB_jNS0_19identity_decomposerENS1_16block_id_wrapperIjLb0EEEEE10hipError_tT1_PNSt15iterator_traitsISG_E10value_typeET2_T3_PNSH_ISM_E10value_typeET4_T5_PSR_SS_PNS1_23onesweep_lookback_stateEbbT6_jjT7_P12ihipStream_tbENKUlT_T0_SG_SL_E_clIS7_S7_SB_SB_EEDaSZ_S10_SG_SL_EUlSZ_E_NS1_11comp_targetILNS1_3genE4ELNS1_11target_archE910ELNS1_3gpuE8ELNS1_3repE0EEENS1_47radix_sort_onesweep_sort_config_static_selectorELNS0_4arch9wavefront6targetE1EEEvSG_: ; @_ZN7rocprim17ROCPRIM_400000_NS6detail17trampoline_kernelINS0_14default_configENS1_35radix_sort_onesweep_config_selectorIdlEEZZNS1_29radix_sort_onesweep_iterationIS3_Lb0EPdS7_N6thrust23THRUST_200600_302600_NS10device_ptrIlEESB_jNS0_19identity_decomposerENS1_16block_id_wrapperIjLb0EEEEE10hipError_tT1_PNSt15iterator_traitsISG_E10value_typeET2_T3_PNSH_ISM_E10value_typeET4_T5_PSR_SS_PNS1_23onesweep_lookback_stateEbbT6_jjT7_P12ihipStream_tbENKUlT_T0_SG_SL_E_clIS7_S7_SB_SB_EEDaSZ_S10_SG_SL_EUlSZ_E_NS1_11comp_targetILNS1_3genE4ELNS1_11target_archE910ELNS1_3gpuE8ELNS1_3repE0EEENS1_47radix_sort_onesweep_sort_config_static_selectorELNS0_4arch9wavefront6targetE1EEEvSG_
; %bb.0:
	.section	.rodata,"a",@progbits
	.p2align	6, 0x0
	.amdhsa_kernel _ZN7rocprim17ROCPRIM_400000_NS6detail17trampoline_kernelINS0_14default_configENS1_35radix_sort_onesweep_config_selectorIdlEEZZNS1_29radix_sort_onesweep_iterationIS3_Lb0EPdS7_N6thrust23THRUST_200600_302600_NS10device_ptrIlEESB_jNS0_19identity_decomposerENS1_16block_id_wrapperIjLb0EEEEE10hipError_tT1_PNSt15iterator_traitsISG_E10value_typeET2_T3_PNSH_ISM_E10value_typeET4_T5_PSR_SS_PNS1_23onesweep_lookback_stateEbbT6_jjT7_P12ihipStream_tbENKUlT_T0_SG_SL_E_clIS7_S7_SB_SB_EEDaSZ_S10_SG_SL_EUlSZ_E_NS1_11comp_targetILNS1_3genE4ELNS1_11target_archE910ELNS1_3gpuE8ELNS1_3repE0EEENS1_47radix_sort_onesweep_sort_config_static_selectorELNS0_4arch9wavefront6targetE1EEEvSG_
		.amdhsa_group_segment_fixed_size 0
		.amdhsa_private_segment_fixed_size 0
		.amdhsa_kernarg_size 88
		.amdhsa_user_sgpr_count 6
		.amdhsa_user_sgpr_private_segment_buffer 1
		.amdhsa_user_sgpr_dispatch_ptr 0
		.amdhsa_user_sgpr_queue_ptr 0
		.amdhsa_user_sgpr_kernarg_segment_ptr 1
		.amdhsa_user_sgpr_dispatch_id 0
		.amdhsa_user_sgpr_flat_scratch_init 0
		.amdhsa_user_sgpr_private_segment_size 0
		.amdhsa_uses_dynamic_stack 0
		.amdhsa_system_sgpr_private_segment_wavefront_offset 0
		.amdhsa_system_sgpr_workgroup_id_x 1
		.amdhsa_system_sgpr_workgroup_id_y 0
		.amdhsa_system_sgpr_workgroup_id_z 0
		.amdhsa_system_sgpr_workgroup_info 0
		.amdhsa_system_vgpr_workitem_id 0
		.amdhsa_next_free_vgpr 1
		.amdhsa_next_free_sgpr 0
		.amdhsa_reserve_vcc 0
		.amdhsa_reserve_flat_scratch 0
		.amdhsa_float_round_mode_32 0
		.amdhsa_float_round_mode_16_64 0
		.amdhsa_float_denorm_mode_32 3
		.amdhsa_float_denorm_mode_16_64 3
		.amdhsa_dx10_clamp 1
		.amdhsa_ieee_mode 1
		.amdhsa_fp16_overflow 0
		.amdhsa_exception_fp_ieee_invalid_op 0
		.amdhsa_exception_fp_denorm_src 0
		.amdhsa_exception_fp_ieee_div_zero 0
		.amdhsa_exception_fp_ieee_overflow 0
		.amdhsa_exception_fp_ieee_underflow 0
		.amdhsa_exception_fp_ieee_inexact 0
		.amdhsa_exception_int_div_zero 0
	.end_amdhsa_kernel
	.section	.text._ZN7rocprim17ROCPRIM_400000_NS6detail17trampoline_kernelINS0_14default_configENS1_35radix_sort_onesweep_config_selectorIdlEEZZNS1_29radix_sort_onesweep_iterationIS3_Lb0EPdS7_N6thrust23THRUST_200600_302600_NS10device_ptrIlEESB_jNS0_19identity_decomposerENS1_16block_id_wrapperIjLb0EEEEE10hipError_tT1_PNSt15iterator_traitsISG_E10value_typeET2_T3_PNSH_ISM_E10value_typeET4_T5_PSR_SS_PNS1_23onesweep_lookback_stateEbbT6_jjT7_P12ihipStream_tbENKUlT_T0_SG_SL_E_clIS7_S7_SB_SB_EEDaSZ_S10_SG_SL_EUlSZ_E_NS1_11comp_targetILNS1_3genE4ELNS1_11target_archE910ELNS1_3gpuE8ELNS1_3repE0EEENS1_47radix_sort_onesweep_sort_config_static_selectorELNS0_4arch9wavefront6targetE1EEEvSG_,"axG",@progbits,_ZN7rocprim17ROCPRIM_400000_NS6detail17trampoline_kernelINS0_14default_configENS1_35radix_sort_onesweep_config_selectorIdlEEZZNS1_29radix_sort_onesweep_iterationIS3_Lb0EPdS7_N6thrust23THRUST_200600_302600_NS10device_ptrIlEESB_jNS0_19identity_decomposerENS1_16block_id_wrapperIjLb0EEEEE10hipError_tT1_PNSt15iterator_traitsISG_E10value_typeET2_T3_PNSH_ISM_E10value_typeET4_T5_PSR_SS_PNS1_23onesweep_lookback_stateEbbT6_jjT7_P12ihipStream_tbENKUlT_T0_SG_SL_E_clIS7_S7_SB_SB_EEDaSZ_S10_SG_SL_EUlSZ_E_NS1_11comp_targetILNS1_3genE4ELNS1_11target_archE910ELNS1_3gpuE8ELNS1_3repE0EEENS1_47radix_sort_onesweep_sort_config_static_selectorELNS0_4arch9wavefront6targetE1EEEvSG_,comdat
.Lfunc_end1647:
	.size	_ZN7rocprim17ROCPRIM_400000_NS6detail17trampoline_kernelINS0_14default_configENS1_35radix_sort_onesweep_config_selectorIdlEEZZNS1_29radix_sort_onesweep_iterationIS3_Lb0EPdS7_N6thrust23THRUST_200600_302600_NS10device_ptrIlEESB_jNS0_19identity_decomposerENS1_16block_id_wrapperIjLb0EEEEE10hipError_tT1_PNSt15iterator_traitsISG_E10value_typeET2_T3_PNSH_ISM_E10value_typeET4_T5_PSR_SS_PNS1_23onesweep_lookback_stateEbbT6_jjT7_P12ihipStream_tbENKUlT_T0_SG_SL_E_clIS7_S7_SB_SB_EEDaSZ_S10_SG_SL_EUlSZ_E_NS1_11comp_targetILNS1_3genE4ELNS1_11target_archE910ELNS1_3gpuE8ELNS1_3repE0EEENS1_47radix_sort_onesweep_sort_config_static_selectorELNS0_4arch9wavefront6targetE1EEEvSG_, .Lfunc_end1647-_ZN7rocprim17ROCPRIM_400000_NS6detail17trampoline_kernelINS0_14default_configENS1_35radix_sort_onesweep_config_selectorIdlEEZZNS1_29radix_sort_onesweep_iterationIS3_Lb0EPdS7_N6thrust23THRUST_200600_302600_NS10device_ptrIlEESB_jNS0_19identity_decomposerENS1_16block_id_wrapperIjLb0EEEEE10hipError_tT1_PNSt15iterator_traitsISG_E10value_typeET2_T3_PNSH_ISM_E10value_typeET4_T5_PSR_SS_PNS1_23onesweep_lookback_stateEbbT6_jjT7_P12ihipStream_tbENKUlT_T0_SG_SL_E_clIS7_S7_SB_SB_EEDaSZ_S10_SG_SL_EUlSZ_E_NS1_11comp_targetILNS1_3genE4ELNS1_11target_archE910ELNS1_3gpuE8ELNS1_3repE0EEENS1_47radix_sort_onesweep_sort_config_static_selectorELNS0_4arch9wavefront6targetE1EEEvSG_
                                        ; -- End function
	.set _ZN7rocprim17ROCPRIM_400000_NS6detail17trampoline_kernelINS0_14default_configENS1_35radix_sort_onesweep_config_selectorIdlEEZZNS1_29radix_sort_onesweep_iterationIS3_Lb0EPdS7_N6thrust23THRUST_200600_302600_NS10device_ptrIlEESB_jNS0_19identity_decomposerENS1_16block_id_wrapperIjLb0EEEEE10hipError_tT1_PNSt15iterator_traitsISG_E10value_typeET2_T3_PNSH_ISM_E10value_typeET4_T5_PSR_SS_PNS1_23onesweep_lookback_stateEbbT6_jjT7_P12ihipStream_tbENKUlT_T0_SG_SL_E_clIS7_S7_SB_SB_EEDaSZ_S10_SG_SL_EUlSZ_E_NS1_11comp_targetILNS1_3genE4ELNS1_11target_archE910ELNS1_3gpuE8ELNS1_3repE0EEENS1_47radix_sort_onesweep_sort_config_static_selectorELNS0_4arch9wavefront6targetE1EEEvSG_.num_vgpr, 0
	.set _ZN7rocprim17ROCPRIM_400000_NS6detail17trampoline_kernelINS0_14default_configENS1_35radix_sort_onesweep_config_selectorIdlEEZZNS1_29radix_sort_onesweep_iterationIS3_Lb0EPdS7_N6thrust23THRUST_200600_302600_NS10device_ptrIlEESB_jNS0_19identity_decomposerENS1_16block_id_wrapperIjLb0EEEEE10hipError_tT1_PNSt15iterator_traitsISG_E10value_typeET2_T3_PNSH_ISM_E10value_typeET4_T5_PSR_SS_PNS1_23onesweep_lookback_stateEbbT6_jjT7_P12ihipStream_tbENKUlT_T0_SG_SL_E_clIS7_S7_SB_SB_EEDaSZ_S10_SG_SL_EUlSZ_E_NS1_11comp_targetILNS1_3genE4ELNS1_11target_archE910ELNS1_3gpuE8ELNS1_3repE0EEENS1_47radix_sort_onesweep_sort_config_static_selectorELNS0_4arch9wavefront6targetE1EEEvSG_.num_agpr, 0
	.set _ZN7rocprim17ROCPRIM_400000_NS6detail17trampoline_kernelINS0_14default_configENS1_35radix_sort_onesweep_config_selectorIdlEEZZNS1_29radix_sort_onesweep_iterationIS3_Lb0EPdS7_N6thrust23THRUST_200600_302600_NS10device_ptrIlEESB_jNS0_19identity_decomposerENS1_16block_id_wrapperIjLb0EEEEE10hipError_tT1_PNSt15iterator_traitsISG_E10value_typeET2_T3_PNSH_ISM_E10value_typeET4_T5_PSR_SS_PNS1_23onesweep_lookback_stateEbbT6_jjT7_P12ihipStream_tbENKUlT_T0_SG_SL_E_clIS7_S7_SB_SB_EEDaSZ_S10_SG_SL_EUlSZ_E_NS1_11comp_targetILNS1_3genE4ELNS1_11target_archE910ELNS1_3gpuE8ELNS1_3repE0EEENS1_47radix_sort_onesweep_sort_config_static_selectorELNS0_4arch9wavefront6targetE1EEEvSG_.numbered_sgpr, 0
	.set _ZN7rocprim17ROCPRIM_400000_NS6detail17trampoline_kernelINS0_14default_configENS1_35radix_sort_onesweep_config_selectorIdlEEZZNS1_29radix_sort_onesweep_iterationIS3_Lb0EPdS7_N6thrust23THRUST_200600_302600_NS10device_ptrIlEESB_jNS0_19identity_decomposerENS1_16block_id_wrapperIjLb0EEEEE10hipError_tT1_PNSt15iterator_traitsISG_E10value_typeET2_T3_PNSH_ISM_E10value_typeET4_T5_PSR_SS_PNS1_23onesweep_lookback_stateEbbT6_jjT7_P12ihipStream_tbENKUlT_T0_SG_SL_E_clIS7_S7_SB_SB_EEDaSZ_S10_SG_SL_EUlSZ_E_NS1_11comp_targetILNS1_3genE4ELNS1_11target_archE910ELNS1_3gpuE8ELNS1_3repE0EEENS1_47radix_sort_onesweep_sort_config_static_selectorELNS0_4arch9wavefront6targetE1EEEvSG_.num_named_barrier, 0
	.set _ZN7rocprim17ROCPRIM_400000_NS6detail17trampoline_kernelINS0_14default_configENS1_35radix_sort_onesweep_config_selectorIdlEEZZNS1_29radix_sort_onesweep_iterationIS3_Lb0EPdS7_N6thrust23THRUST_200600_302600_NS10device_ptrIlEESB_jNS0_19identity_decomposerENS1_16block_id_wrapperIjLb0EEEEE10hipError_tT1_PNSt15iterator_traitsISG_E10value_typeET2_T3_PNSH_ISM_E10value_typeET4_T5_PSR_SS_PNS1_23onesweep_lookback_stateEbbT6_jjT7_P12ihipStream_tbENKUlT_T0_SG_SL_E_clIS7_S7_SB_SB_EEDaSZ_S10_SG_SL_EUlSZ_E_NS1_11comp_targetILNS1_3genE4ELNS1_11target_archE910ELNS1_3gpuE8ELNS1_3repE0EEENS1_47radix_sort_onesweep_sort_config_static_selectorELNS0_4arch9wavefront6targetE1EEEvSG_.private_seg_size, 0
	.set _ZN7rocprim17ROCPRIM_400000_NS6detail17trampoline_kernelINS0_14default_configENS1_35radix_sort_onesweep_config_selectorIdlEEZZNS1_29radix_sort_onesweep_iterationIS3_Lb0EPdS7_N6thrust23THRUST_200600_302600_NS10device_ptrIlEESB_jNS0_19identity_decomposerENS1_16block_id_wrapperIjLb0EEEEE10hipError_tT1_PNSt15iterator_traitsISG_E10value_typeET2_T3_PNSH_ISM_E10value_typeET4_T5_PSR_SS_PNS1_23onesweep_lookback_stateEbbT6_jjT7_P12ihipStream_tbENKUlT_T0_SG_SL_E_clIS7_S7_SB_SB_EEDaSZ_S10_SG_SL_EUlSZ_E_NS1_11comp_targetILNS1_3genE4ELNS1_11target_archE910ELNS1_3gpuE8ELNS1_3repE0EEENS1_47radix_sort_onesweep_sort_config_static_selectorELNS0_4arch9wavefront6targetE1EEEvSG_.uses_vcc, 0
	.set _ZN7rocprim17ROCPRIM_400000_NS6detail17trampoline_kernelINS0_14default_configENS1_35radix_sort_onesweep_config_selectorIdlEEZZNS1_29radix_sort_onesweep_iterationIS3_Lb0EPdS7_N6thrust23THRUST_200600_302600_NS10device_ptrIlEESB_jNS0_19identity_decomposerENS1_16block_id_wrapperIjLb0EEEEE10hipError_tT1_PNSt15iterator_traitsISG_E10value_typeET2_T3_PNSH_ISM_E10value_typeET4_T5_PSR_SS_PNS1_23onesweep_lookback_stateEbbT6_jjT7_P12ihipStream_tbENKUlT_T0_SG_SL_E_clIS7_S7_SB_SB_EEDaSZ_S10_SG_SL_EUlSZ_E_NS1_11comp_targetILNS1_3genE4ELNS1_11target_archE910ELNS1_3gpuE8ELNS1_3repE0EEENS1_47radix_sort_onesweep_sort_config_static_selectorELNS0_4arch9wavefront6targetE1EEEvSG_.uses_flat_scratch, 0
	.set _ZN7rocprim17ROCPRIM_400000_NS6detail17trampoline_kernelINS0_14default_configENS1_35radix_sort_onesweep_config_selectorIdlEEZZNS1_29radix_sort_onesweep_iterationIS3_Lb0EPdS7_N6thrust23THRUST_200600_302600_NS10device_ptrIlEESB_jNS0_19identity_decomposerENS1_16block_id_wrapperIjLb0EEEEE10hipError_tT1_PNSt15iterator_traitsISG_E10value_typeET2_T3_PNSH_ISM_E10value_typeET4_T5_PSR_SS_PNS1_23onesweep_lookback_stateEbbT6_jjT7_P12ihipStream_tbENKUlT_T0_SG_SL_E_clIS7_S7_SB_SB_EEDaSZ_S10_SG_SL_EUlSZ_E_NS1_11comp_targetILNS1_3genE4ELNS1_11target_archE910ELNS1_3gpuE8ELNS1_3repE0EEENS1_47radix_sort_onesweep_sort_config_static_selectorELNS0_4arch9wavefront6targetE1EEEvSG_.has_dyn_sized_stack, 0
	.set _ZN7rocprim17ROCPRIM_400000_NS6detail17trampoline_kernelINS0_14default_configENS1_35radix_sort_onesweep_config_selectorIdlEEZZNS1_29radix_sort_onesweep_iterationIS3_Lb0EPdS7_N6thrust23THRUST_200600_302600_NS10device_ptrIlEESB_jNS0_19identity_decomposerENS1_16block_id_wrapperIjLb0EEEEE10hipError_tT1_PNSt15iterator_traitsISG_E10value_typeET2_T3_PNSH_ISM_E10value_typeET4_T5_PSR_SS_PNS1_23onesweep_lookback_stateEbbT6_jjT7_P12ihipStream_tbENKUlT_T0_SG_SL_E_clIS7_S7_SB_SB_EEDaSZ_S10_SG_SL_EUlSZ_E_NS1_11comp_targetILNS1_3genE4ELNS1_11target_archE910ELNS1_3gpuE8ELNS1_3repE0EEENS1_47radix_sort_onesweep_sort_config_static_selectorELNS0_4arch9wavefront6targetE1EEEvSG_.has_recursion, 0
	.set _ZN7rocprim17ROCPRIM_400000_NS6detail17trampoline_kernelINS0_14default_configENS1_35radix_sort_onesweep_config_selectorIdlEEZZNS1_29radix_sort_onesweep_iterationIS3_Lb0EPdS7_N6thrust23THRUST_200600_302600_NS10device_ptrIlEESB_jNS0_19identity_decomposerENS1_16block_id_wrapperIjLb0EEEEE10hipError_tT1_PNSt15iterator_traitsISG_E10value_typeET2_T3_PNSH_ISM_E10value_typeET4_T5_PSR_SS_PNS1_23onesweep_lookback_stateEbbT6_jjT7_P12ihipStream_tbENKUlT_T0_SG_SL_E_clIS7_S7_SB_SB_EEDaSZ_S10_SG_SL_EUlSZ_E_NS1_11comp_targetILNS1_3genE4ELNS1_11target_archE910ELNS1_3gpuE8ELNS1_3repE0EEENS1_47radix_sort_onesweep_sort_config_static_selectorELNS0_4arch9wavefront6targetE1EEEvSG_.has_indirect_call, 0
	.section	.AMDGPU.csdata,"",@progbits
; Kernel info:
; codeLenInByte = 0
; TotalNumSgprs: 4
; NumVgprs: 0
; ScratchSize: 0
; MemoryBound: 0
; FloatMode: 240
; IeeeMode: 1
; LDSByteSize: 0 bytes/workgroup (compile time only)
; SGPRBlocks: 0
; VGPRBlocks: 0
; NumSGPRsForWavesPerEU: 4
; NumVGPRsForWavesPerEU: 1
; Occupancy: 10
; WaveLimiterHint : 0
; COMPUTE_PGM_RSRC2:SCRATCH_EN: 0
; COMPUTE_PGM_RSRC2:USER_SGPR: 6
; COMPUTE_PGM_RSRC2:TRAP_HANDLER: 0
; COMPUTE_PGM_RSRC2:TGID_X_EN: 1
; COMPUTE_PGM_RSRC2:TGID_Y_EN: 0
; COMPUTE_PGM_RSRC2:TGID_Z_EN: 0
; COMPUTE_PGM_RSRC2:TIDIG_COMP_CNT: 0
	.section	.text._ZN7rocprim17ROCPRIM_400000_NS6detail17trampoline_kernelINS0_14default_configENS1_35radix_sort_onesweep_config_selectorIdlEEZZNS1_29radix_sort_onesweep_iterationIS3_Lb0EPdS7_N6thrust23THRUST_200600_302600_NS10device_ptrIlEESB_jNS0_19identity_decomposerENS1_16block_id_wrapperIjLb0EEEEE10hipError_tT1_PNSt15iterator_traitsISG_E10value_typeET2_T3_PNSH_ISM_E10value_typeET4_T5_PSR_SS_PNS1_23onesweep_lookback_stateEbbT6_jjT7_P12ihipStream_tbENKUlT_T0_SG_SL_E_clIS7_S7_SB_SB_EEDaSZ_S10_SG_SL_EUlSZ_E_NS1_11comp_targetILNS1_3genE3ELNS1_11target_archE908ELNS1_3gpuE7ELNS1_3repE0EEENS1_47radix_sort_onesweep_sort_config_static_selectorELNS0_4arch9wavefront6targetE1EEEvSG_,"axG",@progbits,_ZN7rocprim17ROCPRIM_400000_NS6detail17trampoline_kernelINS0_14default_configENS1_35radix_sort_onesweep_config_selectorIdlEEZZNS1_29radix_sort_onesweep_iterationIS3_Lb0EPdS7_N6thrust23THRUST_200600_302600_NS10device_ptrIlEESB_jNS0_19identity_decomposerENS1_16block_id_wrapperIjLb0EEEEE10hipError_tT1_PNSt15iterator_traitsISG_E10value_typeET2_T3_PNSH_ISM_E10value_typeET4_T5_PSR_SS_PNS1_23onesweep_lookback_stateEbbT6_jjT7_P12ihipStream_tbENKUlT_T0_SG_SL_E_clIS7_S7_SB_SB_EEDaSZ_S10_SG_SL_EUlSZ_E_NS1_11comp_targetILNS1_3genE3ELNS1_11target_archE908ELNS1_3gpuE7ELNS1_3repE0EEENS1_47radix_sort_onesweep_sort_config_static_selectorELNS0_4arch9wavefront6targetE1EEEvSG_,comdat
	.protected	_ZN7rocprim17ROCPRIM_400000_NS6detail17trampoline_kernelINS0_14default_configENS1_35radix_sort_onesweep_config_selectorIdlEEZZNS1_29radix_sort_onesweep_iterationIS3_Lb0EPdS7_N6thrust23THRUST_200600_302600_NS10device_ptrIlEESB_jNS0_19identity_decomposerENS1_16block_id_wrapperIjLb0EEEEE10hipError_tT1_PNSt15iterator_traitsISG_E10value_typeET2_T3_PNSH_ISM_E10value_typeET4_T5_PSR_SS_PNS1_23onesweep_lookback_stateEbbT6_jjT7_P12ihipStream_tbENKUlT_T0_SG_SL_E_clIS7_S7_SB_SB_EEDaSZ_S10_SG_SL_EUlSZ_E_NS1_11comp_targetILNS1_3genE3ELNS1_11target_archE908ELNS1_3gpuE7ELNS1_3repE0EEENS1_47radix_sort_onesweep_sort_config_static_selectorELNS0_4arch9wavefront6targetE1EEEvSG_ ; -- Begin function _ZN7rocprim17ROCPRIM_400000_NS6detail17trampoline_kernelINS0_14default_configENS1_35radix_sort_onesweep_config_selectorIdlEEZZNS1_29radix_sort_onesweep_iterationIS3_Lb0EPdS7_N6thrust23THRUST_200600_302600_NS10device_ptrIlEESB_jNS0_19identity_decomposerENS1_16block_id_wrapperIjLb0EEEEE10hipError_tT1_PNSt15iterator_traitsISG_E10value_typeET2_T3_PNSH_ISM_E10value_typeET4_T5_PSR_SS_PNS1_23onesweep_lookback_stateEbbT6_jjT7_P12ihipStream_tbENKUlT_T0_SG_SL_E_clIS7_S7_SB_SB_EEDaSZ_S10_SG_SL_EUlSZ_E_NS1_11comp_targetILNS1_3genE3ELNS1_11target_archE908ELNS1_3gpuE7ELNS1_3repE0EEENS1_47radix_sort_onesweep_sort_config_static_selectorELNS0_4arch9wavefront6targetE1EEEvSG_
	.globl	_ZN7rocprim17ROCPRIM_400000_NS6detail17trampoline_kernelINS0_14default_configENS1_35radix_sort_onesweep_config_selectorIdlEEZZNS1_29radix_sort_onesweep_iterationIS3_Lb0EPdS7_N6thrust23THRUST_200600_302600_NS10device_ptrIlEESB_jNS0_19identity_decomposerENS1_16block_id_wrapperIjLb0EEEEE10hipError_tT1_PNSt15iterator_traitsISG_E10value_typeET2_T3_PNSH_ISM_E10value_typeET4_T5_PSR_SS_PNS1_23onesweep_lookback_stateEbbT6_jjT7_P12ihipStream_tbENKUlT_T0_SG_SL_E_clIS7_S7_SB_SB_EEDaSZ_S10_SG_SL_EUlSZ_E_NS1_11comp_targetILNS1_3genE3ELNS1_11target_archE908ELNS1_3gpuE7ELNS1_3repE0EEENS1_47radix_sort_onesweep_sort_config_static_selectorELNS0_4arch9wavefront6targetE1EEEvSG_
	.p2align	8
	.type	_ZN7rocprim17ROCPRIM_400000_NS6detail17trampoline_kernelINS0_14default_configENS1_35radix_sort_onesweep_config_selectorIdlEEZZNS1_29radix_sort_onesweep_iterationIS3_Lb0EPdS7_N6thrust23THRUST_200600_302600_NS10device_ptrIlEESB_jNS0_19identity_decomposerENS1_16block_id_wrapperIjLb0EEEEE10hipError_tT1_PNSt15iterator_traitsISG_E10value_typeET2_T3_PNSH_ISM_E10value_typeET4_T5_PSR_SS_PNS1_23onesweep_lookback_stateEbbT6_jjT7_P12ihipStream_tbENKUlT_T0_SG_SL_E_clIS7_S7_SB_SB_EEDaSZ_S10_SG_SL_EUlSZ_E_NS1_11comp_targetILNS1_3genE3ELNS1_11target_archE908ELNS1_3gpuE7ELNS1_3repE0EEENS1_47radix_sort_onesweep_sort_config_static_selectorELNS0_4arch9wavefront6targetE1EEEvSG_,@function
_ZN7rocprim17ROCPRIM_400000_NS6detail17trampoline_kernelINS0_14default_configENS1_35radix_sort_onesweep_config_selectorIdlEEZZNS1_29radix_sort_onesweep_iterationIS3_Lb0EPdS7_N6thrust23THRUST_200600_302600_NS10device_ptrIlEESB_jNS0_19identity_decomposerENS1_16block_id_wrapperIjLb0EEEEE10hipError_tT1_PNSt15iterator_traitsISG_E10value_typeET2_T3_PNSH_ISM_E10value_typeET4_T5_PSR_SS_PNS1_23onesweep_lookback_stateEbbT6_jjT7_P12ihipStream_tbENKUlT_T0_SG_SL_E_clIS7_S7_SB_SB_EEDaSZ_S10_SG_SL_EUlSZ_E_NS1_11comp_targetILNS1_3genE3ELNS1_11target_archE908ELNS1_3gpuE7ELNS1_3repE0EEENS1_47radix_sort_onesweep_sort_config_static_selectorELNS0_4arch9wavefront6targetE1EEEvSG_: ; @_ZN7rocprim17ROCPRIM_400000_NS6detail17trampoline_kernelINS0_14default_configENS1_35radix_sort_onesweep_config_selectorIdlEEZZNS1_29radix_sort_onesweep_iterationIS3_Lb0EPdS7_N6thrust23THRUST_200600_302600_NS10device_ptrIlEESB_jNS0_19identity_decomposerENS1_16block_id_wrapperIjLb0EEEEE10hipError_tT1_PNSt15iterator_traitsISG_E10value_typeET2_T3_PNSH_ISM_E10value_typeET4_T5_PSR_SS_PNS1_23onesweep_lookback_stateEbbT6_jjT7_P12ihipStream_tbENKUlT_T0_SG_SL_E_clIS7_S7_SB_SB_EEDaSZ_S10_SG_SL_EUlSZ_E_NS1_11comp_targetILNS1_3genE3ELNS1_11target_archE908ELNS1_3gpuE7ELNS1_3repE0EEENS1_47radix_sort_onesweep_sort_config_static_selectorELNS0_4arch9wavefront6targetE1EEEvSG_
; %bb.0:
	.section	.rodata,"a",@progbits
	.p2align	6, 0x0
	.amdhsa_kernel _ZN7rocprim17ROCPRIM_400000_NS6detail17trampoline_kernelINS0_14default_configENS1_35radix_sort_onesweep_config_selectorIdlEEZZNS1_29radix_sort_onesweep_iterationIS3_Lb0EPdS7_N6thrust23THRUST_200600_302600_NS10device_ptrIlEESB_jNS0_19identity_decomposerENS1_16block_id_wrapperIjLb0EEEEE10hipError_tT1_PNSt15iterator_traitsISG_E10value_typeET2_T3_PNSH_ISM_E10value_typeET4_T5_PSR_SS_PNS1_23onesweep_lookback_stateEbbT6_jjT7_P12ihipStream_tbENKUlT_T0_SG_SL_E_clIS7_S7_SB_SB_EEDaSZ_S10_SG_SL_EUlSZ_E_NS1_11comp_targetILNS1_3genE3ELNS1_11target_archE908ELNS1_3gpuE7ELNS1_3repE0EEENS1_47radix_sort_onesweep_sort_config_static_selectorELNS0_4arch9wavefront6targetE1EEEvSG_
		.amdhsa_group_segment_fixed_size 0
		.amdhsa_private_segment_fixed_size 0
		.amdhsa_kernarg_size 88
		.amdhsa_user_sgpr_count 6
		.amdhsa_user_sgpr_private_segment_buffer 1
		.amdhsa_user_sgpr_dispatch_ptr 0
		.amdhsa_user_sgpr_queue_ptr 0
		.amdhsa_user_sgpr_kernarg_segment_ptr 1
		.amdhsa_user_sgpr_dispatch_id 0
		.amdhsa_user_sgpr_flat_scratch_init 0
		.amdhsa_user_sgpr_private_segment_size 0
		.amdhsa_uses_dynamic_stack 0
		.amdhsa_system_sgpr_private_segment_wavefront_offset 0
		.amdhsa_system_sgpr_workgroup_id_x 1
		.amdhsa_system_sgpr_workgroup_id_y 0
		.amdhsa_system_sgpr_workgroup_id_z 0
		.amdhsa_system_sgpr_workgroup_info 0
		.amdhsa_system_vgpr_workitem_id 0
		.amdhsa_next_free_vgpr 1
		.amdhsa_next_free_sgpr 0
		.amdhsa_reserve_vcc 0
		.amdhsa_reserve_flat_scratch 0
		.amdhsa_float_round_mode_32 0
		.amdhsa_float_round_mode_16_64 0
		.amdhsa_float_denorm_mode_32 3
		.amdhsa_float_denorm_mode_16_64 3
		.amdhsa_dx10_clamp 1
		.amdhsa_ieee_mode 1
		.amdhsa_fp16_overflow 0
		.amdhsa_exception_fp_ieee_invalid_op 0
		.amdhsa_exception_fp_denorm_src 0
		.amdhsa_exception_fp_ieee_div_zero 0
		.amdhsa_exception_fp_ieee_overflow 0
		.amdhsa_exception_fp_ieee_underflow 0
		.amdhsa_exception_fp_ieee_inexact 0
		.amdhsa_exception_int_div_zero 0
	.end_amdhsa_kernel
	.section	.text._ZN7rocprim17ROCPRIM_400000_NS6detail17trampoline_kernelINS0_14default_configENS1_35radix_sort_onesweep_config_selectorIdlEEZZNS1_29radix_sort_onesweep_iterationIS3_Lb0EPdS7_N6thrust23THRUST_200600_302600_NS10device_ptrIlEESB_jNS0_19identity_decomposerENS1_16block_id_wrapperIjLb0EEEEE10hipError_tT1_PNSt15iterator_traitsISG_E10value_typeET2_T3_PNSH_ISM_E10value_typeET4_T5_PSR_SS_PNS1_23onesweep_lookback_stateEbbT6_jjT7_P12ihipStream_tbENKUlT_T0_SG_SL_E_clIS7_S7_SB_SB_EEDaSZ_S10_SG_SL_EUlSZ_E_NS1_11comp_targetILNS1_3genE3ELNS1_11target_archE908ELNS1_3gpuE7ELNS1_3repE0EEENS1_47radix_sort_onesweep_sort_config_static_selectorELNS0_4arch9wavefront6targetE1EEEvSG_,"axG",@progbits,_ZN7rocprim17ROCPRIM_400000_NS6detail17trampoline_kernelINS0_14default_configENS1_35radix_sort_onesweep_config_selectorIdlEEZZNS1_29radix_sort_onesweep_iterationIS3_Lb0EPdS7_N6thrust23THRUST_200600_302600_NS10device_ptrIlEESB_jNS0_19identity_decomposerENS1_16block_id_wrapperIjLb0EEEEE10hipError_tT1_PNSt15iterator_traitsISG_E10value_typeET2_T3_PNSH_ISM_E10value_typeET4_T5_PSR_SS_PNS1_23onesweep_lookback_stateEbbT6_jjT7_P12ihipStream_tbENKUlT_T0_SG_SL_E_clIS7_S7_SB_SB_EEDaSZ_S10_SG_SL_EUlSZ_E_NS1_11comp_targetILNS1_3genE3ELNS1_11target_archE908ELNS1_3gpuE7ELNS1_3repE0EEENS1_47radix_sort_onesweep_sort_config_static_selectorELNS0_4arch9wavefront6targetE1EEEvSG_,comdat
.Lfunc_end1648:
	.size	_ZN7rocprim17ROCPRIM_400000_NS6detail17trampoline_kernelINS0_14default_configENS1_35radix_sort_onesweep_config_selectorIdlEEZZNS1_29radix_sort_onesweep_iterationIS3_Lb0EPdS7_N6thrust23THRUST_200600_302600_NS10device_ptrIlEESB_jNS0_19identity_decomposerENS1_16block_id_wrapperIjLb0EEEEE10hipError_tT1_PNSt15iterator_traitsISG_E10value_typeET2_T3_PNSH_ISM_E10value_typeET4_T5_PSR_SS_PNS1_23onesweep_lookback_stateEbbT6_jjT7_P12ihipStream_tbENKUlT_T0_SG_SL_E_clIS7_S7_SB_SB_EEDaSZ_S10_SG_SL_EUlSZ_E_NS1_11comp_targetILNS1_3genE3ELNS1_11target_archE908ELNS1_3gpuE7ELNS1_3repE0EEENS1_47radix_sort_onesweep_sort_config_static_selectorELNS0_4arch9wavefront6targetE1EEEvSG_, .Lfunc_end1648-_ZN7rocprim17ROCPRIM_400000_NS6detail17trampoline_kernelINS0_14default_configENS1_35radix_sort_onesweep_config_selectorIdlEEZZNS1_29radix_sort_onesweep_iterationIS3_Lb0EPdS7_N6thrust23THRUST_200600_302600_NS10device_ptrIlEESB_jNS0_19identity_decomposerENS1_16block_id_wrapperIjLb0EEEEE10hipError_tT1_PNSt15iterator_traitsISG_E10value_typeET2_T3_PNSH_ISM_E10value_typeET4_T5_PSR_SS_PNS1_23onesweep_lookback_stateEbbT6_jjT7_P12ihipStream_tbENKUlT_T0_SG_SL_E_clIS7_S7_SB_SB_EEDaSZ_S10_SG_SL_EUlSZ_E_NS1_11comp_targetILNS1_3genE3ELNS1_11target_archE908ELNS1_3gpuE7ELNS1_3repE0EEENS1_47radix_sort_onesweep_sort_config_static_selectorELNS0_4arch9wavefront6targetE1EEEvSG_
                                        ; -- End function
	.set _ZN7rocprim17ROCPRIM_400000_NS6detail17trampoline_kernelINS0_14default_configENS1_35radix_sort_onesweep_config_selectorIdlEEZZNS1_29radix_sort_onesweep_iterationIS3_Lb0EPdS7_N6thrust23THRUST_200600_302600_NS10device_ptrIlEESB_jNS0_19identity_decomposerENS1_16block_id_wrapperIjLb0EEEEE10hipError_tT1_PNSt15iterator_traitsISG_E10value_typeET2_T3_PNSH_ISM_E10value_typeET4_T5_PSR_SS_PNS1_23onesweep_lookback_stateEbbT6_jjT7_P12ihipStream_tbENKUlT_T0_SG_SL_E_clIS7_S7_SB_SB_EEDaSZ_S10_SG_SL_EUlSZ_E_NS1_11comp_targetILNS1_3genE3ELNS1_11target_archE908ELNS1_3gpuE7ELNS1_3repE0EEENS1_47radix_sort_onesweep_sort_config_static_selectorELNS0_4arch9wavefront6targetE1EEEvSG_.num_vgpr, 0
	.set _ZN7rocprim17ROCPRIM_400000_NS6detail17trampoline_kernelINS0_14default_configENS1_35radix_sort_onesweep_config_selectorIdlEEZZNS1_29radix_sort_onesweep_iterationIS3_Lb0EPdS7_N6thrust23THRUST_200600_302600_NS10device_ptrIlEESB_jNS0_19identity_decomposerENS1_16block_id_wrapperIjLb0EEEEE10hipError_tT1_PNSt15iterator_traitsISG_E10value_typeET2_T3_PNSH_ISM_E10value_typeET4_T5_PSR_SS_PNS1_23onesweep_lookback_stateEbbT6_jjT7_P12ihipStream_tbENKUlT_T0_SG_SL_E_clIS7_S7_SB_SB_EEDaSZ_S10_SG_SL_EUlSZ_E_NS1_11comp_targetILNS1_3genE3ELNS1_11target_archE908ELNS1_3gpuE7ELNS1_3repE0EEENS1_47radix_sort_onesweep_sort_config_static_selectorELNS0_4arch9wavefront6targetE1EEEvSG_.num_agpr, 0
	.set _ZN7rocprim17ROCPRIM_400000_NS6detail17trampoline_kernelINS0_14default_configENS1_35radix_sort_onesweep_config_selectorIdlEEZZNS1_29radix_sort_onesweep_iterationIS3_Lb0EPdS7_N6thrust23THRUST_200600_302600_NS10device_ptrIlEESB_jNS0_19identity_decomposerENS1_16block_id_wrapperIjLb0EEEEE10hipError_tT1_PNSt15iterator_traitsISG_E10value_typeET2_T3_PNSH_ISM_E10value_typeET4_T5_PSR_SS_PNS1_23onesweep_lookback_stateEbbT6_jjT7_P12ihipStream_tbENKUlT_T0_SG_SL_E_clIS7_S7_SB_SB_EEDaSZ_S10_SG_SL_EUlSZ_E_NS1_11comp_targetILNS1_3genE3ELNS1_11target_archE908ELNS1_3gpuE7ELNS1_3repE0EEENS1_47radix_sort_onesweep_sort_config_static_selectorELNS0_4arch9wavefront6targetE1EEEvSG_.numbered_sgpr, 0
	.set _ZN7rocprim17ROCPRIM_400000_NS6detail17trampoline_kernelINS0_14default_configENS1_35radix_sort_onesweep_config_selectorIdlEEZZNS1_29radix_sort_onesweep_iterationIS3_Lb0EPdS7_N6thrust23THRUST_200600_302600_NS10device_ptrIlEESB_jNS0_19identity_decomposerENS1_16block_id_wrapperIjLb0EEEEE10hipError_tT1_PNSt15iterator_traitsISG_E10value_typeET2_T3_PNSH_ISM_E10value_typeET4_T5_PSR_SS_PNS1_23onesweep_lookback_stateEbbT6_jjT7_P12ihipStream_tbENKUlT_T0_SG_SL_E_clIS7_S7_SB_SB_EEDaSZ_S10_SG_SL_EUlSZ_E_NS1_11comp_targetILNS1_3genE3ELNS1_11target_archE908ELNS1_3gpuE7ELNS1_3repE0EEENS1_47radix_sort_onesweep_sort_config_static_selectorELNS0_4arch9wavefront6targetE1EEEvSG_.num_named_barrier, 0
	.set _ZN7rocprim17ROCPRIM_400000_NS6detail17trampoline_kernelINS0_14default_configENS1_35radix_sort_onesweep_config_selectorIdlEEZZNS1_29radix_sort_onesweep_iterationIS3_Lb0EPdS7_N6thrust23THRUST_200600_302600_NS10device_ptrIlEESB_jNS0_19identity_decomposerENS1_16block_id_wrapperIjLb0EEEEE10hipError_tT1_PNSt15iterator_traitsISG_E10value_typeET2_T3_PNSH_ISM_E10value_typeET4_T5_PSR_SS_PNS1_23onesweep_lookback_stateEbbT6_jjT7_P12ihipStream_tbENKUlT_T0_SG_SL_E_clIS7_S7_SB_SB_EEDaSZ_S10_SG_SL_EUlSZ_E_NS1_11comp_targetILNS1_3genE3ELNS1_11target_archE908ELNS1_3gpuE7ELNS1_3repE0EEENS1_47radix_sort_onesweep_sort_config_static_selectorELNS0_4arch9wavefront6targetE1EEEvSG_.private_seg_size, 0
	.set _ZN7rocprim17ROCPRIM_400000_NS6detail17trampoline_kernelINS0_14default_configENS1_35radix_sort_onesweep_config_selectorIdlEEZZNS1_29radix_sort_onesweep_iterationIS3_Lb0EPdS7_N6thrust23THRUST_200600_302600_NS10device_ptrIlEESB_jNS0_19identity_decomposerENS1_16block_id_wrapperIjLb0EEEEE10hipError_tT1_PNSt15iterator_traitsISG_E10value_typeET2_T3_PNSH_ISM_E10value_typeET4_T5_PSR_SS_PNS1_23onesweep_lookback_stateEbbT6_jjT7_P12ihipStream_tbENKUlT_T0_SG_SL_E_clIS7_S7_SB_SB_EEDaSZ_S10_SG_SL_EUlSZ_E_NS1_11comp_targetILNS1_3genE3ELNS1_11target_archE908ELNS1_3gpuE7ELNS1_3repE0EEENS1_47radix_sort_onesweep_sort_config_static_selectorELNS0_4arch9wavefront6targetE1EEEvSG_.uses_vcc, 0
	.set _ZN7rocprim17ROCPRIM_400000_NS6detail17trampoline_kernelINS0_14default_configENS1_35radix_sort_onesweep_config_selectorIdlEEZZNS1_29radix_sort_onesweep_iterationIS3_Lb0EPdS7_N6thrust23THRUST_200600_302600_NS10device_ptrIlEESB_jNS0_19identity_decomposerENS1_16block_id_wrapperIjLb0EEEEE10hipError_tT1_PNSt15iterator_traitsISG_E10value_typeET2_T3_PNSH_ISM_E10value_typeET4_T5_PSR_SS_PNS1_23onesweep_lookback_stateEbbT6_jjT7_P12ihipStream_tbENKUlT_T0_SG_SL_E_clIS7_S7_SB_SB_EEDaSZ_S10_SG_SL_EUlSZ_E_NS1_11comp_targetILNS1_3genE3ELNS1_11target_archE908ELNS1_3gpuE7ELNS1_3repE0EEENS1_47radix_sort_onesweep_sort_config_static_selectorELNS0_4arch9wavefront6targetE1EEEvSG_.uses_flat_scratch, 0
	.set _ZN7rocprim17ROCPRIM_400000_NS6detail17trampoline_kernelINS0_14default_configENS1_35radix_sort_onesweep_config_selectorIdlEEZZNS1_29radix_sort_onesweep_iterationIS3_Lb0EPdS7_N6thrust23THRUST_200600_302600_NS10device_ptrIlEESB_jNS0_19identity_decomposerENS1_16block_id_wrapperIjLb0EEEEE10hipError_tT1_PNSt15iterator_traitsISG_E10value_typeET2_T3_PNSH_ISM_E10value_typeET4_T5_PSR_SS_PNS1_23onesweep_lookback_stateEbbT6_jjT7_P12ihipStream_tbENKUlT_T0_SG_SL_E_clIS7_S7_SB_SB_EEDaSZ_S10_SG_SL_EUlSZ_E_NS1_11comp_targetILNS1_3genE3ELNS1_11target_archE908ELNS1_3gpuE7ELNS1_3repE0EEENS1_47radix_sort_onesweep_sort_config_static_selectorELNS0_4arch9wavefront6targetE1EEEvSG_.has_dyn_sized_stack, 0
	.set _ZN7rocprim17ROCPRIM_400000_NS6detail17trampoline_kernelINS0_14default_configENS1_35radix_sort_onesweep_config_selectorIdlEEZZNS1_29radix_sort_onesweep_iterationIS3_Lb0EPdS7_N6thrust23THRUST_200600_302600_NS10device_ptrIlEESB_jNS0_19identity_decomposerENS1_16block_id_wrapperIjLb0EEEEE10hipError_tT1_PNSt15iterator_traitsISG_E10value_typeET2_T3_PNSH_ISM_E10value_typeET4_T5_PSR_SS_PNS1_23onesweep_lookback_stateEbbT6_jjT7_P12ihipStream_tbENKUlT_T0_SG_SL_E_clIS7_S7_SB_SB_EEDaSZ_S10_SG_SL_EUlSZ_E_NS1_11comp_targetILNS1_3genE3ELNS1_11target_archE908ELNS1_3gpuE7ELNS1_3repE0EEENS1_47radix_sort_onesweep_sort_config_static_selectorELNS0_4arch9wavefront6targetE1EEEvSG_.has_recursion, 0
	.set _ZN7rocprim17ROCPRIM_400000_NS6detail17trampoline_kernelINS0_14default_configENS1_35radix_sort_onesweep_config_selectorIdlEEZZNS1_29radix_sort_onesweep_iterationIS3_Lb0EPdS7_N6thrust23THRUST_200600_302600_NS10device_ptrIlEESB_jNS0_19identity_decomposerENS1_16block_id_wrapperIjLb0EEEEE10hipError_tT1_PNSt15iterator_traitsISG_E10value_typeET2_T3_PNSH_ISM_E10value_typeET4_T5_PSR_SS_PNS1_23onesweep_lookback_stateEbbT6_jjT7_P12ihipStream_tbENKUlT_T0_SG_SL_E_clIS7_S7_SB_SB_EEDaSZ_S10_SG_SL_EUlSZ_E_NS1_11comp_targetILNS1_3genE3ELNS1_11target_archE908ELNS1_3gpuE7ELNS1_3repE0EEENS1_47radix_sort_onesweep_sort_config_static_selectorELNS0_4arch9wavefront6targetE1EEEvSG_.has_indirect_call, 0
	.section	.AMDGPU.csdata,"",@progbits
; Kernel info:
; codeLenInByte = 0
; TotalNumSgprs: 4
; NumVgprs: 0
; ScratchSize: 0
; MemoryBound: 0
; FloatMode: 240
; IeeeMode: 1
; LDSByteSize: 0 bytes/workgroup (compile time only)
; SGPRBlocks: 0
; VGPRBlocks: 0
; NumSGPRsForWavesPerEU: 4
; NumVGPRsForWavesPerEU: 1
; Occupancy: 10
; WaveLimiterHint : 0
; COMPUTE_PGM_RSRC2:SCRATCH_EN: 0
; COMPUTE_PGM_RSRC2:USER_SGPR: 6
; COMPUTE_PGM_RSRC2:TRAP_HANDLER: 0
; COMPUTE_PGM_RSRC2:TGID_X_EN: 1
; COMPUTE_PGM_RSRC2:TGID_Y_EN: 0
; COMPUTE_PGM_RSRC2:TGID_Z_EN: 0
; COMPUTE_PGM_RSRC2:TIDIG_COMP_CNT: 0
	.section	.text._ZN7rocprim17ROCPRIM_400000_NS6detail17trampoline_kernelINS0_14default_configENS1_35radix_sort_onesweep_config_selectorIdlEEZZNS1_29radix_sort_onesweep_iterationIS3_Lb0EPdS7_N6thrust23THRUST_200600_302600_NS10device_ptrIlEESB_jNS0_19identity_decomposerENS1_16block_id_wrapperIjLb0EEEEE10hipError_tT1_PNSt15iterator_traitsISG_E10value_typeET2_T3_PNSH_ISM_E10value_typeET4_T5_PSR_SS_PNS1_23onesweep_lookback_stateEbbT6_jjT7_P12ihipStream_tbENKUlT_T0_SG_SL_E_clIS7_S7_SB_SB_EEDaSZ_S10_SG_SL_EUlSZ_E_NS1_11comp_targetILNS1_3genE10ELNS1_11target_archE1201ELNS1_3gpuE5ELNS1_3repE0EEENS1_47radix_sort_onesweep_sort_config_static_selectorELNS0_4arch9wavefront6targetE1EEEvSG_,"axG",@progbits,_ZN7rocprim17ROCPRIM_400000_NS6detail17trampoline_kernelINS0_14default_configENS1_35radix_sort_onesweep_config_selectorIdlEEZZNS1_29radix_sort_onesweep_iterationIS3_Lb0EPdS7_N6thrust23THRUST_200600_302600_NS10device_ptrIlEESB_jNS0_19identity_decomposerENS1_16block_id_wrapperIjLb0EEEEE10hipError_tT1_PNSt15iterator_traitsISG_E10value_typeET2_T3_PNSH_ISM_E10value_typeET4_T5_PSR_SS_PNS1_23onesweep_lookback_stateEbbT6_jjT7_P12ihipStream_tbENKUlT_T0_SG_SL_E_clIS7_S7_SB_SB_EEDaSZ_S10_SG_SL_EUlSZ_E_NS1_11comp_targetILNS1_3genE10ELNS1_11target_archE1201ELNS1_3gpuE5ELNS1_3repE0EEENS1_47radix_sort_onesweep_sort_config_static_selectorELNS0_4arch9wavefront6targetE1EEEvSG_,comdat
	.protected	_ZN7rocprim17ROCPRIM_400000_NS6detail17trampoline_kernelINS0_14default_configENS1_35radix_sort_onesweep_config_selectorIdlEEZZNS1_29radix_sort_onesweep_iterationIS3_Lb0EPdS7_N6thrust23THRUST_200600_302600_NS10device_ptrIlEESB_jNS0_19identity_decomposerENS1_16block_id_wrapperIjLb0EEEEE10hipError_tT1_PNSt15iterator_traitsISG_E10value_typeET2_T3_PNSH_ISM_E10value_typeET4_T5_PSR_SS_PNS1_23onesweep_lookback_stateEbbT6_jjT7_P12ihipStream_tbENKUlT_T0_SG_SL_E_clIS7_S7_SB_SB_EEDaSZ_S10_SG_SL_EUlSZ_E_NS1_11comp_targetILNS1_3genE10ELNS1_11target_archE1201ELNS1_3gpuE5ELNS1_3repE0EEENS1_47radix_sort_onesweep_sort_config_static_selectorELNS0_4arch9wavefront6targetE1EEEvSG_ ; -- Begin function _ZN7rocprim17ROCPRIM_400000_NS6detail17trampoline_kernelINS0_14default_configENS1_35radix_sort_onesweep_config_selectorIdlEEZZNS1_29radix_sort_onesweep_iterationIS3_Lb0EPdS7_N6thrust23THRUST_200600_302600_NS10device_ptrIlEESB_jNS0_19identity_decomposerENS1_16block_id_wrapperIjLb0EEEEE10hipError_tT1_PNSt15iterator_traitsISG_E10value_typeET2_T3_PNSH_ISM_E10value_typeET4_T5_PSR_SS_PNS1_23onesweep_lookback_stateEbbT6_jjT7_P12ihipStream_tbENKUlT_T0_SG_SL_E_clIS7_S7_SB_SB_EEDaSZ_S10_SG_SL_EUlSZ_E_NS1_11comp_targetILNS1_3genE10ELNS1_11target_archE1201ELNS1_3gpuE5ELNS1_3repE0EEENS1_47radix_sort_onesweep_sort_config_static_selectorELNS0_4arch9wavefront6targetE1EEEvSG_
	.globl	_ZN7rocprim17ROCPRIM_400000_NS6detail17trampoline_kernelINS0_14default_configENS1_35radix_sort_onesweep_config_selectorIdlEEZZNS1_29radix_sort_onesweep_iterationIS3_Lb0EPdS7_N6thrust23THRUST_200600_302600_NS10device_ptrIlEESB_jNS0_19identity_decomposerENS1_16block_id_wrapperIjLb0EEEEE10hipError_tT1_PNSt15iterator_traitsISG_E10value_typeET2_T3_PNSH_ISM_E10value_typeET4_T5_PSR_SS_PNS1_23onesweep_lookback_stateEbbT6_jjT7_P12ihipStream_tbENKUlT_T0_SG_SL_E_clIS7_S7_SB_SB_EEDaSZ_S10_SG_SL_EUlSZ_E_NS1_11comp_targetILNS1_3genE10ELNS1_11target_archE1201ELNS1_3gpuE5ELNS1_3repE0EEENS1_47radix_sort_onesweep_sort_config_static_selectorELNS0_4arch9wavefront6targetE1EEEvSG_
	.p2align	8
	.type	_ZN7rocprim17ROCPRIM_400000_NS6detail17trampoline_kernelINS0_14default_configENS1_35radix_sort_onesweep_config_selectorIdlEEZZNS1_29radix_sort_onesweep_iterationIS3_Lb0EPdS7_N6thrust23THRUST_200600_302600_NS10device_ptrIlEESB_jNS0_19identity_decomposerENS1_16block_id_wrapperIjLb0EEEEE10hipError_tT1_PNSt15iterator_traitsISG_E10value_typeET2_T3_PNSH_ISM_E10value_typeET4_T5_PSR_SS_PNS1_23onesweep_lookback_stateEbbT6_jjT7_P12ihipStream_tbENKUlT_T0_SG_SL_E_clIS7_S7_SB_SB_EEDaSZ_S10_SG_SL_EUlSZ_E_NS1_11comp_targetILNS1_3genE10ELNS1_11target_archE1201ELNS1_3gpuE5ELNS1_3repE0EEENS1_47radix_sort_onesweep_sort_config_static_selectorELNS0_4arch9wavefront6targetE1EEEvSG_,@function
_ZN7rocprim17ROCPRIM_400000_NS6detail17trampoline_kernelINS0_14default_configENS1_35radix_sort_onesweep_config_selectorIdlEEZZNS1_29radix_sort_onesweep_iterationIS3_Lb0EPdS7_N6thrust23THRUST_200600_302600_NS10device_ptrIlEESB_jNS0_19identity_decomposerENS1_16block_id_wrapperIjLb0EEEEE10hipError_tT1_PNSt15iterator_traitsISG_E10value_typeET2_T3_PNSH_ISM_E10value_typeET4_T5_PSR_SS_PNS1_23onesweep_lookback_stateEbbT6_jjT7_P12ihipStream_tbENKUlT_T0_SG_SL_E_clIS7_S7_SB_SB_EEDaSZ_S10_SG_SL_EUlSZ_E_NS1_11comp_targetILNS1_3genE10ELNS1_11target_archE1201ELNS1_3gpuE5ELNS1_3repE0EEENS1_47radix_sort_onesweep_sort_config_static_selectorELNS0_4arch9wavefront6targetE1EEEvSG_: ; @_ZN7rocprim17ROCPRIM_400000_NS6detail17trampoline_kernelINS0_14default_configENS1_35radix_sort_onesweep_config_selectorIdlEEZZNS1_29radix_sort_onesweep_iterationIS3_Lb0EPdS7_N6thrust23THRUST_200600_302600_NS10device_ptrIlEESB_jNS0_19identity_decomposerENS1_16block_id_wrapperIjLb0EEEEE10hipError_tT1_PNSt15iterator_traitsISG_E10value_typeET2_T3_PNSH_ISM_E10value_typeET4_T5_PSR_SS_PNS1_23onesweep_lookback_stateEbbT6_jjT7_P12ihipStream_tbENKUlT_T0_SG_SL_E_clIS7_S7_SB_SB_EEDaSZ_S10_SG_SL_EUlSZ_E_NS1_11comp_targetILNS1_3genE10ELNS1_11target_archE1201ELNS1_3gpuE5ELNS1_3repE0EEENS1_47radix_sort_onesweep_sort_config_static_selectorELNS0_4arch9wavefront6targetE1EEEvSG_
; %bb.0:
	.section	.rodata,"a",@progbits
	.p2align	6, 0x0
	.amdhsa_kernel _ZN7rocprim17ROCPRIM_400000_NS6detail17trampoline_kernelINS0_14default_configENS1_35radix_sort_onesweep_config_selectorIdlEEZZNS1_29radix_sort_onesweep_iterationIS3_Lb0EPdS7_N6thrust23THRUST_200600_302600_NS10device_ptrIlEESB_jNS0_19identity_decomposerENS1_16block_id_wrapperIjLb0EEEEE10hipError_tT1_PNSt15iterator_traitsISG_E10value_typeET2_T3_PNSH_ISM_E10value_typeET4_T5_PSR_SS_PNS1_23onesweep_lookback_stateEbbT6_jjT7_P12ihipStream_tbENKUlT_T0_SG_SL_E_clIS7_S7_SB_SB_EEDaSZ_S10_SG_SL_EUlSZ_E_NS1_11comp_targetILNS1_3genE10ELNS1_11target_archE1201ELNS1_3gpuE5ELNS1_3repE0EEENS1_47radix_sort_onesweep_sort_config_static_selectorELNS0_4arch9wavefront6targetE1EEEvSG_
		.amdhsa_group_segment_fixed_size 0
		.amdhsa_private_segment_fixed_size 0
		.amdhsa_kernarg_size 88
		.amdhsa_user_sgpr_count 6
		.amdhsa_user_sgpr_private_segment_buffer 1
		.amdhsa_user_sgpr_dispatch_ptr 0
		.amdhsa_user_sgpr_queue_ptr 0
		.amdhsa_user_sgpr_kernarg_segment_ptr 1
		.amdhsa_user_sgpr_dispatch_id 0
		.amdhsa_user_sgpr_flat_scratch_init 0
		.amdhsa_user_sgpr_private_segment_size 0
		.amdhsa_uses_dynamic_stack 0
		.amdhsa_system_sgpr_private_segment_wavefront_offset 0
		.amdhsa_system_sgpr_workgroup_id_x 1
		.amdhsa_system_sgpr_workgroup_id_y 0
		.amdhsa_system_sgpr_workgroup_id_z 0
		.amdhsa_system_sgpr_workgroup_info 0
		.amdhsa_system_vgpr_workitem_id 0
		.amdhsa_next_free_vgpr 1
		.amdhsa_next_free_sgpr 0
		.amdhsa_reserve_vcc 0
		.amdhsa_reserve_flat_scratch 0
		.amdhsa_float_round_mode_32 0
		.amdhsa_float_round_mode_16_64 0
		.amdhsa_float_denorm_mode_32 3
		.amdhsa_float_denorm_mode_16_64 3
		.amdhsa_dx10_clamp 1
		.amdhsa_ieee_mode 1
		.amdhsa_fp16_overflow 0
		.amdhsa_exception_fp_ieee_invalid_op 0
		.amdhsa_exception_fp_denorm_src 0
		.amdhsa_exception_fp_ieee_div_zero 0
		.amdhsa_exception_fp_ieee_overflow 0
		.amdhsa_exception_fp_ieee_underflow 0
		.amdhsa_exception_fp_ieee_inexact 0
		.amdhsa_exception_int_div_zero 0
	.end_amdhsa_kernel
	.section	.text._ZN7rocprim17ROCPRIM_400000_NS6detail17trampoline_kernelINS0_14default_configENS1_35radix_sort_onesweep_config_selectorIdlEEZZNS1_29radix_sort_onesweep_iterationIS3_Lb0EPdS7_N6thrust23THRUST_200600_302600_NS10device_ptrIlEESB_jNS0_19identity_decomposerENS1_16block_id_wrapperIjLb0EEEEE10hipError_tT1_PNSt15iterator_traitsISG_E10value_typeET2_T3_PNSH_ISM_E10value_typeET4_T5_PSR_SS_PNS1_23onesweep_lookback_stateEbbT6_jjT7_P12ihipStream_tbENKUlT_T0_SG_SL_E_clIS7_S7_SB_SB_EEDaSZ_S10_SG_SL_EUlSZ_E_NS1_11comp_targetILNS1_3genE10ELNS1_11target_archE1201ELNS1_3gpuE5ELNS1_3repE0EEENS1_47radix_sort_onesweep_sort_config_static_selectorELNS0_4arch9wavefront6targetE1EEEvSG_,"axG",@progbits,_ZN7rocprim17ROCPRIM_400000_NS6detail17trampoline_kernelINS0_14default_configENS1_35radix_sort_onesweep_config_selectorIdlEEZZNS1_29radix_sort_onesweep_iterationIS3_Lb0EPdS7_N6thrust23THRUST_200600_302600_NS10device_ptrIlEESB_jNS0_19identity_decomposerENS1_16block_id_wrapperIjLb0EEEEE10hipError_tT1_PNSt15iterator_traitsISG_E10value_typeET2_T3_PNSH_ISM_E10value_typeET4_T5_PSR_SS_PNS1_23onesweep_lookback_stateEbbT6_jjT7_P12ihipStream_tbENKUlT_T0_SG_SL_E_clIS7_S7_SB_SB_EEDaSZ_S10_SG_SL_EUlSZ_E_NS1_11comp_targetILNS1_3genE10ELNS1_11target_archE1201ELNS1_3gpuE5ELNS1_3repE0EEENS1_47radix_sort_onesweep_sort_config_static_selectorELNS0_4arch9wavefront6targetE1EEEvSG_,comdat
.Lfunc_end1649:
	.size	_ZN7rocprim17ROCPRIM_400000_NS6detail17trampoline_kernelINS0_14default_configENS1_35radix_sort_onesweep_config_selectorIdlEEZZNS1_29radix_sort_onesweep_iterationIS3_Lb0EPdS7_N6thrust23THRUST_200600_302600_NS10device_ptrIlEESB_jNS0_19identity_decomposerENS1_16block_id_wrapperIjLb0EEEEE10hipError_tT1_PNSt15iterator_traitsISG_E10value_typeET2_T3_PNSH_ISM_E10value_typeET4_T5_PSR_SS_PNS1_23onesweep_lookback_stateEbbT6_jjT7_P12ihipStream_tbENKUlT_T0_SG_SL_E_clIS7_S7_SB_SB_EEDaSZ_S10_SG_SL_EUlSZ_E_NS1_11comp_targetILNS1_3genE10ELNS1_11target_archE1201ELNS1_3gpuE5ELNS1_3repE0EEENS1_47radix_sort_onesweep_sort_config_static_selectorELNS0_4arch9wavefront6targetE1EEEvSG_, .Lfunc_end1649-_ZN7rocprim17ROCPRIM_400000_NS6detail17trampoline_kernelINS0_14default_configENS1_35radix_sort_onesweep_config_selectorIdlEEZZNS1_29radix_sort_onesweep_iterationIS3_Lb0EPdS7_N6thrust23THRUST_200600_302600_NS10device_ptrIlEESB_jNS0_19identity_decomposerENS1_16block_id_wrapperIjLb0EEEEE10hipError_tT1_PNSt15iterator_traitsISG_E10value_typeET2_T3_PNSH_ISM_E10value_typeET4_T5_PSR_SS_PNS1_23onesweep_lookback_stateEbbT6_jjT7_P12ihipStream_tbENKUlT_T0_SG_SL_E_clIS7_S7_SB_SB_EEDaSZ_S10_SG_SL_EUlSZ_E_NS1_11comp_targetILNS1_3genE10ELNS1_11target_archE1201ELNS1_3gpuE5ELNS1_3repE0EEENS1_47radix_sort_onesweep_sort_config_static_selectorELNS0_4arch9wavefront6targetE1EEEvSG_
                                        ; -- End function
	.set _ZN7rocprim17ROCPRIM_400000_NS6detail17trampoline_kernelINS0_14default_configENS1_35radix_sort_onesweep_config_selectorIdlEEZZNS1_29radix_sort_onesweep_iterationIS3_Lb0EPdS7_N6thrust23THRUST_200600_302600_NS10device_ptrIlEESB_jNS0_19identity_decomposerENS1_16block_id_wrapperIjLb0EEEEE10hipError_tT1_PNSt15iterator_traitsISG_E10value_typeET2_T3_PNSH_ISM_E10value_typeET4_T5_PSR_SS_PNS1_23onesweep_lookback_stateEbbT6_jjT7_P12ihipStream_tbENKUlT_T0_SG_SL_E_clIS7_S7_SB_SB_EEDaSZ_S10_SG_SL_EUlSZ_E_NS1_11comp_targetILNS1_3genE10ELNS1_11target_archE1201ELNS1_3gpuE5ELNS1_3repE0EEENS1_47radix_sort_onesweep_sort_config_static_selectorELNS0_4arch9wavefront6targetE1EEEvSG_.num_vgpr, 0
	.set _ZN7rocprim17ROCPRIM_400000_NS6detail17trampoline_kernelINS0_14default_configENS1_35radix_sort_onesweep_config_selectorIdlEEZZNS1_29radix_sort_onesweep_iterationIS3_Lb0EPdS7_N6thrust23THRUST_200600_302600_NS10device_ptrIlEESB_jNS0_19identity_decomposerENS1_16block_id_wrapperIjLb0EEEEE10hipError_tT1_PNSt15iterator_traitsISG_E10value_typeET2_T3_PNSH_ISM_E10value_typeET4_T5_PSR_SS_PNS1_23onesweep_lookback_stateEbbT6_jjT7_P12ihipStream_tbENKUlT_T0_SG_SL_E_clIS7_S7_SB_SB_EEDaSZ_S10_SG_SL_EUlSZ_E_NS1_11comp_targetILNS1_3genE10ELNS1_11target_archE1201ELNS1_3gpuE5ELNS1_3repE0EEENS1_47radix_sort_onesweep_sort_config_static_selectorELNS0_4arch9wavefront6targetE1EEEvSG_.num_agpr, 0
	.set _ZN7rocprim17ROCPRIM_400000_NS6detail17trampoline_kernelINS0_14default_configENS1_35radix_sort_onesweep_config_selectorIdlEEZZNS1_29radix_sort_onesweep_iterationIS3_Lb0EPdS7_N6thrust23THRUST_200600_302600_NS10device_ptrIlEESB_jNS0_19identity_decomposerENS1_16block_id_wrapperIjLb0EEEEE10hipError_tT1_PNSt15iterator_traitsISG_E10value_typeET2_T3_PNSH_ISM_E10value_typeET4_T5_PSR_SS_PNS1_23onesweep_lookback_stateEbbT6_jjT7_P12ihipStream_tbENKUlT_T0_SG_SL_E_clIS7_S7_SB_SB_EEDaSZ_S10_SG_SL_EUlSZ_E_NS1_11comp_targetILNS1_3genE10ELNS1_11target_archE1201ELNS1_3gpuE5ELNS1_3repE0EEENS1_47radix_sort_onesweep_sort_config_static_selectorELNS0_4arch9wavefront6targetE1EEEvSG_.numbered_sgpr, 0
	.set _ZN7rocprim17ROCPRIM_400000_NS6detail17trampoline_kernelINS0_14default_configENS1_35radix_sort_onesweep_config_selectorIdlEEZZNS1_29radix_sort_onesweep_iterationIS3_Lb0EPdS7_N6thrust23THRUST_200600_302600_NS10device_ptrIlEESB_jNS0_19identity_decomposerENS1_16block_id_wrapperIjLb0EEEEE10hipError_tT1_PNSt15iterator_traitsISG_E10value_typeET2_T3_PNSH_ISM_E10value_typeET4_T5_PSR_SS_PNS1_23onesweep_lookback_stateEbbT6_jjT7_P12ihipStream_tbENKUlT_T0_SG_SL_E_clIS7_S7_SB_SB_EEDaSZ_S10_SG_SL_EUlSZ_E_NS1_11comp_targetILNS1_3genE10ELNS1_11target_archE1201ELNS1_3gpuE5ELNS1_3repE0EEENS1_47radix_sort_onesweep_sort_config_static_selectorELNS0_4arch9wavefront6targetE1EEEvSG_.num_named_barrier, 0
	.set _ZN7rocprim17ROCPRIM_400000_NS6detail17trampoline_kernelINS0_14default_configENS1_35radix_sort_onesweep_config_selectorIdlEEZZNS1_29radix_sort_onesweep_iterationIS3_Lb0EPdS7_N6thrust23THRUST_200600_302600_NS10device_ptrIlEESB_jNS0_19identity_decomposerENS1_16block_id_wrapperIjLb0EEEEE10hipError_tT1_PNSt15iterator_traitsISG_E10value_typeET2_T3_PNSH_ISM_E10value_typeET4_T5_PSR_SS_PNS1_23onesweep_lookback_stateEbbT6_jjT7_P12ihipStream_tbENKUlT_T0_SG_SL_E_clIS7_S7_SB_SB_EEDaSZ_S10_SG_SL_EUlSZ_E_NS1_11comp_targetILNS1_3genE10ELNS1_11target_archE1201ELNS1_3gpuE5ELNS1_3repE0EEENS1_47radix_sort_onesweep_sort_config_static_selectorELNS0_4arch9wavefront6targetE1EEEvSG_.private_seg_size, 0
	.set _ZN7rocprim17ROCPRIM_400000_NS6detail17trampoline_kernelINS0_14default_configENS1_35radix_sort_onesweep_config_selectorIdlEEZZNS1_29radix_sort_onesweep_iterationIS3_Lb0EPdS7_N6thrust23THRUST_200600_302600_NS10device_ptrIlEESB_jNS0_19identity_decomposerENS1_16block_id_wrapperIjLb0EEEEE10hipError_tT1_PNSt15iterator_traitsISG_E10value_typeET2_T3_PNSH_ISM_E10value_typeET4_T5_PSR_SS_PNS1_23onesweep_lookback_stateEbbT6_jjT7_P12ihipStream_tbENKUlT_T0_SG_SL_E_clIS7_S7_SB_SB_EEDaSZ_S10_SG_SL_EUlSZ_E_NS1_11comp_targetILNS1_3genE10ELNS1_11target_archE1201ELNS1_3gpuE5ELNS1_3repE0EEENS1_47radix_sort_onesweep_sort_config_static_selectorELNS0_4arch9wavefront6targetE1EEEvSG_.uses_vcc, 0
	.set _ZN7rocprim17ROCPRIM_400000_NS6detail17trampoline_kernelINS0_14default_configENS1_35radix_sort_onesweep_config_selectorIdlEEZZNS1_29radix_sort_onesweep_iterationIS3_Lb0EPdS7_N6thrust23THRUST_200600_302600_NS10device_ptrIlEESB_jNS0_19identity_decomposerENS1_16block_id_wrapperIjLb0EEEEE10hipError_tT1_PNSt15iterator_traitsISG_E10value_typeET2_T3_PNSH_ISM_E10value_typeET4_T5_PSR_SS_PNS1_23onesweep_lookback_stateEbbT6_jjT7_P12ihipStream_tbENKUlT_T0_SG_SL_E_clIS7_S7_SB_SB_EEDaSZ_S10_SG_SL_EUlSZ_E_NS1_11comp_targetILNS1_3genE10ELNS1_11target_archE1201ELNS1_3gpuE5ELNS1_3repE0EEENS1_47radix_sort_onesweep_sort_config_static_selectorELNS0_4arch9wavefront6targetE1EEEvSG_.uses_flat_scratch, 0
	.set _ZN7rocprim17ROCPRIM_400000_NS6detail17trampoline_kernelINS0_14default_configENS1_35radix_sort_onesweep_config_selectorIdlEEZZNS1_29radix_sort_onesweep_iterationIS3_Lb0EPdS7_N6thrust23THRUST_200600_302600_NS10device_ptrIlEESB_jNS0_19identity_decomposerENS1_16block_id_wrapperIjLb0EEEEE10hipError_tT1_PNSt15iterator_traitsISG_E10value_typeET2_T3_PNSH_ISM_E10value_typeET4_T5_PSR_SS_PNS1_23onesweep_lookback_stateEbbT6_jjT7_P12ihipStream_tbENKUlT_T0_SG_SL_E_clIS7_S7_SB_SB_EEDaSZ_S10_SG_SL_EUlSZ_E_NS1_11comp_targetILNS1_3genE10ELNS1_11target_archE1201ELNS1_3gpuE5ELNS1_3repE0EEENS1_47radix_sort_onesweep_sort_config_static_selectorELNS0_4arch9wavefront6targetE1EEEvSG_.has_dyn_sized_stack, 0
	.set _ZN7rocprim17ROCPRIM_400000_NS6detail17trampoline_kernelINS0_14default_configENS1_35radix_sort_onesweep_config_selectorIdlEEZZNS1_29radix_sort_onesweep_iterationIS3_Lb0EPdS7_N6thrust23THRUST_200600_302600_NS10device_ptrIlEESB_jNS0_19identity_decomposerENS1_16block_id_wrapperIjLb0EEEEE10hipError_tT1_PNSt15iterator_traitsISG_E10value_typeET2_T3_PNSH_ISM_E10value_typeET4_T5_PSR_SS_PNS1_23onesweep_lookback_stateEbbT6_jjT7_P12ihipStream_tbENKUlT_T0_SG_SL_E_clIS7_S7_SB_SB_EEDaSZ_S10_SG_SL_EUlSZ_E_NS1_11comp_targetILNS1_3genE10ELNS1_11target_archE1201ELNS1_3gpuE5ELNS1_3repE0EEENS1_47radix_sort_onesweep_sort_config_static_selectorELNS0_4arch9wavefront6targetE1EEEvSG_.has_recursion, 0
	.set _ZN7rocprim17ROCPRIM_400000_NS6detail17trampoline_kernelINS0_14default_configENS1_35radix_sort_onesweep_config_selectorIdlEEZZNS1_29radix_sort_onesweep_iterationIS3_Lb0EPdS7_N6thrust23THRUST_200600_302600_NS10device_ptrIlEESB_jNS0_19identity_decomposerENS1_16block_id_wrapperIjLb0EEEEE10hipError_tT1_PNSt15iterator_traitsISG_E10value_typeET2_T3_PNSH_ISM_E10value_typeET4_T5_PSR_SS_PNS1_23onesweep_lookback_stateEbbT6_jjT7_P12ihipStream_tbENKUlT_T0_SG_SL_E_clIS7_S7_SB_SB_EEDaSZ_S10_SG_SL_EUlSZ_E_NS1_11comp_targetILNS1_3genE10ELNS1_11target_archE1201ELNS1_3gpuE5ELNS1_3repE0EEENS1_47radix_sort_onesweep_sort_config_static_selectorELNS0_4arch9wavefront6targetE1EEEvSG_.has_indirect_call, 0
	.section	.AMDGPU.csdata,"",@progbits
; Kernel info:
; codeLenInByte = 0
; TotalNumSgprs: 4
; NumVgprs: 0
; ScratchSize: 0
; MemoryBound: 0
; FloatMode: 240
; IeeeMode: 1
; LDSByteSize: 0 bytes/workgroup (compile time only)
; SGPRBlocks: 0
; VGPRBlocks: 0
; NumSGPRsForWavesPerEU: 4
; NumVGPRsForWavesPerEU: 1
; Occupancy: 10
; WaveLimiterHint : 0
; COMPUTE_PGM_RSRC2:SCRATCH_EN: 0
; COMPUTE_PGM_RSRC2:USER_SGPR: 6
; COMPUTE_PGM_RSRC2:TRAP_HANDLER: 0
; COMPUTE_PGM_RSRC2:TGID_X_EN: 1
; COMPUTE_PGM_RSRC2:TGID_Y_EN: 0
; COMPUTE_PGM_RSRC2:TGID_Z_EN: 0
; COMPUTE_PGM_RSRC2:TIDIG_COMP_CNT: 0
	.section	.text._ZN7rocprim17ROCPRIM_400000_NS6detail17trampoline_kernelINS0_14default_configENS1_35radix_sort_onesweep_config_selectorIdlEEZZNS1_29radix_sort_onesweep_iterationIS3_Lb0EPdS7_N6thrust23THRUST_200600_302600_NS10device_ptrIlEESB_jNS0_19identity_decomposerENS1_16block_id_wrapperIjLb0EEEEE10hipError_tT1_PNSt15iterator_traitsISG_E10value_typeET2_T3_PNSH_ISM_E10value_typeET4_T5_PSR_SS_PNS1_23onesweep_lookback_stateEbbT6_jjT7_P12ihipStream_tbENKUlT_T0_SG_SL_E_clIS7_S7_SB_SB_EEDaSZ_S10_SG_SL_EUlSZ_E_NS1_11comp_targetILNS1_3genE9ELNS1_11target_archE1100ELNS1_3gpuE3ELNS1_3repE0EEENS1_47radix_sort_onesweep_sort_config_static_selectorELNS0_4arch9wavefront6targetE1EEEvSG_,"axG",@progbits,_ZN7rocprim17ROCPRIM_400000_NS6detail17trampoline_kernelINS0_14default_configENS1_35radix_sort_onesweep_config_selectorIdlEEZZNS1_29radix_sort_onesweep_iterationIS3_Lb0EPdS7_N6thrust23THRUST_200600_302600_NS10device_ptrIlEESB_jNS0_19identity_decomposerENS1_16block_id_wrapperIjLb0EEEEE10hipError_tT1_PNSt15iterator_traitsISG_E10value_typeET2_T3_PNSH_ISM_E10value_typeET4_T5_PSR_SS_PNS1_23onesweep_lookback_stateEbbT6_jjT7_P12ihipStream_tbENKUlT_T0_SG_SL_E_clIS7_S7_SB_SB_EEDaSZ_S10_SG_SL_EUlSZ_E_NS1_11comp_targetILNS1_3genE9ELNS1_11target_archE1100ELNS1_3gpuE3ELNS1_3repE0EEENS1_47radix_sort_onesweep_sort_config_static_selectorELNS0_4arch9wavefront6targetE1EEEvSG_,comdat
	.protected	_ZN7rocprim17ROCPRIM_400000_NS6detail17trampoline_kernelINS0_14default_configENS1_35radix_sort_onesweep_config_selectorIdlEEZZNS1_29radix_sort_onesweep_iterationIS3_Lb0EPdS7_N6thrust23THRUST_200600_302600_NS10device_ptrIlEESB_jNS0_19identity_decomposerENS1_16block_id_wrapperIjLb0EEEEE10hipError_tT1_PNSt15iterator_traitsISG_E10value_typeET2_T3_PNSH_ISM_E10value_typeET4_T5_PSR_SS_PNS1_23onesweep_lookback_stateEbbT6_jjT7_P12ihipStream_tbENKUlT_T0_SG_SL_E_clIS7_S7_SB_SB_EEDaSZ_S10_SG_SL_EUlSZ_E_NS1_11comp_targetILNS1_3genE9ELNS1_11target_archE1100ELNS1_3gpuE3ELNS1_3repE0EEENS1_47radix_sort_onesweep_sort_config_static_selectorELNS0_4arch9wavefront6targetE1EEEvSG_ ; -- Begin function _ZN7rocprim17ROCPRIM_400000_NS6detail17trampoline_kernelINS0_14default_configENS1_35radix_sort_onesweep_config_selectorIdlEEZZNS1_29radix_sort_onesweep_iterationIS3_Lb0EPdS7_N6thrust23THRUST_200600_302600_NS10device_ptrIlEESB_jNS0_19identity_decomposerENS1_16block_id_wrapperIjLb0EEEEE10hipError_tT1_PNSt15iterator_traitsISG_E10value_typeET2_T3_PNSH_ISM_E10value_typeET4_T5_PSR_SS_PNS1_23onesweep_lookback_stateEbbT6_jjT7_P12ihipStream_tbENKUlT_T0_SG_SL_E_clIS7_S7_SB_SB_EEDaSZ_S10_SG_SL_EUlSZ_E_NS1_11comp_targetILNS1_3genE9ELNS1_11target_archE1100ELNS1_3gpuE3ELNS1_3repE0EEENS1_47radix_sort_onesweep_sort_config_static_selectorELNS0_4arch9wavefront6targetE1EEEvSG_
	.globl	_ZN7rocprim17ROCPRIM_400000_NS6detail17trampoline_kernelINS0_14default_configENS1_35radix_sort_onesweep_config_selectorIdlEEZZNS1_29radix_sort_onesweep_iterationIS3_Lb0EPdS7_N6thrust23THRUST_200600_302600_NS10device_ptrIlEESB_jNS0_19identity_decomposerENS1_16block_id_wrapperIjLb0EEEEE10hipError_tT1_PNSt15iterator_traitsISG_E10value_typeET2_T3_PNSH_ISM_E10value_typeET4_T5_PSR_SS_PNS1_23onesweep_lookback_stateEbbT6_jjT7_P12ihipStream_tbENKUlT_T0_SG_SL_E_clIS7_S7_SB_SB_EEDaSZ_S10_SG_SL_EUlSZ_E_NS1_11comp_targetILNS1_3genE9ELNS1_11target_archE1100ELNS1_3gpuE3ELNS1_3repE0EEENS1_47radix_sort_onesweep_sort_config_static_selectorELNS0_4arch9wavefront6targetE1EEEvSG_
	.p2align	8
	.type	_ZN7rocprim17ROCPRIM_400000_NS6detail17trampoline_kernelINS0_14default_configENS1_35radix_sort_onesweep_config_selectorIdlEEZZNS1_29radix_sort_onesweep_iterationIS3_Lb0EPdS7_N6thrust23THRUST_200600_302600_NS10device_ptrIlEESB_jNS0_19identity_decomposerENS1_16block_id_wrapperIjLb0EEEEE10hipError_tT1_PNSt15iterator_traitsISG_E10value_typeET2_T3_PNSH_ISM_E10value_typeET4_T5_PSR_SS_PNS1_23onesweep_lookback_stateEbbT6_jjT7_P12ihipStream_tbENKUlT_T0_SG_SL_E_clIS7_S7_SB_SB_EEDaSZ_S10_SG_SL_EUlSZ_E_NS1_11comp_targetILNS1_3genE9ELNS1_11target_archE1100ELNS1_3gpuE3ELNS1_3repE0EEENS1_47radix_sort_onesweep_sort_config_static_selectorELNS0_4arch9wavefront6targetE1EEEvSG_,@function
_ZN7rocprim17ROCPRIM_400000_NS6detail17trampoline_kernelINS0_14default_configENS1_35radix_sort_onesweep_config_selectorIdlEEZZNS1_29radix_sort_onesweep_iterationIS3_Lb0EPdS7_N6thrust23THRUST_200600_302600_NS10device_ptrIlEESB_jNS0_19identity_decomposerENS1_16block_id_wrapperIjLb0EEEEE10hipError_tT1_PNSt15iterator_traitsISG_E10value_typeET2_T3_PNSH_ISM_E10value_typeET4_T5_PSR_SS_PNS1_23onesweep_lookback_stateEbbT6_jjT7_P12ihipStream_tbENKUlT_T0_SG_SL_E_clIS7_S7_SB_SB_EEDaSZ_S10_SG_SL_EUlSZ_E_NS1_11comp_targetILNS1_3genE9ELNS1_11target_archE1100ELNS1_3gpuE3ELNS1_3repE0EEENS1_47radix_sort_onesweep_sort_config_static_selectorELNS0_4arch9wavefront6targetE1EEEvSG_: ; @_ZN7rocprim17ROCPRIM_400000_NS6detail17trampoline_kernelINS0_14default_configENS1_35radix_sort_onesweep_config_selectorIdlEEZZNS1_29radix_sort_onesweep_iterationIS3_Lb0EPdS7_N6thrust23THRUST_200600_302600_NS10device_ptrIlEESB_jNS0_19identity_decomposerENS1_16block_id_wrapperIjLb0EEEEE10hipError_tT1_PNSt15iterator_traitsISG_E10value_typeET2_T3_PNSH_ISM_E10value_typeET4_T5_PSR_SS_PNS1_23onesweep_lookback_stateEbbT6_jjT7_P12ihipStream_tbENKUlT_T0_SG_SL_E_clIS7_S7_SB_SB_EEDaSZ_S10_SG_SL_EUlSZ_E_NS1_11comp_targetILNS1_3genE9ELNS1_11target_archE1100ELNS1_3gpuE3ELNS1_3repE0EEENS1_47radix_sort_onesweep_sort_config_static_selectorELNS0_4arch9wavefront6targetE1EEEvSG_
; %bb.0:
	.section	.rodata,"a",@progbits
	.p2align	6, 0x0
	.amdhsa_kernel _ZN7rocprim17ROCPRIM_400000_NS6detail17trampoline_kernelINS0_14default_configENS1_35radix_sort_onesweep_config_selectorIdlEEZZNS1_29radix_sort_onesweep_iterationIS3_Lb0EPdS7_N6thrust23THRUST_200600_302600_NS10device_ptrIlEESB_jNS0_19identity_decomposerENS1_16block_id_wrapperIjLb0EEEEE10hipError_tT1_PNSt15iterator_traitsISG_E10value_typeET2_T3_PNSH_ISM_E10value_typeET4_T5_PSR_SS_PNS1_23onesweep_lookback_stateEbbT6_jjT7_P12ihipStream_tbENKUlT_T0_SG_SL_E_clIS7_S7_SB_SB_EEDaSZ_S10_SG_SL_EUlSZ_E_NS1_11comp_targetILNS1_3genE9ELNS1_11target_archE1100ELNS1_3gpuE3ELNS1_3repE0EEENS1_47radix_sort_onesweep_sort_config_static_selectorELNS0_4arch9wavefront6targetE1EEEvSG_
		.amdhsa_group_segment_fixed_size 0
		.amdhsa_private_segment_fixed_size 0
		.amdhsa_kernarg_size 88
		.amdhsa_user_sgpr_count 6
		.amdhsa_user_sgpr_private_segment_buffer 1
		.amdhsa_user_sgpr_dispatch_ptr 0
		.amdhsa_user_sgpr_queue_ptr 0
		.amdhsa_user_sgpr_kernarg_segment_ptr 1
		.amdhsa_user_sgpr_dispatch_id 0
		.amdhsa_user_sgpr_flat_scratch_init 0
		.amdhsa_user_sgpr_private_segment_size 0
		.amdhsa_uses_dynamic_stack 0
		.amdhsa_system_sgpr_private_segment_wavefront_offset 0
		.amdhsa_system_sgpr_workgroup_id_x 1
		.amdhsa_system_sgpr_workgroup_id_y 0
		.amdhsa_system_sgpr_workgroup_id_z 0
		.amdhsa_system_sgpr_workgroup_info 0
		.amdhsa_system_vgpr_workitem_id 0
		.amdhsa_next_free_vgpr 1
		.amdhsa_next_free_sgpr 0
		.amdhsa_reserve_vcc 0
		.amdhsa_reserve_flat_scratch 0
		.amdhsa_float_round_mode_32 0
		.amdhsa_float_round_mode_16_64 0
		.amdhsa_float_denorm_mode_32 3
		.amdhsa_float_denorm_mode_16_64 3
		.amdhsa_dx10_clamp 1
		.amdhsa_ieee_mode 1
		.amdhsa_fp16_overflow 0
		.amdhsa_exception_fp_ieee_invalid_op 0
		.amdhsa_exception_fp_denorm_src 0
		.amdhsa_exception_fp_ieee_div_zero 0
		.amdhsa_exception_fp_ieee_overflow 0
		.amdhsa_exception_fp_ieee_underflow 0
		.amdhsa_exception_fp_ieee_inexact 0
		.amdhsa_exception_int_div_zero 0
	.end_amdhsa_kernel
	.section	.text._ZN7rocprim17ROCPRIM_400000_NS6detail17trampoline_kernelINS0_14default_configENS1_35radix_sort_onesweep_config_selectorIdlEEZZNS1_29radix_sort_onesweep_iterationIS3_Lb0EPdS7_N6thrust23THRUST_200600_302600_NS10device_ptrIlEESB_jNS0_19identity_decomposerENS1_16block_id_wrapperIjLb0EEEEE10hipError_tT1_PNSt15iterator_traitsISG_E10value_typeET2_T3_PNSH_ISM_E10value_typeET4_T5_PSR_SS_PNS1_23onesweep_lookback_stateEbbT6_jjT7_P12ihipStream_tbENKUlT_T0_SG_SL_E_clIS7_S7_SB_SB_EEDaSZ_S10_SG_SL_EUlSZ_E_NS1_11comp_targetILNS1_3genE9ELNS1_11target_archE1100ELNS1_3gpuE3ELNS1_3repE0EEENS1_47radix_sort_onesweep_sort_config_static_selectorELNS0_4arch9wavefront6targetE1EEEvSG_,"axG",@progbits,_ZN7rocprim17ROCPRIM_400000_NS6detail17trampoline_kernelINS0_14default_configENS1_35radix_sort_onesweep_config_selectorIdlEEZZNS1_29radix_sort_onesweep_iterationIS3_Lb0EPdS7_N6thrust23THRUST_200600_302600_NS10device_ptrIlEESB_jNS0_19identity_decomposerENS1_16block_id_wrapperIjLb0EEEEE10hipError_tT1_PNSt15iterator_traitsISG_E10value_typeET2_T3_PNSH_ISM_E10value_typeET4_T5_PSR_SS_PNS1_23onesweep_lookback_stateEbbT6_jjT7_P12ihipStream_tbENKUlT_T0_SG_SL_E_clIS7_S7_SB_SB_EEDaSZ_S10_SG_SL_EUlSZ_E_NS1_11comp_targetILNS1_3genE9ELNS1_11target_archE1100ELNS1_3gpuE3ELNS1_3repE0EEENS1_47radix_sort_onesweep_sort_config_static_selectorELNS0_4arch9wavefront6targetE1EEEvSG_,comdat
.Lfunc_end1650:
	.size	_ZN7rocprim17ROCPRIM_400000_NS6detail17trampoline_kernelINS0_14default_configENS1_35radix_sort_onesweep_config_selectorIdlEEZZNS1_29radix_sort_onesweep_iterationIS3_Lb0EPdS7_N6thrust23THRUST_200600_302600_NS10device_ptrIlEESB_jNS0_19identity_decomposerENS1_16block_id_wrapperIjLb0EEEEE10hipError_tT1_PNSt15iterator_traitsISG_E10value_typeET2_T3_PNSH_ISM_E10value_typeET4_T5_PSR_SS_PNS1_23onesweep_lookback_stateEbbT6_jjT7_P12ihipStream_tbENKUlT_T0_SG_SL_E_clIS7_S7_SB_SB_EEDaSZ_S10_SG_SL_EUlSZ_E_NS1_11comp_targetILNS1_3genE9ELNS1_11target_archE1100ELNS1_3gpuE3ELNS1_3repE0EEENS1_47radix_sort_onesweep_sort_config_static_selectorELNS0_4arch9wavefront6targetE1EEEvSG_, .Lfunc_end1650-_ZN7rocprim17ROCPRIM_400000_NS6detail17trampoline_kernelINS0_14default_configENS1_35radix_sort_onesweep_config_selectorIdlEEZZNS1_29radix_sort_onesweep_iterationIS3_Lb0EPdS7_N6thrust23THRUST_200600_302600_NS10device_ptrIlEESB_jNS0_19identity_decomposerENS1_16block_id_wrapperIjLb0EEEEE10hipError_tT1_PNSt15iterator_traitsISG_E10value_typeET2_T3_PNSH_ISM_E10value_typeET4_T5_PSR_SS_PNS1_23onesweep_lookback_stateEbbT6_jjT7_P12ihipStream_tbENKUlT_T0_SG_SL_E_clIS7_S7_SB_SB_EEDaSZ_S10_SG_SL_EUlSZ_E_NS1_11comp_targetILNS1_3genE9ELNS1_11target_archE1100ELNS1_3gpuE3ELNS1_3repE0EEENS1_47radix_sort_onesweep_sort_config_static_selectorELNS0_4arch9wavefront6targetE1EEEvSG_
                                        ; -- End function
	.set _ZN7rocprim17ROCPRIM_400000_NS6detail17trampoline_kernelINS0_14default_configENS1_35radix_sort_onesweep_config_selectorIdlEEZZNS1_29radix_sort_onesweep_iterationIS3_Lb0EPdS7_N6thrust23THRUST_200600_302600_NS10device_ptrIlEESB_jNS0_19identity_decomposerENS1_16block_id_wrapperIjLb0EEEEE10hipError_tT1_PNSt15iterator_traitsISG_E10value_typeET2_T3_PNSH_ISM_E10value_typeET4_T5_PSR_SS_PNS1_23onesweep_lookback_stateEbbT6_jjT7_P12ihipStream_tbENKUlT_T0_SG_SL_E_clIS7_S7_SB_SB_EEDaSZ_S10_SG_SL_EUlSZ_E_NS1_11comp_targetILNS1_3genE9ELNS1_11target_archE1100ELNS1_3gpuE3ELNS1_3repE0EEENS1_47radix_sort_onesweep_sort_config_static_selectorELNS0_4arch9wavefront6targetE1EEEvSG_.num_vgpr, 0
	.set _ZN7rocprim17ROCPRIM_400000_NS6detail17trampoline_kernelINS0_14default_configENS1_35radix_sort_onesweep_config_selectorIdlEEZZNS1_29radix_sort_onesweep_iterationIS3_Lb0EPdS7_N6thrust23THRUST_200600_302600_NS10device_ptrIlEESB_jNS0_19identity_decomposerENS1_16block_id_wrapperIjLb0EEEEE10hipError_tT1_PNSt15iterator_traitsISG_E10value_typeET2_T3_PNSH_ISM_E10value_typeET4_T5_PSR_SS_PNS1_23onesweep_lookback_stateEbbT6_jjT7_P12ihipStream_tbENKUlT_T0_SG_SL_E_clIS7_S7_SB_SB_EEDaSZ_S10_SG_SL_EUlSZ_E_NS1_11comp_targetILNS1_3genE9ELNS1_11target_archE1100ELNS1_3gpuE3ELNS1_3repE0EEENS1_47radix_sort_onesweep_sort_config_static_selectorELNS0_4arch9wavefront6targetE1EEEvSG_.num_agpr, 0
	.set _ZN7rocprim17ROCPRIM_400000_NS6detail17trampoline_kernelINS0_14default_configENS1_35radix_sort_onesweep_config_selectorIdlEEZZNS1_29radix_sort_onesweep_iterationIS3_Lb0EPdS7_N6thrust23THRUST_200600_302600_NS10device_ptrIlEESB_jNS0_19identity_decomposerENS1_16block_id_wrapperIjLb0EEEEE10hipError_tT1_PNSt15iterator_traitsISG_E10value_typeET2_T3_PNSH_ISM_E10value_typeET4_T5_PSR_SS_PNS1_23onesweep_lookback_stateEbbT6_jjT7_P12ihipStream_tbENKUlT_T0_SG_SL_E_clIS7_S7_SB_SB_EEDaSZ_S10_SG_SL_EUlSZ_E_NS1_11comp_targetILNS1_3genE9ELNS1_11target_archE1100ELNS1_3gpuE3ELNS1_3repE0EEENS1_47radix_sort_onesweep_sort_config_static_selectorELNS0_4arch9wavefront6targetE1EEEvSG_.numbered_sgpr, 0
	.set _ZN7rocprim17ROCPRIM_400000_NS6detail17trampoline_kernelINS0_14default_configENS1_35radix_sort_onesweep_config_selectorIdlEEZZNS1_29radix_sort_onesweep_iterationIS3_Lb0EPdS7_N6thrust23THRUST_200600_302600_NS10device_ptrIlEESB_jNS0_19identity_decomposerENS1_16block_id_wrapperIjLb0EEEEE10hipError_tT1_PNSt15iterator_traitsISG_E10value_typeET2_T3_PNSH_ISM_E10value_typeET4_T5_PSR_SS_PNS1_23onesweep_lookback_stateEbbT6_jjT7_P12ihipStream_tbENKUlT_T0_SG_SL_E_clIS7_S7_SB_SB_EEDaSZ_S10_SG_SL_EUlSZ_E_NS1_11comp_targetILNS1_3genE9ELNS1_11target_archE1100ELNS1_3gpuE3ELNS1_3repE0EEENS1_47radix_sort_onesweep_sort_config_static_selectorELNS0_4arch9wavefront6targetE1EEEvSG_.num_named_barrier, 0
	.set _ZN7rocprim17ROCPRIM_400000_NS6detail17trampoline_kernelINS0_14default_configENS1_35radix_sort_onesweep_config_selectorIdlEEZZNS1_29radix_sort_onesweep_iterationIS3_Lb0EPdS7_N6thrust23THRUST_200600_302600_NS10device_ptrIlEESB_jNS0_19identity_decomposerENS1_16block_id_wrapperIjLb0EEEEE10hipError_tT1_PNSt15iterator_traitsISG_E10value_typeET2_T3_PNSH_ISM_E10value_typeET4_T5_PSR_SS_PNS1_23onesweep_lookback_stateEbbT6_jjT7_P12ihipStream_tbENKUlT_T0_SG_SL_E_clIS7_S7_SB_SB_EEDaSZ_S10_SG_SL_EUlSZ_E_NS1_11comp_targetILNS1_3genE9ELNS1_11target_archE1100ELNS1_3gpuE3ELNS1_3repE0EEENS1_47radix_sort_onesweep_sort_config_static_selectorELNS0_4arch9wavefront6targetE1EEEvSG_.private_seg_size, 0
	.set _ZN7rocprim17ROCPRIM_400000_NS6detail17trampoline_kernelINS0_14default_configENS1_35radix_sort_onesweep_config_selectorIdlEEZZNS1_29radix_sort_onesweep_iterationIS3_Lb0EPdS7_N6thrust23THRUST_200600_302600_NS10device_ptrIlEESB_jNS0_19identity_decomposerENS1_16block_id_wrapperIjLb0EEEEE10hipError_tT1_PNSt15iterator_traitsISG_E10value_typeET2_T3_PNSH_ISM_E10value_typeET4_T5_PSR_SS_PNS1_23onesweep_lookback_stateEbbT6_jjT7_P12ihipStream_tbENKUlT_T0_SG_SL_E_clIS7_S7_SB_SB_EEDaSZ_S10_SG_SL_EUlSZ_E_NS1_11comp_targetILNS1_3genE9ELNS1_11target_archE1100ELNS1_3gpuE3ELNS1_3repE0EEENS1_47radix_sort_onesweep_sort_config_static_selectorELNS0_4arch9wavefront6targetE1EEEvSG_.uses_vcc, 0
	.set _ZN7rocprim17ROCPRIM_400000_NS6detail17trampoline_kernelINS0_14default_configENS1_35radix_sort_onesweep_config_selectorIdlEEZZNS1_29radix_sort_onesweep_iterationIS3_Lb0EPdS7_N6thrust23THRUST_200600_302600_NS10device_ptrIlEESB_jNS0_19identity_decomposerENS1_16block_id_wrapperIjLb0EEEEE10hipError_tT1_PNSt15iterator_traitsISG_E10value_typeET2_T3_PNSH_ISM_E10value_typeET4_T5_PSR_SS_PNS1_23onesweep_lookback_stateEbbT6_jjT7_P12ihipStream_tbENKUlT_T0_SG_SL_E_clIS7_S7_SB_SB_EEDaSZ_S10_SG_SL_EUlSZ_E_NS1_11comp_targetILNS1_3genE9ELNS1_11target_archE1100ELNS1_3gpuE3ELNS1_3repE0EEENS1_47radix_sort_onesweep_sort_config_static_selectorELNS0_4arch9wavefront6targetE1EEEvSG_.uses_flat_scratch, 0
	.set _ZN7rocprim17ROCPRIM_400000_NS6detail17trampoline_kernelINS0_14default_configENS1_35radix_sort_onesweep_config_selectorIdlEEZZNS1_29radix_sort_onesweep_iterationIS3_Lb0EPdS7_N6thrust23THRUST_200600_302600_NS10device_ptrIlEESB_jNS0_19identity_decomposerENS1_16block_id_wrapperIjLb0EEEEE10hipError_tT1_PNSt15iterator_traitsISG_E10value_typeET2_T3_PNSH_ISM_E10value_typeET4_T5_PSR_SS_PNS1_23onesweep_lookback_stateEbbT6_jjT7_P12ihipStream_tbENKUlT_T0_SG_SL_E_clIS7_S7_SB_SB_EEDaSZ_S10_SG_SL_EUlSZ_E_NS1_11comp_targetILNS1_3genE9ELNS1_11target_archE1100ELNS1_3gpuE3ELNS1_3repE0EEENS1_47radix_sort_onesweep_sort_config_static_selectorELNS0_4arch9wavefront6targetE1EEEvSG_.has_dyn_sized_stack, 0
	.set _ZN7rocprim17ROCPRIM_400000_NS6detail17trampoline_kernelINS0_14default_configENS1_35radix_sort_onesweep_config_selectorIdlEEZZNS1_29radix_sort_onesweep_iterationIS3_Lb0EPdS7_N6thrust23THRUST_200600_302600_NS10device_ptrIlEESB_jNS0_19identity_decomposerENS1_16block_id_wrapperIjLb0EEEEE10hipError_tT1_PNSt15iterator_traitsISG_E10value_typeET2_T3_PNSH_ISM_E10value_typeET4_T5_PSR_SS_PNS1_23onesweep_lookback_stateEbbT6_jjT7_P12ihipStream_tbENKUlT_T0_SG_SL_E_clIS7_S7_SB_SB_EEDaSZ_S10_SG_SL_EUlSZ_E_NS1_11comp_targetILNS1_3genE9ELNS1_11target_archE1100ELNS1_3gpuE3ELNS1_3repE0EEENS1_47radix_sort_onesweep_sort_config_static_selectorELNS0_4arch9wavefront6targetE1EEEvSG_.has_recursion, 0
	.set _ZN7rocprim17ROCPRIM_400000_NS6detail17trampoline_kernelINS0_14default_configENS1_35radix_sort_onesweep_config_selectorIdlEEZZNS1_29radix_sort_onesweep_iterationIS3_Lb0EPdS7_N6thrust23THRUST_200600_302600_NS10device_ptrIlEESB_jNS0_19identity_decomposerENS1_16block_id_wrapperIjLb0EEEEE10hipError_tT1_PNSt15iterator_traitsISG_E10value_typeET2_T3_PNSH_ISM_E10value_typeET4_T5_PSR_SS_PNS1_23onesweep_lookback_stateEbbT6_jjT7_P12ihipStream_tbENKUlT_T0_SG_SL_E_clIS7_S7_SB_SB_EEDaSZ_S10_SG_SL_EUlSZ_E_NS1_11comp_targetILNS1_3genE9ELNS1_11target_archE1100ELNS1_3gpuE3ELNS1_3repE0EEENS1_47radix_sort_onesweep_sort_config_static_selectorELNS0_4arch9wavefront6targetE1EEEvSG_.has_indirect_call, 0
	.section	.AMDGPU.csdata,"",@progbits
; Kernel info:
; codeLenInByte = 0
; TotalNumSgprs: 4
; NumVgprs: 0
; ScratchSize: 0
; MemoryBound: 0
; FloatMode: 240
; IeeeMode: 1
; LDSByteSize: 0 bytes/workgroup (compile time only)
; SGPRBlocks: 0
; VGPRBlocks: 0
; NumSGPRsForWavesPerEU: 4
; NumVGPRsForWavesPerEU: 1
; Occupancy: 10
; WaveLimiterHint : 0
; COMPUTE_PGM_RSRC2:SCRATCH_EN: 0
; COMPUTE_PGM_RSRC2:USER_SGPR: 6
; COMPUTE_PGM_RSRC2:TRAP_HANDLER: 0
; COMPUTE_PGM_RSRC2:TGID_X_EN: 1
; COMPUTE_PGM_RSRC2:TGID_Y_EN: 0
; COMPUTE_PGM_RSRC2:TGID_Z_EN: 0
; COMPUTE_PGM_RSRC2:TIDIG_COMP_CNT: 0
	.section	.text._ZN7rocprim17ROCPRIM_400000_NS6detail17trampoline_kernelINS0_14default_configENS1_35radix_sort_onesweep_config_selectorIdlEEZZNS1_29radix_sort_onesweep_iterationIS3_Lb0EPdS7_N6thrust23THRUST_200600_302600_NS10device_ptrIlEESB_jNS0_19identity_decomposerENS1_16block_id_wrapperIjLb0EEEEE10hipError_tT1_PNSt15iterator_traitsISG_E10value_typeET2_T3_PNSH_ISM_E10value_typeET4_T5_PSR_SS_PNS1_23onesweep_lookback_stateEbbT6_jjT7_P12ihipStream_tbENKUlT_T0_SG_SL_E_clIS7_S7_SB_SB_EEDaSZ_S10_SG_SL_EUlSZ_E_NS1_11comp_targetILNS1_3genE8ELNS1_11target_archE1030ELNS1_3gpuE2ELNS1_3repE0EEENS1_47radix_sort_onesweep_sort_config_static_selectorELNS0_4arch9wavefront6targetE1EEEvSG_,"axG",@progbits,_ZN7rocprim17ROCPRIM_400000_NS6detail17trampoline_kernelINS0_14default_configENS1_35radix_sort_onesweep_config_selectorIdlEEZZNS1_29radix_sort_onesweep_iterationIS3_Lb0EPdS7_N6thrust23THRUST_200600_302600_NS10device_ptrIlEESB_jNS0_19identity_decomposerENS1_16block_id_wrapperIjLb0EEEEE10hipError_tT1_PNSt15iterator_traitsISG_E10value_typeET2_T3_PNSH_ISM_E10value_typeET4_T5_PSR_SS_PNS1_23onesweep_lookback_stateEbbT6_jjT7_P12ihipStream_tbENKUlT_T0_SG_SL_E_clIS7_S7_SB_SB_EEDaSZ_S10_SG_SL_EUlSZ_E_NS1_11comp_targetILNS1_3genE8ELNS1_11target_archE1030ELNS1_3gpuE2ELNS1_3repE0EEENS1_47radix_sort_onesweep_sort_config_static_selectorELNS0_4arch9wavefront6targetE1EEEvSG_,comdat
	.protected	_ZN7rocprim17ROCPRIM_400000_NS6detail17trampoline_kernelINS0_14default_configENS1_35radix_sort_onesweep_config_selectorIdlEEZZNS1_29radix_sort_onesweep_iterationIS3_Lb0EPdS7_N6thrust23THRUST_200600_302600_NS10device_ptrIlEESB_jNS0_19identity_decomposerENS1_16block_id_wrapperIjLb0EEEEE10hipError_tT1_PNSt15iterator_traitsISG_E10value_typeET2_T3_PNSH_ISM_E10value_typeET4_T5_PSR_SS_PNS1_23onesweep_lookback_stateEbbT6_jjT7_P12ihipStream_tbENKUlT_T0_SG_SL_E_clIS7_S7_SB_SB_EEDaSZ_S10_SG_SL_EUlSZ_E_NS1_11comp_targetILNS1_3genE8ELNS1_11target_archE1030ELNS1_3gpuE2ELNS1_3repE0EEENS1_47radix_sort_onesweep_sort_config_static_selectorELNS0_4arch9wavefront6targetE1EEEvSG_ ; -- Begin function _ZN7rocprim17ROCPRIM_400000_NS6detail17trampoline_kernelINS0_14default_configENS1_35radix_sort_onesweep_config_selectorIdlEEZZNS1_29radix_sort_onesweep_iterationIS3_Lb0EPdS7_N6thrust23THRUST_200600_302600_NS10device_ptrIlEESB_jNS0_19identity_decomposerENS1_16block_id_wrapperIjLb0EEEEE10hipError_tT1_PNSt15iterator_traitsISG_E10value_typeET2_T3_PNSH_ISM_E10value_typeET4_T5_PSR_SS_PNS1_23onesweep_lookback_stateEbbT6_jjT7_P12ihipStream_tbENKUlT_T0_SG_SL_E_clIS7_S7_SB_SB_EEDaSZ_S10_SG_SL_EUlSZ_E_NS1_11comp_targetILNS1_3genE8ELNS1_11target_archE1030ELNS1_3gpuE2ELNS1_3repE0EEENS1_47radix_sort_onesweep_sort_config_static_selectorELNS0_4arch9wavefront6targetE1EEEvSG_
	.globl	_ZN7rocprim17ROCPRIM_400000_NS6detail17trampoline_kernelINS0_14default_configENS1_35radix_sort_onesweep_config_selectorIdlEEZZNS1_29radix_sort_onesweep_iterationIS3_Lb0EPdS7_N6thrust23THRUST_200600_302600_NS10device_ptrIlEESB_jNS0_19identity_decomposerENS1_16block_id_wrapperIjLb0EEEEE10hipError_tT1_PNSt15iterator_traitsISG_E10value_typeET2_T3_PNSH_ISM_E10value_typeET4_T5_PSR_SS_PNS1_23onesweep_lookback_stateEbbT6_jjT7_P12ihipStream_tbENKUlT_T0_SG_SL_E_clIS7_S7_SB_SB_EEDaSZ_S10_SG_SL_EUlSZ_E_NS1_11comp_targetILNS1_3genE8ELNS1_11target_archE1030ELNS1_3gpuE2ELNS1_3repE0EEENS1_47radix_sort_onesweep_sort_config_static_selectorELNS0_4arch9wavefront6targetE1EEEvSG_
	.p2align	8
	.type	_ZN7rocprim17ROCPRIM_400000_NS6detail17trampoline_kernelINS0_14default_configENS1_35radix_sort_onesweep_config_selectorIdlEEZZNS1_29radix_sort_onesweep_iterationIS3_Lb0EPdS7_N6thrust23THRUST_200600_302600_NS10device_ptrIlEESB_jNS0_19identity_decomposerENS1_16block_id_wrapperIjLb0EEEEE10hipError_tT1_PNSt15iterator_traitsISG_E10value_typeET2_T3_PNSH_ISM_E10value_typeET4_T5_PSR_SS_PNS1_23onesweep_lookback_stateEbbT6_jjT7_P12ihipStream_tbENKUlT_T0_SG_SL_E_clIS7_S7_SB_SB_EEDaSZ_S10_SG_SL_EUlSZ_E_NS1_11comp_targetILNS1_3genE8ELNS1_11target_archE1030ELNS1_3gpuE2ELNS1_3repE0EEENS1_47radix_sort_onesweep_sort_config_static_selectorELNS0_4arch9wavefront6targetE1EEEvSG_,@function
_ZN7rocprim17ROCPRIM_400000_NS6detail17trampoline_kernelINS0_14default_configENS1_35radix_sort_onesweep_config_selectorIdlEEZZNS1_29radix_sort_onesweep_iterationIS3_Lb0EPdS7_N6thrust23THRUST_200600_302600_NS10device_ptrIlEESB_jNS0_19identity_decomposerENS1_16block_id_wrapperIjLb0EEEEE10hipError_tT1_PNSt15iterator_traitsISG_E10value_typeET2_T3_PNSH_ISM_E10value_typeET4_T5_PSR_SS_PNS1_23onesweep_lookback_stateEbbT6_jjT7_P12ihipStream_tbENKUlT_T0_SG_SL_E_clIS7_S7_SB_SB_EEDaSZ_S10_SG_SL_EUlSZ_E_NS1_11comp_targetILNS1_3genE8ELNS1_11target_archE1030ELNS1_3gpuE2ELNS1_3repE0EEENS1_47radix_sort_onesweep_sort_config_static_selectorELNS0_4arch9wavefront6targetE1EEEvSG_: ; @_ZN7rocprim17ROCPRIM_400000_NS6detail17trampoline_kernelINS0_14default_configENS1_35radix_sort_onesweep_config_selectorIdlEEZZNS1_29radix_sort_onesweep_iterationIS3_Lb0EPdS7_N6thrust23THRUST_200600_302600_NS10device_ptrIlEESB_jNS0_19identity_decomposerENS1_16block_id_wrapperIjLb0EEEEE10hipError_tT1_PNSt15iterator_traitsISG_E10value_typeET2_T3_PNSH_ISM_E10value_typeET4_T5_PSR_SS_PNS1_23onesweep_lookback_stateEbbT6_jjT7_P12ihipStream_tbENKUlT_T0_SG_SL_E_clIS7_S7_SB_SB_EEDaSZ_S10_SG_SL_EUlSZ_E_NS1_11comp_targetILNS1_3genE8ELNS1_11target_archE1030ELNS1_3gpuE2ELNS1_3repE0EEENS1_47radix_sort_onesweep_sort_config_static_selectorELNS0_4arch9wavefront6targetE1EEEvSG_
; %bb.0:
	.section	.rodata,"a",@progbits
	.p2align	6, 0x0
	.amdhsa_kernel _ZN7rocprim17ROCPRIM_400000_NS6detail17trampoline_kernelINS0_14default_configENS1_35radix_sort_onesweep_config_selectorIdlEEZZNS1_29radix_sort_onesweep_iterationIS3_Lb0EPdS7_N6thrust23THRUST_200600_302600_NS10device_ptrIlEESB_jNS0_19identity_decomposerENS1_16block_id_wrapperIjLb0EEEEE10hipError_tT1_PNSt15iterator_traitsISG_E10value_typeET2_T3_PNSH_ISM_E10value_typeET4_T5_PSR_SS_PNS1_23onesweep_lookback_stateEbbT6_jjT7_P12ihipStream_tbENKUlT_T0_SG_SL_E_clIS7_S7_SB_SB_EEDaSZ_S10_SG_SL_EUlSZ_E_NS1_11comp_targetILNS1_3genE8ELNS1_11target_archE1030ELNS1_3gpuE2ELNS1_3repE0EEENS1_47radix_sort_onesweep_sort_config_static_selectorELNS0_4arch9wavefront6targetE1EEEvSG_
		.amdhsa_group_segment_fixed_size 0
		.amdhsa_private_segment_fixed_size 0
		.amdhsa_kernarg_size 88
		.amdhsa_user_sgpr_count 6
		.amdhsa_user_sgpr_private_segment_buffer 1
		.amdhsa_user_sgpr_dispatch_ptr 0
		.amdhsa_user_sgpr_queue_ptr 0
		.amdhsa_user_sgpr_kernarg_segment_ptr 1
		.amdhsa_user_sgpr_dispatch_id 0
		.amdhsa_user_sgpr_flat_scratch_init 0
		.amdhsa_user_sgpr_private_segment_size 0
		.amdhsa_uses_dynamic_stack 0
		.amdhsa_system_sgpr_private_segment_wavefront_offset 0
		.amdhsa_system_sgpr_workgroup_id_x 1
		.amdhsa_system_sgpr_workgroup_id_y 0
		.amdhsa_system_sgpr_workgroup_id_z 0
		.amdhsa_system_sgpr_workgroup_info 0
		.amdhsa_system_vgpr_workitem_id 0
		.amdhsa_next_free_vgpr 1
		.amdhsa_next_free_sgpr 0
		.amdhsa_reserve_vcc 0
		.amdhsa_reserve_flat_scratch 0
		.amdhsa_float_round_mode_32 0
		.amdhsa_float_round_mode_16_64 0
		.amdhsa_float_denorm_mode_32 3
		.amdhsa_float_denorm_mode_16_64 3
		.amdhsa_dx10_clamp 1
		.amdhsa_ieee_mode 1
		.amdhsa_fp16_overflow 0
		.amdhsa_exception_fp_ieee_invalid_op 0
		.amdhsa_exception_fp_denorm_src 0
		.amdhsa_exception_fp_ieee_div_zero 0
		.amdhsa_exception_fp_ieee_overflow 0
		.amdhsa_exception_fp_ieee_underflow 0
		.amdhsa_exception_fp_ieee_inexact 0
		.amdhsa_exception_int_div_zero 0
	.end_amdhsa_kernel
	.section	.text._ZN7rocprim17ROCPRIM_400000_NS6detail17trampoline_kernelINS0_14default_configENS1_35radix_sort_onesweep_config_selectorIdlEEZZNS1_29radix_sort_onesweep_iterationIS3_Lb0EPdS7_N6thrust23THRUST_200600_302600_NS10device_ptrIlEESB_jNS0_19identity_decomposerENS1_16block_id_wrapperIjLb0EEEEE10hipError_tT1_PNSt15iterator_traitsISG_E10value_typeET2_T3_PNSH_ISM_E10value_typeET4_T5_PSR_SS_PNS1_23onesweep_lookback_stateEbbT6_jjT7_P12ihipStream_tbENKUlT_T0_SG_SL_E_clIS7_S7_SB_SB_EEDaSZ_S10_SG_SL_EUlSZ_E_NS1_11comp_targetILNS1_3genE8ELNS1_11target_archE1030ELNS1_3gpuE2ELNS1_3repE0EEENS1_47radix_sort_onesweep_sort_config_static_selectorELNS0_4arch9wavefront6targetE1EEEvSG_,"axG",@progbits,_ZN7rocprim17ROCPRIM_400000_NS6detail17trampoline_kernelINS0_14default_configENS1_35radix_sort_onesweep_config_selectorIdlEEZZNS1_29radix_sort_onesweep_iterationIS3_Lb0EPdS7_N6thrust23THRUST_200600_302600_NS10device_ptrIlEESB_jNS0_19identity_decomposerENS1_16block_id_wrapperIjLb0EEEEE10hipError_tT1_PNSt15iterator_traitsISG_E10value_typeET2_T3_PNSH_ISM_E10value_typeET4_T5_PSR_SS_PNS1_23onesweep_lookback_stateEbbT6_jjT7_P12ihipStream_tbENKUlT_T0_SG_SL_E_clIS7_S7_SB_SB_EEDaSZ_S10_SG_SL_EUlSZ_E_NS1_11comp_targetILNS1_3genE8ELNS1_11target_archE1030ELNS1_3gpuE2ELNS1_3repE0EEENS1_47radix_sort_onesweep_sort_config_static_selectorELNS0_4arch9wavefront6targetE1EEEvSG_,comdat
.Lfunc_end1651:
	.size	_ZN7rocprim17ROCPRIM_400000_NS6detail17trampoline_kernelINS0_14default_configENS1_35radix_sort_onesweep_config_selectorIdlEEZZNS1_29radix_sort_onesweep_iterationIS3_Lb0EPdS7_N6thrust23THRUST_200600_302600_NS10device_ptrIlEESB_jNS0_19identity_decomposerENS1_16block_id_wrapperIjLb0EEEEE10hipError_tT1_PNSt15iterator_traitsISG_E10value_typeET2_T3_PNSH_ISM_E10value_typeET4_T5_PSR_SS_PNS1_23onesweep_lookback_stateEbbT6_jjT7_P12ihipStream_tbENKUlT_T0_SG_SL_E_clIS7_S7_SB_SB_EEDaSZ_S10_SG_SL_EUlSZ_E_NS1_11comp_targetILNS1_3genE8ELNS1_11target_archE1030ELNS1_3gpuE2ELNS1_3repE0EEENS1_47radix_sort_onesweep_sort_config_static_selectorELNS0_4arch9wavefront6targetE1EEEvSG_, .Lfunc_end1651-_ZN7rocprim17ROCPRIM_400000_NS6detail17trampoline_kernelINS0_14default_configENS1_35radix_sort_onesweep_config_selectorIdlEEZZNS1_29radix_sort_onesweep_iterationIS3_Lb0EPdS7_N6thrust23THRUST_200600_302600_NS10device_ptrIlEESB_jNS0_19identity_decomposerENS1_16block_id_wrapperIjLb0EEEEE10hipError_tT1_PNSt15iterator_traitsISG_E10value_typeET2_T3_PNSH_ISM_E10value_typeET4_T5_PSR_SS_PNS1_23onesweep_lookback_stateEbbT6_jjT7_P12ihipStream_tbENKUlT_T0_SG_SL_E_clIS7_S7_SB_SB_EEDaSZ_S10_SG_SL_EUlSZ_E_NS1_11comp_targetILNS1_3genE8ELNS1_11target_archE1030ELNS1_3gpuE2ELNS1_3repE0EEENS1_47radix_sort_onesweep_sort_config_static_selectorELNS0_4arch9wavefront6targetE1EEEvSG_
                                        ; -- End function
	.set _ZN7rocprim17ROCPRIM_400000_NS6detail17trampoline_kernelINS0_14default_configENS1_35radix_sort_onesweep_config_selectorIdlEEZZNS1_29radix_sort_onesweep_iterationIS3_Lb0EPdS7_N6thrust23THRUST_200600_302600_NS10device_ptrIlEESB_jNS0_19identity_decomposerENS1_16block_id_wrapperIjLb0EEEEE10hipError_tT1_PNSt15iterator_traitsISG_E10value_typeET2_T3_PNSH_ISM_E10value_typeET4_T5_PSR_SS_PNS1_23onesweep_lookback_stateEbbT6_jjT7_P12ihipStream_tbENKUlT_T0_SG_SL_E_clIS7_S7_SB_SB_EEDaSZ_S10_SG_SL_EUlSZ_E_NS1_11comp_targetILNS1_3genE8ELNS1_11target_archE1030ELNS1_3gpuE2ELNS1_3repE0EEENS1_47radix_sort_onesweep_sort_config_static_selectorELNS0_4arch9wavefront6targetE1EEEvSG_.num_vgpr, 0
	.set _ZN7rocprim17ROCPRIM_400000_NS6detail17trampoline_kernelINS0_14default_configENS1_35radix_sort_onesweep_config_selectorIdlEEZZNS1_29radix_sort_onesweep_iterationIS3_Lb0EPdS7_N6thrust23THRUST_200600_302600_NS10device_ptrIlEESB_jNS0_19identity_decomposerENS1_16block_id_wrapperIjLb0EEEEE10hipError_tT1_PNSt15iterator_traitsISG_E10value_typeET2_T3_PNSH_ISM_E10value_typeET4_T5_PSR_SS_PNS1_23onesweep_lookback_stateEbbT6_jjT7_P12ihipStream_tbENKUlT_T0_SG_SL_E_clIS7_S7_SB_SB_EEDaSZ_S10_SG_SL_EUlSZ_E_NS1_11comp_targetILNS1_3genE8ELNS1_11target_archE1030ELNS1_3gpuE2ELNS1_3repE0EEENS1_47radix_sort_onesweep_sort_config_static_selectorELNS0_4arch9wavefront6targetE1EEEvSG_.num_agpr, 0
	.set _ZN7rocprim17ROCPRIM_400000_NS6detail17trampoline_kernelINS0_14default_configENS1_35radix_sort_onesweep_config_selectorIdlEEZZNS1_29radix_sort_onesweep_iterationIS3_Lb0EPdS7_N6thrust23THRUST_200600_302600_NS10device_ptrIlEESB_jNS0_19identity_decomposerENS1_16block_id_wrapperIjLb0EEEEE10hipError_tT1_PNSt15iterator_traitsISG_E10value_typeET2_T3_PNSH_ISM_E10value_typeET4_T5_PSR_SS_PNS1_23onesweep_lookback_stateEbbT6_jjT7_P12ihipStream_tbENKUlT_T0_SG_SL_E_clIS7_S7_SB_SB_EEDaSZ_S10_SG_SL_EUlSZ_E_NS1_11comp_targetILNS1_3genE8ELNS1_11target_archE1030ELNS1_3gpuE2ELNS1_3repE0EEENS1_47radix_sort_onesweep_sort_config_static_selectorELNS0_4arch9wavefront6targetE1EEEvSG_.numbered_sgpr, 0
	.set _ZN7rocprim17ROCPRIM_400000_NS6detail17trampoline_kernelINS0_14default_configENS1_35radix_sort_onesweep_config_selectorIdlEEZZNS1_29radix_sort_onesweep_iterationIS3_Lb0EPdS7_N6thrust23THRUST_200600_302600_NS10device_ptrIlEESB_jNS0_19identity_decomposerENS1_16block_id_wrapperIjLb0EEEEE10hipError_tT1_PNSt15iterator_traitsISG_E10value_typeET2_T3_PNSH_ISM_E10value_typeET4_T5_PSR_SS_PNS1_23onesweep_lookback_stateEbbT6_jjT7_P12ihipStream_tbENKUlT_T0_SG_SL_E_clIS7_S7_SB_SB_EEDaSZ_S10_SG_SL_EUlSZ_E_NS1_11comp_targetILNS1_3genE8ELNS1_11target_archE1030ELNS1_3gpuE2ELNS1_3repE0EEENS1_47radix_sort_onesweep_sort_config_static_selectorELNS0_4arch9wavefront6targetE1EEEvSG_.num_named_barrier, 0
	.set _ZN7rocprim17ROCPRIM_400000_NS6detail17trampoline_kernelINS0_14default_configENS1_35radix_sort_onesweep_config_selectorIdlEEZZNS1_29radix_sort_onesweep_iterationIS3_Lb0EPdS7_N6thrust23THRUST_200600_302600_NS10device_ptrIlEESB_jNS0_19identity_decomposerENS1_16block_id_wrapperIjLb0EEEEE10hipError_tT1_PNSt15iterator_traitsISG_E10value_typeET2_T3_PNSH_ISM_E10value_typeET4_T5_PSR_SS_PNS1_23onesweep_lookback_stateEbbT6_jjT7_P12ihipStream_tbENKUlT_T0_SG_SL_E_clIS7_S7_SB_SB_EEDaSZ_S10_SG_SL_EUlSZ_E_NS1_11comp_targetILNS1_3genE8ELNS1_11target_archE1030ELNS1_3gpuE2ELNS1_3repE0EEENS1_47radix_sort_onesweep_sort_config_static_selectorELNS0_4arch9wavefront6targetE1EEEvSG_.private_seg_size, 0
	.set _ZN7rocprim17ROCPRIM_400000_NS6detail17trampoline_kernelINS0_14default_configENS1_35radix_sort_onesweep_config_selectorIdlEEZZNS1_29radix_sort_onesweep_iterationIS3_Lb0EPdS7_N6thrust23THRUST_200600_302600_NS10device_ptrIlEESB_jNS0_19identity_decomposerENS1_16block_id_wrapperIjLb0EEEEE10hipError_tT1_PNSt15iterator_traitsISG_E10value_typeET2_T3_PNSH_ISM_E10value_typeET4_T5_PSR_SS_PNS1_23onesweep_lookback_stateEbbT6_jjT7_P12ihipStream_tbENKUlT_T0_SG_SL_E_clIS7_S7_SB_SB_EEDaSZ_S10_SG_SL_EUlSZ_E_NS1_11comp_targetILNS1_3genE8ELNS1_11target_archE1030ELNS1_3gpuE2ELNS1_3repE0EEENS1_47radix_sort_onesweep_sort_config_static_selectorELNS0_4arch9wavefront6targetE1EEEvSG_.uses_vcc, 0
	.set _ZN7rocprim17ROCPRIM_400000_NS6detail17trampoline_kernelINS0_14default_configENS1_35radix_sort_onesweep_config_selectorIdlEEZZNS1_29radix_sort_onesweep_iterationIS3_Lb0EPdS7_N6thrust23THRUST_200600_302600_NS10device_ptrIlEESB_jNS0_19identity_decomposerENS1_16block_id_wrapperIjLb0EEEEE10hipError_tT1_PNSt15iterator_traitsISG_E10value_typeET2_T3_PNSH_ISM_E10value_typeET4_T5_PSR_SS_PNS1_23onesweep_lookback_stateEbbT6_jjT7_P12ihipStream_tbENKUlT_T0_SG_SL_E_clIS7_S7_SB_SB_EEDaSZ_S10_SG_SL_EUlSZ_E_NS1_11comp_targetILNS1_3genE8ELNS1_11target_archE1030ELNS1_3gpuE2ELNS1_3repE0EEENS1_47radix_sort_onesweep_sort_config_static_selectorELNS0_4arch9wavefront6targetE1EEEvSG_.uses_flat_scratch, 0
	.set _ZN7rocprim17ROCPRIM_400000_NS6detail17trampoline_kernelINS0_14default_configENS1_35radix_sort_onesweep_config_selectorIdlEEZZNS1_29radix_sort_onesweep_iterationIS3_Lb0EPdS7_N6thrust23THRUST_200600_302600_NS10device_ptrIlEESB_jNS0_19identity_decomposerENS1_16block_id_wrapperIjLb0EEEEE10hipError_tT1_PNSt15iterator_traitsISG_E10value_typeET2_T3_PNSH_ISM_E10value_typeET4_T5_PSR_SS_PNS1_23onesweep_lookback_stateEbbT6_jjT7_P12ihipStream_tbENKUlT_T0_SG_SL_E_clIS7_S7_SB_SB_EEDaSZ_S10_SG_SL_EUlSZ_E_NS1_11comp_targetILNS1_3genE8ELNS1_11target_archE1030ELNS1_3gpuE2ELNS1_3repE0EEENS1_47radix_sort_onesweep_sort_config_static_selectorELNS0_4arch9wavefront6targetE1EEEvSG_.has_dyn_sized_stack, 0
	.set _ZN7rocprim17ROCPRIM_400000_NS6detail17trampoline_kernelINS0_14default_configENS1_35radix_sort_onesweep_config_selectorIdlEEZZNS1_29radix_sort_onesweep_iterationIS3_Lb0EPdS7_N6thrust23THRUST_200600_302600_NS10device_ptrIlEESB_jNS0_19identity_decomposerENS1_16block_id_wrapperIjLb0EEEEE10hipError_tT1_PNSt15iterator_traitsISG_E10value_typeET2_T3_PNSH_ISM_E10value_typeET4_T5_PSR_SS_PNS1_23onesweep_lookback_stateEbbT6_jjT7_P12ihipStream_tbENKUlT_T0_SG_SL_E_clIS7_S7_SB_SB_EEDaSZ_S10_SG_SL_EUlSZ_E_NS1_11comp_targetILNS1_3genE8ELNS1_11target_archE1030ELNS1_3gpuE2ELNS1_3repE0EEENS1_47radix_sort_onesweep_sort_config_static_selectorELNS0_4arch9wavefront6targetE1EEEvSG_.has_recursion, 0
	.set _ZN7rocprim17ROCPRIM_400000_NS6detail17trampoline_kernelINS0_14default_configENS1_35radix_sort_onesweep_config_selectorIdlEEZZNS1_29radix_sort_onesweep_iterationIS3_Lb0EPdS7_N6thrust23THRUST_200600_302600_NS10device_ptrIlEESB_jNS0_19identity_decomposerENS1_16block_id_wrapperIjLb0EEEEE10hipError_tT1_PNSt15iterator_traitsISG_E10value_typeET2_T3_PNSH_ISM_E10value_typeET4_T5_PSR_SS_PNS1_23onesweep_lookback_stateEbbT6_jjT7_P12ihipStream_tbENKUlT_T0_SG_SL_E_clIS7_S7_SB_SB_EEDaSZ_S10_SG_SL_EUlSZ_E_NS1_11comp_targetILNS1_3genE8ELNS1_11target_archE1030ELNS1_3gpuE2ELNS1_3repE0EEENS1_47radix_sort_onesweep_sort_config_static_selectorELNS0_4arch9wavefront6targetE1EEEvSG_.has_indirect_call, 0
	.section	.AMDGPU.csdata,"",@progbits
; Kernel info:
; codeLenInByte = 0
; TotalNumSgprs: 4
; NumVgprs: 0
; ScratchSize: 0
; MemoryBound: 0
; FloatMode: 240
; IeeeMode: 1
; LDSByteSize: 0 bytes/workgroup (compile time only)
; SGPRBlocks: 0
; VGPRBlocks: 0
; NumSGPRsForWavesPerEU: 4
; NumVGPRsForWavesPerEU: 1
; Occupancy: 10
; WaveLimiterHint : 0
; COMPUTE_PGM_RSRC2:SCRATCH_EN: 0
; COMPUTE_PGM_RSRC2:USER_SGPR: 6
; COMPUTE_PGM_RSRC2:TRAP_HANDLER: 0
; COMPUTE_PGM_RSRC2:TGID_X_EN: 1
; COMPUTE_PGM_RSRC2:TGID_Y_EN: 0
; COMPUTE_PGM_RSRC2:TGID_Z_EN: 0
; COMPUTE_PGM_RSRC2:TIDIG_COMP_CNT: 0
	.section	.text._ZN7rocprim17ROCPRIM_400000_NS6detail17trampoline_kernelINS0_14default_configENS1_35radix_sort_onesweep_config_selectorIdlEEZZNS1_29radix_sort_onesweep_iterationIS3_Lb0EPdS7_N6thrust23THRUST_200600_302600_NS10device_ptrIlEESB_jNS0_19identity_decomposerENS1_16block_id_wrapperIjLb0EEEEE10hipError_tT1_PNSt15iterator_traitsISG_E10value_typeET2_T3_PNSH_ISM_E10value_typeET4_T5_PSR_SS_PNS1_23onesweep_lookback_stateEbbT6_jjT7_P12ihipStream_tbENKUlT_T0_SG_SL_E_clIS7_S7_SB_PlEEDaSZ_S10_SG_SL_EUlSZ_E_NS1_11comp_targetILNS1_3genE0ELNS1_11target_archE4294967295ELNS1_3gpuE0ELNS1_3repE0EEENS1_47radix_sort_onesweep_sort_config_static_selectorELNS0_4arch9wavefront6targetE1EEEvSG_,"axG",@progbits,_ZN7rocprim17ROCPRIM_400000_NS6detail17trampoline_kernelINS0_14default_configENS1_35radix_sort_onesweep_config_selectorIdlEEZZNS1_29radix_sort_onesweep_iterationIS3_Lb0EPdS7_N6thrust23THRUST_200600_302600_NS10device_ptrIlEESB_jNS0_19identity_decomposerENS1_16block_id_wrapperIjLb0EEEEE10hipError_tT1_PNSt15iterator_traitsISG_E10value_typeET2_T3_PNSH_ISM_E10value_typeET4_T5_PSR_SS_PNS1_23onesweep_lookback_stateEbbT6_jjT7_P12ihipStream_tbENKUlT_T0_SG_SL_E_clIS7_S7_SB_PlEEDaSZ_S10_SG_SL_EUlSZ_E_NS1_11comp_targetILNS1_3genE0ELNS1_11target_archE4294967295ELNS1_3gpuE0ELNS1_3repE0EEENS1_47radix_sort_onesweep_sort_config_static_selectorELNS0_4arch9wavefront6targetE1EEEvSG_,comdat
	.protected	_ZN7rocprim17ROCPRIM_400000_NS6detail17trampoline_kernelINS0_14default_configENS1_35radix_sort_onesweep_config_selectorIdlEEZZNS1_29radix_sort_onesweep_iterationIS3_Lb0EPdS7_N6thrust23THRUST_200600_302600_NS10device_ptrIlEESB_jNS0_19identity_decomposerENS1_16block_id_wrapperIjLb0EEEEE10hipError_tT1_PNSt15iterator_traitsISG_E10value_typeET2_T3_PNSH_ISM_E10value_typeET4_T5_PSR_SS_PNS1_23onesweep_lookback_stateEbbT6_jjT7_P12ihipStream_tbENKUlT_T0_SG_SL_E_clIS7_S7_SB_PlEEDaSZ_S10_SG_SL_EUlSZ_E_NS1_11comp_targetILNS1_3genE0ELNS1_11target_archE4294967295ELNS1_3gpuE0ELNS1_3repE0EEENS1_47radix_sort_onesweep_sort_config_static_selectorELNS0_4arch9wavefront6targetE1EEEvSG_ ; -- Begin function _ZN7rocprim17ROCPRIM_400000_NS6detail17trampoline_kernelINS0_14default_configENS1_35radix_sort_onesweep_config_selectorIdlEEZZNS1_29radix_sort_onesweep_iterationIS3_Lb0EPdS7_N6thrust23THRUST_200600_302600_NS10device_ptrIlEESB_jNS0_19identity_decomposerENS1_16block_id_wrapperIjLb0EEEEE10hipError_tT1_PNSt15iterator_traitsISG_E10value_typeET2_T3_PNSH_ISM_E10value_typeET4_T5_PSR_SS_PNS1_23onesweep_lookback_stateEbbT6_jjT7_P12ihipStream_tbENKUlT_T0_SG_SL_E_clIS7_S7_SB_PlEEDaSZ_S10_SG_SL_EUlSZ_E_NS1_11comp_targetILNS1_3genE0ELNS1_11target_archE4294967295ELNS1_3gpuE0ELNS1_3repE0EEENS1_47radix_sort_onesweep_sort_config_static_selectorELNS0_4arch9wavefront6targetE1EEEvSG_
	.globl	_ZN7rocprim17ROCPRIM_400000_NS6detail17trampoline_kernelINS0_14default_configENS1_35radix_sort_onesweep_config_selectorIdlEEZZNS1_29radix_sort_onesweep_iterationIS3_Lb0EPdS7_N6thrust23THRUST_200600_302600_NS10device_ptrIlEESB_jNS0_19identity_decomposerENS1_16block_id_wrapperIjLb0EEEEE10hipError_tT1_PNSt15iterator_traitsISG_E10value_typeET2_T3_PNSH_ISM_E10value_typeET4_T5_PSR_SS_PNS1_23onesweep_lookback_stateEbbT6_jjT7_P12ihipStream_tbENKUlT_T0_SG_SL_E_clIS7_S7_SB_PlEEDaSZ_S10_SG_SL_EUlSZ_E_NS1_11comp_targetILNS1_3genE0ELNS1_11target_archE4294967295ELNS1_3gpuE0ELNS1_3repE0EEENS1_47radix_sort_onesweep_sort_config_static_selectorELNS0_4arch9wavefront6targetE1EEEvSG_
	.p2align	8
	.type	_ZN7rocprim17ROCPRIM_400000_NS6detail17trampoline_kernelINS0_14default_configENS1_35radix_sort_onesweep_config_selectorIdlEEZZNS1_29radix_sort_onesweep_iterationIS3_Lb0EPdS7_N6thrust23THRUST_200600_302600_NS10device_ptrIlEESB_jNS0_19identity_decomposerENS1_16block_id_wrapperIjLb0EEEEE10hipError_tT1_PNSt15iterator_traitsISG_E10value_typeET2_T3_PNSH_ISM_E10value_typeET4_T5_PSR_SS_PNS1_23onesweep_lookback_stateEbbT6_jjT7_P12ihipStream_tbENKUlT_T0_SG_SL_E_clIS7_S7_SB_PlEEDaSZ_S10_SG_SL_EUlSZ_E_NS1_11comp_targetILNS1_3genE0ELNS1_11target_archE4294967295ELNS1_3gpuE0ELNS1_3repE0EEENS1_47radix_sort_onesweep_sort_config_static_selectorELNS0_4arch9wavefront6targetE1EEEvSG_,@function
_ZN7rocprim17ROCPRIM_400000_NS6detail17trampoline_kernelINS0_14default_configENS1_35radix_sort_onesweep_config_selectorIdlEEZZNS1_29radix_sort_onesweep_iterationIS3_Lb0EPdS7_N6thrust23THRUST_200600_302600_NS10device_ptrIlEESB_jNS0_19identity_decomposerENS1_16block_id_wrapperIjLb0EEEEE10hipError_tT1_PNSt15iterator_traitsISG_E10value_typeET2_T3_PNSH_ISM_E10value_typeET4_T5_PSR_SS_PNS1_23onesweep_lookback_stateEbbT6_jjT7_P12ihipStream_tbENKUlT_T0_SG_SL_E_clIS7_S7_SB_PlEEDaSZ_S10_SG_SL_EUlSZ_E_NS1_11comp_targetILNS1_3genE0ELNS1_11target_archE4294967295ELNS1_3gpuE0ELNS1_3repE0EEENS1_47radix_sort_onesweep_sort_config_static_selectorELNS0_4arch9wavefront6targetE1EEEvSG_: ; @_ZN7rocprim17ROCPRIM_400000_NS6detail17trampoline_kernelINS0_14default_configENS1_35radix_sort_onesweep_config_selectorIdlEEZZNS1_29radix_sort_onesweep_iterationIS3_Lb0EPdS7_N6thrust23THRUST_200600_302600_NS10device_ptrIlEESB_jNS0_19identity_decomposerENS1_16block_id_wrapperIjLb0EEEEE10hipError_tT1_PNSt15iterator_traitsISG_E10value_typeET2_T3_PNSH_ISM_E10value_typeET4_T5_PSR_SS_PNS1_23onesweep_lookback_stateEbbT6_jjT7_P12ihipStream_tbENKUlT_T0_SG_SL_E_clIS7_S7_SB_PlEEDaSZ_S10_SG_SL_EUlSZ_E_NS1_11comp_targetILNS1_3genE0ELNS1_11target_archE4294967295ELNS1_3gpuE0ELNS1_3repE0EEENS1_47radix_sort_onesweep_sort_config_static_selectorELNS0_4arch9wavefront6targetE1EEEvSG_
; %bb.0:
	.section	.rodata,"a",@progbits
	.p2align	6, 0x0
	.amdhsa_kernel _ZN7rocprim17ROCPRIM_400000_NS6detail17trampoline_kernelINS0_14default_configENS1_35radix_sort_onesweep_config_selectorIdlEEZZNS1_29radix_sort_onesweep_iterationIS3_Lb0EPdS7_N6thrust23THRUST_200600_302600_NS10device_ptrIlEESB_jNS0_19identity_decomposerENS1_16block_id_wrapperIjLb0EEEEE10hipError_tT1_PNSt15iterator_traitsISG_E10value_typeET2_T3_PNSH_ISM_E10value_typeET4_T5_PSR_SS_PNS1_23onesweep_lookback_stateEbbT6_jjT7_P12ihipStream_tbENKUlT_T0_SG_SL_E_clIS7_S7_SB_PlEEDaSZ_S10_SG_SL_EUlSZ_E_NS1_11comp_targetILNS1_3genE0ELNS1_11target_archE4294967295ELNS1_3gpuE0ELNS1_3repE0EEENS1_47radix_sort_onesweep_sort_config_static_selectorELNS0_4arch9wavefront6targetE1EEEvSG_
		.amdhsa_group_segment_fixed_size 0
		.amdhsa_private_segment_fixed_size 0
		.amdhsa_kernarg_size 88
		.amdhsa_user_sgpr_count 6
		.amdhsa_user_sgpr_private_segment_buffer 1
		.amdhsa_user_sgpr_dispatch_ptr 0
		.amdhsa_user_sgpr_queue_ptr 0
		.amdhsa_user_sgpr_kernarg_segment_ptr 1
		.amdhsa_user_sgpr_dispatch_id 0
		.amdhsa_user_sgpr_flat_scratch_init 0
		.amdhsa_user_sgpr_private_segment_size 0
		.amdhsa_uses_dynamic_stack 0
		.amdhsa_system_sgpr_private_segment_wavefront_offset 0
		.amdhsa_system_sgpr_workgroup_id_x 1
		.amdhsa_system_sgpr_workgroup_id_y 0
		.amdhsa_system_sgpr_workgroup_id_z 0
		.amdhsa_system_sgpr_workgroup_info 0
		.amdhsa_system_vgpr_workitem_id 0
		.amdhsa_next_free_vgpr 1
		.amdhsa_next_free_sgpr 0
		.amdhsa_reserve_vcc 0
		.amdhsa_reserve_flat_scratch 0
		.amdhsa_float_round_mode_32 0
		.amdhsa_float_round_mode_16_64 0
		.amdhsa_float_denorm_mode_32 3
		.amdhsa_float_denorm_mode_16_64 3
		.amdhsa_dx10_clamp 1
		.amdhsa_ieee_mode 1
		.amdhsa_fp16_overflow 0
		.amdhsa_exception_fp_ieee_invalid_op 0
		.amdhsa_exception_fp_denorm_src 0
		.amdhsa_exception_fp_ieee_div_zero 0
		.amdhsa_exception_fp_ieee_overflow 0
		.amdhsa_exception_fp_ieee_underflow 0
		.amdhsa_exception_fp_ieee_inexact 0
		.amdhsa_exception_int_div_zero 0
	.end_amdhsa_kernel
	.section	.text._ZN7rocprim17ROCPRIM_400000_NS6detail17trampoline_kernelINS0_14default_configENS1_35radix_sort_onesweep_config_selectorIdlEEZZNS1_29radix_sort_onesweep_iterationIS3_Lb0EPdS7_N6thrust23THRUST_200600_302600_NS10device_ptrIlEESB_jNS0_19identity_decomposerENS1_16block_id_wrapperIjLb0EEEEE10hipError_tT1_PNSt15iterator_traitsISG_E10value_typeET2_T3_PNSH_ISM_E10value_typeET4_T5_PSR_SS_PNS1_23onesweep_lookback_stateEbbT6_jjT7_P12ihipStream_tbENKUlT_T0_SG_SL_E_clIS7_S7_SB_PlEEDaSZ_S10_SG_SL_EUlSZ_E_NS1_11comp_targetILNS1_3genE0ELNS1_11target_archE4294967295ELNS1_3gpuE0ELNS1_3repE0EEENS1_47radix_sort_onesweep_sort_config_static_selectorELNS0_4arch9wavefront6targetE1EEEvSG_,"axG",@progbits,_ZN7rocprim17ROCPRIM_400000_NS6detail17trampoline_kernelINS0_14default_configENS1_35radix_sort_onesweep_config_selectorIdlEEZZNS1_29radix_sort_onesweep_iterationIS3_Lb0EPdS7_N6thrust23THRUST_200600_302600_NS10device_ptrIlEESB_jNS0_19identity_decomposerENS1_16block_id_wrapperIjLb0EEEEE10hipError_tT1_PNSt15iterator_traitsISG_E10value_typeET2_T3_PNSH_ISM_E10value_typeET4_T5_PSR_SS_PNS1_23onesweep_lookback_stateEbbT6_jjT7_P12ihipStream_tbENKUlT_T0_SG_SL_E_clIS7_S7_SB_PlEEDaSZ_S10_SG_SL_EUlSZ_E_NS1_11comp_targetILNS1_3genE0ELNS1_11target_archE4294967295ELNS1_3gpuE0ELNS1_3repE0EEENS1_47radix_sort_onesweep_sort_config_static_selectorELNS0_4arch9wavefront6targetE1EEEvSG_,comdat
.Lfunc_end1652:
	.size	_ZN7rocprim17ROCPRIM_400000_NS6detail17trampoline_kernelINS0_14default_configENS1_35radix_sort_onesweep_config_selectorIdlEEZZNS1_29radix_sort_onesweep_iterationIS3_Lb0EPdS7_N6thrust23THRUST_200600_302600_NS10device_ptrIlEESB_jNS0_19identity_decomposerENS1_16block_id_wrapperIjLb0EEEEE10hipError_tT1_PNSt15iterator_traitsISG_E10value_typeET2_T3_PNSH_ISM_E10value_typeET4_T5_PSR_SS_PNS1_23onesweep_lookback_stateEbbT6_jjT7_P12ihipStream_tbENKUlT_T0_SG_SL_E_clIS7_S7_SB_PlEEDaSZ_S10_SG_SL_EUlSZ_E_NS1_11comp_targetILNS1_3genE0ELNS1_11target_archE4294967295ELNS1_3gpuE0ELNS1_3repE0EEENS1_47radix_sort_onesweep_sort_config_static_selectorELNS0_4arch9wavefront6targetE1EEEvSG_, .Lfunc_end1652-_ZN7rocprim17ROCPRIM_400000_NS6detail17trampoline_kernelINS0_14default_configENS1_35radix_sort_onesweep_config_selectorIdlEEZZNS1_29radix_sort_onesweep_iterationIS3_Lb0EPdS7_N6thrust23THRUST_200600_302600_NS10device_ptrIlEESB_jNS0_19identity_decomposerENS1_16block_id_wrapperIjLb0EEEEE10hipError_tT1_PNSt15iterator_traitsISG_E10value_typeET2_T3_PNSH_ISM_E10value_typeET4_T5_PSR_SS_PNS1_23onesweep_lookback_stateEbbT6_jjT7_P12ihipStream_tbENKUlT_T0_SG_SL_E_clIS7_S7_SB_PlEEDaSZ_S10_SG_SL_EUlSZ_E_NS1_11comp_targetILNS1_3genE0ELNS1_11target_archE4294967295ELNS1_3gpuE0ELNS1_3repE0EEENS1_47radix_sort_onesweep_sort_config_static_selectorELNS0_4arch9wavefront6targetE1EEEvSG_
                                        ; -- End function
	.set _ZN7rocprim17ROCPRIM_400000_NS6detail17trampoline_kernelINS0_14default_configENS1_35radix_sort_onesweep_config_selectorIdlEEZZNS1_29radix_sort_onesweep_iterationIS3_Lb0EPdS7_N6thrust23THRUST_200600_302600_NS10device_ptrIlEESB_jNS0_19identity_decomposerENS1_16block_id_wrapperIjLb0EEEEE10hipError_tT1_PNSt15iterator_traitsISG_E10value_typeET2_T3_PNSH_ISM_E10value_typeET4_T5_PSR_SS_PNS1_23onesweep_lookback_stateEbbT6_jjT7_P12ihipStream_tbENKUlT_T0_SG_SL_E_clIS7_S7_SB_PlEEDaSZ_S10_SG_SL_EUlSZ_E_NS1_11comp_targetILNS1_3genE0ELNS1_11target_archE4294967295ELNS1_3gpuE0ELNS1_3repE0EEENS1_47radix_sort_onesweep_sort_config_static_selectorELNS0_4arch9wavefront6targetE1EEEvSG_.num_vgpr, 0
	.set _ZN7rocprim17ROCPRIM_400000_NS6detail17trampoline_kernelINS0_14default_configENS1_35radix_sort_onesweep_config_selectorIdlEEZZNS1_29radix_sort_onesweep_iterationIS3_Lb0EPdS7_N6thrust23THRUST_200600_302600_NS10device_ptrIlEESB_jNS0_19identity_decomposerENS1_16block_id_wrapperIjLb0EEEEE10hipError_tT1_PNSt15iterator_traitsISG_E10value_typeET2_T3_PNSH_ISM_E10value_typeET4_T5_PSR_SS_PNS1_23onesweep_lookback_stateEbbT6_jjT7_P12ihipStream_tbENKUlT_T0_SG_SL_E_clIS7_S7_SB_PlEEDaSZ_S10_SG_SL_EUlSZ_E_NS1_11comp_targetILNS1_3genE0ELNS1_11target_archE4294967295ELNS1_3gpuE0ELNS1_3repE0EEENS1_47radix_sort_onesweep_sort_config_static_selectorELNS0_4arch9wavefront6targetE1EEEvSG_.num_agpr, 0
	.set _ZN7rocprim17ROCPRIM_400000_NS6detail17trampoline_kernelINS0_14default_configENS1_35radix_sort_onesweep_config_selectorIdlEEZZNS1_29radix_sort_onesweep_iterationIS3_Lb0EPdS7_N6thrust23THRUST_200600_302600_NS10device_ptrIlEESB_jNS0_19identity_decomposerENS1_16block_id_wrapperIjLb0EEEEE10hipError_tT1_PNSt15iterator_traitsISG_E10value_typeET2_T3_PNSH_ISM_E10value_typeET4_T5_PSR_SS_PNS1_23onesweep_lookback_stateEbbT6_jjT7_P12ihipStream_tbENKUlT_T0_SG_SL_E_clIS7_S7_SB_PlEEDaSZ_S10_SG_SL_EUlSZ_E_NS1_11comp_targetILNS1_3genE0ELNS1_11target_archE4294967295ELNS1_3gpuE0ELNS1_3repE0EEENS1_47radix_sort_onesweep_sort_config_static_selectorELNS0_4arch9wavefront6targetE1EEEvSG_.numbered_sgpr, 0
	.set _ZN7rocprim17ROCPRIM_400000_NS6detail17trampoline_kernelINS0_14default_configENS1_35radix_sort_onesweep_config_selectorIdlEEZZNS1_29radix_sort_onesweep_iterationIS3_Lb0EPdS7_N6thrust23THRUST_200600_302600_NS10device_ptrIlEESB_jNS0_19identity_decomposerENS1_16block_id_wrapperIjLb0EEEEE10hipError_tT1_PNSt15iterator_traitsISG_E10value_typeET2_T3_PNSH_ISM_E10value_typeET4_T5_PSR_SS_PNS1_23onesweep_lookback_stateEbbT6_jjT7_P12ihipStream_tbENKUlT_T0_SG_SL_E_clIS7_S7_SB_PlEEDaSZ_S10_SG_SL_EUlSZ_E_NS1_11comp_targetILNS1_3genE0ELNS1_11target_archE4294967295ELNS1_3gpuE0ELNS1_3repE0EEENS1_47radix_sort_onesweep_sort_config_static_selectorELNS0_4arch9wavefront6targetE1EEEvSG_.num_named_barrier, 0
	.set _ZN7rocprim17ROCPRIM_400000_NS6detail17trampoline_kernelINS0_14default_configENS1_35radix_sort_onesweep_config_selectorIdlEEZZNS1_29radix_sort_onesweep_iterationIS3_Lb0EPdS7_N6thrust23THRUST_200600_302600_NS10device_ptrIlEESB_jNS0_19identity_decomposerENS1_16block_id_wrapperIjLb0EEEEE10hipError_tT1_PNSt15iterator_traitsISG_E10value_typeET2_T3_PNSH_ISM_E10value_typeET4_T5_PSR_SS_PNS1_23onesweep_lookback_stateEbbT6_jjT7_P12ihipStream_tbENKUlT_T0_SG_SL_E_clIS7_S7_SB_PlEEDaSZ_S10_SG_SL_EUlSZ_E_NS1_11comp_targetILNS1_3genE0ELNS1_11target_archE4294967295ELNS1_3gpuE0ELNS1_3repE0EEENS1_47radix_sort_onesweep_sort_config_static_selectorELNS0_4arch9wavefront6targetE1EEEvSG_.private_seg_size, 0
	.set _ZN7rocprim17ROCPRIM_400000_NS6detail17trampoline_kernelINS0_14default_configENS1_35radix_sort_onesweep_config_selectorIdlEEZZNS1_29radix_sort_onesweep_iterationIS3_Lb0EPdS7_N6thrust23THRUST_200600_302600_NS10device_ptrIlEESB_jNS0_19identity_decomposerENS1_16block_id_wrapperIjLb0EEEEE10hipError_tT1_PNSt15iterator_traitsISG_E10value_typeET2_T3_PNSH_ISM_E10value_typeET4_T5_PSR_SS_PNS1_23onesweep_lookback_stateEbbT6_jjT7_P12ihipStream_tbENKUlT_T0_SG_SL_E_clIS7_S7_SB_PlEEDaSZ_S10_SG_SL_EUlSZ_E_NS1_11comp_targetILNS1_3genE0ELNS1_11target_archE4294967295ELNS1_3gpuE0ELNS1_3repE0EEENS1_47radix_sort_onesweep_sort_config_static_selectorELNS0_4arch9wavefront6targetE1EEEvSG_.uses_vcc, 0
	.set _ZN7rocprim17ROCPRIM_400000_NS6detail17trampoline_kernelINS0_14default_configENS1_35radix_sort_onesweep_config_selectorIdlEEZZNS1_29radix_sort_onesweep_iterationIS3_Lb0EPdS7_N6thrust23THRUST_200600_302600_NS10device_ptrIlEESB_jNS0_19identity_decomposerENS1_16block_id_wrapperIjLb0EEEEE10hipError_tT1_PNSt15iterator_traitsISG_E10value_typeET2_T3_PNSH_ISM_E10value_typeET4_T5_PSR_SS_PNS1_23onesweep_lookback_stateEbbT6_jjT7_P12ihipStream_tbENKUlT_T0_SG_SL_E_clIS7_S7_SB_PlEEDaSZ_S10_SG_SL_EUlSZ_E_NS1_11comp_targetILNS1_3genE0ELNS1_11target_archE4294967295ELNS1_3gpuE0ELNS1_3repE0EEENS1_47radix_sort_onesweep_sort_config_static_selectorELNS0_4arch9wavefront6targetE1EEEvSG_.uses_flat_scratch, 0
	.set _ZN7rocprim17ROCPRIM_400000_NS6detail17trampoline_kernelINS0_14default_configENS1_35radix_sort_onesweep_config_selectorIdlEEZZNS1_29radix_sort_onesweep_iterationIS3_Lb0EPdS7_N6thrust23THRUST_200600_302600_NS10device_ptrIlEESB_jNS0_19identity_decomposerENS1_16block_id_wrapperIjLb0EEEEE10hipError_tT1_PNSt15iterator_traitsISG_E10value_typeET2_T3_PNSH_ISM_E10value_typeET4_T5_PSR_SS_PNS1_23onesweep_lookback_stateEbbT6_jjT7_P12ihipStream_tbENKUlT_T0_SG_SL_E_clIS7_S7_SB_PlEEDaSZ_S10_SG_SL_EUlSZ_E_NS1_11comp_targetILNS1_3genE0ELNS1_11target_archE4294967295ELNS1_3gpuE0ELNS1_3repE0EEENS1_47radix_sort_onesweep_sort_config_static_selectorELNS0_4arch9wavefront6targetE1EEEvSG_.has_dyn_sized_stack, 0
	.set _ZN7rocprim17ROCPRIM_400000_NS6detail17trampoline_kernelINS0_14default_configENS1_35radix_sort_onesweep_config_selectorIdlEEZZNS1_29radix_sort_onesweep_iterationIS3_Lb0EPdS7_N6thrust23THRUST_200600_302600_NS10device_ptrIlEESB_jNS0_19identity_decomposerENS1_16block_id_wrapperIjLb0EEEEE10hipError_tT1_PNSt15iterator_traitsISG_E10value_typeET2_T3_PNSH_ISM_E10value_typeET4_T5_PSR_SS_PNS1_23onesweep_lookback_stateEbbT6_jjT7_P12ihipStream_tbENKUlT_T0_SG_SL_E_clIS7_S7_SB_PlEEDaSZ_S10_SG_SL_EUlSZ_E_NS1_11comp_targetILNS1_3genE0ELNS1_11target_archE4294967295ELNS1_3gpuE0ELNS1_3repE0EEENS1_47radix_sort_onesweep_sort_config_static_selectorELNS0_4arch9wavefront6targetE1EEEvSG_.has_recursion, 0
	.set _ZN7rocprim17ROCPRIM_400000_NS6detail17trampoline_kernelINS0_14default_configENS1_35radix_sort_onesweep_config_selectorIdlEEZZNS1_29radix_sort_onesweep_iterationIS3_Lb0EPdS7_N6thrust23THRUST_200600_302600_NS10device_ptrIlEESB_jNS0_19identity_decomposerENS1_16block_id_wrapperIjLb0EEEEE10hipError_tT1_PNSt15iterator_traitsISG_E10value_typeET2_T3_PNSH_ISM_E10value_typeET4_T5_PSR_SS_PNS1_23onesweep_lookback_stateEbbT6_jjT7_P12ihipStream_tbENKUlT_T0_SG_SL_E_clIS7_S7_SB_PlEEDaSZ_S10_SG_SL_EUlSZ_E_NS1_11comp_targetILNS1_3genE0ELNS1_11target_archE4294967295ELNS1_3gpuE0ELNS1_3repE0EEENS1_47radix_sort_onesweep_sort_config_static_selectorELNS0_4arch9wavefront6targetE1EEEvSG_.has_indirect_call, 0
	.section	.AMDGPU.csdata,"",@progbits
; Kernel info:
; codeLenInByte = 0
; TotalNumSgprs: 4
; NumVgprs: 0
; ScratchSize: 0
; MemoryBound: 0
; FloatMode: 240
; IeeeMode: 1
; LDSByteSize: 0 bytes/workgroup (compile time only)
; SGPRBlocks: 0
; VGPRBlocks: 0
; NumSGPRsForWavesPerEU: 4
; NumVGPRsForWavesPerEU: 1
; Occupancy: 10
; WaveLimiterHint : 0
; COMPUTE_PGM_RSRC2:SCRATCH_EN: 0
; COMPUTE_PGM_RSRC2:USER_SGPR: 6
; COMPUTE_PGM_RSRC2:TRAP_HANDLER: 0
; COMPUTE_PGM_RSRC2:TGID_X_EN: 1
; COMPUTE_PGM_RSRC2:TGID_Y_EN: 0
; COMPUTE_PGM_RSRC2:TGID_Z_EN: 0
; COMPUTE_PGM_RSRC2:TIDIG_COMP_CNT: 0
	.section	.text._ZN7rocprim17ROCPRIM_400000_NS6detail17trampoline_kernelINS0_14default_configENS1_35radix_sort_onesweep_config_selectorIdlEEZZNS1_29radix_sort_onesweep_iterationIS3_Lb0EPdS7_N6thrust23THRUST_200600_302600_NS10device_ptrIlEESB_jNS0_19identity_decomposerENS1_16block_id_wrapperIjLb0EEEEE10hipError_tT1_PNSt15iterator_traitsISG_E10value_typeET2_T3_PNSH_ISM_E10value_typeET4_T5_PSR_SS_PNS1_23onesweep_lookback_stateEbbT6_jjT7_P12ihipStream_tbENKUlT_T0_SG_SL_E_clIS7_S7_SB_PlEEDaSZ_S10_SG_SL_EUlSZ_E_NS1_11comp_targetILNS1_3genE6ELNS1_11target_archE950ELNS1_3gpuE13ELNS1_3repE0EEENS1_47radix_sort_onesweep_sort_config_static_selectorELNS0_4arch9wavefront6targetE1EEEvSG_,"axG",@progbits,_ZN7rocprim17ROCPRIM_400000_NS6detail17trampoline_kernelINS0_14default_configENS1_35radix_sort_onesweep_config_selectorIdlEEZZNS1_29radix_sort_onesweep_iterationIS3_Lb0EPdS7_N6thrust23THRUST_200600_302600_NS10device_ptrIlEESB_jNS0_19identity_decomposerENS1_16block_id_wrapperIjLb0EEEEE10hipError_tT1_PNSt15iterator_traitsISG_E10value_typeET2_T3_PNSH_ISM_E10value_typeET4_T5_PSR_SS_PNS1_23onesweep_lookback_stateEbbT6_jjT7_P12ihipStream_tbENKUlT_T0_SG_SL_E_clIS7_S7_SB_PlEEDaSZ_S10_SG_SL_EUlSZ_E_NS1_11comp_targetILNS1_3genE6ELNS1_11target_archE950ELNS1_3gpuE13ELNS1_3repE0EEENS1_47radix_sort_onesweep_sort_config_static_selectorELNS0_4arch9wavefront6targetE1EEEvSG_,comdat
	.protected	_ZN7rocprim17ROCPRIM_400000_NS6detail17trampoline_kernelINS0_14default_configENS1_35radix_sort_onesweep_config_selectorIdlEEZZNS1_29radix_sort_onesweep_iterationIS3_Lb0EPdS7_N6thrust23THRUST_200600_302600_NS10device_ptrIlEESB_jNS0_19identity_decomposerENS1_16block_id_wrapperIjLb0EEEEE10hipError_tT1_PNSt15iterator_traitsISG_E10value_typeET2_T3_PNSH_ISM_E10value_typeET4_T5_PSR_SS_PNS1_23onesweep_lookback_stateEbbT6_jjT7_P12ihipStream_tbENKUlT_T0_SG_SL_E_clIS7_S7_SB_PlEEDaSZ_S10_SG_SL_EUlSZ_E_NS1_11comp_targetILNS1_3genE6ELNS1_11target_archE950ELNS1_3gpuE13ELNS1_3repE0EEENS1_47radix_sort_onesweep_sort_config_static_selectorELNS0_4arch9wavefront6targetE1EEEvSG_ ; -- Begin function _ZN7rocprim17ROCPRIM_400000_NS6detail17trampoline_kernelINS0_14default_configENS1_35radix_sort_onesweep_config_selectorIdlEEZZNS1_29radix_sort_onesweep_iterationIS3_Lb0EPdS7_N6thrust23THRUST_200600_302600_NS10device_ptrIlEESB_jNS0_19identity_decomposerENS1_16block_id_wrapperIjLb0EEEEE10hipError_tT1_PNSt15iterator_traitsISG_E10value_typeET2_T3_PNSH_ISM_E10value_typeET4_T5_PSR_SS_PNS1_23onesweep_lookback_stateEbbT6_jjT7_P12ihipStream_tbENKUlT_T0_SG_SL_E_clIS7_S7_SB_PlEEDaSZ_S10_SG_SL_EUlSZ_E_NS1_11comp_targetILNS1_3genE6ELNS1_11target_archE950ELNS1_3gpuE13ELNS1_3repE0EEENS1_47radix_sort_onesweep_sort_config_static_selectorELNS0_4arch9wavefront6targetE1EEEvSG_
	.globl	_ZN7rocprim17ROCPRIM_400000_NS6detail17trampoline_kernelINS0_14default_configENS1_35radix_sort_onesweep_config_selectorIdlEEZZNS1_29radix_sort_onesweep_iterationIS3_Lb0EPdS7_N6thrust23THRUST_200600_302600_NS10device_ptrIlEESB_jNS0_19identity_decomposerENS1_16block_id_wrapperIjLb0EEEEE10hipError_tT1_PNSt15iterator_traitsISG_E10value_typeET2_T3_PNSH_ISM_E10value_typeET4_T5_PSR_SS_PNS1_23onesweep_lookback_stateEbbT6_jjT7_P12ihipStream_tbENKUlT_T0_SG_SL_E_clIS7_S7_SB_PlEEDaSZ_S10_SG_SL_EUlSZ_E_NS1_11comp_targetILNS1_3genE6ELNS1_11target_archE950ELNS1_3gpuE13ELNS1_3repE0EEENS1_47radix_sort_onesweep_sort_config_static_selectorELNS0_4arch9wavefront6targetE1EEEvSG_
	.p2align	8
	.type	_ZN7rocprim17ROCPRIM_400000_NS6detail17trampoline_kernelINS0_14default_configENS1_35radix_sort_onesweep_config_selectorIdlEEZZNS1_29radix_sort_onesweep_iterationIS3_Lb0EPdS7_N6thrust23THRUST_200600_302600_NS10device_ptrIlEESB_jNS0_19identity_decomposerENS1_16block_id_wrapperIjLb0EEEEE10hipError_tT1_PNSt15iterator_traitsISG_E10value_typeET2_T3_PNSH_ISM_E10value_typeET4_T5_PSR_SS_PNS1_23onesweep_lookback_stateEbbT6_jjT7_P12ihipStream_tbENKUlT_T0_SG_SL_E_clIS7_S7_SB_PlEEDaSZ_S10_SG_SL_EUlSZ_E_NS1_11comp_targetILNS1_3genE6ELNS1_11target_archE950ELNS1_3gpuE13ELNS1_3repE0EEENS1_47radix_sort_onesweep_sort_config_static_selectorELNS0_4arch9wavefront6targetE1EEEvSG_,@function
_ZN7rocprim17ROCPRIM_400000_NS6detail17trampoline_kernelINS0_14default_configENS1_35radix_sort_onesweep_config_selectorIdlEEZZNS1_29radix_sort_onesweep_iterationIS3_Lb0EPdS7_N6thrust23THRUST_200600_302600_NS10device_ptrIlEESB_jNS0_19identity_decomposerENS1_16block_id_wrapperIjLb0EEEEE10hipError_tT1_PNSt15iterator_traitsISG_E10value_typeET2_T3_PNSH_ISM_E10value_typeET4_T5_PSR_SS_PNS1_23onesweep_lookback_stateEbbT6_jjT7_P12ihipStream_tbENKUlT_T0_SG_SL_E_clIS7_S7_SB_PlEEDaSZ_S10_SG_SL_EUlSZ_E_NS1_11comp_targetILNS1_3genE6ELNS1_11target_archE950ELNS1_3gpuE13ELNS1_3repE0EEENS1_47radix_sort_onesweep_sort_config_static_selectorELNS0_4arch9wavefront6targetE1EEEvSG_: ; @_ZN7rocprim17ROCPRIM_400000_NS6detail17trampoline_kernelINS0_14default_configENS1_35radix_sort_onesweep_config_selectorIdlEEZZNS1_29radix_sort_onesweep_iterationIS3_Lb0EPdS7_N6thrust23THRUST_200600_302600_NS10device_ptrIlEESB_jNS0_19identity_decomposerENS1_16block_id_wrapperIjLb0EEEEE10hipError_tT1_PNSt15iterator_traitsISG_E10value_typeET2_T3_PNSH_ISM_E10value_typeET4_T5_PSR_SS_PNS1_23onesweep_lookback_stateEbbT6_jjT7_P12ihipStream_tbENKUlT_T0_SG_SL_E_clIS7_S7_SB_PlEEDaSZ_S10_SG_SL_EUlSZ_E_NS1_11comp_targetILNS1_3genE6ELNS1_11target_archE950ELNS1_3gpuE13ELNS1_3repE0EEENS1_47radix_sort_onesweep_sort_config_static_selectorELNS0_4arch9wavefront6targetE1EEEvSG_
; %bb.0:
	.section	.rodata,"a",@progbits
	.p2align	6, 0x0
	.amdhsa_kernel _ZN7rocprim17ROCPRIM_400000_NS6detail17trampoline_kernelINS0_14default_configENS1_35radix_sort_onesweep_config_selectorIdlEEZZNS1_29radix_sort_onesweep_iterationIS3_Lb0EPdS7_N6thrust23THRUST_200600_302600_NS10device_ptrIlEESB_jNS0_19identity_decomposerENS1_16block_id_wrapperIjLb0EEEEE10hipError_tT1_PNSt15iterator_traitsISG_E10value_typeET2_T3_PNSH_ISM_E10value_typeET4_T5_PSR_SS_PNS1_23onesweep_lookback_stateEbbT6_jjT7_P12ihipStream_tbENKUlT_T0_SG_SL_E_clIS7_S7_SB_PlEEDaSZ_S10_SG_SL_EUlSZ_E_NS1_11comp_targetILNS1_3genE6ELNS1_11target_archE950ELNS1_3gpuE13ELNS1_3repE0EEENS1_47radix_sort_onesweep_sort_config_static_selectorELNS0_4arch9wavefront6targetE1EEEvSG_
		.amdhsa_group_segment_fixed_size 0
		.amdhsa_private_segment_fixed_size 0
		.amdhsa_kernarg_size 88
		.amdhsa_user_sgpr_count 6
		.amdhsa_user_sgpr_private_segment_buffer 1
		.amdhsa_user_sgpr_dispatch_ptr 0
		.amdhsa_user_sgpr_queue_ptr 0
		.amdhsa_user_sgpr_kernarg_segment_ptr 1
		.amdhsa_user_sgpr_dispatch_id 0
		.amdhsa_user_sgpr_flat_scratch_init 0
		.amdhsa_user_sgpr_private_segment_size 0
		.amdhsa_uses_dynamic_stack 0
		.amdhsa_system_sgpr_private_segment_wavefront_offset 0
		.amdhsa_system_sgpr_workgroup_id_x 1
		.amdhsa_system_sgpr_workgroup_id_y 0
		.amdhsa_system_sgpr_workgroup_id_z 0
		.amdhsa_system_sgpr_workgroup_info 0
		.amdhsa_system_vgpr_workitem_id 0
		.amdhsa_next_free_vgpr 1
		.amdhsa_next_free_sgpr 0
		.amdhsa_reserve_vcc 0
		.amdhsa_reserve_flat_scratch 0
		.amdhsa_float_round_mode_32 0
		.amdhsa_float_round_mode_16_64 0
		.amdhsa_float_denorm_mode_32 3
		.amdhsa_float_denorm_mode_16_64 3
		.amdhsa_dx10_clamp 1
		.amdhsa_ieee_mode 1
		.amdhsa_fp16_overflow 0
		.amdhsa_exception_fp_ieee_invalid_op 0
		.amdhsa_exception_fp_denorm_src 0
		.amdhsa_exception_fp_ieee_div_zero 0
		.amdhsa_exception_fp_ieee_overflow 0
		.amdhsa_exception_fp_ieee_underflow 0
		.amdhsa_exception_fp_ieee_inexact 0
		.amdhsa_exception_int_div_zero 0
	.end_amdhsa_kernel
	.section	.text._ZN7rocprim17ROCPRIM_400000_NS6detail17trampoline_kernelINS0_14default_configENS1_35radix_sort_onesweep_config_selectorIdlEEZZNS1_29radix_sort_onesweep_iterationIS3_Lb0EPdS7_N6thrust23THRUST_200600_302600_NS10device_ptrIlEESB_jNS0_19identity_decomposerENS1_16block_id_wrapperIjLb0EEEEE10hipError_tT1_PNSt15iterator_traitsISG_E10value_typeET2_T3_PNSH_ISM_E10value_typeET4_T5_PSR_SS_PNS1_23onesweep_lookback_stateEbbT6_jjT7_P12ihipStream_tbENKUlT_T0_SG_SL_E_clIS7_S7_SB_PlEEDaSZ_S10_SG_SL_EUlSZ_E_NS1_11comp_targetILNS1_3genE6ELNS1_11target_archE950ELNS1_3gpuE13ELNS1_3repE0EEENS1_47radix_sort_onesweep_sort_config_static_selectorELNS0_4arch9wavefront6targetE1EEEvSG_,"axG",@progbits,_ZN7rocprim17ROCPRIM_400000_NS6detail17trampoline_kernelINS0_14default_configENS1_35radix_sort_onesweep_config_selectorIdlEEZZNS1_29radix_sort_onesweep_iterationIS3_Lb0EPdS7_N6thrust23THRUST_200600_302600_NS10device_ptrIlEESB_jNS0_19identity_decomposerENS1_16block_id_wrapperIjLb0EEEEE10hipError_tT1_PNSt15iterator_traitsISG_E10value_typeET2_T3_PNSH_ISM_E10value_typeET4_T5_PSR_SS_PNS1_23onesweep_lookback_stateEbbT6_jjT7_P12ihipStream_tbENKUlT_T0_SG_SL_E_clIS7_S7_SB_PlEEDaSZ_S10_SG_SL_EUlSZ_E_NS1_11comp_targetILNS1_3genE6ELNS1_11target_archE950ELNS1_3gpuE13ELNS1_3repE0EEENS1_47radix_sort_onesweep_sort_config_static_selectorELNS0_4arch9wavefront6targetE1EEEvSG_,comdat
.Lfunc_end1653:
	.size	_ZN7rocprim17ROCPRIM_400000_NS6detail17trampoline_kernelINS0_14default_configENS1_35radix_sort_onesweep_config_selectorIdlEEZZNS1_29radix_sort_onesweep_iterationIS3_Lb0EPdS7_N6thrust23THRUST_200600_302600_NS10device_ptrIlEESB_jNS0_19identity_decomposerENS1_16block_id_wrapperIjLb0EEEEE10hipError_tT1_PNSt15iterator_traitsISG_E10value_typeET2_T3_PNSH_ISM_E10value_typeET4_T5_PSR_SS_PNS1_23onesweep_lookback_stateEbbT6_jjT7_P12ihipStream_tbENKUlT_T0_SG_SL_E_clIS7_S7_SB_PlEEDaSZ_S10_SG_SL_EUlSZ_E_NS1_11comp_targetILNS1_3genE6ELNS1_11target_archE950ELNS1_3gpuE13ELNS1_3repE0EEENS1_47radix_sort_onesweep_sort_config_static_selectorELNS0_4arch9wavefront6targetE1EEEvSG_, .Lfunc_end1653-_ZN7rocprim17ROCPRIM_400000_NS6detail17trampoline_kernelINS0_14default_configENS1_35radix_sort_onesweep_config_selectorIdlEEZZNS1_29radix_sort_onesweep_iterationIS3_Lb0EPdS7_N6thrust23THRUST_200600_302600_NS10device_ptrIlEESB_jNS0_19identity_decomposerENS1_16block_id_wrapperIjLb0EEEEE10hipError_tT1_PNSt15iterator_traitsISG_E10value_typeET2_T3_PNSH_ISM_E10value_typeET4_T5_PSR_SS_PNS1_23onesweep_lookback_stateEbbT6_jjT7_P12ihipStream_tbENKUlT_T0_SG_SL_E_clIS7_S7_SB_PlEEDaSZ_S10_SG_SL_EUlSZ_E_NS1_11comp_targetILNS1_3genE6ELNS1_11target_archE950ELNS1_3gpuE13ELNS1_3repE0EEENS1_47radix_sort_onesweep_sort_config_static_selectorELNS0_4arch9wavefront6targetE1EEEvSG_
                                        ; -- End function
	.set _ZN7rocprim17ROCPRIM_400000_NS6detail17trampoline_kernelINS0_14default_configENS1_35radix_sort_onesweep_config_selectorIdlEEZZNS1_29radix_sort_onesweep_iterationIS3_Lb0EPdS7_N6thrust23THRUST_200600_302600_NS10device_ptrIlEESB_jNS0_19identity_decomposerENS1_16block_id_wrapperIjLb0EEEEE10hipError_tT1_PNSt15iterator_traitsISG_E10value_typeET2_T3_PNSH_ISM_E10value_typeET4_T5_PSR_SS_PNS1_23onesweep_lookback_stateEbbT6_jjT7_P12ihipStream_tbENKUlT_T0_SG_SL_E_clIS7_S7_SB_PlEEDaSZ_S10_SG_SL_EUlSZ_E_NS1_11comp_targetILNS1_3genE6ELNS1_11target_archE950ELNS1_3gpuE13ELNS1_3repE0EEENS1_47radix_sort_onesweep_sort_config_static_selectorELNS0_4arch9wavefront6targetE1EEEvSG_.num_vgpr, 0
	.set _ZN7rocprim17ROCPRIM_400000_NS6detail17trampoline_kernelINS0_14default_configENS1_35radix_sort_onesweep_config_selectorIdlEEZZNS1_29radix_sort_onesweep_iterationIS3_Lb0EPdS7_N6thrust23THRUST_200600_302600_NS10device_ptrIlEESB_jNS0_19identity_decomposerENS1_16block_id_wrapperIjLb0EEEEE10hipError_tT1_PNSt15iterator_traitsISG_E10value_typeET2_T3_PNSH_ISM_E10value_typeET4_T5_PSR_SS_PNS1_23onesweep_lookback_stateEbbT6_jjT7_P12ihipStream_tbENKUlT_T0_SG_SL_E_clIS7_S7_SB_PlEEDaSZ_S10_SG_SL_EUlSZ_E_NS1_11comp_targetILNS1_3genE6ELNS1_11target_archE950ELNS1_3gpuE13ELNS1_3repE0EEENS1_47radix_sort_onesweep_sort_config_static_selectorELNS0_4arch9wavefront6targetE1EEEvSG_.num_agpr, 0
	.set _ZN7rocprim17ROCPRIM_400000_NS6detail17trampoline_kernelINS0_14default_configENS1_35radix_sort_onesweep_config_selectorIdlEEZZNS1_29radix_sort_onesweep_iterationIS3_Lb0EPdS7_N6thrust23THRUST_200600_302600_NS10device_ptrIlEESB_jNS0_19identity_decomposerENS1_16block_id_wrapperIjLb0EEEEE10hipError_tT1_PNSt15iterator_traitsISG_E10value_typeET2_T3_PNSH_ISM_E10value_typeET4_T5_PSR_SS_PNS1_23onesweep_lookback_stateEbbT6_jjT7_P12ihipStream_tbENKUlT_T0_SG_SL_E_clIS7_S7_SB_PlEEDaSZ_S10_SG_SL_EUlSZ_E_NS1_11comp_targetILNS1_3genE6ELNS1_11target_archE950ELNS1_3gpuE13ELNS1_3repE0EEENS1_47radix_sort_onesweep_sort_config_static_selectorELNS0_4arch9wavefront6targetE1EEEvSG_.numbered_sgpr, 0
	.set _ZN7rocprim17ROCPRIM_400000_NS6detail17trampoline_kernelINS0_14default_configENS1_35radix_sort_onesweep_config_selectorIdlEEZZNS1_29radix_sort_onesweep_iterationIS3_Lb0EPdS7_N6thrust23THRUST_200600_302600_NS10device_ptrIlEESB_jNS0_19identity_decomposerENS1_16block_id_wrapperIjLb0EEEEE10hipError_tT1_PNSt15iterator_traitsISG_E10value_typeET2_T3_PNSH_ISM_E10value_typeET4_T5_PSR_SS_PNS1_23onesweep_lookback_stateEbbT6_jjT7_P12ihipStream_tbENKUlT_T0_SG_SL_E_clIS7_S7_SB_PlEEDaSZ_S10_SG_SL_EUlSZ_E_NS1_11comp_targetILNS1_3genE6ELNS1_11target_archE950ELNS1_3gpuE13ELNS1_3repE0EEENS1_47radix_sort_onesweep_sort_config_static_selectorELNS0_4arch9wavefront6targetE1EEEvSG_.num_named_barrier, 0
	.set _ZN7rocprim17ROCPRIM_400000_NS6detail17trampoline_kernelINS0_14default_configENS1_35radix_sort_onesweep_config_selectorIdlEEZZNS1_29radix_sort_onesweep_iterationIS3_Lb0EPdS7_N6thrust23THRUST_200600_302600_NS10device_ptrIlEESB_jNS0_19identity_decomposerENS1_16block_id_wrapperIjLb0EEEEE10hipError_tT1_PNSt15iterator_traitsISG_E10value_typeET2_T3_PNSH_ISM_E10value_typeET4_T5_PSR_SS_PNS1_23onesweep_lookback_stateEbbT6_jjT7_P12ihipStream_tbENKUlT_T0_SG_SL_E_clIS7_S7_SB_PlEEDaSZ_S10_SG_SL_EUlSZ_E_NS1_11comp_targetILNS1_3genE6ELNS1_11target_archE950ELNS1_3gpuE13ELNS1_3repE0EEENS1_47radix_sort_onesweep_sort_config_static_selectorELNS0_4arch9wavefront6targetE1EEEvSG_.private_seg_size, 0
	.set _ZN7rocprim17ROCPRIM_400000_NS6detail17trampoline_kernelINS0_14default_configENS1_35radix_sort_onesweep_config_selectorIdlEEZZNS1_29radix_sort_onesweep_iterationIS3_Lb0EPdS7_N6thrust23THRUST_200600_302600_NS10device_ptrIlEESB_jNS0_19identity_decomposerENS1_16block_id_wrapperIjLb0EEEEE10hipError_tT1_PNSt15iterator_traitsISG_E10value_typeET2_T3_PNSH_ISM_E10value_typeET4_T5_PSR_SS_PNS1_23onesweep_lookback_stateEbbT6_jjT7_P12ihipStream_tbENKUlT_T0_SG_SL_E_clIS7_S7_SB_PlEEDaSZ_S10_SG_SL_EUlSZ_E_NS1_11comp_targetILNS1_3genE6ELNS1_11target_archE950ELNS1_3gpuE13ELNS1_3repE0EEENS1_47radix_sort_onesweep_sort_config_static_selectorELNS0_4arch9wavefront6targetE1EEEvSG_.uses_vcc, 0
	.set _ZN7rocprim17ROCPRIM_400000_NS6detail17trampoline_kernelINS0_14default_configENS1_35radix_sort_onesweep_config_selectorIdlEEZZNS1_29radix_sort_onesweep_iterationIS3_Lb0EPdS7_N6thrust23THRUST_200600_302600_NS10device_ptrIlEESB_jNS0_19identity_decomposerENS1_16block_id_wrapperIjLb0EEEEE10hipError_tT1_PNSt15iterator_traitsISG_E10value_typeET2_T3_PNSH_ISM_E10value_typeET4_T5_PSR_SS_PNS1_23onesweep_lookback_stateEbbT6_jjT7_P12ihipStream_tbENKUlT_T0_SG_SL_E_clIS7_S7_SB_PlEEDaSZ_S10_SG_SL_EUlSZ_E_NS1_11comp_targetILNS1_3genE6ELNS1_11target_archE950ELNS1_3gpuE13ELNS1_3repE0EEENS1_47radix_sort_onesweep_sort_config_static_selectorELNS0_4arch9wavefront6targetE1EEEvSG_.uses_flat_scratch, 0
	.set _ZN7rocprim17ROCPRIM_400000_NS6detail17trampoline_kernelINS0_14default_configENS1_35radix_sort_onesweep_config_selectorIdlEEZZNS1_29radix_sort_onesweep_iterationIS3_Lb0EPdS7_N6thrust23THRUST_200600_302600_NS10device_ptrIlEESB_jNS0_19identity_decomposerENS1_16block_id_wrapperIjLb0EEEEE10hipError_tT1_PNSt15iterator_traitsISG_E10value_typeET2_T3_PNSH_ISM_E10value_typeET4_T5_PSR_SS_PNS1_23onesweep_lookback_stateEbbT6_jjT7_P12ihipStream_tbENKUlT_T0_SG_SL_E_clIS7_S7_SB_PlEEDaSZ_S10_SG_SL_EUlSZ_E_NS1_11comp_targetILNS1_3genE6ELNS1_11target_archE950ELNS1_3gpuE13ELNS1_3repE0EEENS1_47radix_sort_onesweep_sort_config_static_selectorELNS0_4arch9wavefront6targetE1EEEvSG_.has_dyn_sized_stack, 0
	.set _ZN7rocprim17ROCPRIM_400000_NS6detail17trampoline_kernelINS0_14default_configENS1_35radix_sort_onesweep_config_selectorIdlEEZZNS1_29radix_sort_onesweep_iterationIS3_Lb0EPdS7_N6thrust23THRUST_200600_302600_NS10device_ptrIlEESB_jNS0_19identity_decomposerENS1_16block_id_wrapperIjLb0EEEEE10hipError_tT1_PNSt15iterator_traitsISG_E10value_typeET2_T3_PNSH_ISM_E10value_typeET4_T5_PSR_SS_PNS1_23onesweep_lookback_stateEbbT6_jjT7_P12ihipStream_tbENKUlT_T0_SG_SL_E_clIS7_S7_SB_PlEEDaSZ_S10_SG_SL_EUlSZ_E_NS1_11comp_targetILNS1_3genE6ELNS1_11target_archE950ELNS1_3gpuE13ELNS1_3repE0EEENS1_47radix_sort_onesweep_sort_config_static_selectorELNS0_4arch9wavefront6targetE1EEEvSG_.has_recursion, 0
	.set _ZN7rocprim17ROCPRIM_400000_NS6detail17trampoline_kernelINS0_14default_configENS1_35radix_sort_onesweep_config_selectorIdlEEZZNS1_29radix_sort_onesweep_iterationIS3_Lb0EPdS7_N6thrust23THRUST_200600_302600_NS10device_ptrIlEESB_jNS0_19identity_decomposerENS1_16block_id_wrapperIjLb0EEEEE10hipError_tT1_PNSt15iterator_traitsISG_E10value_typeET2_T3_PNSH_ISM_E10value_typeET4_T5_PSR_SS_PNS1_23onesweep_lookback_stateEbbT6_jjT7_P12ihipStream_tbENKUlT_T0_SG_SL_E_clIS7_S7_SB_PlEEDaSZ_S10_SG_SL_EUlSZ_E_NS1_11comp_targetILNS1_3genE6ELNS1_11target_archE950ELNS1_3gpuE13ELNS1_3repE0EEENS1_47radix_sort_onesweep_sort_config_static_selectorELNS0_4arch9wavefront6targetE1EEEvSG_.has_indirect_call, 0
	.section	.AMDGPU.csdata,"",@progbits
; Kernel info:
; codeLenInByte = 0
; TotalNumSgprs: 4
; NumVgprs: 0
; ScratchSize: 0
; MemoryBound: 0
; FloatMode: 240
; IeeeMode: 1
; LDSByteSize: 0 bytes/workgroup (compile time only)
; SGPRBlocks: 0
; VGPRBlocks: 0
; NumSGPRsForWavesPerEU: 4
; NumVGPRsForWavesPerEU: 1
; Occupancy: 10
; WaveLimiterHint : 0
; COMPUTE_PGM_RSRC2:SCRATCH_EN: 0
; COMPUTE_PGM_RSRC2:USER_SGPR: 6
; COMPUTE_PGM_RSRC2:TRAP_HANDLER: 0
; COMPUTE_PGM_RSRC2:TGID_X_EN: 1
; COMPUTE_PGM_RSRC2:TGID_Y_EN: 0
; COMPUTE_PGM_RSRC2:TGID_Z_EN: 0
; COMPUTE_PGM_RSRC2:TIDIG_COMP_CNT: 0
	.section	.text._ZN7rocprim17ROCPRIM_400000_NS6detail17trampoline_kernelINS0_14default_configENS1_35radix_sort_onesweep_config_selectorIdlEEZZNS1_29radix_sort_onesweep_iterationIS3_Lb0EPdS7_N6thrust23THRUST_200600_302600_NS10device_ptrIlEESB_jNS0_19identity_decomposerENS1_16block_id_wrapperIjLb0EEEEE10hipError_tT1_PNSt15iterator_traitsISG_E10value_typeET2_T3_PNSH_ISM_E10value_typeET4_T5_PSR_SS_PNS1_23onesweep_lookback_stateEbbT6_jjT7_P12ihipStream_tbENKUlT_T0_SG_SL_E_clIS7_S7_SB_PlEEDaSZ_S10_SG_SL_EUlSZ_E_NS1_11comp_targetILNS1_3genE5ELNS1_11target_archE942ELNS1_3gpuE9ELNS1_3repE0EEENS1_47radix_sort_onesweep_sort_config_static_selectorELNS0_4arch9wavefront6targetE1EEEvSG_,"axG",@progbits,_ZN7rocprim17ROCPRIM_400000_NS6detail17trampoline_kernelINS0_14default_configENS1_35radix_sort_onesweep_config_selectorIdlEEZZNS1_29radix_sort_onesweep_iterationIS3_Lb0EPdS7_N6thrust23THRUST_200600_302600_NS10device_ptrIlEESB_jNS0_19identity_decomposerENS1_16block_id_wrapperIjLb0EEEEE10hipError_tT1_PNSt15iterator_traitsISG_E10value_typeET2_T3_PNSH_ISM_E10value_typeET4_T5_PSR_SS_PNS1_23onesweep_lookback_stateEbbT6_jjT7_P12ihipStream_tbENKUlT_T0_SG_SL_E_clIS7_S7_SB_PlEEDaSZ_S10_SG_SL_EUlSZ_E_NS1_11comp_targetILNS1_3genE5ELNS1_11target_archE942ELNS1_3gpuE9ELNS1_3repE0EEENS1_47radix_sort_onesweep_sort_config_static_selectorELNS0_4arch9wavefront6targetE1EEEvSG_,comdat
	.protected	_ZN7rocprim17ROCPRIM_400000_NS6detail17trampoline_kernelINS0_14default_configENS1_35radix_sort_onesweep_config_selectorIdlEEZZNS1_29radix_sort_onesweep_iterationIS3_Lb0EPdS7_N6thrust23THRUST_200600_302600_NS10device_ptrIlEESB_jNS0_19identity_decomposerENS1_16block_id_wrapperIjLb0EEEEE10hipError_tT1_PNSt15iterator_traitsISG_E10value_typeET2_T3_PNSH_ISM_E10value_typeET4_T5_PSR_SS_PNS1_23onesweep_lookback_stateEbbT6_jjT7_P12ihipStream_tbENKUlT_T0_SG_SL_E_clIS7_S7_SB_PlEEDaSZ_S10_SG_SL_EUlSZ_E_NS1_11comp_targetILNS1_3genE5ELNS1_11target_archE942ELNS1_3gpuE9ELNS1_3repE0EEENS1_47radix_sort_onesweep_sort_config_static_selectorELNS0_4arch9wavefront6targetE1EEEvSG_ ; -- Begin function _ZN7rocprim17ROCPRIM_400000_NS6detail17trampoline_kernelINS0_14default_configENS1_35radix_sort_onesweep_config_selectorIdlEEZZNS1_29radix_sort_onesweep_iterationIS3_Lb0EPdS7_N6thrust23THRUST_200600_302600_NS10device_ptrIlEESB_jNS0_19identity_decomposerENS1_16block_id_wrapperIjLb0EEEEE10hipError_tT1_PNSt15iterator_traitsISG_E10value_typeET2_T3_PNSH_ISM_E10value_typeET4_T5_PSR_SS_PNS1_23onesweep_lookback_stateEbbT6_jjT7_P12ihipStream_tbENKUlT_T0_SG_SL_E_clIS7_S7_SB_PlEEDaSZ_S10_SG_SL_EUlSZ_E_NS1_11comp_targetILNS1_3genE5ELNS1_11target_archE942ELNS1_3gpuE9ELNS1_3repE0EEENS1_47radix_sort_onesweep_sort_config_static_selectorELNS0_4arch9wavefront6targetE1EEEvSG_
	.globl	_ZN7rocprim17ROCPRIM_400000_NS6detail17trampoline_kernelINS0_14default_configENS1_35radix_sort_onesweep_config_selectorIdlEEZZNS1_29radix_sort_onesweep_iterationIS3_Lb0EPdS7_N6thrust23THRUST_200600_302600_NS10device_ptrIlEESB_jNS0_19identity_decomposerENS1_16block_id_wrapperIjLb0EEEEE10hipError_tT1_PNSt15iterator_traitsISG_E10value_typeET2_T3_PNSH_ISM_E10value_typeET4_T5_PSR_SS_PNS1_23onesweep_lookback_stateEbbT6_jjT7_P12ihipStream_tbENKUlT_T0_SG_SL_E_clIS7_S7_SB_PlEEDaSZ_S10_SG_SL_EUlSZ_E_NS1_11comp_targetILNS1_3genE5ELNS1_11target_archE942ELNS1_3gpuE9ELNS1_3repE0EEENS1_47radix_sort_onesweep_sort_config_static_selectorELNS0_4arch9wavefront6targetE1EEEvSG_
	.p2align	8
	.type	_ZN7rocprim17ROCPRIM_400000_NS6detail17trampoline_kernelINS0_14default_configENS1_35radix_sort_onesweep_config_selectorIdlEEZZNS1_29radix_sort_onesweep_iterationIS3_Lb0EPdS7_N6thrust23THRUST_200600_302600_NS10device_ptrIlEESB_jNS0_19identity_decomposerENS1_16block_id_wrapperIjLb0EEEEE10hipError_tT1_PNSt15iterator_traitsISG_E10value_typeET2_T3_PNSH_ISM_E10value_typeET4_T5_PSR_SS_PNS1_23onesweep_lookback_stateEbbT6_jjT7_P12ihipStream_tbENKUlT_T0_SG_SL_E_clIS7_S7_SB_PlEEDaSZ_S10_SG_SL_EUlSZ_E_NS1_11comp_targetILNS1_3genE5ELNS1_11target_archE942ELNS1_3gpuE9ELNS1_3repE0EEENS1_47radix_sort_onesweep_sort_config_static_selectorELNS0_4arch9wavefront6targetE1EEEvSG_,@function
_ZN7rocprim17ROCPRIM_400000_NS6detail17trampoline_kernelINS0_14default_configENS1_35radix_sort_onesweep_config_selectorIdlEEZZNS1_29radix_sort_onesweep_iterationIS3_Lb0EPdS7_N6thrust23THRUST_200600_302600_NS10device_ptrIlEESB_jNS0_19identity_decomposerENS1_16block_id_wrapperIjLb0EEEEE10hipError_tT1_PNSt15iterator_traitsISG_E10value_typeET2_T3_PNSH_ISM_E10value_typeET4_T5_PSR_SS_PNS1_23onesweep_lookback_stateEbbT6_jjT7_P12ihipStream_tbENKUlT_T0_SG_SL_E_clIS7_S7_SB_PlEEDaSZ_S10_SG_SL_EUlSZ_E_NS1_11comp_targetILNS1_3genE5ELNS1_11target_archE942ELNS1_3gpuE9ELNS1_3repE0EEENS1_47radix_sort_onesweep_sort_config_static_selectorELNS0_4arch9wavefront6targetE1EEEvSG_: ; @_ZN7rocprim17ROCPRIM_400000_NS6detail17trampoline_kernelINS0_14default_configENS1_35radix_sort_onesweep_config_selectorIdlEEZZNS1_29radix_sort_onesweep_iterationIS3_Lb0EPdS7_N6thrust23THRUST_200600_302600_NS10device_ptrIlEESB_jNS0_19identity_decomposerENS1_16block_id_wrapperIjLb0EEEEE10hipError_tT1_PNSt15iterator_traitsISG_E10value_typeET2_T3_PNSH_ISM_E10value_typeET4_T5_PSR_SS_PNS1_23onesweep_lookback_stateEbbT6_jjT7_P12ihipStream_tbENKUlT_T0_SG_SL_E_clIS7_S7_SB_PlEEDaSZ_S10_SG_SL_EUlSZ_E_NS1_11comp_targetILNS1_3genE5ELNS1_11target_archE942ELNS1_3gpuE9ELNS1_3repE0EEENS1_47radix_sort_onesweep_sort_config_static_selectorELNS0_4arch9wavefront6targetE1EEEvSG_
; %bb.0:
	.section	.rodata,"a",@progbits
	.p2align	6, 0x0
	.amdhsa_kernel _ZN7rocprim17ROCPRIM_400000_NS6detail17trampoline_kernelINS0_14default_configENS1_35radix_sort_onesweep_config_selectorIdlEEZZNS1_29radix_sort_onesweep_iterationIS3_Lb0EPdS7_N6thrust23THRUST_200600_302600_NS10device_ptrIlEESB_jNS0_19identity_decomposerENS1_16block_id_wrapperIjLb0EEEEE10hipError_tT1_PNSt15iterator_traitsISG_E10value_typeET2_T3_PNSH_ISM_E10value_typeET4_T5_PSR_SS_PNS1_23onesweep_lookback_stateEbbT6_jjT7_P12ihipStream_tbENKUlT_T0_SG_SL_E_clIS7_S7_SB_PlEEDaSZ_S10_SG_SL_EUlSZ_E_NS1_11comp_targetILNS1_3genE5ELNS1_11target_archE942ELNS1_3gpuE9ELNS1_3repE0EEENS1_47radix_sort_onesweep_sort_config_static_selectorELNS0_4arch9wavefront6targetE1EEEvSG_
		.amdhsa_group_segment_fixed_size 0
		.amdhsa_private_segment_fixed_size 0
		.amdhsa_kernarg_size 88
		.amdhsa_user_sgpr_count 6
		.amdhsa_user_sgpr_private_segment_buffer 1
		.amdhsa_user_sgpr_dispatch_ptr 0
		.amdhsa_user_sgpr_queue_ptr 0
		.amdhsa_user_sgpr_kernarg_segment_ptr 1
		.amdhsa_user_sgpr_dispatch_id 0
		.amdhsa_user_sgpr_flat_scratch_init 0
		.amdhsa_user_sgpr_private_segment_size 0
		.amdhsa_uses_dynamic_stack 0
		.amdhsa_system_sgpr_private_segment_wavefront_offset 0
		.amdhsa_system_sgpr_workgroup_id_x 1
		.amdhsa_system_sgpr_workgroup_id_y 0
		.amdhsa_system_sgpr_workgroup_id_z 0
		.amdhsa_system_sgpr_workgroup_info 0
		.amdhsa_system_vgpr_workitem_id 0
		.amdhsa_next_free_vgpr 1
		.amdhsa_next_free_sgpr 0
		.amdhsa_reserve_vcc 0
		.amdhsa_reserve_flat_scratch 0
		.amdhsa_float_round_mode_32 0
		.amdhsa_float_round_mode_16_64 0
		.amdhsa_float_denorm_mode_32 3
		.amdhsa_float_denorm_mode_16_64 3
		.amdhsa_dx10_clamp 1
		.amdhsa_ieee_mode 1
		.amdhsa_fp16_overflow 0
		.amdhsa_exception_fp_ieee_invalid_op 0
		.amdhsa_exception_fp_denorm_src 0
		.amdhsa_exception_fp_ieee_div_zero 0
		.amdhsa_exception_fp_ieee_overflow 0
		.amdhsa_exception_fp_ieee_underflow 0
		.amdhsa_exception_fp_ieee_inexact 0
		.amdhsa_exception_int_div_zero 0
	.end_amdhsa_kernel
	.section	.text._ZN7rocprim17ROCPRIM_400000_NS6detail17trampoline_kernelINS0_14default_configENS1_35radix_sort_onesweep_config_selectorIdlEEZZNS1_29radix_sort_onesweep_iterationIS3_Lb0EPdS7_N6thrust23THRUST_200600_302600_NS10device_ptrIlEESB_jNS0_19identity_decomposerENS1_16block_id_wrapperIjLb0EEEEE10hipError_tT1_PNSt15iterator_traitsISG_E10value_typeET2_T3_PNSH_ISM_E10value_typeET4_T5_PSR_SS_PNS1_23onesweep_lookback_stateEbbT6_jjT7_P12ihipStream_tbENKUlT_T0_SG_SL_E_clIS7_S7_SB_PlEEDaSZ_S10_SG_SL_EUlSZ_E_NS1_11comp_targetILNS1_3genE5ELNS1_11target_archE942ELNS1_3gpuE9ELNS1_3repE0EEENS1_47radix_sort_onesweep_sort_config_static_selectorELNS0_4arch9wavefront6targetE1EEEvSG_,"axG",@progbits,_ZN7rocprim17ROCPRIM_400000_NS6detail17trampoline_kernelINS0_14default_configENS1_35radix_sort_onesweep_config_selectorIdlEEZZNS1_29radix_sort_onesweep_iterationIS3_Lb0EPdS7_N6thrust23THRUST_200600_302600_NS10device_ptrIlEESB_jNS0_19identity_decomposerENS1_16block_id_wrapperIjLb0EEEEE10hipError_tT1_PNSt15iterator_traitsISG_E10value_typeET2_T3_PNSH_ISM_E10value_typeET4_T5_PSR_SS_PNS1_23onesweep_lookback_stateEbbT6_jjT7_P12ihipStream_tbENKUlT_T0_SG_SL_E_clIS7_S7_SB_PlEEDaSZ_S10_SG_SL_EUlSZ_E_NS1_11comp_targetILNS1_3genE5ELNS1_11target_archE942ELNS1_3gpuE9ELNS1_3repE0EEENS1_47radix_sort_onesweep_sort_config_static_selectorELNS0_4arch9wavefront6targetE1EEEvSG_,comdat
.Lfunc_end1654:
	.size	_ZN7rocprim17ROCPRIM_400000_NS6detail17trampoline_kernelINS0_14default_configENS1_35radix_sort_onesweep_config_selectorIdlEEZZNS1_29radix_sort_onesweep_iterationIS3_Lb0EPdS7_N6thrust23THRUST_200600_302600_NS10device_ptrIlEESB_jNS0_19identity_decomposerENS1_16block_id_wrapperIjLb0EEEEE10hipError_tT1_PNSt15iterator_traitsISG_E10value_typeET2_T3_PNSH_ISM_E10value_typeET4_T5_PSR_SS_PNS1_23onesweep_lookback_stateEbbT6_jjT7_P12ihipStream_tbENKUlT_T0_SG_SL_E_clIS7_S7_SB_PlEEDaSZ_S10_SG_SL_EUlSZ_E_NS1_11comp_targetILNS1_3genE5ELNS1_11target_archE942ELNS1_3gpuE9ELNS1_3repE0EEENS1_47radix_sort_onesweep_sort_config_static_selectorELNS0_4arch9wavefront6targetE1EEEvSG_, .Lfunc_end1654-_ZN7rocprim17ROCPRIM_400000_NS6detail17trampoline_kernelINS0_14default_configENS1_35radix_sort_onesweep_config_selectorIdlEEZZNS1_29radix_sort_onesweep_iterationIS3_Lb0EPdS7_N6thrust23THRUST_200600_302600_NS10device_ptrIlEESB_jNS0_19identity_decomposerENS1_16block_id_wrapperIjLb0EEEEE10hipError_tT1_PNSt15iterator_traitsISG_E10value_typeET2_T3_PNSH_ISM_E10value_typeET4_T5_PSR_SS_PNS1_23onesweep_lookback_stateEbbT6_jjT7_P12ihipStream_tbENKUlT_T0_SG_SL_E_clIS7_S7_SB_PlEEDaSZ_S10_SG_SL_EUlSZ_E_NS1_11comp_targetILNS1_3genE5ELNS1_11target_archE942ELNS1_3gpuE9ELNS1_3repE0EEENS1_47radix_sort_onesweep_sort_config_static_selectorELNS0_4arch9wavefront6targetE1EEEvSG_
                                        ; -- End function
	.set _ZN7rocprim17ROCPRIM_400000_NS6detail17trampoline_kernelINS0_14default_configENS1_35radix_sort_onesweep_config_selectorIdlEEZZNS1_29radix_sort_onesweep_iterationIS3_Lb0EPdS7_N6thrust23THRUST_200600_302600_NS10device_ptrIlEESB_jNS0_19identity_decomposerENS1_16block_id_wrapperIjLb0EEEEE10hipError_tT1_PNSt15iterator_traitsISG_E10value_typeET2_T3_PNSH_ISM_E10value_typeET4_T5_PSR_SS_PNS1_23onesweep_lookback_stateEbbT6_jjT7_P12ihipStream_tbENKUlT_T0_SG_SL_E_clIS7_S7_SB_PlEEDaSZ_S10_SG_SL_EUlSZ_E_NS1_11comp_targetILNS1_3genE5ELNS1_11target_archE942ELNS1_3gpuE9ELNS1_3repE0EEENS1_47radix_sort_onesweep_sort_config_static_selectorELNS0_4arch9wavefront6targetE1EEEvSG_.num_vgpr, 0
	.set _ZN7rocprim17ROCPRIM_400000_NS6detail17trampoline_kernelINS0_14default_configENS1_35radix_sort_onesweep_config_selectorIdlEEZZNS1_29radix_sort_onesweep_iterationIS3_Lb0EPdS7_N6thrust23THRUST_200600_302600_NS10device_ptrIlEESB_jNS0_19identity_decomposerENS1_16block_id_wrapperIjLb0EEEEE10hipError_tT1_PNSt15iterator_traitsISG_E10value_typeET2_T3_PNSH_ISM_E10value_typeET4_T5_PSR_SS_PNS1_23onesweep_lookback_stateEbbT6_jjT7_P12ihipStream_tbENKUlT_T0_SG_SL_E_clIS7_S7_SB_PlEEDaSZ_S10_SG_SL_EUlSZ_E_NS1_11comp_targetILNS1_3genE5ELNS1_11target_archE942ELNS1_3gpuE9ELNS1_3repE0EEENS1_47radix_sort_onesweep_sort_config_static_selectorELNS0_4arch9wavefront6targetE1EEEvSG_.num_agpr, 0
	.set _ZN7rocprim17ROCPRIM_400000_NS6detail17trampoline_kernelINS0_14default_configENS1_35radix_sort_onesweep_config_selectorIdlEEZZNS1_29radix_sort_onesweep_iterationIS3_Lb0EPdS7_N6thrust23THRUST_200600_302600_NS10device_ptrIlEESB_jNS0_19identity_decomposerENS1_16block_id_wrapperIjLb0EEEEE10hipError_tT1_PNSt15iterator_traitsISG_E10value_typeET2_T3_PNSH_ISM_E10value_typeET4_T5_PSR_SS_PNS1_23onesweep_lookback_stateEbbT6_jjT7_P12ihipStream_tbENKUlT_T0_SG_SL_E_clIS7_S7_SB_PlEEDaSZ_S10_SG_SL_EUlSZ_E_NS1_11comp_targetILNS1_3genE5ELNS1_11target_archE942ELNS1_3gpuE9ELNS1_3repE0EEENS1_47radix_sort_onesweep_sort_config_static_selectorELNS0_4arch9wavefront6targetE1EEEvSG_.numbered_sgpr, 0
	.set _ZN7rocprim17ROCPRIM_400000_NS6detail17trampoline_kernelINS0_14default_configENS1_35radix_sort_onesweep_config_selectorIdlEEZZNS1_29radix_sort_onesweep_iterationIS3_Lb0EPdS7_N6thrust23THRUST_200600_302600_NS10device_ptrIlEESB_jNS0_19identity_decomposerENS1_16block_id_wrapperIjLb0EEEEE10hipError_tT1_PNSt15iterator_traitsISG_E10value_typeET2_T3_PNSH_ISM_E10value_typeET4_T5_PSR_SS_PNS1_23onesweep_lookback_stateEbbT6_jjT7_P12ihipStream_tbENKUlT_T0_SG_SL_E_clIS7_S7_SB_PlEEDaSZ_S10_SG_SL_EUlSZ_E_NS1_11comp_targetILNS1_3genE5ELNS1_11target_archE942ELNS1_3gpuE9ELNS1_3repE0EEENS1_47radix_sort_onesweep_sort_config_static_selectorELNS0_4arch9wavefront6targetE1EEEvSG_.num_named_barrier, 0
	.set _ZN7rocprim17ROCPRIM_400000_NS6detail17trampoline_kernelINS0_14default_configENS1_35radix_sort_onesweep_config_selectorIdlEEZZNS1_29radix_sort_onesweep_iterationIS3_Lb0EPdS7_N6thrust23THRUST_200600_302600_NS10device_ptrIlEESB_jNS0_19identity_decomposerENS1_16block_id_wrapperIjLb0EEEEE10hipError_tT1_PNSt15iterator_traitsISG_E10value_typeET2_T3_PNSH_ISM_E10value_typeET4_T5_PSR_SS_PNS1_23onesweep_lookback_stateEbbT6_jjT7_P12ihipStream_tbENKUlT_T0_SG_SL_E_clIS7_S7_SB_PlEEDaSZ_S10_SG_SL_EUlSZ_E_NS1_11comp_targetILNS1_3genE5ELNS1_11target_archE942ELNS1_3gpuE9ELNS1_3repE0EEENS1_47radix_sort_onesweep_sort_config_static_selectorELNS0_4arch9wavefront6targetE1EEEvSG_.private_seg_size, 0
	.set _ZN7rocprim17ROCPRIM_400000_NS6detail17trampoline_kernelINS0_14default_configENS1_35radix_sort_onesweep_config_selectorIdlEEZZNS1_29radix_sort_onesweep_iterationIS3_Lb0EPdS7_N6thrust23THRUST_200600_302600_NS10device_ptrIlEESB_jNS0_19identity_decomposerENS1_16block_id_wrapperIjLb0EEEEE10hipError_tT1_PNSt15iterator_traitsISG_E10value_typeET2_T3_PNSH_ISM_E10value_typeET4_T5_PSR_SS_PNS1_23onesweep_lookback_stateEbbT6_jjT7_P12ihipStream_tbENKUlT_T0_SG_SL_E_clIS7_S7_SB_PlEEDaSZ_S10_SG_SL_EUlSZ_E_NS1_11comp_targetILNS1_3genE5ELNS1_11target_archE942ELNS1_3gpuE9ELNS1_3repE0EEENS1_47radix_sort_onesweep_sort_config_static_selectorELNS0_4arch9wavefront6targetE1EEEvSG_.uses_vcc, 0
	.set _ZN7rocprim17ROCPRIM_400000_NS6detail17trampoline_kernelINS0_14default_configENS1_35radix_sort_onesweep_config_selectorIdlEEZZNS1_29radix_sort_onesweep_iterationIS3_Lb0EPdS7_N6thrust23THRUST_200600_302600_NS10device_ptrIlEESB_jNS0_19identity_decomposerENS1_16block_id_wrapperIjLb0EEEEE10hipError_tT1_PNSt15iterator_traitsISG_E10value_typeET2_T3_PNSH_ISM_E10value_typeET4_T5_PSR_SS_PNS1_23onesweep_lookback_stateEbbT6_jjT7_P12ihipStream_tbENKUlT_T0_SG_SL_E_clIS7_S7_SB_PlEEDaSZ_S10_SG_SL_EUlSZ_E_NS1_11comp_targetILNS1_3genE5ELNS1_11target_archE942ELNS1_3gpuE9ELNS1_3repE0EEENS1_47radix_sort_onesweep_sort_config_static_selectorELNS0_4arch9wavefront6targetE1EEEvSG_.uses_flat_scratch, 0
	.set _ZN7rocprim17ROCPRIM_400000_NS6detail17trampoline_kernelINS0_14default_configENS1_35radix_sort_onesweep_config_selectorIdlEEZZNS1_29radix_sort_onesweep_iterationIS3_Lb0EPdS7_N6thrust23THRUST_200600_302600_NS10device_ptrIlEESB_jNS0_19identity_decomposerENS1_16block_id_wrapperIjLb0EEEEE10hipError_tT1_PNSt15iterator_traitsISG_E10value_typeET2_T3_PNSH_ISM_E10value_typeET4_T5_PSR_SS_PNS1_23onesweep_lookback_stateEbbT6_jjT7_P12ihipStream_tbENKUlT_T0_SG_SL_E_clIS7_S7_SB_PlEEDaSZ_S10_SG_SL_EUlSZ_E_NS1_11comp_targetILNS1_3genE5ELNS1_11target_archE942ELNS1_3gpuE9ELNS1_3repE0EEENS1_47radix_sort_onesweep_sort_config_static_selectorELNS0_4arch9wavefront6targetE1EEEvSG_.has_dyn_sized_stack, 0
	.set _ZN7rocprim17ROCPRIM_400000_NS6detail17trampoline_kernelINS0_14default_configENS1_35radix_sort_onesweep_config_selectorIdlEEZZNS1_29radix_sort_onesweep_iterationIS3_Lb0EPdS7_N6thrust23THRUST_200600_302600_NS10device_ptrIlEESB_jNS0_19identity_decomposerENS1_16block_id_wrapperIjLb0EEEEE10hipError_tT1_PNSt15iterator_traitsISG_E10value_typeET2_T3_PNSH_ISM_E10value_typeET4_T5_PSR_SS_PNS1_23onesweep_lookback_stateEbbT6_jjT7_P12ihipStream_tbENKUlT_T0_SG_SL_E_clIS7_S7_SB_PlEEDaSZ_S10_SG_SL_EUlSZ_E_NS1_11comp_targetILNS1_3genE5ELNS1_11target_archE942ELNS1_3gpuE9ELNS1_3repE0EEENS1_47radix_sort_onesweep_sort_config_static_selectorELNS0_4arch9wavefront6targetE1EEEvSG_.has_recursion, 0
	.set _ZN7rocprim17ROCPRIM_400000_NS6detail17trampoline_kernelINS0_14default_configENS1_35radix_sort_onesweep_config_selectorIdlEEZZNS1_29radix_sort_onesweep_iterationIS3_Lb0EPdS7_N6thrust23THRUST_200600_302600_NS10device_ptrIlEESB_jNS0_19identity_decomposerENS1_16block_id_wrapperIjLb0EEEEE10hipError_tT1_PNSt15iterator_traitsISG_E10value_typeET2_T3_PNSH_ISM_E10value_typeET4_T5_PSR_SS_PNS1_23onesweep_lookback_stateEbbT6_jjT7_P12ihipStream_tbENKUlT_T0_SG_SL_E_clIS7_S7_SB_PlEEDaSZ_S10_SG_SL_EUlSZ_E_NS1_11comp_targetILNS1_3genE5ELNS1_11target_archE942ELNS1_3gpuE9ELNS1_3repE0EEENS1_47radix_sort_onesweep_sort_config_static_selectorELNS0_4arch9wavefront6targetE1EEEvSG_.has_indirect_call, 0
	.section	.AMDGPU.csdata,"",@progbits
; Kernel info:
; codeLenInByte = 0
; TotalNumSgprs: 4
; NumVgprs: 0
; ScratchSize: 0
; MemoryBound: 0
; FloatMode: 240
; IeeeMode: 1
; LDSByteSize: 0 bytes/workgroup (compile time only)
; SGPRBlocks: 0
; VGPRBlocks: 0
; NumSGPRsForWavesPerEU: 4
; NumVGPRsForWavesPerEU: 1
; Occupancy: 10
; WaveLimiterHint : 0
; COMPUTE_PGM_RSRC2:SCRATCH_EN: 0
; COMPUTE_PGM_RSRC2:USER_SGPR: 6
; COMPUTE_PGM_RSRC2:TRAP_HANDLER: 0
; COMPUTE_PGM_RSRC2:TGID_X_EN: 1
; COMPUTE_PGM_RSRC2:TGID_Y_EN: 0
; COMPUTE_PGM_RSRC2:TGID_Z_EN: 0
; COMPUTE_PGM_RSRC2:TIDIG_COMP_CNT: 0
	.section	.text._ZN7rocprim17ROCPRIM_400000_NS6detail17trampoline_kernelINS0_14default_configENS1_35radix_sort_onesweep_config_selectorIdlEEZZNS1_29radix_sort_onesweep_iterationIS3_Lb0EPdS7_N6thrust23THRUST_200600_302600_NS10device_ptrIlEESB_jNS0_19identity_decomposerENS1_16block_id_wrapperIjLb0EEEEE10hipError_tT1_PNSt15iterator_traitsISG_E10value_typeET2_T3_PNSH_ISM_E10value_typeET4_T5_PSR_SS_PNS1_23onesweep_lookback_stateEbbT6_jjT7_P12ihipStream_tbENKUlT_T0_SG_SL_E_clIS7_S7_SB_PlEEDaSZ_S10_SG_SL_EUlSZ_E_NS1_11comp_targetILNS1_3genE2ELNS1_11target_archE906ELNS1_3gpuE6ELNS1_3repE0EEENS1_47radix_sort_onesweep_sort_config_static_selectorELNS0_4arch9wavefront6targetE1EEEvSG_,"axG",@progbits,_ZN7rocprim17ROCPRIM_400000_NS6detail17trampoline_kernelINS0_14default_configENS1_35radix_sort_onesweep_config_selectorIdlEEZZNS1_29radix_sort_onesweep_iterationIS3_Lb0EPdS7_N6thrust23THRUST_200600_302600_NS10device_ptrIlEESB_jNS0_19identity_decomposerENS1_16block_id_wrapperIjLb0EEEEE10hipError_tT1_PNSt15iterator_traitsISG_E10value_typeET2_T3_PNSH_ISM_E10value_typeET4_T5_PSR_SS_PNS1_23onesweep_lookback_stateEbbT6_jjT7_P12ihipStream_tbENKUlT_T0_SG_SL_E_clIS7_S7_SB_PlEEDaSZ_S10_SG_SL_EUlSZ_E_NS1_11comp_targetILNS1_3genE2ELNS1_11target_archE906ELNS1_3gpuE6ELNS1_3repE0EEENS1_47radix_sort_onesweep_sort_config_static_selectorELNS0_4arch9wavefront6targetE1EEEvSG_,comdat
	.protected	_ZN7rocprim17ROCPRIM_400000_NS6detail17trampoline_kernelINS0_14default_configENS1_35radix_sort_onesweep_config_selectorIdlEEZZNS1_29radix_sort_onesweep_iterationIS3_Lb0EPdS7_N6thrust23THRUST_200600_302600_NS10device_ptrIlEESB_jNS0_19identity_decomposerENS1_16block_id_wrapperIjLb0EEEEE10hipError_tT1_PNSt15iterator_traitsISG_E10value_typeET2_T3_PNSH_ISM_E10value_typeET4_T5_PSR_SS_PNS1_23onesweep_lookback_stateEbbT6_jjT7_P12ihipStream_tbENKUlT_T0_SG_SL_E_clIS7_S7_SB_PlEEDaSZ_S10_SG_SL_EUlSZ_E_NS1_11comp_targetILNS1_3genE2ELNS1_11target_archE906ELNS1_3gpuE6ELNS1_3repE0EEENS1_47radix_sort_onesweep_sort_config_static_selectorELNS0_4arch9wavefront6targetE1EEEvSG_ ; -- Begin function _ZN7rocprim17ROCPRIM_400000_NS6detail17trampoline_kernelINS0_14default_configENS1_35radix_sort_onesweep_config_selectorIdlEEZZNS1_29radix_sort_onesweep_iterationIS3_Lb0EPdS7_N6thrust23THRUST_200600_302600_NS10device_ptrIlEESB_jNS0_19identity_decomposerENS1_16block_id_wrapperIjLb0EEEEE10hipError_tT1_PNSt15iterator_traitsISG_E10value_typeET2_T3_PNSH_ISM_E10value_typeET4_T5_PSR_SS_PNS1_23onesweep_lookback_stateEbbT6_jjT7_P12ihipStream_tbENKUlT_T0_SG_SL_E_clIS7_S7_SB_PlEEDaSZ_S10_SG_SL_EUlSZ_E_NS1_11comp_targetILNS1_3genE2ELNS1_11target_archE906ELNS1_3gpuE6ELNS1_3repE0EEENS1_47radix_sort_onesweep_sort_config_static_selectorELNS0_4arch9wavefront6targetE1EEEvSG_
	.globl	_ZN7rocprim17ROCPRIM_400000_NS6detail17trampoline_kernelINS0_14default_configENS1_35radix_sort_onesweep_config_selectorIdlEEZZNS1_29radix_sort_onesweep_iterationIS3_Lb0EPdS7_N6thrust23THRUST_200600_302600_NS10device_ptrIlEESB_jNS0_19identity_decomposerENS1_16block_id_wrapperIjLb0EEEEE10hipError_tT1_PNSt15iterator_traitsISG_E10value_typeET2_T3_PNSH_ISM_E10value_typeET4_T5_PSR_SS_PNS1_23onesweep_lookback_stateEbbT6_jjT7_P12ihipStream_tbENKUlT_T0_SG_SL_E_clIS7_S7_SB_PlEEDaSZ_S10_SG_SL_EUlSZ_E_NS1_11comp_targetILNS1_3genE2ELNS1_11target_archE906ELNS1_3gpuE6ELNS1_3repE0EEENS1_47radix_sort_onesweep_sort_config_static_selectorELNS0_4arch9wavefront6targetE1EEEvSG_
	.p2align	8
	.type	_ZN7rocprim17ROCPRIM_400000_NS6detail17trampoline_kernelINS0_14default_configENS1_35radix_sort_onesweep_config_selectorIdlEEZZNS1_29radix_sort_onesweep_iterationIS3_Lb0EPdS7_N6thrust23THRUST_200600_302600_NS10device_ptrIlEESB_jNS0_19identity_decomposerENS1_16block_id_wrapperIjLb0EEEEE10hipError_tT1_PNSt15iterator_traitsISG_E10value_typeET2_T3_PNSH_ISM_E10value_typeET4_T5_PSR_SS_PNS1_23onesweep_lookback_stateEbbT6_jjT7_P12ihipStream_tbENKUlT_T0_SG_SL_E_clIS7_S7_SB_PlEEDaSZ_S10_SG_SL_EUlSZ_E_NS1_11comp_targetILNS1_3genE2ELNS1_11target_archE906ELNS1_3gpuE6ELNS1_3repE0EEENS1_47radix_sort_onesweep_sort_config_static_selectorELNS0_4arch9wavefront6targetE1EEEvSG_,@function
_ZN7rocprim17ROCPRIM_400000_NS6detail17trampoline_kernelINS0_14default_configENS1_35radix_sort_onesweep_config_selectorIdlEEZZNS1_29radix_sort_onesweep_iterationIS3_Lb0EPdS7_N6thrust23THRUST_200600_302600_NS10device_ptrIlEESB_jNS0_19identity_decomposerENS1_16block_id_wrapperIjLb0EEEEE10hipError_tT1_PNSt15iterator_traitsISG_E10value_typeET2_T3_PNSH_ISM_E10value_typeET4_T5_PSR_SS_PNS1_23onesweep_lookback_stateEbbT6_jjT7_P12ihipStream_tbENKUlT_T0_SG_SL_E_clIS7_S7_SB_PlEEDaSZ_S10_SG_SL_EUlSZ_E_NS1_11comp_targetILNS1_3genE2ELNS1_11target_archE906ELNS1_3gpuE6ELNS1_3repE0EEENS1_47radix_sort_onesweep_sort_config_static_selectorELNS0_4arch9wavefront6targetE1EEEvSG_: ; @_ZN7rocprim17ROCPRIM_400000_NS6detail17trampoline_kernelINS0_14default_configENS1_35radix_sort_onesweep_config_selectorIdlEEZZNS1_29radix_sort_onesweep_iterationIS3_Lb0EPdS7_N6thrust23THRUST_200600_302600_NS10device_ptrIlEESB_jNS0_19identity_decomposerENS1_16block_id_wrapperIjLb0EEEEE10hipError_tT1_PNSt15iterator_traitsISG_E10value_typeET2_T3_PNSH_ISM_E10value_typeET4_T5_PSR_SS_PNS1_23onesweep_lookback_stateEbbT6_jjT7_P12ihipStream_tbENKUlT_T0_SG_SL_E_clIS7_S7_SB_PlEEDaSZ_S10_SG_SL_EUlSZ_E_NS1_11comp_targetILNS1_3genE2ELNS1_11target_archE906ELNS1_3gpuE6ELNS1_3repE0EEENS1_47radix_sort_onesweep_sort_config_static_selectorELNS0_4arch9wavefront6targetE1EEEvSG_
; %bb.0:
	s_add_u32 s0, s0, s7
	s_load_dwordx4 s[40:43], s[4:5], 0x44
	s_load_dwordx8 s[24:31], s[4:5], 0x0
	s_load_dwordx4 s[36:39], s[4:5], 0x28
	s_load_dwordx2 s[34:35], s[4:5], 0x38
	s_addc_u32 s1, s1, 0
	s_mov_b64 s[8:9], -1
	s_waitcnt lgkmcnt(0)
	s_cmp_ge_u32 s6, s42
	s_mul_i32 s44, s6, 0xc00
	v_mbcnt_lo_u32_b32 v21, -1, 0
	s_cbranch_scc0 .LBB1655_72
; %bb.1:
	s_load_dword s7, s[4:5], 0x20
	s_mul_i32 s8, s42, 0xfffff400
	s_mov_b32 s45, 0
	v_mbcnt_hi_u32_b32 v19, -1, v21
	s_lshl_b64 s[42:43], s[44:45], 3
	s_waitcnt lgkmcnt(0)
	s_add_i32 s7, s7, s8
	s_add_u32 s8, s24, s42
	v_and_b32_e32 v3, 63, v19
	s_addc_u32 s9, s25, s43
	v_and_b32_e32 v20, 0x1c0, v0
	v_lshlrev_b32_e32 v22, 3, v3
	v_mul_u32_u24_e32 v4, 6, v20
	v_mov_b32_e32 v5, s9
	v_add_co_u32_e32 v6, vcc, s8, v22
	v_addc_co_u32_e32 v5, vcc, 0, v5, vcc
	v_lshlrev_b32_e32 v23, 3, v4
	v_add_co_u32_e32 v15, vcc, v6, v23
	v_addc_co_u32_e32 v16, vcc, 0, v5, vcc
	v_mov_b32_e32 v5, -1
	v_or_b32_e32 v17, v3, v4
	v_bfrev_b32_e32 v6, -2
	v_mov_b32_e32 v3, v5
	v_cmp_gt_u32_e32 vcc, s7, v17
	v_mov_b32_e32 v4, v6
	s_and_saveexec_b64 s[8:9], vcc
	s_cbranch_execz .LBB1655_3
; %bb.2:
	global_load_dwordx2 v[3:4], v[15:16], off
.LBB1655_3:
	s_or_b64 exec, exec, s[8:9]
	v_or_b32_e32 v7, 64, v17
	v_cmp_gt_u32_e64 s[20:21], s7, v7
	s_and_saveexec_b64 s[8:9], s[20:21]
	s_cbranch_execz .LBB1655_5
; %bb.4:
	global_load_dwordx2 v[5:6], v[15:16], off offset:512
.LBB1655_5:
	s_or_b64 exec, exec, s[8:9]
	v_add_u32_e32 v7, 0x80, v17
	v_mov_b32_e32 v9, -1
	v_cmp_gt_u32_e64 s[8:9], s7, v7
	v_bfrev_b32_e32 v10, -2
	v_mov_b32_e32 v7, v9
	v_mov_b32_e32 v8, v10
	s_and_saveexec_b64 s[10:11], s[8:9]
	s_cbranch_execz .LBB1655_7
; %bb.6:
	global_load_dwordx2 v[7:8], v[15:16], off offset:1024
.LBB1655_7:
	s_or_b64 exec, exec, s[10:11]
	v_add_u32_e32 v11, 0xc0, v17
	v_cmp_gt_u32_e64 s[10:11], s7, v11
	s_and_saveexec_b64 s[12:13], s[10:11]
	s_cbranch_execz .LBB1655_9
; %bb.8:
	global_load_dwordx2 v[9:10], v[15:16], off offset:1536
.LBB1655_9:
	s_or_b64 exec, exec, s[12:13]
	v_add_u32_e32 v11, 0x100, v17
	v_bfrev_b32_e32 v12, -2
	v_cmp_gt_u32_e64 s[12:13], s7, v11
	v_mov_b32_e32 v11, -1
	v_mov_b32_e32 v14, v12
	v_mov_b32_e32 v13, v11
	s_and_saveexec_b64 s[14:15], s[12:13]
	s_cbranch_execz .LBB1655_11
; %bb.10:
	global_load_dwordx2 v[13:14], v[15:16], off offset:2048
.LBB1655_11:
	s_or_b64 exec, exec, s[14:15]
	v_add_u32_e32 v17, 0x140, v17
	s_mov_b32 s18, -1
	v_cmp_gt_u32_e64 s[14:15], s7, v17
	s_brev_b32 s19, -2
	s_and_saveexec_b64 s[16:17], s[14:15]
	s_cbranch_execz .LBB1655_13
; %bb.12:
	global_load_dwordx2 v[11:12], v[15:16], off offset:2560
.LBB1655_13:
	s_or_b64 exec, exec, s[16:17]
	s_load_dword s16, s[4:5], 0x64
	s_load_dword s33, s[4:5], 0x58
	s_add_u32 s17, s4, 0x58
	s_addc_u32 s22, s5, 0
	v_mov_b32_e32 v15, 0
	s_waitcnt lgkmcnt(0)
	s_lshr_b32 s23, s16, 16
	s_cmp_lt_u32 s6, s33
	s_cselect_b32 s16, 12, 18
	s_add_u32 s16, s17, s16
	s_addc_u32 s17, s22, 0
	global_load_ushort v18, v15, s[16:17]
	s_waitcnt vmcnt(1)
	v_cmp_lt_i64_e64 s[16:17], -1, v[3:4]
	v_bfrev_b32_e32 v26, 1
	v_ashrrev_i32_e32 v16, 31, v4
	v_cndmask_b32_e64 v17, -1, v26, s[16:17]
	v_xor_b32_e32 v3, v16, v3
	v_xor_b32_e32 v4, v17, v4
	v_cmp_ne_u64_e64 s[16:17], s[18:19], v[3:4]
	v_mad_u32_u24 v24, v2, s23, v1
	v_cndmask_b32_e64 v17, v26, v4, s[16:17]
	v_cndmask_b32_e64 v16, 0, v3, s[16:17]
	v_lshrrev_b64 v[16:17], s40, v[16:17]
	s_lshl_b32 s16, -1, s41
	s_not_b32 s45, s16
	v_and_b32_e32 v17, s45, v16
	v_and_b32_e32 v28, 1, v17
	v_add_co_u32_e64 v29, s[16:17], -1, v28
	v_lshlrev_b32_e32 v16, 30, v17
	v_addc_co_u32_e64 v30, s[16:17], 0, -1, s[16:17]
	v_cmp_ne_u32_e64 s[16:17], 0, v28
	v_cmp_gt_i64_e64 s[18:19], 0, v[15:16]
	v_not_b32_e32 v28, v16
	v_lshlrev_b32_e32 v16, 29, v17
	v_xor_b32_e32 v30, s17, v30
	v_xor_b32_e32 v29, s16, v29
	v_ashrrev_i32_e32 v28, 31, v28
	v_cmp_gt_i64_e64 s[16:17], 0, v[15:16]
	v_not_b32_e32 v31, v16
	v_lshlrev_b32_e32 v16, 28, v17
	v_and_b32_e32 v30, exec_hi, v30
	v_and_b32_e32 v29, exec_lo, v29
	v_xor_b32_e32 v32, s19, v28
	v_xor_b32_e32 v28, s18, v28
	v_ashrrev_i32_e32 v31, 31, v31
	v_cmp_gt_i64_e64 s[18:19], 0, v[15:16]
	v_not_b32_e32 v33, v16
	v_lshlrev_b32_e32 v16, 27, v17
	v_and_b32_e32 v30, v30, v32
	v_and_b32_e32 v28, v29, v28
	v_xor_b32_e32 v29, s17, v31
	v_xor_b32_e32 v31, s16, v31
	v_ashrrev_i32_e32 v32, 31, v33
	v_cmp_gt_i64_e64 s[16:17], 0, v[15:16]
	v_not_b32_e32 v33, v16
	v_lshlrev_b32_e32 v16, 26, v17
	v_and_b32_e32 v29, v30, v29
	v_and_b32_e32 v28, v28, v31
	;; [unrolled: 8-line block ×3, first 2 shown]
	v_xor_b32_e32 v30, s17, v32
	v_xor_b32_e32 v31, s16, v32
	v_ashrrev_i32_e32 v32, 31, v33
	v_mul_lo_u32 v27, v17, 36
	v_cmp_gt_i64_e64 s[16:17], 0, v[15:16]
	v_not_b32_e32 v33, v16
	v_lshlrev_b32_e32 v16, 24, v17
	v_and_b32_e32 v17, v29, v30
	v_xor_b32_e32 v29, s19, v32
	v_xor_b32_e32 v30, s18, v32
	v_and_b32_e32 v29, v17, v29
	v_and_b32_e32 v28, v28, v31
	v_ashrrev_i32_e32 v31, 31, v33
	v_and_b32_e32 v28, v28, v30
	v_xor_b32_e32 v30, s17, v31
	v_mul_u32_u24_e32 v25, 20, v0
	ds_write2_b32 v25, v15, v15 offset0:8 offset1:9
	ds_write2_b32 v25, v15, v15 offset0:10 offset1:11
	ds_write_b32 v25, v15 offset:48
	s_waitcnt vmcnt(0) lgkmcnt(0)
	s_barrier
	; wave barrier
	v_mad_u64_u32 v[17:18], s[18:19], v24, v18, v[0:1]
	v_xor_b32_e32 v18, s16, v31
	v_cmp_gt_i64_e64 s[16:17], 0, v[15:16]
	v_not_b32_e32 v16, v16
	v_ashrrev_i32_e32 v16, 31, v16
	v_and_b32_e32 v24, v29, v30
	v_and_b32_e32 v29, v28, v18
	v_lshrrev_b32_e32 v18, 6, v17
	v_xor_b32_e32 v17, s17, v16
	v_xor_b32_e32 v16, s16, v16
	v_and_b32_e32 v16, v29, v16
	v_and_b32_e32 v17, v24, v17
	v_mbcnt_lo_u32_b32 v24, v16, 0
	v_mbcnt_hi_u32_b32 v24, v17, v24
	v_cmp_ne_u64_e64 s[16:17], 0, v[16:17]
	v_cmp_eq_u32_e64 s[18:19], 0, v24
	v_lshl_add_u32 v28, v18, 2, v27
	s_and_b64 s[18:19], s[16:17], s[18:19]
	s_and_saveexec_b64 s[16:17], s[18:19]
; %bb.14:
	v_bcnt_u32_b32 v16, v16, 0
	v_bcnt_u32_b32 v16, v17, v16
	ds_write_b32 v28, v16 offset:32
; %bb.15:
	s_or_b64 exec, exec, s[16:17]
	v_cmp_lt_i64_e64 s[16:17], -1, v[5:6]
	s_mov_b32 s22, -1
	v_cndmask_b32_e64 v16, -1, v26, s[16:17]
	v_ashrrev_i32_e32 v17, 31, v6
	s_brev_b32 s23, -2
	v_xor_b32_e32 v6, v16, v6
	v_xor_b32_e32 v5, v17, v5
	v_cmp_ne_u64_e64 s[16:17], s[22:23], v[5:6]
	v_cndmask_b32_e64 v17, v26, v6, s[16:17]
	v_cndmask_b32_e64 v16, 0, v5, s[16:17]
	v_lshrrev_b64 v[16:17], s40, v[16:17]
	; wave barrier
	v_and_b32_e32 v17, s45, v16
	v_mul_lo_u32 v16, v17, 36
	v_lshl_add_u32 v30, v18, 2, v16
	v_and_b32_e32 v16, 1, v17
	v_add_co_u32_e64 v27, s[16:17], -1, v16
	v_addc_co_u32_e64 v29, s[16:17], 0, -1, s[16:17]
	v_cmp_ne_u32_e64 s[16:17], 0, v16
	v_xor_b32_e32 v16, s17, v29
	v_and_b32_e32 v29, exec_hi, v16
	v_lshlrev_b32_e32 v16, 30, v17
	v_xor_b32_e32 v27, s16, v27
	v_cmp_gt_i64_e64 s[16:17], 0, v[15:16]
	v_not_b32_e32 v16, v16
	v_ashrrev_i32_e32 v16, 31, v16
	v_and_b32_e32 v27, exec_lo, v27
	v_xor_b32_e32 v31, s17, v16
	v_xor_b32_e32 v16, s16, v16
	v_and_b32_e32 v27, v27, v16
	v_lshlrev_b32_e32 v16, 29, v17
	v_cmp_gt_i64_e64 s[16:17], 0, v[15:16]
	v_not_b32_e32 v16, v16
	v_ashrrev_i32_e32 v16, 31, v16
	v_and_b32_e32 v29, v29, v31
	v_xor_b32_e32 v31, s17, v16
	v_xor_b32_e32 v16, s16, v16
	v_and_b32_e32 v27, v27, v16
	v_lshlrev_b32_e32 v16, 28, v17
	v_cmp_gt_i64_e64 s[16:17], 0, v[15:16]
	v_not_b32_e32 v16, v16
	v_ashrrev_i32_e32 v16, 31, v16
	v_and_b32_e32 v29, v29, v31
	;; [unrolled: 8-line block ×5, first 2 shown]
	v_xor_b32_e32 v31, s17, v16
	v_xor_b32_e32 v16, s16, v16
	v_and_b32_e32 v27, v27, v16
	v_lshlrev_b32_e32 v16, 24, v17
	v_cmp_gt_i64_e64 s[16:17], 0, v[15:16]
	v_not_b32_e32 v15, v16
	v_ashrrev_i32_e32 v15, 31, v15
	v_xor_b32_e32 v16, s17, v15
	v_xor_b32_e32 v15, s16, v15
	ds_read_b32 v26, v30 offset:32
	v_and_b32_e32 v29, v29, v31
	v_and_b32_e32 v15, v27, v15
	;; [unrolled: 1-line block ×3, first 2 shown]
	v_mbcnt_lo_u32_b32 v17, v15, 0
	v_mbcnt_hi_u32_b32 v27, v16, v17
	v_cmp_ne_u64_e64 s[16:17], 0, v[15:16]
	v_cmp_eq_u32_e64 s[18:19], 0, v27
	s_and_b64 s[18:19], s[16:17], s[18:19]
	; wave barrier
	s_and_saveexec_b64 s[16:17], s[18:19]
	s_cbranch_execz .LBB1655_17
; %bb.16:
	v_bcnt_u32_b32 v15, v15, 0
	v_bcnt_u32_b32 v15, v16, v15
	s_waitcnt lgkmcnt(0)
	v_add_u32_e32 v15, v26, v15
	ds_write_b32 v30, v15 offset:32
.LBB1655_17:
	s_or_b64 exec, exec, s[16:17]
	v_cmp_lt_i64_e64 s[16:17], -1, v[7:8]
	v_bfrev_b32_e32 v32, 1
	v_cndmask_b32_e64 v15, -1, v32, s[16:17]
	v_ashrrev_i32_e32 v16, 31, v8
	v_xor_b32_e32 v8, v15, v8
	v_xor_b32_e32 v7, v16, v7
	v_cmp_ne_u64_e64 s[16:17], s[22:23], v[7:8]
	v_cndmask_b32_e64 v16, v32, v8, s[16:17]
	v_cndmask_b32_e64 v15, 0, v7, s[16:17]
	v_lshrrev_b64 v[15:16], s40, v[15:16]
	; wave barrier
	v_and_b32_e32 v17, s45, v15
	v_and_b32_e32 v16, 1, v17
	v_mul_lo_u32 v15, v17, 36
	v_add_co_u32_e64 v31, s[16:17], -1, v16
	v_addc_co_u32_e64 v34, s[16:17], 0, -1, s[16:17]
	v_cmp_ne_u32_e64 s[16:17], 0, v16
	v_xor_b32_e32 v16, s17, v34
	v_lshl_add_u32 v33, v18, 2, v15
	v_mov_b32_e32 v15, 0
	v_and_b32_e32 v34, exec_hi, v16
	v_lshlrev_b32_e32 v16, 30, v17
	v_xor_b32_e32 v31, s16, v31
	v_cmp_gt_i64_e64 s[16:17], 0, v[15:16]
	v_not_b32_e32 v16, v16
	v_ashrrev_i32_e32 v16, 31, v16
	v_and_b32_e32 v31, exec_lo, v31
	v_xor_b32_e32 v35, s17, v16
	v_xor_b32_e32 v16, s16, v16
	v_and_b32_e32 v31, v31, v16
	v_lshlrev_b32_e32 v16, 29, v17
	v_cmp_gt_i64_e64 s[16:17], 0, v[15:16]
	v_not_b32_e32 v16, v16
	v_ashrrev_i32_e32 v16, 31, v16
	v_and_b32_e32 v34, v34, v35
	v_xor_b32_e32 v35, s17, v16
	v_xor_b32_e32 v16, s16, v16
	v_and_b32_e32 v31, v31, v16
	v_lshlrev_b32_e32 v16, 28, v17
	v_cmp_gt_i64_e64 s[16:17], 0, v[15:16]
	v_not_b32_e32 v16, v16
	v_ashrrev_i32_e32 v16, 31, v16
	v_and_b32_e32 v34, v34, v35
	;; [unrolled: 8-line block ×5, first 2 shown]
	v_xor_b32_e32 v35, s17, v16
	v_xor_b32_e32 v16, s16, v16
	v_and_b32_e32 v31, v31, v16
	v_lshlrev_b32_e32 v16, 24, v17
	v_cmp_gt_i64_e64 s[16:17], 0, v[15:16]
	v_not_b32_e32 v16, v16
	v_ashrrev_i32_e32 v16, 31, v16
	v_xor_b32_e32 v17, s17, v16
	v_xor_b32_e32 v16, s16, v16
	ds_read_b32 v29, v33 offset:32
	v_and_b32_e32 v34, v34, v35
	v_and_b32_e32 v16, v31, v16
	;; [unrolled: 1-line block ×3, first 2 shown]
	v_mbcnt_lo_u32_b32 v31, v16, 0
	v_mbcnt_hi_u32_b32 v31, v17, v31
	v_cmp_ne_u64_e64 s[16:17], 0, v[16:17]
	v_cmp_eq_u32_e64 s[18:19], 0, v31
	s_and_b64 s[18:19], s[16:17], s[18:19]
	; wave barrier
	s_and_saveexec_b64 s[16:17], s[18:19]
	s_cbranch_execz .LBB1655_19
; %bb.18:
	v_bcnt_u32_b32 v16, v16, 0
	v_bcnt_u32_b32 v16, v17, v16
	s_waitcnt lgkmcnt(0)
	v_add_u32_e32 v16, v29, v16
	ds_write_b32 v33, v16 offset:32
.LBB1655_19:
	s_or_b64 exec, exec, s[16:17]
	v_cmp_lt_i64_e64 s[16:17], -1, v[9:10]
	v_ashrrev_i32_e32 v17, 31, v10
	v_cndmask_b32_e64 v16, -1, v32, s[16:17]
	v_xor_b32_e32 v10, v16, v10
	v_xor_b32_e32 v9, v17, v9
	v_cmp_ne_u64_e64 s[16:17], s[22:23], v[9:10]
	v_cndmask_b32_e64 v17, v32, v10, s[16:17]
	v_cndmask_b32_e64 v16, 0, v9, s[16:17]
	v_lshrrev_b64 v[16:17], s40, v[16:17]
	; wave barrier
	v_and_b32_e32 v17, s45, v16
	v_mul_lo_u32 v16, v17, 36
	v_lshl_add_u32 v36, v18, 2, v16
	v_and_b32_e32 v16, 1, v17
	v_add_co_u32_e64 v34, s[16:17], -1, v16
	v_addc_co_u32_e64 v35, s[16:17], 0, -1, s[16:17]
	v_cmp_ne_u32_e64 s[16:17], 0, v16
	v_xor_b32_e32 v16, s17, v35
	v_and_b32_e32 v35, exec_hi, v16
	v_lshlrev_b32_e32 v16, 30, v17
	v_xor_b32_e32 v34, s16, v34
	v_cmp_gt_i64_e64 s[16:17], 0, v[15:16]
	v_not_b32_e32 v16, v16
	v_ashrrev_i32_e32 v16, 31, v16
	v_and_b32_e32 v34, exec_lo, v34
	v_xor_b32_e32 v37, s17, v16
	v_xor_b32_e32 v16, s16, v16
	v_and_b32_e32 v34, v34, v16
	v_lshlrev_b32_e32 v16, 29, v17
	v_cmp_gt_i64_e64 s[16:17], 0, v[15:16]
	v_not_b32_e32 v16, v16
	v_ashrrev_i32_e32 v16, 31, v16
	v_and_b32_e32 v35, v35, v37
	v_xor_b32_e32 v37, s17, v16
	v_xor_b32_e32 v16, s16, v16
	v_and_b32_e32 v34, v34, v16
	v_lshlrev_b32_e32 v16, 28, v17
	v_cmp_gt_i64_e64 s[16:17], 0, v[15:16]
	v_not_b32_e32 v16, v16
	v_ashrrev_i32_e32 v16, 31, v16
	v_and_b32_e32 v35, v35, v37
	;; [unrolled: 8-line block ×5, first 2 shown]
	v_xor_b32_e32 v37, s17, v16
	v_xor_b32_e32 v16, s16, v16
	v_and_b32_e32 v34, v34, v16
	v_lshlrev_b32_e32 v16, 24, v17
	v_cmp_gt_i64_e64 s[16:17], 0, v[15:16]
	v_not_b32_e32 v15, v16
	v_ashrrev_i32_e32 v15, 31, v15
	v_xor_b32_e32 v16, s17, v15
	v_xor_b32_e32 v15, s16, v15
	ds_read_b32 v32, v36 offset:32
	v_and_b32_e32 v35, v35, v37
	v_and_b32_e32 v15, v34, v15
	v_and_b32_e32 v16, v35, v16
	v_mbcnt_lo_u32_b32 v17, v15, 0
	v_mbcnt_hi_u32_b32 v34, v16, v17
	v_cmp_ne_u64_e64 s[16:17], 0, v[15:16]
	v_cmp_eq_u32_e64 s[18:19], 0, v34
	s_and_b64 s[18:19], s[16:17], s[18:19]
	; wave barrier
	s_and_saveexec_b64 s[16:17], s[18:19]
	s_cbranch_execz .LBB1655_21
; %bb.20:
	v_bcnt_u32_b32 v15, v15, 0
	v_bcnt_u32_b32 v15, v16, v15
	s_waitcnt lgkmcnt(0)
	v_add_u32_e32 v15, v32, v15
	ds_write_b32 v36, v15 offset:32
.LBB1655_21:
	s_or_b64 exec, exec, s[16:17]
	v_cmp_lt_i64_e64 s[16:17], -1, v[13:14]
	v_bfrev_b32_e32 v38, 1
	v_cndmask_b32_e64 v15, -1, v38, s[16:17]
	v_ashrrev_i32_e32 v16, 31, v14
	v_xor_b32_e32 v14, v15, v14
	v_xor_b32_e32 v13, v16, v13
	v_cmp_ne_u64_e64 s[16:17], s[22:23], v[13:14]
	v_cndmask_b32_e64 v16, v38, v14, s[16:17]
	v_cndmask_b32_e64 v15, 0, v13, s[16:17]
	v_lshrrev_b64 v[15:16], s40, v[15:16]
	; wave barrier
	v_and_b32_e32 v17, s45, v15
	v_and_b32_e32 v16, 1, v17
	v_mul_lo_u32 v15, v17, 36
	v_add_co_u32_e64 v37, s[16:17], -1, v16
	v_addc_co_u32_e64 v40, s[16:17], 0, -1, s[16:17]
	v_cmp_ne_u32_e64 s[16:17], 0, v16
	v_xor_b32_e32 v16, s17, v40
	v_lshl_add_u32 v39, v18, 2, v15
	v_mov_b32_e32 v15, 0
	v_and_b32_e32 v40, exec_hi, v16
	v_lshlrev_b32_e32 v16, 30, v17
	v_xor_b32_e32 v37, s16, v37
	v_cmp_gt_i64_e64 s[16:17], 0, v[15:16]
	v_not_b32_e32 v16, v16
	v_ashrrev_i32_e32 v16, 31, v16
	v_and_b32_e32 v37, exec_lo, v37
	v_xor_b32_e32 v41, s17, v16
	v_xor_b32_e32 v16, s16, v16
	v_and_b32_e32 v37, v37, v16
	v_lshlrev_b32_e32 v16, 29, v17
	v_cmp_gt_i64_e64 s[16:17], 0, v[15:16]
	v_not_b32_e32 v16, v16
	v_ashrrev_i32_e32 v16, 31, v16
	v_and_b32_e32 v40, v40, v41
	v_xor_b32_e32 v41, s17, v16
	v_xor_b32_e32 v16, s16, v16
	v_and_b32_e32 v37, v37, v16
	v_lshlrev_b32_e32 v16, 28, v17
	v_cmp_gt_i64_e64 s[16:17], 0, v[15:16]
	v_not_b32_e32 v16, v16
	v_ashrrev_i32_e32 v16, 31, v16
	v_and_b32_e32 v40, v40, v41
	;; [unrolled: 8-line block ×5, first 2 shown]
	v_xor_b32_e32 v41, s17, v16
	v_xor_b32_e32 v16, s16, v16
	v_and_b32_e32 v37, v37, v16
	v_lshlrev_b32_e32 v16, 24, v17
	v_cmp_gt_i64_e64 s[16:17], 0, v[15:16]
	v_not_b32_e32 v16, v16
	v_ashrrev_i32_e32 v16, 31, v16
	v_xor_b32_e32 v17, s17, v16
	v_xor_b32_e32 v16, s16, v16
	ds_read_b32 v35, v39 offset:32
	v_and_b32_e32 v40, v40, v41
	v_and_b32_e32 v16, v37, v16
	;; [unrolled: 1-line block ×3, first 2 shown]
	v_mbcnt_lo_u32_b32 v37, v16, 0
	v_mbcnt_hi_u32_b32 v37, v17, v37
	v_cmp_ne_u64_e64 s[16:17], 0, v[16:17]
	v_cmp_eq_u32_e64 s[18:19], 0, v37
	s_and_b64 s[18:19], s[16:17], s[18:19]
	; wave barrier
	s_and_saveexec_b64 s[16:17], s[18:19]
	s_cbranch_execz .LBB1655_23
; %bb.22:
	v_bcnt_u32_b32 v16, v16, 0
	v_bcnt_u32_b32 v16, v17, v16
	s_waitcnt lgkmcnt(0)
	v_add_u32_e32 v16, v35, v16
	ds_write_b32 v39, v16 offset:32
.LBB1655_23:
	s_or_b64 exec, exec, s[16:17]
	v_cmp_lt_i64_e64 s[16:17], -1, v[11:12]
	s_mov_b32 s18, -1
	v_cndmask_b32_e64 v16, -1, v38, s[16:17]
	v_ashrrev_i32_e32 v17, 31, v12
	s_brev_b32 s19, -2
	v_xor_b32_e32 v12, v16, v12
	v_xor_b32_e32 v11, v17, v11
	v_cmp_ne_u64_e64 s[16:17], s[18:19], v[11:12]
	v_cndmask_b32_e64 v17, v38, v12, s[16:17]
	v_cndmask_b32_e64 v16, 0, v11, s[16:17]
	v_lshrrev_b64 v[16:17], s40, v[16:17]
	; wave barrier
	v_and_b32_e32 v17, s45, v16
	v_mul_lo_u32 v16, v17, 36
	v_lshl_add_u32 v41, v18, 2, v16
	v_and_b32_e32 v16, 1, v17
	v_add_co_u32_e64 v18, s[16:17], -1, v16
	v_addc_co_u32_e64 v40, s[16:17], 0, -1, s[16:17]
	v_cmp_ne_u32_e64 s[16:17], 0, v16
	v_xor_b32_e32 v16, s17, v40
	v_and_b32_e32 v40, exec_hi, v16
	v_lshlrev_b32_e32 v16, 30, v17
	v_xor_b32_e32 v18, s16, v18
	v_cmp_gt_i64_e64 s[16:17], 0, v[15:16]
	v_not_b32_e32 v16, v16
	v_ashrrev_i32_e32 v16, 31, v16
	v_and_b32_e32 v18, exec_lo, v18
	v_xor_b32_e32 v42, s17, v16
	v_xor_b32_e32 v16, s16, v16
	v_and_b32_e32 v18, v18, v16
	v_lshlrev_b32_e32 v16, 29, v17
	v_cmp_gt_i64_e64 s[16:17], 0, v[15:16]
	v_not_b32_e32 v16, v16
	v_ashrrev_i32_e32 v16, 31, v16
	v_and_b32_e32 v40, v40, v42
	v_xor_b32_e32 v42, s17, v16
	v_xor_b32_e32 v16, s16, v16
	v_and_b32_e32 v18, v18, v16
	v_lshlrev_b32_e32 v16, 28, v17
	v_cmp_gt_i64_e64 s[16:17], 0, v[15:16]
	v_not_b32_e32 v16, v16
	v_ashrrev_i32_e32 v16, 31, v16
	v_and_b32_e32 v40, v40, v42
	;; [unrolled: 8-line block ×5, first 2 shown]
	v_xor_b32_e32 v42, s17, v16
	v_xor_b32_e32 v16, s16, v16
	v_and_b32_e32 v18, v18, v16
	v_lshlrev_b32_e32 v16, 24, v17
	v_cmp_gt_i64_e64 s[16:17], 0, v[15:16]
	v_not_b32_e32 v15, v16
	v_ashrrev_i32_e32 v15, 31, v15
	v_xor_b32_e32 v16, s17, v15
	v_xor_b32_e32 v15, s16, v15
	ds_read_b32 v38, v41 offset:32
	v_and_b32_e32 v40, v40, v42
	v_and_b32_e32 v15, v18, v15
	;; [unrolled: 1-line block ×3, first 2 shown]
	v_mbcnt_lo_u32_b32 v17, v15, 0
	v_mbcnt_hi_u32_b32 v40, v16, v17
	v_cmp_ne_u64_e64 s[16:17], 0, v[15:16]
	v_cmp_eq_u32_e64 s[18:19], 0, v40
	s_and_b64 s[18:19], s[16:17], s[18:19]
	; wave barrier
	s_and_saveexec_b64 s[16:17], s[18:19]
	s_cbranch_execz .LBB1655_25
; %bb.24:
	v_bcnt_u32_b32 v15, v15, 0
	v_bcnt_u32_b32 v15, v16, v15
	s_waitcnt lgkmcnt(0)
	v_add_u32_e32 v15, v38, v15
	ds_write_b32 v41, v15 offset:32
.LBB1655_25:
	s_or_b64 exec, exec, s[16:17]
	; wave barrier
	s_waitcnt lgkmcnt(0)
	s_barrier
	ds_read2_b32 v[17:18], v25 offset0:8 offset1:9
	ds_read2_b32 v[15:16], v25 offset0:10 offset1:11
	ds_read_b32 v42, v25 offset:48
	v_min_u32_e32 v20, 0x1c0, v20
	v_or_b32_e32 v20, 63, v20
	s_waitcnt lgkmcnt(1)
	v_add3_u32 v43, v18, v17, v15
	s_waitcnt lgkmcnt(0)
	v_add3_u32 v42, v43, v16, v42
	v_and_b32_e32 v43, 15, v19
	v_cmp_ne_u32_e64 s[16:17], 0, v43
	v_mov_b32_dpp v44, v42 row_shr:1 row_mask:0xf bank_mask:0xf
	v_cndmask_b32_e64 v44, 0, v44, s[16:17]
	v_add_u32_e32 v42, v44, v42
	v_cmp_lt_u32_e64 s[16:17], 1, v43
	s_nop 0
	v_mov_b32_dpp v44, v42 row_shr:2 row_mask:0xf bank_mask:0xf
	v_cndmask_b32_e64 v44, 0, v44, s[16:17]
	v_add_u32_e32 v42, v42, v44
	v_cmp_lt_u32_e64 s[16:17], 3, v43
	s_nop 0
	;; [unrolled: 5-line block ×3, first 2 shown]
	v_mov_b32_dpp v44, v42 row_shr:8 row_mask:0xf bank_mask:0xf
	v_cndmask_b32_e64 v43, 0, v44, s[16:17]
	v_add_u32_e32 v42, v42, v43
	v_bfe_i32 v44, v19, 4, 1
	v_cmp_lt_u32_e64 s[16:17], 31, v19
	v_mov_b32_dpp v43, v42 row_bcast:15 row_mask:0xf bank_mask:0xf
	v_and_b32_e32 v43, v44, v43
	v_add_u32_e32 v42, v42, v43
	s_nop 1
	v_mov_b32_dpp v43, v42 row_bcast:31 row_mask:0xf bank_mask:0xf
	v_cndmask_b32_e64 v43, 0, v43, s[16:17]
	v_add_u32_e32 v42, v42, v43
	v_lshrrev_b32_e32 v43, 6, v0
	v_cmp_eq_u32_e64 s[16:17], v0, v20
	s_and_saveexec_b64 s[18:19], s[16:17]
; %bb.26:
	v_lshlrev_b32_e32 v20, 2, v43
	ds_write_b32 v20, v42
; %bb.27:
	s_or_b64 exec, exec, s[18:19]
	v_cmp_gt_u32_e64 s[16:17], 8, v0
	s_waitcnt lgkmcnt(0)
	s_barrier
	s_and_saveexec_b64 s[18:19], s[16:17]
	s_cbranch_execz .LBB1655_29
; %bb.28:
	v_lshlrev_b32_e32 v20, 2, v0
	ds_read_b32 v44, v20
	v_and_b32_e32 v45, 7, v19
	v_cmp_ne_u32_e64 s[16:17], 0, v45
	s_waitcnt lgkmcnt(0)
	v_mov_b32_dpp v46, v44 row_shr:1 row_mask:0xf bank_mask:0xf
	v_cndmask_b32_e64 v46, 0, v46, s[16:17]
	v_add_u32_e32 v44, v46, v44
	v_cmp_lt_u32_e64 s[16:17], 1, v45
	s_nop 0
	v_mov_b32_dpp v46, v44 row_shr:2 row_mask:0xf bank_mask:0xf
	v_cndmask_b32_e64 v46, 0, v46, s[16:17]
	v_add_u32_e32 v44, v44, v46
	v_cmp_lt_u32_e64 s[16:17], 3, v45
	s_nop 0
	v_mov_b32_dpp v46, v44 row_shr:4 row_mask:0xf bank_mask:0xf
	v_cndmask_b32_e64 v45, 0, v46, s[16:17]
	v_add_u32_e32 v44, v44, v45
	ds_write_b32 v20, v44
.LBB1655_29:
	s_or_b64 exec, exec, s[18:19]
	v_cmp_lt_u32_e64 s[16:17], 63, v0
	v_mov_b32_e32 v20, 0
	s_waitcnt lgkmcnt(0)
	s_barrier
	s_and_saveexec_b64 s[18:19], s[16:17]
; %bb.30:
	v_lshl_add_u32 v20, v43, 2, -4
	ds_read_b32 v20, v20
; %bb.31:
	s_or_b64 exec, exec, s[18:19]
	v_subrev_co_u32_e64 v43, s[16:17], 1, v19
	v_and_b32_e32 v44, 64, v19
	v_cmp_lt_i32_e64 s[18:19], v43, v44
	v_cndmask_b32_e64 v19, v43, v19, s[18:19]
	s_waitcnt lgkmcnt(0)
	v_add_u32_e32 v42, v20, v42
	v_lshlrev_b32_e32 v19, 2, v19
	ds_bpermute_b32 v19, v19, v42
	s_movk_i32 s22, 0x100
	v_cmp_gt_u32_e64 s[18:19], s22, v0
	s_waitcnt lgkmcnt(0)
	v_cndmask_b32_e64 v19, v19, v20, s[16:17]
	v_cmp_ne_u32_e64 s[16:17], 0, v0
	v_cndmask_b32_e64 v19, 0, v19, s[16:17]
	v_add_u32_e32 v17, v19, v17
	v_add_u32_e32 v18, v17, v18
	;; [unrolled: 1-line block ×4, first 2 shown]
	ds_write2_b32 v25, v19, v17 offset0:8 offset1:9
	ds_write2_b32 v25, v18, v15 offset0:10 offset1:11
	ds_write_b32 v25, v16 offset:48
	s_waitcnt lgkmcnt(0)
	s_barrier
	ds_read_b32 v43, v28 offset:32
	ds_read_b32 v42, v30 offset:32
	ds_read_b32 v33, v33 offset:32
	ds_read_b32 v36, v36 offset:32
	ds_read_b32 v39, v39 offset:32
	ds_read_b32 v41, v41 offset:32
	s_movk_i32 s16, 0xff
	v_cmp_lt_u32_e64 s[16:17], s16, v0
                                        ; implicit-def: $vgpr25
                                        ; implicit-def: $vgpr28
	s_and_saveexec_b64 s[46:47], s[18:19]
	s_cbranch_execz .LBB1655_35
; %bb.32:
	v_mul_u32_u24_e32 v15, 36, v0
	ds_read_b32 v25, v15 offset:32
	v_add_u32_e32 v16, 1, v0
	v_cmp_ne_u32_e64 s[22:23], s22, v16
	v_mov_b32_e32 v15, 0xc00
	s_and_saveexec_b64 s[48:49], s[22:23]
; %bb.33:
	v_mul_u32_u24_e32 v15, 36, v16
	ds_read_b32 v15, v15 offset:32
; %bb.34:
	s_or_b64 exec, exec, s[48:49]
	s_waitcnt lgkmcnt(0)
	v_sub_u32_e32 v28, v15, v25
.LBB1655_35:
	s_or_b64 exec, exec, s[46:47]
	v_mov_b32_e32 v16, 0
	v_lshlrev_b32_e32 v30, 2, v0
	s_waitcnt lgkmcnt(0)
	s_barrier
	s_and_saveexec_b64 s[22:23], s[18:19]
	s_cbranch_execz .LBB1655_45
; %bb.36:
	v_lshl_add_u32 v15, s6, 8, v0
	v_lshlrev_b64 v[17:18], 2, v[15:16]
	v_mov_b32_e32 v44, s35
	v_add_co_u32_e64 v17, s[18:19], s34, v17
	v_addc_co_u32_e64 v18, s[18:19], v44, v18, s[18:19]
	v_or_b32_e32 v15, 2.0, v28
	s_mov_b64 s[46:47], 0
	s_brev_b32 s52, -4
	s_mov_b32 s53, s6
	v_mov_b32_e32 v45, 0
	global_store_dword v[17:18], v15, off
                                        ; implicit-def: $sgpr18_sgpr19
	s_branch .LBB1655_39
.LBB1655_37:                            ;   in Loop: Header=BB1655_39 Depth=1
	s_or_b64 exec, exec, s[50:51]
.LBB1655_38:                            ;   in Loop: Header=BB1655_39 Depth=1
	s_or_b64 exec, exec, s[48:49]
	v_and_b32_e32 v19, 0x3fffffff, v15
	v_add_u32_e32 v45, v19, v45
	v_cmp_gt_i32_e64 s[18:19], -2.0, v15
	s_and_b64 s[48:49], exec, s[18:19]
	s_or_b64 s[46:47], s[48:49], s[46:47]
	s_andn2_b64 exec, exec, s[46:47]
	s_cbranch_execz .LBB1655_44
.LBB1655_39:                            ; =>This Loop Header: Depth=1
                                        ;     Child Loop BB1655_42 Depth 2
	s_or_b64 s[18:19], s[18:19], exec
	s_cmp_eq_u32 s53, 0
	s_cbranch_scc1 .LBB1655_43
; %bb.40:                               ;   in Loop: Header=BB1655_39 Depth=1
	s_add_i32 s53, s53, -1
	v_lshl_or_b32 v15, s53, 8, v0
	v_lshlrev_b64 v[19:20], 2, v[15:16]
	v_add_co_u32_e64 v19, s[18:19], s34, v19
	v_addc_co_u32_e64 v20, s[18:19], v44, v20, s[18:19]
	global_load_dword v15, v[19:20], off glc
	s_waitcnt vmcnt(0)
	v_cmp_gt_u32_e64 s[18:19], 2.0, v15
	s_and_saveexec_b64 s[48:49], s[18:19]
	s_cbranch_execz .LBB1655_38
; %bb.41:                               ;   in Loop: Header=BB1655_39 Depth=1
	s_mov_b64 s[50:51], 0
.LBB1655_42:                            ;   Parent Loop BB1655_39 Depth=1
                                        ; =>  This Inner Loop Header: Depth=2
	global_load_dword v15, v[19:20], off glc
	s_waitcnt vmcnt(0)
	v_cmp_lt_u32_e64 s[18:19], s52, v15
	s_or_b64 s[50:51], s[18:19], s[50:51]
	s_andn2_b64 exec, exec, s[50:51]
	s_cbranch_execnz .LBB1655_42
	s_branch .LBB1655_37
.LBB1655_43:                            ;   in Loop: Header=BB1655_39 Depth=1
                                        ; implicit-def: $sgpr53
	s_and_b64 s[48:49], exec, s[18:19]
	s_or_b64 s[46:47], s[48:49], s[46:47]
	s_andn2_b64 exec, exec, s[46:47]
	s_cbranch_execnz .LBB1655_39
.LBB1655_44:
	s_or_b64 exec, exec, s[46:47]
	v_add_u32_e32 v15, v45, v28
	v_or_b32_e32 v15, 0x80000000, v15
	global_store_dword v[17:18], v15, off
	global_load_dword v15, v30, s[36:37]
	v_sub_u32_e32 v16, v45, v25
	s_waitcnt vmcnt(0)
	v_add_u32_e32 v15, v16, v15
	ds_write_b32 v30, v15
.LBB1655_45:
	s_or_b64 exec, exec, s[22:23]
	s_mov_b32 s22, -1
	v_add_u32_e32 v17, v43, v24
	v_add3_u32 v18, v40, v41, v38
	v_add3_u32 v19, v37, v39, v35
	;; [unrolled: 1-line block ×5, first 2 shown]
	s_mov_b32 s48, 0
	s_mov_b32 s49, 0
	v_add_u32_e32 v27, v30, v30
	s_brev_b32 s23, -2
	v_mov_b32_e32 v16, 0
	s_movk_i32 s50, 0x200
	v_bfrev_b32_e32 v29, 1
	v_mov_b32_e32 v31, v0
	s_branch .LBB1655_47
.LBB1655_46:                            ;   in Loop: Header=BB1655_47 Depth=1
	s_or_b64 exec, exec, s[46:47]
	s_addk_i32 s49, 0xfc00
	s_add_i32 s48, s48, 8
	s_cmpk_eq_i32 s49, 0xf400
	v_add_u32_e32 v31, 0x400, v31
	s_waitcnt vmcnt(0)
	s_barrier
	s_cbranch_scc1 .LBB1655_51
.LBB1655_47:                            ; =>This Inner Loop Header: Depth=1
	v_add_u32_e32 v15, s49, v17
	v_min_u32_e32 v15, 0x400, v15
	v_lshlrev_b32_e32 v15, 3, v15
	ds_write_b64 v15, v[3:4] offset:1024
	v_add_u32_e32 v15, s49, v26
	v_min_u32_e32 v15, 0x400, v15
	v_lshlrev_b32_e32 v15, 3, v15
	ds_write_b64 v15, v[5:6] offset:1024
	;; [unrolled: 4-line block ×5, first 2 shown]
	v_add_u32_e32 v15, s49, v18
	v_min_u32_e32 v15, 0x400, v15
	v_lshlrev_b32_e32 v15, 3, v15
	v_cmp_gt_u32_e64 s[18:19], s7, v31
	ds_write_b64 v15, v[11:12] offset:1024
	s_waitcnt lgkmcnt(0)
	s_barrier
	s_and_saveexec_b64 s[46:47], s[18:19]
	s_cbranch_execz .LBB1655_49
; %bb.48:                               ;   in Loop: Header=BB1655_47 Depth=1
	ds_read_b64 v[32:33], v27 offset:1024
	v_mov_b32_e32 v36, s27
	s_waitcnt lgkmcnt(0)
	v_cmp_ne_u64_e64 s[18:19], s[22:23], v[32:33]
	v_cndmask_b32_e64 v35, v29, v33, s[18:19]
	v_cndmask_b32_e64 v34, 0, v32, s[18:19]
	v_lshrrev_b64 v[34:35], s40, v[34:35]
	v_cmp_lt_i64_e64 s[18:19], -1, v[32:33]
	v_and_b32_e32 v37, s45, v34
	v_lshlrev_b32_e32 v34, 2, v37
	ds_read_b32 v34, v34
	v_cndmask_b32_e64 v15, v29, -1, s[18:19]
	v_ashrrev_i32_e32 v35, 31, v33
	v_not_b32_e32 v35, v35
	v_xor_b32_e32 v33, v15, v33
	s_waitcnt lgkmcnt(0)
	v_add_u32_e32 v15, v31, v34
	v_xor_b32_e32 v32, v35, v32
	v_lshlrev_b64 v[34:35], 3, v[15:16]
	v_mov_b32_e32 v15, s48
	v_add_co_u32_e64 v34, s[18:19], s26, v34
	v_addc_co_u32_e64 v35, s[18:19], v36, v35, s[18:19]
	global_store_dwordx2 v[34:35], v[32:33], off
	buffer_store_dword v37, v15, s[0:3], 0 offen
.LBB1655_49:                            ;   in Loop: Header=BB1655_47 Depth=1
	s_or_b64 exec, exec, s[46:47]
	v_add_u32_e32 v15, 0x200, v31
	v_cmp_gt_u32_e64 s[18:19], s7, v15
	s_and_saveexec_b64 s[46:47], s[18:19]
	s_cbranch_execz .LBB1655_46
; %bb.50:                               ;   in Loop: Header=BB1655_47 Depth=1
	ds_read_b64 v[32:33], v27 offset:5120
	v_mov_b32_e32 v36, s27
	s_waitcnt lgkmcnt(0)
	v_cmp_ne_u64_e64 s[18:19], s[22:23], v[32:33]
	v_cndmask_b32_e64 v35, v29, v33, s[18:19]
	v_cndmask_b32_e64 v34, 0, v32, s[18:19]
	v_lshrrev_b64 v[34:35], s40, v[34:35]
	v_cmp_lt_i64_e64 s[18:19], -1, v[32:33]
	v_and_b32_e32 v37, s45, v34
	v_lshlrev_b32_e32 v34, 2, v37
	ds_read_b32 v34, v34
	v_cndmask_b32_e64 v15, v29, -1, s[18:19]
	v_ashrrev_i32_e32 v35, 31, v33
	v_not_b32_e32 v35, v35
	v_xor_b32_e32 v33, v15, v33
	s_waitcnt lgkmcnt(0)
	v_add3_u32 v15, v31, v34, s50
	v_xor_b32_e32 v32, v35, v32
	v_lshlrev_b64 v[34:35], 3, v[15:16]
	v_mov_b32_e32 v15, s48
	v_add_co_u32_e64 v34, s[18:19], s26, v34
	v_addc_co_u32_e64 v35, s[18:19], v36, v35, s[18:19]
	global_store_dwordx2 v[34:35], v[32:33], off
	buffer_store_dword v37, v15, s[0:3], 0 offen offset:4
	s_branch .LBB1655_46
.LBB1655_51:
	s_add_u32 s18, s28, s42
	s_addc_u32 s19, s29, s43
	v_mov_b32_e32 v3, s19
	v_add_co_u32_e64 v4, s[18:19], s18, v22
	v_addc_co_u32_e64 v3, s[18:19], 0, v3, s[18:19]
	v_add_co_u32_e64 v15, s[18:19], v4, v23
	v_addc_co_u32_e64 v16, s[18:19], 0, v3, s[18:19]
                                        ; implicit-def: $vgpr3_vgpr4
	s_and_saveexec_b64 s[18:19], vcc
	s_cbranch_execz .LBB1655_57
; %bb.52:
	global_load_dwordx2 v[3:4], v[15:16], off
	s_or_b64 exec, exec, s[18:19]
                                        ; implicit-def: $vgpr5_vgpr6
	s_and_saveexec_b64 s[18:19], s[20:21]
	s_cbranch_execnz .LBB1655_58
.LBB1655_53:
	s_or_b64 exec, exec, s[18:19]
                                        ; implicit-def: $vgpr7_vgpr8
	s_and_saveexec_b64 s[18:19], s[8:9]
	s_cbranch_execz .LBB1655_59
.LBB1655_54:
	global_load_dwordx2 v[7:8], v[15:16], off offset:1024
	s_or_b64 exec, exec, s[18:19]
                                        ; implicit-def: $vgpr9_vgpr10
	s_and_saveexec_b64 s[8:9], s[10:11]
	s_cbranch_execnz .LBB1655_60
.LBB1655_55:
	s_or_b64 exec, exec, s[8:9]
                                        ; implicit-def: $vgpr11_vgpr12
	s_and_saveexec_b64 s[8:9], s[12:13]
	s_cbranch_execz .LBB1655_61
.LBB1655_56:
	global_load_dwordx2 v[11:12], v[15:16], off offset:2048
	s_or_b64 exec, exec, s[8:9]
                                        ; implicit-def: $vgpr13_vgpr14
	s_and_saveexec_b64 s[8:9], s[14:15]
	s_cbranch_execnz .LBB1655_62
	s_branch .LBB1655_63
.LBB1655_57:
	s_or_b64 exec, exec, s[18:19]
                                        ; implicit-def: $vgpr5_vgpr6
	s_and_saveexec_b64 s[18:19], s[20:21]
	s_cbranch_execz .LBB1655_53
.LBB1655_58:
	global_load_dwordx2 v[5:6], v[15:16], off offset:512
	s_or_b64 exec, exec, s[18:19]
                                        ; implicit-def: $vgpr7_vgpr8
	s_and_saveexec_b64 s[18:19], s[8:9]
	s_cbranch_execnz .LBB1655_54
.LBB1655_59:
	s_or_b64 exec, exec, s[18:19]
                                        ; implicit-def: $vgpr9_vgpr10
	s_and_saveexec_b64 s[8:9], s[10:11]
	s_cbranch_execz .LBB1655_55
.LBB1655_60:
	global_load_dwordx2 v[9:10], v[15:16], off offset:1536
	s_or_b64 exec, exec, s[8:9]
                                        ; implicit-def: $vgpr11_vgpr12
	s_and_saveexec_b64 s[8:9], s[12:13]
	s_cbranch_execnz .LBB1655_56
.LBB1655_61:
	s_or_b64 exec, exec, s[8:9]
                                        ; implicit-def: $vgpr13_vgpr14
	s_and_saveexec_b64 s[8:9], s[14:15]
	s_cbranch_execz .LBB1655_63
.LBB1655_62:
	global_load_dwordx2 v[13:14], v[15:16], off offset:2560
.LBB1655_63:
	s_or_b64 exec, exec, s[8:9]
	s_mov_b32 s10, 0
	s_mov_b32 s11, 0
	v_mov_b32_e32 v16, 0
	s_movk_i32 s12, 0x200
	v_mov_b32_e32 v22, v0
	s_branch .LBB1655_65
.LBB1655_64:                            ;   in Loop: Header=BB1655_65 Depth=1
	s_or_b64 exec, exec, s[8:9]
	s_addk_i32 s11, 0xfc00
	s_add_i32 s10, s10, 8
	s_cmpk_eq_i32 s11, 0xf400
	v_add_u32_e32 v22, 0x400, v22
	s_waitcnt vmcnt(0)
	s_barrier
	s_cbranch_scc1 .LBB1655_69
.LBB1655_65:                            ; =>This Inner Loop Header: Depth=1
	v_add_u32_e32 v15, s11, v17
	v_min_u32_e32 v15, 0x400, v15
	v_lshlrev_b32_e32 v15, 3, v15
	s_waitcnt vmcnt(0)
	ds_write_b64 v15, v[3:4] offset:1024
	v_add_u32_e32 v15, s11, v26
	v_min_u32_e32 v15, 0x400, v15
	v_lshlrev_b32_e32 v15, 3, v15
	ds_write_b64 v15, v[5:6] offset:1024
	v_add_u32_e32 v15, s11, v24
	v_min_u32_e32 v15, 0x400, v15
	v_lshlrev_b32_e32 v15, 3, v15
	;; [unrolled: 4-line block ×5, first 2 shown]
	v_cmp_gt_u32_e32 vcc, s7, v22
	ds_write_b64 v15, v[13:14] offset:1024
	s_waitcnt lgkmcnt(0)
	s_barrier
	s_and_saveexec_b64 s[8:9], vcc
	s_cbranch_execz .LBB1655_67
; %bb.66:                               ;   in Loop: Header=BB1655_65 Depth=1
	v_mov_b32_e32 v15, s10
	buffer_load_dword v15, v15, s[0:3], 0 offen
	v_mov_b32_e32 v23, s31
	s_waitcnt vmcnt(0)
	v_lshlrev_b32_e32 v15, 2, v15
	ds_read_b32 v15, v15
	ds_read_b64 v[31:32], v27 offset:1024
	s_waitcnt lgkmcnt(1)
	v_add_u32_e32 v15, v22, v15
	v_lshlrev_b64 v[33:34], 3, v[15:16]
	v_add_co_u32_e32 v33, vcc, s30, v33
	v_addc_co_u32_e32 v34, vcc, v23, v34, vcc
	s_waitcnt lgkmcnt(0)
	global_store_dwordx2 v[33:34], v[31:32], off
.LBB1655_67:                            ;   in Loop: Header=BB1655_65 Depth=1
	s_or_b64 exec, exec, s[8:9]
	v_add_u32_e32 v15, 0x200, v22
	v_cmp_gt_u32_e32 vcc, s7, v15
	s_and_saveexec_b64 s[8:9], vcc
	s_cbranch_execz .LBB1655_64
; %bb.68:                               ;   in Loop: Header=BB1655_65 Depth=1
	v_mov_b32_e32 v15, s10
	buffer_load_dword v15, v15, s[0:3], 0 offen offset:4
	v_mov_b32_e32 v23, s31
	s_waitcnt vmcnt(0)
	v_lshlrev_b32_e32 v15, 2, v15
	ds_read_b32 v15, v15
	ds_read_b64 v[31:32], v27 offset:5120
	s_waitcnt lgkmcnt(1)
	v_add3_u32 v15, v22, v15, s12
	v_lshlrev_b64 v[33:34], 3, v[15:16]
	v_add_co_u32_e32 v33, vcc, s30, v33
	v_addc_co_u32_e32 v34, vcc, v23, v34, vcc
	s_waitcnt lgkmcnt(0)
	global_store_dwordx2 v[33:34], v[31:32], off
	s_branch .LBB1655_64
.LBB1655_69:
	s_add_i32 s33, s33, -1
	s_cmp_eq_u32 s6, s33
	s_cselect_b64 s[8:9], -1, 0
	s_xor_b64 s[10:11], s[16:17], -1
	s_and_b64 s[10:11], s[10:11], s[8:9]
	s_and_saveexec_b64 s[8:9], s[10:11]
	s_cbranch_execz .LBB1655_71
; %bb.70:
	ds_read_b32 v3, v30
	s_waitcnt lgkmcnt(0)
	v_add3_u32 v3, v25, v28, v3
	global_store_dword v30, v3, s[38:39]
.LBB1655_71:
	s_or_b64 exec, exec, s[8:9]
	s_mov_b64 s[8:9], 0
.LBB1655_72:
	s_and_b64 vcc, exec, s[8:9]
	s_cbranch_vccz .LBB1655_111
; %bb.73:
	s_mov_b32 s45, 0
	s_lshl_b64 s[12:13], s[44:45], 3
	v_mbcnt_hi_u32_b32 v17, -1, v21
	s_add_u32 s7, s24, s12
	v_and_b32_e32 v3, 63, v17
	s_addc_u32 s8, s25, s13
	v_and_b32_e32 v18, 0x1c0, v0
	v_lshlrev_b32_e32 v19, 3, v3
	v_mul_u32_u24_e32 v4, 6, v18
	v_mov_b32_e32 v3, s8
	v_add_co_u32_e32 v5, vcc, s7, v19
	v_addc_co_u32_e32 v6, vcc, 0, v3, vcc
	v_lshlrev_b32_e32 v20, 3, v4
	v_add_co_u32_e32 v3, vcc, v5, v20
	v_addc_co_u32_e32 v4, vcc, 0, v6, vcc
	global_load_dwordx2 v[23:24], v[3:4], off
	s_load_dword s7, s[4:5], 0x58
	s_load_dword s8, s[4:5], 0x64
	s_add_u32 s4, s4, 0x58
	s_addc_u32 s5, s5, 0
	v_mov_b32_e32 v13, 0
	global_load_dwordx2 v[15:16], v[3:4], off offset:512
	global_load_dwordx2 v[5:6], v[3:4], off offset:1024
	;; [unrolled: 1-line block ×3, first 2 shown]
	s_waitcnt lgkmcnt(0)
	s_lshr_b32 s14, s8, 16
	s_cmp_lt_u32 s6, s7
	s_cselect_b32 s8, 12, 18
	s_add_u32 s4, s4, s8
	s_addc_u32 s5, s5, 0
	global_load_ushort v21, v13, s[4:5]
	global_load_dwordx2 v[9:10], v[3:4], off offset:2048
	global_load_dwordx2 v[11:12], v[3:4], off offset:2560
	v_bfrev_b32_e32 v22, 1
	s_mov_b32 s10, -1
	s_brev_b32 s11, -2
	s_lshl_b32 s4, -1, s41
	s_not_b32 s18, s4
	v_mad_u32_u24 v1, v2, s14, v1
	s_waitcnt vmcnt(6)
	v_cmp_lt_i64_e32 vcc, -1, v[23:24]
	v_ashrrev_i32_e32 v14, 31, v24
	v_cndmask_b32_e32 v3, -1, v22, vcc
	v_xor_b32_e32 v4, v3, v24
	v_xor_b32_e32 v3, v14, v23
	v_cmp_ne_u64_e32 vcc, s[10:11], v[3:4]
	v_cndmask_b32_e32 v24, v22, v4, vcc
	v_cndmask_b32_e32 v23, 0, v3, vcc
	v_lshrrev_b64 v[23:24], s40, v[23:24]
	v_and_b32_e32 v25, s18, v23
	v_and_b32_e32 v23, 1, v25
	v_lshlrev_b32_e32 v14, 30, v25
	v_cmp_ne_u32_e32 vcc, 0, v23
	v_add_co_u32_e64 v23, s[8:9], -1, v23
	v_cmp_gt_i64_e64 s[4:5], 0, v[13:14]
	v_addc_co_u32_e64 v24, s[8:9], 0, -1, s[8:9]
	v_not_b32_e32 v26, v14
	v_lshlrev_b32_e32 v14, 29, v25
	v_xor_b32_e32 v24, vcc_hi, v24
	v_ashrrev_i32_e32 v26, 31, v26
	v_xor_b32_e32 v23, vcc_lo, v23
	v_cmp_gt_i64_e32 vcc, 0, v[13:14]
	v_not_b32_e32 v27, v14
	v_lshlrev_b32_e32 v14, 28, v25
	v_and_b32_e32 v24, exec_hi, v24
	v_xor_b32_e32 v28, s5, v26
	v_and_b32_e32 v23, exec_lo, v23
	v_xor_b32_e32 v26, s4, v26
	v_ashrrev_i32_e32 v27, 31, v27
	v_cmp_gt_i64_e64 s[4:5], 0, v[13:14]
	v_not_b32_e32 v29, v14
	v_lshlrev_b32_e32 v14, 27, v25
	v_and_b32_e32 v24, v24, v28
	v_and_b32_e32 v23, v23, v26
	v_xor_b32_e32 v26, vcc_hi, v27
	v_xor_b32_e32 v27, vcc_lo, v27
	v_ashrrev_i32_e32 v28, 31, v29
	v_cmp_gt_i64_e32 vcc, 0, v[13:14]
	v_not_b32_e32 v29, v14
	v_lshlrev_b32_e32 v14, 26, v25
	v_and_b32_e32 v24, v24, v26
	v_and_b32_e32 v23, v23, v27
	v_xor_b32_e32 v26, s5, v28
	v_xor_b32_e32 v27, s4, v28
	v_ashrrev_i32_e32 v28, 31, v29
	v_cmp_gt_i64_e64 s[4:5], 0, v[13:14]
	v_not_b32_e32 v29, v14
	v_lshlrev_b32_e32 v14, 25, v25
	v_and_b32_e32 v24, v24, v26
	v_and_b32_e32 v23, v23, v27
	v_xor_b32_e32 v26, vcc_hi, v28
	v_xor_b32_e32 v27, vcc_lo, v28
	v_ashrrev_i32_e32 v28, 31, v29
	v_cmp_gt_i64_e32 vcc, 0, v[13:14]
	v_not_b32_e32 v14, v14
	v_and_b32_e32 v24, v24, v26
	v_and_b32_e32 v23, v23, v27
	v_xor_b32_e32 v26, s5, v28
	v_xor_b32_e32 v27, s4, v28
	v_ashrrev_i32_e32 v14, 31, v14
	v_and_b32_e32 v24, v24, v26
	v_and_b32_e32 v23, v23, v27
	v_xor_b32_e32 v26, vcc_hi, v14
	v_xor_b32_e32 v14, vcc_lo, v14
	v_and_b32_e32 v27, v23, v14
	v_lshlrev_b32_e32 v14, 24, v25
	v_cmp_gt_i64_e32 vcc, 0, v[13:14]
	v_not_b32_e32 v14, v14
	v_and_b32_e32 v26, v24, v26
	v_ashrrev_i32_e32 v14, 31, v14
	s_waitcnt vmcnt(2)
	v_mad_u64_u32 v[23:24], s[4:5], v1, v21, v[0:1]
	v_xor_b32_e32 v28, vcc_hi, v14
	v_xor_b32_e32 v1, vcc_lo, v14
	v_mul_lo_u32 v14, v25, 36
	v_and_b32_e32 v1, v27, v1
	v_lshrrev_b32_e32 v31, 6, v23
	v_and_b32_e32 v2, v26, v28
	v_lshl_add_u32 v25, v31, 2, v14
	v_mbcnt_lo_u32_b32 v14, v1, 0
	v_mbcnt_hi_u32_b32 v21, v2, v14
	v_cmp_ne_u64_e32 vcc, 0, v[1:2]
	v_cmp_eq_u32_e64 s[4:5], 0, v21
	v_mul_u32_u24_e32 v24, 20, v0
	s_and_b64 s[8:9], vcc, s[4:5]
	ds_write2_b32 v24, v13, v13 offset0:8 offset1:9
	ds_write2_b32 v24, v13, v13 offset0:10 offset1:11
	ds_write_b32 v24, v13 offset:48
	s_waitcnt vmcnt(0) lgkmcnt(0)
	s_barrier
	; wave barrier
	s_and_saveexec_b64 s[4:5], s[8:9]
; %bb.74:
	v_bcnt_u32_b32 v1, v1, 0
	v_bcnt_u32_b32 v1, v2, v1
	ds_write_b32 v25, v1 offset:32
; %bb.75:
	s_or_b64 exec, exec, s[4:5]
	v_cmp_lt_i64_e32 vcc, -1, v[15:16]
	v_ashrrev_i32_e32 v14, 31, v16
	v_cndmask_b32_e32 v1, -1, v22, vcc
	v_xor_b32_e32 v2, v1, v16
	v_xor_b32_e32 v1, v14, v15
	v_cmp_ne_u64_e32 vcc, s[10:11], v[1:2]
	v_cndmask_b32_e32 v15, v22, v2, vcc
	v_cndmask_b32_e32 v14, 0, v1, vcc
	v_lshrrev_b64 v[14:15], s40, v[14:15]
	; wave barrier
	v_and_b32_e32 v15, s18, v14
	v_mul_lo_u32 v14, v15, 36
	v_lshl_add_u32 v27, v31, 2, v14
	v_and_b32_e32 v14, 1, v15
	v_add_co_u32_e32 v16, vcc, -1, v14
	v_addc_co_u32_e64 v23, s[4:5], 0, -1, vcc
	v_cmp_ne_u32_e32 vcc, 0, v14
	v_xor_b32_e32 v14, vcc_hi, v23
	v_and_b32_e32 v23, exec_hi, v14
	v_lshlrev_b32_e32 v14, 30, v15
	v_xor_b32_e32 v16, vcc_lo, v16
	v_cmp_gt_i64_e32 vcc, 0, v[13:14]
	v_not_b32_e32 v14, v14
	v_ashrrev_i32_e32 v14, 31, v14
	v_and_b32_e32 v16, exec_lo, v16
	v_xor_b32_e32 v26, vcc_hi, v14
	v_xor_b32_e32 v14, vcc_lo, v14
	v_and_b32_e32 v16, v16, v14
	v_lshlrev_b32_e32 v14, 29, v15
	v_cmp_gt_i64_e32 vcc, 0, v[13:14]
	v_not_b32_e32 v14, v14
	v_ashrrev_i32_e32 v14, 31, v14
	v_and_b32_e32 v23, v23, v26
	v_xor_b32_e32 v26, vcc_hi, v14
	v_xor_b32_e32 v14, vcc_lo, v14
	v_and_b32_e32 v16, v16, v14
	v_lshlrev_b32_e32 v14, 28, v15
	v_cmp_gt_i64_e32 vcc, 0, v[13:14]
	v_not_b32_e32 v14, v14
	v_ashrrev_i32_e32 v14, 31, v14
	v_and_b32_e32 v23, v23, v26
	;; [unrolled: 8-line block ×5, first 2 shown]
	v_xor_b32_e32 v26, vcc_hi, v14
	v_xor_b32_e32 v14, vcc_lo, v14
	v_and_b32_e32 v16, v16, v14
	v_lshlrev_b32_e32 v14, 24, v15
	v_cmp_gt_i64_e32 vcc, 0, v[13:14]
	v_not_b32_e32 v13, v14
	v_ashrrev_i32_e32 v13, 31, v13
	v_xor_b32_e32 v14, vcc_hi, v13
	v_xor_b32_e32 v13, vcc_lo, v13
	ds_read_b32 v22, v27 offset:32
	v_and_b32_e32 v23, v23, v26
	v_and_b32_e32 v13, v16, v13
	;; [unrolled: 1-line block ×3, first 2 shown]
	v_mbcnt_lo_u32_b32 v15, v13, 0
	v_mbcnt_hi_u32_b32 v23, v14, v15
	v_cmp_ne_u64_e32 vcc, 0, v[13:14]
	v_cmp_eq_u32_e64 s[4:5], 0, v23
	s_and_b64 s[8:9], vcc, s[4:5]
	; wave barrier
	s_and_saveexec_b64 s[4:5], s[8:9]
	s_cbranch_execz .LBB1655_77
; %bb.76:
	v_bcnt_u32_b32 v13, v13, 0
	v_bcnt_u32_b32 v13, v14, v13
	s_waitcnt lgkmcnt(0)
	v_add_u32_e32 v13, v22, v13
	ds_write_b32 v27, v13 offset:32
.LBB1655_77:
	s_or_b64 exec, exec, s[4:5]
	v_cmp_lt_i64_e32 vcc, -1, v[5:6]
	v_bfrev_b32_e32 v16, 1
	s_mov_b32 s8, -1
	v_cndmask_b32_e32 v13, -1, v16, vcc
	v_ashrrev_i32_e32 v14, 31, v6
	s_brev_b32 s9, -2
	v_xor_b32_e32 v6, v13, v6
	v_xor_b32_e32 v5, v14, v5
	v_cmp_ne_u64_e32 vcc, s[8:9], v[5:6]
	v_cndmask_b32_e32 v14, v16, v6, vcc
	v_cndmask_b32_e32 v13, 0, v5, vcc
	v_lshrrev_b64 v[13:14], s40, v[13:14]
	; wave barrier
	v_and_b32_e32 v15, s18, v13
	v_mul_lo_u32 v13, v15, 36
	v_and_b32_e32 v14, 1, v15
	v_add_co_u32_e32 v28, vcc, -1, v14
	v_addc_co_u32_e64 v29, s[4:5], 0, -1, vcc
	v_cmp_ne_u32_e32 vcc, 0, v14
	v_xor_b32_e32 v14, vcc_hi, v29
	v_lshl_add_u32 v30, v31, 2, v13
	v_mov_b32_e32 v13, 0
	v_and_b32_e32 v29, exec_hi, v14
	v_lshlrev_b32_e32 v14, 30, v15
	v_xor_b32_e32 v28, vcc_lo, v28
	v_cmp_gt_i64_e32 vcc, 0, v[13:14]
	v_not_b32_e32 v14, v14
	v_ashrrev_i32_e32 v14, 31, v14
	v_and_b32_e32 v28, exec_lo, v28
	v_xor_b32_e32 v32, vcc_hi, v14
	v_xor_b32_e32 v14, vcc_lo, v14
	v_and_b32_e32 v28, v28, v14
	v_lshlrev_b32_e32 v14, 29, v15
	v_cmp_gt_i64_e32 vcc, 0, v[13:14]
	v_not_b32_e32 v14, v14
	v_ashrrev_i32_e32 v14, 31, v14
	v_and_b32_e32 v29, v29, v32
	v_xor_b32_e32 v32, vcc_hi, v14
	v_xor_b32_e32 v14, vcc_lo, v14
	v_and_b32_e32 v28, v28, v14
	v_lshlrev_b32_e32 v14, 28, v15
	v_cmp_gt_i64_e32 vcc, 0, v[13:14]
	v_not_b32_e32 v14, v14
	v_ashrrev_i32_e32 v14, 31, v14
	v_and_b32_e32 v29, v29, v32
	;; [unrolled: 8-line block ×5, first 2 shown]
	v_xor_b32_e32 v32, vcc_hi, v14
	v_xor_b32_e32 v14, vcc_lo, v14
	v_and_b32_e32 v28, v28, v14
	v_lshlrev_b32_e32 v14, 24, v15
	v_cmp_gt_i64_e32 vcc, 0, v[13:14]
	v_not_b32_e32 v14, v14
	v_ashrrev_i32_e32 v14, 31, v14
	v_xor_b32_e32 v15, vcc_hi, v14
	v_xor_b32_e32 v14, vcc_lo, v14
	ds_read_b32 v26, v30 offset:32
	v_and_b32_e32 v29, v29, v32
	v_and_b32_e32 v14, v28, v14
	;; [unrolled: 1-line block ×3, first 2 shown]
	v_mbcnt_lo_u32_b32 v28, v14, 0
	v_mbcnt_hi_u32_b32 v28, v15, v28
	v_cmp_ne_u64_e32 vcc, 0, v[14:15]
	v_cmp_eq_u32_e64 s[4:5], 0, v28
	s_and_b64 s[10:11], vcc, s[4:5]
	; wave barrier
	s_and_saveexec_b64 s[4:5], s[10:11]
	s_cbranch_execz .LBB1655_79
; %bb.78:
	v_bcnt_u32_b32 v14, v14, 0
	v_bcnt_u32_b32 v14, v15, v14
	s_waitcnt lgkmcnt(0)
	v_add_u32_e32 v14, v26, v14
	ds_write_b32 v30, v14 offset:32
.LBB1655_79:
	s_or_b64 exec, exec, s[4:5]
	v_cmp_lt_i64_e32 vcc, -1, v[7:8]
	v_ashrrev_i32_e32 v15, 31, v8
	v_cndmask_b32_e32 v14, -1, v16, vcc
	v_xor_b32_e32 v8, v14, v8
	v_xor_b32_e32 v7, v15, v7
	v_cmp_ne_u64_e32 vcc, s[8:9], v[7:8]
	v_cndmask_b32_e32 v15, v16, v8, vcc
	v_cndmask_b32_e32 v14, 0, v7, vcc
	v_lshrrev_b64 v[14:15], s40, v[14:15]
	; wave barrier
	v_and_b32_e32 v15, s18, v14
	v_mul_lo_u32 v14, v15, 36
	v_lshl_add_u32 v34, v31, 2, v14
	v_and_b32_e32 v14, 1, v15
	v_add_co_u32_e32 v16, vcc, -1, v14
	v_addc_co_u32_e64 v32, s[4:5], 0, -1, vcc
	v_cmp_ne_u32_e32 vcc, 0, v14
	v_xor_b32_e32 v14, vcc_hi, v32
	v_and_b32_e32 v32, exec_hi, v14
	v_lshlrev_b32_e32 v14, 30, v15
	v_xor_b32_e32 v16, vcc_lo, v16
	v_cmp_gt_i64_e32 vcc, 0, v[13:14]
	v_not_b32_e32 v14, v14
	v_ashrrev_i32_e32 v14, 31, v14
	v_and_b32_e32 v16, exec_lo, v16
	v_xor_b32_e32 v33, vcc_hi, v14
	v_xor_b32_e32 v14, vcc_lo, v14
	v_and_b32_e32 v16, v16, v14
	v_lshlrev_b32_e32 v14, 29, v15
	v_cmp_gt_i64_e32 vcc, 0, v[13:14]
	v_not_b32_e32 v14, v14
	v_ashrrev_i32_e32 v14, 31, v14
	v_and_b32_e32 v32, v32, v33
	v_xor_b32_e32 v33, vcc_hi, v14
	v_xor_b32_e32 v14, vcc_lo, v14
	v_and_b32_e32 v16, v16, v14
	v_lshlrev_b32_e32 v14, 28, v15
	v_cmp_gt_i64_e32 vcc, 0, v[13:14]
	v_not_b32_e32 v14, v14
	v_ashrrev_i32_e32 v14, 31, v14
	v_and_b32_e32 v32, v32, v33
	;; [unrolled: 8-line block ×5, first 2 shown]
	v_xor_b32_e32 v33, vcc_hi, v14
	v_xor_b32_e32 v14, vcc_lo, v14
	v_and_b32_e32 v16, v16, v14
	v_lshlrev_b32_e32 v14, 24, v15
	v_cmp_gt_i64_e32 vcc, 0, v[13:14]
	v_not_b32_e32 v13, v14
	v_ashrrev_i32_e32 v13, 31, v13
	v_xor_b32_e32 v14, vcc_hi, v13
	v_xor_b32_e32 v13, vcc_lo, v13
	ds_read_b32 v29, v34 offset:32
	v_and_b32_e32 v32, v32, v33
	v_and_b32_e32 v13, v16, v13
	;; [unrolled: 1-line block ×3, first 2 shown]
	v_mbcnt_lo_u32_b32 v15, v13, 0
	v_mbcnt_hi_u32_b32 v32, v14, v15
	v_cmp_ne_u64_e32 vcc, 0, v[13:14]
	v_cmp_eq_u32_e64 s[4:5], 0, v32
	s_and_b64 s[8:9], vcc, s[4:5]
	; wave barrier
	s_and_saveexec_b64 s[4:5], s[8:9]
	s_cbranch_execz .LBB1655_81
; %bb.80:
	v_bcnt_u32_b32 v13, v13, 0
	v_bcnt_u32_b32 v13, v14, v13
	s_waitcnt lgkmcnt(0)
	v_add_u32_e32 v13, v29, v13
	ds_write_b32 v34, v13 offset:32
.LBB1655_81:
	s_or_b64 exec, exec, s[4:5]
	v_cmp_lt_i64_e32 vcc, -1, v[9:10]
	v_bfrev_b32_e32 v16, 1
	s_mov_b32 s8, -1
	v_cndmask_b32_e32 v13, -1, v16, vcc
	v_ashrrev_i32_e32 v14, 31, v10
	s_brev_b32 s9, -2
	v_xor_b32_e32 v10, v13, v10
	v_xor_b32_e32 v9, v14, v9
	v_cmp_ne_u64_e32 vcc, s[8:9], v[9:10]
	v_cndmask_b32_e32 v14, v16, v10, vcc
	v_cndmask_b32_e32 v13, 0, v9, vcc
	v_lshrrev_b64 v[13:14], s40, v[13:14]
	; wave barrier
	v_and_b32_e32 v15, s18, v13
	v_mul_lo_u32 v13, v15, 36
	v_and_b32_e32 v14, 1, v15
	v_add_co_u32_e32 v35, vcc, -1, v14
	v_addc_co_u32_e64 v36, s[4:5], 0, -1, vcc
	v_cmp_ne_u32_e32 vcc, 0, v14
	v_xor_b32_e32 v14, vcc_hi, v36
	v_lshl_add_u32 v37, v31, 2, v13
	v_mov_b32_e32 v13, 0
	v_and_b32_e32 v36, exec_hi, v14
	v_lshlrev_b32_e32 v14, 30, v15
	v_xor_b32_e32 v35, vcc_lo, v35
	v_cmp_gt_i64_e32 vcc, 0, v[13:14]
	v_not_b32_e32 v14, v14
	v_ashrrev_i32_e32 v14, 31, v14
	v_and_b32_e32 v35, exec_lo, v35
	v_xor_b32_e32 v38, vcc_hi, v14
	v_xor_b32_e32 v14, vcc_lo, v14
	v_and_b32_e32 v35, v35, v14
	v_lshlrev_b32_e32 v14, 29, v15
	v_cmp_gt_i64_e32 vcc, 0, v[13:14]
	v_not_b32_e32 v14, v14
	v_ashrrev_i32_e32 v14, 31, v14
	v_and_b32_e32 v36, v36, v38
	v_xor_b32_e32 v38, vcc_hi, v14
	v_xor_b32_e32 v14, vcc_lo, v14
	v_and_b32_e32 v35, v35, v14
	v_lshlrev_b32_e32 v14, 28, v15
	v_cmp_gt_i64_e32 vcc, 0, v[13:14]
	v_not_b32_e32 v14, v14
	v_ashrrev_i32_e32 v14, 31, v14
	v_and_b32_e32 v36, v36, v38
	;; [unrolled: 8-line block ×5, first 2 shown]
	v_xor_b32_e32 v38, vcc_hi, v14
	v_xor_b32_e32 v14, vcc_lo, v14
	v_and_b32_e32 v35, v35, v14
	v_lshlrev_b32_e32 v14, 24, v15
	v_cmp_gt_i64_e32 vcc, 0, v[13:14]
	v_not_b32_e32 v14, v14
	v_ashrrev_i32_e32 v14, 31, v14
	v_xor_b32_e32 v15, vcc_hi, v14
	v_xor_b32_e32 v14, vcc_lo, v14
	ds_read_b32 v33, v37 offset:32
	v_and_b32_e32 v36, v36, v38
	v_and_b32_e32 v14, v35, v14
	;; [unrolled: 1-line block ×3, first 2 shown]
	v_mbcnt_lo_u32_b32 v35, v14, 0
	v_mbcnt_hi_u32_b32 v35, v15, v35
	v_cmp_ne_u64_e32 vcc, 0, v[14:15]
	v_cmp_eq_u32_e64 s[4:5], 0, v35
	s_and_b64 s[10:11], vcc, s[4:5]
	; wave barrier
	s_and_saveexec_b64 s[4:5], s[10:11]
	s_cbranch_execz .LBB1655_83
; %bb.82:
	v_bcnt_u32_b32 v14, v14, 0
	v_bcnt_u32_b32 v14, v15, v14
	s_waitcnt lgkmcnt(0)
	v_add_u32_e32 v14, v33, v14
	ds_write_b32 v37, v14 offset:32
.LBB1655_83:
	s_or_b64 exec, exec, s[4:5]
	v_cmp_lt_i64_e32 vcc, -1, v[11:12]
	v_ashrrev_i32_e32 v14, 31, v12
	v_cndmask_b32_e32 v15, -1, v16, vcc
	v_xor_b32_e32 v12, v15, v12
	v_xor_b32_e32 v11, v14, v11
	v_cmp_ne_u64_e32 vcc, s[8:9], v[11:12]
	v_cndmask_b32_e32 v15, v16, v12, vcc
	v_cndmask_b32_e32 v14, 0, v11, vcc
	v_lshrrev_b64 v[14:15], s40, v[14:15]
	; wave barrier
	v_and_b32_e32 v15, s18, v14
	v_mul_lo_u32 v14, v15, 36
	v_and_b32_e32 v16, 1, v15
	v_lshl_add_u32 v39, v31, 2, v14
	v_add_co_u32_e32 v14, vcc, -1, v16
	v_addc_co_u32_e64 v31, s[4:5], 0, -1, vcc
	v_cmp_ne_u32_e32 vcc, 0, v16
	v_xor_b32_e32 v14, vcc_lo, v14
	v_xor_b32_e32 v16, vcc_hi, v31
	v_and_b32_e32 v31, exec_lo, v14
	v_lshlrev_b32_e32 v14, 30, v15
	v_cmp_gt_i64_e32 vcc, 0, v[13:14]
	v_not_b32_e32 v14, v14
	v_ashrrev_i32_e32 v14, 31, v14
	v_xor_b32_e32 v38, vcc_hi, v14
	v_xor_b32_e32 v14, vcc_lo, v14
	v_and_b32_e32 v31, v31, v14
	v_lshlrev_b32_e32 v14, 29, v15
	v_cmp_gt_i64_e32 vcc, 0, v[13:14]
	v_not_b32_e32 v14, v14
	v_and_b32_e32 v16, exec_hi, v16
	v_ashrrev_i32_e32 v14, 31, v14
	v_and_b32_e32 v16, v16, v38
	v_xor_b32_e32 v38, vcc_hi, v14
	v_xor_b32_e32 v14, vcc_lo, v14
	v_and_b32_e32 v31, v31, v14
	v_lshlrev_b32_e32 v14, 28, v15
	v_cmp_gt_i64_e32 vcc, 0, v[13:14]
	v_not_b32_e32 v14, v14
	v_ashrrev_i32_e32 v14, 31, v14
	v_and_b32_e32 v16, v16, v38
	v_xor_b32_e32 v38, vcc_hi, v14
	v_xor_b32_e32 v14, vcc_lo, v14
	v_and_b32_e32 v31, v31, v14
	v_lshlrev_b32_e32 v14, 27, v15
	v_cmp_gt_i64_e32 vcc, 0, v[13:14]
	v_not_b32_e32 v14, v14
	;; [unrolled: 8-line block ×5, first 2 shown]
	v_ashrrev_i32_e32 v13, 31, v13
	v_xor_b32_e32 v14, vcc_hi, v13
	v_xor_b32_e32 v13, vcc_lo, v13
	ds_read_b32 v36, v39 offset:32
	v_and_b32_e32 v16, v16, v38
	v_and_b32_e32 v13, v31, v13
	;; [unrolled: 1-line block ×3, first 2 shown]
	v_mbcnt_lo_u32_b32 v15, v13, 0
	v_mbcnt_hi_u32_b32 v38, v14, v15
	v_cmp_ne_u64_e32 vcc, 0, v[13:14]
	v_cmp_eq_u32_e64 s[4:5], 0, v38
	s_and_b64 s[8:9], vcc, s[4:5]
	; wave barrier
	s_and_saveexec_b64 s[4:5], s[8:9]
	s_cbranch_execz .LBB1655_85
; %bb.84:
	v_bcnt_u32_b32 v13, v13, 0
	v_bcnt_u32_b32 v13, v14, v13
	s_waitcnt lgkmcnt(0)
	v_add_u32_e32 v13, v36, v13
	ds_write_b32 v39, v13 offset:32
.LBB1655_85:
	s_or_b64 exec, exec, s[4:5]
	; wave barrier
	s_waitcnt lgkmcnt(0)
	s_barrier
	ds_read2_b32 v[15:16], v24 offset0:8 offset1:9
	ds_read2_b32 v[13:14], v24 offset0:10 offset1:11
	ds_read_b32 v31, v24 offset:48
	v_min_u32_e32 v18, 0x1c0, v18
	v_or_b32_e32 v18, 63, v18
	s_waitcnt lgkmcnt(1)
	v_add3_u32 v40, v16, v15, v13
	s_waitcnt lgkmcnt(0)
	v_add3_u32 v31, v40, v14, v31
	v_and_b32_e32 v40, 15, v17
	v_cmp_ne_u32_e32 vcc, 0, v40
	v_mov_b32_dpp v41, v31 row_shr:1 row_mask:0xf bank_mask:0xf
	v_cndmask_b32_e32 v41, 0, v41, vcc
	v_add_u32_e32 v31, v41, v31
	v_cmp_lt_u32_e32 vcc, 1, v40
	s_nop 0
	v_mov_b32_dpp v41, v31 row_shr:2 row_mask:0xf bank_mask:0xf
	v_cndmask_b32_e32 v41, 0, v41, vcc
	v_add_u32_e32 v31, v31, v41
	v_cmp_lt_u32_e32 vcc, 3, v40
	s_nop 0
	;; [unrolled: 5-line block ×3, first 2 shown]
	v_mov_b32_dpp v41, v31 row_shr:8 row_mask:0xf bank_mask:0xf
	v_cndmask_b32_e32 v40, 0, v41, vcc
	v_add_u32_e32 v31, v31, v40
	v_bfe_i32 v41, v17, 4, 1
	v_cmp_lt_u32_e32 vcc, 31, v17
	v_mov_b32_dpp v40, v31 row_bcast:15 row_mask:0xf bank_mask:0xf
	v_and_b32_e32 v40, v41, v40
	v_add_u32_e32 v31, v31, v40
	v_lshrrev_b32_e32 v41, 6, v0
	s_nop 0
	v_mov_b32_dpp v40, v31 row_bcast:31 row_mask:0xf bank_mask:0xf
	v_cndmask_b32_e32 v40, 0, v40, vcc
	v_add_u32_e32 v40, v31, v40
	v_cmp_eq_u32_e32 vcc, v0, v18
	s_and_saveexec_b64 s[4:5], vcc
; %bb.86:
	v_lshlrev_b32_e32 v18, 2, v41
	ds_write_b32 v18, v40
; %bb.87:
	s_or_b64 exec, exec, s[4:5]
	v_cmp_gt_u32_e32 vcc, 8, v0
	v_lshlrev_b32_e32 v31, 2, v0
	s_waitcnt lgkmcnt(0)
	s_barrier
	s_and_saveexec_b64 s[4:5], vcc
	s_cbranch_execz .LBB1655_89
; %bb.88:
	ds_read_b32 v18, v31
	v_and_b32_e32 v42, 7, v17
	v_cmp_ne_u32_e32 vcc, 0, v42
	s_waitcnt lgkmcnt(0)
	v_mov_b32_dpp v43, v18 row_shr:1 row_mask:0xf bank_mask:0xf
	v_cndmask_b32_e32 v43, 0, v43, vcc
	v_add_u32_e32 v18, v43, v18
	v_cmp_lt_u32_e32 vcc, 1, v42
	s_nop 0
	v_mov_b32_dpp v43, v18 row_shr:2 row_mask:0xf bank_mask:0xf
	v_cndmask_b32_e32 v43, 0, v43, vcc
	v_add_u32_e32 v18, v18, v43
	v_cmp_lt_u32_e32 vcc, 3, v42
	s_nop 0
	v_mov_b32_dpp v43, v18 row_shr:4 row_mask:0xf bank_mask:0xf
	v_cndmask_b32_e32 v42, 0, v43, vcc
	v_add_u32_e32 v18, v18, v42
	ds_write_b32 v31, v18
.LBB1655_89:
	s_or_b64 exec, exec, s[4:5]
	v_cmp_lt_u32_e32 vcc, 63, v0
	v_mov_b32_e32 v18, 0
	s_waitcnt lgkmcnt(0)
	s_barrier
	s_and_saveexec_b64 s[4:5], vcc
; %bb.90:
	v_lshl_add_u32 v18, v41, 2, -4
	ds_read_b32 v18, v18
; %bb.91:
	s_or_b64 exec, exec, s[4:5]
	v_subrev_co_u32_e32 v41, vcc, 1, v17
	v_and_b32_e32 v42, 64, v17
	v_cmp_lt_i32_e64 s[4:5], v41, v42
	v_cndmask_b32_e64 v17, v41, v17, s[4:5]
	s_waitcnt lgkmcnt(0)
	v_add_u32_e32 v40, v18, v40
	v_lshlrev_b32_e32 v17, 2, v17
	ds_bpermute_b32 v17, v17, v40
	s_movk_i32 s4, 0xff
	s_movk_i32 s8, 0x100
	s_waitcnt lgkmcnt(0)
	v_cndmask_b32_e32 v17, v17, v18, vcc
	v_cmp_ne_u32_e32 vcc, 0, v0
	v_cndmask_b32_e32 v17, 0, v17, vcc
	v_add_u32_e32 v15, v17, v15
	v_add_u32_e32 v16, v15, v16
	v_add_u32_e32 v13, v16, v13
	v_add_u32_e32 v14, v13, v14
	ds_write2_b32 v24, v17, v15 offset0:8 offset1:9
	ds_write2_b32 v24, v16, v13 offset0:10 offset1:11
	ds_write_b32 v24, v14 offset:48
	s_waitcnt lgkmcnt(0)
	s_barrier
	ds_read_b32 v40, v25 offset:32
	ds_read_b32 v27, v27 offset:32
	;; [unrolled: 1-line block ×6, first 2 shown]
	v_cmp_lt_u32_e32 vcc, s4, v0
	v_cmp_gt_u32_e64 s[4:5], s8, v0
                                        ; implicit-def: $vgpr24
                                        ; implicit-def: $vgpr25
	s_and_saveexec_b64 s[10:11], s[4:5]
	s_cbranch_execz .LBB1655_95
; %bb.92:
	v_mul_u32_u24_e32 v13, 36, v0
	ds_read_b32 v24, v13 offset:32
	v_add_u32_e32 v14, 1, v0
	v_cmp_ne_u32_e64 s[8:9], s8, v14
	v_mov_b32_e32 v13, 0xc00
	s_and_saveexec_b64 s[14:15], s[8:9]
; %bb.93:
	v_mul_u32_u24_e32 v13, 36, v14
	ds_read_b32 v13, v13 offset:32
; %bb.94:
	s_or_b64 exec, exec, s[14:15]
	s_waitcnt lgkmcnt(0)
	v_sub_u32_e32 v25, v13, v24
.LBB1655_95:
	s_or_b64 exec, exec, s[10:11]
	v_mov_b32_e32 v14, 0
	s_waitcnt lgkmcnt(0)
	s_barrier
	s_and_saveexec_b64 s[8:9], s[4:5]
	s_cbranch_execz .LBB1655_105
; %bb.96:
	v_lshl_add_u32 v13, s6, 8, v0
	v_lshlrev_b64 v[15:16], 2, v[13:14]
	v_mov_b32_e32 v41, s35
	v_add_co_u32_e64 v15, s[4:5], s34, v15
	v_addc_co_u32_e64 v16, s[4:5], v41, v16, s[4:5]
	v_or_b32_e32 v13, 2.0, v25
	s_mov_b64 s[10:11], 0
	s_brev_b32 s19, -4
	s_mov_b32 s20, s6
	v_mov_b32_e32 v42, 0
	global_store_dword v[15:16], v13, off
                                        ; implicit-def: $sgpr4_sgpr5
	s_branch .LBB1655_99
.LBB1655_97:                            ;   in Loop: Header=BB1655_99 Depth=1
	s_or_b64 exec, exec, s[16:17]
.LBB1655_98:                            ;   in Loop: Header=BB1655_99 Depth=1
	s_or_b64 exec, exec, s[14:15]
	v_and_b32_e32 v17, 0x3fffffff, v13
	v_add_u32_e32 v42, v17, v42
	v_cmp_gt_i32_e64 s[4:5], -2.0, v13
	s_and_b64 s[14:15], exec, s[4:5]
	s_or_b64 s[10:11], s[14:15], s[10:11]
	s_andn2_b64 exec, exec, s[10:11]
	s_cbranch_execz .LBB1655_104
.LBB1655_99:                            ; =>This Loop Header: Depth=1
                                        ;     Child Loop BB1655_102 Depth 2
	s_or_b64 s[4:5], s[4:5], exec
	s_cmp_eq_u32 s20, 0
	s_cbranch_scc1 .LBB1655_103
; %bb.100:                              ;   in Loop: Header=BB1655_99 Depth=1
	s_add_i32 s20, s20, -1
	v_lshl_or_b32 v13, s20, 8, v0
	v_lshlrev_b64 v[17:18], 2, v[13:14]
	v_add_co_u32_e64 v17, s[4:5], s34, v17
	v_addc_co_u32_e64 v18, s[4:5], v41, v18, s[4:5]
	global_load_dword v13, v[17:18], off glc
	s_waitcnt vmcnt(0)
	v_cmp_gt_u32_e64 s[4:5], 2.0, v13
	s_and_saveexec_b64 s[14:15], s[4:5]
	s_cbranch_execz .LBB1655_98
; %bb.101:                              ;   in Loop: Header=BB1655_99 Depth=1
	s_mov_b64 s[16:17], 0
.LBB1655_102:                           ;   Parent Loop BB1655_99 Depth=1
                                        ; =>  This Inner Loop Header: Depth=2
	global_load_dword v13, v[17:18], off glc
	s_waitcnt vmcnt(0)
	v_cmp_lt_u32_e64 s[4:5], s19, v13
	s_or_b64 s[16:17], s[4:5], s[16:17]
	s_andn2_b64 exec, exec, s[16:17]
	s_cbranch_execnz .LBB1655_102
	s_branch .LBB1655_97
.LBB1655_103:                           ;   in Loop: Header=BB1655_99 Depth=1
                                        ; implicit-def: $sgpr20
	s_and_b64 s[14:15], exec, s[4:5]
	s_or_b64 s[10:11], s[14:15], s[10:11]
	s_andn2_b64 exec, exec, s[10:11]
	s_cbranch_execnz .LBB1655_99
.LBB1655_104:
	s_or_b64 exec, exec, s[10:11]
	v_add_u32_e32 v13, v42, v25
	v_or_b32_e32 v13, 0x80000000, v13
	global_store_dword v[15:16], v13, off
	global_load_dword v13, v31, s[36:37]
	v_sub_u32_e32 v14, v42, v24
	s_waitcnt vmcnt(0)
	v_add_u32_e32 v13, v14, v13
	ds_write_b32 v31, v13
.LBB1655_105:
	s_or_b64 exec, exec, s[8:9]
	s_mov_b32 s14, -1
	v_add_u32_e32 v15, v40, v21
	v_add3_u32 v16, v38, v39, v36
	v_add3_u32 v17, v35, v37, v33
	;; [unrolled: 1-line block ×5, first 2 shown]
	s_mov_b32 s16, 0
	s_mov_b32 s17, 0
	v_add_u32_e32 v23, v31, v31
	s_brev_b32 s15, -2
	v_bfrev_b32_e32 v26, 1
	v_mov_b32_e32 v14, 0
	v_mov_b32_e32 v27, s27
	s_movk_i32 s19, 0x200
	v_mov_b32_e32 v28, v0
.LBB1655_106:                           ; =>This Inner Loop Header: Depth=1
	v_add_u32_e32 v13, s17, v15
	v_add_u32_e32 v32, s17, v18
	;; [unrolled: 1-line block ×6, first 2 shown]
	v_min_u32_e32 v13, 0x400, v13
	v_min_u32_e32 v32, 0x400, v32
	;; [unrolled: 1-line block ×6, first 2 shown]
	v_lshlrev_b32_e32 v13, 3, v13
	v_lshlrev_b32_e32 v32, 3, v32
	;; [unrolled: 1-line block ×6, first 2 shown]
	ds_write_b64 v13, v[3:4] offset:1024
	ds_write_b64 v29, v[1:2] offset:1024
	ds_write_b64 v30, v[5:6] offset:1024
	ds_write_b64 v32, v[7:8] offset:1024
	ds_write_b64 v33, v[9:10] offset:1024
	ds_write_b64 v34, v[11:12] offset:1024
	s_waitcnt lgkmcnt(0)
	s_barrier
	ds_read2st64_b64 v[32:35], v23 offset0:2 offset1:10
	v_mov_b32_e32 v39, s16
	s_addk_i32 s17, 0xfc00
	s_add_i32 s16, s16, 8
	s_cmpk_lg_i32 s17, 0xf400
	s_waitcnt lgkmcnt(0)
	v_cmp_lt_i64_e64 s[8:9], -1, v[32:33]
	v_cmp_lt_i64_e64 s[10:11], -1, v[34:35]
	v_cmp_ne_u64_e64 s[4:5], s[14:15], v[32:33]
	v_cndmask_b32_e64 v13, v26, -1, s[8:9]
	v_cmp_ne_u64_e64 s[8:9], s[14:15], v[34:35]
	v_ashrrev_i32_e32 v29, 31, v33
	v_cndmask_b32_e64 v37, v26, -1, s[10:11]
	v_ashrrev_i32_e32 v38, 31, v35
	v_cndmask_b32_e64 v30, v26, v33, s[4:5]
	v_cndmask_b32_e64 v36, v26, v35, s[8:9]
	v_not_b32_e32 v40, v29
	v_xor_b32_e32 v33, v13, v33
	v_not_b32_e32 v13, v38
	v_xor_b32_e32 v38, v37, v35
	v_cndmask_b32_e64 v29, 0, v32, s[4:5]
	v_cndmask_b32_e64 v35, 0, v34, s[8:9]
	v_xor_b32_e32 v37, v13, v34
	v_lshrrev_b64 v[29:30], s40, v[29:30]
	v_lshrrev_b64 v[34:35], s40, v[35:36]
	v_and_b32_e32 v13, s18, v29
	v_and_b32_e32 v29, s18, v34
	v_lshlrev_b32_e32 v30, 2, v13
	buffer_store_dword v13, v39, s[0:3], 0 offen
	buffer_store_dword v29, v39, s[0:3], 0 offen offset:4
	v_lshlrev_b32_e32 v13, 2, v29
	ds_read_b32 v29, v30
	ds_read_b32 v34, v13
	v_xor_b32_e32 v32, v40, v32
	s_waitcnt lgkmcnt(1)
	v_add_u32_e32 v13, v28, v29
	v_lshlrev_b64 v[29:30], 3, v[13:14]
	s_waitcnt lgkmcnt(0)
	v_add3_u32 v13, v28, v34, s19
	v_lshlrev_b64 v[34:35], 3, v[13:14]
	v_add_co_u32_e64 v29, s[4:5], s26, v29
	v_addc_co_u32_e64 v30, s[4:5], v27, v30, s[4:5]
	global_store_dwordx2 v[29:30], v[32:33], off
	v_add_co_u32_e64 v29, s[4:5], s26, v34
	v_add_u32_e32 v28, 0x400, v28
	v_addc_co_u32_e64 v30, s[4:5], v27, v35, s[4:5]
	global_store_dwordx2 v[29:30], v[37:38], off
	s_waitcnt vmcnt(0)
	s_barrier
	s_cbranch_scc1 .LBB1655_106
; %bb.107:
	s_add_u32 s4, s28, s12
	s_addc_u32 s5, s29, s13
	v_mov_b32_e32 v1, s5
	v_add_co_u32_e64 v2, s[4:5], s4, v19
	v_addc_co_u32_e64 v1, s[4:5], 0, v1, s[4:5]
	v_add_co_u32_e64 v13, s[4:5], v2, v20
	v_addc_co_u32_e64 v14, s[4:5], 0, v1, s[4:5]
	global_load_dwordx2 v[1:2], v[13:14], off
	global_load_dwordx2 v[3:4], v[13:14], off offset:512
	global_load_dwordx2 v[5:6], v[13:14], off offset:1024
	;; [unrolled: 1-line block ×5, first 2 shown]
	v_mov_b32_e32 v14, 0
	s_mov_b32 s8, 0
	s_mov_b32 s9, 0
	v_mov_b32_e32 v19, s31
	s_movk_i32 s10, 0x200
.LBB1655_108:                           ; =>This Inner Loop Header: Depth=1
	v_add_u32_e32 v13, s9, v15
	v_add_u32_e32 v20, s9, v22
	;; [unrolled: 1-line block ×6, first 2 shown]
	v_min_u32_e32 v13, 0x400, v13
	v_min_u32_e32 v20, 0x400, v20
	v_mov_b32_e32 v30, s8
	v_min_u32_e32 v26, 0x400, v26
	v_min_u32_e32 v27, 0x400, v27
	;; [unrolled: 1-line block ×4, first 2 shown]
	v_lshlrev_b32_e32 v13, 3, v13
	v_lshlrev_b32_e32 v20, 3, v20
	;; [unrolled: 1-line block ×6, first 2 shown]
	s_waitcnt vmcnt(5)
	ds_write_b64 v13, v[1:2] offset:1024
	s_waitcnt vmcnt(4)
	ds_write_b64 v20, v[3:4] offset:1024
	;; [unrolled: 2-line block ×6, first 2 shown]
	s_waitcnt lgkmcnt(0)
	s_barrier
	buffer_load_dword v13, v30, s[0:3], 0 offen
	buffer_load_dword v20, v30, s[0:3], 0 offen offset:4
	ds_read2st64_b64 v[26:29], v23 offset0:2 offset1:10
	s_addk_i32 s9, 0xfc00
	s_add_i32 s8, s8, 8
	s_cmpk_lg_i32 s9, 0xf400
	s_waitcnt vmcnt(1)
	v_lshlrev_b32_e32 v13, 2, v13
	s_waitcnt vmcnt(0)
	v_lshlrev_b32_e32 v20, 2, v20
	ds_read_b32 v13, v13
	ds_read_b32 v20, v20
	s_waitcnt lgkmcnt(1)
	v_add_u32_e32 v13, v0, v13
	v_lshlrev_b64 v[32:33], 3, v[13:14]
	s_waitcnt lgkmcnt(0)
	v_add3_u32 v13, v0, v20, s10
	v_lshlrev_b64 v[34:35], 3, v[13:14]
	v_add_co_u32_e64 v32, s[4:5], s30, v32
	v_addc_co_u32_e64 v33, s[4:5], v19, v33, s[4:5]
	global_store_dwordx2 v[32:33], v[26:27], off
	v_add_co_u32_e64 v26, s[4:5], s30, v34
	v_add_u32_e32 v0, 0x400, v0
	v_addc_co_u32_e64 v27, s[4:5], v19, v35, s[4:5]
	global_store_dwordx2 v[26:27], v[28:29], off
	s_waitcnt vmcnt(0)
	s_barrier
	s_cbranch_scc1 .LBB1655_108
; %bb.109:
	s_add_i32 s7, s7, -1
	s_cmp_eq_u32 s6, s7
	s_cselect_b64 s[4:5], -1, 0
	s_xor_b64 s[6:7], vcc, -1
	s_and_b64 s[4:5], s[6:7], s[4:5]
	s_and_saveexec_b64 s[6:7], s[4:5]
	s_cbranch_execz .LBB1655_111
; %bb.110:
	ds_read_b32 v0, v31
	s_waitcnt lgkmcnt(0)
	v_add3_u32 v0, v24, v25, v0
	global_store_dword v31, v0, s[38:39]
.LBB1655_111:
	s_endpgm
	.section	.rodata,"a",@progbits
	.p2align	6, 0x0
	.amdhsa_kernel _ZN7rocprim17ROCPRIM_400000_NS6detail17trampoline_kernelINS0_14default_configENS1_35radix_sort_onesweep_config_selectorIdlEEZZNS1_29radix_sort_onesweep_iterationIS3_Lb0EPdS7_N6thrust23THRUST_200600_302600_NS10device_ptrIlEESB_jNS0_19identity_decomposerENS1_16block_id_wrapperIjLb0EEEEE10hipError_tT1_PNSt15iterator_traitsISG_E10value_typeET2_T3_PNSH_ISM_E10value_typeET4_T5_PSR_SS_PNS1_23onesweep_lookback_stateEbbT6_jjT7_P12ihipStream_tbENKUlT_T0_SG_SL_E_clIS7_S7_SB_PlEEDaSZ_S10_SG_SL_EUlSZ_E_NS1_11comp_targetILNS1_3genE2ELNS1_11target_archE906ELNS1_3gpuE6ELNS1_3repE0EEENS1_47radix_sort_onesweep_sort_config_static_selectorELNS0_4arch9wavefront6targetE1EEEvSG_
		.amdhsa_group_segment_fixed_size 10280
		.amdhsa_private_segment_fixed_size 32
		.amdhsa_kernarg_size 344
		.amdhsa_user_sgpr_count 6
		.amdhsa_user_sgpr_private_segment_buffer 1
		.amdhsa_user_sgpr_dispatch_ptr 0
		.amdhsa_user_sgpr_queue_ptr 0
		.amdhsa_user_sgpr_kernarg_segment_ptr 1
		.amdhsa_user_sgpr_dispatch_id 0
		.amdhsa_user_sgpr_flat_scratch_init 0
		.amdhsa_user_sgpr_private_segment_size 0
		.amdhsa_uses_dynamic_stack 0
		.amdhsa_system_sgpr_private_segment_wavefront_offset 1
		.amdhsa_system_sgpr_workgroup_id_x 1
		.amdhsa_system_sgpr_workgroup_id_y 0
		.amdhsa_system_sgpr_workgroup_id_z 0
		.amdhsa_system_sgpr_workgroup_info 0
		.amdhsa_system_vgpr_workitem_id 2
		.amdhsa_next_free_vgpr 47
		.amdhsa_next_free_sgpr 54
		.amdhsa_reserve_vcc 1
		.amdhsa_reserve_flat_scratch 0
		.amdhsa_float_round_mode_32 0
		.amdhsa_float_round_mode_16_64 0
		.amdhsa_float_denorm_mode_32 3
		.amdhsa_float_denorm_mode_16_64 3
		.amdhsa_dx10_clamp 1
		.amdhsa_ieee_mode 1
		.amdhsa_fp16_overflow 0
		.amdhsa_exception_fp_ieee_invalid_op 0
		.amdhsa_exception_fp_denorm_src 0
		.amdhsa_exception_fp_ieee_div_zero 0
		.amdhsa_exception_fp_ieee_overflow 0
		.amdhsa_exception_fp_ieee_underflow 0
		.amdhsa_exception_fp_ieee_inexact 0
		.amdhsa_exception_int_div_zero 0
	.end_amdhsa_kernel
	.section	.text._ZN7rocprim17ROCPRIM_400000_NS6detail17trampoline_kernelINS0_14default_configENS1_35radix_sort_onesweep_config_selectorIdlEEZZNS1_29radix_sort_onesweep_iterationIS3_Lb0EPdS7_N6thrust23THRUST_200600_302600_NS10device_ptrIlEESB_jNS0_19identity_decomposerENS1_16block_id_wrapperIjLb0EEEEE10hipError_tT1_PNSt15iterator_traitsISG_E10value_typeET2_T3_PNSH_ISM_E10value_typeET4_T5_PSR_SS_PNS1_23onesweep_lookback_stateEbbT6_jjT7_P12ihipStream_tbENKUlT_T0_SG_SL_E_clIS7_S7_SB_PlEEDaSZ_S10_SG_SL_EUlSZ_E_NS1_11comp_targetILNS1_3genE2ELNS1_11target_archE906ELNS1_3gpuE6ELNS1_3repE0EEENS1_47radix_sort_onesweep_sort_config_static_selectorELNS0_4arch9wavefront6targetE1EEEvSG_,"axG",@progbits,_ZN7rocprim17ROCPRIM_400000_NS6detail17trampoline_kernelINS0_14default_configENS1_35radix_sort_onesweep_config_selectorIdlEEZZNS1_29radix_sort_onesweep_iterationIS3_Lb0EPdS7_N6thrust23THRUST_200600_302600_NS10device_ptrIlEESB_jNS0_19identity_decomposerENS1_16block_id_wrapperIjLb0EEEEE10hipError_tT1_PNSt15iterator_traitsISG_E10value_typeET2_T3_PNSH_ISM_E10value_typeET4_T5_PSR_SS_PNS1_23onesweep_lookback_stateEbbT6_jjT7_P12ihipStream_tbENKUlT_T0_SG_SL_E_clIS7_S7_SB_PlEEDaSZ_S10_SG_SL_EUlSZ_E_NS1_11comp_targetILNS1_3genE2ELNS1_11target_archE906ELNS1_3gpuE6ELNS1_3repE0EEENS1_47radix_sort_onesweep_sort_config_static_selectorELNS0_4arch9wavefront6targetE1EEEvSG_,comdat
.Lfunc_end1655:
	.size	_ZN7rocprim17ROCPRIM_400000_NS6detail17trampoline_kernelINS0_14default_configENS1_35radix_sort_onesweep_config_selectorIdlEEZZNS1_29radix_sort_onesweep_iterationIS3_Lb0EPdS7_N6thrust23THRUST_200600_302600_NS10device_ptrIlEESB_jNS0_19identity_decomposerENS1_16block_id_wrapperIjLb0EEEEE10hipError_tT1_PNSt15iterator_traitsISG_E10value_typeET2_T3_PNSH_ISM_E10value_typeET4_T5_PSR_SS_PNS1_23onesweep_lookback_stateEbbT6_jjT7_P12ihipStream_tbENKUlT_T0_SG_SL_E_clIS7_S7_SB_PlEEDaSZ_S10_SG_SL_EUlSZ_E_NS1_11comp_targetILNS1_3genE2ELNS1_11target_archE906ELNS1_3gpuE6ELNS1_3repE0EEENS1_47radix_sort_onesweep_sort_config_static_selectorELNS0_4arch9wavefront6targetE1EEEvSG_, .Lfunc_end1655-_ZN7rocprim17ROCPRIM_400000_NS6detail17trampoline_kernelINS0_14default_configENS1_35radix_sort_onesweep_config_selectorIdlEEZZNS1_29radix_sort_onesweep_iterationIS3_Lb0EPdS7_N6thrust23THRUST_200600_302600_NS10device_ptrIlEESB_jNS0_19identity_decomposerENS1_16block_id_wrapperIjLb0EEEEE10hipError_tT1_PNSt15iterator_traitsISG_E10value_typeET2_T3_PNSH_ISM_E10value_typeET4_T5_PSR_SS_PNS1_23onesweep_lookback_stateEbbT6_jjT7_P12ihipStream_tbENKUlT_T0_SG_SL_E_clIS7_S7_SB_PlEEDaSZ_S10_SG_SL_EUlSZ_E_NS1_11comp_targetILNS1_3genE2ELNS1_11target_archE906ELNS1_3gpuE6ELNS1_3repE0EEENS1_47radix_sort_onesweep_sort_config_static_selectorELNS0_4arch9wavefront6targetE1EEEvSG_
                                        ; -- End function
	.set _ZN7rocprim17ROCPRIM_400000_NS6detail17trampoline_kernelINS0_14default_configENS1_35radix_sort_onesweep_config_selectorIdlEEZZNS1_29radix_sort_onesweep_iterationIS3_Lb0EPdS7_N6thrust23THRUST_200600_302600_NS10device_ptrIlEESB_jNS0_19identity_decomposerENS1_16block_id_wrapperIjLb0EEEEE10hipError_tT1_PNSt15iterator_traitsISG_E10value_typeET2_T3_PNSH_ISM_E10value_typeET4_T5_PSR_SS_PNS1_23onesweep_lookback_stateEbbT6_jjT7_P12ihipStream_tbENKUlT_T0_SG_SL_E_clIS7_S7_SB_PlEEDaSZ_S10_SG_SL_EUlSZ_E_NS1_11comp_targetILNS1_3genE2ELNS1_11target_archE906ELNS1_3gpuE6ELNS1_3repE0EEENS1_47radix_sort_onesweep_sort_config_static_selectorELNS0_4arch9wavefront6targetE1EEEvSG_.num_vgpr, 47
	.set _ZN7rocprim17ROCPRIM_400000_NS6detail17trampoline_kernelINS0_14default_configENS1_35radix_sort_onesweep_config_selectorIdlEEZZNS1_29radix_sort_onesweep_iterationIS3_Lb0EPdS7_N6thrust23THRUST_200600_302600_NS10device_ptrIlEESB_jNS0_19identity_decomposerENS1_16block_id_wrapperIjLb0EEEEE10hipError_tT1_PNSt15iterator_traitsISG_E10value_typeET2_T3_PNSH_ISM_E10value_typeET4_T5_PSR_SS_PNS1_23onesweep_lookback_stateEbbT6_jjT7_P12ihipStream_tbENKUlT_T0_SG_SL_E_clIS7_S7_SB_PlEEDaSZ_S10_SG_SL_EUlSZ_E_NS1_11comp_targetILNS1_3genE2ELNS1_11target_archE906ELNS1_3gpuE6ELNS1_3repE0EEENS1_47radix_sort_onesweep_sort_config_static_selectorELNS0_4arch9wavefront6targetE1EEEvSG_.num_agpr, 0
	.set _ZN7rocprim17ROCPRIM_400000_NS6detail17trampoline_kernelINS0_14default_configENS1_35radix_sort_onesweep_config_selectorIdlEEZZNS1_29radix_sort_onesweep_iterationIS3_Lb0EPdS7_N6thrust23THRUST_200600_302600_NS10device_ptrIlEESB_jNS0_19identity_decomposerENS1_16block_id_wrapperIjLb0EEEEE10hipError_tT1_PNSt15iterator_traitsISG_E10value_typeET2_T3_PNSH_ISM_E10value_typeET4_T5_PSR_SS_PNS1_23onesweep_lookback_stateEbbT6_jjT7_P12ihipStream_tbENKUlT_T0_SG_SL_E_clIS7_S7_SB_PlEEDaSZ_S10_SG_SL_EUlSZ_E_NS1_11comp_targetILNS1_3genE2ELNS1_11target_archE906ELNS1_3gpuE6ELNS1_3repE0EEENS1_47radix_sort_onesweep_sort_config_static_selectorELNS0_4arch9wavefront6targetE1EEEvSG_.numbered_sgpr, 54
	.set _ZN7rocprim17ROCPRIM_400000_NS6detail17trampoline_kernelINS0_14default_configENS1_35radix_sort_onesweep_config_selectorIdlEEZZNS1_29radix_sort_onesweep_iterationIS3_Lb0EPdS7_N6thrust23THRUST_200600_302600_NS10device_ptrIlEESB_jNS0_19identity_decomposerENS1_16block_id_wrapperIjLb0EEEEE10hipError_tT1_PNSt15iterator_traitsISG_E10value_typeET2_T3_PNSH_ISM_E10value_typeET4_T5_PSR_SS_PNS1_23onesweep_lookback_stateEbbT6_jjT7_P12ihipStream_tbENKUlT_T0_SG_SL_E_clIS7_S7_SB_PlEEDaSZ_S10_SG_SL_EUlSZ_E_NS1_11comp_targetILNS1_3genE2ELNS1_11target_archE906ELNS1_3gpuE6ELNS1_3repE0EEENS1_47radix_sort_onesweep_sort_config_static_selectorELNS0_4arch9wavefront6targetE1EEEvSG_.num_named_barrier, 0
	.set _ZN7rocprim17ROCPRIM_400000_NS6detail17trampoline_kernelINS0_14default_configENS1_35radix_sort_onesweep_config_selectorIdlEEZZNS1_29radix_sort_onesweep_iterationIS3_Lb0EPdS7_N6thrust23THRUST_200600_302600_NS10device_ptrIlEESB_jNS0_19identity_decomposerENS1_16block_id_wrapperIjLb0EEEEE10hipError_tT1_PNSt15iterator_traitsISG_E10value_typeET2_T3_PNSH_ISM_E10value_typeET4_T5_PSR_SS_PNS1_23onesweep_lookback_stateEbbT6_jjT7_P12ihipStream_tbENKUlT_T0_SG_SL_E_clIS7_S7_SB_PlEEDaSZ_S10_SG_SL_EUlSZ_E_NS1_11comp_targetILNS1_3genE2ELNS1_11target_archE906ELNS1_3gpuE6ELNS1_3repE0EEENS1_47radix_sort_onesweep_sort_config_static_selectorELNS0_4arch9wavefront6targetE1EEEvSG_.private_seg_size, 32
	.set _ZN7rocprim17ROCPRIM_400000_NS6detail17trampoline_kernelINS0_14default_configENS1_35radix_sort_onesweep_config_selectorIdlEEZZNS1_29radix_sort_onesweep_iterationIS3_Lb0EPdS7_N6thrust23THRUST_200600_302600_NS10device_ptrIlEESB_jNS0_19identity_decomposerENS1_16block_id_wrapperIjLb0EEEEE10hipError_tT1_PNSt15iterator_traitsISG_E10value_typeET2_T3_PNSH_ISM_E10value_typeET4_T5_PSR_SS_PNS1_23onesweep_lookback_stateEbbT6_jjT7_P12ihipStream_tbENKUlT_T0_SG_SL_E_clIS7_S7_SB_PlEEDaSZ_S10_SG_SL_EUlSZ_E_NS1_11comp_targetILNS1_3genE2ELNS1_11target_archE906ELNS1_3gpuE6ELNS1_3repE0EEENS1_47radix_sort_onesweep_sort_config_static_selectorELNS0_4arch9wavefront6targetE1EEEvSG_.uses_vcc, 1
	.set _ZN7rocprim17ROCPRIM_400000_NS6detail17trampoline_kernelINS0_14default_configENS1_35radix_sort_onesweep_config_selectorIdlEEZZNS1_29radix_sort_onesweep_iterationIS3_Lb0EPdS7_N6thrust23THRUST_200600_302600_NS10device_ptrIlEESB_jNS0_19identity_decomposerENS1_16block_id_wrapperIjLb0EEEEE10hipError_tT1_PNSt15iterator_traitsISG_E10value_typeET2_T3_PNSH_ISM_E10value_typeET4_T5_PSR_SS_PNS1_23onesweep_lookback_stateEbbT6_jjT7_P12ihipStream_tbENKUlT_T0_SG_SL_E_clIS7_S7_SB_PlEEDaSZ_S10_SG_SL_EUlSZ_E_NS1_11comp_targetILNS1_3genE2ELNS1_11target_archE906ELNS1_3gpuE6ELNS1_3repE0EEENS1_47radix_sort_onesweep_sort_config_static_selectorELNS0_4arch9wavefront6targetE1EEEvSG_.uses_flat_scratch, 0
	.set _ZN7rocprim17ROCPRIM_400000_NS6detail17trampoline_kernelINS0_14default_configENS1_35radix_sort_onesweep_config_selectorIdlEEZZNS1_29radix_sort_onesweep_iterationIS3_Lb0EPdS7_N6thrust23THRUST_200600_302600_NS10device_ptrIlEESB_jNS0_19identity_decomposerENS1_16block_id_wrapperIjLb0EEEEE10hipError_tT1_PNSt15iterator_traitsISG_E10value_typeET2_T3_PNSH_ISM_E10value_typeET4_T5_PSR_SS_PNS1_23onesweep_lookback_stateEbbT6_jjT7_P12ihipStream_tbENKUlT_T0_SG_SL_E_clIS7_S7_SB_PlEEDaSZ_S10_SG_SL_EUlSZ_E_NS1_11comp_targetILNS1_3genE2ELNS1_11target_archE906ELNS1_3gpuE6ELNS1_3repE0EEENS1_47radix_sort_onesweep_sort_config_static_selectorELNS0_4arch9wavefront6targetE1EEEvSG_.has_dyn_sized_stack, 0
	.set _ZN7rocprim17ROCPRIM_400000_NS6detail17trampoline_kernelINS0_14default_configENS1_35radix_sort_onesweep_config_selectorIdlEEZZNS1_29radix_sort_onesweep_iterationIS3_Lb0EPdS7_N6thrust23THRUST_200600_302600_NS10device_ptrIlEESB_jNS0_19identity_decomposerENS1_16block_id_wrapperIjLb0EEEEE10hipError_tT1_PNSt15iterator_traitsISG_E10value_typeET2_T3_PNSH_ISM_E10value_typeET4_T5_PSR_SS_PNS1_23onesweep_lookback_stateEbbT6_jjT7_P12ihipStream_tbENKUlT_T0_SG_SL_E_clIS7_S7_SB_PlEEDaSZ_S10_SG_SL_EUlSZ_E_NS1_11comp_targetILNS1_3genE2ELNS1_11target_archE906ELNS1_3gpuE6ELNS1_3repE0EEENS1_47radix_sort_onesweep_sort_config_static_selectorELNS0_4arch9wavefront6targetE1EEEvSG_.has_recursion, 0
	.set _ZN7rocprim17ROCPRIM_400000_NS6detail17trampoline_kernelINS0_14default_configENS1_35radix_sort_onesweep_config_selectorIdlEEZZNS1_29radix_sort_onesweep_iterationIS3_Lb0EPdS7_N6thrust23THRUST_200600_302600_NS10device_ptrIlEESB_jNS0_19identity_decomposerENS1_16block_id_wrapperIjLb0EEEEE10hipError_tT1_PNSt15iterator_traitsISG_E10value_typeET2_T3_PNSH_ISM_E10value_typeET4_T5_PSR_SS_PNS1_23onesweep_lookback_stateEbbT6_jjT7_P12ihipStream_tbENKUlT_T0_SG_SL_E_clIS7_S7_SB_PlEEDaSZ_S10_SG_SL_EUlSZ_E_NS1_11comp_targetILNS1_3genE2ELNS1_11target_archE906ELNS1_3gpuE6ELNS1_3repE0EEENS1_47radix_sort_onesweep_sort_config_static_selectorELNS0_4arch9wavefront6targetE1EEEvSG_.has_indirect_call, 0
	.section	.AMDGPU.csdata,"",@progbits
; Kernel info:
; codeLenInByte = 10508
; TotalNumSgprs: 58
; NumVgprs: 47
; ScratchSize: 32
; MemoryBound: 0
; FloatMode: 240
; IeeeMode: 1
; LDSByteSize: 10280 bytes/workgroup (compile time only)
; SGPRBlocks: 7
; VGPRBlocks: 11
; NumSGPRsForWavesPerEU: 58
; NumVGPRsForWavesPerEU: 47
; Occupancy: 5
; WaveLimiterHint : 1
; COMPUTE_PGM_RSRC2:SCRATCH_EN: 1
; COMPUTE_PGM_RSRC2:USER_SGPR: 6
; COMPUTE_PGM_RSRC2:TRAP_HANDLER: 0
; COMPUTE_PGM_RSRC2:TGID_X_EN: 1
; COMPUTE_PGM_RSRC2:TGID_Y_EN: 0
; COMPUTE_PGM_RSRC2:TGID_Z_EN: 0
; COMPUTE_PGM_RSRC2:TIDIG_COMP_CNT: 2
	.section	.text._ZN7rocprim17ROCPRIM_400000_NS6detail17trampoline_kernelINS0_14default_configENS1_35radix_sort_onesweep_config_selectorIdlEEZZNS1_29radix_sort_onesweep_iterationIS3_Lb0EPdS7_N6thrust23THRUST_200600_302600_NS10device_ptrIlEESB_jNS0_19identity_decomposerENS1_16block_id_wrapperIjLb0EEEEE10hipError_tT1_PNSt15iterator_traitsISG_E10value_typeET2_T3_PNSH_ISM_E10value_typeET4_T5_PSR_SS_PNS1_23onesweep_lookback_stateEbbT6_jjT7_P12ihipStream_tbENKUlT_T0_SG_SL_E_clIS7_S7_SB_PlEEDaSZ_S10_SG_SL_EUlSZ_E_NS1_11comp_targetILNS1_3genE4ELNS1_11target_archE910ELNS1_3gpuE8ELNS1_3repE0EEENS1_47radix_sort_onesweep_sort_config_static_selectorELNS0_4arch9wavefront6targetE1EEEvSG_,"axG",@progbits,_ZN7rocprim17ROCPRIM_400000_NS6detail17trampoline_kernelINS0_14default_configENS1_35radix_sort_onesweep_config_selectorIdlEEZZNS1_29radix_sort_onesweep_iterationIS3_Lb0EPdS7_N6thrust23THRUST_200600_302600_NS10device_ptrIlEESB_jNS0_19identity_decomposerENS1_16block_id_wrapperIjLb0EEEEE10hipError_tT1_PNSt15iterator_traitsISG_E10value_typeET2_T3_PNSH_ISM_E10value_typeET4_T5_PSR_SS_PNS1_23onesweep_lookback_stateEbbT6_jjT7_P12ihipStream_tbENKUlT_T0_SG_SL_E_clIS7_S7_SB_PlEEDaSZ_S10_SG_SL_EUlSZ_E_NS1_11comp_targetILNS1_3genE4ELNS1_11target_archE910ELNS1_3gpuE8ELNS1_3repE0EEENS1_47radix_sort_onesweep_sort_config_static_selectorELNS0_4arch9wavefront6targetE1EEEvSG_,comdat
	.protected	_ZN7rocprim17ROCPRIM_400000_NS6detail17trampoline_kernelINS0_14default_configENS1_35radix_sort_onesweep_config_selectorIdlEEZZNS1_29radix_sort_onesweep_iterationIS3_Lb0EPdS7_N6thrust23THRUST_200600_302600_NS10device_ptrIlEESB_jNS0_19identity_decomposerENS1_16block_id_wrapperIjLb0EEEEE10hipError_tT1_PNSt15iterator_traitsISG_E10value_typeET2_T3_PNSH_ISM_E10value_typeET4_T5_PSR_SS_PNS1_23onesweep_lookback_stateEbbT6_jjT7_P12ihipStream_tbENKUlT_T0_SG_SL_E_clIS7_S7_SB_PlEEDaSZ_S10_SG_SL_EUlSZ_E_NS1_11comp_targetILNS1_3genE4ELNS1_11target_archE910ELNS1_3gpuE8ELNS1_3repE0EEENS1_47radix_sort_onesweep_sort_config_static_selectorELNS0_4arch9wavefront6targetE1EEEvSG_ ; -- Begin function _ZN7rocprim17ROCPRIM_400000_NS6detail17trampoline_kernelINS0_14default_configENS1_35radix_sort_onesweep_config_selectorIdlEEZZNS1_29radix_sort_onesweep_iterationIS3_Lb0EPdS7_N6thrust23THRUST_200600_302600_NS10device_ptrIlEESB_jNS0_19identity_decomposerENS1_16block_id_wrapperIjLb0EEEEE10hipError_tT1_PNSt15iterator_traitsISG_E10value_typeET2_T3_PNSH_ISM_E10value_typeET4_T5_PSR_SS_PNS1_23onesweep_lookback_stateEbbT6_jjT7_P12ihipStream_tbENKUlT_T0_SG_SL_E_clIS7_S7_SB_PlEEDaSZ_S10_SG_SL_EUlSZ_E_NS1_11comp_targetILNS1_3genE4ELNS1_11target_archE910ELNS1_3gpuE8ELNS1_3repE0EEENS1_47radix_sort_onesweep_sort_config_static_selectorELNS0_4arch9wavefront6targetE1EEEvSG_
	.globl	_ZN7rocprim17ROCPRIM_400000_NS6detail17trampoline_kernelINS0_14default_configENS1_35radix_sort_onesweep_config_selectorIdlEEZZNS1_29radix_sort_onesweep_iterationIS3_Lb0EPdS7_N6thrust23THRUST_200600_302600_NS10device_ptrIlEESB_jNS0_19identity_decomposerENS1_16block_id_wrapperIjLb0EEEEE10hipError_tT1_PNSt15iterator_traitsISG_E10value_typeET2_T3_PNSH_ISM_E10value_typeET4_T5_PSR_SS_PNS1_23onesweep_lookback_stateEbbT6_jjT7_P12ihipStream_tbENKUlT_T0_SG_SL_E_clIS7_S7_SB_PlEEDaSZ_S10_SG_SL_EUlSZ_E_NS1_11comp_targetILNS1_3genE4ELNS1_11target_archE910ELNS1_3gpuE8ELNS1_3repE0EEENS1_47radix_sort_onesweep_sort_config_static_selectorELNS0_4arch9wavefront6targetE1EEEvSG_
	.p2align	8
	.type	_ZN7rocprim17ROCPRIM_400000_NS6detail17trampoline_kernelINS0_14default_configENS1_35radix_sort_onesweep_config_selectorIdlEEZZNS1_29radix_sort_onesweep_iterationIS3_Lb0EPdS7_N6thrust23THRUST_200600_302600_NS10device_ptrIlEESB_jNS0_19identity_decomposerENS1_16block_id_wrapperIjLb0EEEEE10hipError_tT1_PNSt15iterator_traitsISG_E10value_typeET2_T3_PNSH_ISM_E10value_typeET4_T5_PSR_SS_PNS1_23onesweep_lookback_stateEbbT6_jjT7_P12ihipStream_tbENKUlT_T0_SG_SL_E_clIS7_S7_SB_PlEEDaSZ_S10_SG_SL_EUlSZ_E_NS1_11comp_targetILNS1_3genE4ELNS1_11target_archE910ELNS1_3gpuE8ELNS1_3repE0EEENS1_47radix_sort_onesweep_sort_config_static_selectorELNS0_4arch9wavefront6targetE1EEEvSG_,@function
_ZN7rocprim17ROCPRIM_400000_NS6detail17trampoline_kernelINS0_14default_configENS1_35radix_sort_onesweep_config_selectorIdlEEZZNS1_29radix_sort_onesweep_iterationIS3_Lb0EPdS7_N6thrust23THRUST_200600_302600_NS10device_ptrIlEESB_jNS0_19identity_decomposerENS1_16block_id_wrapperIjLb0EEEEE10hipError_tT1_PNSt15iterator_traitsISG_E10value_typeET2_T3_PNSH_ISM_E10value_typeET4_T5_PSR_SS_PNS1_23onesweep_lookback_stateEbbT6_jjT7_P12ihipStream_tbENKUlT_T0_SG_SL_E_clIS7_S7_SB_PlEEDaSZ_S10_SG_SL_EUlSZ_E_NS1_11comp_targetILNS1_3genE4ELNS1_11target_archE910ELNS1_3gpuE8ELNS1_3repE0EEENS1_47radix_sort_onesweep_sort_config_static_selectorELNS0_4arch9wavefront6targetE1EEEvSG_: ; @_ZN7rocprim17ROCPRIM_400000_NS6detail17trampoline_kernelINS0_14default_configENS1_35radix_sort_onesweep_config_selectorIdlEEZZNS1_29radix_sort_onesweep_iterationIS3_Lb0EPdS7_N6thrust23THRUST_200600_302600_NS10device_ptrIlEESB_jNS0_19identity_decomposerENS1_16block_id_wrapperIjLb0EEEEE10hipError_tT1_PNSt15iterator_traitsISG_E10value_typeET2_T3_PNSH_ISM_E10value_typeET4_T5_PSR_SS_PNS1_23onesweep_lookback_stateEbbT6_jjT7_P12ihipStream_tbENKUlT_T0_SG_SL_E_clIS7_S7_SB_PlEEDaSZ_S10_SG_SL_EUlSZ_E_NS1_11comp_targetILNS1_3genE4ELNS1_11target_archE910ELNS1_3gpuE8ELNS1_3repE0EEENS1_47radix_sort_onesweep_sort_config_static_selectorELNS0_4arch9wavefront6targetE1EEEvSG_
; %bb.0:
	.section	.rodata,"a",@progbits
	.p2align	6, 0x0
	.amdhsa_kernel _ZN7rocprim17ROCPRIM_400000_NS6detail17trampoline_kernelINS0_14default_configENS1_35radix_sort_onesweep_config_selectorIdlEEZZNS1_29radix_sort_onesweep_iterationIS3_Lb0EPdS7_N6thrust23THRUST_200600_302600_NS10device_ptrIlEESB_jNS0_19identity_decomposerENS1_16block_id_wrapperIjLb0EEEEE10hipError_tT1_PNSt15iterator_traitsISG_E10value_typeET2_T3_PNSH_ISM_E10value_typeET4_T5_PSR_SS_PNS1_23onesweep_lookback_stateEbbT6_jjT7_P12ihipStream_tbENKUlT_T0_SG_SL_E_clIS7_S7_SB_PlEEDaSZ_S10_SG_SL_EUlSZ_E_NS1_11comp_targetILNS1_3genE4ELNS1_11target_archE910ELNS1_3gpuE8ELNS1_3repE0EEENS1_47radix_sort_onesweep_sort_config_static_selectorELNS0_4arch9wavefront6targetE1EEEvSG_
		.amdhsa_group_segment_fixed_size 0
		.amdhsa_private_segment_fixed_size 0
		.amdhsa_kernarg_size 88
		.amdhsa_user_sgpr_count 6
		.amdhsa_user_sgpr_private_segment_buffer 1
		.amdhsa_user_sgpr_dispatch_ptr 0
		.amdhsa_user_sgpr_queue_ptr 0
		.amdhsa_user_sgpr_kernarg_segment_ptr 1
		.amdhsa_user_sgpr_dispatch_id 0
		.amdhsa_user_sgpr_flat_scratch_init 0
		.amdhsa_user_sgpr_private_segment_size 0
		.amdhsa_uses_dynamic_stack 0
		.amdhsa_system_sgpr_private_segment_wavefront_offset 0
		.amdhsa_system_sgpr_workgroup_id_x 1
		.amdhsa_system_sgpr_workgroup_id_y 0
		.amdhsa_system_sgpr_workgroup_id_z 0
		.amdhsa_system_sgpr_workgroup_info 0
		.amdhsa_system_vgpr_workitem_id 0
		.amdhsa_next_free_vgpr 1
		.amdhsa_next_free_sgpr 0
		.amdhsa_reserve_vcc 0
		.amdhsa_reserve_flat_scratch 0
		.amdhsa_float_round_mode_32 0
		.amdhsa_float_round_mode_16_64 0
		.amdhsa_float_denorm_mode_32 3
		.amdhsa_float_denorm_mode_16_64 3
		.amdhsa_dx10_clamp 1
		.amdhsa_ieee_mode 1
		.amdhsa_fp16_overflow 0
		.amdhsa_exception_fp_ieee_invalid_op 0
		.amdhsa_exception_fp_denorm_src 0
		.amdhsa_exception_fp_ieee_div_zero 0
		.amdhsa_exception_fp_ieee_overflow 0
		.amdhsa_exception_fp_ieee_underflow 0
		.amdhsa_exception_fp_ieee_inexact 0
		.amdhsa_exception_int_div_zero 0
	.end_amdhsa_kernel
	.section	.text._ZN7rocprim17ROCPRIM_400000_NS6detail17trampoline_kernelINS0_14default_configENS1_35radix_sort_onesweep_config_selectorIdlEEZZNS1_29radix_sort_onesweep_iterationIS3_Lb0EPdS7_N6thrust23THRUST_200600_302600_NS10device_ptrIlEESB_jNS0_19identity_decomposerENS1_16block_id_wrapperIjLb0EEEEE10hipError_tT1_PNSt15iterator_traitsISG_E10value_typeET2_T3_PNSH_ISM_E10value_typeET4_T5_PSR_SS_PNS1_23onesweep_lookback_stateEbbT6_jjT7_P12ihipStream_tbENKUlT_T0_SG_SL_E_clIS7_S7_SB_PlEEDaSZ_S10_SG_SL_EUlSZ_E_NS1_11comp_targetILNS1_3genE4ELNS1_11target_archE910ELNS1_3gpuE8ELNS1_3repE0EEENS1_47radix_sort_onesweep_sort_config_static_selectorELNS0_4arch9wavefront6targetE1EEEvSG_,"axG",@progbits,_ZN7rocprim17ROCPRIM_400000_NS6detail17trampoline_kernelINS0_14default_configENS1_35radix_sort_onesweep_config_selectorIdlEEZZNS1_29radix_sort_onesweep_iterationIS3_Lb0EPdS7_N6thrust23THRUST_200600_302600_NS10device_ptrIlEESB_jNS0_19identity_decomposerENS1_16block_id_wrapperIjLb0EEEEE10hipError_tT1_PNSt15iterator_traitsISG_E10value_typeET2_T3_PNSH_ISM_E10value_typeET4_T5_PSR_SS_PNS1_23onesweep_lookback_stateEbbT6_jjT7_P12ihipStream_tbENKUlT_T0_SG_SL_E_clIS7_S7_SB_PlEEDaSZ_S10_SG_SL_EUlSZ_E_NS1_11comp_targetILNS1_3genE4ELNS1_11target_archE910ELNS1_3gpuE8ELNS1_3repE0EEENS1_47radix_sort_onesweep_sort_config_static_selectorELNS0_4arch9wavefront6targetE1EEEvSG_,comdat
.Lfunc_end1656:
	.size	_ZN7rocprim17ROCPRIM_400000_NS6detail17trampoline_kernelINS0_14default_configENS1_35radix_sort_onesweep_config_selectorIdlEEZZNS1_29radix_sort_onesweep_iterationIS3_Lb0EPdS7_N6thrust23THRUST_200600_302600_NS10device_ptrIlEESB_jNS0_19identity_decomposerENS1_16block_id_wrapperIjLb0EEEEE10hipError_tT1_PNSt15iterator_traitsISG_E10value_typeET2_T3_PNSH_ISM_E10value_typeET4_T5_PSR_SS_PNS1_23onesweep_lookback_stateEbbT6_jjT7_P12ihipStream_tbENKUlT_T0_SG_SL_E_clIS7_S7_SB_PlEEDaSZ_S10_SG_SL_EUlSZ_E_NS1_11comp_targetILNS1_3genE4ELNS1_11target_archE910ELNS1_3gpuE8ELNS1_3repE0EEENS1_47radix_sort_onesweep_sort_config_static_selectorELNS0_4arch9wavefront6targetE1EEEvSG_, .Lfunc_end1656-_ZN7rocprim17ROCPRIM_400000_NS6detail17trampoline_kernelINS0_14default_configENS1_35radix_sort_onesweep_config_selectorIdlEEZZNS1_29radix_sort_onesweep_iterationIS3_Lb0EPdS7_N6thrust23THRUST_200600_302600_NS10device_ptrIlEESB_jNS0_19identity_decomposerENS1_16block_id_wrapperIjLb0EEEEE10hipError_tT1_PNSt15iterator_traitsISG_E10value_typeET2_T3_PNSH_ISM_E10value_typeET4_T5_PSR_SS_PNS1_23onesweep_lookback_stateEbbT6_jjT7_P12ihipStream_tbENKUlT_T0_SG_SL_E_clIS7_S7_SB_PlEEDaSZ_S10_SG_SL_EUlSZ_E_NS1_11comp_targetILNS1_3genE4ELNS1_11target_archE910ELNS1_3gpuE8ELNS1_3repE0EEENS1_47radix_sort_onesweep_sort_config_static_selectorELNS0_4arch9wavefront6targetE1EEEvSG_
                                        ; -- End function
	.set _ZN7rocprim17ROCPRIM_400000_NS6detail17trampoline_kernelINS0_14default_configENS1_35radix_sort_onesweep_config_selectorIdlEEZZNS1_29radix_sort_onesweep_iterationIS3_Lb0EPdS7_N6thrust23THRUST_200600_302600_NS10device_ptrIlEESB_jNS0_19identity_decomposerENS1_16block_id_wrapperIjLb0EEEEE10hipError_tT1_PNSt15iterator_traitsISG_E10value_typeET2_T3_PNSH_ISM_E10value_typeET4_T5_PSR_SS_PNS1_23onesweep_lookback_stateEbbT6_jjT7_P12ihipStream_tbENKUlT_T0_SG_SL_E_clIS7_S7_SB_PlEEDaSZ_S10_SG_SL_EUlSZ_E_NS1_11comp_targetILNS1_3genE4ELNS1_11target_archE910ELNS1_3gpuE8ELNS1_3repE0EEENS1_47radix_sort_onesweep_sort_config_static_selectorELNS0_4arch9wavefront6targetE1EEEvSG_.num_vgpr, 0
	.set _ZN7rocprim17ROCPRIM_400000_NS6detail17trampoline_kernelINS0_14default_configENS1_35radix_sort_onesweep_config_selectorIdlEEZZNS1_29radix_sort_onesweep_iterationIS3_Lb0EPdS7_N6thrust23THRUST_200600_302600_NS10device_ptrIlEESB_jNS0_19identity_decomposerENS1_16block_id_wrapperIjLb0EEEEE10hipError_tT1_PNSt15iterator_traitsISG_E10value_typeET2_T3_PNSH_ISM_E10value_typeET4_T5_PSR_SS_PNS1_23onesweep_lookback_stateEbbT6_jjT7_P12ihipStream_tbENKUlT_T0_SG_SL_E_clIS7_S7_SB_PlEEDaSZ_S10_SG_SL_EUlSZ_E_NS1_11comp_targetILNS1_3genE4ELNS1_11target_archE910ELNS1_3gpuE8ELNS1_3repE0EEENS1_47radix_sort_onesweep_sort_config_static_selectorELNS0_4arch9wavefront6targetE1EEEvSG_.num_agpr, 0
	.set _ZN7rocprim17ROCPRIM_400000_NS6detail17trampoline_kernelINS0_14default_configENS1_35radix_sort_onesweep_config_selectorIdlEEZZNS1_29radix_sort_onesweep_iterationIS3_Lb0EPdS7_N6thrust23THRUST_200600_302600_NS10device_ptrIlEESB_jNS0_19identity_decomposerENS1_16block_id_wrapperIjLb0EEEEE10hipError_tT1_PNSt15iterator_traitsISG_E10value_typeET2_T3_PNSH_ISM_E10value_typeET4_T5_PSR_SS_PNS1_23onesweep_lookback_stateEbbT6_jjT7_P12ihipStream_tbENKUlT_T0_SG_SL_E_clIS7_S7_SB_PlEEDaSZ_S10_SG_SL_EUlSZ_E_NS1_11comp_targetILNS1_3genE4ELNS1_11target_archE910ELNS1_3gpuE8ELNS1_3repE0EEENS1_47radix_sort_onesweep_sort_config_static_selectorELNS0_4arch9wavefront6targetE1EEEvSG_.numbered_sgpr, 0
	.set _ZN7rocprim17ROCPRIM_400000_NS6detail17trampoline_kernelINS0_14default_configENS1_35radix_sort_onesweep_config_selectorIdlEEZZNS1_29radix_sort_onesweep_iterationIS3_Lb0EPdS7_N6thrust23THRUST_200600_302600_NS10device_ptrIlEESB_jNS0_19identity_decomposerENS1_16block_id_wrapperIjLb0EEEEE10hipError_tT1_PNSt15iterator_traitsISG_E10value_typeET2_T3_PNSH_ISM_E10value_typeET4_T5_PSR_SS_PNS1_23onesweep_lookback_stateEbbT6_jjT7_P12ihipStream_tbENKUlT_T0_SG_SL_E_clIS7_S7_SB_PlEEDaSZ_S10_SG_SL_EUlSZ_E_NS1_11comp_targetILNS1_3genE4ELNS1_11target_archE910ELNS1_3gpuE8ELNS1_3repE0EEENS1_47radix_sort_onesweep_sort_config_static_selectorELNS0_4arch9wavefront6targetE1EEEvSG_.num_named_barrier, 0
	.set _ZN7rocprim17ROCPRIM_400000_NS6detail17trampoline_kernelINS0_14default_configENS1_35radix_sort_onesweep_config_selectorIdlEEZZNS1_29radix_sort_onesweep_iterationIS3_Lb0EPdS7_N6thrust23THRUST_200600_302600_NS10device_ptrIlEESB_jNS0_19identity_decomposerENS1_16block_id_wrapperIjLb0EEEEE10hipError_tT1_PNSt15iterator_traitsISG_E10value_typeET2_T3_PNSH_ISM_E10value_typeET4_T5_PSR_SS_PNS1_23onesweep_lookback_stateEbbT6_jjT7_P12ihipStream_tbENKUlT_T0_SG_SL_E_clIS7_S7_SB_PlEEDaSZ_S10_SG_SL_EUlSZ_E_NS1_11comp_targetILNS1_3genE4ELNS1_11target_archE910ELNS1_3gpuE8ELNS1_3repE0EEENS1_47radix_sort_onesweep_sort_config_static_selectorELNS0_4arch9wavefront6targetE1EEEvSG_.private_seg_size, 0
	.set _ZN7rocprim17ROCPRIM_400000_NS6detail17trampoline_kernelINS0_14default_configENS1_35radix_sort_onesweep_config_selectorIdlEEZZNS1_29radix_sort_onesweep_iterationIS3_Lb0EPdS7_N6thrust23THRUST_200600_302600_NS10device_ptrIlEESB_jNS0_19identity_decomposerENS1_16block_id_wrapperIjLb0EEEEE10hipError_tT1_PNSt15iterator_traitsISG_E10value_typeET2_T3_PNSH_ISM_E10value_typeET4_T5_PSR_SS_PNS1_23onesweep_lookback_stateEbbT6_jjT7_P12ihipStream_tbENKUlT_T0_SG_SL_E_clIS7_S7_SB_PlEEDaSZ_S10_SG_SL_EUlSZ_E_NS1_11comp_targetILNS1_3genE4ELNS1_11target_archE910ELNS1_3gpuE8ELNS1_3repE0EEENS1_47radix_sort_onesweep_sort_config_static_selectorELNS0_4arch9wavefront6targetE1EEEvSG_.uses_vcc, 0
	.set _ZN7rocprim17ROCPRIM_400000_NS6detail17trampoline_kernelINS0_14default_configENS1_35radix_sort_onesweep_config_selectorIdlEEZZNS1_29radix_sort_onesweep_iterationIS3_Lb0EPdS7_N6thrust23THRUST_200600_302600_NS10device_ptrIlEESB_jNS0_19identity_decomposerENS1_16block_id_wrapperIjLb0EEEEE10hipError_tT1_PNSt15iterator_traitsISG_E10value_typeET2_T3_PNSH_ISM_E10value_typeET4_T5_PSR_SS_PNS1_23onesweep_lookback_stateEbbT6_jjT7_P12ihipStream_tbENKUlT_T0_SG_SL_E_clIS7_S7_SB_PlEEDaSZ_S10_SG_SL_EUlSZ_E_NS1_11comp_targetILNS1_3genE4ELNS1_11target_archE910ELNS1_3gpuE8ELNS1_3repE0EEENS1_47radix_sort_onesweep_sort_config_static_selectorELNS0_4arch9wavefront6targetE1EEEvSG_.uses_flat_scratch, 0
	.set _ZN7rocprim17ROCPRIM_400000_NS6detail17trampoline_kernelINS0_14default_configENS1_35radix_sort_onesweep_config_selectorIdlEEZZNS1_29radix_sort_onesweep_iterationIS3_Lb0EPdS7_N6thrust23THRUST_200600_302600_NS10device_ptrIlEESB_jNS0_19identity_decomposerENS1_16block_id_wrapperIjLb0EEEEE10hipError_tT1_PNSt15iterator_traitsISG_E10value_typeET2_T3_PNSH_ISM_E10value_typeET4_T5_PSR_SS_PNS1_23onesweep_lookback_stateEbbT6_jjT7_P12ihipStream_tbENKUlT_T0_SG_SL_E_clIS7_S7_SB_PlEEDaSZ_S10_SG_SL_EUlSZ_E_NS1_11comp_targetILNS1_3genE4ELNS1_11target_archE910ELNS1_3gpuE8ELNS1_3repE0EEENS1_47radix_sort_onesweep_sort_config_static_selectorELNS0_4arch9wavefront6targetE1EEEvSG_.has_dyn_sized_stack, 0
	.set _ZN7rocprim17ROCPRIM_400000_NS6detail17trampoline_kernelINS0_14default_configENS1_35radix_sort_onesweep_config_selectorIdlEEZZNS1_29radix_sort_onesweep_iterationIS3_Lb0EPdS7_N6thrust23THRUST_200600_302600_NS10device_ptrIlEESB_jNS0_19identity_decomposerENS1_16block_id_wrapperIjLb0EEEEE10hipError_tT1_PNSt15iterator_traitsISG_E10value_typeET2_T3_PNSH_ISM_E10value_typeET4_T5_PSR_SS_PNS1_23onesweep_lookback_stateEbbT6_jjT7_P12ihipStream_tbENKUlT_T0_SG_SL_E_clIS7_S7_SB_PlEEDaSZ_S10_SG_SL_EUlSZ_E_NS1_11comp_targetILNS1_3genE4ELNS1_11target_archE910ELNS1_3gpuE8ELNS1_3repE0EEENS1_47radix_sort_onesweep_sort_config_static_selectorELNS0_4arch9wavefront6targetE1EEEvSG_.has_recursion, 0
	.set _ZN7rocprim17ROCPRIM_400000_NS6detail17trampoline_kernelINS0_14default_configENS1_35radix_sort_onesweep_config_selectorIdlEEZZNS1_29radix_sort_onesweep_iterationIS3_Lb0EPdS7_N6thrust23THRUST_200600_302600_NS10device_ptrIlEESB_jNS0_19identity_decomposerENS1_16block_id_wrapperIjLb0EEEEE10hipError_tT1_PNSt15iterator_traitsISG_E10value_typeET2_T3_PNSH_ISM_E10value_typeET4_T5_PSR_SS_PNS1_23onesweep_lookback_stateEbbT6_jjT7_P12ihipStream_tbENKUlT_T0_SG_SL_E_clIS7_S7_SB_PlEEDaSZ_S10_SG_SL_EUlSZ_E_NS1_11comp_targetILNS1_3genE4ELNS1_11target_archE910ELNS1_3gpuE8ELNS1_3repE0EEENS1_47radix_sort_onesweep_sort_config_static_selectorELNS0_4arch9wavefront6targetE1EEEvSG_.has_indirect_call, 0
	.section	.AMDGPU.csdata,"",@progbits
; Kernel info:
; codeLenInByte = 0
; TotalNumSgprs: 4
; NumVgprs: 0
; ScratchSize: 0
; MemoryBound: 0
; FloatMode: 240
; IeeeMode: 1
; LDSByteSize: 0 bytes/workgroup (compile time only)
; SGPRBlocks: 0
; VGPRBlocks: 0
; NumSGPRsForWavesPerEU: 4
; NumVGPRsForWavesPerEU: 1
; Occupancy: 10
; WaveLimiterHint : 0
; COMPUTE_PGM_RSRC2:SCRATCH_EN: 0
; COMPUTE_PGM_RSRC2:USER_SGPR: 6
; COMPUTE_PGM_RSRC2:TRAP_HANDLER: 0
; COMPUTE_PGM_RSRC2:TGID_X_EN: 1
; COMPUTE_PGM_RSRC2:TGID_Y_EN: 0
; COMPUTE_PGM_RSRC2:TGID_Z_EN: 0
; COMPUTE_PGM_RSRC2:TIDIG_COMP_CNT: 0
	.section	.text._ZN7rocprim17ROCPRIM_400000_NS6detail17trampoline_kernelINS0_14default_configENS1_35radix_sort_onesweep_config_selectorIdlEEZZNS1_29radix_sort_onesweep_iterationIS3_Lb0EPdS7_N6thrust23THRUST_200600_302600_NS10device_ptrIlEESB_jNS0_19identity_decomposerENS1_16block_id_wrapperIjLb0EEEEE10hipError_tT1_PNSt15iterator_traitsISG_E10value_typeET2_T3_PNSH_ISM_E10value_typeET4_T5_PSR_SS_PNS1_23onesweep_lookback_stateEbbT6_jjT7_P12ihipStream_tbENKUlT_T0_SG_SL_E_clIS7_S7_SB_PlEEDaSZ_S10_SG_SL_EUlSZ_E_NS1_11comp_targetILNS1_3genE3ELNS1_11target_archE908ELNS1_3gpuE7ELNS1_3repE0EEENS1_47radix_sort_onesweep_sort_config_static_selectorELNS0_4arch9wavefront6targetE1EEEvSG_,"axG",@progbits,_ZN7rocprim17ROCPRIM_400000_NS6detail17trampoline_kernelINS0_14default_configENS1_35radix_sort_onesweep_config_selectorIdlEEZZNS1_29radix_sort_onesweep_iterationIS3_Lb0EPdS7_N6thrust23THRUST_200600_302600_NS10device_ptrIlEESB_jNS0_19identity_decomposerENS1_16block_id_wrapperIjLb0EEEEE10hipError_tT1_PNSt15iterator_traitsISG_E10value_typeET2_T3_PNSH_ISM_E10value_typeET4_T5_PSR_SS_PNS1_23onesweep_lookback_stateEbbT6_jjT7_P12ihipStream_tbENKUlT_T0_SG_SL_E_clIS7_S7_SB_PlEEDaSZ_S10_SG_SL_EUlSZ_E_NS1_11comp_targetILNS1_3genE3ELNS1_11target_archE908ELNS1_3gpuE7ELNS1_3repE0EEENS1_47radix_sort_onesweep_sort_config_static_selectorELNS0_4arch9wavefront6targetE1EEEvSG_,comdat
	.protected	_ZN7rocprim17ROCPRIM_400000_NS6detail17trampoline_kernelINS0_14default_configENS1_35radix_sort_onesweep_config_selectorIdlEEZZNS1_29radix_sort_onesweep_iterationIS3_Lb0EPdS7_N6thrust23THRUST_200600_302600_NS10device_ptrIlEESB_jNS0_19identity_decomposerENS1_16block_id_wrapperIjLb0EEEEE10hipError_tT1_PNSt15iterator_traitsISG_E10value_typeET2_T3_PNSH_ISM_E10value_typeET4_T5_PSR_SS_PNS1_23onesweep_lookback_stateEbbT6_jjT7_P12ihipStream_tbENKUlT_T0_SG_SL_E_clIS7_S7_SB_PlEEDaSZ_S10_SG_SL_EUlSZ_E_NS1_11comp_targetILNS1_3genE3ELNS1_11target_archE908ELNS1_3gpuE7ELNS1_3repE0EEENS1_47radix_sort_onesweep_sort_config_static_selectorELNS0_4arch9wavefront6targetE1EEEvSG_ ; -- Begin function _ZN7rocprim17ROCPRIM_400000_NS6detail17trampoline_kernelINS0_14default_configENS1_35radix_sort_onesweep_config_selectorIdlEEZZNS1_29radix_sort_onesweep_iterationIS3_Lb0EPdS7_N6thrust23THRUST_200600_302600_NS10device_ptrIlEESB_jNS0_19identity_decomposerENS1_16block_id_wrapperIjLb0EEEEE10hipError_tT1_PNSt15iterator_traitsISG_E10value_typeET2_T3_PNSH_ISM_E10value_typeET4_T5_PSR_SS_PNS1_23onesweep_lookback_stateEbbT6_jjT7_P12ihipStream_tbENKUlT_T0_SG_SL_E_clIS7_S7_SB_PlEEDaSZ_S10_SG_SL_EUlSZ_E_NS1_11comp_targetILNS1_3genE3ELNS1_11target_archE908ELNS1_3gpuE7ELNS1_3repE0EEENS1_47radix_sort_onesweep_sort_config_static_selectorELNS0_4arch9wavefront6targetE1EEEvSG_
	.globl	_ZN7rocprim17ROCPRIM_400000_NS6detail17trampoline_kernelINS0_14default_configENS1_35radix_sort_onesweep_config_selectorIdlEEZZNS1_29radix_sort_onesweep_iterationIS3_Lb0EPdS7_N6thrust23THRUST_200600_302600_NS10device_ptrIlEESB_jNS0_19identity_decomposerENS1_16block_id_wrapperIjLb0EEEEE10hipError_tT1_PNSt15iterator_traitsISG_E10value_typeET2_T3_PNSH_ISM_E10value_typeET4_T5_PSR_SS_PNS1_23onesweep_lookback_stateEbbT6_jjT7_P12ihipStream_tbENKUlT_T0_SG_SL_E_clIS7_S7_SB_PlEEDaSZ_S10_SG_SL_EUlSZ_E_NS1_11comp_targetILNS1_3genE3ELNS1_11target_archE908ELNS1_3gpuE7ELNS1_3repE0EEENS1_47radix_sort_onesweep_sort_config_static_selectorELNS0_4arch9wavefront6targetE1EEEvSG_
	.p2align	8
	.type	_ZN7rocprim17ROCPRIM_400000_NS6detail17trampoline_kernelINS0_14default_configENS1_35radix_sort_onesweep_config_selectorIdlEEZZNS1_29radix_sort_onesweep_iterationIS3_Lb0EPdS7_N6thrust23THRUST_200600_302600_NS10device_ptrIlEESB_jNS0_19identity_decomposerENS1_16block_id_wrapperIjLb0EEEEE10hipError_tT1_PNSt15iterator_traitsISG_E10value_typeET2_T3_PNSH_ISM_E10value_typeET4_T5_PSR_SS_PNS1_23onesweep_lookback_stateEbbT6_jjT7_P12ihipStream_tbENKUlT_T0_SG_SL_E_clIS7_S7_SB_PlEEDaSZ_S10_SG_SL_EUlSZ_E_NS1_11comp_targetILNS1_3genE3ELNS1_11target_archE908ELNS1_3gpuE7ELNS1_3repE0EEENS1_47radix_sort_onesweep_sort_config_static_selectorELNS0_4arch9wavefront6targetE1EEEvSG_,@function
_ZN7rocprim17ROCPRIM_400000_NS6detail17trampoline_kernelINS0_14default_configENS1_35radix_sort_onesweep_config_selectorIdlEEZZNS1_29radix_sort_onesweep_iterationIS3_Lb0EPdS7_N6thrust23THRUST_200600_302600_NS10device_ptrIlEESB_jNS0_19identity_decomposerENS1_16block_id_wrapperIjLb0EEEEE10hipError_tT1_PNSt15iterator_traitsISG_E10value_typeET2_T3_PNSH_ISM_E10value_typeET4_T5_PSR_SS_PNS1_23onesweep_lookback_stateEbbT6_jjT7_P12ihipStream_tbENKUlT_T0_SG_SL_E_clIS7_S7_SB_PlEEDaSZ_S10_SG_SL_EUlSZ_E_NS1_11comp_targetILNS1_3genE3ELNS1_11target_archE908ELNS1_3gpuE7ELNS1_3repE0EEENS1_47radix_sort_onesweep_sort_config_static_selectorELNS0_4arch9wavefront6targetE1EEEvSG_: ; @_ZN7rocprim17ROCPRIM_400000_NS6detail17trampoline_kernelINS0_14default_configENS1_35radix_sort_onesweep_config_selectorIdlEEZZNS1_29radix_sort_onesweep_iterationIS3_Lb0EPdS7_N6thrust23THRUST_200600_302600_NS10device_ptrIlEESB_jNS0_19identity_decomposerENS1_16block_id_wrapperIjLb0EEEEE10hipError_tT1_PNSt15iterator_traitsISG_E10value_typeET2_T3_PNSH_ISM_E10value_typeET4_T5_PSR_SS_PNS1_23onesweep_lookback_stateEbbT6_jjT7_P12ihipStream_tbENKUlT_T0_SG_SL_E_clIS7_S7_SB_PlEEDaSZ_S10_SG_SL_EUlSZ_E_NS1_11comp_targetILNS1_3genE3ELNS1_11target_archE908ELNS1_3gpuE7ELNS1_3repE0EEENS1_47radix_sort_onesweep_sort_config_static_selectorELNS0_4arch9wavefront6targetE1EEEvSG_
; %bb.0:
	.section	.rodata,"a",@progbits
	.p2align	6, 0x0
	.amdhsa_kernel _ZN7rocprim17ROCPRIM_400000_NS6detail17trampoline_kernelINS0_14default_configENS1_35radix_sort_onesweep_config_selectorIdlEEZZNS1_29radix_sort_onesweep_iterationIS3_Lb0EPdS7_N6thrust23THRUST_200600_302600_NS10device_ptrIlEESB_jNS0_19identity_decomposerENS1_16block_id_wrapperIjLb0EEEEE10hipError_tT1_PNSt15iterator_traitsISG_E10value_typeET2_T3_PNSH_ISM_E10value_typeET4_T5_PSR_SS_PNS1_23onesweep_lookback_stateEbbT6_jjT7_P12ihipStream_tbENKUlT_T0_SG_SL_E_clIS7_S7_SB_PlEEDaSZ_S10_SG_SL_EUlSZ_E_NS1_11comp_targetILNS1_3genE3ELNS1_11target_archE908ELNS1_3gpuE7ELNS1_3repE0EEENS1_47radix_sort_onesweep_sort_config_static_selectorELNS0_4arch9wavefront6targetE1EEEvSG_
		.amdhsa_group_segment_fixed_size 0
		.amdhsa_private_segment_fixed_size 0
		.amdhsa_kernarg_size 88
		.amdhsa_user_sgpr_count 6
		.amdhsa_user_sgpr_private_segment_buffer 1
		.amdhsa_user_sgpr_dispatch_ptr 0
		.amdhsa_user_sgpr_queue_ptr 0
		.amdhsa_user_sgpr_kernarg_segment_ptr 1
		.amdhsa_user_sgpr_dispatch_id 0
		.amdhsa_user_sgpr_flat_scratch_init 0
		.amdhsa_user_sgpr_private_segment_size 0
		.amdhsa_uses_dynamic_stack 0
		.amdhsa_system_sgpr_private_segment_wavefront_offset 0
		.amdhsa_system_sgpr_workgroup_id_x 1
		.amdhsa_system_sgpr_workgroup_id_y 0
		.amdhsa_system_sgpr_workgroup_id_z 0
		.amdhsa_system_sgpr_workgroup_info 0
		.amdhsa_system_vgpr_workitem_id 0
		.amdhsa_next_free_vgpr 1
		.amdhsa_next_free_sgpr 0
		.amdhsa_reserve_vcc 0
		.amdhsa_reserve_flat_scratch 0
		.amdhsa_float_round_mode_32 0
		.amdhsa_float_round_mode_16_64 0
		.amdhsa_float_denorm_mode_32 3
		.amdhsa_float_denorm_mode_16_64 3
		.amdhsa_dx10_clamp 1
		.amdhsa_ieee_mode 1
		.amdhsa_fp16_overflow 0
		.amdhsa_exception_fp_ieee_invalid_op 0
		.amdhsa_exception_fp_denorm_src 0
		.amdhsa_exception_fp_ieee_div_zero 0
		.amdhsa_exception_fp_ieee_overflow 0
		.amdhsa_exception_fp_ieee_underflow 0
		.amdhsa_exception_fp_ieee_inexact 0
		.amdhsa_exception_int_div_zero 0
	.end_amdhsa_kernel
	.section	.text._ZN7rocprim17ROCPRIM_400000_NS6detail17trampoline_kernelINS0_14default_configENS1_35radix_sort_onesweep_config_selectorIdlEEZZNS1_29radix_sort_onesweep_iterationIS3_Lb0EPdS7_N6thrust23THRUST_200600_302600_NS10device_ptrIlEESB_jNS0_19identity_decomposerENS1_16block_id_wrapperIjLb0EEEEE10hipError_tT1_PNSt15iterator_traitsISG_E10value_typeET2_T3_PNSH_ISM_E10value_typeET4_T5_PSR_SS_PNS1_23onesweep_lookback_stateEbbT6_jjT7_P12ihipStream_tbENKUlT_T0_SG_SL_E_clIS7_S7_SB_PlEEDaSZ_S10_SG_SL_EUlSZ_E_NS1_11comp_targetILNS1_3genE3ELNS1_11target_archE908ELNS1_3gpuE7ELNS1_3repE0EEENS1_47radix_sort_onesweep_sort_config_static_selectorELNS0_4arch9wavefront6targetE1EEEvSG_,"axG",@progbits,_ZN7rocprim17ROCPRIM_400000_NS6detail17trampoline_kernelINS0_14default_configENS1_35radix_sort_onesweep_config_selectorIdlEEZZNS1_29radix_sort_onesweep_iterationIS3_Lb0EPdS7_N6thrust23THRUST_200600_302600_NS10device_ptrIlEESB_jNS0_19identity_decomposerENS1_16block_id_wrapperIjLb0EEEEE10hipError_tT1_PNSt15iterator_traitsISG_E10value_typeET2_T3_PNSH_ISM_E10value_typeET4_T5_PSR_SS_PNS1_23onesweep_lookback_stateEbbT6_jjT7_P12ihipStream_tbENKUlT_T0_SG_SL_E_clIS7_S7_SB_PlEEDaSZ_S10_SG_SL_EUlSZ_E_NS1_11comp_targetILNS1_3genE3ELNS1_11target_archE908ELNS1_3gpuE7ELNS1_3repE0EEENS1_47radix_sort_onesweep_sort_config_static_selectorELNS0_4arch9wavefront6targetE1EEEvSG_,comdat
.Lfunc_end1657:
	.size	_ZN7rocprim17ROCPRIM_400000_NS6detail17trampoline_kernelINS0_14default_configENS1_35radix_sort_onesweep_config_selectorIdlEEZZNS1_29radix_sort_onesweep_iterationIS3_Lb0EPdS7_N6thrust23THRUST_200600_302600_NS10device_ptrIlEESB_jNS0_19identity_decomposerENS1_16block_id_wrapperIjLb0EEEEE10hipError_tT1_PNSt15iterator_traitsISG_E10value_typeET2_T3_PNSH_ISM_E10value_typeET4_T5_PSR_SS_PNS1_23onesweep_lookback_stateEbbT6_jjT7_P12ihipStream_tbENKUlT_T0_SG_SL_E_clIS7_S7_SB_PlEEDaSZ_S10_SG_SL_EUlSZ_E_NS1_11comp_targetILNS1_3genE3ELNS1_11target_archE908ELNS1_3gpuE7ELNS1_3repE0EEENS1_47radix_sort_onesweep_sort_config_static_selectorELNS0_4arch9wavefront6targetE1EEEvSG_, .Lfunc_end1657-_ZN7rocprim17ROCPRIM_400000_NS6detail17trampoline_kernelINS0_14default_configENS1_35radix_sort_onesweep_config_selectorIdlEEZZNS1_29radix_sort_onesweep_iterationIS3_Lb0EPdS7_N6thrust23THRUST_200600_302600_NS10device_ptrIlEESB_jNS0_19identity_decomposerENS1_16block_id_wrapperIjLb0EEEEE10hipError_tT1_PNSt15iterator_traitsISG_E10value_typeET2_T3_PNSH_ISM_E10value_typeET4_T5_PSR_SS_PNS1_23onesweep_lookback_stateEbbT6_jjT7_P12ihipStream_tbENKUlT_T0_SG_SL_E_clIS7_S7_SB_PlEEDaSZ_S10_SG_SL_EUlSZ_E_NS1_11comp_targetILNS1_3genE3ELNS1_11target_archE908ELNS1_3gpuE7ELNS1_3repE0EEENS1_47radix_sort_onesweep_sort_config_static_selectorELNS0_4arch9wavefront6targetE1EEEvSG_
                                        ; -- End function
	.set _ZN7rocprim17ROCPRIM_400000_NS6detail17trampoline_kernelINS0_14default_configENS1_35radix_sort_onesweep_config_selectorIdlEEZZNS1_29radix_sort_onesweep_iterationIS3_Lb0EPdS7_N6thrust23THRUST_200600_302600_NS10device_ptrIlEESB_jNS0_19identity_decomposerENS1_16block_id_wrapperIjLb0EEEEE10hipError_tT1_PNSt15iterator_traitsISG_E10value_typeET2_T3_PNSH_ISM_E10value_typeET4_T5_PSR_SS_PNS1_23onesweep_lookback_stateEbbT6_jjT7_P12ihipStream_tbENKUlT_T0_SG_SL_E_clIS7_S7_SB_PlEEDaSZ_S10_SG_SL_EUlSZ_E_NS1_11comp_targetILNS1_3genE3ELNS1_11target_archE908ELNS1_3gpuE7ELNS1_3repE0EEENS1_47radix_sort_onesweep_sort_config_static_selectorELNS0_4arch9wavefront6targetE1EEEvSG_.num_vgpr, 0
	.set _ZN7rocprim17ROCPRIM_400000_NS6detail17trampoline_kernelINS0_14default_configENS1_35radix_sort_onesweep_config_selectorIdlEEZZNS1_29radix_sort_onesweep_iterationIS3_Lb0EPdS7_N6thrust23THRUST_200600_302600_NS10device_ptrIlEESB_jNS0_19identity_decomposerENS1_16block_id_wrapperIjLb0EEEEE10hipError_tT1_PNSt15iterator_traitsISG_E10value_typeET2_T3_PNSH_ISM_E10value_typeET4_T5_PSR_SS_PNS1_23onesweep_lookback_stateEbbT6_jjT7_P12ihipStream_tbENKUlT_T0_SG_SL_E_clIS7_S7_SB_PlEEDaSZ_S10_SG_SL_EUlSZ_E_NS1_11comp_targetILNS1_3genE3ELNS1_11target_archE908ELNS1_3gpuE7ELNS1_3repE0EEENS1_47radix_sort_onesweep_sort_config_static_selectorELNS0_4arch9wavefront6targetE1EEEvSG_.num_agpr, 0
	.set _ZN7rocprim17ROCPRIM_400000_NS6detail17trampoline_kernelINS0_14default_configENS1_35radix_sort_onesweep_config_selectorIdlEEZZNS1_29radix_sort_onesweep_iterationIS3_Lb0EPdS7_N6thrust23THRUST_200600_302600_NS10device_ptrIlEESB_jNS0_19identity_decomposerENS1_16block_id_wrapperIjLb0EEEEE10hipError_tT1_PNSt15iterator_traitsISG_E10value_typeET2_T3_PNSH_ISM_E10value_typeET4_T5_PSR_SS_PNS1_23onesweep_lookback_stateEbbT6_jjT7_P12ihipStream_tbENKUlT_T0_SG_SL_E_clIS7_S7_SB_PlEEDaSZ_S10_SG_SL_EUlSZ_E_NS1_11comp_targetILNS1_3genE3ELNS1_11target_archE908ELNS1_3gpuE7ELNS1_3repE0EEENS1_47radix_sort_onesweep_sort_config_static_selectorELNS0_4arch9wavefront6targetE1EEEvSG_.numbered_sgpr, 0
	.set _ZN7rocprim17ROCPRIM_400000_NS6detail17trampoline_kernelINS0_14default_configENS1_35radix_sort_onesweep_config_selectorIdlEEZZNS1_29radix_sort_onesweep_iterationIS3_Lb0EPdS7_N6thrust23THRUST_200600_302600_NS10device_ptrIlEESB_jNS0_19identity_decomposerENS1_16block_id_wrapperIjLb0EEEEE10hipError_tT1_PNSt15iterator_traitsISG_E10value_typeET2_T3_PNSH_ISM_E10value_typeET4_T5_PSR_SS_PNS1_23onesweep_lookback_stateEbbT6_jjT7_P12ihipStream_tbENKUlT_T0_SG_SL_E_clIS7_S7_SB_PlEEDaSZ_S10_SG_SL_EUlSZ_E_NS1_11comp_targetILNS1_3genE3ELNS1_11target_archE908ELNS1_3gpuE7ELNS1_3repE0EEENS1_47radix_sort_onesweep_sort_config_static_selectorELNS0_4arch9wavefront6targetE1EEEvSG_.num_named_barrier, 0
	.set _ZN7rocprim17ROCPRIM_400000_NS6detail17trampoline_kernelINS0_14default_configENS1_35radix_sort_onesweep_config_selectorIdlEEZZNS1_29radix_sort_onesweep_iterationIS3_Lb0EPdS7_N6thrust23THRUST_200600_302600_NS10device_ptrIlEESB_jNS0_19identity_decomposerENS1_16block_id_wrapperIjLb0EEEEE10hipError_tT1_PNSt15iterator_traitsISG_E10value_typeET2_T3_PNSH_ISM_E10value_typeET4_T5_PSR_SS_PNS1_23onesweep_lookback_stateEbbT6_jjT7_P12ihipStream_tbENKUlT_T0_SG_SL_E_clIS7_S7_SB_PlEEDaSZ_S10_SG_SL_EUlSZ_E_NS1_11comp_targetILNS1_3genE3ELNS1_11target_archE908ELNS1_3gpuE7ELNS1_3repE0EEENS1_47radix_sort_onesweep_sort_config_static_selectorELNS0_4arch9wavefront6targetE1EEEvSG_.private_seg_size, 0
	.set _ZN7rocprim17ROCPRIM_400000_NS6detail17trampoline_kernelINS0_14default_configENS1_35radix_sort_onesweep_config_selectorIdlEEZZNS1_29radix_sort_onesweep_iterationIS3_Lb0EPdS7_N6thrust23THRUST_200600_302600_NS10device_ptrIlEESB_jNS0_19identity_decomposerENS1_16block_id_wrapperIjLb0EEEEE10hipError_tT1_PNSt15iterator_traitsISG_E10value_typeET2_T3_PNSH_ISM_E10value_typeET4_T5_PSR_SS_PNS1_23onesweep_lookback_stateEbbT6_jjT7_P12ihipStream_tbENKUlT_T0_SG_SL_E_clIS7_S7_SB_PlEEDaSZ_S10_SG_SL_EUlSZ_E_NS1_11comp_targetILNS1_3genE3ELNS1_11target_archE908ELNS1_3gpuE7ELNS1_3repE0EEENS1_47radix_sort_onesweep_sort_config_static_selectorELNS0_4arch9wavefront6targetE1EEEvSG_.uses_vcc, 0
	.set _ZN7rocprim17ROCPRIM_400000_NS6detail17trampoline_kernelINS0_14default_configENS1_35radix_sort_onesweep_config_selectorIdlEEZZNS1_29radix_sort_onesweep_iterationIS3_Lb0EPdS7_N6thrust23THRUST_200600_302600_NS10device_ptrIlEESB_jNS0_19identity_decomposerENS1_16block_id_wrapperIjLb0EEEEE10hipError_tT1_PNSt15iterator_traitsISG_E10value_typeET2_T3_PNSH_ISM_E10value_typeET4_T5_PSR_SS_PNS1_23onesweep_lookback_stateEbbT6_jjT7_P12ihipStream_tbENKUlT_T0_SG_SL_E_clIS7_S7_SB_PlEEDaSZ_S10_SG_SL_EUlSZ_E_NS1_11comp_targetILNS1_3genE3ELNS1_11target_archE908ELNS1_3gpuE7ELNS1_3repE0EEENS1_47radix_sort_onesweep_sort_config_static_selectorELNS0_4arch9wavefront6targetE1EEEvSG_.uses_flat_scratch, 0
	.set _ZN7rocprim17ROCPRIM_400000_NS6detail17trampoline_kernelINS0_14default_configENS1_35radix_sort_onesweep_config_selectorIdlEEZZNS1_29radix_sort_onesweep_iterationIS3_Lb0EPdS7_N6thrust23THRUST_200600_302600_NS10device_ptrIlEESB_jNS0_19identity_decomposerENS1_16block_id_wrapperIjLb0EEEEE10hipError_tT1_PNSt15iterator_traitsISG_E10value_typeET2_T3_PNSH_ISM_E10value_typeET4_T5_PSR_SS_PNS1_23onesweep_lookback_stateEbbT6_jjT7_P12ihipStream_tbENKUlT_T0_SG_SL_E_clIS7_S7_SB_PlEEDaSZ_S10_SG_SL_EUlSZ_E_NS1_11comp_targetILNS1_3genE3ELNS1_11target_archE908ELNS1_3gpuE7ELNS1_3repE0EEENS1_47radix_sort_onesweep_sort_config_static_selectorELNS0_4arch9wavefront6targetE1EEEvSG_.has_dyn_sized_stack, 0
	.set _ZN7rocprim17ROCPRIM_400000_NS6detail17trampoline_kernelINS0_14default_configENS1_35radix_sort_onesweep_config_selectorIdlEEZZNS1_29radix_sort_onesweep_iterationIS3_Lb0EPdS7_N6thrust23THRUST_200600_302600_NS10device_ptrIlEESB_jNS0_19identity_decomposerENS1_16block_id_wrapperIjLb0EEEEE10hipError_tT1_PNSt15iterator_traitsISG_E10value_typeET2_T3_PNSH_ISM_E10value_typeET4_T5_PSR_SS_PNS1_23onesweep_lookback_stateEbbT6_jjT7_P12ihipStream_tbENKUlT_T0_SG_SL_E_clIS7_S7_SB_PlEEDaSZ_S10_SG_SL_EUlSZ_E_NS1_11comp_targetILNS1_3genE3ELNS1_11target_archE908ELNS1_3gpuE7ELNS1_3repE0EEENS1_47radix_sort_onesweep_sort_config_static_selectorELNS0_4arch9wavefront6targetE1EEEvSG_.has_recursion, 0
	.set _ZN7rocprim17ROCPRIM_400000_NS6detail17trampoline_kernelINS0_14default_configENS1_35radix_sort_onesweep_config_selectorIdlEEZZNS1_29radix_sort_onesweep_iterationIS3_Lb0EPdS7_N6thrust23THRUST_200600_302600_NS10device_ptrIlEESB_jNS0_19identity_decomposerENS1_16block_id_wrapperIjLb0EEEEE10hipError_tT1_PNSt15iterator_traitsISG_E10value_typeET2_T3_PNSH_ISM_E10value_typeET4_T5_PSR_SS_PNS1_23onesweep_lookback_stateEbbT6_jjT7_P12ihipStream_tbENKUlT_T0_SG_SL_E_clIS7_S7_SB_PlEEDaSZ_S10_SG_SL_EUlSZ_E_NS1_11comp_targetILNS1_3genE3ELNS1_11target_archE908ELNS1_3gpuE7ELNS1_3repE0EEENS1_47radix_sort_onesweep_sort_config_static_selectorELNS0_4arch9wavefront6targetE1EEEvSG_.has_indirect_call, 0
	.section	.AMDGPU.csdata,"",@progbits
; Kernel info:
; codeLenInByte = 0
; TotalNumSgprs: 4
; NumVgprs: 0
; ScratchSize: 0
; MemoryBound: 0
; FloatMode: 240
; IeeeMode: 1
; LDSByteSize: 0 bytes/workgroup (compile time only)
; SGPRBlocks: 0
; VGPRBlocks: 0
; NumSGPRsForWavesPerEU: 4
; NumVGPRsForWavesPerEU: 1
; Occupancy: 10
; WaveLimiterHint : 0
; COMPUTE_PGM_RSRC2:SCRATCH_EN: 0
; COMPUTE_PGM_RSRC2:USER_SGPR: 6
; COMPUTE_PGM_RSRC2:TRAP_HANDLER: 0
; COMPUTE_PGM_RSRC2:TGID_X_EN: 1
; COMPUTE_PGM_RSRC2:TGID_Y_EN: 0
; COMPUTE_PGM_RSRC2:TGID_Z_EN: 0
; COMPUTE_PGM_RSRC2:TIDIG_COMP_CNT: 0
	.section	.text._ZN7rocprim17ROCPRIM_400000_NS6detail17trampoline_kernelINS0_14default_configENS1_35radix_sort_onesweep_config_selectorIdlEEZZNS1_29radix_sort_onesweep_iterationIS3_Lb0EPdS7_N6thrust23THRUST_200600_302600_NS10device_ptrIlEESB_jNS0_19identity_decomposerENS1_16block_id_wrapperIjLb0EEEEE10hipError_tT1_PNSt15iterator_traitsISG_E10value_typeET2_T3_PNSH_ISM_E10value_typeET4_T5_PSR_SS_PNS1_23onesweep_lookback_stateEbbT6_jjT7_P12ihipStream_tbENKUlT_T0_SG_SL_E_clIS7_S7_SB_PlEEDaSZ_S10_SG_SL_EUlSZ_E_NS1_11comp_targetILNS1_3genE10ELNS1_11target_archE1201ELNS1_3gpuE5ELNS1_3repE0EEENS1_47radix_sort_onesweep_sort_config_static_selectorELNS0_4arch9wavefront6targetE1EEEvSG_,"axG",@progbits,_ZN7rocprim17ROCPRIM_400000_NS6detail17trampoline_kernelINS0_14default_configENS1_35radix_sort_onesweep_config_selectorIdlEEZZNS1_29radix_sort_onesweep_iterationIS3_Lb0EPdS7_N6thrust23THRUST_200600_302600_NS10device_ptrIlEESB_jNS0_19identity_decomposerENS1_16block_id_wrapperIjLb0EEEEE10hipError_tT1_PNSt15iterator_traitsISG_E10value_typeET2_T3_PNSH_ISM_E10value_typeET4_T5_PSR_SS_PNS1_23onesweep_lookback_stateEbbT6_jjT7_P12ihipStream_tbENKUlT_T0_SG_SL_E_clIS7_S7_SB_PlEEDaSZ_S10_SG_SL_EUlSZ_E_NS1_11comp_targetILNS1_3genE10ELNS1_11target_archE1201ELNS1_3gpuE5ELNS1_3repE0EEENS1_47radix_sort_onesweep_sort_config_static_selectorELNS0_4arch9wavefront6targetE1EEEvSG_,comdat
	.protected	_ZN7rocprim17ROCPRIM_400000_NS6detail17trampoline_kernelINS0_14default_configENS1_35radix_sort_onesweep_config_selectorIdlEEZZNS1_29radix_sort_onesweep_iterationIS3_Lb0EPdS7_N6thrust23THRUST_200600_302600_NS10device_ptrIlEESB_jNS0_19identity_decomposerENS1_16block_id_wrapperIjLb0EEEEE10hipError_tT1_PNSt15iterator_traitsISG_E10value_typeET2_T3_PNSH_ISM_E10value_typeET4_T5_PSR_SS_PNS1_23onesweep_lookback_stateEbbT6_jjT7_P12ihipStream_tbENKUlT_T0_SG_SL_E_clIS7_S7_SB_PlEEDaSZ_S10_SG_SL_EUlSZ_E_NS1_11comp_targetILNS1_3genE10ELNS1_11target_archE1201ELNS1_3gpuE5ELNS1_3repE0EEENS1_47radix_sort_onesweep_sort_config_static_selectorELNS0_4arch9wavefront6targetE1EEEvSG_ ; -- Begin function _ZN7rocprim17ROCPRIM_400000_NS6detail17trampoline_kernelINS0_14default_configENS1_35radix_sort_onesweep_config_selectorIdlEEZZNS1_29radix_sort_onesweep_iterationIS3_Lb0EPdS7_N6thrust23THRUST_200600_302600_NS10device_ptrIlEESB_jNS0_19identity_decomposerENS1_16block_id_wrapperIjLb0EEEEE10hipError_tT1_PNSt15iterator_traitsISG_E10value_typeET2_T3_PNSH_ISM_E10value_typeET4_T5_PSR_SS_PNS1_23onesweep_lookback_stateEbbT6_jjT7_P12ihipStream_tbENKUlT_T0_SG_SL_E_clIS7_S7_SB_PlEEDaSZ_S10_SG_SL_EUlSZ_E_NS1_11comp_targetILNS1_3genE10ELNS1_11target_archE1201ELNS1_3gpuE5ELNS1_3repE0EEENS1_47radix_sort_onesweep_sort_config_static_selectorELNS0_4arch9wavefront6targetE1EEEvSG_
	.globl	_ZN7rocprim17ROCPRIM_400000_NS6detail17trampoline_kernelINS0_14default_configENS1_35radix_sort_onesweep_config_selectorIdlEEZZNS1_29radix_sort_onesweep_iterationIS3_Lb0EPdS7_N6thrust23THRUST_200600_302600_NS10device_ptrIlEESB_jNS0_19identity_decomposerENS1_16block_id_wrapperIjLb0EEEEE10hipError_tT1_PNSt15iterator_traitsISG_E10value_typeET2_T3_PNSH_ISM_E10value_typeET4_T5_PSR_SS_PNS1_23onesweep_lookback_stateEbbT6_jjT7_P12ihipStream_tbENKUlT_T0_SG_SL_E_clIS7_S7_SB_PlEEDaSZ_S10_SG_SL_EUlSZ_E_NS1_11comp_targetILNS1_3genE10ELNS1_11target_archE1201ELNS1_3gpuE5ELNS1_3repE0EEENS1_47radix_sort_onesweep_sort_config_static_selectorELNS0_4arch9wavefront6targetE1EEEvSG_
	.p2align	8
	.type	_ZN7rocprim17ROCPRIM_400000_NS6detail17trampoline_kernelINS0_14default_configENS1_35radix_sort_onesweep_config_selectorIdlEEZZNS1_29radix_sort_onesweep_iterationIS3_Lb0EPdS7_N6thrust23THRUST_200600_302600_NS10device_ptrIlEESB_jNS0_19identity_decomposerENS1_16block_id_wrapperIjLb0EEEEE10hipError_tT1_PNSt15iterator_traitsISG_E10value_typeET2_T3_PNSH_ISM_E10value_typeET4_T5_PSR_SS_PNS1_23onesweep_lookback_stateEbbT6_jjT7_P12ihipStream_tbENKUlT_T0_SG_SL_E_clIS7_S7_SB_PlEEDaSZ_S10_SG_SL_EUlSZ_E_NS1_11comp_targetILNS1_3genE10ELNS1_11target_archE1201ELNS1_3gpuE5ELNS1_3repE0EEENS1_47radix_sort_onesweep_sort_config_static_selectorELNS0_4arch9wavefront6targetE1EEEvSG_,@function
_ZN7rocprim17ROCPRIM_400000_NS6detail17trampoline_kernelINS0_14default_configENS1_35radix_sort_onesweep_config_selectorIdlEEZZNS1_29radix_sort_onesweep_iterationIS3_Lb0EPdS7_N6thrust23THRUST_200600_302600_NS10device_ptrIlEESB_jNS0_19identity_decomposerENS1_16block_id_wrapperIjLb0EEEEE10hipError_tT1_PNSt15iterator_traitsISG_E10value_typeET2_T3_PNSH_ISM_E10value_typeET4_T5_PSR_SS_PNS1_23onesweep_lookback_stateEbbT6_jjT7_P12ihipStream_tbENKUlT_T0_SG_SL_E_clIS7_S7_SB_PlEEDaSZ_S10_SG_SL_EUlSZ_E_NS1_11comp_targetILNS1_3genE10ELNS1_11target_archE1201ELNS1_3gpuE5ELNS1_3repE0EEENS1_47radix_sort_onesweep_sort_config_static_selectorELNS0_4arch9wavefront6targetE1EEEvSG_: ; @_ZN7rocprim17ROCPRIM_400000_NS6detail17trampoline_kernelINS0_14default_configENS1_35radix_sort_onesweep_config_selectorIdlEEZZNS1_29radix_sort_onesweep_iterationIS3_Lb0EPdS7_N6thrust23THRUST_200600_302600_NS10device_ptrIlEESB_jNS0_19identity_decomposerENS1_16block_id_wrapperIjLb0EEEEE10hipError_tT1_PNSt15iterator_traitsISG_E10value_typeET2_T3_PNSH_ISM_E10value_typeET4_T5_PSR_SS_PNS1_23onesweep_lookback_stateEbbT6_jjT7_P12ihipStream_tbENKUlT_T0_SG_SL_E_clIS7_S7_SB_PlEEDaSZ_S10_SG_SL_EUlSZ_E_NS1_11comp_targetILNS1_3genE10ELNS1_11target_archE1201ELNS1_3gpuE5ELNS1_3repE0EEENS1_47radix_sort_onesweep_sort_config_static_selectorELNS0_4arch9wavefront6targetE1EEEvSG_
; %bb.0:
	.section	.rodata,"a",@progbits
	.p2align	6, 0x0
	.amdhsa_kernel _ZN7rocprim17ROCPRIM_400000_NS6detail17trampoline_kernelINS0_14default_configENS1_35radix_sort_onesweep_config_selectorIdlEEZZNS1_29radix_sort_onesweep_iterationIS3_Lb0EPdS7_N6thrust23THRUST_200600_302600_NS10device_ptrIlEESB_jNS0_19identity_decomposerENS1_16block_id_wrapperIjLb0EEEEE10hipError_tT1_PNSt15iterator_traitsISG_E10value_typeET2_T3_PNSH_ISM_E10value_typeET4_T5_PSR_SS_PNS1_23onesweep_lookback_stateEbbT6_jjT7_P12ihipStream_tbENKUlT_T0_SG_SL_E_clIS7_S7_SB_PlEEDaSZ_S10_SG_SL_EUlSZ_E_NS1_11comp_targetILNS1_3genE10ELNS1_11target_archE1201ELNS1_3gpuE5ELNS1_3repE0EEENS1_47radix_sort_onesweep_sort_config_static_selectorELNS0_4arch9wavefront6targetE1EEEvSG_
		.amdhsa_group_segment_fixed_size 0
		.amdhsa_private_segment_fixed_size 0
		.amdhsa_kernarg_size 88
		.amdhsa_user_sgpr_count 6
		.amdhsa_user_sgpr_private_segment_buffer 1
		.amdhsa_user_sgpr_dispatch_ptr 0
		.amdhsa_user_sgpr_queue_ptr 0
		.amdhsa_user_sgpr_kernarg_segment_ptr 1
		.amdhsa_user_sgpr_dispatch_id 0
		.amdhsa_user_sgpr_flat_scratch_init 0
		.amdhsa_user_sgpr_private_segment_size 0
		.amdhsa_uses_dynamic_stack 0
		.amdhsa_system_sgpr_private_segment_wavefront_offset 0
		.amdhsa_system_sgpr_workgroup_id_x 1
		.amdhsa_system_sgpr_workgroup_id_y 0
		.amdhsa_system_sgpr_workgroup_id_z 0
		.amdhsa_system_sgpr_workgroup_info 0
		.amdhsa_system_vgpr_workitem_id 0
		.amdhsa_next_free_vgpr 1
		.amdhsa_next_free_sgpr 0
		.amdhsa_reserve_vcc 0
		.amdhsa_reserve_flat_scratch 0
		.amdhsa_float_round_mode_32 0
		.amdhsa_float_round_mode_16_64 0
		.amdhsa_float_denorm_mode_32 3
		.amdhsa_float_denorm_mode_16_64 3
		.amdhsa_dx10_clamp 1
		.amdhsa_ieee_mode 1
		.amdhsa_fp16_overflow 0
		.amdhsa_exception_fp_ieee_invalid_op 0
		.amdhsa_exception_fp_denorm_src 0
		.amdhsa_exception_fp_ieee_div_zero 0
		.amdhsa_exception_fp_ieee_overflow 0
		.amdhsa_exception_fp_ieee_underflow 0
		.amdhsa_exception_fp_ieee_inexact 0
		.amdhsa_exception_int_div_zero 0
	.end_amdhsa_kernel
	.section	.text._ZN7rocprim17ROCPRIM_400000_NS6detail17trampoline_kernelINS0_14default_configENS1_35radix_sort_onesweep_config_selectorIdlEEZZNS1_29radix_sort_onesweep_iterationIS3_Lb0EPdS7_N6thrust23THRUST_200600_302600_NS10device_ptrIlEESB_jNS0_19identity_decomposerENS1_16block_id_wrapperIjLb0EEEEE10hipError_tT1_PNSt15iterator_traitsISG_E10value_typeET2_T3_PNSH_ISM_E10value_typeET4_T5_PSR_SS_PNS1_23onesweep_lookback_stateEbbT6_jjT7_P12ihipStream_tbENKUlT_T0_SG_SL_E_clIS7_S7_SB_PlEEDaSZ_S10_SG_SL_EUlSZ_E_NS1_11comp_targetILNS1_3genE10ELNS1_11target_archE1201ELNS1_3gpuE5ELNS1_3repE0EEENS1_47radix_sort_onesweep_sort_config_static_selectorELNS0_4arch9wavefront6targetE1EEEvSG_,"axG",@progbits,_ZN7rocprim17ROCPRIM_400000_NS6detail17trampoline_kernelINS0_14default_configENS1_35radix_sort_onesweep_config_selectorIdlEEZZNS1_29radix_sort_onesweep_iterationIS3_Lb0EPdS7_N6thrust23THRUST_200600_302600_NS10device_ptrIlEESB_jNS0_19identity_decomposerENS1_16block_id_wrapperIjLb0EEEEE10hipError_tT1_PNSt15iterator_traitsISG_E10value_typeET2_T3_PNSH_ISM_E10value_typeET4_T5_PSR_SS_PNS1_23onesweep_lookback_stateEbbT6_jjT7_P12ihipStream_tbENKUlT_T0_SG_SL_E_clIS7_S7_SB_PlEEDaSZ_S10_SG_SL_EUlSZ_E_NS1_11comp_targetILNS1_3genE10ELNS1_11target_archE1201ELNS1_3gpuE5ELNS1_3repE0EEENS1_47radix_sort_onesweep_sort_config_static_selectorELNS0_4arch9wavefront6targetE1EEEvSG_,comdat
.Lfunc_end1658:
	.size	_ZN7rocprim17ROCPRIM_400000_NS6detail17trampoline_kernelINS0_14default_configENS1_35radix_sort_onesweep_config_selectorIdlEEZZNS1_29radix_sort_onesweep_iterationIS3_Lb0EPdS7_N6thrust23THRUST_200600_302600_NS10device_ptrIlEESB_jNS0_19identity_decomposerENS1_16block_id_wrapperIjLb0EEEEE10hipError_tT1_PNSt15iterator_traitsISG_E10value_typeET2_T3_PNSH_ISM_E10value_typeET4_T5_PSR_SS_PNS1_23onesweep_lookback_stateEbbT6_jjT7_P12ihipStream_tbENKUlT_T0_SG_SL_E_clIS7_S7_SB_PlEEDaSZ_S10_SG_SL_EUlSZ_E_NS1_11comp_targetILNS1_3genE10ELNS1_11target_archE1201ELNS1_3gpuE5ELNS1_3repE0EEENS1_47radix_sort_onesweep_sort_config_static_selectorELNS0_4arch9wavefront6targetE1EEEvSG_, .Lfunc_end1658-_ZN7rocprim17ROCPRIM_400000_NS6detail17trampoline_kernelINS0_14default_configENS1_35radix_sort_onesweep_config_selectorIdlEEZZNS1_29radix_sort_onesweep_iterationIS3_Lb0EPdS7_N6thrust23THRUST_200600_302600_NS10device_ptrIlEESB_jNS0_19identity_decomposerENS1_16block_id_wrapperIjLb0EEEEE10hipError_tT1_PNSt15iterator_traitsISG_E10value_typeET2_T3_PNSH_ISM_E10value_typeET4_T5_PSR_SS_PNS1_23onesweep_lookback_stateEbbT6_jjT7_P12ihipStream_tbENKUlT_T0_SG_SL_E_clIS7_S7_SB_PlEEDaSZ_S10_SG_SL_EUlSZ_E_NS1_11comp_targetILNS1_3genE10ELNS1_11target_archE1201ELNS1_3gpuE5ELNS1_3repE0EEENS1_47radix_sort_onesweep_sort_config_static_selectorELNS0_4arch9wavefront6targetE1EEEvSG_
                                        ; -- End function
	.set _ZN7rocprim17ROCPRIM_400000_NS6detail17trampoline_kernelINS0_14default_configENS1_35radix_sort_onesweep_config_selectorIdlEEZZNS1_29radix_sort_onesweep_iterationIS3_Lb0EPdS7_N6thrust23THRUST_200600_302600_NS10device_ptrIlEESB_jNS0_19identity_decomposerENS1_16block_id_wrapperIjLb0EEEEE10hipError_tT1_PNSt15iterator_traitsISG_E10value_typeET2_T3_PNSH_ISM_E10value_typeET4_T5_PSR_SS_PNS1_23onesweep_lookback_stateEbbT6_jjT7_P12ihipStream_tbENKUlT_T0_SG_SL_E_clIS7_S7_SB_PlEEDaSZ_S10_SG_SL_EUlSZ_E_NS1_11comp_targetILNS1_3genE10ELNS1_11target_archE1201ELNS1_3gpuE5ELNS1_3repE0EEENS1_47radix_sort_onesweep_sort_config_static_selectorELNS0_4arch9wavefront6targetE1EEEvSG_.num_vgpr, 0
	.set _ZN7rocprim17ROCPRIM_400000_NS6detail17trampoline_kernelINS0_14default_configENS1_35radix_sort_onesweep_config_selectorIdlEEZZNS1_29radix_sort_onesweep_iterationIS3_Lb0EPdS7_N6thrust23THRUST_200600_302600_NS10device_ptrIlEESB_jNS0_19identity_decomposerENS1_16block_id_wrapperIjLb0EEEEE10hipError_tT1_PNSt15iterator_traitsISG_E10value_typeET2_T3_PNSH_ISM_E10value_typeET4_T5_PSR_SS_PNS1_23onesweep_lookback_stateEbbT6_jjT7_P12ihipStream_tbENKUlT_T0_SG_SL_E_clIS7_S7_SB_PlEEDaSZ_S10_SG_SL_EUlSZ_E_NS1_11comp_targetILNS1_3genE10ELNS1_11target_archE1201ELNS1_3gpuE5ELNS1_3repE0EEENS1_47radix_sort_onesweep_sort_config_static_selectorELNS0_4arch9wavefront6targetE1EEEvSG_.num_agpr, 0
	.set _ZN7rocprim17ROCPRIM_400000_NS6detail17trampoline_kernelINS0_14default_configENS1_35radix_sort_onesweep_config_selectorIdlEEZZNS1_29radix_sort_onesweep_iterationIS3_Lb0EPdS7_N6thrust23THRUST_200600_302600_NS10device_ptrIlEESB_jNS0_19identity_decomposerENS1_16block_id_wrapperIjLb0EEEEE10hipError_tT1_PNSt15iterator_traitsISG_E10value_typeET2_T3_PNSH_ISM_E10value_typeET4_T5_PSR_SS_PNS1_23onesweep_lookback_stateEbbT6_jjT7_P12ihipStream_tbENKUlT_T0_SG_SL_E_clIS7_S7_SB_PlEEDaSZ_S10_SG_SL_EUlSZ_E_NS1_11comp_targetILNS1_3genE10ELNS1_11target_archE1201ELNS1_3gpuE5ELNS1_3repE0EEENS1_47radix_sort_onesweep_sort_config_static_selectorELNS0_4arch9wavefront6targetE1EEEvSG_.numbered_sgpr, 0
	.set _ZN7rocprim17ROCPRIM_400000_NS6detail17trampoline_kernelINS0_14default_configENS1_35radix_sort_onesweep_config_selectorIdlEEZZNS1_29radix_sort_onesweep_iterationIS3_Lb0EPdS7_N6thrust23THRUST_200600_302600_NS10device_ptrIlEESB_jNS0_19identity_decomposerENS1_16block_id_wrapperIjLb0EEEEE10hipError_tT1_PNSt15iterator_traitsISG_E10value_typeET2_T3_PNSH_ISM_E10value_typeET4_T5_PSR_SS_PNS1_23onesweep_lookback_stateEbbT6_jjT7_P12ihipStream_tbENKUlT_T0_SG_SL_E_clIS7_S7_SB_PlEEDaSZ_S10_SG_SL_EUlSZ_E_NS1_11comp_targetILNS1_3genE10ELNS1_11target_archE1201ELNS1_3gpuE5ELNS1_3repE0EEENS1_47radix_sort_onesweep_sort_config_static_selectorELNS0_4arch9wavefront6targetE1EEEvSG_.num_named_barrier, 0
	.set _ZN7rocprim17ROCPRIM_400000_NS6detail17trampoline_kernelINS0_14default_configENS1_35radix_sort_onesweep_config_selectorIdlEEZZNS1_29radix_sort_onesweep_iterationIS3_Lb0EPdS7_N6thrust23THRUST_200600_302600_NS10device_ptrIlEESB_jNS0_19identity_decomposerENS1_16block_id_wrapperIjLb0EEEEE10hipError_tT1_PNSt15iterator_traitsISG_E10value_typeET2_T3_PNSH_ISM_E10value_typeET4_T5_PSR_SS_PNS1_23onesweep_lookback_stateEbbT6_jjT7_P12ihipStream_tbENKUlT_T0_SG_SL_E_clIS7_S7_SB_PlEEDaSZ_S10_SG_SL_EUlSZ_E_NS1_11comp_targetILNS1_3genE10ELNS1_11target_archE1201ELNS1_3gpuE5ELNS1_3repE0EEENS1_47radix_sort_onesweep_sort_config_static_selectorELNS0_4arch9wavefront6targetE1EEEvSG_.private_seg_size, 0
	.set _ZN7rocprim17ROCPRIM_400000_NS6detail17trampoline_kernelINS0_14default_configENS1_35radix_sort_onesweep_config_selectorIdlEEZZNS1_29radix_sort_onesweep_iterationIS3_Lb0EPdS7_N6thrust23THRUST_200600_302600_NS10device_ptrIlEESB_jNS0_19identity_decomposerENS1_16block_id_wrapperIjLb0EEEEE10hipError_tT1_PNSt15iterator_traitsISG_E10value_typeET2_T3_PNSH_ISM_E10value_typeET4_T5_PSR_SS_PNS1_23onesweep_lookback_stateEbbT6_jjT7_P12ihipStream_tbENKUlT_T0_SG_SL_E_clIS7_S7_SB_PlEEDaSZ_S10_SG_SL_EUlSZ_E_NS1_11comp_targetILNS1_3genE10ELNS1_11target_archE1201ELNS1_3gpuE5ELNS1_3repE0EEENS1_47radix_sort_onesweep_sort_config_static_selectorELNS0_4arch9wavefront6targetE1EEEvSG_.uses_vcc, 0
	.set _ZN7rocprim17ROCPRIM_400000_NS6detail17trampoline_kernelINS0_14default_configENS1_35radix_sort_onesweep_config_selectorIdlEEZZNS1_29radix_sort_onesweep_iterationIS3_Lb0EPdS7_N6thrust23THRUST_200600_302600_NS10device_ptrIlEESB_jNS0_19identity_decomposerENS1_16block_id_wrapperIjLb0EEEEE10hipError_tT1_PNSt15iterator_traitsISG_E10value_typeET2_T3_PNSH_ISM_E10value_typeET4_T5_PSR_SS_PNS1_23onesweep_lookback_stateEbbT6_jjT7_P12ihipStream_tbENKUlT_T0_SG_SL_E_clIS7_S7_SB_PlEEDaSZ_S10_SG_SL_EUlSZ_E_NS1_11comp_targetILNS1_3genE10ELNS1_11target_archE1201ELNS1_3gpuE5ELNS1_3repE0EEENS1_47radix_sort_onesweep_sort_config_static_selectorELNS0_4arch9wavefront6targetE1EEEvSG_.uses_flat_scratch, 0
	.set _ZN7rocprim17ROCPRIM_400000_NS6detail17trampoline_kernelINS0_14default_configENS1_35radix_sort_onesweep_config_selectorIdlEEZZNS1_29radix_sort_onesweep_iterationIS3_Lb0EPdS7_N6thrust23THRUST_200600_302600_NS10device_ptrIlEESB_jNS0_19identity_decomposerENS1_16block_id_wrapperIjLb0EEEEE10hipError_tT1_PNSt15iterator_traitsISG_E10value_typeET2_T3_PNSH_ISM_E10value_typeET4_T5_PSR_SS_PNS1_23onesweep_lookback_stateEbbT6_jjT7_P12ihipStream_tbENKUlT_T0_SG_SL_E_clIS7_S7_SB_PlEEDaSZ_S10_SG_SL_EUlSZ_E_NS1_11comp_targetILNS1_3genE10ELNS1_11target_archE1201ELNS1_3gpuE5ELNS1_3repE0EEENS1_47radix_sort_onesweep_sort_config_static_selectorELNS0_4arch9wavefront6targetE1EEEvSG_.has_dyn_sized_stack, 0
	.set _ZN7rocprim17ROCPRIM_400000_NS6detail17trampoline_kernelINS0_14default_configENS1_35radix_sort_onesweep_config_selectorIdlEEZZNS1_29radix_sort_onesweep_iterationIS3_Lb0EPdS7_N6thrust23THRUST_200600_302600_NS10device_ptrIlEESB_jNS0_19identity_decomposerENS1_16block_id_wrapperIjLb0EEEEE10hipError_tT1_PNSt15iterator_traitsISG_E10value_typeET2_T3_PNSH_ISM_E10value_typeET4_T5_PSR_SS_PNS1_23onesweep_lookback_stateEbbT6_jjT7_P12ihipStream_tbENKUlT_T0_SG_SL_E_clIS7_S7_SB_PlEEDaSZ_S10_SG_SL_EUlSZ_E_NS1_11comp_targetILNS1_3genE10ELNS1_11target_archE1201ELNS1_3gpuE5ELNS1_3repE0EEENS1_47radix_sort_onesweep_sort_config_static_selectorELNS0_4arch9wavefront6targetE1EEEvSG_.has_recursion, 0
	.set _ZN7rocprim17ROCPRIM_400000_NS6detail17trampoline_kernelINS0_14default_configENS1_35radix_sort_onesweep_config_selectorIdlEEZZNS1_29radix_sort_onesweep_iterationIS3_Lb0EPdS7_N6thrust23THRUST_200600_302600_NS10device_ptrIlEESB_jNS0_19identity_decomposerENS1_16block_id_wrapperIjLb0EEEEE10hipError_tT1_PNSt15iterator_traitsISG_E10value_typeET2_T3_PNSH_ISM_E10value_typeET4_T5_PSR_SS_PNS1_23onesweep_lookback_stateEbbT6_jjT7_P12ihipStream_tbENKUlT_T0_SG_SL_E_clIS7_S7_SB_PlEEDaSZ_S10_SG_SL_EUlSZ_E_NS1_11comp_targetILNS1_3genE10ELNS1_11target_archE1201ELNS1_3gpuE5ELNS1_3repE0EEENS1_47radix_sort_onesweep_sort_config_static_selectorELNS0_4arch9wavefront6targetE1EEEvSG_.has_indirect_call, 0
	.section	.AMDGPU.csdata,"",@progbits
; Kernel info:
; codeLenInByte = 0
; TotalNumSgprs: 4
; NumVgprs: 0
; ScratchSize: 0
; MemoryBound: 0
; FloatMode: 240
; IeeeMode: 1
; LDSByteSize: 0 bytes/workgroup (compile time only)
; SGPRBlocks: 0
; VGPRBlocks: 0
; NumSGPRsForWavesPerEU: 4
; NumVGPRsForWavesPerEU: 1
; Occupancy: 10
; WaveLimiterHint : 0
; COMPUTE_PGM_RSRC2:SCRATCH_EN: 0
; COMPUTE_PGM_RSRC2:USER_SGPR: 6
; COMPUTE_PGM_RSRC2:TRAP_HANDLER: 0
; COMPUTE_PGM_RSRC2:TGID_X_EN: 1
; COMPUTE_PGM_RSRC2:TGID_Y_EN: 0
; COMPUTE_PGM_RSRC2:TGID_Z_EN: 0
; COMPUTE_PGM_RSRC2:TIDIG_COMP_CNT: 0
	.section	.text._ZN7rocprim17ROCPRIM_400000_NS6detail17trampoline_kernelINS0_14default_configENS1_35radix_sort_onesweep_config_selectorIdlEEZZNS1_29radix_sort_onesweep_iterationIS3_Lb0EPdS7_N6thrust23THRUST_200600_302600_NS10device_ptrIlEESB_jNS0_19identity_decomposerENS1_16block_id_wrapperIjLb0EEEEE10hipError_tT1_PNSt15iterator_traitsISG_E10value_typeET2_T3_PNSH_ISM_E10value_typeET4_T5_PSR_SS_PNS1_23onesweep_lookback_stateEbbT6_jjT7_P12ihipStream_tbENKUlT_T0_SG_SL_E_clIS7_S7_SB_PlEEDaSZ_S10_SG_SL_EUlSZ_E_NS1_11comp_targetILNS1_3genE9ELNS1_11target_archE1100ELNS1_3gpuE3ELNS1_3repE0EEENS1_47radix_sort_onesweep_sort_config_static_selectorELNS0_4arch9wavefront6targetE1EEEvSG_,"axG",@progbits,_ZN7rocprim17ROCPRIM_400000_NS6detail17trampoline_kernelINS0_14default_configENS1_35radix_sort_onesweep_config_selectorIdlEEZZNS1_29radix_sort_onesweep_iterationIS3_Lb0EPdS7_N6thrust23THRUST_200600_302600_NS10device_ptrIlEESB_jNS0_19identity_decomposerENS1_16block_id_wrapperIjLb0EEEEE10hipError_tT1_PNSt15iterator_traitsISG_E10value_typeET2_T3_PNSH_ISM_E10value_typeET4_T5_PSR_SS_PNS1_23onesweep_lookback_stateEbbT6_jjT7_P12ihipStream_tbENKUlT_T0_SG_SL_E_clIS7_S7_SB_PlEEDaSZ_S10_SG_SL_EUlSZ_E_NS1_11comp_targetILNS1_3genE9ELNS1_11target_archE1100ELNS1_3gpuE3ELNS1_3repE0EEENS1_47radix_sort_onesweep_sort_config_static_selectorELNS0_4arch9wavefront6targetE1EEEvSG_,comdat
	.protected	_ZN7rocprim17ROCPRIM_400000_NS6detail17trampoline_kernelINS0_14default_configENS1_35radix_sort_onesweep_config_selectorIdlEEZZNS1_29radix_sort_onesweep_iterationIS3_Lb0EPdS7_N6thrust23THRUST_200600_302600_NS10device_ptrIlEESB_jNS0_19identity_decomposerENS1_16block_id_wrapperIjLb0EEEEE10hipError_tT1_PNSt15iterator_traitsISG_E10value_typeET2_T3_PNSH_ISM_E10value_typeET4_T5_PSR_SS_PNS1_23onesweep_lookback_stateEbbT6_jjT7_P12ihipStream_tbENKUlT_T0_SG_SL_E_clIS7_S7_SB_PlEEDaSZ_S10_SG_SL_EUlSZ_E_NS1_11comp_targetILNS1_3genE9ELNS1_11target_archE1100ELNS1_3gpuE3ELNS1_3repE0EEENS1_47radix_sort_onesweep_sort_config_static_selectorELNS0_4arch9wavefront6targetE1EEEvSG_ ; -- Begin function _ZN7rocprim17ROCPRIM_400000_NS6detail17trampoline_kernelINS0_14default_configENS1_35radix_sort_onesweep_config_selectorIdlEEZZNS1_29radix_sort_onesweep_iterationIS3_Lb0EPdS7_N6thrust23THRUST_200600_302600_NS10device_ptrIlEESB_jNS0_19identity_decomposerENS1_16block_id_wrapperIjLb0EEEEE10hipError_tT1_PNSt15iterator_traitsISG_E10value_typeET2_T3_PNSH_ISM_E10value_typeET4_T5_PSR_SS_PNS1_23onesweep_lookback_stateEbbT6_jjT7_P12ihipStream_tbENKUlT_T0_SG_SL_E_clIS7_S7_SB_PlEEDaSZ_S10_SG_SL_EUlSZ_E_NS1_11comp_targetILNS1_3genE9ELNS1_11target_archE1100ELNS1_3gpuE3ELNS1_3repE0EEENS1_47radix_sort_onesweep_sort_config_static_selectorELNS0_4arch9wavefront6targetE1EEEvSG_
	.globl	_ZN7rocprim17ROCPRIM_400000_NS6detail17trampoline_kernelINS0_14default_configENS1_35radix_sort_onesweep_config_selectorIdlEEZZNS1_29radix_sort_onesweep_iterationIS3_Lb0EPdS7_N6thrust23THRUST_200600_302600_NS10device_ptrIlEESB_jNS0_19identity_decomposerENS1_16block_id_wrapperIjLb0EEEEE10hipError_tT1_PNSt15iterator_traitsISG_E10value_typeET2_T3_PNSH_ISM_E10value_typeET4_T5_PSR_SS_PNS1_23onesweep_lookback_stateEbbT6_jjT7_P12ihipStream_tbENKUlT_T0_SG_SL_E_clIS7_S7_SB_PlEEDaSZ_S10_SG_SL_EUlSZ_E_NS1_11comp_targetILNS1_3genE9ELNS1_11target_archE1100ELNS1_3gpuE3ELNS1_3repE0EEENS1_47radix_sort_onesweep_sort_config_static_selectorELNS0_4arch9wavefront6targetE1EEEvSG_
	.p2align	8
	.type	_ZN7rocprim17ROCPRIM_400000_NS6detail17trampoline_kernelINS0_14default_configENS1_35radix_sort_onesweep_config_selectorIdlEEZZNS1_29radix_sort_onesweep_iterationIS3_Lb0EPdS7_N6thrust23THRUST_200600_302600_NS10device_ptrIlEESB_jNS0_19identity_decomposerENS1_16block_id_wrapperIjLb0EEEEE10hipError_tT1_PNSt15iterator_traitsISG_E10value_typeET2_T3_PNSH_ISM_E10value_typeET4_T5_PSR_SS_PNS1_23onesweep_lookback_stateEbbT6_jjT7_P12ihipStream_tbENKUlT_T0_SG_SL_E_clIS7_S7_SB_PlEEDaSZ_S10_SG_SL_EUlSZ_E_NS1_11comp_targetILNS1_3genE9ELNS1_11target_archE1100ELNS1_3gpuE3ELNS1_3repE0EEENS1_47radix_sort_onesweep_sort_config_static_selectorELNS0_4arch9wavefront6targetE1EEEvSG_,@function
_ZN7rocprim17ROCPRIM_400000_NS6detail17trampoline_kernelINS0_14default_configENS1_35radix_sort_onesweep_config_selectorIdlEEZZNS1_29radix_sort_onesweep_iterationIS3_Lb0EPdS7_N6thrust23THRUST_200600_302600_NS10device_ptrIlEESB_jNS0_19identity_decomposerENS1_16block_id_wrapperIjLb0EEEEE10hipError_tT1_PNSt15iterator_traitsISG_E10value_typeET2_T3_PNSH_ISM_E10value_typeET4_T5_PSR_SS_PNS1_23onesweep_lookback_stateEbbT6_jjT7_P12ihipStream_tbENKUlT_T0_SG_SL_E_clIS7_S7_SB_PlEEDaSZ_S10_SG_SL_EUlSZ_E_NS1_11comp_targetILNS1_3genE9ELNS1_11target_archE1100ELNS1_3gpuE3ELNS1_3repE0EEENS1_47radix_sort_onesweep_sort_config_static_selectorELNS0_4arch9wavefront6targetE1EEEvSG_: ; @_ZN7rocprim17ROCPRIM_400000_NS6detail17trampoline_kernelINS0_14default_configENS1_35radix_sort_onesweep_config_selectorIdlEEZZNS1_29radix_sort_onesweep_iterationIS3_Lb0EPdS7_N6thrust23THRUST_200600_302600_NS10device_ptrIlEESB_jNS0_19identity_decomposerENS1_16block_id_wrapperIjLb0EEEEE10hipError_tT1_PNSt15iterator_traitsISG_E10value_typeET2_T3_PNSH_ISM_E10value_typeET4_T5_PSR_SS_PNS1_23onesweep_lookback_stateEbbT6_jjT7_P12ihipStream_tbENKUlT_T0_SG_SL_E_clIS7_S7_SB_PlEEDaSZ_S10_SG_SL_EUlSZ_E_NS1_11comp_targetILNS1_3genE9ELNS1_11target_archE1100ELNS1_3gpuE3ELNS1_3repE0EEENS1_47radix_sort_onesweep_sort_config_static_selectorELNS0_4arch9wavefront6targetE1EEEvSG_
; %bb.0:
	.section	.rodata,"a",@progbits
	.p2align	6, 0x0
	.amdhsa_kernel _ZN7rocprim17ROCPRIM_400000_NS6detail17trampoline_kernelINS0_14default_configENS1_35radix_sort_onesweep_config_selectorIdlEEZZNS1_29radix_sort_onesweep_iterationIS3_Lb0EPdS7_N6thrust23THRUST_200600_302600_NS10device_ptrIlEESB_jNS0_19identity_decomposerENS1_16block_id_wrapperIjLb0EEEEE10hipError_tT1_PNSt15iterator_traitsISG_E10value_typeET2_T3_PNSH_ISM_E10value_typeET4_T5_PSR_SS_PNS1_23onesweep_lookback_stateEbbT6_jjT7_P12ihipStream_tbENKUlT_T0_SG_SL_E_clIS7_S7_SB_PlEEDaSZ_S10_SG_SL_EUlSZ_E_NS1_11comp_targetILNS1_3genE9ELNS1_11target_archE1100ELNS1_3gpuE3ELNS1_3repE0EEENS1_47radix_sort_onesweep_sort_config_static_selectorELNS0_4arch9wavefront6targetE1EEEvSG_
		.amdhsa_group_segment_fixed_size 0
		.amdhsa_private_segment_fixed_size 0
		.amdhsa_kernarg_size 88
		.amdhsa_user_sgpr_count 6
		.amdhsa_user_sgpr_private_segment_buffer 1
		.amdhsa_user_sgpr_dispatch_ptr 0
		.amdhsa_user_sgpr_queue_ptr 0
		.amdhsa_user_sgpr_kernarg_segment_ptr 1
		.amdhsa_user_sgpr_dispatch_id 0
		.amdhsa_user_sgpr_flat_scratch_init 0
		.amdhsa_user_sgpr_private_segment_size 0
		.amdhsa_uses_dynamic_stack 0
		.amdhsa_system_sgpr_private_segment_wavefront_offset 0
		.amdhsa_system_sgpr_workgroup_id_x 1
		.amdhsa_system_sgpr_workgroup_id_y 0
		.amdhsa_system_sgpr_workgroup_id_z 0
		.amdhsa_system_sgpr_workgroup_info 0
		.amdhsa_system_vgpr_workitem_id 0
		.amdhsa_next_free_vgpr 1
		.amdhsa_next_free_sgpr 0
		.amdhsa_reserve_vcc 0
		.amdhsa_reserve_flat_scratch 0
		.amdhsa_float_round_mode_32 0
		.amdhsa_float_round_mode_16_64 0
		.amdhsa_float_denorm_mode_32 3
		.amdhsa_float_denorm_mode_16_64 3
		.amdhsa_dx10_clamp 1
		.amdhsa_ieee_mode 1
		.amdhsa_fp16_overflow 0
		.amdhsa_exception_fp_ieee_invalid_op 0
		.amdhsa_exception_fp_denorm_src 0
		.amdhsa_exception_fp_ieee_div_zero 0
		.amdhsa_exception_fp_ieee_overflow 0
		.amdhsa_exception_fp_ieee_underflow 0
		.amdhsa_exception_fp_ieee_inexact 0
		.amdhsa_exception_int_div_zero 0
	.end_amdhsa_kernel
	.section	.text._ZN7rocprim17ROCPRIM_400000_NS6detail17trampoline_kernelINS0_14default_configENS1_35radix_sort_onesweep_config_selectorIdlEEZZNS1_29radix_sort_onesweep_iterationIS3_Lb0EPdS7_N6thrust23THRUST_200600_302600_NS10device_ptrIlEESB_jNS0_19identity_decomposerENS1_16block_id_wrapperIjLb0EEEEE10hipError_tT1_PNSt15iterator_traitsISG_E10value_typeET2_T3_PNSH_ISM_E10value_typeET4_T5_PSR_SS_PNS1_23onesweep_lookback_stateEbbT6_jjT7_P12ihipStream_tbENKUlT_T0_SG_SL_E_clIS7_S7_SB_PlEEDaSZ_S10_SG_SL_EUlSZ_E_NS1_11comp_targetILNS1_3genE9ELNS1_11target_archE1100ELNS1_3gpuE3ELNS1_3repE0EEENS1_47radix_sort_onesweep_sort_config_static_selectorELNS0_4arch9wavefront6targetE1EEEvSG_,"axG",@progbits,_ZN7rocprim17ROCPRIM_400000_NS6detail17trampoline_kernelINS0_14default_configENS1_35radix_sort_onesweep_config_selectorIdlEEZZNS1_29radix_sort_onesweep_iterationIS3_Lb0EPdS7_N6thrust23THRUST_200600_302600_NS10device_ptrIlEESB_jNS0_19identity_decomposerENS1_16block_id_wrapperIjLb0EEEEE10hipError_tT1_PNSt15iterator_traitsISG_E10value_typeET2_T3_PNSH_ISM_E10value_typeET4_T5_PSR_SS_PNS1_23onesweep_lookback_stateEbbT6_jjT7_P12ihipStream_tbENKUlT_T0_SG_SL_E_clIS7_S7_SB_PlEEDaSZ_S10_SG_SL_EUlSZ_E_NS1_11comp_targetILNS1_3genE9ELNS1_11target_archE1100ELNS1_3gpuE3ELNS1_3repE0EEENS1_47radix_sort_onesweep_sort_config_static_selectorELNS0_4arch9wavefront6targetE1EEEvSG_,comdat
.Lfunc_end1659:
	.size	_ZN7rocprim17ROCPRIM_400000_NS6detail17trampoline_kernelINS0_14default_configENS1_35radix_sort_onesweep_config_selectorIdlEEZZNS1_29radix_sort_onesweep_iterationIS3_Lb0EPdS7_N6thrust23THRUST_200600_302600_NS10device_ptrIlEESB_jNS0_19identity_decomposerENS1_16block_id_wrapperIjLb0EEEEE10hipError_tT1_PNSt15iterator_traitsISG_E10value_typeET2_T3_PNSH_ISM_E10value_typeET4_T5_PSR_SS_PNS1_23onesweep_lookback_stateEbbT6_jjT7_P12ihipStream_tbENKUlT_T0_SG_SL_E_clIS7_S7_SB_PlEEDaSZ_S10_SG_SL_EUlSZ_E_NS1_11comp_targetILNS1_3genE9ELNS1_11target_archE1100ELNS1_3gpuE3ELNS1_3repE0EEENS1_47radix_sort_onesweep_sort_config_static_selectorELNS0_4arch9wavefront6targetE1EEEvSG_, .Lfunc_end1659-_ZN7rocprim17ROCPRIM_400000_NS6detail17trampoline_kernelINS0_14default_configENS1_35radix_sort_onesweep_config_selectorIdlEEZZNS1_29radix_sort_onesweep_iterationIS3_Lb0EPdS7_N6thrust23THRUST_200600_302600_NS10device_ptrIlEESB_jNS0_19identity_decomposerENS1_16block_id_wrapperIjLb0EEEEE10hipError_tT1_PNSt15iterator_traitsISG_E10value_typeET2_T3_PNSH_ISM_E10value_typeET4_T5_PSR_SS_PNS1_23onesweep_lookback_stateEbbT6_jjT7_P12ihipStream_tbENKUlT_T0_SG_SL_E_clIS7_S7_SB_PlEEDaSZ_S10_SG_SL_EUlSZ_E_NS1_11comp_targetILNS1_3genE9ELNS1_11target_archE1100ELNS1_3gpuE3ELNS1_3repE0EEENS1_47radix_sort_onesweep_sort_config_static_selectorELNS0_4arch9wavefront6targetE1EEEvSG_
                                        ; -- End function
	.set _ZN7rocprim17ROCPRIM_400000_NS6detail17trampoline_kernelINS0_14default_configENS1_35radix_sort_onesweep_config_selectorIdlEEZZNS1_29radix_sort_onesweep_iterationIS3_Lb0EPdS7_N6thrust23THRUST_200600_302600_NS10device_ptrIlEESB_jNS0_19identity_decomposerENS1_16block_id_wrapperIjLb0EEEEE10hipError_tT1_PNSt15iterator_traitsISG_E10value_typeET2_T3_PNSH_ISM_E10value_typeET4_T5_PSR_SS_PNS1_23onesweep_lookback_stateEbbT6_jjT7_P12ihipStream_tbENKUlT_T0_SG_SL_E_clIS7_S7_SB_PlEEDaSZ_S10_SG_SL_EUlSZ_E_NS1_11comp_targetILNS1_3genE9ELNS1_11target_archE1100ELNS1_3gpuE3ELNS1_3repE0EEENS1_47radix_sort_onesweep_sort_config_static_selectorELNS0_4arch9wavefront6targetE1EEEvSG_.num_vgpr, 0
	.set _ZN7rocprim17ROCPRIM_400000_NS6detail17trampoline_kernelINS0_14default_configENS1_35radix_sort_onesweep_config_selectorIdlEEZZNS1_29radix_sort_onesweep_iterationIS3_Lb0EPdS7_N6thrust23THRUST_200600_302600_NS10device_ptrIlEESB_jNS0_19identity_decomposerENS1_16block_id_wrapperIjLb0EEEEE10hipError_tT1_PNSt15iterator_traitsISG_E10value_typeET2_T3_PNSH_ISM_E10value_typeET4_T5_PSR_SS_PNS1_23onesweep_lookback_stateEbbT6_jjT7_P12ihipStream_tbENKUlT_T0_SG_SL_E_clIS7_S7_SB_PlEEDaSZ_S10_SG_SL_EUlSZ_E_NS1_11comp_targetILNS1_3genE9ELNS1_11target_archE1100ELNS1_3gpuE3ELNS1_3repE0EEENS1_47radix_sort_onesweep_sort_config_static_selectorELNS0_4arch9wavefront6targetE1EEEvSG_.num_agpr, 0
	.set _ZN7rocprim17ROCPRIM_400000_NS6detail17trampoline_kernelINS0_14default_configENS1_35radix_sort_onesweep_config_selectorIdlEEZZNS1_29radix_sort_onesweep_iterationIS3_Lb0EPdS7_N6thrust23THRUST_200600_302600_NS10device_ptrIlEESB_jNS0_19identity_decomposerENS1_16block_id_wrapperIjLb0EEEEE10hipError_tT1_PNSt15iterator_traitsISG_E10value_typeET2_T3_PNSH_ISM_E10value_typeET4_T5_PSR_SS_PNS1_23onesweep_lookback_stateEbbT6_jjT7_P12ihipStream_tbENKUlT_T0_SG_SL_E_clIS7_S7_SB_PlEEDaSZ_S10_SG_SL_EUlSZ_E_NS1_11comp_targetILNS1_3genE9ELNS1_11target_archE1100ELNS1_3gpuE3ELNS1_3repE0EEENS1_47radix_sort_onesweep_sort_config_static_selectorELNS0_4arch9wavefront6targetE1EEEvSG_.numbered_sgpr, 0
	.set _ZN7rocprim17ROCPRIM_400000_NS6detail17trampoline_kernelINS0_14default_configENS1_35radix_sort_onesweep_config_selectorIdlEEZZNS1_29radix_sort_onesweep_iterationIS3_Lb0EPdS7_N6thrust23THRUST_200600_302600_NS10device_ptrIlEESB_jNS0_19identity_decomposerENS1_16block_id_wrapperIjLb0EEEEE10hipError_tT1_PNSt15iterator_traitsISG_E10value_typeET2_T3_PNSH_ISM_E10value_typeET4_T5_PSR_SS_PNS1_23onesweep_lookback_stateEbbT6_jjT7_P12ihipStream_tbENKUlT_T0_SG_SL_E_clIS7_S7_SB_PlEEDaSZ_S10_SG_SL_EUlSZ_E_NS1_11comp_targetILNS1_3genE9ELNS1_11target_archE1100ELNS1_3gpuE3ELNS1_3repE0EEENS1_47radix_sort_onesweep_sort_config_static_selectorELNS0_4arch9wavefront6targetE1EEEvSG_.num_named_barrier, 0
	.set _ZN7rocprim17ROCPRIM_400000_NS6detail17trampoline_kernelINS0_14default_configENS1_35radix_sort_onesweep_config_selectorIdlEEZZNS1_29radix_sort_onesweep_iterationIS3_Lb0EPdS7_N6thrust23THRUST_200600_302600_NS10device_ptrIlEESB_jNS0_19identity_decomposerENS1_16block_id_wrapperIjLb0EEEEE10hipError_tT1_PNSt15iterator_traitsISG_E10value_typeET2_T3_PNSH_ISM_E10value_typeET4_T5_PSR_SS_PNS1_23onesweep_lookback_stateEbbT6_jjT7_P12ihipStream_tbENKUlT_T0_SG_SL_E_clIS7_S7_SB_PlEEDaSZ_S10_SG_SL_EUlSZ_E_NS1_11comp_targetILNS1_3genE9ELNS1_11target_archE1100ELNS1_3gpuE3ELNS1_3repE0EEENS1_47radix_sort_onesweep_sort_config_static_selectorELNS0_4arch9wavefront6targetE1EEEvSG_.private_seg_size, 0
	.set _ZN7rocprim17ROCPRIM_400000_NS6detail17trampoline_kernelINS0_14default_configENS1_35radix_sort_onesweep_config_selectorIdlEEZZNS1_29radix_sort_onesweep_iterationIS3_Lb0EPdS7_N6thrust23THRUST_200600_302600_NS10device_ptrIlEESB_jNS0_19identity_decomposerENS1_16block_id_wrapperIjLb0EEEEE10hipError_tT1_PNSt15iterator_traitsISG_E10value_typeET2_T3_PNSH_ISM_E10value_typeET4_T5_PSR_SS_PNS1_23onesweep_lookback_stateEbbT6_jjT7_P12ihipStream_tbENKUlT_T0_SG_SL_E_clIS7_S7_SB_PlEEDaSZ_S10_SG_SL_EUlSZ_E_NS1_11comp_targetILNS1_3genE9ELNS1_11target_archE1100ELNS1_3gpuE3ELNS1_3repE0EEENS1_47radix_sort_onesweep_sort_config_static_selectorELNS0_4arch9wavefront6targetE1EEEvSG_.uses_vcc, 0
	.set _ZN7rocprim17ROCPRIM_400000_NS6detail17trampoline_kernelINS0_14default_configENS1_35radix_sort_onesweep_config_selectorIdlEEZZNS1_29radix_sort_onesweep_iterationIS3_Lb0EPdS7_N6thrust23THRUST_200600_302600_NS10device_ptrIlEESB_jNS0_19identity_decomposerENS1_16block_id_wrapperIjLb0EEEEE10hipError_tT1_PNSt15iterator_traitsISG_E10value_typeET2_T3_PNSH_ISM_E10value_typeET4_T5_PSR_SS_PNS1_23onesweep_lookback_stateEbbT6_jjT7_P12ihipStream_tbENKUlT_T0_SG_SL_E_clIS7_S7_SB_PlEEDaSZ_S10_SG_SL_EUlSZ_E_NS1_11comp_targetILNS1_3genE9ELNS1_11target_archE1100ELNS1_3gpuE3ELNS1_3repE0EEENS1_47radix_sort_onesweep_sort_config_static_selectorELNS0_4arch9wavefront6targetE1EEEvSG_.uses_flat_scratch, 0
	.set _ZN7rocprim17ROCPRIM_400000_NS6detail17trampoline_kernelINS0_14default_configENS1_35radix_sort_onesweep_config_selectorIdlEEZZNS1_29radix_sort_onesweep_iterationIS3_Lb0EPdS7_N6thrust23THRUST_200600_302600_NS10device_ptrIlEESB_jNS0_19identity_decomposerENS1_16block_id_wrapperIjLb0EEEEE10hipError_tT1_PNSt15iterator_traitsISG_E10value_typeET2_T3_PNSH_ISM_E10value_typeET4_T5_PSR_SS_PNS1_23onesweep_lookback_stateEbbT6_jjT7_P12ihipStream_tbENKUlT_T0_SG_SL_E_clIS7_S7_SB_PlEEDaSZ_S10_SG_SL_EUlSZ_E_NS1_11comp_targetILNS1_3genE9ELNS1_11target_archE1100ELNS1_3gpuE3ELNS1_3repE0EEENS1_47radix_sort_onesweep_sort_config_static_selectorELNS0_4arch9wavefront6targetE1EEEvSG_.has_dyn_sized_stack, 0
	.set _ZN7rocprim17ROCPRIM_400000_NS6detail17trampoline_kernelINS0_14default_configENS1_35radix_sort_onesweep_config_selectorIdlEEZZNS1_29radix_sort_onesweep_iterationIS3_Lb0EPdS7_N6thrust23THRUST_200600_302600_NS10device_ptrIlEESB_jNS0_19identity_decomposerENS1_16block_id_wrapperIjLb0EEEEE10hipError_tT1_PNSt15iterator_traitsISG_E10value_typeET2_T3_PNSH_ISM_E10value_typeET4_T5_PSR_SS_PNS1_23onesweep_lookback_stateEbbT6_jjT7_P12ihipStream_tbENKUlT_T0_SG_SL_E_clIS7_S7_SB_PlEEDaSZ_S10_SG_SL_EUlSZ_E_NS1_11comp_targetILNS1_3genE9ELNS1_11target_archE1100ELNS1_3gpuE3ELNS1_3repE0EEENS1_47radix_sort_onesweep_sort_config_static_selectorELNS0_4arch9wavefront6targetE1EEEvSG_.has_recursion, 0
	.set _ZN7rocprim17ROCPRIM_400000_NS6detail17trampoline_kernelINS0_14default_configENS1_35radix_sort_onesweep_config_selectorIdlEEZZNS1_29radix_sort_onesweep_iterationIS3_Lb0EPdS7_N6thrust23THRUST_200600_302600_NS10device_ptrIlEESB_jNS0_19identity_decomposerENS1_16block_id_wrapperIjLb0EEEEE10hipError_tT1_PNSt15iterator_traitsISG_E10value_typeET2_T3_PNSH_ISM_E10value_typeET4_T5_PSR_SS_PNS1_23onesweep_lookback_stateEbbT6_jjT7_P12ihipStream_tbENKUlT_T0_SG_SL_E_clIS7_S7_SB_PlEEDaSZ_S10_SG_SL_EUlSZ_E_NS1_11comp_targetILNS1_3genE9ELNS1_11target_archE1100ELNS1_3gpuE3ELNS1_3repE0EEENS1_47radix_sort_onesweep_sort_config_static_selectorELNS0_4arch9wavefront6targetE1EEEvSG_.has_indirect_call, 0
	.section	.AMDGPU.csdata,"",@progbits
; Kernel info:
; codeLenInByte = 0
; TotalNumSgprs: 4
; NumVgprs: 0
; ScratchSize: 0
; MemoryBound: 0
; FloatMode: 240
; IeeeMode: 1
; LDSByteSize: 0 bytes/workgroup (compile time only)
; SGPRBlocks: 0
; VGPRBlocks: 0
; NumSGPRsForWavesPerEU: 4
; NumVGPRsForWavesPerEU: 1
; Occupancy: 10
; WaveLimiterHint : 0
; COMPUTE_PGM_RSRC2:SCRATCH_EN: 0
; COMPUTE_PGM_RSRC2:USER_SGPR: 6
; COMPUTE_PGM_RSRC2:TRAP_HANDLER: 0
; COMPUTE_PGM_RSRC2:TGID_X_EN: 1
; COMPUTE_PGM_RSRC2:TGID_Y_EN: 0
; COMPUTE_PGM_RSRC2:TGID_Z_EN: 0
; COMPUTE_PGM_RSRC2:TIDIG_COMP_CNT: 0
	.section	.text._ZN7rocprim17ROCPRIM_400000_NS6detail17trampoline_kernelINS0_14default_configENS1_35radix_sort_onesweep_config_selectorIdlEEZZNS1_29radix_sort_onesweep_iterationIS3_Lb0EPdS7_N6thrust23THRUST_200600_302600_NS10device_ptrIlEESB_jNS0_19identity_decomposerENS1_16block_id_wrapperIjLb0EEEEE10hipError_tT1_PNSt15iterator_traitsISG_E10value_typeET2_T3_PNSH_ISM_E10value_typeET4_T5_PSR_SS_PNS1_23onesweep_lookback_stateEbbT6_jjT7_P12ihipStream_tbENKUlT_T0_SG_SL_E_clIS7_S7_SB_PlEEDaSZ_S10_SG_SL_EUlSZ_E_NS1_11comp_targetILNS1_3genE8ELNS1_11target_archE1030ELNS1_3gpuE2ELNS1_3repE0EEENS1_47radix_sort_onesweep_sort_config_static_selectorELNS0_4arch9wavefront6targetE1EEEvSG_,"axG",@progbits,_ZN7rocprim17ROCPRIM_400000_NS6detail17trampoline_kernelINS0_14default_configENS1_35radix_sort_onesweep_config_selectorIdlEEZZNS1_29radix_sort_onesweep_iterationIS3_Lb0EPdS7_N6thrust23THRUST_200600_302600_NS10device_ptrIlEESB_jNS0_19identity_decomposerENS1_16block_id_wrapperIjLb0EEEEE10hipError_tT1_PNSt15iterator_traitsISG_E10value_typeET2_T3_PNSH_ISM_E10value_typeET4_T5_PSR_SS_PNS1_23onesweep_lookback_stateEbbT6_jjT7_P12ihipStream_tbENKUlT_T0_SG_SL_E_clIS7_S7_SB_PlEEDaSZ_S10_SG_SL_EUlSZ_E_NS1_11comp_targetILNS1_3genE8ELNS1_11target_archE1030ELNS1_3gpuE2ELNS1_3repE0EEENS1_47radix_sort_onesweep_sort_config_static_selectorELNS0_4arch9wavefront6targetE1EEEvSG_,comdat
	.protected	_ZN7rocprim17ROCPRIM_400000_NS6detail17trampoline_kernelINS0_14default_configENS1_35radix_sort_onesweep_config_selectorIdlEEZZNS1_29radix_sort_onesweep_iterationIS3_Lb0EPdS7_N6thrust23THRUST_200600_302600_NS10device_ptrIlEESB_jNS0_19identity_decomposerENS1_16block_id_wrapperIjLb0EEEEE10hipError_tT1_PNSt15iterator_traitsISG_E10value_typeET2_T3_PNSH_ISM_E10value_typeET4_T5_PSR_SS_PNS1_23onesweep_lookback_stateEbbT6_jjT7_P12ihipStream_tbENKUlT_T0_SG_SL_E_clIS7_S7_SB_PlEEDaSZ_S10_SG_SL_EUlSZ_E_NS1_11comp_targetILNS1_3genE8ELNS1_11target_archE1030ELNS1_3gpuE2ELNS1_3repE0EEENS1_47radix_sort_onesweep_sort_config_static_selectorELNS0_4arch9wavefront6targetE1EEEvSG_ ; -- Begin function _ZN7rocprim17ROCPRIM_400000_NS6detail17trampoline_kernelINS0_14default_configENS1_35radix_sort_onesweep_config_selectorIdlEEZZNS1_29radix_sort_onesweep_iterationIS3_Lb0EPdS7_N6thrust23THRUST_200600_302600_NS10device_ptrIlEESB_jNS0_19identity_decomposerENS1_16block_id_wrapperIjLb0EEEEE10hipError_tT1_PNSt15iterator_traitsISG_E10value_typeET2_T3_PNSH_ISM_E10value_typeET4_T5_PSR_SS_PNS1_23onesweep_lookback_stateEbbT6_jjT7_P12ihipStream_tbENKUlT_T0_SG_SL_E_clIS7_S7_SB_PlEEDaSZ_S10_SG_SL_EUlSZ_E_NS1_11comp_targetILNS1_3genE8ELNS1_11target_archE1030ELNS1_3gpuE2ELNS1_3repE0EEENS1_47radix_sort_onesweep_sort_config_static_selectorELNS0_4arch9wavefront6targetE1EEEvSG_
	.globl	_ZN7rocprim17ROCPRIM_400000_NS6detail17trampoline_kernelINS0_14default_configENS1_35radix_sort_onesweep_config_selectorIdlEEZZNS1_29radix_sort_onesweep_iterationIS3_Lb0EPdS7_N6thrust23THRUST_200600_302600_NS10device_ptrIlEESB_jNS0_19identity_decomposerENS1_16block_id_wrapperIjLb0EEEEE10hipError_tT1_PNSt15iterator_traitsISG_E10value_typeET2_T3_PNSH_ISM_E10value_typeET4_T5_PSR_SS_PNS1_23onesweep_lookback_stateEbbT6_jjT7_P12ihipStream_tbENKUlT_T0_SG_SL_E_clIS7_S7_SB_PlEEDaSZ_S10_SG_SL_EUlSZ_E_NS1_11comp_targetILNS1_3genE8ELNS1_11target_archE1030ELNS1_3gpuE2ELNS1_3repE0EEENS1_47radix_sort_onesweep_sort_config_static_selectorELNS0_4arch9wavefront6targetE1EEEvSG_
	.p2align	8
	.type	_ZN7rocprim17ROCPRIM_400000_NS6detail17trampoline_kernelINS0_14default_configENS1_35radix_sort_onesweep_config_selectorIdlEEZZNS1_29radix_sort_onesweep_iterationIS3_Lb0EPdS7_N6thrust23THRUST_200600_302600_NS10device_ptrIlEESB_jNS0_19identity_decomposerENS1_16block_id_wrapperIjLb0EEEEE10hipError_tT1_PNSt15iterator_traitsISG_E10value_typeET2_T3_PNSH_ISM_E10value_typeET4_T5_PSR_SS_PNS1_23onesweep_lookback_stateEbbT6_jjT7_P12ihipStream_tbENKUlT_T0_SG_SL_E_clIS7_S7_SB_PlEEDaSZ_S10_SG_SL_EUlSZ_E_NS1_11comp_targetILNS1_3genE8ELNS1_11target_archE1030ELNS1_3gpuE2ELNS1_3repE0EEENS1_47radix_sort_onesweep_sort_config_static_selectorELNS0_4arch9wavefront6targetE1EEEvSG_,@function
_ZN7rocprim17ROCPRIM_400000_NS6detail17trampoline_kernelINS0_14default_configENS1_35radix_sort_onesweep_config_selectorIdlEEZZNS1_29radix_sort_onesweep_iterationIS3_Lb0EPdS7_N6thrust23THRUST_200600_302600_NS10device_ptrIlEESB_jNS0_19identity_decomposerENS1_16block_id_wrapperIjLb0EEEEE10hipError_tT1_PNSt15iterator_traitsISG_E10value_typeET2_T3_PNSH_ISM_E10value_typeET4_T5_PSR_SS_PNS1_23onesweep_lookback_stateEbbT6_jjT7_P12ihipStream_tbENKUlT_T0_SG_SL_E_clIS7_S7_SB_PlEEDaSZ_S10_SG_SL_EUlSZ_E_NS1_11comp_targetILNS1_3genE8ELNS1_11target_archE1030ELNS1_3gpuE2ELNS1_3repE0EEENS1_47radix_sort_onesweep_sort_config_static_selectorELNS0_4arch9wavefront6targetE1EEEvSG_: ; @_ZN7rocprim17ROCPRIM_400000_NS6detail17trampoline_kernelINS0_14default_configENS1_35radix_sort_onesweep_config_selectorIdlEEZZNS1_29radix_sort_onesweep_iterationIS3_Lb0EPdS7_N6thrust23THRUST_200600_302600_NS10device_ptrIlEESB_jNS0_19identity_decomposerENS1_16block_id_wrapperIjLb0EEEEE10hipError_tT1_PNSt15iterator_traitsISG_E10value_typeET2_T3_PNSH_ISM_E10value_typeET4_T5_PSR_SS_PNS1_23onesweep_lookback_stateEbbT6_jjT7_P12ihipStream_tbENKUlT_T0_SG_SL_E_clIS7_S7_SB_PlEEDaSZ_S10_SG_SL_EUlSZ_E_NS1_11comp_targetILNS1_3genE8ELNS1_11target_archE1030ELNS1_3gpuE2ELNS1_3repE0EEENS1_47radix_sort_onesweep_sort_config_static_selectorELNS0_4arch9wavefront6targetE1EEEvSG_
; %bb.0:
	.section	.rodata,"a",@progbits
	.p2align	6, 0x0
	.amdhsa_kernel _ZN7rocprim17ROCPRIM_400000_NS6detail17trampoline_kernelINS0_14default_configENS1_35radix_sort_onesweep_config_selectorIdlEEZZNS1_29radix_sort_onesweep_iterationIS3_Lb0EPdS7_N6thrust23THRUST_200600_302600_NS10device_ptrIlEESB_jNS0_19identity_decomposerENS1_16block_id_wrapperIjLb0EEEEE10hipError_tT1_PNSt15iterator_traitsISG_E10value_typeET2_T3_PNSH_ISM_E10value_typeET4_T5_PSR_SS_PNS1_23onesweep_lookback_stateEbbT6_jjT7_P12ihipStream_tbENKUlT_T0_SG_SL_E_clIS7_S7_SB_PlEEDaSZ_S10_SG_SL_EUlSZ_E_NS1_11comp_targetILNS1_3genE8ELNS1_11target_archE1030ELNS1_3gpuE2ELNS1_3repE0EEENS1_47radix_sort_onesweep_sort_config_static_selectorELNS0_4arch9wavefront6targetE1EEEvSG_
		.amdhsa_group_segment_fixed_size 0
		.amdhsa_private_segment_fixed_size 0
		.amdhsa_kernarg_size 88
		.amdhsa_user_sgpr_count 6
		.amdhsa_user_sgpr_private_segment_buffer 1
		.amdhsa_user_sgpr_dispatch_ptr 0
		.amdhsa_user_sgpr_queue_ptr 0
		.amdhsa_user_sgpr_kernarg_segment_ptr 1
		.amdhsa_user_sgpr_dispatch_id 0
		.amdhsa_user_sgpr_flat_scratch_init 0
		.amdhsa_user_sgpr_private_segment_size 0
		.amdhsa_uses_dynamic_stack 0
		.amdhsa_system_sgpr_private_segment_wavefront_offset 0
		.amdhsa_system_sgpr_workgroup_id_x 1
		.amdhsa_system_sgpr_workgroup_id_y 0
		.amdhsa_system_sgpr_workgroup_id_z 0
		.amdhsa_system_sgpr_workgroup_info 0
		.amdhsa_system_vgpr_workitem_id 0
		.amdhsa_next_free_vgpr 1
		.amdhsa_next_free_sgpr 0
		.amdhsa_reserve_vcc 0
		.amdhsa_reserve_flat_scratch 0
		.amdhsa_float_round_mode_32 0
		.amdhsa_float_round_mode_16_64 0
		.amdhsa_float_denorm_mode_32 3
		.amdhsa_float_denorm_mode_16_64 3
		.amdhsa_dx10_clamp 1
		.amdhsa_ieee_mode 1
		.amdhsa_fp16_overflow 0
		.amdhsa_exception_fp_ieee_invalid_op 0
		.amdhsa_exception_fp_denorm_src 0
		.amdhsa_exception_fp_ieee_div_zero 0
		.amdhsa_exception_fp_ieee_overflow 0
		.amdhsa_exception_fp_ieee_underflow 0
		.amdhsa_exception_fp_ieee_inexact 0
		.amdhsa_exception_int_div_zero 0
	.end_amdhsa_kernel
	.section	.text._ZN7rocprim17ROCPRIM_400000_NS6detail17trampoline_kernelINS0_14default_configENS1_35radix_sort_onesweep_config_selectorIdlEEZZNS1_29radix_sort_onesweep_iterationIS3_Lb0EPdS7_N6thrust23THRUST_200600_302600_NS10device_ptrIlEESB_jNS0_19identity_decomposerENS1_16block_id_wrapperIjLb0EEEEE10hipError_tT1_PNSt15iterator_traitsISG_E10value_typeET2_T3_PNSH_ISM_E10value_typeET4_T5_PSR_SS_PNS1_23onesweep_lookback_stateEbbT6_jjT7_P12ihipStream_tbENKUlT_T0_SG_SL_E_clIS7_S7_SB_PlEEDaSZ_S10_SG_SL_EUlSZ_E_NS1_11comp_targetILNS1_3genE8ELNS1_11target_archE1030ELNS1_3gpuE2ELNS1_3repE0EEENS1_47radix_sort_onesweep_sort_config_static_selectorELNS0_4arch9wavefront6targetE1EEEvSG_,"axG",@progbits,_ZN7rocprim17ROCPRIM_400000_NS6detail17trampoline_kernelINS0_14default_configENS1_35radix_sort_onesweep_config_selectorIdlEEZZNS1_29radix_sort_onesweep_iterationIS3_Lb0EPdS7_N6thrust23THRUST_200600_302600_NS10device_ptrIlEESB_jNS0_19identity_decomposerENS1_16block_id_wrapperIjLb0EEEEE10hipError_tT1_PNSt15iterator_traitsISG_E10value_typeET2_T3_PNSH_ISM_E10value_typeET4_T5_PSR_SS_PNS1_23onesweep_lookback_stateEbbT6_jjT7_P12ihipStream_tbENKUlT_T0_SG_SL_E_clIS7_S7_SB_PlEEDaSZ_S10_SG_SL_EUlSZ_E_NS1_11comp_targetILNS1_3genE8ELNS1_11target_archE1030ELNS1_3gpuE2ELNS1_3repE0EEENS1_47radix_sort_onesweep_sort_config_static_selectorELNS0_4arch9wavefront6targetE1EEEvSG_,comdat
.Lfunc_end1660:
	.size	_ZN7rocprim17ROCPRIM_400000_NS6detail17trampoline_kernelINS0_14default_configENS1_35radix_sort_onesweep_config_selectorIdlEEZZNS1_29radix_sort_onesweep_iterationIS3_Lb0EPdS7_N6thrust23THRUST_200600_302600_NS10device_ptrIlEESB_jNS0_19identity_decomposerENS1_16block_id_wrapperIjLb0EEEEE10hipError_tT1_PNSt15iterator_traitsISG_E10value_typeET2_T3_PNSH_ISM_E10value_typeET4_T5_PSR_SS_PNS1_23onesweep_lookback_stateEbbT6_jjT7_P12ihipStream_tbENKUlT_T0_SG_SL_E_clIS7_S7_SB_PlEEDaSZ_S10_SG_SL_EUlSZ_E_NS1_11comp_targetILNS1_3genE8ELNS1_11target_archE1030ELNS1_3gpuE2ELNS1_3repE0EEENS1_47radix_sort_onesweep_sort_config_static_selectorELNS0_4arch9wavefront6targetE1EEEvSG_, .Lfunc_end1660-_ZN7rocprim17ROCPRIM_400000_NS6detail17trampoline_kernelINS0_14default_configENS1_35radix_sort_onesweep_config_selectorIdlEEZZNS1_29radix_sort_onesweep_iterationIS3_Lb0EPdS7_N6thrust23THRUST_200600_302600_NS10device_ptrIlEESB_jNS0_19identity_decomposerENS1_16block_id_wrapperIjLb0EEEEE10hipError_tT1_PNSt15iterator_traitsISG_E10value_typeET2_T3_PNSH_ISM_E10value_typeET4_T5_PSR_SS_PNS1_23onesweep_lookback_stateEbbT6_jjT7_P12ihipStream_tbENKUlT_T0_SG_SL_E_clIS7_S7_SB_PlEEDaSZ_S10_SG_SL_EUlSZ_E_NS1_11comp_targetILNS1_3genE8ELNS1_11target_archE1030ELNS1_3gpuE2ELNS1_3repE0EEENS1_47radix_sort_onesweep_sort_config_static_selectorELNS0_4arch9wavefront6targetE1EEEvSG_
                                        ; -- End function
	.set _ZN7rocprim17ROCPRIM_400000_NS6detail17trampoline_kernelINS0_14default_configENS1_35radix_sort_onesweep_config_selectorIdlEEZZNS1_29radix_sort_onesweep_iterationIS3_Lb0EPdS7_N6thrust23THRUST_200600_302600_NS10device_ptrIlEESB_jNS0_19identity_decomposerENS1_16block_id_wrapperIjLb0EEEEE10hipError_tT1_PNSt15iterator_traitsISG_E10value_typeET2_T3_PNSH_ISM_E10value_typeET4_T5_PSR_SS_PNS1_23onesweep_lookback_stateEbbT6_jjT7_P12ihipStream_tbENKUlT_T0_SG_SL_E_clIS7_S7_SB_PlEEDaSZ_S10_SG_SL_EUlSZ_E_NS1_11comp_targetILNS1_3genE8ELNS1_11target_archE1030ELNS1_3gpuE2ELNS1_3repE0EEENS1_47radix_sort_onesweep_sort_config_static_selectorELNS0_4arch9wavefront6targetE1EEEvSG_.num_vgpr, 0
	.set _ZN7rocprim17ROCPRIM_400000_NS6detail17trampoline_kernelINS0_14default_configENS1_35radix_sort_onesweep_config_selectorIdlEEZZNS1_29radix_sort_onesweep_iterationIS3_Lb0EPdS7_N6thrust23THRUST_200600_302600_NS10device_ptrIlEESB_jNS0_19identity_decomposerENS1_16block_id_wrapperIjLb0EEEEE10hipError_tT1_PNSt15iterator_traitsISG_E10value_typeET2_T3_PNSH_ISM_E10value_typeET4_T5_PSR_SS_PNS1_23onesweep_lookback_stateEbbT6_jjT7_P12ihipStream_tbENKUlT_T0_SG_SL_E_clIS7_S7_SB_PlEEDaSZ_S10_SG_SL_EUlSZ_E_NS1_11comp_targetILNS1_3genE8ELNS1_11target_archE1030ELNS1_3gpuE2ELNS1_3repE0EEENS1_47radix_sort_onesweep_sort_config_static_selectorELNS0_4arch9wavefront6targetE1EEEvSG_.num_agpr, 0
	.set _ZN7rocprim17ROCPRIM_400000_NS6detail17trampoline_kernelINS0_14default_configENS1_35radix_sort_onesweep_config_selectorIdlEEZZNS1_29radix_sort_onesweep_iterationIS3_Lb0EPdS7_N6thrust23THRUST_200600_302600_NS10device_ptrIlEESB_jNS0_19identity_decomposerENS1_16block_id_wrapperIjLb0EEEEE10hipError_tT1_PNSt15iterator_traitsISG_E10value_typeET2_T3_PNSH_ISM_E10value_typeET4_T5_PSR_SS_PNS1_23onesweep_lookback_stateEbbT6_jjT7_P12ihipStream_tbENKUlT_T0_SG_SL_E_clIS7_S7_SB_PlEEDaSZ_S10_SG_SL_EUlSZ_E_NS1_11comp_targetILNS1_3genE8ELNS1_11target_archE1030ELNS1_3gpuE2ELNS1_3repE0EEENS1_47radix_sort_onesweep_sort_config_static_selectorELNS0_4arch9wavefront6targetE1EEEvSG_.numbered_sgpr, 0
	.set _ZN7rocprim17ROCPRIM_400000_NS6detail17trampoline_kernelINS0_14default_configENS1_35radix_sort_onesweep_config_selectorIdlEEZZNS1_29radix_sort_onesweep_iterationIS3_Lb0EPdS7_N6thrust23THRUST_200600_302600_NS10device_ptrIlEESB_jNS0_19identity_decomposerENS1_16block_id_wrapperIjLb0EEEEE10hipError_tT1_PNSt15iterator_traitsISG_E10value_typeET2_T3_PNSH_ISM_E10value_typeET4_T5_PSR_SS_PNS1_23onesweep_lookback_stateEbbT6_jjT7_P12ihipStream_tbENKUlT_T0_SG_SL_E_clIS7_S7_SB_PlEEDaSZ_S10_SG_SL_EUlSZ_E_NS1_11comp_targetILNS1_3genE8ELNS1_11target_archE1030ELNS1_3gpuE2ELNS1_3repE0EEENS1_47radix_sort_onesweep_sort_config_static_selectorELNS0_4arch9wavefront6targetE1EEEvSG_.num_named_barrier, 0
	.set _ZN7rocprim17ROCPRIM_400000_NS6detail17trampoline_kernelINS0_14default_configENS1_35radix_sort_onesweep_config_selectorIdlEEZZNS1_29radix_sort_onesweep_iterationIS3_Lb0EPdS7_N6thrust23THRUST_200600_302600_NS10device_ptrIlEESB_jNS0_19identity_decomposerENS1_16block_id_wrapperIjLb0EEEEE10hipError_tT1_PNSt15iterator_traitsISG_E10value_typeET2_T3_PNSH_ISM_E10value_typeET4_T5_PSR_SS_PNS1_23onesweep_lookback_stateEbbT6_jjT7_P12ihipStream_tbENKUlT_T0_SG_SL_E_clIS7_S7_SB_PlEEDaSZ_S10_SG_SL_EUlSZ_E_NS1_11comp_targetILNS1_3genE8ELNS1_11target_archE1030ELNS1_3gpuE2ELNS1_3repE0EEENS1_47radix_sort_onesweep_sort_config_static_selectorELNS0_4arch9wavefront6targetE1EEEvSG_.private_seg_size, 0
	.set _ZN7rocprim17ROCPRIM_400000_NS6detail17trampoline_kernelINS0_14default_configENS1_35radix_sort_onesweep_config_selectorIdlEEZZNS1_29radix_sort_onesweep_iterationIS3_Lb0EPdS7_N6thrust23THRUST_200600_302600_NS10device_ptrIlEESB_jNS0_19identity_decomposerENS1_16block_id_wrapperIjLb0EEEEE10hipError_tT1_PNSt15iterator_traitsISG_E10value_typeET2_T3_PNSH_ISM_E10value_typeET4_T5_PSR_SS_PNS1_23onesweep_lookback_stateEbbT6_jjT7_P12ihipStream_tbENKUlT_T0_SG_SL_E_clIS7_S7_SB_PlEEDaSZ_S10_SG_SL_EUlSZ_E_NS1_11comp_targetILNS1_3genE8ELNS1_11target_archE1030ELNS1_3gpuE2ELNS1_3repE0EEENS1_47radix_sort_onesweep_sort_config_static_selectorELNS0_4arch9wavefront6targetE1EEEvSG_.uses_vcc, 0
	.set _ZN7rocprim17ROCPRIM_400000_NS6detail17trampoline_kernelINS0_14default_configENS1_35radix_sort_onesweep_config_selectorIdlEEZZNS1_29radix_sort_onesweep_iterationIS3_Lb0EPdS7_N6thrust23THRUST_200600_302600_NS10device_ptrIlEESB_jNS0_19identity_decomposerENS1_16block_id_wrapperIjLb0EEEEE10hipError_tT1_PNSt15iterator_traitsISG_E10value_typeET2_T3_PNSH_ISM_E10value_typeET4_T5_PSR_SS_PNS1_23onesweep_lookback_stateEbbT6_jjT7_P12ihipStream_tbENKUlT_T0_SG_SL_E_clIS7_S7_SB_PlEEDaSZ_S10_SG_SL_EUlSZ_E_NS1_11comp_targetILNS1_3genE8ELNS1_11target_archE1030ELNS1_3gpuE2ELNS1_3repE0EEENS1_47radix_sort_onesweep_sort_config_static_selectorELNS0_4arch9wavefront6targetE1EEEvSG_.uses_flat_scratch, 0
	.set _ZN7rocprim17ROCPRIM_400000_NS6detail17trampoline_kernelINS0_14default_configENS1_35radix_sort_onesweep_config_selectorIdlEEZZNS1_29radix_sort_onesweep_iterationIS3_Lb0EPdS7_N6thrust23THRUST_200600_302600_NS10device_ptrIlEESB_jNS0_19identity_decomposerENS1_16block_id_wrapperIjLb0EEEEE10hipError_tT1_PNSt15iterator_traitsISG_E10value_typeET2_T3_PNSH_ISM_E10value_typeET4_T5_PSR_SS_PNS1_23onesweep_lookback_stateEbbT6_jjT7_P12ihipStream_tbENKUlT_T0_SG_SL_E_clIS7_S7_SB_PlEEDaSZ_S10_SG_SL_EUlSZ_E_NS1_11comp_targetILNS1_3genE8ELNS1_11target_archE1030ELNS1_3gpuE2ELNS1_3repE0EEENS1_47radix_sort_onesweep_sort_config_static_selectorELNS0_4arch9wavefront6targetE1EEEvSG_.has_dyn_sized_stack, 0
	.set _ZN7rocprim17ROCPRIM_400000_NS6detail17trampoline_kernelINS0_14default_configENS1_35radix_sort_onesweep_config_selectorIdlEEZZNS1_29radix_sort_onesweep_iterationIS3_Lb0EPdS7_N6thrust23THRUST_200600_302600_NS10device_ptrIlEESB_jNS0_19identity_decomposerENS1_16block_id_wrapperIjLb0EEEEE10hipError_tT1_PNSt15iterator_traitsISG_E10value_typeET2_T3_PNSH_ISM_E10value_typeET4_T5_PSR_SS_PNS1_23onesweep_lookback_stateEbbT6_jjT7_P12ihipStream_tbENKUlT_T0_SG_SL_E_clIS7_S7_SB_PlEEDaSZ_S10_SG_SL_EUlSZ_E_NS1_11comp_targetILNS1_3genE8ELNS1_11target_archE1030ELNS1_3gpuE2ELNS1_3repE0EEENS1_47radix_sort_onesweep_sort_config_static_selectorELNS0_4arch9wavefront6targetE1EEEvSG_.has_recursion, 0
	.set _ZN7rocprim17ROCPRIM_400000_NS6detail17trampoline_kernelINS0_14default_configENS1_35radix_sort_onesweep_config_selectorIdlEEZZNS1_29radix_sort_onesweep_iterationIS3_Lb0EPdS7_N6thrust23THRUST_200600_302600_NS10device_ptrIlEESB_jNS0_19identity_decomposerENS1_16block_id_wrapperIjLb0EEEEE10hipError_tT1_PNSt15iterator_traitsISG_E10value_typeET2_T3_PNSH_ISM_E10value_typeET4_T5_PSR_SS_PNS1_23onesweep_lookback_stateEbbT6_jjT7_P12ihipStream_tbENKUlT_T0_SG_SL_E_clIS7_S7_SB_PlEEDaSZ_S10_SG_SL_EUlSZ_E_NS1_11comp_targetILNS1_3genE8ELNS1_11target_archE1030ELNS1_3gpuE2ELNS1_3repE0EEENS1_47radix_sort_onesweep_sort_config_static_selectorELNS0_4arch9wavefront6targetE1EEEvSG_.has_indirect_call, 0
	.section	.AMDGPU.csdata,"",@progbits
; Kernel info:
; codeLenInByte = 0
; TotalNumSgprs: 4
; NumVgprs: 0
; ScratchSize: 0
; MemoryBound: 0
; FloatMode: 240
; IeeeMode: 1
; LDSByteSize: 0 bytes/workgroup (compile time only)
; SGPRBlocks: 0
; VGPRBlocks: 0
; NumSGPRsForWavesPerEU: 4
; NumVGPRsForWavesPerEU: 1
; Occupancy: 10
; WaveLimiterHint : 0
; COMPUTE_PGM_RSRC2:SCRATCH_EN: 0
; COMPUTE_PGM_RSRC2:USER_SGPR: 6
; COMPUTE_PGM_RSRC2:TRAP_HANDLER: 0
; COMPUTE_PGM_RSRC2:TGID_X_EN: 1
; COMPUTE_PGM_RSRC2:TGID_Y_EN: 0
; COMPUTE_PGM_RSRC2:TGID_Z_EN: 0
; COMPUTE_PGM_RSRC2:TIDIG_COMP_CNT: 0
	.section	.text._ZN7rocprim17ROCPRIM_400000_NS6detail17trampoline_kernelINS0_14default_configENS1_35radix_sort_onesweep_config_selectorIdlEEZZNS1_29radix_sort_onesweep_iterationIS3_Lb0EPdS7_N6thrust23THRUST_200600_302600_NS10device_ptrIlEESB_jNS0_19identity_decomposerENS1_16block_id_wrapperIjLb0EEEEE10hipError_tT1_PNSt15iterator_traitsISG_E10value_typeET2_T3_PNSH_ISM_E10value_typeET4_T5_PSR_SS_PNS1_23onesweep_lookback_stateEbbT6_jjT7_P12ihipStream_tbENKUlT_T0_SG_SL_E_clIS7_S7_PlSB_EEDaSZ_S10_SG_SL_EUlSZ_E_NS1_11comp_targetILNS1_3genE0ELNS1_11target_archE4294967295ELNS1_3gpuE0ELNS1_3repE0EEENS1_47radix_sort_onesweep_sort_config_static_selectorELNS0_4arch9wavefront6targetE1EEEvSG_,"axG",@progbits,_ZN7rocprim17ROCPRIM_400000_NS6detail17trampoline_kernelINS0_14default_configENS1_35radix_sort_onesweep_config_selectorIdlEEZZNS1_29radix_sort_onesweep_iterationIS3_Lb0EPdS7_N6thrust23THRUST_200600_302600_NS10device_ptrIlEESB_jNS0_19identity_decomposerENS1_16block_id_wrapperIjLb0EEEEE10hipError_tT1_PNSt15iterator_traitsISG_E10value_typeET2_T3_PNSH_ISM_E10value_typeET4_T5_PSR_SS_PNS1_23onesweep_lookback_stateEbbT6_jjT7_P12ihipStream_tbENKUlT_T0_SG_SL_E_clIS7_S7_PlSB_EEDaSZ_S10_SG_SL_EUlSZ_E_NS1_11comp_targetILNS1_3genE0ELNS1_11target_archE4294967295ELNS1_3gpuE0ELNS1_3repE0EEENS1_47radix_sort_onesweep_sort_config_static_selectorELNS0_4arch9wavefront6targetE1EEEvSG_,comdat
	.protected	_ZN7rocprim17ROCPRIM_400000_NS6detail17trampoline_kernelINS0_14default_configENS1_35radix_sort_onesweep_config_selectorIdlEEZZNS1_29radix_sort_onesweep_iterationIS3_Lb0EPdS7_N6thrust23THRUST_200600_302600_NS10device_ptrIlEESB_jNS0_19identity_decomposerENS1_16block_id_wrapperIjLb0EEEEE10hipError_tT1_PNSt15iterator_traitsISG_E10value_typeET2_T3_PNSH_ISM_E10value_typeET4_T5_PSR_SS_PNS1_23onesweep_lookback_stateEbbT6_jjT7_P12ihipStream_tbENKUlT_T0_SG_SL_E_clIS7_S7_PlSB_EEDaSZ_S10_SG_SL_EUlSZ_E_NS1_11comp_targetILNS1_3genE0ELNS1_11target_archE4294967295ELNS1_3gpuE0ELNS1_3repE0EEENS1_47radix_sort_onesweep_sort_config_static_selectorELNS0_4arch9wavefront6targetE1EEEvSG_ ; -- Begin function _ZN7rocprim17ROCPRIM_400000_NS6detail17trampoline_kernelINS0_14default_configENS1_35radix_sort_onesweep_config_selectorIdlEEZZNS1_29radix_sort_onesweep_iterationIS3_Lb0EPdS7_N6thrust23THRUST_200600_302600_NS10device_ptrIlEESB_jNS0_19identity_decomposerENS1_16block_id_wrapperIjLb0EEEEE10hipError_tT1_PNSt15iterator_traitsISG_E10value_typeET2_T3_PNSH_ISM_E10value_typeET4_T5_PSR_SS_PNS1_23onesweep_lookback_stateEbbT6_jjT7_P12ihipStream_tbENKUlT_T0_SG_SL_E_clIS7_S7_PlSB_EEDaSZ_S10_SG_SL_EUlSZ_E_NS1_11comp_targetILNS1_3genE0ELNS1_11target_archE4294967295ELNS1_3gpuE0ELNS1_3repE0EEENS1_47radix_sort_onesweep_sort_config_static_selectorELNS0_4arch9wavefront6targetE1EEEvSG_
	.globl	_ZN7rocprim17ROCPRIM_400000_NS6detail17trampoline_kernelINS0_14default_configENS1_35radix_sort_onesweep_config_selectorIdlEEZZNS1_29radix_sort_onesweep_iterationIS3_Lb0EPdS7_N6thrust23THRUST_200600_302600_NS10device_ptrIlEESB_jNS0_19identity_decomposerENS1_16block_id_wrapperIjLb0EEEEE10hipError_tT1_PNSt15iterator_traitsISG_E10value_typeET2_T3_PNSH_ISM_E10value_typeET4_T5_PSR_SS_PNS1_23onesweep_lookback_stateEbbT6_jjT7_P12ihipStream_tbENKUlT_T0_SG_SL_E_clIS7_S7_PlSB_EEDaSZ_S10_SG_SL_EUlSZ_E_NS1_11comp_targetILNS1_3genE0ELNS1_11target_archE4294967295ELNS1_3gpuE0ELNS1_3repE0EEENS1_47radix_sort_onesweep_sort_config_static_selectorELNS0_4arch9wavefront6targetE1EEEvSG_
	.p2align	8
	.type	_ZN7rocprim17ROCPRIM_400000_NS6detail17trampoline_kernelINS0_14default_configENS1_35radix_sort_onesweep_config_selectorIdlEEZZNS1_29radix_sort_onesweep_iterationIS3_Lb0EPdS7_N6thrust23THRUST_200600_302600_NS10device_ptrIlEESB_jNS0_19identity_decomposerENS1_16block_id_wrapperIjLb0EEEEE10hipError_tT1_PNSt15iterator_traitsISG_E10value_typeET2_T3_PNSH_ISM_E10value_typeET4_T5_PSR_SS_PNS1_23onesweep_lookback_stateEbbT6_jjT7_P12ihipStream_tbENKUlT_T0_SG_SL_E_clIS7_S7_PlSB_EEDaSZ_S10_SG_SL_EUlSZ_E_NS1_11comp_targetILNS1_3genE0ELNS1_11target_archE4294967295ELNS1_3gpuE0ELNS1_3repE0EEENS1_47radix_sort_onesweep_sort_config_static_selectorELNS0_4arch9wavefront6targetE1EEEvSG_,@function
_ZN7rocprim17ROCPRIM_400000_NS6detail17trampoline_kernelINS0_14default_configENS1_35radix_sort_onesweep_config_selectorIdlEEZZNS1_29radix_sort_onesweep_iterationIS3_Lb0EPdS7_N6thrust23THRUST_200600_302600_NS10device_ptrIlEESB_jNS0_19identity_decomposerENS1_16block_id_wrapperIjLb0EEEEE10hipError_tT1_PNSt15iterator_traitsISG_E10value_typeET2_T3_PNSH_ISM_E10value_typeET4_T5_PSR_SS_PNS1_23onesweep_lookback_stateEbbT6_jjT7_P12ihipStream_tbENKUlT_T0_SG_SL_E_clIS7_S7_PlSB_EEDaSZ_S10_SG_SL_EUlSZ_E_NS1_11comp_targetILNS1_3genE0ELNS1_11target_archE4294967295ELNS1_3gpuE0ELNS1_3repE0EEENS1_47radix_sort_onesweep_sort_config_static_selectorELNS0_4arch9wavefront6targetE1EEEvSG_: ; @_ZN7rocprim17ROCPRIM_400000_NS6detail17trampoline_kernelINS0_14default_configENS1_35radix_sort_onesweep_config_selectorIdlEEZZNS1_29radix_sort_onesweep_iterationIS3_Lb0EPdS7_N6thrust23THRUST_200600_302600_NS10device_ptrIlEESB_jNS0_19identity_decomposerENS1_16block_id_wrapperIjLb0EEEEE10hipError_tT1_PNSt15iterator_traitsISG_E10value_typeET2_T3_PNSH_ISM_E10value_typeET4_T5_PSR_SS_PNS1_23onesweep_lookback_stateEbbT6_jjT7_P12ihipStream_tbENKUlT_T0_SG_SL_E_clIS7_S7_PlSB_EEDaSZ_S10_SG_SL_EUlSZ_E_NS1_11comp_targetILNS1_3genE0ELNS1_11target_archE4294967295ELNS1_3gpuE0ELNS1_3repE0EEENS1_47radix_sort_onesweep_sort_config_static_selectorELNS0_4arch9wavefront6targetE1EEEvSG_
; %bb.0:
	.section	.rodata,"a",@progbits
	.p2align	6, 0x0
	.amdhsa_kernel _ZN7rocprim17ROCPRIM_400000_NS6detail17trampoline_kernelINS0_14default_configENS1_35radix_sort_onesweep_config_selectorIdlEEZZNS1_29radix_sort_onesweep_iterationIS3_Lb0EPdS7_N6thrust23THRUST_200600_302600_NS10device_ptrIlEESB_jNS0_19identity_decomposerENS1_16block_id_wrapperIjLb0EEEEE10hipError_tT1_PNSt15iterator_traitsISG_E10value_typeET2_T3_PNSH_ISM_E10value_typeET4_T5_PSR_SS_PNS1_23onesweep_lookback_stateEbbT6_jjT7_P12ihipStream_tbENKUlT_T0_SG_SL_E_clIS7_S7_PlSB_EEDaSZ_S10_SG_SL_EUlSZ_E_NS1_11comp_targetILNS1_3genE0ELNS1_11target_archE4294967295ELNS1_3gpuE0ELNS1_3repE0EEENS1_47radix_sort_onesweep_sort_config_static_selectorELNS0_4arch9wavefront6targetE1EEEvSG_
		.amdhsa_group_segment_fixed_size 0
		.amdhsa_private_segment_fixed_size 0
		.amdhsa_kernarg_size 88
		.amdhsa_user_sgpr_count 6
		.amdhsa_user_sgpr_private_segment_buffer 1
		.amdhsa_user_sgpr_dispatch_ptr 0
		.amdhsa_user_sgpr_queue_ptr 0
		.amdhsa_user_sgpr_kernarg_segment_ptr 1
		.amdhsa_user_sgpr_dispatch_id 0
		.amdhsa_user_sgpr_flat_scratch_init 0
		.amdhsa_user_sgpr_private_segment_size 0
		.amdhsa_uses_dynamic_stack 0
		.amdhsa_system_sgpr_private_segment_wavefront_offset 0
		.amdhsa_system_sgpr_workgroup_id_x 1
		.amdhsa_system_sgpr_workgroup_id_y 0
		.amdhsa_system_sgpr_workgroup_id_z 0
		.amdhsa_system_sgpr_workgroup_info 0
		.amdhsa_system_vgpr_workitem_id 0
		.amdhsa_next_free_vgpr 1
		.amdhsa_next_free_sgpr 0
		.amdhsa_reserve_vcc 0
		.amdhsa_reserve_flat_scratch 0
		.amdhsa_float_round_mode_32 0
		.amdhsa_float_round_mode_16_64 0
		.amdhsa_float_denorm_mode_32 3
		.amdhsa_float_denorm_mode_16_64 3
		.amdhsa_dx10_clamp 1
		.amdhsa_ieee_mode 1
		.amdhsa_fp16_overflow 0
		.amdhsa_exception_fp_ieee_invalid_op 0
		.amdhsa_exception_fp_denorm_src 0
		.amdhsa_exception_fp_ieee_div_zero 0
		.amdhsa_exception_fp_ieee_overflow 0
		.amdhsa_exception_fp_ieee_underflow 0
		.amdhsa_exception_fp_ieee_inexact 0
		.amdhsa_exception_int_div_zero 0
	.end_amdhsa_kernel
	.section	.text._ZN7rocprim17ROCPRIM_400000_NS6detail17trampoline_kernelINS0_14default_configENS1_35radix_sort_onesweep_config_selectorIdlEEZZNS1_29radix_sort_onesweep_iterationIS3_Lb0EPdS7_N6thrust23THRUST_200600_302600_NS10device_ptrIlEESB_jNS0_19identity_decomposerENS1_16block_id_wrapperIjLb0EEEEE10hipError_tT1_PNSt15iterator_traitsISG_E10value_typeET2_T3_PNSH_ISM_E10value_typeET4_T5_PSR_SS_PNS1_23onesweep_lookback_stateEbbT6_jjT7_P12ihipStream_tbENKUlT_T0_SG_SL_E_clIS7_S7_PlSB_EEDaSZ_S10_SG_SL_EUlSZ_E_NS1_11comp_targetILNS1_3genE0ELNS1_11target_archE4294967295ELNS1_3gpuE0ELNS1_3repE0EEENS1_47radix_sort_onesweep_sort_config_static_selectorELNS0_4arch9wavefront6targetE1EEEvSG_,"axG",@progbits,_ZN7rocprim17ROCPRIM_400000_NS6detail17trampoline_kernelINS0_14default_configENS1_35radix_sort_onesweep_config_selectorIdlEEZZNS1_29radix_sort_onesweep_iterationIS3_Lb0EPdS7_N6thrust23THRUST_200600_302600_NS10device_ptrIlEESB_jNS0_19identity_decomposerENS1_16block_id_wrapperIjLb0EEEEE10hipError_tT1_PNSt15iterator_traitsISG_E10value_typeET2_T3_PNSH_ISM_E10value_typeET4_T5_PSR_SS_PNS1_23onesweep_lookback_stateEbbT6_jjT7_P12ihipStream_tbENKUlT_T0_SG_SL_E_clIS7_S7_PlSB_EEDaSZ_S10_SG_SL_EUlSZ_E_NS1_11comp_targetILNS1_3genE0ELNS1_11target_archE4294967295ELNS1_3gpuE0ELNS1_3repE0EEENS1_47radix_sort_onesweep_sort_config_static_selectorELNS0_4arch9wavefront6targetE1EEEvSG_,comdat
.Lfunc_end1661:
	.size	_ZN7rocprim17ROCPRIM_400000_NS6detail17trampoline_kernelINS0_14default_configENS1_35radix_sort_onesweep_config_selectorIdlEEZZNS1_29radix_sort_onesweep_iterationIS3_Lb0EPdS7_N6thrust23THRUST_200600_302600_NS10device_ptrIlEESB_jNS0_19identity_decomposerENS1_16block_id_wrapperIjLb0EEEEE10hipError_tT1_PNSt15iterator_traitsISG_E10value_typeET2_T3_PNSH_ISM_E10value_typeET4_T5_PSR_SS_PNS1_23onesweep_lookback_stateEbbT6_jjT7_P12ihipStream_tbENKUlT_T0_SG_SL_E_clIS7_S7_PlSB_EEDaSZ_S10_SG_SL_EUlSZ_E_NS1_11comp_targetILNS1_3genE0ELNS1_11target_archE4294967295ELNS1_3gpuE0ELNS1_3repE0EEENS1_47radix_sort_onesweep_sort_config_static_selectorELNS0_4arch9wavefront6targetE1EEEvSG_, .Lfunc_end1661-_ZN7rocprim17ROCPRIM_400000_NS6detail17trampoline_kernelINS0_14default_configENS1_35radix_sort_onesweep_config_selectorIdlEEZZNS1_29radix_sort_onesweep_iterationIS3_Lb0EPdS7_N6thrust23THRUST_200600_302600_NS10device_ptrIlEESB_jNS0_19identity_decomposerENS1_16block_id_wrapperIjLb0EEEEE10hipError_tT1_PNSt15iterator_traitsISG_E10value_typeET2_T3_PNSH_ISM_E10value_typeET4_T5_PSR_SS_PNS1_23onesweep_lookback_stateEbbT6_jjT7_P12ihipStream_tbENKUlT_T0_SG_SL_E_clIS7_S7_PlSB_EEDaSZ_S10_SG_SL_EUlSZ_E_NS1_11comp_targetILNS1_3genE0ELNS1_11target_archE4294967295ELNS1_3gpuE0ELNS1_3repE0EEENS1_47radix_sort_onesweep_sort_config_static_selectorELNS0_4arch9wavefront6targetE1EEEvSG_
                                        ; -- End function
	.set _ZN7rocprim17ROCPRIM_400000_NS6detail17trampoline_kernelINS0_14default_configENS1_35radix_sort_onesweep_config_selectorIdlEEZZNS1_29radix_sort_onesweep_iterationIS3_Lb0EPdS7_N6thrust23THRUST_200600_302600_NS10device_ptrIlEESB_jNS0_19identity_decomposerENS1_16block_id_wrapperIjLb0EEEEE10hipError_tT1_PNSt15iterator_traitsISG_E10value_typeET2_T3_PNSH_ISM_E10value_typeET4_T5_PSR_SS_PNS1_23onesweep_lookback_stateEbbT6_jjT7_P12ihipStream_tbENKUlT_T0_SG_SL_E_clIS7_S7_PlSB_EEDaSZ_S10_SG_SL_EUlSZ_E_NS1_11comp_targetILNS1_3genE0ELNS1_11target_archE4294967295ELNS1_3gpuE0ELNS1_3repE0EEENS1_47radix_sort_onesweep_sort_config_static_selectorELNS0_4arch9wavefront6targetE1EEEvSG_.num_vgpr, 0
	.set _ZN7rocprim17ROCPRIM_400000_NS6detail17trampoline_kernelINS0_14default_configENS1_35radix_sort_onesweep_config_selectorIdlEEZZNS1_29radix_sort_onesweep_iterationIS3_Lb0EPdS7_N6thrust23THRUST_200600_302600_NS10device_ptrIlEESB_jNS0_19identity_decomposerENS1_16block_id_wrapperIjLb0EEEEE10hipError_tT1_PNSt15iterator_traitsISG_E10value_typeET2_T3_PNSH_ISM_E10value_typeET4_T5_PSR_SS_PNS1_23onesweep_lookback_stateEbbT6_jjT7_P12ihipStream_tbENKUlT_T0_SG_SL_E_clIS7_S7_PlSB_EEDaSZ_S10_SG_SL_EUlSZ_E_NS1_11comp_targetILNS1_3genE0ELNS1_11target_archE4294967295ELNS1_3gpuE0ELNS1_3repE0EEENS1_47radix_sort_onesweep_sort_config_static_selectorELNS0_4arch9wavefront6targetE1EEEvSG_.num_agpr, 0
	.set _ZN7rocprim17ROCPRIM_400000_NS6detail17trampoline_kernelINS0_14default_configENS1_35radix_sort_onesweep_config_selectorIdlEEZZNS1_29radix_sort_onesweep_iterationIS3_Lb0EPdS7_N6thrust23THRUST_200600_302600_NS10device_ptrIlEESB_jNS0_19identity_decomposerENS1_16block_id_wrapperIjLb0EEEEE10hipError_tT1_PNSt15iterator_traitsISG_E10value_typeET2_T3_PNSH_ISM_E10value_typeET4_T5_PSR_SS_PNS1_23onesweep_lookback_stateEbbT6_jjT7_P12ihipStream_tbENKUlT_T0_SG_SL_E_clIS7_S7_PlSB_EEDaSZ_S10_SG_SL_EUlSZ_E_NS1_11comp_targetILNS1_3genE0ELNS1_11target_archE4294967295ELNS1_3gpuE0ELNS1_3repE0EEENS1_47radix_sort_onesweep_sort_config_static_selectorELNS0_4arch9wavefront6targetE1EEEvSG_.numbered_sgpr, 0
	.set _ZN7rocprim17ROCPRIM_400000_NS6detail17trampoline_kernelINS0_14default_configENS1_35radix_sort_onesweep_config_selectorIdlEEZZNS1_29radix_sort_onesweep_iterationIS3_Lb0EPdS7_N6thrust23THRUST_200600_302600_NS10device_ptrIlEESB_jNS0_19identity_decomposerENS1_16block_id_wrapperIjLb0EEEEE10hipError_tT1_PNSt15iterator_traitsISG_E10value_typeET2_T3_PNSH_ISM_E10value_typeET4_T5_PSR_SS_PNS1_23onesweep_lookback_stateEbbT6_jjT7_P12ihipStream_tbENKUlT_T0_SG_SL_E_clIS7_S7_PlSB_EEDaSZ_S10_SG_SL_EUlSZ_E_NS1_11comp_targetILNS1_3genE0ELNS1_11target_archE4294967295ELNS1_3gpuE0ELNS1_3repE0EEENS1_47radix_sort_onesweep_sort_config_static_selectorELNS0_4arch9wavefront6targetE1EEEvSG_.num_named_barrier, 0
	.set _ZN7rocprim17ROCPRIM_400000_NS6detail17trampoline_kernelINS0_14default_configENS1_35radix_sort_onesweep_config_selectorIdlEEZZNS1_29radix_sort_onesweep_iterationIS3_Lb0EPdS7_N6thrust23THRUST_200600_302600_NS10device_ptrIlEESB_jNS0_19identity_decomposerENS1_16block_id_wrapperIjLb0EEEEE10hipError_tT1_PNSt15iterator_traitsISG_E10value_typeET2_T3_PNSH_ISM_E10value_typeET4_T5_PSR_SS_PNS1_23onesweep_lookback_stateEbbT6_jjT7_P12ihipStream_tbENKUlT_T0_SG_SL_E_clIS7_S7_PlSB_EEDaSZ_S10_SG_SL_EUlSZ_E_NS1_11comp_targetILNS1_3genE0ELNS1_11target_archE4294967295ELNS1_3gpuE0ELNS1_3repE0EEENS1_47radix_sort_onesweep_sort_config_static_selectorELNS0_4arch9wavefront6targetE1EEEvSG_.private_seg_size, 0
	.set _ZN7rocprim17ROCPRIM_400000_NS6detail17trampoline_kernelINS0_14default_configENS1_35radix_sort_onesweep_config_selectorIdlEEZZNS1_29radix_sort_onesweep_iterationIS3_Lb0EPdS7_N6thrust23THRUST_200600_302600_NS10device_ptrIlEESB_jNS0_19identity_decomposerENS1_16block_id_wrapperIjLb0EEEEE10hipError_tT1_PNSt15iterator_traitsISG_E10value_typeET2_T3_PNSH_ISM_E10value_typeET4_T5_PSR_SS_PNS1_23onesweep_lookback_stateEbbT6_jjT7_P12ihipStream_tbENKUlT_T0_SG_SL_E_clIS7_S7_PlSB_EEDaSZ_S10_SG_SL_EUlSZ_E_NS1_11comp_targetILNS1_3genE0ELNS1_11target_archE4294967295ELNS1_3gpuE0ELNS1_3repE0EEENS1_47radix_sort_onesweep_sort_config_static_selectorELNS0_4arch9wavefront6targetE1EEEvSG_.uses_vcc, 0
	.set _ZN7rocprim17ROCPRIM_400000_NS6detail17trampoline_kernelINS0_14default_configENS1_35radix_sort_onesweep_config_selectorIdlEEZZNS1_29radix_sort_onesweep_iterationIS3_Lb0EPdS7_N6thrust23THRUST_200600_302600_NS10device_ptrIlEESB_jNS0_19identity_decomposerENS1_16block_id_wrapperIjLb0EEEEE10hipError_tT1_PNSt15iterator_traitsISG_E10value_typeET2_T3_PNSH_ISM_E10value_typeET4_T5_PSR_SS_PNS1_23onesweep_lookback_stateEbbT6_jjT7_P12ihipStream_tbENKUlT_T0_SG_SL_E_clIS7_S7_PlSB_EEDaSZ_S10_SG_SL_EUlSZ_E_NS1_11comp_targetILNS1_3genE0ELNS1_11target_archE4294967295ELNS1_3gpuE0ELNS1_3repE0EEENS1_47radix_sort_onesweep_sort_config_static_selectorELNS0_4arch9wavefront6targetE1EEEvSG_.uses_flat_scratch, 0
	.set _ZN7rocprim17ROCPRIM_400000_NS6detail17trampoline_kernelINS0_14default_configENS1_35radix_sort_onesweep_config_selectorIdlEEZZNS1_29radix_sort_onesweep_iterationIS3_Lb0EPdS7_N6thrust23THRUST_200600_302600_NS10device_ptrIlEESB_jNS0_19identity_decomposerENS1_16block_id_wrapperIjLb0EEEEE10hipError_tT1_PNSt15iterator_traitsISG_E10value_typeET2_T3_PNSH_ISM_E10value_typeET4_T5_PSR_SS_PNS1_23onesweep_lookback_stateEbbT6_jjT7_P12ihipStream_tbENKUlT_T0_SG_SL_E_clIS7_S7_PlSB_EEDaSZ_S10_SG_SL_EUlSZ_E_NS1_11comp_targetILNS1_3genE0ELNS1_11target_archE4294967295ELNS1_3gpuE0ELNS1_3repE0EEENS1_47radix_sort_onesweep_sort_config_static_selectorELNS0_4arch9wavefront6targetE1EEEvSG_.has_dyn_sized_stack, 0
	.set _ZN7rocprim17ROCPRIM_400000_NS6detail17trampoline_kernelINS0_14default_configENS1_35radix_sort_onesweep_config_selectorIdlEEZZNS1_29radix_sort_onesweep_iterationIS3_Lb0EPdS7_N6thrust23THRUST_200600_302600_NS10device_ptrIlEESB_jNS0_19identity_decomposerENS1_16block_id_wrapperIjLb0EEEEE10hipError_tT1_PNSt15iterator_traitsISG_E10value_typeET2_T3_PNSH_ISM_E10value_typeET4_T5_PSR_SS_PNS1_23onesweep_lookback_stateEbbT6_jjT7_P12ihipStream_tbENKUlT_T0_SG_SL_E_clIS7_S7_PlSB_EEDaSZ_S10_SG_SL_EUlSZ_E_NS1_11comp_targetILNS1_3genE0ELNS1_11target_archE4294967295ELNS1_3gpuE0ELNS1_3repE0EEENS1_47radix_sort_onesweep_sort_config_static_selectorELNS0_4arch9wavefront6targetE1EEEvSG_.has_recursion, 0
	.set _ZN7rocprim17ROCPRIM_400000_NS6detail17trampoline_kernelINS0_14default_configENS1_35radix_sort_onesweep_config_selectorIdlEEZZNS1_29radix_sort_onesweep_iterationIS3_Lb0EPdS7_N6thrust23THRUST_200600_302600_NS10device_ptrIlEESB_jNS0_19identity_decomposerENS1_16block_id_wrapperIjLb0EEEEE10hipError_tT1_PNSt15iterator_traitsISG_E10value_typeET2_T3_PNSH_ISM_E10value_typeET4_T5_PSR_SS_PNS1_23onesweep_lookback_stateEbbT6_jjT7_P12ihipStream_tbENKUlT_T0_SG_SL_E_clIS7_S7_PlSB_EEDaSZ_S10_SG_SL_EUlSZ_E_NS1_11comp_targetILNS1_3genE0ELNS1_11target_archE4294967295ELNS1_3gpuE0ELNS1_3repE0EEENS1_47radix_sort_onesweep_sort_config_static_selectorELNS0_4arch9wavefront6targetE1EEEvSG_.has_indirect_call, 0
	.section	.AMDGPU.csdata,"",@progbits
; Kernel info:
; codeLenInByte = 0
; TotalNumSgprs: 4
; NumVgprs: 0
; ScratchSize: 0
; MemoryBound: 0
; FloatMode: 240
; IeeeMode: 1
; LDSByteSize: 0 bytes/workgroup (compile time only)
; SGPRBlocks: 0
; VGPRBlocks: 0
; NumSGPRsForWavesPerEU: 4
; NumVGPRsForWavesPerEU: 1
; Occupancy: 10
; WaveLimiterHint : 0
; COMPUTE_PGM_RSRC2:SCRATCH_EN: 0
; COMPUTE_PGM_RSRC2:USER_SGPR: 6
; COMPUTE_PGM_RSRC2:TRAP_HANDLER: 0
; COMPUTE_PGM_RSRC2:TGID_X_EN: 1
; COMPUTE_PGM_RSRC2:TGID_Y_EN: 0
; COMPUTE_PGM_RSRC2:TGID_Z_EN: 0
; COMPUTE_PGM_RSRC2:TIDIG_COMP_CNT: 0
	.section	.text._ZN7rocprim17ROCPRIM_400000_NS6detail17trampoline_kernelINS0_14default_configENS1_35radix_sort_onesweep_config_selectorIdlEEZZNS1_29radix_sort_onesweep_iterationIS3_Lb0EPdS7_N6thrust23THRUST_200600_302600_NS10device_ptrIlEESB_jNS0_19identity_decomposerENS1_16block_id_wrapperIjLb0EEEEE10hipError_tT1_PNSt15iterator_traitsISG_E10value_typeET2_T3_PNSH_ISM_E10value_typeET4_T5_PSR_SS_PNS1_23onesweep_lookback_stateEbbT6_jjT7_P12ihipStream_tbENKUlT_T0_SG_SL_E_clIS7_S7_PlSB_EEDaSZ_S10_SG_SL_EUlSZ_E_NS1_11comp_targetILNS1_3genE6ELNS1_11target_archE950ELNS1_3gpuE13ELNS1_3repE0EEENS1_47radix_sort_onesweep_sort_config_static_selectorELNS0_4arch9wavefront6targetE1EEEvSG_,"axG",@progbits,_ZN7rocprim17ROCPRIM_400000_NS6detail17trampoline_kernelINS0_14default_configENS1_35radix_sort_onesweep_config_selectorIdlEEZZNS1_29radix_sort_onesweep_iterationIS3_Lb0EPdS7_N6thrust23THRUST_200600_302600_NS10device_ptrIlEESB_jNS0_19identity_decomposerENS1_16block_id_wrapperIjLb0EEEEE10hipError_tT1_PNSt15iterator_traitsISG_E10value_typeET2_T3_PNSH_ISM_E10value_typeET4_T5_PSR_SS_PNS1_23onesweep_lookback_stateEbbT6_jjT7_P12ihipStream_tbENKUlT_T0_SG_SL_E_clIS7_S7_PlSB_EEDaSZ_S10_SG_SL_EUlSZ_E_NS1_11comp_targetILNS1_3genE6ELNS1_11target_archE950ELNS1_3gpuE13ELNS1_3repE0EEENS1_47radix_sort_onesweep_sort_config_static_selectorELNS0_4arch9wavefront6targetE1EEEvSG_,comdat
	.protected	_ZN7rocprim17ROCPRIM_400000_NS6detail17trampoline_kernelINS0_14default_configENS1_35radix_sort_onesweep_config_selectorIdlEEZZNS1_29radix_sort_onesweep_iterationIS3_Lb0EPdS7_N6thrust23THRUST_200600_302600_NS10device_ptrIlEESB_jNS0_19identity_decomposerENS1_16block_id_wrapperIjLb0EEEEE10hipError_tT1_PNSt15iterator_traitsISG_E10value_typeET2_T3_PNSH_ISM_E10value_typeET4_T5_PSR_SS_PNS1_23onesweep_lookback_stateEbbT6_jjT7_P12ihipStream_tbENKUlT_T0_SG_SL_E_clIS7_S7_PlSB_EEDaSZ_S10_SG_SL_EUlSZ_E_NS1_11comp_targetILNS1_3genE6ELNS1_11target_archE950ELNS1_3gpuE13ELNS1_3repE0EEENS1_47radix_sort_onesweep_sort_config_static_selectorELNS0_4arch9wavefront6targetE1EEEvSG_ ; -- Begin function _ZN7rocprim17ROCPRIM_400000_NS6detail17trampoline_kernelINS0_14default_configENS1_35radix_sort_onesweep_config_selectorIdlEEZZNS1_29radix_sort_onesweep_iterationIS3_Lb0EPdS7_N6thrust23THRUST_200600_302600_NS10device_ptrIlEESB_jNS0_19identity_decomposerENS1_16block_id_wrapperIjLb0EEEEE10hipError_tT1_PNSt15iterator_traitsISG_E10value_typeET2_T3_PNSH_ISM_E10value_typeET4_T5_PSR_SS_PNS1_23onesweep_lookback_stateEbbT6_jjT7_P12ihipStream_tbENKUlT_T0_SG_SL_E_clIS7_S7_PlSB_EEDaSZ_S10_SG_SL_EUlSZ_E_NS1_11comp_targetILNS1_3genE6ELNS1_11target_archE950ELNS1_3gpuE13ELNS1_3repE0EEENS1_47radix_sort_onesweep_sort_config_static_selectorELNS0_4arch9wavefront6targetE1EEEvSG_
	.globl	_ZN7rocprim17ROCPRIM_400000_NS6detail17trampoline_kernelINS0_14default_configENS1_35radix_sort_onesweep_config_selectorIdlEEZZNS1_29radix_sort_onesweep_iterationIS3_Lb0EPdS7_N6thrust23THRUST_200600_302600_NS10device_ptrIlEESB_jNS0_19identity_decomposerENS1_16block_id_wrapperIjLb0EEEEE10hipError_tT1_PNSt15iterator_traitsISG_E10value_typeET2_T3_PNSH_ISM_E10value_typeET4_T5_PSR_SS_PNS1_23onesweep_lookback_stateEbbT6_jjT7_P12ihipStream_tbENKUlT_T0_SG_SL_E_clIS7_S7_PlSB_EEDaSZ_S10_SG_SL_EUlSZ_E_NS1_11comp_targetILNS1_3genE6ELNS1_11target_archE950ELNS1_3gpuE13ELNS1_3repE0EEENS1_47radix_sort_onesweep_sort_config_static_selectorELNS0_4arch9wavefront6targetE1EEEvSG_
	.p2align	8
	.type	_ZN7rocprim17ROCPRIM_400000_NS6detail17trampoline_kernelINS0_14default_configENS1_35radix_sort_onesweep_config_selectorIdlEEZZNS1_29radix_sort_onesweep_iterationIS3_Lb0EPdS7_N6thrust23THRUST_200600_302600_NS10device_ptrIlEESB_jNS0_19identity_decomposerENS1_16block_id_wrapperIjLb0EEEEE10hipError_tT1_PNSt15iterator_traitsISG_E10value_typeET2_T3_PNSH_ISM_E10value_typeET4_T5_PSR_SS_PNS1_23onesweep_lookback_stateEbbT6_jjT7_P12ihipStream_tbENKUlT_T0_SG_SL_E_clIS7_S7_PlSB_EEDaSZ_S10_SG_SL_EUlSZ_E_NS1_11comp_targetILNS1_3genE6ELNS1_11target_archE950ELNS1_3gpuE13ELNS1_3repE0EEENS1_47radix_sort_onesweep_sort_config_static_selectorELNS0_4arch9wavefront6targetE1EEEvSG_,@function
_ZN7rocprim17ROCPRIM_400000_NS6detail17trampoline_kernelINS0_14default_configENS1_35radix_sort_onesweep_config_selectorIdlEEZZNS1_29radix_sort_onesweep_iterationIS3_Lb0EPdS7_N6thrust23THRUST_200600_302600_NS10device_ptrIlEESB_jNS0_19identity_decomposerENS1_16block_id_wrapperIjLb0EEEEE10hipError_tT1_PNSt15iterator_traitsISG_E10value_typeET2_T3_PNSH_ISM_E10value_typeET4_T5_PSR_SS_PNS1_23onesweep_lookback_stateEbbT6_jjT7_P12ihipStream_tbENKUlT_T0_SG_SL_E_clIS7_S7_PlSB_EEDaSZ_S10_SG_SL_EUlSZ_E_NS1_11comp_targetILNS1_3genE6ELNS1_11target_archE950ELNS1_3gpuE13ELNS1_3repE0EEENS1_47radix_sort_onesweep_sort_config_static_selectorELNS0_4arch9wavefront6targetE1EEEvSG_: ; @_ZN7rocprim17ROCPRIM_400000_NS6detail17trampoline_kernelINS0_14default_configENS1_35radix_sort_onesweep_config_selectorIdlEEZZNS1_29radix_sort_onesweep_iterationIS3_Lb0EPdS7_N6thrust23THRUST_200600_302600_NS10device_ptrIlEESB_jNS0_19identity_decomposerENS1_16block_id_wrapperIjLb0EEEEE10hipError_tT1_PNSt15iterator_traitsISG_E10value_typeET2_T3_PNSH_ISM_E10value_typeET4_T5_PSR_SS_PNS1_23onesweep_lookback_stateEbbT6_jjT7_P12ihipStream_tbENKUlT_T0_SG_SL_E_clIS7_S7_PlSB_EEDaSZ_S10_SG_SL_EUlSZ_E_NS1_11comp_targetILNS1_3genE6ELNS1_11target_archE950ELNS1_3gpuE13ELNS1_3repE0EEENS1_47radix_sort_onesweep_sort_config_static_selectorELNS0_4arch9wavefront6targetE1EEEvSG_
; %bb.0:
	.section	.rodata,"a",@progbits
	.p2align	6, 0x0
	.amdhsa_kernel _ZN7rocprim17ROCPRIM_400000_NS6detail17trampoline_kernelINS0_14default_configENS1_35radix_sort_onesweep_config_selectorIdlEEZZNS1_29radix_sort_onesweep_iterationIS3_Lb0EPdS7_N6thrust23THRUST_200600_302600_NS10device_ptrIlEESB_jNS0_19identity_decomposerENS1_16block_id_wrapperIjLb0EEEEE10hipError_tT1_PNSt15iterator_traitsISG_E10value_typeET2_T3_PNSH_ISM_E10value_typeET4_T5_PSR_SS_PNS1_23onesweep_lookback_stateEbbT6_jjT7_P12ihipStream_tbENKUlT_T0_SG_SL_E_clIS7_S7_PlSB_EEDaSZ_S10_SG_SL_EUlSZ_E_NS1_11comp_targetILNS1_3genE6ELNS1_11target_archE950ELNS1_3gpuE13ELNS1_3repE0EEENS1_47radix_sort_onesweep_sort_config_static_selectorELNS0_4arch9wavefront6targetE1EEEvSG_
		.amdhsa_group_segment_fixed_size 0
		.amdhsa_private_segment_fixed_size 0
		.amdhsa_kernarg_size 88
		.amdhsa_user_sgpr_count 6
		.amdhsa_user_sgpr_private_segment_buffer 1
		.amdhsa_user_sgpr_dispatch_ptr 0
		.amdhsa_user_sgpr_queue_ptr 0
		.amdhsa_user_sgpr_kernarg_segment_ptr 1
		.amdhsa_user_sgpr_dispatch_id 0
		.amdhsa_user_sgpr_flat_scratch_init 0
		.amdhsa_user_sgpr_private_segment_size 0
		.amdhsa_uses_dynamic_stack 0
		.amdhsa_system_sgpr_private_segment_wavefront_offset 0
		.amdhsa_system_sgpr_workgroup_id_x 1
		.amdhsa_system_sgpr_workgroup_id_y 0
		.amdhsa_system_sgpr_workgroup_id_z 0
		.amdhsa_system_sgpr_workgroup_info 0
		.amdhsa_system_vgpr_workitem_id 0
		.amdhsa_next_free_vgpr 1
		.amdhsa_next_free_sgpr 0
		.amdhsa_reserve_vcc 0
		.amdhsa_reserve_flat_scratch 0
		.amdhsa_float_round_mode_32 0
		.amdhsa_float_round_mode_16_64 0
		.amdhsa_float_denorm_mode_32 3
		.amdhsa_float_denorm_mode_16_64 3
		.amdhsa_dx10_clamp 1
		.amdhsa_ieee_mode 1
		.amdhsa_fp16_overflow 0
		.amdhsa_exception_fp_ieee_invalid_op 0
		.amdhsa_exception_fp_denorm_src 0
		.amdhsa_exception_fp_ieee_div_zero 0
		.amdhsa_exception_fp_ieee_overflow 0
		.amdhsa_exception_fp_ieee_underflow 0
		.amdhsa_exception_fp_ieee_inexact 0
		.amdhsa_exception_int_div_zero 0
	.end_amdhsa_kernel
	.section	.text._ZN7rocprim17ROCPRIM_400000_NS6detail17trampoline_kernelINS0_14default_configENS1_35radix_sort_onesweep_config_selectorIdlEEZZNS1_29radix_sort_onesweep_iterationIS3_Lb0EPdS7_N6thrust23THRUST_200600_302600_NS10device_ptrIlEESB_jNS0_19identity_decomposerENS1_16block_id_wrapperIjLb0EEEEE10hipError_tT1_PNSt15iterator_traitsISG_E10value_typeET2_T3_PNSH_ISM_E10value_typeET4_T5_PSR_SS_PNS1_23onesweep_lookback_stateEbbT6_jjT7_P12ihipStream_tbENKUlT_T0_SG_SL_E_clIS7_S7_PlSB_EEDaSZ_S10_SG_SL_EUlSZ_E_NS1_11comp_targetILNS1_3genE6ELNS1_11target_archE950ELNS1_3gpuE13ELNS1_3repE0EEENS1_47radix_sort_onesweep_sort_config_static_selectorELNS0_4arch9wavefront6targetE1EEEvSG_,"axG",@progbits,_ZN7rocprim17ROCPRIM_400000_NS6detail17trampoline_kernelINS0_14default_configENS1_35radix_sort_onesweep_config_selectorIdlEEZZNS1_29radix_sort_onesweep_iterationIS3_Lb0EPdS7_N6thrust23THRUST_200600_302600_NS10device_ptrIlEESB_jNS0_19identity_decomposerENS1_16block_id_wrapperIjLb0EEEEE10hipError_tT1_PNSt15iterator_traitsISG_E10value_typeET2_T3_PNSH_ISM_E10value_typeET4_T5_PSR_SS_PNS1_23onesweep_lookback_stateEbbT6_jjT7_P12ihipStream_tbENKUlT_T0_SG_SL_E_clIS7_S7_PlSB_EEDaSZ_S10_SG_SL_EUlSZ_E_NS1_11comp_targetILNS1_3genE6ELNS1_11target_archE950ELNS1_3gpuE13ELNS1_3repE0EEENS1_47radix_sort_onesweep_sort_config_static_selectorELNS0_4arch9wavefront6targetE1EEEvSG_,comdat
.Lfunc_end1662:
	.size	_ZN7rocprim17ROCPRIM_400000_NS6detail17trampoline_kernelINS0_14default_configENS1_35radix_sort_onesweep_config_selectorIdlEEZZNS1_29radix_sort_onesweep_iterationIS3_Lb0EPdS7_N6thrust23THRUST_200600_302600_NS10device_ptrIlEESB_jNS0_19identity_decomposerENS1_16block_id_wrapperIjLb0EEEEE10hipError_tT1_PNSt15iterator_traitsISG_E10value_typeET2_T3_PNSH_ISM_E10value_typeET4_T5_PSR_SS_PNS1_23onesweep_lookback_stateEbbT6_jjT7_P12ihipStream_tbENKUlT_T0_SG_SL_E_clIS7_S7_PlSB_EEDaSZ_S10_SG_SL_EUlSZ_E_NS1_11comp_targetILNS1_3genE6ELNS1_11target_archE950ELNS1_3gpuE13ELNS1_3repE0EEENS1_47radix_sort_onesweep_sort_config_static_selectorELNS0_4arch9wavefront6targetE1EEEvSG_, .Lfunc_end1662-_ZN7rocprim17ROCPRIM_400000_NS6detail17trampoline_kernelINS0_14default_configENS1_35radix_sort_onesweep_config_selectorIdlEEZZNS1_29radix_sort_onesweep_iterationIS3_Lb0EPdS7_N6thrust23THRUST_200600_302600_NS10device_ptrIlEESB_jNS0_19identity_decomposerENS1_16block_id_wrapperIjLb0EEEEE10hipError_tT1_PNSt15iterator_traitsISG_E10value_typeET2_T3_PNSH_ISM_E10value_typeET4_T5_PSR_SS_PNS1_23onesweep_lookback_stateEbbT6_jjT7_P12ihipStream_tbENKUlT_T0_SG_SL_E_clIS7_S7_PlSB_EEDaSZ_S10_SG_SL_EUlSZ_E_NS1_11comp_targetILNS1_3genE6ELNS1_11target_archE950ELNS1_3gpuE13ELNS1_3repE0EEENS1_47radix_sort_onesweep_sort_config_static_selectorELNS0_4arch9wavefront6targetE1EEEvSG_
                                        ; -- End function
	.set _ZN7rocprim17ROCPRIM_400000_NS6detail17trampoline_kernelINS0_14default_configENS1_35radix_sort_onesweep_config_selectorIdlEEZZNS1_29radix_sort_onesweep_iterationIS3_Lb0EPdS7_N6thrust23THRUST_200600_302600_NS10device_ptrIlEESB_jNS0_19identity_decomposerENS1_16block_id_wrapperIjLb0EEEEE10hipError_tT1_PNSt15iterator_traitsISG_E10value_typeET2_T3_PNSH_ISM_E10value_typeET4_T5_PSR_SS_PNS1_23onesweep_lookback_stateEbbT6_jjT7_P12ihipStream_tbENKUlT_T0_SG_SL_E_clIS7_S7_PlSB_EEDaSZ_S10_SG_SL_EUlSZ_E_NS1_11comp_targetILNS1_3genE6ELNS1_11target_archE950ELNS1_3gpuE13ELNS1_3repE0EEENS1_47radix_sort_onesweep_sort_config_static_selectorELNS0_4arch9wavefront6targetE1EEEvSG_.num_vgpr, 0
	.set _ZN7rocprim17ROCPRIM_400000_NS6detail17trampoline_kernelINS0_14default_configENS1_35radix_sort_onesweep_config_selectorIdlEEZZNS1_29radix_sort_onesweep_iterationIS3_Lb0EPdS7_N6thrust23THRUST_200600_302600_NS10device_ptrIlEESB_jNS0_19identity_decomposerENS1_16block_id_wrapperIjLb0EEEEE10hipError_tT1_PNSt15iterator_traitsISG_E10value_typeET2_T3_PNSH_ISM_E10value_typeET4_T5_PSR_SS_PNS1_23onesweep_lookback_stateEbbT6_jjT7_P12ihipStream_tbENKUlT_T0_SG_SL_E_clIS7_S7_PlSB_EEDaSZ_S10_SG_SL_EUlSZ_E_NS1_11comp_targetILNS1_3genE6ELNS1_11target_archE950ELNS1_3gpuE13ELNS1_3repE0EEENS1_47radix_sort_onesweep_sort_config_static_selectorELNS0_4arch9wavefront6targetE1EEEvSG_.num_agpr, 0
	.set _ZN7rocprim17ROCPRIM_400000_NS6detail17trampoline_kernelINS0_14default_configENS1_35radix_sort_onesweep_config_selectorIdlEEZZNS1_29radix_sort_onesweep_iterationIS3_Lb0EPdS7_N6thrust23THRUST_200600_302600_NS10device_ptrIlEESB_jNS0_19identity_decomposerENS1_16block_id_wrapperIjLb0EEEEE10hipError_tT1_PNSt15iterator_traitsISG_E10value_typeET2_T3_PNSH_ISM_E10value_typeET4_T5_PSR_SS_PNS1_23onesweep_lookback_stateEbbT6_jjT7_P12ihipStream_tbENKUlT_T0_SG_SL_E_clIS7_S7_PlSB_EEDaSZ_S10_SG_SL_EUlSZ_E_NS1_11comp_targetILNS1_3genE6ELNS1_11target_archE950ELNS1_3gpuE13ELNS1_3repE0EEENS1_47radix_sort_onesweep_sort_config_static_selectorELNS0_4arch9wavefront6targetE1EEEvSG_.numbered_sgpr, 0
	.set _ZN7rocprim17ROCPRIM_400000_NS6detail17trampoline_kernelINS0_14default_configENS1_35radix_sort_onesweep_config_selectorIdlEEZZNS1_29radix_sort_onesweep_iterationIS3_Lb0EPdS7_N6thrust23THRUST_200600_302600_NS10device_ptrIlEESB_jNS0_19identity_decomposerENS1_16block_id_wrapperIjLb0EEEEE10hipError_tT1_PNSt15iterator_traitsISG_E10value_typeET2_T3_PNSH_ISM_E10value_typeET4_T5_PSR_SS_PNS1_23onesweep_lookback_stateEbbT6_jjT7_P12ihipStream_tbENKUlT_T0_SG_SL_E_clIS7_S7_PlSB_EEDaSZ_S10_SG_SL_EUlSZ_E_NS1_11comp_targetILNS1_3genE6ELNS1_11target_archE950ELNS1_3gpuE13ELNS1_3repE0EEENS1_47radix_sort_onesweep_sort_config_static_selectorELNS0_4arch9wavefront6targetE1EEEvSG_.num_named_barrier, 0
	.set _ZN7rocprim17ROCPRIM_400000_NS6detail17trampoline_kernelINS0_14default_configENS1_35radix_sort_onesweep_config_selectorIdlEEZZNS1_29radix_sort_onesweep_iterationIS3_Lb0EPdS7_N6thrust23THRUST_200600_302600_NS10device_ptrIlEESB_jNS0_19identity_decomposerENS1_16block_id_wrapperIjLb0EEEEE10hipError_tT1_PNSt15iterator_traitsISG_E10value_typeET2_T3_PNSH_ISM_E10value_typeET4_T5_PSR_SS_PNS1_23onesweep_lookback_stateEbbT6_jjT7_P12ihipStream_tbENKUlT_T0_SG_SL_E_clIS7_S7_PlSB_EEDaSZ_S10_SG_SL_EUlSZ_E_NS1_11comp_targetILNS1_3genE6ELNS1_11target_archE950ELNS1_3gpuE13ELNS1_3repE0EEENS1_47radix_sort_onesweep_sort_config_static_selectorELNS0_4arch9wavefront6targetE1EEEvSG_.private_seg_size, 0
	.set _ZN7rocprim17ROCPRIM_400000_NS6detail17trampoline_kernelINS0_14default_configENS1_35radix_sort_onesweep_config_selectorIdlEEZZNS1_29radix_sort_onesweep_iterationIS3_Lb0EPdS7_N6thrust23THRUST_200600_302600_NS10device_ptrIlEESB_jNS0_19identity_decomposerENS1_16block_id_wrapperIjLb0EEEEE10hipError_tT1_PNSt15iterator_traitsISG_E10value_typeET2_T3_PNSH_ISM_E10value_typeET4_T5_PSR_SS_PNS1_23onesweep_lookback_stateEbbT6_jjT7_P12ihipStream_tbENKUlT_T0_SG_SL_E_clIS7_S7_PlSB_EEDaSZ_S10_SG_SL_EUlSZ_E_NS1_11comp_targetILNS1_3genE6ELNS1_11target_archE950ELNS1_3gpuE13ELNS1_3repE0EEENS1_47radix_sort_onesweep_sort_config_static_selectorELNS0_4arch9wavefront6targetE1EEEvSG_.uses_vcc, 0
	.set _ZN7rocprim17ROCPRIM_400000_NS6detail17trampoline_kernelINS0_14default_configENS1_35radix_sort_onesweep_config_selectorIdlEEZZNS1_29radix_sort_onesweep_iterationIS3_Lb0EPdS7_N6thrust23THRUST_200600_302600_NS10device_ptrIlEESB_jNS0_19identity_decomposerENS1_16block_id_wrapperIjLb0EEEEE10hipError_tT1_PNSt15iterator_traitsISG_E10value_typeET2_T3_PNSH_ISM_E10value_typeET4_T5_PSR_SS_PNS1_23onesweep_lookback_stateEbbT6_jjT7_P12ihipStream_tbENKUlT_T0_SG_SL_E_clIS7_S7_PlSB_EEDaSZ_S10_SG_SL_EUlSZ_E_NS1_11comp_targetILNS1_3genE6ELNS1_11target_archE950ELNS1_3gpuE13ELNS1_3repE0EEENS1_47radix_sort_onesweep_sort_config_static_selectorELNS0_4arch9wavefront6targetE1EEEvSG_.uses_flat_scratch, 0
	.set _ZN7rocprim17ROCPRIM_400000_NS6detail17trampoline_kernelINS0_14default_configENS1_35radix_sort_onesweep_config_selectorIdlEEZZNS1_29radix_sort_onesweep_iterationIS3_Lb0EPdS7_N6thrust23THRUST_200600_302600_NS10device_ptrIlEESB_jNS0_19identity_decomposerENS1_16block_id_wrapperIjLb0EEEEE10hipError_tT1_PNSt15iterator_traitsISG_E10value_typeET2_T3_PNSH_ISM_E10value_typeET4_T5_PSR_SS_PNS1_23onesweep_lookback_stateEbbT6_jjT7_P12ihipStream_tbENKUlT_T0_SG_SL_E_clIS7_S7_PlSB_EEDaSZ_S10_SG_SL_EUlSZ_E_NS1_11comp_targetILNS1_3genE6ELNS1_11target_archE950ELNS1_3gpuE13ELNS1_3repE0EEENS1_47radix_sort_onesweep_sort_config_static_selectorELNS0_4arch9wavefront6targetE1EEEvSG_.has_dyn_sized_stack, 0
	.set _ZN7rocprim17ROCPRIM_400000_NS6detail17trampoline_kernelINS0_14default_configENS1_35radix_sort_onesweep_config_selectorIdlEEZZNS1_29radix_sort_onesweep_iterationIS3_Lb0EPdS7_N6thrust23THRUST_200600_302600_NS10device_ptrIlEESB_jNS0_19identity_decomposerENS1_16block_id_wrapperIjLb0EEEEE10hipError_tT1_PNSt15iterator_traitsISG_E10value_typeET2_T3_PNSH_ISM_E10value_typeET4_T5_PSR_SS_PNS1_23onesweep_lookback_stateEbbT6_jjT7_P12ihipStream_tbENKUlT_T0_SG_SL_E_clIS7_S7_PlSB_EEDaSZ_S10_SG_SL_EUlSZ_E_NS1_11comp_targetILNS1_3genE6ELNS1_11target_archE950ELNS1_3gpuE13ELNS1_3repE0EEENS1_47radix_sort_onesweep_sort_config_static_selectorELNS0_4arch9wavefront6targetE1EEEvSG_.has_recursion, 0
	.set _ZN7rocprim17ROCPRIM_400000_NS6detail17trampoline_kernelINS0_14default_configENS1_35radix_sort_onesweep_config_selectorIdlEEZZNS1_29radix_sort_onesweep_iterationIS3_Lb0EPdS7_N6thrust23THRUST_200600_302600_NS10device_ptrIlEESB_jNS0_19identity_decomposerENS1_16block_id_wrapperIjLb0EEEEE10hipError_tT1_PNSt15iterator_traitsISG_E10value_typeET2_T3_PNSH_ISM_E10value_typeET4_T5_PSR_SS_PNS1_23onesweep_lookback_stateEbbT6_jjT7_P12ihipStream_tbENKUlT_T0_SG_SL_E_clIS7_S7_PlSB_EEDaSZ_S10_SG_SL_EUlSZ_E_NS1_11comp_targetILNS1_3genE6ELNS1_11target_archE950ELNS1_3gpuE13ELNS1_3repE0EEENS1_47radix_sort_onesweep_sort_config_static_selectorELNS0_4arch9wavefront6targetE1EEEvSG_.has_indirect_call, 0
	.section	.AMDGPU.csdata,"",@progbits
; Kernel info:
; codeLenInByte = 0
; TotalNumSgprs: 4
; NumVgprs: 0
; ScratchSize: 0
; MemoryBound: 0
; FloatMode: 240
; IeeeMode: 1
; LDSByteSize: 0 bytes/workgroup (compile time only)
; SGPRBlocks: 0
; VGPRBlocks: 0
; NumSGPRsForWavesPerEU: 4
; NumVGPRsForWavesPerEU: 1
; Occupancy: 10
; WaveLimiterHint : 0
; COMPUTE_PGM_RSRC2:SCRATCH_EN: 0
; COMPUTE_PGM_RSRC2:USER_SGPR: 6
; COMPUTE_PGM_RSRC2:TRAP_HANDLER: 0
; COMPUTE_PGM_RSRC2:TGID_X_EN: 1
; COMPUTE_PGM_RSRC2:TGID_Y_EN: 0
; COMPUTE_PGM_RSRC2:TGID_Z_EN: 0
; COMPUTE_PGM_RSRC2:TIDIG_COMP_CNT: 0
	.section	.text._ZN7rocprim17ROCPRIM_400000_NS6detail17trampoline_kernelINS0_14default_configENS1_35radix_sort_onesweep_config_selectorIdlEEZZNS1_29radix_sort_onesweep_iterationIS3_Lb0EPdS7_N6thrust23THRUST_200600_302600_NS10device_ptrIlEESB_jNS0_19identity_decomposerENS1_16block_id_wrapperIjLb0EEEEE10hipError_tT1_PNSt15iterator_traitsISG_E10value_typeET2_T3_PNSH_ISM_E10value_typeET4_T5_PSR_SS_PNS1_23onesweep_lookback_stateEbbT6_jjT7_P12ihipStream_tbENKUlT_T0_SG_SL_E_clIS7_S7_PlSB_EEDaSZ_S10_SG_SL_EUlSZ_E_NS1_11comp_targetILNS1_3genE5ELNS1_11target_archE942ELNS1_3gpuE9ELNS1_3repE0EEENS1_47radix_sort_onesweep_sort_config_static_selectorELNS0_4arch9wavefront6targetE1EEEvSG_,"axG",@progbits,_ZN7rocprim17ROCPRIM_400000_NS6detail17trampoline_kernelINS0_14default_configENS1_35radix_sort_onesweep_config_selectorIdlEEZZNS1_29radix_sort_onesweep_iterationIS3_Lb0EPdS7_N6thrust23THRUST_200600_302600_NS10device_ptrIlEESB_jNS0_19identity_decomposerENS1_16block_id_wrapperIjLb0EEEEE10hipError_tT1_PNSt15iterator_traitsISG_E10value_typeET2_T3_PNSH_ISM_E10value_typeET4_T5_PSR_SS_PNS1_23onesweep_lookback_stateEbbT6_jjT7_P12ihipStream_tbENKUlT_T0_SG_SL_E_clIS7_S7_PlSB_EEDaSZ_S10_SG_SL_EUlSZ_E_NS1_11comp_targetILNS1_3genE5ELNS1_11target_archE942ELNS1_3gpuE9ELNS1_3repE0EEENS1_47radix_sort_onesweep_sort_config_static_selectorELNS0_4arch9wavefront6targetE1EEEvSG_,comdat
	.protected	_ZN7rocprim17ROCPRIM_400000_NS6detail17trampoline_kernelINS0_14default_configENS1_35radix_sort_onesweep_config_selectorIdlEEZZNS1_29radix_sort_onesweep_iterationIS3_Lb0EPdS7_N6thrust23THRUST_200600_302600_NS10device_ptrIlEESB_jNS0_19identity_decomposerENS1_16block_id_wrapperIjLb0EEEEE10hipError_tT1_PNSt15iterator_traitsISG_E10value_typeET2_T3_PNSH_ISM_E10value_typeET4_T5_PSR_SS_PNS1_23onesweep_lookback_stateEbbT6_jjT7_P12ihipStream_tbENKUlT_T0_SG_SL_E_clIS7_S7_PlSB_EEDaSZ_S10_SG_SL_EUlSZ_E_NS1_11comp_targetILNS1_3genE5ELNS1_11target_archE942ELNS1_3gpuE9ELNS1_3repE0EEENS1_47radix_sort_onesweep_sort_config_static_selectorELNS0_4arch9wavefront6targetE1EEEvSG_ ; -- Begin function _ZN7rocprim17ROCPRIM_400000_NS6detail17trampoline_kernelINS0_14default_configENS1_35radix_sort_onesweep_config_selectorIdlEEZZNS1_29radix_sort_onesweep_iterationIS3_Lb0EPdS7_N6thrust23THRUST_200600_302600_NS10device_ptrIlEESB_jNS0_19identity_decomposerENS1_16block_id_wrapperIjLb0EEEEE10hipError_tT1_PNSt15iterator_traitsISG_E10value_typeET2_T3_PNSH_ISM_E10value_typeET4_T5_PSR_SS_PNS1_23onesweep_lookback_stateEbbT6_jjT7_P12ihipStream_tbENKUlT_T0_SG_SL_E_clIS7_S7_PlSB_EEDaSZ_S10_SG_SL_EUlSZ_E_NS1_11comp_targetILNS1_3genE5ELNS1_11target_archE942ELNS1_3gpuE9ELNS1_3repE0EEENS1_47radix_sort_onesweep_sort_config_static_selectorELNS0_4arch9wavefront6targetE1EEEvSG_
	.globl	_ZN7rocprim17ROCPRIM_400000_NS6detail17trampoline_kernelINS0_14default_configENS1_35radix_sort_onesweep_config_selectorIdlEEZZNS1_29radix_sort_onesweep_iterationIS3_Lb0EPdS7_N6thrust23THRUST_200600_302600_NS10device_ptrIlEESB_jNS0_19identity_decomposerENS1_16block_id_wrapperIjLb0EEEEE10hipError_tT1_PNSt15iterator_traitsISG_E10value_typeET2_T3_PNSH_ISM_E10value_typeET4_T5_PSR_SS_PNS1_23onesweep_lookback_stateEbbT6_jjT7_P12ihipStream_tbENKUlT_T0_SG_SL_E_clIS7_S7_PlSB_EEDaSZ_S10_SG_SL_EUlSZ_E_NS1_11comp_targetILNS1_3genE5ELNS1_11target_archE942ELNS1_3gpuE9ELNS1_3repE0EEENS1_47radix_sort_onesweep_sort_config_static_selectorELNS0_4arch9wavefront6targetE1EEEvSG_
	.p2align	8
	.type	_ZN7rocprim17ROCPRIM_400000_NS6detail17trampoline_kernelINS0_14default_configENS1_35radix_sort_onesweep_config_selectorIdlEEZZNS1_29radix_sort_onesweep_iterationIS3_Lb0EPdS7_N6thrust23THRUST_200600_302600_NS10device_ptrIlEESB_jNS0_19identity_decomposerENS1_16block_id_wrapperIjLb0EEEEE10hipError_tT1_PNSt15iterator_traitsISG_E10value_typeET2_T3_PNSH_ISM_E10value_typeET4_T5_PSR_SS_PNS1_23onesweep_lookback_stateEbbT6_jjT7_P12ihipStream_tbENKUlT_T0_SG_SL_E_clIS7_S7_PlSB_EEDaSZ_S10_SG_SL_EUlSZ_E_NS1_11comp_targetILNS1_3genE5ELNS1_11target_archE942ELNS1_3gpuE9ELNS1_3repE0EEENS1_47radix_sort_onesweep_sort_config_static_selectorELNS0_4arch9wavefront6targetE1EEEvSG_,@function
_ZN7rocprim17ROCPRIM_400000_NS6detail17trampoline_kernelINS0_14default_configENS1_35radix_sort_onesweep_config_selectorIdlEEZZNS1_29radix_sort_onesweep_iterationIS3_Lb0EPdS7_N6thrust23THRUST_200600_302600_NS10device_ptrIlEESB_jNS0_19identity_decomposerENS1_16block_id_wrapperIjLb0EEEEE10hipError_tT1_PNSt15iterator_traitsISG_E10value_typeET2_T3_PNSH_ISM_E10value_typeET4_T5_PSR_SS_PNS1_23onesweep_lookback_stateEbbT6_jjT7_P12ihipStream_tbENKUlT_T0_SG_SL_E_clIS7_S7_PlSB_EEDaSZ_S10_SG_SL_EUlSZ_E_NS1_11comp_targetILNS1_3genE5ELNS1_11target_archE942ELNS1_3gpuE9ELNS1_3repE0EEENS1_47radix_sort_onesweep_sort_config_static_selectorELNS0_4arch9wavefront6targetE1EEEvSG_: ; @_ZN7rocprim17ROCPRIM_400000_NS6detail17trampoline_kernelINS0_14default_configENS1_35radix_sort_onesweep_config_selectorIdlEEZZNS1_29radix_sort_onesweep_iterationIS3_Lb0EPdS7_N6thrust23THRUST_200600_302600_NS10device_ptrIlEESB_jNS0_19identity_decomposerENS1_16block_id_wrapperIjLb0EEEEE10hipError_tT1_PNSt15iterator_traitsISG_E10value_typeET2_T3_PNSH_ISM_E10value_typeET4_T5_PSR_SS_PNS1_23onesweep_lookback_stateEbbT6_jjT7_P12ihipStream_tbENKUlT_T0_SG_SL_E_clIS7_S7_PlSB_EEDaSZ_S10_SG_SL_EUlSZ_E_NS1_11comp_targetILNS1_3genE5ELNS1_11target_archE942ELNS1_3gpuE9ELNS1_3repE0EEENS1_47radix_sort_onesweep_sort_config_static_selectorELNS0_4arch9wavefront6targetE1EEEvSG_
; %bb.0:
	.section	.rodata,"a",@progbits
	.p2align	6, 0x0
	.amdhsa_kernel _ZN7rocprim17ROCPRIM_400000_NS6detail17trampoline_kernelINS0_14default_configENS1_35radix_sort_onesweep_config_selectorIdlEEZZNS1_29radix_sort_onesweep_iterationIS3_Lb0EPdS7_N6thrust23THRUST_200600_302600_NS10device_ptrIlEESB_jNS0_19identity_decomposerENS1_16block_id_wrapperIjLb0EEEEE10hipError_tT1_PNSt15iterator_traitsISG_E10value_typeET2_T3_PNSH_ISM_E10value_typeET4_T5_PSR_SS_PNS1_23onesweep_lookback_stateEbbT6_jjT7_P12ihipStream_tbENKUlT_T0_SG_SL_E_clIS7_S7_PlSB_EEDaSZ_S10_SG_SL_EUlSZ_E_NS1_11comp_targetILNS1_3genE5ELNS1_11target_archE942ELNS1_3gpuE9ELNS1_3repE0EEENS1_47radix_sort_onesweep_sort_config_static_selectorELNS0_4arch9wavefront6targetE1EEEvSG_
		.amdhsa_group_segment_fixed_size 0
		.amdhsa_private_segment_fixed_size 0
		.amdhsa_kernarg_size 88
		.amdhsa_user_sgpr_count 6
		.amdhsa_user_sgpr_private_segment_buffer 1
		.amdhsa_user_sgpr_dispatch_ptr 0
		.amdhsa_user_sgpr_queue_ptr 0
		.amdhsa_user_sgpr_kernarg_segment_ptr 1
		.amdhsa_user_sgpr_dispatch_id 0
		.amdhsa_user_sgpr_flat_scratch_init 0
		.amdhsa_user_sgpr_private_segment_size 0
		.amdhsa_uses_dynamic_stack 0
		.amdhsa_system_sgpr_private_segment_wavefront_offset 0
		.amdhsa_system_sgpr_workgroup_id_x 1
		.amdhsa_system_sgpr_workgroup_id_y 0
		.amdhsa_system_sgpr_workgroup_id_z 0
		.amdhsa_system_sgpr_workgroup_info 0
		.amdhsa_system_vgpr_workitem_id 0
		.amdhsa_next_free_vgpr 1
		.amdhsa_next_free_sgpr 0
		.amdhsa_reserve_vcc 0
		.amdhsa_reserve_flat_scratch 0
		.amdhsa_float_round_mode_32 0
		.amdhsa_float_round_mode_16_64 0
		.amdhsa_float_denorm_mode_32 3
		.amdhsa_float_denorm_mode_16_64 3
		.amdhsa_dx10_clamp 1
		.amdhsa_ieee_mode 1
		.amdhsa_fp16_overflow 0
		.amdhsa_exception_fp_ieee_invalid_op 0
		.amdhsa_exception_fp_denorm_src 0
		.amdhsa_exception_fp_ieee_div_zero 0
		.amdhsa_exception_fp_ieee_overflow 0
		.amdhsa_exception_fp_ieee_underflow 0
		.amdhsa_exception_fp_ieee_inexact 0
		.amdhsa_exception_int_div_zero 0
	.end_amdhsa_kernel
	.section	.text._ZN7rocprim17ROCPRIM_400000_NS6detail17trampoline_kernelINS0_14default_configENS1_35radix_sort_onesweep_config_selectorIdlEEZZNS1_29radix_sort_onesweep_iterationIS3_Lb0EPdS7_N6thrust23THRUST_200600_302600_NS10device_ptrIlEESB_jNS0_19identity_decomposerENS1_16block_id_wrapperIjLb0EEEEE10hipError_tT1_PNSt15iterator_traitsISG_E10value_typeET2_T3_PNSH_ISM_E10value_typeET4_T5_PSR_SS_PNS1_23onesweep_lookback_stateEbbT6_jjT7_P12ihipStream_tbENKUlT_T0_SG_SL_E_clIS7_S7_PlSB_EEDaSZ_S10_SG_SL_EUlSZ_E_NS1_11comp_targetILNS1_3genE5ELNS1_11target_archE942ELNS1_3gpuE9ELNS1_3repE0EEENS1_47radix_sort_onesweep_sort_config_static_selectorELNS0_4arch9wavefront6targetE1EEEvSG_,"axG",@progbits,_ZN7rocprim17ROCPRIM_400000_NS6detail17trampoline_kernelINS0_14default_configENS1_35radix_sort_onesweep_config_selectorIdlEEZZNS1_29radix_sort_onesweep_iterationIS3_Lb0EPdS7_N6thrust23THRUST_200600_302600_NS10device_ptrIlEESB_jNS0_19identity_decomposerENS1_16block_id_wrapperIjLb0EEEEE10hipError_tT1_PNSt15iterator_traitsISG_E10value_typeET2_T3_PNSH_ISM_E10value_typeET4_T5_PSR_SS_PNS1_23onesweep_lookback_stateEbbT6_jjT7_P12ihipStream_tbENKUlT_T0_SG_SL_E_clIS7_S7_PlSB_EEDaSZ_S10_SG_SL_EUlSZ_E_NS1_11comp_targetILNS1_3genE5ELNS1_11target_archE942ELNS1_3gpuE9ELNS1_3repE0EEENS1_47radix_sort_onesweep_sort_config_static_selectorELNS0_4arch9wavefront6targetE1EEEvSG_,comdat
.Lfunc_end1663:
	.size	_ZN7rocprim17ROCPRIM_400000_NS6detail17trampoline_kernelINS0_14default_configENS1_35radix_sort_onesweep_config_selectorIdlEEZZNS1_29radix_sort_onesweep_iterationIS3_Lb0EPdS7_N6thrust23THRUST_200600_302600_NS10device_ptrIlEESB_jNS0_19identity_decomposerENS1_16block_id_wrapperIjLb0EEEEE10hipError_tT1_PNSt15iterator_traitsISG_E10value_typeET2_T3_PNSH_ISM_E10value_typeET4_T5_PSR_SS_PNS1_23onesweep_lookback_stateEbbT6_jjT7_P12ihipStream_tbENKUlT_T0_SG_SL_E_clIS7_S7_PlSB_EEDaSZ_S10_SG_SL_EUlSZ_E_NS1_11comp_targetILNS1_3genE5ELNS1_11target_archE942ELNS1_3gpuE9ELNS1_3repE0EEENS1_47radix_sort_onesweep_sort_config_static_selectorELNS0_4arch9wavefront6targetE1EEEvSG_, .Lfunc_end1663-_ZN7rocprim17ROCPRIM_400000_NS6detail17trampoline_kernelINS0_14default_configENS1_35radix_sort_onesweep_config_selectorIdlEEZZNS1_29radix_sort_onesweep_iterationIS3_Lb0EPdS7_N6thrust23THRUST_200600_302600_NS10device_ptrIlEESB_jNS0_19identity_decomposerENS1_16block_id_wrapperIjLb0EEEEE10hipError_tT1_PNSt15iterator_traitsISG_E10value_typeET2_T3_PNSH_ISM_E10value_typeET4_T5_PSR_SS_PNS1_23onesweep_lookback_stateEbbT6_jjT7_P12ihipStream_tbENKUlT_T0_SG_SL_E_clIS7_S7_PlSB_EEDaSZ_S10_SG_SL_EUlSZ_E_NS1_11comp_targetILNS1_3genE5ELNS1_11target_archE942ELNS1_3gpuE9ELNS1_3repE0EEENS1_47radix_sort_onesweep_sort_config_static_selectorELNS0_4arch9wavefront6targetE1EEEvSG_
                                        ; -- End function
	.set _ZN7rocprim17ROCPRIM_400000_NS6detail17trampoline_kernelINS0_14default_configENS1_35radix_sort_onesweep_config_selectorIdlEEZZNS1_29radix_sort_onesweep_iterationIS3_Lb0EPdS7_N6thrust23THRUST_200600_302600_NS10device_ptrIlEESB_jNS0_19identity_decomposerENS1_16block_id_wrapperIjLb0EEEEE10hipError_tT1_PNSt15iterator_traitsISG_E10value_typeET2_T3_PNSH_ISM_E10value_typeET4_T5_PSR_SS_PNS1_23onesweep_lookback_stateEbbT6_jjT7_P12ihipStream_tbENKUlT_T0_SG_SL_E_clIS7_S7_PlSB_EEDaSZ_S10_SG_SL_EUlSZ_E_NS1_11comp_targetILNS1_3genE5ELNS1_11target_archE942ELNS1_3gpuE9ELNS1_3repE0EEENS1_47radix_sort_onesweep_sort_config_static_selectorELNS0_4arch9wavefront6targetE1EEEvSG_.num_vgpr, 0
	.set _ZN7rocprim17ROCPRIM_400000_NS6detail17trampoline_kernelINS0_14default_configENS1_35radix_sort_onesweep_config_selectorIdlEEZZNS1_29radix_sort_onesweep_iterationIS3_Lb0EPdS7_N6thrust23THRUST_200600_302600_NS10device_ptrIlEESB_jNS0_19identity_decomposerENS1_16block_id_wrapperIjLb0EEEEE10hipError_tT1_PNSt15iterator_traitsISG_E10value_typeET2_T3_PNSH_ISM_E10value_typeET4_T5_PSR_SS_PNS1_23onesweep_lookback_stateEbbT6_jjT7_P12ihipStream_tbENKUlT_T0_SG_SL_E_clIS7_S7_PlSB_EEDaSZ_S10_SG_SL_EUlSZ_E_NS1_11comp_targetILNS1_3genE5ELNS1_11target_archE942ELNS1_3gpuE9ELNS1_3repE0EEENS1_47radix_sort_onesweep_sort_config_static_selectorELNS0_4arch9wavefront6targetE1EEEvSG_.num_agpr, 0
	.set _ZN7rocprim17ROCPRIM_400000_NS6detail17trampoline_kernelINS0_14default_configENS1_35radix_sort_onesweep_config_selectorIdlEEZZNS1_29radix_sort_onesweep_iterationIS3_Lb0EPdS7_N6thrust23THRUST_200600_302600_NS10device_ptrIlEESB_jNS0_19identity_decomposerENS1_16block_id_wrapperIjLb0EEEEE10hipError_tT1_PNSt15iterator_traitsISG_E10value_typeET2_T3_PNSH_ISM_E10value_typeET4_T5_PSR_SS_PNS1_23onesweep_lookback_stateEbbT6_jjT7_P12ihipStream_tbENKUlT_T0_SG_SL_E_clIS7_S7_PlSB_EEDaSZ_S10_SG_SL_EUlSZ_E_NS1_11comp_targetILNS1_3genE5ELNS1_11target_archE942ELNS1_3gpuE9ELNS1_3repE0EEENS1_47radix_sort_onesweep_sort_config_static_selectorELNS0_4arch9wavefront6targetE1EEEvSG_.numbered_sgpr, 0
	.set _ZN7rocprim17ROCPRIM_400000_NS6detail17trampoline_kernelINS0_14default_configENS1_35radix_sort_onesweep_config_selectorIdlEEZZNS1_29radix_sort_onesweep_iterationIS3_Lb0EPdS7_N6thrust23THRUST_200600_302600_NS10device_ptrIlEESB_jNS0_19identity_decomposerENS1_16block_id_wrapperIjLb0EEEEE10hipError_tT1_PNSt15iterator_traitsISG_E10value_typeET2_T3_PNSH_ISM_E10value_typeET4_T5_PSR_SS_PNS1_23onesweep_lookback_stateEbbT6_jjT7_P12ihipStream_tbENKUlT_T0_SG_SL_E_clIS7_S7_PlSB_EEDaSZ_S10_SG_SL_EUlSZ_E_NS1_11comp_targetILNS1_3genE5ELNS1_11target_archE942ELNS1_3gpuE9ELNS1_3repE0EEENS1_47radix_sort_onesweep_sort_config_static_selectorELNS0_4arch9wavefront6targetE1EEEvSG_.num_named_barrier, 0
	.set _ZN7rocprim17ROCPRIM_400000_NS6detail17trampoline_kernelINS0_14default_configENS1_35radix_sort_onesweep_config_selectorIdlEEZZNS1_29radix_sort_onesweep_iterationIS3_Lb0EPdS7_N6thrust23THRUST_200600_302600_NS10device_ptrIlEESB_jNS0_19identity_decomposerENS1_16block_id_wrapperIjLb0EEEEE10hipError_tT1_PNSt15iterator_traitsISG_E10value_typeET2_T3_PNSH_ISM_E10value_typeET4_T5_PSR_SS_PNS1_23onesweep_lookback_stateEbbT6_jjT7_P12ihipStream_tbENKUlT_T0_SG_SL_E_clIS7_S7_PlSB_EEDaSZ_S10_SG_SL_EUlSZ_E_NS1_11comp_targetILNS1_3genE5ELNS1_11target_archE942ELNS1_3gpuE9ELNS1_3repE0EEENS1_47radix_sort_onesweep_sort_config_static_selectorELNS0_4arch9wavefront6targetE1EEEvSG_.private_seg_size, 0
	.set _ZN7rocprim17ROCPRIM_400000_NS6detail17trampoline_kernelINS0_14default_configENS1_35radix_sort_onesweep_config_selectorIdlEEZZNS1_29radix_sort_onesweep_iterationIS3_Lb0EPdS7_N6thrust23THRUST_200600_302600_NS10device_ptrIlEESB_jNS0_19identity_decomposerENS1_16block_id_wrapperIjLb0EEEEE10hipError_tT1_PNSt15iterator_traitsISG_E10value_typeET2_T3_PNSH_ISM_E10value_typeET4_T5_PSR_SS_PNS1_23onesweep_lookback_stateEbbT6_jjT7_P12ihipStream_tbENKUlT_T0_SG_SL_E_clIS7_S7_PlSB_EEDaSZ_S10_SG_SL_EUlSZ_E_NS1_11comp_targetILNS1_3genE5ELNS1_11target_archE942ELNS1_3gpuE9ELNS1_3repE0EEENS1_47radix_sort_onesweep_sort_config_static_selectorELNS0_4arch9wavefront6targetE1EEEvSG_.uses_vcc, 0
	.set _ZN7rocprim17ROCPRIM_400000_NS6detail17trampoline_kernelINS0_14default_configENS1_35radix_sort_onesweep_config_selectorIdlEEZZNS1_29radix_sort_onesweep_iterationIS3_Lb0EPdS7_N6thrust23THRUST_200600_302600_NS10device_ptrIlEESB_jNS0_19identity_decomposerENS1_16block_id_wrapperIjLb0EEEEE10hipError_tT1_PNSt15iterator_traitsISG_E10value_typeET2_T3_PNSH_ISM_E10value_typeET4_T5_PSR_SS_PNS1_23onesweep_lookback_stateEbbT6_jjT7_P12ihipStream_tbENKUlT_T0_SG_SL_E_clIS7_S7_PlSB_EEDaSZ_S10_SG_SL_EUlSZ_E_NS1_11comp_targetILNS1_3genE5ELNS1_11target_archE942ELNS1_3gpuE9ELNS1_3repE0EEENS1_47radix_sort_onesweep_sort_config_static_selectorELNS0_4arch9wavefront6targetE1EEEvSG_.uses_flat_scratch, 0
	.set _ZN7rocprim17ROCPRIM_400000_NS6detail17trampoline_kernelINS0_14default_configENS1_35radix_sort_onesweep_config_selectorIdlEEZZNS1_29radix_sort_onesweep_iterationIS3_Lb0EPdS7_N6thrust23THRUST_200600_302600_NS10device_ptrIlEESB_jNS0_19identity_decomposerENS1_16block_id_wrapperIjLb0EEEEE10hipError_tT1_PNSt15iterator_traitsISG_E10value_typeET2_T3_PNSH_ISM_E10value_typeET4_T5_PSR_SS_PNS1_23onesweep_lookback_stateEbbT6_jjT7_P12ihipStream_tbENKUlT_T0_SG_SL_E_clIS7_S7_PlSB_EEDaSZ_S10_SG_SL_EUlSZ_E_NS1_11comp_targetILNS1_3genE5ELNS1_11target_archE942ELNS1_3gpuE9ELNS1_3repE0EEENS1_47radix_sort_onesweep_sort_config_static_selectorELNS0_4arch9wavefront6targetE1EEEvSG_.has_dyn_sized_stack, 0
	.set _ZN7rocprim17ROCPRIM_400000_NS6detail17trampoline_kernelINS0_14default_configENS1_35radix_sort_onesweep_config_selectorIdlEEZZNS1_29radix_sort_onesweep_iterationIS3_Lb0EPdS7_N6thrust23THRUST_200600_302600_NS10device_ptrIlEESB_jNS0_19identity_decomposerENS1_16block_id_wrapperIjLb0EEEEE10hipError_tT1_PNSt15iterator_traitsISG_E10value_typeET2_T3_PNSH_ISM_E10value_typeET4_T5_PSR_SS_PNS1_23onesweep_lookback_stateEbbT6_jjT7_P12ihipStream_tbENKUlT_T0_SG_SL_E_clIS7_S7_PlSB_EEDaSZ_S10_SG_SL_EUlSZ_E_NS1_11comp_targetILNS1_3genE5ELNS1_11target_archE942ELNS1_3gpuE9ELNS1_3repE0EEENS1_47radix_sort_onesweep_sort_config_static_selectorELNS0_4arch9wavefront6targetE1EEEvSG_.has_recursion, 0
	.set _ZN7rocprim17ROCPRIM_400000_NS6detail17trampoline_kernelINS0_14default_configENS1_35radix_sort_onesweep_config_selectorIdlEEZZNS1_29radix_sort_onesweep_iterationIS3_Lb0EPdS7_N6thrust23THRUST_200600_302600_NS10device_ptrIlEESB_jNS0_19identity_decomposerENS1_16block_id_wrapperIjLb0EEEEE10hipError_tT1_PNSt15iterator_traitsISG_E10value_typeET2_T3_PNSH_ISM_E10value_typeET4_T5_PSR_SS_PNS1_23onesweep_lookback_stateEbbT6_jjT7_P12ihipStream_tbENKUlT_T0_SG_SL_E_clIS7_S7_PlSB_EEDaSZ_S10_SG_SL_EUlSZ_E_NS1_11comp_targetILNS1_3genE5ELNS1_11target_archE942ELNS1_3gpuE9ELNS1_3repE0EEENS1_47radix_sort_onesweep_sort_config_static_selectorELNS0_4arch9wavefront6targetE1EEEvSG_.has_indirect_call, 0
	.section	.AMDGPU.csdata,"",@progbits
; Kernel info:
; codeLenInByte = 0
; TotalNumSgprs: 4
; NumVgprs: 0
; ScratchSize: 0
; MemoryBound: 0
; FloatMode: 240
; IeeeMode: 1
; LDSByteSize: 0 bytes/workgroup (compile time only)
; SGPRBlocks: 0
; VGPRBlocks: 0
; NumSGPRsForWavesPerEU: 4
; NumVGPRsForWavesPerEU: 1
; Occupancy: 10
; WaveLimiterHint : 0
; COMPUTE_PGM_RSRC2:SCRATCH_EN: 0
; COMPUTE_PGM_RSRC2:USER_SGPR: 6
; COMPUTE_PGM_RSRC2:TRAP_HANDLER: 0
; COMPUTE_PGM_RSRC2:TGID_X_EN: 1
; COMPUTE_PGM_RSRC2:TGID_Y_EN: 0
; COMPUTE_PGM_RSRC2:TGID_Z_EN: 0
; COMPUTE_PGM_RSRC2:TIDIG_COMP_CNT: 0
	.section	.text._ZN7rocprim17ROCPRIM_400000_NS6detail17trampoline_kernelINS0_14default_configENS1_35radix_sort_onesweep_config_selectorIdlEEZZNS1_29radix_sort_onesweep_iterationIS3_Lb0EPdS7_N6thrust23THRUST_200600_302600_NS10device_ptrIlEESB_jNS0_19identity_decomposerENS1_16block_id_wrapperIjLb0EEEEE10hipError_tT1_PNSt15iterator_traitsISG_E10value_typeET2_T3_PNSH_ISM_E10value_typeET4_T5_PSR_SS_PNS1_23onesweep_lookback_stateEbbT6_jjT7_P12ihipStream_tbENKUlT_T0_SG_SL_E_clIS7_S7_PlSB_EEDaSZ_S10_SG_SL_EUlSZ_E_NS1_11comp_targetILNS1_3genE2ELNS1_11target_archE906ELNS1_3gpuE6ELNS1_3repE0EEENS1_47radix_sort_onesweep_sort_config_static_selectorELNS0_4arch9wavefront6targetE1EEEvSG_,"axG",@progbits,_ZN7rocprim17ROCPRIM_400000_NS6detail17trampoline_kernelINS0_14default_configENS1_35radix_sort_onesweep_config_selectorIdlEEZZNS1_29radix_sort_onesweep_iterationIS3_Lb0EPdS7_N6thrust23THRUST_200600_302600_NS10device_ptrIlEESB_jNS0_19identity_decomposerENS1_16block_id_wrapperIjLb0EEEEE10hipError_tT1_PNSt15iterator_traitsISG_E10value_typeET2_T3_PNSH_ISM_E10value_typeET4_T5_PSR_SS_PNS1_23onesweep_lookback_stateEbbT6_jjT7_P12ihipStream_tbENKUlT_T0_SG_SL_E_clIS7_S7_PlSB_EEDaSZ_S10_SG_SL_EUlSZ_E_NS1_11comp_targetILNS1_3genE2ELNS1_11target_archE906ELNS1_3gpuE6ELNS1_3repE0EEENS1_47radix_sort_onesweep_sort_config_static_selectorELNS0_4arch9wavefront6targetE1EEEvSG_,comdat
	.protected	_ZN7rocprim17ROCPRIM_400000_NS6detail17trampoline_kernelINS0_14default_configENS1_35radix_sort_onesweep_config_selectorIdlEEZZNS1_29radix_sort_onesweep_iterationIS3_Lb0EPdS7_N6thrust23THRUST_200600_302600_NS10device_ptrIlEESB_jNS0_19identity_decomposerENS1_16block_id_wrapperIjLb0EEEEE10hipError_tT1_PNSt15iterator_traitsISG_E10value_typeET2_T3_PNSH_ISM_E10value_typeET4_T5_PSR_SS_PNS1_23onesweep_lookback_stateEbbT6_jjT7_P12ihipStream_tbENKUlT_T0_SG_SL_E_clIS7_S7_PlSB_EEDaSZ_S10_SG_SL_EUlSZ_E_NS1_11comp_targetILNS1_3genE2ELNS1_11target_archE906ELNS1_3gpuE6ELNS1_3repE0EEENS1_47radix_sort_onesweep_sort_config_static_selectorELNS0_4arch9wavefront6targetE1EEEvSG_ ; -- Begin function _ZN7rocprim17ROCPRIM_400000_NS6detail17trampoline_kernelINS0_14default_configENS1_35radix_sort_onesweep_config_selectorIdlEEZZNS1_29radix_sort_onesweep_iterationIS3_Lb0EPdS7_N6thrust23THRUST_200600_302600_NS10device_ptrIlEESB_jNS0_19identity_decomposerENS1_16block_id_wrapperIjLb0EEEEE10hipError_tT1_PNSt15iterator_traitsISG_E10value_typeET2_T3_PNSH_ISM_E10value_typeET4_T5_PSR_SS_PNS1_23onesweep_lookback_stateEbbT6_jjT7_P12ihipStream_tbENKUlT_T0_SG_SL_E_clIS7_S7_PlSB_EEDaSZ_S10_SG_SL_EUlSZ_E_NS1_11comp_targetILNS1_3genE2ELNS1_11target_archE906ELNS1_3gpuE6ELNS1_3repE0EEENS1_47radix_sort_onesweep_sort_config_static_selectorELNS0_4arch9wavefront6targetE1EEEvSG_
	.globl	_ZN7rocprim17ROCPRIM_400000_NS6detail17trampoline_kernelINS0_14default_configENS1_35radix_sort_onesweep_config_selectorIdlEEZZNS1_29radix_sort_onesweep_iterationIS3_Lb0EPdS7_N6thrust23THRUST_200600_302600_NS10device_ptrIlEESB_jNS0_19identity_decomposerENS1_16block_id_wrapperIjLb0EEEEE10hipError_tT1_PNSt15iterator_traitsISG_E10value_typeET2_T3_PNSH_ISM_E10value_typeET4_T5_PSR_SS_PNS1_23onesweep_lookback_stateEbbT6_jjT7_P12ihipStream_tbENKUlT_T0_SG_SL_E_clIS7_S7_PlSB_EEDaSZ_S10_SG_SL_EUlSZ_E_NS1_11comp_targetILNS1_3genE2ELNS1_11target_archE906ELNS1_3gpuE6ELNS1_3repE0EEENS1_47radix_sort_onesweep_sort_config_static_selectorELNS0_4arch9wavefront6targetE1EEEvSG_
	.p2align	8
	.type	_ZN7rocprim17ROCPRIM_400000_NS6detail17trampoline_kernelINS0_14default_configENS1_35radix_sort_onesweep_config_selectorIdlEEZZNS1_29radix_sort_onesweep_iterationIS3_Lb0EPdS7_N6thrust23THRUST_200600_302600_NS10device_ptrIlEESB_jNS0_19identity_decomposerENS1_16block_id_wrapperIjLb0EEEEE10hipError_tT1_PNSt15iterator_traitsISG_E10value_typeET2_T3_PNSH_ISM_E10value_typeET4_T5_PSR_SS_PNS1_23onesweep_lookback_stateEbbT6_jjT7_P12ihipStream_tbENKUlT_T0_SG_SL_E_clIS7_S7_PlSB_EEDaSZ_S10_SG_SL_EUlSZ_E_NS1_11comp_targetILNS1_3genE2ELNS1_11target_archE906ELNS1_3gpuE6ELNS1_3repE0EEENS1_47radix_sort_onesweep_sort_config_static_selectorELNS0_4arch9wavefront6targetE1EEEvSG_,@function
_ZN7rocprim17ROCPRIM_400000_NS6detail17trampoline_kernelINS0_14default_configENS1_35radix_sort_onesweep_config_selectorIdlEEZZNS1_29radix_sort_onesweep_iterationIS3_Lb0EPdS7_N6thrust23THRUST_200600_302600_NS10device_ptrIlEESB_jNS0_19identity_decomposerENS1_16block_id_wrapperIjLb0EEEEE10hipError_tT1_PNSt15iterator_traitsISG_E10value_typeET2_T3_PNSH_ISM_E10value_typeET4_T5_PSR_SS_PNS1_23onesweep_lookback_stateEbbT6_jjT7_P12ihipStream_tbENKUlT_T0_SG_SL_E_clIS7_S7_PlSB_EEDaSZ_S10_SG_SL_EUlSZ_E_NS1_11comp_targetILNS1_3genE2ELNS1_11target_archE906ELNS1_3gpuE6ELNS1_3repE0EEENS1_47radix_sort_onesweep_sort_config_static_selectorELNS0_4arch9wavefront6targetE1EEEvSG_: ; @_ZN7rocprim17ROCPRIM_400000_NS6detail17trampoline_kernelINS0_14default_configENS1_35radix_sort_onesweep_config_selectorIdlEEZZNS1_29radix_sort_onesweep_iterationIS3_Lb0EPdS7_N6thrust23THRUST_200600_302600_NS10device_ptrIlEESB_jNS0_19identity_decomposerENS1_16block_id_wrapperIjLb0EEEEE10hipError_tT1_PNSt15iterator_traitsISG_E10value_typeET2_T3_PNSH_ISM_E10value_typeET4_T5_PSR_SS_PNS1_23onesweep_lookback_stateEbbT6_jjT7_P12ihipStream_tbENKUlT_T0_SG_SL_E_clIS7_S7_PlSB_EEDaSZ_S10_SG_SL_EUlSZ_E_NS1_11comp_targetILNS1_3genE2ELNS1_11target_archE906ELNS1_3gpuE6ELNS1_3repE0EEENS1_47radix_sort_onesweep_sort_config_static_selectorELNS0_4arch9wavefront6targetE1EEEvSG_
; %bb.0:
	s_add_u32 s0, s0, s7
	s_load_dwordx4 s[40:43], s[4:5], 0x44
	s_load_dwordx8 s[24:31], s[4:5], 0x0
	s_load_dwordx4 s[36:39], s[4:5], 0x28
	s_load_dwordx2 s[34:35], s[4:5], 0x38
	s_addc_u32 s1, s1, 0
	s_mov_b64 s[8:9], -1
	s_waitcnt lgkmcnt(0)
	s_cmp_ge_u32 s6, s42
	s_mul_i32 s44, s6, 0xc00
	v_mbcnt_lo_u32_b32 v21, -1, 0
	s_cbranch_scc0 .LBB1664_72
; %bb.1:
	s_load_dword s7, s[4:5], 0x20
	s_mul_i32 s8, s42, 0xfffff400
	s_mov_b32 s45, 0
	v_mbcnt_hi_u32_b32 v19, -1, v21
	s_lshl_b64 s[42:43], s[44:45], 3
	s_waitcnt lgkmcnt(0)
	s_add_i32 s7, s7, s8
	s_add_u32 s8, s24, s42
	v_and_b32_e32 v3, 63, v19
	s_addc_u32 s9, s25, s43
	v_and_b32_e32 v20, 0x1c0, v0
	v_lshlrev_b32_e32 v22, 3, v3
	v_mul_u32_u24_e32 v4, 6, v20
	v_mov_b32_e32 v5, s9
	v_add_co_u32_e32 v6, vcc, s8, v22
	v_addc_co_u32_e32 v5, vcc, 0, v5, vcc
	v_lshlrev_b32_e32 v23, 3, v4
	v_add_co_u32_e32 v15, vcc, v6, v23
	v_addc_co_u32_e32 v16, vcc, 0, v5, vcc
	v_mov_b32_e32 v5, -1
	v_or_b32_e32 v17, v3, v4
	v_bfrev_b32_e32 v6, -2
	v_mov_b32_e32 v3, v5
	v_cmp_gt_u32_e32 vcc, s7, v17
	v_mov_b32_e32 v4, v6
	s_and_saveexec_b64 s[8:9], vcc
	s_cbranch_execz .LBB1664_3
; %bb.2:
	global_load_dwordx2 v[3:4], v[15:16], off
.LBB1664_3:
	s_or_b64 exec, exec, s[8:9]
	v_or_b32_e32 v7, 64, v17
	v_cmp_gt_u32_e64 s[20:21], s7, v7
	s_and_saveexec_b64 s[8:9], s[20:21]
	s_cbranch_execz .LBB1664_5
; %bb.4:
	global_load_dwordx2 v[5:6], v[15:16], off offset:512
.LBB1664_5:
	s_or_b64 exec, exec, s[8:9]
	v_add_u32_e32 v7, 0x80, v17
	v_mov_b32_e32 v9, -1
	v_cmp_gt_u32_e64 s[8:9], s7, v7
	v_bfrev_b32_e32 v10, -2
	v_mov_b32_e32 v7, v9
	v_mov_b32_e32 v8, v10
	s_and_saveexec_b64 s[10:11], s[8:9]
	s_cbranch_execz .LBB1664_7
; %bb.6:
	global_load_dwordx2 v[7:8], v[15:16], off offset:1024
.LBB1664_7:
	s_or_b64 exec, exec, s[10:11]
	v_add_u32_e32 v11, 0xc0, v17
	v_cmp_gt_u32_e64 s[10:11], s7, v11
	s_and_saveexec_b64 s[12:13], s[10:11]
	s_cbranch_execz .LBB1664_9
; %bb.8:
	global_load_dwordx2 v[9:10], v[15:16], off offset:1536
.LBB1664_9:
	s_or_b64 exec, exec, s[12:13]
	v_add_u32_e32 v11, 0x100, v17
	v_bfrev_b32_e32 v12, -2
	v_cmp_gt_u32_e64 s[12:13], s7, v11
	v_mov_b32_e32 v11, -1
	v_mov_b32_e32 v14, v12
	v_mov_b32_e32 v13, v11
	s_and_saveexec_b64 s[14:15], s[12:13]
	s_cbranch_execz .LBB1664_11
; %bb.10:
	global_load_dwordx2 v[13:14], v[15:16], off offset:2048
.LBB1664_11:
	s_or_b64 exec, exec, s[14:15]
	v_add_u32_e32 v17, 0x140, v17
	s_mov_b32 s18, -1
	v_cmp_gt_u32_e64 s[14:15], s7, v17
	s_brev_b32 s19, -2
	s_and_saveexec_b64 s[16:17], s[14:15]
	s_cbranch_execz .LBB1664_13
; %bb.12:
	global_load_dwordx2 v[11:12], v[15:16], off offset:2560
.LBB1664_13:
	s_or_b64 exec, exec, s[16:17]
	s_load_dword s16, s[4:5], 0x64
	s_load_dword s33, s[4:5], 0x58
	s_add_u32 s17, s4, 0x58
	s_addc_u32 s22, s5, 0
	v_mov_b32_e32 v15, 0
	s_waitcnt lgkmcnt(0)
	s_lshr_b32 s23, s16, 16
	s_cmp_lt_u32 s6, s33
	s_cselect_b32 s16, 12, 18
	s_add_u32 s16, s17, s16
	s_addc_u32 s17, s22, 0
	global_load_ushort v18, v15, s[16:17]
	s_waitcnt vmcnt(1)
	v_cmp_lt_i64_e64 s[16:17], -1, v[3:4]
	v_bfrev_b32_e32 v26, 1
	v_ashrrev_i32_e32 v16, 31, v4
	v_cndmask_b32_e64 v17, -1, v26, s[16:17]
	v_xor_b32_e32 v3, v16, v3
	v_xor_b32_e32 v4, v17, v4
	v_cmp_ne_u64_e64 s[16:17], s[18:19], v[3:4]
	v_mad_u32_u24 v24, v2, s23, v1
	v_cndmask_b32_e64 v17, v26, v4, s[16:17]
	v_cndmask_b32_e64 v16, 0, v3, s[16:17]
	v_lshrrev_b64 v[16:17], s40, v[16:17]
	s_lshl_b32 s16, -1, s41
	s_not_b32 s45, s16
	v_and_b32_e32 v17, s45, v16
	v_and_b32_e32 v28, 1, v17
	v_add_co_u32_e64 v29, s[16:17], -1, v28
	v_lshlrev_b32_e32 v16, 30, v17
	v_addc_co_u32_e64 v30, s[16:17], 0, -1, s[16:17]
	v_cmp_ne_u32_e64 s[16:17], 0, v28
	v_cmp_gt_i64_e64 s[18:19], 0, v[15:16]
	v_not_b32_e32 v28, v16
	v_lshlrev_b32_e32 v16, 29, v17
	v_xor_b32_e32 v30, s17, v30
	v_xor_b32_e32 v29, s16, v29
	v_ashrrev_i32_e32 v28, 31, v28
	v_cmp_gt_i64_e64 s[16:17], 0, v[15:16]
	v_not_b32_e32 v31, v16
	v_lshlrev_b32_e32 v16, 28, v17
	v_and_b32_e32 v30, exec_hi, v30
	v_and_b32_e32 v29, exec_lo, v29
	v_xor_b32_e32 v32, s19, v28
	v_xor_b32_e32 v28, s18, v28
	v_ashrrev_i32_e32 v31, 31, v31
	v_cmp_gt_i64_e64 s[18:19], 0, v[15:16]
	v_not_b32_e32 v33, v16
	v_lshlrev_b32_e32 v16, 27, v17
	v_and_b32_e32 v30, v30, v32
	v_and_b32_e32 v28, v29, v28
	v_xor_b32_e32 v29, s17, v31
	v_xor_b32_e32 v31, s16, v31
	v_ashrrev_i32_e32 v32, 31, v33
	v_cmp_gt_i64_e64 s[16:17], 0, v[15:16]
	v_not_b32_e32 v33, v16
	v_lshlrev_b32_e32 v16, 26, v17
	v_and_b32_e32 v29, v30, v29
	v_and_b32_e32 v28, v28, v31
	;; [unrolled: 8-line block ×3, first 2 shown]
	v_xor_b32_e32 v30, s17, v32
	v_xor_b32_e32 v31, s16, v32
	v_ashrrev_i32_e32 v32, 31, v33
	v_mul_lo_u32 v27, v17, 36
	v_cmp_gt_i64_e64 s[16:17], 0, v[15:16]
	v_not_b32_e32 v33, v16
	v_lshlrev_b32_e32 v16, 24, v17
	v_and_b32_e32 v17, v29, v30
	v_xor_b32_e32 v29, s19, v32
	v_xor_b32_e32 v30, s18, v32
	v_and_b32_e32 v29, v17, v29
	v_and_b32_e32 v28, v28, v31
	v_ashrrev_i32_e32 v31, 31, v33
	v_and_b32_e32 v28, v28, v30
	v_xor_b32_e32 v30, s17, v31
	v_mul_u32_u24_e32 v25, 20, v0
	ds_write2_b32 v25, v15, v15 offset0:8 offset1:9
	ds_write2_b32 v25, v15, v15 offset0:10 offset1:11
	ds_write_b32 v25, v15 offset:48
	s_waitcnt vmcnt(0) lgkmcnt(0)
	s_barrier
	; wave barrier
	v_mad_u64_u32 v[17:18], s[18:19], v24, v18, v[0:1]
	v_xor_b32_e32 v18, s16, v31
	v_cmp_gt_i64_e64 s[16:17], 0, v[15:16]
	v_not_b32_e32 v16, v16
	v_ashrrev_i32_e32 v16, 31, v16
	v_and_b32_e32 v24, v29, v30
	v_and_b32_e32 v29, v28, v18
	v_lshrrev_b32_e32 v18, 6, v17
	v_xor_b32_e32 v17, s17, v16
	v_xor_b32_e32 v16, s16, v16
	v_and_b32_e32 v16, v29, v16
	v_and_b32_e32 v17, v24, v17
	v_mbcnt_lo_u32_b32 v24, v16, 0
	v_mbcnt_hi_u32_b32 v24, v17, v24
	v_cmp_ne_u64_e64 s[16:17], 0, v[16:17]
	v_cmp_eq_u32_e64 s[18:19], 0, v24
	v_lshl_add_u32 v28, v18, 2, v27
	s_and_b64 s[18:19], s[16:17], s[18:19]
	s_and_saveexec_b64 s[16:17], s[18:19]
; %bb.14:
	v_bcnt_u32_b32 v16, v16, 0
	v_bcnt_u32_b32 v16, v17, v16
	ds_write_b32 v28, v16 offset:32
; %bb.15:
	s_or_b64 exec, exec, s[16:17]
	v_cmp_lt_i64_e64 s[16:17], -1, v[5:6]
	s_mov_b32 s22, -1
	v_cndmask_b32_e64 v16, -1, v26, s[16:17]
	v_ashrrev_i32_e32 v17, 31, v6
	s_brev_b32 s23, -2
	v_xor_b32_e32 v6, v16, v6
	v_xor_b32_e32 v5, v17, v5
	v_cmp_ne_u64_e64 s[16:17], s[22:23], v[5:6]
	v_cndmask_b32_e64 v17, v26, v6, s[16:17]
	v_cndmask_b32_e64 v16, 0, v5, s[16:17]
	v_lshrrev_b64 v[16:17], s40, v[16:17]
	; wave barrier
	v_and_b32_e32 v17, s45, v16
	v_mul_lo_u32 v16, v17, 36
	v_lshl_add_u32 v30, v18, 2, v16
	v_and_b32_e32 v16, 1, v17
	v_add_co_u32_e64 v27, s[16:17], -1, v16
	v_addc_co_u32_e64 v29, s[16:17], 0, -1, s[16:17]
	v_cmp_ne_u32_e64 s[16:17], 0, v16
	v_xor_b32_e32 v16, s17, v29
	v_and_b32_e32 v29, exec_hi, v16
	v_lshlrev_b32_e32 v16, 30, v17
	v_xor_b32_e32 v27, s16, v27
	v_cmp_gt_i64_e64 s[16:17], 0, v[15:16]
	v_not_b32_e32 v16, v16
	v_ashrrev_i32_e32 v16, 31, v16
	v_and_b32_e32 v27, exec_lo, v27
	v_xor_b32_e32 v31, s17, v16
	v_xor_b32_e32 v16, s16, v16
	v_and_b32_e32 v27, v27, v16
	v_lshlrev_b32_e32 v16, 29, v17
	v_cmp_gt_i64_e64 s[16:17], 0, v[15:16]
	v_not_b32_e32 v16, v16
	v_ashrrev_i32_e32 v16, 31, v16
	v_and_b32_e32 v29, v29, v31
	v_xor_b32_e32 v31, s17, v16
	v_xor_b32_e32 v16, s16, v16
	v_and_b32_e32 v27, v27, v16
	v_lshlrev_b32_e32 v16, 28, v17
	v_cmp_gt_i64_e64 s[16:17], 0, v[15:16]
	v_not_b32_e32 v16, v16
	v_ashrrev_i32_e32 v16, 31, v16
	v_and_b32_e32 v29, v29, v31
	;; [unrolled: 8-line block ×5, first 2 shown]
	v_xor_b32_e32 v31, s17, v16
	v_xor_b32_e32 v16, s16, v16
	v_and_b32_e32 v27, v27, v16
	v_lshlrev_b32_e32 v16, 24, v17
	v_cmp_gt_i64_e64 s[16:17], 0, v[15:16]
	v_not_b32_e32 v15, v16
	v_ashrrev_i32_e32 v15, 31, v15
	v_xor_b32_e32 v16, s17, v15
	v_xor_b32_e32 v15, s16, v15
	ds_read_b32 v26, v30 offset:32
	v_and_b32_e32 v29, v29, v31
	v_and_b32_e32 v15, v27, v15
	;; [unrolled: 1-line block ×3, first 2 shown]
	v_mbcnt_lo_u32_b32 v17, v15, 0
	v_mbcnt_hi_u32_b32 v27, v16, v17
	v_cmp_ne_u64_e64 s[16:17], 0, v[15:16]
	v_cmp_eq_u32_e64 s[18:19], 0, v27
	s_and_b64 s[18:19], s[16:17], s[18:19]
	; wave barrier
	s_and_saveexec_b64 s[16:17], s[18:19]
	s_cbranch_execz .LBB1664_17
; %bb.16:
	v_bcnt_u32_b32 v15, v15, 0
	v_bcnt_u32_b32 v15, v16, v15
	s_waitcnt lgkmcnt(0)
	v_add_u32_e32 v15, v26, v15
	ds_write_b32 v30, v15 offset:32
.LBB1664_17:
	s_or_b64 exec, exec, s[16:17]
	v_cmp_lt_i64_e64 s[16:17], -1, v[7:8]
	v_bfrev_b32_e32 v32, 1
	v_cndmask_b32_e64 v15, -1, v32, s[16:17]
	v_ashrrev_i32_e32 v16, 31, v8
	v_xor_b32_e32 v8, v15, v8
	v_xor_b32_e32 v7, v16, v7
	v_cmp_ne_u64_e64 s[16:17], s[22:23], v[7:8]
	v_cndmask_b32_e64 v16, v32, v8, s[16:17]
	v_cndmask_b32_e64 v15, 0, v7, s[16:17]
	v_lshrrev_b64 v[15:16], s40, v[15:16]
	; wave barrier
	v_and_b32_e32 v17, s45, v15
	v_and_b32_e32 v16, 1, v17
	v_mul_lo_u32 v15, v17, 36
	v_add_co_u32_e64 v31, s[16:17], -1, v16
	v_addc_co_u32_e64 v34, s[16:17], 0, -1, s[16:17]
	v_cmp_ne_u32_e64 s[16:17], 0, v16
	v_xor_b32_e32 v16, s17, v34
	v_lshl_add_u32 v33, v18, 2, v15
	v_mov_b32_e32 v15, 0
	v_and_b32_e32 v34, exec_hi, v16
	v_lshlrev_b32_e32 v16, 30, v17
	v_xor_b32_e32 v31, s16, v31
	v_cmp_gt_i64_e64 s[16:17], 0, v[15:16]
	v_not_b32_e32 v16, v16
	v_ashrrev_i32_e32 v16, 31, v16
	v_and_b32_e32 v31, exec_lo, v31
	v_xor_b32_e32 v35, s17, v16
	v_xor_b32_e32 v16, s16, v16
	v_and_b32_e32 v31, v31, v16
	v_lshlrev_b32_e32 v16, 29, v17
	v_cmp_gt_i64_e64 s[16:17], 0, v[15:16]
	v_not_b32_e32 v16, v16
	v_ashrrev_i32_e32 v16, 31, v16
	v_and_b32_e32 v34, v34, v35
	v_xor_b32_e32 v35, s17, v16
	v_xor_b32_e32 v16, s16, v16
	v_and_b32_e32 v31, v31, v16
	v_lshlrev_b32_e32 v16, 28, v17
	v_cmp_gt_i64_e64 s[16:17], 0, v[15:16]
	v_not_b32_e32 v16, v16
	v_ashrrev_i32_e32 v16, 31, v16
	v_and_b32_e32 v34, v34, v35
	;; [unrolled: 8-line block ×5, first 2 shown]
	v_xor_b32_e32 v35, s17, v16
	v_xor_b32_e32 v16, s16, v16
	v_and_b32_e32 v31, v31, v16
	v_lshlrev_b32_e32 v16, 24, v17
	v_cmp_gt_i64_e64 s[16:17], 0, v[15:16]
	v_not_b32_e32 v16, v16
	v_ashrrev_i32_e32 v16, 31, v16
	v_xor_b32_e32 v17, s17, v16
	v_xor_b32_e32 v16, s16, v16
	ds_read_b32 v29, v33 offset:32
	v_and_b32_e32 v34, v34, v35
	v_and_b32_e32 v16, v31, v16
	;; [unrolled: 1-line block ×3, first 2 shown]
	v_mbcnt_lo_u32_b32 v31, v16, 0
	v_mbcnt_hi_u32_b32 v31, v17, v31
	v_cmp_ne_u64_e64 s[16:17], 0, v[16:17]
	v_cmp_eq_u32_e64 s[18:19], 0, v31
	s_and_b64 s[18:19], s[16:17], s[18:19]
	; wave barrier
	s_and_saveexec_b64 s[16:17], s[18:19]
	s_cbranch_execz .LBB1664_19
; %bb.18:
	v_bcnt_u32_b32 v16, v16, 0
	v_bcnt_u32_b32 v16, v17, v16
	s_waitcnt lgkmcnt(0)
	v_add_u32_e32 v16, v29, v16
	ds_write_b32 v33, v16 offset:32
.LBB1664_19:
	s_or_b64 exec, exec, s[16:17]
	v_cmp_lt_i64_e64 s[16:17], -1, v[9:10]
	v_ashrrev_i32_e32 v17, 31, v10
	v_cndmask_b32_e64 v16, -1, v32, s[16:17]
	v_xor_b32_e32 v10, v16, v10
	v_xor_b32_e32 v9, v17, v9
	v_cmp_ne_u64_e64 s[16:17], s[22:23], v[9:10]
	v_cndmask_b32_e64 v17, v32, v10, s[16:17]
	v_cndmask_b32_e64 v16, 0, v9, s[16:17]
	v_lshrrev_b64 v[16:17], s40, v[16:17]
	; wave barrier
	v_and_b32_e32 v17, s45, v16
	v_mul_lo_u32 v16, v17, 36
	v_lshl_add_u32 v36, v18, 2, v16
	v_and_b32_e32 v16, 1, v17
	v_add_co_u32_e64 v34, s[16:17], -1, v16
	v_addc_co_u32_e64 v35, s[16:17], 0, -1, s[16:17]
	v_cmp_ne_u32_e64 s[16:17], 0, v16
	v_xor_b32_e32 v16, s17, v35
	v_and_b32_e32 v35, exec_hi, v16
	v_lshlrev_b32_e32 v16, 30, v17
	v_xor_b32_e32 v34, s16, v34
	v_cmp_gt_i64_e64 s[16:17], 0, v[15:16]
	v_not_b32_e32 v16, v16
	v_ashrrev_i32_e32 v16, 31, v16
	v_and_b32_e32 v34, exec_lo, v34
	v_xor_b32_e32 v37, s17, v16
	v_xor_b32_e32 v16, s16, v16
	v_and_b32_e32 v34, v34, v16
	v_lshlrev_b32_e32 v16, 29, v17
	v_cmp_gt_i64_e64 s[16:17], 0, v[15:16]
	v_not_b32_e32 v16, v16
	v_ashrrev_i32_e32 v16, 31, v16
	v_and_b32_e32 v35, v35, v37
	v_xor_b32_e32 v37, s17, v16
	v_xor_b32_e32 v16, s16, v16
	v_and_b32_e32 v34, v34, v16
	v_lshlrev_b32_e32 v16, 28, v17
	v_cmp_gt_i64_e64 s[16:17], 0, v[15:16]
	v_not_b32_e32 v16, v16
	v_ashrrev_i32_e32 v16, 31, v16
	v_and_b32_e32 v35, v35, v37
	;; [unrolled: 8-line block ×5, first 2 shown]
	v_xor_b32_e32 v37, s17, v16
	v_xor_b32_e32 v16, s16, v16
	v_and_b32_e32 v34, v34, v16
	v_lshlrev_b32_e32 v16, 24, v17
	v_cmp_gt_i64_e64 s[16:17], 0, v[15:16]
	v_not_b32_e32 v15, v16
	v_ashrrev_i32_e32 v15, 31, v15
	v_xor_b32_e32 v16, s17, v15
	v_xor_b32_e32 v15, s16, v15
	ds_read_b32 v32, v36 offset:32
	v_and_b32_e32 v35, v35, v37
	v_and_b32_e32 v15, v34, v15
	;; [unrolled: 1-line block ×3, first 2 shown]
	v_mbcnt_lo_u32_b32 v17, v15, 0
	v_mbcnt_hi_u32_b32 v34, v16, v17
	v_cmp_ne_u64_e64 s[16:17], 0, v[15:16]
	v_cmp_eq_u32_e64 s[18:19], 0, v34
	s_and_b64 s[18:19], s[16:17], s[18:19]
	; wave barrier
	s_and_saveexec_b64 s[16:17], s[18:19]
	s_cbranch_execz .LBB1664_21
; %bb.20:
	v_bcnt_u32_b32 v15, v15, 0
	v_bcnt_u32_b32 v15, v16, v15
	s_waitcnt lgkmcnt(0)
	v_add_u32_e32 v15, v32, v15
	ds_write_b32 v36, v15 offset:32
.LBB1664_21:
	s_or_b64 exec, exec, s[16:17]
	v_cmp_lt_i64_e64 s[16:17], -1, v[13:14]
	v_bfrev_b32_e32 v38, 1
	v_cndmask_b32_e64 v15, -1, v38, s[16:17]
	v_ashrrev_i32_e32 v16, 31, v14
	v_xor_b32_e32 v14, v15, v14
	v_xor_b32_e32 v13, v16, v13
	v_cmp_ne_u64_e64 s[16:17], s[22:23], v[13:14]
	v_cndmask_b32_e64 v16, v38, v14, s[16:17]
	v_cndmask_b32_e64 v15, 0, v13, s[16:17]
	v_lshrrev_b64 v[15:16], s40, v[15:16]
	; wave barrier
	v_and_b32_e32 v17, s45, v15
	v_and_b32_e32 v16, 1, v17
	v_mul_lo_u32 v15, v17, 36
	v_add_co_u32_e64 v37, s[16:17], -1, v16
	v_addc_co_u32_e64 v40, s[16:17], 0, -1, s[16:17]
	v_cmp_ne_u32_e64 s[16:17], 0, v16
	v_xor_b32_e32 v16, s17, v40
	v_lshl_add_u32 v39, v18, 2, v15
	v_mov_b32_e32 v15, 0
	v_and_b32_e32 v40, exec_hi, v16
	v_lshlrev_b32_e32 v16, 30, v17
	v_xor_b32_e32 v37, s16, v37
	v_cmp_gt_i64_e64 s[16:17], 0, v[15:16]
	v_not_b32_e32 v16, v16
	v_ashrrev_i32_e32 v16, 31, v16
	v_and_b32_e32 v37, exec_lo, v37
	v_xor_b32_e32 v41, s17, v16
	v_xor_b32_e32 v16, s16, v16
	v_and_b32_e32 v37, v37, v16
	v_lshlrev_b32_e32 v16, 29, v17
	v_cmp_gt_i64_e64 s[16:17], 0, v[15:16]
	v_not_b32_e32 v16, v16
	v_ashrrev_i32_e32 v16, 31, v16
	v_and_b32_e32 v40, v40, v41
	v_xor_b32_e32 v41, s17, v16
	v_xor_b32_e32 v16, s16, v16
	v_and_b32_e32 v37, v37, v16
	v_lshlrev_b32_e32 v16, 28, v17
	v_cmp_gt_i64_e64 s[16:17], 0, v[15:16]
	v_not_b32_e32 v16, v16
	v_ashrrev_i32_e32 v16, 31, v16
	v_and_b32_e32 v40, v40, v41
	;; [unrolled: 8-line block ×5, first 2 shown]
	v_xor_b32_e32 v41, s17, v16
	v_xor_b32_e32 v16, s16, v16
	v_and_b32_e32 v37, v37, v16
	v_lshlrev_b32_e32 v16, 24, v17
	v_cmp_gt_i64_e64 s[16:17], 0, v[15:16]
	v_not_b32_e32 v16, v16
	v_ashrrev_i32_e32 v16, 31, v16
	v_xor_b32_e32 v17, s17, v16
	v_xor_b32_e32 v16, s16, v16
	ds_read_b32 v35, v39 offset:32
	v_and_b32_e32 v40, v40, v41
	v_and_b32_e32 v16, v37, v16
	;; [unrolled: 1-line block ×3, first 2 shown]
	v_mbcnt_lo_u32_b32 v37, v16, 0
	v_mbcnt_hi_u32_b32 v37, v17, v37
	v_cmp_ne_u64_e64 s[16:17], 0, v[16:17]
	v_cmp_eq_u32_e64 s[18:19], 0, v37
	s_and_b64 s[18:19], s[16:17], s[18:19]
	; wave barrier
	s_and_saveexec_b64 s[16:17], s[18:19]
	s_cbranch_execz .LBB1664_23
; %bb.22:
	v_bcnt_u32_b32 v16, v16, 0
	v_bcnt_u32_b32 v16, v17, v16
	s_waitcnt lgkmcnt(0)
	v_add_u32_e32 v16, v35, v16
	ds_write_b32 v39, v16 offset:32
.LBB1664_23:
	s_or_b64 exec, exec, s[16:17]
	v_cmp_lt_i64_e64 s[16:17], -1, v[11:12]
	s_mov_b32 s18, -1
	v_cndmask_b32_e64 v16, -1, v38, s[16:17]
	v_ashrrev_i32_e32 v17, 31, v12
	s_brev_b32 s19, -2
	v_xor_b32_e32 v12, v16, v12
	v_xor_b32_e32 v11, v17, v11
	v_cmp_ne_u64_e64 s[16:17], s[18:19], v[11:12]
	v_cndmask_b32_e64 v17, v38, v12, s[16:17]
	v_cndmask_b32_e64 v16, 0, v11, s[16:17]
	v_lshrrev_b64 v[16:17], s40, v[16:17]
	; wave barrier
	v_and_b32_e32 v17, s45, v16
	v_mul_lo_u32 v16, v17, 36
	v_lshl_add_u32 v41, v18, 2, v16
	v_and_b32_e32 v16, 1, v17
	v_add_co_u32_e64 v18, s[16:17], -1, v16
	v_addc_co_u32_e64 v40, s[16:17], 0, -1, s[16:17]
	v_cmp_ne_u32_e64 s[16:17], 0, v16
	v_xor_b32_e32 v16, s17, v40
	v_and_b32_e32 v40, exec_hi, v16
	v_lshlrev_b32_e32 v16, 30, v17
	v_xor_b32_e32 v18, s16, v18
	v_cmp_gt_i64_e64 s[16:17], 0, v[15:16]
	v_not_b32_e32 v16, v16
	v_ashrrev_i32_e32 v16, 31, v16
	v_and_b32_e32 v18, exec_lo, v18
	v_xor_b32_e32 v42, s17, v16
	v_xor_b32_e32 v16, s16, v16
	v_and_b32_e32 v18, v18, v16
	v_lshlrev_b32_e32 v16, 29, v17
	v_cmp_gt_i64_e64 s[16:17], 0, v[15:16]
	v_not_b32_e32 v16, v16
	v_ashrrev_i32_e32 v16, 31, v16
	v_and_b32_e32 v40, v40, v42
	v_xor_b32_e32 v42, s17, v16
	v_xor_b32_e32 v16, s16, v16
	v_and_b32_e32 v18, v18, v16
	v_lshlrev_b32_e32 v16, 28, v17
	v_cmp_gt_i64_e64 s[16:17], 0, v[15:16]
	v_not_b32_e32 v16, v16
	v_ashrrev_i32_e32 v16, 31, v16
	v_and_b32_e32 v40, v40, v42
	;; [unrolled: 8-line block ×5, first 2 shown]
	v_xor_b32_e32 v42, s17, v16
	v_xor_b32_e32 v16, s16, v16
	v_and_b32_e32 v18, v18, v16
	v_lshlrev_b32_e32 v16, 24, v17
	v_cmp_gt_i64_e64 s[16:17], 0, v[15:16]
	v_not_b32_e32 v15, v16
	v_ashrrev_i32_e32 v15, 31, v15
	v_xor_b32_e32 v16, s17, v15
	v_xor_b32_e32 v15, s16, v15
	ds_read_b32 v38, v41 offset:32
	v_and_b32_e32 v40, v40, v42
	v_and_b32_e32 v15, v18, v15
	;; [unrolled: 1-line block ×3, first 2 shown]
	v_mbcnt_lo_u32_b32 v17, v15, 0
	v_mbcnt_hi_u32_b32 v40, v16, v17
	v_cmp_ne_u64_e64 s[16:17], 0, v[15:16]
	v_cmp_eq_u32_e64 s[18:19], 0, v40
	s_and_b64 s[18:19], s[16:17], s[18:19]
	; wave barrier
	s_and_saveexec_b64 s[16:17], s[18:19]
	s_cbranch_execz .LBB1664_25
; %bb.24:
	v_bcnt_u32_b32 v15, v15, 0
	v_bcnt_u32_b32 v15, v16, v15
	s_waitcnt lgkmcnt(0)
	v_add_u32_e32 v15, v38, v15
	ds_write_b32 v41, v15 offset:32
.LBB1664_25:
	s_or_b64 exec, exec, s[16:17]
	; wave barrier
	s_waitcnt lgkmcnt(0)
	s_barrier
	ds_read2_b32 v[17:18], v25 offset0:8 offset1:9
	ds_read2_b32 v[15:16], v25 offset0:10 offset1:11
	ds_read_b32 v42, v25 offset:48
	v_min_u32_e32 v20, 0x1c0, v20
	v_or_b32_e32 v20, 63, v20
	s_waitcnt lgkmcnt(1)
	v_add3_u32 v43, v18, v17, v15
	s_waitcnt lgkmcnt(0)
	v_add3_u32 v42, v43, v16, v42
	v_and_b32_e32 v43, 15, v19
	v_cmp_ne_u32_e64 s[16:17], 0, v43
	v_mov_b32_dpp v44, v42 row_shr:1 row_mask:0xf bank_mask:0xf
	v_cndmask_b32_e64 v44, 0, v44, s[16:17]
	v_add_u32_e32 v42, v44, v42
	v_cmp_lt_u32_e64 s[16:17], 1, v43
	s_nop 0
	v_mov_b32_dpp v44, v42 row_shr:2 row_mask:0xf bank_mask:0xf
	v_cndmask_b32_e64 v44, 0, v44, s[16:17]
	v_add_u32_e32 v42, v42, v44
	v_cmp_lt_u32_e64 s[16:17], 3, v43
	s_nop 0
	v_mov_b32_dpp v44, v42 row_shr:4 row_mask:0xf bank_mask:0xf
	v_cndmask_b32_e64 v44, 0, v44, s[16:17]
	v_add_u32_e32 v42, v42, v44
	v_cmp_lt_u32_e64 s[16:17], 7, v43
	s_nop 0
	v_mov_b32_dpp v44, v42 row_shr:8 row_mask:0xf bank_mask:0xf
	v_cndmask_b32_e64 v43, 0, v44, s[16:17]
	v_add_u32_e32 v42, v42, v43
	v_bfe_i32 v44, v19, 4, 1
	v_cmp_lt_u32_e64 s[16:17], 31, v19
	v_mov_b32_dpp v43, v42 row_bcast:15 row_mask:0xf bank_mask:0xf
	v_and_b32_e32 v43, v44, v43
	v_add_u32_e32 v42, v42, v43
	s_nop 1
	v_mov_b32_dpp v43, v42 row_bcast:31 row_mask:0xf bank_mask:0xf
	v_cndmask_b32_e64 v43, 0, v43, s[16:17]
	v_add_u32_e32 v42, v42, v43
	v_lshrrev_b32_e32 v43, 6, v0
	v_cmp_eq_u32_e64 s[16:17], v0, v20
	s_and_saveexec_b64 s[18:19], s[16:17]
; %bb.26:
	v_lshlrev_b32_e32 v20, 2, v43
	ds_write_b32 v20, v42
; %bb.27:
	s_or_b64 exec, exec, s[18:19]
	v_cmp_gt_u32_e64 s[16:17], 8, v0
	s_waitcnt lgkmcnt(0)
	s_barrier
	s_and_saveexec_b64 s[18:19], s[16:17]
	s_cbranch_execz .LBB1664_29
; %bb.28:
	v_lshlrev_b32_e32 v20, 2, v0
	ds_read_b32 v44, v20
	v_and_b32_e32 v45, 7, v19
	v_cmp_ne_u32_e64 s[16:17], 0, v45
	s_waitcnt lgkmcnt(0)
	v_mov_b32_dpp v46, v44 row_shr:1 row_mask:0xf bank_mask:0xf
	v_cndmask_b32_e64 v46, 0, v46, s[16:17]
	v_add_u32_e32 v44, v46, v44
	v_cmp_lt_u32_e64 s[16:17], 1, v45
	s_nop 0
	v_mov_b32_dpp v46, v44 row_shr:2 row_mask:0xf bank_mask:0xf
	v_cndmask_b32_e64 v46, 0, v46, s[16:17]
	v_add_u32_e32 v44, v44, v46
	v_cmp_lt_u32_e64 s[16:17], 3, v45
	s_nop 0
	v_mov_b32_dpp v46, v44 row_shr:4 row_mask:0xf bank_mask:0xf
	v_cndmask_b32_e64 v45, 0, v46, s[16:17]
	v_add_u32_e32 v44, v44, v45
	ds_write_b32 v20, v44
.LBB1664_29:
	s_or_b64 exec, exec, s[18:19]
	v_cmp_lt_u32_e64 s[16:17], 63, v0
	v_mov_b32_e32 v20, 0
	s_waitcnt lgkmcnt(0)
	s_barrier
	s_and_saveexec_b64 s[18:19], s[16:17]
; %bb.30:
	v_lshl_add_u32 v20, v43, 2, -4
	ds_read_b32 v20, v20
; %bb.31:
	s_or_b64 exec, exec, s[18:19]
	v_subrev_co_u32_e64 v43, s[16:17], 1, v19
	v_and_b32_e32 v44, 64, v19
	v_cmp_lt_i32_e64 s[18:19], v43, v44
	v_cndmask_b32_e64 v19, v43, v19, s[18:19]
	s_waitcnt lgkmcnt(0)
	v_add_u32_e32 v42, v20, v42
	v_lshlrev_b32_e32 v19, 2, v19
	ds_bpermute_b32 v19, v19, v42
	s_movk_i32 s22, 0x100
	v_cmp_gt_u32_e64 s[18:19], s22, v0
	s_waitcnt lgkmcnt(0)
	v_cndmask_b32_e64 v19, v19, v20, s[16:17]
	v_cmp_ne_u32_e64 s[16:17], 0, v0
	v_cndmask_b32_e64 v19, 0, v19, s[16:17]
	v_add_u32_e32 v17, v19, v17
	v_add_u32_e32 v18, v17, v18
	;; [unrolled: 1-line block ×4, first 2 shown]
	ds_write2_b32 v25, v19, v17 offset0:8 offset1:9
	ds_write2_b32 v25, v18, v15 offset0:10 offset1:11
	ds_write_b32 v25, v16 offset:48
	s_waitcnt lgkmcnt(0)
	s_barrier
	ds_read_b32 v43, v28 offset:32
	ds_read_b32 v42, v30 offset:32
	;; [unrolled: 1-line block ×6, first 2 shown]
	s_movk_i32 s16, 0xff
	v_cmp_lt_u32_e64 s[16:17], s16, v0
                                        ; implicit-def: $vgpr25
                                        ; implicit-def: $vgpr28
	s_and_saveexec_b64 s[46:47], s[18:19]
	s_cbranch_execz .LBB1664_35
; %bb.32:
	v_mul_u32_u24_e32 v15, 36, v0
	ds_read_b32 v25, v15 offset:32
	v_add_u32_e32 v16, 1, v0
	v_cmp_ne_u32_e64 s[22:23], s22, v16
	v_mov_b32_e32 v15, 0xc00
	s_and_saveexec_b64 s[48:49], s[22:23]
; %bb.33:
	v_mul_u32_u24_e32 v15, 36, v16
	ds_read_b32 v15, v15 offset:32
; %bb.34:
	s_or_b64 exec, exec, s[48:49]
	s_waitcnt lgkmcnt(0)
	v_sub_u32_e32 v28, v15, v25
.LBB1664_35:
	s_or_b64 exec, exec, s[46:47]
	v_mov_b32_e32 v16, 0
	v_lshlrev_b32_e32 v30, 2, v0
	s_waitcnt lgkmcnt(0)
	s_barrier
	s_and_saveexec_b64 s[22:23], s[18:19]
	s_cbranch_execz .LBB1664_45
; %bb.36:
	v_lshl_add_u32 v15, s6, 8, v0
	v_lshlrev_b64 v[17:18], 2, v[15:16]
	v_mov_b32_e32 v44, s35
	v_add_co_u32_e64 v17, s[18:19], s34, v17
	v_addc_co_u32_e64 v18, s[18:19], v44, v18, s[18:19]
	v_or_b32_e32 v15, 2.0, v28
	s_mov_b64 s[46:47], 0
	s_brev_b32 s52, -4
	s_mov_b32 s53, s6
	v_mov_b32_e32 v45, 0
	global_store_dword v[17:18], v15, off
                                        ; implicit-def: $sgpr18_sgpr19
	s_branch .LBB1664_39
.LBB1664_37:                            ;   in Loop: Header=BB1664_39 Depth=1
	s_or_b64 exec, exec, s[50:51]
.LBB1664_38:                            ;   in Loop: Header=BB1664_39 Depth=1
	s_or_b64 exec, exec, s[48:49]
	v_and_b32_e32 v19, 0x3fffffff, v15
	v_add_u32_e32 v45, v19, v45
	v_cmp_gt_i32_e64 s[18:19], -2.0, v15
	s_and_b64 s[48:49], exec, s[18:19]
	s_or_b64 s[46:47], s[48:49], s[46:47]
	s_andn2_b64 exec, exec, s[46:47]
	s_cbranch_execz .LBB1664_44
.LBB1664_39:                            ; =>This Loop Header: Depth=1
                                        ;     Child Loop BB1664_42 Depth 2
	s_or_b64 s[18:19], s[18:19], exec
	s_cmp_eq_u32 s53, 0
	s_cbranch_scc1 .LBB1664_43
; %bb.40:                               ;   in Loop: Header=BB1664_39 Depth=1
	s_add_i32 s53, s53, -1
	v_lshl_or_b32 v15, s53, 8, v0
	v_lshlrev_b64 v[19:20], 2, v[15:16]
	v_add_co_u32_e64 v19, s[18:19], s34, v19
	v_addc_co_u32_e64 v20, s[18:19], v44, v20, s[18:19]
	global_load_dword v15, v[19:20], off glc
	s_waitcnt vmcnt(0)
	v_cmp_gt_u32_e64 s[18:19], 2.0, v15
	s_and_saveexec_b64 s[48:49], s[18:19]
	s_cbranch_execz .LBB1664_38
; %bb.41:                               ;   in Loop: Header=BB1664_39 Depth=1
	s_mov_b64 s[50:51], 0
.LBB1664_42:                            ;   Parent Loop BB1664_39 Depth=1
                                        ; =>  This Inner Loop Header: Depth=2
	global_load_dword v15, v[19:20], off glc
	s_waitcnt vmcnt(0)
	v_cmp_lt_u32_e64 s[18:19], s52, v15
	s_or_b64 s[50:51], s[18:19], s[50:51]
	s_andn2_b64 exec, exec, s[50:51]
	s_cbranch_execnz .LBB1664_42
	s_branch .LBB1664_37
.LBB1664_43:                            ;   in Loop: Header=BB1664_39 Depth=1
                                        ; implicit-def: $sgpr53
	s_and_b64 s[48:49], exec, s[18:19]
	s_or_b64 s[46:47], s[48:49], s[46:47]
	s_andn2_b64 exec, exec, s[46:47]
	s_cbranch_execnz .LBB1664_39
.LBB1664_44:
	s_or_b64 exec, exec, s[46:47]
	v_add_u32_e32 v15, v45, v28
	v_or_b32_e32 v15, 0x80000000, v15
	global_store_dword v[17:18], v15, off
	global_load_dword v15, v30, s[36:37]
	v_sub_u32_e32 v16, v45, v25
	s_waitcnt vmcnt(0)
	v_add_u32_e32 v15, v16, v15
	ds_write_b32 v30, v15
.LBB1664_45:
	s_or_b64 exec, exec, s[22:23]
	s_mov_b32 s22, -1
	v_add_u32_e32 v17, v43, v24
	v_add3_u32 v18, v40, v41, v38
	v_add3_u32 v19, v37, v39, v35
	;; [unrolled: 1-line block ×5, first 2 shown]
	s_mov_b32 s48, 0
	s_mov_b32 s49, 0
	v_add_u32_e32 v27, v30, v30
	s_brev_b32 s23, -2
	v_mov_b32_e32 v16, 0
	s_movk_i32 s50, 0x200
	v_bfrev_b32_e32 v29, 1
	v_mov_b32_e32 v31, v0
	s_branch .LBB1664_47
.LBB1664_46:                            ;   in Loop: Header=BB1664_47 Depth=1
	s_or_b64 exec, exec, s[46:47]
	s_addk_i32 s49, 0xfc00
	s_add_i32 s48, s48, 8
	s_cmpk_eq_i32 s49, 0xf400
	v_add_u32_e32 v31, 0x400, v31
	s_waitcnt vmcnt(0)
	s_barrier
	s_cbranch_scc1 .LBB1664_51
.LBB1664_47:                            ; =>This Inner Loop Header: Depth=1
	v_add_u32_e32 v15, s49, v17
	v_min_u32_e32 v15, 0x400, v15
	v_lshlrev_b32_e32 v15, 3, v15
	ds_write_b64 v15, v[3:4] offset:1024
	v_add_u32_e32 v15, s49, v26
	v_min_u32_e32 v15, 0x400, v15
	v_lshlrev_b32_e32 v15, 3, v15
	ds_write_b64 v15, v[5:6] offset:1024
	v_add_u32_e32 v15, s49, v24
	v_min_u32_e32 v15, 0x400, v15
	v_lshlrev_b32_e32 v15, 3, v15
	ds_write_b64 v15, v[7:8] offset:1024
	v_add_u32_e32 v15, s49, v20
	v_min_u32_e32 v15, 0x400, v15
	v_lshlrev_b32_e32 v15, 3, v15
	ds_write_b64 v15, v[9:10] offset:1024
	v_add_u32_e32 v15, s49, v19
	v_min_u32_e32 v15, 0x400, v15
	v_lshlrev_b32_e32 v15, 3, v15
	ds_write_b64 v15, v[13:14] offset:1024
	v_add_u32_e32 v15, s49, v18
	v_min_u32_e32 v15, 0x400, v15
	v_lshlrev_b32_e32 v15, 3, v15
	v_cmp_gt_u32_e64 s[18:19], s7, v31
	ds_write_b64 v15, v[11:12] offset:1024
	s_waitcnt lgkmcnt(0)
	s_barrier
	s_and_saveexec_b64 s[46:47], s[18:19]
	s_cbranch_execz .LBB1664_49
; %bb.48:                               ;   in Loop: Header=BB1664_47 Depth=1
	ds_read_b64 v[32:33], v27 offset:1024
	v_mov_b32_e32 v36, s27
	s_waitcnt lgkmcnt(0)
	v_cmp_ne_u64_e64 s[18:19], s[22:23], v[32:33]
	v_cndmask_b32_e64 v35, v29, v33, s[18:19]
	v_cndmask_b32_e64 v34, 0, v32, s[18:19]
	v_lshrrev_b64 v[34:35], s40, v[34:35]
	v_cmp_lt_i64_e64 s[18:19], -1, v[32:33]
	v_and_b32_e32 v37, s45, v34
	v_lshlrev_b32_e32 v34, 2, v37
	ds_read_b32 v34, v34
	v_cndmask_b32_e64 v15, v29, -1, s[18:19]
	v_ashrrev_i32_e32 v35, 31, v33
	v_not_b32_e32 v35, v35
	v_xor_b32_e32 v33, v15, v33
	s_waitcnt lgkmcnt(0)
	v_add_u32_e32 v15, v31, v34
	v_xor_b32_e32 v32, v35, v32
	v_lshlrev_b64 v[34:35], 3, v[15:16]
	v_mov_b32_e32 v15, s48
	v_add_co_u32_e64 v34, s[18:19], s26, v34
	v_addc_co_u32_e64 v35, s[18:19], v36, v35, s[18:19]
	global_store_dwordx2 v[34:35], v[32:33], off
	buffer_store_dword v37, v15, s[0:3], 0 offen
.LBB1664_49:                            ;   in Loop: Header=BB1664_47 Depth=1
	s_or_b64 exec, exec, s[46:47]
	v_add_u32_e32 v15, 0x200, v31
	v_cmp_gt_u32_e64 s[18:19], s7, v15
	s_and_saveexec_b64 s[46:47], s[18:19]
	s_cbranch_execz .LBB1664_46
; %bb.50:                               ;   in Loop: Header=BB1664_47 Depth=1
	ds_read_b64 v[32:33], v27 offset:5120
	v_mov_b32_e32 v36, s27
	s_waitcnt lgkmcnt(0)
	v_cmp_ne_u64_e64 s[18:19], s[22:23], v[32:33]
	v_cndmask_b32_e64 v35, v29, v33, s[18:19]
	v_cndmask_b32_e64 v34, 0, v32, s[18:19]
	v_lshrrev_b64 v[34:35], s40, v[34:35]
	v_cmp_lt_i64_e64 s[18:19], -1, v[32:33]
	v_and_b32_e32 v37, s45, v34
	v_lshlrev_b32_e32 v34, 2, v37
	ds_read_b32 v34, v34
	v_cndmask_b32_e64 v15, v29, -1, s[18:19]
	v_ashrrev_i32_e32 v35, 31, v33
	v_not_b32_e32 v35, v35
	v_xor_b32_e32 v33, v15, v33
	s_waitcnt lgkmcnt(0)
	v_add3_u32 v15, v31, v34, s50
	v_xor_b32_e32 v32, v35, v32
	v_lshlrev_b64 v[34:35], 3, v[15:16]
	v_mov_b32_e32 v15, s48
	v_add_co_u32_e64 v34, s[18:19], s26, v34
	v_addc_co_u32_e64 v35, s[18:19], v36, v35, s[18:19]
	global_store_dwordx2 v[34:35], v[32:33], off
	buffer_store_dword v37, v15, s[0:3], 0 offen offset:4
	s_branch .LBB1664_46
.LBB1664_51:
	s_add_u32 s18, s28, s42
	s_addc_u32 s19, s29, s43
	v_mov_b32_e32 v3, s19
	v_add_co_u32_e64 v4, s[18:19], s18, v22
	v_addc_co_u32_e64 v3, s[18:19], 0, v3, s[18:19]
	v_add_co_u32_e64 v15, s[18:19], v4, v23
	v_addc_co_u32_e64 v16, s[18:19], 0, v3, s[18:19]
                                        ; implicit-def: $vgpr3_vgpr4
	s_and_saveexec_b64 s[18:19], vcc
	s_cbranch_execz .LBB1664_57
; %bb.52:
	global_load_dwordx2 v[3:4], v[15:16], off
	s_or_b64 exec, exec, s[18:19]
                                        ; implicit-def: $vgpr5_vgpr6
	s_and_saveexec_b64 s[18:19], s[20:21]
	s_cbranch_execnz .LBB1664_58
.LBB1664_53:
	s_or_b64 exec, exec, s[18:19]
                                        ; implicit-def: $vgpr7_vgpr8
	s_and_saveexec_b64 s[18:19], s[8:9]
	s_cbranch_execz .LBB1664_59
.LBB1664_54:
	global_load_dwordx2 v[7:8], v[15:16], off offset:1024
	s_or_b64 exec, exec, s[18:19]
                                        ; implicit-def: $vgpr9_vgpr10
	s_and_saveexec_b64 s[8:9], s[10:11]
	s_cbranch_execnz .LBB1664_60
.LBB1664_55:
	s_or_b64 exec, exec, s[8:9]
                                        ; implicit-def: $vgpr11_vgpr12
	s_and_saveexec_b64 s[8:9], s[12:13]
	s_cbranch_execz .LBB1664_61
.LBB1664_56:
	global_load_dwordx2 v[11:12], v[15:16], off offset:2048
	s_or_b64 exec, exec, s[8:9]
                                        ; implicit-def: $vgpr13_vgpr14
	s_and_saveexec_b64 s[8:9], s[14:15]
	s_cbranch_execnz .LBB1664_62
	s_branch .LBB1664_63
.LBB1664_57:
	s_or_b64 exec, exec, s[18:19]
                                        ; implicit-def: $vgpr5_vgpr6
	s_and_saveexec_b64 s[18:19], s[20:21]
	s_cbranch_execz .LBB1664_53
.LBB1664_58:
	global_load_dwordx2 v[5:6], v[15:16], off offset:512
	s_or_b64 exec, exec, s[18:19]
                                        ; implicit-def: $vgpr7_vgpr8
	s_and_saveexec_b64 s[18:19], s[8:9]
	s_cbranch_execnz .LBB1664_54
.LBB1664_59:
	s_or_b64 exec, exec, s[18:19]
                                        ; implicit-def: $vgpr9_vgpr10
	s_and_saveexec_b64 s[8:9], s[10:11]
	s_cbranch_execz .LBB1664_55
.LBB1664_60:
	global_load_dwordx2 v[9:10], v[15:16], off offset:1536
	s_or_b64 exec, exec, s[8:9]
                                        ; implicit-def: $vgpr11_vgpr12
	s_and_saveexec_b64 s[8:9], s[12:13]
	s_cbranch_execnz .LBB1664_56
.LBB1664_61:
	s_or_b64 exec, exec, s[8:9]
                                        ; implicit-def: $vgpr13_vgpr14
	s_and_saveexec_b64 s[8:9], s[14:15]
	s_cbranch_execz .LBB1664_63
.LBB1664_62:
	global_load_dwordx2 v[13:14], v[15:16], off offset:2560
.LBB1664_63:
	s_or_b64 exec, exec, s[8:9]
	s_mov_b32 s10, 0
	s_mov_b32 s11, 0
	v_mov_b32_e32 v16, 0
	s_movk_i32 s12, 0x200
	v_mov_b32_e32 v22, v0
	s_branch .LBB1664_65
.LBB1664_64:                            ;   in Loop: Header=BB1664_65 Depth=1
	s_or_b64 exec, exec, s[8:9]
	s_addk_i32 s11, 0xfc00
	s_add_i32 s10, s10, 8
	s_cmpk_eq_i32 s11, 0xf400
	v_add_u32_e32 v22, 0x400, v22
	s_waitcnt vmcnt(0)
	s_barrier
	s_cbranch_scc1 .LBB1664_69
.LBB1664_65:                            ; =>This Inner Loop Header: Depth=1
	v_add_u32_e32 v15, s11, v17
	v_min_u32_e32 v15, 0x400, v15
	v_lshlrev_b32_e32 v15, 3, v15
	s_waitcnt vmcnt(0)
	ds_write_b64 v15, v[3:4] offset:1024
	v_add_u32_e32 v15, s11, v26
	v_min_u32_e32 v15, 0x400, v15
	v_lshlrev_b32_e32 v15, 3, v15
	ds_write_b64 v15, v[5:6] offset:1024
	v_add_u32_e32 v15, s11, v24
	v_min_u32_e32 v15, 0x400, v15
	v_lshlrev_b32_e32 v15, 3, v15
	;; [unrolled: 4-line block ×5, first 2 shown]
	v_cmp_gt_u32_e32 vcc, s7, v22
	ds_write_b64 v15, v[13:14] offset:1024
	s_waitcnt lgkmcnt(0)
	s_barrier
	s_and_saveexec_b64 s[8:9], vcc
	s_cbranch_execz .LBB1664_67
; %bb.66:                               ;   in Loop: Header=BB1664_65 Depth=1
	v_mov_b32_e32 v15, s10
	buffer_load_dword v15, v15, s[0:3], 0 offen
	v_mov_b32_e32 v23, s31
	s_waitcnt vmcnt(0)
	v_lshlrev_b32_e32 v15, 2, v15
	ds_read_b32 v15, v15
	ds_read_b64 v[31:32], v27 offset:1024
	s_waitcnt lgkmcnt(1)
	v_add_u32_e32 v15, v22, v15
	v_lshlrev_b64 v[33:34], 3, v[15:16]
	v_add_co_u32_e32 v33, vcc, s30, v33
	v_addc_co_u32_e32 v34, vcc, v23, v34, vcc
	s_waitcnt lgkmcnt(0)
	global_store_dwordx2 v[33:34], v[31:32], off
.LBB1664_67:                            ;   in Loop: Header=BB1664_65 Depth=1
	s_or_b64 exec, exec, s[8:9]
	v_add_u32_e32 v15, 0x200, v22
	v_cmp_gt_u32_e32 vcc, s7, v15
	s_and_saveexec_b64 s[8:9], vcc
	s_cbranch_execz .LBB1664_64
; %bb.68:                               ;   in Loop: Header=BB1664_65 Depth=1
	v_mov_b32_e32 v15, s10
	buffer_load_dword v15, v15, s[0:3], 0 offen offset:4
	v_mov_b32_e32 v23, s31
	s_waitcnt vmcnt(0)
	v_lshlrev_b32_e32 v15, 2, v15
	ds_read_b32 v15, v15
	ds_read_b64 v[31:32], v27 offset:5120
	s_waitcnt lgkmcnt(1)
	v_add3_u32 v15, v22, v15, s12
	v_lshlrev_b64 v[33:34], 3, v[15:16]
	v_add_co_u32_e32 v33, vcc, s30, v33
	v_addc_co_u32_e32 v34, vcc, v23, v34, vcc
	s_waitcnt lgkmcnt(0)
	global_store_dwordx2 v[33:34], v[31:32], off
	s_branch .LBB1664_64
.LBB1664_69:
	s_add_i32 s33, s33, -1
	s_cmp_eq_u32 s6, s33
	s_cselect_b64 s[8:9], -1, 0
	s_xor_b64 s[10:11], s[16:17], -1
	s_and_b64 s[10:11], s[10:11], s[8:9]
	s_and_saveexec_b64 s[8:9], s[10:11]
	s_cbranch_execz .LBB1664_71
; %bb.70:
	ds_read_b32 v3, v30
	s_waitcnt lgkmcnt(0)
	v_add3_u32 v3, v25, v28, v3
	global_store_dword v30, v3, s[38:39]
.LBB1664_71:
	s_or_b64 exec, exec, s[8:9]
	s_mov_b64 s[8:9], 0
.LBB1664_72:
	s_and_b64 vcc, exec, s[8:9]
	s_cbranch_vccz .LBB1664_111
; %bb.73:
	s_mov_b32 s45, 0
	s_lshl_b64 s[12:13], s[44:45], 3
	v_mbcnt_hi_u32_b32 v17, -1, v21
	s_add_u32 s7, s24, s12
	v_and_b32_e32 v3, 63, v17
	s_addc_u32 s8, s25, s13
	v_and_b32_e32 v18, 0x1c0, v0
	v_lshlrev_b32_e32 v19, 3, v3
	v_mul_u32_u24_e32 v4, 6, v18
	v_mov_b32_e32 v3, s8
	v_add_co_u32_e32 v5, vcc, s7, v19
	v_addc_co_u32_e32 v6, vcc, 0, v3, vcc
	v_lshlrev_b32_e32 v20, 3, v4
	v_add_co_u32_e32 v3, vcc, v5, v20
	v_addc_co_u32_e32 v4, vcc, 0, v6, vcc
	global_load_dwordx2 v[23:24], v[3:4], off
	s_load_dword s7, s[4:5], 0x58
	s_load_dword s8, s[4:5], 0x64
	s_add_u32 s4, s4, 0x58
	s_addc_u32 s5, s5, 0
	v_mov_b32_e32 v13, 0
	global_load_dwordx2 v[15:16], v[3:4], off offset:512
	global_load_dwordx2 v[5:6], v[3:4], off offset:1024
	;; [unrolled: 1-line block ×3, first 2 shown]
	s_waitcnt lgkmcnt(0)
	s_lshr_b32 s14, s8, 16
	s_cmp_lt_u32 s6, s7
	s_cselect_b32 s8, 12, 18
	s_add_u32 s4, s4, s8
	s_addc_u32 s5, s5, 0
	global_load_ushort v21, v13, s[4:5]
	global_load_dwordx2 v[9:10], v[3:4], off offset:2048
	global_load_dwordx2 v[11:12], v[3:4], off offset:2560
	v_bfrev_b32_e32 v22, 1
	s_mov_b32 s10, -1
	s_brev_b32 s11, -2
	s_lshl_b32 s4, -1, s41
	s_not_b32 s18, s4
	v_mad_u32_u24 v1, v2, s14, v1
	s_waitcnt vmcnt(6)
	v_cmp_lt_i64_e32 vcc, -1, v[23:24]
	v_ashrrev_i32_e32 v14, 31, v24
	v_cndmask_b32_e32 v3, -1, v22, vcc
	v_xor_b32_e32 v4, v3, v24
	v_xor_b32_e32 v3, v14, v23
	v_cmp_ne_u64_e32 vcc, s[10:11], v[3:4]
	v_cndmask_b32_e32 v24, v22, v4, vcc
	v_cndmask_b32_e32 v23, 0, v3, vcc
	v_lshrrev_b64 v[23:24], s40, v[23:24]
	v_and_b32_e32 v25, s18, v23
	v_and_b32_e32 v23, 1, v25
	v_lshlrev_b32_e32 v14, 30, v25
	v_cmp_ne_u32_e32 vcc, 0, v23
	v_add_co_u32_e64 v23, s[8:9], -1, v23
	v_cmp_gt_i64_e64 s[4:5], 0, v[13:14]
	v_addc_co_u32_e64 v24, s[8:9], 0, -1, s[8:9]
	v_not_b32_e32 v26, v14
	v_lshlrev_b32_e32 v14, 29, v25
	v_xor_b32_e32 v24, vcc_hi, v24
	v_ashrrev_i32_e32 v26, 31, v26
	v_xor_b32_e32 v23, vcc_lo, v23
	v_cmp_gt_i64_e32 vcc, 0, v[13:14]
	v_not_b32_e32 v27, v14
	v_lshlrev_b32_e32 v14, 28, v25
	v_and_b32_e32 v24, exec_hi, v24
	v_xor_b32_e32 v28, s5, v26
	v_and_b32_e32 v23, exec_lo, v23
	v_xor_b32_e32 v26, s4, v26
	v_ashrrev_i32_e32 v27, 31, v27
	v_cmp_gt_i64_e64 s[4:5], 0, v[13:14]
	v_not_b32_e32 v29, v14
	v_lshlrev_b32_e32 v14, 27, v25
	v_and_b32_e32 v24, v24, v28
	v_and_b32_e32 v23, v23, v26
	v_xor_b32_e32 v26, vcc_hi, v27
	v_xor_b32_e32 v27, vcc_lo, v27
	v_ashrrev_i32_e32 v28, 31, v29
	v_cmp_gt_i64_e32 vcc, 0, v[13:14]
	v_not_b32_e32 v29, v14
	v_lshlrev_b32_e32 v14, 26, v25
	v_and_b32_e32 v24, v24, v26
	v_and_b32_e32 v23, v23, v27
	v_xor_b32_e32 v26, s5, v28
	v_xor_b32_e32 v27, s4, v28
	v_ashrrev_i32_e32 v28, 31, v29
	v_cmp_gt_i64_e64 s[4:5], 0, v[13:14]
	v_not_b32_e32 v29, v14
	v_lshlrev_b32_e32 v14, 25, v25
	v_and_b32_e32 v24, v24, v26
	v_and_b32_e32 v23, v23, v27
	v_xor_b32_e32 v26, vcc_hi, v28
	v_xor_b32_e32 v27, vcc_lo, v28
	v_ashrrev_i32_e32 v28, 31, v29
	v_cmp_gt_i64_e32 vcc, 0, v[13:14]
	v_not_b32_e32 v14, v14
	v_and_b32_e32 v24, v24, v26
	v_and_b32_e32 v23, v23, v27
	v_xor_b32_e32 v26, s5, v28
	v_xor_b32_e32 v27, s4, v28
	v_ashrrev_i32_e32 v14, 31, v14
	v_and_b32_e32 v24, v24, v26
	v_and_b32_e32 v23, v23, v27
	v_xor_b32_e32 v26, vcc_hi, v14
	v_xor_b32_e32 v14, vcc_lo, v14
	v_and_b32_e32 v27, v23, v14
	v_lshlrev_b32_e32 v14, 24, v25
	v_cmp_gt_i64_e32 vcc, 0, v[13:14]
	v_not_b32_e32 v14, v14
	v_and_b32_e32 v26, v24, v26
	v_ashrrev_i32_e32 v14, 31, v14
	s_waitcnt vmcnt(2)
	v_mad_u64_u32 v[23:24], s[4:5], v1, v21, v[0:1]
	v_xor_b32_e32 v28, vcc_hi, v14
	v_xor_b32_e32 v1, vcc_lo, v14
	v_mul_lo_u32 v14, v25, 36
	v_and_b32_e32 v1, v27, v1
	v_lshrrev_b32_e32 v31, 6, v23
	v_and_b32_e32 v2, v26, v28
	v_lshl_add_u32 v25, v31, 2, v14
	v_mbcnt_lo_u32_b32 v14, v1, 0
	v_mbcnt_hi_u32_b32 v21, v2, v14
	v_cmp_ne_u64_e32 vcc, 0, v[1:2]
	v_cmp_eq_u32_e64 s[4:5], 0, v21
	v_mul_u32_u24_e32 v24, 20, v0
	s_and_b64 s[8:9], vcc, s[4:5]
	ds_write2_b32 v24, v13, v13 offset0:8 offset1:9
	ds_write2_b32 v24, v13, v13 offset0:10 offset1:11
	ds_write_b32 v24, v13 offset:48
	s_waitcnt vmcnt(0) lgkmcnt(0)
	s_barrier
	; wave barrier
	s_and_saveexec_b64 s[4:5], s[8:9]
; %bb.74:
	v_bcnt_u32_b32 v1, v1, 0
	v_bcnt_u32_b32 v1, v2, v1
	ds_write_b32 v25, v1 offset:32
; %bb.75:
	s_or_b64 exec, exec, s[4:5]
	v_cmp_lt_i64_e32 vcc, -1, v[15:16]
	v_ashrrev_i32_e32 v14, 31, v16
	v_cndmask_b32_e32 v1, -1, v22, vcc
	v_xor_b32_e32 v2, v1, v16
	v_xor_b32_e32 v1, v14, v15
	v_cmp_ne_u64_e32 vcc, s[10:11], v[1:2]
	v_cndmask_b32_e32 v15, v22, v2, vcc
	v_cndmask_b32_e32 v14, 0, v1, vcc
	v_lshrrev_b64 v[14:15], s40, v[14:15]
	; wave barrier
	v_and_b32_e32 v15, s18, v14
	v_mul_lo_u32 v14, v15, 36
	v_lshl_add_u32 v27, v31, 2, v14
	v_and_b32_e32 v14, 1, v15
	v_add_co_u32_e32 v16, vcc, -1, v14
	v_addc_co_u32_e64 v23, s[4:5], 0, -1, vcc
	v_cmp_ne_u32_e32 vcc, 0, v14
	v_xor_b32_e32 v14, vcc_hi, v23
	v_and_b32_e32 v23, exec_hi, v14
	v_lshlrev_b32_e32 v14, 30, v15
	v_xor_b32_e32 v16, vcc_lo, v16
	v_cmp_gt_i64_e32 vcc, 0, v[13:14]
	v_not_b32_e32 v14, v14
	v_ashrrev_i32_e32 v14, 31, v14
	v_and_b32_e32 v16, exec_lo, v16
	v_xor_b32_e32 v26, vcc_hi, v14
	v_xor_b32_e32 v14, vcc_lo, v14
	v_and_b32_e32 v16, v16, v14
	v_lshlrev_b32_e32 v14, 29, v15
	v_cmp_gt_i64_e32 vcc, 0, v[13:14]
	v_not_b32_e32 v14, v14
	v_ashrrev_i32_e32 v14, 31, v14
	v_and_b32_e32 v23, v23, v26
	v_xor_b32_e32 v26, vcc_hi, v14
	v_xor_b32_e32 v14, vcc_lo, v14
	v_and_b32_e32 v16, v16, v14
	v_lshlrev_b32_e32 v14, 28, v15
	v_cmp_gt_i64_e32 vcc, 0, v[13:14]
	v_not_b32_e32 v14, v14
	v_ashrrev_i32_e32 v14, 31, v14
	v_and_b32_e32 v23, v23, v26
	;; [unrolled: 8-line block ×5, first 2 shown]
	v_xor_b32_e32 v26, vcc_hi, v14
	v_xor_b32_e32 v14, vcc_lo, v14
	v_and_b32_e32 v16, v16, v14
	v_lshlrev_b32_e32 v14, 24, v15
	v_cmp_gt_i64_e32 vcc, 0, v[13:14]
	v_not_b32_e32 v13, v14
	v_ashrrev_i32_e32 v13, 31, v13
	v_xor_b32_e32 v14, vcc_hi, v13
	v_xor_b32_e32 v13, vcc_lo, v13
	ds_read_b32 v22, v27 offset:32
	v_and_b32_e32 v23, v23, v26
	v_and_b32_e32 v13, v16, v13
	;; [unrolled: 1-line block ×3, first 2 shown]
	v_mbcnt_lo_u32_b32 v15, v13, 0
	v_mbcnt_hi_u32_b32 v23, v14, v15
	v_cmp_ne_u64_e32 vcc, 0, v[13:14]
	v_cmp_eq_u32_e64 s[4:5], 0, v23
	s_and_b64 s[8:9], vcc, s[4:5]
	; wave barrier
	s_and_saveexec_b64 s[4:5], s[8:9]
	s_cbranch_execz .LBB1664_77
; %bb.76:
	v_bcnt_u32_b32 v13, v13, 0
	v_bcnt_u32_b32 v13, v14, v13
	s_waitcnt lgkmcnt(0)
	v_add_u32_e32 v13, v22, v13
	ds_write_b32 v27, v13 offset:32
.LBB1664_77:
	s_or_b64 exec, exec, s[4:5]
	v_cmp_lt_i64_e32 vcc, -1, v[5:6]
	v_bfrev_b32_e32 v16, 1
	s_mov_b32 s8, -1
	v_cndmask_b32_e32 v13, -1, v16, vcc
	v_ashrrev_i32_e32 v14, 31, v6
	s_brev_b32 s9, -2
	v_xor_b32_e32 v6, v13, v6
	v_xor_b32_e32 v5, v14, v5
	v_cmp_ne_u64_e32 vcc, s[8:9], v[5:6]
	v_cndmask_b32_e32 v14, v16, v6, vcc
	v_cndmask_b32_e32 v13, 0, v5, vcc
	v_lshrrev_b64 v[13:14], s40, v[13:14]
	; wave barrier
	v_and_b32_e32 v15, s18, v13
	v_mul_lo_u32 v13, v15, 36
	v_and_b32_e32 v14, 1, v15
	v_add_co_u32_e32 v28, vcc, -1, v14
	v_addc_co_u32_e64 v29, s[4:5], 0, -1, vcc
	v_cmp_ne_u32_e32 vcc, 0, v14
	v_xor_b32_e32 v14, vcc_hi, v29
	v_lshl_add_u32 v30, v31, 2, v13
	v_mov_b32_e32 v13, 0
	v_and_b32_e32 v29, exec_hi, v14
	v_lshlrev_b32_e32 v14, 30, v15
	v_xor_b32_e32 v28, vcc_lo, v28
	v_cmp_gt_i64_e32 vcc, 0, v[13:14]
	v_not_b32_e32 v14, v14
	v_ashrrev_i32_e32 v14, 31, v14
	v_and_b32_e32 v28, exec_lo, v28
	v_xor_b32_e32 v32, vcc_hi, v14
	v_xor_b32_e32 v14, vcc_lo, v14
	v_and_b32_e32 v28, v28, v14
	v_lshlrev_b32_e32 v14, 29, v15
	v_cmp_gt_i64_e32 vcc, 0, v[13:14]
	v_not_b32_e32 v14, v14
	v_ashrrev_i32_e32 v14, 31, v14
	v_and_b32_e32 v29, v29, v32
	v_xor_b32_e32 v32, vcc_hi, v14
	v_xor_b32_e32 v14, vcc_lo, v14
	v_and_b32_e32 v28, v28, v14
	v_lshlrev_b32_e32 v14, 28, v15
	v_cmp_gt_i64_e32 vcc, 0, v[13:14]
	v_not_b32_e32 v14, v14
	v_ashrrev_i32_e32 v14, 31, v14
	v_and_b32_e32 v29, v29, v32
	;; [unrolled: 8-line block ×5, first 2 shown]
	v_xor_b32_e32 v32, vcc_hi, v14
	v_xor_b32_e32 v14, vcc_lo, v14
	v_and_b32_e32 v28, v28, v14
	v_lshlrev_b32_e32 v14, 24, v15
	v_cmp_gt_i64_e32 vcc, 0, v[13:14]
	v_not_b32_e32 v14, v14
	v_ashrrev_i32_e32 v14, 31, v14
	v_xor_b32_e32 v15, vcc_hi, v14
	v_xor_b32_e32 v14, vcc_lo, v14
	ds_read_b32 v26, v30 offset:32
	v_and_b32_e32 v29, v29, v32
	v_and_b32_e32 v14, v28, v14
	;; [unrolled: 1-line block ×3, first 2 shown]
	v_mbcnt_lo_u32_b32 v28, v14, 0
	v_mbcnt_hi_u32_b32 v28, v15, v28
	v_cmp_ne_u64_e32 vcc, 0, v[14:15]
	v_cmp_eq_u32_e64 s[4:5], 0, v28
	s_and_b64 s[10:11], vcc, s[4:5]
	; wave barrier
	s_and_saveexec_b64 s[4:5], s[10:11]
	s_cbranch_execz .LBB1664_79
; %bb.78:
	v_bcnt_u32_b32 v14, v14, 0
	v_bcnt_u32_b32 v14, v15, v14
	s_waitcnt lgkmcnt(0)
	v_add_u32_e32 v14, v26, v14
	ds_write_b32 v30, v14 offset:32
.LBB1664_79:
	s_or_b64 exec, exec, s[4:5]
	v_cmp_lt_i64_e32 vcc, -1, v[7:8]
	v_ashrrev_i32_e32 v15, 31, v8
	v_cndmask_b32_e32 v14, -1, v16, vcc
	v_xor_b32_e32 v8, v14, v8
	v_xor_b32_e32 v7, v15, v7
	v_cmp_ne_u64_e32 vcc, s[8:9], v[7:8]
	v_cndmask_b32_e32 v15, v16, v8, vcc
	v_cndmask_b32_e32 v14, 0, v7, vcc
	v_lshrrev_b64 v[14:15], s40, v[14:15]
	; wave barrier
	v_and_b32_e32 v15, s18, v14
	v_mul_lo_u32 v14, v15, 36
	v_lshl_add_u32 v34, v31, 2, v14
	v_and_b32_e32 v14, 1, v15
	v_add_co_u32_e32 v16, vcc, -1, v14
	v_addc_co_u32_e64 v32, s[4:5], 0, -1, vcc
	v_cmp_ne_u32_e32 vcc, 0, v14
	v_xor_b32_e32 v14, vcc_hi, v32
	v_and_b32_e32 v32, exec_hi, v14
	v_lshlrev_b32_e32 v14, 30, v15
	v_xor_b32_e32 v16, vcc_lo, v16
	v_cmp_gt_i64_e32 vcc, 0, v[13:14]
	v_not_b32_e32 v14, v14
	v_ashrrev_i32_e32 v14, 31, v14
	v_and_b32_e32 v16, exec_lo, v16
	v_xor_b32_e32 v33, vcc_hi, v14
	v_xor_b32_e32 v14, vcc_lo, v14
	v_and_b32_e32 v16, v16, v14
	v_lshlrev_b32_e32 v14, 29, v15
	v_cmp_gt_i64_e32 vcc, 0, v[13:14]
	v_not_b32_e32 v14, v14
	v_ashrrev_i32_e32 v14, 31, v14
	v_and_b32_e32 v32, v32, v33
	v_xor_b32_e32 v33, vcc_hi, v14
	v_xor_b32_e32 v14, vcc_lo, v14
	v_and_b32_e32 v16, v16, v14
	v_lshlrev_b32_e32 v14, 28, v15
	v_cmp_gt_i64_e32 vcc, 0, v[13:14]
	v_not_b32_e32 v14, v14
	v_ashrrev_i32_e32 v14, 31, v14
	v_and_b32_e32 v32, v32, v33
	;; [unrolled: 8-line block ×5, first 2 shown]
	v_xor_b32_e32 v33, vcc_hi, v14
	v_xor_b32_e32 v14, vcc_lo, v14
	v_and_b32_e32 v16, v16, v14
	v_lshlrev_b32_e32 v14, 24, v15
	v_cmp_gt_i64_e32 vcc, 0, v[13:14]
	v_not_b32_e32 v13, v14
	v_ashrrev_i32_e32 v13, 31, v13
	v_xor_b32_e32 v14, vcc_hi, v13
	v_xor_b32_e32 v13, vcc_lo, v13
	ds_read_b32 v29, v34 offset:32
	v_and_b32_e32 v32, v32, v33
	v_and_b32_e32 v13, v16, v13
	;; [unrolled: 1-line block ×3, first 2 shown]
	v_mbcnt_lo_u32_b32 v15, v13, 0
	v_mbcnt_hi_u32_b32 v32, v14, v15
	v_cmp_ne_u64_e32 vcc, 0, v[13:14]
	v_cmp_eq_u32_e64 s[4:5], 0, v32
	s_and_b64 s[8:9], vcc, s[4:5]
	; wave barrier
	s_and_saveexec_b64 s[4:5], s[8:9]
	s_cbranch_execz .LBB1664_81
; %bb.80:
	v_bcnt_u32_b32 v13, v13, 0
	v_bcnt_u32_b32 v13, v14, v13
	s_waitcnt lgkmcnt(0)
	v_add_u32_e32 v13, v29, v13
	ds_write_b32 v34, v13 offset:32
.LBB1664_81:
	s_or_b64 exec, exec, s[4:5]
	v_cmp_lt_i64_e32 vcc, -1, v[9:10]
	v_bfrev_b32_e32 v16, 1
	s_mov_b32 s8, -1
	v_cndmask_b32_e32 v13, -1, v16, vcc
	v_ashrrev_i32_e32 v14, 31, v10
	s_brev_b32 s9, -2
	v_xor_b32_e32 v10, v13, v10
	v_xor_b32_e32 v9, v14, v9
	v_cmp_ne_u64_e32 vcc, s[8:9], v[9:10]
	v_cndmask_b32_e32 v14, v16, v10, vcc
	v_cndmask_b32_e32 v13, 0, v9, vcc
	v_lshrrev_b64 v[13:14], s40, v[13:14]
	; wave barrier
	v_and_b32_e32 v15, s18, v13
	v_mul_lo_u32 v13, v15, 36
	v_and_b32_e32 v14, 1, v15
	v_add_co_u32_e32 v35, vcc, -1, v14
	v_addc_co_u32_e64 v36, s[4:5], 0, -1, vcc
	v_cmp_ne_u32_e32 vcc, 0, v14
	v_xor_b32_e32 v14, vcc_hi, v36
	v_lshl_add_u32 v37, v31, 2, v13
	v_mov_b32_e32 v13, 0
	v_and_b32_e32 v36, exec_hi, v14
	v_lshlrev_b32_e32 v14, 30, v15
	v_xor_b32_e32 v35, vcc_lo, v35
	v_cmp_gt_i64_e32 vcc, 0, v[13:14]
	v_not_b32_e32 v14, v14
	v_ashrrev_i32_e32 v14, 31, v14
	v_and_b32_e32 v35, exec_lo, v35
	v_xor_b32_e32 v38, vcc_hi, v14
	v_xor_b32_e32 v14, vcc_lo, v14
	v_and_b32_e32 v35, v35, v14
	v_lshlrev_b32_e32 v14, 29, v15
	v_cmp_gt_i64_e32 vcc, 0, v[13:14]
	v_not_b32_e32 v14, v14
	v_ashrrev_i32_e32 v14, 31, v14
	v_and_b32_e32 v36, v36, v38
	v_xor_b32_e32 v38, vcc_hi, v14
	v_xor_b32_e32 v14, vcc_lo, v14
	v_and_b32_e32 v35, v35, v14
	v_lshlrev_b32_e32 v14, 28, v15
	v_cmp_gt_i64_e32 vcc, 0, v[13:14]
	v_not_b32_e32 v14, v14
	v_ashrrev_i32_e32 v14, 31, v14
	v_and_b32_e32 v36, v36, v38
	;; [unrolled: 8-line block ×5, first 2 shown]
	v_xor_b32_e32 v38, vcc_hi, v14
	v_xor_b32_e32 v14, vcc_lo, v14
	v_and_b32_e32 v35, v35, v14
	v_lshlrev_b32_e32 v14, 24, v15
	v_cmp_gt_i64_e32 vcc, 0, v[13:14]
	v_not_b32_e32 v14, v14
	v_ashrrev_i32_e32 v14, 31, v14
	v_xor_b32_e32 v15, vcc_hi, v14
	v_xor_b32_e32 v14, vcc_lo, v14
	ds_read_b32 v33, v37 offset:32
	v_and_b32_e32 v36, v36, v38
	v_and_b32_e32 v14, v35, v14
	v_and_b32_e32 v15, v36, v15
	v_mbcnt_lo_u32_b32 v35, v14, 0
	v_mbcnt_hi_u32_b32 v35, v15, v35
	v_cmp_ne_u64_e32 vcc, 0, v[14:15]
	v_cmp_eq_u32_e64 s[4:5], 0, v35
	s_and_b64 s[10:11], vcc, s[4:5]
	; wave barrier
	s_and_saveexec_b64 s[4:5], s[10:11]
	s_cbranch_execz .LBB1664_83
; %bb.82:
	v_bcnt_u32_b32 v14, v14, 0
	v_bcnt_u32_b32 v14, v15, v14
	s_waitcnt lgkmcnt(0)
	v_add_u32_e32 v14, v33, v14
	ds_write_b32 v37, v14 offset:32
.LBB1664_83:
	s_or_b64 exec, exec, s[4:5]
	v_cmp_lt_i64_e32 vcc, -1, v[11:12]
	v_ashrrev_i32_e32 v14, 31, v12
	v_cndmask_b32_e32 v15, -1, v16, vcc
	v_xor_b32_e32 v12, v15, v12
	v_xor_b32_e32 v11, v14, v11
	v_cmp_ne_u64_e32 vcc, s[8:9], v[11:12]
	v_cndmask_b32_e32 v15, v16, v12, vcc
	v_cndmask_b32_e32 v14, 0, v11, vcc
	v_lshrrev_b64 v[14:15], s40, v[14:15]
	; wave barrier
	v_and_b32_e32 v15, s18, v14
	v_mul_lo_u32 v14, v15, 36
	v_and_b32_e32 v16, 1, v15
	v_lshl_add_u32 v39, v31, 2, v14
	v_add_co_u32_e32 v14, vcc, -1, v16
	v_addc_co_u32_e64 v31, s[4:5], 0, -1, vcc
	v_cmp_ne_u32_e32 vcc, 0, v16
	v_xor_b32_e32 v14, vcc_lo, v14
	v_xor_b32_e32 v16, vcc_hi, v31
	v_and_b32_e32 v31, exec_lo, v14
	v_lshlrev_b32_e32 v14, 30, v15
	v_cmp_gt_i64_e32 vcc, 0, v[13:14]
	v_not_b32_e32 v14, v14
	v_ashrrev_i32_e32 v14, 31, v14
	v_xor_b32_e32 v38, vcc_hi, v14
	v_xor_b32_e32 v14, vcc_lo, v14
	v_and_b32_e32 v31, v31, v14
	v_lshlrev_b32_e32 v14, 29, v15
	v_cmp_gt_i64_e32 vcc, 0, v[13:14]
	v_not_b32_e32 v14, v14
	v_and_b32_e32 v16, exec_hi, v16
	v_ashrrev_i32_e32 v14, 31, v14
	v_and_b32_e32 v16, v16, v38
	v_xor_b32_e32 v38, vcc_hi, v14
	v_xor_b32_e32 v14, vcc_lo, v14
	v_and_b32_e32 v31, v31, v14
	v_lshlrev_b32_e32 v14, 28, v15
	v_cmp_gt_i64_e32 vcc, 0, v[13:14]
	v_not_b32_e32 v14, v14
	v_ashrrev_i32_e32 v14, 31, v14
	v_and_b32_e32 v16, v16, v38
	v_xor_b32_e32 v38, vcc_hi, v14
	v_xor_b32_e32 v14, vcc_lo, v14
	v_and_b32_e32 v31, v31, v14
	v_lshlrev_b32_e32 v14, 27, v15
	v_cmp_gt_i64_e32 vcc, 0, v[13:14]
	v_not_b32_e32 v14, v14
	;; [unrolled: 8-line block ×5, first 2 shown]
	v_ashrrev_i32_e32 v13, 31, v13
	v_xor_b32_e32 v14, vcc_hi, v13
	v_xor_b32_e32 v13, vcc_lo, v13
	ds_read_b32 v36, v39 offset:32
	v_and_b32_e32 v16, v16, v38
	v_and_b32_e32 v13, v31, v13
	;; [unrolled: 1-line block ×3, first 2 shown]
	v_mbcnt_lo_u32_b32 v15, v13, 0
	v_mbcnt_hi_u32_b32 v38, v14, v15
	v_cmp_ne_u64_e32 vcc, 0, v[13:14]
	v_cmp_eq_u32_e64 s[4:5], 0, v38
	s_and_b64 s[8:9], vcc, s[4:5]
	; wave barrier
	s_and_saveexec_b64 s[4:5], s[8:9]
	s_cbranch_execz .LBB1664_85
; %bb.84:
	v_bcnt_u32_b32 v13, v13, 0
	v_bcnt_u32_b32 v13, v14, v13
	s_waitcnt lgkmcnt(0)
	v_add_u32_e32 v13, v36, v13
	ds_write_b32 v39, v13 offset:32
.LBB1664_85:
	s_or_b64 exec, exec, s[4:5]
	; wave barrier
	s_waitcnt lgkmcnt(0)
	s_barrier
	ds_read2_b32 v[15:16], v24 offset0:8 offset1:9
	ds_read2_b32 v[13:14], v24 offset0:10 offset1:11
	ds_read_b32 v31, v24 offset:48
	v_min_u32_e32 v18, 0x1c0, v18
	v_or_b32_e32 v18, 63, v18
	s_waitcnt lgkmcnt(1)
	v_add3_u32 v40, v16, v15, v13
	s_waitcnt lgkmcnt(0)
	v_add3_u32 v31, v40, v14, v31
	v_and_b32_e32 v40, 15, v17
	v_cmp_ne_u32_e32 vcc, 0, v40
	v_mov_b32_dpp v41, v31 row_shr:1 row_mask:0xf bank_mask:0xf
	v_cndmask_b32_e32 v41, 0, v41, vcc
	v_add_u32_e32 v31, v41, v31
	v_cmp_lt_u32_e32 vcc, 1, v40
	s_nop 0
	v_mov_b32_dpp v41, v31 row_shr:2 row_mask:0xf bank_mask:0xf
	v_cndmask_b32_e32 v41, 0, v41, vcc
	v_add_u32_e32 v31, v31, v41
	v_cmp_lt_u32_e32 vcc, 3, v40
	s_nop 0
	;; [unrolled: 5-line block ×3, first 2 shown]
	v_mov_b32_dpp v41, v31 row_shr:8 row_mask:0xf bank_mask:0xf
	v_cndmask_b32_e32 v40, 0, v41, vcc
	v_add_u32_e32 v31, v31, v40
	v_bfe_i32 v41, v17, 4, 1
	v_cmp_lt_u32_e32 vcc, 31, v17
	v_mov_b32_dpp v40, v31 row_bcast:15 row_mask:0xf bank_mask:0xf
	v_and_b32_e32 v40, v41, v40
	v_add_u32_e32 v31, v31, v40
	v_lshrrev_b32_e32 v41, 6, v0
	s_nop 0
	v_mov_b32_dpp v40, v31 row_bcast:31 row_mask:0xf bank_mask:0xf
	v_cndmask_b32_e32 v40, 0, v40, vcc
	v_add_u32_e32 v40, v31, v40
	v_cmp_eq_u32_e32 vcc, v0, v18
	s_and_saveexec_b64 s[4:5], vcc
; %bb.86:
	v_lshlrev_b32_e32 v18, 2, v41
	ds_write_b32 v18, v40
; %bb.87:
	s_or_b64 exec, exec, s[4:5]
	v_cmp_gt_u32_e32 vcc, 8, v0
	v_lshlrev_b32_e32 v31, 2, v0
	s_waitcnt lgkmcnt(0)
	s_barrier
	s_and_saveexec_b64 s[4:5], vcc
	s_cbranch_execz .LBB1664_89
; %bb.88:
	ds_read_b32 v18, v31
	v_and_b32_e32 v42, 7, v17
	v_cmp_ne_u32_e32 vcc, 0, v42
	s_waitcnt lgkmcnt(0)
	v_mov_b32_dpp v43, v18 row_shr:1 row_mask:0xf bank_mask:0xf
	v_cndmask_b32_e32 v43, 0, v43, vcc
	v_add_u32_e32 v18, v43, v18
	v_cmp_lt_u32_e32 vcc, 1, v42
	s_nop 0
	v_mov_b32_dpp v43, v18 row_shr:2 row_mask:0xf bank_mask:0xf
	v_cndmask_b32_e32 v43, 0, v43, vcc
	v_add_u32_e32 v18, v18, v43
	v_cmp_lt_u32_e32 vcc, 3, v42
	s_nop 0
	v_mov_b32_dpp v43, v18 row_shr:4 row_mask:0xf bank_mask:0xf
	v_cndmask_b32_e32 v42, 0, v43, vcc
	v_add_u32_e32 v18, v18, v42
	ds_write_b32 v31, v18
.LBB1664_89:
	s_or_b64 exec, exec, s[4:5]
	v_cmp_lt_u32_e32 vcc, 63, v0
	v_mov_b32_e32 v18, 0
	s_waitcnt lgkmcnt(0)
	s_barrier
	s_and_saveexec_b64 s[4:5], vcc
; %bb.90:
	v_lshl_add_u32 v18, v41, 2, -4
	ds_read_b32 v18, v18
; %bb.91:
	s_or_b64 exec, exec, s[4:5]
	v_subrev_co_u32_e32 v41, vcc, 1, v17
	v_and_b32_e32 v42, 64, v17
	v_cmp_lt_i32_e64 s[4:5], v41, v42
	v_cndmask_b32_e64 v17, v41, v17, s[4:5]
	s_waitcnt lgkmcnt(0)
	v_add_u32_e32 v40, v18, v40
	v_lshlrev_b32_e32 v17, 2, v17
	ds_bpermute_b32 v17, v17, v40
	s_movk_i32 s4, 0xff
	s_movk_i32 s8, 0x100
	s_waitcnt lgkmcnt(0)
	v_cndmask_b32_e32 v17, v17, v18, vcc
	v_cmp_ne_u32_e32 vcc, 0, v0
	v_cndmask_b32_e32 v17, 0, v17, vcc
	v_add_u32_e32 v15, v17, v15
	v_add_u32_e32 v16, v15, v16
	;; [unrolled: 1-line block ×4, first 2 shown]
	ds_write2_b32 v24, v17, v15 offset0:8 offset1:9
	ds_write2_b32 v24, v16, v13 offset0:10 offset1:11
	ds_write_b32 v24, v14 offset:48
	s_waitcnt lgkmcnt(0)
	s_barrier
	ds_read_b32 v40, v25 offset:32
	ds_read_b32 v27, v27 offset:32
	;; [unrolled: 1-line block ×6, first 2 shown]
	v_cmp_lt_u32_e32 vcc, s4, v0
	v_cmp_gt_u32_e64 s[4:5], s8, v0
                                        ; implicit-def: $vgpr24
                                        ; implicit-def: $vgpr25
	s_and_saveexec_b64 s[10:11], s[4:5]
	s_cbranch_execz .LBB1664_95
; %bb.92:
	v_mul_u32_u24_e32 v13, 36, v0
	ds_read_b32 v24, v13 offset:32
	v_add_u32_e32 v14, 1, v0
	v_cmp_ne_u32_e64 s[8:9], s8, v14
	v_mov_b32_e32 v13, 0xc00
	s_and_saveexec_b64 s[14:15], s[8:9]
; %bb.93:
	v_mul_u32_u24_e32 v13, 36, v14
	ds_read_b32 v13, v13 offset:32
; %bb.94:
	s_or_b64 exec, exec, s[14:15]
	s_waitcnt lgkmcnt(0)
	v_sub_u32_e32 v25, v13, v24
.LBB1664_95:
	s_or_b64 exec, exec, s[10:11]
	v_mov_b32_e32 v14, 0
	s_waitcnt lgkmcnt(0)
	s_barrier
	s_and_saveexec_b64 s[8:9], s[4:5]
	s_cbranch_execz .LBB1664_105
; %bb.96:
	v_lshl_add_u32 v13, s6, 8, v0
	v_lshlrev_b64 v[15:16], 2, v[13:14]
	v_mov_b32_e32 v41, s35
	v_add_co_u32_e64 v15, s[4:5], s34, v15
	v_addc_co_u32_e64 v16, s[4:5], v41, v16, s[4:5]
	v_or_b32_e32 v13, 2.0, v25
	s_mov_b64 s[10:11], 0
	s_brev_b32 s19, -4
	s_mov_b32 s20, s6
	v_mov_b32_e32 v42, 0
	global_store_dword v[15:16], v13, off
                                        ; implicit-def: $sgpr4_sgpr5
	s_branch .LBB1664_99
.LBB1664_97:                            ;   in Loop: Header=BB1664_99 Depth=1
	s_or_b64 exec, exec, s[16:17]
.LBB1664_98:                            ;   in Loop: Header=BB1664_99 Depth=1
	s_or_b64 exec, exec, s[14:15]
	v_and_b32_e32 v17, 0x3fffffff, v13
	v_add_u32_e32 v42, v17, v42
	v_cmp_gt_i32_e64 s[4:5], -2.0, v13
	s_and_b64 s[14:15], exec, s[4:5]
	s_or_b64 s[10:11], s[14:15], s[10:11]
	s_andn2_b64 exec, exec, s[10:11]
	s_cbranch_execz .LBB1664_104
.LBB1664_99:                            ; =>This Loop Header: Depth=1
                                        ;     Child Loop BB1664_102 Depth 2
	s_or_b64 s[4:5], s[4:5], exec
	s_cmp_eq_u32 s20, 0
	s_cbranch_scc1 .LBB1664_103
; %bb.100:                              ;   in Loop: Header=BB1664_99 Depth=1
	s_add_i32 s20, s20, -1
	v_lshl_or_b32 v13, s20, 8, v0
	v_lshlrev_b64 v[17:18], 2, v[13:14]
	v_add_co_u32_e64 v17, s[4:5], s34, v17
	v_addc_co_u32_e64 v18, s[4:5], v41, v18, s[4:5]
	global_load_dword v13, v[17:18], off glc
	s_waitcnt vmcnt(0)
	v_cmp_gt_u32_e64 s[4:5], 2.0, v13
	s_and_saveexec_b64 s[14:15], s[4:5]
	s_cbranch_execz .LBB1664_98
; %bb.101:                              ;   in Loop: Header=BB1664_99 Depth=1
	s_mov_b64 s[16:17], 0
.LBB1664_102:                           ;   Parent Loop BB1664_99 Depth=1
                                        ; =>  This Inner Loop Header: Depth=2
	global_load_dword v13, v[17:18], off glc
	s_waitcnt vmcnt(0)
	v_cmp_lt_u32_e64 s[4:5], s19, v13
	s_or_b64 s[16:17], s[4:5], s[16:17]
	s_andn2_b64 exec, exec, s[16:17]
	s_cbranch_execnz .LBB1664_102
	s_branch .LBB1664_97
.LBB1664_103:                           ;   in Loop: Header=BB1664_99 Depth=1
                                        ; implicit-def: $sgpr20
	s_and_b64 s[14:15], exec, s[4:5]
	s_or_b64 s[10:11], s[14:15], s[10:11]
	s_andn2_b64 exec, exec, s[10:11]
	s_cbranch_execnz .LBB1664_99
.LBB1664_104:
	s_or_b64 exec, exec, s[10:11]
	v_add_u32_e32 v13, v42, v25
	v_or_b32_e32 v13, 0x80000000, v13
	global_store_dword v[15:16], v13, off
	global_load_dword v13, v31, s[36:37]
	v_sub_u32_e32 v14, v42, v24
	s_waitcnt vmcnt(0)
	v_add_u32_e32 v13, v14, v13
	ds_write_b32 v31, v13
.LBB1664_105:
	s_or_b64 exec, exec, s[8:9]
	s_mov_b32 s14, -1
	v_add_u32_e32 v15, v40, v21
	v_add3_u32 v16, v38, v39, v36
	v_add3_u32 v17, v35, v37, v33
	;; [unrolled: 1-line block ×5, first 2 shown]
	s_mov_b32 s16, 0
	s_mov_b32 s17, 0
	v_add_u32_e32 v23, v31, v31
	s_brev_b32 s15, -2
	v_bfrev_b32_e32 v26, 1
	v_mov_b32_e32 v14, 0
	v_mov_b32_e32 v27, s27
	s_movk_i32 s19, 0x200
	v_mov_b32_e32 v28, v0
.LBB1664_106:                           ; =>This Inner Loop Header: Depth=1
	v_add_u32_e32 v13, s17, v15
	v_add_u32_e32 v32, s17, v18
	;; [unrolled: 1-line block ×6, first 2 shown]
	v_min_u32_e32 v13, 0x400, v13
	v_min_u32_e32 v32, 0x400, v32
	;; [unrolled: 1-line block ×6, first 2 shown]
	v_lshlrev_b32_e32 v13, 3, v13
	v_lshlrev_b32_e32 v32, 3, v32
	;; [unrolled: 1-line block ×6, first 2 shown]
	ds_write_b64 v13, v[3:4] offset:1024
	ds_write_b64 v29, v[1:2] offset:1024
	;; [unrolled: 1-line block ×6, first 2 shown]
	s_waitcnt lgkmcnt(0)
	s_barrier
	ds_read2st64_b64 v[32:35], v23 offset0:2 offset1:10
	v_mov_b32_e32 v39, s16
	s_addk_i32 s17, 0xfc00
	s_add_i32 s16, s16, 8
	s_cmpk_lg_i32 s17, 0xf400
	s_waitcnt lgkmcnt(0)
	v_cmp_lt_i64_e64 s[8:9], -1, v[32:33]
	v_cmp_lt_i64_e64 s[10:11], -1, v[34:35]
	v_cmp_ne_u64_e64 s[4:5], s[14:15], v[32:33]
	v_cndmask_b32_e64 v13, v26, -1, s[8:9]
	v_cmp_ne_u64_e64 s[8:9], s[14:15], v[34:35]
	v_ashrrev_i32_e32 v29, 31, v33
	v_cndmask_b32_e64 v37, v26, -1, s[10:11]
	v_ashrrev_i32_e32 v38, 31, v35
	v_cndmask_b32_e64 v30, v26, v33, s[4:5]
	v_cndmask_b32_e64 v36, v26, v35, s[8:9]
	v_not_b32_e32 v40, v29
	v_xor_b32_e32 v33, v13, v33
	v_not_b32_e32 v13, v38
	v_xor_b32_e32 v38, v37, v35
	v_cndmask_b32_e64 v29, 0, v32, s[4:5]
	v_cndmask_b32_e64 v35, 0, v34, s[8:9]
	v_xor_b32_e32 v37, v13, v34
	v_lshrrev_b64 v[29:30], s40, v[29:30]
	v_lshrrev_b64 v[34:35], s40, v[35:36]
	v_and_b32_e32 v13, s18, v29
	v_and_b32_e32 v29, s18, v34
	v_lshlrev_b32_e32 v30, 2, v13
	buffer_store_dword v13, v39, s[0:3], 0 offen
	buffer_store_dword v29, v39, s[0:3], 0 offen offset:4
	v_lshlrev_b32_e32 v13, 2, v29
	ds_read_b32 v29, v30
	ds_read_b32 v34, v13
	v_xor_b32_e32 v32, v40, v32
	s_waitcnt lgkmcnt(1)
	v_add_u32_e32 v13, v28, v29
	v_lshlrev_b64 v[29:30], 3, v[13:14]
	s_waitcnt lgkmcnt(0)
	v_add3_u32 v13, v28, v34, s19
	v_lshlrev_b64 v[34:35], 3, v[13:14]
	v_add_co_u32_e64 v29, s[4:5], s26, v29
	v_addc_co_u32_e64 v30, s[4:5], v27, v30, s[4:5]
	global_store_dwordx2 v[29:30], v[32:33], off
	v_add_co_u32_e64 v29, s[4:5], s26, v34
	v_add_u32_e32 v28, 0x400, v28
	v_addc_co_u32_e64 v30, s[4:5], v27, v35, s[4:5]
	global_store_dwordx2 v[29:30], v[37:38], off
	s_waitcnt vmcnt(0)
	s_barrier
	s_cbranch_scc1 .LBB1664_106
; %bb.107:
	s_add_u32 s4, s28, s12
	s_addc_u32 s5, s29, s13
	v_mov_b32_e32 v1, s5
	v_add_co_u32_e64 v2, s[4:5], s4, v19
	v_addc_co_u32_e64 v1, s[4:5], 0, v1, s[4:5]
	v_add_co_u32_e64 v13, s[4:5], v2, v20
	v_addc_co_u32_e64 v14, s[4:5], 0, v1, s[4:5]
	global_load_dwordx2 v[1:2], v[13:14], off
	global_load_dwordx2 v[3:4], v[13:14], off offset:512
	global_load_dwordx2 v[5:6], v[13:14], off offset:1024
	;; [unrolled: 1-line block ×5, first 2 shown]
	v_mov_b32_e32 v14, 0
	s_mov_b32 s8, 0
	s_mov_b32 s9, 0
	v_mov_b32_e32 v19, s31
	s_movk_i32 s10, 0x200
.LBB1664_108:                           ; =>This Inner Loop Header: Depth=1
	v_add_u32_e32 v13, s9, v15
	v_add_u32_e32 v20, s9, v22
	;; [unrolled: 1-line block ×6, first 2 shown]
	v_min_u32_e32 v13, 0x400, v13
	v_min_u32_e32 v20, 0x400, v20
	v_mov_b32_e32 v30, s8
	v_min_u32_e32 v26, 0x400, v26
	v_min_u32_e32 v27, 0x400, v27
	;; [unrolled: 1-line block ×4, first 2 shown]
	v_lshlrev_b32_e32 v13, 3, v13
	v_lshlrev_b32_e32 v20, 3, v20
	;; [unrolled: 1-line block ×6, first 2 shown]
	s_waitcnt vmcnt(5)
	ds_write_b64 v13, v[1:2] offset:1024
	s_waitcnt vmcnt(4)
	ds_write_b64 v20, v[3:4] offset:1024
	s_waitcnt vmcnt(3)
	ds_write_b64 v26, v[5:6] offset:1024
	s_waitcnt vmcnt(2)
	ds_write_b64 v27, v[7:8] offset:1024
	s_waitcnt vmcnt(1)
	ds_write_b64 v28, v[9:10] offset:1024
	s_waitcnt vmcnt(0)
	ds_write_b64 v29, v[11:12] offset:1024
	s_waitcnt lgkmcnt(0)
	s_barrier
	buffer_load_dword v13, v30, s[0:3], 0 offen
	buffer_load_dword v20, v30, s[0:3], 0 offen offset:4
	ds_read2st64_b64 v[26:29], v23 offset0:2 offset1:10
	s_addk_i32 s9, 0xfc00
	s_add_i32 s8, s8, 8
	s_cmpk_lg_i32 s9, 0xf400
	s_waitcnt vmcnt(1)
	v_lshlrev_b32_e32 v13, 2, v13
	s_waitcnt vmcnt(0)
	v_lshlrev_b32_e32 v20, 2, v20
	ds_read_b32 v13, v13
	ds_read_b32 v20, v20
	s_waitcnt lgkmcnt(1)
	v_add_u32_e32 v13, v0, v13
	v_lshlrev_b64 v[32:33], 3, v[13:14]
	s_waitcnt lgkmcnt(0)
	v_add3_u32 v13, v0, v20, s10
	v_lshlrev_b64 v[34:35], 3, v[13:14]
	v_add_co_u32_e64 v32, s[4:5], s30, v32
	v_addc_co_u32_e64 v33, s[4:5], v19, v33, s[4:5]
	global_store_dwordx2 v[32:33], v[26:27], off
	v_add_co_u32_e64 v26, s[4:5], s30, v34
	v_add_u32_e32 v0, 0x400, v0
	v_addc_co_u32_e64 v27, s[4:5], v19, v35, s[4:5]
	global_store_dwordx2 v[26:27], v[28:29], off
	s_waitcnt vmcnt(0)
	s_barrier
	s_cbranch_scc1 .LBB1664_108
; %bb.109:
	s_add_i32 s7, s7, -1
	s_cmp_eq_u32 s6, s7
	s_cselect_b64 s[4:5], -1, 0
	s_xor_b64 s[6:7], vcc, -1
	s_and_b64 s[4:5], s[6:7], s[4:5]
	s_and_saveexec_b64 s[6:7], s[4:5]
	s_cbranch_execz .LBB1664_111
; %bb.110:
	ds_read_b32 v0, v31
	s_waitcnt lgkmcnt(0)
	v_add3_u32 v0, v24, v25, v0
	global_store_dword v31, v0, s[38:39]
.LBB1664_111:
	s_endpgm
	.section	.rodata,"a",@progbits
	.p2align	6, 0x0
	.amdhsa_kernel _ZN7rocprim17ROCPRIM_400000_NS6detail17trampoline_kernelINS0_14default_configENS1_35radix_sort_onesweep_config_selectorIdlEEZZNS1_29radix_sort_onesweep_iterationIS3_Lb0EPdS7_N6thrust23THRUST_200600_302600_NS10device_ptrIlEESB_jNS0_19identity_decomposerENS1_16block_id_wrapperIjLb0EEEEE10hipError_tT1_PNSt15iterator_traitsISG_E10value_typeET2_T3_PNSH_ISM_E10value_typeET4_T5_PSR_SS_PNS1_23onesweep_lookback_stateEbbT6_jjT7_P12ihipStream_tbENKUlT_T0_SG_SL_E_clIS7_S7_PlSB_EEDaSZ_S10_SG_SL_EUlSZ_E_NS1_11comp_targetILNS1_3genE2ELNS1_11target_archE906ELNS1_3gpuE6ELNS1_3repE0EEENS1_47radix_sort_onesweep_sort_config_static_selectorELNS0_4arch9wavefront6targetE1EEEvSG_
		.amdhsa_group_segment_fixed_size 10280
		.amdhsa_private_segment_fixed_size 32
		.amdhsa_kernarg_size 344
		.amdhsa_user_sgpr_count 6
		.amdhsa_user_sgpr_private_segment_buffer 1
		.amdhsa_user_sgpr_dispatch_ptr 0
		.amdhsa_user_sgpr_queue_ptr 0
		.amdhsa_user_sgpr_kernarg_segment_ptr 1
		.amdhsa_user_sgpr_dispatch_id 0
		.amdhsa_user_sgpr_flat_scratch_init 0
		.amdhsa_user_sgpr_private_segment_size 0
		.amdhsa_uses_dynamic_stack 0
		.amdhsa_system_sgpr_private_segment_wavefront_offset 1
		.amdhsa_system_sgpr_workgroup_id_x 1
		.amdhsa_system_sgpr_workgroup_id_y 0
		.amdhsa_system_sgpr_workgroup_id_z 0
		.amdhsa_system_sgpr_workgroup_info 0
		.amdhsa_system_vgpr_workitem_id 2
		.amdhsa_next_free_vgpr 47
		.amdhsa_next_free_sgpr 54
		.amdhsa_reserve_vcc 1
		.amdhsa_reserve_flat_scratch 0
		.amdhsa_float_round_mode_32 0
		.amdhsa_float_round_mode_16_64 0
		.amdhsa_float_denorm_mode_32 3
		.amdhsa_float_denorm_mode_16_64 3
		.amdhsa_dx10_clamp 1
		.amdhsa_ieee_mode 1
		.amdhsa_fp16_overflow 0
		.amdhsa_exception_fp_ieee_invalid_op 0
		.amdhsa_exception_fp_denorm_src 0
		.amdhsa_exception_fp_ieee_div_zero 0
		.amdhsa_exception_fp_ieee_overflow 0
		.amdhsa_exception_fp_ieee_underflow 0
		.amdhsa_exception_fp_ieee_inexact 0
		.amdhsa_exception_int_div_zero 0
	.end_amdhsa_kernel
	.section	.text._ZN7rocprim17ROCPRIM_400000_NS6detail17trampoline_kernelINS0_14default_configENS1_35radix_sort_onesweep_config_selectorIdlEEZZNS1_29radix_sort_onesweep_iterationIS3_Lb0EPdS7_N6thrust23THRUST_200600_302600_NS10device_ptrIlEESB_jNS0_19identity_decomposerENS1_16block_id_wrapperIjLb0EEEEE10hipError_tT1_PNSt15iterator_traitsISG_E10value_typeET2_T3_PNSH_ISM_E10value_typeET4_T5_PSR_SS_PNS1_23onesweep_lookback_stateEbbT6_jjT7_P12ihipStream_tbENKUlT_T0_SG_SL_E_clIS7_S7_PlSB_EEDaSZ_S10_SG_SL_EUlSZ_E_NS1_11comp_targetILNS1_3genE2ELNS1_11target_archE906ELNS1_3gpuE6ELNS1_3repE0EEENS1_47radix_sort_onesweep_sort_config_static_selectorELNS0_4arch9wavefront6targetE1EEEvSG_,"axG",@progbits,_ZN7rocprim17ROCPRIM_400000_NS6detail17trampoline_kernelINS0_14default_configENS1_35radix_sort_onesweep_config_selectorIdlEEZZNS1_29radix_sort_onesweep_iterationIS3_Lb0EPdS7_N6thrust23THRUST_200600_302600_NS10device_ptrIlEESB_jNS0_19identity_decomposerENS1_16block_id_wrapperIjLb0EEEEE10hipError_tT1_PNSt15iterator_traitsISG_E10value_typeET2_T3_PNSH_ISM_E10value_typeET4_T5_PSR_SS_PNS1_23onesweep_lookback_stateEbbT6_jjT7_P12ihipStream_tbENKUlT_T0_SG_SL_E_clIS7_S7_PlSB_EEDaSZ_S10_SG_SL_EUlSZ_E_NS1_11comp_targetILNS1_3genE2ELNS1_11target_archE906ELNS1_3gpuE6ELNS1_3repE0EEENS1_47radix_sort_onesweep_sort_config_static_selectorELNS0_4arch9wavefront6targetE1EEEvSG_,comdat
.Lfunc_end1664:
	.size	_ZN7rocprim17ROCPRIM_400000_NS6detail17trampoline_kernelINS0_14default_configENS1_35radix_sort_onesweep_config_selectorIdlEEZZNS1_29radix_sort_onesweep_iterationIS3_Lb0EPdS7_N6thrust23THRUST_200600_302600_NS10device_ptrIlEESB_jNS0_19identity_decomposerENS1_16block_id_wrapperIjLb0EEEEE10hipError_tT1_PNSt15iterator_traitsISG_E10value_typeET2_T3_PNSH_ISM_E10value_typeET4_T5_PSR_SS_PNS1_23onesweep_lookback_stateEbbT6_jjT7_P12ihipStream_tbENKUlT_T0_SG_SL_E_clIS7_S7_PlSB_EEDaSZ_S10_SG_SL_EUlSZ_E_NS1_11comp_targetILNS1_3genE2ELNS1_11target_archE906ELNS1_3gpuE6ELNS1_3repE0EEENS1_47radix_sort_onesweep_sort_config_static_selectorELNS0_4arch9wavefront6targetE1EEEvSG_, .Lfunc_end1664-_ZN7rocprim17ROCPRIM_400000_NS6detail17trampoline_kernelINS0_14default_configENS1_35radix_sort_onesweep_config_selectorIdlEEZZNS1_29radix_sort_onesweep_iterationIS3_Lb0EPdS7_N6thrust23THRUST_200600_302600_NS10device_ptrIlEESB_jNS0_19identity_decomposerENS1_16block_id_wrapperIjLb0EEEEE10hipError_tT1_PNSt15iterator_traitsISG_E10value_typeET2_T3_PNSH_ISM_E10value_typeET4_T5_PSR_SS_PNS1_23onesweep_lookback_stateEbbT6_jjT7_P12ihipStream_tbENKUlT_T0_SG_SL_E_clIS7_S7_PlSB_EEDaSZ_S10_SG_SL_EUlSZ_E_NS1_11comp_targetILNS1_3genE2ELNS1_11target_archE906ELNS1_3gpuE6ELNS1_3repE0EEENS1_47radix_sort_onesweep_sort_config_static_selectorELNS0_4arch9wavefront6targetE1EEEvSG_
                                        ; -- End function
	.set _ZN7rocprim17ROCPRIM_400000_NS6detail17trampoline_kernelINS0_14default_configENS1_35radix_sort_onesweep_config_selectorIdlEEZZNS1_29radix_sort_onesweep_iterationIS3_Lb0EPdS7_N6thrust23THRUST_200600_302600_NS10device_ptrIlEESB_jNS0_19identity_decomposerENS1_16block_id_wrapperIjLb0EEEEE10hipError_tT1_PNSt15iterator_traitsISG_E10value_typeET2_T3_PNSH_ISM_E10value_typeET4_T5_PSR_SS_PNS1_23onesweep_lookback_stateEbbT6_jjT7_P12ihipStream_tbENKUlT_T0_SG_SL_E_clIS7_S7_PlSB_EEDaSZ_S10_SG_SL_EUlSZ_E_NS1_11comp_targetILNS1_3genE2ELNS1_11target_archE906ELNS1_3gpuE6ELNS1_3repE0EEENS1_47radix_sort_onesweep_sort_config_static_selectorELNS0_4arch9wavefront6targetE1EEEvSG_.num_vgpr, 47
	.set _ZN7rocprim17ROCPRIM_400000_NS6detail17trampoline_kernelINS0_14default_configENS1_35radix_sort_onesweep_config_selectorIdlEEZZNS1_29radix_sort_onesweep_iterationIS3_Lb0EPdS7_N6thrust23THRUST_200600_302600_NS10device_ptrIlEESB_jNS0_19identity_decomposerENS1_16block_id_wrapperIjLb0EEEEE10hipError_tT1_PNSt15iterator_traitsISG_E10value_typeET2_T3_PNSH_ISM_E10value_typeET4_T5_PSR_SS_PNS1_23onesweep_lookback_stateEbbT6_jjT7_P12ihipStream_tbENKUlT_T0_SG_SL_E_clIS7_S7_PlSB_EEDaSZ_S10_SG_SL_EUlSZ_E_NS1_11comp_targetILNS1_3genE2ELNS1_11target_archE906ELNS1_3gpuE6ELNS1_3repE0EEENS1_47radix_sort_onesweep_sort_config_static_selectorELNS0_4arch9wavefront6targetE1EEEvSG_.num_agpr, 0
	.set _ZN7rocprim17ROCPRIM_400000_NS6detail17trampoline_kernelINS0_14default_configENS1_35radix_sort_onesweep_config_selectorIdlEEZZNS1_29radix_sort_onesweep_iterationIS3_Lb0EPdS7_N6thrust23THRUST_200600_302600_NS10device_ptrIlEESB_jNS0_19identity_decomposerENS1_16block_id_wrapperIjLb0EEEEE10hipError_tT1_PNSt15iterator_traitsISG_E10value_typeET2_T3_PNSH_ISM_E10value_typeET4_T5_PSR_SS_PNS1_23onesweep_lookback_stateEbbT6_jjT7_P12ihipStream_tbENKUlT_T0_SG_SL_E_clIS7_S7_PlSB_EEDaSZ_S10_SG_SL_EUlSZ_E_NS1_11comp_targetILNS1_3genE2ELNS1_11target_archE906ELNS1_3gpuE6ELNS1_3repE0EEENS1_47radix_sort_onesweep_sort_config_static_selectorELNS0_4arch9wavefront6targetE1EEEvSG_.numbered_sgpr, 54
	.set _ZN7rocprim17ROCPRIM_400000_NS6detail17trampoline_kernelINS0_14default_configENS1_35radix_sort_onesweep_config_selectorIdlEEZZNS1_29radix_sort_onesweep_iterationIS3_Lb0EPdS7_N6thrust23THRUST_200600_302600_NS10device_ptrIlEESB_jNS0_19identity_decomposerENS1_16block_id_wrapperIjLb0EEEEE10hipError_tT1_PNSt15iterator_traitsISG_E10value_typeET2_T3_PNSH_ISM_E10value_typeET4_T5_PSR_SS_PNS1_23onesweep_lookback_stateEbbT6_jjT7_P12ihipStream_tbENKUlT_T0_SG_SL_E_clIS7_S7_PlSB_EEDaSZ_S10_SG_SL_EUlSZ_E_NS1_11comp_targetILNS1_3genE2ELNS1_11target_archE906ELNS1_3gpuE6ELNS1_3repE0EEENS1_47radix_sort_onesweep_sort_config_static_selectorELNS0_4arch9wavefront6targetE1EEEvSG_.num_named_barrier, 0
	.set _ZN7rocprim17ROCPRIM_400000_NS6detail17trampoline_kernelINS0_14default_configENS1_35radix_sort_onesweep_config_selectorIdlEEZZNS1_29radix_sort_onesweep_iterationIS3_Lb0EPdS7_N6thrust23THRUST_200600_302600_NS10device_ptrIlEESB_jNS0_19identity_decomposerENS1_16block_id_wrapperIjLb0EEEEE10hipError_tT1_PNSt15iterator_traitsISG_E10value_typeET2_T3_PNSH_ISM_E10value_typeET4_T5_PSR_SS_PNS1_23onesweep_lookback_stateEbbT6_jjT7_P12ihipStream_tbENKUlT_T0_SG_SL_E_clIS7_S7_PlSB_EEDaSZ_S10_SG_SL_EUlSZ_E_NS1_11comp_targetILNS1_3genE2ELNS1_11target_archE906ELNS1_3gpuE6ELNS1_3repE0EEENS1_47radix_sort_onesweep_sort_config_static_selectorELNS0_4arch9wavefront6targetE1EEEvSG_.private_seg_size, 32
	.set _ZN7rocprim17ROCPRIM_400000_NS6detail17trampoline_kernelINS0_14default_configENS1_35radix_sort_onesweep_config_selectorIdlEEZZNS1_29radix_sort_onesweep_iterationIS3_Lb0EPdS7_N6thrust23THRUST_200600_302600_NS10device_ptrIlEESB_jNS0_19identity_decomposerENS1_16block_id_wrapperIjLb0EEEEE10hipError_tT1_PNSt15iterator_traitsISG_E10value_typeET2_T3_PNSH_ISM_E10value_typeET4_T5_PSR_SS_PNS1_23onesweep_lookback_stateEbbT6_jjT7_P12ihipStream_tbENKUlT_T0_SG_SL_E_clIS7_S7_PlSB_EEDaSZ_S10_SG_SL_EUlSZ_E_NS1_11comp_targetILNS1_3genE2ELNS1_11target_archE906ELNS1_3gpuE6ELNS1_3repE0EEENS1_47radix_sort_onesweep_sort_config_static_selectorELNS0_4arch9wavefront6targetE1EEEvSG_.uses_vcc, 1
	.set _ZN7rocprim17ROCPRIM_400000_NS6detail17trampoline_kernelINS0_14default_configENS1_35radix_sort_onesweep_config_selectorIdlEEZZNS1_29radix_sort_onesweep_iterationIS3_Lb0EPdS7_N6thrust23THRUST_200600_302600_NS10device_ptrIlEESB_jNS0_19identity_decomposerENS1_16block_id_wrapperIjLb0EEEEE10hipError_tT1_PNSt15iterator_traitsISG_E10value_typeET2_T3_PNSH_ISM_E10value_typeET4_T5_PSR_SS_PNS1_23onesweep_lookback_stateEbbT6_jjT7_P12ihipStream_tbENKUlT_T0_SG_SL_E_clIS7_S7_PlSB_EEDaSZ_S10_SG_SL_EUlSZ_E_NS1_11comp_targetILNS1_3genE2ELNS1_11target_archE906ELNS1_3gpuE6ELNS1_3repE0EEENS1_47radix_sort_onesweep_sort_config_static_selectorELNS0_4arch9wavefront6targetE1EEEvSG_.uses_flat_scratch, 0
	.set _ZN7rocprim17ROCPRIM_400000_NS6detail17trampoline_kernelINS0_14default_configENS1_35radix_sort_onesweep_config_selectorIdlEEZZNS1_29radix_sort_onesweep_iterationIS3_Lb0EPdS7_N6thrust23THRUST_200600_302600_NS10device_ptrIlEESB_jNS0_19identity_decomposerENS1_16block_id_wrapperIjLb0EEEEE10hipError_tT1_PNSt15iterator_traitsISG_E10value_typeET2_T3_PNSH_ISM_E10value_typeET4_T5_PSR_SS_PNS1_23onesweep_lookback_stateEbbT6_jjT7_P12ihipStream_tbENKUlT_T0_SG_SL_E_clIS7_S7_PlSB_EEDaSZ_S10_SG_SL_EUlSZ_E_NS1_11comp_targetILNS1_3genE2ELNS1_11target_archE906ELNS1_3gpuE6ELNS1_3repE0EEENS1_47radix_sort_onesweep_sort_config_static_selectorELNS0_4arch9wavefront6targetE1EEEvSG_.has_dyn_sized_stack, 0
	.set _ZN7rocprim17ROCPRIM_400000_NS6detail17trampoline_kernelINS0_14default_configENS1_35radix_sort_onesweep_config_selectorIdlEEZZNS1_29radix_sort_onesweep_iterationIS3_Lb0EPdS7_N6thrust23THRUST_200600_302600_NS10device_ptrIlEESB_jNS0_19identity_decomposerENS1_16block_id_wrapperIjLb0EEEEE10hipError_tT1_PNSt15iterator_traitsISG_E10value_typeET2_T3_PNSH_ISM_E10value_typeET4_T5_PSR_SS_PNS1_23onesweep_lookback_stateEbbT6_jjT7_P12ihipStream_tbENKUlT_T0_SG_SL_E_clIS7_S7_PlSB_EEDaSZ_S10_SG_SL_EUlSZ_E_NS1_11comp_targetILNS1_3genE2ELNS1_11target_archE906ELNS1_3gpuE6ELNS1_3repE0EEENS1_47radix_sort_onesweep_sort_config_static_selectorELNS0_4arch9wavefront6targetE1EEEvSG_.has_recursion, 0
	.set _ZN7rocprim17ROCPRIM_400000_NS6detail17trampoline_kernelINS0_14default_configENS1_35radix_sort_onesweep_config_selectorIdlEEZZNS1_29radix_sort_onesweep_iterationIS3_Lb0EPdS7_N6thrust23THRUST_200600_302600_NS10device_ptrIlEESB_jNS0_19identity_decomposerENS1_16block_id_wrapperIjLb0EEEEE10hipError_tT1_PNSt15iterator_traitsISG_E10value_typeET2_T3_PNSH_ISM_E10value_typeET4_T5_PSR_SS_PNS1_23onesweep_lookback_stateEbbT6_jjT7_P12ihipStream_tbENKUlT_T0_SG_SL_E_clIS7_S7_PlSB_EEDaSZ_S10_SG_SL_EUlSZ_E_NS1_11comp_targetILNS1_3genE2ELNS1_11target_archE906ELNS1_3gpuE6ELNS1_3repE0EEENS1_47radix_sort_onesweep_sort_config_static_selectorELNS0_4arch9wavefront6targetE1EEEvSG_.has_indirect_call, 0
	.section	.AMDGPU.csdata,"",@progbits
; Kernel info:
; codeLenInByte = 10508
; TotalNumSgprs: 58
; NumVgprs: 47
; ScratchSize: 32
; MemoryBound: 0
; FloatMode: 240
; IeeeMode: 1
; LDSByteSize: 10280 bytes/workgroup (compile time only)
; SGPRBlocks: 7
; VGPRBlocks: 11
; NumSGPRsForWavesPerEU: 58
; NumVGPRsForWavesPerEU: 47
; Occupancy: 5
; WaveLimiterHint : 1
; COMPUTE_PGM_RSRC2:SCRATCH_EN: 1
; COMPUTE_PGM_RSRC2:USER_SGPR: 6
; COMPUTE_PGM_RSRC2:TRAP_HANDLER: 0
; COMPUTE_PGM_RSRC2:TGID_X_EN: 1
; COMPUTE_PGM_RSRC2:TGID_Y_EN: 0
; COMPUTE_PGM_RSRC2:TGID_Z_EN: 0
; COMPUTE_PGM_RSRC2:TIDIG_COMP_CNT: 2
	.section	.text._ZN7rocprim17ROCPRIM_400000_NS6detail17trampoline_kernelINS0_14default_configENS1_35radix_sort_onesweep_config_selectorIdlEEZZNS1_29radix_sort_onesweep_iterationIS3_Lb0EPdS7_N6thrust23THRUST_200600_302600_NS10device_ptrIlEESB_jNS0_19identity_decomposerENS1_16block_id_wrapperIjLb0EEEEE10hipError_tT1_PNSt15iterator_traitsISG_E10value_typeET2_T3_PNSH_ISM_E10value_typeET4_T5_PSR_SS_PNS1_23onesweep_lookback_stateEbbT6_jjT7_P12ihipStream_tbENKUlT_T0_SG_SL_E_clIS7_S7_PlSB_EEDaSZ_S10_SG_SL_EUlSZ_E_NS1_11comp_targetILNS1_3genE4ELNS1_11target_archE910ELNS1_3gpuE8ELNS1_3repE0EEENS1_47radix_sort_onesweep_sort_config_static_selectorELNS0_4arch9wavefront6targetE1EEEvSG_,"axG",@progbits,_ZN7rocprim17ROCPRIM_400000_NS6detail17trampoline_kernelINS0_14default_configENS1_35radix_sort_onesweep_config_selectorIdlEEZZNS1_29radix_sort_onesweep_iterationIS3_Lb0EPdS7_N6thrust23THRUST_200600_302600_NS10device_ptrIlEESB_jNS0_19identity_decomposerENS1_16block_id_wrapperIjLb0EEEEE10hipError_tT1_PNSt15iterator_traitsISG_E10value_typeET2_T3_PNSH_ISM_E10value_typeET4_T5_PSR_SS_PNS1_23onesweep_lookback_stateEbbT6_jjT7_P12ihipStream_tbENKUlT_T0_SG_SL_E_clIS7_S7_PlSB_EEDaSZ_S10_SG_SL_EUlSZ_E_NS1_11comp_targetILNS1_3genE4ELNS1_11target_archE910ELNS1_3gpuE8ELNS1_3repE0EEENS1_47radix_sort_onesweep_sort_config_static_selectorELNS0_4arch9wavefront6targetE1EEEvSG_,comdat
	.protected	_ZN7rocprim17ROCPRIM_400000_NS6detail17trampoline_kernelINS0_14default_configENS1_35radix_sort_onesweep_config_selectorIdlEEZZNS1_29radix_sort_onesweep_iterationIS3_Lb0EPdS7_N6thrust23THRUST_200600_302600_NS10device_ptrIlEESB_jNS0_19identity_decomposerENS1_16block_id_wrapperIjLb0EEEEE10hipError_tT1_PNSt15iterator_traitsISG_E10value_typeET2_T3_PNSH_ISM_E10value_typeET4_T5_PSR_SS_PNS1_23onesweep_lookback_stateEbbT6_jjT7_P12ihipStream_tbENKUlT_T0_SG_SL_E_clIS7_S7_PlSB_EEDaSZ_S10_SG_SL_EUlSZ_E_NS1_11comp_targetILNS1_3genE4ELNS1_11target_archE910ELNS1_3gpuE8ELNS1_3repE0EEENS1_47radix_sort_onesweep_sort_config_static_selectorELNS0_4arch9wavefront6targetE1EEEvSG_ ; -- Begin function _ZN7rocprim17ROCPRIM_400000_NS6detail17trampoline_kernelINS0_14default_configENS1_35radix_sort_onesweep_config_selectorIdlEEZZNS1_29radix_sort_onesweep_iterationIS3_Lb0EPdS7_N6thrust23THRUST_200600_302600_NS10device_ptrIlEESB_jNS0_19identity_decomposerENS1_16block_id_wrapperIjLb0EEEEE10hipError_tT1_PNSt15iterator_traitsISG_E10value_typeET2_T3_PNSH_ISM_E10value_typeET4_T5_PSR_SS_PNS1_23onesweep_lookback_stateEbbT6_jjT7_P12ihipStream_tbENKUlT_T0_SG_SL_E_clIS7_S7_PlSB_EEDaSZ_S10_SG_SL_EUlSZ_E_NS1_11comp_targetILNS1_3genE4ELNS1_11target_archE910ELNS1_3gpuE8ELNS1_3repE0EEENS1_47radix_sort_onesweep_sort_config_static_selectorELNS0_4arch9wavefront6targetE1EEEvSG_
	.globl	_ZN7rocprim17ROCPRIM_400000_NS6detail17trampoline_kernelINS0_14default_configENS1_35radix_sort_onesweep_config_selectorIdlEEZZNS1_29radix_sort_onesweep_iterationIS3_Lb0EPdS7_N6thrust23THRUST_200600_302600_NS10device_ptrIlEESB_jNS0_19identity_decomposerENS1_16block_id_wrapperIjLb0EEEEE10hipError_tT1_PNSt15iterator_traitsISG_E10value_typeET2_T3_PNSH_ISM_E10value_typeET4_T5_PSR_SS_PNS1_23onesweep_lookback_stateEbbT6_jjT7_P12ihipStream_tbENKUlT_T0_SG_SL_E_clIS7_S7_PlSB_EEDaSZ_S10_SG_SL_EUlSZ_E_NS1_11comp_targetILNS1_3genE4ELNS1_11target_archE910ELNS1_3gpuE8ELNS1_3repE0EEENS1_47radix_sort_onesweep_sort_config_static_selectorELNS0_4arch9wavefront6targetE1EEEvSG_
	.p2align	8
	.type	_ZN7rocprim17ROCPRIM_400000_NS6detail17trampoline_kernelINS0_14default_configENS1_35radix_sort_onesweep_config_selectorIdlEEZZNS1_29radix_sort_onesweep_iterationIS3_Lb0EPdS7_N6thrust23THRUST_200600_302600_NS10device_ptrIlEESB_jNS0_19identity_decomposerENS1_16block_id_wrapperIjLb0EEEEE10hipError_tT1_PNSt15iterator_traitsISG_E10value_typeET2_T3_PNSH_ISM_E10value_typeET4_T5_PSR_SS_PNS1_23onesweep_lookback_stateEbbT6_jjT7_P12ihipStream_tbENKUlT_T0_SG_SL_E_clIS7_S7_PlSB_EEDaSZ_S10_SG_SL_EUlSZ_E_NS1_11comp_targetILNS1_3genE4ELNS1_11target_archE910ELNS1_3gpuE8ELNS1_3repE0EEENS1_47radix_sort_onesweep_sort_config_static_selectorELNS0_4arch9wavefront6targetE1EEEvSG_,@function
_ZN7rocprim17ROCPRIM_400000_NS6detail17trampoline_kernelINS0_14default_configENS1_35radix_sort_onesweep_config_selectorIdlEEZZNS1_29radix_sort_onesweep_iterationIS3_Lb0EPdS7_N6thrust23THRUST_200600_302600_NS10device_ptrIlEESB_jNS0_19identity_decomposerENS1_16block_id_wrapperIjLb0EEEEE10hipError_tT1_PNSt15iterator_traitsISG_E10value_typeET2_T3_PNSH_ISM_E10value_typeET4_T5_PSR_SS_PNS1_23onesweep_lookback_stateEbbT6_jjT7_P12ihipStream_tbENKUlT_T0_SG_SL_E_clIS7_S7_PlSB_EEDaSZ_S10_SG_SL_EUlSZ_E_NS1_11comp_targetILNS1_3genE4ELNS1_11target_archE910ELNS1_3gpuE8ELNS1_3repE0EEENS1_47radix_sort_onesweep_sort_config_static_selectorELNS0_4arch9wavefront6targetE1EEEvSG_: ; @_ZN7rocprim17ROCPRIM_400000_NS6detail17trampoline_kernelINS0_14default_configENS1_35radix_sort_onesweep_config_selectorIdlEEZZNS1_29radix_sort_onesweep_iterationIS3_Lb0EPdS7_N6thrust23THRUST_200600_302600_NS10device_ptrIlEESB_jNS0_19identity_decomposerENS1_16block_id_wrapperIjLb0EEEEE10hipError_tT1_PNSt15iterator_traitsISG_E10value_typeET2_T3_PNSH_ISM_E10value_typeET4_T5_PSR_SS_PNS1_23onesweep_lookback_stateEbbT6_jjT7_P12ihipStream_tbENKUlT_T0_SG_SL_E_clIS7_S7_PlSB_EEDaSZ_S10_SG_SL_EUlSZ_E_NS1_11comp_targetILNS1_3genE4ELNS1_11target_archE910ELNS1_3gpuE8ELNS1_3repE0EEENS1_47radix_sort_onesweep_sort_config_static_selectorELNS0_4arch9wavefront6targetE1EEEvSG_
; %bb.0:
	.section	.rodata,"a",@progbits
	.p2align	6, 0x0
	.amdhsa_kernel _ZN7rocprim17ROCPRIM_400000_NS6detail17trampoline_kernelINS0_14default_configENS1_35radix_sort_onesweep_config_selectorIdlEEZZNS1_29radix_sort_onesweep_iterationIS3_Lb0EPdS7_N6thrust23THRUST_200600_302600_NS10device_ptrIlEESB_jNS0_19identity_decomposerENS1_16block_id_wrapperIjLb0EEEEE10hipError_tT1_PNSt15iterator_traitsISG_E10value_typeET2_T3_PNSH_ISM_E10value_typeET4_T5_PSR_SS_PNS1_23onesweep_lookback_stateEbbT6_jjT7_P12ihipStream_tbENKUlT_T0_SG_SL_E_clIS7_S7_PlSB_EEDaSZ_S10_SG_SL_EUlSZ_E_NS1_11comp_targetILNS1_3genE4ELNS1_11target_archE910ELNS1_3gpuE8ELNS1_3repE0EEENS1_47radix_sort_onesweep_sort_config_static_selectorELNS0_4arch9wavefront6targetE1EEEvSG_
		.amdhsa_group_segment_fixed_size 0
		.amdhsa_private_segment_fixed_size 0
		.amdhsa_kernarg_size 88
		.amdhsa_user_sgpr_count 6
		.amdhsa_user_sgpr_private_segment_buffer 1
		.amdhsa_user_sgpr_dispatch_ptr 0
		.amdhsa_user_sgpr_queue_ptr 0
		.amdhsa_user_sgpr_kernarg_segment_ptr 1
		.amdhsa_user_sgpr_dispatch_id 0
		.amdhsa_user_sgpr_flat_scratch_init 0
		.amdhsa_user_sgpr_private_segment_size 0
		.amdhsa_uses_dynamic_stack 0
		.amdhsa_system_sgpr_private_segment_wavefront_offset 0
		.amdhsa_system_sgpr_workgroup_id_x 1
		.amdhsa_system_sgpr_workgroup_id_y 0
		.amdhsa_system_sgpr_workgroup_id_z 0
		.amdhsa_system_sgpr_workgroup_info 0
		.amdhsa_system_vgpr_workitem_id 0
		.amdhsa_next_free_vgpr 1
		.amdhsa_next_free_sgpr 0
		.amdhsa_reserve_vcc 0
		.amdhsa_reserve_flat_scratch 0
		.amdhsa_float_round_mode_32 0
		.amdhsa_float_round_mode_16_64 0
		.amdhsa_float_denorm_mode_32 3
		.amdhsa_float_denorm_mode_16_64 3
		.amdhsa_dx10_clamp 1
		.amdhsa_ieee_mode 1
		.amdhsa_fp16_overflow 0
		.amdhsa_exception_fp_ieee_invalid_op 0
		.amdhsa_exception_fp_denorm_src 0
		.amdhsa_exception_fp_ieee_div_zero 0
		.amdhsa_exception_fp_ieee_overflow 0
		.amdhsa_exception_fp_ieee_underflow 0
		.amdhsa_exception_fp_ieee_inexact 0
		.amdhsa_exception_int_div_zero 0
	.end_amdhsa_kernel
	.section	.text._ZN7rocprim17ROCPRIM_400000_NS6detail17trampoline_kernelINS0_14default_configENS1_35radix_sort_onesweep_config_selectorIdlEEZZNS1_29radix_sort_onesweep_iterationIS3_Lb0EPdS7_N6thrust23THRUST_200600_302600_NS10device_ptrIlEESB_jNS0_19identity_decomposerENS1_16block_id_wrapperIjLb0EEEEE10hipError_tT1_PNSt15iterator_traitsISG_E10value_typeET2_T3_PNSH_ISM_E10value_typeET4_T5_PSR_SS_PNS1_23onesweep_lookback_stateEbbT6_jjT7_P12ihipStream_tbENKUlT_T0_SG_SL_E_clIS7_S7_PlSB_EEDaSZ_S10_SG_SL_EUlSZ_E_NS1_11comp_targetILNS1_3genE4ELNS1_11target_archE910ELNS1_3gpuE8ELNS1_3repE0EEENS1_47radix_sort_onesweep_sort_config_static_selectorELNS0_4arch9wavefront6targetE1EEEvSG_,"axG",@progbits,_ZN7rocprim17ROCPRIM_400000_NS6detail17trampoline_kernelINS0_14default_configENS1_35radix_sort_onesweep_config_selectorIdlEEZZNS1_29radix_sort_onesweep_iterationIS3_Lb0EPdS7_N6thrust23THRUST_200600_302600_NS10device_ptrIlEESB_jNS0_19identity_decomposerENS1_16block_id_wrapperIjLb0EEEEE10hipError_tT1_PNSt15iterator_traitsISG_E10value_typeET2_T3_PNSH_ISM_E10value_typeET4_T5_PSR_SS_PNS1_23onesweep_lookback_stateEbbT6_jjT7_P12ihipStream_tbENKUlT_T0_SG_SL_E_clIS7_S7_PlSB_EEDaSZ_S10_SG_SL_EUlSZ_E_NS1_11comp_targetILNS1_3genE4ELNS1_11target_archE910ELNS1_3gpuE8ELNS1_3repE0EEENS1_47radix_sort_onesweep_sort_config_static_selectorELNS0_4arch9wavefront6targetE1EEEvSG_,comdat
.Lfunc_end1665:
	.size	_ZN7rocprim17ROCPRIM_400000_NS6detail17trampoline_kernelINS0_14default_configENS1_35radix_sort_onesweep_config_selectorIdlEEZZNS1_29radix_sort_onesweep_iterationIS3_Lb0EPdS7_N6thrust23THRUST_200600_302600_NS10device_ptrIlEESB_jNS0_19identity_decomposerENS1_16block_id_wrapperIjLb0EEEEE10hipError_tT1_PNSt15iterator_traitsISG_E10value_typeET2_T3_PNSH_ISM_E10value_typeET4_T5_PSR_SS_PNS1_23onesweep_lookback_stateEbbT6_jjT7_P12ihipStream_tbENKUlT_T0_SG_SL_E_clIS7_S7_PlSB_EEDaSZ_S10_SG_SL_EUlSZ_E_NS1_11comp_targetILNS1_3genE4ELNS1_11target_archE910ELNS1_3gpuE8ELNS1_3repE0EEENS1_47radix_sort_onesweep_sort_config_static_selectorELNS0_4arch9wavefront6targetE1EEEvSG_, .Lfunc_end1665-_ZN7rocprim17ROCPRIM_400000_NS6detail17trampoline_kernelINS0_14default_configENS1_35radix_sort_onesweep_config_selectorIdlEEZZNS1_29radix_sort_onesweep_iterationIS3_Lb0EPdS7_N6thrust23THRUST_200600_302600_NS10device_ptrIlEESB_jNS0_19identity_decomposerENS1_16block_id_wrapperIjLb0EEEEE10hipError_tT1_PNSt15iterator_traitsISG_E10value_typeET2_T3_PNSH_ISM_E10value_typeET4_T5_PSR_SS_PNS1_23onesweep_lookback_stateEbbT6_jjT7_P12ihipStream_tbENKUlT_T0_SG_SL_E_clIS7_S7_PlSB_EEDaSZ_S10_SG_SL_EUlSZ_E_NS1_11comp_targetILNS1_3genE4ELNS1_11target_archE910ELNS1_3gpuE8ELNS1_3repE0EEENS1_47radix_sort_onesweep_sort_config_static_selectorELNS0_4arch9wavefront6targetE1EEEvSG_
                                        ; -- End function
	.set _ZN7rocprim17ROCPRIM_400000_NS6detail17trampoline_kernelINS0_14default_configENS1_35radix_sort_onesweep_config_selectorIdlEEZZNS1_29radix_sort_onesweep_iterationIS3_Lb0EPdS7_N6thrust23THRUST_200600_302600_NS10device_ptrIlEESB_jNS0_19identity_decomposerENS1_16block_id_wrapperIjLb0EEEEE10hipError_tT1_PNSt15iterator_traitsISG_E10value_typeET2_T3_PNSH_ISM_E10value_typeET4_T5_PSR_SS_PNS1_23onesweep_lookback_stateEbbT6_jjT7_P12ihipStream_tbENKUlT_T0_SG_SL_E_clIS7_S7_PlSB_EEDaSZ_S10_SG_SL_EUlSZ_E_NS1_11comp_targetILNS1_3genE4ELNS1_11target_archE910ELNS1_3gpuE8ELNS1_3repE0EEENS1_47radix_sort_onesweep_sort_config_static_selectorELNS0_4arch9wavefront6targetE1EEEvSG_.num_vgpr, 0
	.set _ZN7rocprim17ROCPRIM_400000_NS6detail17trampoline_kernelINS0_14default_configENS1_35radix_sort_onesweep_config_selectorIdlEEZZNS1_29radix_sort_onesweep_iterationIS3_Lb0EPdS7_N6thrust23THRUST_200600_302600_NS10device_ptrIlEESB_jNS0_19identity_decomposerENS1_16block_id_wrapperIjLb0EEEEE10hipError_tT1_PNSt15iterator_traitsISG_E10value_typeET2_T3_PNSH_ISM_E10value_typeET4_T5_PSR_SS_PNS1_23onesweep_lookback_stateEbbT6_jjT7_P12ihipStream_tbENKUlT_T0_SG_SL_E_clIS7_S7_PlSB_EEDaSZ_S10_SG_SL_EUlSZ_E_NS1_11comp_targetILNS1_3genE4ELNS1_11target_archE910ELNS1_3gpuE8ELNS1_3repE0EEENS1_47radix_sort_onesweep_sort_config_static_selectorELNS0_4arch9wavefront6targetE1EEEvSG_.num_agpr, 0
	.set _ZN7rocprim17ROCPRIM_400000_NS6detail17trampoline_kernelINS0_14default_configENS1_35radix_sort_onesweep_config_selectorIdlEEZZNS1_29radix_sort_onesweep_iterationIS3_Lb0EPdS7_N6thrust23THRUST_200600_302600_NS10device_ptrIlEESB_jNS0_19identity_decomposerENS1_16block_id_wrapperIjLb0EEEEE10hipError_tT1_PNSt15iterator_traitsISG_E10value_typeET2_T3_PNSH_ISM_E10value_typeET4_T5_PSR_SS_PNS1_23onesweep_lookback_stateEbbT6_jjT7_P12ihipStream_tbENKUlT_T0_SG_SL_E_clIS7_S7_PlSB_EEDaSZ_S10_SG_SL_EUlSZ_E_NS1_11comp_targetILNS1_3genE4ELNS1_11target_archE910ELNS1_3gpuE8ELNS1_3repE0EEENS1_47radix_sort_onesweep_sort_config_static_selectorELNS0_4arch9wavefront6targetE1EEEvSG_.numbered_sgpr, 0
	.set _ZN7rocprim17ROCPRIM_400000_NS6detail17trampoline_kernelINS0_14default_configENS1_35radix_sort_onesweep_config_selectorIdlEEZZNS1_29radix_sort_onesweep_iterationIS3_Lb0EPdS7_N6thrust23THRUST_200600_302600_NS10device_ptrIlEESB_jNS0_19identity_decomposerENS1_16block_id_wrapperIjLb0EEEEE10hipError_tT1_PNSt15iterator_traitsISG_E10value_typeET2_T3_PNSH_ISM_E10value_typeET4_T5_PSR_SS_PNS1_23onesweep_lookback_stateEbbT6_jjT7_P12ihipStream_tbENKUlT_T0_SG_SL_E_clIS7_S7_PlSB_EEDaSZ_S10_SG_SL_EUlSZ_E_NS1_11comp_targetILNS1_3genE4ELNS1_11target_archE910ELNS1_3gpuE8ELNS1_3repE0EEENS1_47radix_sort_onesweep_sort_config_static_selectorELNS0_4arch9wavefront6targetE1EEEvSG_.num_named_barrier, 0
	.set _ZN7rocprim17ROCPRIM_400000_NS6detail17trampoline_kernelINS0_14default_configENS1_35radix_sort_onesweep_config_selectorIdlEEZZNS1_29radix_sort_onesweep_iterationIS3_Lb0EPdS7_N6thrust23THRUST_200600_302600_NS10device_ptrIlEESB_jNS0_19identity_decomposerENS1_16block_id_wrapperIjLb0EEEEE10hipError_tT1_PNSt15iterator_traitsISG_E10value_typeET2_T3_PNSH_ISM_E10value_typeET4_T5_PSR_SS_PNS1_23onesweep_lookback_stateEbbT6_jjT7_P12ihipStream_tbENKUlT_T0_SG_SL_E_clIS7_S7_PlSB_EEDaSZ_S10_SG_SL_EUlSZ_E_NS1_11comp_targetILNS1_3genE4ELNS1_11target_archE910ELNS1_3gpuE8ELNS1_3repE0EEENS1_47radix_sort_onesweep_sort_config_static_selectorELNS0_4arch9wavefront6targetE1EEEvSG_.private_seg_size, 0
	.set _ZN7rocprim17ROCPRIM_400000_NS6detail17trampoline_kernelINS0_14default_configENS1_35radix_sort_onesweep_config_selectorIdlEEZZNS1_29radix_sort_onesweep_iterationIS3_Lb0EPdS7_N6thrust23THRUST_200600_302600_NS10device_ptrIlEESB_jNS0_19identity_decomposerENS1_16block_id_wrapperIjLb0EEEEE10hipError_tT1_PNSt15iterator_traitsISG_E10value_typeET2_T3_PNSH_ISM_E10value_typeET4_T5_PSR_SS_PNS1_23onesweep_lookback_stateEbbT6_jjT7_P12ihipStream_tbENKUlT_T0_SG_SL_E_clIS7_S7_PlSB_EEDaSZ_S10_SG_SL_EUlSZ_E_NS1_11comp_targetILNS1_3genE4ELNS1_11target_archE910ELNS1_3gpuE8ELNS1_3repE0EEENS1_47radix_sort_onesweep_sort_config_static_selectorELNS0_4arch9wavefront6targetE1EEEvSG_.uses_vcc, 0
	.set _ZN7rocprim17ROCPRIM_400000_NS6detail17trampoline_kernelINS0_14default_configENS1_35radix_sort_onesweep_config_selectorIdlEEZZNS1_29radix_sort_onesweep_iterationIS3_Lb0EPdS7_N6thrust23THRUST_200600_302600_NS10device_ptrIlEESB_jNS0_19identity_decomposerENS1_16block_id_wrapperIjLb0EEEEE10hipError_tT1_PNSt15iterator_traitsISG_E10value_typeET2_T3_PNSH_ISM_E10value_typeET4_T5_PSR_SS_PNS1_23onesweep_lookback_stateEbbT6_jjT7_P12ihipStream_tbENKUlT_T0_SG_SL_E_clIS7_S7_PlSB_EEDaSZ_S10_SG_SL_EUlSZ_E_NS1_11comp_targetILNS1_3genE4ELNS1_11target_archE910ELNS1_3gpuE8ELNS1_3repE0EEENS1_47radix_sort_onesweep_sort_config_static_selectorELNS0_4arch9wavefront6targetE1EEEvSG_.uses_flat_scratch, 0
	.set _ZN7rocprim17ROCPRIM_400000_NS6detail17trampoline_kernelINS0_14default_configENS1_35radix_sort_onesweep_config_selectorIdlEEZZNS1_29radix_sort_onesweep_iterationIS3_Lb0EPdS7_N6thrust23THRUST_200600_302600_NS10device_ptrIlEESB_jNS0_19identity_decomposerENS1_16block_id_wrapperIjLb0EEEEE10hipError_tT1_PNSt15iterator_traitsISG_E10value_typeET2_T3_PNSH_ISM_E10value_typeET4_T5_PSR_SS_PNS1_23onesweep_lookback_stateEbbT6_jjT7_P12ihipStream_tbENKUlT_T0_SG_SL_E_clIS7_S7_PlSB_EEDaSZ_S10_SG_SL_EUlSZ_E_NS1_11comp_targetILNS1_3genE4ELNS1_11target_archE910ELNS1_3gpuE8ELNS1_3repE0EEENS1_47radix_sort_onesweep_sort_config_static_selectorELNS0_4arch9wavefront6targetE1EEEvSG_.has_dyn_sized_stack, 0
	.set _ZN7rocprim17ROCPRIM_400000_NS6detail17trampoline_kernelINS0_14default_configENS1_35radix_sort_onesweep_config_selectorIdlEEZZNS1_29radix_sort_onesweep_iterationIS3_Lb0EPdS7_N6thrust23THRUST_200600_302600_NS10device_ptrIlEESB_jNS0_19identity_decomposerENS1_16block_id_wrapperIjLb0EEEEE10hipError_tT1_PNSt15iterator_traitsISG_E10value_typeET2_T3_PNSH_ISM_E10value_typeET4_T5_PSR_SS_PNS1_23onesweep_lookback_stateEbbT6_jjT7_P12ihipStream_tbENKUlT_T0_SG_SL_E_clIS7_S7_PlSB_EEDaSZ_S10_SG_SL_EUlSZ_E_NS1_11comp_targetILNS1_3genE4ELNS1_11target_archE910ELNS1_3gpuE8ELNS1_3repE0EEENS1_47radix_sort_onesweep_sort_config_static_selectorELNS0_4arch9wavefront6targetE1EEEvSG_.has_recursion, 0
	.set _ZN7rocprim17ROCPRIM_400000_NS6detail17trampoline_kernelINS0_14default_configENS1_35radix_sort_onesweep_config_selectorIdlEEZZNS1_29radix_sort_onesweep_iterationIS3_Lb0EPdS7_N6thrust23THRUST_200600_302600_NS10device_ptrIlEESB_jNS0_19identity_decomposerENS1_16block_id_wrapperIjLb0EEEEE10hipError_tT1_PNSt15iterator_traitsISG_E10value_typeET2_T3_PNSH_ISM_E10value_typeET4_T5_PSR_SS_PNS1_23onesweep_lookback_stateEbbT6_jjT7_P12ihipStream_tbENKUlT_T0_SG_SL_E_clIS7_S7_PlSB_EEDaSZ_S10_SG_SL_EUlSZ_E_NS1_11comp_targetILNS1_3genE4ELNS1_11target_archE910ELNS1_3gpuE8ELNS1_3repE0EEENS1_47radix_sort_onesweep_sort_config_static_selectorELNS0_4arch9wavefront6targetE1EEEvSG_.has_indirect_call, 0
	.section	.AMDGPU.csdata,"",@progbits
; Kernel info:
; codeLenInByte = 0
; TotalNumSgprs: 4
; NumVgprs: 0
; ScratchSize: 0
; MemoryBound: 0
; FloatMode: 240
; IeeeMode: 1
; LDSByteSize: 0 bytes/workgroup (compile time only)
; SGPRBlocks: 0
; VGPRBlocks: 0
; NumSGPRsForWavesPerEU: 4
; NumVGPRsForWavesPerEU: 1
; Occupancy: 10
; WaveLimiterHint : 0
; COMPUTE_PGM_RSRC2:SCRATCH_EN: 0
; COMPUTE_PGM_RSRC2:USER_SGPR: 6
; COMPUTE_PGM_RSRC2:TRAP_HANDLER: 0
; COMPUTE_PGM_RSRC2:TGID_X_EN: 1
; COMPUTE_PGM_RSRC2:TGID_Y_EN: 0
; COMPUTE_PGM_RSRC2:TGID_Z_EN: 0
; COMPUTE_PGM_RSRC2:TIDIG_COMP_CNT: 0
	.section	.text._ZN7rocprim17ROCPRIM_400000_NS6detail17trampoline_kernelINS0_14default_configENS1_35radix_sort_onesweep_config_selectorIdlEEZZNS1_29radix_sort_onesweep_iterationIS3_Lb0EPdS7_N6thrust23THRUST_200600_302600_NS10device_ptrIlEESB_jNS0_19identity_decomposerENS1_16block_id_wrapperIjLb0EEEEE10hipError_tT1_PNSt15iterator_traitsISG_E10value_typeET2_T3_PNSH_ISM_E10value_typeET4_T5_PSR_SS_PNS1_23onesweep_lookback_stateEbbT6_jjT7_P12ihipStream_tbENKUlT_T0_SG_SL_E_clIS7_S7_PlSB_EEDaSZ_S10_SG_SL_EUlSZ_E_NS1_11comp_targetILNS1_3genE3ELNS1_11target_archE908ELNS1_3gpuE7ELNS1_3repE0EEENS1_47radix_sort_onesweep_sort_config_static_selectorELNS0_4arch9wavefront6targetE1EEEvSG_,"axG",@progbits,_ZN7rocprim17ROCPRIM_400000_NS6detail17trampoline_kernelINS0_14default_configENS1_35radix_sort_onesweep_config_selectorIdlEEZZNS1_29radix_sort_onesweep_iterationIS3_Lb0EPdS7_N6thrust23THRUST_200600_302600_NS10device_ptrIlEESB_jNS0_19identity_decomposerENS1_16block_id_wrapperIjLb0EEEEE10hipError_tT1_PNSt15iterator_traitsISG_E10value_typeET2_T3_PNSH_ISM_E10value_typeET4_T5_PSR_SS_PNS1_23onesweep_lookback_stateEbbT6_jjT7_P12ihipStream_tbENKUlT_T0_SG_SL_E_clIS7_S7_PlSB_EEDaSZ_S10_SG_SL_EUlSZ_E_NS1_11comp_targetILNS1_3genE3ELNS1_11target_archE908ELNS1_3gpuE7ELNS1_3repE0EEENS1_47radix_sort_onesweep_sort_config_static_selectorELNS0_4arch9wavefront6targetE1EEEvSG_,comdat
	.protected	_ZN7rocprim17ROCPRIM_400000_NS6detail17trampoline_kernelINS0_14default_configENS1_35radix_sort_onesweep_config_selectorIdlEEZZNS1_29radix_sort_onesweep_iterationIS3_Lb0EPdS7_N6thrust23THRUST_200600_302600_NS10device_ptrIlEESB_jNS0_19identity_decomposerENS1_16block_id_wrapperIjLb0EEEEE10hipError_tT1_PNSt15iterator_traitsISG_E10value_typeET2_T3_PNSH_ISM_E10value_typeET4_T5_PSR_SS_PNS1_23onesweep_lookback_stateEbbT6_jjT7_P12ihipStream_tbENKUlT_T0_SG_SL_E_clIS7_S7_PlSB_EEDaSZ_S10_SG_SL_EUlSZ_E_NS1_11comp_targetILNS1_3genE3ELNS1_11target_archE908ELNS1_3gpuE7ELNS1_3repE0EEENS1_47radix_sort_onesweep_sort_config_static_selectorELNS0_4arch9wavefront6targetE1EEEvSG_ ; -- Begin function _ZN7rocprim17ROCPRIM_400000_NS6detail17trampoline_kernelINS0_14default_configENS1_35radix_sort_onesweep_config_selectorIdlEEZZNS1_29radix_sort_onesweep_iterationIS3_Lb0EPdS7_N6thrust23THRUST_200600_302600_NS10device_ptrIlEESB_jNS0_19identity_decomposerENS1_16block_id_wrapperIjLb0EEEEE10hipError_tT1_PNSt15iterator_traitsISG_E10value_typeET2_T3_PNSH_ISM_E10value_typeET4_T5_PSR_SS_PNS1_23onesweep_lookback_stateEbbT6_jjT7_P12ihipStream_tbENKUlT_T0_SG_SL_E_clIS7_S7_PlSB_EEDaSZ_S10_SG_SL_EUlSZ_E_NS1_11comp_targetILNS1_3genE3ELNS1_11target_archE908ELNS1_3gpuE7ELNS1_3repE0EEENS1_47radix_sort_onesweep_sort_config_static_selectorELNS0_4arch9wavefront6targetE1EEEvSG_
	.globl	_ZN7rocprim17ROCPRIM_400000_NS6detail17trampoline_kernelINS0_14default_configENS1_35radix_sort_onesweep_config_selectorIdlEEZZNS1_29radix_sort_onesweep_iterationIS3_Lb0EPdS7_N6thrust23THRUST_200600_302600_NS10device_ptrIlEESB_jNS0_19identity_decomposerENS1_16block_id_wrapperIjLb0EEEEE10hipError_tT1_PNSt15iterator_traitsISG_E10value_typeET2_T3_PNSH_ISM_E10value_typeET4_T5_PSR_SS_PNS1_23onesweep_lookback_stateEbbT6_jjT7_P12ihipStream_tbENKUlT_T0_SG_SL_E_clIS7_S7_PlSB_EEDaSZ_S10_SG_SL_EUlSZ_E_NS1_11comp_targetILNS1_3genE3ELNS1_11target_archE908ELNS1_3gpuE7ELNS1_3repE0EEENS1_47radix_sort_onesweep_sort_config_static_selectorELNS0_4arch9wavefront6targetE1EEEvSG_
	.p2align	8
	.type	_ZN7rocprim17ROCPRIM_400000_NS6detail17trampoline_kernelINS0_14default_configENS1_35radix_sort_onesweep_config_selectorIdlEEZZNS1_29radix_sort_onesweep_iterationIS3_Lb0EPdS7_N6thrust23THRUST_200600_302600_NS10device_ptrIlEESB_jNS0_19identity_decomposerENS1_16block_id_wrapperIjLb0EEEEE10hipError_tT1_PNSt15iterator_traitsISG_E10value_typeET2_T3_PNSH_ISM_E10value_typeET4_T5_PSR_SS_PNS1_23onesweep_lookback_stateEbbT6_jjT7_P12ihipStream_tbENKUlT_T0_SG_SL_E_clIS7_S7_PlSB_EEDaSZ_S10_SG_SL_EUlSZ_E_NS1_11comp_targetILNS1_3genE3ELNS1_11target_archE908ELNS1_3gpuE7ELNS1_3repE0EEENS1_47radix_sort_onesweep_sort_config_static_selectorELNS0_4arch9wavefront6targetE1EEEvSG_,@function
_ZN7rocprim17ROCPRIM_400000_NS6detail17trampoline_kernelINS0_14default_configENS1_35radix_sort_onesweep_config_selectorIdlEEZZNS1_29radix_sort_onesweep_iterationIS3_Lb0EPdS7_N6thrust23THRUST_200600_302600_NS10device_ptrIlEESB_jNS0_19identity_decomposerENS1_16block_id_wrapperIjLb0EEEEE10hipError_tT1_PNSt15iterator_traitsISG_E10value_typeET2_T3_PNSH_ISM_E10value_typeET4_T5_PSR_SS_PNS1_23onesweep_lookback_stateEbbT6_jjT7_P12ihipStream_tbENKUlT_T0_SG_SL_E_clIS7_S7_PlSB_EEDaSZ_S10_SG_SL_EUlSZ_E_NS1_11comp_targetILNS1_3genE3ELNS1_11target_archE908ELNS1_3gpuE7ELNS1_3repE0EEENS1_47radix_sort_onesweep_sort_config_static_selectorELNS0_4arch9wavefront6targetE1EEEvSG_: ; @_ZN7rocprim17ROCPRIM_400000_NS6detail17trampoline_kernelINS0_14default_configENS1_35radix_sort_onesweep_config_selectorIdlEEZZNS1_29radix_sort_onesweep_iterationIS3_Lb0EPdS7_N6thrust23THRUST_200600_302600_NS10device_ptrIlEESB_jNS0_19identity_decomposerENS1_16block_id_wrapperIjLb0EEEEE10hipError_tT1_PNSt15iterator_traitsISG_E10value_typeET2_T3_PNSH_ISM_E10value_typeET4_T5_PSR_SS_PNS1_23onesweep_lookback_stateEbbT6_jjT7_P12ihipStream_tbENKUlT_T0_SG_SL_E_clIS7_S7_PlSB_EEDaSZ_S10_SG_SL_EUlSZ_E_NS1_11comp_targetILNS1_3genE3ELNS1_11target_archE908ELNS1_3gpuE7ELNS1_3repE0EEENS1_47radix_sort_onesweep_sort_config_static_selectorELNS0_4arch9wavefront6targetE1EEEvSG_
; %bb.0:
	.section	.rodata,"a",@progbits
	.p2align	6, 0x0
	.amdhsa_kernel _ZN7rocprim17ROCPRIM_400000_NS6detail17trampoline_kernelINS0_14default_configENS1_35radix_sort_onesweep_config_selectorIdlEEZZNS1_29radix_sort_onesweep_iterationIS3_Lb0EPdS7_N6thrust23THRUST_200600_302600_NS10device_ptrIlEESB_jNS0_19identity_decomposerENS1_16block_id_wrapperIjLb0EEEEE10hipError_tT1_PNSt15iterator_traitsISG_E10value_typeET2_T3_PNSH_ISM_E10value_typeET4_T5_PSR_SS_PNS1_23onesweep_lookback_stateEbbT6_jjT7_P12ihipStream_tbENKUlT_T0_SG_SL_E_clIS7_S7_PlSB_EEDaSZ_S10_SG_SL_EUlSZ_E_NS1_11comp_targetILNS1_3genE3ELNS1_11target_archE908ELNS1_3gpuE7ELNS1_3repE0EEENS1_47radix_sort_onesweep_sort_config_static_selectorELNS0_4arch9wavefront6targetE1EEEvSG_
		.amdhsa_group_segment_fixed_size 0
		.amdhsa_private_segment_fixed_size 0
		.amdhsa_kernarg_size 88
		.amdhsa_user_sgpr_count 6
		.amdhsa_user_sgpr_private_segment_buffer 1
		.amdhsa_user_sgpr_dispatch_ptr 0
		.amdhsa_user_sgpr_queue_ptr 0
		.amdhsa_user_sgpr_kernarg_segment_ptr 1
		.amdhsa_user_sgpr_dispatch_id 0
		.amdhsa_user_sgpr_flat_scratch_init 0
		.amdhsa_user_sgpr_private_segment_size 0
		.amdhsa_uses_dynamic_stack 0
		.amdhsa_system_sgpr_private_segment_wavefront_offset 0
		.amdhsa_system_sgpr_workgroup_id_x 1
		.amdhsa_system_sgpr_workgroup_id_y 0
		.amdhsa_system_sgpr_workgroup_id_z 0
		.amdhsa_system_sgpr_workgroup_info 0
		.amdhsa_system_vgpr_workitem_id 0
		.amdhsa_next_free_vgpr 1
		.amdhsa_next_free_sgpr 0
		.amdhsa_reserve_vcc 0
		.amdhsa_reserve_flat_scratch 0
		.amdhsa_float_round_mode_32 0
		.amdhsa_float_round_mode_16_64 0
		.amdhsa_float_denorm_mode_32 3
		.amdhsa_float_denorm_mode_16_64 3
		.amdhsa_dx10_clamp 1
		.amdhsa_ieee_mode 1
		.amdhsa_fp16_overflow 0
		.amdhsa_exception_fp_ieee_invalid_op 0
		.amdhsa_exception_fp_denorm_src 0
		.amdhsa_exception_fp_ieee_div_zero 0
		.amdhsa_exception_fp_ieee_overflow 0
		.amdhsa_exception_fp_ieee_underflow 0
		.amdhsa_exception_fp_ieee_inexact 0
		.amdhsa_exception_int_div_zero 0
	.end_amdhsa_kernel
	.section	.text._ZN7rocprim17ROCPRIM_400000_NS6detail17trampoline_kernelINS0_14default_configENS1_35radix_sort_onesweep_config_selectorIdlEEZZNS1_29radix_sort_onesweep_iterationIS3_Lb0EPdS7_N6thrust23THRUST_200600_302600_NS10device_ptrIlEESB_jNS0_19identity_decomposerENS1_16block_id_wrapperIjLb0EEEEE10hipError_tT1_PNSt15iterator_traitsISG_E10value_typeET2_T3_PNSH_ISM_E10value_typeET4_T5_PSR_SS_PNS1_23onesweep_lookback_stateEbbT6_jjT7_P12ihipStream_tbENKUlT_T0_SG_SL_E_clIS7_S7_PlSB_EEDaSZ_S10_SG_SL_EUlSZ_E_NS1_11comp_targetILNS1_3genE3ELNS1_11target_archE908ELNS1_3gpuE7ELNS1_3repE0EEENS1_47radix_sort_onesweep_sort_config_static_selectorELNS0_4arch9wavefront6targetE1EEEvSG_,"axG",@progbits,_ZN7rocprim17ROCPRIM_400000_NS6detail17trampoline_kernelINS0_14default_configENS1_35radix_sort_onesweep_config_selectorIdlEEZZNS1_29radix_sort_onesweep_iterationIS3_Lb0EPdS7_N6thrust23THRUST_200600_302600_NS10device_ptrIlEESB_jNS0_19identity_decomposerENS1_16block_id_wrapperIjLb0EEEEE10hipError_tT1_PNSt15iterator_traitsISG_E10value_typeET2_T3_PNSH_ISM_E10value_typeET4_T5_PSR_SS_PNS1_23onesweep_lookback_stateEbbT6_jjT7_P12ihipStream_tbENKUlT_T0_SG_SL_E_clIS7_S7_PlSB_EEDaSZ_S10_SG_SL_EUlSZ_E_NS1_11comp_targetILNS1_3genE3ELNS1_11target_archE908ELNS1_3gpuE7ELNS1_3repE0EEENS1_47radix_sort_onesweep_sort_config_static_selectorELNS0_4arch9wavefront6targetE1EEEvSG_,comdat
.Lfunc_end1666:
	.size	_ZN7rocprim17ROCPRIM_400000_NS6detail17trampoline_kernelINS0_14default_configENS1_35radix_sort_onesweep_config_selectorIdlEEZZNS1_29radix_sort_onesweep_iterationIS3_Lb0EPdS7_N6thrust23THRUST_200600_302600_NS10device_ptrIlEESB_jNS0_19identity_decomposerENS1_16block_id_wrapperIjLb0EEEEE10hipError_tT1_PNSt15iterator_traitsISG_E10value_typeET2_T3_PNSH_ISM_E10value_typeET4_T5_PSR_SS_PNS1_23onesweep_lookback_stateEbbT6_jjT7_P12ihipStream_tbENKUlT_T0_SG_SL_E_clIS7_S7_PlSB_EEDaSZ_S10_SG_SL_EUlSZ_E_NS1_11comp_targetILNS1_3genE3ELNS1_11target_archE908ELNS1_3gpuE7ELNS1_3repE0EEENS1_47radix_sort_onesweep_sort_config_static_selectorELNS0_4arch9wavefront6targetE1EEEvSG_, .Lfunc_end1666-_ZN7rocprim17ROCPRIM_400000_NS6detail17trampoline_kernelINS0_14default_configENS1_35radix_sort_onesweep_config_selectorIdlEEZZNS1_29radix_sort_onesweep_iterationIS3_Lb0EPdS7_N6thrust23THRUST_200600_302600_NS10device_ptrIlEESB_jNS0_19identity_decomposerENS1_16block_id_wrapperIjLb0EEEEE10hipError_tT1_PNSt15iterator_traitsISG_E10value_typeET2_T3_PNSH_ISM_E10value_typeET4_T5_PSR_SS_PNS1_23onesweep_lookback_stateEbbT6_jjT7_P12ihipStream_tbENKUlT_T0_SG_SL_E_clIS7_S7_PlSB_EEDaSZ_S10_SG_SL_EUlSZ_E_NS1_11comp_targetILNS1_3genE3ELNS1_11target_archE908ELNS1_3gpuE7ELNS1_3repE0EEENS1_47radix_sort_onesweep_sort_config_static_selectorELNS0_4arch9wavefront6targetE1EEEvSG_
                                        ; -- End function
	.set _ZN7rocprim17ROCPRIM_400000_NS6detail17trampoline_kernelINS0_14default_configENS1_35radix_sort_onesweep_config_selectorIdlEEZZNS1_29radix_sort_onesweep_iterationIS3_Lb0EPdS7_N6thrust23THRUST_200600_302600_NS10device_ptrIlEESB_jNS0_19identity_decomposerENS1_16block_id_wrapperIjLb0EEEEE10hipError_tT1_PNSt15iterator_traitsISG_E10value_typeET2_T3_PNSH_ISM_E10value_typeET4_T5_PSR_SS_PNS1_23onesweep_lookback_stateEbbT6_jjT7_P12ihipStream_tbENKUlT_T0_SG_SL_E_clIS7_S7_PlSB_EEDaSZ_S10_SG_SL_EUlSZ_E_NS1_11comp_targetILNS1_3genE3ELNS1_11target_archE908ELNS1_3gpuE7ELNS1_3repE0EEENS1_47radix_sort_onesweep_sort_config_static_selectorELNS0_4arch9wavefront6targetE1EEEvSG_.num_vgpr, 0
	.set _ZN7rocprim17ROCPRIM_400000_NS6detail17trampoline_kernelINS0_14default_configENS1_35radix_sort_onesweep_config_selectorIdlEEZZNS1_29radix_sort_onesweep_iterationIS3_Lb0EPdS7_N6thrust23THRUST_200600_302600_NS10device_ptrIlEESB_jNS0_19identity_decomposerENS1_16block_id_wrapperIjLb0EEEEE10hipError_tT1_PNSt15iterator_traitsISG_E10value_typeET2_T3_PNSH_ISM_E10value_typeET4_T5_PSR_SS_PNS1_23onesweep_lookback_stateEbbT6_jjT7_P12ihipStream_tbENKUlT_T0_SG_SL_E_clIS7_S7_PlSB_EEDaSZ_S10_SG_SL_EUlSZ_E_NS1_11comp_targetILNS1_3genE3ELNS1_11target_archE908ELNS1_3gpuE7ELNS1_3repE0EEENS1_47radix_sort_onesweep_sort_config_static_selectorELNS0_4arch9wavefront6targetE1EEEvSG_.num_agpr, 0
	.set _ZN7rocprim17ROCPRIM_400000_NS6detail17trampoline_kernelINS0_14default_configENS1_35radix_sort_onesweep_config_selectorIdlEEZZNS1_29radix_sort_onesweep_iterationIS3_Lb0EPdS7_N6thrust23THRUST_200600_302600_NS10device_ptrIlEESB_jNS0_19identity_decomposerENS1_16block_id_wrapperIjLb0EEEEE10hipError_tT1_PNSt15iterator_traitsISG_E10value_typeET2_T3_PNSH_ISM_E10value_typeET4_T5_PSR_SS_PNS1_23onesweep_lookback_stateEbbT6_jjT7_P12ihipStream_tbENKUlT_T0_SG_SL_E_clIS7_S7_PlSB_EEDaSZ_S10_SG_SL_EUlSZ_E_NS1_11comp_targetILNS1_3genE3ELNS1_11target_archE908ELNS1_3gpuE7ELNS1_3repE0EEENS1_47radix_sort_onesweep_sort_config_static_selectorELNS0_4arch9wavefront6targetE1EEEvSG_.numbered_sgpr, 0
	.set _ZN7rocprim17ROCPRIM_400000_NS6detail17trampoline_kernelINS0_14default_configENS1_35radix_sort_onesweep_config_selectorIdlEEZZNS1_29radix_sort_onesweep_iterationIS3_Lb0EPdS7_N6thrust23THRUST_200600_302600_NS10device_ptrIlEESB_jNS0_19identity_decomposerENS1_16block_id_wrapperIjLb0EEEEE10hipError_tT1_PNSt15iterator_traitsISG_E10value_typeET2_T3_PNSH_ISM_E10value_typeET4_T5_PSR_SS_PNS1_23onesweep_lookback_stateEbbT6_jjT7_P12ihipStream_tbENKUlT_T0_SG_SL_E_clIS7_S7_PlSB_EEDaSZ_S10_SG_SL_EUlSZ_E_NS1_11comp_targetILNS1_3genE3ELNS1_11target_archE908ELNS1_3gpuE7ELNS1_3repE0EEENS1_47radix_sort_onesweep_sort_config_static_selectorELNS0_4arch9wavefront6targetE1EEEvSG_.num_named_barrier, 0
	.set _ZN7rocprim17ROCPRIM_400000_NS6detail17trampoline_kernelINS0_14default_configENS1_35radix_sort_onesweep_config_selectorIdlEEZZNS1_29radix_sort_onesweep_iterationIS3_Lb0EPdS7_N6thrust23THRUST_200600_302600_NS10device_ptrIlEESB_jNS0_19identity_decomposerENS1_16block_id_wrapperIjLb0EEEEE10hipError_tT1_PNSt15iterator_traitsISG_E10value_typeET2_T3_PNSH_ISM_E10value_typeET4_T5_PSR_SS_PNS1_23onesweep_lookback_stateEbbT6_jjT7_P12ihipStream_tbENKUlT_T0_SG_SL_E_clIS7_S7_PlSB_EEDaSZ_S10_SG_SL_EUlSZ_E_NS1_11comp_targetILNS1_3genE3ELNS1_11target_archE908ELNS1_3gpuE7ELNS1_3repE0EEENS1_47radix_sort_onesweep_sort_config_static_selectorELNS0_4arch9wavefront6targetE1EEEvSG_.private_seg_size, 0
	.set _ZN7rocprim17ROCPRIM_400000_NS6detail17trampoline_kernelINS0_14default_configENS1_35radix_sort_onesweep_config_selectorIdlEEZZNS1_29radix_sort_onesweep_iterationIS3_Lb0EPdS7_N6thrust23THRUST_200600_302600_NS10device_ptrIlEESB_jNS0_19identity_decomposerENS1_16block_id_wrapperIjLb0EEEEE10hipError_tT1_PNSt15iterator_traitsISG_E10value_typeET2_T3_PNSH_ISM_E10value_typeET4_T5_PSR_SS_PNS1_23onesweep_lookback_stateEbbT6_jjT7_P12ihipStream_tbENKUlT_T0_SG_SL_E_clIS7_S7_PlSB_EEDaSZ_S10_SG_SL_EUlSZ_E_NS1_11comp_targetILNS1_3genE3ELNS1_11target_archE908ELNS1_3gpuE7ELNS1_3repE0EEENS1_47radix_sort_onesweep_sort_config_static_selectorELNS0_4arch9wavefront6targetE1EEEvSG_.uses_vcc, 0
	.set _ZN7rocprim17ROCPRIM_400000_NS6detail17trampoline_kernelINS0_14default_configENS1_35radix_sort_onesweep_config_selectorIdlEEZZNS1_29radix_sort_onesweep_iterationIS3_Lb0EPdS7_N6thrust23THRUST_200600_302600_NS10device_ptrIlEESB_jNS0_19identity_decomposerENS1_16block_id_wrapperIjLb0EEEEE10hipError_tT1_PNSt15iterator_traitsISG_E10value_typeET2_T3_PNSH_ISM_E10value_typeET4_T5_PSR_SS_PNS1_23onesweep_lookback_stateEbbT6_jjT7_P12ihipStream_tbENKUlT_T0_SG_SL_E_clIS7_S7_PlSB_EEDaSZ_S10_SG_SL_EUlSZ_E_NS1_11comp_targetILNS1_3genE3ELNS1_11target_archE908ELNS1_3gpuE7ELNS1_3repE0EEENS1_47radix_sort_onesweep_sort_config_static_selectorELNS0_4arch9wavefront6targetE1EEEvSG_.uses_flat_scratch, 0
	.set _ZN7rocprim17ROCPRIM_400000_NS6detail17trampoline_kernelINS0_14default_configENS1_35radix_sort_onesweep_config_selectorIdlEEZZNS1_29radix_sort_onesweep_iterationIS3_Lb0EPdS7_N6thrust23THRUST_200600_302600_NS10device_ptrIlEESB_jNS0_19identity_decomposerENS1_16block_id_wrapperIjLb0EEEEE10hipError_tT1_PNSt15iterator_traitsISG_E10value_typeET2_T3_PNSH_ISM_E10value_typeET4_T5_PSR_SS_PNS1_23onesweep_lookback_stateEbbT6_jjT7_P12ihipStream_tbENKUlT_T0_SG_SL_E_clIS7_S7_PlSB_EEDaSZ_S10_SG_SL_EUlSZ_E_NS1_11comp_targetILNS1_3genE3ELNS1_11target_archE908ELNS1_3gpuE7ELNS1_3repE0EEENS1_47radix_sort_onesweep_sort_config_static_selectorELNS0_4arch9wavefront6targetE1EEEvSG_.has_dyn_sized_stack, 0
	.set _ZN7rocprim17ROCPRIM_400000_NS6detail17trampoline_kernelINS0_14default_configENS1_35radix_sort_onesweep_config_selectorIdlEEZZNS1_29radix_sort_onesweep_iterationIS3_Lb0EPdS7_N6thrust23THRUST_200600_302600_NS10device_ptrIlEESB_jNS0_19identity_decomposerENS1_16block_id_wrapperIjLb0EEEEE10hipError_tT1_PNSt15iterator_traitsISG_E10value_typeET2_T3_PNSH_ISM_E10value_typeET4_T5_PSR_SS_PNS1_23onesweep_lookback_stateEbbT6_jjT7_P12ihipStream_tbENKUlT_T0_SG_SL_E_clIS7_S7_PlSB_EEDaSZ_S10_SG_SL_EUlSZ_E_NS1_11comp_targetILNS1_3genE3ELNS1_11target_archE908ELNS1_3gpuE7ELNS1_3repE0EEENS1_47radix_sort_onesweep_sort_config_static_selectorELNS0_4arch9wavefront6targetE1EEEvSG_.has_recursion, 0
	.set _ZN7rocprim17ROCPRIM_400000_NS6detail17trampoline_kernelINS0_14default_configENS1_35radix_sort_onesweep_config_selectorIdlEEZZNS1_29radix_sort_onesweep_iterationIS3_Lb0EPdS7_N6thrust23THRUST_200600_302600_NS10device_ptrIlEESB_jNS0_19identity_decomposerENS1_16block_id_wrapperIjLb0EEEEE10hipError_tT1_PNSt15iterator_traitsISG_E10value_typeET2_T3_PNSH_ISM_E10value_typeET4_T5_PSR_SS_PNS1_23onesweep_lookback_stateEbbT6_jjT7_P12ihipStream_tbENKUlT_T0_SG_SL_E_clIS7_S7_PlSB_EEDaSZ_S10_SG_SL_EUlSZ_E_NS1_11comp_targetILNS1_3genE3ELNS1_11target_archE908ELNS1_3gpuE7ELNS1_3repE0EEENS1_47radix_sort_onesweep_sort_config_static_selectorELNS0_4arch9wavefront6targetE1EEEvSG_.has_indirect_call, 0
	.section	.AMDGPU.csdata,"",@progbits
; Kernel info:
; codeLenInByte = 0
; TotalNumSgprs: 4
; NumVgprs: 0
; ScratchSize: 0
; MemoryBound: 0
; FloatMode: 240
; IeeeMode: 1
; LDSByteSize: 0 bytes/workgroup (compile time only)
; SGPRBlocks: 0
; VGPRBlocks: 0
; NumSGPRsForWavesPerEU: 4
; NumVGPRsForWavesPerEU: 1
; Occupancy: 10
; WaveLimiterHint : 0
; COMPUTE_PGM_RSRC2:SCRATCH_EN: 0
; COMPUTE_PGM_RSRC2:USER_SGPR: 6
; COMPUTE_PGM_RSRC2:TRAP_HANDLER: 0
; COMPUTE_PGM_RSRC2:TGID_X_EN: 1
; COMPUTE_PGM_RSRC2:TGID_Y_EN: 0
; COMPUTE_PGM_RSRC2:TGID_Z_EN: 0
; COMPUTE_PGM_RSRC2:TIDIG_COMP_CNT: 0
	.section	.text._ZN7rocprim17ROCPRIM_400000_NS6detail17trampoline_kernelINS0_14default_configENS1_35radix_sort_onesweep_config_selectorIdlEEZZNS1_29radix_sort_onesweep_iterationIS3_Lb0EPdS7_N6thrust23THRUST_200600_302600_NS10device_ptrIlEESB_jNS0_19identity_decomposerENS1_16block_id_wrapperIjLb0EEEEE10hipError_tT1_PNSt15iterator_traitsISG_E10value_typeET2_T3_PNSH_ISM_E10value_typeET4_T5_PSR_SS_PNS1_23onesweep_lookback_stateEbbT6_jjT7_P12ihipStream_tbENKUlT_T0_SG_SL_E_clIS7_S7_PlSB_EEDaSZ_S10_SG_SL_EUlSZ_E_NS1_11comp_targetILNS1_3genE10ELNS1_11target_archE1201ELNS1_3gpuE5ELNS1_3repE0EEENS1_47radix_sort_onesweep_sort_config_static_selectorELNS0_4arch9wavefront6targetE1EEEvSG_,"axG",@progbits,_ZN7rocprim17ROCPRIM_400000_NS6detail17trampoline_kernelINS0_14default_configENS1_35radix_sort_onesweep_config_selectorIdlEEZZNS1_29radix_sort_onesweep_iterationIS3_Lb0EPdS7_N6thrust23THRUST_200600_302600_NS10device_ptrIlEESB_jNS0_19identity_decomposerENS1_16block_id_wrapperIjLb0EEEEE10hipError_tT1_PNSt15iterator_traitsISG_E10value_typeET2_T3_PNSH_ISM_E10value_typeET4_T5_PSR_SS_PNS1_23onesweep_lookback_stateEbbT6_jjT7_P12ihipStream_tbENKUlT_T0_SG_SL_E_clIS7_S7_PlSB_EEDaSZ_S10_SG_SL_EUlSZ_E_NS1_11comp_targetILNS1_3genE10ELNS1_11target_archE1201ELNS1_3gpuE5ELNS1_3repE0EEENS1_47radix_sort_onesweep_sort_config_static_selectorELNS0_4arch9wavefront6targetE1EEEvSG_,comdat
	.protected	_ZN7rocprim17ROCPRIM_400000_NS6detail17trampoline_kernelINS0_14default_configENS1_35radix_sort_onesweep_config_selectorIdlEEZZNS1_29radix_sort_onesweep_iterationIS3_Lb0EPdS7_N6thrust23THRUST_200600_302600_NS10device_ptrIlEESB_jNS0_19identity_decomposerENS1_16block_id_wrapperIjLb0EEEEE10hipError_tT1_PNSt15iterator_traitsISG_E10value_typeET2_T3_PNSH_ISM_E10value_typeET4_T5_PSR_SS_PNS1_23onesweep_lookback_stateEbbT6_jjT7_P12ihipStream_tbENKUlT_T0_SG_SL_E_clIS7_S7_PlSB_EEDaSZ_S10_SG_SL_EUlSZ_E_NS1_11comp_targetILNS1_3genE10ELNS1_11target_archE1201ELNS1_3gpuE5ELNS1_3repE0EEENS1_47radix_sort_onesweep_sort_config_static_selectorELNS0_4arch9wavefront6targetE1EEEvSG_ ; -- Begin function _ZN7rocprim17ROCPRIM_400000_NS6detail17trampoline_kernelINS0_14default_configENS1_35radix_sort_onesweep_config_selectorIdlEEZZNS1_29radix_sort_onesweep_iterationIS3_Lb0EPdS7_N6thrust23THRUST_200600_302600_NS10device_ptrIlEESB_jNS0_19identity_decomposerENS1_16block_id_wrapperIjLb0EEEEE10hipError_tT1_PNSt15iterator_traitsISG_E10value_typeET2_T3_PNSH_ISM_E10value_typeET4_T5_PSR_SS_PNS1_23onesweep_lookback_stateEbbT6_jjT7_P12ihipStream_tbENKUlT_T0_SG_SL_E_clIS7_S7_PlSB_EEDaSZ_S10_SG_SL_EUlSZ_E_NS1_11comp_targetILNS1_3genE10ELNS1_11target_archE1201ELNS1_3gpuE5ELNS1_3repE0EEENS1_47radix_sort_onesweep_sort_config_static_selectorELNS0_4arch9wavefront6targetE1EEEvSG_
	.globl	_ZN7rocprim17ROCPRIM_400000_NS6detail17trampoline_kernelINS0_14default_configENS1_35radix_sort_onesweep_config_selectorIdlEEZZNS1_29radix_sort_onesweep_iterationIS3_Lb0EPdS7_N6thrust23THRUST_200600_302600_NS10device_ptrIlEESB_jNS0_19identity_decomposerENS1_16block_id_wrapperIjLb0EEEEE10hipError_tT1_PNSt15iterator_traitsISG_E10value_typeET2_T3_PNSH_ISM_E10value_typeET4_T5_PSR_SS_PNS1_23onesweep_lookback_stateEbbT6_jjT7_P12ihipStream_tbENKUlT_T0_SG_SL_E_clIS7_S7_PlSB_EEDaSZ_S10_SG_SL_EUlSZ_E_NS1_11comp_targetILNS1_3genE10ELNS1_11target_archE1201ELNS1_3gpuE5ELNS1_3repE0EEENS1_47radix_sort_onesweep_sort_config_static_selectorELNS0_4arch9wavefront6targetE1EEEvSG_
	.p2align	8
	.type	_ZN7rocprim17ROCPRIM_400000_NS6detail17trampoline_kernelINS0_14default_configENS1_35radix_sort_onesweep_config_selectorIdlEEZZNS1_29radix_sort_onesweep_iterationIS3_Lb0EPdS7_N6thrust23THRUST_200600_302600_NS10device_ptrIlEESB_jNS0_19identity_decomposerENS1_16block_id_wrapperIjLb0EEEEE10hipError_tT1_PNSt15iterator_traitsISG_E10value_typeET2_T3_PNSH_ISM_E10value_typeET4_T5_PSR_SS_PNS1_23onesweep_lookback_stateEbbT6_jjT7_P12ihipStream_tbENKUlT_T0_SG_SL_E_clIS7_S7_PlSB_EEDaSZ_S10_SG_SL_EUlSZ_E_NS1_11comp_targetILNS1_3genE10ELNS1_11target_archE1201ELNS1_3gpuE5ELNS1_3repE0EEENS1_47radix_sort_onesweep_sort_config_static_selectorELNS0_4arch9wavefront6targetE1EEEvSG_,@function
_ZN7rocprim17ROCPRIM_400000_NS6detail17trampoline_kernelINS0_14default_configENS1_35radix_sort_onesweep_config_selectorIdlEEZZNS1_29radix_sort_onesweep_iterationIS3_Lb0EPdS7_N6thrust23THRUST_200600_302600_NS10device_ptrIlEESB_jNS0_19identity_decomposerENS1_16block_id_wrapperIjLb0EEEEE10hipError_tT1_PNSt15iterator_traitsISG_E10value_typeET2_T3_PNSH_ISM_E10value_typeET4_T5_PSR_SS_PNS1_23onesweep_lookback_stateEbbT6_jjT7_P12ihipStream_tbENKUlT_T0_SG_SL_E_clIS7_S7_PlSB_EEDaSZ_S10_SG_SL_EUlSZ_E_NS1_11comp_targetILNS1_3genE10ELNS1_11target_archE1201ELNS1_3gpuE5ELNS1_3repE0EEENS1_47radix_sort_onesweep_sort_config_static_selectorELNS0_4arch9wavefront6targetE1EEEvSG_: ; @_ZN7rocprim17ROCPRIM_400000_NS6detail17trampoline_kernelINS0_14default_configENS1_35radix_sort_onesweep_config_selectorIdlEEZZNS1_29radix_sort_onesweep_iterationIS3_Lb0EPdS7_N6thrust23THRUST_200600_302600_NS10device_ptrIlEESB_jNS0_19identity_decomposerENS1_16block_id_wrapperIjLb0EEEEE10hipError_tT1_PNSt15iterator_traitsISG_E10value_typeET2_T3_PNSH_ISM_E10value_typeET4_T5_PSR_SS_PNS1_23onesweep_lookback_stateEbbT6_jjT7_P12ihipStream_tbENKUlT_T0_SG_SL_E_clIS7_S7_PlSB_EEDaSZ_S10_SG_SL_EUlSZ_E_NS1_11comp_targetILNS1_3genE10ELNS1_11target_archE1201ELNS1_3gpuE5ELNS1_3repE0EEENS1_47radix_sort_onesweep_sort_config_static_selectorELNS0_4arch9wavefront6targetE1EEEvSG_
; %bb.0:
	.section	.rodata,"a",@progbits
	.p2align	6, 0x0
	.amdhsa_kernel _ZN7rocprim17ROCPRIM_400000_NS6detail17trampoline_kernelINS0_14default_configENS1_35radix_sort_onesweep_config_selectorIdlEEZZNS1_29radix_sort_onesweep_iterationIS3_Lb0EPdS7_N6thrust23THRUST_200600_302600_NS10device_ptrIlEESB_jNS0_19identity_decomposerENS1_16block_id_wrapperIjLb0EEEEE10hipError_tT1_PNSt15iterator_traitsISG_E10value_typeET2_T3_PNSH_ISM_E10value_typeET4_T5_PSR_SS_PNS1_23onesweep_lookback_stateEbbT6_jjT7_P12ihipStream_tbENKUlT_T0_SG_SL_E_clIS7_S7_PlSB_EEDaSZ_S10_SG_SL_EUlSZ_E_NS1_11comp_targetILNS1_3genE10ELNS1_11target_archE1201ELNS1_3gpuE5ELNS1_3repE0EEENS1_47radix_sort_onesweep_sort_config_static_selectorELNS0_4arch9wavefront6targetE1EEEvSG_
		.amdhsa_group_segment_fixed_size 0
		.amdhsa_private_segment_fixed_size 0
		.amdhsa_kernarg_size 88
		.amdhsa_user_sgpr_count 6
		.amdhsa_user_sgpr_private_segment_buffer 1
		.amdhsa_user_sgpr_dispatch_ptr 0
		.amdhsa_user_sgpr_queue_ptr 0
		.amdhsa_user_sgpr_kernarg_segment_ptr 1
		.amdhsa_user_sgpr_dispatch_id 0
		.amdhsa_user_sgpr_flat_scratch_init 0
		.amdhsa_user_sgpr_private_segment_size 0
		.amdhsa_uses_dynamic_stack 0
		.amdhsa_system_sgpr_private_segment_wavefront_offset 0
		.amdhsa_system_sgpr_workgroup_id_x 1
		.amdhsa_system_sgpr_workgroup_id_y 0
		.amdhsa_system_sgpr_workgroup_id_z 0
		.amdhsa_system_sgpr_workgroup_info 0
		.amdhsa_system_vgpr_workitem_id 0
		.amdhsa_next_free_vgpr 1
		.amdhsa_next_free_sgpr 0
		.amdhsa_reserve_vcc 0
		.amdhsa_reserve_flat_scratch 0
		.amdhsa_float_round_mode_32 0
		.amdhsa_float_round_mode_16_64 0
		.amdhsa_float_denorm_mode_32 3
		.amdhsa_float_denorm_mode_16_64 3
		.amdhsa_dx10_clamp 1
		.amdhsa_ieee_mode 1
		.amdhsa_fp16_overflow 0
		.amdhsa_exception_fp_ieee_invalid_op 0
		.amdhsa_exception_fp_denorm_src 0
		.amdhsa_exception_fp_ieee_div_zero 0
		.amdhsa_exception_fp_ieee_overflow 0
		.amdhsa_exception_fp_ieee_underflow 0
		.amdhsa_exception_fp_ieee_inexact 0
		.amdhsa_exception_int_div_zero 0
	.end_amdhsa_kernel
	.section	.text._ZN7rocprim17ROCPRIM_400000_NS6detail17trampoline_kernelINS0_14default_configENS1_35radix_sort_onesweep_config_selectorIdlEEZZNS1_29radix_sort_onesweep_iterationIS3_Lb0EPdS7_N6thrust23THRUST_200600_302600_NS10device_ptrIlEESB_jNS0_19identity_decomposerENS1_16block_id_wrapperIjLb0EEEEE10hipError_tT1_PNSt15iterator_traitsISG_E10value_typeET2_T3_PNSH_ISM_E10value_typeET4_T5_PSR_SS_PNS1_23onesweep_lookback_stateEbbT6_jjT7_P12ihipStream_tbENKUlT_T0_SG_SL_E_clIS7_S7_PlSB_EEDaSZ_S10_SG_SL_EUlSZ_E_NS1_11comp_targetILNS1_3genE10ELNS1_11target_archE1201ELNS1_3gpuE5ELNS1_3repE0EEENS1_47radix_sort_onesweep_sort_config_static_selectorELNS0_4arch9wavefront6targetE1EEEvSG_,"axG",@progbits,_ZN7rocprim17ROCPRIM_400000_NS6detail17trampoline_kernelINS0_14default_configENS1_35radix_sort_onesweep_config_selectorIdlEEZZNS1_29radix_sort_onesweep_iterationIS3_Lb0EPdS7_N6thrust23THRUST_200600_302600_NS10device_ptrIlEESB_jNS0_19identity_decomposerENS1_16block_id_wrapperIjLb0EEEEE10hipError_tT1_PNSt15iterator_traitsISG_E10value_typeET2_T3_PNSH_ISM_E10value_typeET4_T5_PSR_SS_PNS1_23onesweep_lookback_stateEbbT6_jjT7_P12ihipStream_tbENKUlT_T0_SG_SL_E_clIS7_S7_PlSB_EEDaSZ_S10_SG_SL_EUlSZ_E_NS1_11comp_targetILNS1_3genE10ELNS1_11target_archE1201ELNS1_3gpuE5ELNS1_3repE0EEENS1_47radix_sort_onesweep_sort_config_static_selectorELNS0_4arch9wavefront6targetE1EEEvSG_,comdat
.Lfunc_end1667:
	.size	_ZN7rocprim17ROCPRIM_400000_NS6detail17trampoline_kernelINS0_14default_configENS1_35radix_sort_onesweep_config_selectorIdlEEZZNS1_29radix_sort_onesweep_iterationIS3_Lb0EPdS7_N6thrust23THRUST_200600_302600_NS10device_ptrIlEESB_jNS0_19identity_decomposerENS1_16block_id_wrapperIjLb0EEEEE10hipError_tT1_PNSt15iterator_traitsISG_E10value_typeET2_T3_PNSH_ISM_E10value_typeET4_T5_PSR_SS_PNS1_23onesweep_lookback_stateEbbT6_jjT7_P12ihipStream_tbENKUlT_T0_SG_SL_E_clIS7_S7_PlSB_EEDaSZ_S10_SG_SL_EUlSZ_E_NS1_11comp_targetILNS1_3genE10ELNS1_11target_archE1201ELNS1_3gpuE5ELNS1_3repE0EEENS1_47radix_sort_onesweep_sort_config_static_selectorELNS0_4arch9wavefront6targetE1EEEvSG_, .Lfunc_end1667-_ZN7rocprim17ROCPRIM_400000_NS6detail17trampoline_kernelINS0_14default_configENS1_35radix_sort_onesweep_config_selectorIdlEEZZNS1_29radix_sort_onesweep_iterationIS3_Lb0EPdS7_N6thrust23THRUST_200600_302600_NS10device_ptrIlEESB_jNS0_19identity_decomposerENS1_16block_id_wrapperIjLb0EEEEE10hipError_tT1_PNSt15iterator_traitsISG_E10value_typeET2_T3_PNSH_ISM_E10value_typeET4_T5_PSR_SS_PNS1_23onesweep_lookback_stateEbbT6_jjT7_P12ihipStream_tbENKUlT_T0_SG_SL_E_clIS7_S7_PlSB_EEDaSZ_S10_SG_SL_EUlSZ_E_NS1_11comp_targetILNS1_3genE10ELNS1_11target_archE1201ELNS1_3gpuE5ELNS1_3repE0EEENS1_47radix_sort_onesweep_sort_config_static_selectorELNS0_4arch9wavefront6targetE1EEEvSG_
                                        ; -- End function
	.set _ZN7rocprim17ROCPRIM_400000_NS6detail17trampoline_kernelINS0_14default_configENS1_35radix_sort_onesweep_config_selectorIdlEEZZNS1_29radix_sort_onesweep_iterationIS3_Lb0EPdS7_N6thrust23THRUST_200600_302600_NS10device_ptrIlEESB_jNS0_19identity_decomposerENS1_16block_id_wrapperIjLb0EEEEE10hipError_tT1_PNSt15iterator_traitsISG_E10value_typeET2_T3_PNSH_ISM_E10value_typeET4_T5_PSR_SS_PNS1_23onesweep_lookback_stateEbbT6_jjT7_P12ihipStream_tbENKUlT_T0_SG_SL_E_clIS7_S7_PlSB_EEDaSZ_S10_SG_SL_EUlSZ_E_NS1_11comp_targetILNS1_3genE10ELNS1_11target_archE1201ELNS1_3gpuE5ELNS1_3repE0EEENS1_47radix_sort_onesweep_sort_config_static_selectorELNS0_4arch9wavefront6targetE1EEEvSG_.num_vgpr, 0
	.set _ZN7rocprim17ROCPRIM_400000_NS6detail17trampoline_kernelINS0_14default_configENS1_35radix_sort_onesweep_config_selectorIdlEEZZNS1_29radix_sort_onesweep_iterationIS3_Lb0EPdS7_N6thrust23THRUST_200600_302600_NS10device_ptrIlEESB_jNS0_19identity_decomposerENS1_16block_id_wrapperIjLb0EEEEE10hipError_tT1_PNSt15iterator_traitsISG_E10value_typeET2_T3_PNSH_ISM_E10value_typeET4_T5_PSR_SS_PNS1_23onesweep_lookback_stateEbbT6_jjT7_P12ihipStream_tbENKUlT_T0_SG_SL_E_clIS7_S7_PlSB_EEDaSZ_S10_SG_SL_EUlSZ_E_NS1_11comp_targetILNS1_3genE10ELNS1_11target_archE1201ELNS1_3gpuE5ELNS1_3repE0EEENS1_47radix_sort_onesweep_sort_config_static_selectorELNS0_4arch9wavefront6targetE1EEEvSG_.num_agpr, 0
	.set _ZN7rocprim17ROCPRIM_400000_NS6detail17trampoline_kernelINS0_14default_configENS1_35radix_sort_onesweep_config_selectorIdlEEZZNS1_29radix_sort_onesweep_iterationIS3_Lb0EPdS7_N6thrust23THRUST_200600_302600_NS10device_ptrIlEESB_jNS0_19identity_decomposerENS1_16block_id_wrapperIjLb0EEEEE10hipError_tT1_PNSt15iterator_traitsISG_E10value_typeET2_T3_PNSH_ISM_E10value_typeET4_T5_PSR_SS_PNS1_23onesweep_lookback_stateEbbT6_jjT7_P12ihipStream_tbENKUlT_T0_SG_SL_E_clIS7_S7_PlSB_EEDaSZ_S10_SG_SL_EUlSZ_E_NS1_11comp_targetILNS1_3genE10ELNS1_11target_archE1201ELNS1_3gpuE5ELNS1_3repE0EEENS1_47radix_sort_onesweep_sort_config_static_selectorELNS0_4arch9wavefront6targetE1EEEvSG_.numbered_sgpr, 0
	.set _ZN7rocprim17ROCPRIM_400000_NS6detail17trampoline_kernelINS0_14default_configENS1_35radix_sort_onesweep_config_selectorIdlEEZZNS1_29radix_sort_onesweep_iterationIS3_Lb0EPdS7_N6thrust23THRUST_200600_302600_NS10device_ptrIlEESB_jNS0_19identity_decomposerENS1_16block_id_wrapperIjLb0EEEEE10hipError_tT1_PNSt15iterator_traitsISG_E10value_typeET2_T3_PNSH_ISM_E10value_typeET4_T5_PSR_SS_PNS1_23onesweep_lookback_stateEbbT6_jjT7_P12ihipStream_tbENKUlT_T0_SG_SL_E_clIS7_S7_PlSB_EEDaSZ_S10_SG_SL_EUlSZ_E_NS1_11comp_targetILNS1_3genE10ELNS1_11target_archE1201ELNS1_3gpuE5ELNS1_3repE0EEENS1_47radix_sort_onesweep_sort_config_static_selectorELNS0_4arch9wavefront6targetE1EEEvSG_.num_named_barrier, 0
	.set _ZN7rocprim17ROCPRIM_400000_NS6detail17trampoline_kernelINS0_14default_configENS1_35radix_sort_onesweep_config_selectorIdlEEZZNS1_29radix_sort_onesweep_iterationIS3_Lb0EPdS7_N6thrust23THRUST_200600_302600_NS10device_ptrIlEESB_jNS0_19identity_decomposerENS1_16block_id_wrapperIjLb0EEEEE10hipError_tT1_PNSt15iterator_traitsISG_E10value_typeET2_T3_PNSH_ISM_E10value_typeET4_T5_PSR_SS_PNS1_23onesweep_lookback_stateEbbT6_jjT7_P12ihipStream_tbENKUlT_T0_SG_SL_E_clIS7_S7_PlSB_EEDaSZ_S10_SG_SL_EUlSZ_E_NS1_11comp_targetILNS1_3genE10ELNS1_11target_archE1201ELNS1_3gpuE5ELNS1_3repE0EEENS1_47radix_sort_onesweep_sort_config_static_selectorELNS0_4arch9wavefront6targetE1EEEvSG_.private_seg_size, 0
	.set _ZN7rocprim17ROCPRIM_400000_NS6detail17trampoline_kernelINS0_14default_configENS1_35radix_sort_onesweep_config_selectorIdlEEZZNS1_29radix_sort_onesweep_iterationIS3_Lb0EPdS7_N6thrust23THRUST_200600_302600_NS10device_ptrIlEESB_jNS0_19identity_decomposerENS1_16block_id_wrapperIjLb0EEEEE10hipError_tT1_PNSt15iterator_traitsISG_E10value_typeET2_T3_PNSH_ISM_E10value_typeET4_T5_PSR_SS_PNS1_23onesweep_lookback_stateEbbT6_jjT7_P12ihipStream_tbENKUlT_T0_SG_SL_E_clIS7_S7_PlSB_EEDaSZ_S10_SG_SL_EUlSZ_E_NS1_11comp_targetILNS1_3genE10ELNS1_11target_archE1201ELNS1_3gpuE5ELNS1_3repE0EEENS1_47radix_sort_onesweep_sort_config_static_selectorELNS0_4arch9wavefront6targetE1EEEvSG_.uses_vcc, 0
	.set _ZN7rocprim17ROCPRIM_400000_NS6detail17trampoline_kernelINS0_14default_configENS1_35radix_sort_onesweep_config_selectorIdlEEZZNS1_29radix_sort_onesweep_iterationIS3_Lb0EPdS7_N6thrust23THRUST_200600_302600_NS10device_ptrIlEESB_jNS0_19identity_decomposerENS1_16block_id_wrapperIjLb0EEEEE10hipError_tT1_PNSt15iterator_traitsISG_E10value_typeET2_T3_PNSH_ISM_E10value_typeET4_T5_PSR_SS_PNS1_23onesweep_lookback_stateEbbT6_jjT7_P12ihipStream_tbENKUlT_T0_SG_SL_E_clIS7_S7_PlSB_EEDaSZ_S10_SG_SL_EUlSZ_E_NS1_11comp_targetILNS1_3genE10ELNS1_11target_archE1201ELNS1_3gpuE5ELNS1_3repE0EEENS1_47radix_sort_onesweep_sort_config_static_selectorELNS0_4arch9wavefront6targetE1EEEvSG_.uses_flat_scratch, 0
	.set _ZN7rocprim17ROCPRIM_400000_NS6detail17trampoline_kernelINS0_14default_configENS1_35radix_sort_onesweep_config_selectorIdlEEZZNS1_29radix_sort_onesweep_iterationIS3_Lb0EPdS7_N6thrust23THRUST_200600_302600_NS10device_ptrIlEESB_jNS0_19identity_decomposerENS1_16block_id_wrapperIjLb0EEEEE10hipError_tT1_PNSt15iterator_traitsISG_E10value_typeET2_T3_PNSH_ISM_E10value_typeET4_T5_PSR_SS_PNS1_23onesweep_lookback_stateEbbT6_jjT7_P12ihipStream_tbENKUlT_T0_SG_SL_E_clIS7_S7_PlSB_EEDaSZ_S10_SG_SL_EUlSZ_E_NS1_11comp_targetILNS1_3genE10ELNS1_11target_archE1201ELNS1_3gpuE5ELNS1_3repE0EEENS1_47radix_sort_onesweep_sort_config_static_selectorELNS0_4arch9wavefront6targetE1EEEvSG_.has_dyn_sized_stack, 0
	.set _ZN7rocprim17ROCPRIM_400000_NS6detail17trampoline_kernelINS0_14default_configENS1_35radix_sort_onesweep_config_selectorIdlEEZZNS1_29radix_sort_onesweep_iterationIS3_Lb0EPdS7_N6thrust23THRUST_200600_302600_NS10device_ptrIlEESB_jNS0_19identity_decomposerENS1_16block_id_wrapperIjLb0EEEEE10hipError_tT1_PNSt15iterator_traitsISG_E10value_typeET2_T3_PNSH_ISM_E10value_typeET4_T5_PSR_SS_PNS1_23onesweep_lookback_stateEbbT6_jjT7_P12ihipStream_tbENKUlT_T0_SG_SL_E_clIS7_S7_PlSB_EEDaSZ_S10_SG_SL_EUlSZ_E_NS1_11comp_targetILNS1_3genE10ELNS1_11target_archE1201ELNS1_3gpuE5ELNS1_3repE0EEENS1_47radix_sort_onesweep_sort_config_static_selectorELNS0_4arch9wavefront6targetE1EEEvSG_.has_recursion, 0
	.set _ZN7rocprim17ROCPRIM_400000_NS6detail17trampoline_kernelINS0_14default_configENS1_35radix_sort_onesweep_config_selectorIdlEEZZNS1_29radix_sort_onesweep_iterationIS3_Lb0EPdS7_N6thrust23THRUST_200600_302600_NS10device_ptrIlEESB_jNS0_19identity_decomposerENS1_16block_id_wrapperIjLb0EEEEE10hipError_tT1_PNSt15iterator_traitsISG_E10value_typeET2_T3_PNSH_ISM_E10value_typeET4_T5_PSR_SS_PNS1_23onesweep_lookback_stateEbbT6_jjT7_P12ihipStream_tbENKUlT_T0_SG_SL_E_clIS7_S7_PlSB_EEDaSZ_S10_SG_SL_EUlSZ_E_NS1_11comp_targetILNS1_3genE10ELNS1_11target_archE1201ELNS1_3gpuE5ELNS1_3repE0EEENS1_47radix_sort_onesweep_sort_config_static_selectorELNS0_4arch9wavefront6targetE1EEEvSG_.has_indirect_call, 0
	.section	.AMDGPU.csdata,"",@progbits
; Kernel info:
; codeLenInByte = 0
; TotalNumSgprs: 4
; NumVgprs: 0
; ScratchSize: 0
; MemoryBound: 0
; FloatMode: 240
; IeeeMode: 1
; LDSByteSize: 0 bytes/workgroup (compile time only)
; SGPRBlocks: 0
; VGPRBlocks: 0
; NumSGPRsForWavesPerEU: 4
; NumVGPRsForWavesPerEU: 1
; Occupancy: 10
; WaveLimiterHint : 0
; COMPUTE_PGM_RSRC2:SCRATCH_EN: 0
; COMPUTE_PGM_RSRC2:USER_SGPR: 6
; COMPUTE_PGM_RSRC2:TRAP_HANDLER: 0
; COMPUTE_PGM_RSRC2:TGID_X_EN: 1
; COMPUTE_PGM_RSRC2:TGID_Y_EN: 0
; COMPUTE_PGM_RSRC2:TGID_Z_EN: 0
; COMPUTE_PGM_RSRC2:TIDIG_COMP_CNT: 0
	.section	.text._ZN7rocprim17ROCPRIM_400000_NS6detail17trampoline_kernelINS0_14default_configENS1_35radix_sort_onesweep_config_selectorIdlEEZZNS1_29radix_sort_onesweep_iterationIS3_Lb0EPdS7_N6thrust23THRUST_200600_302600_NS10device_ptrIlEESB_jNS0_19identity_decomposerENS1_16block_id_wrapperIjLb0EEEEE10hipError_tT1_PNSt15iterator_traitsISG_E10value_typeET2_T3_PNSH_ISM_E10value_typeET4_T5_PSR_SS_PNS1_23onesweep_lookback_stateEbbT6_jjT7_P12ihipStream_tbENKUlT_T0_SG_SL_E_clIS7_S7_PlSB_EEDaSZ_S10_SG_SL_EUlSZ_E_NS1_11comp_targetILNS1_3genE9ELNS1_11target_archE1100ELNS1_3gpuE3ELNS1_3repE0EEENS1_47radix_sort_onesweep_sort_config_static_selectorELNS0_4arch9wavefront6targetE1EEEvSG_,"axG",@progbits,_ZN7rocprim17ROCPRIM_400000_NS6detail17trampoline_kernelINS0_14default_configENS1_35radix_sort_onesweep_config_selectorIdlEEZZNS1_29radix_sort_onesweep_iterationIS3_Lb0EPdS7_N6thrust23THRUST_200600_302600_NS10device_ptrIlEESB_jNS0_19identity_decomposerENS1_16block_id_wrapperIjLb0EEEEE10hipError_tT1_PNSt15iterator_traitsISG_E10value_typeET2_T3_PNSH_ISM_E10value_typeET4_T5_PSR_SS_PNS1_23onesweep_lookback_stateEbbT6_jjT7_P12ihipStream_tbENKUlT_T0_SG_SL_E_clIS7_S7_PlSB_EEDaSZ_S10_SG_SL_EUlSZ_E_NS1_11comp_targetILNS1_3genE9ELNS1_11target_archE1100ELNS1_3gpuE3ELNS1_3repE0EEENS1_47radix_sort_onesweep_sort_config_static_selectorELNS0_4arch9wavefront6targetE1EEEvSG_,comdat
	.protected	_ZN7rocprim17ROCPRIM_400000_NS6detail17trampoline_kernelINS0_14default_configENS1_35radix_sort_onesweep_config_selectorIdlEEZZNS1_29radix_sort_onesweep_iterationIS3_Lb0EPdS7_N6thrust23THRUST_200600_302600_NS10device_ptrIlEESB_jNS0_19identity_decomposerENS1_16block_id_wrapperIjLb0EEEEE10hipError_tT1_PNSt15iterator_traitsISG_E10value_typeET2_T3_PNSH_ISM_E10value_typeET4_T5_PSR_SS_PNS1_23onesweep_lookback_stateEbbT6_jjT7_P12ihipStream_tbENKUlT_T0_SG_SL_E_clIS7_S7_PlSB_EEDaSZ_S10_SG_SL_EUlSZ_E_NS1_11comp_targetILNS1_3genE9ELNS1_11target_archE1100ELNS1_3gpuE3ELNS1_3repE0EEENS1_47radix_sort_onesweep_sort_config_static_selectorELNS0_4arch9wavefront6targetE1EEEvSG_ ; -- Begin function _ZN7rocprim17ROCPRIM_400000_NS6detail17trampoline_kernelINS0_14default_configENS1_35radix_sort_onesweep_config_selectorIdlEEZZNS1_29radix_sort_onesweep_iterationIS3_Lb0EPdS7_N6thrust23THRUST_200600_302600_NS10device_ptrIlEESB_jNS0_19identity_decomposerENS1_16block_id_wrapperIjLb0EEEEE10hipError_tT1_PNSt15iterator_traitsISG_E10value_typeET2_T3_PNSH_ISM_E10value_typeET4_T5_PSR_SS_PNS1_23onesweep_lookback_stateEbbT6_jjT7_P12ihipStream_tbENKUlT_T0_SG_SL_E_clIS7_S7_PlSB_EEDaSZ_S10_SG_SL_EUlSZ_E_NS1_11comp_targetILNS1_3genE9ELNS1_11target_archE1100ELNS1_3gpuE3ELNS1_3repE0EEENS1_47radix_sort_onesweep_sort_config_static_selectorELNS0_4arch9wavefront6targetE1EEEvSG_
	.globl	_ZN7rocprim17ROCPRIM_400000_NS6detail17trampoline_kernelINS0_14default_configENS1_35radix_sort_onesweep_config_selectorIdlEEZZNS1_29radix_sort_onesweep_iterationIS3_Lb0EPdS7_N6thrust23THRUST_200600_302600_NS10device_ptrIlEESB_jNS0_19identity_decomposerENS1_16block_id_wrapperIjLb0EEEEE10hipError_tT1_PNSt15iterator_traitsISG_E10value_typeET2_T3_PNSH_ISM_E10value_typeET4_T5_PSR_SS_PNS1_23onesweep_lookback_stateEbbT6_jjT7_P12ihipStream_tbENKUlT_T0_SG_SL_E_clIS7_S7_PlSB_EEDaSZ_S10_SG_SL_EUlSZ_E_NS1_11comp_targetILNS1_3genE9ELNS1_11target_archE1100ELNS1_3gpuE3ELNS1_3repE0EEENS1_47radix_sort_onesweep_sort_config_static_selectorELNS0_4arch9wavefront6targetE1EEEvSG_
	.p2align	8
	.type	_ZN7rocprim17ROCPRIM_400000_NS6detail17trampoline_kernelINS0_14default_configENS1_35radix_sort_onesweep_config_selectorIdlEEZZNS1_29radix_sort_onesweep_iterationIS3_Lb0EPdS7_N6thrust23THRUST_200600_302600_NS10device_ptrIlEESB_jNS0_19identity_decomposerENS1_16block_id_wrapperIjLb0EEEEE10hipError_tT1_PNSt15iterator_traitsISG_E10value_typeET2_T3_PNSH_ISM_E10value_typeET4_T5_PSR_SS_PNS1_23onesweep_lookback_stateEbbT6_jjT7_P12ihipStream_tbENKUlT_T0_SG_SL_E_clIS7_S7_PlSB_EEDaSZ_S10_SG_SL_EUlSZ_E_NS1_11comp_targetILNS1_3genE9ELNS1_11target_archE1100ELNS1_3gpuE3ELNS1_3repE0EEENS1_47radix_sort_onesweep_sort_config_static_selectorELNS0_4arch9wavefront6targetE1EEEvSG_,@function
_ZN7rocprim17ROCPRIM_400000_NS6detail17trampoline_kernelINS0_14default_configENS1_35radix_sort_onesweep_config_selectorIdlEEZZNS1_29radix_sort_onesweep_iterationIS3_Lb0EPdS7_N6thrust23THRUST_200600_302600_NS10device_ptrIlEESB_jNS0_19identity_decomposerENS1_16block_id_wrapperIjLb0EEEEE10hipError_tT1_PNSt15iterator_traitsISG_E10value_typeET2_T3_PNSH_ISM_E10value_typeET4_T5_PSR_SS_PNS1_23onesweep_lookback_stateEbbT6_jjT7_P12ihipStream_tbENKUlT_T0_SG_SL_E_clIS7_S7_PlSB_EEDaSZ_S10_SG_SL_EUlSZ_E_NS1_11comp_targetILNS1_3genE9ELNS1_11target_archE1100ELNS1_3gpuE3ELNS1_3repE0EEENS1_47radix_sort_onesweep_sort_config_static_selectorELNS0_4arch9wavefront6targetE1EEEvSG_: ; @_ZN7rocprim17ROCPRIM_400000_NS6detail17trampoline_kernelINS0_14default_configENS1_35radix_sort_onesweep_config_selectorIdlEEZZNS1_29radix_sort_onesweep_iterationIS3_Lb0EPdS7_N6thrust23THRUST_200600_302600_NS10device_ptrIlEESB_jNS0_19identity_decomposerENS1_16block_id_wrapperIjLb0EEEEE10hipError_tT1_PNSt15iterator_traitsISG_E10value_typeET2_T3_PNSH_ISM_E10value_typeET4_T5_PSR_SS_PNS1_23onesweep_lookback_stateEbbT6_jjT7_P12ihipStream_tbENKUlT_T0_SG_SL_E_clIS7_S7_PlSB_EEDaSZ_S10_SG_SL_EUlSZ_E_NS1_11comp_targetILNS1_3genE9ELNS1_11target_archE1100ELNS1_3gpuE3ELNS1_3repE0EEENS1_47radix_sort_onesweep_sort_config_static_selectorELNS0_4arch9wavefront6targetE1EEEvSG_
; %bb.0:
	.section	.rodata,"a",@progbits
	.p2align	6, 0x0
	.amdhsa_kernel _ZN7rocprim17ROCPRIM_400000_NS6detail17trampoline_kernelINS0_14default_configENS1_35radix_sort_onesweep_config_selectorIdlEEZZNS1_29radix_sort_onesweep_iterationIS3_Lb0EPdS7_N6thrust23THRUST_200600_302600_NS10device_ptrIlEESB_jNS0_19identity_decomposerENS1_16block_id_wrapperIjLb0EEEEE10hipError_tT1_PNSt15iterator_traitsISG_E10value_typeET2_T3_PNSH_ISM_E10value_typeET4_T5_PSR_SS_PNS1_23onesweep_lookback_stateEbbT6_jjT7_P12ihipStream_tbENKUlT_T0_SG_SL_E_clIS7_S7_PlSB_EEDaSZ_S10_SG_SL_EUlSZ_E_NS1_11comp_targetILNS1_3genE9ELNS1_11target_archE1100ELNS1_3gpuE3ELNS1_3repE0EEENS1_47radix_sort_onesweep_sort_config_static_selectorELNS0_4arch9wavefront6targetE1EEEvSG_
		.amdhsa_group_segment_fixed_size 0
		.amdhsa_private_segment_fixed_size 0
		.amdhsa_kernarg_size 88
		.amdhsa_user_sgpr_count 6
		.amdhsa_user_sgpr_private_segment_buffer 1
		.amdhsa_user_sgpr_dispatch_ptr 0
		.amdhsa_user_sgpr_queue_ptr 0
		.amdhsa_user_sgpr_kernarg_segment_ptr 1
		.amdhsa_user_sgpr_dispatch_id 0
		.amdhsa_user_sgpr_flat_scratch_init 0
		.amdhsa_user_sgpr_private_segment_size 0
		.amdhsa_uses_dynamic_stack 0
		.amdhsa_system_sgpr_private_segment_wavefront_offset 0
		.amdhsa_system_sgpr_workgroup_id_x 1
		.amdhsa_system_sgpr_workgroup_id_y 0
		.amdhsa_system_sgpr_workgroup_id_z 0
		.amdhsa_system_sgpr_workgroup_info 0
		.amdhsa_system_vgpr_workitem_id 0
		.amdhsa_next_free_vgpr 1
		.amdhsa_next_free_sgpr 0
		.amdhsa_reserve_vcc 0
		.amdhsa_reserve_flat_scratch 0
		.amdhsa_float_round_mode_32 0
		.amdhsa_float_round_mode_16_64 0
		.amdhsa_float_denorm_mode_32 3
		.amdhsa_float_denorm_mode_16_64 3
		.amdhsa_dx10_clamp 1
		.amdhsa_ieee_mode 1
		.amdhsa_fp16_overflow 0
		.amdhsa_exception_fp_ieee_invalid_op 0
		.amdhsa_exception_fp_denorm_src 0
		.amdhsa_exception_fp_ieee_div_zero 0
		.amdhsa_exception_fp_ieee_overflow 0
		.amdhsa_exception_fp_ieee_underflow 0
		.amdhsa_exception_fp_ieee_inexact 0
		.amdhsa_exception_int_div_zero 0
	.end_amdhsa_kernel
	.section	.text._ZN7rocprim17ROCPRIM_400000_NS6detail17trampoline_kernelINS0_14default_configENS1_35radix_sort_onesweep_config_selectorIdlEEZZNS1_29radix_sort_onesweep_iterationIS3_Lb0EPdS7_N6thrust23THRUST_200600_302600_NS10device_ptrIlEESB_jNS0_19identity_decomposerENS1_16block_id_wrapperIjLb0EEEEE10hipError_tT1_PNSt15iterator_traitsISG_E10value_typeET2_T3_PNSH_ISM_E10value_typeET4_T5_PSR_SS_PNS1_23onesweep_lookback_stateEbbT6_jjT7_P12ihipStream_tbENKUlT_T0_SG_SL_E_clIS7_S7_PlSB_EEDaSZ_S10_SG_SL_EUlSZ_E_NS1_11comp_targetILNS1_3genE9ELNS1_11target_archE1100ELNS1_3gpuE3ELNS1_3repE0EEENS1_47radix_sort_onesweep_sort_config_static_selectorELNS0_4arch9wavefront6targetE1EEEvSG_,"axG",@progbits,_ZN7rocprim17ROCPRIM_400000_NS6detail17trampoline_kernelINS0_14default_configENS1_35radix_sort_onesweep_config_selectorIdlEEZZNS1_29radix_sort_onesweep_iterationIS3_Lb0EPdS7_N6thrust23THRUST_200600_302600_NS10device_ptrIlEESB_jNS0_19identity_decomposerENS1_16block_id_wrapperIjLb0EEEEE10hipError_tT1_PNSt15iterator_traitsISG_E10value_typeET2_T3_PNSH_ISM_E10value_typeET4_T5_PSR_SS_PNS1_23onesweep_lookback_stateEbbT6_jjT7_P12ihipStream_tbENKUlT_T0_SG_SL_E_clIS7_S7_PlSB_EEDaSZ_S10_SG_SL_EUlSZ_E_NS1_11comp_targetILNS1_3genE9ELNS1_11target_archE1100ELNS1_3gpuE3ELNS1_3repE0EEENS1_47radix_sort_onesweep_sort_config_static_selectorELNS0_4arch9wavefront6targetE1EEEvSG_,comdat
.Lfunc_end1668:
	.size	_ZN7rocprim17ROCPRIM_400000_NS6detail17trampoline_kernelINS0_14default_configENS1_35radix_sort_onesweep_config_selectorIdlEEZZNS1_29radix_sort_onesweep_iterationIS3_Lb0EPdS7_N6thrust23THRUST_200600_302600_NS10device_ptrIlEESB_jNS0_19identity_decomposerENS1_16block_id_wrapperIjLb0EEEEE10hipError_tT1_PNSt15iterator_traitsISG_E10value_typeET2_T3_PNSH_ISM_E10value_typeET4_T5_PSR_SS_PNS1_23onesweep_lookback_stateEbbT6_jjT7_P12ihipStream_tbENKUlT_T0_SG_SL_E_clIS7_S7_PlSB_EEDaSZ_S10_SG_SL_EUlSZ_E_NS1_11comp_targetILNS1_3genE9ELNS1_11target_archE1100ELNS1_3gpuE3ELNS1_3repE0EEENS1_47radix_sort_onesweep_sort_config_static_selectorELNS0_4arch9wavefront6targetE1EEEvSG_, .Lfunc_end1668-_ZN7rocprim17ROCPRIM_400000_NS6detail17trampoline_kernelINS0_14default_configENS1_35radix_sort_onesweep_config_selectorIdlEEZZNS1_29radix_sort_onesweep_iterationIS3_Lb0EPdS7_N6thrust23THRUST_200600_302600_NS10device_ptrIlEESB_jNS0_19identity_decomposerENS1_16block_id_wrapperIjLb0EEEEE10hipError_tT1_PNSt15iterator_traitsISG_E10value_typeET2_T3_PNSH_ISM_E10value_typeET4_T5_PSR_SS_PNS1_23onesweep_lookback_stateEbbT6_jjT7_P12ihipStream_tbENKUlT_T0_SG_SL_E_clIS7_S7_PlSB_EEDaSZ_S10_SG_SL_EUlSZ_E_NS1_11comp_targetILNS1_3genE9ELNS1_11target_archE1100ELNS1_3gpuE3ELNS1_3repE0EEENS1_47radix_sort_onesweep_sort_config_static_selectorELNS0_4arch9wavefront6targetE1EEEvSG_
                                        ; -- End function
	.set _ZN7rocprim17ROCPRIM_400000_NS6detail17trampoline_kernelINS0_14default_configENS1_35radix_sort_onesweep_config_selectorIdlEEZZNS1_29radix_sort_onesweep_iterationIS3_Lb0EPdS7_N6thrust23THRUST_200600_302600_NS10device_ptrIlEESB_jNS0_19identity_decomposerENS1_16block_id_wrapperIjLb0EEEEE10hipError_tT1_PNSt15iterator_traitsISG_E10value_typeET2_T3_PNSH_ISM_E10value_typeET4_T5_PSR_SS_PNS1_23onesweep_lookback_stateEbbT6_jjT7_P12ihipStream_tbENKUlT_T0_SG_SL_E_clIS7_S7_PlSB_EEDaSZ_S10_SG_SL_EUlSZ_E_NS1_11comp_targetILNS1_3genE9ELNS1_11target_archE1100ELNS1_3gpuE3ELNS1_3repE0EEENS1_47radix_sort_onesweep_sort_config_static_selectorELNS0_4arch9wavefront6targetE1EEEvSG_.num_vgpr, 0
	.set _ZN7rocprim17ROCPRIM_400000_NS6detail17trampoline_kernelINS0_14default_configENS1_35radix_sort_onesweep_config_selectorIdlEEZZNS1_29radix_sort_onesweep_iterationIS3_Lb0EPdS7_N6thrust23THRUST_200600_302600_NS10device_ptrIlEESB_jNS0_19identity_decomposerENS1_16block_id_wrapperIjLb0EEEEE10hipError_tT1_PNSt15iterator_traitsISG_E10value_typeET2_T3_PNSH_ISM_E10value_typeET4_T5_PSR_SS_PNS1_23onesweep_lookback_stateEbbT6_jjT7_P12ihipStream_tbENKUlT_T0_SG_SL_E_clIS7_S7_PlSB_EEDaSZ_S10_SG_SL_EUlSZ_E_NS1_11comp_targetILNS1_3genE9ELNS1_11target_archE1100ELNS1_3gpuE3ELNS1_3repE0EEENS1_47radix_sort_onesweep_sort_config_static_selectorELNS0_4arch9wavefront6targetE1EEEvSG_.num_agpr, 0
	.set _ZN7rocprim17ROCPRIM_400000_NS6detail17trampoline_kernelINS0_14default_configENS1_35radix_sort_onesweep_config_selectorIdlEEZZNS1_29radix_sort_onesweep_iterationIS3_Lb0EPdS7_N6thrust23THRUST_200600_302600_NS10device_ptrIlEESB_jNS0_19identity_decomposerENS1_16block_id_wrapperIjLb0EEEEE10hipError_tT1_PNSt15iterator_traitsISG_E10value_typeET2_T3_PNSH_ISM_E10value_typeET4_T5_PSR_SS_PNS1_23onesweep_lookback_stateEbbT6_jjT7_P12ihipStream_tbENKUlT_T0_SG_SL_E_clIS7_S7_PlSB_EEDaSZ_S10_SG_SL_EUlSZ_E_NS1_11comp_targetILNS1_3genE9ELNS1_11target_archE1100ELNS1_3gpuE3ELNS1_3repE0EEENS1_47radix_sort_onesweep_sort_config_static_selectorELNS0_4arch9wavefront6targetE1EEEvSG_.numbered_sgpr, 0
	.set _ZN7rocprim17ROCPRIM_400000_NS6detail17trampoline_kernelINS0_14default_configENS1_35radix_sort_onesweep_config_selectorIdlEEZZNS1_29radix_sort_onesweep_iterationIS3_Lb0EPdS7_N6thrust23THRUST_200600_302600_NS10device_ptrIlEESB_jNS0_19identity_decomposerENS1_16block_id_wrapperIjLb0EEEEE10hipError_tT1_PNSt15iterator_traitsISG_E10value_typeET2_T3_PNSH_ISM_E10value_typeET4_T5_PSR_SS_PNS1_23onesweep_lookback_stateEbbT6_jjT7_P12ihipStream_tbENKUlT_T0_SG_SL_E_clIS7_S7_PlSB_EEDaSZ_S10_SG_SL_EUlSZ_E_NS1_11comp_targetILNS1_3genE9ELNS1_11target_archE1100ELNS1_3gpuE3ELNS1_3repE0EEENS1_47radix_sort_onesweep_sort_config_static_selectorELNS0_4arch9wavefront6targetE1EEEvSG_.num_named_barrier, 0
	.set _ZN7rocprim17ROCPRIM_400000_NS6detail17trampoline_kernelINS0_14default_configENS1_35radix_sort_onesweep_config_selectorIdlEEZZNS1_29radix_sort_onesweep_iterationIS3_Lb0EPdS7_N6thrust23THRUST_200600_302600_NS10device_ptrIlEESB_jNS0_19identity_decomposerENS1_16block_id_wrapperIjLb0EEEEE10hipError_tT1_PNSt15iterator_traitsISG_E10value_typeET2_T3_PNSH_ISM_E10value_typeET4_T5_PSR_SS_PNS1_23onesweep_lookback_stateEbbT6_jjT7_P12ihipStream_tbENKUlT_T0_SG_SL_E_clIS7_S7_PlSB_EEDaSZ_S10_SG_SL_EUlSZ_E_NS1_11comp_targetILNS1_3genE9ELNS1_11target_archE1100ELNS1_3gpuE3ELNS1_3repE0EEENS1_47radix_sort_onesweep_sort_config_static_selectorELNS0_4arch9wavefront6targetE1EEEvSG_.private_seg_size, 0
	.set _ZN7rocprim17ROCPRIM_400000_NS6detail17trampoline_kernelINS0_14default_configENS1_35radix_sort_onesweep_config_selectorIdlEEZZNS1_29radix_sort_onesweep_iterationIS3_Lb0EPdS7_N6thrust23THRUST_200600_302600_NS10device_ptrIlEESB_jNS0_19identity_decomposerENS1_16block_id_wrapperIjLb0EEEEE10hipError_tT1_PNSt15iterator_traitsISG_E10value_typeET2_T3_PNSH_ISM_E10value_typeET4_T5_PSR_SS_PNS1_23onesweep_lookback_stateEbbT6_jjT7_P12ihipStream_tbENKUlT_T0_SG_SL_E_clIS7_S7_PlSB_EEDaSZ_S10_SG_SL_EUlSZ_E_NS1_11comp_targetILNS1_3genE9ELNS1_11target_archE1100ELNS1_3gpuE3ELNS1_3repE0EEENS1_47radix_sort_onesweep_sort_config_static_selectorELNS0_4arch9wavefront6targetE1EEEvSG_.uses_vcc, 0
	.set _ZN7rocprim17ROCPRIM_400000_NS6detail17trampoline_kernelINS0_14default_configENS1_35radix_sort_onesweep_config_selectorIdlEEZZNS1_29radix_sort_onesweep_iterationIS3_Lb0EPdS7_N6thrust23THRUST_200600_302600_NS10device_ptrIlEESB_jNS0_19identity_decomposerENS1_16block_id_wrapperIjLb0EEEEE10hipError_tT1_PNSt15iterator_traitsISG_E10value_typeET2_T3_PNSH_ISM_E10value_typeET4_T5_PSR_SS_PNS1_23onesweep_lookback_stateEbbT6_jjT7_P12ihipStream_tbENKUlT_T0_SG_SL_E_clIS7_S7_PlSB_EEDaSZ_S10_SG_SL_EUlSZ_E_NS1_11comp_targetILNS1_3genE9ELNS1_11target_archE1100ELNS1_3gpuE3ELNS1_3repE0EEENS1_47radix_sort_onesweep_sort_config_static_selectorELNS0_4arch9wavefront6targetE1EEEvSG_.uses_flat_scratch, 0
	.set _ZN7rocprim17ROCPRIM_400000_NS6detail17trampoline_kernelINS0_14default_configENS1_35radix_sort_onesweep_config_selectorIdlEEZZNS1_29radix_sort_onesweep_iterationIS3_Lb0EPdS7_N6thrust23THRUST_200600_302600_NS10device_ptrIlEESB_jNS0_19identity_decomposerENS1_16block_id_wrapperIjLb0EEEEE10hipError_tT1_PNSt15iterator_traitsISG_E10value_typeET2_T3_PNSH_ISM_E10value_typeET4_T5_PSR_SS_PNS1_23onesweep_lookback_stateEbbT6_jjT7_P12ihipStream_tbENKUlT_T0_SG_SL_E_clIS7_S7_PlSB_EEDaSZ_S10_SG_SL_EUlSZ_E_NS1_11comp_targetILNS1_3genE9ELNS1_11target_archE1100ELNS1_3gpuE3ELNS1_3repE0EEENS1_47radix_sort_onesweep_sort_config_static_selectorELNS0_4arch9wavefront6targetE1EEEvSG_.has_dyn_sized_stack, 0
	.set _ZN7rocprim17ROCPRIM_400000_NS6detail17trampoline_kernelINS0_14default_configENS1_35radix_sort_onesweep_config_selectorIdlEEZZNS1_29radix_sort_onesweep_iterationIS3_Lb0EPdS7_N6thrust23THRUST_200600_302600_NS10device_ptrIlEESB_jNS0_19identity_decomposerENS1_16block_id_wrapperIjLb0EEEEE10hipError_tT1_PNSt15iterator_traitsISG_E10value_typeET2_T3_PNSH_ISM_E10value_typeET4_T5_PSR_SS_PNS1_23onesweep_lookback_stateEbbT6_jjT7_P12ihipStream_tbENKUlT_T0_SG_SL_E_clIS7_S7_PlSB_EEDaSZ_S10_SG_SL_EUlSZ_E_NS1_11comp_targetILNS1_3genE9ELNS1_11target_archE1100ELNS1_3gpuE3ELNS1_3repE0EEENS1_47radix_sort_onesweep_sort_config_static_selectorELNS0_4arch9wavefront6targetE1EEEvSG_.has_recursion, 0
	.set _ZN7rocprim17ROCPRIM_400000_NS6detail17trampoline_kernelINS0_14default_configENS1_35radix_sort_onesweep_config_selectorIdlEEZZNS1_29radix_sort_onesweep_iterationIS3_Lb0EPdS7_N6thrust23THRUST_200600_302600_NS10device_ptrIlEESB_jNS0_19identity_decomposerENS1_16block_id_wrapperIjLb0EEEEE10hipError_tT1_PNSt15iterator_traitsISG_E10value_typeET2_T3_PNSH_ISM_E10value_typeET4_T5_PSR_SS_PNS1_23onesweep_lookback_stateEbbT6_jjT7_P12ihipStream_tbENKUlT_T0_SG_SL_E_clIS7_S7_PlSB_EEDaSZ_S10_SG_SL_EUlSZ_E_NS1_11comp_targetILNS1_3genE9ELNS1_11target_archE1100ELNS1_3gpuE3ELNS1_3repE0EEENS1_47radix_sort_onesweep_sort_config_static_selectorELNS0_4arch9wavefront6targetE1EEEvSG_.has_indirect_call, 0
	.section	.AMDGPU.csdata,"",@progbits
; Kernel info:
; codeLenInByte = 0
; TotalNumSgprs: 4
; NumVgprs: 0
; ScratchSize: 0
; MemoryBound: 0
; FloatMode: 240
; IeeeMode: 1
; LDSByteSize: 0 bytes/workgroup (compile time only)
; SGPRBlocks: 0
; VGPRBlocks: 0
; NumSGPRsForWavesPerEU: 4
; NumVGPRsForWavesPerEU: 1
; Occupancy: 10
; WaveLimiterHint : 0
; COMPUTE_PGM_RSRC2:SCRATCH_EN: 0
; COMPUTE_PGM_RSRC2:USER_SGPR: 6
; COMPUTE_PGM_RSRC2:TRAP_HANDLER: 0
; COMPUTE_PGM_RSRC2:TGID_X_EN: 1
; COMPUTE_PGM_RSRC2:TGID_Y_EN: 0
; COMPUTE_PGM_RSRC2:TGID_Z_EN: 0
; COMPUTE_PGM_RSRC2:TIDIG_COMP_CNT: 0
	.section	.text._ZN7rocprim17ROCPRIM_400000_NS6detail17trampoline_kernelINS0_14default_configENS1_35radix_sort_onesweep_config_selectorIdlEEZZNS1_29radix_sort_onesweep_iterationIS3_Lb0EPdS7_N6thrust23THRUST_200600_302600_NS10device_ptrIlEESB_jNS0_19identity_decomposerENS1_16block_id_wrapperIjLb0EEEEE10hipError_tT1_PNSt15iterator_traitsISG_E10value_typeET2_T3_PNSH_ISM_E10value_typeET4_T5_PSR_SS_PNS1_23onesweep_lookback_stateEbbT6_jjT7_P12ihipStream_tbENKUlT_T0_SG_SL_E_clIS7_S7_PlSB_EEDaSZ_S10_SG_SL_EUlSZ_E_NS1_11comp_targetILNS1_3genE8ELNS1_11target_archE1030ELNS1_3gpuE2ELNS1_3repE0EEENS1_47radix_sort_onesweep_sort_config_static_selectorELNS0_4arch9wavefront6targetE1EEEvSG_,"axG",@progbits,_ZN7rocprim17ROCPRIM_400000_NS6detail17trampoline_kernelINS0_14default_configENS1_35radix_sort_onesweep_config_selectorIdlEEZZNS1_29radix_sort_onesweep_iterationIS3_Lb0EPdS7_N6thrust23THRUST_200600_302600_NS10device_ptrIlEESB_jNS0_19identity_decomposerENS1_16block_id_wrapperIjLb0EEEEE10hipError_tT1_PNSt15iterator_traitsISG_E10value_typeET2_T3_PNSH_ISM_E10value_typeET4_T5_PSR_SS_PNS1_23onesweep_lookback_stateEbbT6_jjT7_P12ihipStream_tbENKUlT_T0_SG_SL_E_clIS7_S7_PlSB_EEDaSZ_S10_SG_SL_EUlSZ_E_NS1_11comp_targetILNS1_3genE8ELNS1_11target_archE1030ELNS1_3gpuE2ELNS1_3repE0EEENS1_47radix_sort_onesweep_sort_config_static_selectorELNS0_4arch9wavefront6targetE1EEEvSG_,comdat
	.protected	_ZN7rocprim17ROCPRIM_400000_NS6detail17trampoline_kernelINS0_14default_configENS1_35radix_sort_onesweep_config_selectorIdlEEZZNS1_29radix_sort_onesweep_iterationIS3_Lb0EPdS7_N6thrust23THRUST_200600_302600_NS10device_ptrIlEESB_jNS0_19identity_decomposerENS1_16block_id_wrapperIjLb0EEEEE10hipError_tT1_PNSt15iterator_traitsISG_E10value_typeET2_T3_PNSH_ISM_E10value_typeET4_T5_PSR_SS_PNS1_23onesweep_lookback_stateEbbT6_jjT7_P12ihipStream_tbENKUlT_T0_SG_SL_E_clIS7_S7_PlSB_EEDaSZ_S10_SG_SL_EUlSZ_E_NS1_11comp_targetILNS1_3genE8ELNS1_11target_archE1030ELNS1_3gpuE2ELNS1_3repE0EEENS1_47radix_sort_onesweep_sort_config_static_selectorELNS0_4arch9wavefront6targetE1EEEvSG_ ; -- Begin function _ZN7rocprim17ROCPRIM_400000_NS6detail17trampoline_kernelINS0_14default_configENS1_35radix_sort_onesweep_config_selectorIdlEEZZNS1_29radix_sort_onesweep_iterationIS3_Lb0EPdS7_N6thrust23THRUST_200600_302600_NS10device_ptrIlEESB_jNS0_19identity_decomposerENS1_16block_id_wrapperIjLb0EEEEE10hipError_tT1_PNSt15iterator_traitsISG_E10value_typeET2_T3_PNSH_ISM_E10value_typeET4_T5_PSR_SS_PNS1_23onesweep_lookback_stateEbbT6_jjT7_P12ihipStream_tbENKUlT_T0_SG_SL_E_clIS7_S7_PlSB_EEDaSZ_S10_SG_SL_EUlSZ_E_NS1_11comp_targetILNS1_3genE8ELNS1_11target_archE1030ELNS1_3gpuE2ELNS1_3repE0EEENS1_47radix_sort_onesweep_sort_config_static_selectorELNS0_4arch9wavefront6targetE1EEEvSG_
	.globl	_ZN7rocprim17ROCPRIM_400000_NS6detail17trampoline_kernelINS0_14default_configENS1_35radix_sort_onesweep_config_selectorIdlEEZZNS1_29radix_sort_onesweep_iterationIS3_Lb0EPdS7_N6thrust23THRUST_200600_302600_NS10device_ptrIlEESB_jNS0_19identity_decomposerENS1_16block_id_wrapperIjLb0EEEEE10hipError_tT1_PNSt15iterator_traitsISG_E10value_typeET2_T3_PNSH_ISM_E10value_typeET4_T5_PSR_SS_PNS1_23onesweep_lookback_stateEbbT6_jjT7_P12ihipStream_tbENKUlT_T0_SG_SL_E_clIS7_S7_PlSB_EEDaSZ_S10_SG_SL_EUlSZ_E_NS1_11comp_targetILNS1_3genE8ELNS1_11target_archE1030ELNS1_3gpuE2ELNS1_3repE0EEENS1_47radix_sort_onesweep_sort_config_static_selectorELNS0_4arch9wavefront6targetE1EEEvSG_
	.p2align	8
	.type	_ZN7rocprim17ROCPRIM_400000_NS6detail17trampoline_kernelINS0_14default_configENS1_35radix_sort_onesweep_config_selectorIdlEEZZNS1_29radix_sort_onesweep_iterationIS3_Lb0EPdS7_N6thrust23THRUST_200600_302600_NS10device_ptrIlEESB_jNS0_19identity_decomposerENS1_16block_id_wrapperIjLb0EEEEE10hipError_tT1_PNSt15iterator_traitsISG_E10value_typeET2_T3_PNSH_ISM_E10value_typeET4_T5_PSR_SS_PNS1_23onesweep_lookback_stateEbbT6_jjT7_P12ihipStream_tbENKUlT_T0_SG_SL_E_clIS7_S7_PlSB_EEDaSZ_S10_SG_SL_EUlSZ_E_NS1_11comp_targetILNS1_3genE8ELNS1_11target_archE1030ELNS1_3gpuE2ELNS1_3repE0EEENS1_47radix_sort_onesweep_sort_config_static_selectorELNS0_4arch9wavefront6targetE1EEEvSG_,@function
_ZN7rocprim17ROCPRIM_400000_NS6detail17trampoline_kernelINS0_14default_configENS1_35radix_sort_onesweep_config_selectorIdlEEZZNS1_29radix_sort_onesweep_iterationIS3_Lb0EPdS7_N6thrust23THRUST_200600_302600_NS10device_ptrIlEESB_jNS0_19identity_decomposerENS1_16block_id_wrapperIjLb0EEEEE10hipError_tT1_PNSt15iterator_traitsISG_E10value_typeET2_T3_PNSH_ISM_E10value_typeET4_T5_PSR_SS_PNS1_23onesweep_lookback_stateEbbT6_jjT7_P12ihipStream_tbENKUlT_T0_SG_SL_E_clIS7_S7_PlSB_EEDaSZ_S10_SG_SL_EUlSZ_E_NS1_11comp_targetILNS1_3genE8ELNS1_11target_archE1030ELNS1_3gpuE2ELNS1_3repE0EEENS1_47radix_sort_onesweep_sort_config_static_selectorELNS0_4arch9wavefront6targetE1EEEvSG_: ; @_ZN7rocprim17ROCPRIM_400000_NS6detail17trampoline_kernelINS0_14default_configENS1_35radix_sort_onesweep_config_selectorIdlEEZZNS1_29radix_sort_onesweep_iterationIS3_Lb0EPdS7_N6thrust23THRUST_200600_302600_NS10device_ptrIlEESB_jNS0_19identity_decomposerENS1_16block_id_wrapperIjLb0EEEEE10hipError_tT1_PNSt15iterator_traitsISG_E10value_typeET2_T3_PNSH_ISM_E10value_typeET4_T5_PSR_SS_PNS1_23onesweep_lookback_stateEbbT6_jjT7_P12ihipStream_tbENKUlT_T0_SG_SL_E_clIS7_S7_PlSB_EEDaSZ_S10_SG_SL_EUlSZ_E_NS1_11comp_targetILNS1_3genE8ELNS1_11target_archE1030ELNS1_3gpuE2ELNS1_3repE0EEENS1_47radix_sort_onesweep_sort_config_static_selectorELNS0_4arch9wavefront6targetE1EEEvSG_
; %bb.0:
	.section	.rodata,"a",@progbits
	.p2align	6, 0x0
	.amdhsa_kernel _ZN7rocprim17ROCPRIM_400000_NS6detail17trampoline_kernelINS0_14default_configENS1_35radix_sort_onesweep_config_selectorIdlEEZZNS1_29radix_sort_onesweep_iterationIS3_Lb0EPdS7_N6thrust23THRUST_200600_302600_NS10device_ptrIlEESB_jNS0_19identity_decomposerENS1_16block_id_wrapperIjLb0EEEEE10hipError_tT1_PNSt15iterator_traitsISG_E10value_typeET2_T3_PNSH_ISM_E10value_typeET4_T5_PSR_SS_PNS1_23onesweep_lookback_stateEbbT6_jjT7_P12ihipStream_tbENKUlT_T0_SG_SL_E_clIS7_S7_PlSB_EEDaSZ_S10_SG_SL_EUlSZ_E_NS1_11comp_targetILNS1_3genE8ELNS1_11target_archE1030ELNS1_3gpuE2ELNS1_3repE0EEENS1_47radix_sort_onesweep_sort_config_static_selectorELNS0_4arch9wavefront6targetE1EEEvSG_
		.amdhsa_group_segment_fixed_size 0
		.amdhsa_private_segment_fixed_size 0
		.amdhsa_kernarg_size 88
		.amdhsa_user_sgpr_count 6
		.amdhsa_user_sgpr_private_segment_buffer 1
		.amdhsa_user_sgpr_dispatch_ptr 0
		.amdhsa_user_sgpr_queue_ptr 0
		.amdhsa_user_sgpr_kernarg_segment_ptr 1
		.amdhsa_user_sgpr_dispatch_id 0
		.amdhsa_user_sgpr_flat_scratch_init 0
		.amdhsa_user_sgpr_private_segment_size 0
		.amdhsa_uses_dynamic_stack 0
		.amdhsa_system_sgpr_private_segment_wavefront_offset 0
		.amdhsa_system_sgpr_workgroup_id_x 1
		.amdhsa_system_sgpr_workgroup_id_y 0
		.amdhsa_system_sgpr_workgroup_id_z 0
		.amdhsa_system_sgpr_workgroup_info 0
		.amdhsa_system_vgpr_workitem_id 0
		.amdhsa_next_free_vgpr 1
		.amdhsa_next_free_sgpr 0
		.amdhsa_reserve_vcc 0
		.amdhsa_reserve_flat_scratch 0
		.amdhsa_float_round_mode_32 0
		.amdhsa_float_round_mode_16_64 0
		.amdhsa_float_denorm_mode_32 3
		.amdhsa_float_denorm_mode_16_64 3
		.amdhsa_dx10_clamp 1
		.amdhsa_ieee_mode 1
		.amdhsa_fp16_overflow 0
		.amdhsa_exception_fp_ieee_invalid_op 0
		.amdhsa_exception_fp_denorm_src 0
		.amdhsa_exception_fp_ieee_div_zero 0
		.amdhsa_exception_fp_ieee_overflow 0
		.amdhsa_exception_fp_ieee_underflow 0
		.amdhsa_exception_fp_ieee_inexact 0
		.amdhsa_exception_int_div_zero 0
	.end_amdhsa_kernel
	.section	.text._ZN7rocprim17ROCPRIM_400000_NS6detail17trampoline_kernelINS0_14default_configENS1_35radix_sort_onesweep_config_selectorIdlEEZZNS1_29radix_sort_onesweep_iterationIS3_Lb0EPdS7_N6thrust23THRUST_200600_302600_NS10device_ptrIlEESB_jNS0_19identity_decomposerENS1_16block_id_wrapperIjLb0EEEEE10hipError_tT1_PNSt15iterator_traitsISG_E10value_typeET2_T3_PNSH_ISM_E10value_typeET4_T5_PSR_SS_PNS1_23onesweep_lookback_stateEbbT6_jjT7_P12ihipStream_tbENKUlT_T0_SG_SL_E_clIS7_S7_PlSB_EEDaSZ_S10_SG_SL_EUlSZ_E_NS1_11comp_targetILNS1_3genE8ELNS1_11target_archE1030ELNS1_3gpuE2ELNS1_3repE0EEENS1_47radix_sort_onesweep_sort_config_static_selectorELNS0_4arch9wavefront6targetE1EEEvSG_,"axG",@progbits,_ZN7rocprim17ROCPRIM_400000_NS6detail17trampoline_kernelINS0_14default_configENS1_35radix_sort_onesweep_config_selectorIdlEEZZNS1_29radix_sort_onesweep_iterationIS3_Lb0EPdS7_N6thrust23THRUST_200600_302600_NS10device_ptrIlEESB_jNS0_19identity_decomposerENS1_16block_id_wrapperIjLb0EEEEE10hipError_tT1_PNSt15iterator_traitsISG_E10value_typeET2_T3_PNSH_ISM_E10value_typeET4_T5_PSR_SS_PNS1_23onesweep_lookback_stateEbbT6_jjT7_P12ihipStream_tbENKUlT_T0_SG_SL_E_clIS7_S7_PlSB_EEDaSZ_S10_SG_SL_EUlSZ_E_NS1_11comp_targetILNS1_3genE8ELNS1_11target_archE1030ELNS1_3gpuE2ELNS1_3repE0EEENS1_47radix_sort_onesweep_sort_config_static_selectorELNS0_4arch9wavefront6targetE1EEEvSG_,comdat
.Lfunc_end1669:
	.size	_ZN7rocprim17ROCPRIM_400000_NS6detail17trampoline_kernelINS0_14default_configENS1_35radix_sort_onesweep_config_selectorIdlEEZZNS1_29radix_sort_onesweep_iterationIS3_Lb0EPdS7_N6thrust23THRUST_200600_302600_NS10device_ptrIlEESB_jNS0_19identity_decomposerENS1_16block_id_wrapperIjLb0EEEEE10hipError_tT1_PNSt15iterator_traitsISG_E10value_typeET2_T3_PNSH_ISM_E10value_typeET4_T5_PSR_SS_PNS1_23onesweep_lookback_stateEbbT6_jjT7_P12ihipStream_tbENKUlT_T0_SG_SL_E_clIS7_S7_PlSB_EEDaSZ_S10_SG_SL_EUlSZ_E_NS1_11comp_targetILNS1_3genE8ELNS1_11target_archE1030ELNS1_3gpuE2ELNS1_3repE0EEENS1_47radix_sort_onesweep_sort_config_static_selectorELNS0_4arch9wavefront6targetE1EEEvSG_, .Lfunc_end1669-_ZN7rocprim17ROCPRIM_400000_NS6detail17trampoline_kernelINS0_14default_configENS1_35radix_sort_onesweep_config_selectorIdlEEZZNS1_29radix_sort_onesweep_iterationIS3_Lb0EPdS7_N6thrust23THRUST_200600_302600_NS10device_ptrIlEESB_jNS0_19identity_decomposerENS1_16block_id_wrapperIjLb0EEEEE10hipError_tT1_PNSt15iterator_traitsISG_E10value_typeET2_T3_PNSH_ISM_E10value_typeET4_T5_PSR_SS_PNS1_23onesweep_lookback_stateEbbT6_jjT7_P12ihipStream_tbENKUlT_T0_SG_SL_E_clIS7_S7_PlSB_EEDaSZ_S10_SG_SL_EUlSZ_E_NS1_11comp_targetILNS1_3genE8ELNS1_11target_archE1030ELNS1_3gpuE2ELNS1_3repE0EEENS1_47radix_sort_onesweep_sort_config_static_selectorELNS0_4arch9wavefront6targetE1EEEvSG_
                                        ; -- End function
	.set _ZN7rocprim17ROCPRIM_400000_NS6detail17trampoline_kernelINS0_14default_configENS1_35radix_sort_onesweep_config_selectorIdlEEZZNS1_29radix_sort_onesweep_iterationIS3_Lb0EPdS7_N6thrust23THRUST_200600_302600_NS10device_ptrIlEESB_jNS0_19identity_decomposerENS1_16block_id_wrapperIjLb0EEEEE10hipError_tT1_PNSt15iterator_traitsISG_E10value_typeET2_T3_PNSH_ISM_E10value_typeET4_T5_PSR_SS_PNS1_23onesweep_lookback_stateEbbT6_jjT7_P12ihipStream_tbENKUlT_T0_SG_SL_E_clIS7_S7_PlSB_EEDaSZ_S10_SG_SL_EUlSZ_E_NS1_11comp_targetILNS1_3genE8ELNS1_11target_archE1030ELNS1_3gpuE2ELNS1_3repE0EEENS1_47radix_sort_onesweep_sort_config_static_selectorELNS0_4arch9wavefront6targetE1EEEvSG_.num_vgpr, 0
	.set _ZN7rocprim17ROCPRIM_400000_NS6detail17trampoline_kernelINS0_14default_configENS1_35radix_sort_onesweep_config_selectorIdlEEZZNS1_29radix_sort_onesweep_iterationIS3_Lb0EPdS7_N6thrust23THRUST_200600_302600_NS10device_ptrIlEESB_jNS0_19identity_decomposerENS1_16block_id_wrapperIjLb0EEEEE10hipError_tT1_PNSt15iterator_traitsISG_E10value_typeET2_T3_PNSH_ISM_E10value_typeET4_T5_PSR_SS_PNS1_23onesweep_lookback_stateEbbT6_jjT7_P12ihipStream_tbENKUlT_T0_SG_SL_E_clIS7_S7_PlSB_EEDaSZ_S10_SG_SL_EUlSZ_E_NS1_11comp_targetILNS1_3genE8ELNS1_11target_archE1030ELNS1_3gpuE2ELNS1_3repE0EEENS1_47radix_sort_onesweep_sort_config_static_selectorELNS0_4arch9wavefront6targetE1EEEvSG_.num_agpr, 0
	.set _ZN7rocprim17ROCPRIM_400000_NS6detail17trampoline_kernelINS0_14default_configENS1_35radix_sort_onesweep_config_selectorIdlEEZZNS1_29radix_sort_onesweep_iterationIS3_Lb0EPdS7_N6thrust23THRUST_200600_302600_NS10device_ptrIlEESB_jNS0_19identity_decomposerENS1_16block_id_wrapperIjLb0EEEEE10hipError_tT1_PNSt15iterator_traitsISG_E10value_typeET2_T3_PNSH_ISM_E10value_typeET4_T5_PSR_SS_PNS1_23onesweep_lookback_stateEbbT6_jjT7_P12ihipStream_tbENKUlT_T0_SG_SL_E_clIS7_S7_PlSB_EEDaSZ_S10_SG_SL_EUlSZ_E_NS1_11comp_targetILNS1_3genE8ELNS1_11target_archE1030ELNS1_3gpuE2ELNS1_3repE0EEENS1_47radix_sort_onesweep_sort_config_static_selectorELNS0_4arch9wavefront6targetE1EEEvSG_.numbered_sgpr, 0
	.set _ZN7rocprim17ROCPRIM_400000_NS6detail17trampoline_kernelINS0_14default_configENS1_35radix_sort_onesweep_config_selectorIdlEEZZNS1_29radix_sort_onesweep_iterationIS3_Lb0EPdS7_N6thrust23THRUST_200600_302600_NS10device_ptrIlEESB_jNS0_19identity_decomposerENS1_16block_id_wrapperIjLb0EEEEE10hipError_tT1_PNSt15iterator_traitsISG_E10value_typeET2_T3_PNSH_ISM_E10value_typeET4_T5_PSR_SS_PNS1_23onesweep_lookback_stateEbbT6_jjT7_P12ihipStream_tbENKUlT_T0_SG_SL_E_clIS7_S7_PlSB_EEDaSZ_S10_SG_SL_EUlSZ_E_NS1_11comp_targetILNS1_3genE8ELNS1_11target_archE1030ELNS1_3gpuE2ELNS1_3repE0EEENS1_47radix_sort_onesweep_sort_config_static_selectorELNS0_4arch9wavefront6targetE1EEEvSG_.num_named_barrier, 0
	.set _ZN7rocprim17ROCPRIM_400000_NS6detail17trampoline_kernelINS0_14default_configENS1_35radix_sort_onesweep_config_selectorIdlEEZZNS1_29radix_sort_onesweep_iterationIS3_Lb0EPdS7_N6thrust23THRUST_200600_302600_NS10device_ptrIlEESB_jNS0_19identity_decomposerENS1_16block_id_wrapperIjLb0EEEEE10hipError_tT1_PNSt15iterator_traitsISG_E10value_typeET2_T3_PNSH_ISM_E10value_typeET4_T5_PSR_SS_PNS1_23onesweep_lookback_stateEbbT6_jjT7_P12ihipStream_tbENKUlT_T0_SG_SL_E_clIS7_S7_PlSB_EEDaSZ_S10_SG_SL_EUlSZ_E_NS1_11comp_targetILNS1_3genE8ELNS1_11target_archE1030ELNS1_3gpuE2ELNS1_3repE0EEENS1_47radix_sort_onesweep_sort_config_static_selectorELNS0_4arch9wavefront6targetE1EEEvSG_.private_seg_size, 0
	.set _ZN7rocprim17ROCPRIM_400000_NS6detail17trampoline_kernelINS0_14default_configENS1_35radix_sort_onesweep_config_selectorIdlEEZZNS1_29radix_sort_onesweep_iterationIS3_Lb0EPdS7_N6thrust23THRUST_200600_302600_NS10device_ptrIlEESB_jNS0_19identity_decomposerENS1_16block_id_wrapperIjLb0EEEEE10hipError_tT1_PNSt15iterator_traitsISG_E10value_typeET2_T3_PNSH_ISM_E10value_typeET4_T5_PSR_SS_PNS1_23onesweep_lookback_stateEbbT6_jjT7_P12ihipStream_tbENKUlT_T0_SG_SL_E_clIS7_S7_PlSB_EEDaSZ_S10_SG_SL_EUlSZ_E_NS1_11comp_targetILNS1_3genE8ELNS1_11target_archE1030ELNS1_3gpuE2ELNS1_3repE0EEENS1_47radix_sort_onesweep_sort_config_static_selectorELNS0_4arch9wavefront6targetE1EEEvSG_.uses_vcc, 0
	.set _ZN7rocprim17ROCPRIM_400000_NS6detail17trampoline_kernelINS0_14default_configENS1_35radix_sort_onesweep_config_selectorIdlEEZZNS1_29radix_sort_onesweep_iterationIS3_Lb0EPdS7_N6thrust23THRUST_200600_302600_NS10device_ptrIlEESB_jNS0_19identity_decomposerENS1_16block_id_wrapperIjLb0EEEEE10hipError_tT1_PNSt15iterator_traitsISG_E10value_typeET2_T3_PNSH_ISM_E10value_typeET4_T5_PSR_SS_PNS1_23onesweep_lookback_stateEbbT6_jjT7_P12ihipStream_tbENKUlT_T0_SG_SL_E_clIS7_S7_PlSB_EEDaSZ_S10_SG_SL_EUlSZ_E_NS1_11comp_targetILNS1_3genE8ELNS1_11target_archE1030ELNS1_3gpuE2ELNS1_3repE0EEENS1_47radix_sort_onesweep_sort_config_static_selectorELNS0_4arch9wavefront6targetE1EEEvSG_.uses_flat_scratch, 0
	.set _ZN7rocprim17ROCPRIM_400000_NS6detail17trampoline_kernelINS0_14default_configENS1_35radix_sort_onesweep_config_selectorIdlEEZZNS1_29radix_sort_onesweep_iterationIS3_Lb0EPdS7_N6thrust23THRUST_200600_302600_NS10device_ptrIlEESB_jNS0_19identity_decomposerENS1_16block_id_wrapperIjLb0EEEEE10hipError_tT1_PNSt15iterator_traitsISG_E10value_typeET2_T3_PNSH_ISM_E10value_typeET4_T5_PSR_SS_PNS1_23onesweep_lookback_stateEbbT6_jjT7_P12ihipStream_tbENKUlT_T0_SG_SL_E_clIS7_S7_PlSB_EEDaSZ_S10_SG_SL_EUlSZ_E_NS1_11comp_targetILNS1_3genE8ELNS1_11target_archE1030ELNS1_3gpuE2ELNS1_3repE0EEENS1_47radix_sort_onesweep_sort_config_static_selectorELNS0_4arch9wavefront6targetE1EEEvSG_.has_dyn_sized_stack, 0
	.set _ZN7rocprim17ROCPRIM_400000_NS6detail17trampoline_kernelINS0_14default_configENS1_35radix_sort_onesweep_config_selectorIdlEEZZNS1_29radix_sort_onesweep_iterationIS3_Lb0EPdS7_N6thrust23THRUST_200600_302600_NS10device_ptrIlEESB_jNS0_19identity_decomposerENS1_16block_id_wrapperIjLb0EEEEE10hipError_tT1_PNSt15iterator_traitsISG_E10value_typeET2_T3_PNSH_ISM_E10value_typeET4_T5_PSR_SS_PNS1_23onesweep_lookback_stateEbbT6_jjT7_P12ihipStream_tbENKUlT_T0_SG_SL_E_clIS7_S7_PlSB_EEDaSZ_S10_SG_SL_EUlSZ_E_NS1_11comp_targetILNS1_3genE8ELNS1_11target_archE1030ELNS1_3gpuE2ELNS1_3repE0EEENS1_47radix_sort_onesweep_sort_config_static_selectorELNS0_4arch9wavefront6targetE1EEEvSG_.has_recursion, 0
	.set _ZN7rocprim17ROCPRIM_400000_NS6detail17trampoline_kernelINS0_14default_configENS1_35radix_sort_onesweep_config_selectorIdlEEZZNS1_29radix_sort_onesweep_iterationIS3_Lb0EPdS7_N6thrust23THRUST_200600_302600_NS10device_ptrIlEESB_jNS0_19identity_decomposerENS1_16block_id_wrapperIjLb0EEEEE10hipError_tT1_PNSt15iterator_traitsISG_E10value_typeET2_T3_PNSH_ISM_E10value_typeET4_T5_PSR_SS_PNS1_23onesweep_lookback_stateEbbT6_jjT7_P12ihipStream_tbENKUlT_T0_SG_SL_E_clIS7_S7_PlSB_EEDaSZ_S10_SG_SL_EUlSZ_E_NS1_11comp_targetILNS1_3genE8ELNS1_11target_archE1030ELNS1_3gpuE2ELNS1_3repE0EEENS1_47radix_sort_onesweep_sort_config_static_selectorELNS0_4arch9wavefront6targetE1EEEvSG_.has_indirect_call, 0
	.section	.AMDGPU.csdata,"",@progbits
; Kernel info:
; codeLenInByte = 0
; TotalNumSgprs: 4
; NumVgprs: 0
; ScratchSize: 0
; MemoryBound: 0
; FloatMode: 240
; IeeeMode: 1
; LDSByteSize: 0 bytes/workgroup (compile time only)
; SGPRBlocks: 0
; VGPRBlocks: 0
; NumSGPRsForWavesPerEU: 4
; NumVGPRsForWavesPerEU: 1
; Occupancy: 10
; WaveLimiterHint : 0
; COMPUTE_PGM_RSRC2:SCRATCH_EN: 0
; COMPUTE_PGM_RSRC2:USER_SGPR: 6
; COMPUTE_PGM_RSRC2:TRAP_HANDLER: 0
; COMPUTE_PGM_RSRC2:TGID_X_EN: 1
; COMPUTE_PGM_RSRC2:TGID_Y_EN: 0
; COMPUTE_PGM_RSRC2:TGID_Z_EN: 0
; COMPUTE_PGM_RSRC2:TIDIG_COMP_CNT: 0
	.section	.text._ZN7rocprim17ROCPRIM_400000_NS6detail17trampoline_kernelINS0_14default_configENS1_22reduce_config_selectorIiEEZNS1_11reduce_implILb1ES3_N6thrust23THRUST_200600_302600_NS11hip_rocprim35transform_pair_of_input_iterators_tIiPdSB_NS8_12not_equal_toIdEEEEPiiNS8_4plusIiEEEE10hipError_tPvRmT1_T2_T3_mT4_P12ihipStream_tbEUlT_E0_NS1_11comp_targetILNS1_3genE0ELNS1_11target_archE4294967295ELNS1_3gpuE0ELNS1_3repE0EEENS1_30default_config_static_selectorELNS0_4arch9wavefront6targetE1EEEvSL_,"axG",@progbits,_ZN7rocprim17ROCPRIM_400000_NS6detail17trampoline_kernelINS0_14default_configENS1_22reduce_config_selectorIiEEZNS1_11reduce_implILb1ES3_N6thrust23THRUST_200600_302600_NS11hip_rocprim35transform_pair_of_input_iterators_tIiPdSB_NS8_12not_equal_toIdEEEEPiiNS8_4plusIiEEEE10hipError_tPvRmT1_T2_T3_mT4_P12ihipStream_tbEUlT_E0_NS1_11comp_targetILNS1_3genE0ELNS1_11target_archE4294967295ELNS1_3gpuE0ELNS1_3repE0EEENS1_30default_config_static_selectorELNS0_4arch9wavefront6targetE1EEEvSL_,comdat
	.protected	_ZN7rocprim17ROCPRIM_400000_NS6detail17trampoline_kernelINS0_14default_configENS1_22reduce_config_selectorIiEEZNS1_11reduce_implILb1ES3_N6thrust23THRUST_200600_302600_NS11hip_rocprim35transform_pair_of_input_iterators_tIiPdSB_NS8_12not_equal_toIdEEEEPiiNS8_4plusIiEEEE10hipError_tPvRmT1_T2_T3_mT4_P12ihipStream_tbEUlT_E0_NS1_11comp_targetILNS1_3genE0ELNS1_11target_archE4294967295ELNS1_3gpuE0ELNS1_3repE0EEENS1_30default_config_static_selectorELNS0_4arch9wavefront6targetE1EEEvSL_ ; -- Begin function _ZN7rocprim17ROCPRIM_400000_NS6detail17trampoline_kernelINS0_14default_configENS1_22reduce_config_selectorIiEEZNS1_11reduce_implILb1ES3_N6thrust23THRUST_200600_302600_NS11hip_rocprim35transform_pair_of_input_iterators_tIiPdSB_NS8_12not_equal_toIdEEEEPiiNS8_4plusIiEEEE10hipError_tPvRmT1_T2_T3_mT4_P12ihipStream_tbEUlT_E0_NS1_11comp_targetILNS1_3genE0ELNS1_11target_archE4294967295ELNS1_3gpuE0ELNS1_3repE0EEENS1_30default_config_static_selectorELNS0_4arch9wavefront6targetE1EEEvSL_
	.globl	_ZN7rocprim17ROCPRIM_400000_NS6detail17trampoline_kernelINS0_14default_configENS1_22reduce_config_selectorIiEEZNS1_11reduce_implILb1ES3_N6thrust23THRUST_200600_302600_NS11hip_rocprim35transform_pair_of_input_iterators_tIiPdSB_NS8_12not_equal_toIdEEEEPiiNS8_4plusIiEEEE10hipError_tPvRmT1_T2_T3_mT4_P12ihipStream_tbEUlT_E0_NS1_11comp_targetILNS1_3genE0ELNS1_11target_archE4294967295ELNS1_3gpuE0ELNS1_3repE0EEENS1_30default_config_static_selectorELNS0_4arch9wavefront6targetE1EEEvSL_
	.p2align	8
	.type	_ZN7rocprim17ROCPRIM_400000_NS6detail17trampoline_kernelINS0_14default_configENS1_22reduce_config_selectorIiEEZNS1_11reduce_implILb1ES3_N6thrust23THRUST_200600_302600_NS11hip_rocprim35transform_pair_of_input_iterators_tIiPdSB_NS8_12not_equal_toIdEEEEPiiNS8_4plusIiEEEE10hipError_tPvRmT1_T2_T3_mT4_P12ihipStream_tbEUlT_E0_NS1_11comp_targetILNS1_3genE0ELNS1_11target_archE4294967295ELNS1_3gpuE0ELNS1_3repE0EEENS1_30default_config_static_selectorELNS0_4arch9wavefront6targetE1EEEvSL_,@function
_ZN7rocprim17ROCPRIM_400000_NS6detail17trampoline_kernelINS0_14default_configENS1_22reduce_config_selectorIiEEZNS1_11reduce_implILb1ES3_N6thrust23THRUST_200600_302600_NS11hip_rocprim35transform_pair_of_input_iterators_tIiPdSB_NS8_12not_equal_toIdEEEEPiiNS8_4plusIiEEEE10hipError_tPvRmT1_T2_T3_mT4_P12ihipStream_tbEUlT_E0_NS1_11comp_targetILNS1_3genE0ELNS1_11target_archE4294967295ELNS1_3gpuE0ELNS1_3repE0EEENS1_30default_config_static_selectorELNS0_4arch9wavefront6targetE1EEEvSL_: ; @_ZN7rocprim17ROCPRIM_400000_NS6detail17trampoline_kernelINS0_14default_configENS1_22reduce_config_selectorIiEEZNS1_11reduce_implILb1ES3_N6thrust23THRUST_200600_302600_NS11hip_rocprim35transform_pair_of_input_iterators_tIiPdSB_NS8_12not_equal_toIdEEEEPiiNS8_4plusIiEEEE10hipError_tPvRmT1_T2_T3_mT4_P12ihipStream_tbEUlT_E0_NS1_11comp_targetILNS1_3genE0ELNS1_11target_archE4294967295ELNS1_3gpuE0ELNS1_3repE0EEENS1_30default_config_static_selectorELNS0_4arch9wavefront6targetE1EEEvSL_
; %bb.0:
	.section	.rodata,"a",@progbits
	.p2align	6, 0x0
	.amdhsa_kernel _ZN7rocprim17ROCPRIM_400000_NS6detail17trampoline_kernelINS0_14default_configENS1_22reduce_config_selectorIiEEZNS1_11reduce_implILb1ES3_N6thrust23THRUST_200600_302600_NS11hip_rocprim35transform_pair_of_input_iterators_tIiPdSB_NS8_12not_equal_toIdEEEEPiiNS8_4plusIiEEEE10hipError_tPvRmT1_T2_T3_mT4_P12ihipStream_tbEUlT_E0_NS1_11comp_targetILNS1_3genE0ELNS1_11target_archE4294967295ELNS1_3gpuE0ELNS1_3repE0EEENS1_30default_config_static_selectorELNS0_4arch9wavefront6targetE1EEEvSL_
		.amdhsa_group_segment_fixed_size 0
		.amdhsa_private_segment_fixed_size 0
		.amdhsa_kernarg_size 72
		.amdhsa_user_sgpr_count 6
		.amdhsa_user_sgpr_private_segment_buffer 1
		.amdhsa_user_sgpr_dispatch_ptr 0
		.amdhsa_user_sgpr_queue_ptr 0
		.amdhsa_user_sgpr_kernarg_segment_ptr 1
		.amdhsa_user_sgpr_dispatch_id 0
		.amdhsa_user_sgpr_flat_scratch_init 0
		.amdhsa_user_sgpr_private_segment_size 0
		.amdhsa_uses_dynamic_stack 0
		.amdhsa_system_sgpr_private_segment_wavefront_offset 0
		.amdhsa_system_sgpr_workgroup_id_x 1
		.amdhsa_system_sgpr_workgroup_id_y 0
		.amdhsa_system_sgpr_workgroup_id_z 0
		.amdhsa_system_sgpr_workgroup_info 0
		.amdhsa_system_vgpr_workitem_id 0
		.amdhsa_next_free_vgpr 1
		.amdhsa_next_free_sgpr 0
		.amdhsa_reserve_vcc 0
		.amdhsa_reserve_flat_scratch 0
		.amdhsa_float_round_mode_32 0
		.amdhsa_float_round_mode_16_64 0
		.amdhsa_float_denorm_mode_32 3
		.amdhsa_float_denorm_mode_16_64 3
		.amdhsa_dx10_clamp 1
		.amdhsa_ieee_mode 1
		.amdhsa_fp16_overflow 0
		.amdhsa_exception_fp_ieee_invalid_op 0
		.amdhsa_exception_fp_denorm_src 0
		.amdhsa_exception_fp_ieee_div_zero 0
		.amdhsa_exception_fp_ieee_overflow 0
		.amdhsa_exception_fp_ieee_underflow 0
		.amdhsa_exception_fp_ieee_inexact 0
		.amdhsa_exception_int_div_zero 0
	.end_amdhsa_kernel
	.section	.text._ZN7rocprim17ROCPRIM_400000_NS6detail17trampoline_kernelINS0_14default_configENS1_22reduce_config_selectorIiEEZNS1_11reduce_implILb1ES3_N6thrust23THRUST_200600_302600_NS11hip_rocprim35transform_pair_of_input_iterators_tIiPdSB_NS8_12not_equal_toIdEEEEPiiNS8_4plusIiEEEE10hipError_tPvRmT1_T2_T3_mT4_P12ihipStream_tbEUlT_E0_NS1_11comp_targetILNS1_3genE0ELNS1_11target_archE4294967295ELNS1_3gpuE0ELNS1_3repE0EEENS1_30default_config_static_selectorELNS0_4arch9wavefront6targetE1EEEvSL_,"axG",@progbits,_ZN7rocprim17ROCPRIM_400000_NS6detail17trampoline_kernelINS0_14default_configENS1_22reduce_config_selectorIiEEZNS1_11reduce_implILb1ES3_N6thrust23THRUST_200600_302600_NS11hip_rocprim35transform_pair_of_input_iterators_tIiPdSB_NS8_12not_equal_toIdEEEEPiiNS8_4plusIiEEEE10hipError_tPvRmT1_T2_T3_mT4_P12ihipStream_tbEUlT_E0_NS1_11comp_targetILNS1_3genE0ELNS1_11target_archE4294967295ELNS1_3gpuE0ELNS1_3repE0EEENS1_30default_config_static_selectorELNS0_4arch9wavefront6targetE1EEEvSL_,comdat
.Lfunc_end1670:
	.size	_ZN7rocprim17ROCPRIM_400000_NS6detail17trampoline_kernelINS0_14default_configENS1_22reduce_config_selectorIiEEZNS1_11reduce_implILb1ES3_N6thrust23THRUST_200600_302600_NS11hip_rocprim35transform_pair_of_input_iterators_tIiPdSB_NS8_12not_equal_toIdEEEEPiiNS8_4plusIiEEEE10hipError_tPvRmT1_T2_T3_mT4_P12ihipStream_tbEUlT_E0_NS1_11comp_targetILNS1_3genE0ELNS1_11target_archE4294967295ELNS1_3gpuE0ELNS1_3repE0EEENS1_30default_config_static_selectorELNS0_4arch9wavefront6targetE1EEEvSL_, .Lfunc_end1670-_ZN7rocprim17ROCPRIM_400000_NS6detail17trampoline_kernelINS0_14default_configENS1_22reduce_config_selectorIiEEZNS1_11reduce_implILb1ES3_N6thrust23THRUST_200600_302600_NS11hip_rocprim35transform_pair_of_input_iterators_tIiPdSB_NS8_12not_equal_toIdEEEEPiiNS8_4plusIiEEEE10hipError_tPvRmT1_T2_T3_mT4_P12ihipStream_tbEUlT_E0_NS1_11comp_targetILNS1_3genE0ELNS1_11target_archE4294967295ELNS1_3gpuE0ELNS1_3repE0EEENS1_30default_config_static_selectorELNS0_4arch9wavefront6targetE1EEEvSL_
                                        ; -- End function
	.set _ZN7rocprim17ROCPRIM_400000_NS6detail17trampoline_kernelINS0_14default_configENS1_22reduce_config_selectorIiEEZNS1_11reduce_implILb1ES3_N6thrust23THRUST_200600_302600_NS11hip_rocprim35transform_pair_of_input_iterators_tIiPdSB_NS8_12not_equal_toIdEEEEPiiNS8_4plusIiEEEE10hipError_tPvRmT1_T2_T3_mT4_P12ihipStream_tbEUlT_E0_NS1_11comp_targetILNS1_3genE0ELNS1_11target_archE4294967295ELNS1_3gpuE0ELNS1_3repE0EEENS1_30default_config_static_selectorELNS0_4arch9wavefront6targetE1EEEvSL_.num_vgpr, 0
	.set _ZN7rocprim17ROCPRIM_400000_NS6detail17trampoline_kernelINS0_14default_configENS1_22reduce_config_selectorIiEEZNS1_11reduce_implILb1ES3_N6thrust23THRUST_200600_302600_NS11hip_rocprim35transform_pair_of_input_iterators_tIiPdSB_NS8_12not_equal_toIdEEEEPiiNS8_4plusIiEEEE10hipError_tPvRmT1_T2_T3_mT4_P12ihipStream_tbEUlT_E0_NS1_11comp_targetILNS1_3genE0ELNS1_11target_archE4294967295ELNS1_3gpuE0ELNS1_3repE0EEENS1_30default_config_static_selectorELNS0_4arch9wavefront6targetE1EEEvSL_.num_agpr, 0
	.set _ZN7rocprim17ROCPRIM_400000_NS6detail17trampoline_kernelINS0_14default_configENS1_22reduce_config_selectorIiEEZNS1_11reduce_implILb1ES3_N6thrust23THRUST_200600_302600_NS11hip_rocprim35transform_pair_of_input_iterators_tIiPdSB_NS8_12not_equal_toIdEEEEPiiNS8_4plusIiEEEE10hipError_tPvRmT1_T2_T3_mT4_P12ihipStream_tbEUlT_E0_NS1_11comp_targetILNS1_3genE0ELNS1_11target_archE4294967295ELNS1_3gpuE0ELNS1_3repE0EEENS1_30default_config_static_selectorELNS0_4arch9wavefront6targetE1EEEvSL_.numbered_sgpr, 0
	.set _ZN7rocprim17ROCPRIM_400000_NS6detail17trampoline_kernelINS0_14default_configENS1_22reduce_config_selectorIiEEZNS1_11reduce_implILb1ES3_N6thrust23THRUST_200600_302600_NS11hip_rocprim35transform_pair_of_input_iterators_tIiPdSB_NS8_12not_equal_toIdEEEEPiiNS8_4plusIiEEEE10hipError_tPvRmT1_T2_T3_mT4_P12ihipStream_tbEUlT_E0_NS1_11comp_targetILNS1_3genE0ELNS1_11target_archE4294967295ELNS1_3gpuE0ELNS1_3repE0EEENS1_30default_config_static_selectorELNS0_4arch9wavefront6targetE1EEEvSL_.num_named_barrier, 0
	.set _ZN7rocprim17ROCPRIM_400000_NS6detail17trampoline_kernelINS0_14default_configENS1_22reduce_config_selectorIiEEZNS1_11reduce_implILb1ES3_N6thrust23THRUST_200600_302600_NS11hip_rocprim35transform_pair_of_input_iterators_tIiPdSB_NS8_12not_equal_toIdEEEEPiiNS8_4plusIiEEEE10hipError_tPvRmT1_T2_T3_mT4_P12ihipStream_tbEUlT_E0_NS1_11comp_targetILNS1_3genE0ELNS1_11target_archE4294967295ELNS1_3gpuE0ELNS1_3repE0EEENS1_30default_config_static_selectorELNS0_4arch9wavefront6targetE1EEEvSL_.private_seg_size, 0
	.set _ZN7rocprim17ROCPRIM_400000_NS6detail17trampoline_kernelINS0_14default_configENS1_22reduce_config_selectorIiEEZNS1_11reduce_implILb1ES3_N6thrust23THRUST_200600_302600_NS11hip_rocprim35transform_pair_of_input_iterators_tIiPdSB_NS8_12not_equal_toIdEEEEPiiNS8_4plusIiEEEE10hipError_tPvRmT1_T2_T3_mT4_P12ihipStream_tbEUlT_E0_NS1_11comp_targetILNS1_3genE0ELNS1_11target_archE4294967295ELNS1_3gpuE0ELNS1_3repE0EEENS1_30default_config_static_selectorELNS0_4arch9wavefront6targetE1EEEvSL_.uses_vcc, 0
	.set _ZN7rocprim17ROCPRIM_400000_NS6detail17trampoline_kernelINS0_14default_configENS1_22reduce_config_selectorIiEEZNS1_11reduce_implILb1ES3_N6thrust23THRUST_200600_302600_NS11hip_rocprim35transform_pair_of_input_iterators_tIiPdSB_NS8_12not_equal_toIdEEEEPiiNS8_4plusIiEEEE10hipError_tPvRmT1_T2_T3_mT4_P12ihipStream_tbEUlT_E0_NS1_11comp_targetILNS1_3genE0ELNS1_11target_archE4294967295ELNS1_3gpuE0ELNS1_3repE0EEENS1_30default_config_static_selectorELNS0_4arch9wavefront6targetE1EEEvSL_.uses_flat_scratch, 0
	.set _ZN7rocprim17ROCPRIM_400000_NS6detail17trampoline_kernelINS0_14default_configENS1_22reduce_config_selectorIiEEZNS1_11reduce_implILb1ES3_N6thrust23THRUST_200600_302600_NS11hip_rocprim35transform_pair_of_input_iterators_tIiPdSB_NS8_12not_equal_toIdEEEEPiiNS8_4plusIiEEEE10hipError_tPvRmT1_T2_T3_mT4_P12ihipStream_tbEUlT_E0_NS1_11comp_targetILNS1_3genE0ELNS1_11target_archE4294967295ELNS1_3gpuE0ELNS1_3repE0EEENS1_30default_config_static_selectorELNS0_4arch9wavefront6targetE1EEEvSL_.has_dyn_sized_stack, 0
	.set _ZN7rocprim17ROCPRIM_400000_NS6detail17trampoline_kernelINS0_14default_configENS1_22reduce_config_selectorIiEEZNS1_11reduce_implILb1ES3_N6thrust23THRUST_200600_302600_NS11hip_rocprim35transform_pair_of_input_iterators_tIiPdSB_NS8_12not_equal_toIdEEEEPiiNS8_4plusIiEEEE10hipError_tPvRmT1_T2_T3_mT4_P12ihipStream_tbEUlT_E0_NS1_11comp_targetILNS1_3genE0ELNS1_11target_archE4294967295ELNS1_3gpuE0ELNS1_3repE0EEENS1_30default_config_static_selectorELNS0_4arch9wavefront6targetE1EEEvSL_.has_recursion, 0
	.set _ZN7rocprim17ROCPRIM_400000_NS6detail17trampoline_kernelINS0_14default_configENS1_22reduce_config_selectorIiEEZNS1_11reduce_implILb1ES3_N6thrust23THRUST_200600_302600_NS11hip_rocprim35transform_pair_of_input_iterators_tIiPdSB_NS8_12not_equal_toIdEEEEPiiNS8_4plusIiEEEE10hipError_tPvRmT1_T2_T3_mT4_P12ihipStream_tbEUlT_E0_NS1_11comp_targetILNS1_3genE0ELNS1_11target_archE4294967295ELNS1_3gpuE0ELNS1_3repE0EEENS1_30default_config_static_selectorELNS0_4arch9wavefront6targetE1EEEvSL_.has_indirect_call, 0
	.section	.AMDGPU.csdata,"",@progbits
; Kernel info:
; codeLenInByte = 0
; TotalNumSgprs: 4
; NumVgprs: 0
; ScratchSize: 0
; MemoryBound: 0
; FloatMode: 240
; IeeeMode: 1
; LDSByteSize: 0 bytes/workgroup (compile time only)
; SGPRBlocks: 0
; VGPRBlocks: 0
; NumSGPRsForWavesPerEU: 4
; NumVGPRsForWavesPerEU: 1
; Occupancy: 10
; WaveLimiterHint : 0
; COMPUTE_PGM_RSRC2:SCRATCH_EN: 0
; COMPUTE_PGM_RSRC2:USER_SGPR: 6
; COMPUTE_PGM_RSRC2:TRAP_HANDLER: 0
; COMPUTE_PGM_RSRC2:TGID_X_EN: 1
; COMPUTE_PGM_RSRC2:TGID_Y_EN: 0
; COMPUTE_PGM_RSRC2:TGID_Z_EN: 0
; COMPUTE_PGM_RSRC2:TIDIG_COMP_CNT: 0
	.section	.text._ZN7rocprim17ROCPRIM_400000_NS6detail17trampoline_kernelINS0_14default_configENS1_22reduce_config_selectorIiEEZNS1_11reduce_implILb1ES3_N6thrust23THRUST_200600_302600_NS11hip_rocprim35transform_pair_of_input_iterators_tIiPdSB_NS8_12not_equal_toIdEEEEPiiNS8_4plusIiEEEE10hipError_tPvRmT1_T2_T3_mT4_P12ihipStream_tbEUlT_E0_NS1_11comp_targetILNS1_3genE5ELNS1_11target_archE942ELNS1_3gpuE9ELNS1_3repE0EEENS1_30default_config_static_selectorELNS0_4arch9wavefront6targetE1EEEvSL_,"axG",@progbits,_ZN7rocprim17ROCPRIM_400000_NS6detail17trampoline_kernelINS0_14default_configENS1_22reduce_config_selectorIiEEZNS1_11reduce_implILb1ES3_N6thrust23THRUST_200600_302600_NS11hip_rocprim35transform_pair_of_input_iterators_tIiPdSB_NS8_12not_equal_toIdEEEEPiiNS8_4plusIiEEEE10hipError_tPvRmT1_T2_T3_mT4_P12ihipStream_tbEUlT_E0_NS1_11comp_targetILNS1_3genE5ELNS1_11target_archE942ELNS1_3gpuE9ELNS1_3repE0EEENS1_30default_config_static_selectorELNS0_4arch9wavefront6targetE1EEEvSL_,comdat
	.protected	_ZN7rocprim17ROCPRIM_400000_NS6detail17trampoline_kernelINS0_14default_configENS1_22reduce_config_selectorIiEEZNS1_11reduce_implILb1ES3_N6thrust23THRUST_200600_302600_NS11hip_rocprim35transform_pair_of_input_iterators_tIiPdSB_NS8_12not_equal_toIdEEEEPiiNS8_4plusIiEEEE10hipError_tPvRmT1_T2_T3_mT4_P12ihipStream_tbEUlT_E0_NS1_11comp_targetILNS1_3genE5ELNS1_11target_archE942ELNS1_3gpuE9ELNS1_3repE0EEENS1_30default_config_static_selectorELNS0_4arch9wavefront6targetE1EEEvSL_ ; -- Begin function _ZN7rocprim17ROCPRIM_400000_NS6detail17trampoline_kernelINS0_14default_configENS1_22reduce_config_selectorIiEEZNS1_11reduce_implILb1ES3_N6thrust23THRUST_200600_302600_NS11hip_rocprim35transform_pair_of_input_iterators_tIiPdSB_NS8_12not_equal_toIdEEEEPiiNS8_4plusIiEEEE10hipError_tPvRmT1_T2_T3_mT4_P12ihipStream_tbEUlT_E0_NS1_11comp_targetILNS1_3genE5ELNS1_11target_archE942ELNS1_3gpuE9ELNS1_3repE0EEENS1_30default_config_static_selectorELNS0_4arch9wavefront6targetE1EEEvSL_
	.globl	_ZN7rocprim17ROCPRIM_400000_NS6detail17trampoline_kernelINS0_14default_configENS1_22reduce_config_selectorIiEEZNS1_11reduce_implILb1ES3_N6thrust23THRUST_200600_302600_NS11hip_rocprim35transform_pair_of_input_iterators_tIiPdSB_NS8_12not_equal_toIdEEEEPiiNS8_4plusIiEEEE10hipError_tPvRmT1_T2_T3_mT4_P12ihipStream_tbEUlT_E0_NS1_11comp_targetILNS1_3genE5ELNS1_11target_archE942ELNS1_3gpuE9ELNS1_3repE0EEENS1_30default_config_static_selectorELNS0_4arch9wavefront6targetE1EEEvSL_
	.p2align	8
	.type	_ZN7rocprim17ROCPRIM_400000_NS6detail17trampoline_kernelINS0_14default_configENS1_22reduce_config_selectorIiEEZNS1_11reduce_implILb1ES3_N6thrust23THRUST_200600_302600_NS11hip_rocprim35transform_pair_of_input_iterators_tIiPdSB_NS8_12not_equal_toIdEEEEPiiNS8_4plusIiEEEE10hipError_tPvRmT1_T2_T3_mT4_P12ihipStream_tbEUlT_E0_NS1_11comp_targetILNS1_3genE5ELNS1_11target_archE942ELNS1_3gpuE9ELNS1_3repE0EEENS1_30default_config_static_selectorELNS0_4arch9wavefront6targetE1EEEvSL_,@function
_ZN7rocprim17ROCPRIM_400000_NS6detail17trampoline_kernelINS0_14default_configENS1_22reduce_config_selectorIiEEZNS1_11reduce_implILb1ES3_N6thrust23THRUST_200600_302600_NS11hip_rocprim35transform_pair_of_input_iterators_tIiPdSB_NS8_12not_equal_toIdEEEEPiiNS8_4plusIiEEEE10hipError_tPvRmT1_T2_T3_mT4_P12ihipStream_tbEUlT_E0_NS1_11comp_targetILNS1_3genE5ELNS1_11target_archE942ELNS1_3gpuE9ELNS1_3repE0EEENS1_30default_config_static_selectorELNS0_4arch9wavefront6targetE1EEEvSL_: ; @_ZN7rocprim17ROCPRIM_400000_NS6detail17trampoline_kernelINS0_14default_configENS1_22reduce_config_selectorIiEEZNS1_11reduce_implILb1ES3_N6thrust23THRUST_200600_302600_NS11hip_rocprim35transform_pair_of_input_iterators_tIiPdSB_NS8_12not_equal_toIdEEEEPiiNS8_4plusIiEEEE10hipError_tPvRmT1_T2_T3_mT4_P12ihipStream_tbEUlT_E0_NS1_11comp_targetILNS1_3genE5ELNS1_11target_archE942ELNS1_3gpuE9ELNS1_3repE0EEENS1_30default_config_static_selectorELNS0_4arch9wavefront6targetE1EEEvSL_
; %bb.0:
	.section	.rodata,"a",@progbits
	.p2align	6, 0x0
	.amdhsa_kernel _ZN7rocprim17ROCPRIM_400000_NS6detail17trampoline_kernelINS0_14default_configENS1_22reduce_config_selectorIiEEZNS1_11reduce_implILb1ES3_N6thrust23THRUST_200600_302600_NS11hip_rocprim35transform_pair_of_input_iterators_tIiPdSB_NS8_12not_equal_toIdEEEEPiiNS8_4plusIiEEEE10hipError_tPvRmT1_T2_T3_mT4_P12ihipStream_tbEUlT_E0_NS1_11comp_targetILNS1_3genE5ELNS1_11target_archE942ELNS1_3gpuE9ELNS1_3repE0EEENS1_30default_config_static_selectorELNS0_4arch9wavefront6targetE1EEEvSL_
		.amdhsa_group_segment_fixed_size 0
		.amdhsa_private_segment_fixed_size 0
		.amdhsa_kernarg_size 72
		.amdhsa_user_sgpr_count 6
		.amdhsa_user_sgpr_private_segment_buffer 1
		.amdhsa_user_sgpr_dispatch_ptr 0
		.amdhsa_user_sgpr_queue_ptr 0
		.amdhsa_user_sgpr_kernarg_segment_ptr 1
		.amdhsa_user_sgpr_dispatch_id 0
		.amdhsa_user_sgpr_flat_scratch_init 0
		.amdhsa_user_sgpr_private_segment_size 0
		.amdhsa_uses_dynamic_stack 0
		.amdhsa_system_sgpr_private_segment_wavefront_offset 0
		.amdhsa_system_sgpr_workgroup_id_x 1
		.amdhsa_system_sgpr_workgroup_id_y 0
		.amdhsa_system_sgpr_workgroup_id_z 0
		.amdhsa_system_sgpr_workgroup_info 0
		.amdhsa_system_vgpr_workitem_id 0
		.amdhsa_next_free_vgpr 1
		.amdhsa_next_free_sgpr 0
		.amdhsa_reserve_vcc 0
		.amdhsa_reserve_flat_scratch 0
		.amdhsa_float_round_mode_32 0
		.amdhsa_float_round_mode_16_64 0
		.amdhsa_float_denorm_mode_32 3
		.amdhsa_float_denorm_mode_16_64 3
		.amdhsa_dx10_clamp 1
		.amdhsa_ieee_mode 1
		.amdhsa_fp16_overflow 0
		.amdhsa_exception_fp_ieee_invalid_op 0
		.amdhsa_exception_fp_denorm_src 0
		.amdhsa_exception_fp_ieee_div_zero 0
		.amdhsa_exception_fp_ieee_overflow 0
		.amdhsa_exception_fp_ieee_underflow 0
		.amdhsa_exception_fp_ieee_inexact 0
		.amdhsa_exception_int_div_zero 0
	.end_amdhsa_kernel
	.section	.text._ZN7rocprim17ROCPRIM_400000_NS6detail17trampoline_kernelINS0_14default_configENS1_22reduce_config_selectorIiEEZNS1_11reduce_implILb1ES3_N6thrust23THRUST_200600_302600_NS11hip_rocprim35transform_pair_of_input_iterators_tIiPdSB_NS8_12not_equal_toIdEEEEPiiNS8_4plusIiEEEE10hipError_tPvRmT1_T2_T3_mT4_P12ihipStream_tbEUlT_E0_NS1_11comp_targetILNS1_3genE5ELNS1_11target_archE942ELNS1_3gpuE9ELNS1_3repE0EEENS1_30default_config_static_selectorELNS0_4arch9wavefront6targetE1EEEvSL_,"axG",@progbits,_ZN7rocprim17ROCPRIM_400000_NS6detail17trampoline_kernelINS0_14default_configENS1_22reduce_config_selectorIiEEZNS1_11reduce_implILb1ES3_N6thrust23THRUST_200600_302600_NS11hip_rocprim35transform_pair_of_input_iterators_tIiPdSB_NS8_12not_equal_toIdEEEEPiiNS8_4plusIiEEEE10hipError_tPvRmT1_T2_T3_mT4_P12ihipStream_tbEUlT_E0_NS1_11comp_targetILNS1_3genE5ELNS1_11target_archE942ELNS1_3gpuE9ELNS1_3repE0EEENS1_30default_config_static_selectorELNS0_4arch9wavefront6targetE1EEEvSL_,comdat
.Lfunc_end1671:
	.size	_ZN7rocprim17ROCPRIM_400000_NS6detail17trampoline_kernelINS0_14default_configENS1_22reduce_config_selectorIiEEZNS1_11reduce_implILb1ES3_N6thrust23THRUST_200600_302600_NS11hip_rocprim35transform_pair_of_input_iterators_tIiPdSB_NS8_12not_equal_toIdEEEEPiiNS8_4plusIiEEEE10hipError_tPvRmT1_T2_T3_mT4_P12ihipStream_tbEUlT_E0_NS1_11comp_targetILNS1_3genE5ELNS1_11target_archE942ELNS1_3gpuE9ELNS1_3repE0EEENS1_30default_config_static_selectorELNS0_4arch9wavefront6targetE1EEEvSL_, .Lfunc_end1671-_ZN7rocprim17ROCPRIM_400000_NS6detail17trampoline_kernelINS0_14default_configENS1_22reduce_config_selectorIiEEZNS1_11reduce_implILb1ES3_N6thrust23THRUST_200600_302600_NS11hip_rocprim35transform_pair_of_input_iterators_tIiPdSB_NS8_12not_equal_toIdEEEEPiiNS8_4plusIiEEEE10hipError_tPvRmT1_T2_T3_mT4_P12ihipStream_tbEUlT_E0_NS1_11comp_targetILNS1_3genE5ELNS1_11target_archE942ELNS1_3gpuE9ELNS1_3repE0EEENS1_30default_config_static_selectorELNS0_4arch9wavefront6targetE1EEEvSL_
                                        ; -- End function
	.set _ZN7rocprim17ROCPRIM_400000_NS6detail17trampoline_kernelINS0_14default_configENS1_22reduce_config_selectorIiEEZNS1_11reduce_implILb1ES3_N6thrust23THRUST_200600_302600_NS11hip_rocprim35transform_pair_of_input_iterators_tIiPdSB_NS8_12not_equal_toIdEEEEPiiNS8_4plusIiEEEE10hipError_tPvRmT1_T2_T3_mT4_P12ihipStream_tbEUlT_E0_NS1_11comp_targetILNS1_3genE5ELNS1_11target_archE942ELNS1_3gpuE9ELNS1_3repE0EEENS1_30default_config_static_selectorELNS0_4arch9wavefront6targetE1EEEvSL_.num_vgpr, 0
	.set _ZN7rocprim17ROCPRIM_400000_NS6detail17trampoline_kernelINS0_14default_configENS1_22reduce_config_selectorIiEEZNS1_11reduce_implILb1ES3_N6thrust23THRUST_200600_302600_NS11hip_rocprim35transform_pair_of_input_iterators_tIiPdSB_NS8_12not_equal_toIdEEEEPiiNS8_4plusIiEEEE10hipError_tPvRmT1_T2_T3_mT4_P12ihipStream_tbEUlT_E0_NS1_11comp_targetILNS1_3genE5ELNS1_11target_archE942ELNS1_3gpuE9ELNS1_3repE0EEENS1_30default_config_static_selectorELNS0_4arch9wavefront6targetE1EEEvSL_.num_agpr, 0
	.set _ZN7rocprim17ROCPRIM_400000_NS6detail17trampoline_kernelINS0_14default_configENS1_22reduce_config_selectorIiEEZNS1_11reduce_implILb1ES3_N6thrust23THRUST_200600_302600_NS11hip_rocprim35transform_pair_of_input_iterators_tIiPdSB_NS8_12not_equal_toIdEEEEPiiNS8_4plusIiEEEE10hipError_tPvRmT1_T2_T3_mT4_P12ihipStream_tbEUlT_E0_NS1_11comp_targetILNS1_3genE5ELNS1_11target_archE942ELNS1_3gpuE9ELNS1_3repE0EEENS1_30default_config_static_selectorELNS0_4arch9wavefront6targetE1EEEvSL_.numbered_sgpr, 0
	.set _ZN7rocprim17ROCPRIM_400000_NS6detail17trampoline_kernelINS0_14default_configENS1_22reduce_config_selectorIiEEZNS1_11reduce_implILb1ES3_N6thrust23THRUST_200600_302600_NS11hip_rocprim35transform_pair_of_input_iterators_tIiPdSB_NS8_12not_equal_toIdEEEEPiiNS8_4plusIiEEEE10hipError_tPvRmT1_T2_T3_mT4_P12ihipStream_tbEUlT_E0_NS1_11comp_targetILNS1_3genE5ELNS1_11target_archE942ELNS1_3gpuE9ELNS1_3repE0EEENS1_30default_config_static_selectorELNS0_4arch9wavefront6targetE1EEEvSL_.num_named_barrier, 0
	.set _ZN7rocprim17ROCPRIM_400000_NS6detail17trampoline_kernelINS0_14default_configENS1_22reduce_config_selectorIiEEZNS1_11reduce_implILb1ES3_N6thrust23THRUST_200600_302600_NS11hip_rocprim35transform_pair_of_input_iterators_tIiPdSB_NS8_12not_equal_toIdEEEEPiiNS8_4plusIiEEEE10hipError_tPvRmT1_T2_T3_mT4_P12ihipStream_tbEUlT_E0_NS1_11comp_targetILNS1_3genE5ELNS1_11target_archE942ELNS1_3gpuE9ELNS1_3repE0EEENS1_30default_config_static_selectorELNS0_4arch9wavefront6targetE1EEEvSL_.private_seg_size, 0
	.set _ZN7rocprim17ROCPRIM_400000_NS6detail17trampoline_kernelINS0_14default_configENS1_22reduce_config_selectorIiEEZNS1_11reduce_implILb1ES3_N6thrust23THRUST_200600_302600_NS11hip_rocprim35transform_pair_of_input_iterators_tIiPdSB_NS8_12not_equal_toIdEEEEPiiNS8_4plusIiEEEE10hipError_tPvRmT1_T2_T3_mT4_P12ihipStream_tbEUlT_E0_NS1_11comp_targetILNS1_3genE5ELNS1_11target_archE942ELNS1_3gpuE9ELNS1_3repE0EEENS1_30default_config_static_selectorELNS0_4arch9wavefront6targetE1EEEvSL_.uses_vcc, 0
	.set _ZN7rocprim17ROCPRIM_400000_NS6detail17trampoline_kernelINS0_14default_configENS1_22reduce_config_selectorIiEEZNS1_11reduce_implILb1ES3_N6thrust23THRUST_200600_302600_NS11hip_rocprim35transform_pair_of_input_iterators_tIiPdSB_NS8_12not_equal_toIdEEEEPiiNS8_4plusIiEEEE10hipError_tPvRmT1_T2_T3_mT4_P12ihipStream_tbEUlT_E0_NS1_11comp_targetILNS1_3genE5ELNS1_11target_archE942ELNS1_3gpuE9ELNS1_3repE0EEENS1_30default_config_static_selectorELNS0_4arch9wavefront6targetE1EEEvSL_.uses_flat_scratch, 0
	.set _ZN7rocprim17ROCPRIM_400000_NS6detail17trampoline_kernelINS0_14default_configENS1_22reduce_config_selectorIiEEZNS1_11reduce_implILb1ES3_N6thrust23THRUST_200600_302600_NS11hip_rocprim35transform_pair_of_input_iterators_tIiPdSB_NS8_12not_equal_toIdEEEEPiiNS8_4plusIiEEEE10hipError_tPvRmT1_T2_T3_mT4_P12ihipStream_tbEUlT_E0_NS1_11comp_targetILNS1_3genE5ELNS1_11target_archE942ELNS1_3gpuE9ELNS1_3repE0EEENS1_30default_config_static_selectorELNS0_4arch9wavefront6targetE1EEEvSL_.has_dyn_sized_stack, 0
	.set _ZN7rocprim17ROCPRIM_400000_NS6detail17trampoline_kernelINS0_14default_configENS1_22reduce_config_selectorIiEEZNS1_11reduce_implILb1ES3_N6thrust23THRUST_200600_302600_NS11hip_rocprim35transform_pair_of_input_iterators_tIiPdSB_NS8_12not_equal_toIdEEEEPiiNS8_4plusIiEEEE10hipError_tPvRmT1_T2_T3_mT4_P12ihipStream_tbEUlT_E0_NS1_11comp_targetILNS1_3genE5ELNS1_11target_archE942ELNS1_3gpuE9ELNS1_3repE0EEENS1_30default_config_static_selectorELNS0_4arch9wavefront6targetE1EEEvSL_.has_recursion, 0
	.set _ZN7rocprim17ROCPRIM_400000_NS6detail17trampoline_kernelINS0_14default_configENS1_22reduce_config_selectorIiEEZNS1_11reduce_implILb1ES3_N6thrust23THRUST_200600_302600_NS11hip_rocprim35transform_pair_of_input_iterators_tIiPdSB_NS8_12not_equal_toIdEEEEPiiNS8_4plusIiEEEE10hipError_tPvRmT1_T2_T3_mT4_P12ihipStream_tbEUlT_E0_NS1_11comp_targetILNS1_3genE5ELNS1_11target_archE942ELNS1_3gpuE9ELNS1_3repE0EEENS1_30default_config_static_selectorELNS0_4arch9wavefront6targetE1EEEvSL_.has_indirect_call, 0
	.section	.AMDGPU.csdata,"",@progbits
; Kernel info:
; codeLenInByte = 0
; TotalNumSgprs: 4
; NumVgprs: 0
; ScratchSize: 0
; MemoryBound: 0
; FloatMode: 240
; IeeeMode: 1
; LDSByteSize: 0 bytes/workgroup (compile time only)
; SGPRBlocks: 0
; VGPRBlocks: 0
; NumSGPRsForWavesPerEU: 4
; NumVGPRsForWavesPerEU: 1
; Occupancy: 10
; WaveLimiterHint : 0
; COMPUTE_PGM_RSRC2:SCRATCH_EN: 0
; COMPUTE_PGM_RSRC2:USER_SGPR: 6
; COMPUTE_PGM_RSRC2:TRAP_HANDLER: 0
; COMPUTE_PGM_RSRC2:TGID_X_EN: 1
; COMPUTE_PGM_RSRC2:TGID_Y_EN: 0
; COMPUTE_PGM_RSRC2:TGID_Z_EN: 0
; COMPUTE_PGM_RSRC2:TIDIG_COMP_CNT: 0
	.section	.text._ZN7rocprim17ROCPRIM_400000_NS6detail17trampoline_kernelINS0_14default_configENS1_22reduce_config_selectorIiEEZNS1_11reduce_implILb1ES3_N6thrust23THRUST_200600_302600_NS11hip_rocprim35transform_pair_of_input_iterators_tIiPdSB_NS8_12not_equal_toIdEEEEPiiNS8_4plusIiEEEE10hipError_tPvRmT1_T2_T3_mT4_P12ihipStream_tbEUlT_E0_NS1_11comp_targetILNS1_3genE4ELNS1_11target_archE910ELNS1_3gpuE8ELNS1_3repE0EEENS1_30default_config_static_selectorELNS0_4arch9wavefront6targetE1EEEvSL_,"axG",@progbits,_ZN7rocprim17ROCPRIM_400000_NS6detail17trampoline_kernelINS0_14default_configENS1_22reduce_config_selectorIiEEZNS1_11reduce_implILb1ES3_N6thrust23THRUST_200600_302600_NS11hip_rocprim35transform_pair_of_input_iterators_tIiPdSB_NS8_12not_equal_toIdEEEEPiiNS8_4plusIiEEEE10hipError_tPvRmT1_T2_T3_mT4_P12ihipStream_tbEUlT_E0_NS1_11comp_targetILNS1_3genE4ELNS1_11target_archE910ELNS1_3gpuE8ELNS1_3repE0EEENS1_30default_config_static_selectorELNS0_4arch9wavefront6targetE1EEEvSL_,comdat
	.protected	_ZN7rocprim17ROCPRIM_400000_NS6detail17trampoline_kernelINS0_14default_configENS1_22reduce_config_selectorIiEEZNS1_11reduce_implILb1ES3_N6thrust23THRUST_200600_302600_NS11hip_rocprim35transform_pair_of_input_iterators_tIiPdSB_NS8_12not_equal_toIdEEEEPiiNS8_4plusIiEEEE10hipError_tPvRmT1_T2_T3_mT4_P12ihipStream_tbEUlT_E0_NS1_11comp_targetILNS1_3genE4ELNS1_11target_archE910ELNS1_3gpuE8ELNS1_3repE0EEENS1_30default_config_static_selectorELNS0_4arch9wavefront6targetE1EEEvSL_ ; -- Begin function _ZN7rocprim17ROCPRIM_400000_NS6detail17trampoline_kernelINS0_14default_configENS1_22reduce_config_selectorIiEEZNS1_11reduce_implILb1ES3_N6thrust23THRUST_200600_302600_NS11hip_rocprim35transform_pair_of_input_iterators_tIiPdSB_NS8_12not_equal_toIdEEEEPiiNS8_4plusIiEEEE10hipError_tPvRmT1_T2_T3_mT4_P12ihipStream_tbEUlT_E0_NS1_11comp_targetILNS1_3genE4ELNS1_11target_archE910ELNS1_3gpuE8ELNS1_3repE0EEENS1_30default_config_static_selectorELNS0_4arch9wavefront6targetE1EEEvSL_
	.globl	_ZN7rocprim17ROCPRIM_400000_NS6detail17trampoline_kernelINS0_14default_configENS1_22reduce_config_selectorIiEEZNS1_11reduce_implILb1ES3_N6thrust23THRUST_200600_302600_NS11hip_rocprim35transform_pair_of_input_iterators_tIiPdSB_NS8_12not_equal_toIdEEEEPiiNS8_4plusIiEEEE10hipError_tPvRmT1_T2_T3_mT4_P12ihipStream_tbEUlT_E0_NS1_11comp_targetILNS1_3genE4ELNS1_11target_archE910ELNS1_3gpuE8ELNS1_3repE0EEENS1_30default_config_static_selectorELNS0_4arch9wavefront6targetE1EEEvSL_
	.p2align	8
	.type	_ZN7rocprim17ROCPRIM_400000_NS6detail17trampoline_kernelINS0_14default_configENS1_22reduce_config_selectorIiEEZNS1_11reduce_implILb1ES3_N6thrust23THRUST_200600_302600_NS11hip_rocprim35transform_pair_of_input_iterators_tIiPdSB_NS8_12not_equal_toIdEEEEPiiNS8_4plusIiEEEE10hipError_tPvRmT1_T2_T3_mT4_P12ihipStream_tbEUlT_E0_NS1_11comp_targetILNS1_3genE4ELNS1_11target_archE910ELNS1_3gpuE8ELNS1_3repE0EEENS1_30default_config_static_selectorELNS0_4arch9wavefront6targetE1EEEvSL_,@function
_ZN7rocprim17ROCPRIM_400000_NS6detail17trampoline_kernelINS0_14default_configENS1_22reduce_config_selectorIiEEZNS1_11reduce_implILb1ES3_N6thrust23THRUST_200600_302600_NS11hip_rocprim35transform_pair_of_input_iterators_tIiPdSB_NS8_12not_equal_toIdEEEEPiiNS8_4plusIiEEEE10hipError_tPvRmT1_T2_T3_mT4_P12ihipStream_tbEUlT_E0_NS1_11comp_targetILNS1_3genE4ELNS1_11target_archE910ELNS1_3gpuE8ELNS1_3repE0EEENS1_30default_config_static_selectorELNS0_4arch9wavefront6targetE1EEEvSL_: ; @_ZN7rocprim17ROCPRIM_400000_NS6detail17trampoline_kernelINS0_14default_configENS1_22reduce_config_selectorIiEEZNS1_11reduce_implILb1ES3_N6thrust23THRUST_200600_302600_NS11hip_rocprim35transform_pair_of_input_iterators_tIiPdSB_NS8_12not_equal_toIdEEEEPiiNS8_4plusIiEEEE10hipError_tPvRmT1_T2_T3_mT4_P12ihipStream_tbEUlT_E0_NS1_11comp_targetILNS1_3genE4ELNS1_11target_archE910ELNS1_3gpuE8ELNS1_3repE0EEENS1_30default_config_static_selectorELNS0_4arch9wavefront6targetE1EEEvSL_
; %bb.0:
	.section	.rodata,"a",@progbits
	.p2align	6, 0x0
	.amdhsa_kernel _ZN7rocprim17ROCPRIM_400000_NS6detail17trampoline_kernelINS0_14default_configENS1_22reduce_config_selectorIiEEZNS1_11reduce_implILb1ES3_N6thrust23THRUST_200600_302600_NS11hip_rocprim35transform_pair_of_input_iterators_tIiPdSB_NS8_12not_equal_toIdEEEEPiiNS8_4plusIiEEEE10hipError_tPvRmT1_T2_T3_mT4_P12ihipStream_tbEUlT_E0_NS1_11comp_targetILNS1_3genE4ELNS1_11target_archE910ELNS1_3gpuE8ELNS1_3repE0EEENS1_30default_config_static_selectorELNS0_4arch9wavefront6targetE1EEEvSL_
		.amdhsa_group_segment_fixed_size 0
		.amdhsa_private_segment_fixed_size 0
		.amdhsa_kernarg_size 72
		.amdhsa_user_sgpr_count 6
		.amdhsa_user_sgpr_private_segment_buffer 1
		.amdhsa_user_sgpr_dispatch_ptr 0
		.amdhsa_user_sgpr_queue_ptr 0
		.amdhsa_user_sgpr_kernarg_segment_ptr 1
		.amdhsa_user_sgpr_dispatch_id 0
		.amdhsa_user_sgpr_flat_scratch_init 0
		.amdhsa_user_sgpr_private_segment_size 0
		.amdhsa_uses_dynamic_stack 0
		.amdhsa_system_sgpr_private_segment_wavefront_offset 0
		.amdhsa_system_sgpr_workgroup_id_x 1
		.amdhsa_system_sgpr_workgroup_id_y 0
		.amdhsa_system_sgpr_workgroup_id_z 0
		.amdhsa_system_sgpr_workgroup_info 0
		.amdhsa_system_vgpr_workitem_id 0
		.amdhsa_next_free_vgpr 1
		.amdhsa_next_free_sgpr 0
		.amdhsa_reserve_vcc 0
		.amdhsa_reserve_flat_scratch 0
		.amdhsa_float_round_mode_32 0
		.amdhsa_float_round_mode_16_64 0
		.amdhsa_float_denorm_mode_32 3
		.amdhsa_float_denorm_mode_16_64 3
		.amdhsa_dx10_clamp 1
		.amdhsa_ieee_mode 1
		.amdhsa_fp16_overflow 0
		.amdhsa_exception_fp_ieee_invalid_op 0
		.amdhsa_exception_fp_denorm_src 0
		.amdhsa_exception_fp_ieee_div_zero 0
		.amdhsa_exception_fp_ieee_overflow 0
		.amdhsa_exception_fp_ieee_underflow 0
		.amdhsa_exception_fp_ieee_inexact 0
		.amdhsa_exception_int_div_zero 0
	.end_amdhsa_kernel
	.section	.text._ZN7rocprim17ROCPRIM_400000_NS6detail17trampoline_kernelINS0_14default_configENS1_22reduce_config_selectorIiEEZNS1_11reduce_implILb1ES3_N6thrust23THRUST_200600_302600_NS11hip_rocprim35transform_pair_of_input_iterators_tIiPdSB_NS8_12not_equal_toIdEEEEPiiNS8_4plusIiEEEE10hipError_tPvRmT1_T2_T3_mT4_P12ihipStream_tbEUlT_E0_NS1_11comp_targetILNS1_3genE4ELNS1_11target_archE910ELNS1_3gpuE8ELNS1_3repE0EEENS1_30default_config_static_selectorELNS0_4arch9wavefront6targetE1EEEvSL_,"axG",@progbits,_ZN7rocprim17ROCPRIM_400000_NS6detail17trampoline_kernelINS0_14default_configENS1_22reduce_config_selectorIiEEZNS1_11reduce_implILb1ES3_N6thrust23THRUST_200600_302600_NS11hip_rocprim35transform_pair_of_input_iterators_tIiPdSB_NS8_12not_equal_toIdEEEEPiiNS8_4plusIiEEEE10hipError_tPvRmT1_T2_T3_mT4_P12ihipStream_tbEUlT_E0_NS1_11comp_targetILNS1_3genE4ELNS1_11target_archE910ELNS1_3gpuE8ELNS1_3repE0EEENS1_30default_config_static_selectorELNS0_4arch9wavefront6targetE1EEEvSL_,comdat
.Lfunc_end1672:
	.size	_ZN7rocprim17ROCPRIM_400000_NS6detail17trampoline_kernelINS0_14default_configENS1_22reduce_config_selectorIiEEZNS1_11reduce_implILb1ES3_N6thrust23THRUST_200600_302600_NS11hip_rocprim35transform_pair_of_input_iterators_tIiPdSB_NS8_12not_equal_toIdEEEEPiiNS8_4plusIiEEEE10hipError_tPvRmT1_T2_T3_mT4_P12ihipStream_tbEUlT_E0_NS1_11comp_targetILNS1_3genE4ELNS1_11target_archE910ELNS1_3gpuE8ELNS1_3repE0EEENS1_30default_config_static_selectorELNS0_4arch9wavefront6targetE1EEEvSL_, .Lfunc_end1672-_ZN7rocprim17ROCPRIM_400000_NS6detail17trampoline_kernelINS0_14default_configENS1_22reduce_config_selectorIiEEZNS1_11reduce_implILb1ES3_N6thrust23THRUST_200600_302600_NS11hip_rocprim35transform_pair_of_input_iterators_tIiPdSB_NS8_12not_equal_toIdEEEEPiiNS8_4plusIiEEEE10hipError_tPvRmT1_T2_T3_mT4_P12ihipStream_tbEUlT_E0_NS1_11comp_targetILNS1_3genE4ELNS1_11target_archE910ELNS1_3gpuE8ELNS1_3repE0EEENS1_30default_config_static_selectorELNS0_4arch9wavefront6targetE1EEEvSL_
                                        ; -- End function
	.set _ZN7rocprim17ROCPRIM_400000_NS6detail17trampoline_kernelINS0_14default_configENS1_22reduce_config_selectorIiEEZNS1_11reduce_implILb1ES3_N6thrust23THRUST_200600_302600_NS11hip_rocprim35transform_pair_of_input_iterators_tIiPdSB_NS8_12not_equal_toIdEEEEPiiNS8_4plusIiEEEE10hipError_tPvRmT1_T2_T3_mT4_P12ihipStream_tbEUlT_E0_NS1_11comp_targetILNS1_3genE4ELNS1_11target_archE910ELNS1_3gpuE8ELNS1_3repE0EEENS1_30default_config_static_selectorELNS0_4arch9wavefront6targetE1EEEvSL_.num_vgpr, 0
	.set _ZN7rocprim17ROCPRIM_400000_NS6detail17trampoline_kernelINS0_14default_configENS1_22reduce_config_selectorIiEEZNS1_11reduce_implILb1ES3_N6thrust23THRUST_200600_302600_NS11hip_rocprim35transform_pair_of_input_iterators_tIiPdSB_NS8_12not_equal_toIdEEEEPiiNS8_4plusIiEEEE10hipError_tPvRmT1_T2_T3_mT4_P12ihipStream_tbEUlT_E0_NS1_11comp_targetILNS1_3genE4ELNS1_11target_archE910ELNS1_3gpuE8ELNS1_3repE0EEENS1_30default_config_static_selectorELNS0_4arch9wavefront6targetE1EEEvSL_.num_agpr, 0
	.set _ZN7rocprim17ROCPRIM_400000_NS6detail17trampoline_kernelINS0_14default_configENS1_22reduce_config_selectorIiEEZNS1_11reduce_implILb1ES3_N6thrust23THRUST_200600_302600_NS11hip_rocprim35transform_pair_of_input_iterators_tIiPdSB_NS8_12not_equal_toIdEEEEPiiNS8_4plusIiEEEE10hipError_tPvRmT1_T2_T3_mT4_P12ihipStream_tbEUlT_E0_NS1_11comp_targetILNS1_3genE4ELNS1_11target_archE910ELNS1_3gpuE8ELNS1_3repE0EEENS1_30default_config_static_selectorELNS0_4arch9wavefront6targetE1EEEvSL_.numbered_sgpr, 0
	.set _ZN7rocprim17ROCPRIM_400000_NS6detail17trampoline_kernelINS0_14default_configENS1_22reduce_config_selectorIiEEZNS1_11reduce_implILb1ES3_N6thrust23THRUST_200600_302600_NS11hip_rocprim35transform_pair_of_input_iterators_tIiPdSB_NS8_12not_equal_toIdEEEEPiiNS8_4plusIiEEEE10hipError_tPvRmT1_T2_T3_mT4_P12ihipStream_tbEUlT_E0_NS1_11comp_targetILNS1_3genE4ELNS1_11target_archE910ELNS1_3gpuE8ELNS1_3repE0EEENS1_30default_config_static_selectorELNS0_4arch9wavefront6targetE1EEEvSL_.num_named_barrier, 0
	.set _ZN7rocprim17ROCPRIM_400000_NS6detail17trampoline_kernelINS0_14default_configENS1_22reduce_config_selectorIiEEZNS1_11reduce_implILb1ES3_N6thrust23THRUST_200600_302600_NS11hip_rocprim35transform_pair_of_input_iterators_tIiPdSB_NS8_12not_equal_toIdEEEEPiiNS8_4plusIiEEEE10hipError_tPvRmT1_T2_T3_mT4_P12ihipStream_tbEUlT_E0_NS1_11comp_targetILNS1_3genE4ELNS1_11target_archE910ELNS1_3gpuE8ELNS1_3repE0EEENS1_30default_config_static_selectorELNS0_4arch9wavefront6targetE1EEEvSL_.private_seg_size, 0
	.set _ZN7rocprim17ROCPRIM_400000_NS6detail17trampoline_kernelINS0_14default_configENS1_22reduce_config_selectorIiEEZNS1_11reduce_implILb1ES3_N6thrust23THRUST_200600_302600_NS11hip_rocprim35transform_pair_of_input_iterators_tIiPdSB_NS8_12not_equal_toIdEEEEPiiNS8_4plusIiEEEE10hipError_tPvRmT1_T2_T3_mT4_P12ihipStream_tbEUlT_E0_NS1_11comp_targetILNS1_3genE4ELNS1_11target_archE910ELNS1_3gpuE8ELNS1_3repE0EEENS1_30default_config_static_selectorELNS0_4arch9wavefront6targetE1EEEvSL_.uses_vcc, 0
	.set _ZN7rocprim17ROCPRIM_400000_NS6detail17trampoline_kernelINS0_14default_configENS1_22reduce_config_selectorIiEEZNS1_11reduce_implILb1ES3_N6thrust23THRUST_200600_302600_NS11hip_rocprim35transform_pair_of_input_iterators_tIiPdSB_NS8_12not_equal_toIdEEEEPiiNS8_4plusIiEEEE10hipError_tPvRmT1_T2_T3_mT4_P12ihipStream_tbEUlT_E0_NS1_11comp_targetILNS1_3genE4ELNS1_11target_archE910ELNS1_3gpuE8ELNS1_3repE0EEENS1_30default_config_static_selectorELNS0_4arch9wavefront6targetE1EEEvSL_.uses_flat_scratch, 0
	.set _ZN7rocprim17ROCPRIM_400000_NS6detail17trampoline_kernelINS0_14default_configENS1_22reduce_config_selectorIiEEZNS1_11reduce_implILb1ES3_N6thrust23THRUST_200600_302600_NS11hip_rocprim35transform_pair_of_input_iterators_tIiPdSB_NS8_12not_equal_toIdEEEEPiiNS8_4plusIiEEEE10hipError_tPvRmT1_T2_T3_mT4_P12ihipStream_tbEUlT_E0_NS1_11comp_targetILNS1_3genE4ELNS1_11target_archE910ELNS1_3gpuE8ELNS1_3repE0EEENS1_30default_config_static_selectorELNS0_4arch9wavefront6targetE1EEEvSL_.has_dyn_sized_stack, 0
	.set _ZN7rocprim17ROCPRIM_400000_NS6detail17trampoline_kernelINS0_14default_configENS1_22reduce_config_selectorIiEEZNS1_11reduce_implILb1ES3_N6thrust23THRUST_200600_302600_NS11hip_rocprim35transform_pair_of_input_iterators_tIiPdSB_NS8_12not_equal_toIdEEEEPiiNS8_4plusIiEEEE10hipError_tPvRmT1_T2_T3_mT4_P12ihipStream_tbEUlT_E0_NS1_11comp_targetILNS1_3genE4ELNS1_11target_archE910ELNS1_3gpuE8ELNS1_3repE0EEENS1_30default_config_static_selectorELNS0_4arch9wavefront6targetE1EEEvSL_.has_recursion, 0
	.set _ZN7rocprim17ROCPRIM_400000_NS6detail17trampoline_kernelINS0_14default_configENS1_22reduce_config_selectorIiEEZNS1_11reduce_implILb1ES3_N6thrust23THRUST_200600_302600_NS11hip_rocprim35transform_pair_of_input_iterators_tIiPdSB_NS8_12not_equal_toIdEEEEPiiNS8_4plusIiEEEE10hipError_tPvRmT1_T2_T3_mT4_P12ihipStream_tbEUlT_E0_NS1_11comp_targetILNS1_3genE4ELNS1_11target_archE910ELNS1_3gpuE8ELNS1_3repE0EEENS1_30default_config_static_selectorELNS0_4arch9wavefront6targetE1EEEvSL_.has_indirect_call, 0
	.section	.AMDGPU.csdata,"",@progbits
; Kernel info:
; codeLenInByte = 0
; TotalNumSgprs: 4
; NumVgprs: 0
; ScratchSize: 0
; MemoryBound: 0
; FloatMode: 240
; IeeeMode: 1
; LDSByteSize: 0 bytes/workgroup (compile time only)
; SGPRBlocks: 0
; VGPRBlocks: 0
; NumSGPRsForWavesPerEU: 4
; NumVGPRsForWavesPerEU: 1
; Occupancy: 10
; WaveLimiterHint : 0
; COMPUTE_PGM_RSRC2:SCRATCH_EN: 0
; COMPUTE_PGM_RSRC2:USER_SGPR: 6
; COMPUTE_PGM_RSRC2:TRAP_HANDLER: 0
; COMPUTE_PGM_RSRC2:TGID_X_EN: 1
; COMPUTE_PGM_RSRC2:TGID_Y_EN: 0
; COMPUTE_PGM_RSRC2:TGID_Z_EN: 0
; COMPUTE_PGM_RSRC2:TIDIG_COMP_CNT: 0
	.section	.text._ZN7rocprim17ROCPRIM_400000_NS6detail17trampoline_kernelINS0_14default_configENS1_22reduce_config_selectorIiEEZNS1_11reduce_implILb1ES3_N6thrust23THRUST_200600_302600_NS11hip_rocprim35transform_pair_of_input_iterators_tIiPdSB_NS8_12not_equal_toIdEEEEPiiNS8_4plusIiEEEE10hipError_tPvRmT1_T2_T3_mT4_P12ihipStream_tbEUlT_E0_NS1_11comp_targetILNS1_3genE3ELNS1_11target_archE908ELNS1_3gpuE7ELNS1_3repE0EEENS1_30default_config_static_selectorELNS0_4arch9wavefront6targetE1EEEvSL_,"axG",@progbits,_ZN7rocprim17ROCPRIM_400000_NS6detail17trampoline_kernelINS0_14default_configENS1_22reduce_config_selectorIiEEZNS1_11reduce_implILb1ES3_N6thrust23THRUST_200600_302600_NS11hip_rocprim35transform_pair_of_input_iterators_tIiPdSB_NS8_12not_equal_toIdEEEEPiiNS8_4plusIiEEEE10hipError_tPvRmT1_T2_T3_mT4_P12ihipStream_tbEUlT_E0_NS1_11comp_targetILNS1_3genE3ELNS1_11target_archE908ELNS1_3gpuE7ELNS1_3repE0EEENS1_30default_config_static_selectorELNS0_4arch9wavefront6targetE1EEEvSL_,comdat
	.protected	_ZN7rocprim17ROCPRIM_400000_NS6detail17trampoline_kernelINS0_14default_configENS1_22reduce_config_selectorIiEEZNS1_11reduce_implILb1ES3_N6thrust23THRUST_200600_302600_NS11hip_rocprim35transform_pair_of_input_iterators_tIiPdSB_NS8_12not_equal_toIdEEEEPiiNS8_4plusIiEEEE10hipError_tPvRmT1_T2_T3_mT4_P12ihipStream_tbEUlT_E0_NS1_11comp_targetILNS1_3genE3ELNS1_11target_archE908ELNS1_3gpuE7ELNS1_3repE0EEENS1_30default_config_static_selectorELNS0_4arch9wavefront6targetE1EEEvSL_ ; -- Begin function _ZN7rocprim17ROCPRIM_400000_NS6detail17trampoline_kernelINS0_14default_configENS1_22reduce_config_selectorIiEEZNS1_11reduce_implILb1ES3_N6thrust23THRUST_200600_302600_NS11hip_rocprim35transform_pair_of_input_iterators_tIiPdSB_NS8_12not_equal_toIdEEEEPiiNS8_4plusIiEEEE10hipError_tPvRmT1_T2_T3_mT4_P12ihipStream_tbEUlT_E0_NS1_11comp_targetILNS1_3genE3ELNS1_11target_archE908ELNS1_3gpuE7ELNS1_3repE0EEENS1_30default_config_static_selectorELNS0_4arch9wavefront6targetE1EEEvSL_
	.globl	_ZN7rocprim17ROCPRIM_400000_NS6detail17trampoline_kernelINS0_14default_configENS1_22reduce_config_selectorIiEEZNS1_11reduce_implILb1ES3_N6thrust23THRUST_200600_302600_NS11hip_rocprim35transform_pair_of_input_iterators_tIiPdSB_NS8_12not_equal_toIdEEEEPiiNS8_4plusIiEEEE10hipError_tPvRmT1_T2_T3_mT4_P12ihipStream_tbEUlT_E0_NS1_11comp_targetILNS1_3genE3ELNS1_11target_archE908ELNS1_3gpuE7ELNS1_3repE0EEENS1_30default_config_static_selectorELNS0_4arch9wavefront6targetE1EEEvSL_
	.p2align	8
	.type	_ZN7rocprim17ROCPRIM_400000_NS6detail17trampoline_kernelINS0_14default_configENS1_22reduce_config_selectorIiEEZNS1_11reduce_implILb1ES3_N6thrust23THRUST_200600_302600_NS11hip_rocprim35transform_pair_of_input_iterators_tIiPdSB_NS8_12not_equal_toIdEEEEPiiNS8_4plusIiEEEE10hipError_tPvRmT1_T2_T3_mT4_P12ihipStream_tbEUlT_E0_NS1_11comp_targetILNS1_3genE3ELNS1_11target_archE908ELNS1_3gpuE7ELNS1_3repE0EEENS1_30default_config_static_selectorELNS0_4arch9wavefront6targetE1EEEvSL_,@function
_ZN7rocprim17ROCPRIM_400000_NS6detail17trampoline_kernelINS0_14default_configENS1_22reduce_config_selectorIiEEZNS1_11reduce_implILb1ES3_N6thrust23THRUST_200600_302600_NS11hip_rocprim35transform_pair_of_input_iterators_tIiPdSB_NS8_12not_equal_toIdEEEEPiiNS8_4plusIiEEEE10hipError_tPvRmT1_T2_T3_mT4_P12ihipStream_tbEUlT_E0_NS1_11comp_targetILNS1_3genE3ELNS1_11target_archE908ELNS1_3gpuE7ELNS1_3repE0EEENS1_30default_config_static_selectorELNS0_4arch9wavefront6targetE1EEEvSL_: ; @_ZN7rocprim17ROCPRIM_400000_NS6detail17trampoline_kernelINS0_14default_configENS1_22reduce_config_selectorIiEEZNS1_11reduce_implILb1ES3_N6thrust23THRUST_200600_302600_NS11hip_rocprim35transform_pair_of_input_iterators_tIiPdSB_NS8_12not_equal_toIdEEEEPiiNS8_4plusIiEEEE10hipError_tPvRmT1_T2_T3_mT4_P12ihipStream_tbEUlT_E0_NS1_11comp_targetILNS1_3genE3ELNS1_11target_archE908ELNS1_3gpuE7ELNS1_3repE0EEENS1_30default_config_static_selectorELNS0_4arch9wavefront6targetE1EEEvSL_
; %bb.0:
	.section	.rodata,"a",@progbits
	.p2align	6, 0x0
	.amdhsa_kernel _ZN7rocprim17ROCPRIM_400000_NS6detail17trampoline_kernelINS0_14default_configENS1_22reduce_config_selectorIiEEZNS1_11reduce_implILb1ES3_N6thrust23THRUST_200600_302600_NS11hip_rocprim35transform_pair_of_input_iterators_tIiPdSB_NS8_12not_equal_toIdEEEEPiiNS8_4plusIiEEEE10hipError_tPvRmT1_T2_T3_mT4_P12ihipStream_tbEUlT_E0_NS1_11comp_targetILNS1_3genE3ELNS1_11target_archE908ELNS1_3gpuE7ELNS1_3repE0EEENS1_30default_config_static_selectorELNS0_4arch9wavefront6targetE1EEEvSL_
		.amdhsa_group_segment_fixed_size 0
		.amdhsa_private_segment_fixed_size 0
		.amdhsa_kernarg_size 72
		.amdhsa_user_sgpr_count 6
		.amdhsa_user_sgpr_private_segment_buffer 1
		.amdhsa_user_sgpr_dispatch_ptr 0
		.amdhsa_user_sgpr_queue_ptr 0
		.amdhsa_user_sgpr_kernarg_segment_ptr 1
		.amdhsa_user_sgpr_dispatch_id 0
		.amdhsa_user_sgpr_flat_scratch_init 0
		.amdhsa_user_sgpr_private_segment_size 0
		.amdhsa_uses_dynamic_stack 0
		.amdhsa_system_sgpr_private_segment_wavefront_offset 0
		.amdhsa_system_sgpr_workgroup_id_x 1
		.amdhsa_system_sgpr_workgroup_id_y 0
		.amdhsa_system_sgpr_workgroup_id_z 0
		.amdhsa_system_sgpr_workgroup_info 0
		.amdhsa_system_vgpr_workitem_id 0
		.amdhsa_next_free_vgpr 1
		.amdhsa_next_free_sgpr 0
		.amdhsa_reserve_vcc 0
		.amdhsa_reserve_flat_scratch 0
		.amdhsa_float_round_mode_32 0
		.amdhsa_float_round_mode_16_64 0
		.amdhsa_float_denorm_mode_32 3
		.amdhsa_float_denorm_mode_16_64 3
		.amdhsa_dx10_clamp 1
		.amdhsa_ieee_mode 1
		.amdhsa_fp16_overflow 0
		.amdhsa_exception_fp_ieee_invalid_op 0
		.amdhsa_exception_fp_denorm_src 0
		.amdhsa_exception_fp_ieee_div_zero 0
		.amdhsa_exception_fp_ieee_overflow 0
		.amdhsa_exception_fp_ieee_underflow 0
		.amdhsa_exception_fp_ieee_inexact 0
		.amdhsa_exception_int_div_zero 0
	.end_amdhsa_kernel
	.section	.text._ZN7rocprim17ROCPRIM_400000_NS6detail17trampoline_kernelINS0_14default_configENS1_22reduce_config_selectorIiEEZNS1_11reduce_implILb1ES3_N6thrust23THRUST_200600_302600_NS11hip_rocprim35transform_pair_of_input_iterators_tIiPdSB_NS8_12not_equal_toIdEEEEPiiNS8_4plusIiEEEE10hipError_tPvRmT1_T2_T3_mT4_P12ihipStream_tbEUlT_E0_NS1_11comp_targetILNS1_3genE3ELNS1_11target_archE908ELNS1_3gpuE7ELNS1_3repE0EEENS1_30default_config_static_selectorELNS0_4arch9wavefront6targetE1EEEvSL_,"axG",@progbits,_ZN7rocprim17ROCPRIM_400000_NS6detail17trampoline_kernelINS0_14default_configENS1_22reduce_config_selectorIiEEZNS1_11reduce_implILb1ES3_N6thrust23THRUST_200600_302600_NS11hip_rocprim35transform_pair_of_input_iterators_tIiPdSB_NS8_12not_equal_toIdEEEEPiiNS8_4plusIiEEEE10hipError_tPvRmT1_T2_T3_mT4_P12ihipStream_tbEUlT_E0_NS1_11comp_targetILNS1_3genE3ELNS1_11target_archE908ELNS1_3gpuE7ELNS1_3repE0EEENS1_30default_config_static_selectorELNS0_4arch9wavefront6targetE1EEEvSL_,comdat
.Lfunc_end1673:
	.size	_ZN7rocprim17ROCPRIM_400000_NS6detail17trampoline_kernelINS0_14default_configENS1_22reduce_config_selectorIiEEZNS1_11reduce_implILb1ES3_N6thrust23THRUST_200600_302600_NS11hip_rocprim35transform_pair_of_input_iterators_tIiPdSB_NS8_12not_equal_toIdEEEEPiiNS8_4plusIiEEEE10hipError_tPvRmT1_T2_T3_mT4_P12ihipStream_tbEUlT_E0_NS1_11comp_targetILNS1_3genE3ELNS1_11target_archE908ELNS1_3gpuE7ELNS1_3repE0EEENS1_30default_config_static_selectorELNS0_4arch9wavefront6targetE1EEEvSL_, .Lfunc_end1673-_ZN7rocprim17ROCPRIM_400000_NS6detail17trampoline_kernelINS0_14default_configENS1_22reduce_config_selectorIiEEZNS1_11reduce_implILb1ES3_N6thrust23THRUST_200600_302600_NS11hip_rocprim35transform_pair_of_input_iterators_tIiPdSB_NS8_12not_equal_toIdEEEEPiiNS8_4plusIiEEEE10hipError_tPvRmT1_T2_T3_mT4_P12ihipStream_tbEUlT_E0_NS1_11comp_targetILNS1_3genE3ELNS1_11target_archE908ELNS1_3gpuE7ELNS1_3repE0EEENS1_30default_config_static_selectorELNS0_4arch9wavefront6targetE1EEEvSL_
                                        ; -- End function
	.set _ZN7rocprim17ROCPRIM_400000_NS6detail17trampoline_kernelINS0_14default_configENS1_22reduce_config_selectorIiEEZNS1_11reduce_implILb1ES3_N6thrust23THRUST_200600_302600_NS11hip_rocprim35transform_pair_of_input_iterators_tIiPdSB_NS8_12not_equal_toIdEEEEPiiNS8_4plusIiEEEE10hipError_tPvRmT1_T2_T3_mT4_P12ihipStream_tbEUlT_E0_NS1_11comp_targetILNS1_3genE3ELNS1_11target_archE908ELNS1_3gpuE7ELNS1_3repE0EEENS1_30default_config_static_selectorELNS0_4arch9wavefront6targetE1EEEvSL_.num_vgpr, 0
	.set _ZN7rocprim17ROCPRIM_400000_NS6detail17trampoline_kernelINS0_14default_configENS1_22reduce_config_selectorIiEEZNS1_11reduce_implILb1ES3_N6thrust23THRUST_200600_302600_NS11hip_rocprim35transform_pair_of_input_iterators_tIiPdSB_NS8_12not_equal_toIdEEEEPiiNS8_4plusIiEEEE10hipError_tPvRmT1_T2_T3_mT4_P12ihipStream_tbEUlT_E0_NS1_11comp_targetILNS1_3genE3ELNS1_11target_archE908ELNS1_3gpuE7ELNS1_3repE0EEENS1_30default_config_static_selectorELNS0_4arch9wavefront6targetE1EEEvSL_.num_agpr, 0
	.set _ZN7rocprim17ROCPRIM_400000_NS6detail17trampoline_kernelINS0_14default_configENS1_22reduce_config_selectorIiEEZNS1_11reduce_implILb1ES3_N6thrust23THRUST_200600_302600_NS11hip_rocprim35transform_pair_of_input_iterators_tIiPdSB_NS8_12not_equal_toIdEEEEPiiNS8_4plusIiEEEE10hipError_tPvRmT1_T2_T3_mT4_P12ihipStream_tbEUlT_E0_NS1_11comp_targetILNS1_3genE3ELNS1_11target_archE908ELNS1_3gpuE7ELNS1_3repE0EEENS1_30default_config_static_selectorELNS0_4arch9wavefront6targetE1EEEvSL_.numbered_sgpr, 0
	.set _ZN7rocprim17ROCPRIM_400000_NS6detail17trampoline_kernelINS0_14default_configENS1_22reduce_config_selectorIiEEZNS1_11reduce_implILb1ES3_N6thrust23THRUST_200600_302600_NS11hip_rocprim35transform_pair_of_input_iterators_tIiPdSB_NS8_12not_equal_toIdEEEEPiiNS8_4plusIiEEEE10hipError_tPvRmT1_T2_T3_mT4_P12ihipStream_tbEUlT_E0_NS1_11comp_targetILNS1_3genE3ELNS1_11target_archE908ELNS1_3gpuE7ELNS1_3repE0EEENS1_30default_config_static_selectorELNS0_4arch9wavefront6targetE1EEEvSL_.num_named_barrier, 0
	.set _ZN7rocprim17ROCPRIM_400000_NS6detail17trampoline_kernelINS0_14default_configENS1_22reduce_config_selectorIiEEZNS1_11reduce_implILb1ES3_N6thrust23THRUST_200600_302600_NS11hip_rocprim35transform_pair_of_input_iterators_tIiPdSB_NS8_12not_equal_toIdEEEEPiiNS8_4plusIiEEEE10hipError_tPvRmT1_T2_T3_mT4_P12ihipStream_tbEUlT_E0_NS1_11comp_targetILNS1_3genE3ELNS1_11target_archE908ELNS1_3gpuE7ELNS1_3repE0EEENS1_30default_config_static_selectorELNS0_4arch9wavefront6targetE1EEEvSL_.private_seg_size, 0
	.set _ZN7rocprim17ROCPRIM_400000_NS6detail17trampoline_kernelINS0_14default_configENS1_22reduce_config_selectorIiEEZNS1_11reduce_implILb1ES3_N6thrust23THRUST_200600_302600_NS11hip_rocprim35transform_pair_of_input_iterators_tIiPdSB_NS8_12not_equal_toIdEEEEPiiNS8_4plusIiEEEE10hipError_tPvRmT1_T2_T3_mT4_P12ihipStream_tbEUlT_E0_NS1_11comp_targetILNS1_3genE3ELNS1_11target_archE908ELNS1_3gpuE7ELNS1_3repE0EEENS1_30default_config_static_selectorELNS0_4arch9wavefront6targetE1EEEvSL_.uses_vcc, 0
	.set _ZN7rocprim17ROCPRIM_400000_NS6detail17trampoline_kernelINS0_14default_configENS1_22reduce_config_selectorIiEEZNS1_11reduce_implILb1ES3_N6thrust23THRUST_200600_302600_NS11hip_rocprim35transform_pair_of_input_iterators_tIiPdSB_NS8_12not_equal_toIdEEEEPiiNS8_4plusIiEEEE10hipError_tPvRmT1_T2_T3_mT4_P12ihipStream_tbEUlT_E0_NS1_11comp_targetILNS1_3genE3ELNS1_11target_archE908ELNS1_3gpuE7ELNS1_3repE0EEENS1_30default_config_static_selectorELNS0_4arch9wavefront6targetE1EEEvSL_.uses_flat_scratch, 0
	.set _ZN7rocprim17ROCPRIM_400000_NS6detail17trampoline_kernelINS0_14default_configENS1_22reduce_config_selectorIiEEZNS1_11reduce_implILb1ES3_N6thrust23THRUST_200600_302600_NS11hip_rocprim35transform_pair_of_input_iterators_tIiPdSB_NS8_12not_equal_toIdEEEEPiiNS8_4plusIiEEEE10hipError_tPvRmT1_T2_T3_mT4_P12ihipStream_tbEUlT_E0_NS1_11comp_targetILNS1_3genE3ELNS1_11target_archE908ELNS1_3gpuE7ELNS1_3repE0EEENS1_30default_config_static_selectorELNS0_4arch9wavefront6targetE1EEEvSL_.has_dyn_sized_stack, 0
	.set _ZN7rocprim17ROCPRIM_400000_NS6detail17trampoline_kernelINS0_14default_configENS1_22reduce_config_selectorIiEEZNS1_11reduce_implILb1ES3_N6thrust23THRUST_200600_302600_NS11hip_rocprim35transform_pair_of_input_iterators_tIiPdSB_NS8_12not_equal_toIdEEEEPiiNS8_4plusIiEEEE10hipError_tPvRmT1_T2_T3_mT4_P12ihipStream_tbEUlT_E0_NS1_11comp_targetILNS1_3genE3ELNS1_11target_archE908ELNS1_3gpuE7ELNS1_3repE0EEENS1_30default_config_static_selectorELNS0_4arch9wavefront6targetE1EEEvSL_.has_recursion, 0
	.set _ZN7rocprim17ROCPRIM_400000_NS6detail17trampoline_kernelINS0_14default_configENS1_22reduce_config_selectorIiEEZNS1_11reduce_implILb1ES3_N6thrust23THRUST_200600_302600_NS11hip_rocprim35transform_pair_of_input_iterators_tIiPdSB_NS8_12not_equal_toIdEEEEPiiNS8_4plusIiEEEE10hipError_tPvRmT1_T2_T3_mT4_P12ihipStream_tbEUlT_E0_NS1_11comp_targetILNS1_3genE3ELNS1_11target_archE908ELNS1_3gpuE7ELNS1_3repE0EEENS1_30default_config_static_selectorELNS0_4arch9wavefront6targetE1EEEvSL_.has_indirect_call, 0
	.section	.AMDGPU.csdata,"",@progbits
; Kernel info:
; codeLenInByte = 0
; TotalNumSgprs: 4
; NumVgprs: 0
; ScratchSize: 0
; MemoryBound: 0
; FloatMode: 240
; IeeeMode: 1
; LDSByteSize: 0 bytes/workgroup (compile time only)
; SGPRBlocks: 0
; VGPRBlocks: 0
; NumSGPRsForWavesPerEU: 4
; NumVGPRsForWavesPerEU: 1
; Occupancy: 10
; WaveLimiterHint : 0
; COMPUTE_PGM_RSRC2:SCRATCH_EN: 0
; COMPUTE_PGM_RSRC2:USER_SGPR: 6
; COMPUTE_PGM_RSRC2:TRAP_HANDLER: 0
; COMPUTE_PGM_RSRC2:TGID_X_EN: 1
; COMPUTE_PGM_RSRC2:TGID_Y_EN: 0
; COMPUTE_PGM_RSRC2:TGID_Z_EN: 0
; COMPUTE_PGM_RSRC2:TIDIG_COMP_CNT: 0
	.section	.text._ZN7rocprim17ROCPRIM_400000_NS6detail17trampoline_kernelINS0_14default_configENS1_22reduce_config_selectorIiEEZNS1_11reduce_implILb1ES3_N6thrust23THRUST_200600_302600_NS11hip_rocprim35transform_pair_of_input_iterators_tIiPdSB_NS8_12not_equal_toIdEEEEPiiNS8_4plusIiEEEE10hipError_tPvRmT1_T2_T3_mT4_P12ihipStream_tbEUlT_E0_NS1_11comp_targetILNS1_3genE2ELNS1_11target_archE906ELNS1_3gpuE6ELNS1_3repE0EEENS1_30default_config_static_selectorELNS0_4arch9wavefront6targetE1EEEvSL_,"axG",@progbits,_ZN7rocprim17ROCPRIM_400000_NS6detail17trampoline_kernelINS0_14default_configENS1_22reduce_config_selectorIiEEZNS1_11reduce_implILb1ES3_N6thrust23THRUST_200600_302600_NS11hip_rocprim35transform_pair_of_input_iterators_tIiPdSB_NS8_12not_equal_toIdEEEEPiiNS8_4plusIiEEEE10hipError_tPvRmT1_T2_T3_mT4_P12ihipStream_tbEUlT_E0_NS1_11comp_targetILNS1_3genE2ELNS1_11target_archE906ELNS1_3gpuE6ELNS1_3repE0EEENS1_30default_config_static_selectorELNS0_4arch9wavefront6targetE1EEEvSL_,comdat
	.protected	_ZN7rocprim17ROCPRIM_400000_NS6detail17trampoline_kernelINS0_14default_configENS1_22reduce_config_selectorIiEEZNS1_11reduce_implILb1ES3_N6thrust23THRUST_200600_302600_NS11hip_rocprim35transform_pair_of_input_iterators_tIiPdSB_NS8_12not_equal_toIdEEEEPiiNS8_4plusIiEEEE10hipError_tPvRmT1_T2_T3_mT4_P12ihipStream_tbEUlT_E0_NS1_11comp_targetILNS1_3genE2ELNS1_11target_archE906ELNS1_3gpuE6ELNS1_3repE0EEENS1_30default_config_static_selectorELNS0_4arch9wavefront6targetE1EEEvSL_ ; -- Begin function _ZN7rocprim17ROCPRIM_400000_NS6detail17trampoline_kernelINS0_14default_configENS1_22reduce_config_selectorIiEEZNS1_11reduce_implILb1ES3_N6thrust23THRUST_200600_302600_NS11hip_rocprim35transform_pair_of_input_iterators_tIiPdSB_NS8_12not_equal_toIdEEEEPiiNS8_4plusIiEEEE10hipError_tPvRmT1_T2_T3_mT4_P12ihipStream_tbEUlT_E0_NS1_11comp_targetILNS1_3genE2ELNS1_11target_archE906ELNS1_3gpuE6ELNS1_3repE0EEENS1_30default_config_static_selectorELNS0_4arch9wavefront6targetE1EEEvSL_
	.globl	_ZN7rocprim17ROCPRIM_400000_NS6detail17trampoline_kernelINS0_14default_configENS1_22reduce_config_selectorIiEEZNS1_11reduce_implILb1ES3_N6thrust23THRUST_200600_302600_NS11hip_rocprim35transform_pair_of_input_iterators_tIiPdSB_NS8_12not_equal_toIdEEEEPiiNS8_4plusIiEEEE10hipError_tPvRmT1_T2_T3_mT4_P12ihipStream_tbEUlT_E0_NS1_11comp_targetILNS1_3genE2ELNS1_11target_archE906ELNS1_3gpuE6ELNS1_3repE0EEENS1_30default_config_static_selectorELNS0_4arch9wavefront6targetE1EEEvSL_
	.p2align	8
	.type	_ZN7rocprim17ROCPRIM_400000_NS6detail17trampoline_kernelINS0_14default_configENS1_22reduce_config_selectorIiEEZNS1_11reduce_implILb1ES3_N6thrust23THRUST_200600_302600_NS11hip_rocprim35transform_pair_of_input_iterators_tIiPdSB_NS8_12not_equal_toIdEEEEPiiNS8_4plusIiEEEE10hipError_tPvRmT1_T2_T3_mT4_P12ihipStream_tbEUlT_E0_NS1_11comp_targetILNS1_3genE2ELNS1_11target_archE906ELNS1_3gpuE6ELNS1_3repE0EEENS1_30default_config_static_selectorELNS0_4arch9wavefront6targetE1EEEvSL_,@function
_ZN7rocprim17ROCPRIM_400000_NS6detail17trampoline_kernelINS0_14default_configENS1_22reduce_config_selectorIiEEZNS1_11reduce_implILb1ES3_N6thrust23THRUST_200600_302600_NS11hip_rocprim35transform_pair_of_input_iterators_tIiPdSB_NS8_12not_equal_toIdEEEEPiiNS8_4plusIiEEEE10hipError_tPvRmT1_T2_T3_mT4_P12ihipStream_tbEUlT_E0_NS1_11comp_targetILNS1_3genE2ELNS1_11target_archE906ELNS1_3gpuE6ELNS1_3repE0EEENS1_30default_config_static_selectorELNS0_4arch9wavefront6targetE1EEEvSL_: ; @_ZN7rocprim17ROCPRIM_400000_NS6detail17trampoline_kernelINS0_14default_configENS1_22reduce_config_selectorIiEEZNS1_11reduce_implILb1ES3_N6thrust23THRUST_200600_302600_NS11hip_rocprim35transform_pair_of_input_iterators_tIiPdSB_NS8_12not_equal_toIdEEEEPiiNS8_4plusIiEEEE10hipError_tPvRmT1_T2_T3_mT4_P12ihipStream_tbEUlT_E0_NS1_11comp_targetILNS1_3genE2ELNS1_11target_archE906ELNS1_3gpuE6ELNS1_3repE0EEENS1_30default_config_static_selectorELNS0_4arch9wavefront6targetE1EEEvSL_
; %bb.0:
	s_load_dwordx8 s[8:15], s[4:5], 0x18
	s_load_dwordx4 s[0:3], s[4:5], 0x0
	s_load_dwordx2 s[16:17], s[4:5], 0x38
	v_lshlrev_b32_e32 v6, 3, v0
	v_mbcnt_lo_u32_b32 v5, -1, 0
	s_waitcnt lgkmcnt(0)
	s_lshl_b64 s[8:9], s[8:9], 3
	s_add_u32 s20, s0, s8
	s_addc_u32 s21, s1, s9
	s_add_u32 s22, s2, s8
	s_addc_u32 s23, s3, s9
	s_lshl_b32 s0, s6, 10
	s_mov_b32 s1, 0
	s_lshr_b64 s[2:3], s[10:11], 10
	s_lshl_b64 s[18:19], s[0:1], 3
	s_add_u32 s8, s20, s18
	s_addc_u32 s9, s21, s19
	s_add_u32 s18, s22, s18
	s_mov_b32 s7, s1
	s_addc_u32 s19, s23, s19
	s_cmp_lg_u64 s[2:3], s[6:7]
	s_cbranch_scc0 .LBB1674_6
; %bb.1:
	global_load_dwordx2 v[7:8], v6, s[8:9]
	global_load_dwordx2 v[9:10], v6, s[18:19]
	global_load_dwordx2 v[11:12], v6, s[18:19] offset:2048
	global_load_dwordx2 v[13:14], v6, s[8:9] offset:2048
	v_mov_b32_e32 v1, s9
	v_add_co_u32_e32 v2, vcc, s8, v6
	v_addc_co_u32_e32 v3, vcc, 0, v1, vcc
	v_mov_b32_e32 v1, s19
	v_add_co_u32_e32 v4, vcc, s18, v6
	v_addc_co_u32_e32 v15, vcc, 0, v1, vcc
	v_add_co_u32_e32 v1, vcc, 0x1000, v2
	v_addc_co_u32_e32 v2, vcc, 0, v3, vcc
	;; [unrolled: 2-line block ×3, first 2 shown]
	global_load_dwordx2 v[15:16], v[3:4], off
	global_load_dwordx2 v[17:18], v[1:2], off
	global_load_dwordx2 v[19:20], v[1:2], off offset:2048
	global_load_dwordx2 v[21:22], v[3:4], off offset:2048
	v_mbcnt_hi_u32_b32 v2, -1, v5
	v_lshlrev_b32_e32 v3, 2, v2
	s_waitcnt vmcnt(6)
	v_cmp_neq_f64_e32 vcc, v[7:8], v[9:10]
	v_cndmask_b32_e64 v1, 0, 1, vcc
	s_waitcnt vmcnt(4)
	v_cmp_neq_f64_e32 vcc, v[13:14], v[11:12]
	v_addc_co_u32_e32 v1, vcc, 0, v1, vcc
	s_waitcnt vmcnt(2)
	v_cmp_neq_f64_e32 vcc, v[17:18], v[15:16]
	v_cndmask_b32_e64 v4, 0, 1, vcc
	s_waitcnt vmcnt(0)
	v_cmp_neq_f64_e32 vcc, v[19:20], v[21:22]
	v_addc_co_u32_e32 v1, vcc, v1, v4, vcc
	s_nop 1
	v_add_u32_dpp v1, v1, v1 quad_perm:[1,0,3,2] row_mask:0xf bank_mask:0xf bound_ctrl:1
	v_or_b32_e32 v4, 0xfc, v3
	v_cmp_eq_u32_e32 vcc, 0, v2
	v_add_u32_dpp v1, v1, v1 quad_perm:[2,3,0,1] row_mask:0xf bank_mask:0xf bound_ctrl:1
	s_nop 1
	v_add_u32_dpp v1, v1, v1 row_ror:4 row_mask:0xf bank_mask:0xf bound_ctrl:1
	s_nop 1
	v_add_u32_dpp v1, v1, v1 row_ror:8 row_mask:0xf bank_mask:0xf bound_ctrl:1
	s_nop 1
	v_add_u32_dpp v1, v1, v1 row_bcast:15 row_mask:0xf bank_mask:0xf bound_ctrl:1
	s_nop 1
	v_add_u32_dpp v1, v1, v1 row_bcast:31 row_mask:0xf bank_mask:0xf bound_ctrl:1
	ds_bpermute_b32 v1, v4, v1
	s_and_saveexec_b64 s[2:3], vcc
	s_cbranch_execz .LBB1674_3
; %bb.2:
	v_lshrrev_b32_e32 v4, 4, v0
	v_and_b32_e32 v4, 12, v4
	s_waitcnt lgkmcnt(0)
	ds_write_b32 v4, v1
.LBB1674_3:
	s_or_b64 exec, exec, s[2:3]
	v_cmp_gt_u32_e32 vcc, 64, v0
	s_waitcnt lgkmcnt(0)
	s_barrier
	s_and_saveexec_b64 s[2:3], vcc
	s_cbranch_execz .LBB1674_5
; %bb.4:
	v_and_b32_e32 v1, 3, v2
	v_lshlrev_b32_e32 v4, 2, v1
	ds_read_b32 v4, v4
	v_cmp_ne_u32_e32 vcc, 3, v1
	v_addc_co_u32_e32 v1, vcc, 0, v2, vcc
	v_lshlrev_b32_e32 v1, 2, v1
	s_waitcnt lgkmcnt(0)
	ds_bpermute_b32 v1, v1, v4
	v_or_b32_e32 v2, 8, v3
	s_waitcnt lgkmcnt(0)
	v_add_u32_e32 v1, v1, v4
	ds_bpermute_b32 v2, v2, v1
	s_waitcnt lgkmcnt(0)
	v_add_u32_e32 v1, v2, v1
.LBB1674_5:
	s_or_b64 exec, exec, s[2:3]
	s_load_dword s22, s[4:5], 0x40
	s_branch .LBB1674_20
.LBB1674_6:
                                        ; implicit-def: $vgpr1
	s_load_dword s22, s[4:5], 0x40
	s_cbranch_execz .LBB1674_20
; %bb.7:
	s_sub_i32 s23, s10, s0
	v_mov_b32_e32 v1, 0
	v_cmp_gt_u32_e32 vcc, s23, v0
	v_mov_b32_e32 v2, v1
	v_mov_b32_e32 v3, v1
	;; [unrolled: 1-line block ×3, first 2 shown]
	s_and_saveexec_b64 s[0:1], vcc
	s_cbranch_execz .LBB1674_9
; %bb.8:
	global_load_dwordx2 v[2:3], v6, s[8:9]
	global_load_dwordx2 v[10:11], v6, s[18:19]
	v_mov_b32_e32 v8, v1
	v_mov_b32_e32 v9, v1
	s_waitcnt vmcnt(0)
	v_cmp_neq_f64_e32 vcc, v[2:3], v[10:11]
	v_mov_b32_e32 v10, v1
	v_cndmask_b32_e64 v2, 0, 1, vcc
	v_and_b32_e32 v7, 0xffff, v2
	v_mov_b32_e32 v1, v7
	v_mov_b32_e32 v2, v8
	;; [unrolled: 1-line block ×4, first 2 shown]
.LBB1674_9:
	s_or_b64 exec, exec, s[0:1]
	v_or_b32_e32 v7, 0x100, v0
	v_cmp_gt_u32_e32 vcc, s23, v7
	s_and_saveexec_b64 s[2:3], vcc
	s_cbranch_execz .LBB1674_11
; %bb.10:
	global_load_dwordx2 v[7:8], v6, s[8:9] offset:2048
	global_load_dwordx2 v[9:10], v6, s[18:19] offset:2048
	s_waitcnt vmcnt(0)
	v_cmp_neq_f64_e64 s[0:1], v[7:8], v[9:10]
	v_cndmask_b32_e64 v2, 0, 1, s[0:1]
.LBB1674_11:
	s_or_b64 exec, exec, s[2:3]
	v_or_b32_e32 v6, 0x200, v0
	v_cmp_gt_u32_e64 s[0:1], s23, v6
	s_and_saveexec_b64 s[4:5], s[0:1]
	s_cbranch_execz .LBB1674_13
; %bb.12:
	v_lshlrev_b32_e32 v3, 3, v6
	global_load_dwordx2 v[6:7], v3, s[8:9]
	global_load_dwordx2 v[8:9], v3, s[18:19]
	s_waitcnt vmcnt(0)
	v_cmp_neq_f64_e64 s[2:3], v[6:7], v[8:9]
	v_cndmask_b32_e64 v3, 0, 1, s[2:3]
.LBB1674_13:
	s_or_b64 exec, exec, s[4:5]
	v_or_b32_e32 v6, 0x300, v0
	v_cmp_gt_u32_e64 s[2:3], s23, v6
	s_and_saveexec_b64 s[20:21], s[2:3]
	s_cbranch_execz .LBB1674_15
; %bb.14:
	v_lshlrev_b32_e32 v4, 3, v6
	global_load_dwordx2 v[6:7], v4, s[8:9]
	global_load_dwordx2 v[8:9], v4, s[18:19]
	s_waitcnt vmcnt(0)
	v_cmp_neq_f64_e64 s[4:5], v[6:7], v[8:9]
	v_cndmask_b32_e64 v4, 0, 1, s[4:5]
.LBB1674_15:
	s_or_b64 exec, exec, s[20:21]
	v_cndmask_b32_e32 v2, 0, v2, vcc
	v_add_u32_e32 v1, v2, v1
	v_cndmask_b32_e64 v2, 0, v3, s[0:1]
	v_cndmask_b32_e64 v3, 0, v4, s[2:3]
	v_add3_u32 v1, v1, v2, v3
	v_mbcnt_hi_u32_b32 v2, -1, v5
	v_and_b32_e32 v4, 63, v2
	v_cmp_ne_u32_e32 vcc, 63, v4
	v_addc_co_u32_e32 v3, vcc, 0, v2, vcc
	v_lshlrev_b32_e32 v3, 2, v3
	ds_bpermute_b32 v3, v3, v1
	s_min_u32 s2, s23, 0x100
	v_and_b32_e32 v5, 0xc0, v0
	v_sub_u32_e64 v5, s2, v5 clamp
	v_add_u32_e32 v6, 1, v4
	v_cmp_lt_u32_e32 vcc, v6, v5
	s_waitcnt lgkmcnt(0)
	v_cndmask_b32_e32 v3, 0, v3, vcc
	v_cmp_gt_u32_e32 vcc, 62, v4
	v_add_u32_e32 v1, v3, v1
	v_cndmask_b32_e64 v3, 0, 2, vcc
	v_add_lshl_u32 v3, v3, v2, 2
	ds_bpermute_b32 v3, v3, v1
	v_add_u32_e32 v6, 2, v4
	v_cmp_lt_u32_e32 vcc, v6, v5
	v_add_u32_e32 v6, 4, v4
	s_waitcnt lgkmcnt(0)
	v_cndmask_b32_e32 v3, 0, v3, vcc
	v_cmp_gt_u32_e32 vcc, 60, v4
	v_add_u32_e32 v1, v1, v3
	v_cndmask_b32_e64 v3, 0, 4, vcc
	v_add_lshl_u32 v3, v3, v2, 2
	ds_bpermute_b32 v3, v3, v1
	v_cmp_lt_u32_e32 vcc, v6, v5
	v_add_u32_e32 v6, 8, v4
	s_waitcnt lgkmcnt(0)
	v_cndmask_b32_e32 v3, 0, v3, vcc
	v_cmp_gt_u32_e32 vcc, 56, v4
	v_add_u32_e32 v1, v1, v3
	v_cndmask_b32_e64 v3, 0, 8, vcc
	v_add_lshl_u32 v3, v3, v2, 2
	ds_bpermute_b32 v3, v3, v1
	v_cmp_lt_u32_e32 vcc, v6, v5
	v_add_u32_e32 v6, 16, v4
	s_waitcnt lgkmcnt(0)
	v_cndmask_b32_e32 v3, 0, v3, vcc
	v_cmp_gt_u32_e32 vcc, 48, v4
	v_add_u32_e32 v1, v1, v3
	v_cndmask_b32_e64 v3, 0, 16, vcc
	v_add_lshl_u32 v3, v3, v2, 2
	ds_bpermute_b32 v3, v3, v1
	v_cmp_lt_u32_e32 vcc, v6, v5
	v_add_u32_e32 v4, 32, v4
	s_waitcnt lgkmcnt(0)
	v_cndmask_b32_e32 v3, 0, v3, vcc
	v_add_u32_e32 v1, v1, v3
	v_lshlrev_b32_e32 v3, 2, v2
	v_or_b32_e32 v6, 0x80, v3
	ds_bpermute_b32 v6, v6, v1
	v_cmp_lt_u32_e32 vcc, v4, v5
	s_waitcnt lgkmcnt(0)
	v_cndmask_b32_e32 v4, 0, v6, vcc
	v_add_u32_e32 v1, v1, v4
	v_cmp_eq_u32_e32 vcc, 0, v2
	s_and_saveexec_b64 s[0:1], vcc
; %bb.16:
	v_lshrrev_b32_e32 v4, 4, v0
	v_and_b32_e32 v4, 12, v4
	ds_write_b32 v4, v1 offset:16
; %bb.17:
	s_or_b64 exec, exec, s[0:1]
	v_cmp_gt_u32_e32 vcc, 4, v0
	s_waitcnt lgkmcnt(0)
	s_barrier
	s_and_saveexec_b64 s[0:1], vcc
	s_cbranch_execz .LBB1674_19
; %bb.18:
	ds_read_b32 v1, v3 offset:16
	v_and_b32_e32 v4, 3, v2
	v_cmp_ne_u32_e32 vcc, 3, v4
	v_addc_co_u32_e32 v2, vcc, 0, v2, vcc
	v_lshlrev_b32_e32 v2, 2, v2
	s_waitcnt lgkmcnt(0)
	ds_bpermute_b32 v2, v2, v1
	s_add_i32 s2, s2, 63
	s_lshr_b32 s2, s2, 6
	v_add_u32_e32 v5, 1, v4
	v_cmp_gt_u32_e32 vcc, s2, v5
	s_waitcnt lgkmcnt(0)
	v_cndmask_b32_e32 v2, 0, v2, vcc
	v_add_u32_e32 v1, v2, v1
	v_or_b32_e32 v2, 8, v3
	ds_bpermute_b32 v2, v2, v1
	v_add_u32_e32 v3, 2, v4
	v_cmp_gt_u32_e32 vcc, s2, v3
	s_waitcnt lgkmcnt(0)
	v_cndmask_b32_e32 v2, 0, v2, vcc
	v_add_u32_e32 v1, v1, v2
.LBB1674_19:
	s_or_b64 exec, exec, s[0:1]
.LBB1674_20:
	v_cmp_eq_u32_e32 vcc, 0, v0
	s_and_saveexec_b64 s[0:1], vcc
	s_cbranch_execnz .LBB1674_22
; %bb.21:
	s_endpgm
.LBB1674_22:
	s_mul_i32 s0, s16, s15
	s_mul_hi_u32 s1, s16, s14
	s_add_i32 s0, s1, s0
	s_mul_i32 s1, s17, s14
	s_add_i32 s1, s0, s1
	s_mul_i32 s0, s16, s14
	s_lshl_b64 s[0:1], s[0:1], 2
	s_add_u32 s2, s12, s0
	s_addc_u32 s3, s13, s1
	s_cmp_eq_u64 s[10:11], 0
	s_cselect_b64 vcc, -1, 0
	s_lshl_b64 s[0:1], s[6:7], 2
	s_waitcnt lgkmcnt(0)
	v_mov_b32_e32 v0, s22
	s_add_u32 s0, s2, s0
	v_cndmask_b32_e32 v0, v1, v0, vcc
	s_addc_u32 s1, s3, s1
	v_mov_b32_e32 v1, 0
	global_store_dword v1, v0, s[0:1]
	s_endpgm
	.section	.rodata,"a",@progbits
	.p2align	6, 0x0
	.amdhsa_kernel _ZN7rocprim17ROCPRIM_400000_NS6detail17trampoline_kernelINS0_14default_configENS1_22reduce_config_selectorIiEEZNS1_11reduce_implILb1ES3_N6thrust23THRUST_200600_302600_NS11hip_rocprim35transform_pair_of_input_iterators_tIiPdSB_NS8_12not_equal_toIdEEEEPiiNS8_4plusIiEEEE10hipError_tPvRmT1_T2_T3_mT4_P12ihipStream_tbEUlT_E0_NS1_11comp_targetILNS1_3genE2ELNS1_11target_archE906ELNS1_3gpuE6ELNS1_3repE0EEENS1_30default_config_static_selectorELNS0_4arch9wavefront6targetE1EEEvSL_
		.amdhsa_group_segment_fixed_size 32
		.amdhsa_private_segment_fixed_size 0
		.amdhsa_kernarg_size 72
		.amdhsa_user_sgpr_count 6
		.amdhsa_user_sgpr_private_segment_buffer 1
		.amdhsa_user_sgpr_dispatch_ptr 0
		.amdhsa_user_sgpr_queue_ptr 0
		.amdhsa_user_sgpr_kernarg_segment_ptr 1
		.amdhsa_user_sgpr_dispatch_id 0
		.amdhsa_user_sgpr_flat_scratch_init 0
		.amdhsa_user_sgpr_private_segment_size 0
		.amdhsa_uses_dynamic_stack 0
		.amdhsa_system_sgpr_private_segment_wavefront_offset 0
		.amdhsa_system_sgpr_workgroup_id_x 1
		.amdhsa_system_sgpr_workgroup_id_y 0
		.amdhsa_system_sgpr_workgroup_id_z 0
		.amdhsa_system_sgpr_workgroup_info 0
		.amdhsa_system_vgpr_workitem_id 0
		.amdhsa_next_free_vgpr 23
		.amdhsa_next_free_sgpr 24
		.amdhsa_reserve_vcc 1
		.amdhsa_reserve_flat_scratch 0
		.amdhsa_float_round_mode_32 0
		.amdhsa_float_round_mode_16_64 0
		.amdhsa_float_denorm_mode_32 3
		.amdhsa_float_denorm_mode_16_64 3
		.amdhsa_dx10_clamp 1
		.amdhsa_ieee_mode 1
		.amdhsa_fp16_overflow 0
		.amdhsa_exception_fp_ieee_invalid_op 0
		.amdhsa_exception_fp_denorm_src 0
		.amdhsa_exception_fp_ieee_div_zero 0
		.amdhsa_exception_fp_ieee_overflow 0
		.amdhsa_exception_fp_ieee_underflow 0
		.amdhsa_exception_fp_ieee_inexact 0
		.amdhsa_exception_int_div_zero 0
	.end_amdhsa_kernel
	.section	.text._ZN7rocprim17ROCPRIM_400000_NS6detail17trampoline_kernelINS0_14default_configENS1_22reduce_config_selectorIiEEZNS1_11reduce_implILb1ES3_N6thrust23THRUST_200600_302600_NS11hip_rocprim35transform_pair_of_input_iterators_tIiPdSB_NS8_12not_equal_toIdEEEEPiiNS8_4plusIiEEEE10hipError_tPvRmT1_T2_T3_mT4_P12ihipStream_tbEUlT_E0_NS1_11comp_targetILNS1_3genE2ELNS1_11target_archE906ELNS1_3gpuE6ELNS1_3repE0EEENS1_30default_config_static_selectorELNS0_4arch9wavefront6targetE1EEEvSL_,"axG",@progbits,_ZN7rocprim17ROCPRIM_400000_NS6detail17trampoline_kernelINS0_14default_configENS1_22reduce_config_selectorIiEEZNS1_11reduce_implILb1ES3_N6thrust23THRUST_200600_302600_NS11hip_rocprim35transform_pair_of_input_iterators_tIiPdSB_NS8_12not_equal_toIdEEEEPiiNS8_4plusIiEEEE10hipError_tPvRmT1_T2_T3_mT4_P12ihipStream_tbEUlT_E0_NS1_11comp_targetILNS1_3genE2ELNS1_11target_archE906ELNS1_3gpuE6ELNS1_3repE0EEENS1_30default_config_static_selectorELNS0_4arch9wavefront6targetE1EEEvSL_,comdat
.Lfunc_end1674:
	.size	_ZN7rocprim17ROCPRIM_400000_NS6detail17trampoline_kernelINS0_14default_configENS1_22reduce_config_selectorIiEEZNS1_11reduce_implILb1ES3_N6thrust23THRUST_200600_302600_NS11hip_rocprim35transform_pair_of_input_iterators_tIiPdSB_NS8_12not_equal_toIdEEEEPiiNS8_4plusIiEEEE10hipError_tPvRmT1_T2_T3_mT4_P12ihipStream_tbEUlT_E0_NS1_11comp_targetILNS1_3genE2ELNS1_11target_archE906ELNS1_3gpuE6ELNS1_3repE0EEENS1_30default_config_static_selectorELNS0_4arch9wavefront6targetE1EEEvSL_, .Lfunc_end1674-_ZN7rocprim17ROCPRIM_400000_NS6detail17trampoline_kernelINS0_14default_configENS1_22reduce_config_selectorIiEEZNS1_11reduce_implILb1ES3_N6thrust23THRUST_200600_302600_NS11hip_rocprim35transform_pair_of_input_iterators_tIiPdSB_NS8_12not_equal_toIdEEEEPiiNS8_4plusIiEEEE10hipError_tPvRmT1_T2_T3_mT4_P12ihipStream_tbEUlT_E0_NS1_11comp_targetILNS1_3genE2ELNS1_11target_archE906ELNS1_3gpuE6ELNS1_3repE0EEENS1_30default_config_static_selectorELNS0_4arch9wavefront6targetE1EEEvSL_
                                        ; -- End function
	.set _ZN7rocprim17ROCPRIM_400000_NS6detail17trampoline_kernelINS0_14default_configENS1_22reduce_config_selectorIiEEZNS1_11reduce_implILb1ES3_N6thrust23THRUST_200600_302600_NS11hip_rocprim35transform_pair_of_input_iterators_tIiPdSB_NS8_12not_equal_toIdEEEEPiiNS8_4plusIiEEEE10hipError_tPvRmT1_T2_T3_mT4_P12ihipStream_tbEUlT_E0_NS1_11comp_targetILNS1_3genE2ELNS1_11target_archE906ELNS1_3gpuE6ELNS1_3repE0EEENS1_30default_config_static_selectorELNS0_4arch9wavefront6targetE1EEEvSL_.num_vgpr, 23
	.set _ZN7rocprim17ROCPRIM_400000_NS6detail17trampoline_kernelINS0_14default_configENS1_22reduce_config_selectorIiEEZNS1_11reduce_implILb1ES3_N6thrust23THRUST_200600_302600_NS11hip_rocprim35transform_pair_of_input_iterators_tIiPdSB_NS8_12not_equal_toIdEEEEPiiNS8_4plusIiEEEE10hipError_tPvRmT1_T2_T3_mT4_P12ihipStream_tbEUlT_E0_NS1_11comp_targetILNS1_3genE2ELNS1_11target_archE906ELNS1_3gpuE6ELNS1_3repE0EEENS1_30default_config_static_selectorELNS0_4arch9wavefront6targetE1EEEvSL_.num_agpr, 0
	.set _ZN7rocprim17ROCPRIM_400000_NS6detail17trampoline_kernelINS0_14default_configENS1_22reduce_config_selectorIiEEZNS1_11reduce_implILb1ES3_N6thrust23THRUST_200600_302600_NS11hip_rocprim35transform_pair_of_input_iterators_tIiPdSB_NS8_12not_equal_toIdEEEEPiiNS8_4plusIiEEEE10hipError_tPvRmT1_T2_T3_mT4_P12ihipStream_tbEUlT_E0_NS1_11comp_targetILNS1_3genE2ELNS1_11target_archE906ELNS1_3gpuE6ELNS1_3repE0EEENS1_30default_config_static_selectorELNS0_4arch9wavefront6targetE1EEEvSL_.numbered_sgpr, 24
	.set _ZN7rocprim17ROCPRIM_400000_NS6detail17trampoline_kernelINS0_14default_configENS1_22reduce_config_selectorIiEEZNS1_11reduce_implILb1ES3_N6thrust23THRUST_200600_302600_NS11hip_rocprim35transform_pair_of_input_iterators_tIiPdSB_NS8_12not_equal_toIdEEEEPiiNS8_4plusIiEEEE10hipError_tPvRmT1_T2_T3_mT4_P12ihipStream_tbEUlT_E0_NS1_11comp_targetILNS1_3genE2ELNS1_11target_archE906ELNS1_3gpuE6ELNS1_3repE0EEENS1_30default_config_static_selectorELNS0_4arch9wavefront6targetE1EEEvSL_.num_named_barrier, 0
	.set _ZN7rocprim17ROCPRIM_400000_NS6detail17trampoline_kernelINS0_14default_configENS1_22reduce_config_selectorIiEEZNS1_11reduce_implILb1ES3_N6thrust23THRUST_200600_302600_NS11hip_rocprim35transform_pair_of_input_iterators_tIiPdSB_NS8_12not_equal_toIdEEEEPiiNS8_4plusIiEEEE10hipError_tPvRmT1_T2_T3_mT4_P12ihipStream_tbEUlT_E0_NS1_11comp_targetILNS1_3genE2ELNS1_11target_archE906ELNS1_3gpuE6ELNS1_3repE0EEENS1_30default_config_static_selectorELNS0_4arch9wavefront6targetE1EEEvSL_.private_seg_size, 0
	.set _ZN7rocprim17ROCPRIM_400000_NS6detail17trampoline_kernelINS0_14default_configENS1_22reduce_config_selectorIiEEZNS1_11reduce_implILb1ES3_N6thrust23THRUST_200600_302600_NS11hip_rocprim35transform_pair_of_input_iterators_tIiPdSB_NS8_12not_equal_toIdEEEEPiiNS8_4plusIiEEEE10hipError_tPvRmT1_T2_T3_mT4_P12ihipStream_tbEUlT_E0_NS1_11comp_targetILNS1_3genE2ELNS1_11target_archE906ELNS1_3gpuE6ELNS1_3repE0EEENS1_30default_config_static_selectorELNS0_4arch9wavefront6targetE1EEEvSL_.uses_vcc, 1
	.set _ZN7rocprim17ROCPRIM_400000_NS6detail17trampoline_kernelINS0_14default_configENS1_22reduce_config_selectorIiEEZNS1_11reduce_implILb1ES3_N6thrust23THRUST_200600_302600_NS11hip_rocprim35transform_pair_of_input_iterators_tIiPdSB_NS8_12not_equal_toIdEEEEPiiNS8_4plusIiEEEE10hipError_tPvRmT1_T2_T3_mT4_P12ihipStream_tbEUlT_E0_NS1_11comp_targetILNS1_3genE2ELNS1_11target_archE906ELNS1_3gpuE6ELNS1_3repE0EEENS1_30default_config_static_selectorELNS0_4arch9wavefront6targetE1EEEvSL_.uses_flat_scratch, 0
	.set _ZN7rocprim17ROCPRIM_400000_NS6detail17trampoline_kernelINS0_14default_configENS1_22reduce_config_selectorIiEEZNS1_11reduce_implILb1ES3_N6thrust23THRUST_200600_302600_NS11hip_rocprim35transform_pair_of_input_iterators_tIiPdSB_NS8_12not_equal_toIdEEEEPiiNS8_4plusIiEEEE10hipError_tPvRmT1_T2_T3_mT4_P12ihipStream_tbEUlT_E0_NS1_11comp_targetILNS1_3genE2ELNS1_11target_archE906ELNS1_3gpuE6ELNS1_3repE0EEENS1_30default_config_static_selectorELNS0_4arch9wavefront6targetE1EEEvSL_.has_dyn_sized_stack, 0
	.set _ZN7rocprim17ROCPRIM_400000_NS6detail17trampoline_kernelINS0_14default_configENS1_22reduce_config_selectorIiEEZNS1_11reduce_implILb1ES3_N6thrust23THRUST_200600_302600_NS11hip_rocprim35transform_pair_of_input_iterators_tIiPdSB_NS8_12not_equal_toIdEEEEPiiNS8_4plusIiEEEE10hipError_tPvRmT1_T2_T3_mT4_P12ihipStream_tbEUlT_E0_NS1_11comp_targetILNS1_3genE2ELNS1_11target_archE906ELNS1_3gpuE6ELNS1_3repE0EEENS1_30default_config_static_selectorELNS0_4arch9wavefront6targetE1EEEvSL_.has_recursion, 0
	.set _ZN7rocprim17ROCPRIM_400000_NS6detail17trampoline_kernelINS0_14default_configENS1_22reduce_config_selectorIiEEZNS1_11reduce_implILb1ES3_N6thrust23THRUST_200600_302600_NS11hip_rocprim35transform_pair_of_input_iterators_tIiPdSB_NS8_12not_equal_toIdEEEEPiiNS8_4plusIiEEEE10hipError_tPvRmT1_T2_T3_mT4_P12ihipStream_tbEUlT_E0_NS1_11comp_targetILNS1_3genE2ELNS1_11target_archE906ELNS1_3gpuE6ELNS1_3repE0EEENS1_30default_config_static_selectorELNS0_4arch9wavefront6targetE1EEEvSL_.has_indirect_call, 0
	.section	.AMDGPU.csdata,"",@progbits
; Kernel info:
; codeLenInByte = 1408
; TotalNumSgprs: 28
; NumVgprs: 23
; ScratchSize: 0
; MemoryBound: 0
; FloatMode: 240
; IeeeMode: 1
; LDSByteSize: 32 bytes/workgroup (compile time only)
; SGPRBlocks: 3
; VGPRBlocks: 5
; NumSGPRsForWavesPerEU: 28
; NumVGPRsForWavesPerEU: 23
; Occupancy: 10
; WaveLimiterHint : 0
; COMPUTE_PGM_RSRC2:SCRATCH_EN: 0
; COMPUTE_PGM_RSRC2:USER_SGPR: 6
; COMPUTE_PGM_RSRC2:TRAP_HANDLER: 0
; COMPUTE_PGM_RSRC2:TGID_X_EN: 1
; COMPUTE_PGM_RSRC2:TGID_Y_EN: 0
; COMPUTE_PGM_RSRC2:TGID_Z_EN: 0
; COMPUTE_PGM_RSRC2:TIDIG_COMP_CNT: 0
	.section	.text._ZN7rocprim17ROCPRIM_400000_NS6detail17trampoline_kernelINS0_14default_configENS1_22reduce_config_selectorIiEEZNS1_11reduce_implILb1ES3_N6thrust23THRUST_200600_302600_NS11hip_rocprim35transform_pair_of_input_iterators_tIiPdSB_NS8_12not_equal_toIdEEEEPiiNS8_4plusIiEEEE10hipError_tPvRmT1_T2_T3_mT4_P12ihipStream_tbEUlT_E0_NS1_11comp_targetILNS1_3genE10ELNS1_11target_archE1201ELNS1_3gpuE5ELNS1_3repE0EEENS1_30default_config_static_selectorELNS0_4arch9wavefront6targetE1EEEvSL_,"axG",@progbits,_ZN7rocprim17ROCPRIM_400000_NS6detail17trampoline_kernelINS0_14default_configENS1_22reduce_config_selectorIiEEZNS1_11reduce_implILb1ES3_N6thrust23THRUST_200600_302600_NS11hip_rocprim35transform_pair_of_input_iterators_tIiPdSB_NS8_12not_equal_toIdEEEEPiiNS8_4plusIiEEEE10hipError_tPvRmT1_T2_T3_mT4_P12ihipStream_tbEUlT_E0_NS1_11comp_targetILNS1_3genE10ELNS1_11target_archE1201ELNS1_3gpuE5ELNS1_3repE0EEENS1_30default_config_static_selectorELNS0_4arch9wavefront6targetE1EEEvSL_,comdat
	.protected	_ZN7rocprim17ROCPRIM_400000_NS6detail17trampoline_kernelINS0_14default_configENS1_22reduce_config_selectorIiEEZNS1_11reduce_implILb1ES3_N6thrust23THRUST_200600_302600_NS11hip_rocprim35transform_pair_of_input_iterators_tIiPdSB_NS8_12not_equal_toIdEEEEPiiNS8_4plusIiEEEE10hipError_tPvRmT1_T2_T3_mT4_P12ihipStream_tbEUlT_E0_NS1_11comp_targetILNS1_3genE10ELNS1_11target_archE1201ELNS1_3gpuE5ELNS1_3repE0EEENS1_30default_config_static_selectorELNS0_4arch9wavefront6targetE1EEEvSL_ ; -- Begin function _ZN7rocprim17ROCPRIM_400000_NS6detail17trampoline_kernelINS0_14default_configENS1_22reduce_config_selectorIiEEZNS1_11reduce_implILb1ES3_N6thrust23THRUST_200600_302600_NS11hip_rocprim35transform_pair_of_input_iterators_tIiPdSB_NS8_12not_equal_toIdEEEEPiiNS8_4plusIiEEEE10hipError_tPvRmT1_T2_T3_mT4_P12ihipStream_tbEUlT_E0_NS1_11comp_targetILNS1_3genE10ELNS1_11target_archE1201ELNS1_3gpuE5ELNS1_3repE0EEENS1_30default_config_static_selectorELNS0_4arch9wavefront6targetE1EEEvSL_
	.globl	_ZN7rocprim17ROCPRIM_400000_NS6detail17trampoline_kernelINS0_14default_configENS1_22reduce_config_selectorIiEEZNS1_11reduce_implILb1ES3_N6thrust23THRUST_200600_302600_NS11hip_rocprim35transform_pair_of_input_iterators_tIiPdSB_NS8_12not_equal_toIdEEEEPiiNS8_4plusIiEEEE10hipError_tPvRmT1_T2_T3_mT4_P12ihipStream_tbEUlT_E0_NS1_11comp_targetILNS1_3genE10ELNS1_11target_archE1201ELNS1_3gpuE5ELNS1_3repE0EEENS1_30default_config_static_selectorELNS0_4arch9wavefront6targetE1EEEvSL_
	.p2align	8
	.type	_ZN7rocprim17ROCPRIM_400000_NS6detail17trampoline_kernelINS0_14default_configENS1_22reduce_config_selectorIiEEZNS1_11reduce_implILb1ES3_N6thrust23THRUST_200600_302600_NS11hip_rocprim35transform_pair_of_input_iterators_tIiPdSB_NS8_12not_equal_toIdEEEEPiiNS8_4plusIiEEEE10hipError_tPvRmT1_T2_T3_mT4_P12ihipStream_tbEUlT_E0_NS1_11comp_targetILNS1_3genE10ELNS1_11target_archE1201ELNS1_3gpuE5ELNS1_3repE0EEENS1_30default_config_static_selectorELNS0_4arch9wavefront6targetE1EEEvSL_,@function
_ZN7rocprim17ROCPRIM_400000_NS6detail17trampoline_kernelINS0_14default_configENS1_22reduce_config_selectorIiEEZNS1_11reduce_implILb1ES3_N6thrust23THRUST_200600_302600_NS11hip_rocprim35transform_pair_of_input_iterators_tIiPdSB_NS8_12not_equal_toIdEEEEPiiNS8_4plusIiEEEE10hipError_tPvRmT1_T2_T3_mT4_P12ihipStream_tbEUlT_E0_NS1_11comp_targetILNS1_3genE10ELNS1_11target_archE1201ELNS1_3gpuE5ELNS1_3repE0EEENS1_30default_config_static_selectorELNS0_4arch9wavefront6targetE1EEEvSL_: ; @_ZN7rocprim17ROCPRIM_400000_NS6detail17trampoline_kernelINS0_14default_configENS1_22reduce_config_selectorIiEEZNS1_11reduce_implILb1ES3_N6thrust23THRUST_200600_302600_NS11hip_rocprim35transform_pair_of_input_iterators_tIiPdSB_NS8_12not_equal_toIdEEEEPiiNS8_4plusIiEEEE10hipError_tPvRmT1_T2_T3_mT4_P12ihipStream_tbEUlT_E0_NS1_11comp_targetILNS1_3genE10ELNS1_11target_archE1201ELNS1_3gpuE5ELNS1_3repE0EEENS1_30default_config_static_selectorELNS0_4arch9wavefront6targetE1EEEvSL_
; %bb.0:
	.section	.rodata,"a",@progbits
	.p2align	6, 0x0
	.amdhsa_kernel _ZN7rocprim17ROCPRIM_400000_NS6detail17trampoline_kernelINS0_14default_configENS1_22reduce_config_selectorIiEEZNS1_11reduce_implILb1ES3_N6thrust23THRUST_200600_302600_NS11hip_rocprim35transform_pair_of_input_iterators_tIiPdSB_NS8_12not_equal_toIdEEEEPiiNS8_4plusIiEEEE10hipError_tPvRmT1_T2_T3_mT4_P12ihipStream_tbEUlT_E0_NS1_11comp_targetILNS1_3genE10ELNS1_11target_archE1201ELNS1_3gpuE5ELNS1_3repE0EEENS1_30default_config_static_selectorELNS0_4arch9wavefront6targetE1EEEvSL_
		.amdhsa_group_segment_fixed_size 0
		.amdhsa_private_segment_fixed_size 0
		.amdhsa_kernarg_size 72
		.amdhsa_user_sgpr_count 6
		.amdhsa_user_sgpr_private_segment_buffer 1
		.amdhsa_user_sgpr_dispatch_ptr 0
		.amdhsa_user_sgpr_queue_ptr 0
		.amdhsa_user_sgpr_kernarg_segment_ptr 1
		.amdhsa_user_sgpr_dispatch_id 0
		.amdhsa_user_sgpr_flat_scratch_init 0
		.amdhsa_user_sgpr_private_segment_size 0
		.amdhsa_uses_dynamic_stack 0
		.amdhsa_system_sgpr_private_segment_wavefront_offset 0
		.amdhsa_system_sgpr_workgroup_id_x 1
		.amdhsa_system_sgpr_workgroup_id_y 0
		.amdhsa_system_sgpr_workgroup_id_z 0
		.amdhsa_system_sgpr_workgroup_info 0
		.amdhsa_system_vgpr_workitem_id 0
		.amdhsa_next_free_vgpr 1
		.amdhsa_next_free_sgpr 0
		.amdhsa_reserve_vcc 0
		.amdhsa_reserve_flat_scratch 0
		.amdhsa_float_round_mode_32 0
		.amdhsa_float_round_mode_16_64 0
		.amdhsa_float_denorm_mode_32 3
		.amdhsa_float_denorm_mode_16_64 3
		.amdhsa_dx10_clamp 1
		.amdhsa_ieee_mode 1
		.amdhsa_fp16_overflow 0
		.amdhsa_exception_fp_ieee_invalid_op 0
		.amdhsa_exception_fp_denorm_src 0
		.amdhsa_exception_fp_ieee_div_zero 0
		.amdhsa_exception_fp_ieee_overflow 0
		.amdhsa_exception_fp_ieee_underflow 0
		.amdhsa_exception_fp_ieee_inexact 0
		.amdhsa_exception_int_div_zero 0
	.end_amdhsa_kernel
	.section	.text._ZN7rocprim17ROCPRIM_400000_NS6detail17trampoline_kernelINS0_14default_configENS1_22reduce_config_selectorIiEEZNS1_11reduce_implILb1ES3_N6thrust23THRUST_200600_302600_NS11hip_rocprim35transform_pair_of_input_iterators_tIiPdSB_NS8_12not_equal_toIdEEEEPiiNS8_4plusIiEEEE10hipError_tPvRmT1_T2_T3_mT4_P12ihipStream_tbEUlT_E0_NS1_11comp_targetILNS1_3genE10ELNS1_11target_archE1201ELNS1_3gpuE5ELNS1_3repE0EEENS1_30default_config_static_selectorELNS0_4arch9wavefront6targetE1EEEvSL_,"axG",@progbits,_ZN7rocprim17ROCPRIM_400000_NS6detail17trampoline_kernelINS0_14default_configENS1_22reduce_config_selectorIiEEZNS1_11reduce_implILb1ES3_N6thrust23THRUST_200600_302600_NS11hip_rocprim35transform_pair_of_input_iterators_tIiPdSB_NS8_12not_equal_toIdEEEEPiiNS8_4plusIiEEEE10hipError_tPvRmT1_T2_T3_mT4_P12ihipStream_tbEUlT_E0_NS1_11comp_targetILNS1_3genE10ELNS1_11target_archE1201ELNS1_3gpuE5ELNS1_3repE0EEENS1_30default_config_static_selectorELNS0_4arch9wavefront6targetE1EEEvSL_,comdat
.Lfunc_end1675:
	.size	_ZN7rocprim17ROCPRIM_400000_NS6detail17trampoline_kernelINS0_14default_configENS1_22reduce_config_selectorIiEEZNS1_11reduce_implILb1ES3_N6thrust23THRUST_200600_302600_NS11hip_rocprim35transform_pair_of_input_iterators_tIiPdSB_NS8_12not_equal_toIdEEEEPiiNS8_4plusIiEEEE10hipError_tPvRmT1_T2_T3_mT4_P12ihipStream_tbEUlT_E0_NS1_11comp_targetILNS1_3genE10ELNS1_11target_archE1201ELNS1_3gpuE5ELNS1_3repE0EEENS1_30default_config_static_selectorELNS0_4arch9wavefront6targetE1EEEvSL_, .Lfunc_end1675-_ZN7rocprim17ROCPRIM_400000_NS6detail17trampoline_kernelINS0_14default_configENS1_22reduce_config_selectorIiEEZNS1_11reduce_implILb1ES3_N6thrust23THRUST_200600_302600_NS11hip_rocprim35transform_pair_of_input_iterators_tIiPdSB_NS8_12not_equal_toIdEEEEPiiNS8_4plusIiEEEE10hipError_tPvRmT1_T2_T3_mT4_P12ihipStream_tbEUlT_E0_NS1_11comp_targetILNS1_3genE10ELNS1_11target_archE1201ELNS1_3gpuE5ELNS1_3repE0EEENS1_30default_config_static_selectorELNS0_4arch9wavefront6targetE1EEEvSL_
                                        ; -- End function
	.set _ZN7rocprim17ROCPRIM_400000_NS6detail17trampoline_kernelINS0_14default_configENS1_22reduce_config_selectorIiEEZNS1_11reduce_implILb1ES3_N6thrust23THRUST_200600_302600_NS11hip_rocprim35transform_pair_of_input_iterators_tIiPdSB_NS8_12not_equal_toIdEEEEPiiNS8_4plusIiEEEE10hipError_tPvRmT1_T2_T3_mT4_P12ihipStream_tbEUlT_E0_NS1_11comp_targetILNS1_3genE10ELNS1_11target_archE1201ELNS1_3gpuE5ELNS1_3repE0EEENS1_30default_config_static_selectorELNS0_4arch9wavefront6targetE1EEEvSL_.num_vgpr, 0
	.set _ZN7rocprim17ROCPRIM_400000_NS6detail17trampoline_kernelINS0_14default_configENS1_22reduce_config_selectorIiEEZNS1_11reduce_implILb1ES3_N6thrust23THRUST_200600_302600_NS11hip_rocprim35transform_pair_of_input_iterators_tIiPdSB_NS8_12not_equal_toIdEEEEPiiNS8_4plusIiEEEE10hipError_tPvRmT1_T2_T3_mT4_P12ihipStream_tbEUlT_E0_NS1_11comp_targetILNS1_3genE10ELNS1_11target_archE1201ELNS1_3gpuE5ELNS1_3repE0EEENS1_30default_config_static_selectorELNS0_4arch9wavefront6targetE1EEEvSL_.num_agpr, 0
	.set _ZN7rocprim17ROCPRIM_400000_NS6detail17trampoline_kernelINS0_14default_configENS1_22reduce_config_selectorIiEEZNS1_11reduce_implILb1ES3_N6thrust23THRUST_200600_302600_NS11hip_rocprim35transform_pair_of_input_iterators_tIiPdSB_NS8_12not_equal_toIdEEEEPiiNS8_4plusIiEEEE10hipError_tPvRmT1_T2_T3_mT4_P12ihipStream_tbEUlT_E0_NS1_11comp_targetILNS1_3genE10ELNS1_11target_archE1201ELNS1_3gpuE5ELNS1_3repE0EEENS1_30default_config_static_selectorELNS0_4arch9wavefront6targetE1EEEvSL_.numbered_sgpr, 0
	.set _ZN7rocprim17ROCPRIM_400000_NS6detail17trampoline_kernelINS0_14default_configENS1_22reduce_config_selectorIiEEZNS1_11reduce_implILb1ES3_N6thrust23THRUST_200600_302600_NS11hip_rocprim35transform_pair_of_input_iterators_tIiPdSB_NS8_12not_equal_toIdEEEEPiiNS8_4plusIiEEEE10hipError_tPvRmT1_T2_T3_mT4_P12ihipStream_tbEUlT_E0_NS1_11comp_targetILNS1_3genE10ELNS1_11target_archE1201ELNS1_3gpuE5ELNS1_3repE0EEENS1_30default_config_static_selectorELNS0_4arch9wavefront6targetE1EEEvSL_.num_named_barrier, 0
	.set _ZN7rocprim17ROCPRIM_400000_NS6detail17trampoline_kernelINS0_14default_configENS1_22reduce_config_selectorIiEEZNS1_11reduce_implILb1ES3_N6thrust23THRUST_200600_302600_NS11hip_rocprim35transform_pair_of_input_iterators_tIiPdSB_NS8_12not_equal_toIdEEEEPiiNS8_4plusIiEEEE10hipError_tPvRmT1_T2_T3_mT4_P12ihipStream_tbEUlT_E0_NS1_11comp_targetILNS1_3genE10ELNS1_11target_archE1201ELNS1_3gpuE5ELNS1_3repE0EEENS1_30default_config_static_selectorELNS0_4arch9wavefront6targetE1EEEvSL_.private_seg_size, 0
	.set _ZN7rocprim17ROCPRIM_400000_NS6detail17trampoline_kernelINS0_14default_configENS1_22reduce_config_selectorIiEEZNS1_11reduce_implILb1ES3_N6thrust23THRUST_200600_302600_NS11hip_rocprim35transform_pair_of_input_iterators_tIiPdSB_NS8_12not_equal_toIdEEEEPiiNS8_4plusIiEEEE10hipError_tPvRmT1_T2_T3_mT4_P12ihipStream_tbEUlT_E0_NS1_11comp_targetILNS1_3genE10ELNS1_11target_archE1201ELNS1_3gpuE5ELNS1_3repE0EEENS1_30default_config_static_selectorELNS0_4arch9wavefront6targetE1EEEvSL_.uses_vcc, 0
	.set _ZN7rocprim17ROCPRIM_400000_NS6detail17trampoline_kernelINS0_14default_configENS1_22reduce_config_selectorIiEEZNS1_11reduce_implILb1ES3_N6thrust23THRUST_200600_302600_NS11hip_rocprim35transform_pair_of_input_iterators_tIiPdSB_NS8_12not_equal_toIdEEEEPiiNS8_4plusIiEEEE10hipError_tPvRmT1_T2_T3_mT4_P12ihipStream_tbEUlT_E0_NS1_11comp_targetILNS1_3genE10ELNS1_11target_archE1201ELNS1_3gpuE5ELNS1_3repE0EEENS1_30default_config_static_selectorELNS0_4arch9wavefront6targetE1EEEvSL_.uses_flat_scratch, 0
	.set _ZN7rocprim17ROCPRIM_400000_NS6detail17trampoline_kernelINS0_14default_configENS1_22reduce_config_selectorIiEEZNS1_11reduce_implILb1ES3_N6thrust23THRUST_200600_302600_NS11hip_rocprim35transform_pair_of_input_iterators_tIiPdSB_NS8_12not_equal_toIdEEEEPiiNS8_4plusIiEEEE10hipError_tPvRmT1_T2_T3_mT4_P12ihipStream_tbEUlT_E0_NS1_11comp_targetILNS1_3genE10ELNS1_11target_archE1201ELNS1_3gpuE5ELNS1_3repE0EEENS1_30default_config_static_selectorELNS0_4arch9wavefront6targetE1EEEvSL_.has_dyn_sized_stack, 0
	.set _ZN7rocprim17ROCPRIM_400000_NS6detail17trampoline_kernelINS0_14default_configENS1_22reduce_config_selectorIiEEZNS1_11reduce_implILb1ES3_N6thrust23THRUST_200600_302600_NS11hip_rocprim35transform_pair_of_input_iterators_tIiPdSB_NS8_12not_equal_toIdEEEEPiiNS8_4plusIiEEEE10hipError_tPvRmT1_T2_T3_mT4_P12ihipStream_tbEUlT_E0_NS1_11comp_targetILNS1_3genE10ELNS1_11target_archE1201ELNS1_3gpuE5ELNS1_3repE0EEENS1_30default_config_static_selectorELNS0_4arch9wavefront6targetE1EEEvSL_.has_recursion, 0
	.set _ZN7rocprim17ROCPRIM_400000_NS6detail17trampoline_kernelINS0_14default_configENS1_22reduce_config_selectorIiEEZNS1_11reduce_implILb1ES3_N6thrust23THRUST_200600_302600_NS11hip_rocprim35transform_pair_of_input_iterators_tIiPdSB_NS8_12not_equal_toIdEEEEPiiNS8_4plusIiEEEE10hipError_tPvRmT1_T2_T3_mT4_P12ihipStream_tbEUlT_E0_NS1_11comp_targetILNS1_3genE10ELNS1_11target_archE1201ELNS1_3gpuE5ELNS1_3repE0EEENS1_30default_config_static_selectorELNS0_4arch9wavefront6targetE1EEEvSL_.has_indirect_call, 0
	.section	.AMDGPU.csdata,"",@progbits
; Kernel info:
; codeLenInByte = 0
; TotalNumSgprs: 4
; NumVgprs: 0
; ScratchSize: 0
; MemoryBound: 0
; FloatMode: 240
; IeeeMode: 1
; LDSByteSize: 0 bytes/workgroup (compile time only)
; SGPRBlocks: 0
; VGPRBlocks: 0
; NumSGPRsForWavesPerEU: 4
; NumVGPRsForWavesPerEU: 1
; Occupancy: 10
; WaveLimiterHint : 0
; COMPUTE_PGM_RSRC2:SCRATCH_EN: 0
; COMPUTE_PGM_RSRC2:USER_SGPR: 6
; COMPUTE_PGM_RSRC2:TRAP_HANDLER: 0
; COMPUTE_PGM_RSRC2:TGID_X_EN: 1
; COMPUTE_PGM_RSRC2:TGID_Y_EN: 0
; COMPUTE_PGM_RSRC2:TGID_Z_EN: 0
; COMPUTE_PGM_RSRC2:TIDIG_COMP_CNT: 0
	.section	.text._ZN7rocprim17ROCPRIM_400000_NS6detail17trampoline_kernelINS0_14default_configENS1_22reduce_config_selectorIiEEZNS1_11reduce_implILb1ES3_N6thrust23THRUST_200600_302600_NS11hip_rocprim35transform_pair_of_input_iterators_tIiPdSB_NS8_12not_equal_toIdEEEEPiiNS8_4plusIiEEEE10hipError_tPvRmT1_T2_T3_mT4_P12ihipStream_tbEUlT_E0_NS1_11comp_targetILNS1_3genE10ELNS1_11target_archE1200ELNS1_3gpuE4ELNS1_3repE0EEENS1_30default_config_static_selectorELNS0_4arch9wavefront6targetE1EEEvSL_,"axG",@progbits,_ZN7rocprim17ROCPRIM_400000_NS6detail17trampoline_kernelINS0_14default_configENS1_22reduce_config_selectorIiEEZNS1_11reduce_implILb1ES3_N6thrust23THRUST_200600_302600_NS11hip_rocprim35transform_pair_of_input_iterators_tIiPdSB_NS8_12not_equal_toIdEEEEPiiNS8_4plusIiEEEE10hipError_tPvRmT1_T2_T3_mT4_P12ihipStream_tbEUlT_E0_NS1_11comp_targetILNS1_3genE10ELNS1_11target_archE1200ELNS1_3gpuE4ELNS1_3repE0EEENS1_30default_config_static_selectorELNS0_4arch9wavefront6targetE1EEEvSL_,comdat
	.protected	_ZN7rocprim17ROCPRIM_400000_NS6detail17trampoline_kernelINS0_14default_configENS1_22reduce_config_selectorIiEEZNS1_11reduce_implILb1ES3_N6thrust23THRUST_200600_302600_NS11hip_rocprim35transform_pair_of_input_iterators_tIiPdSB_NS8_12not_equal_toIdEEEEPiiNS8_4plusIiEEEE10hipError_tPvRmT1_T2_T3_mT4_P12ihipStream_tbEUlT_E0_NS1_11comp_targetILNS1_3genE10ELNS1_11target_archE1200ELNS1_3gpuE4ELNS1_3repE0EEENS1_30default_config_static_selectorELNS0_4arch9wavefront6targetE1EEEvSL_ ; -- Begin function _ZN7rocprim17ROCPRIM_400000_NS6detail17trampoline_kernelINS0_14default_configENS1_22reduce_config_selectorIiEEZNS1_11reduce_implILb1ES3_N6thrust23THRUST_200600_302600_NS11hip_rocprim35transform_pair_of_input_iterators_tIiPdSB_NS8_12not_equal_toIdEEEEPiiNS8_4plusIiEEEE10hipError_tPvRmT1_T2_T3_mT4_P12ihipStream_tbEUlT_E0_NS1_11comp_targetILNS1_3genE10ELNS1_11target_archE1200ELNS1_3gpuE4ELNS1_3repE0EEENS1_30default_config_static_selectorELNS0_4arch9wavefront6targetE1EEEvSL_
	.globl	_ZN7rocprim17ROCPRIM_400000_NS6detail17trampoline_kernelINS0_14default_configENS1_22reduce_config_selectorIiEEZNS1_11reduce_implILb1ES3_N6thrust23THRUST_200600_302600_NS11hip_rocprim35transform_pair_of_input_iterators_tIiPdSB_NS8_12not_equal_toIdEEEEPiiNS8_4plusIiEEEE10hipError_tPvRmT1_T2_T3_mT4_P12ihipStream_tbEUlT_E0_NS1_11comp_targetILNS1_3genE10ELNS1_11target_archE1200ELNS1_3gpuE4ELNS1_3repE0EEENS1_30default_config_static_selectorELNS0_4arch9wavefront6targetE1EEEvSL_
	.p2align	8
	.type	_ZN7rocprim17ROCPRIM_400000_NS6detail17trampoline_kernelINS0_14default_configENS1_22reduce_config_selectorIiEEZNS1_11reduce_implILb1ES3_N6thrust23THRUST_200600_302600_NS11hip_rocprim35transform_pair_of_input_iterators_tIiPdSB_NS8_12not_equal_toIdEEEEPiiNS8_4plusIiEEEE10hipError_tPvRmT1_T2_T3_mT4_P12ihipStream_tbEUlT_E0_NS1_11comp_targetILNS1_3genE10ELNS1_11target_archE1200ELNS1_3gpuE4ELNS1_3repE0EEENS1_30default_config_static_selectorELNS0_4arch9wavefront6targetE1EEEvSL_,@function
_ZN7rocprim17ROCPRIM_400000_NS6detail17trampoline_kernelINS0_14default_configENS1_22reduce_config_selectorIiEEZNS1_11reduce_implILb1ES3_N6thrust23THRUST_200600_302600_NS11hip_rocprim35transform_pair_of_input_iterators_tIiPdSB_NS8_12not_equal_toIdEEEEPiiNS8_4plusIiEEEE10hipError_tPvRmT1_T2_T3_mT4_P12ihipStream_tbEUlT_E0_NS1_11comp_targetILNS1_3genE10ELNS1_11target_archE1200ELNS1_3gpuE4ELNS1_3repE0EEENS1_30default_config_static_selectorELNS0_4arch9wavefront6targetE1EEEvSL_: ; @_ZN7rocprim17ROCPRIM_400000_NS6detail17trampoline_kernelINS0_14default_configENS1_22reduce_config_selectorIiEEZNS1_11reduce_implILb1ES3_N6thrust23THRUST_200600_302600_NS11hip_rocprim35transform_pair_of_input_iterators_tIiPdSB_NS8_12not_equal_toIdEEEEPiiNS8_4plusIiEEEE10hipError_tPvRmT1_T2_T3_mT4_P12ihipStream_tbEUlT_E0_NS1_11comp_targetILNS1_3genE10ELNS1_11target_archE1200ELNS1_3gpuE4ELNS1_3repE0EEENS1_30default_config_static_selectorELNS0_4arch9wavefront6targetE1EEEvSL_
; %bb.0:
	.section	.rodata,"a",@progbits
	.p2align	6, 0x0
	.amdhsa_kernel _ZN7rocprim17ROCPRIM_400000_NS6detail17trampoline_kernelINS0_14default_configENS1_22reduce_config_selectorIiEEZNS1_11reduce_implILb1ES3_N6thrust23THRUST_200600_302600_NS11hip_rocprim35transform_pair_of_input_iterators_tIiPdSB_NS8_12not_equal_toIdEEEEPiiNS8_4plusIiEEEE10hipError_tPvRmT1_T2_T3_mT4_P12ihipStream_tbEUlT_E0_NS1_11comp_targetILNS1_3genE10ELNS1_11target_archE1200ELNS1_3gpuE4ELNS1_3repE0EEENS1_30default_config_static_selectorELNS0_4arch9wavefront6targetE1EEEvSL_
		.amdhsa_group_segment_fixed_size 0
		.amdhsa_private_segment_fixed_size 0
		.amdhsa_kernarg_size 72
		.amdhsa_user_sgpr_count 6
		.amdhsa_user_sgpr_private_segment_buffer 1
		.amdhsa_user_sgpr_dispatch_ptr 0
		.amdhsa_user_sgpr_queue_ptr 0
		.amdhsa_user_sgpr_kernarg_segment_ptr 1
		.amdhsa_user_sgpr_dispatch_id 0
		.amdhsa_user_sgpr_flat_scratch_init 0
		.amdhsa_user_sgpr_private_segment_size 0
		.amdhsa_uses_dynamic_stack 0
		.amdhsa_system_sgpr_private_segment_wavefront_offset 0
		.amdhsa_system_sgpr_workgroup_id_x 1
		.amdhsa_system_sgpr_workgroup_id_y 0
		.amdhsa_system_sgpr_workgroup_id_z 0
		.amdhsa_system_sgpr_workgroup_info 0
		.amdhsa_system_vgpr_workitem_id 0
		.amdhsa_next_free_vgpr 1
		.amdhsa_next_free_sgpr 0
		.amdhsa_reserve_vcc 0
		.amdhsa_reserve_flat_scratch 0
		.amdhsa_float_round_mode_32 0
		.amdhsa_float_round_mode_16_64 0
		.amdhsa_float_denorm_mode_32 3
		.amdhsa_float_denorm_mode_16_64 3
		.amdhsa_dx10_clamp 1
		.amdhsa_ieee_mode 1
		.amdhsa_fp16_overflow 0
		.amdhsa_exception_fp_ieee_invalid_op 0
		.amdhsa_exception_fp_denorm_src 0
		.amdhsa_exception_fp_ieee_div_zero 0
		.amdhsa_exception_fp_ieee_overflow 0
		.amdhsa_exception_fp_ieee_underflow 0
		.amdhsa_exception_fp_ieee_inexact 0
		.amdhsa_exception_int_div_zero 0
	.end_amdhsa_kernel
	.section	.text._ZN7rocprim17ROCPRIM_400000_NS6detail17trampoline_kernelINS0_14default_configENS1_22reduce_config_selectorIiEEZNS1_11reduce_implILb1ES3_N6thrust23THRUST_200600_302600_NS11hip_rocprim35transform_pair_of_input_iterators_tIiPdSB_NS8_12not_equal_toIdEEEEPiiNS8_4plusIiEEEE10hipError_tPvRmT1_T2_T3_mT4_P12ihipStream_tbEUlT_E0_NS1_11comp_targetILNS1_3genE10ELNS1_11target_archE1200ELNS1_3gpuE4ELNS1_3repE0EEENS1_30default_config_static_selectorELNS0_4arch9wavefront6targetE1EEEvSL_,"axG",@progbits,_ZN7rocprim17ROCPRIM_400000_NS6detail17trampoline_kernelINS0_14default_configENS1_22reduce_config_selectorIiEEZNS1_11reduce_implILb1ES3_N6thrust23THRUST_200600_302600_NS11hip_rocprim35transform_pair_of_input_iterators_tIiPdSB_NS8_12not_equal_toIdEEEEPiiNS8_4plusIiEEEE10hipError_tPvRmT1_T2_T3_mT4_P12ihipStream_tbEUlT_E0_NS1_11comp_targetILNS1_3genE10ELNS1_11target_archE1200ELNS1_3gpuE4ELNS1_3repE0EEENS1_30default_config_static_selectorELNS0_4arch9wavefront6targetE1EEEvSL_,comdat
.Lfunc_end1676:
	.size	_ZN7rocprim17ROCPRIM_400000_NS6detail17trampoline_kernelINS0_14default_configENS1_22reduce_config_selectorIiEEZNS1_11reduce_implILb1ES3_N6thrust23THRUST_200600_302600_NS11hip_rocprim35transform_pair_of_input_iterators_tIiPdSB_NS8_12not_equal_toIdEEEEPiiNS8_4plusIiEEEE10hipError_tPvRmT1_T2_T3_mT4_P12ihipStream_tbEUlT_E0_NS1_11comp_targetILNS1_3genE10ELNS1_11target_archE1200ELNS1_3gpuE4ELNS1_3repE0EEENS1_30default_config_static_selectorELNS0_4arch9wavefront6targetE1EEEvSL_, .Lfunc_end1676-_ZN7rocprim17ROCPRIM_400000_NS6detail17trampoline_kernelINS0_14default_configENS1_22reduce_config_selectorIiEEZNS1_11reduce_implILb1ES3_N6thrust23THRUST_200600_302600_NS11hip_rocprim35transform_pair_of_input_iterators_tIiPdSB_NS8_12not_equal_toIdEEEEPiiNS8_4plusIiEEEE10hipError_tPvRmT1_T2_T3_mT4_P12ihipStream_tbEUlT_E0_NS1_11comp_targetILNS1_3genE10ELNS1_11target_archE1200ELNS1_3gpuE4ELNS1_3repE0EEENS1_30default_config_static_selectorELNS0_4arch9wavefront6targetE1EEEvSL_
                                        ; -- End function
	.set _ZN7rocprim17ROCPRIM_400000_NS6detail17trampoline_kernelINS0_14default_configENS1_22reduce_config_selectorIiEEZNS1_11reduce_implILb1ES3_N6thrust23THRUST_200600_302600_NS11hip_rocprim35transform_pair_of_input_iterators_tIiPdSB_NS8_12not_equal_toIdEEEEPiiNS8_4plusIiEEEE10hipError_tPvRmT1_T2_T3_mT4_P12ihipStream_tbEUlT_E0_NS1_11comp_targetILNS1_3genE10ELNS1_11target_archE1200ELNS1_3gpuE4ELNS1_3repE0EEENS1_30default_config_static_selectorELNS0_4arch9wavefront6targetE1EEEvSL_.num_vgpr, 0
	.set _ZN7rocprim17ROCPRIM_400000_NS6detail17trampoline_kernelINS0_14default_configENS1_22reduce_config_selectorIiEEZNS1_11reduce_implILb1ES3_N6thrust23THRUST_200600_302600_NS11hip_rocprim35transform_pair_of_input_iterators_tIiPdSB_NS8_12not_equal_toIdEEEEPiiNS8_4plusIiEEEE10hipError_tPvRmT1_T2_T3_mT4_P12ihipStream_tbEUlT_E0_NS1_11comp_targetILNS1_3genE10ELNS1_11target_archE1200ELNS1_3gpuE4ELNS1_3repE0EEENS1_30default_config_static_selectorELNS0_4arch9wavefront6targetE1EEEvSL_.num_agpr, 0
	.set _ZN7rocprim17ROCPRIM_400000_NS6detail17trampoline_kernelINS0_14default_configENS1_22reduce_config_selectorIiEEZNS1_11reduce_implILb1ES3_N6thrust23THRUST_200600_302600_NS11hip_rocprim35transform_pair_of_input_iterators_tIiPdSB_NS8_12not_equal_toIdEEEEPiiNS8_4plusIiEEEE10hipError_tPvRmT1_T2_T3_mT4_P12ihipStream_tbEUlT_E0_NS1_11comp_targetILNS1_3genE10ELNS1_11target_archE1200ELNS1_3gpuE4ELNS1_3repE0EEENS1_30default_config_static_selectorELNS0_4arch9wavefront6targetE1EEEvSL_.numbered_sgpr, 0
	.set _ZN7rocprim17ROCPRIM_400000_NS6detail17trampoline_kernelINS0_14default_configENS1_22reduce_config_selectorIiEEZNS1_11reduce_implILb1ES3_N6thrust23THRUST_200600_302600_NS11hip_rocprim35transform_pair_of_input_iterators_tIiPdSB_NS8_12not_equal_toIdEEEEPiiNS8_4plusIiEEEE10hipError_tPvRmT1_T2_T3_mT4_P12ihipStream_tbEUlT_E0_NS1_11comp_targetILNS1_3genE10ELNS1_11target_archE1200ELNS1_3gpuE4ELNS1_3repE0EEENS1_30default_config_static_selectorELNS0_4arch9wavefront6targetE1EEEvSL_.num_named_barrier, 0
	.set _ZN7rocprim17ROCPRIM_400000_NS6detail17trampoline_kernelINS0_14default_configENS1_22reduce_config_selectorIiEEZNS1_11reduce_implILb1ES3_N6thrust23THRUST_200600_302600_NS11hip_rocprim35transform_pair_of_input_iterators_tIiPdSB_NS8_12not_equal_toIdEEEEPiiNS8_4plusIiEEEE10hipError_tPvRmT1_T2_T3_mT4_P12ihipStream_tbEUlT_E0_NS1_11comp_targetILNS1_3genE10ELNS1_11target_archE1200ELNS1_3gpuE4ELNS1_3repE0EEENS1_30default_config_static_selectorELNS0_4arch9wavefront6targetE1EEEvSL_.private_seg_size, 0
	.set _ZN7rocprim17ROCPRIM_400000_NS6detail17trampoline_kernelINS0_14default_configENS1_22reduce_config_selectorIiEEZNS1_11reduce_implILb1ES3_N6thrust23THRUST_200600_302600_NS11hip_rocprim35transform_pair_of_input_iterators_tIiPdSB_NS8_12not_equal_toIdEEEEPiiNS8_4plusIiEEEE10hipError_tPvRmT1_T2_T3_mT4_P12ihipStream_tbEUlT_E0_NS1_11comp_targetILNS1_3genE10ELNS1_11target_archE1200ELNS1_3gpuE4ELNS1_3repE0EEENS1_30default_config_static_selectorELNS0_4arch9wavefront6targetE1EEEvSL_.uses_vcc, 0
	.set _ZN7rocprim17ROCPRIM_400000_NS6detail17trampoline_kernelINS0_14default_configENS1_22reduce_config_selectorIiEEZNS1_11reduce_implILb1ES3_N6thrust23THRUST_200600_302600_NS11hip_rocprim35transform_pair_of_input_iterators_tIiPdSB_NS8_12not_equal_toIdEEEEPiiNS8_4plusIiEEEE10hipError_tPvRmT1_T2_T3_mT4_P12ihipStream_tbEUlT_E0_NS1_11comp_targetILNS1_3genE10ELNS1_11target_archE1200ELNS1_3gpuE4ELNS1_3repE0EEENS1_30default_config_static_selectorELNS0_4arch9wavefront6targetE1EEEvSL_.uses_flat_scratch, 0
	.set _ZN7rocprim17ROCPRIM_400000_NS6detail17trampoline_kernelINS0_14default_configENS1_22reduce_config_selectorIiEEZNS1_11reduce_implILb1ES3_N6thrust23THRUST_200600_302600_NS11hip_rocprim35transform_pair_of_input_iterators_tIiPdSB_NS8_12not_equal_toIdEEEEPiiNS8_4plusIiEEEE10hipError_tPvRmT1_T2_T3_mT4_P12ihipStream_tbEUlT_E0_NS1_11comp_targetILNS1_3genE10ELNS1_11target_archE1200ELNS1_3gpuE4ELNS1_3repE0EEENS1_30default_config_static_selectorELNS0_4arch9wavefront6targetE1EEEvSL_.has_dyn_sized_stack, 0
	.set _ZN7rocprim17ROCPRIM_400000_NS6detail17trampoline_kernelINS0_14default_configENS1_22reduce_config_selectorIiEEZNS1_11reduce_implILb1ES3_N6thrust23THRUST_200600_302600_NS11hip_rocprim35transform_pair_of_input_iterators_tIiPdSB_NS8_12not_equal_toIdEEEEPiiNS8_4plusIiEEEE10hipError_tPvRmT1_T2_T3_mT4_P12ihipStream_tbEUlT_E0_NS1_11comp_targetILNS1_3genE10ELNS1_11target_archE1200ELNS1_3gpuE4ELNS1_3repE0EEENS1_30default_config_static_selectorELNS0_4arch9wavefront6targetE1EEEvSL_.has_recursion, 0
	.set _ZN7rocprim17ROCPRIM_400000_NS6detail17trampoline_kernelINS0_14default_configENS1_22reduce_config_selectorIiEEZNS1_11reduce_implILb1ES3_N6thrust23THRUST_200600_302600_NS11hip_rocprim35transform_pair_of_input_iterators_tIiPdSB_NS8_12not_equal_toIdEEEEPiiNS8_4plusIiEEEE10hipError_tPvRmT1_T2_T3_mT4_P12ihipStream_tbEUlT_E0_NS1_11comp_targetILNS1_3genE10ELNS1_11target_archE1200ELNS1_3gpuE4ELNS1_3repE0EEENS1_30default_config_static_selectorELNS0_4arch9wavefront6targetE1EEEvSL_.has_indirect_call, 0
	.section	.AMDGPU.csdata,"",@progbits
; Kernel info:
; codeLenInByte = 0
; TotalNumSgprs: 4
; NumVgprs: 0
; ScratchSize: 0
; MemoryBound: 0
; FloatMode: 240
; IeeeMode: 1
; LDSByteSize: 0 bytes/workgroup (compile time only)
; SGPRBlocks: 0
; VGPRBlocks: 0
; NumSGPRsForWavesPerEU: 4
; NumVGPRsForWavesPerEU: 1
; Occupancy: 10
; WaveLimiterHint : 0
; COMPUTE_PGM_RSRC2:SCRATCH_EN: 0
; COMPUTE_PGM_RSRC2:USER_SGPR: 6
; COMPUTE_PGM_RSRC2:TRAP_HANDLER: 0
; COMPUTE_PGM_RSRC2:TGID_X_EN: 1
; COMPUTE_PGM_RSRC2:TGID_Y_EN: 0
; COMPUTE_PGM_RSRC2:TGID_Z_EN: 0
; COMPUTE_PGM_RSRC2:TIDIG_COMP_CNT: 0
	.section	.text._ZN7rocprim17ROCPRIM_400000_NS6detail17trampoline_kernelINS0_14default_configENS1_22reduce_config_selectorIiEEZNS1_11reduce_implILb1ES3_N6thrust23THRUST_200600_302600_NS11hip_rocprim35transform_pair_of_input_iterators_tIiPdSB_NS8_12not_equal_toIdEEEEPiiNS8_4plusIiEEEE10hipError_tPvRmT1_T2_T3_mT4_P12ihipStream_tbEUlT_E0_NS1_11comp_targetILNS1_3genE9ELNS1_11target_archE1100ELNS1_3gpuE3ELNS1_3repE0EEENS1_30default_config_static_selectorELNS0_4arch9wavefront6targetE1EEEvSL_,"axG",@progbits,_ZN7rocprim17ROCPRIM_400000_NS6detail17trampoline_kernelINS0_14default_configENS1_22reduce_config_selectorIiEEZNS1_11reduce_implILb1ES3_N6thrust23THRUST_200600_302600_NS11hip_rocprim35transform_pair_of_input_iterators_tIiPdSB_NS8_12not_equal_toIdEEEEPiiNS8_4plusIiEEEE10hipError_tPvRmT1_T2_T3_mT4_P12ihipStream_tbEUlT_E0_NS1_11comp_targetILNS1_3genE9ELNS1_11target_archE1100ELNS1_3gpuE3ELNS1_3repE0EEENS1_30default_config_static_selectorELNS0_4arch9wavefront6targetE1EEEvSL_,comdat
	.protected	_ZN7rocprim17ROCPRIM_400000_NS6detail17trampoline_kernelINS0_14default_configENS1_22reduce_config_selectorIiEEZNS1_11reduce_implILb1ES3_N6thrust23THRUST_200600_302600_NS11hip_rocprim35transform_pair_of_input_iterators_tIiPdSB_NS8_12not_equal_toIdEEEEPiiNS8_4plusIiEEEE10hipError_tPvRmT1_T2_T3_mT4_P12ihipStream_tbEUlT_E0_NS1_11comp_targetILNS1_3genE9ELNS1_11target_archE1100ELNS1_3gpuE3ELNS1_3repE0EEENS1_30default_config_static_selectorELNS0_4arch9wavefront6targetE1EEEvSL_ ; -- Begin function _ZN7rocprim17ROCPRIM_400000_NS6detail17trampoline_kernelINS0_14default_configENS1_22reduce_config_selectorIiEEZNS1_11reduce_implILb1ES3_N6thrust23THRUST_200600_302600_NS11hip_rocprim35transform_pair_of_input_iterators_tIiPdSB_NS8_12not_equal_toIdEEEEPiiNS8_4plusIiEEEE10hipError_tPvRmT1_T2_T3_mT4_P12ihipStream_tbEUlT_E0_NS1_11comp_targetILNS1_3genE9ELNS1_11target_archE1100ELNS1_3gpuE3ELNS1_3repE0EEENS1_30default_config_static_selectorELNS0_4arch9wavefront6targetE1EEEvSL_
	.globl	_ZN7rocprim17ROCPRIM_400000_NS6detail17trampoline_kernelINS0_14default_configENS1_22reduce_config_selectorIiEEZNS1_11reduce_implILb1ES3_N6thrust23THRUST_200600_302600_NS11hip_rocprim35transform_pair_of_input_iterators_tIiPdSB_NS8_12not_equal_toIdEEEEPiiNS8_4plusIiEEEE10hipError_tPvRmT1_T2_T3_mT4_P12ihipStream_tbEUlT_E0_NS1_11comp_targetILNS1_3genE9ELNS1_11target_archE1100ELNS1_3gpuE3ELNS1_3repE0EEENS1_30default_config_static_selectorELNS0_4arch9wavefront6targetE1EEEvSL_
	.p2align	8
	.type	_ZN7rocprim17ROCPRIM_400000_NS6detail17trampoline_kernelINS0_14default_configENS1_22reduce_config_selectorIiEEZNS1_11reduce_implILb1ES3_N6thrust23THRUST_200600_302600_NS11hip_rocprim35transform_pair_of_input_iterators_tIiPdSB_NS8_12not_equal_toIdEEEEPiiNS8_4plusIiEEEE10hipError_tPvRmT1_T2_T3_mT4_P12ihipStream_tbEUlT_E0_NS1_11comp_targetILNS1_3genE9ELNS1_11target_archE1100ELNS1_3gpuE3ELNS1_3repE0EEENS1_30default_config_static_selectorELNS0_4arch9wavefront6targetE1EEEvSL_,@function
_ZN7rocprim17ROCPRIM_400000_NS6detail17trampoline_kernelINS0_14default_configENS1_22reduce_config_selectorIiEEZNS1_11reduce_implILb1ES3_N6thrust23THRUST_200600_302600_NS11hip_rocprim35transform_pair_of_input_iterators_tIiPdSB_NS8_12not_equal_toIdEEEEPiiNS8_4plusIiEEEE10hipError_tPvRmT1_T2_T3_mT4_P12ihipStream_tbEUlT_E0_NS1_11comp_targetILNS1_3genE9ELNS1_11target_archE1100ELNS1_3gpuE3ELNS1_3repE0EEENS1_30default_config_static_selectorELNS0_4arch9wavefront6targetE1EEEvSL_: ; @_ZN7rocprim17ROCPRIM_400000_NS6detail17trampoline_kernelINS0_14default_configENS1_22reduce_config_selectorIiEEZNS1_11reduce_implILb1ES3_N6thrust23THRUST_200600_302600_NS11hip_rocprim35transform_pair_of_input_iterators_tIiPdSB_NS8_12not_equal_toIdEEEEPiiNS8_4plusIiEEEE10hipError_tPvRmT1_T2_T3_mT4_P12ihipStream_tbEUlT_E0_NS1_11comp_targetILNS1_3genE9ELNS1_11target_archE1100ELNS1_3gpuE3ELNS1_3repE0EEENS1_30default_config_static_selectorELNS0_4arch9wavefront6targetE1EEEvSL_
; %bb.0:
	.section	.rodata,"a",@progbits
	.p2align	6, 0x0
	.amdhsa_kernel _ZN7rocprim17ROCPRIM_400000_NS6detail17trampoline_kernelINS0_14default_configENS1_22reduce_config_selectorIiEEZNS1_11reduce_implILb1ES3_N6thrust23THRUST_200600_302600_NS11hip_rocprim35transform_pair_of_input_iterators_tIiPdSB_NS8_12not_equal_toIdEEEEPiiNS8_4plusIiEEEE10hipError_tPvRmT1_T2_T3_mT4_P12ihipStream_tbEUlT_E0_NS1_11comp_targetILNS1_3genE9ELNS1_11target_archE1100ELNS1_3gpuE3ELNS1_3repE0EEENS1_30default_config_static_selectorELNS0_4arch9wavefront6targetE1EEEvSL_
		.amdhsa_group_segment_fixed_size 0
		.amdhsa_private_segment_fixed_size 0
		.amdhsa_kernarg_size 72
		.amdhsa_user_sgpr_count 6
		.amdhsa_user_sgpr_private_segment_buffer 1
		.amdhsa_user_sgpr_dispatch_ptr 0
		.amdhsa_user_sgpr_queue_ptr 0
		.amdhsa_user_sgpr_kernarg_segment_ptr 1
		.amdhsa_user_sgpr_dispatch_id 0
		.amdhsa_user_sgpr_flat_scratch_init 0
		.amdhsa_user_sgpr_private_segment_size 0
		.amdhsa_uses_dynamic_stack 0
		.amdhsa_system_sgpr_private_segment_wavefront_offset 0
		.amdhsa_system_sgpr_workgroup_id_x 1
		.amdhsa_system_sgpr_workgroup_id_y 0
		.amdhsa_system_sgpr_workgroup_id_z 0
		.amdhsa_system_sgpr_workgroup_info 0
		.amdhsa_system_vgpr_workitem_id 0
		.amdhsa_next_free_vgpr 1
		.amdhsa_next_free_sgpr 0
		.amdhsa_reserve_vcc 0
		.amdhsa_reserve_flat_scratch 0
		.amdhsa_float_round_mode_32 0
		.amdhsa_float_round_mode_16_64 0
		.amdhsa_float_denorm_mode_32 3
		.amdhsa_float_denorm_mode_16_64 3
		.amdhsa_dx10_clamp 1
		.amdhsa_ieee_mode 1
		.amdhsa_fp16_overflow 0
		.amdhsa_exception_fp_ieee_invalid_op 0
		.amdhsa_exception_fp_denorm_src 0
		.amdhsa_exception_fp_ieee_div_zero 0
		.amdhsa_exception_fp_ieee_overflow 0
		.amdhsa_exception_fp_ieee_underflow 0
		.amdhsa_exception_fp_ieee_inexact 0
		.amdhsa_exception_int_div_zero 0
	.end_amdhsa_kernel
	.section	.text._ZN7rocprim17ROCPRIM_400000_NS6detail17trampoline_kernelINS0_14default_configENS1_22reduce_config_selectorIiEEZNS1_11reduce_implILb1ES3_N6thrust23THRUST_200600_302600_NS11hip_rocprim35transform_pair_of_input_iterators_tIiPdSB_NS8_12not_equal_toIdEEEEPiiNS8_4plusIiEEEE10hipError_tPvRmT1_T2_T3_mT4_P12ihipStream_tbEUlT_E0_NS1_11comp_targetILNS1_3genE9ELNS1_11target_archE1100ELNS1_3gpuE3ELNS1_3repE0EEENS1_30default_config_static_selectorELNS0_4arch9wavefront6targetE1EEEvSL_,"axG",@progbits,_ZN7rocprim17ROCPRIM_400000_NS6detail17trampoline_kernelINS0_14default_configENS1_22reduce_config_selectorIiEEZNS1_11reduce_implILb1ES3_N6thrust23THRUST_200600_302600_NS11hip_rocprim35transform_pair_of_input_iterators_tIiPdSB_NS8_12not_equal_toIdEEEEPiiNS8_4plusIiEEEE10hipError_tPvRmT1_T2_T3_mT4_P12ihipStream_tbEUlT_E0_NS1_11comp_targetILNS1_3genE9ELNS1_11target_archE1100ELNS1_3gpuE3ELNS1_3repE0EEENS1_30default_config_static_selectorELNS0_4arch9wavefront6targetE1EEEvSL_,comdat
.Lfunc_end1677:
	.size	_ZN7rocprim17ROCPRIM_400000_NS6detail17trampoline_kernelINS0_14default_configENS1_22reduce_config_selectorIiEEZNS1_11reduce_implILb1ES3_N6thrust23THRUST_200600_302600_NS11hip_rocprim35transform_pair_of_input_iterators_tIiPdSB_NS8_12not_equal_toIdEEEEPiiNS8_4plusIiEEEE10hipError_tPvRmT1_T2_T3_mT4_P12ihipStream_tbEUlT_E0_NS1_11comp_targetILNS1_3genE9ELNS1_11target_archE1100ELNS1_3gpuE3ELNS1_3repE0EEENS1_30default_config_static_selectorELNS0_4arch9wavefront6targetE1EEEvSL_, .Lfunc_end1677-_ZN7rocprim17ROCPRIM_400000_NS6detail17trampoline_kernelINS0_14default_configENS1_22reduce_config_selectorIiEEZNS1_11reduce_implILb1ES3_N6thrust23THRUST_200600_302600_NS11hip_rocprim35transform_pair_of_input_iterators_tIiPdSB_NS8_12not_equal_toIdEEEEPiiNS8_4plusIiEEEE10hipError_tPvRmT1_T2_T3_mT4_P12ihipStream_tbEUlT_E0_NS1_11comp_targetILNS1_3genE9ELNS1_11target_archE1100ELNS1_3gpuE3ELNS1_3repE0EEENS1_30default_config_static_selectorELNS0_4arch9wavefront6targetE1EEEvSL_
                                        ; -- End function
	.set _ZN7rocprim17ROCPRIM_400000_NS6detail17trampoline_kernelINS0_14default_configENS1_22reduce_config_selectorIiEEZNS1_11reduce_implILb1ES3_N6thrust23THRUST_200600_302600_NS11hip_rocprim35transform_pair_of_input_iterators_tIiPdSB_NS8_12not_equal_toIdEEEEPiiNS8_4plusIiEEEE10hipError_tPvRmT1_T2_T3_mT4_P12ihipStream_tbEUlT_E0_NS1_11comp_targetILNS1_3genE9ELNS1_11target_archE1100ELNS1_3gpuE3ELNS1_3repE0EEENS1_30default_config_static_selectorELNS0_4arch9wavefront6targetE1EEEvSL_.num_vgpr, 0
	.set _ZN7rocprim17ROCPRIM_400000_NS6detail17trampoline_kernelINS0_14default_configENS1_22reduce_config_selectorIiEEZNS1_11reduce_implILb1ES3_N6thrust23THRUST_200600_302600_NS11hip_rocprim35transform_pair_of_input_iterators_tIiPdSB_NS8_12not_equal_toIdEEEEPiiNS8_4plusIiEEEE10hipError_tPvRmT1_T2_T3_mT4_P12ihipStream_tbEUlT_E0_NS1_11comp_targetILNS1_3genE9ELNS1_11target_archE1100ELNS1_3gpuE3ELNS1_3repE0EEENS1_30default_config_static_selectorELNS0_4arch9wavefront6targetE1EEEvSL_.num_agpr, 0
	.set _ZN7rocprim17ROCPRIM_400000_NS6detail17trampoline_kernelINS0_14default_configENS1_22reduce_config_selectorIiEEZNS1_11reduce_implILb1ES3_N6thrust23THRUST_200600_302600_NS11hip_rocprim35transform_pair_of_input_iterators_tIiPdSB_NS8_12not_equal_toIdEEEEPiiNS8_4plusIiEEEE10hipError_tPvRmT1_T2_T3_mT4_P12ihipStream_tbEUlT_E0_NS1_11comp_targetILNS1_3genE9ELNS1_11target_archE1100ELNS1_3gpuE3ELNS1_3repE0EEENS1_30default_config_static_selectorELNS0_4arch9wavefront6targetE1EEEvSL_.numbered_sgpr, 0
	.set _ZN7rocprim17ROCPRIM_400000_NS6detail17trampoline_kernelINS0_14default_configENS1_22reduce_config_selectorIiEEZNS1_11reduce_implILb1ES3_N6thrust23THRUST_200600_302600_NS11hip_rocprim35transform_pair_of_input_iterators_tIiPdSB_NS8_12not_equal_toIdEEEEPiiNS8_4plusIiEEEE10hipError_tPvRmT1_T2_T3_mT4_P12ihipStream_tbEUlT_E0_NS1_11comp_targetILNS1_3genE9ELNS1_11target_archE1100ELNS1_3gpuE3ELNS1_3repE0EEENS1_30default_config_static_selectorELNS0_4arch9wavefront6targetE1EEEvSL_.num_named_barrier, 0
	.set _ZN7rocprim17ROCPRIM_400000_NS6detail17trampoline_kernelINS0_14default_configENS1_22reduce_config_selectorIiEEZNS1_11reduce_implILb1ES3_N6thrust23THRUST_200600_302600_NS11hip_rocprim35transform_pair_of_input_iterators_tIiPdSB_NS8_12not_equal_toIdEEEEPiiNS8_4plusIiEEEE10hipError_tPvRmT1_T2_T3_mT4_P12ihipStream_tbEUlT_E0_NS1_11comp_targetILNS1_3genE9ELNS1_11target_archE1100ELNS1_3gpuE3ELNS1_3repE0EEENS1_30default_config_static_selectorELNS0_4arch9wavefront6targetE1EEEvSL_.private_seg_size, 0
	.set _ZN7rocprim17ROCPRIM_400000_NS6detail17trampoline_kernelINS0_14default_configENS1_22reduce_config_selectorIiEEZNS1_11reduce_implILb1ES3_N6thrust23THRUST_200600_302600_NS11hip_rocprim35transform_pair_of_input_iterators_tIiPdSB_NS8_12not_equal_toIdEEEEPiiNS8_4plusIiEEEE10hipError_tPvRmT1_T2_T3_mT4_P12ihipStream_tbEUlT_E0_NS1_11comp_targetILNS1_3genE9ELNS1_11target_archE1100ELNS1_3gpuE3ELNS1_3repE0EEENS1_30default_config_static_selectorELNS0_4arch9wavefront6targetE1EEEvSL_.uses_vcc, 0
	.set _ZN7rocprim17ROCPRIM_400000_NS6detail17trampoline_kernelINS0_14default_configENS1_22reduce_config_selectorIiEEZNS1_11reduce_implILb1ES3_N6thrust23THRUST_200600_302600_NS11hip_rocprim35transform_pair_of_input_iterators_tIiPdSB_NS8_12not_equal_toIdEEEEPiiNS8_4plusIiEEEE10hipError_tPvRmT1_T2_T3_mT4_P12ihipStream_tbEUlT_E0_NS1_11comp_targetILNS1_3genE9ELNS1_11target_archE1100ELNS1_3gpuE3ELNS1_3repE0EEENS1_30default_config_static_selectorELNS0_4arch9wavefront6targetE1EEEvSL_.uses_flat_scratch, 0
	.set _ZN7rocprim17ROCPRIM_400000_NS6detail17trampoline_kernelINS0_14default_configENS1_22reduce_config_selectorIiEEZNS1_11reduce_implILb1ES3_N6thrust23THRUST_200600_302600_NS11hip_rocprim35transform_pair_of_input_iterators_tIiPdSB_NS8_12not_equal_toIdEEEEPiiNS8_4plusIiEEEE10hipError_tPvRmT1_T2_T3_mT4_P12ihipStream_tbEUlT_E0_NS1_11comp_targetILNS1_3genE9ELNS1_11target_archE1100ELNS1_3gpuE3ELNS1_3repE0EEENS1_30default_config_static_selectorELNS0_4arch9wavefront6targetE1EEEvSL_.has_dyn_sized_stack, 0
	.set _ZN7rocprim17ROCPRIM_400000_NS6detail17trampoline_kernelINS0_14default_configENS1_22reduce_config_selectorIiEEZNS1_11reduce_implILb1ES3_N6thrust23THRUST_200600_302600_NS11hip_rocprim35transform_pair_of_input_iterators_tIiPdSB_NS8_12not_equal_toIdEEEEPiiNS8_4plusIiEEEE10hipError_tPvRmT1_T2_T3_mT4_P12ihipStream_tbEUlT_E0_NS1_11comp_targetILNS1_3genE9ELNS1_11target_archE1100ELNS1_3gpuE3ELNS1_3repE0EEENS1_30default_config_static_selectorELNS0_4arch9wavefront6targetE1EEEvSL_.has_recursion, 0
	.set _ZN7rocprim17ROCPRIM_400000_NS6detail17trampoline_kernelINS0_14default_configENS1_22reduce_config_selectorIiEEZNS1_11reduce_implILb1ES3_N6thrust23THRUST_200600_302600_NS11hip_rocprim35transform_pair_of_input_iterators_tIiPdSB_NS8_12not_equal_toIdEEEEPiiNS8_4plusIiEEEE10hipError_tPvRmT1_T2_T3_mT4_P12ihipStream_tbEUlT_E0_NS1_11comp_targetILNS1_3genE9ELNS1_11target_archE1100ELNS1_3gpuE3ELNS1_3repE0EEENS1_30default_config_static_selectorELNS0_4arch9wavefront6targetE1EEEvSL_.has_indirect_call, 0
	.section	.AMDGPU.csdata,"",@progbits
; Kernel info:
; codeLenInByte = 0
; TotalNumSgprs: 4
; NumVgprs: 0
; ScratchSize: 0
; MemoryBound: 0
; FloatMode: 240
; IeeeMode: 1
; LDSByteSize: 0 bytes/workgroup (compile time only)
; SGPRBlocks: 0
; VGPRBlocks: 0
; NumSGPRsForWavesPerEU: 4
; NumVGPRsForWavesPerEU: 1
; Occupancy: 10
; WaveLimiterHint : 0
; COMPUTE_PGM_RSRC2:SCRATCH_EN: 0
; COMPUTE_PGM_RSRC2:USER_SGPR: 6
; COMPUTE_PGM_RSRC2:TRAP_HANDLER: 0
; COMPUTE_PGM_RSRC2:TGID_X_EN: 1
; COMPUTE_PGM_RSRC2:TGID_Y_EN: 0
; COMPUTE_PGM_RSRC2:TGID_Z_EN: 0
; COMPUTE_PGM_RSRC2:TIDIG_COMP_CNT: 0
	.section	.text._ZN7rocprim17ROCPRIM_400000_NS6detail17trampoline_kernelINS0_14default_configENS1_22reduce_config_selectorIiEEZNS1_11reduce_implILb1ES3_N6thrust23THRUST_200600_302600_NS11hip_rocprim35transform_pair_of_input_iterators_tIiPdSB_NS8_12not_equal_toIdEEEEPiiNS8_4plusIiEEEE10hipError_tPvRmT1_T2_T3_mT4_P12ihipStream_tbEUlT_E0_NS1_11comp_targetILNS1_3genE8ELNS1_11target_archE1030ELNS1_3gpuE2ELNS1_3repE0EEENS1_30default_config_static_selectorELNS0_4arch9wavefront6targetE1EEEvSL_,"axG",@progbits,_ZN7rocprim17ROCPRIM_400000_NS6detail17trampoline_kernelINS0_14default_configENS1_22reduce_config_selectorIiEEZNS1_11reduce_implILb1ES3_N6thrust23THRUST_200600_302600_NS11hip_rocprim35transform_pair_of_input_iterators_tIiPdSB_NS8_12not_equal_toIdEEEEPiiNS8_4plusIiEEEE10hipError_tPvRmT1_T2_T3_mT4_P12ihipStream_tbEUlT_E0_NS1_11comp_targetILNS1_3genE8ELNS1_11target_archE1030ELNS1_3gpuE2ELNS1_3repE0EEENS1_30default_config_static_selectorELNS0_4arch9wavefront6targetE1EEEvSL_,comdat
	.protected	_ZN7rocprim17ROCPRIM_400000_NS6detail17trampoline_kernelINS0_14default_configENS1_22reduce_config_selectorIiEEZNS1_11reduce_implILb1ES3_N6thrust23THRUST_200600_302600_NS11hip_rocprim35transform_pair_of_input_iterators_tIiPdSB_NS8_12not_equal_toIdEEEEPiiNS8_4plusIiEEEE10hipError_tPvRmT1_T2_T3_mT4_P12ihipStream_tbEUlT_E0_NS1_11comp_targetILNS1_3genE8ELNS1_11target_archE1030ELNS1_3gpuE2ELNS1_3repE0EEENS1_30default_config_static_selectorELNS0_4arch9wavefront6targetE1EEEvSL_ ; -- Begin function _ZN7rocprim17ROCPRIM_400000_NS6detail17trampoline_kernelINS0_14default_configENS1_22reduce_config_selectorIiEEZNS1_11reduce_implILb1ES3_N6thrust23THRUST_200600_302600_NS11hip_rocprim35transform_pair_of_input_iterators_tIiPdSB_NS8_12not_equal_toIdEEEEPiiNS8_4plusIiEEEE10hipError_tPvRmT1_T2_T3_mT4_P12ihipStream_tbEUlT_E0_NS1_11comp_targetILNS1_3genE8ELNS1_11target_archE1030ELNS1_3gpuE2ELNS1_3repE0EEENS1_30default_config_static_selectorELNS0_4arch9wavefront6targetE1EEEvSL_
	.globl	_ZN7rocprim17ROCPRIM_400000_NS6detail17trampoline_kernelINS0_14default_configENS1_22reduce_config_selectorIiEEZNS1_11reduce_implILb1ES3_N6thrust23THRUST_200600_302600_NS11hip_rocprim35transform_pair_of_input_iterators_tIiPdSB_NS8_12not_equal_toIdEEEEPiiNS8_4plusIiEEEE10hipError_tPvRmT1_T2_T3_mT4_P12ihipStream_tbEUlT_E0_NS1_11comp_targetILNS1_3genE8ELNS1_11target_archE1030ELNS1_3gpuE2ELNS1_3repE0EEENS1_30default_config_static_selectorELNS0_4arch9wavefront6targetE1EEEvSL_
	.p2align	8
	.type	_ZN7rocprim17ROCPRIM_400000_NS6detail17trampoline_kernelINS0_14default_configENS1_22reduce_config_selectorIiEEZNS1_11reduce_implILb1ES3_N6thrust23THRUST_200600_302600_NS11hip_rocprim35transform_pair_of_input_iterators_tIiPdSB_NS8_12not_equal_toIdEEEEPiiNS8_4plusIiEEEE10hipError_tPvRmT1_T2_T3_mT4_P12ihipStream_tbEUlT_E0_NS1_11comp_targetILNS1_3genE8ELNS1_11target_archE1030ELNS1_3gpuE2ELNS1_3repE0EEENS1_30default_config_static_selectorELNS0_4arch9wavefront6targetE1EEEvSL_,@function
_ZN7rocprim17ROCPRIM_400000_NS6detail17trampoline_kernelINS0_14default_configENS1_22reduce_config_selectorIiEEZNS1_11reduce_implILb1ES3_N6thrust23THRUST_200600_302600_NS11hip_rocprim35transform_pair_of_input_iterators_tIiPdSB_NS8_12not_equal_toIdEEEEPiiNS8_4plusIiEEEE10hipError_tPvRmT1_T2_T3_mT4_P12ihipStream_tbEUlT_E0_NS1_11comp_targetILNS1_3genE8ELNS1_11target_archE1030ELNS1_3gpuE2ELNS1_3repE0EEENS1_30default_config_static_selectorELNS0_4arch9wavefront6targetE1EEEvSL_: ; @_ZN7rocprim17ROCPRIM_400000_NS6detail17trampoline_kernelINS0_14default_configENS1_22reduce_config_selectorIiEEZNS1_11reduce_implILb1ES3_N6thrust23THRUST_200600_302600_NS11hip_rocprim35transform_pair_of_input_iterators_tIiPdSB_NS8_12not_equal_toIdEEEEPiiNS8_4plusIiEEEE10hipError_tPvRmT1_T2_T3_mT4_P12ihipStream_tbEUlT_E0_NS1_11comp_targetILNS1_3genE8ELNS1_11target_archE1030ELNS1_3gpuE2ELNS1_3repE0EEENS1_30default_config_static_selectorELNS0_4arch9wavefront6targetE1EEEvSL_
; %bb.0:
	.section	.rodata,"a",@progbits
	.p2align	6, 0x0
	.amdhsa_kernel _ZN7rocprim17ROCPRIM_400000_NS6detail17trampoline_kernelINS0_14default_configENS1_22reduce_config_selectorIiEEZNS1_11reduce_implILb1ES3_N6thrust23THRUST_200600_302600_NS11hip_rocprim35transform_pair_of_input_iterators_tIiPdSB_NS8_12not_equal_toIdEEEEPiiNS8_4plusIiEEEE10hipError_tPvRmT1_T2_T3_mT4_P12ihipStream_tbEUlT_E0_NS1_11comp_targetILNS1_3genE8ELNS1_11target_archE1030ELNS1_3gpuE2ELNS1_3repE0EEENS1_30default_config_static_selectorELNS0_4arch9wavefront6targetE1EEEvSL_
		.amdhsa_group_segment_fixed_size 0
		.amdhsa_private_segment_fixed_size 0
		.amdhsa_kernarg_size 72
		.amdhsa_user_sgpr_count 6
		.amdhsa_user_sgpr_private_segment_buffer 1
		.amdhsa_user_sgpr_dispatch_ptr 0
		.amdhsa_user_sgpr_queue_ptr 0
		.amdhsa_user_sgpr_kernarg_segment_ptr 1
		.amdhsa_user_sgpr_dispatch_id 0
		.amdhsa_user_sgpr_flat_scratch_init 0
		.amdhsa_user_sgpr_private_segment_size 0
		.amdhsa_uses_dynamic_stack 0
		.amdhsa_system_sgpr_private_segment_wavefront_offset 0
		.amdhsa_system_sgpr_workgroup_id_x 1
		.amdhsa_system_sgpr_workgroup_id_y 0
		.amdhsa_system_sgpr_workgroup_id_z 0
		.amdhsa_system_sgpr_workgroup_info 0
		.amdhsa_system_vgpr_workitem_id 0
		.amdhsa_next_free_vgpr 1
		.amdhsa_next_free_sgpr 0
		.amdhsa_reserve_vcc 0
		.amdhsa_reserve_flat_scratch 0
		.amdhsa_float_round_mode_32 0
		.amdhsa_float_round_mode_16_64 0
		.amdhsa_float_denorm_mode_32 3
		.amdhsa_float_denorm_mode_16_64 3
		.amdhsa_dx10_clamp 1
		.amdhsa_ieee_mode 1
		.amdhsa_fp16_overflow 0
		.amdhsa_exception_fp_ieee_invalid_op 0
		.amdhsa_exception_fp_denorm_src 0
		.amdhsa_exception_fp_ieee_div_zero 0
		.amdhsa_exception_fp_ieee_overflow 0
		.amdhsa_exception_fp_ieee_underflow 0
		.amdhsa_exception_fp_ieee_inexact 0
		.amdhsa_exception_int_div_zero 0
	.end_amdhsa_kernel
	.section	.text._ZN7rocprim17ROCPRIM_400000_NS6detail17trampoline_kernelINS0_14default_configENS1_22reduce_config_selectorIiEEZNS1_11reduce_implILb1ES3_N6thrust23THRUST_200600_302600_NS11hip_rocprim35transform_pair_of_input_iterators_tIiPdSB_NS8_12not_equal_toIdEEEEPiiNS8_4plusIiEEEE10hipError_tPvRmT1_T2_T3_mT4_P12ihipStream_tbEUlT_E0_NS1_11comp_targetILNS1_3genE8ELNS1_11target_archE1030ELNS1_3gpuE2ELNS1_3repE0EEENS1_30default_config_static_selectorELNS0_4arch9wavefront6targetE1EEEvSL_,"axG",@progbits,_ZN7rocprim17ROCPRIM_400000_NS6detail17trampoline_kernelINS0_14default_configENS1_22reduce_config_selectorIiEEZNS1_11reduce_implILb1ES3_N6thrust23THRUST_200600_302600_NS11hip_rocprim35transform_pair_of_input_iterators_tIiPdSB_NS8_12not_equal_toIdEEEEPiiNS8_4plusIiEEEE10hipError_tPvRmT1_T2_T3_mT4_P12ihipStream_tbEUlT_E0_NS1_11comp_targetILNS1_3genE8ELNS1_11target_archE1030ELNS1_3gpuE2ELNS1_3repE0EEENS1_30default_config_static_selectorELNS0_4arch9wavefront6targetE1EEEvSL_,comdat
.Lfunc_end1678:
	.size	_ZN7rocprim17ROCPRIM_400000_NS6detail17trampoline_kernelINS0_14default_configENS1_22reduce_config_selectorIiEEZNS1_11reduce_implILb1ES3_N6thrust23THRUST_200600_302600_NS11hip_rocprim35transform_pair_of_input_iterators_tIiPdSB_NS8_12not_equal_toIdEEEEPiiNS8_4plusIiEEEE10hipError_tPvRmT1_T2_T3_mT4_P12ihipStream_tbEUlT_E0_NS1_11comp_targetILNS1_3genE8ELNS1_11target_archE1030ELNS1_3gpuE2ELNS1_3repE0EEENS1_30default_config_static_selectorELNS0_4arch9wavefront6targetE1EEEvSL_, .Lfunc_end1678-_ZN7rocprim17ROCPRIM_400000_NS6detail17trampoline_kernelINS0_14default_configENS1_22reduce_config_selectorIiEEZNS1_11reduce_implILb1ES3_N6thrust23THRUST_200600_302600_NS11hip_rocprim35transform_pair_of_input_iterators_tIiPdSB_NS8_12not_equal_toIdEEEEPiiNS8_4plusIiEEEE10hipError_tPvRmT1_T2_T3_mT4_P12ihipStream_tbEUlT_E0_NS1_11comp_targetILNS1_3genE8ELNS1_11target_archE1030ELNS1_3gpuE2ELNS1_3repE0EEENS1_30default_config_static_selectorELNS0_4arch9wavefront6targetE1EEEvSL_
                                        ; -- End function
	.set _ZN7rocprim17ROCPRIM_400000_NS6detail17trampoline_kernelINS0_14default_configENS1_22reduce_config_selectorIiEEZNS1_11reduce_implILb1ES3_N6thrust23THRUST_200600_302600_NS11hip_rocprim35transform_pair_of_input_iterators_tIiPdSB_NS8_12not_equal_toIdEEEEPiiNS8_4plusIiEEEE10hipError_tPvRmT1_T2_T3_mT4_P12ihipStream_tbEUlT_E0_NS1_11comp_targetILNS1_3genE8ELNS1_11target_archE1030ELNS1_3gpuE2ELNS1_3repE0EEENS1_30default_config_static_selectorELNS0_4arch9wavefront6targetE1EEEvSL_.num_vgpr, 0
	.set _ZN7rocprim17ROCPRIM_400000_NS6detail17trampoline_kernelINS0_14default_configENS1_22reduce_config_selectorIiEEZNS1_11reduce_implILb1ES3_N6thrust23THRUST_200600_302600_NS11hip_rocprim35transform_pair_of_input_iterators_tIiPdSB_NS8_12not_equal_toIdEEEEPiiNS8_4plusIiEEEE10hipError_tPvRmT1_T2_T3_mT4_P12ihipStream_tbEUlT_E0_NS1_11comp_targetILNS1_3genE8ELNS1_11target_archE1030ELNS1_3gpuE2ELNS1_3repE0EEENS1_30default_config_static_selectorELNS0_4arch9wavefront6targetE1EEEvSL_.num_agpr, 0
	.set _ZN7rocprim17ROCPRIM_400000_NS6detail17trampoline_kernelINS0_14default_configENS1_22reduce_config_selectorIiEEZNS1_11reduce_implILb1ES3_N6thrust23THRUST_200600_302600_NS11hip_rocprim35transform_pair_of_input_iterators_tIiPdSB_NS8_12not_equal_toIdEEEEPiiNS8_4plusIiEEEE10hipError_tPvRmT1_T2_T3_mT4_P12ihipStream_tbEUlT_E0_NS1_11comp_targetILNS1_3genE8ELNS1_11target_archE1030ELNS1_3gpuE2ELNS1_3repE0EEENS1_30default_config_static_selectorELNS0_4arch9wavefront6targetE1EEEvSL_.numbered_sgpr, 0
	.set _ZN7rocprim17ROCPRIM_400000_NS6detail17trampoline_kernelINS0_14default_configENS1_22reduce_config_selectorIiEEZNS1_11reduce_implILb1ES3_N6thrust23THRUST_200600_302600_NS11hip_rocprim35transform_pair_of_input_iterators_tIiPdSB_NS8_12not_equal_toIdEEEEPiiNS8_4plusIiEEEE10hipError_tPvRmT1_T2_T3_mT4_P12ihipStream_tbEUlT_E0_NS1_11comp_targetILNS1_3genE8ELNS1_11target_archE1030ELNS1_3gpuE2ELNS1_3repE0EEENS1_30default_config_static_selectorELNS0_4arch9wavefront6targetE1EEEvSL_.num_named_barrier, 0
	.set _ZN7rocprim17ROCPRIM_400000_NS6detail17trampoline_kernelINS0_14default_configENS1_22reduce_config_selectorIiEEZNS1_11reduce_implILb1ES3_N6thrust23THRUST_200600_302600_NS11hip_rocprim35transform_pair_of_input_iterators_tIiPdSB_NS8_12not_equal_toIdEEEEPiiNS8_4plusIiEEEE10hipError_tPvRmT1_T2_T3_mT4_P12ihipStream_tbEUlT_E0_NS1_11comp_targetILNS1_3genE8ELNS1_11target_archE1030ELNS1_3gpuE2ELNS1_3repE0EEENS1_30default_config_static_selectorELNS0_4arch9wavefront6targetE1EEEvSL_.private_seg_size, 0
	.set _ZN7rocprim17ROCPRIM_400000_NS6detail17trampoline_kernelINS0_14default_configENS1_22reduce_config_selectorIiEEZNS1_11reduce_implILb1ES3_N6thrust23THRUST_200600_302600_NS11hip_rocprim35transform_pair_of_input_iterators_tIiPdSB_NS8_12not_equal_toIdEEEEPiiNS8_4plusIiEEEE10hipError_tPvRmT1_T2_T3_mT4_P12ihipStream_tbEUlT_E0_NS1_11comp_targetILNS1_3genE8ELNS1_11target_archE1030ELNS1_3gpuE2ELNS1_3repE0EEENS1_30default_config_static_selectorELNS0_4arch9wavefront6targetE1EEEvSL_.uses_vcc, 0
	.set _ZN7rocprim17ROCPRIM_400000_NS6detail17trampoline_kernelINS0_14default_configENS1_22reduce_config_selectorIiEEZNS1_11reduce_implILb1ES3_N6thrust23THRUST_200600_302600_NS11hip_rocprim35transform_pair_of_input_iterators_tIiPdSB_NS8_12not_equal_toIdEEEEPiiNS8_4plusIiEEEE10hipError_tPvRmT1_T2_T3_mT4_P12ihipStream_tbEUlT_E0_NS1_11comp_targetILNS1_3genE8ELNS1_11target_archE1030ELNS1_3gpuE2ELNS1_3repE0EEENS1_30default_config_static_selectorELNS0_4arch9wavefront6targetE1EEEvSL_.uses_flat_scratch, 0
	.set _ZN7rocprim17ROCPRIM_400000_NS6detail17trampoline_kernelINS0_14default_configENS1_22reduce_config_selectorIiEEZNS1_11reduce_implILb1ES3_N6thrust23THRUST_200600_302600_NS11hip_rocprim35transform_pair_of_input_iterators_tIiPdSB_NS8_12not_equal_toIdEEEEPiiNS8_4plusIiEEEE10hipError_tPvRmT1_T2_T3_mT4_P12ihipStream_tbEUlT_E0_NS1_11comp_targetILNS1_3genE8ELNS1_11target_archE1030ELNS1_3gpuE2ELNS1_3repE0EEENS1_30default_config_static_selectorELNS0_4arch9wavefront6targetE1EEEvSL_.has_dyn_sized_stack, 0
	.set _ZN7rocprim17ROCPRIM_400000_NS6detail17trampoline_kernelINS0_14default_configENS1_22reduce_config_selectorIiEEZNS1_11reduce_implILb1ES3_N6thrust23THRUST_200600_302600_NS11hip_rocprim35transform_pair_of_input_iterators_tIiPdSB_NS8_12not_equal_toIdEEEEPiiNS8_4plusIiEEEE10hipError_tPvRmT1_T2_T3_mT4_P12ihipStream_tbEUlT_E0_NS1_11comp_targetILNS1_3genE8ELNS1_11target_archE1030ELNS1_3gpuE2ELNS1_3repE0EEENS1_30default_config_static_selectorELNS0_4arch9wavefront6targetE1EEEvSL_.has_recursion, 0
	.set _ZN7rocprim17ROCPRIM_400000_NS6detail17trampoline_kernelINS0_14default_configENS1_22reduce_config_selectorIiEEZNS1_11reduce_implILb1ES3_N6thrust23THRUST_200600_302600_NS11hip_rocprim35transform_pair_of_input_iterators_tIiPdSB_NS8_12not_equal_toIdEEEEPiiNS8_4plusIiEEEE10hipError_tPvRmT1_T2_T3_mT4_P12ihipStream_tbEUlT_E0_NS1_11comp_targetILNS1_3genE8ELNS1_11target_archE1030ELNS1_3gpuE2ELNS1_3repE0EEENS1_30default_config_static_selectorELNS0_4arch9wavefront6targetE1EEEvSL_.has_indirect_call, 0
	.section	.AMDGPU.csdata,"",@progbits
; Kernel info:
; codeLenInByte = 0
; TotalNumSgprs: 4
; NumVgprs: 0
; ScratchSize: 0
; MemoryBound: 0
; FloatMode: 240
; IeeeMode: 1
; LDSByteSize: 0 bytes/workgroup (compile time only)
; SGPRBlocks: 0
; VGPRBlocks: 0
; NumSGPRsForWavesPerEU: 4
; NumVGPRsForWavesPerEU: 1
; Occupancy: 10
; WaveLimiterHint : 0
; COMPUTE_PGM_RSRC2:SCRATCH_EN: 0
; COMPUTE_PGM_RSRC2:USER_SGPR: 6
; COMPUTE_PGM_RSRC2:TRAP_HANDLER: 0
; COMPUTE_PGM_RSRC2:TGID_X_EN: 1
; COMPUTE_PGM_RSRC2:TGID_Y_EN: 0
; COMPUTE_PGM_RSRC2:TGID_Z_EN: 0
; COMPUTE_PGM_RSRC2:TIDIG_COMP_CNT: 0
	.section	.text._ZN7rocprim17ROCPRIM_400000_NS6detail17trampoline_kernelINS0_14default_configENS1_22reduce_config_selectorIiEEZNS1_11reduce_implILb1ES3_N6thrust23THRUST_200600_302600_NS11hip_rocprim35transform_pair_of_input_iterators_tIiPdSB_NS8_12not_equal_toIdEEEEPiiNS8_4plusIiEEEE10hipError_tPvRmT1_T2_T3_mT4_P12ihipStream_tbEUlT_E1_NS1_11comp_targetILNS1_3genE0ELNS1_11target_archE4294967295ELNS1_3gpuE0ELNS1_3repE0EEENS1_30default_config_static_selectorELNS0_4arch9wavefront6targetE1EEEvSL_,"axG",@progbits,_ZN7rocprim17ROCPRIM_400000_NS6detail17trampoline_kernelINS0_14default_configENS1_22reduce_config_selectorIiEEZNS1_11reduce_implILb1ES3_N6thrust23THRUST_200600_302600_NS11hip_rocprim35transform_pair_of_input_iterators_tIiPdSB_NS8_12not_equal_toIdEEEEPiiNS8_4plusIiEEEE10hipError_tPvRmT1_T2_T3_mT4_P12ihipStream_tbEUlT_E1_NS1_11comp_targetILNS1_3genE0ELNS1_11target_archE4294967295ELNS1_3gpuE0ELNS1_3repE0EEENS1_30default_config_static_selectorELNS0_4arch9wavefront6targetE1EEEvSL_,comdat
	.protected	_ZN7rocprim17ROCPRIM_400000_NS6detail17trampoline_kernelINS0_14default_configENS1_22reduce_config_selectorIiEEZNS1_11reduce_implILb1ES3_N6thrust23THRUST_200600_302600_NS11hip_rocprim35transform_pair_of_input_iterators_tIiPdSB_NS8_12not_equal_toIdEEEEPiiNS8_4plusIiEEEE10hipError_tPvRmT1_T2_T3_mT4_P12ihipStream_tbEUlT_E1_NS1_11comp_targetILNS1_3genE0ELNS1_11target_archE4294967295ELNS1_3gpuE0ELNS1_3repE0EEENS1_30default_config_static_selectorELNS0_4arch9wavefront6targetE1EEEvSL_ ; -- Begin function _ZN7rocprim17ROCPRIM_400000_NS6detail17trampoline_kernelINS0_14default_configENS1_22reduce_config_selectorIiEEZNS1_11reduce_implILb1ES3_N6thrust23THRUST_200600_302600_NS11hip_rocprim35transform_pair_of_input_iterators_tIiPdSB_NS8_12not_equal_toIdEEEEPiiNS8_4plusIiEEEE10hipError_tPvRmT1_T2_T3_mT4_P12ihipStream_tbEUlT_E1_NS1_11comp_targetILNS1_3genE0ELNS1_11target_archE4294967295ELNS1_3gpuE0ELNS1_3repE0EEENS1_30default_config_static_selectorELNS0_4arch9wavefront6targetE1EEEvSL_
	.globl	_ZN7rocprim17ROCPRIM_400000_NS6detail17trampoline_kernelINS0_14default_configENS1_22reduce_config_selectorIiEEZNS1_11reduce_implILb1ES3_N6thrust23THRUST_200600_302600_NS11hip_rocprim35transform_pair_of_input_iterators_tIiPdSB_NS8_12not_equal_toIdEEEEPiiNS8_4plusIiEEEE10hipError_tPvRmT1_T2_T3_mT4_P12ihipStream_tbEUlT_E1_NS1_11comp_targetILNS1_3genE0ELNS1_11target_archE4294967295ELNS1_3gpuE0ELNS1_3repE0EEENS1_30default_config_static_selectorELNS0_4arch9wavefront6targetE1EEEvSL_
	.p2align	8
	.type	_ZN7rocprim17ROCPRIM_400000_NS6detail17trampoline_kernelINS0_14default_configENS1_22reduce_config_selectorIiEEZNS1_11reduce_implILb1ES3_N6thrust23THRUST_200600_302600_NS11hip_rocprim35transform_pair_of_input_iterators_tIiPdSB_NS8_12not_equal_toIdEEEEPiiNS8_4plusIiEEEE10hipError_tPvRmT1_T2_T3_mT4_P12ihipStream_tbEUlT_E1_NS1_11comp_targetILNS1_3genE0ELNS1_11target_archE4294967295ELNS1_3gpuE0ELNS1_3repE0EEENS1_30default_config_static_selectorELNS0_4arch9wavefront6targetE1EEEvSL_,@function
_ZN7rocprim17ROCPRIM_400000_NS6detail17trampoline_kernelINS0_14default_configENS1_22reduce_config_selectorIiEEZNS1_11reduce_implILb1ES3_N6thrust23THRUST_200600_302600_NS11hip_rocprim35transform_pair_of_input_iterators_tIiPdSB_NS8_12not_equal_toIdEEEEPiiNS8_4plusIiEEEE10hipError_tPvRmT1_T2_T3_mT4_P12ihipStream_tbEUlT_E1_NS1_11comp_targetILNS1_3genE0ELNS1_11target_archE4294967295ELNS1_3gpuE0ELNS1_3repE0EEENS1_30default_config_static_selectorELNS0_4arch9wavefront6targetE1EEEvSL_: ; @_ZN7rocprim17ROCPRIM_400000_NS6detail17trampoline_kernelINS0_14default_configENS1_22reduce_config_selectorIiEEZNS1_11reduce_implILb1ES3_N6thrust23THRUST_200600_302600_NS11hip_rocprim35transform_pair_of_input_iterators_tIiPdSB_NS8_12not_equal_toIdEEEEPiiNS8_4plusIiEEEE10hipError_tPvRmT1_T2_T3_mT4_P12ihipStream_tbEUlT_E1_NS1_11comp_targetILNS1_3genE0ELNS1_11target_archE4294967295ELNS1_3gpuE0ELNS1_3repE0EEENS1_30default_config_static_selectorELNS0_4arch9wavefront6targetE1EEEvSL_
; %bb.0:
	.section	.rodata,"a",@progbits
	.p2align	6, 0x0
	.amdhsa_kernel _ZN7rocprim17ROCPRIM_400000_NS6detail17trampoline_kernelINS0_14default_configENS1_22reduce_config_selectorIiEEZNS1_11reduce_implILb1ES3_N6thrust23THRUST_200600_302600_NS11hip_rocprim35transform_pair_of_input_iterators_tIiPdSB_NS8_12not_equal_toIdEEEEPiiNS8_4plusIiEEEE10hipError_tPvRmT1_T2_T3_mT4_P12ihipStream_tbEUlT_E1_NS1_11comp_targetILNS1_3genE0ELNS1_11target_archE4294967295ELNS1_3gpuE0ELNS1_3repE0EEENS1_30default_config_static_selectorELNS0_4arch9wavefront6targetE1EEEvSL_
		.amdhsa_group_segment_fixed_size 0
		.amdhsa_private_segment_fixed_size 0
		.amdhsa_kernarg_size 56
		.amdhsa_user_sgpr_count 6
		.amdhsa_user_sgpr_private_segment_buffer 1
		.amdhsa_user_sgpr_dispatch_ptr 0
		.amdhsa_user_sgpr_queue_ptr 0
		.amdhsa_user_sgpr_kernarg_segment_ptr 1
		.amdhsa_user_sgpr_dispatch_id 0
		.amdhsa_user_sgpr_flat_scratch_init 0
		.amdhsa_user_sgpr_private_segment_size 0
		.amdhsa_uses_dynamic_stack 0
		.amdhsa_system_sgpr_private_segment_wavefront_offset 0
		.amdhsa_system_sgpr_workgroup_id_x 1
		.amdhsa_system_sgpr_workgroup_id_y 0
		.amdhsa_system_sgpr_workgroup_id_z 0
		.amdhsa_system_sgpr_workgroup_info 0
		.amdhsa_system_vgpr_workitem_id 0
		.amdhsa_next_free_vgpr 1
		.amdhsa_next_free_sgpr 0
		.amdhsa_reserve_vcc 0
		.amdhsa_reserve_flat_scratch 0
		.amdhsa_float_round_mode_32 0
		.amdhsa_float_round_mode_16_64 0
		.amdhsa_float_denorm_mode_32 3
		.amdhsa_float_denorm_mode_16_64 3
		.amdhsa_dx10_clamp 1
		.amdhsa_ieee_mode 1
		.amdhsa_fp16_overflow 0
		.amdhsa_exception_fp_ieee_invalid_op 0
		.amdhsa_exception_fp_denorm_src 0
		.amdhsa_exception_fp_ieee_div_zero 0
		.amdhsa_exception_fp_ieee_overflow 0
		.amdhsa_exception_fp_ieee_underflow 0
		.amdhsa_exception_fp_ieee_inexact 0
		.amdhsa_exception_int_div_zero 0
	.end_amdhsa_kernel
	.section	.text._ZN7rocprim17ROCPRIM_400000_NS6detail17trampoline_kernelINS0_14default_configENS1_22reduce_config_selectorIiEEZNS1_11reduce_implILb1ES3_N6thrust23THRUST_200600_302600_NS11hip_rocprim35transform_pair_of_input_iterators_tIiPdSB_NS8_12not_equal_toIdEEEEPiiNS8_4plusIiEEEE10hipError_tPvRmT1_T2_T3_mT4_P12ihipStream_tbEUlT_E1_NS1_11comp_targetILNS1_3genE0ELNS1_11target_archE4294967295ELNS1_3gpuE0ELNS1_3repE0EEENS1_30default_config_static_selectorELNS0_4arch9wavefront6targetE1EEEvSL_,"axG",@progbits,_ZN7rocprim17ROCPRIM_400000_NS6detail17trampoline_kernelINS0_14default_configENS1_22reduce_config_selectorIiEEZNS1_11reduce_implILb1ES3_N6thrust23THRUST_200600_302600_NS11hip_rocprim35transform_pair_of_input_iterators_tIiPdSB_NS8_12not_equal_toIdEEEEPiiNS8_4plusIiEEEE10hipError_tPvRmT1_T2_T3_mT4_P12ihipStream_tbEUlT_E1_NS1_11comp_targetILNS1_3genE0ELNS1_11target_archE4294967295ELNS1_3gpuE0ELNS1_3repE0EEENS1_30default_config_static_selectorELNS0_4arch9wavefront6targetE1EEEvSL_,comdat
.Lfunc_end1679:
	.size	_ZN7rocprim17ROCPRIM_400000_NS6detail17trampoline_kernelINS0_14default_configENS1_22reduce_config_selectorIiEEZNS1_11reduce_implILb1ES3_N6thrust23THRUST_200600_302600_NS11hip_rocprim35transform_pair_of_input_iterators_tIiPdSB_NS8_12not_equal_toIdEEEEPiiNS8_4plusIiEEEE10hipError_tPvRmT1_T2_T3_mT4_P12ihipStream_tbEUlT_E1_NS1_11comp_targetILNS1_3genE0ELNS1_11target_archE4294967295ELNS1_3gpuE0ELNS1_3repE0EEENS1_30default_config_static_selectorELNS0_4arch9wavefront6targetE1EEEvSL_, .Lfunc_end1679-_ZN7rocprim17ROCPRIM_400000_NS6detail17trampoline_kernelINS0_14default_configENS1_22reduce_config_selectorIiEEZNS1_11reduce_implILb1ES3_N6thrust23THRUST_200600_302600_NS11hip_rocprim35transform_pair_of_input_iterators_tIiPdSB_NS8_12not_equal_toIdEEEEPiiNS8_4plusIiEEEE10hipError_tPvRmT1_T2_T3_mT4_P12ihipStream_tbEUlT_E1_NS1_11comp_targetILNS1_3genE0ELNS1_11target_archE4294967295ELNS1_3gpuE0ELNS1_3repE0EEENS1_30default_config_static_selectorELNS0_4arch9wavefront6targetE1EEEvSL_
                                        ; -- End function
	.set _ZN7rocprim17ROCPRIM_400000_NS6detail17trampoline_kernelINS0_14default_configENS1_22reduce_config_selectorIiEEZNS1_11reduce_implILb1ES3_N6thrust23THRUST_200600_302600_NS11hip_rocprim35transform_pair_of_input_iterators_tIiPdSB_NS8_12not_equal_toIdEEEEPiiNS8_4plusIiEEEE10hipError_tPvRmT1_T2_T3_mT4_P12ihipStream_tbEUlT_E1_NS1_11comp_targetILNS1_3genE0ELNS1_11target_archE4294967295ELNS1_3gpuE0ELNS1_3repE0EEENS1_30default_config_static_selectorELNS0_4arch9wavefront6targetE1EEEvSL_.num_vgpr, 0
	.set _ZN7rocprim17ROCPRIM_400000_NS6detail17trampoline_kernelINS0_14default_configENS1_22reduce_config_selectorIiEEZNS1_11reduce_implILb1ES3_N6thrust23THRUST_200600_302600_NS11hip_rocprim35transform_pair_of_input_iterators_tIiPdSB_NS8_12not_equal_toIdEEEEPiiNS8_4plusIiEEEE10hipError_tPvRmT1_T2_T3_mT4_P12ihipStream_tbEUlT_E1_NS1_11comp_targetILNS1_3genE0ELNS1_11target_archE4294967295ELNS1_3gpuE0ELNS1_3repE0EEENS1_30default_config_static_selectorELNS0_4arch9wavefront6targetE1EEEvSL_.num_agpr, 0
	.set _ZN7rocprim17ROCPRIM_400000_NS6detail17trampoline_kernelINS0_14default_configENS1_22reduce_config_selectorIiEEZNS1_11reduce_implILb1ES3_N6thrust23THRUST_200600_302600_NS11hip_rocprim35transform_pair_of_input_iterators_tIiPdSB_NS8_12not_equal_toIdEEEEPiiNS8_4plusIiEEEE10hipError_tPvRmT1_T2_T3_mT4_P12ihipStream_tbEUlT_E1_NS1_11comp_targetILNS1_3genE0ELNS1_11target_archE4294967295ELNS1_3gpuE0ELNS1_3repE0EEENS1_30default_config_static_selectorELNS0_4arch9wavefront6targetE1EEEvSL_.numbered_sgpr, 0
	.set _ZN7rocprim17ROCPRIM_400000_NS6detail17trampoline_kernelINS0_14default_configENS1_22reduce_config_selectorIiEEZNS1_11reduce_implILb1ES3_N6thrust23THRUST_200600_302600_NS11hip_rocprim35transform_pair_of_input_iterators_tIiPdSB_NS8_12not_equal_toIdEEEEPiiNS8_4plusIiEEEE10hipError_tPvRmT1_T2_T3_mT4_P12ihipStream_tbEUlT_E1_NS1_11comp_targetILNS1_3genE0ELNS1_11target_archE4294967295ELNS1_3gpuE0ELNS1_3repE0EEENS1_30default_config_static_selectorELNS0_4arch9wavefront6targetE1EEEvSL_.num_named_barrier, 0
	.set _ZN7rocprim17ROCPRIM_400000_NS6detail17trampoline_kernelINS0_14default_configENS1_22reduce_config_selectorIiEEZNS1_11reduce_implILb1ES3_N6thrust23THRUST_200600_302600_NS11hip_rocprim35transform_pair_of_input_iterators_tIiPdSB_NS8_12not_equal_toIdEEEEPiiNS8_4plusIiEEEE10hipError_tPvRmT1_T2_T3_mT4_P12ihipStream_tbEUlT_E1_NS1_11comp_targetILNS1_3genE0ELNS1_11target_archE4294967295ELNS1_3gpuE0ELNS1_3repE0EEENS1_30default_config_static_selectorELNS0_4arch9wavefront6targetE1EEEvSL_.private_seg_size, 0
	.set _ZN7rocprim17ROCPRIM_400000_NS6detail17trampoline_kernelINS0_14default_configENS1_22reduce_config_selectorIiEEZNS1_11reduce_implILb1ES3_N6thrust23THRUST_200600_302600_NS11hip_rocprim35transform_pair_of_input_iterators_tIiPdSB_NS8_12not_equal_toIdEEEEPiiNS8_4plusIiEEEE10hipError_tPvRmT1_T2_T3_mT4_P12ihipStream_tbEUlT_E1_NS1_11comp_targetILNS1_3genE0ELNS1_11target_archE4294967295ELNS1_3gpuE0ELNS1_3repE0EEENS1_30default_config_static_selectorELNS0_4arch9wavefront6targetE1EEEvSL_.uses_vcc, 0
	.set _ZN7rocprim17ROCPRIM_400000_NS6detail17trampoline_kernelINS0_14default_configENS1_22reduce_config_selectorIiEEZNS1_11reduce_implILb1ES3_N6thrust23THRUST_200600_302600_NS11hip_rocprim35transform_pair_of_input_iterators_tIiPdSB_NS8_12not_equal_toIdEEEEPiiNS8_4plusIiEEEE10hipError_tPvRmT1_T2_T3_mT4_P12ihipStream_tbEUlT_E1_NS1_11comp_targetILNS1_3genE0ELNS1_11target_archE4294967295ELNS1_3gpuE0ELNS1_3repE0EEENS1_30default_config_static_selectorELNS0_4arch9wavefront6targetE1EEEvSL_.uses_flat_scratch, 0
	.set _ZN7rocprim17ROCPRIM_400000_NS6detail17trampoline_kernelINS0_14default_configENS1_22reduce_config_selectorIiEEZNS1_11reduce_implILb1ES3_N6thrust23THRUST_200600_302600_NS11hip_rocprim35transform_pair_of_input_iterators_tIiPdSB_NS8_12not_equal_toIdEEEEPiiNS8_4plusIiEEEE10hipError_tPvRmT1_T2_T3_mT4_P12ihipStream_tbEUlT_E1_NS1_11comp_targetILNS1_3genE0ELNS1_11target_archE4294967295ELNS1_3gpuE0ELNS1_3repE0EEENS1_30default_config_static_selectorELNS0_4arch9wavefront6targetE1EEEvSL_.has_dyn_sized_stack, 0
	.set _ZN7rocprim17ROCPRIM_400000_NS6detail17trampoline_kernelINS0_14default_configENS1_22reduce_config_selectorIiEEZNS1_11reduce_implILb1ES3_N6thrust23THRUST_200600_302600_NS11hip_rocprim35transform_pair_of_input_iterators_tIiPdSB_NS8_12not_equal_toIdEEEEPiiNS8_4plusIiEEEE10hipError_tPvRmT1_T2_T3_mT4_P12ihipStream_tbEUlT_E1_NS1_11comp_targetILNS1_3genE0ELNS1_11target_archE4294967295ELNS1_3gpuE0ELNS1_3repE0EEENS1_30default_config_static_selectorELNS0_4arch9wavefront6targetE1EEEvSL_.has_recursion, 0
	.set _ZN7rocprim17ROCPRIM_400000_NS6detail17trampoline_kernelINS0_14default_configENS1_22reduce_config_selectorIiEEZNS1_11reduce_implILb1ES3_N6thrust23THRUST_200600_302600_NS11hip_rocprim35transform_pair_of_input_iterators_tIiPdSB_NS8_12not_equal_toIdEEEEPiiNS8_4plusIiEEEE10hipError_tPvRmT1_T2_T3_mT4_P12ihipStream_tbEUlT_E1_NS1_11comp_targetILNS1_3genE0ELNS1_11target_archE4294967295ELNS1_3gpuE0ELNS1_3repE0EEENS1_30default_config_static_selectorELNS0_4arch9wavefront6targetE1EEEvSL_.has_indirect_call, 0
	.section	.AMDGPU.csdata,"",@progbits
; Kernel info:
; codeLenInByte = 0
; TotalNumSgprs: 4
; NumVgprs: 0
; ScratchSize: 0
; MemoryBound: 0
; FloatMode: 240
; IeeeMode: 1
; LDSByteSize: 0 bytes/workgroup (compile time only)
; SGPRBlocks: 0
; VGPRBlocks: 0
; NumSGPRsForWavesPerEU: 4
; NumVGPRsForWavesPerEU: 1
; Occupancy: 10
; WaveLimiterHint : 0
; COMPUTE_PGM_RSRC2:SCRATCH_EN: 0
; COMPUTE_PGM_RSRC2:USER_SGPR: 6
; COMPUTE_PGM_RSRC2:TRAP_HANDLER: 0
; COMPUTE_PGM_RSRC2:TGID_X_EN: 1
; COMPUTE_PGM_RSRC2:TGID_Y_EN: 0
; COMPUTE_PGM_RSRC2:TGID_Z_EN: 0
; COMPUTE_PGM_RSRC2:TIDIG_COMP_CNT: 0
	.section	.text._ZN7rocprim17ROCPRIM_400000_NS6detail17trampoline_kernelINS0_14default_configENS1_22reduce_config_selectorIiEEZNS1_11reduce_implILb1ES3_N6thrust23THRUST_200600_302600_NS11hip_rocprim35transform_pair_of_input_iterators_tIiPdSB_NS8_12not_equal_toIdEEEEPiiNS8_4plusIiEEEE10hipError_tPvRmT1_T2_T3_mT4_P12ihipStream_tbEUlT_E1_NS1_11comp_targetILNS1_3genE5ELNS1_11target_archE942ELNS1_3gpuE9ELNS1_3repE0EEENS1_30default_config_static_selectorELNS0_4arch9wavefront6targetE1EEEvSL_,"axG",@progbits,_ZN7rocprim17ROCPRIM_400000_NS6detail17trampoline_kernelINS0_14default_configENS1_22reduce_config_selectorIiEEZNS1_11reduce_implILb1ES3_N6thrust23THRUST_200600_302600_NS11hip_rocprim35transform_pair_of_input_iterators_tIiPdSB_NS8_12not_equal_toIdEEEEPiiNS8_4plusIiEEEE10hipError_tPvRmT1_T2_T3_mT4_P12ihipStream_tbEUlT_E1_NS1_11comp_targetILNS1_3genE5ELNS1_11target_archE942ELNS1_3gpuE9ELNS1_3repE0EEENS1_30default_config_static_selectorELNS0_4arch9wavefront6targetE1EEEvSL_,comdat
	.protected	_ZN7rocprim17ROCPRIM_400000_NS6detail17trampoline_kernelINS0_14default_configENS1_22reduce_config_selectorIiEEZNS1_11reduce_implILb1ES3_N6thrust23THRUST_200600_302600_NS11hip_rocprim35transform_pair_of_input_iterators_tIiPdSB_NS8_12not_equal_toIdEEEEPiiNS8_4plusIiEEEE10hipError_tPvRmT1_T2_T3_mT4_P12ihipStream_tbEUlT_E1_NS1_11comp_targetILNS1_3genE5ELNS1_11target_archE942ELNS1_3gpuE9ELNS1_3repE0EEENS1_30default_config_static_selectorELNS0_4arch9wavefront6targetE1EEEvSL_ ; -- Begin function _ZN7rocprim17ROCPRIM_400000_NS6detail17trampoline_kernelINS0_14default_configENS1_22reduce_config_selectorIiEEZNS1_11reduce_implILb1ES3_N6thrust23THRUST_200600_302600_NS11hip_rocprim35transform_pair_of_input_iterators_tIiPdSB_NS8_12not_equal_toIdEEEEPiiNS8_4plusIiEEEE10hipError_tPvRmT1_T2_T3_mT4_P12ihipStream_tbEUlT_E1_NS1_11comp_targetILNS1_3genE5ELNS1_11target_archE942ELNS1_3gpuE9ELNS1_3repE0EEENS1_30default_config_static_selectorELNS0_4arch9wavefront6targetE1EEEvSL_
	.globl	_ZN7rocprim17ROCPRIM_400000_NS6detail17trampoline_kernelINS0_14default_configENS1_22reduce_config_selectorIiEEZNS1_11reduce_implILb1ES3_N6thrust23THRUST_200600_302600_NS11hip_rocprim35transform_pair_of_input_iterators_tIiPdSB_NS8_12not_equal_toIdEEEEPiiNS8_4plusIiEEEE10hipError_tPvRmT1_T2_T3_mT4_P12ihipStream_tbEUlT_E1_NS1_11comp_targetILNS1_3genE5ELNS1_11target_archE942ELNS1_3gpuE9ELNS1_3repE0EEENS1_30default_config_static_selectorELNS0_4arch9wavefront6targetE1EEEvSL_
	.p2align	8
	.type	_ZN7rocprim17ROCPRIM_400000_NS6detail17trampoline_kernelINS0_14default_configENS1_22reduce_config_selectorIiEEZNS1_11reduce_implILb1ES3_N6thrust23THRUST_200600_302600_NS11hip_rocprim35transform_pair_of_input_iterators_tIiPdSB_NS8_12not_equal_toIdEEEEPiiNS8_4plusIiEEEE10hipError_tPvRmT1_T2_T3_mT4_P12ihipStream_tbEUlT_E1_NS1_11comp_targetILNS1_3genE5ELNS1_11target_archE942ELNS1_3gpuE9ELNS1_3repE0EEENS1_30default_config_static_selectorELNS0_4arch9wavefront6targetE1EEEvSL_,@function
_ZN7rocprim17ROCPRIM_400000_NS6detail17trampoline_kernelINS0_14default_configENS1_22reduce_config_selectorIiEEZNS1_11reduce_implILb1ES3_N6thrust23THRUST_200600_302600_NS11hip_rocprim35transform_pair_of_input_iterators_tIiPdSB_NS8_12not_equal_toIdEEEEPiiNS8_4plusIiEEEE10hipError_tPvRmT1_T2_T3_mT4_P12ihipStream_tbEUlT_E1_NS1_11comp_targetILNS1_3genE5ELNS1_11target_archE942ELNS1_3gpuE9ELNS1_3repE0EEENS1_30default_config_static_selectorELNS0_4arch9wavefront6targetE1EEEvSL_: ; @_ZN7rocprim17ROCPRIM_400000_NS6detail17trampoline_kernelINS0_14default_configENS1_22reduce_config_selectorIiEEZNS1_11reduce_implILb1ES3_N6thrust23THRUST_200600_302600_NS11hip_rocprim35transform_pair_of_input_iterators_tIiPdSB_NS8_12not_equal_toIdEEEEPiiNS8_4plusIiEEEE10hipError_tPvRmT1_T2_T3_mT4_P12ihipStream_tbEUlT_E1_NS1_11comp_targetILNS1_3genE5ELNS1_11target_archE942ELNS1_3gpuE9ELNS1_3repE0EEENS1_30default_config_static_selectorELNS0_4arch9wavefront6targetE1EEEvSL_
; %bb.0:
	.section	.rodata,"a",@progbits
	.p2align	6, 0x0
	.amdhsa_kernel _ZN7rocprim17ROCPRIM_400000_NS6detail17trampoline_kernelINS0_14default_configENS1_22reduce_config_selectorIiEEZNS1_11reduce_implILb1ES3_N6thrust23THRUST_200600_302600_NS11hip_rocprim35transform_pair_of_input_iterators_tIiPdSB_NS8_12not_equal_toIdEEEEPiiNS8_4plusIiEEEE10hipError_tPvRmT1_T2_T3_mT4_P12ihipStream_tbEUlT_E1_NS1_11comp_targetILNS1_3genE5ELNS1_11target_archE942ELNS1_3gpuE9ELNS1_3repE0EEENS1_30default_config_static_selectorELNS0_4arch9wavefront6targetE1EEEvSL_
		.amdhsa_group_segment_fixed_size 0
		.amdhsa_private_segment_fixed_size 0
		.amdhsa_kernarg_size 56
		.amdhsa_user_sgpr_count 6
		.amdhsa_user_sgpr_private_segment_buffer 1
		.amdhsa_user_sgpr_dispatch_ptr 0
		.amdhsa_user_sgpr_queue_ptr 0
		.amdhsa_user_sgpr_kernarg_segment_ptr 1
		.amdhsa_user_sgpr_dispatch_id 0
		.amdhsa_user_sgpr_flat_scratch_init 0
		.amdhsa_user_sgpr_private_segment_size 0
		.amdhsa_uses_dynamic_stack 0
		.amdhsa_system_sgpr_private_segment_wavefront_offset 0
		.amdhsa_system_sgpr_workgroup_id_x 1
		.amdhsa_system_sgpr_workgroup_id_y 0
		.amdhsa_system_sgpr_workgroup_id_z 0
		.amdhsa_system_sgpr_workgroup_info 0
		.amdhsa_system_vgpr_workitem_id 0
		.amdhsa_next_free_vgpr 1
		.amdhsa_next_free_sgpr 0
		.amdhsa_reserve_vcc 0
		.amdhsa_reserve_flat_scratch 0
		.amdhsa_float_round_mode_32 0
		.amdhsa_float_round_mode_16_64 0
		.amdhsa_float_denorm_mode_32 3
		.amdhsa_float_denorm_mode_16_64 3
		.amdhsa_dx10_clamp 1
		.amdhsa_ieee_mode 1
		.amdhsa_fp16_overflow 0
		.amdhsa_exception_fp_ieee_invalid_op 0
		.amdhsa_exception_fp_denorm_src 0
		.amdhsa_exception_fp_ieee_div_zero 0
		.amdhsa_exception_fp_ieee_overflow 0
		.amdhsa_exception_fp_ieee_underflow 0
		.amdhsa_exception_fp_ieee_inexact 0
		.amdhsa_exception_int_div_zero 0
	.end_amdhsa_kernel
	.section	.text._ZN7rocprim17ROCPRIM_400000_NS6detail17trampoline_kernelINS0_14default_configENS1_22reduce_config_selectorIiEEZNS1_11reduce_implILb1ES3_N6thrust23THRUST_200600_302600_NS11hip_rocprim35transform_pair_of_input_iterators_tIiPdSB_NS8_12not_equal_toIdEEEEPiiNS8_4plusIiEEEE10hipError_tPvRmT1_T2_T3_mT4_P12ihipStream_tbEUlT_E1_NS1_11comp_targetILNS1_3genE5ELNS1_11target_archE942ELNS1_3gpuE9ELNS1_3repE0EEENS1_30default_config_static_selectorELNS0_4arch9wavefront6targetE1EEEvSL_,"axG",@progbits,_ZN7rocprim17ROCPRIM_400000_NS6detail17trampoline_kernelINS0_14default_configENS1_22reduce_config_selectorIiEEZNS1_11reduce_implILb1ES3_N6thrust23THRUST_200600_302600_NS11hip_rocprim35transform_pair_of_input_iterators_tIiPdSB_NS8_12not_equal_toIdEEEEPiiNS8_4plusIiEEEE10hipError_tPvRmT1_T2_T3_mT4_P12ihipStream_tbEUlT_E1_NS1_11comp_targetILNS1_3genE5ELNS1_11target_archE942ELNS1_3gpuE9ELNS1_3repE0EEENS1_30default_config_static_selectorELNS0_4arch9wavefront6targetE1EEEvSL_,comdat
.Lfunc_end1680:
	.size	_ZN7rocprim17ROCPRIM_400000_NS6detail17trampoline_kernelINS0_14default_configENS1_22reduce_config_selectorIiEEZNS1_11reduce_implILb1ES3_N6thrust23THRUST_200600_302600_NS11hip_rocprim35transform_pair_of_input_iterators_tIiPdSB_NS8_12not_equal_toIdEEEEPiiNS8_4plusIiEEEE10hipError_tPvRmT1_T2_T3_mT4_P12ihipStream_tbEUlT_E1_NS1_11comp_targetILNS1_3genE5ELNS1_11target_archE942ELNS1_3gpuE9ELNS1_3repE0EEENS1_30default_config_static_selectorELNS0_4arch9wavefront6targetE1EEEvSL_, .Lfunc_end1680-_ZN7rocprim17ROCPRIM_400000_NS6detail17trampoline_kernelINS0_14default_configENS1_22reduce_config_selectorIiEEZNS1_11reduce_implILb1ES3_N6thrust23THRUST_200600_302600_NS11hip_rocprim35transform_pair_of_input_iterators_tIiPdSB_NS8_12not_equal_toIdEEEEPiiNS8_4plusIiEEEE10hipError_tPvRmT1_T2_T3_mT4_P12ihipStream_tbEUlT_E1_NS1_11comp_targetILNS1_3genE5ELNS1_11target_archE942ELNS1_3gpuE9ELNS1_3repE0EEENS1_30default_config_static_selectorELNS0_4arch9wavefront6targetE1EEEvSL_
                                        ; -- End function
	.set _ZN7rocprim17ROCPRIM_400000_NS6detail17trampoline_kernelINS0_14default_configENS1_22reduce_config_selectorIiEEZNS1_11reduce_implILb1ES3_N6thrust23THRUST_200600_302600_NS11hip_rocprim35transform_pair_of_input_iterators_tIiPdSB_NS8_12not_equal_toIdEEEEPiiNS8_4plusIiEEEE10hipError_tPvRmT1_T2_T3_mT4_P12ihipStream_tbEUlT_E1_NS1_11comp_targetILNS1_3genE5ELNS1_11target_archE942ELNS1_3gpuE9ELNS1_3repE0EEENS1_30default_config_static_selectorELNS0_4arch9wavefront6targetE1EEEvSL_.num_vgpr, 0
	.set _ZN7rocprim17ROCPRIM_400000_NS6detail17trampoline_kernelINS0_14default_configENS1_22reduce_config_selectorIiEEZNS1_11reduce_implILb1ES3_N6thrust23THRUST_200600_302600_NS11hip_rocprim35transform_pair_of_input_iterators_tIiPdSB_NS8_12not_equal_toIdEEEEPiiNS8_4plusIiEEEE10hipError_tPvRmT1_T2_T3_mT4_P12ihipStream_tbEUlT_E1_NS1_11comp_targetILNS1_3genE5ELNS1_11target_archE942ELNS1_3gpuE9ELNS1_3repE0EEENS1_30default_config_static_selectorELNS0_4arch9wavefront6targetE1EEEvSL_.num_agpr, 0
	.set _ZN7rocprim17ROCPRIM_400000_NS6detail17trampoline_kernelINS0_14default_configENS1_22reduce_config_selectorIiEEZNS1_11reduce_implILb1ES3_N6thrust23THRUST_200600_302600_NS11hip_rocprim35transform_pair_of_input_iterators_tIiPdSB_NS8_12not_equal_toIdEEEEPiiNS8_4plusIiEEEE10hipError_tPvRmT1_T2_T3_mT4_P12ihipStream_tbEUlT_E1_NS1_11comp_targetILNS1_3genE5ELNS1_11target_archE942ELNS1_3gpuE9ELNS1_3repE0EEENS1_30default_config_static_selectorELNS0_4arch9wavefront6targetE1EEEvSL_.numbered_sgpr, 0
	.set _ZN7rocprim17ROCPRIM_400000_NS6detail17trampoline_kernelINS0_14default_configENS1_22reduce_config_selectorIiEEZNS1_11reduce_implILb1ES3_N6thrust23THRUST_200600_302600_NS11hip_rocprim35transform_pair_of_input_iterators_tIiPdSB_NS8_12not_equal_toIdEEEEPiiNS8_4plusIiEEEE10hipError_tPvRmT1_T2_T3_mT4_P12ihipStream_tbEUlT_E1_NS1_11comp_targetILNS1_3genE5ELNS1_11target_archE942ELNS1_3gpuE9ELNS1_3repE0EEENS1_30default_config_static_selectorELNS0_4arch9wavefront6targetE1EEEvSL_.num_named_barrier, 0
	.set _ZN7rocprim17ROCPRIM_400000_NS6detail17trampoline_kernelINS0_14default_configENS1_22reduce_config_selectorIiEEZNS1_11reduce_implILb1ES3_N6thrust23THRUST_200600_302600_NS11hip_rocprim35transform_pair_of_input_iterators_tIiPdSB_NS8_12not_equal_toIdEEEEPiiNS8_4plusIiEEEE10hipError_tPvRmT1_T2_T3_mT4_P12ihipStream_tbEUlT_E1_NS1_11comp_targetILNS1_3genE5ELNS1_11target_archE942ELNS1_3gpuE9ELNS1_3repE0EEENS1_30default_config_static_selectorELNS0_4arch9wavefront6targetE1EEEvSL_.private_seg_size, 0
	.set _ZN7rocprim17ROCPRIM_400000_NS6detail17trampoline_kernelINS0_14default_configENS1_22reduce_config_selectorIiEEZNS1_11reduce_implILb1ES3_N6thrust23THRUST_200600_302600_NS11hip_rocprim35transform_pair_of_input_iterators_tIiPdSB_NS8_12not_equal_toIdEEEEPiiNS8_4plusIiEEEE10hipError_tPvRmT1_T2_T3_mT4_P12ihipStream_tbEUlT_E1_NS1_11comp_targetILNS1_3genE5ELNS1_11target_archE942ELNS1_3gpuE9ELNS1_3repE0EEENS1_30default_config_static_selectorELNS0_4arch9wavefront6targetE1EEEvSL_.uses_vcc, 0
	.set _ZN7rocprim17ROCPRIM_400000_NS6detail17trampoline_kernelINS0_14default_configENS1_22reduce_config_selectorIiEEZNS1_11reduce_implILb1ES3_N6thrust23THRUST_200600_302600_NS11hip_rocprim35transform_pair_of_input_iterators_tIiPdSB_NS8_12not_equal_toIdEEEEPiiNS8_4plusIiEEEE10hipError_tPvRmT1_T2_T3_mT4_P12ihipStream_tbEUlT_E1_NS1_11comp_targetILNS1_3genE5ELNS1_11target_archE942ELNS1_3gpuE9ELNS1_3repE0EEENS1_30default_config_static_selectorELNS0_4arch9wavefront6targetE1EEEvSL_.uses_flat_scratch, 0
	.set _ZN7rocprim17ROCPRIM_400000_NS6detail17trampoline_kernelINS0_14default_configENS1_22reduce_config_selectorIiEEZNS1_11reduce_implILb1ES3_N6thrust23THRUST_200600_302600_NS11hip_rocprim35transform_pair_of_input_iterators_tIiPdSB_NS8_12not_equal_toIdEEEEPiiNS8_4plusIiEEEE10hipError_tPvRmT1_T2_T3_mT4_P12ihipStream_tbEUlT_E1_NS1_11comp_targetILNS1_3genE5ELNS1_11target_archE942ELNS1_3gpuE9ELNS1_3repE0EEENS1_30default_config_static_selectorELNS0_4arch9wavefront6targetE1EEEvSL_.has_dyn_sized_stack, 0
	.set _ZN7rocprim17ROCPRIM_400000_NS6detail17trampoline_kernelINS0_14default_configENS1_22reduce_config_selectorIiEEZNS1_11reduce_implILb1ES3_N6thrust23THRUST_200600_302600_NS11hip_rocprim35transform_pair_of_input_iterators_tIiPdSB_NS8_12not_equal_toIdEEEEPiiNS8_4plusIiEEEE10hipError_tPvRmT1_T2_T3_mT4_P12ihipStream_tbEUlT_E1_NS1_11comp_targetILNS1_3genE5ELNS1_11target_archE942ELNS1_3gpuE9ELNS1_3repE0EEENS1_30default_config_static_selectorELNS0_4arch9wavefront6targetE1EEEvSL_.has_recursion, 0
	.set _ZN7rocprim17ROCPRIM_400000_NS6detail17trampoline_kernelINS0_14default_configENS1_22reduce_config_selectorIiEEZNS1_11reduce_implILb1ES3_N6thrust23THRUST_200600_302600_NS11hip_rocprim35transform_pair_of_input_iterators_tIiPdSB_NS8_12not_equal_toIdEEEEPiiNS8_4plusIiEEEE10hipError_tPvRmT1_T2_T3_mT4_P12ihipStream_tbEUlT_E1_NS1_11comp_targetILNS1_3genE5ELNS1_11target_archE942ELNS1_3gpuE9ELNS1_3repE0EEENS1_30default_config_static_selectorELNS0_4arch9wavefront6targetE1EEEvSL_.has_indirect_call, 0
	.section	.AMDGPU.csdata,"",@progbits
; Kernel info:
; codeLenInByte = 0
; TotalNumSgprs: 4
; NumVgprs: 0
; ScratchSize: 0
; MemoryBound: 0
; FloatMode: 240
; IeeeMode: 1
; LDSByteSize: 0 bytes/workgroup (compile time only)
; SGPRBlocks: 0
; VGPRBlocks: 0
; NumSGPRsForWavesPerEU: 4
; NumVGPRsForWavesPerEU: 1
; Occupancy: 10
; WaveLimiterHint : 0
; COMPUTE_PGM_RSRC2:SCRATCH_EN: 0
; COMPUTE_PGM_RSRC2:USER_SGPR: 6
; COMPUTE_PGM_RSRC2:TRAP_HANDLER: 0
; COMPUTE_PGM_RSRC2:TGID_X_EN: 1
; COMPUTE_PGM_RSRC2:TGID_Y_EN: 0
; COMPUTE_PGM_RSRC2:TGID_Z_EN: 0
; COMPUTE_PGM_RSRC2:TIDIG_COMP_CNT: 0
	.section	.text._ZN7rocprim17ROCPRIM_400000_NS6detail17trampoline_kernelINS0_14default_configENS1_22reduce_config_selectorIiEEZNS1_11reduce_implILb1ES3_N6thrust23THRUST_200600_302600_NS11hip_rocprim35transform_pair_of_input_iterators_tIiPdSB_NS8_12not_equal_toIdEEEEPiiNS8_4plusIiEEEE10hipError_tPvRmT1_T2_T3_mT4_P12ihipStream_tbEUlT_E1_NS1_11comp_targetILNS1_3genE4ELNS1_11target_archE910ELNS1_3gpuE8ELNS1_3repE0EEENS1_30default_config_static_selectorELNS0_4arch9wavefront6targetE1EEEvSL_,"axG",@progbits,_ZN7rocprim17ROCPRIM_400000_NS6detail17trampoline_kernelINS0_14default_configENS1_22reduce_config_selectorIiEEZNS1_11reduce_implILb1ES3_N6thrust23THRUST_200600_302600_NS11hip_rocprim35transform_pair_of_input_iterators_tIiPdSB_NS8_12not_equal_toIdEEEEPiiNS8_4plusIiEEEE10hipError_tPvRmT1_T2_T3_mT4_P12ihipStream_tbEUlT_E1_NS1_11comp_targetILNS1_3genE4ELNS1_11target_archE910ELNS1_3gpuE8ELNS1_3repE0EEENS1_30default_config_static_selectorELNS0_4arch9wavefront6targetE1EEEvSL_,comdat
	.protected	_ZN7rocprim17ROCPRIM_400000_NS6detail17trampoline_kernelINS0_14default_configENS1_22reduce_config_selectorIiEEZNS1_11reduce_implILb1ES3_N6thrust23THRUST_200600_302600_NS11hip_rocprim35transform_pair_of_input_iterators_tIiPdSB_NS8_12not_equal_toIdEEEEPiiNS8_4plusIiEEEE10hipError_tPvRmT1_T2_T3_mT4_P12ihipStream_tbEUlT_E1_NS1_11comp_targetILNS1_3genE4ELNS1_11target_archE910ELNS1_3gpuE8ELNS1_3repE0EEENS1_30default_config_static_selectorELNS0_4arch9wavefront6targetE1EEEvSL_ ; -- Begin function _ZN7rocprim17ROCPRIM_400000_NS6detail17trampoline_kernelINS0_14default_configENS1_22reduce_config_selectorIiEEZNS1_11reduce_implILb1ES3_N6thrust23THRUST_200600_302600_NS11hip_rocprim35transform_pair_of_input_iterators_tIiPdSB_NS8_12not_equal_toIdEEEEPiiNS8_4plusIiEEEE10hipError_tPvRmT1_T2_T3_mT4_P12ihipStream_tbEUlT_E1_NS1_11comp_targetILNS1_3genE4ELNS1_11target_archE910ELNS1_3gpuE8ELNS1_3repE0EEENS1_30default_config_static_selectorELNS0_4arch9wavefront6targetE1EEEvSL_
	.globl	_ZN7rocprim17ROCPRIM_400000_NS6detail17trampoline_kernelINS0_14default_configENS1_22reduce_config_selectorIiEEZNS1_11reduce_implILb1ES3_N6thrust23THRUST_200600_302600_NS11hip_rocprim35transform_pair_of_input_iterators_tIiPdSB_NS8_12not_equal_toIdEEEEPiiNS8_4plusIiEEEE10hipError_tPvRmT1_T2_T3_mT4_P12ihipStream_tbEUlT_E1_NS1_11comp_targetILNS1_3genE4ELNS1_11target_archE910ELNS1_3gpuE8ELNS1_3repE0EEENS1_30default_config_static_selectorELNS0_4arch9wavefront6targetE1EEEvSL_
	.p2align	8
	.type	_ZN7rocprim17ROCPRIM_400000_NS6detail17trampoline_kernelINS0_14default_configENS1_22reduce_config_selectorIiEEZNS1_11reduce_implILb1ES3_N6thrust23THRUST_200600_302600_NS11hip_rocprim35transform_pair_of_input_iterators_tIiPdSB_NS8_12not_equal_toIdEEEEPiiNS8_4plusIiEEEE10hipError_tPvRmT1_T2_T3_mT4_P12ihipStream_tbEUlT_E1_NS1_11comp_targetILNS1_3genE4ELNS1_11target_archE910ELNS1_3gpuE8ELNS1_3repE0EEENS1_30default_config_static_selectorELNS0_4arch9wavefront6targetE1EEEvSL_,@function
_ZN7rocprim17ROCPRIM_400000_NS6detail17trampoline_kernelINS0_14default_configENS1_22reduce_config_selectorIiEEZNS1_11reduce_implILb1ES3_N6thrust23THRUST_200600_302600_NS11hip_rocprim35transform_pair_of_input_iterators_tIiPdSB_NS8_12not_equal_toIdEEEEPiiNS8_4plusIiEEEE10hipError_tPvRmT1_T2_T3_mT4_P12ihipStream_tbEUlT_E1_NS1_11comp_targetILNS1_3genE4ELNS1_11target_archE910ELNS1_3gpuE8ELNS1_3repE0EEENS1_30default_config_static_selectorELNS0_4arch9wavefront6targetE1EEEvSL_: ; @_ZN7rocprim17ROCPRIM_400000_NS6detail17trampoline_kernelINS0_14default_configENS1_22reduce_config_selectorIiEEZNS1_11reduce_implILb1ES3_N6thrust23THRUST_200600_302600_NS11hip_rocprim35transform_pair_of_input_iterators_tIiPdSB_NS8_12not_equal_toIdEEEEPiiNS8_4plusIiEEEE10hipError_tPvRmT1_T2_T3_mT4_P12ihipStream_tbEUlT_E1_NS1_11comp_targetILNS1_3genE4ELNS1_11target_archE910ELNS1_3gpuE8ELNS1_3repE0EEENS1_30default_config_static_selectorELNS0_4arch9wavefront6targetE1EEEvSL_
; %bb.0:
	.section	.rodata,"a",@progbits
	.p2align	6, 0x0
	.amdhsa_kernel _ZN7rocprim17ROCPRIM_400000_NS6detail17trampoline_kernelINS0_14default_configENS1_22reduce_config_selectorIiEEZNS1_11reduce_implILb1ES3_N6thrust23THRUST_200600_302600_NS11hip_rocprim35transform_pair_of_input_iterators_tIiPdSB_NS8_12not_equal_toIdEEEEPiiNS8_4plusIiEEEE10hipError_tPvRmT1_T2_T3_mT4_P12ihipStream_tbEUlT_E1_NS1_11comp_targetILNS1_3genE4ELNS1_11target_archE910ELNS1_3gpuE8ELNS1_3repE0EEENS1_30default_config_static_selectorELNS0_4arch9wavefront6targetE1EEEvSL_
		.amdhsa_group_segment_fixed_size 0
		.amdhsa_private_segment_fixed_size 0
		.amdhsa_kernarg_size 56
		.amdhsa_user_sgpr_count 6
		.amdhsa_user_sgpr_private_segment_buffer 1
		.amdhsa_user_sgpr_dispatch_ptr 0
		.amdhsa_user_sgpr_queue_ptr 0
		.amdhsa_user_sgpr_kernarg_segment_ptr 1
		.amdhsa_user_sgpr_dispatch_id 0
		.amdhsa_user_sgpr_flat_scratch_init 0
		.amdhsa_user_sgpr_private_segment_size 0
		.amdhsa_uses_dynamic_stack 0
		.amdhsa_system_sgpr_private_segment_wavefront_offset 0
		.amdhsa_system_sgpr_workgroup_id_x 1
		.amdhsa_system_sgpr_workgroup_id_y 0
		.amdhsa_system_sgpr_workgroup_id_z 0
		.amdhsa_system_sgpr_workgroup_info 0
		.amdhsa_system_vgpr_workitem_id 0
		.amdhsa_next_free_vgpr 1
		.amdhsa_next_free_sgpr 0
		.amdhsa_reserve_vcc 0
		.amdhsa_reserve_flat_scratch 0
		.amdhsa_float_round_mode_32 0
		.amdhsa_float_round_mode_16_64 0
		.amdhsa_float_denorm_mode_32 3
		.amdhsa_float_denorm_mode_16_64 3
		.amdhsa_dx10_clamp 1
		.amdhsa_ieee_mode 1
		.amdhsa_fp16_overflow 0
		.amdhsa_exception_fp_ieee_invalid_op 0
		.amdhsa_exception_fp_denorm_src 0
		.amdhsa_exception_fp_ieee_div_zero 0
		.amdhsa_exception_fp_ieee_overflow 0
		.amdhsa_exception_fp_ieee_underflow 0
		.amdhsa_exception_fp_ieee_inexact 0
		.amdhsa_exception_int_div_zero 0
	.end_amdhsa_kernel
	.section	.text._ZN7rocprim17ROCPRIM_400000_NS6detail17trampoline_kernelINS0_14default_configENS1_22reduce_config_selectorIiEEZNS1_11reduce_implILb1ES3_N6thrust23THRUST_200600_302600_NS11hip_rocprim35transform_pair_of_input_iterators_tIiPdSB_NS8_12not_equal_toIdEEEEPiiNS8_4plusIiEEEE10hipError_tPvRmT1_T2_T3_mT4_P12ihipStream_tbEUlT_E1_NS1_11comp_targetILNS1_3genE4ELNS1_11target_archE910ELNS1_3gpuE8ELNS1_3repE0EEENS1_30default_config_static_selectorELNS0_4arch9wavefront6targetE1EEEvSL_,"axG",@progbits,_ZN7rocprim17ROCPRIM_400000_NS6detail17trampoline_kernelINS0_14default_configENS1_22reduce_config_selectorIiEEZNS1_11reduce_implILb1ES3_N6thrust23THRUST_200600_302600_NS11hip_rocprim35transform_pair_of_input_iterators_tIiPdSB_NS8_12not_equal_toIdEEEEPiiNS8_4plusIiEEEE10hipError_tPvRmT1_T2_T3_mT4_P12ihipStream_tbEUlT_E1_NS1_11comp_targetILNS1_3genE4ELNS1_11target_archE910ELNS1_3gpuE8ELNS1_3repE0EEENS1_30default_config_static_selectorELNS0_4arch9wavefront6targetE1EEEvSL_,comdat
.Lfunc_end1681:
	.size	_ZN7rocprim17ROCPRIM_400000_NS6detail17trampoline_kernelINS0_14default_configENS1_22reduce_config_selectorIiEEZNS1_11reduce_implILb1ES3_N6thrust23THRUST_200600_302600_NS11hip_rocprim35transform_pair_of_input_iterators_tIiPdSB_NS8_12not_equal_toIdEEEEPiiNS8_4plusIiEEEE10hipError_tPvRmT1_T2_T3_mT4_P12ihipStream_tbEUlT_E1_NS1_11comp_targetILNS1_3genE4ELNS1_11target_archE910ELNS1_3gpuE8ELNS1_3repE0EEENS1_30default_config_static_selectorELNS0_4arch9wavefront6targetE1EEEvSL_, .Lfunc_end1681-_ZN7rocprim17ROCPRIM_400000_NS6detail17trampoline_kernelINS0_14default_configENS1_22reduce_config_selectorIiEEZNS1_11reduce_implILb1ES3_N6thrust23THRUST_200600_302600_NS11hip_rocprim35transform_pair_of_input_iterators_tIiPdSB_NS8_12not_equal_toIdEEEEPiiNS8_4plusIiEEEE10hipError_tPvRmT1_T2_T3_mT4_P12ihipStream_tbEUlT_E1_NS1_11comp_targetILNS1_3genE4ELNS1_11target_archE910ELNS1_3gpuE8ELNS1_3repE0EEENS1_30default_config_static_selectorELNS0_4arch9wavefront6targetE1EEEvSL_
                                        ; -- End function
	.set _ZN7rocprim17ROCPRIM_400000_NS6detail17trampoline_kernelINS0_14default_configENS1_22reduce_config_selectorIiEEZNS1_11reduce_implILb1ES3_N6thrust23THRUST_200600_302600_NS11hip_rocprim35transform_pair_of_input_iterators_tIiPdSB_NS8_12not_equal_toIdEEEEPiiNS8_4plusIiEEEE10hipError_tPvRmT1_T2_T3_mT4_P12ihipStream_tbEUlT_E1_NS1_11comp_targetILNS1_3genE4ELNS1_11target_archE910ELNS1_3gpuE8ELNS1_3repE0EEENS1_30default_config_static_selectorELNS0_4arch9wavefront6targetE1EEEvSL_.num_vgpr, 0
	.set _ZN7rocprim17ROCPRIM_400000_NS6detail17trampoline_kernelINS0_14default_configENS1_22reduce_config_selectorIiEEZNS1_11reduce_implILb1ES3_N6thrust23THRUST_200600_302600_NS11hip_rocprim35transform_pair_of_input_iterators_tIiPdSB_NS8_12not_equal_toIdEEEEPiiNS8_4plusIiEEEE10hipError_tPvRmT1_T2_T3_mT4_P12ihipStream_tbEUlT_E1_NS1_11comp_targetILNS1_3genE4ELNS1_11target_archE910ELNS1_3gpuE8ELNS1_3repE0EEENS1_30default_config_static_selectorELNS0_4arch9wavefront6targetE1EEEvSL_.num_agpr, 0
	.set _ZN7rocprim17ROCPRIM_400000_NS6detail17trampoline_kernelINS0_14default_configENS1_22reduce_config_selectorIiEEZNS1_11reduce_implILb1ES3_N6thrust23THRUST_200600_302600_NS11hip_rocprim35transform_pair_of_input_iterators_tIiPdSB_NS8_12not_equal_toIdEEEEPiiNS8_4plusIiEEEE10hipError_tPvRmT1_T2_T3_mT4_P12ihipStream_tbEUlT_E1_NS1_11comp_targetILNS1_3genE4ELNS1_11target_archE910ELNS1_3gpuE8ELNS1_3repE0EEENS1_30default_config_static_selectorELNS0_4arch9wavefront6targetE1EEEvSL_.numbered_sgpr, 0
	.set _ZN7rocprim17ROCPRIM_400000_NS6detail17trampoline_kernelINS0_14default_configENS1_22reduce_config_selectorIiEEZNS1_11reduce_implILb1ES3_N6thrust23THRUST_200600_302600_NS11hip_rocprim35transform_pair_of_input_iterators_tIiPdSB_NS8_12not_equal_toIdEEEEPiiNS8_4plusIiEEEE10hipError_tPvRmT1_T2_T3_mT4_P12ihipStream_tbEUlT_E1_NS1_11comp_targetILNS1_3genE4ELNS1_11target_archE910ELNS1_3gpuE8ELNS1_3repE0EEENS1_30default_config_static_selectorELNS0_4arch9wavefront6targetE1EEEvSL_.num_named_barrier, 0
	.set _ZN7rocprim17ROCPRIM_400000_NS6detail17trampoline_kernelINS0_14default_configENS1_22reduce_config_selectorIiEEZNS1_11reduce_implILb1ES3_N6thrust23THRUST_200600_302600_NS11hip_rocprim35transform_pair_of_input_iterators_tIiPdSB_NS8_12not_equal_toIdEEEEPiiNS8_4plusIiEEEE10hipError_tPvRmT1_T2_T3_mT4_P12ihipStream_tbEUlT_E1_NS1_11comp_targetILNS1_3genE4ELNS1_11target_archE910ELNS1_3gpuE8ELNS1_3repE0EEENS1_30default_config_static_selectorELNS0_4arch9wavefront6targetE1EEEvSL_.private_seg_size, 0
	.set _ZN7rocprim17ROCPRIM_400000_NS6detail17trampoline_kernelINS0_14default_configENS1_22reduce_config_selectorIiEEZNS1_11reduce_implILb1ES3_N6thrust23THRUST_200600_302600_NS11hip_rocprim35transform_pair_of_input_iterators_tIiPdSB_NS8_12not_equal_toIdEEEEPiiNS8_4plusIiEEEE10hipError_tPvRmT1_T2_T3_mT4_P12ihipStream_tbEUlT_E1_NS1_11comp_targetILNS1_3genE4ELNS1_11target_archE910ELNS1_3gpuE8ELNS1_3repE0EEENS1_30default_config_static_selectorELNS0_4arch9wavefront6targetE1EEEvSL_.uses_vcc, 0
	.set _ZN7rocprim17ROCPRIM_400000_NS6detail17trampoline_kernelINS0_14default_configENS1_22reduce_config_selectorIiEEZNS1_11reduce_implILb1ES3_N6thrust23THRUST_200600_302600_NS11hip_rocprim35transform_pair_of_input_iterators_tIiPdSB_NS8_12not_equal_toIdEEEEPiiNS8_4plusIiEEEE10hipError_tPvRmT1_T2_T3_mT4_P12ihipStream_tbEUlT_E1_NS1_11comp_targetILNS1_3genE4ELNS1_11target_archE910ELNS1_3gpuE8ELNS1_3repE0EEENS1_30default_config_static_selectorELNS0_4arch9wavefront6targetE1EEEvSL_.uses_flat_scratch, 0
	.set _ZN7rocprim17ROCPRIM_400000_NS6detail17trampoline_kernelINS0_14default_configENS1_22reduce_config_selectorIiEEZNS1_11reduce_implILb1ES3_N6thrust23THRUST_200600_302600_NS11hip_rocprim35transform_pair_of_input_iterators_tIiPdSB_NS8_12not_equal_toIdEEEEPiiNS8_4plusIiEEEE10hipError_tPvRmT1_T2_T3_mT4_P12ihipStream_tbEUlT_E1_NS1_11comp_targetILNS1_3genE4ELNS1_11target_archE910ELNS1_3gpuE8ELNS1_3repE0EEENS1_30default_config_static_selectorELNS0_4arch9wavefront6targetE1EEEvSL_.has_dyn_sized_stack, 0
	.set _ZN7rocprim17ROCPRIM_400000_NS6detail17trampoline_kernelINS0_14default_configENS1_22reduce_config_selectorIiEEZNS1_11reduce_implILb1ES3_N6thrust23THRUST_200600_302600_NS11hip_rocprim35transform_pair_of_input_iterators_tIiPdSB_NS8_12not_equal_toIdEEEEPiiNS8_4plusIiEEEE10hipError_tPvRmT1_T2_T3_mT4_P12ihipStream_tbEUlT_E1_NS1_11comp_targetILNS1_3genE4ELNS1_11target_archE910ELNS1_3gpuE8ELNS1_3repE0EEENS1_30default_config_static_selectorELNS0_4arch9wavefront6targetE1EEEvSL_.has_recursion, 0
	.set _ZN7rocprim17ROCPRIM_400000_NS6detail17trampoline_kernelINS0_14default_configENS1_22reduce_config_selectorIiEEZNS1_11reduce_implILb1ES3_N6thrust23THRUST_200600_302600_NS11hip_rocprim35transform_pair_of_input_iterators_tIiPdSB_NS8_12not_equal_toIdEEEEPiiNS8_4plusIiEEEE10hipError_tPvRmT1_T2_T3_mT4_P12ihipStream_tbEUlT_E1_NS1_11comp_targetILNS1_3genE4ELNS1_11target_archE910ELNS1_3gpuE8ELNS1_3repE0EEENS1_30default_config_static_selectorELNS0_4arch9wavefront6targetE1EEEvSL_.has_indirect_call, 0
	.section	.AMDGPU.csdata,"",@progbits
; Kernel info:
; codeLenInByte = 0
; TotalNumSgprs: 4
; NumVgprs: 0
; ScratchSize: 0
; MemoryBound: 0
; FloatMode: 240
; IeeeMode: 1
; LDSByteSize: 0 bytes/workgroup (compile time only)
; SGPRBlocks: 0
; VGPRBlocks: 0
; NumSGPRsForWavesPerEU: 4
; NumVGPRsForWavesPerEU: 1
; Occupancy: 10
; WaveLimiterHint : 0
; COMPUTE_PGM_RSRC2:SCRATCH_EN: 0
; COMPUTE_PGM_RSRC2:USER_SGPR: 6
; COMPUTE_PGM_RSRC2:TRAP_HANDLER: 0
; COMPUTE_PGM_RSRC2:TGID_X_EN: 1
; COMPUTE_PGM_RSRC2:TGID_Y_EN: 0
; COMPUTE_PGM_RSRC2:TGID_Z_EN: 0
; COMPUTE_PGM_RSRC2:TIDIG_COMP_CNT: 0
	.section	.text._ZN7rocprim17ROCPRIM_400000_NS6detail17trampoline_kernelINS0_14default_configENS1_22reduce_config_selectorIiEEZNS1_11reduce_implILb1ES3_N6thrust23THRUST_200600_302600_NS11hip_rocprim35transform_pair_of_input_iterators_tIiPdSB_NS8_12not_equal_toIdEEEEPiiNS8_4plusIiEEEE10hipError_tPvRmT1_T2_T3_mT4_P12ihipStream_tbEUlT_E1_NS1_11comp_targetILNS1_3genE3ELNS1_11target_archE908ELNS1_3gpuE7ELNS1_3repE0EEENS1_30default_config_static_selectorELNS0_4arch9wavefront6targetE1EEEvSL_,"axG",@progbits,_ZN7rocprim17ROCPRIM_400000_NS6detail17trampoline_kernelINS0_14default_configENS1_22reduce_config_selectorIiEEZNS1_11reduce_implILb1ES3_N6thrust23THRUST_200600_302600_NS11hip_rocprim35transform_pair_of_input_iterators_tIiPdSB_NS8_12not_equal_toIdEEEEPiiNS8_4plusIiEEEE10hipError_tPvRmT1_T2_T3_mT4_P12ihipStream_tbEUlT_E1_NS1_11comp_targetILNS1_3genE3ELNS1_11target_archE908ELNS1_3gpuE7ELNS1_3repE0EEENS1_30default_config_static_selectorELNS0_4arch9wavefront6targetE1EEEvSL_,comdat
	.protected	_ZN7rocprim17ROCPRIM_400000_NS6detail17trampoline_kernelINS0_14default_configENS1_22reduce_config_selectorIiEEZNS1_11reduce_implILb1ES3_N6thrust23THRUST_200600_302600_NS11hip_rocprim35transform_pair_of_input_iterators_tIiPdSB_NS8_12not_equal_toIdEEEEPiiNS8_4plusIiEEEE10hipError_tPvRmT1_T2_T3_mT4_P12ihipStream_tbEUlT_E1_NS1_11comp_targetILNS1_3genE3ELNS1_11target_archE908ELNS1_3gpuE7ELNS1_3repE0EEENS1_30default_config_static_selectorELNS0_4arch9wavefront6targetE1EEEvSL_ ; -- Begin function _ZN7rocprim17ROCPRIM_400000_NS6detail17trampoline_kernelINS0_14default_configENS1_22reduce_config_selectorIiEEZNS1_11reduce_implILb1ES3_N6thrust23THRUST_200600_302600_NS11hip_rocprim35transform_pair_of_input_iterators_tIiPdSB_NS8_12not_equal_toIdEEEEPiiNS8_4plusIiEEEE10hipError_tPvRmT1_T2_T3_mT4_P12ihipStream_tbEUlT_E1_NS1_11comp_targetILNS1_3genE3ELNS1_11target_archE908ELNS1_3gpuE7ELNS1_3repE0EEENS1_30default_config_static_selectorELNS0_4arch9wavefront6targetE1EEEvSL_
	.globl	_ZN7rocprim17ROCPRIM_400000_NS6detail17trampoline_kernelINS0_14default_configENS1_22reduce_config_selectorIiEEZNS1_11reduce_implILb1ES3_N6thrust23THRUST_200600_302600_NS11hip_rocprim35transform_pair_of_input_iterators_tIiPdSB_NS8_12not_equal_toIdEEEEPiiNS8_4plusIiEEEE10hipError_tPvRmT1_T2_T3_mT4_P12ihipStream_tbEUlT_E1_NS1_11comp_targetILNS1_3genE3ELNS1_11target_archE908ELNS1_3gpuE7ELNS1_3repE0EEENS1_30default_config_static_selectorELNS0_4arch9wavefront6targetE1EEEvSL_
	.p2align	8
	.type	_ZN7rocprim17ROCPRIM_400000_NS6detail17trampoline_kernelINS0_14default_configENS1_22reduce_config_selectorIiEEZNS1_11reduce_implILb1ES3_N6thrust23THRUST_200600_302600_NS11hip_rocprim35transform_pair_of_input_iterators_tIiPdSB_NS8_12not_equal_toIdEEEEPiiNS8_4plusIiEEEE10hipError_tPvRmT1_T2_T3_mT4_P12ihipStream_tbEUlT_E1_NS1_11comp_targetILNS1_3genE3ELNS1_11target_archE908ELNS1_3gpuE7ELNS1_3repE0EEENS1_30default_config_static_selectorELNS0_4arch9wavefront6targetE1EEEvSL_,@function
_ZN7rocprim17ROCPRIM_400000_NS6detail17trampoline_kernelINS0_14default_configENS1_22reduce_config_selectorIiEEZNS1_11reduce_implILb1ES3_N6thrust23THRUST_200600_302600_NS11hip_rocprim35transform_pair_of_input_iterators_tIiPdSB_NS8_12not_equal_toIdEEEEPiiNS8_4plusIiEEEE10hipError_tPvRmT1_T2_T3_mT4_P12ihipStream_tbEUlT_E1_NS1_11comp_targetILNS1_3genE3ELNS1_11target_archE908ELNS1_3gpuE7ELNS1_3repE0EEENS1_30default_config_static_selectorELNS0_4arch9wavefront6targetE1EEEvSL_: ; @_ZN7rocprim17ROCPRIM_400000_NS6detail17trampoline_kernelINS0_14default_configENS1_22reduce_config_selectorIiEEZNS1_11reduce_implILb1ES3_N6thrust23THRUST_200600_302600_NS11hip_rocprim35transform_pair_of_input_iterators_tIiPdSB_NS8_12not_equal_toIdEEEEPiiNS8_4plusIiEEEE10hipError_tPvRmT1_T2_T3_mT4_P12ihipStream_tbEUlT_E1_NS1_11comp_targetILNS1_3genE3ELNS1_11target_archE908ELNS1_3gpuE7ELNS1_3repE0EEENS1_30default_config_static_selectorELNS0_4arch9wavefront6targetE1EEEvSL_
; %bb.0:
	.section	.rodata,"a",@progbits
	.p2align	6, 0x0
	.amdhsa_kernel _ZN7rocprim17ROCPRIM_400000_NS6detail17trampoline_kernelINS0_14default_configENS1_22reduce_config_selectorIiEEZNS1_11reduce_implILb1ES3_N6thrust23THRUST_200600_302600_NS11hip_rocprim35transform_pair_of_input_iterators_tIiPdSB_NS8_12not_equal_toIdEEEEPiiNS8_4plusIiEEEE10hipError_tPvRmT1_T2_T3_mT4_P12ihipStream_tbEUlT_E1_NS1_11comp_targetILNS1_3genE3ELNS1_11target_archE908ELNS1_3gpuE7ELNS1_3repE0EEENS1_30default_config_static_selectorELNS0_4arch9wavefront6targetE1EEEvSL_
		.amdhsa_group_segment_fixed_size 0
		.amdhsa_private_segment_fixed_size 0
		.amdhsa_kernarg_size 56
		.amdhsa_user_sgpr_count 6
		.amdhsa_user_sgpr_private_segment_buffer 1
		.amdhsa_user_sgpr_dispatch_ptr 0
		.amdhsa_user_sgpr_queue_ptr 0
		.amdhsa_user_sgpr_kernarg_segment_ptr 1
		.amdhsa_user_sgpr_dispatch_id 0
		.amdhsa_user_sgpr_flat_scratch_init 0
		.amdhsa_user_sgpr_private_segment_size 0
		.amdhsa_uses_dynamic_stack 0
		.amdhsa_system_sgpr_private_segment_wavefront_offset 0
		.amdhsa_system_sgpr_workgroup_id_x 1
		.amdhsa_system_sgpr_workgroup_id_y 0
		.amdhsa_system_sgpr_workgroup_id_z 0
		.amdhsa_system_sgpr_workgroup_info 0
		.amdhsa_system_vgpr_workitem_id 0
		.amdhsa_next_free_vgpr 1
		.amdhsa_next_free_sgpr 0
		.amdhsa_reserve_vcc 0
		.amdhsa_reserve_flat_scratch 0
		.amdhsa_float_round_mode_32 0
		.amdhsa_float_round_mode_16_64 0
		.amdhsa_float_denorm_mode_32 3
		.amdhsa_float_denorm_mode_16_64 3
		.amdhsa_dx10_clamp 1
		.amdhsa_ieee_mode 1
		.amdhsa_fp16_overflow 0
		.amdhsa_exception_fp_ieee_invalid_op 0
		.amdhsa_exception_fp_denorm_src 0
		.amdhsa_exception_fp_ieee_div_zero 0
		.amdhsa_exception_fp_ieee_overflow 0
		.amdhsa_exception_fp_ieee_underflow 0
		.amdhsa_exception_fp_ieee_inexact 0
		.amdhsa_exception_int_div_zero 0
	.end_amdhsa_kernel
	.section	.text._ZN7rocprim17ROCPRIM_400000_NS6detail17trampoline_kernelINS0_14default_configENS1_22reduce_config_selectorIiEEZNS1_11reduce_implILb1ES3_N6thrust23THRUST_200600_302600_NS11hip_rocprim35transform_pair_of_input_iterators_tIiPdSB_NS8_12not_equal_toIdEEEEPiiNS8_4plusIiEEEE10hipError_tPvRmT1_T2_T3_mT4_P12ihipStream_tbEUlT_E1_NS1_11comp_targetILNS1_3genE3ELNS1_11target_archE908ELNS1_3gpuE7ELNS1_3repE0EEENS1_30default_config_static_selectorELNS0_4arch9wavefront6targetE1EEEvSL_,"axG",@progbits,_ZN7rocprim17ROCPRIM_400000_NS6detail17trampoline_kernelINS0_14default_configENS1_22reduce_config_selectorIiEEZNS1_11reduce_implILb1ES3_N6thrust23THRUST_200600_302600_NS11hip_rocprim35transform_pair_of_input_iterators_tIiPdSB_NS8_12not_equal_toIdEEEEPiiNS8_4plusIiEEEE10hipError_tPvRmT1_T2_T3_mT4_P12ihipStream_tbEUlT_E1_NS1_11comp_targetILNS1_3genE3ELNS1_11target_archE908ELNS1_3gpuE7ELNS1_3repE0EEENS1_30default_config_static_selectorELNS0_4arch9wavefront6targetE1EEEvSL_,comdat
.Lfunc_end1682:
	.size	_ZN7rocprim17ROCPRIM_400000_NS6detail17trampoline_kernelINS0_14default_configENS1_22reduce_config_selectorIiEEZNS1_11reduce_implILb1ES3_N6thrust23THRUST_200600_302600_NS11hip_rocprim35transform_pair_of_input_iterators_tIiPdSB_NS8_12not_equal_toIdEEEEPiiNS8_4plusIiEEEE10hipError_tPvRmT1_T2_T3_mT4_P12ihipStream_tbEUlT_E1_NS1_11comp_targetILNS1_3genE3ELNS1_11target_archE908ELNS1_3gpuE7ELNS1_3repE0EEENS1_30default_config_static_selectorELNS0_4arch9wavefront6targetE1EEEvSL_, .Lfunc_end1682-_ZN7rocprim17ROCPRIM_400000_NS6detail17trampoline_kernelINS0_14default_configENS1_22reduce_config_selectorIiEEZNS1_11reduce_implILb1ES3_N6thrust23THRUST_200600_302600_NS11hip_rocprim35transform_pair_of_input_iterators_tIiPdSB_NS8_12not_equal_toIdEEEEPiiNS8_4plusIiEEEE10hipError_tPvRmT1_T2_T3_mT4_P12ihipStream_tbEUlT_E1_NS1_11comp_targetILNS1_3genE3ELNS1_11target_archE908ELNS1_3gpuE7ELNS1_3repE0EEENS1_30default_config_static_selectorELNS0_4arch9wavefront6targetE1EEEvSL_
                                        ; -- End function
	.set _ZN7rocprim17ROCPRIM_400000_NS6detail17trampoline_kernelINS0_14default_configENS1_22reduce_config_selectorIiEEZNS1_11reduce_implILb1ES3_N6thrust23THRUST_200600_302600_NS11hip_rocprim35transform_pair_of_input_iterators_tIiPdSB_NS8_12not_equal_toIdEEEEPiiNS8_4plusIiEEEE10hipError_tPvRmT1_T2_T3_mT4_P12ihipStream_tbEUlT_E1_NS1_11comp_targetILNS1_3genE3ELNS1_11target_archE908ELNS1_3gpuE7ELNS1_3repE0EEENS1_30default_config_static_selectorELNS0_4arch9wavefront6targetE1EEEvSL_.num_vgpr, 0
	.set _ZN7rocprim17ROCPRIM_400000_NS6detail17trampoline_kernelINS0_14default_configENS1_22reduce_config_selectorIiEEZNS1_11reduce_implILb1ES3_N6thrust23THRUST_200600_302600_NS11hip_rocprim35transform_pair_of_input_iterators_tIiPdSB_NS8_12not_equal_toIdEEEEPiiNS8_4plusIiEEEE10hipError_tPvRmT1_T2_T3_mT4_P12ihipStream_tbEUlT_E1_NS1_11comp_targetILNS1_3genE3ELNS1_11target_archE908ELNS1_3gpuE7ELNS1_3repE0EEENS1_30default_config_static_selectorELNS0_4arch9wavefront6targetE1EEEvSL_.num_agpr, 0
	.set _ZN7rocprim17ROCPRIM_400000_NS6detail17trampoline_kernelINS0_14default_configENS1_22reduce_config_selectorIiEEZNS1_11reduce_implILb1ES3_N6thrust23THRUST_200600_302600_NS11hip_rocprim35transform_pair_of_input_iterators_tIiPdSB_NS8_12not_equal_toIdEEEEPiiNS8_4plusIiEEEE10hipError_tPvRmT1_T2_T3_mT4_P12ihipStream_tbEUlT_E1_NS1_11comp_targetILNS1_3genE3ELNS1_11target_archE908ELNS1_3gpuE7ELNS1_3repE0EEENS1_30default_config_static_selectorELNS0_4arch9wavefront6targetE1EEEvSL_.numbered_sgpr, 0
	.set _ZN7rocprim17ROCPRIM_400000_NS6detail17trampoline_kernelINS0_14default_configENS1_22reduce_config_selectorIiEEZNS1_11reduce_implILb1ES3_N6thrust23THRUST_200600_302600_NS11hip_rocprim35transform_pair_of_input_iterators_tIiPdSB_NS8_12not_equal_toIdEEEEPiiNS8_4plusIiEEEE10hipError_tPvRmT1_T2_T3_mT4_P12ihipStream_tbEUlT_E1_NS1_11comp_targetILNS1_3genE3ELNS1_11target_archE908ELNS1_3gpuE7ELNS1_3repE0EEENS1_30default_config_static_selectorELNS0_4arch9wavefront6targetE1EEEvSL_.num_named_barrier, 0
	.set _ZN7rocprim17ROCPRIM_400000_NS6detail17trampoline_kernelINS0_14default_configENS1_22reduce_config_selectorIiEEZNS1_11reduce_implILb1ES3_N6thrust23THRUST_200600_302600_NS11hip_rocprim35transform_pair_of_input_iterators_tIiPdSB_NS8_12not_equal_toIdEEEEPiiNS8_4plusIiEEEE10hipError_tPvRmT1_T2_T3_mT4_P12ihipStream_tbEUlT_E1_NS1_11comp_targetILNS1_3genE3ELNS1_11target_archE908ELNS1_3gpuE7ELNS1_3repE0EEENS1_30default_config_static_selectorELNS0_4arch9wavefront6targetE1EEEvSL_.private_seg_size, 0
	.set _ZN7rocprim17ROCPRIM_400000_NS6detail17trampoline_kernelINS0_14default_configENS1_22reduce_config_selectorIiEEZNS1_11reduce_implILb1ES3_N6thrust23THRUST_200600_302600_NS11hip_rocprim35transform_pair_of_input_iterators_tIiPdSB_NS8_12not_equal_toIdEEEEPiiNS8_4plusIiEEEE10hipError_tPvRmT1_T2_T3_mT4_P12ihipStream_tbEUlT_E1_NS1_11comp_targetILNS1_3genE3ELNS1_11target_archE908ELNS1_3gpuE7ELNS1_3repE0EEENS1_30default_config_static_selectorELNS0_4arch9wavefront6targetE1EEEvSL_.uses_vcc, 0
	.set _ZN7rocprim17ROCPRIM_400000_NS6detail17trampoline_kernelINS0_14default_configENS1_22reduce_config_selectorIiEEZNS1_11reduce_implILb1ES3_N6thrust23THRUST_200600_302600_NS11hip_rocprim35transform_pair_of_input_iterators_tIiPdSB_NS8_12not_equal_toIdEEEEPiiNS8_4plusIiEEEE10hipError_tPvRmT1_T2_T3_mT4_P12ihipStream_tbEUlT_E1_NS1_11comp_targetILNS1_3genE3ELNS1_11target_archE908ELNS1_3gpuE7ELNS1_3repE0EEENS1_30default_config_static_selectorELNS0_4arch9wavefront6targetE1EEEvSL_.uses_flat_scratch, 0
	.set _ZN7rocprim17ROCPRIM_400000_NS6detail17trampoline_kernelINS0_14default_configENS1_22reduce_config_selectorIiEEZNS1_11reduce_implILb1ES3_N6thrust23THRUST_200600_302600_NS11hip_rocprim35transform_pair_of_input_iterators_tIiPdSB_NS8_12not_equal_toIdEEEEPiiNS8_4plusIiEEEE10hipError_tPvRmT1_T2_T3_mT4_P12ihipStream_tbEUlT_E1_NS1_11comp_targetILNS1_3genE3ELNS1_11target_archE908ELNS1_3gpuE7ELNS1_3repE0EEENS1_30default_config_static_selectorELNS0_4arch9wavefront6targetE1EEEvSL_.has_dyn_sized_stack, 0
	.set _ZN7rocprim17ROCPRIM_400000_NS6detail17trampoline_kernelINS0_14default_configENS1_22reduce_config_selectorIiEEZNS1_11reduce_implILb1ES3_N6thrust23THRUST_200600_302600_NS11hip_rocprim35transform_pair_of_input_iterators_tIiPdSB_NS8_12not_equal_toIdEEEEPiiNS8_4plusIiEEEE10hipError_tPvRmT1_T2_T3_mT4_P12ihipStream_tbEUlT_E1_NS1_11comp_targetILNS1_3genE3ELNS1_11target_archE908ELNS1_3gpuE7ELNS1_3repE0EEENS1_30default_config_static_selectorELNS0_4arch9wavefront6targetE1EEEvSL_.has_recursion, 0
	.set _ZN7rocprim17ROCPRIM_400000_NS6detail17trampoline_kernelINS0_14default_configENS1_22reduce_config_selectorIiEEZNS1_11reduce_implILb1ES3_N6thrust23THRUST_200600_302600_NS11hip_rocprim35transform_pair_of_input_iterators_tIiPdSB_NS8_12not_equal_toIdEEEEPiiNS8_4plusIiEEEE10hipError_tPvRmT1_T2_T3_mT4_P12ihipStream_tbEUlT_E1_NS1_11comp_targetILNS1_3genE3ELNS1_11target_archE908ELNS1_3gpuE7ELNS1_3repE0EEENS1_30default_config_static_selectorELNS0_4arch9wavefront6targetE1EEEvSL_.has_indirect_call, 0
	.section	.AMDGPU.csdata,"",@progbits
; Kernel info:
; codeLenInByte = 0
; TotalNumSgprs: 4
; NumVgprs: 0
; ScratchSize: 0
; MemoryBound: 0
; FloatMode: 240
; IeeeMode: 1
; LDSByteSize: 0 bytes/workgroup (compile time only)
; SGPRBlocks: 0
; VGPRBlocks: 0
; NumSGPRsForWavesPerEU: 4
; NumVGPRsForWavesPerEU: 1
; Occupancy: 10
; WaveLimiterHint : 0
; COMPUTE_PGM_RSRC2:SCRATCH_EN: 0
; COMPUTE_PGM_RSRC2:USER_SGPR: 6
; COMPUTE_PGM_RSRC2:TRAP_HANDLER: 0
; COMPUTE_PGM_RSRC2:TGID_X_EN: 1
; COMPUTE_PGM_RSRC2:TGID_Y_EN: 0
; COMPUTE_PGM_RSRC2:TGID_Z_EN: 0
; COMPUTE_PGM_RSRC2:TIDIG_COMP_CNT: 0
	.section	.text._ZN7rocprim17ROCPRIM_400000_NS6detail17trampoline_kernelINS0_14default_configENS1_22reduce_config_selectorIiEEZNS1_11reduce_implILb1ES3_N6thrust23THRUST_200600_302600_NS11hip_rocprim35transform_pair_of_input_iterators_tIiPdSB_NS8_12not_equal_toIdEEEEPiiNS8_4plusIiEEEE10hipError_tPvRmT1_T2_T3_mT4_P12ihipStream_tbEUlT_E1_NS1_11comp_targetILNS1_3genE2ELNS1_11target_archE906ELNS1_3gpuE6ELNS1_3repE0EEENS1_30default_config_static_selectorELNS0_4arch9wavefront6targetE1EEEvSL_,"axG",@progbits,_ZN7rocprim17ROCPRIM_400000_NS6detail17trampoline_kernelINS0_14default_configENS1_22reduce_config_selectorIiEEZNS1_11reduce_implILb1ES3_N6thrust23THRUST_200600_302600_NS11hip_rocprim35transform_pair_of_input_iterators_tIiPdSB_NS8_12not_equal_toIdEEEEPiiNS8_4plusIiEEEE10hipError_tPvRmT1_T2_T3_mT4_P12ihipStream_tbEUlT_E1_NS1_11comp_targetILNS1_3genE2ELNS1_11target_archE906ELNS1_3gpuE6ELNS1_3repE0EEENS1_30default_config_static_selectorELNS0_4arch9wavefront6targetE1EEEvSL_,comdat
	.protected	_ZN7rocprim17ROCPRIM_400000_NS6detail17trampoline_kernelINS0_14default_configENS1_22reduce_config_selectorIiEEZNS1_11reduce_implILb1ES3_N6thrust23THRUST_200600_302600_NS11hip_rocprim35transform_pair_of_input_iterators_tIiPdSB_NS8_12not_equal_toIdEEEEPiiNS8_4plusIiEEEE10hipError_tPvRmT1_T2_T3_mT4_P12ihipStream_tbEUlT_E1_NS1_11comp_targetILNS1_3genE2ELNS1_11target_archE906ELNS1_3gpuE6ELNS1_3repE0EEENS1_30default_config_static_selectorELNS0_4arch9wavefront6targetE1EEEvSL_ ; -- Begin function _ZN7rocprim17ROCPRIM_400000_NS6detail17trampoline_kernelINS0_14default_configENS1_22reduce_config_selectorIiEEZNS1_11reduce_implILb1ES3_N6thrust23THRUST_200600_302600_NS11hip_rocprim35transform_pair_of_input_iterators_tIiPdSB_NS8_12not_equal_toIdEEEEPiiNS8_4plusIiEEEE10hipError_tPvRmT1_T2_T3_mT4_P12ihipStream_tbEUlT_E1_NS1_11comp_targetILNS1_3genE2ELNS1_11target_archE906ELNS1_3gpuE6ELNS1_3repE0EEENS1_30default_config_static_selectorELNS0_4arch9wavefront6targetE1EEEvSL_
	.globl	_ZN7rocprim17ROCPRIM_400000_NS6detail17trampoline_kernelINS0_14default_configENS1_22reduce_config_selectorIiEEZNS1_11reduce_implILb1ES3_N6thrust23THRUST_200600_302600_NS11hip_rocprim35transform_pair_of_input_iterators_tIiPdSB_NS8_12not_equal_toIdEEEEPiiNS8_4plusIiEEEE10hipError_tPvRmT1_T2_T3_mT4_P12ihipStream_tbEUlT_E1_NS1_11comp_targetILNS1_3genE2ELNS1_11target_archE906ELNS1_3gpuE6ELNS1_3repE0EEENS1_30default_config_static_selectorELNS0_4arch9wavefront6targetE1EEEvSL_
	.p2align	8
	.type	_ZN7rocprim17ROCPRIM_400000_NS6detail17trampoline_kernelINS0_14default_configENS1_22reduce_config_selectorIiEEZNS1_11reduce_implILb1ES3_N6thrust23THRUST_200600_302600_NS11hip_rocprim35transform_pair_of_input_iterators_tIiPdSB_NS8_12not_equal_toIdEEEEPiiNS8_4plusIiEEEE10hipError_tPvRmT1_T2_T3_mT4_P12ihipStream_tbEUlT_E1_NS1_11comp_targetILNS1_3genE2ELNS1_11target_archE906ELNS1_3gpuE6ELNS1_3repE0EEENS1_30default_config_static_selectorELNS0_4arch9wavefront6targetE1EEEvSL_,@function
_ZN7rocprim17ROCPRIM_400000_NS6detail17trampoline_kernelINS0_14default_configENS1_22reduce_config_selectorIiEEZNS1_11reduce_implILb1ES3_N6thrust23THRUST_200600_302600_NS11hip_rocprim35transform_pair_of_input_iterators_tIiPdSB_NS8_12not_equal_toIdEEEEPiiNS8_4plusIiEEEE10hipError_tPvRmT1_T2_T3_mT4_P12ihipStream_tbEUlT_E1_NS1_11comp_targetILNS1_3genE2ELNS1_11target_archE906ELNS1_3gpuE6ELNS1_3repE0EEENS1_30default_config_static_selectorELNS0_4arch9wavefront6targetE1EEEvSL_: ; @_ZN7rocprim17ROCPRIM_400000_NS6detail17trampoline_kernelINS0_14default_configENS1_22reduce_config_selectorIiEEZNS1_11reduce_implILb1ES3_N6thrust23THRUST_200600_302600_NS11hip_rocprim35transform_pair_of_input_iterators_tIiPdSB_NS8_12not_equal_toIdEEEEPiiNS8_4plusIiEEEE10hipError_tPvRmT1_T2_T3_mT4_P12ihipStream_tbEUlT_E1_NS1_11comp_targetILNS1_3genE2ELNS1_11target_archE906ELNS1_3gpuE6ELNS1_3repE0EEENS1_30default_config_static_selectorELNS0_4arch9wavefront6targetE1EEEvSL_
; %bb.0:
	s_load_dword s33, s[4:5], 0x4
	s_load_dwordx4 s[40:43], s[4:5], 0x8
	s_load_dwordx4 s[36:39], s[4:5], 0x20
	s_waitcnt lgkmcnt(0)
	s_cmp_lt_i32 s33, 8
	s_cbranch_scc1 .LBB1683_11
; %bb.1:
	s_cmp_gt_i32 s33, 15
	s_cbranch_scc0 .LBB1683_12
; %bb.2:
	s_cmp_gt_i32 s33, 31
	s_cbranch_scc0 .LBB1683_13
; %bb.3:
	s_cmp_eq_u32 s33, 32
	s_mov_b64 s[14:15], 0
	s_cbranch_scc0 .LBB1683_14
; %bb.4:
	s_mov_b32 s7, 0
	s_lshl_b32 s20, s6, 13
	s_mov_b32 s21, s7
	s_lshr_b64 s[0:1], s[36:37], 13
	s_lshl_b64 s[2:3], s[20:21], 3
	s_add_u32 s16, s40, s2
	s_addc_u32 s17, s41, s3
	s_add_u32 s18, s42, s2
	s_addc_u32 s19, s43, s3
	s_cmp_lg_u64 s[0:1], s[6:7]
	s_cbranch_scc0 .LBB1683_23
; %bb.5:
	v_lshlrev_b32_e32 v9, 3, v0
	v_mov_b32_e32 v1, s17
	v_add_co_u32_e32 v37, vcc, s16, v9
	v_addc_co_u32_e32 v38, vcc, 0, v1, vcc
	global_load_dwordx2 v[1:2], v9, s[16:17]
	global_load_dwordx2 v[3:4], v9, s[18:19]
	v_mov_b32_e32 v5, s19
	v_add_co_u32_e32 v39, vcc, s18, v9
	v_addc_co_u32_e32 v40, vcc, 0, v5, vcc
	global_load_dwordx2 v[5:6], v9, s[18:19] offset:2048
	global_load_dwordx2 v[7:8], v9, s[16:17] offset:2048
	v_add_co_u32_e32 v9, vcc, 0x1000, v37
	v_addc_co_u32_e32 v10, vcc, 0, v38, vcc
	v_add_co_u32_e32 v11, vcc, 0x1000, v39
	v_addc_co_u32_e32 v12, vcc, 0, v40, vcc
	global_load_dwordx2 v[13:14], v[11:12], off
	global_load_dwordx2 v[15:16], v[9:10], off
	global_load_dwordx2 v[17:18], v[9:10], off offset:2048
	global_load_dwordx2 v[19:20], v[11:12], off offset:2048
	v_add_co_u32_e32 v9, vcc, 0x2000, v37
	v_addc_co_u32_e32 v10, vcc, 0, v38, vcc
	v_add_co_u32_e32 v11, vcc, 0x2000, v39
	v_addc_co_u32_e32 v12, vcc, 0, v40, vcc
	global_load_dwordx2 v[21:22], v[9:10], off
	global_load_dwordx2 v[25:26], v[11:12], off
	v_add_co_u32_e32 v23, vcc, 0x3000, v37
	s_mov_b64 s[0:1], vcc
	v_add_co_u32_e32 v27, vcc, 0x3000, v39
	s_mov_b64 s[2:3], vcc
	v_add_co_u32_e32 v29, vcc, 0x4000, v37
	v_addc_co_u32_e32 v30, vcc, 0, v38, vcc
	s_waitcnt vmcnt(8)
	v_cmp_neq_f64_e64 s[8:9], v[1:2], v[3:4]
	v_add_co_u32_e32 v1, vcc, 0x4000, v39
	v_addc_co_u32_e32 v2, vcc, 0, v40, vcc
	global_load_dwordx2 v[3:4], v[29:30], off
	v_cndmask_b32_e64 v24, 0, 1, s[8:9]
	s_waitcnt vmcnt(7)
	v_cmp_neq_f64_e64 s[8:9], v[7:8], v[5:6]
	global_load_dwordx2 v[7:8], v[1:2], off
	v_add_co_u32_e32 v5, vcc, 0x5000, v37
	v_addc_co_u32_e32 v6, vcc, 0, v38, vcc
	s_waitcnt vmcnt(6)
	v_cmp_neq_f64_e64 s[10:11], v[15:16], v[13:14]
	v_add_co_u32_e32 v13, vcc, 0x5000, v39
	global_load_dwordx2 v[15:16], v[5:6], off
	v_addc_co_u32_e64 v41, s[8:9], 0, v24, s[8:9]
	v_addc_co_u32_e32 v14, vcc, 0, v40, vcc
	s_waitcnt vmcnt(5)
	v_cmp_neq_f64_e64 s[8:9], v[17:18], v[19:20]
	global_load_dwordx2 v[17:18], v[13:14], off
	global_load_dwordx2 v[19:20], v[9:10], off offset:2048
	global_load_dwordx2 v[31:32], v[11:12], off offset:2048
	v_addc_co_u32_e64 v24, vcc, 0, v38, s[0:1]
	v_addc_co_u32_e64 v28, vcc, 0, v40, s[2:3]
	s_waitcnt vmcnt(6)
	v_cmp_neq_f64_e64 s[0:1], v[21:22], v[25:26]
	global_load_dwordx2 v[9:10], v[23:24], off
	global_load_dwordx2 v[11:12], v[23:24], off offset:2048
	global_load_dwordx2 v[21:22], v[27:28], off
	global_load_dwordx2 v[25:26], v[27:28], off offset:2048
	global_load_dwordx2 v[33:34], v[29:30], off offset:2048
	;; [unrolled: 1-line block ×3, first 2 shown]
	v_cndmask_b32_e64 v42, 0, 1, s[10:11]
	s_waitcnt vmcnt(10)
	v_cmp_neq_f64_e64 s[2:3], v[3:4], v[7:8]
	global_load_dwordx2 v[1:2], v[5:6], off offset:2048
	global_load_dwordx2 v[3:4], v[13:14], off offset:2048
	v_add_co_u32_e32 v5, vcc, 0x6000, v37
	v_addc_co_u32_e32 v6, vcc, 0, v38, vcc
	v_add_co_u32_e32 v13, vcc, 0x6000, v39
	v_addc_co_u32_e32 v14, vcc, 0, v40, vcc
	global_load_dwordx2 v[7:8], v[5:6], off
	s_waitcnt vmcnt(11)
	v_cmp_neq_f64_e64 s[10:11], v[15:16], v[17:18]
	global_load_dwordx2 v[15:16], v[13:14], off
	v_cndmask_b32_e64 v17, 0, 1, s[0:1]
	s_waitcnt vmcnt(7)
	v_cmp_neq_f64_e32 vcc, v[9:10], v[21:22]
	v_cndmask_b32_e64 v10, 0, 1, s[2:3]
	v_cndmask_b32_e64 v29, 0, 1, s[10:11]
	v_cndmask_b32_e64 v9, 0, 1, vcc
	v_addc_co_u32_e64 v18, vcc, v41, v42, s[8:9]
	v_cmp_neq_f64_e32 vcc, v[19:20], v[31:32]
	v_addc_co_u32_e32 v17, vcc, v18, v17, vcc
	s_waitcnt vmcnt(6)
	v_cmp_neq_f64_e32 vcc, v[11:12], v[25:26]
	v_addc_co_u32_e32 v9, vcc, v17, v9, vcc
	s_waitcnt vmcnt(4)
	;; [unrolled: 3-line block ×3, first 2 shown]
	v_cmp_neq_f64_e64 s[0:1], v[1:2], v[3:4]
	global_load_dwordx2 v[1:2], v[5:6], off offset:2048
	global_load_dwordx2 v[3:4], v[13:14], off offset:2048
	v_add_co_u32_e32 v5, vcc, 0x7000, v37
	v_addc_co_u32_e32 v6, vcc, 0, v38, vcc
	s_waitcnt vmcnt(2)
	v_cmp_neq_f64_e64 s[2:3], v[7:8], v[15:16]
	v_add_co_u32_e32 v7, vcc, 0x7000, v39
	v_addc_co_u32_e32 v8, vcc, 0, v40, vcc
	global_load_dwordx2 v[9:10], v[5:6], off
	global_load_dwordx2 v[11:12], v[5:6], off offset:2048
	global_load_dwordx2 v[13:14], v[7:8], off
	global_load_dwordx2 v[15:16], v[7:8], off offset:2048
	v_add_co_u32_e32 v5, vcc, 0x8000, v37
	v_addc_co_u32_e32 v6, vcc, 0, v38, vcc
	v_add_co_u32_e32 v17, vcc, 0x8000, v39
	v_addc_co_u32_e32 v18, vcc, 0, v40, vcc
	v_add_co_u32_e32 v21, vcc, 0x9000, v37
	global_load_dwordx2 v[7:8], v[5:6], off
	global_load_dwordx2 v[19:20], v[17:18], off
	v_addc_co_u32_e32 v22, vcc, 0, v38, vcc
	v_add_co_u32_e32 v25, vcc, 0x9000, v39
	v_addc_co_u32_e32 v26, vcc, 0, v40, vcc
	global_load_dwordx2 v[23:24], v[21:22], off
	global_load_dwordx2 v[27:28], v[25:26], off
	v_cndmask_b32_e64 v31, 0, 1, s[2:3]
	s_waitcnt vmcnt(5)
	v_cmp_neq_f64_e32 vcc, v[9:10], v[13:14]
	v_cndmask_b32_e64 v32, 0, 1, vcc
	v_addc_co_u32_e64 v9, vcc, v30, v29, s[0:1]
	v_cmp_neq_f64_e32 vcc, v[1:2], v[3:4]
	global_load_dwordx2 v[1:2], v[5:6], off offset:2048
	global_load_dwordx2 v[3:4], v[17:18], off offset:2048
	s_waitcnt vmcnt(4)
	v_cmp_neq_f64_e64 s[2:3], v[7:8], v[19:20]
	v_cmp_neq_f64_e64 s[0:1], v[11:12], v[15:16]
	global_load_dwordx2 v[5:6], v[21:22], off offset:2048
	global_load_dwordx2 v[7:8], v[25:26], off offset:2048
	v_addc_co_u32_e32 v29, vcc, v9, v31, vcc
	v_add_co_u32_e32 v9, vcc, 0xa000, v37
	v_addc_co_u32_e32 v10, vcc, 0, v38, vcc
	v_add_co_u32_e32 v13, vcc, 0xa000, v39
	;; [unrolled: 2-line block ×3, first 2 shown]
	s_mov_b64 s[10:11], vcc
	v_add_co_u32_e32 v19, vcc, 0xb000, v39
	s_mov_b64 s[12:13], vcc
	v_add_co_u32_e32 v20, vcc, 0xc000, v37
	global_load_dwordx2 v[11:12], v[9:10], off
	global_load_dwordx2 v[15:16], v[13:14], off
	v_addc_co_u32_e32 v21, vcc, 0, v38, vcc
	s_waitcnt vmcnt(6)
	v_cmp_neq_f64_e64 s[8:9], v[23:24], v[27:28]
	v_add_co_u32_e32 v24, vcc, 0xc000, v39
	v_addc_co_u32_e32 v25, vcc, 0, v40, vcc
	global_load_dwordx2 v[22:23], v[20:21], off
	global_load_dwordx2 v[26:27], v[24:25], off
	v_addc_co_u32_e64 v28, vcc, v29, v32, s[0:1]
	v_cndmask_b32_e64 v18, 0, 1, s[2:3]
	v_cndmask_b32_e64 v41, 0, 1, s[8:9]
	s_waitcnt vmcnt(6)
	v_cmp_neq_f64_e32 vcc, v[1:2], v[3:4]
	global_load_dwordx2 v[1:2], v[9:10], off offset:2048
	global_load_dwordx2 v[3:4], v[13:14], off offset:2048
	s_waitcnt vmcnt(6)
	v_cmp_neq_f64_e64 s[0:1], v[5:6], v[7:8]
	global_load_dwordx2 v[5:6], v[20:21], off offset:2048
	global_load_dwordx2 v[7:8], v[24:25], off offset:2048
	v_addc_co_u32_e32 v42, vcc, v28, v18, vcc
	v_add_co_u32_e32 v9, vcc, 0xd000, v37
	v_addc_co_u32_e32 v10, vcc, 0, v38, vcc
	v_add_co_u32_e32 v13, vcc, 0xd000, v39
	;; [unrolled: 2-line block ×3, first 2 shown]
	s_waitcnt vmcnt(6)
	v_cmp_neq_f64_e64 s[2:3], v[11:12], v[15:16]
	global_load_dwordx2 v[11:12], v[9:10], off
	global_load_dwordx2 v[15:16], v[13:14], off
	s_waitcnt vmcnt(6)
	v_cmp_neq_f64_e64 s[8:9], v[22:23], v[26:27]
	v_addc_co_u32_e32 v22, vcc, 0, v38, vcc
	v_add_co_u32_e32 v25, vcc, 0xe000, v39
	v_addc_co_u32_e32 v26, vcc, 0, v40, vcc
	global_load_dwordx2 v[23:24], v[21:22], off
	global_load_dwordx2 v[27:28], v[25:26], off
	v_addc_co_u32_e64 v18, vcc, 0, v38, s[10:11]
	global_load_dwordx2 v[29:30], v[9:10], off offset:2048
	global_load_dwordx2 v[31:32], v[13:14], off offset:2048
	v_addc_co_u32_e64 v20, vcc, 0, v40, s[12:13]
	global_load_dwordx2 v[9:10], v[17:18], off
	s_waitcnt vmcnt(5)
	v_cmp_neq_f64_e64 s[10:11], v[11:12], v[15:16]
	global_load_dwordx2 v[11:12], v[19:20], off
	global_load_dwordx2 v[13:14], v[21:22], off offset:2048
	global_load_dwordx2 v[15:16], v[25:26], off offset:2048
	v_add_co_u32_e32 v21, vcc, 0xf000, v37
	v_addc_co_u32_e32 v22, vcc, 0, v38, vcc
	v_add_co_u32_e32 v25, vcc, 0xf000, v39
	v_addc_co_u32_e32 v26, vcc, 0, v40, vcc
	s_waitcnt vmcnt(6)
	v_cmp_neq_f64_e64 s[12:13], v[23:24], v[27:28]
	global_load_dwordx2 v[23:24], v[21:22], off
	global_load_dwordx2 v[27:28], v[25:26], off
	global_load_dwordx2 v[33:34], v[17:18], off offset:2048
	global_load_dwordx2 v[35:36], v[19:20], off offset:2048
	;; [unrolled: 1-line block ×4, first 2 shown]
	v_cndmask_b32_e64 v17, 0, 1, s[2:3]
	s_waitcnt vmcnt(8)
	v_cmp_neq_f64_e32 vcc, v[9:10], v[11:12]
	v_cndmask_b32_e64 v10, 0, 1, s[8:9]
	v_cndmask_b32_e64 v11, 0, 1, s[10:11]
	v_cndmask_b32_e64 v12, 0, 1, s[12:13]
	v_cndmask_b32_e64 v9, 0, 1, vcc
	s_waitcnt vmcnt(4)
	v_cmp_neq_f64_e32 vcc, v[23:24], v[27:28]
	v_cndmask_b32_e64 v18, 0, 1, vcc
	v_addc_co_u32_e64 v19, vcc, v42, v41, s[0:1]
	v_cmp_neq_f64_e32 vcc, v[1:2], v[3:4]
	v_mbcnt_lo_u32_b32 v2, -1, 0
	v_mbcnt_hi_u32_b32 v2, -1, v2
	v_lshlrev_b32_e32 v3, 2, v2
	v_or_b32_e32 v4, 0xfc, v3
	v_addc_co_u32_e32 v1, vcc, v19, v17, vcc
	s_waitcnt vmcnt(2)
	v_cmp_neq_f64_e32 vcc, v[33:34], v[35:36]
	v_addc_co_u32_e32 v1, vcc, v1, v9, vcc
	v_cmp_neq_f64_e32 vcc, v[5:6], v[7:8]
	v_addc_co_u32_e32 v1, vcc, v1, v10, vcc
	;; [unrolled: 2-line block ×4, first 2 shown]
	s_waitcnt vmcnt(0)
	v_cmp_neq_f64_e32 vcc, v[37:38], v[39:40]
	v_addc_co_u32_e32 v1, vcc, v1, v18, vcc
	s_nop 1
	v_add_u32_dpp v1, v1, v1 quad_perm:[1,0,3,2] row_mask:0xf bank_mask:0xf bound_ctrl:1
	v_cmp_eq_u32_e32 vcc, 0, v2
	s_nop 0
	v_add_u32_dpp v1, v1, v1 quad_perm:[2,3,0,1] row_mask:0xf bank_mask:0xf bound_ctrl:1
	s_nop 1
	v_add_u32_dpp v1, v1, v1 row_ror:4 row_mask:0xf bank_mask:0xf bound_ctrl:1
	s_nop 1
	v_add_u32_dpp v1, v1, v1 row_ror:8 row_mask:0xf bank_mask:0xf bound_ctrl:1
	s_nop 1
	v_add_u32_dpp v1, v1, v1 row_bcast:15 row_mask:0xf bank_mask:0xf bound_ctrl:1
	s_nop 1
	v_add_u32_dpp v1, v1, v1 row_bcast:31 row_mask:0xf bank_mask:0xf bound_ctrl:1
	ds_bpermute_b32 v1, v4, v1
	s_and_saveexec_b64 s[0:1], vcc
	s_cbranch_execz .LBB1683_7
; %bb.6:
	v_lshrrev_b32_e32 v4, 4, v0
	v_and_b32_e32 v4, 12, v4
	s_waitcnt lgkmcnt(0)
	ds_write_b32 v4, v1 offset:48
.LBB1683_7:
	s_or_b64 exec, exec, s[0:1]
	v_cmp_gt_u32_e32 vcc, 64, v0
	s_waitcnt lgkmcnt(0)
	s_barrier
	s_and_saveexec_b64 s[0:1], vcc
	s_cbranch_execz .LBB1683_9
; %bb.8:
	v_and_b32_e32 v1, 3, v2
	v_lshlrev_b32_e32 v4, 2, v1
	ds_read_b32 v4, v4 offset:48
	v_cmp_ne_u32_e32 vcc, 3, v1
	v_addc_co_u32_e32 v1, vcc, 0, v2, vcc
	v_lshlrev_b32_e32 v1, 2, v1
	s_waitcnt lgkmcnt(0)
	ds_bpermute_b32 v1, v1, v4
	v_or_b32_e32 v2, 8, v3
	s_waitcnt lgkmcnt(0)
	v_add_u32_e32 v1, v1, v4
	ds_bpermute_b32 v2, v2, v1
	s_waitcnt lgkmcnt(0)
	v_add_u32_e32 v1, v2, v1
.LBB1683_9:
	s_or_b64 exec, exec, s[0:1]
.LBB1683_10:
	v_cmp_eq_u32_e64 s[0:1], 0, v0
	s_and_b64 vcc, exec, s[14:15]
	s_cbranch_vccnz .LBB1683_15
	s_branch .LBB1683_93
.LBB1683_11:
	s_mov_b64 s[0:1], 0
                                        ; implicit-def: $vgpr1
	s_cbranch_execnz .LBB1683_166
	s_branch .LBB1683_224
.LBB1683_12:
	s_mov_b64 s[0:1], 0
                                        ; implicit-def: $vgpr1
	s_cbranch_execnz .LBB1683_134
	s_branch .LBB1683_142
.LBB1683_13:
	s_mov_b64 s[14:15], -1
.LBB1683_14:
	s_mov_b64 s[0:1], 0
                                        ; implicit-def: $vgpr1
	s_and_b64 vcc, exec, s[14:15]
	s_cbranch_vccz .LBB1683_93
.LBB1683_15:
	s_cmp_eq_u32 s33, 16
	s_cbranch_scc0 .LBB1683_22
; %bb.16:
	s_mov_b32 s7, 0
	s_lshl_b32 s16, s6, 12
	s_mov_b32 s17, s7
	s_lshr_b64 s[0:1], s[36:37], 12
	s_lshl_b64 s[2:3], s[16:17], 3
	s_add_u32 s34, s40, s2
	s_addc_u32 s35, s41, s3
	s_add_u32 s44, s42, s2
	s_addc_u32 s45, s43, s3
	s_cmp_lg_u64 s[0:1], s[6:7]
	s_cbranch_scc0 .LBB1683_94
; %bb.17:
	v_lshlrev_b32_e32 v9, 3, v0
	global_load_dwordx2 v[1:2], v9, s[34:35]
	global_load_dwordx2 v[3:4], v9, s[44:45]
	global_load_dwordx2 v[5:6], v9, s[44:45] offset:2048
	global_load_dwordx2 v[7:8], v9, s[34:35] offset:2048
	v_mov_b32_e32 v10, s35
	v_add_co_u32_e32 v35, vcc, s34, v9
	v_addc_co_u32_e32 v36, vcc, 0, v10, vcc
	v_mov_b32_e32 v11, s45
	v_add_co_u32_e32 v37, vcc, s44, v9
	v_addc_co_u32_e32 v38, vcc, 0, v11, vcc
	v_add_co_u32_e32 v9, vcc, 0x1000, v35
	v_addc_co_u32_e32 v10, vcc, 0, v36, vcc
	;; [unrolled: 2-line block ×3, first 2 shown]
	global_load_dwordx2 v[13:14], v[9:10], off
	global_load_dwordx2 v[15:16], v[9:10], off offset:2048
	v_add_co_u32_e32 v9, vcc, 0x2000, v35
	global_load_dwordx2 v[17:18], v[11:12], off
	global_load_dwordx2 v[19:20], v[11:12], off offset:2048
	v_addc_co_u32_e32 v10, vcc, 0, v36, vcc
	v_add_co_u32_e32 v11, vcc, 0x2000, v37
	v_addc_co_u32_e32 v12, vcc, 0, v38, vcc
	v_add_co_u32_e32 v23, vcc, 0x3000, v35
	s_mov_b64 s[2:3], vcc
	v_add_co_u32_e32 v26, vcc, 0x3000, v37
	s_mov_b64 s[0:1], vcc
	v_add_co_u32_e32 v27, vcc, 0x4000, v35
	global_load_dwordx2 v[21:22], v[9:10], off
	global_load_dwordx2 v[24:25], v[11:12], off
	v_addc_co_u32_e32 v28, vcc, 0, v36, vcc
	s_waitcnt vmcnt(8)
	v_cmp_neq_f64_e64 s[8:9], v[1:2], v[3:4]
	v_add_co_u32_e32 v1, vcc, 0x4000, v37
	global_load_dwordx2 v[3:4], v[27:28], off
	v_addc_co_u32_e32 v2, vcc, 0, v38, vcc
	v_cndmask_b32_e64 v31, 0, 1, s[8:9]
	s_waitcnt vmcnt(7)
	v_cmp_neq_f64_e64 s[8:9], v[7:8], v[5:6]
	global_load_dwordx2 v[5:6], v[1:2], off
	global_load_dwordx2 v[7:8], v[9:10], off offset:2048
	global_load_dwordx2 v[29:30], v[11:12], off offset:2048
	v_add_co_u32_e32 v9, vcc, 0x5000, v35
	v_addc_co_u32_e32 v10, vcc, 0, v36, vcc
	global_load_dwordx2 v[11:12], v[27:28], off offset:2048
	s_waitcnt vmcnt(8)
	v_cmp_neq_f64_e64 s[10:11], v[13:14], v[17:18]
	v_add_co_u32_e32 v13, vcc, 0x5000, v37
	v_addc_co_u32_e32 v14, vcc, 0, v38, vcc
	v_add_co_u32_e32 v17, vcc, 0x6000, v35
	v_addc_co_u32_e32 v18, vcc, 0, v36, vcc
	v_cndmask_b32_e64 v43, 0, 1, s[10:11]
	global_load_dwordx2 v[1:2], v[1:2], off offset:2048
	s_waitcnt vmcnt(6)
	v_cmp_neq_f64_e64 s[10:11], v[21:22], v[24:25]
	global_load_dwordx2 v[21:22], v[17:18], off
	v_addc_co_u32_e64 v28, s[8:9], 0, v31, s[8:9]
	v_cmp_neq_f64_e64 s[8:9], v[15:16], v[19:20]
	global_load_dwordx2 v[15:16], v[9:10], off
	global_load_dwordx2 v[19:20], v[13:14], off
	s_waitcnt vmcnt(7)
	v_cmp_neq_f64_e64 s[12:13], v[3:4], v[5:6]
	v_add_co_u32_e32 v3, vcc, 0x6000, v37
	v_addc_co_u32_e32 v4, vcc, 0, v38, vcc
	global_load_dwordx2 v[5:6], v[3:4], off
	global_load_dwordx2 v[31:32], v[9:10], off offset:2048
	global_load_dwordx2 v[33:34], v[13:14], off offset:2048
	v_addc_co_u32_e64 v24, vcc, 0, v36, s[2:3]
	global_load_dwordx2 v[9:10], v[17:18], off offset:2048
	global_load_dwordx2 v[13:14], v[3:4], off offset:2048
	v_add_co_u32_e32 v3, vcc, 0x7000, v35
	v_addc_co_u32_e32 v4, vcc, 0, v36, vcc
	v_addc_co_u32_e64 v27, vcc, 0, v38, s[0:1]
	s_waitcnt vmcnt(5)
	v_cmp_neq_f64_e64 s[14:15], v[15:16], v[19:20]
	v_add_co_u32_e32 v19, vcc, 0x7000, v37
	v_addc_co_u32_e32 v20, vcc, 0, v38, vcc
	s_waitcnt vmcnt(4)
	v_cmp_neq_f64_e64 s[2:3], v[21:22], v[5:6]
	global_load_dwordx2 v[5:6], v[26:27], off
	global_load_dwordx2 v[15:16], v[23:24], off
	;; [unrolled: 1-line block ×4, first 2 shown]
	global_load_dwordx2 v[35:36], v[23:24], off offset:2048
	global_load_dwordx2 v[37:38], v[26:27], off offset:2048
	;; [unrolled: 1-line block ×4, first 2 shown]
	v_cndmask_b32_e64 v3, 0, 1, s[10:11]
	s_waitcnt vmcnt(6)
	v_cmp_neq_f64_e32 vcc, v[15:16], v[5:6]
	v_cndmask_b32_e64 v5, 0, 1, s[12:13]
	v_cndmask_b32_e64 v6, 0, 1, s[14:15]
	;; [unrolled: 1-line block ×3, first 2 shown]
	v_cndmask_b32_e64 v4, 0, 1, vcc
	v_addc_co_u32_e64 v16, vcc, v28, v43, s[8:9]
	s_waitcnt vmcnt(4)
	v_cmp_neq_f64_e32 vcc, v[17:18], v[21:22]
	v_cndmask_b32_e64 v17, 0, 1, vcc
	v_cmp_neq_f64_e32 vcc, v[7:8], v[29:30]
	v_addc_co_u32_e32 v3, vcc, v16, v3, vcc
	s_waitcnt vmcnt(2)
	v_cmp_neq_f64_e32 vcc, v[35:36], v[37:38]
	v_addc_co_u32_e32 v3, vcc, v3, v4, vcc
	v_cmp_neq_f64_e32 vcc, v[11:12], v[1:2]
	v_mbcnt_lo_u32_b32 v2, -1, 0
	v_mbcnt_hi_u32_b32 v2, -1, v2
	v_addc_co_u32_e32 v1, vcc, v3, v5, vcc
	v_cmp_neq_f64_e32 vcc, v[31:32], v[33:34]
	v_lshlrev_b32_e32 v3, 2, v2
	v_or_b32_e32 v4, 0xfc, v3
	v_addc_co_u32_e32 v1, vcc, v1, v6, vcc
	v_cmp_neq_f64_e32 vcc, v[9:10], v[13:14]
	v_addc_co_u32_e32 v1, vcc, v1, v15, vcc
	s_waitcnt vmcnt(0)
	v_cmp_neq_f64_e32 vcc, v[39:40], v[41:42]
	v_addc_co_u32_e32 v1, vcc, v1, v17, vcc
	s_nop 1
	v_add_u32_dpp v1, v1, v1 quad_perm:[1,0,3,2] row_mask:0xf bank_mask:0xf bound_ctrl:1
	v_cmp_eq_u32_e32 vcc, 0, v2
	s_nop 0
	v_add_u32_dpp v1, v1, v1 quad_perm:[2,3,0,1] row_mask:0xf bank_mask:0xf bound_ctrl:1
	s_nop 1
	v_add_u32_dpp v1, v1, v1 row_ror:4 row_mask:0xf bank_mask:0xf bound_ctrl:1
	s_nop 1
	v_add_u32_dpp v1, v1, v1 row_ror:8 row_mask:0xf bank_mask:0xf bound_ctrl:1
	s_nop 1
	v_add_u32_dpp v1, v1, v1 row_bcast:15 row_mask:0xf bank_mask:0xf bound_ctrl:1
	s_nop 1
	v_add_u32_dpp v1, v1, v1 row_bcast:31 row_mask:0xf bank_mask:0xf bound_ctrl:1
	ds_bpermute_b32 v1, v4, v1
	s_and_saveexec_b64 s[0:1], vcc
	s_cbranch_execz .LBB1683_19
; %bb.18:
	v_lshrrev_b32_e32 v4, 4, v0
	v_and_b32_e32 v4, 12, v4
	s_waitcnt lgkmcnt(0)
	ds_write_b32 v4, v1
.LBB1683_19:
	s_or_b64 exec, exec, s[0:1]
	v_cmp_gt_u32_e32 vcc, 64, v0
	s_waitcnt lgkmcnt(0)
	s_barrier
	s_and_saveexec_b64 s[0:1], vcc
	s_cbranch_execz .LBB1683_21
; %bb.20:
	v_and_b32_e32 v1, 3, v2
	v_lshlrev_b32_e32 v4, 2, v1
	ds_read_b32 v4, v4
	v_cmp_ne_u32_e32 vcc, 3, v1
	v_addc_co_u32_e32 v1, vcc, 0, v2, vcc
	v_lshlrev_b32_e32 v1, 2, v1
	s_waitcnt lgkmcnt(0)
	ds_bpermute_b32 v1, v1, v4
	v_or_b32_e32 v2, 8, v3
	s_waitcnt lgkmcnt(0)
	v_add_u32_e32 v1, v1, v4
	ds_bpermute_b32 v2, v2, v1
	s_waitcnt lgkmcnt(0)
	v_add_u32_e32 v1, v2, v1
.LBB1683_21:
	s_or_b64 exec, exec, s[0:1]
	s_mov_b64 s[0:1], 0
	s_branch .LBB1683_95
.LBB1683_22:
                                        ; implicit-def: $vgpr1
	s_branch .LBB1683_142
.LBB1683_23:
                                        ; implicit-def: $vgpr1
	s_cbranch_execz .LBB1683_10
; %bb.24:
	s_sub_i32 s2, s36, s20
	v_cmp_gt_u32_e32 vcc, s2, v0
                                        ; implicit-def: $vgpr1
	s_and_saveexec_b64 s[0:1], vcc
	s_cbranch_execz .LBB1683_26
; %bb.25:
	v_lshlrev_b32_e32 v5, 3, v0
	global_load_dwordx2 v[1:2], v5, s[16:17]
	global_load_dwordx2 v[3:4], v5, s[18:19]
	s_waitcnt vmcnt(0)
	v_cmp_neq_f64_e32 vcc, v[1:2], v[3:4]
	v_cndmask_b32_e64 v1, 0, 1, vcc
.LBB1683_26:
	s_or_b64 exec, exec, s[0:1]
	v_or_b32_e32 v2, 0x100, v0
	v_cmp_gt_u32_e32 vcc, s2, v2
	v_mov_b32_e32 v2, 0
	v_mov_b32_e32 v3, 0
	s_and_saveexec_b64 s[0:1], vcc
	s_cbranch_execz .LBB1683_28
; %bb.27:
	v_lshlrev_b32_e32 v7, 3, v0
	global_load_dwordx2 v[3:4], v7, s[16:17] offset:2048
	global_load_dwordx2 v[5:6], v7, s[18:19] offset:2048
	s_waitcnt vmcnt(0)
	v_cmp_neq_f64_e32 vcc, v[3:4], v[5:6]
	v_cndmask_b32_e64 v3, 0, 1, vcc
.LBB1683_28:
	s_or_b64 exec, exec, s[0:1]
	v_or_b32_e32 v4, 0x200, v0
	v_cmp_gt_u32_e32 vcc, s2, v4
	s_and_saveexec_b64 s[0:1], vcc
	s_cbranch_execz .LBB1683_30
; %bb.29:
	v_lshlrev_b32_e32 v2, 3, v4
	global_load_dwordx2 v[4:5], v2, s[16:17]
	global_load_dwordx2 v[6:7], v2, s[18:19]
	s_waitcnt vmcnt(0)
	v_cmp_neq_f64_e32 vcc, v[4:5], v[6:7]
	v_cndmask_b32_e64 v2, 0, 1, vcc
.LBB1683_30:
	s_or_b64 exec, exec, s[0:1]
	v_or_b32_e32 v6, 0x300, v0
	v_cmp_gt_u32_e32 vcc, s2, v6
	v_mov_b32_e32 v4, 0
	v_mov_b32_e32 v5, 0
	s_and_saveexec_b64 s[0:1], vcc
	s_cbranch_execz .LBB1683_32
; %bb.31:
	v_lshlrev_b32_e32 v9, 3, v6
	global_load_dwordx2 v[5:6], v9, s[16:17]
	global_load_dwordx2 v[7:8], v9, s[18:19]
	s_waitcnt vmcnt(0)
	v_cmp_neq_f64_e32 vcc, v[5:6], v[7:8]
	v_cndmask_b32_e64 v5, 0, 1, vcc
.LBB1683_32:
	s_or_b64 exec, exec, s[0:1]
	v_or_b32_e32 v6, 0x400, v0
	v_cmp_gt_u32_e32 vcc, s2, v6
	s_and_saveexec_b64 s[0:1], vcc
	s_cbranch_execz .LBB1683_34
; %bb.33:
	v_lshlrev_b32_e32 v4, 3, v6
	global_load_dwordx2 v[6:7], v4, s[16:17]
	global_load_dwordx2 v[8:9], v4, s[18:19]
	s_waitcnt vmcnt(0)
	v_cmp_neq_f64_e32 vcc, v[6:7], v[8:9]
	v_cndmask_b32_e64 v4, 0, 1, vcc
.LBB1683_34:
	s_or_b64 exec, exec, s[0:1]
	v_or_b32_e32 v8, 0x500, v0
	v_cmp_gt_u32_e32 vcc, s2, v8
	v_mov_b32_e32 v6, 0
	v_mov_b32_e32 v7, 0
	s_and_saveexec_b64 s[0:1], vcc
	s_cbranch_execz .LBB1683_36
; %bb.35:
	v_lshlrev_b32_e32 v11, 3, v8
	global_load_dwordx2 v[7:8], v11, s[16:17]
	global_load_dwordx2 v[9:10], v11, s[18:19]
	s_waitcnt vmcnt(0)
	v_cmp_neq_f64_e32 vcc, v[7:8], v[9:10]
	v_cndmask_b32_e64 v7, 0, 1, vcc
.LBB1683_36:
	;; [unrolled: 28-line block ×14, first 2 shown]
	s_or_b64 exec, exec, s[0:1]
	v_or_b32_e32 v32, 0x1e00, v0
	v_cmp_gt_u32_e32 vcc, s2, v32
	s_and_saveexec_b64 s[0:1], vcc
	s_cbranch_execz .LBB1683_86
; %bb.85:
	v_lshlrev_b32_e32 v30, 3, v32
	global_load_dwordx2 v[32:33], v30, s[16:17]
	global_load_dwordx2 v[34:35], v30, s[18:19]
	s_waitcnt vmcnt(0)
	v_cmp_neq_f64_e32 vcc, v[32:33], v[34:35]
	v_cndmask_b32_e64 v30, 0, 1, vcc
.LBB1683_86:
	s_or_b64 exec, exec, s[0:1]
	v_or_b32_e32 v33, 0x1f00, v0
	v_cmp_gt_u32_e32 vcc, s2, v33
	v_mov_b32_e32 v32, 0
	s_and_saveexec_b64 s[0:1], vcc
	s_cbranch_execz .LBB1683_88
; %bb.87:
	v_lshlrev_b32_e32 v36, 3, v33
	global_load_dwordx2 v[32:33], v36, s[16:17]
	global_load_dwordx2 v[34:35], v36, s[18:19]
	s_waitcnt vmcnt(0)
	v_cmp_neq_f64_e32 vcc, v[32:33], v[34:35]
	v_cndmask_b32_e64 v32, 0, 1, vcc
.LBB1683_88:
	s_or_b64 exec, exec, s[0:1]
	v_add_u32_e32 v1, v3, v1
	v_add3_u32 v1, v1, v2, v5
	v_add3_u32 v1, v1, v4, v7
	;; [unrolled: 1-line block ×10, first 2 shown]
	v_mbcnt_lo_u32_b32 v2, -1, 0
	v_add3_u32 v1, v1, v22, v25
	v_mbcnt_hi_u32_b32 v2, -1, v2
	v_add3_u32 v1, v1, v24, v27
	v_and_b32_e32 v4, 63, v2
	v_add3_u32 v1, v1, v26, v29
	v_cmp_ne_u32_e32 vcc, 63, v4
	v_add3_u32 v1, v1, v28, v31
	v_addc_co_u32_e32 v3, vcc, 0, v2, vcc
	v_add3_u32 v1, v1, v30, v32
	v_lshlrev_b32_e32 v3, 2, v3
	ds_bpermute_b32 v3, v3, v1
	s_min_u32 s2, s2, 0x100
	v_and_b32_e32 v5, 0xc0, v0
	v_sub_u32_e64 v5, s2, v5 clamp
	v_add_u32_e32 v6, 1, v4
	v_cmp_lt_u32_e32 vcc, v6, v5
	s_waitcnt lgkmcnt(0)
	v_cndmask_b32_e32 v3, 0, v3, vcc
	v_cmp_gt_u32_e32 vcc, 62, v4
	v_add_u32_e32 v1, v3, v1
	v_cndmask_b32_e64 v3, 0, 2, vcc
	v_add_lshl_u32 v3, v3, v2, 2
	ds_bpermute_b32 v3, v3, v1
	v_add_u32_e32 v6, 2, v4
	v_cmp_lt_u32_e32 vcc, v6, v5
	v_add_u32_e32 v6, 4, v4
	s_waitcnt lgkmcnt(0)
	v_cndmask_b32_e32 v3, 0, v3, vcc
	v_cmp_gt_u32_e32 vcc, 60, v4
	v_add_u32_e32 v1, v1, v3
	v_cndmask_b32_e64 v3, 0, 4, vcc
	v_add_lshl_u32 v3, v3, v2, 2
	ds_bpermute_b32 v3, v3, v1
	v_cmp_lt_u32_e32 vcc, v6, v5
	v_add_u32_e32 v6, 8, v4
	s_waitcnt lgkmcnt(0)
	v_cndmask_b32_e32 v3, 0, v3, vcc
	v_cmp_gt_u32_e32 vcc, 56, v4
	v_add_u32_e32 v1, v1, v3
	v_cndmask_b32_e64 v3, 0, 8, vcc
	v_add_lshl_u32 v3, v3, v2, 2
	ds_bpermute_b32 v3, v3, v1
	;; [unrolled: 9-line block ×3, first 2 shown]
	v_cmp_lt_u32_e32 vcc, v6, v5
	v_add_u32_e32 v4, 32, v4
	s_waitcnt lgkmcnt(0)
	v_cndmask_b32_e32 v3, 0, v3, vcc
	v_add_u32_e32 v1, v1, v3
	v_lshlrev_b32_e32 v3, 2, v2
	v_or_b32_e32 v6, 0x80, v3
	ds_bpermute_b32 v6, v6, v1
	v_cmp_lt_u32_e32 vcc, v4, v5
	s_waitcnt lgkmcnt(0)
	v_cndmask_b32_e32 v4, 0, v6, vcc
	v_add_u32_e32 v1, v1, v4
	v_cmp_eq_u32_e32 vcc, 0, v2
	s_and_saveexec_b64 s[0:1], vcc
; %bb.89:
	v_lshrrev_b32_e32 v4, 4, v0
	v_and_b32_e32 v4, 12, v4
	ds_write_b32 v4, v1 offset:96
; %bb.90:
	s_or_b64 exec, exec, s[0:1]
	v_cmp_gt_u32_e32 vcc, 4, v0
	s_waitcnt lgkmcnt(0)
	s_barrier
	s_and_saveexec_b64 s[0:1], vcc
	s_cbranch_execz .LBB1683_92
; %bb.91:
	ds_read_b32 v1, v3 offset:96
	v_and_b32_e32 v4, 3, v2
	v_cmp_ne_u32_e32 vcc, 3, v4
	v_addc_co_u32_e32 v2, vcc, 0, v2, vcc
	v_lshlrev_b32_e32 v2, 2, v2
	s_waitcnt lgkmcnt(0)
	ds_bpermute_b32 v2, v2, v1
	s_add_i32 s2, s2, 63
	s_lshr_b32 s2, s2, 6
	v_add_u32_e32 v5, 1, v4
	v_cmp_gt_u32_e32 vcc, s2, v5
	s_waitcnt lgkmcnt(0)
	v_cndmask_b32_e32 v2, 0, v2, vcc
	v_add_u32_e32 v1, v2, v1
	v_or_b32_e32 v2, 8, v3
	ds_bpermute_b32 v2, v2, v1
	v_add_u32_e32 v3, 2, v4
	v_cmp_gt_u32_e32 vcc, s2, v3
	s_waitcnt lgkmcnt(0)
	v_cndmask_b32_e32 v2, 0, v2, vcc
	v_add_u32_e32 v1, v1, v2
.LBB1683_92:
	s_or_b64 exec, exec, s[0:1]
	v_cmp_eq_u32_e64 s[0:1], 0, v0
	s_and_b64 vcc, exec, s[14:15]
	s_cbranch_vccnz .LBB1683_15
.LBB1683_93:
	s_branch .LBB1683_142
.LBB1683_94:
	s_mov_b64 s[0:1], -1
                                        ; implicit-def: $vgpr1
.LBB1683_95:
	s_and_b64 vcc, exec, s[0:1]
	s_cbranch_vccz .LBB1683_133
; %bb.96:
	s_sub_i32 s48, s36, s16
	v_mov_b32_e32 v1, 0
	v_cmp_gt_u32_e32 vcc, s48, v0
	v_mov_b32_e32 v2, v1
	v_mov_b32_e32 v3, v1
	;; [unrolled: 1-line block ×15, first 2 shown]
	s_and_saveexec_b64 s[0:1], vcc
	s_cbranch_execz .LBB1683_98
; %bb.97:
	v_mov_b32_e32 v2, v1
	v_mov_b32_e32 v3, v1
	;; [unrolled: 1-line block ×15, first 2 shown]
	v_lshlrev_b32_e32 v1, 3, v0
	global_load_dwordx2 v[17:18], v1, s[34:35]
	global_load_dwordx2 v[19:20], v1, s[44:45]
	s_waitcnt vmcnt(0)
	v_cmp_neq_f64_e32 vcc, v[17:18], v[19:20]
	v_cndmask_b32_e64 v1, 0, 1, vcc
	v_and_b32_e32 v1, 0xffff, v1
.LBB1683_98:
	s_or_b64 exec, exec, s[0:1]
	v_or_b32_e32 v17, 0x100, v0
	v_cmp_gt_u32_e32 vcc, s48, v17
	s_and_saveexec_b64 s[2:3], vcc
	s_cbranch_execz .LBB1683_100
; %bb.99:
	v_lshlrev_b32_e32 v2, 3, v0
	global_load_dwordx2 v[17:18], v2, s[34:35] offset:2048
	global_load_dwordx2 v[19:20], v2, s[44:45] offset:2048
	s_waitcnt vmcnt(0)
	v_cmp_neq_f64_e64 s[0:1], v[17:18], v[19:20]
	v_cndmask_b32_e64 v2, 0, 1, s[0:1]
.LBB1683_100:
	s_or_b64 exec, exec, s[2:3]
	v_or_b32_e32 v17, 0x200, v0
	v_cmp_gt_u32_e64 s[0:1], s48, v17
	s_and_saveexec_b64 s[8:9], s[0:1]
	s_cbranch_execz .LBB1683_102
; %bb.101:
	v_lshlrev_b32_e32 v3, 3, v17
	global_load_dwordx2 v[17:18], v3, s[34:35]
	global_load_dwordx2 v[19:20], v3, s[44:45]
	s_waitcnt vmcnt(0)
	v_cmp_neq_f64_e64 s[2:3], v[17:18], v[19:20]
	v_cndmask_b32_e64 v3, 0, 1, s[2:3]
.LBB1683_102:
	s_or_b64 exec, exec, s[8:9]
	v_or_b32_e32 v17, 0x300, v0
	v_cmp_gt_u32_e64 s[2:3], s48, v17
	s_and_saveexec_b64 s[10:11], s[2:3]
	s_cbranch_execz .LBB1683_104
; %bb.103:
	v_lshlrev_b32_e32 v4, 3, v17
	global_load_dwordx2 v[17:18], v4, s[34:35]
	global_load_dwordx2 v[19:20], v4, s[44:45]
	s_waitcnt vmcnt(0)
	v_cmp_neq_f64_e64 s[8:9], v[17:18], v[19:20]
	v_cndmask_b32_e64 v4, 0, 1, s[8:9]
.LBB1683_104:
	;; [unrolled: 13-line block ×13, first 2 shown]
	s_or_b64 exec, exec, s[46:47]
	v_or_b32_e32 v17, 0xf00, v0
	v_cmp_gt_u32_e64 s[30:31], s48, v17
	s_and_saveexec_b64 s[46:47], s[30:31]
	s_cbranch_execz .LBB1683_128
; %bb.127:
	v_lshlrev_b32_e32 v18, 3, v17
	global_load_dwordx2 v[16:17], v18, s[34:35]
	s_nop 0
	global_load_dwordx2 v[18:19], v18, s[44:45]
	s_waitcnt vmcnt(0)
	v_cmp_neq_f64_e64 s[34:35], v[16:17], v[18:19]
	v_cndmask_b32_e64 v16, 0, 1, s[34:35]
.LBB1683_128:
	s_or_b64 exec, exec, s[46:47]
	v_cndmask_b32_e32 v2, 0, v2, vcc
	v_add_u32_e32 v1, v2, v1
	v_cndmask_b32_e64 v2, 0, v3, s[0:1]
	v_cndmask_b32_e64 v3, 0, v4, s[2:3]
	v_add3_u32 v1, v1, v2, v3
	v_cndmask_b32_e64 v2, 0, v5, s[8:9]
	v_cndmask_b32_e64 v3, 0, v6, s[10:11]
	v_add3_u32 v1, v1, v2, v3
	;; [unrolled: 3-line block ×7, first 2 shown]
	v_mbcnt_lo_u32_b32 v2, -1, 0
	v_mbcnt_hi_u32_b32 v2, -1, v2
	v_and_b32_e32 v4, 63, v2
	v_cmp_ne_u32_e32 vcc, 63, v4
	v_addc_co_u32_e32 v3, vcc, 0, v2, vcc
	v_lshlrev_b32_e32 v3, 2, v3
	ds_bpermute_b32 v3, v3, v1
	s_min_u32 s2, s48, 0x100
	v_and_b32_e32 v5, 0xc0, v0
	v_sub_u32_e64 v5, s2, v5 clamp
	v_add_u32_e32 v6, 1, v4
	v_cmp_lt_u32_e32 vcc, v6, v5
	s_waitcnt lgkmcnt(0)
	v_cndmask_b32_e32 v3, 0, v3, vcc
	v_cmp_gt_u32_e32 vcc, 62, v4
	v_add_u32_e32 v1, v1, v3
	v_cndmask_b32_e64 v3, 0, 2, vcc
	v_add_lshl_u32 v3, v3, v2, 2
	ds_bpermute_b32 v3, v3, v1
	v_add_u32_e32 v6, 2, v4
	v_cmp_lt_u32_e32 vcc, v6, v5
	v_add_u32_e32 v6, 4, v4
	s_waitcnt lgkmcnt(0)
	v_cndmask_b32_e32 v3, 0, v3, vcc
	v_cmp_gt_u32_e32 vcc, 60, v4
	v_add_u32_e32 v1, v1, v3
	v_cndmask_b32_e64 v3, 0, 4, vcc
	v_add_lshl_u32 v3, v3, v2, 2
	ds_bpermute_b32 v3, v3, v1
	v_cmp_lt_u32_e32 vcc, v6, v5
	v_add_u32_e32 v6, 8, v4
	s_waitcnt lgkmcnt(0)
	v_cndmask_b32_e32 v3, 0, v3, vcc
	v_cmp_gt_u32_e32 vcc, 56, v4
	v_add_u32_e32 v1, v1, v3
	v_cndmask_b32_e64 v3, 0, 8, vcc
	v_add_lshl_u32 v3, v3, v2, 2
	ds_bpermute_b32 v3, v3, v1
	;; [unrolled: 9-line block ×3, first 2 shown]
	v_cmp_lt_u32_e32 vcc, v6, v5
	v_add_u32_e32 v4, 32, v4
	s_waitcnt lgkmcnt(0)
	v_cndmask_b32_e32 v3, 0, v3, vcc
	v_add_u32_e32 v1, v1, v3
	v_lshlrev_b32_e32 v3, 2, v2
	v_or_b32_e32 v6, 0x80, v3
	ds_bpermute_b32 v6, v6, v1
	v_cmp_lt_u32_e32 vcc, v4, v5
	s_waitcnt lgkmcnt(0)
	v_cndmask_b32_e32 v4, 0, v6, vcc
	v_add_u32_e32 v1, v1, v4
	v_cmp_eq_u32_e32 vcc, 0, v2
	s_and_saveexec_b64 s[0:1], vcc
; %bb.129:
	v_lshrrev_b32_e32 v4, 4, v0
	v_and_b32_e32 v4, 12, v4
	ds_write_b32 v4, v1 offset:96
; %bb.130:
	s_or_b64 exec, exec, s[0:1]
	v_cmp_gt_u32_e32 vcc, 4, v0
	s_waitcnt lgkmcnt(0)
	s_barrier
	s_and_saveexec_b64 s[0:1], vcc
	s_cbranch_execz .LBB1683_132
; %bb.131:
	ds_read_b32 v1, v3 offset:96
	v_and_b32_e32 v4, 3, v2
	v_cmp_ne_u32_e32 vcc, 3, v4
	v_addc_co_u32_e32 v2, vcc, 0, v2, vcc
	v_lshlrev_b32_e32 v2, 2, v2
	s_waitcnt lgkmcnt(0)
	ds_bpermute_b32 v2, v2, v1
	s_add_i32 s2, s2, 63
	s_lshr_b32 s2, s2, 6
	v_add_u32_e32 v5, 1, v4
	v_cmp_gt_u32_e32 vcc, s2, v5
	s_waitcnt lgkmcnt(0)
	v_cndmask_b32_e32 v2, 0, v2, vcc
	v_add_u32_e32 v1, v2, v1
	v_or_b32_e32 v2, 8, v3
	ds_bpermute_b32 v2, v2, v1
	v_add_u32_e32 v3, 2, v4
	v_cmp_gt_u32_e32 vcc, s2, v3
	s_waitcnt lgkmcnt(0)
	v_cndmask_b32_e32 v2, 0, v2, vcc
	v_add_u32_e32 v1, v1, v2
.LBB1683_132:
	s_or_b64 exec, exec, s[0:1]
.LBB1683_133:
	v_cmp_eq_u32_e64 s[0:1], 0, v0
	s_branch .LBB1683_142
.LBB1683_134:
	s_cmp_eq_u32 s33, 8
	s_cbranch_scc0 .LBB1683_141
; %bb.135:
	s_mov_b32 s7, 0
	s_lshl_b32 s0, s6, 11
	s_mov_b32 s1, s7
	s_lshr_b64 s[2:3], s[36:37], 11
	s_lshl_b64 s[8:9], s[0:1], 3
	s_add_u32 s16, s40, s8
	s_addc_u32 s17, s41, s9
	s_add_u32 s18, s42, s8
	s_addc_u32 s19, s43, s9
	s_cmp_lg_u64 s[2:3], s[6:7]
	s_cbranch_scc0 .LBB1683_143
; %bb.136:
	v_lshlrev_b32_e32 v1, 3, v0
	global_load_dwordx2 v[4:5], v1, s[16:17]
	global_load_dwordx2 v[6:7], v1, s[18:19]
	global_load_dwordx2 v[8:9], v1, s[18:19] offset:2048
	global_load_dwordx2 v[10:11], v1, s[16:17] offset:2048
	v_mov_b32_e32 v2, s17
	v_add_co_u32_e32 v26, vcc, s16, v1
	v_addc_co_u32_e32 v30, vcc, 0, v2, vcc
	v_mov_b32_e32 v3, s19
	v_add_co_u32_e32 v31, vcc, s18, v1
	v_addc_co_u32_e32 v3, vcc, 0, v3, vcc
	v_add_co_u32_e32 v1, vcc, 0x1000, v26
	v_addc_co_u32_e32 v2, vcc, 0, v30, vcc
	;; [unrolled: 2-line block ×3, first 2 shown]
	global_load_dwordx2 v[14:15], v[1:2], off
	global_load_dwordx2 v[16:17], v[1:2], off offset:2048
	global_load_dwordx2 v[18:19], v[12:13], off
	global_load_dwordx2 v[20:21], v[12:13], off offset:2048
	v_add_co_u32_e32 v1, vcc, 0x2000, v26
	v_addc_co_u32_e32 v2, vcc, 0, v30, vcc
	v_add_co_u32_e32 v12, vcc, 0x2000, v31
	v_addc_co_u32_e32 v13, vcc, 0, v3, vcc
	global_load_dwordx2 v[22:23], v[1:2], off
	global_load_dwordx2 v[24:25], v[1:2], off offset:2048
	v_add_co_u32_e32 v1, vcc, 0x3000, v26
	global_load_dwordx2 v[26:27], v[12:13], off
	global_load_dwordx2 v[28:29], v[12:13], off offset:2048
	v_addc_co_u32_e32 v2, vcc, 0, v30, vcc
	v_add_co_u32_e32 v12, vcc, 0x3000, v31
	v_addc_co_u32_e32 v13, vcc, 0, v3, vcc
	global_load_dwordx2 v[30:31], v[12:13], off
	global_load_dwordx2 v[32:33], v[1:2], off
	global_load_dwordx2 v[34:35], v[1:2], off offset:2048
	global_load_dwordx2 v[36:37], v[12:13], off offset:2048
	v_mbcnt_lo_u32_b32 v1, -1, 0
	v_mbcnt_hi_u32_b32 v2, -1, v1
	v_lshlrev_b32_e32 v3, 2, v2
	s_waitcnt vmcnt(14)
	v_cmp_neq_f64_e32 vcc, v[4:5], v[6:7]
	v_cndmask_b32_e64 v1, 0, 1, vcc
	s_waitcnt vmcnt(12)
	v_cmp_neq_f64_e32 vcc, v[10:11], v[8:9]
	v_addc_co_u32_e32 v1, vcc, 0, v1, vcc
	s_waitcnt vmcnt(9)
	v_cmp_neq_f64_e32 vcc, v[14:15], v[18:19]
	v_cndmask_b32_e64 v4, 0, 1, vcc
	s_waitcnt vmcnt(8)
	v_cmp_neq_f64_e32 vcc, v[16:17], v[20:21]
	v_addc_co_u32_e32 v1, vcc, v1, v4, vcc
	;; [unrolled: 6-line block ×4, first 2 shown]
	s_nop 1
	v_add_u32_dpp v1, v1, v1 quad_perm:[1,0,3,2] row_mask:0xf bank_mask:0xf bound_ctrl:1
	v_or_b32_e32 v4, 0xfc, v3
	v_cmp_eq_u32_e32 vcc, 0, v2
	v_add_u32_dpp v1, v1, v1 quad_perm:[2,3,0,1] row_mask:0xf bank_mask:0xf bound_ctrl:1
	s_nop 1
	v_add_u32_dpp v1, v1, v1 row_ror:4 row_mask:0xf bank_mask:0xf bound_ctrl:1
	s_nop 1
	v_add_u32_dpp v1, v1, v1 row_ror:8 row_mask:0xf bank_mask:0xf bound_ctrl:1
	s_nop 1
	v_add_u32_dpp v1, v1, v1 row_bcast:15 row_mask:0xf bank_mask:0xf bound_ctrl:1
	s_nop 1
	v_add_u32_dpp v1, v1, v1 row_bcast:31 row_mask:0xf bank_mask:0xf bound_ctrl:1
	ds_bpermute_b32 v1, v4, v1
	s_and_saveexec_b64 s[2:3], vcc
	s_cbranch_execz .LBB1683_138
; %bb.137:
	v_lshrrev_b32_e32 v4, 4, v0
	v_and_b32_e32 v4, 12, v4
	s_waitcnt lgkmcnt(0)
	ds_write_b32 v4, v1 offset:80
.LBB1683_138:
	s_or_b64 exec, exec, s[2:3]
	v_cmp_gt_u32_e32 vcc, 64, v0
	s_waitcnt lgkmcnt(0)
	s_barrier
	s_and_saveexec_b64 s[2:3], vcc
	s_cbranch_execz .LBB1683_140
; %bb.139:
	v_and_b32_e32 v1, 3, v2
	v_lshlrev_b32_e32 v4, 2, v1
	ds_read_b32 v4, v4 offset:80
	v_cmp_ne_u32_e32 vcc, 3, v1
	v_addc_co_u32_e32 v1, vcc, 0, v2, vcc
	v_lshlrev_b32_e32 v1, 2, v1
	s_waitcnt lgkmcnt(0)
	ds_bpermute_b32 v1, v1, v4
	v_or_b32_e32 v2, 8, v3
	s_waitcnt lgkmcnt(0)
	v_add_u32_e32 v1, v1, v4
	ds_bpermute_b32 v2, v2, v1
	s_waitcnt lgkmcnt(0)
	v_add_u32_e32 v1, v2, v1
.LBB1683_140:
	s_or_b64 exec, exec, s[2:3]
	s_branch .LBB1683_165
.LBB1683_141:
                                        ; implicit-def: $vgpr1
.LBB1683_142:
	s_branch .LBB1683_224
.LBB1683_143:
                                        ; implicit-def: $vgpr1
	s_cbranch_execz .LBB1683_165
; %bb.144:
	s_sub_i32 s22, s36, s0
	v_mov_b32_e32 v1, 0
	v_cmp_gt_u32_e32 vcc, s22, v0
	v_mov_b32_e32 v2, v1
	v_mov_b32_e32 v3, v1
	;; [unrolled: 1-line block ×7, first 2 shown]
	s_and_saveexec_b64 s[0:1], vcc
	s_cbranch_execz .LBB1683_146
; %bb.145:
	v_lshlrev_b32_e32 v2, 3, v0
	global_load_dwordx2 v[9:10], v2, s[16:17]
	global_load_dwordx2 v[11:12], v2, s[18:19]
	v_mov_b32_e32 v3, v1
	v_mov_b32_e32 v4, v1
	;; [unrolled: 1-line block ×6, first 2 shown]
	s_waitcnt vmcnt(0)
	v_cmp_neq_f64_e32 vcc, v[9:10], v[11:12]
	v_mov_b32_e32 v9, v1
	v_cndmask_b32_e64 v2, 0, 1, vcc
	v_and_b32_e32 v2, 0xffff, v2
	v_mov_b32_e32 v1, v2
	v_mov_b32_e32 v2, v3
	;; [unrolled: 1-line block ×8, first 2 shown]
.LBB1683_146:
	s_or_b64 exec, exec, s[0:1]
	v_or_b32_e32 v9, 0x100, v0
	v_cmp_gt_u32_e32 vcc, s22, v9
	s_and_saveexec_b64 s[2:3], vcc
	s_cbranch_execz .LBB1683_148
; %bb.147:
	v_lshlrev_b32_e32 v2, 3, v0
	global_load_dwordx2 v[9:10], v2, s[16:17] offset:2048
	global_load_dwordx2 v[11:12], v2, s[18:19] offset:2048
	s_waitcnt vmcnt(0)
	v_cmp_neq_f64_e64 s[0:1], v[9:10], v[11:12]
	v_cndmask_b32_e64 v2, 0, 1, s[0:1]
.LBB1683_148:
	s_or_b64 exec, exec, s[2:3]
	v_or_b32_e32 v9, 0x200, v0
	v_cmp_gt_u32_e64 s[0:1], s22, v9
	s_and_saveexec_b64 s[8:9], s[0:1]
	s_cbranch_execz .LBB1683_150
; %bb.149:
	v_lshlrev_b32_e32 v3, 3, v9
	global_load_dwordx2 v[9:10], v3, s[16:17]
	global_load_dwordx2 v[11:12], v3, s[18:19]
	s_waitcnt vmcnt(0)
	v_cmp_neq_f64_e64 s[2:3], v[9:10], v[11:12]
	v_cndmask_b32_e64 v3, 0, 1, s[2:3]
.LBB1683_150:
	s_or_b64 exec, exec, s[8:9]
	v_or_b32_e32 v9, 0x300, v0
	v_cmp_gt_u32_e64 s[2:3], s22, v9
	s_and_saveexec_b64 s[10:11], s[2:3]
	s_cbranch_execz .LBB1683_152
; %bb.151:
	v_lshlrev_b32_e32 v4, 3, v9
	global_load_dwordx2 v[9:10], v4, s[16:17]
	global_load_dwordx2 v[11:12], v4, s[18:19]
	s_waitcnt vmcnt(0)
	v_cmp_neq_f64_e64 s[8:9], v[9:10], v[11:12]
	v_cndmask_b32_e64 v4, 0, 1, s[8:9]
.LBB1683_152:
	;; [unrolled: 13-line block ×6, first 2 shown]
	s_or_b64 exec, exec, s[20:21]
	v_cndmask_b32_e32 v2, 0, v2, vcc
	v_add_u32_e32 v1, v2, v1
	v_cndmask_b32_e64 v2, 0, v3, s[0:1]
	v_cndmask_b32_e64 v3, 0, v4, s[2:3]
	v_add3_u32 v1, v1, v2, v3
	v_cndmask_b32_e64 v2, 0, v5, s[8:9]
	v_cndmask_b32_e64 v3, 0, v6, s[10:11]
	v_add3_u32 v1, v1, v2, v3
	;; [unrolled: 3-line block ×3, first 2 shown]
	v_mbcnt_lo_u32_b32 v2, -1, 0
	v_mbcnt_hi_u32_b32 v2, -1, v2
	v_and_b32_e32 v4, 63, v2
	v_cmp_ne_u32_e32 vcc, 63, v4
	v_addc_co_u32_e32 v3, vcc, 0, v2, vcc
	v_lshlrev_b32_e32 v3, 2, v3
	ds_bpermute_b32 v3, v3, v1
	s_min_u32 s2, s22, 0x100
	v_and_b32_e32 v5, 0xc0, v0
	v_sub_u32_e64 v5, s2, v5 clamp
	v_add_u32_e32 v6, 1, v4
	v_cmp_lt_u32_e32 vcc, v6, v5
	s_waitcnt lgkmcnt(0)
	v_cndmask_b32_e32 v3, 0, v3, vcc
	v_cmp_gt_u32_e32 vcc, 62, v4
	v_add_u32_e32 v1, v1, v3
	v_cndmask_b32_e64 v3, 0, 2, vcc
	v_add_lshl_u32 v3, v3, v2, 2
	ds_bpermute_b32 v3, v3, v1
	v_add_u32_e32 v6, 2, v4
	v_cmp_lt_u32_e32 vcc, v6, v5
	v_add_u32_e32 v6, 4, v4
	s_waitcnt lgkmcnt(0)
	v_cndmask_b32_e32 v3, 0, v3, vcc
	v_cmp_gt_u32_e32 vcc, 60, v4
	v_add_u32_e32 v1, v1, v3
	v_cndmask_b32_e64 v3, 0, 4, vcc
	v_add_lshl_u32 v3, v3, v2, 2
	ds_bpermute_b32 v3, v3, v1
	v_cmp_lt_u32_e32 vcc, v6, v5
	v_add_u32_e32 v6, 8, v4
	s_waitcnt lgkmcnt(0)
	v_cndmask_b32_e32 v3, 0, v3, vcc
	v_cmp_gt_u32_e32 vcc, 56, v4
	v_add_u32_e32 v1, v1, v3
	v_cndmask_b32_e64 v3, 0, 8, vcc
	v_add_lshl_u32 v3, v3, v2, 2
	ds_bpermute_b32 v3, v3, v1
	;; [unrolled: 9-line block ×3, first 2 shown]
	v_cmp_lt_u32_e32 vcc, v6, v5
	v_add_u32_e32 v4, 32, v4
	s_waitcnt lgkmcnt(0)
	v_cndmask_b32_e32 v3, 0, v3, vcc
	v_add_u32_e32 v1, v1, v3
	v_lshlrev_b32_e32 v3, 2, v2
	v_or_b32_e32 v6, 0x80, v3
	ds_bpermute_b32 v6, v6, v1
	v_cmp_lt_u32_e32 vcc, v4, v5
	s_waitcnt lgkmcnt(0)
	v_cndmask_b32_e32 v4, 0, v6, vcc
	v_add_u32_e32 v1, v1, v4
	v_cmp_eq_u32_e32 vcc, 0, v2
	s_and_saveexec_b64 s[0:1], vcc
; %bb.161:
	v_lshrrev_b32_e32 v4, 4, v0
	v_and_b32_e32 v4, 12, v4
	ds_write_b32 v4, v1 offset:96
; %bb.162:
	s_or_b64 exec, exec, s[0:1]
	v_cmp_gt_u32_e32 vcc, 4, v0
	s_waitcnt lgkmcnt(0)
	s_barrier
	s_and_saveexec_b64 s[0:1], vcc
	s_cbranch_execz .LBB1683_164
; %bb.163:
	ds_read_b32 v1, v3 offset:96
	v_and_b32_e32 v4, 3, v2
	v_cmp_ne_u32_e32 vcc, 3, v4
	v_addc_co_u32_e32 v2, vcc, 0, v2, vcc
	v_lshlrev_b32_e32 v2, 2, v2
	s_waitcnt lgkmcnt(0)
	ds_bpermute_b32 v2, v2, v1
	s_add_i32 s2, s2, 63
	s_lshr_b32 s2, s2, 6
	v_add_u32_e32 v5, 1, v4
	v_cmp_gt_u32_e32 vcc, s2, v5
	s_waitcnt lgkmcnt(0)
	v_cndmask_b32_e32 v2, 0, v2, vcc
	v_add_u32_e32 v1, v2, v1
	v_or_b32_e32 v2, 8, v3
	ds_bpermute_b32 v2, v2, v1
	v_add_u32_e32 v3, 2, v4
	v_cmp_gt_u32_e32 vcc, s2, v3
	s_waitcnt lgkmcnt(0)
	v_cndmask_b32_e32 v2, 0, v2, vcc
	v_add_u32_e32 v1, v1, v2
.LBB1683_164:
	s_or_b64 exec, exec, s[0:1]
.LBB1683_165:
	v_cmp_eq_u32_e64 s[0:1], 0, v0
	s_branch .LBB1683_224
.LBB1683_166:
	s_cmp_gt_i32 s33, 1
	s_cbranch_scc0 .LBB1683_175
; %bb.167:
	s_cmp_gt_i32 s33, 3
	s_cbranch_scc0 .LBB1683_176
; %bb.168:
	s_cmp_eq_u32 s33, 4
	s_cbranch_scc0 .LBB1683_177
; %bb.169:
	s_mov_b32 s7, 0
	s_lshl_b32 s0, s6, 10
	s_mov_b32 s1, s7
	s_lshr_b64 s[2:3], s[36:37], 10
	s_lshl_b64 s[10:11], s[0:1], 3
	s_add_u32 s8, s40, s10
	s_addc_u32 s9, s41, s11
	s_add_u32 s10, s42, s10
	s_addc_u32 s11, s43, s11
	s_cmp_lg_u64 s[2:3], s[6:7]
	s_cbranch_scc0 .LBB1683_179
; %bb.170:
	v_lshlrev_b32_e32 v1, 3, v0
	v_mov_b32_e32 v2, s9
	v_add_co_u32_e32 v3, vcc, s8, v1
	v_addc_co_u32_e32 v2, vcc, 0, v2, vcc
	v_mov_b32_e32 v4, s11
	v_add_co_u32_e32 v12, vcc, s10, v1
	v_addc_co_u32_e32 v13, vcc, 0, v4, vcc
	global_load_dwordx2 v[4:5], v1, s[8:9]
	global_load_dwordx2 v[6:7], v1, s[10:11]
	global_load_dwordx2 v[8:9], v1, s[10:11] offset:2048
	global_load_dwordx2 v[10:11], v1, s[8:9] offset:2048
	v_add_co_u32_e32 v1, vcc, 0x1000, v3
	v_addc_co_u32_e32 v2, vcc, 0, v2, vcc
	v_add_co_u32_e32 v12, vcc, 0x1000, v12
	v_addc_co_u32_e32 v13, vcc, 0, v13, vcc
	global_load_dwordx2 v[14:15], v[12:13], off
	global_load_dwordx2 v[16:17], v[1:2], off
	global_load_dwordx2 v[18:19], v[1:2], off offset:2048
	global_load_dwordx2 v[20:21], v[12:13], off offset:2048
	v_mbcnt_lo_u32_b32 v1, -1, 0
	v_mbcnt_hi_u32_b32 v2, -1, v1
	v_lshlrev_b32_e32 v3, 2, v2
	s_waitcnt vmcnt(6)
	v_cmp_neq_f64_e32 vcc, v[4:5], v[6:7]
	v_cndmask_b32_e64 v1, 0, 1, vcc
	s_waitcnt vmcnt(4)
	v_cmp_neq_f64_e32 vcc, v[10:11], v[8:9]
	v_addc_co_u32_e32 v1, vcc, 0, v1, vcc
	s_waitcnt vmcnt(2)
	v_cmp_neq_f64_e32 vcc, v[16:17], v[14:15]
	v_cndmask_b32_e64 v4, 0, 1, vcc
	s_waitcnt vmcnt(0)
	v_cmp_neq_f64_e32 vcc, v[18:19], v[20:21]
	v_addc_co_u32_e32 v1, vcc, v1, v4, vcc
	s_nop 1
	v_add_u32_dpp v1, v1, v1 quad_perm:[1,0,3,2] row_mask:0xf bank_mask:0xf bound_ctrl:1
	v_or_b32_e32 v4, 0xfc, v3
	v_cmp_eq_u32_e32 vcc, 0, v2
	v_add_u32_dpp v1, v1, v1 quad_perm:[2,3,0,1] row_mask:0xf bank_mask:0xf bound_ctrl:1
	s_nop 1
	v_add_u32_dpp v1, v1, v1 row_ror:4 row_mask:0xf bank_mask:0xf bound_ctrl:1
	s_nop 1
	v_add_u32_dpp v1, v1, v1 row_ror:8 row_mask:0xf bank_mask:0xf bound_ctrl:1
	s_nop 1
	v_add_u32_dpp v1, v1, v1 row_bcast:15 row_mask:0xf bank_mask:0xf bound_ctrl:1
	s_nop 1
	v_add_u32_dpp v1, v1, v1 row_bcast:31 row_mask:0xf bank_mask:0xf bound_ctrl:1
	ds_bpermute_b32 v1, v4, v1
	s_and_saveexec_b64 s[2:3], vcc
	s_cbranch_execz .LBB1683_172
; %bb.171:
	v_lshrrev_b32_e32 v4, 4, v0
	v_and_b32_e32 v4, 12, v4
	s_waitcnt lgkmcnt(0)
	ds_write_b32 v4, v1 offset:64
.LBB1683_172:
	s_or_b64 exec, exec, s[2:3]
	v_cmp_gt_u32_e32 vcc, 64, v0
	s_waitcnt lgkmcnt(0)
	s_barrier
	s_and_saveexec_b64 s[2:3], vcc
	s_cbranch_execz .LBB1683_174
; %bb.173:
	v_and_b32_e32 v1, 3, v2
	v_lshlrev_b32_e32 v4, 2, v1
	ds_read_b32 v4, v4 offset:64
	v_cmp_ne_u32_e32 vcc, 3, v1
	v_addc_co_u32_e32 v1, vcc, 0, v2, vcc
	v_lshlrev_b32_e32 v1, 2, v1
	s_waitcnt lgkmcnt(0)
	ds_bpermute_b32 v1, v1, v4
	v_or_b32_e32 v2, 8, v3
	s_waitcnt lgkmcnt(0)
	v_add_u32_e32 v1, v1, v4
	ds_bpermute_b32 v2, v2, v1
	s_waitcnt lgkmcnt(0)
	v_add_u32_e32 v1, v2, v1
.LBB1683_174:
	s_or_b64 exec, exec, s[2:3]
	s_mov_b64 s[2:3], 0
	s_branch .LBB1683_180
.LBB1683_175:
                                        ; implicit-def: $vgpr1
	s_cbranch_execnz .LBB1683_215
	s_branch .LBB1683_224
.LBB1683_176:
                                        ; implicit-def: $vgpr1
	s_cbranch_execz .LBB1683_178
	s_branch .LBB1683_195
.LBB1683_177:
                                        ; implicit-def: $vgpr1
.LBB1683_178:
	s_branch .LBB1683_224
.LBB1683_179:
	s_mov_b64 s[2:3], -1
                                        ; implicit-def: $vgpr1
.LBB1683_180:
	s_and_b64 vcc, exec, s[2:3]
	s_cbranch_vccz .LBB1683_194
; %bb.181:
	s_sub_i32 s14, s36, s0
	v_mov_b32_e32 v1, 0
	v_cmp_gt_u32_e32 vcc, s14, v0
	v_mov_b32_e32 v2, v1
	v_mov_b32_e32 v3, v1
	;; [unrolled: 1-line block ×3, first 2 shown]
	s_and_saveexec_b64 s[0:1], vcc
	s_cbranch_execz .LBB1683_183
; %bb.182:
	v_lshlrev_b32_e32 v2, 3, v0
	global_load_dwordx2 v[5:6], v2, s[8:9]
	global_load_dwordx2 v[7:8], v2, s[10:11]
	v_mov_b32_e32 v3, v1
	v_mov_b32_e32 v4, v1
	s_waitcnt vmcnt(0)
	v_cmp_neq_f64_e32 vcc, v[5:6], v[7:8]
	v_mov_b32_e32 v5, v1
	v_cndmask_b32_e64 v2, 0, 1, vcc
	v_and_b32_e32 v2, 0xffff, v2
	v_mov_b32_e32 v1, v2
	v_mov_b32_e32 v2, v3
	v_mov_b32_e32 v3, v4
	v_mov_b32_e32 v4, v5
.LBB1683_183:
	s_or_b64 exec, exec, s[0:1]
	v_or_b32_e32 v5, 0x100, v0
	v_cmp_gt_u32_e32 vcc, s14, v5
	s_and_saveexec_b64 s[2:3], vcc
	s_cbranch_execz .LBB1683_185
; %bb.184:
	v_lshlrev_b32_e32 v2, 3, v0
	global_load_dwordx2 v[5:6], v2, s[8:9] offset:2048
	global_load_dwordx2 v[7:8], v2, s[10:11] offset:2048
	s_waitcnt vmcnt(0)
	v_cmp_neq_f64_e64 s[0:1], v[5:6], v[7:8]
	v_cndmask_b32_e64 v2, 0, 1, s[0:1]
.LBB1683_185:
	s_or_b64 exec, exec, s[2:3]
	v_or_b32_e32 v5, 0x200, v0
	v_cmp_gt_u32_e64 s[0:1], s14, v5
	s_and_saveexec_b64 s[12:13], s[0:1]
	s_cbranch_execz .LBB1683_187
; %bb.186:
	v_lshlrev_b32_e32 v3, 3, v5
	global_load_dwordx2 v[5:6], v3, s[8:9]
	global_load_dwordx2 v[7:8], v3, s[10:11]
	s_waitcnt vmcnt(0)
	v_cmp_neq_f64_e64 s[2:3], v[5:6], v[7:8]
	v_cndmask_b32_e64 v3, 0, 1, s[2:3]
.LBB1683_187:
	s_or_b64 exec, exec, s[12:13]
	v_or_b32_e32 v5, 0x300, v0
	v_cmp_gt_u32_e64 s[2:3], s14, v5
	s_and_saveexec_b64 s[12:13], s[2:3]
	s_cbranch_execz .LBB1683_189
; %bb.188:
	v_lshlrev_b32_e32 v8, 3, v5
	global_load_dwordx2 v[4:5], v8, s[8:9]
	global_load_dwordx2 v[6:7], v8, s[10:11]
	s_waitcnt vmcnt(0)
	v_cmp_neq_f64_e64 s[8:9], v[4:5], v[6:7]
	v_cndmask_b32_e64 v4, 0, 1, s[8:9]
.LBB1683_189:
	s_or_b64 exec, exec, s[12:13]
	v_cndmask_b32_e32 v2, 0, v2, vcc
	v_add_u32_e32 v1, v2, v1
	v_cndmask_b32_e64 v2, 0, v3, s[0:1]
	v_cndmask_b32_e64 v3, 0, v4, s[2:3]
	v_add3_u32 v1, v1, v2, v3
	v_mbcnt_lo_u32_b32 v2, -1, 0
	v_mbcnt_hi_u32_b32 v2, -1, v2
	v_and_b32_e32 v4, 63, v2
	v_cmp_ne_u32_e32 vcc, 63, v4
	v_addc_co_u32_e32 v3, vcc, 0, v2, vcc
	v_lshlrev_b32_e32 v3, 2, v3
	ds_bpermute_b32 v3, v3, v1
	s_min_u32 s2, s14, 0x100
	v_and_b32_e32 v5, 0xc0, v0
	v_sub_u32_e64 v5, s2, v5 clamp
	v_add_u32_e32 v6, 1, v4
	v_cmp_lt_u32_e32 vcc, v6, v5
	s_waitcnt lgkmcnt(0)
	v_cndmask_b32_e32 v3, 0, v3, vcc
	v_cmp_gt_u32_e32 vcc, 62, v4
	v_add_u32_e32 v1, v3, v1
	v_cndmask_b32_e64 v3, 0, 2, vcc
	v_add_lshl_u32 v3, v3, v2, 2
	ds_bpermute_b32 v3, v3, v1
	v_add_u32_e32 v6, 2, v4
	v_cmp_lt_u32_e32 vcc, v6, v5
	v_add_u32_e32 v6, 4, v4
	s_waitcnt lgkmcnt(0)
	v_cndmask_b32_e32 v3, 0, v3, vcc
	v_cmp_gt_u32_e32 vcc, 60, v4
	v_add_u32_e32 v1, v1, v3
	v_cndmask_b32_e64 v3, 0, 4, vcc
	v_add_lshl_u32 v3, v3, v2, 2
	ds_bpermute_b32 v3, v3, v1
	v_cmp_lt_u32_e32 vcc, v6, v5
	v_add_u32_e32 v6, 8, v4
	s_waitcnt lgkmcnt(0)
	v_cndmask_b32_e32 v3, 0, v3, vcc
	v_cmp_gt_u32_e32 vcc, 56, v4
	v_add_u32_e32 v1, v1, v3
	v_cndmask_b32_e64 v3, 0, 8, vcc
	v_add_lshl_u32 v3, v3, v2, 2
	ds_bpermute_b32 v3, v3, v1
	;; [unrolled: 9-line block ×3, first 2 shown]
	v_cmp_lt_u32_e32 vcc, v6, v5
	v_add_u32_e32 v4, 32, v4
	s_waitcnt lgkmcnt(0)
	v_cndmask_b32_e32 v3, 0, v3, vcc
	v_add_u32_e32 v1, v1, v3
	v_lshlrev_b32_e32 v3, 2, v2
	v_or_b32_e32 v6, 0x80, v3
	ds_bpermute_b32 v6, v6, v1
	v_cmp_lt_u32_e32 vcc, v4, v5
	s_waitcnt lgkmcnt(0)
	v_cndmask_b32_e32 v4, 0, v6, vcc
	v_add_u32_e32 v1, v1, v4
	v_cmp_eq_u32_e32 vcc, 0, v2
	s_and_saveexec_b64 s[0:1], vcc
; %bb.190:
	v_lshrrev_b32_e32 v4, 4, v0
	v_and_b32_e32 v4, 12, v4
	ds_write_b32 v4, v1 offset:96
; %bb.191:
	s_or_b64 exec, exec, s[0:1]
	v_cmp_gt_u32_e32 vcc, 4, v0
	s_waitcnt lgkmcnt(0)
	s_barrier
	s_and_saveexec_b64 s[0:1], vcc
	s_cbranch_execz .LBB1683_193
; %bb.192:
	ds_read_b32 v1, v3 offset:96
	v_and_b32_e32 v4, 3, v2
	v_cmp_ne_u32_e32 vcc, 3, v4
	v_addc_co_u32_e32 v2, vcc, 0, v2, vcc
	v_lshlrev_b32_e32 v2, 2, v2
	s_waitcnt lgkmcnt(0)
	ds_bpermute_b32 v2, v2, v1
	s_add_i32 s2, s2, 63
	s_lshr_b32 s2, s2, 6
	v_add_u32_e32 v5, 1, v4
	v_cmp_gt_u32_e32 vcc, s2, v5
	s_waitcnt lgkmcnt(0)
	v_cndmask_b32_e32 v2, 0, v2, vcc
	v_add_u32_e32 v1, v2, v1
	v_or_b32_e32 v2, 8, v3
	ds_bpermute_b32 v2, v2, v1
	v_add_u32_e32 v3, 2, v4
	v_cmp_gt_u32_e32 vcc, s2, v3
	s_waitcnt lgkmcnt(0)
	v_cndmask_b32_e32 v2, 0, v2, vcc
	v_add_u32_e32 v1, v1, v2
.LBB1683_193:
	s_or_b64 exec, exec, s[0:1]
.LBB1683_194:
	v_cmp_eq_u32_e64 s[0:1], 0, v0
	s_branch .LBB1683_178
.LBB1683_195:
	s_cmp_eq_u32 s33, 2
	s_cbranch_scc0 .LBB1683_202
; %bb.196:
	s_mov_b32 s7, 0
	s_lshl_b32 s10, s6, 9
	s_mov_b32 s11, s7
	s_lshr_b64 s[0:1], s[36:37], 9
	s_lshl_b64 s[8:9], s[10:11], 3
	s_add_u32 s2, s40, s8
	s_addc_u32 s3, s41, s9
	s_add_u32 s8, s42, s8
	s_addc_u32 s9, s43, s9
	s_cmp_lg_u64 s[0:1], s[6:7]
	s_cbranch_scc0 .LBB1683_203
; %bb.197:
	v_lshlrev_b32_e32 v9, 3, v0
	global_load_dwordx2 v[1:2], v9, s[2:3]
	global_load_dwordx2 v[3:4], v9, s[8:9]
	global_load_dwordx2 v[5:6], v9, s[8:9] offset:2048
	global_load_dwordx2 v[7:8], v9, s[2:3] offset:2048
	s_waitcnt vmcnt(2)
	v_cmp_neq_f64_e32 vcc, v[1:2], v[3:4]
	v_mbcnt_lo_u32_b32 v2, -1, 0
	v_mbcnt_hi_u32_b32 v2, -1, v2
	v_lshlrev_b32_e32 v3, 2, v2
	v_cndmask_b32_e64 v1, 0, 1, vcc
	s_waitcnt vmcnt(0)
	v_cmp_neq_f64_e32 vcc, v[7:8], v[5:6]
	v_addc_co_u32_e64 v4, s[0:1], 0, v1, vcc
	s_nop 1
	v_mov_b32_dpp v4, v4 quad_perm:[1,0,3,2] row_mask:0xf bank_mask:0xf bound_ctrl:1
	v_addc_co_u32_e32 v1, vcc, v4, v1, vcc
	v_or_b32_e32 v4, 0xfc, v3
	s_nop 0
	v_add_u32_dpp v1, v1, v1 quad_perm:[2,3,0,1] row_mask:0xf bank_mask:0xf bound_ctrl:1
	v_cmp_eq_u32_e32 vcc, 0, v2
	s_nop 0
	v_add_u32_dpp v1, v1, v1 row_ror:4 row_mask:0xf bank_mask:0xf bound_ctrl:1
	s_nop 1
	v_add_u32_dpp v1, v1, v1 row_ror:8 row_mask:0xf bank_mask:0xf bound_ctrl:1
	s_nop 1
	v_add_u32_dpp v1, v1, v1 row_bcast:15 row_mask:0xf bank_mask:0xf bound_ctrl:1
	s_nop 1
	v_add_u32_dpp v1, v1, v1 row_bcast:31 row_mask:0xf bank_mask:0xf bound_ctrl:1
	ds_bpermute_b32 v1, v4, v1
	s_and_saveexec_b64 s[0:1], vcc
	s_cbranch_execz .LBB1683_199
; %bb.198:
	v_lshrrev_b32_e32 v4, 4, v0
	v_and_b32_e32 v4, 12, v4
	s_waitcnt lgkmcnt(0)
	ds_write_b32 v4, v1 offset:32
.LBB1683_199:
	s_or_b64 exec, exec, s[0:1]
	v_cmp_gt_u32_e32 vcc, 64, v0
	s_waitcnt lgkmcnt(0)
	s_barrier
	s_and_saveexec_b64 s[0:1], vcc
	s_cbranch_execz .LBB1683_201
; %bb.200:
	v_and_b32_e32 v1, 3, v2
	v_lshlrev_b32_e32 v4, 2, v1
	ds_read_b32 v4, v4 offset:32
	v_cmp_ne_u32_e32 vcc, 3, v1
	v_addc_co_u32_e32 v1, vcc, 0, v2, vcc
	v_lshlrev_b32_e32 v1, 2, v1
	s_waitcnt lgkmcnt(0)
	ds_bpermute_b32 v1, v1, v4
	v_or_b32_e32 v2, 8, v3
	s_waitcnt lgkmcnt(0)
	v_add_u32_e32 v1, v1, v4
	ds_bpermute_b32 v2, v2, v1
	s_waitcnt lgkmcnt(0)
	v_add_u32_e32 v1, v2, v1
.LBB1683_201:
	s_or_b64 exec, exec, s[0:1]
	s_mov_b64 s[0:1], 0
	s_branch .LBB1683_204
.LBB1683_202:
                                        ; implicit-def: $vgpr1
	s_branch .LBB1683_224
.LBB1683_203:
	s_mov_b64 s[0:1], -1
                                        ; implicit-def: $vgpr1
.LBB1683_204:
	s_and_b64 vcc, exec, s[0:1]
	s_cbranch_vccz .LBB1683_214
; %bb.205:
	s_sub_i32 s12, s36, s10
	v_mov_b32_e32 v1, 0
	v_cmp_gt_u32_e32 vcc, s12, v0
	v_mov_b32_e32 v2, v1
	s_and_saveexec_b64 s[0:1], vcc
	s_cbranch_execz .LBB1683_207
; %bb.206:
	v_lshlrev_b32_e32 v6, 3, v0
	global_load_dwordx2 v[2:3], v6, s[2:3]
	global_load_dwordx2 v[4:5], v6, s[8:9]
	s_waitcnt vmcnt(0)
	v_cmp_neq_f64_e32 vcc, v[2:3], v[4:5]
	v_mov_b32_e32 v3, v1
	v_cndmask_b32_e64 v2, 0, 1, vcc
	v_and_b32_e32 v2, 0xffff, v2
	v_mov_b32_e32 v1, v2
	v_mov_b32_e32 v2, v3
.LBB1683_207:
	s_or_b64 exec, exec, s[0:1]
	v_or_b32_e32 v3, 0x100, v0
	v_cmp_gt_u32_e32 vcc, s12, v3
	s_and_saveexec_b64 s[10:11], vcc
	s_cbranch_execz .LBB1683_209
; %bb.208:
	v_lshlrev_b32_e32 v6, 3, v0
	global_load_dwordx2 v[2:3], v6, s[2:3] offset:2048
	global_load_dwordx2 v[4:5], v6, s[8:9] offset:2048
	s_waitcnt vmcnt(0)
	v_cmp_neq_f64_e64 s[0:1], v[2:3], v[4:5]
	v_cndmask_b32_e64 v2, 0, 1, s[0:1]
.LBB1683_209:
	s_or_b64 exec, exec, s[10:11]
	v_cndmask_b32_e32 v2, 0, v2, vcc
	v_add_u32_e32 v1, v2, v1
	v_mbcnt_lo_u32_b32 v2, -1, 0
	v_mbcnt_hi_u32_b32 v2, -1, v2
	v_and_b32_e32 v4, 63, v2
	v_cmp_ne_u32_e32 vcc, 63, v4
	v_addc_co_u32_e32 v3, vcc, 0, v2, vcc
	v_lshlrev_b32_e32 v3, 2, v3
	ds_bpermute_b32 v3, v3, v1
	s_min_u32 s2, s12, 0x100
	v_and_b32_e32 v5, 0xc0, v0
	v_sub_u32_e64 v5, s2, v5 clamp
	v_add_u32_e32 v6, 1, v4
	v_cmp_lt_u32_e32 vcc, v6, v5
	s_waitcnt lgkmcnt(0)
	v_cndmask_b32_e32 v3, 0, v3, vcc
	v_cmp_gt_u32_e32 vcc, 62, v4
	v_add_u32_e32 v1, v3, v1
	v_cndmask_b32_e64 v3, 0, 2, vcc
	v_add_lshl_u32 v3, v3, v2, 2
	ds_bpermute_b32 v3, v3, v1
	v_add_u32_e32 v6, 2, v4
	v_cmp_lt_u32_e32 vcc, v6, v5
	v_add_u32_e32 v6, 4, v4
	s_waitcnt lgkmcnt(0)
	v_cndmask_b32_e32 v3, 0, v3, vcc
	v_cmp_gt_u32_e32 vcc, 60, v4
	v_add_u32_e32 v1, v1, v3
	v_cndmask_b32_e64 v3, 0, 4, vcc
	v_add_lshl_u32 v3, v3, v2, 2
	ds_bpermute_b32 v3, v3, v1
	v_cmp_lt_u32_e32 vcc, v6, v5
	v_add_u32_e32 v6, 8, v4
	s_waitcnt lgkmcnt(0)
	v_cndmask_b32_e32 v3, 0, v3, vcc
	v_cmp_gt_u32_e32 vcc, 56, v4
	v_add_u32_e32 v1, v1, v3
	v_cndmask_b32_e64 v3, 0, 8, vcc
	v_add_lshl_u32 v3, v3, v2, 2
	ds_bpermute_b32 v3, v3, v1
	v_cmp_lt_u32_e32 vcc, v6, v5
	v_add_u32_e32 v6, 16, v4
	s_waitcnt lgkmcnt(0)
	v_cndmask_b32_e32 v3, 0, v3, vcc
	v_cmp_gt_u32_e32 vcc, 48, v4
	v_add_u32_e32 v1, v1, v3
	v_cndmask_b32_e64 v3, 0, 16, vcc
	v_add_lshl_u32 v3, v3, v2, 2
	ds_bpermute_b32 v3, v3, v1
	v_cmp_lt_u32_e32 vcc, v6, v5
	v_add_u32_e32 v4, 32, v4
	s_waitcnt lgkmcnt(0)
	v_cndmask_b32_e32 v3, 0, v3, vcc
	v_add_u32_e32 v1, v1, v3
	v_lshlrev_b32_e32 v3, 2, v2
	v_or_b32_e32 v6, 0x80, v3
	ds_bpermute_b32 v6, v6, v1
	v_cmp_lt_u32_e32 vcc, v4, v5
	s_waitcnt lgkmcnt(0)
	v_cndmask_b32_e32 v4, 0, v6, vcc
	v_add_u32_e32 v1, v1, v4
	v_cmp_eq_u32_e32 vcc, 0, v2
	s_and_saveexec_b64 s[0:1], vcc
; %bb.210:
	v_lshrrev_b32_e32 v4, 4, v0
	v_and_b32_e32 v4, 12, v4
	ds_write_b32 v4, v1 offset:96
; %bb.211:
	s_or_b64 exec, exec, s[0:1]
	v_cmp_gt_u32_e32 vcc, 4, v0
	s_waitcnt lgkmcnt(0)
	s_barrier
	s_and_saveexec_b64 s[0:1], vcc
	s_cbranch_execz .LBB1683_213
; %bb.212:
	ds_read_b32 v1, v3 offset:96
	v_and_b32_e32 v4, 3, v2
	v_cmp_ne_u32_e32 vcc, 3, v4
	v_addc_co_u32_e32 v2, vcc, 0, v2, vcc
	v_lshlrev_b32_e32 v2, 2, v2
	s_waitcnt lgkmcnt(0)
	ds_bpermute_b32 v2, v2, v1
	s_add_i32 s2, s2, 63
	s_lshr_b32 s2, s2, 6
	v_add_u32_e32 v5, 1, v4
	v_cmp_gt_u32_e32 vcc, s2, v5
	s_waitcnt lgkmcnt(0)
	v_cndmask_b32_e32 v2, 0, v2, vcc
	v_add_u32_e32 v1, v2, v1
	v_or_b32_e32 v2, 8, v3
	ds_bpermute_b32 v2, v2, v1
	v_add_u32_e32 v3, 2, v4
	v_cmp_gt_u32_e32 vcc, s2, v3
	s_waitcnt lgkmcnt(0)
	v_cndmask_b32_e32 v2, 0, v2, vcc
	v_add_u32_e32 v1, v1, v2
.LBB1683_213:
	s_or_b64 exec, exec, s[0:1]
.LBB1683_214:
	v_cmp_eq_u32_e64 s[0:1], 0, v0
	s_branch .LBB1683_224
.LBB1683_215:
	s_cmp_eq_u32 s33, 1
	s_cbranch_scc0 .LBB1683_223
; %bb.216:
	s_mov_b32 s3, 0
	s_lshl_b32 s2, s6, 8
	s_mov_b32 s7, s3
	s_lshr_b64 s[0:1], s[36:37], 8
	s_cmp_lg_u64 s[0:1], s[6:7]
	v_mbcnt_lo_u32_b32 v2, -1, 0
	s_cbranch_scc0 .LBB1683_227
; %bb.217:
	s_lshl_b64 s[0:1], s[2:3], 3
	s_add_u32 s8, s40, s0
	s_addc_u32 s9, s41, s1
	s_add_u32 s0, s42, s0
	v_lshlrev_b32_e32 v1, 3, v0
	s_addc_u32 s1, s43, s1
	global_load_dwordx2 v[3:4], v1, s[8:9]
	global_load_dwordx2 v[5:6], v1, s[0:1]
	s_waitcnt vmcnt(0)
	v_cmp_neq_f64_e32 vcc, v[3:4], v[5:6]
	v_mbcnt_hi_u32_b32 v3, -1, v2
	v_lshlrev_b32_e32 v4, 2, v3
	v_cndmask_b32_e64 v1, 0, 1, vcc
	s_nop 1
	v_mov_b32_dpp v1, v1 quad_perm:[1,0,3,2] row_mask:0xf bank_mask:0xf bound_ctrl:1
	v_addc_co_u32_e64 v5, s[0:1], 0, v1, vcc
	s_nop 1
	v_mov_b32_dpp v5, v5 quad_perm:[2,3,0,1] row_mask:0xf bank_mask:0xf bound_ctrl:1
	v_addc_co_u32_e32 v1, vcc, v5, v1, vcc
	v_or_b32_e32 v5, 0xfc, v4
	s_nop 0
	v_add_u32_dpp v1, v1, v1 row_ror:4 row_mask:0xf bank_mask:0xf bound_ctrl:1
	v_cmp_eq_u32_e32 vcc, 0, v3
	s_nop 0
	v_add_u32_dpp v1, v1, v1 row_ror:8 row_mask:0xf bank_mask:0xf bound_ctrl:1
	s_nop 1
	v_add_u32_dpp v1, v1, v1 row_bcast:15 row_mask:0xf bank_mask:0xf bound_ctrl:1
	s_nop 1
	v_add_u32_dpp v1, v1, v1 row_bcast:31 row_mask:0xf bank_mask:0xf bound_ctrl:1
	ds_bpermute_b32 v1, v5, v1
	s_and_saveexec_b64 s[0:1], vcc
	s_cbranch_execz .LBB1683_219
; %bb.218:
	v_lshrrev_b32_e32 v5, 4, v0
	v_and_b32_e32 v5, 12, v5
	s_waitcnt lgkmcnt(0)
	ds_write_b32 v5, v1 offset:16
.LBB1683_219:
	s_or_b64 exec, exec, s[0:1]
	v_cmp_gt_u32_e32 vcc, 64, v0
	s_waitcnt lgkmcnt(0)
	s_barrier
	s_and_saveexec_b64 s[0:1], vcc
	s_cbranch_execz .LBB1683_221
; %bb.220:
	v_and_b32_e32 v1, 3, v3
	v_lshlrev_b32_e32 v5, 2, v1
	ds_read_b32 v5, v5 offset:16
	v_cmp_ne_u32_e32 vcc, 3, v1
	v_addc_co_u32_e32 v1, vcc, 0, v3, vcc
	v_lshlrev_b32_e32 v1, 2, v1
	s_waitcnt lgkmcnt(0)
	ds_bpermute_b32 v1, v1, v5
	v_or_b32_e32 v3, 8, v4
	s_waitcnt lgkmcnt(0)
	v_add_u32_e32 v1, v1, v5
	ds_bpermute_b32 v3, v3, v1
	s_waitcnt lgkmcnt(0)
	v_add_u32_e32 v1, v3, v1
.LBB1683_221:
	s_or_b64 exec, exec, s[0:1]
.LBB1683_222:
	v_cmp_eq_u32_e64 s[0:1], 0, v0
	s_and_saveexec_b64 s[2:3], s[0:1]
	s_cbranch_execnz .LBB1683_225
	s_branch .LBB1683_226
.LBB1683_223:
                                        ; implicit-def: $vgpr1
                                        ; implicit-def: $sgpr6_sgpr7
.LBB1683_224:
	s_and_saveexec_b64 s[2:3], s[0:1]
	s_cbranch_execz .LBB1683_226
.LBB1683_225:
	s_lshl_b64 s[0:1], s[6:7], 2
	s_load_dword s2, s[4:5], 0x30
	s_add_u32 s0, s38, s0
	s_addc_u32 s1, s39, s1
	s_cmp_lg_u64 s[36:37], 0
	s_cselect_b64 vcc, -1, 0
	v_cndmask_b32_e32 v1, 0, v1, vcc
	v_mov_b32_e32 v0, 0
	s_waitcnt lgkmcnt(0)
	v_add_u32_e32 v1, s2, v1
	global_store_dword v0, v1, s[0:1]
.LBB1683_226:
	s_endpgm
.LBB1683_227:
                                        ; implicit-def: $vgpr1
	s_cbranch_execz .LBB1683_222
; %bb.228:
	s_sub_i32 s8, s36, s2
	v_cmp_gt_u32_e32 vcc, s8, v0
                                        ; implicit-def: $vgpr1
	s_and_saveexec_b64 s[0:1], vcc
	s_cbranch_execz .LBB1683_230
; %bb.229:
	s_lshl_b64 s[2:3], s[2:3], 3
	s_add_u32 s10, s42, s2
	s_addc_u32 s11, s43, s3
	s_add_u32 s2, s40, s2
	v_lshlrev_b32_e32 v1, 3, v0
	s_addc_u32 s3, s41, s3
	global_load_dwordx2 v[3:4], v1, s[2:3]
	global_load_dwordx2 v[5:6], v1, s[10:11]
	s_waitcnt vmcnt(0)
	v_cmp_neq_f64_e32 vcc, v[3:4], v[5:6]
	v_cndmask_b32_e64 v1, 0, 1, vcc
.LBB1683_230:
	s_or_b64 exec, exec, s[0:1]
	v_mbcnt_hi_u32_b32 v2, -1, v2
	v_and_b32_e32 v4, 63, v2
	v_cmp_ne_u32_e32 vcc, 63, v4
	v_addc_co_u32_e32 v3, vcc, 0, v2, vcc
	v_lshlrev_b32_e32 v3, 2, v3
	ds_bpermute_b32 v3, v3, v1
	s_min_u32 s2, s8, 0x100
	v_and_b32_e32 v5, 0xc0, v0
	v_sub_u32_e64 v5, s2, v5 clamp
	v_add_u32_e32 v6, 1, v4
	v_cmp_lt_u32_e32 vcc, v6, v5
	s_waitcnt lgkmcnt(0)
	v_cndmask_b32_e32 v3, 0, v3, vcc
	v_cmp_gt_u32_e32 vcc, 62, v4
	v_add_u32_e32 v1, v3, v1
	v_cndmask_b32_e64 v3, 0, 2, vcc
	v_add_lshl_u32 v3, v3, v2, 2
	ds_bpermute_b32 v3, v3, v1
	v_add_u32_e32 v6, 2, v4
	v_cmp_lt_u32_e32 vcc, v6, v5
	v_add_u32_e32 v6, 4, v4
	s_waitcnt lgkmcnt(0)
	v_cndmask_b32_e32 v3, 0, v3, vcc
	v_cmp_gt_u32_e32 vcc, 60, v4
	v_add_u32_e32 v1, v1, v3
	v_cndmask_b32_e64 v3, 0, 4, vcc
	v_add_lshl_u32 v3, v3, v2, 2
	ds_bpermute_b32 v3, v3, v1
	v_cmp_lt_u32_e32 vcc, v6, v5
	v_add_u32_e32 v6, 8, v4
	s_waitcnt lgkmcnt(0)
	v_cndmask_b32_e32 v3, 0, v3, vcc
	v_cmp_gt_u32_e32 vcc, 56, v4
	v_add_u32_e32 v1, v1, v3
	v_cndmask_b32_e64 v3, 0, 8, vcc
	v_add_lshl_u32 v3, v3, v2, 2
	ds_bpermute_b32 v3, v3, v1
	;; [unrolled: 9-line block ×3, first 2 shown]
	v_cmp_lt_u32_e32 vcc, v6, v5
	v_add_u32_e32 v4, 32, v4
	s_waitcnt lgkmcnt(0)
	v_cndmask_b32_e32 v3, 0, v3, vcc
	v_add_u32_e32 v1, v1, v3
	v_lshlrev_b32_e32 v3, 2, v2
	v_or_b32_e32 v6, 0x80, v3
	ds_bpermute_b32 v6, v6, v1
	v_cmp_lt_u32_e32 vcc, v4, v5
	s_waitcnt lgkmcnt(0)
	v_cndmask_b32_e32 v4, 0, v6, vcc
	v_add_u32_e32 v1, v1, v4
	v_cmp_eq_u32_e32 vcc, 0, v2
	s_and_saveexec_b64 s[0:1], vcc
; %bb.231:
	v_lshrrev_b32_e32 v4, 4, v0
	v_and_b32_e32 v4, 12, v4
	ds_write_b32 v4, v1 offset:96
; %bb.232:
	s_or_b64 exec, exec, s[0:1]
	v_cmp_gt_u32_e32 vcc, 4, v0
	s_waitcnt lgkmcnt(0)
	s_barrier
	s_and_saveexec_b64 s[0:1], vcc
	s_cbranch_execz .LBB1683_234
; %bb.233:
	ds_read_b32 v1, v3 offset:96
	v_and_b32_e32 v4, 3, v2
	v_cmp_ne_u32_e32 vcc, 3, v4
	v_addc_co_u32_e32 v2, vcc, 0, v2, vcc
	v_lshlrev_b32_e32 v2, 2, v2
	s_waitcnt lgkmcnt(0)
	ds_bpermute_b32 v2, v2, v1
	s_add_i32 s2, s2, 63
	s_lshr_b32 s2, s2, 6
	v_add_u32_e32 v5, 1, v4
	v_cmp_gt_u32_e32 vcc, s2, v5
	s_waitcnt lgkmcnt(0)
	v_cndmask_b32_e32 v2, 0, v2, vcc
	v_add_u32_e32 v1, v2, v1
	v_or_b32_e32 v2, 8, v3
	ds_bpermute_b32 v2, v2, v1
	v_add_u32_e32 v3, 2, v4
	v_cmp_gt_u32_e32 vcc, s2, v3
	s_waitcnt lgkmcnt(0)
	v_cndmask_b32_e32 v2, 0, v2, vcc
	v_add_u32_e32 v1, v1, v2
.LBB1683_234:
	s_or_b64 exec, exec, s[0:1]
	v_cmp_eq_u32_e64 s[0:1], 0, v0
	s_and_saveexec_b64 s[2:3], s[0:1]
	s_cbranch_execnz .LBB1683_225
	s_branch .LBB1683_226
	.section	.rodata,"a",@progbits
	.p2align	6, 0x0
	.amdhsa_kernel _ZN7rocprim17ROCPRIM_400000_NS6detail17trampoline_kernelINS0_14default_configENS1_22reduce_config_selectorIiEEZNS1_11reduce_implILb1ES3_N6thrust23THRUST_200600_302600_NS11hip_rocprim35transform_pair_of_input_iterators_tIiPdSB_NS8_12not_equal_toIdEEEEPiiNS8_4plusIiEEEE10hipError_tPvRmT1_T2_T3_mT4_P12ihipStream_tbEUlT_E1_NS1_11comp_targetILNS1_3genE2ELNS1_11target_archE906ELNS1_3gpuE6ELNS1_3repE0EEENS1_30default_config_static_selectorELNS0_4arch9wavefront6targetE1EEEvSL_
		.amdhsa_group_segment_fixed_size 112
		.amdhsa_private_segment_fixed_size 0
		.amdhsa_kernarg_size 56
		.amdhsa_user_sgpr_count 6
		.amdhsa_user_sgpr_private_segment_buffer 1
		.amdhsa_user_sgpr_dispatch_ptr 0
		.amdhsa_user_sgpr_queue_ptr 0
		.amdhsa_user_sgpr_kernarg_segment_ptr 1
		.amdhsa_user_sgpr_dispatch_id 0
		.amdhsa_user_sgpr_flat_scratch_init 0
		.amdhsa_user_sgpr_private_segment_size 0
		.amdhsa_uses_dynamic_stack 0
		.amdhsa_system_sgpr_private_segment_wavefront_offset 0
		.amdhsa_system_sgpr_workgroup_id_x 1
		.amdhsa_system_sgpr_workgroup_id_y 0
		.amdhsa_system_sgpr_workgroup_id_z 0
		.amdhsa_system_sgpr_workgroup_info 0
		.amdhsa_system_vgpr_workitem_id 0
		.amdhsa_next_free_vgpr 44
		.amdhsa_next_free_sgpr 49
		.amdhsa_reserve_vcc 1
		.amdhsa_reserve_flat_scratch 0
		.amdhsa_float_round_mode_32 0
		.amdhsa_float_round_mode_16_64 0
		.amdhsa_float_denorm_mode_32 3
		.amdhsa_float_denorm_mode_16_64 3
		.amdhsa_dx10_clamp 1
		.amdhsa_ieee_mode 1
		.amdhsa_fp16_overflow 0
		.amdhsa_exception_fp_ieee_invalid_op 0
		.amdhsa_exception_fp_denorm_src 0
		.amdhsa_exception_fp_ieee_div_zero 0
		.amdhsa_exception_fp_ieee_overflow 0
		.amdhsa_exception_fp_ieee_underflow 0
		.amdhsa_exception_fp_ieee_inexact 0
		.amdhsa_exception_int_div_zero 0
	.end_amdhsa_kernel
	.section	.text._ZN7rocprim17ROCPRIM_400000_NS6detail17trampoline_kernelINS0_14default_configENS1_22reduce_config_selectorIiEEZNS1_11reduce_implILb1ES3_N6thrust23THRUST_200600_302600_NS11hip_rocprim35transform_pair_of_input_iterators_tIiPdSB_NS8_12not_equal_toIdEEEEPiiNS8_4plusIiEEEE10hipError_tPvRmT1_T2_T3_mT4_P12ihipStream_tbEUlT_E1_NS1_11comp_targetILNS1_3genE2ELNS1_11target_archE906ELNS1_3gpuE6ELNS1_3repE0EEENS1_30default_config_static_selectorELNS0_4arch9wavefront6targetE1EEEvSL_,"axG",@progbits,_ZN7rocprim17ROCPRIM_400000_NS6detail17trampoline_kernelINS0_14default_configENS1_22reduce_config_selectorIiEEZNS1_11reduce_implILb1ES3_N6thrust23THRUST_200600_302600_NS11hip_rocprim35transform_pair_of_input_iterators_tIiPdSB_NS8_12not_equal_toIdEEEEPiiNS8_4plusIiEEEE10hipError_tPvRmT1_T2_T3_mT4_P12ihipStream_tbEUlT_E1_NS1_11comp_targetILNS1_3genE2ELNS1_11target_archE906ELNS1_3gpuE6ELNS1_3repE0EEENS1_30default_config_static_selectorELNS0_4arch9wavefront6targetE1EEEvSL_,comdat
.Lfunc_end1683:
	.size	_ZN7rocprim17ROCPRIM_400000_NS6detail17trampoline_kernelINS0_14default_configENS1_22reduce_config_selectorIiEEZNS1_11reduce_implILb1ES3_N6thrust23THRUST_200600_302600_NS11hip_rocprim35transform_pair_of_input_iterators_tIiPdSB_NS8_12not_equal_toIdEEEEPiiNS8_4plusIiEEEE10hipError_tPvRmT1_T2_T3_mT4_P12ihipStream_tbEUlT_E1_NS1_11comp_targetILNS1_3genE2ELNS1_11target_archE906ELNS1_3gpuE6ELNS1_3repE0EEENS1_30default_config_static_selectorELNS0_4arch9wavefront6targetE1EEEvSL_, .Lfunc_end1683-_ZN7rocprim17ROCPRIM_400000_NS6detail17trampoline_kernelINS0_14default_configENS1_22reduce_config_selectorIiEEZNS1_11reduce_implILb1ES3_N6thrust23THRUST_200600_302600_NS11hip_rocprim35transform_pair_of_input_iterators_tIiPdSB_NS8_12not_equal_toIdEEEEPiiNS8_4plusIiEEEE10hipError_tPvRmT1_T2_T3_mT4_P12ihipStream_tbEUlT_E1_NS1_11comp_targetILNS1_3genE2ELNS1_11target_archE906ELNS1_3gpuE6ELNS1_3repE0EEENS1_30default_config_static_selectorELNS0_4arch9wavefront6targetE1EEEvSL_
                                        ; -- End function
	.set _ZN7rocprim17ROCPRIM_400000_NS6detail17trampoline_kernelINS0_14default_configENS1_22reduce_config_selectorIiEEZNS1_11reduce_implILb1ES3_N6thrust23THRUST_200600_302600_NS11hip_rocprim35transform_pair_of_input_iterators_tIiPdSB_NS8_12not_equal_toIdEEEEPiiNS8_4plusIiEEEE10hipError_tPvRmT1_T2_T3_mT4_P12ihipStream_tbEUlT_E1_NS1_11comp_targetILNS1_3genE2ELNS1_11target_archE906ELNS1_3gpuE6ELNS1_3repE0EEENS1_30default_config_static_selectorELNS0_4arch9wavefront6targetE1EEEvSL_.num_vgpr, 44
	.set _ZN7rocprim17ROCPRIM_400000_NS6detail17trampoline_kernelINS0_14default_configENS1_22reduce_config_selectorIiEEZNS1_11reduce_implILb1ES3_N6thrust23THRUST_200600_302600_NS11hip_rocprim35transform_pair_of_input_iterators_tIiPdSB_NS8_12not_equal_toIdEEEEPiiNS8_4plusIiEEEE10hipError_tPvRmT1_T2_T3_mT4_P12ihipStream_tbEUlT_E1_NS1_11comp_targetILNS1_3genE2ELNS1_11target_archE906ELNS1_3gpuE6ELNS1_3repE0EEENS1_30default_config_static_selectorELNS0_4arch9wavefront6targetE1EEEvSL_.num_agpr, 0
	.set _ZN7rocprim17ROCPRIM_400000_NS6detail17trampoline_kernelINS0_14default_configENS1_22reduce_config_selectorIiEEZNS1_11reduce_implILb1ES3_N6thrust23THRUST_200600_302600_NS11hip_rocprim35transform_pair_of_input_iterators_tIiPdSB_NS8_12not_equal_toIdEEEEPiiNS8_4plusIiEEEE10hipError_tPvRmT1_T2_T3_mT4_P12ihipStream_tbEUlT_E1_NS1_11comp_targetILNS1_3genE2ELNS1_11target_archE906ELNS1_3gpuE6ELNS1_3repE0EEENS1_30default_config_static_selectorELNS0_4arch9wavefront6targetE1EEEvSL_.numbered_sgpr, 49
	.set _ZN7rocprim17ROCPRIM_400000_NS6detail17trampoline_kernelINS0_14default_configENS1_22reduce_config_selectorIiEEZNS1_11reduce_implILb1ES3_N6thrust23THRUST_200600_302600_NS11hip_rocprim35transform_pair_of_input_iterators_tIiPdSB_NS8_12not_equal_toIdEEEEPiiNS8_4plusIiEEEE10hipError_tPvRmT1_T2_T3_mT4_P12ihipStream_tbEUlT_E1_NS1_11comp_targetILNS1_3genE2ELNS1_11target_archE906ELNS1_3gpuE6ELNS1_3repE0EEENS1_30default_config_static_selectorELNS0_4arch9wavefront6targetE1EEEvSL_.num_named_barrier, 0
	.set _ZN7rocprim17ROCPRIM_400000_NS6detail17trampoline_kernelINS0_14default_configENS1_22reduce_config_selectorIiEEZNS1_11reduce_implILb1ES3_N6thrust23THRUST_200600_302600_NS11hip_rocprim35transform_pair_of_input_iterators_tIiPdSB_NS8_12not_equal_toIdEEEEPiiNS8_4plusIiEEEE10hipError_tPvRmT1_T2_T3_mT4_P12ihipStream_tbEUlT_E1_NS1_11comp_targetILNS1_3genE2ELNS1_11target_archE906ELNS1_3gpuE6ELNS1_3repE0EEENS1_30default_config_static_selectorELNS0_4arch9wavefront6targetE1EEEvSL_.private_seg_size, 0
	.set _ZN7rocprim17ROCPRIM_400000_NS6detail17trampoline_kernelINS0_14default_configENS1_22reduce_config_selectorIiEEZNS1_11reduce_implILb1ES3_N6thrust23THRUST_200600_302600_NS11hip_rocprim35transform_pair_of_input_iterators_tIiPdSB_NS8_12not_equal_toIdEEEEPiiNS8_4plusIiEEEE10hipError_tPvRmT1_T2_T3_mT4_P12ihipStream_tbEUlT_E1_NS1_11comp_targetILNS1_3genE2ELNS1_11target_archE906ELNS1_3gpuE6ELNS1_3repE0EEENS1_30default_config_static_selectorELNS0_4arch9wavefront6targetE1EEEvSL_.uses_vcc, 1
	.set _ZN7rocprim17ROCPRIM_400000_NS6detail17trampoline_kernelINS0_14default_configENS1_22reduce_config_selectorIiEEZNS1_11reduce_implILb1ES3_N6thrust23THRUST_200600_302600_NS11hip_rocprim35transform_pair_of_input_iterators_tIiPdSB_NS8_12not_equal_toIdEEEEPiiNS8_4plusIiEEEE10hipError_tPvRmT1_T2_T3_mT4_P12ihipStream_tbEUlT_E1_NS1_11comp_targetILNS1_3genE2ELNS1_11target_archE906ELNS1_3gpuE6ELNS1_3repE0EEENS1_30default_config_static_selectorELNS0_4arch9wavefront6targetE1EEEvSL_.uses_flat_scratch, 0
	.set _ZN7rocprim17ROCPRIM_400000_NS6detail17trampoline_kernelINS0_14default_configENS1_22reduce_config_selectorIiEEZNS1_11reduce_implILb1ES3_N6thrust23THRUST_200600_302600_NS11hip_rocprim35transform_pair_of_input_iterators_tIiPdSB_NS8_12not_equal_toIdEEEEPiiNS8_4plusIiEEEE10hipError_tPvRmT1_T2_T3_mT4_P12ihipStream_tbEUlT_E1_NS1_11comp_targetILNS1_3genE2ELNS1_11target_archE906ELNS1_3gpuE6ELNS1_3repE0EEENS1_30default_config_static_selectorELNS0_4arch9wavefront6targetE1EEEvSL_.has_dyn_sized_stack, 0
	.set _ZN7rocprim17ROCPRIM_400000_NS6detail17trampoline_kernelINS0_14default_configENS1_22reduce_config_selectorIiEEZNS1_11reduce_implILb1ES3_N6thrust23THRUST_200600_302600_NS11hip_rocprim35transform_pair_of_input_iterators_tIiPdSB_NS8_12not_equal_toIdEEEEPiiNS8_4plusIiEEEE10hipError_tPvRmT1_T2_T3_mT4_P12ihipStream_tbEUlT_E1_NS1_11comp_targetILNS1_3genE2ELNS1_11target_archE906ELNS1_3gpuE6ELNS1_3repE0EEENS1_30default_config_static_selectorELNS0_4arch9wavefront6targetE1EEEvSL_.has_recursion, 0
	.set _ZN7rocprim17ROCPRIM_400000_NS6detail17trampoline_kernelINS0_14default_configENS1_22reduce_config_selectorIiEEZNS1_11reduce_implILb1ES3_N6thrust23THRUST_200600_302600_NS11hip_rocprim35transform_pair_of_input_iterators_tIiPdSB_NS8_12not_equal_toIdEEEEPiiNS8_4plusIiEEEE10hipError_tPvRmT1_T2_T3_mT4_P12ihipStream_tbEUlT_E1_NS1_11comp_targetILNS1_3genE2ELNS1_11target_archE906ELNS1_3gpuE6ELNS1_3repE0EEENS1_30default_config_static_selectorELNS0_4arch9wavefront6targetE1EEEvSL_.has_indirect_call, 0
	.section	.AMDGPU.csdata,"",@progbits
; Kernel info:
; codeLenInByte = 12520
; TotalNumSgprs: 53
; NumVgprs: 44
; ScratchSize: 0
; MemoryBound: 1
; FloatMode: 240
; IeeeMode: 1
; LDSByteSize: 112 bytes/workgroup (compile time only)
; SGPRBlocks: 6
; VGPRBlocks: 10
; NumSGPRsForWavesPerEU: 53
; NumVGPRsForWavesPerEU: 44
; Occupancy: 5
; WaveLimiterHint : 0
; COMPUTE_PGM_RSRC2:SCRATCH_EN: 0
; COMPUTE_PGM_RSRC2:USER_SGPR: 6
; COMPUTE_PGM_RSRC2:TRAP_HANDLER: 0
; COMPUTE_PGM_RSRC2:TGID_X_EN: 1
; COMPUTE_PGM_RSRC2:TGID_Y_EN: 0
; COMPUTE_PGM_RSRC2:TGID_Z_EN: 0
; COMPUTE_PGM_RSRC2:TIDIG_COMP_CNT: 0
	.section	.text._ZN7rocprim17ROCPRIM_400000_NS6detail17trampoline_kernelINS0_14default_configENS1_22reduce_config_selectorIiEEZNS1_11reduce_implILb1ES3_N6thrust23THRUST_200600_302600_NS11hip_rocprim35transform_pair_of_input_iterators_tIiPdSB_NS8_12not_equal_toIdEEEEPiiNS8_4plusIiEEEE10hipError_tPvRmT1_T2_T3_mT4_P12ihipStream_tbEUlT_E1_NS1_11comp_targetILNS1_3genE10ELNS1_11target_archE1201ELNS1_3gpuE5ELNS1_3repE0EEENS1_30default_config_static_selectorELNS0_4arch9wavefront6targetE1EEEvSL_,"axG",@progbits,_ZN7rocprim17ROCPRIM_400000_NS6detail17trampoline_kernelINS0_14default_configENS1_22reduce_config_selectorIiEEZNS1_11reduce_implILb1ES3_N6thrust23THRUST_200600_302600_NS11hip_rocprim35transform_pair_of_input_iterators_tIiPdSB_NS8_12not_equal_toIdEEEEPiiNS8_4plusIiEEEE10hipError_tPvRmT1_T2_T3_mT4_P12ihipStream_tbEUlT_E1_NS1_11comp_targetILNS1_3genE10ELNS1_11target_archE1201ELNS1_3gpuE5ELNS1_3repE0EEENS1_30default_config_static_selectorELNS0_4arch9wavefront6targetE1EEEvSL_,comdat
	.protected	_ZN7rocprim17ROCPRIM_400000_NS6detail17trampoline_kernelINS0_14default_configENS1_22reduce_config_selectorIiEEZNS1_11reduce_implILb1ES3_N6thrust23THRUST_200600_302600_NS11hip_rocprim35transform_pair_of_input_iterators_tIiPdSB_NS8_12not_equal_toIdEEEEPiiNS8_4plusIiEEEE10hipError_tPvRmT1_T2_T3_mT4_P12ihipStream_tbEUlT_E1_NS1_11comp_targetILNS1_3genE10ELNS1_11target_archE1201ELNS1_3gpuE5ELNS1_3repE0EEENS1_30default_config_static_selectorELNS0_4arch9wavefront6targetE1EEEvSL_ ; -- Begin function _ZN7rocprim17ROCPRIM_400000_NS6detail17trampoline_kernelINS0_14default_configENS1_22reduce_config_selectorIiEEZNS1_11reduce_implILb1ES3_N6thrust23THRUST_200600_302600_NS11hip_rocprim35transform_pair_of_input_iterators_tIiPdSB_NS8_12not_equal_toIdEEEEPiiNS8_4plusIiEEEE10hipError_tPvRmT1_T2_T3_mT4_P12ihipStream_tbEUlT_E1_NS1_11comp_targetILNS1_3genE10ELNS1_11target_archE1201ELNS1_3gpuE5ELNS1_3repE0EEENS1_30default_config_static_selectorELNS0_4arch9wavefront6targetE1EEEvSL_
	.globl	_ZN7rocprim17ROCPRIM_400000_NS6detail17trampoline_kernelINS0_14default_configENS1_22reduce_config_selectorIiEEZNS1_11reduce_implILb1ES3_N6thrust23THRUST_200600_302600_NS11hip_rocprim35transform_pair_of_input_iterators_tIiPdSB_NS8_12not_equal_toIdEEEEPiiNS8_4plusIiEEEE10hipError_tPvRmT1_T2_T3_mT4_P12ihipStream_tbEUlT_E1_NS1_11comp_targetILNS1_3genE10ELNS1_11target_archE1201ELNS1_3gpuE5ELNS1_3repE0EEENS1_30default_config_static_selectorELNS0_4arch9wavefront6targetE1EEEvSL_
	.p2align	8
	.type	_ZN7rocprim17ROCPRIM_400000_NS6detail17trampoline_kernelINS0_14default_configENS1_22reduce_config_selectorIiEEZNS1_11reduce_implILb1ES3_N6thrust23THRUST_200600_302600_NS11hip_rocprim35transform_pair_of_input_iterators_tIiPdSB_NS8_12not_equal_toIdEEEEPiiNS8_4plusIiEEEE10hipError_tPvRmT1_T2_T3_mT4_P12ihipStream_tbEUlT_E1_NS1_11comp_targetILNS1_3genE10ELNS1_11target_archE1201ELNS1_3gpuE5ELNS1_3repE0EEENS1_30default_config_static_selectorELNS0_4arch9wavefront6targetE1EEEvSL_,@function
_ZN7rocprim17ROCPRIM_400000_NS6detail17trampoline_kernelINS0_14default_configENS1_22reduce_config_selectorIiEEZNS1_11reduce_implILb1ES3_N6thrust23THRUST_200600_302600_NS11hip_rocprim35transform_pair_of_input_iterators_tIiPdSB_NS8_12not_equal_toIdEEEEPiiNS8_4plusIiEEEE10hipError_tPvRmT1_T2_T3_mT4_P12ihipStream_tbEUlT_E1_NS1_11comp_targetILNS1_3genE10ELNS1_11target_archE1201ELNS1_3gpuE5ELNS1_3repE0EEENS1_30default_config_static_selectorELNS0_4arch9wavefront6targetE1EEEvSL_: ; @_ZN7rocprim17ROCPRIM_400000_NS6detail17trampoline_kernelINS0_14default_configENS1_22reduce_config_selectorIiEEZNS1_11reduce_implILb1ES3_N6thrust23THRUST_200600_302600_NS11hip_rocprim35transform_pair_of_input_iterators_tIiPdSB_NS8_12not_equal_toIdEEEEPiiNS8_4plusIiEEEE10hipError_tPvRmT1_T2_T3_mT4_P12ihipStream_tbEUlT_E1_NS1_11comp_targetILNS1_3genE10ELNS1_11target_archE1201ELNS1_3gpuE5ELNS1_3repE0EEENS1_30default_config_static_selectorELNS0_4arch9wavefront6targetE1EEEvSL_
; %bb.0:
	.section	.rodata,"a",@progbits
	.p2align	6, 0x0
	.amdhsa_kernel _ZN7rocprim17ROCPRIM_400000_NS6detail17trampoline_kernelINS0_14default_configENS1_22reduce_config_selectorIiEEZNS1_11reduce_implILb1ES3_N6thrust23THRUST_200600_302600_NS11hip_rocprim35transform_pair_of_input_iterators_tIiPdSB_NS8_12not_equal_toIdEEEEPiiNS8_4plusIiEEEE10hipError_tPvRmT1_T2_T3_mT4_P12ihipStream_tbEUlT_E1_NS1_11comp_targetILNS1_3genE10ELNS1_11target_archE1201ELNS1_3gpuE5ELNS1_3repE0EEENS1_30default_config_static_selectorELNS0_4arch9wavefront6targetE1EEEvSL_
		.amdhsa_group_segment_fixed_size 0
		.amdhsa_private_segment_fixed_size 0
		.amdhsa_kernarg_size 56
		.amdhsa_user_sgpr_count 6
		.amdhsa_user_sgpr_private_segment_buffer 1
		.amdhsa_user_sgpr_dispatch_ptr 0
		.amdhsa_user_sgpr_queue_ptr 0
		.amdhsa_user_sgpr_kernarg_segment_ptr 1
		.amdhsa_user_sgpr_dispatch_id 0
		.amdhsa_user_sgpr_flat_scratch_init 0
		.amdhsa_user_sgpr_private_segment_size 0
		.amdhsa_uses_dynamic_stack 0
		.amdhsa_system_sgpr_private_segment_wavefront_offset 0
		.amdhsa_system_sgpr_workgroup_id_x 1
		.amdhsa_system_sgpr_workgroup_id_y 0
		.amdhsa_system_sgpr_workgroup_id_z 0
		.amdhsa_system_sgpr_workgroup_info 0
		.amdhsa_system_vgpr_workitem_id 0
		.amdhsa_next_free_vgpr 1
		.amdhsa_next_free_sgpr 0
		.amdhsa_reserve_vcc 0
		.amdhsa_reserve_flat_scratch 0
		.amdhsa_float_round_mode_32 0
		.amdhsa_float_round_mode_16_64 0
		.amdhsa_float_denorm_mode_32 3
		.amdhsa_float_denorm_mode_16_64 3
		.amdhsa_dx10_clamp 1
		.amdhsa_ieee_mode 1
		.amdhsa_fp16_overflow 0
		.amdhsa_exception_fp_ieee_invalid_op 0
		.amdhsa_exception_fp_denorm_src 0
		.amdhsa_exception_fp_ieee_div_zero 0
		.amdhsa_exception_fp_ieee_overflow 0
		.amdhsa_exception_fp_ieee_underflow 0
		.amdhsa_exception_fp_ieee_inexact 0
		.amdhsa_exception_int_div_zero 0
	.end_amdhsa_kernel
	.section	.text._ZN7rocprim17ROCPRIM_400000_NS6detail17trampoline_kernelINS0_14default_configENS1_22reduce_config_selectorIiEEZNS1_11reduce_implILb1ES3_N6thrust23THRUST_200600_302600_NS11hip_rocprim35transform_pair_of_input_iterators_tIiPdSB_NS8_12not_equal_toIdEEEEPiiNS8_4plusIiEEEE10hipError_tPvRmT1_T2_T3_mT4_P12ihipStream_tbEUlT_E1_NS1_11comp_targetILNS1_3genE10ELNS1_11target_archE1201ELNS1_3gpuE5ELNS1_3repE0EEENS1_30default_config_static_selectorELNS0_4arch9wavefront6targetE1EEEvSL_,"axG",@progbits,_ZN7rocprim17ROCPRIM_400000_NS6detail17trampoline_kernelINS0_14default_configENS1_22reduce_config_selectorIiEEZNS1_11reduce_implILb1ES3_N6thrust23THRUST_200600_302600_NS11hip_rocprim35transform_pair_of_input_iterators_tIiPdSB_NS8_12not_equal_toIdEEEEPiiNS8_4plusIiEEEE10hipError_tPvRmT1_T2_T3_mT4_P12ihipStream_tbEUlT_E1_NS1_11comp_targetILNS1_3genE10ELNS1_11target_archE1201ELNS1_3gpuE5ELNS1_3repE0EEENS1_30default_config_static_selectorELNS0_4arch9wavefront6targetE1EEEvSL_,comdat
.Lfunc_end1684:
	.size	_ZN7rocprim17ROCPRIM_400000_NS6detail17trampoline_kernelINS0_14default_configENS1_22reduce_config_selectorIiEEZNS1_11reduce_implILb1ES3_N6thrust23THRUST_200600_302600_NS11hip_rocprim35transform_pair_of_input_iterators_tIiPdSB_NS8_12not_equal_toIdEEEEPiiNS8_4plusIiEEEE10hipError_tPvRmT1_T2_T3_mT4_P12ihipStream_tbEUlT_E1_NS1_11comp_targetILNS1_3genE10ELNS1_11target_archE1201ELNS1_3gpuE5ELNS1_3repE0EEENS1_30default_config_static_selectorELNS0_4arch9wavefront6targetE1EEEvSL_, .Lfunc_end1684-_ZN7rocprim17ROCPRIM_400000_NS6detail17trampoline_kernelINS0_14default_configENS1_22reduce_config_selectorIiEEZNS1_11reduce_implILb1ES3_N6thrust23THRUST_200600_302600_NS11hip_rocprim35transform_pair_of_input_iterators_tIiPdSB_NS8_12not_equal_toIdEEEEPiiNS8_4plusIiEEEE10hipError_tPvRmT1_T2_T3_mT4_P12ihipStream_tbEUlT_E1_NS1_11comp_targetILNS1_3genE10ELNS1_11target_archE1201ELNS1_3gpuE5ELNS1_3repE0EEENS1_30default_config_static_selectorELNS0_4arch9wavefront6targetE1EEEvSL_
                                        ; -- End function
	.set _ZN7rocprim17ROCPRIM_400000_NS6detail17trampoline_kernelINS0_14default_configENS1_22reduce_config_selectorIiEEZNS1_11reduce_implILb1ES3_N6thrust23THRUST_200600_302600_NS11hip_rocprim35transform_pair_of_input_iterators_tIiPdSB_NS8_12not_equal_toIdEEEEPiiNS8_4plusIiEEEE10hipError_tPvRmT1_T2_T3_mT4_P12ihipStream_tbEUlT_E1_NS1_11comp_targetILNS1_3genE10ELNS1_11target_archE1201ELNS1_3gpuE5ELNS1_3repE0EEENS1_30default_config_static_selectorELNS0_4arch9wavefront6targetE1EEEvSL_.num_vgpr, 0
	.set _ZN7rocprim17ROCPRIM_400000_NS6detail17trampoline_kernelINS0_14default_configENS1_22reduce_config_selectorIiEEZNS1_11reduce_implILb1ES3_N6thrust23THRUST_200600_302600_NS11hip_rocprim35transform_pair_of_input_iterators_tIiPdSB_NS8_12not_equal_toIdEEEEPiiNS8_4plusIiEEEE10hipError_tPvRmT1_T2_T3_mT4_P12ihipStream_tbEUlT_E1_NS1_11comp_targetILNS1_3genE10ELNS1_11target_archE1201ELNS1_3gpuE5ELNS1_3repE0EEENS1_30default_config_static_selectorELNS0_4arch9wavefront6targetE1EEEvSL_.num_agpr, 0
	.set _ZN7rocprim17ROCPRIM_400000_NS6detail17trampoline_kernelINS0_14default_configENS1_22reduce_config_selectorIiEEZNS1_11reduce_implILb1ES3_N6thrust23THRUST_200600_302600_NS11hip_rocprim35transform_pair_of_input_iterators_tIiPdSB_NS8_12not_equal_toIdEEEEPiiNS8_4plusIiEEEE10hipError_tPvRmT1_T2_T3_mT4_P12ihipStream_tbEUlT_E1_NS1_11comp_targetILNS1_3genE10ELNS1_11target_archE1201ELNS1_3gpuE5ELNS1_3repE0EEENS1_30default_config_static_selectorELNS0_4arch9wavefront6targetE1EEEvSL_.numbered_sgpr, 0
	.set _ZN7rocprim17ROCPRIM_400000_NS6detail17trampoline_kernelINS0_14default_configENS1_22reduce_config_selectorIiEEZNS1_11reduce_implILb1ES3_N6thrust23THRUST_200600_302600_NS11hip_rocprim35transform_pair_of_input_iterators_tIiPdSB_NS8_12not_equal_toIdEEEEPiiNS8_4plusIiEEEE10hipError_tPvRmT1_T2_T3_mT4_P12ihipStream_tbEUlT_E1_NS1_11comp_targetILNS1_3genE10ELNS1_11target_archE1201ELNS1_3gpuE5ELNS1_3repE0EEENS1_30default_config_static_selectorELNS0_4arch9wavefront6targetE1EEEvSL_.num_named_barrier, 0
	.set _ZN7rocprim17ROCPRIM_400000_NS6detail17trampoline_kernelINS0_14default_configENS1_22reduce_config_selectorIiEEZNS1_11reduce_implILb1ES3_N6thrust23THRUST_200600_302600_NS11hip_rocprim35transform_pair_of_input_iterators_tIiPdSB_NS8_12not_equal_toIdEEEEPiiNS8_4plusIiEEEE10hipError_tPvRmT1_T2_T3_mT4_P12ihipStream_tbEUlT_E1_NS1_11comp_targetILNS1_3genE10ELNS1_11target_archE1201ELNS1_3gpuE5ELNS1_3repE0EEENS1_30default_config_static_selectorELNS0_4arch9wavefront6targetE1EEEvSL_.private_seg_size, 0
	.set _ZN7rocprim17ROCPRIM_400000_NS6detail17trampoline_kernelINS0_14default_configENS1_22reduce_config_selectorIiEEZNS1_11reduce_implILb1ES3_N6thrust23THRUST_200600_302600_NS11hip_rocprim35transform_pair_of_input_iterators_tIiPdSB_NS8_12not_equal_toIdEEEEPiiNS8_4plusIiEEEE10hipError_tPvRmT1_T2_T3_mT4_P12ihipStream_tbEUlT_E1_NS1_11comp_targetILNS1_3genE10ELNS1_11target_archE1201ELNS1_3gpuE5ELNS1_3repE0EEENS1_30default_config_static_selectorELNS0_4arch9wavefront6targetE1EEEvSL_.uses_vcc, 0
	.set _ZN7rocprim17ROCPRIM_400000_NS6detail17trampoline_kernelINS0_14default_configENS1_22reduce_config_selectorIiEEZNS1_11reduce_implILb1ES3_N6thrust23THRUST_200600_302600_NS11hip_rocprim35transform_pair_of_input_iterators_tIiPdSB_NS8_12not_equal_toIdEEEEPiiNS8_4plusIiEEEE10hipError_tPvRmT1_T2_T3_mT4_P12ihipStream_tbEUlT_E1_NS1_11comp_targetILNS1_3genE10ELNS1_11target_archE1201ELNS1_3gpuE5ELNS1_3repE0EEENS1_30default_config_static_selectorELNS0_4arch9wavefront6targetE1EEEvSL_.uses_flat_scratch, 0
	.set _ZN7rocprim17ROCPRIM_400000_NS6detail17trampoline_kernelINS0_14default_configENS1_22reduce_config_selectorIiEEZNS1_11reduce_implILb1ES3_N6thrust23THRUST_200600_302600_NS11hip_rocprim35transform_pair_of_input_iterators_tIiPdSB_NS8_12not_equal_toIdEEEEPiiNS8_4plusIiEEEE10hipError_tPvRmT1_T2_T3_mT4_P12ihipStream_tbEUlT_E1_NS1_11comp_targetILNS1_3genE10ELNS1_11target_archE1201ELNS1_3gpuE5ELNS1_3repE0EEENS1_30default_config_static_selectorELNS0_4arch9wavefront6targetE1EEEvSL_.has_dyn_sized_stack, 0
	.set _ZN7rocprim17ROCPRIM_400000_NS6detail17trampoline_kernelINS0_14default_configENS1_22reduce_config_selectorIiEEZNS1_11reduce_implILb1ES3_N6thrust23THRUST_200600_302600_NS11hip_rocprim35transform_pair_of_input_iterators_tIiPdSB_NS8_12not_equal_toIdEEEEPiiNS8_4plusIiEEEE10hipError_tPvRmT1_T2_T3_mT4_P12ihipStream_tbEUlT_E1_NS1_11comp_targetILNS1_3genE10ELNS1_11target_archE1201ELNS1_3gpuE5ELNS1_3repE0EEENS1_30default_config_static_selectorELNS0_4arch9wavefront6targetE1EEEvSL_.has_recursion, 0
	.set _ZN7rocprim17ROCPRIM_400000_NS6detail17trampoline_kernelINS0_14default_configENS1_22reduce_config_selectorIiEEZNS1_11reduce_implILb1ES3_N6thrust23THRUST_200600_302600_NS11hip_rocprim35transform_pair_of_input_iterators_tIiPdSB_NS8_12not_equal_toIdEEEEPiiNS8_4plusIiEEEE10hipError_tPvRmT1_T2_T3_mT4_P12ihipStream_tbEUlT_E1_NS1_11comp_targetILNS1_3genE10ELNS1_11target_archE1201ELNS1_3gpuE5ELNS1_3repE0EEENS1_30default_config_static_selectorELNS0_4arch9wavefront6targetE1EEEvSL_.has_indirect_call, 0
	.section	.AMDGPU.csdata,"",@progbits
; Kernel info:
; codeLenInByte = 0
; TotalNumSgprs: 4
; NumVgprs: 0
; ScratchSize: 0
; MemoryBound: 0
; FloatMode: 240
; IeeeMode: 1
; LDSByteSize: 0 bytes/workgroup (compile time only)
; SGPRBlocks: 0
; VGPRBlocks: 0
; NumSGPRsForWavesPerEU: 4
; NumVGPRsForWavesPerEU: 1
; Occupancy: 10
; WaveLimiterHint : 0
; COMPUTE_PGM_RSRC2:SCRATCH_EN: 0
; COMPUTE_PGM_RSRC2:USER_SGPR: 6
; COMPUTE_PGM_RSRC2:TRAP_HANDLER: 0
; COMPUTE_PGM_RSRC2:TGID_X_EN: 1
; COMPUTE_PGM_RSRC2:TGID_Y_EN: 0
; COMPUTE_PGM_RSRC2:TGID_Z_EN: 0
; COMPUTE_PGM_RSRC2:TIDIG_COMP_CNT: 0
	.section	.text._ZN7rocprim17ROCPRIM_400000_NS6detail17trampoline_kernelINS0_14default_configENS1_22reduce_config_selectorIiEEZNS1_11reduce_implILb1ES3_N6thrust23THRUST_200600_302600_NS11hip_rocprim35transform_pair_of_input_iterators_tIiPdSB_NS8_12not_equal_toIdEEEEPiiNS8_4plusIiEEEE10hipError_tPvRmT1_T2_T3_mT4_P12ihipStream_tbEUlT_E1_NS1_11comp_targetILNS1_3genE10ELNS1_11target_archE1200ELNS1_3gpuE4ELNS1_3repE0EEENS1_30default_config_static_selectorELNS0_4arch9wavefront6targetE1EEEvSL_,"axG",@progbits,_ZN7rocprim17ROCPRIM_400000_NS6detail17trampoline_kernelINS0_14default_configENS1_22reduce_config_selectorIiEEZNS1_11reduce_implILb1ES3_N6thrust23THRUST_200600_302600_NS11hip_rocprim35transform_pair_of_input_iterators_tIiPdSB_NS8_12not_equal_toIdEEEEPiiNS8_4plusIiEEEE10hipError_tPvRmT1_T2_T3_mT4_P12ihipStream_tbEUlT_E1_NS1_11comp_targetILNS1_3genE10ELNS1_11target_archE1200ELNS1_3gpuE4ELNS1_3repE0EEENS1_30default_config_static_selectorELNS0_4arch9wavefront6targetE1EEEvSL_,comdat
	.protected	_ZN7rocprim17ROCPRIM_400000_NS6detail17trampoline_kernelINS0_14default_configENS1_22reduce_config_selectorIiEEZNS1_11reduce_implILb1ES3_N6thrust23THRUST_200600_302600_NS11hip_rocprim35transform_pair_of_input_iterators_tIiPdSB_NS8_12not_equal_toIdEEEEPiiNS8_4plusIiEEEE10hipError_tPvRmT1_T2_T3_mT4_P12ihipStream_tbEUlT_E1_NS1_11comp_targetILNS1_3genE10ELNS1_11target_archE1200ELNS1_3gpuE4ELNS1_3repE0EEENS1_30default_config_static_selectorELNS0_4arch9wavefront6targetE1EEEvSL_ ; -- Begin function _ZN7rocprim17ROCPRIM_400000_NS6detail17trampoline_kernelINS0_14default_configENS1_22reduce_config_selectorIiEEZNS1_11reduce_implILb1ES3_N6thrust23THRUST_200600_302600_NS11hip_rocprim35transform_pair_of_input_iterators_tIiPdSB_NS8_12not_equal_toIdEEEEPiiNS8_4plusIiEEEE10hipError_tPvRmT1_T2_T3_mT4_P12ihipStream_tbEUlT_E1_NS1_11comp_targetILNS1_3genE10ELNS1_11target_archE1200ELNS1_3gpuE4ELNS1_3repE0EEENS1_30default_config_static_selectorELNS0_4arch9wavefront6targetE1EEEvSL_
	.globl	_ZN7rocprim17ROCPRIM_400000_NS6detail17trampoline_kernelINS0_14default_configENS1_22reduce_config_selectorIiEEZNS1_11reduce_implILb1ES3_N6thrust23THRUST_200600_302600_NS11hip_rocprim35transform_pair_of_input_iterators_tIiPdSB_NS8_12not_equal_toIdEEEEPiiNS8_4plusIiEEEE10hipError_tPvRmT1_T2_T3_mT4_P12ihipStream_tbEUlT_E1_NS1_11comp_targetILNS1_3genE10ELNS1_11target_archE1200ELNS1_3gpuE4ELNS1_3repE0EEENS1_30default_config_static_selectorELNS0_4arch9wavefront6targetE1EEEvSL_
	.p2align	8
	.type	_ZN7rocprim17ROCPRIM_400000_NS6detail17trampoline_kernelINS0_14default_configENS1_22reduce_config_selectorIiEEZNS1_11reduce_implILb1ES3_N6thrust23THRUST_200600_302600_NS11hip_rocprim35transform_pair_of_input_iterators_tIiPdSB_NS8_12not_equal_toIdEEEEPiiNS8_4plusIiEEEE10hipError_tPvRmT1_T2_T3_mT4_P12ihipStream_tbEUlT_E1_NS1_11comp_targetILNS1_3genE10ELNS1_11target_archE1200ELNS1_3gpuE4ELNS1_3repE0EEENS1_30default_config_static_selectorELNS0_4arch9wavefront6targetE1EEEvSL_,@function
_ZN7rocprim17ROCPRIM_400000_NS6detail17trampoline_kernelINS0_14default_configENS1_22reduce_config_selectorIiEEZNS1_11reduce_implILb1ES3_N6thrust23THRUST_200600_302600_NS11hip_rocprim35transform_pair_of_input_iterators_tIiPdSB_NS8_12not_equal_toIdEEEEPiiNS8_4plusIiEEEE10hipError_tPvRmT1_T2_T3_mT4_P12ihipStream_tbEUlT_E1_NS1_11comp_targetILNS1_3genE10ELNS1_11target_archE1200ELNS1_3gpuE4ELNS1_3repE0EEENS1_30default_config_static_selectorELNS0_4arch9wavefront6targetE1EEEvSL_: ; @_ZN7rocprim17ROCPRIM_400000_NS6detail17trampoline_kernelINS0_14default_configENS1_22reduce_config_selectorIiEEZNS1_11reduce_implILb1ES3_N6thrust23THRUST_200600_302600_NS11hip_rocprim35transform_pair_of_input_iterators_tIiPdSB_NS8_12not_equal_toIdEEEEPiiNS8_4plusIiEEEE10hipError_tPvRmT1_T2_T3_mT4_P12ihipStream_tbEUlT_E1_NS1_11comp_targetILNS1_3genE10ELNS1_11target_archE1200ELNS1_3gpuE4ELNS1_3repE0EEENS1_30default_config_static_selectorELNS0_4arch9wavefront6targetE1EEEvSL_
; %bb.0:
	.section	.rodata,"a",@progbits
	.p2align	6, 0x0
	.amdhsa_kernel _ZN7rocprim17ROCPRIM_400000_NS6detail17trampoline_kernelINS0_14default_configENS1_22reduce_config_selectorIiEEZNS1_11reduce_implILb1ES3_N6thrust23THRUST_200600_302600_NS11hip_rocprim35transform_pair_of_input_iterators_tIiPdSB_NS8_12not_equal_toIdEEEEPiiNS8_4plusIiEEEE10hipError_tPvRmT1_T2_T3_mT4_P12ihipStream_tbEUlT_E1_NS1_11comp_targetILNS1_3genE10ELNS1_11target_archE1200ELNS1_3gpuE4ELNS1_3repE0EEENS1_30default_config_static_selectorELNS0_4arch9wavefront6targetE1EEEvSL_
		.amdhsa_group_segment_fixed_size 0
		.amdhsa_private_segment_fixed_size 0
		.amdhsa_kernarg_size 56
		.amdhsa_user_sgpr_count 6
		.amdhsa_user_sgpr_private_segment_buffer 1
		.amdhsa_user_sgpr_dispatch_ptr 0
		.amdhsa_user_sgpr_queue_ptr 0
		.amdhsa_user_sgpr_kernarg_segment_ptr 1
		.amdhsa_user_sgpr_dispatch_id 0
		.amdhsa_user_sgpr_flat_scratch_init 0
		.amdhsa_user_sgpr_private_segment_size 0
		.amdhsa_uses_dynamic_stack 0
		.amdhsa_system_sgpr_private_segment_wavefront_offset 0
		.amdhsa_system_sgpr_workgroup_id_x 1
		.amdhsa_system_sgpr_workgroup_id_y 0
		.amdhsa_system_sgpr_workgroup_id_z 0
		.amdhsa_system_sgpr_workgroup_info 0
		.amdhsa_system_vgpr_workitem_id 0
		.amdhsa_next_free_vgpr 1
		.amdhsa_next_free_sgpr 0
		.amdhsa_reserve_vcc 0
		.amdhsa_reserve_flat_scratch 0
		.amdhsa_float_round_mode_32 0
		.amdhsa_float_round_mode_16_64 0
		.amdhsa_float_denorm_mode_32 3
		.amdhsa_float_denorm_mode_16_64 3
		.amdhsa_dx10_clamp 1
		.amdhsa_ieee_mode 1
		.amdhsa_fp16_overflow 0
		.amdhsa_exception_fp_ieee_invalid_op 0
		.amdhsa_exception_fp_denorm_src 0
		.amdhsa_exception_fp_ieee_div_zero 0
		.amdhsa_exception_fp_ieee_overflow 0
		.amdhsa_exception_fp_ieee_underflow 0
		.amdhsa_exception_fp_ieee_inexact 0
		.amdhsa_exception_int_div_zero 0
	.end_amdhsa_kernel
	.section	.text._ZN7rocprim17ROCPRIM_400000_NS6detail17trampoline_kernelINS0_14default_configENS1_22reduce_config_selectorIiEEZNS1_11reduce_implILb1ES3_N6thrust23THRUST_200600_302600_NS11hip_rocprim35transform_pair_of_input_iterators_tIiPdSB_NS8_12not_equal_toIdEEEEPiiNS8_4plusIiEEEE10hipError_tPvRmT1_T2_T3_mT4_P12ihipStream_tbEUlT_E1_NS1_11comp_targetILNS1_3genE10ELNS1_11target_archE1200ELNS1_3gpuE4ELNS1_3repE0EEENS1_30default_config_static_selectorELNS0_4arch9wavefront6targetE1EEEvSL_,"axG",@progbits,_ZN7rocprim17ROCPRIM_400000_NS6detail17trampoline_kernelINS0_14default_configENS1_22reduce_config_selectorIiEEZNS1_11reduce_implILb1ES3_N6thrust23THRUST_200600_302600_NS11hip_rocprim35transform_pair_of_input_iterators_tIiPdSB_NS8_12not_equal_toIdEEEEPiiNS8_4plusIiEEEE10hipError_tPvRmT1_T2_T3_mT4_P12ihipStream_tbEUlT_E1_NS1_11comp_targetILNS1_3genE10ELNS1_11target_archE1200ELNS1_3gpuE4ELNS1_3repE0EEENS1_30default_config_static_selectorELNS0_4arch9wavefront6targetE1EEEvSL_,comdat
.Lfunc_end1685:
	.size	_ZN7rocprim17ROCPRIM_400000_NS6detail17trampoline_kernelINS0_14default_configENS1_22reduce_config_selectorIiEEZNS1_11reduce_implILb1ES3_N6thrust23THRUST_200600_302600_NS11hip_rocprim35transform_pair_of_input_iterators_tIiPdSB_NS8_12not_equal_toIdEEEEPiiNS8_4plusIiEEEE10hipError_tPvRmT1_T2_T3_mT4_P12ihipStream_tbEUlT_E1_NS1_11comp_targetILNS1_3genE10ELNS1_11target_archE1200ELNS1_3gpuE4ELNS1_3repE0EEENS1_30default_config_static_selectorELNS0_4arch9wavefront6targetE1EEEvSL_, .Lfunc_end1685-_ZN7rocprim17ROCPRIM_400000_NS6detail17trampoline_kernelINS0_14default_configENS1_22reduce_config_selectorIiEEZNS1_11reduce_implILb1ES3_N6thrust23THRUST_200600_302600_NS11hip_rocprim35transform_pair_of_input_iterators_tIiPdSB_NS8_12not_equal_toIdEEEEPiiNS8_4plusIiEEEE10hipError_tPvRmT1_T2_T3_mT4_P12ihipStream_tbEUlT_E1_NS1_11comp_targetILNS1_3genE10ELNS1_11target_archE1200ELNS1_3gpuE4ELNS1_3repE0EEENS1_30default_config_static_selectorELNS0_4arch9wavefront6targetE1EEEvSL_
                                        ; -- End function
	.set _ZN7rocprim17ROCPRIM_400000_NS6detail17trampoline_kernelINS0_14default_configENS1_22reduce_config_selectorIiEEZNS1_11reduce_implILb1ES3_N6thrust23THRUST_200600_302600_NS11hip_rocprim35transform_pair_of_input_iterators_tIiPdSB_NS8_12not_equal_toIdEEEEPiiNS8_4plusIiEEEE10hipError_tPvRmT1_T2_T3_mT4_P12ihipStream_tbEUlT_E1_NS1_11comp_targetILNS1_3genE10ELNS1_11target_archE1200ELNS1_3gpuE4ELNS1_3repE0EEENS1_30default_config_static_selectorELNS0_4arch9wavefront6targetE1EEEvSL_.num_vgpr, 0
	.set _ZN7rocprim17ROCPRIM_400000_NS6detail17trampoline_kernelINS0_14default_configENS1_22reduce_config_selectorIiEEZNS1_11reduce_implILb1ES3_N6thrust23THRUST_200600_302600_NS11hip_rocprim35transform_pair_of_input_iterators_tIiPdSB_NS8_12not_equal_toIdEEEEPiiNS8_4plusIiEEEE10hipError_tPvRmT1_T2_T3_mT4_P12ihipStream_tbEUlT_E1_NS1_11comp_targetILNS1_3genE10ELNS1_11target_archE1200ELNS1_3gpuE4ELNS1_3repE0EEENS1_30default_config_static_selectorELNS0_4arch9wavefront6targetE1EEEvSL_.num_agpr, 0
	.set _ZN7rocprim17ROCPRIM_400000_NS6detail17trampoline_kernelINS0_14default_configENS1_22reduce_config_selectorIiEEZNS1_11reduce_implILb1ES3_N6thrust23THRUST_200600_302600_NS11hip_rocprim35transform_pair_of_input_iterators_tIiPdSB_NS8_12not_equal_toIdEEEEPiiNS8_4plusIiEEEE10hipError_tPvRmT1_T2_T3_mT4_P12ihipStream_tbEUlT_E1_NS1_11comp_targetILNS1_3genE10ELNS1_11target_archE1200ELNS1_3gpuE4ELNS1_3repE0EEENS1_30default_config_static_selectorELNS0_4arch9wavefront6targetE1EEEvSL_.numbered_sgpr, 0
	.set _ZN7rocprim17ROCPRIM_400000_NS6detail17trampoline_kernelINS0_14default_configENS1_22reduce_config_selectorIiEEZNS1_11reduce_implILb1ES3_N6thrust23THRUST_200600_302600_NS11hip_rocprim35transform_pair_of_input_iterators_tIiPdSB_NS8_12not_equal_toIdEEEEPiiNS8_4plusIiEEEE10hipError_tPvRmT1_T2_T3_mT4_P12ihipStream_tbEUlT_E1_NS1_11comp_targetILNS1_3genE10ELNS1_11target_archE1200ELNS1_3gpuE4ELNS1_3repE0EEENS1_30default_config_static_selectorELNS0_4arch9wavefront6targetE1EEEvSL_.num_named_barrier, 0
	.set _ZN7rocprim17ROCPRIM_400000_NS6detail17trampoline_kernelINS0_14default_configENS1_22reduce_config_selectorIiEEZNS1_11reduce_implILb1ES3_N6thrust23THRUST_200600_302600_NS11hip_rocprim35transform_pair_of_input_iterators_tIiPdSB_NS8_12not_equal_toIdEEEEPiiNS8_4plusIiEEEE10hipError_tPvRmT1_T2_T3_mT4_P12ihipStream_tbEUlT_E1_NS1_11comp_targetILNS1_3genE10ELNS1_11target_archE1200ELNS1_3gpuE4ELNS1_3repE0EEENS1_30default_config_static_selectorELNS0_4arch9wavefront6targetE1EEEvSL_.private_seg_size, 0
	.set _ZN7rocprim17ROCPRIM_400000_NS6detail17trampoline_kernelINS0_14default_configENS1_22reduce_config_selectorIiEEZNS1_11reduce_implILb1ES3_N6thrust23THRUST_200600_302600_NS11hip_rocprim35transform_pair_of_input_iterators_tIiPdSB_NS8_12not_equal_toIdEEEEPiiNS8_4plusIiEEEE10hipError_tPvRmT1_T2_T3_mT4_P12ihipStream_tbEUlT_E1_NS1_11comp_targetILNS1_3genE10ELNS1_11target_archE1200ELNS1_3gpuE4ELNS1_3repE0EEENS1_30default_config_static_selectorELNS0_4arch9wavefront6targetE1EEEvSL_.uses_vcc, 0
	.set _ZN7rocprim17ROCPRIM_400000_NS6detail17trampoline_kernelINS0_14default_configENS1_22reduce_config_selectorIiEEZNS1_11reduce_implILb1ES3_N6thrust23THRUST_200600_302600_NS11hip_rocprim35transform_pair_of_input_iterators_tIiPdSB_NS8_12not_equal_toIdEEEEPiiNS8_4plusIiEEEE10hipError_tPvRmT1_T2_T3_mT4_P12ihipStream_tbEUlT_E1_NS1_11comp_targetILNS1_3genE10ELNS1_11target_archE1200ELNS1_3gpuE4ELNS1_3repE0EEENS1_30default_config_static_selectorELNS0_4arch9wavefront6targetE1EEEvSL_.uses_flat_scratch, 0
	.set _ZN7rocprim17ROCPRIM_400000_NS6detail17trampoline_kernelINS0_14default_configENS1_22reduce_config_selectorIiEEZNS1_11reduce_implILb1ES3_N6thrust23THRUST_200600_302600_NS11hip_rocprim35transform_pair_of_input_iterators_tIiPdSB_NS8_12not_equal_toIdEEEEPiiNS8_4plusIiEEEE10hipError_tPvRmT1_T2_T3_mT4_P12ihipStream_tbEUlT_E1_NS1_11comp_targetILNS1_3genE10ELNS1_11target_archE1200ELNS1_3gpuE4ELNS1_3repE0EEENS1_30default_config_static_selectorELNS0_4arch9wavefront6targetE1EEEvSL_.has_dyn_sized_stack, 0
	.set _ZN7rocprim17ROCPRIM_400000_NS6detail17trampoline_kernelINS0_14default_configENS1_22reduce_config_selectorIiEEZNS1_11reduce_implILb1ES3_N6thrust23THRUST_200600_302600_NS11hip_rocprim35transform_pair_of_input_iterators_tIiPdSB_NS8_12not_equal_toIdEEEEPiiNS8_4plusIiEEEE10hipError_tPvRmT1_T2_T3_mT4_P12ihipStream_tbEUlT_E1_NS1_11comp_targetILNS1_3genE10ELNS1_11target_archE1200ELNS1_3gpuE4ELNS1_3repE0EEENS1_30default_config_static_selectorELNS0_4arch9wavefront6targetE1EEEvSL_.has_recursion, 0
	.set _ZN7rocprim17ROCPRIM_400000_NS6detail17trampoline_kernelINS0_14default_configENS1_22reduce_config_selectorIiEEZNS1_11reduce_implILb1ES3_N6thrust23THRUST_200600_302600_NS11hip_rocprim35transform_pair_of_input_iterators_tIiPdSB_NS8_12not_equal_toIdEEEEPiiNS8_4plusIiEEEE10hipError_tPvRmT1_T2_T3_mT4_P12ihipStream_tbEUlT_E1_NS1_11comp_targetILNS1_3genE10ELNS1_11target_archE1200ELNS1_3gpuE4ELNS1_3repE0EEENS1_30default_config_static_selectorELNS0_4arch9wavefront6targetE1EEEvSL_.has_indirect_call, 0
	.section	.AMDGPU.csdata,"",@progbits
; Kernel info:
; codeLenInByte = 0
; TotalNumSgprs: 4
; NumVgprs: 0
; ScratchSize: 0
; MemoryBound: 0
; FloatMode: 240
; IeeeMode: 1
; LDSByteSize: 0 bytes/workgroup (compile time only)
; SGPRBlocks: 0
; VGPRBlocks: 0
; NumSGPRsForWavesPerEU: 4
; NumVGPRsForWavesPerEU: 1
; Occupancy: 10
; WaveLimiterHint : 0
; COMPUTE_PGM_RSRC2:SCRATCH_EN: 0
; COMPUTE_PGM_RSRC2:USER_SGPR: 6
; COMPUTE_PGM_RSRC2:TRAP_HANDLER: 0
; COMPUTE_PGM_RSRC2:TGID_X_EN: 1
; COMPUTE_PGM_RSRC2:TGID_Y_EN: 0
; COMPUTE_PGM_RSRC2:TGID_Z_EN: 0
; COMPUTE_PGM_RSRC2:TIDIG_COMP_CNT: 0
	.section	.text._ZN7rocprim17ROCPRIM_400000_NS6detail17trampoline_kernelINS0_14default_configENS1_22reduce_config_selectorIiEEZNS1_11reduce_implILb1ES3_N6thrust23THRUST_200600_302600_NS11hip_rocprim35transform_pair_of_input_iterators_tIiPdSB_NS8_12not_equal_toIdEEEEPiiNS8_4plusIiEEEE10hipError_tPvRmT1_T2_T3_mT4_P12ihipStream_tbEUlT_E1_NS1_11comp_targetILNS1_3genE9ELNS1_11target_archE1100ELNS1_3gpuE3ELNS1_3repE0EEENS1_30default_config_static_selectorELNS0_4arch9wavefront6targetE1EEEvSL_,"axG",@progbits,_ZN7rocprim17ROCPRIM_400000_NS6detail17trampoline_kernelINS0_14default_configENS1_22reduce_config_selectorIiEEZNS1_11reduce_implILb1ES3_N6thrust23THRUST_200600_302600_NS11hip_rocprim35transform_pair_of_input_iterators_tIiPdSB_NS8_12not_equal_toIdEEEEPiiNS8_4plusIiEEEE10hipError_tPvRmT1_T2_T3_mT4_P12ihipStream_tbEUlT_E1_NS1_11comp_targetILNS1_3genE9ELNS1_11target_archE1100ELNS1_3gpuE3ELNS1_3repE0EEENS1_30default_config_static_selectorELNS0_4arch9wavefront6targetE1EEEvSL_,comdat
	.protected	_ZN7rocprim17ROCPRIM_400000_NS6detail17trampoline_kernelINS0_14default_configENS1_22reduce_config_selectorIiEEZNS1_11reduce_implILb1ES3_N6thrust23THRUST_200600_302600_NS11hip_rocprim35transform_pair_of_input_iterators_tIiPdSB_NS8_12not_equal_toIdEEEEPiiNS8_4plusIiEEEE10hipError_tPvRmT1_T2_T3_mT4_P12ihipStream_tbEUlT_E1_NS1_11comp_targetILNS1_3genE9ELNS1_11target_archE1100ELNS1_3gpuE3ELNS1_3repE0EEENS1_30default_config_static_selectorELNS0_4arch9wavefront6targetE1EEEvSL_ ; -- Begin function _ZN7rocprim17ROCPRIM_400000_NS6detail17trampoline_kernelINS0_14default_configENS1_22reduce_config_selectorIiEEZNS1_11reduce_implILb1ES3_N6thrust23THRUST_200600_302600_NS11hip_rocprim35transform_pair_of_input_iterators_tIiPdSB_NS8_12not_equal_toIdEEEEPiiNS8_4plusIiEEEE10hipError_tPvRmT1_T2_T3_mT4_P12ihipStream_tbEUlT_E1_NS1_11comp_targetILNS1_3genE9ELNS1_11target_archE1100ELNS1_3gpuE3ELNS1_3repE0EEENS1_30default_config_static_selectorELNS0_4arch9wavefront6targetE1EEEvSL_
	.globl	_ZN7rocprim17ROCPRIM_400000_NS6detail17trampoline_kernelINS0_14default_configENS1_22reduce_config_selectorIiEEZNS1_11reduce_implILb1ES3_N6thrust23THRUST_200600_302600_NS11hip_rocprim35transform_pair_of_input_iterators_tIiPdSB_NS8_12not_equal_toIdEEEEPiiNS8_4plusIiEEEE10hipError_tPvRmT1_T2_T3_mT4_P12ihipStream_tbEUlT_E1_NS1_11comp_targetILNS1_3genE9ELNS1_11target_archE1100ELNS1_3gpuE3ELNS1_3repE0EEENS1_30default_config_static_selectorELNS0_4arch9wavefront6targetE1EEEvSL_
	.p2align	8
	.type	_ZN7rocprim17ROCPRIM_400000_NS6detail17trampoline_kernelINS0_14default_configENS1_22reduce_config_selectorIiEEZNS1_11reduce_implILb1ES3_N6thrust23THRUST_200600_302600_NS11hip_rocprim35transform_pair_of_input_iterators_tIiPdSB_NS8_12not_equal_toIdEEEEPiiNS8_4plusIiEEEE10hipError_tPvRmT1_T2_T3_mT4_P12ihipStream_tbEUlT_E1_NS1_11comp_targetILNS1_3genE9ELNS1_11target_archE1100ELNS1_3gpuE3ELNS1_3repE0EEENS1_30default_config_static_selectorELNS0_4arch9wavefront6targetE1EEEvSL_,@function
_ZN7rocprim17ROCPRIM_400000_NS6detail17trampoline_kernelINS0_14default_configENS1_22reduce_config_selectorIiEEZNS1_11reduce_implILb1ES3_N6thrust23THRUST_200600_302600_NS11hip_rocprim35transform_pair_of_input_iterators_tIiPdSB_NS8_12not_equal_toIdEEEEPiiNS8_4plusIiEEEE10hipError_tPvRmT1_T2_T3_mT4_P12ihipStream_tbEUlT_E1_NS1_11comp_targetILNS1_3genE9ELNS1_11target_archE1100ELNS1_3gpuE3ELNS1_3repE0EEENS1_30default_config_static_selectorELNS0_4arch9wavefront6targetE1EEEvSL_: ; @_ZN7rocprim17ROCPRIM_400000_NS6detail17trampoline_kernelINS0_14default_configENS1_22reduce_config_selectorIiEEZNS1_11reduce_implILb1ES3_N6thrust23THRUST_200600_302600_NS11hip_rocprim35transform_pair_of_input_iterators_tIiPdSB_NS8_12not_equal_toIdEEEEPiiNS8_4plusIiEEEE10hipError_tPvRmT1_T2_T3_mT4_P12ihipStream_tbEUlT_E1_NS1_11comp_targetILNS1_3genE9ELNS1_11target_archE1100ELNS1_3gpuE3ELNS1_3repE0EEENS1_30default_config_static_selectorELNS0_4arch9wavefront6targetE1EEEvSL_
; %bb.0:
	.section	.rodata,"a",@progbits
	.p2align	6, 0x0
	.amdhsa_kernel _ZN7rocprim17ROCPRIM_400000_NS6detail17trampoline_kernelINS0_14default_configENS1_22reduce_config_selectorIiEEZNS1_11reduce_implILb1ES3_N6thrust23THRUST_200600_302600_NS11hip_rocprim35transform_pair_of_input_iterators_tIiPdSB_NS8_12not_equal_toIdEEEEPiiNS8_4plusIiEEEE10hipError_tPvRmT1_T2_T3_mT4_P12ihipStream_tbEUlT_E1_NS1_11comp_targetILNS1_3genE9ELNS1_11target_archE1100ELNS1_3gpuE3ELNS1_3repE0EEENS1_30default_config_static_selectorELNS0_4arch9wavefront6targetE1EEEvSL_
		.amdhsa_group_segment_fixed_size 0
		.amdhsa_private_segment_fixed_size 0
		.amdhsa_kernarg_size 56
		.amdhsa_user_sgpr_count 6
		.amdhsa_user_sgpr_private_segment_buffer 1
		.amdhsa_user_sgpr_dispatch_ptr 0
		.amdhsa_user_sgpr_queue_ptr 0
		.amdhsa_user_sgpr_kernarg_segment_ptr 1
		.amdhsa_user_sgpr_dispatch_id 0
		.amdhsa_user_sgpr_flat_scratch_init 0
		.amdhsa_user_sgpr_private_segment_size 0
		.amdhsa_uses_dynamic_stack 0
		.amdhsa_system_sgpr_private_segment_wavefront_offset 0
		.amdhsa_system_sgpr_workgroup_id_x 1
		.amdhsa_system_sgpr_workgroup_id_y 0
		.amdhsa_system_sgpr_workgroup_id_z 0
		.amdhsa_system_sgpr_workgroup_info 0
		.amdhsa_system_vgpr_workitem_id 0
		.amdhsa_next_free_vgpr 1
		.amdhsa_next_free_sgpr 0
		.amdhsa_reserve_vcc 0
		.amdhsa_reserve_flat_scratch 0
		.amdhsa_float_round_mode_32 0
		.amdhsa_float_round_mode_16_64 0
		.amdhsa_float_denorm_mode_32 3
		.amdhsa_float_denorm_mode_16_64 3
		.amdhsa_dx10_clamp 1
		.amdhsa_ieee_mode 1
		.amdhsa_fp16_overflow 0
		.amdhsa_exception_fp_ieee_invalid_op 0
		.amdhsa_exception_fp_denorm_src 0
		.amdhsa_exception_fp_ieee_div_zero 0
		.amdhsa_exception_fp_ieee_overflow 0
		.amdhsa_exception_fp_ieee_underflow 0
		.amdhsa_exception_fp_ieee_inexact 0
		.amdhsa_exception_int_div_zero 0
	.end_amdhsa_kernel
	.section	.text._ZN7rocprim17ROCPRIM_400000_NS6detail17trampoline_kernelINS0_14default_configENS1_22reduce_config_selectorIiEEZNS1_11reduce_implILb1ES3_N6thrust23THRUST_200600_302600_NS11hip_rocprim35transform_pair_of_input_iterators_tIiPdSB_NS8_12not_equal_toIdEEEEPiiNS8_4plusIiEEEE10hipError_tPvRmT1_T2_T3_mT4_P12ihipStream_tbEUlT_E1_NS1_11comp_targetILNS1_3genE9ELNS1_11target_archE1100ELNS1_3gpuE3ELNS1_3repE0EEENS1_30default_config_static_selectorELNS0_4arch9wavefront6targetE1EEEvSL_,"axG",@progbits,_ZN7rocprim17ROCPRIM_400000_NS6detail17trampoline_kernelINS0_14default_configENS1_22reduce_config_selectorIiEEZNS1_11reduce_implILb1ES3_N6thrust23THRUST_200600_302600_NS11hip_rocprim35transform_pair_of_input_iterators_tIiPdSB_NS8_12not_equal_toIdEEEEPiiNS8_4plusIiEEEE10hipError_tPvRmT1_T2_T3_mT4_P12ihipStream_tbEUlT_E1_NS1_11comp_targetILNS1_3genE9ELNS1_11target_archE1100ELNS1_3gpuE3ELNS1_3repE0EEENS1_30default_config_static_selectorELNS0_4arch9wavefront6targetE1EEEvSL_,comdat
.Lfunc_end1686:
	.size	_ZN7rocprim17ROCPRIM_400000_NS6detail17trampoline_kernelINS0_14default_configENS1_22reduce_config_selectorIiEEZNS1_11reduce_implILb1ES3_N6thrust23THRUST_200600_302600_NS11hip_rocprim35transform_pair_of_input_iterators_tIiPdSB_NS8_12not_equal_toIdEEEEPiiNS8_4plusIiEEEE10hipError_tPvRmT1_T2_T3_mT4_P12ihipStream_tbEUlT_E1_NS1_11comp_targetILNS1_3genE9ELNS1_11target_archE1100ELNS1_3gpuE3ELNS1_3repE0EEENS1_30default_config_static_selectorELNS0_4arch9wavefront6targetE1EEEvSL_, .Lfunc_end1686-_ZN7rocprim17ROCPRIM_400000_NS6detail17trampoline_kernelINS0_14default_configENS1_22reduce_config_selectorIiEEZNS1_11reduce_implILb1ES3_N6thrust23THRUST_200600_302600_NS11hip_rocprim35transform_pair_of_input_iterators_tIiPdSB_NS8_12not_equal_toIdEEEEPiiNS8_4plusIiEEEE10hipError_tPvRmT1_T2_T3_mT4_P12ihipStream_tbEUlT_E1_NS1_11comp_targetILNS1_3genE9ELNS1_11target_archE1100ELNS1_3gpuE3ELNS1_3repE0EEENS1_30default_config_static_selectorELNS0_4arch9wavefront6targetE1EEEvSL_
                                        ; -- End function
	.set _ZN7rocprim17ROCPRIM_400000_NS6detail17trampoline_kernelINS0_14default_configENS1_22reduce_config_selectorIiEEZNS1_11reduce_implILb1ES3_N6thrust23THRUST_200600_302600_NS11hip_rocprim35transform_pair_of_input_iterators_tIiPdSB_NS8_12not_equal_toIdEEEEPiiNS8_4plusIiEEEE10hipError_tPvRmT1_T2_T3_mT4_P12ihipStream_tbEUlT_E1_NS1_11comp_targetILNS1_3genE9ELNS1_11target_archE1100ELNS1_3gpuE3ELNS1_3repE0EEENS1_30default_config_static_selectorELNS0_4arch9wavefront6targetE1EEEvSL_.num_vgpr, 0
	.set _ZN7rocprim17ROCPRIM_400000_NS6detail17trampoline_kernelINS0_14default_configENS1_22reduce_config_selectorIiEEZNS1_11reduce_implILb1ES3_N6thrust23THRUST_200600_302600_NS11hip_rocprim35transform_pair_of_input_iterators_tIiPdSB_NS8_12not_equal_toIdEEEEPiiNS8_4plusIiEEEE10hipError_tPvRmT1_T2_T3_mT4_P12ihipStream_tbEUlT_E1_NS1_11comp_targetILNS1_3genE9ELNS1_11target_archE1100ELNS1_3gpuE3ELNS1_3repE0EEENS1_30default_config_static_selectorELNS0_4arch9wavefront6targetE1EEEvSL_.num_agpr, 0
	.set _ZN7rocprim17ROCPRIM_400000_NS6detail17trampoline_kernelINS0_14default_configENS1_22reduce_config_selectorIiEEZNS1_11reduce_implILb1ES3_N6thrust23THRUST_200600_302600_NS11hip_rocprim35transform_pair_of_input_iterators_tIiPdSB_NS8_12not_equal_toIdEEEEPiiNS8_4plusIiEEEE10hipError_tPvRmT1_T2_T3_mT4_P12ihipStream_tbEUlT_E1_NS1_11comp_targetILNS1_3genE9ELNS1_11target_archE1100ELNS1_3gpuE3ELNS1_3repE0EEENS1_30default_config_static_selectorELNS0_4arch9wavefront6targetE1EEEvSL_.numbered_sgpr, 0
	.set _ZN7rocprim17ROCPRIM_400000_NS6detail17trampoline_kernelINS0_14default_configENS1_22reduce_config_selectorIiEEZNS1_11reduce_implILb1ES3_N6thrust23THRUST_200600_302600_NS11hip_rocprim35transform_pair_of_input_iterators_tIiPdSB_NS8_12not_equal_toIdEEEEPiiNS8_4plusIiEEEE10hipError_tPvRmT1_T2_T3_mT4_P12ihipStream_tbEUlT_E1_NS1_11comp_targetILNS1_3genE9ELNS1_11target_archE1100ELNS1_3gpuE3ELNS1_3repE0EEENS1_30default_config_static_selectorELNS0_4arch9wavefront6targetE1EEEvSL_.num_named_barrier, 0
	.set _ZN7rocprim17ROCPRIM_400000_NS6detail17trampoline_kernelINS0_14default_configENS1_22reduce_config_selectorIiEEZNS1_11reduce_implILb1ES3_N6thrust23THRUST_200600_302600_NS11hip_rocprim35transform_pair_of_input_iterators_tIiPdSB_NS8_12not_equal_toIdEEEEPiiNS8_4plusIiEEEE10hipError_tPvRmT1_T2_T3_mT4_P12ihipStream_tbEUlT_E1_NS1_11comp_targetILNS1_3genE9ELNS1_11target_archE1100ELNS1_3gpuE3ELNS1_3repE0EEENS1_30default_config_static_selectorELNS0_4arch9wavefront6targetE1EEEvSL_.private_seg_size, 0
	.set _ZN7rocprim17ROCPRIM_400000_NS6detail17trampoline_kernelINS0_14default_configENS1_22reduce_config_selectorIiEEZNS1_11reduce_implILb1ES3_N6thrust23THRUST_200600_302600_NS11hip_rocprim35transform_pair_of_input_iterators_tIiPdSB_NS8_12not_equal_toIdEEEEPiiNS8_4plusIiEEEE10hipError_tPvRmT1_T2_T3_mT4_P12ihipStream_tbEUlT_E1_NS1_11comp_targetILNS1_3genE9ELNS1_11target_archE1100ELNS1_3gpuE3ELNS1_3repE0EEENS1_30default_config_static_selectorELNS0_4arch9wavefront6targetE1EEEvSL_.uses_vcc, 0
	.set _ZN7rocprim17ROCPRIM_400000_NS6detail17trampoline_kernelINS0_14default_configENS1_22reduce_config_selectorIiEEZNS1_11reduce_implILb1ES3_N6thrust23THRUST_200600_302600_NS11hip_rocprim35transform_pair_of_input_iterators_tIiPdSB_NS8_12not_equal_toIdEEEEPiiNS8_4plusIiEEEE10hipError_tPvRmT1_T2_T3_mT4_P12ihipStream_tbEUlT_E1_NS1_11comp_targetILNS1_3genE9ELNS1_11target_archE1100ELNS1_3gpuE3ELNS1_3repE0EEENS1_30default_config_static_selectorELNS0_4arch9wavefront6targetE1EEEvSL_.uses_flat_scratch, 0
	.set _ZN7rocprim17ROCPRIM_400000_NS6detail17trampoline_kernelINS0_14default_configENS1_22reduce_config_selectorIiEEZNS1_11reduce_implILb1ES3_N6thrust23THRUST_200600_302600_NS11hip_rocprim35transform_pair_of_input_iterators_tIiPdSB_NS8_12not_equal_toIdEEEEPiiNS8_4plusIiEEEE10hipError_tPvRmT1_T2_T3_mT4_P12ihipStream_tbEUlT_E1_NS1_11comp_targetILNS1_3genE9ELNS1_11target_archE1100ELNS1_3gpuE3ELNS1_3repE0EEENS1_30default_config_static_selectorELNS0_4arch9wavefront6targetE1EEEvSL_.has_dyn_sized_stack, 0
	.set _ZN7rocprim17ROCPRIM_400000_NS6detail17trampoline_kernelINS0_14default_configENS1_22reduce_config_selectorIiEEZNS1_11reduce_implILb1ES3_N6thrust23THRUST_200600_302600_NS11hip_rocprim35transform_pair_of_input_iterators_tIiPdSB_NS8_12not_equal_toIdEEEEPiiNS8_4plusIiEEEE10hipError_tPvRmT1_T2_T3_mT4_P12ihipStream_tbEUlT_E1_NS1_11comp_targetILNS1_3genE9ELNS1_11target_archE1100ELNS1_3gpuE3ELNS1_3repE0EEENS1_30default_config_static_selectorELNS0_4arch9wavefront6targetE1EEEvSL_.has_recursion, 0
	.set _ZN7rocprim17ROCPRIM_400000_NS6detail17trampoline_kernelINS0_14default_configENS1_22reduce_config_selectorIiEEZNS1_11reduce_implILb1ES3_N6thrust23THRUST_200600_302600_NS11hip_rocprim35transform_pair_of_input_iterators_tIiPdSB_NS8_12not_equal_toIdEEEEPiiNS8_4plusIiEEEE10hipError_tPvRmT1_T2_T3_mT4_P12ihipStream_tbEUlT_E1_NS1_11comp_targetILNS1_3genE9ELNS1_11target_archE1100ELNS1_3gpuE3ELNS1_3repE0EEENS1_30default_config_static_selectorELNS0_4arch9wavefront6targetE1EEEvSL_.has_indirect_call, 0
	.section	.AMDGPU.csdata,"",@progbits
; Kernel info:
; codeLenInByte = 0
; TotalNumSgprs: 4
; NumVgprs: 0
; ScratchSize: 0
; MemoryBound: 0
; FloatMode: 240
; IeeeMode: 1
; LDSByteSize: 0 bytes/workgroup (compile time only)
; SGPRBlocks: 0
; VGPRBlocks: 0
; NumSGPRsForWavesPerEU: 4
; NumVGPRsForWavesPerEU: 1
; Occupancy: 10
; WaveLimiterHint : 0
; COMPUTE_PGM_RSRC2:SCRATCH_EN: 0
; COMPUTE_PGM_RSRC2:USER_SGPR: 6
; COMPUTE_PGM_RSRC2:TRAP_HANDLER: 0
; COMPUTE_PGM_RSRC2:TGID_X_EN: 1
; COMPUTE_PGM_RSRC2:TGID_Y_EN: 0
; COMPUTE_PGM_RSRC2:TGID_Z_EN: 0
; COMPUTE_PGM_RSRC2:TIDIG_COMP_CNT: 0
	.section	.text._ZN7rocprim17ROCPRIM_400000_NS6detail17trampoline_kernelINS0_14default_configENS1_22reduce_config_selectorIiEEZNS1_11reduce_implILb1ES3_N6thrust23THRUST_200600_302600_NS11hip_rocprim35transform_pair_of_input_iterators_tIiPdSB_NS8_12not_equal_toIdEEEEPiiNS8_4plusIiEEEE10hipError_tPvRmT1_T2_T3_mT4_P12ihipStream_tbEUlT_E1_NS1_11comp_targetILNS1_3genE8ELNS1_11target_archE1030ELNS1_3gpuE2ELNS1_3repE0EEENS1_30default_config_static_selectorELNS0_4arch9wavefront6targetE1EEEvSL_,"axG",@progbits,_ZN7rocprim17ROCPRIM_400000_NS6detail17trampoline_kernelINS0_14default_configENS1_22reduce_config_selectorIiEEZNS1_11reduce_implILb1ES3_N6thrust23THRUST_200600_302600_NS11hip_rocprim35transform_pair_of_input_iterators_tIiPdSB_NS8_12not_equal_toIdEEEEPiiNS8_4plusIiEEEE10hipError_tPvRmT1_T2_T3_mT4_P12ihipStream_tbEUlT_E1_NS1_11comp_targetILNS1_3genE8ELNS1_11target_archE1030ELNS1_3gpuE2ELNS1_3repE0EEENS1_30default_config_static_selectorELNS0_4arch9wavefront6targetE1EEEvSL_,comdat
	.protected	_ZN7rocprim17ROCPRIM_400000_NS6detail17trampoline_kernelINS0_14default_configENS1_22reduce_config_selectorIiEEZNS1_11reduce_implILb1ES3_N6thrust23THRUST_200600_302600_NS11hip_rocprim35transform_pair_of_input_iterators_tIiPdSB_NS8_12not_equal_toIdEEEEPiiNS8_4plusIiEEEE10hipError_tPvRmT1_T2_T3_mT4_P12ihipStream_tbEUlT_E1_NS1_11comp_targetILNS1_3genE8ELNS1_11target_archE1030ELNS1_3gpuE2ELNS1_3repE0EEENS1_30default_config_static_selectorELNS0_4arch9wavefront6targetE1EEEvSL_ ; -- Begin function _ZN7rocprim17ROCPRIM_400000_NS6detail17trampoline_kernelINS0_14default_configENS1_22reduce_config_selectorIiEEZNS1_11reduce_implILb1ES3_N6thrust23THRUST_200600_302600_NS11hip_rocprim35transform_pair_of_input_iterators_tIiPdSB_NS8_12not_equal_toIdEEEEPiiNS8_4plusIiEEEE10hipError_tPvRmT1_T2_T3_mT4_P12ihipStream_tbEUlT_E1_NS1_11comp_targetILNS1_3genE8ELNS1_11target_archE1030ELNS1_3gpuE2ELNS1_3repE0EEENS1_30default_config_static_selectorELNS0_4arch9wavefront6targetE1EEEvSL_
	.globl	_ZN7rocprim17ROCPRIM_400000_NS6detail17trampoline_kernelINS0_14default_configENS1_22reduce_config_selectorIiEEZNS1_11reduce_implILb1ES3_N6thrust23THRUST_200600_302600_NS11hip_rocprim35transform_pair_of_input_iterators_tIiPdSB_NS8_12not_equal_toIdEEEEPiiNS8_4plusIiEEEE10hipError_tPvRmT1_T2_T3_mT4_P12ihipStream_tbEUlT_E1_NS1_11comp_targetILNS1_3genE8ELNS1_11target_archE1030ELNS1_3gpuE2ELNS1_3repE0EEENS1_30default_config_static_selectorELNS0_4arch9wavefront6targetE1EEEvSL_
	.p2align	8
	.type	_ZN7rocprim17ROCPRIM_400000_NS6detail17trampoline_kernelINS0_14default_configENS1_22reduce_config_selectorIiEEZNS1_11reduce_implILb1ES3_N6thrust23THRUST_200600_302600_NS11hip_rocprim35transform_pair_of_input_iterators_tIiPdSB_NS8_12not_equal_toIdEEEEPiiNS8_4plusIiEEEE10hipError_tPvRmT1_T2_T3_mT4_P12ihipStream_tbEUlT_E1_NS1_11comp_targetILNS1_3genE8ELNS1_11target_archE1030ELNS1_3gpuE2ELNS1_3repE0EEENS1_30default_config_static_selectorELNS0_4arch9wavefront6targetE1EEEvSL_,@function
_ZN7rocprim17ROCPRIM_400000_NS6detail17trampoline_kernelINS0_14default_configENS1_22reduce_config_selectorIiEEZNS1_11reduce_implILb1ES3_N6thrust23THRUST_200600_302600_NS11hip_rocprim35transform_pair_of_input_iterators_tIiPdSB_NS8_12not_equal_toIdEEEEPiiNS8_4plusIiEEEE10hipError_tPvRmT1_T2_T3_mT4_P12ihipStream_tbEUlT_E1_NS1_11comp_targetILNS1_3genE8ELNS1_11target_archE1030ELNS1_3gpuE2ELNS1_3repE0EEENS1_30default_config_static_selectorELNS0_4arch9wavefront6targetE1EEEvSL_: ; @_ZN7rocprim17ROCPRIM_400000_NS6detail17trampoline_kernelINS0_14default_configENS1_22reduce_config_selectorIiEEZNS1_11reduce_implILb1ES3_N6thrust23THRUST_200600_302600_NS11hip_rocprim35transform_pair_of_input_iterators_tIiPdSB_NS8_12not_equal_toIdEEEEPiiNS8_4plusIiEEEE10hipError_tPvRmT1_T2_T3_mT4_P12ihipStream_tbEUlT_E1_NS1_11comp_targetILNS1_3genE8ELNS1_11target_archE1030ELNS1_3gpuE2ELNS1_3repE0EEENS1_30default_config_static_selectorELNS0_4arch9wavefront6targetE1EEEvSL_
; %bb.0:
	.section	.rodata,"a",@progbits
	.p2align	6, 0x0
	.amdhsa_kernel _ZN7rocprim17ROCPRIM_400000_NS6detail17trampoline_kernelINS0_14default_configENS1_22reduce_config_selectorIiEEZNS1_11reduce_implILb1ES3_N6thrust23THRUST_200600_302600_NS11hip_rocprim35transform_pair_of_input_iterators_tIiPdSB_NS8_12not_equal_toIdEEEEPiiNS8_4plusIiEEEE10hipError_tPvRmT1_T2_T3_mT4_P12ihipStream_tbEUlT_E1_NS1_11comp_targetILNS1_3genE8ELNS1_11target_archE1030ELNS1_3gpuE2ELNS1_3repE0EEENS1_30default_config_static_selectorELNS0_4arch9wavefront6targetE1EEEvSL_
		.amdhsa_group_segment_fixed_size 0
		.amdhsa_private_segment_fixed_size 0
		.amdhsa_kernarg_size 56
		.amdhsa_user_sgpr_count 6
		.amdhsa_user_sgpr_private_segment_buffer 1
		.amdhsa_user_sgpr_dispatch_ptr 0
		.amdhsa_user_sgpr_queue_ptr 0
		.amdhsa_user_sgpr_kernarg_segment_ptr 1
		.amdhsa_user_sgpr_dispatch_id 0
		.amdhsa_user_sgpr_flat_scratch_init 0
		.amdhsa_user_sgpr_private_segment_size 0
		.amdhsa_uses_dynamic_stack 0
		.amdhsa_system_sgpr_private_segment_wavefront_offset 0
		.amdhsa_system_sgpr_workgroup_id_x 1
		.amdhsa_system_sgpr_workgroup_id_y 0
		.amdhsa_system_sgpr_workgroup_id_z 0
		.amdhsa_system_sgpr_workgroup_info 0
		.amdhsa_system_vgpr_workitem_id 0
		.amdhsa_next_free_vgpr 1
		.amdhsa_next_free_sgpr 0
		.amdhsa_reserve_vcc 0
		.amdhsa_reserve_flat_scratch 0
		.amdhsa_float_round_mode_32 0
		.amdhsa_float_round_mode_16_64 0
		.amdhsa_float_denorm_mode_32 3
		.amdhsa_float_denorm_mode_16_64 3
		.amdhsa_dx10_clamp 1
		.amdhsa_ieee_mode 1
		.amdhsa_fp16_overflow 0
		.amdhsa_exception_fp_ieee_invalid_op 0
		.amdhsa_exception_fp_denorm_src 0
		.amdhsa_exception_fp_ieee_div_zero 0
		.amdhsa_exception_fp_ieee_overflow 0
		.amdhsa_exception_fp_ieee_underflow 0
		.amdhsa_exception_fp_ieee_inexact 0
		.amdhsa_exception_int_div_zero 0
	.end_amdhsa_kernel
	.section	.text._ZN7rocprim17ROCPRIM_400000_NS6detail17trampoline_kernelINS0_14default_configENS1_22reduce_config_selectorIiEEZNS1_11reduce_implILb1ES3_N6thrust23THRUST_200600_302600_NS11hip_rocprim35transform_pair_of_input_iterators_tIiPdSB_NS8_12not_equal_toIdEEEEPiiNS8_4plusIiEEEE10hipError_tPvRmT1_T2_T3_mT4_P12ihipStream_tbEUlT_E1_NS1_11comp_targetILNS1_3genE8ELNS1_11target_archE1030ELNS1_3gpuE2ELNS1_3repE0EEENS1_30default_config_static_selectorELNS0_4arch9wavefront6targetE1EEEvSL_,"axG",@progbits,_ZN7rocprim17ROCPRIM_400000_NS6detail17trampoline_kernelINS0_14default_configENS1_22reduce_config_selectorIiEEZNS1_11reduce_implILb1ES3_N6thrust23THRUST_200600_302600_NS11hip_rocprim35transform_pair_of_input_iterators_tIiPdSB_NS8_12not_equal_toIdEEEEPiiNS8_4plusIiEEEE10hipError_tPvRmT1_T2_T3_mT4_P12ihipStream_tbEUlT_E1_NS1_11comp_targetILNS1_3genE8ELNS1_11target_archE1030ELNS1_3gpuE2ELNS1_3repE0EEENS1_30default_config_static_selectorELNS0_4arch9wavefront6targetE1EEEvSL_,comdat
.Lfunc_end1687:
	.size	_ZN7rocprim17ROCPRIM_400000_NS6detail17trampoline_kernelINS0_14default_configENS1_22reduce_config_selectorIiEEZNS1_11reduce_implILb1ES3_N6thrust23THRUST_200600_302600_NS11hip_rocprim35transform_pair_of_input_iterators_tIiPdSB_NS8_12not_equal_toIdEEEEPiiNS8_4plusIiEEEE10hipError_tPvRmT1_T2_T3_mT4_P12ihipStream_tbEUlT_E1_NS1_11comp_targetILNS1_3genE8ELNS1_11target_archE1030ELNS1_3gpuE2ELNS1_3repE0EEENS1_30default_config_static_selectorELNS0_4arch9wavefront6targetE1EEEvSL_, .Lfunc_end1687-_ZN7rocprim17ROCPRIM_400000_NS6detail17trampoline_kernelINS0_14default_configENS1_22reduce_config_selectorIiEEZNS1_11reduce_implILb1ES3_N6thrust23THRUST_200600_302600_NS11hip_rocprim35transform_pair_of_input_iterators_tIiPdSB_NS8_12not_equal_toIdEEEEPiiNS8_4plusIiEEEE10hipError_tPvRmT1_T2_T3_mT4_P12ihipStream_tbEUlT_E1_NS1_11comp_targetILNS1_3genE8ELNS1_11target_archE1030ELNS1_3gpuE2ELNS1_3repE0EEENS1_30default_config_static_selectorELNS0_4arch9wavefront6targetE1EEEvSL_
                                        ; -- End function
	.set _ZN7rocprim17ROCPRIM_400000_NS6detail17trampoline_kernelINS0_14default_configENS1_22reduce_config_selectorIiEEZNS1_11reduce_implILb1ES3_N6thrust23THRUST_200600_302600_NS11hip_rocprim35transform_pair_of_input_iterators_tIiPdSB_NS8_12not_equal_toIdEEEEPiiNS8_4plusIiEEEE10hipError_tPvRmT1_T2_T3_mT4_P12ihipStream_tbEUlT_E1_NS1_11comp_targetILNS1_3genE8ELNS1_11target_archE1030ELNS1_3gpuE2ELNS1_3repE0EEENS1_30default_config_static_selectorELNS0_4arch9wavefront6targetE1EEEvSL_.num_vgpr, 0
	.set _ZN7rocprim17ROCPRIM_400000_NS6detail17trampoline_kernelINS0_14default_configENS1_22reduce_config_selectorIiEEZNS1_11reduce_implILb1ES3_N6thrust23THRUST_200600_302600_NS11hip_rocprim35transform_pair_of_input_iterators_tIiPdSB_NS8_12not_equal_toIdEEEEPiiNS8_4plusIiEEEE10hipError_tPvRmT1_T2_T3_mT4_P12ihipStream_tbEUlT_E1_NS1_11comp_targetILNS1_3genE8ELNS1_11target_archE1030ELNS1_3gpuE2ELNS1_3repE0EEENS1_30default_config_static_selectorELNS0_4arch9wavefront6targetE1EEEvSL_.num_agpr, 0
	.set _ZN7rocprim17ROCPRIM_400000_NS6detail17trampoline_kernelINS0_14default_configENS1_22reduce_config_selectorIiEEZNS1_11reduce_implILb1ES3_N6thrust23THRUST_200600_302600_NS11hip_rocprim35transform_pair_of_input_iterators_tIiPdSB_NS8_12not_equal_toIdEEEEPiiNS8_4plusIiEEEE10hipError_tPvRmT1_T2_T3_mT4_P12ihipStream_tbEUlT_E1_NS1_11comp_targetILNS1_3genE8ELNS1_11target_archE1030ELNS1_3gpuE2ELNS1_3repE0EEENS1_30default_config_static_selectorELNS0_4arch9wavefront6targetE1EEEvSL_.numbered_sgpr, 0
	.set _ZN7rocprim17ROCPRIM_400000_NS6detail17trampoline_kernelINS0_14default_configENS1_22reduce_config_selectorIiEEZNS1_11reduce_implILb1ES3_N6thrust23THRUST_200600_302600_NS11hip_rocprim35transform_pair_of_input_iterators_tIiPdSB_NS8_12not_equal_toIdEEEEPiiNS8_4plusIiEEEE10hipError_tPvRmT1_T2_T3_mT4_P12ihipStream_tbEUlT_E1_NS1_11comp_targetILNS1_3genE8ELNS1_11target_archE1030ELNS1_3gpuE2ELNS1_3repE0EEENS1_30default_config_static_selectorELNS0_4arch9wavefront6targetE1EEEvSL_.num_named_barrier, 0
	.set _ZN7rocprim17ROCPRIM_400000_NS6detail17trampoline_kernelINS0_14default_configENS1_22reduce_config_selectorIiEEZNS1_11reduce_implILb1ES3_N6thrust23THRUST_200600_302600_NS11hip_rocprim35transform_pair_of_input_iterators_tIiPdSB_NS8_12not_equal_toIdEEEEPiiNS8_4plusIiEEEE10hipError_tPvRmT1_T2_T3_mT4_P12ihipStream_tbEUlT_E1_NS1_11comp_targetILNS1_3genE8ELNS1_11target_archE1030ELNS1_3gpuE2ELNS1_3repE0EEENS1_30default_config_static_selectorELNS0_4arch9wavefront6targetE1EEEvSL_.private_seg_size, 0
	.set _ZN7rocprim17ROCPRIM_400000_NS6detail17trampoline_kernelINS0_14default_configENS1_22reduce_config_selectorIiEEZNS1_11reduce_implILb1ES3_N6thrust23THRUST_200600_302600_NS11hip_rocprim35transform_pair_of_input_iterators_tIiPdSB_NS8_12not_equal_toIdEEEEPiiNS8_4plusIiEEEE10hipError_tPvRmT1_T2_T3_mT4_P12ihipStream_tbEUlT_E1_NS1_11comp_targetILNS1_3genE8ELNS1_11target_archE1030ELNS1_3gpuE2ELNS1_3repE0EEENS1_30default_config_static_selectorELNS0_4arch9wavefront6targetE1EEEvSL_.uses_vcc, 0
	.set _ZN7rocprim17ROCPRIM_400000_NS6detail17trampoline_kernelINS0_14default_configENS1_22reduce_config_selectorIiEEZNS1_11reduce_implILb1ES3_N6thrust23THRUST_200600_302600_NS11hip_rocprim35transform_pair_of_input_iterators_tIiPdSB_NS8_12not_equal_toIdEEEEPiiNS8_4plusIiEEEE10hipError_tPvRmT1_T2_T3_mT4_P12ihipStream_tbEUlT_E1_NS1_11comp_targetILNS1_3genE8ELNS1_11target_archE1030ELNS1_3gpuE2ELNS1_3repE0EEENS1_30default_config_static_selectorELNS0_4arch9wavefront6targetE1EEEvSL_.uses_flat_scratch, 0
	.set _ZN7rocprim17ROCPRIM_400000_NS6detail17trampoline_kernelINS0_14default_configENS1_22reduce_config_selectorIiEEZNS1_11reduce_implILb1ES3_N6thrust23THRUST_200600_302600_NS11hip_rocprim35transform_pair_of_input_iterators_tIiPdSB_NS8_12not_equal_toIdEEEEPiiNS8_4plusIiEEEE10hipError_tPvRmT1_T2_T3_mT4_P12ihipStream_tbEUlT_E1_NS1_11comp_targetILNS1_3genE8ELNS1_11target_archE1030ELNS1_3gpuE2ELNS1_3repE0EEENS1_30default_config_static_selectorELNS0_4arch9wavefront6targetE1EEEvSL_.has_dyn_sized_stack, 0
	.set _ZN7rocprim17ROCPRIM_400000_NS6detail17trampoline_kernelINS0_14default_configENS1_22reduce_config_selectorIiEEZNS1_11reduce_implILb1ES3_N6thrust23THRUST_200600_302600_NS11hip_rocprim35transform_pair_of_input_iterators_tIiPdSB_NS8_12not_equal_toIdEEEEPiiNS8_4plusIiEEEE10hipError_tPvRmT1_T2_T3_mT4_P12ihipStream_tbEUlT_E1_NS1_11comp_targetILNS1_3genE8ELNS1_11target_archE1030ELNS1_3gpuE2ELNS1_3repE0EEENS1_30default_config_static_selectorELNS0_4arch9wavefront6targetE1EEEvSL_.has_recursion, 0
	.set _ZN7rocprim17ROCPRIM_400000_NS6detail17trampoline_kernelINS0_14default_configENS1_22reduce_config_selectorIiEEZNS1_11reduce_implILb1ES3_N6thrust23THRUST_200600_302600_NS11hip_rocprim35transform_pair_of_input_iterators_tIiPdSB_NS8_12not_equal_toIdEEEEPiiNS8_4plusIiEEEE10hipError_tPvRmT1_T2_T3_mT4_P12ihipStream_tbEUlT_E1_NS1_11comp_targetILNS1_3genE8ELNS1_11target_archE1030ELNS1_3gpuE2ELNS1_3repE0EEENS1_30default_config_static_selectorELNS0_4arch9wavefront6targetE1EEEvSL_.has_indirect_call, 0
	.section	.AMDGPU.csdata,"",@progbits
; Kernel info:
; codeLenInByte = 0
; TotalNumSgprs: 4
; NumVgprs: 0
; ScratchSize: 0
; MemoryBound: 0
; FloatMode: 240
; IeeeMode: 1
; LDSByteSize: 0 bytes/workgroup (compile time only)
; SGPRBlocks: 0
; VGPRBlocks: 0
; NumSGPRsForWavesPerEU: 4
; NumVGPRsForWavesPerEU: 1
; Occupancy: 10
; WaveLimiterHint : 0
; COMPUTE_PGM_RSRC2:SCRATCH_EN: 0
; COMPUTE_PGM_RSRC2:USER_SGPR: 6
; COMPUTE_PGM_RSRC2:TRAP_HANDLER: 0
; COMPUTE_PGM_RSRC2:TGID_X_EN: 1
; COMPUTE_PGM_RSRC2:TGID_Y_EN: 0
; COMPUTE_PGM_RSRC2:TGID_Z_EN: 0
; COMPUTE_PGM_RSRC2:TIDIG_COMP_CNT: 0
	.section	.text._ZN7rocprim17ROCPRIM_400000_NS6detail17trampoline_kernelINS0_14default_configENS1_29reduce_by_key_config_selectorIdlN6thrust23THRUST_200600_302600_NS4plusIlEEEEZZNS1_33reduce_by_key_impl_wrapped_configILNS1_25lookback_scan_determinismE0ES3_S9_PdNS6_17constant_iteratorIiNS6_11use_defaultESE_EENS6_10device_ptrIdEENSG_IlEEPmS8_NS6_8equal_toIdEEEE10hipError_tPvRmT2_T3_mT4_T5_T6_T7_T8_P12ihipStream_tbENKUlT_T0_E_clISt17integral_constantIbLb0EES13_EEDaSY_SZ_EUlSY_E_NS1_11comp_targetILNS1_3genE0ELNS1_11target_archE4294967295ELNS1_3gpuE0ELNS1_3repE0EEENS1_30default_config_static_selectorELNS0_4arch9wavefront6targetE1EEEvT1_,"axG",@progbits,_ZN7rocprim17ROCPRIM_400000_NS6detail17trampoline_kernelINS0_14default_configENS1_29reduce_by_key_config_selectorIdlN6thrust23THRUST_200600_302600_NS4plusIlEEEEZZNS1_33reduce_by_key_impl_wrapped_configILNS1_25lookback_scan_determinismE0ES3_S9_PdNS6_17constant_iteratorIiNS6_11use_defaultESE_EENS6_10device_ptrIdEENSG_IlEEPmS8_NS6_8equal_toIdEEEE10hipError_tPvRmT2_T3_mT4_T5_T6_T7_T8_P12ihipStream_tbENKUlT_T0_E_clISt17integral_constantIbLb0EES13_EEDaSY_SZ_EUlSY_E_NS1_11comp_targetILNS1_3genE0ELNS1_11target_archE4294967295ELNS1_3gpuE0ELNS1_3repE0EEENS1_30default_config_static_selectorELNS0_4arch9wavefront6targetE1EEEvT1_,comdat
	.protected	_ZN7rocprim17ROCPRIM_400000_NS6detail17trampoline_kernelINS0_14default_configENS1_29reduce_by_key_config_selectorIdlN6thrust23THRUST_200600_302600_NS4plusIlEEEEZZNS1_33reduce_by_key_impl_wrapped_configILNS1_25lookback_scan_determinismE0ES3_S9_PdNS6_17constant_iteratorIiNS6_11use_defaultESE_EENS6_10device_ptrIdEENSG_IlEEPmS8_NS6_8equal_toIdEEEE10hipError_tPvRmT2_T3_mT4_T5_T6_T7_T8_P12ihipStream_tbENKUlT_T0_E_clISt17integral_constantIbLb0EES13_EEDaSY_SZ_EUlSY_E_NS1_11comp_targetILNS1_3genE0ELNS1_11target_archE4294967295ELNS1_3gpuE0ELNS1_3repE0EEENS1_30default_config_static_selectorELNS0_4arch9wavefront6targetE1EEEvT1_ ; -- Begin function _ZN7rocprim17ROCPRIM_400000_NS6detail17trampoline_kernelINS0_14default_configENS1_29reduce_by_key_config_selectorIdlN6thrust23THRUST_200600_302600_NS4plusIlEEEEZZNS1_33reduce_by_key_impl_wrapped_configILNS1_25lookback_scan_determinismE0ES3_S9_PdNS6_17constant_iteratorIiNS6_11use_defaultESE_EENS6_10device_ptrIdEENSG_IlEEPmS8_NS6_8equal_toIdEEEE10hipError_tPvRmT2_T3_mT4_T5_T6_T7_T8_P12ihipStream_tbENKUlT_T0_E_clISt17integral_constantIbLb0EES13_EEDaSY_SZ_EUlSY_E_NS1_11comp_targetILNS1_3genE0ELNS1_11target_archE4294967295ELNS1_3gpuE0ELNS1_3repE0EEENS1_30default_config_static_selectorELNS0_4arch9wavefront6targetE1EEEvT1_
	.globl	_ZN7rocprim17ROCPRIM_400000_NS6detail17trampoline_kernelINS0_14default_configENS1_29reduce_by_key_config_selectorIdlN6thrust23THRUST_200600_302600_NS4plusIlEEEEZZNS1_33reduce_by_key_impl_wrapped_configILNS1_25lookback_scan_determinismE0ES3_S9_PdNS6_17constant_iteratorIiNS6_11use_defaultESE_EENS6_10device_ptrIdEENSG_IlEEPmS8_NS6_8equal_toIdEEEE10hipError_tPvRmT2_T3_mT4_T5_T6_T7_T8_P12ihipStream_tbENKUlT_T0_E_clISt17integral_constantIbLb0EES13_EEDaSY_SZ_EUlSY_E_NS1_11comp_targetILNS1_3genE0ELNS1_11target_archE4294967295ELNS1_3gpuE0ELNS1_3repE0EEENS1_30default_config_static_selectorELNS0_4arch9wavefront6targetE1EEEvT1_
	.p2align	8
	.type	_ZN7rocprim17ROCPRIM_400000_NS6detail17trampoline_kernelINS0_14default_configENS1_29reduce_by_key_config_selectorIdlN6thrust23THRUST_200600_302600_NS4plusIlEEEEZZNS1_33reduce_by_key_impl_wrapped_configILNS1_25lookback_scan_determinismE0ES3_S9_PdNS6_17constant_iteratorIiNS6_11use_defaultESE_EENS6_10device_ptrIdEENSG_IlEEPmS8_NS6_8equal_toIdEEEE10hipError_tPvRmT2_T3_mT4_T5_T6_T7_T8_P12ihipStream_tbENKUlT_T0_E_clISt17integral_constantIbLb0EES13_EEDaSY_SZ_EUlSY_E_NS1_11comp_targetILNS1_3genE0ELNS1_11target_archE4294967295ELNS1_3gpuE0ELNS1_3repE0EEENS1_30default_config_static_selectorELNS0_4arch9wavefront6targetE1EEEvT1_,@function
_ZN7rocprim17ROCPRIM_400000_NS6detail17trampoline_kernelINS0_14default_configENS1_29reduce_by_key_config_selectorIdlN6thrust23THRUST_200600_302600_NS4plusIlEEEEZZNS1_33reduce_by_key_impl_wrapped_configILNS1_25lookback_scan_determinismE0ES3_S9_PdNS6_17constant_iteratorIiNS6_11use_defaultESE_EENS6_10device_ptrIdEENSG_IlEEPmS8_NS6_8equal_toIdEEEE10hipError_tPvRmT2_T3_mT4_T5_T6_T7_T8_P12ihipStream_tbENKUlT_T0_E_clISt17integral_constantIbLb0EES13_EEDaSY_SZ_EUlSY_E_NS1_11comp_targetILNS1_3genE0ELNS1_11target_archE4294967295ELNS1_3gpuE0ELNS1_3repE0EEENS1_30default_config_static_selectorELNS0_4arch9wavefront6targetE1EEEvT1_: ; @_ZN7rocprim17ROCPRIM_400000_NS6detail17trampoline_kernelINS0_14default_configENS1_29reduce_by_key_config_selectorIdlN6thrust23THRUST_200600_302600_NS4plusIlEEEEZZNS1_33reduce_by_key_impl_wrapped_configILNS1_25lookback_scan_determinismE0ES3_S9_PdNS6_17constant_iteratorIiNS6_11use_defaultESE_EENS6_10device_ptrIdEENSG_IlEEPmS8_NS6_8equal_toIdEEEE10hipError_tPvRmT2_T3_mT4_T5_T6_T7_T8_P12ihipStream_tbENKUlT_T0_E_clISt17integral_constantIbLb0EES13_EEDaSY_SZ_EUlSY_E_NS1_11comp_targetILNS1_3genE0ELNS1_11target_archE4294967295ELNS1_3gpuE0ELNS1_3repE0EEENS1_30default_config_static_selectorELNS0_4arch9wavefront6targetE1EEEvT1_
; %bb.0:
	.section	.rodata,"a",@progbits
	.p2align	6, 0x0
	.amdhsa_kernel _ZN7rocprim17ROCPRIM_400000_NS6detail17trampoline_kernelINS0_14default_configENS1_29reduce_by_key_config_selectorIdlN6thrust23THRUST_200600_302600_NS4plusIlEEEEZZNS1_33reduce_by_key_impl_wrapped_configILNS1_25lookback_scan_determinismE0ES3_S9_PdNS6_17constant_iteratorIiNS6_11use_defaultESE_EENS6_10device_ptrIdEENSG_IlEEPmS8_NS6_8equal_toIdEEEE10hipError_tPvRmT2_T3_mT4_T5_T6_T7_T8_P12ihipStream_tbENKUlT_T0_E_clISt17integral_constantIbLb0EES13_EEDaSY_SZ_EUlSY_E_NS1_11comp_targetILNS1_3genE0ELNS1_11target_archE4294967295ELNS1_3gpuE0ELNS1_3repE0EEENS1_30default_config_static_selectorELNS0_4arch9wavefront6targetE1EEEvT1_
		.amdhsa_group_segment_fixed_size 0
		.amdhsa_private_segment_fixed_size 0
		.amdhsa_kernarg_size 144
		.amdhsa_user_sgpr_count 6
		.amdhsa_user_sgpr_private_segment_buffer 1
		.amdhsa_user_sgpr_dispatch_ptr 0
		.amdhsa_user_sgpr_queue_ptr 0
		.amdhsa_user_sgpr_kernarg_segment_ptr 1
		.amdhsa_user_sgpr_dispatch_id 0
		.amdhsa_user_sgpr_flat_scratch_init 0
		.amdhsa_user_sgpr_private_segment_size 0
		.amdhsa_uses_dynamic_stack 0
		.amdhsa_system_sgpr_private_segment_wavefront_offset 0
		.amdhsa_system_sgpr_workgroup_id_x 1
		.amdhsa_system_sgpr_workgroup_id_y 0
		.amdhsa_system_sgpr_workgroup_id_z 0
		.amdhsa_system_sgpr_workgroup_info 0
		.amdhsa_system_vgpr_workitem_id 0
		.amdhsa_next_free_vgpr 1
		.amdhsa_next_free_sgpr 0
		.amdhsa_reserve_vcc 0
		.amdhsa_reserve_flat_scratch 0
		.amdhsa_float_round_mode_32 0
		.amdhsa_float_round_mode_16_64 0
		.amdhsa_float_denorm_mode_32 3
		.amdhsa_float_denorm_mode_16_64 3
		.amdhsa_dx10_clamp 1
		.amdhsa_ieee_mode 1
		.amdhsa_fp16_overflow 0
		.amdhsa_exception_fp_ieee_invalid_op 0
		.amdhsa_exception_fp_denorm_src 0
		.amdhsa_exception_fp_ieee_div_zero 0
		.amdhsa_exception_fp_ieee_overflow 0
		.amdhsa_exception_fp_ieee_underflow 0
		.amdhsa_exception_fp_ieee_inexact 0
		.amdhsa_exception_int_div_zero 0
	.end_amdhsa_kernel
	.section	.text._ZN7rocprim17ROCPRIM_400000_NS6detail17trampoline_kernelINS0_14default_configENS1_29reduce_by_key_config_selectorIdlN6thrust23THRUST_200600_302600_NS4plusIlEEEEZZNS1_33reduce_by_key_impl_wrapped_configILNS1_25lookback_scan_determinismE0ES3_S9_PdNS6_17constant_iteratorIiNS6_11use_defaultESE_EENS6_10device_ptrIdEENSG_IlEEPmS8_NS6_8equal_toIdEEEE10hipError_tPvRmT2_T3_mT4_T5_T6_T7_T8_P12ihipStream_tbENKUlT_T0_E_clISt17integral_constantIbLb0EES13_EEDaSY_SZ_EUlSY_E_NS1_11comp_targetILNS1_3genE0ELNS1_11target_archE4294967295ELNS1_3gpuE0ELNS1_3repE0EEENS1_30default_config_static_selectorELNS0_4arch9wavefront6targetE1EEEvT1_,"axG",@progbits,_ZN7rocprim17ROCPRIM_400000_NS6detail17trampoline_kernelINS0_14default_configENS1_29reduce_by_key_config_selectorIdlN6thrust23THRUST_200600_302600_NS4plusIlEEEEZZNS1_33reduce_by_key_impl_wrapped_configILNS1_25lookback_scan_determinismE0ES3_S9_PdNS6_17constant_iteratorIiNS6_11use_defaultESE_EENS6_10device_ptrIdEENSG_IlEEPmS8_NS6_8equal_toIdEEEE10hipError_tPvRmT2_T3_mT4_T5_T6_T7_T8_P12ihipStream_tbENKUlT_T0_E_clISt17integral_constantIbLb0EES13_EEDaSY_SZ_EUlSY_E_NS1_11comp_targetILNS1_3genE0ELNS1_11target_archE4294967295ELNS1_3gpuE0ELNS1_3repE0EEENS1_30default_config_static_selectorELNS0_4arch9wavefront6targetE1EEEvT1_,comdat
.Lfunc_end1688:
	.size	_ZN7rocprim17ROCPRIM_400000_NS6detail17trampoline_kernelINS0_14default_configENS1_29reduce_by_key_config_selectorIdlN6thrust23THRUST_200600_302600_NS4plusIlEEEEZZNS1_33reduce_by_key_impl_wrapped_configILNS1_25lookback_scan_determinismE0ES3_S9_PdNS6_17constant_iteratorIiNS6_11use_defaultESE_EENS6_10device_ptrIdEENSG_IlEEPmS8_NS6_8equal_toIdEEEE10hipError_tPvRmT2_T3_mT4_T5_T6_T7_T8_P12ihipStream_tbENKUlT_T0_E_clISt17integral_constantIbLb0EES13_EEDaSY_SZ_EUlSY_E_NS1_11comp_targetILNS1_3genE0ELNS1_11target_archE4294967295ELNS1_3gpuE0ELNS1_3repE0EEENS1_30default_config_static_selectorELNS0_4arch9wavefront6targetE1EEEvT1_, .Lfunc_end1688-_ZN7rocprim17ROCPRIM_400000_NS6detail17trampoline_kernelINS0_14default_configENS1_29reduce_by_key_config_selectorIdlN6thrust23THRUST_200600_302600_NS4plusIlEEEEZZNS1_33reduce_by_key_impl_wrapped_configILNS1_25lookback_scan_determinismE0ES3_S9_PdNS6_17constant_iteratorIiNS6_11use_defaultESE_EENS6_10device_ptrIdEENSG_IlEEPmS8_NS6_8equal_toIdEEEE10hipError_tPvRmT2_T3_mT4_T5_T6_T7_T8_P12ihipStream_tbENKUlT_T0_E_clISt17integral_constantIbLb0EES13_EEDaSY_SZ_EUlSY_E_NS1_11comp_targetILNS1_3genE0ELNS1_11target_archE4294967295ELNS1_3gpuE0ELNS1_3repE0EEENS1_30default_config_static_selectorELNS0_4arch9wavefront6targetE1EEEvT1_
                                        ; -- End function
	.set _ZN7rocprim17ROCPRIM_400000_NS6detail17trampoline_kernelINS0_14default_configENS1_29reduce_by_key_config_selectorIdlN6thrust23THRUST_200600_302600_NS4plusIlEEEEZZNS1_33reduce_by_key_impl_wrapped_configILNS1_25lookback_scan_determinismE0ES3_S9_PdNS6_17constant_iteratorIiNS6_11use_defaultESE_EENS6_10device_ptrIdEENSG_IlEEPmS8_NS6_8equal_toIdEEEE10hipError_tPvRmT2_T3_mT4_T5_T6_T7_T8_P12ihipStream_tbENKUlT_T0_E_clISt17integral_constantIbLb0EES13_EEDaSY_SZ_EUlSY_E_NS1_11comp_targetILNS1_3genE0ELNS1_11target_archE4294967295ELNS1_3gpuE0ELNS1_3repE0EEENS1_30default_config_static_selectorELNS0_4arch9wavefront6targetE1EEEvT1_.num_vgpr, 0
	.set _ZN7rocprim17ROCPRIM_400000_NS6detail17trampoline_kernelINS0_14default_configENS1_29reduce_by_key_config_selectorIdlN6thrust23THRUST_200600_302600_NS4plusIlEEEEZZNS1_33reduce_by_key_impl_wrapped_configILNS1_25lookback_scan_determinismE0ES3_S9_PdNS6_17constant_iteratorIiNS6_11use_defaultESE_EENS6_10device_ptrIdEENSG_IlEEPmS8_NS6_8equal_toIdEEEE10hipError_tPvRmT2_T3_mT4_T5_T6_T7_T8_P12ihipStream_tbENKUlT_T0_E_clISt17integral_constantIbLb0EES13_EEDaSY_SZ_EUlSY_E_NS1_11comp_targetILNS1_3genE0ELNS1_11target_archE4294967295ELNS1_3gpuE0ELNS1_3repE0EEENS1_30default_config_static_selectorELNS0_4arch9wavefront6targetE1EEEvT1_.num_agpr, 0
	.set _ZN7rocprim17ROCPRIM_400000_NS6detail17trampoline_kernelINS0_14default_configENS1_29reduce_by_key_config_selectorIdlN6thrust23THRUST_200600_302600_NS4plusIlEEEEZZNS1_33reduce_by_key_impl_wrapped_configILNS1_25lookback_scan_determinismE0ES3_S9_PdNS6_17constant_iteratorIiNS6_11use_defaultESE_EENS6_10device_ptrIdEENSG_IlEEPmS8_NS6_8equal_toIdEEEE10hipError_tPvRmT2_T3_mT4_T5_T6_T7_T8_P12ihipStream_tbENKUlT_T0_E_clISt17integral_constantIbLb0EES13_EEDaSY_SZ_EUlSY_E_NS1_11comp_targetILNS1_3genE0ELNS1_11target_archE4294967295ELNS1_3gpuE0ELNS1_3repE0EEENS1_30default_config_static_selectorELNS0_4arch9wavefront6targetE1EEEvT1_.numbered_sgpr, 0
	.set _ZN7rocprim17ROCPRIM_400000_NS6detail17trampoline_kernelINS0_14default_configENS1_29reduce_by_key_config_selectorIdlN6thrust23THRUST_200600_302600_NS4plusIlEEEEZZNS1_33reduce_by_key_impl_wrapped_configILNS1_25lookback_scan_determinismE0ES3_S9_PdNS6_17constant_iteratorIiNS6_11use_defaultESE_EENS6_10device_ptrIdEENSG_IlEEPmS8_NS6_8equal_toIdEEEE10hipError_tPvRmT2_T3_mT4_T5_T6_T7_T8_P12ihipStream_tbENKUlT_T0_E_clISt17integral_constantIbLb0EES13_EEDaSY_SZ_EUlSY_E_NS1_11comp_targetILNS1_3genE0ELNS1_11target_archE4294967295ELNS1_3gpuE0ELNS1_3repE0EEENS1_30default_config_static_selectorELNS0_4arch9wavefront6targetE1EEEvT1_.num_named_barrier, 0
	.set _ZN7rocprim17ROCPRIM_400000_NS6detail17trampoline_kernelINS0_14default_configENS1_29reduce_by_key_config_selectorIdlN6thrust23THRUST_200600_302600_NS4plusIlEEEEZZNS1_33reduce_by_key_impl_wrapped_configILNS1_25lookback_scan_determinismE0ES3_S9_PdNS6_17constant_iteratorIiNS6_11use_defaultESE_EENS6_10device_ptrIdEENSG_IlEEPmS8_NS6_8equal_toIdEEEE10hipError_tPvRmT2_T3_mT4_T5_T6_T7_T8_P12ihipStream_tbENKUlT_T0_E_clISt17integral_constantIbLb0EES13_EEDaSY_SZ_EUlSY_E_NS1_11comp_targetILNS1_3genE0ELNS1_11target_archE4294967295ELNS1_3gpuE0ELNS1_3repE0EEENS1_30default_config_static_selectorELNS0_4arch9wavefront6targetE1EEEvT1_.private_seg_size, 0
	.set _ZN7rocprim17ROCPRIM_400000_NS6detail17trampoline_kernelINS0_14default_configENS1_29reduce_by_key_config_selectorIdlN6thrust23THRUST_200600_302600_NS4plusIlEEEEZZNS1_33reduce_by_key_impl_wrapped_configILNS1_25lookback_scan_determinismE0ES3_S9_PdNS6_17constant_iteratorIiNS6_11use_defaultESE_EENS6_10device_ptrIdEENSG_IlEEPmS8_NS6_8equal_toIdEEEE10hipError_tPvRmT2_T3_mT4_T5_T6_T7_T8_P12ihipStream_tbENKUlT_T0_E_clISt17integral_constantIbLb0EES13_EEDaSY_SZ_EUlSY_E_NS1_11comp_targetILNS1_3genE0ELNS1_11target_archE4294967295ELNS1_3gpuE0ELNS1_3repE0EEENS1_30default_config_static_selectorELNS0_4arch9wavefront6targetE1EEEvT1_.uses_vcc, 0
	.set _ZN7rocprim17ROCPRIM_400000_NS6detail17trampoline_kernelINS0_14default_configENS1_29reduce_by_key_config_selectorIdlN6thrust23THRUST_200600_302600_NS4plusIlEEEEZZNS1_33reduce_by_key_impl_wrapped_configILNS1_25lookback_scan_determinismE0ES3_S9_PdNS6_17constant_iteratorIiNS6_11use_defaultESE_EENS6_10device_ptrIdEENSG_IlEEPmS8_NS6_8equal_toIdEEEE10hipError_tPvRmT2_T3_mT4_T5_T6_T7_T8_P12ihipStream_tbENKUlT_T0_E_clISt17integral_constantIbLb0EES13_EEDaSY_SZ_EUlSY_E_NS1_11comp_targetILNS1_3genE0ELNS1_11target_archE4294967295ELNS1_3gpuE0ELNS1_3repE0EEENS1_30default_config_static_selectorELNS0_4arch9wavefront6targetE1EEEvT1_.uses_flat_scratch, 0
	.set _ZN7rocprim17ROCPRIM_400000_NS6detail17trampoline_kernelINS0_14default_configENS1_29reduce_by_key_config_selectorIdlN6thrust23THRUST_200600_302600_NS4plusIlEEEEZZNS1_33reduce_by_key_impl_wrapped_configILNS1_25lookback_scan_determinismE0ES3_S9_PdNS6_17constant_iteratorIiNS6_11use_defaultESE_EENS6_10device_ptrIdEENSG_IlEEPmS8_NS6_8equal_toIdEEEE10hipError_tPvRmT2_T3_mT4_T5_T6_T7_T8_P12ihipStream_tbENKUlT_T0_E_clISt17integral_constantIbLb0EES13_EEDaSY_SZ_EUlSY_E_NS1_11comp_targetILNS1_3genE0ELNS1_11target_archE4294967295ELNS1_3gpuE0ELNS1_3repE0EEENS1_30default_config_static_selectorELNS0_4arch9wavefront6targetE1EEEvT1_.has_dyn_sized_stack, 0
	.set _ZN7rocprim17ROCPRIM_400000_NS6detail17trampoline_kernelINS0_14default_configENS1_29reduce_by_key_config_selectorIdlN6thrust23THRUST_200600_302600_NS4plusIlEEEEZZNS1_33reduce_by_key_impl_wrapped_configILNS1_25lookback_scan_determinismE0ES3_S9_PdNS6_17constant_iteratorIiNS6_11use_defaultESE_EENS6_10device_ptrIdEENSG_IlEEPmS8_NS6_8equal_toIdEEEE10hipError_tPvRmT2_T3_mT4_T5_T6_T7_T8_P12ihipStream_tbENKUlT_T0_E_clISt17integral_constantIbLb0EES13_EEDaSY_SZ_EUlSY_E_NS1_11comp_targetILNS1_3genE0ELNS1_11target_archE4294967295ELNS1_3gpuE0ELNS1_3repE0EEENS1_30default_config_static_selectorELNS0_4arch9wavefront6targetE1EEEvT1_.has_recursion, 0
	.set _ZN7rocprim17ROCPRIM_400000_NS6detail17trampoline_kernelINS0_14default_configENS1_29reduce_by_key_config_selectorIdlN6thrust23THRUST_200600_302600_NS4plusIlEEEEZZNS1_33reduce_by_key_impl_wrapped_configILNS1_25lookback_scan_determinismE0ES3_S9_PdNS6_17constant_iteratorIiNS6_11use_defaultESE_EENS6_10device_ptrIdEENSG_IlEEPmS8_NS6_8equal_toIdEEEE10hipError_tPvRmT2_T3_mT4_T5_T6_T7_T8_P12ihipStream_tbENKUlT_T0_E_clISt17integral_constantIbLb0EES13_EEDaSY_SZ_EUlSY_E_NS1_11comp_targetILNS1_3genE0ELNS1_11target_archE4294967295ELNS1_3gpuE0ELNS1_3repE0EEENS1_30default_config_static_selectorELNS0_4arch9wavefront6targetE1EEEvT1_.has_indirect_call, 0
	.section	.AMDGPU.csdata,"",@progbits
; Kernel info:
; codeLenInByte = 0
; TotalNumSgprs: 4
; NumVgprs: 0
; ScratchSize: 0
; MemoryBound: 0
; FloatMode: 240
; IeeeMode: 1
; LDSByteSize: 0 bytes/workgroup (compile time only)
; SGPRBlocks: 0
; VGPRBlocks: 0
; NumSGPRsForWavesPerEU: 4
; NumVGPRsForWavesPerEU: 1
; Occupancy: 10
; WaveLimiterHint : 0
; COMPUTE_PGM_RSRC2:SCRATCH_EN: 0
; COMPUTE_PGM_RSRC2:USER_SGPR: 6
; COMPUTE_PGM_RSRC2:TRAP_HANDLER: 0
; COMPUTE_PGM_RSRC2:TGID_X_EN: 1
; COMPUTE_PGM_RSRC2:TGID_Y_EN: 0
; COMPUTE_PGM_RSRC2:TGID_Z_EN: 0
; COMPUTE_PGM_RSRC2:TIDIG_COMP_CNT: 0
	.section	.text._ZN7rocprim17ROCPRIM_400000_NS6detail17trampoline_kernelINS0_14default_configENS1_29reduce_by_key_config_selectorIdlN6thrust23THRUST_200600_302600_NS4plusIlEEEEZZNS1_33reduce_by_key_impl_wrapped_configILNS1_25lookback_scan_determinismE0ES3_S9_PdNS6_17constant_iteratorIiNS6_11use_defaultESE_EENS6_10device_ptrIdEENSG_IlEEPmS8_NS6_8equal_toIdEEEE10hipError_tPvRmT2_T3_mT4_T5_T6_T7_T8_P12ihipStream_tbENKUlT_T0_E_clISt17integral_constantIbLb0EES13_EEDaSY_SZ_EUlSY_E_NS1_11comp_targetILNS1_3genE5ELNS1_11target_archE942ELNS1_3gpuE9ELNS1_3repE0EEENS1_30default_config_static_selectorELNS0_4arch9wavefront6targetE1EEEvT1_,"axG",@progbits,_ZN7rocprim17ROCPRIM_400000_NS6detail17trampoline_kernelINS0_14default_configENS1_29reduce_by_key_config_selectorIdlN6thrust23THRUST_200600_302600_NS4plusIlEEEEZZNS1_33reduce_by_key_impl_wrapped_configILNS1_25lookback_scan_determinismE0ES3_S9_PdNS6_17constant_iteratorIiNS6_11use_defaultESE_EENS6_10device_ptrIdEENSG_IlEEPmS8_NS6_8equal_toIdEEEE10hipError_tPvRmT2_T3_mT4_T5_T6_T7_T8_P12ihipStream_tbENKUlT_T0_E_clISt17integral_constantIbLb0EES13_EEDaSY_SZ_EUlSY_E_NS1_11comp_targetILNS1_3genE5ELNS1_11target_archE942ELNS1_3gpuE9ELNS1_3repE0EEENS1_30default_config_static_selectorELNS0_4arch9wavefront6targetE1EEEvT1_,comdat
	.protected	_ZN7rocprim17ROCPRIM_400000_NS6detail17trampoline_kernelINS0_14default_configENS1_29reduce_by_key_config_selectorIdlN6thrust23THRUST_200600_302600_NS4plusIlEEEEZZNS1_33reduce_by_key_impl_wrapped_configILNS1_25lookback_scan_determinismE0ES3_S9_PdNS6_17constant_iteratorIiNS6_11use_defaultESE_EENS6_10device_ptrIdEENSG_IlEEPmS8_NS6_8equal_toIdEEEE10hipError_tPvRmT2_T3_mT4_T5_T6_T7_T8_P12ihipStream_tbENKUlT_T0_E_clISt17integral_constantIbLb0EES13_EEDaSY_SZ_EUlSY_E_NS1_11comp_targetILNS1_3genE5ELNS1_11target_archE942ELNS1_3gpuE9ELNS1_3repE0EEENS1_30default_config_static_selectorELNS0_4arch9wavefront6targetE1EEEvT1_ ; -- Begin function _ZN7rocprim17ROCPRIM_400000_NS6detail17trampoline_kernelINS0_14default_configENS1_29reduce_by_key_config_selectorIdlN6thrust23THRUST_200600_302600_NS4plusIlEEEEZZNS1_33reduce_by_key_impl_wrapped_configILNS1_25lookback_scan_determinismE0ES3_S9_PdNS6_17constant_iteratorIiNS6_11use_defaultESE_EENS6_10device_ptrIdEENSG_IlEEPmS8_NS6_8equal_toIdEEEE10hipError_tPvRmT2_T3_mT4_T5_T6_T7_T8_P12ihipStream_tbENKUlT_T0_E_clISt17integral_constantIbLb0EES13_EEDaSY_SZ_EUlSY_E_NS1_11comp_targetILNS1_3genE5ELNS1_11target_archE942ELNS1_3gpuE9ELNS1_3repE0EEENS1_30default_config_static_selectorELNS0_4arch9wavefront6targetE1EEEvT1_
	.globl	_ZN7rocprim17ROCPRIM_400000_NS6detail17trampoline_kernelINS0_14default_configENS1_29reduce_by_key_config_selectorIdlN6thrust23THRUST_200600_302600_NS4plusIlEEEEZZNS1_33reduce_by_key_impl_wrapped_configILNS1_25lookback_scan_determinismE0ES3_S9_PdNS6_17constant_iteratorIiNS6_11use_defaultESE_EENS6_10device_ptrIdEENSG_IlEEPmS8_NS6_8equal_toIdEEEE10hipError_tPvRmT2_T3_mT4_T5_T6_T7_T8_P12ihipStream_tbENKUlT_T0_E_clISt17integral_constantIbLb0EES13_EEDaSY_SZ_EUlSY_E_NS1_11comp_targetILNS1_3genE5ELNS1_11target_archE942ELNS1_3gpuE9ELNS1_3repE0EEENS1_30default_config_static_selectorELNS0_4arch9wavefront6targetE1EEEvT1_
	.p2align	8
	.type	_ZN7rocprim17ROCPRIM_400000_NS6detail17trampoline_kernelINS0_14default_configENS1_29reduce_by_key_config_selectorIdlN6thrust23THRUST_200600_302600_NS4plusIlEEEEZZNS1_33reduce_by_key_impl_wrapped_configILNS1_25lookback_scan_determinismE0ES3_S9_PdNS6_17constant_iteratorIiNS6_11use_defaultESE_EENS6_10device_ptrIdEENSG_IlEEPmS8_NS6_8equal_toIdEEEE10hipError_tPvRmT2_T3_mT4_T5_T6_T7_T8_P12ihipStream_tbENKUlT_T0_E_clISt17integral_constantIbLb0EES13_EEDaSY_SZ_EUlSY_E_NS1_11comp_targetILNS1_3genE5ELNS1_11target_archE942ELNS1_3gpuE9ELNS1_3repE0EEENS1_30default_config_static_selectorELNS0_4arch9wavefront6targetE1EEEvT1_,@function
_ZN7rocprim17ROCPRIM_400000_NS6detail17trampoline_kernelINS0_14default_configENS1_29reduce_by_key_config_selectorIdlN6thrust23THRUST_200600_302600_NS4plusIlEEEEZZNS1_33reduce_by_key_impl_wrapped_configILNS1_25lookback_scan_determinismE0ES3_S9_PdNS6_17constant_iteratorIiNS6_11use_defaultESE_EENS6_10device_ptrIdEENSG_IlEEPmS8_NS6_8equal_toIdEEEE10hipError_tPvRmT2_T3_mT4_T5_T6_T7_T8_P12ihipStream_tbENKUlT_T0_E_clISt17integral_constantIbLb0EES13_EEDaSY_SZ_EUlSY_E_NS1_11comp_targetILNS1_3genE5ELNS1_11target_archE942ELNS1_3gpuE9ELNS1_3repE0EEENS1_30default_config_static_selectorELNS0_4arch9wavefront6targetE1EEEvT1_: ; @_ZN7rocprim17ROCPRIM_400000_NS6detail17trampoline_kernelINS0_14default_configENS1_29reduce_by_key_config_selectorIdlN6thrust23THRUST_200600_302600_NS4plusIlEEEEZZNS1_33reduce_by_key_impl_wrapped_configILNS1_25lookback_scan_determinismE0ES3_S9_PdNS6_17constant_iteratorIiNS6_11use_defaultESE_EENS6_10device_ptrIdEENSG_IlEEPmS8_NS6_8equal_toIdEEEE10hipError_tPvRmT2_T3_mT4_T5_T6_T7_T8_P12ihipStream_tbENKUlT_T0_E_clISt17integral_constantIbLb0EES13_EEDaSY_SZ_EUlSY_E_NS1_11comp_targetILNS1_3genE5ELNS1_11target_archE942ELNS1_3gpuE9ELNS1_3repE0EEENS1_30default_config_static_selectorELNS0_4arch9wavefront6targetE1EEEvT1_
; %bb.0:
	.section	.rodata,"a",@progbits
	.p2align	6, 0x0
	.amdhsa_kernel _ZN7rocprim17ROCPRIM_400000_NS6detail17trampoline_kernelINS0_14default_configENS1_29reduce_by_key_config_selectorIdlN6thrust23THRUST_200600_302600_NS4plusIlEEEEZZNS1_33reduce_by_key_impl_wrapped_configILNS1_25lookback_scan_determinismE0ES3_S9_PdNS6_17constant_iteratorIiNS6_11use_defaultESE_EENS6_10device_ptrIdEENSG_IlEEPmS8_NS6_8equal_toIdEEEE10hipError_tPvRmT2_T3_mT4_T5_T6_T7_T8_P12ihipStream_tbENKUlT_T0_E_clISt17integral_constantIbLb0EES13_EEDaSY_SZ_EUlSY_E_NS1_11comp_targetILNS1_3genE5ELNS1_11target_archE942ELNS1_3gpuE9ELNS1_3repE0EEENS1_30default_config_static_selectorELNS0_4arch9wavefront6targetE1EEEvT1_
		.amdhsa_group_segment_fixed_size 0
		.amdhsa_private_segment_fixed_size 0
		.amdhsa_kernarg_size 144
		.amdhsa_user_sgpr_count 6
		.amdhsa_user_sgpr_private_segment_buffer 1
		.amdhsa_user_sgpr_dispatch_ptr 0
		.amdhsa_user_sgpr_queue_ptr 0
		.amdhsa_user_sgpr_kernarg_segment_ptr 1
		.amdhsa_user_sgpr_dispatch_id 0
		.amdhsa_user_sgpr_flat_scratch_init 0
		.amdhsa_user_sgpr_private_segment_size 0
		.amdhsa_uses_dynamic_stack 0
		.amdhsa_system_sgpr_private_segment_wavefront_offset 0
		.amdhsa_system_sgpr_workgroup_id_x 1
		.amdhsa_system_sgpr_workgroup_id_y 0
		.amdhsa_system_sgpr_workgroup_id_z 0
		.amdhsa_system_sgpr_workgroup_info 0
		.amdhsa_system_vgpr_workitem_id 0
		.amdhsa_next_free_vgpr 1
		.amdhsa_next_free_sgpr 0
		.amdhsa_reserve_vcc 0
		.amdhsa_reserve_flat_scratch 0
		.amdhsa_float_round_mode_32 0
		.amdhsa_float_round_mode_16_64 0
		.amdhsa_float_denorm_mode_32 3
		.amdhsa_float_denorm_mode_16_64 3
		.amdhsa_dx10_clamp 1
		.amdhsa_ieee_mode 1
		.amdhsa_fp16_overflow 0
		.amdhsa_exception_fp_ieee_invalid_op 0
		.amdhsa_exception_fp_denorm_src 0
		.amdhsa_exception_fp_ieee_div_zero 0
		.amdhsa_exception_fp_ieee_overflow 0
		.amdhsa_exception_fp_ieee_underflow 0
		.amdhsa_exception_fp_ieee_inexact 0
		.amdhsa_exception_int_div_zero 0
	.end_amdhsa_kernel
	.section	.text._ZN7rocprim17ROCPRIM_400000_NS6detail17trampoline_kernelINS0_14default_configENS1_29reduce_by_key_config_selectorIdlN6thrust23THRUST_200600_302600_NS4plusIlEEEEZZNS1_33reduce_by_key_impl_wrapped_configILNS1_25lookback_scan_determinismE0ES3_S9_PdNS6_17constant_iteratorIiNS6_11use_defaultESE_EENS6_10device_ptrIdEENSG_IlEEPmS8_NS6_8equal_toIdEEEE10hipError_tPvRmT2_T3_mT4_T5_T6_T7_T8_P12ihipStream_tbENKUlT_T0_E_clISt17integral_constantIbLb0EES13_EEDaSY_SZ_EUlSY_E_NS1_11comp_targetILNS1_3genE5ELNS1_11target_archE942ELNS1_3gpuE9ELNS1_3repE0EEENS1_30default_config_static_selectorELNS0_4arch9wavefront6targetE1EEEvT1_,"axG",@progbits,_ZN7rocprim17ROCPRIM_400000_NS6detail17trampoline_kernelINS0_14default_configENS1_29reduce_by_key_config_selectorIdlN6thrust23THRUST_200600_302600_NS4plusIlEEEEZZNS1_33reduce_by_key_impl_wrapped_configILNS1_25lookback_scan_determinismE0ES3_S9_PdNS6_17constant_iteratorIiNS6_11use_defaultESE_EENS6_10device_ptrIdEENSG_IlEEPmS8_NS6_8equal_toIdEEEE10hipError_tPvRmT2_T3_mT4_T5_T6_T7_T8_P12ihipStream_tbENKUlT_T0_E_clISt17integral_constantIbLb0EES13_EEDaSY_SZ_EUlSY_E_NS1_11comp_targetILNS1_3genE5ELNS1_11target_archE942ELNS1_3gpuE9ELNS1_3repE0EEENS1_30default_config_static_selectorELNS0_4arch9wavefront6targetE1EEEvT1_,comdat
.Lfunc_end1689:
	.size	_ZN7rocprim17ROCPRIM_400000_NS6detail17trampoline_kernelINS0_14default_configENS1_29reduce_by_key_config_selectorIdlN6thrust23THRUST_200600_302600_NS4plusIlEEEEZZNS1_33reduce_by_key_impl_wrapped_configILNS1_25lookback_scan_determinismE0ES3_S9_PdNS6_17constant_iteratorIiNS6_11use_defaultESE_EENS6_10device_ptrIdEENSG_IlEEPmS8_NS6_8equal_toIdEEEE10hipError_tPvRmT2_T3_mT4_T5_T6_T7_T8_P12ihipStream_tbENKUlT_T0_E_clISt17integral_constantIbLb0EES13_EEDaSY_SZ_EUlSY_E_NS1_11comp_targetILNS1_3genE5ELNS1_11target_archE942ELNS1_3gpuE9ELNS1_3repE0EEENS1_30default_config_static_selectorELNS0_4arch9wavefront6targetE1EEEvT1_, .Lfunc_end1689-_ZN7rocprim17ROCPRIM_400000_NS6detail17trampoline_kernelINS0_14default_configENS1_29reduce_by_key_config_selectorIdlN6thrust23THRUST_200600_302600_NS4plusIlEEEEZZNS1_33reduce_by_key_impl_wrapped_configILNS1_25lookback_scan_determinismE0ES3_S9_PdNS6_17constant_iteratorIiNS6_11use_defaultESE_EENS6_10device_ptrIdEENSG_IlEEPmS8_NS6_8equal_toIdEEEE10hipError_tPvRmT2_T3_mT4_T5_T6_T7_T8_P12ihipStream_tbENKUlT_T0_E_clISt17integral_constantIbLb0EES13_EEDaSY_SZ_EUlSY_E_NS1_11comp_targetILNS1_3genE5ELNS1_11target_archE942ELNS1_3gpuE9ELNS1_3repE0EEENS1_30default_config_static_selectorELNS0_4arch9wavefront6targetE1EEEvT1_
                                        ; -- End function
	.set _ZN7rocprim17ROCPRIM_400000_NS6detail17trampoline_kernelINS0_14default_configENS1_29reduce_by_key_config_selectorIdlN6thrust23THRUST_200600_302600_NS4plusIlEEEEZZNS1_33reduce_by_key_impl_wrapped_configILNS1_25lookback_scan_determinismE0ES3_S9_PdNS6_17constant_iteratorIiNS6_11use_defaultESE_EENS6_10device_ptrIdEENSG_IlEEPmS8_NS6_8equal_toIdEEEE10hipError_tPvRmT2_T3_mT4_T5_T6_T7_T8_P12ihipStream_tbENKUlT_T0_E_clISt17integral_constantIbLb0EES13_EEDaSY_SZ_EUlSY_E_NS1_11comp_targetILNS1_3genE5ELNS1_11target_archE942ELNS1_3gpuE9ELNS1_3repE0EEENS1_30default_config_static_selectorELNS0_4arch9wavefront6targetE1EEEvT1_.num_vgpr, 0
	.set _ZN7rocprim17ROCPRIM_400000_NS6detail17trampoline_kernelINS0_14default_configENS1_29reduce_by_key_config_selectorIdlN6thrust23THRUST_200600_302600_NS4plusIlEEEEZZNS1_33reduce_by_key_impl_wrapped_configILNS1_25lookback_scan_determinismE0ES3_S9_PdNS6_17constant_iteratorIiNS6_11use_defaultESE_EENS6_10device_ptrIdEENSG_IlEEPmS8_NS6_8equal_toIdEEEE10hipError_tPvRmT2_T3_mT4_T5_T6_T7_T8_P12ihipStream_tbENKUlT_T0_E_clISt17integral_constantIbLb0EES13_EEDaSY_SZ_EUlSY_E_NS1_11comp_targetILNS1_3genE5ELNS1_11target_archE942ELNS1_3gpuE9ELNS1_3repE0EEENS1_30default_config_static_selectorELNS0_4arch9wavefront6targetE1EEEvT1_.num_agpr, 0
	.set _ZN7rocprim17ROCPRIM_400000_NS6detail17trampoline_kernelINS0_14default_configENS1_29reduce_by_key_config_selectorIdlN6thrust23THRUST_200600_302600_NS4plusIlEEEEZZNS1_33reduce_by_key_impl_wrapped_configILNS1_25lookback_scan_determinismE0ES3_S9_PdNS6_17constant_iteratorIiNS6_11use_defaultESE_EENS6_10device_ptrIdEENSG_IlEEPmS8_NS6_8equal_toIdEEEE10hipError_tPvRmT2_T3_mT4_T5_T6_T7_T8_P12ihipStream_tbENKUlT_T0_E_clISt17integral_constantIbLb0EES13_EEDaSY_SZ_EUlSY_E_NS1_11comp_targetILNS1_3genE5ELNS1_11target_archE942ELNS1_3gpuE9ELNS1_3repE0EEENS1_30default_config_static_selectorELNS0_4arch9wavefront6targetE1EEEvT1_.numbered_sgpr, 0
	.set _ZN7rocprim17ROCPRIM_400000_NS6detail17trampoline_kernelINS0_14default_configENS1_29reduce_by_key_config_selectorIdlN6thrust23THRUST_200600_302600_NS4plusIlEEEEZZNS1_33reduce_by_key_impl_wrapped_configILNS1_25lookback_scan_determinismE0ES3_S9_PdNS6_17constant_iteratorIiNS6_11use_defaultESE_EENS6_10device_ptrIdEENSG_IlEEPmS8_NS6_8equal_toIdEEEE10hipError_tPvRmT2_T3_mT4_T5_T6_T7_T8_P12ihipStream_tbENKUlT_T0_E_clISt17integral_constantIbLb0EES13_EEDaSY_SZ_EUlSY_E_NS1_11comp_targetILNS1_3genE5ELNS1_11target_archE942ELNS1_3gpuE9ELNS1_3repE0EEENS1_30default_config_static_selectorELNS0_4arch9wavefront6targetE1EEEvT1_.num_named_barrier, 0
	.set _ZN7rocprim17ROCPRIM_400000_NS6detail17trampoline_kernelINS0_14default_configENS1_29reduce_by_key_config_selectorIdlN6thrust23THRUST_200600_302600_NS4plusIlEEEEZZNS1_33reduce_by_key_impl_wrapped_configILNS1_25lookback_scan_determinismE0ES3_S9_PdNS6_17constant_iteratorIiNS6_11use_defaultESE_EENS6_10device_ptrIdEENSG_IlEEPmS8_NS6_8equal_toIdEEEE10hipError_tPvRmT2_T3_mT4_T5_T6_T7_T8_P12ihipStream_tbENKUlT_T0_E_clISt17integral_constantIbLb0EES13_EEDaSY_SZ_EUlSY_E_NS1_11comp_targetILNS1_3genE5ELNS1_11target_archE942ELNS1_3gpuE9ELNS1_3repE0EEENS1_30default_config_static_selectorELNS0_4arch9wavefront6targetE1EEEvT1_.private_seg_size, 0
	.set _ZN7rocprim17ROCPRIM_400000_NS6detail17trampoline_kernelINS0_14default_configENS1_29reduce_by_key_config_selectorIdlN6thrust23THRUST_200600_302600_NS4plusIlEEEEZZNS1_33reduce_by_key_impl_wrapped_configILNS1_25lookback_scan_determinismE0ES3_S9_PdNS6_17constant_iteratorIiNS6_11use_defaultESE_EENS6_10device_ptrIdEENSG_IlEEPmS8_NS6_8equal_toIdEEEE10hipError_tPvRmT2_T3_mT4_T5_T6_T7_T8_P12ihipStream_tbENKUlT_T0_E_clISt17integral_constantIbLb0EES13_EEDaSY_SZ_EUlSY_E_NS1_11comp_targetILNS1_3genE5ELNS1_11target_archE942ELNS1_3gpuE9ELNS1_3repE0EEENS1_30default_config_static_selectorELNS0_4arch9wavefront6targetE1EEEvT1_.uses_vcc, 0
	.set _ZN7rocprim17ROCPRIM_400000_NS6detail17trampoline_kernelINS0_14default_configENS1_29reduce_by_key_config_selectorIdlN6thrust23THRUST_200600_302600_NS4plusIlEEEEZZNS1_33reduce_by_key_impl_wrapped_configILNS1_25lookback_scan_determinismE0ES3_S9_PdNS6_17constant_iteratorIiNS6_11use_defaultESE_EENS6_10device_ptrIdEENSG_IlEEPmS8_NS6_8equal_toIdEEEE10hipError_tPvRmT2_T3_mT4_T5_T6_T7_T8_P12ihipStream_tbENKUlT_T0_E_clISt17integral_constantIbLb0EES13_EEDaSY_SZ_EUlSY_E_NS1_11comp_targetILNS1_3genE5ELNS1_11target_archE942ELNS1_3gpuE9ELNS1_3repE0EEENS1_30default_config_static_selectorELNS0_4arch9wavefront6targetE1EEEvT1_.uses_flat_scratch, 0
	.set _ZN7rocprim17ROCPRIM_400000_NS6detail17trampoline_kernelINS0_14default_configENS1_29reduce_by_key_config_selectorIdlN6thrust23THRUST_200600_302600_NS4plusIlEEEEZZNS1_33reduce_by_key_impl_wrapped_configILNS1_25lookback_scan_determinismE0ES3_S9_PdNS6_17constant_iteratorIiNS6_11use_defaultESE_EENS6_10device_ptrIdEENSG_IlEEPmS8_NS6_8equal_toIdEEEE10hipError_tPvRmT2_T3_mT4_T5_T6_T7_T8_P12ihipStream_tbENKUlT_T0_E_clISt17integral_constantIbLb0EES13_EEDaSY_SZ_EUlSY_E_NS1_11comp_targetILNS1_3genE5ELNS1_11target_archE942ELNS1_3gpuE9ELNS1_3repE0EEENS1_30default_config_static_selectorELNS0_4arch9wavefront6targetE1EEEvT1_.has_dyn_sized_stack, 0
	.set _ZN7rocprim17ROCPRIM_400000_NS6detail17trampoline_kernelINS0_14default_configENS1_29reduce_by_key_config_selectorIdlN6thrust23THRUST_200600_302600_NS4plusIlEEEEZZNS1_33reduce_by_key_impl_wrapped_configILNS1_25lookback_scan_determinismE0ES3_S9_PdNS6_17constant_iteratorIiNS6_11use_defaultESE_EENS6_10device_ptrIdEENSG_IlEEPmS8_NS6_8equal_toIdEEEE10hipError_tPvRmT2_T3_mT4_T5_T6_T7_T8_P12ihipStream_tbENKUlT_T0_E_clISt17integral_constantIbLb0EES13_EEDaSY_SZ_EUlSY_E_NS1_11comp_targetILNS1_3genE5ELNS1_11target_archE942ELNS1_3gpuE9ELNS1_3repE0EEENS1_30default_config_static_selectorELNS0_4arch9wavefront6targetE1EEEvT1_.has_recursion, 0
	.set _ZN7rocprim17ROCPRIM_400000_NS6detail17trampoline_kernelINS0_14default_configENS1_29reduce_by_key_config_selectorIdlN6thrust23THRUST_200600_302600_NS4plusIlEEEEZZNS1_33reduce_by_key_impl_wrapped_configILNS1_25lookback_scan_determinismE0ES3_S9_PdNS6_17constant_iteratorIiNS6_11use_defaultESE_EENS6_10device_ptrIdEENSG_IlEEPmS8_NS6_8equal_toIdEEEE10hipError_tPvRmT2_T3_mT4_T5_T6_T7_T8_P12ihipStream_tbENKUlT_T0_E_clISt17integral_constantIbLb0EES13_EEDaSY_SZ_EUlSY_E_NS1_11comp_targetILNS1_3genE5ELNS1_11target_archE942ELNS1_3gpuE9ELNS1_3repE0EEENS1_30default_config_static_selectorELNS0_4arch9wavefront6targetE1EEEvT1_.has_indirect_call, 0
	.section	.AMDGPU.csdata,"",@progbits
; Kernel info:
; codeLenInByte = 0
; TotalNumSgprs: 4
; NumVgprs: 0
; ScratchSize: 0
; MemoryBound: 0
; FloatMode: 240
; IeeeMode: 1
; LDSByteSize: 0 bytes/workgroup (compile time only)
; SGPRBlocks: 0
; VGPRBlocks: 0
; NumSGPRsForWavesPerEU: 4
; NumVGPRsForWavesPerEU: 1
; Occupancy: 10
; WaveLimiterHint : 0
; COMPUTE_PGM_RSRC2:SCRATCH_EN: 0
; COMPUTE_PGM_RSRC2:USER_SGPR: 6
; COMPUTE_PGM_RSRC2:TRAP_HANDLER: 0
; COMPUTE_PGM_RSRC2:TGID_X_EN: 1
; COMPUTE_PGM_RSRC2:TGID_Y_EN: 0
; COMPUTE_PGM_RSRC2:TGID_Z_EN: 0
; COMPUTE_PGM_RSRC2:TIDIG_COMP_CNT: 0
	.section	.text._ZN7rocprim17ROCPRIM_400000_NS6detail17trampoline_kernelINS0_14default_configENS1_29reduce_by_key_config_selectorIdlN6thrust23THRUST_200600_302600_NS4plusIlEEEEZZNS1_33reduce_by_key_impl_wrapped_configILNS1_25lookback_scan_determinismE0ES3_S9_PdNS6_17constant_iteratorIiNS6_11use_defaultESE_EENS6_10device_ptrIdEENSG_IlEEPmS8_NS6_8equal_toIdEEEE10hipError_tPvRmT2_T3_mT4_T5_T6_T7_T8_P12ihipStream_tbENKUlT_T0_E_clISt17integral_constantIbLb0EES13_EEDaSY_SZ_EUlSY_E_NS1_11comp_targetILNS1_3genE4ELNS1_11target_archE910ELNS1_3gpuE8ELNS1_3repE0EEENS1_30default_config_static_selectorELNS0_4arch9wavefront6targetE1EEEvT1_,"axG",@progbits,_ZN7rocprim17ROCPRIM_400000_NS6detail17trampoline_kernelINS0_14default_configENS1_29reduce_by_key_config_selectorIdlN6thrust23THRUST_200600_302600_NS4plusIlEEEEZZNS1_33reduce_by_key_impl_wrapped_configILNS1_25lookback_scan_determinismE0ES3_S9_PdNS6_17constant_iteratorIiNS6_11use_defaultESE_EENS6_10device_ptrIdEENSG_IlEEPmS8_NS6_8equal_toIdEEEE10hipError_tPvRmT2_T3_mT4_T5_T6_T7_T8_P12ihipStream_tbENKUlT_T0_E_clISt17integral_constantIbLb0EES13_EEDaSY_SZ_EUlSY_E_NS1_11comp_targetILNS1_3genE4ELNS1_11target_archE910ELNS1_3gpuE8ELNS1_3repE0EEENS1_30default_config_static_selectorELNS0_4arch9wavefront6targetE1EEEvT1_,comdat
	.protected	_ZN7rocprim17ROCPRIM_400000_NS6detail17trampoline_kernelINS0_14default_configENS1_29reduce_by_key_config_selectorIdlN6thrust23THRUST_200600_302600_NS4plusIlEEEEZZNS1_33reduce_by_key_impl_wrapped_configILNS1_25lookback_scan_determinismE0ES3_S9_PdNS6_17constant_iteratorIiNS6_11use_defaultESE_EENS6_10device_ptrIdEENSG_IlEEPmS8_NS6_8equal_toIdEEEE10hipError_tPvRmT2_T3_mT4_T5_T6_T7_T8_P12ihipStream_tbENKUlT_T0_E_clISt17integral_constantIbLb0EES13_EEDaSY_SZ_EUlSY_E_NS1_11comp_targetILNS1_3genE4ELNS1_11target_archE910ELNS1_3gpuE8ELNS1_3repE0EEENS1_30default_config_static_selectorELNS0_4arch9wavefront6targetE1EEEvT1_ ; -- Begin function _ZN7rocprim17ROCPRIM_400000_NS6detail17trampoline_kernelINS0_14default_configENS1_29reduce_by_key_config_selectorIdlN6thrust23THRUST_200600_302600_NS4plusIlEEEEZZNS1_33reduce_by_key_impl_wrapped_configILNS1_25lookback_scan_determinismE0ES3_S9_PdNS6_17constant_iteratorIiNS6_11use_defaultESE_EENS6_10device_ptrIdEENSG_IlEEPmS8_NS6_8equal_toIdEEEE10hipError_tPvRmT2_T3_mT4_T5_T6_T7_T8_P12ihipStream_tbENKUlT_T0_E_clISt17integral_constantIbLb0EES13_EEDaSY_SZ_EUlSY_E_NS1_11comp_targetILNS1_3genE4ELNS1_11target_archE910ELNS1_3gpuE8ELNS1_3repE0EEENS1_30default_config_static_selectorELNS0_4arch9wavefront6targetE1EEEvT1_
	.globl	_ZN7rocprim17ROCPRIM_400000_NS6detail17trampoline_kernelINS0_14default_configENS1_29reduce_by_key_config_selectorIdlN6thrust23THRUST_200600_302600_NS4plusIlEEEEZZNS1_33reduce_by_key_impl_wrapped_configILNS1_25lookback_scan_determinismE0ES3_S9_PdNS6_17constant_iteratorIiNS6_11use_defaultESE_EENS6_10device_ptrIdEENSG_IlEEPmS8_NS6_8equal_toIdEEEE10hipError_tPvRmT2_T3_mT4_T5_T6_T7_T8_P12ihipStream_tbENKUlT_T0_E_clISt17integral_constantIbLb0EES13_EEDaSY_SZ_EUlSY_E_NS1_11comp_targetILNS1_3genE4ELNS1_11target_archE910ELNS1_3gpuE8ELNS1_3repE0EEENS1_30default_config_static_selectorELNS0_4arch9wavefront6targetE1EEEvT1_
	.p2align	8
	.type	_ZN7rocprim17ROCPRIM_400000_NS6detail17trampoline_kernelINS0_14default_configENS1_29reduce_by_key_config_selectorIdlN6thrust23THRUST_200600_302600_NS4plusIlEEEEZZNS1_33reduce_by_key_impl_wrapped_configILNS1_25lookback_scan_determinismE0ES3_S9_PdNS6_17constant_iteratorIiNS6_11use_defaultESE_EENS6_10device_ptrIdEENSG_IlEEPmS8_NS6_8equal_toIdEEEE10hipError_tPvRmT2_T3_mT4_T5_T6_T7_T8_P12ihipStream_tbENKUlT_T0_E_clISt17integral_constantIbLb0EES13_EEDaSY_SZ_EUlSY_E_NS1_11comp_targetILNS1_3genE4ELNS1_11target_archE910ELNS1_3gpuE8ELNS1_3repE0EEENS1_30default_config_static_selectorELNS0_4arch9wavefront6targetE1EEEvT1_,@function
_ZN7rocprim17ROCPRIM_400000_NS6detail17trampoline_kernelINS0_14default_configENS1_29reduce_by_key_config_selectorIdlN6thrust23THRUST_200600_302600_NS4plusIlEEEEZZNS1_33reduce_by_key_impl_wrapped_configILNS1_25lookback_scan_determinismE0ES3_S9_PdNS6_17constant_iteratorIiNS6_11use_defaultESE_EENS6_10device_ptrIdEENSG_IlEEPmS8_NS6_8equal_toIdEEEE10hipError_tPvRmT2_T3_mT4_T5_T6_T7_T8_P12ihipStream_tbENKUlT_T0_E_clISt17integral_constantIbLb0EES13_EEDaSY_SZ_EUlSY_E_NS1_11comp_targetILNS1_3genE4ELNS1_11target_archE910ELNS1_3gpuE8ELNS1_3repE0EEENS1_30default_config_static_selectorELNS0_4arch9wavefront6targetE1EEEvT1_: ; @_ZN7rocprim17ROCPRIM_400000_NS6detail17trampoline_kernelINS0_14default_configENS1_29reduce_by_key_config_selectorIdlN6thrust23THRUST_200600_302600_NS4plusIlEEEEZZNS1_33reduce_by_key_impl_wrapped_configILNS1_25lookback_scan_determinismE0ES3_S9_PdNS6_17constant_iteratorIiNS6_11use_defaultESE_EENS6_10device_ptrIdEENSG_IlEEPmS8_NS6_8equal_toIdEEEE10hipError_tPvRmT2_T3_mT4_T5_T6_T7_T8_P12ihipStream_tbENKUlT_T0_E_clISt17integral_constantIbLb0EES13_EEDaSY_SZ_EUlSY_E_NS1_11comp_targetILNS1_3genE4ELNS1_11target_archE910ELNS1_3gpuE8ELNS1_3repE0EEENS1_30default_config_static_selectorELNS0_4arch9wavefront6targetE1EEEvT1_
; %bb.0:
	.section	.rodata,"a",@progbits
	.p2align	6, 0x0
	.amdhsa_kernel _ZN7rocprim17ROCPRIM_400000_NS6detail17trampoline_kernelINS0_14default_configENS1_29reduce_by_key_config_selectorIdlN6thrust23THRUST_200600_302600_NS4plusIlEEEEZZNS1_33reduce_by_key_impl_wrapped_configILNS1_25lookback_scan_determinismE0ES3_S9_PdNS6_17constant_iteratorIiNS6_11use_defaultESE_EENS6_10device_ptrIdEENSG_IlEEPmS8_NS6_8equal_toIdEEEE10hipError_tPvRmT2_T3_mT4_T5_T6_T7_T8_P12ihipStream_tbENKUlT_T0_E_clISt17integral_constantIbLb0EES13_EEDaSY_SZ_EUlSY_E_NS1_11comp_targetILNS1_3genE4ELNS1_11target_archE910ELNS1_3gpuE8ELNS1_3repE0EEENS1_30default_config_static_selectorELNS0_4arch9wavefront6targetE1EEEvT1_
		.amdhsa_group_segment_fixed_size 0
		.amdhsa_private_segment_fixed_size 0
		.amdhsa_kernarg_size 144
		.amdhsa_user_sgpr_count 6
		.amdhsa_user_sgpr_private_segment_buffer 1
		.amdhsa_user_sgpr_dispatch_ptr 0
		.amdhsa_user_sgpr_queue_ptr 0
		.amdhsa_user_sgpr_kernarg_segment_ptr 1
		.amdhsa_user_sgpr_dispatch_id 0
		.amdhsa_user_sgpr_flat_scratch_init 0
		.amdhsa_user_sgpr_private_segment_size 0
		.amdhsa_uses_dynamic_stack 0
		.amdhsa_system_sgpr_private_segment_wavefront_offset 0
		.amdhsa_system_sgpr_workgroup_id_x 1
		.amdhsa_system_sgpr_workgroup_id_y 0
		.amdhsa_system_sgpr_workgroup_id_z 0
		.amdhsa_system_sgpr_workgroup_info 0
		.amdhsa_system_vgpr_workitem_id 0
		.amdhsa_next_free_vgpr 1
		.amdhsa_next_free_sgpr 0
		.amdhsa_reserve_vcc 0
		.amdhsa_reserve_flat_scratch 0
		.amdhsa_float_round_mode_32 0
		.amdhsa_float_round_mode_16_64 0
		.amdhsa_float_denorm_mode_32 3
		.amdhsa_float_denorm_mode_16_64 3
		.amdhsa_dx10_clamp 1
		.amdhsa_ieee_mode 1
		.amdhsa_fp16_overflow 0
		.amdhsa_exception_fp_ieee_invalid_op 0
		.amdhsa_exception_fp_denorm_src 0
		.amdhsa_exception_fp_ieee_div_zero 0
		.amdhsa_exception_fp_ieee_overflow 0
		.amdhsa_exception_fp_ieee_underflow 0
		.amdhsa_exception_fp_ieee_inexact 0
		.amdhsa_exception_int_div_zero 0
	.end_amdhsa_kernel
	.section	.text._ZN7rocprim17ROCPRIM_400000_NS6detail17trampoline_kernelINS0_14default_configENS1_29reduce_by_key_config_selectorIdlN6thrust23THRUST_200600_302600_NS4plusIlEEEEZZNS1_33reduce_by_key_impl_wrapped_configILNS1_25lookback_scan_determinismE0ES3_S9_PdNS6_17constant_iteratorIiNS6_11use_defaultESE_EENS6_10device_ptrIdEENSG_IlEEPmS8_NS6_8equal_toIdEEEE10hipError_tPvRmT2_T3_mT4_T5_T6_T7_T8_P12ihipStream_tbENKUlT_T0_E_clISt17integral_constantIbLb0EES13_EEDaSY_SZ_EUlSY_E_NS1_11comp_targetILNS1_3genE4ELNS1_11target_archE910ELNS1_3gpuE8ELNS1_3repE0EEENS1_30default_config_static_selectorELNS0_4arch9wavefront6targetE1EEEvT1_,"axG",@progbits,_ZN7rocprim17ROCPRIM_400000_NS6detail17trampoline_kernelINS0_14default_configENS1_29reduce_by_key_config_selectorIdlN6thrust23THRUST_200600_302600_NS4plusIlEEEEZZNS1_33reduce_by_key_impl_wrapped_configILNS1_25lookback_scan_determinismE0ES3_S9_PdNS6_17constant_iteratorIiNS6_11use_defaultESE_EENS6_10device_ptrIdEENSG_IlEEPmS8_NS6_8equal_toIdEEEE10hipError_tPvRmT2_T3_mT4_T5_T6_T7_T8_P12ihipStream_tbENKUlT_T0_E_clISt17integral_constantIbLb0EES13_EEDaSY_SZ_EUlSY_E_NS1_11comp_targetILNS1_3genE4ELNS1_11target_archE910ELNS1_3gpuE8ELNS1_3repE0EEENS1_30default_config_static_selectorELNS0_4arch9wavefront6targetE1EEEvT1_,comdat
.Lfunc_end1690:
	.size	_ZN7rocprim17ROCPRIM_400000_NS6detail17trampoline_kernelINS0_14default_configENS1_29reduce_by_key_config_selectorIdlN6thrust23THRUST_200600_302600_NS4plusIlEEEEZZNS1_33reduce_by_key_impl_wrapped_configILNS1_25lookback_scan_determinismE0ES3_S9_PdNS6_17constant_iteratorIiNS6_11use_defaultESE_EENS6_10device_ptrIdEENSG_IlEEPmS8_NS6_8equal_toIdEEEE10hipError_tPvRmT2_T3_mT4_T5_T6_T7_T8_P12ihipStream_tbENKUlT_T0_E_clISt17integral_constantIbLb0EES13_EEDaSY_SZ_EUlSY_E_NS1_11comp_targetILNS1_3genE4ELNS1_11target_archE910ELNS1_3gpuE8ELNS1_3repE0EEENS1_30default_config_static_selectorELNS0_4arch9wavefront6targetE1EEEvT1_, .Lfunc_end1690-_ZN7rocprim17ROCPRIM_400000_NS6detail17trampoline_kernelINS0_14default_configENS1_29reduce_by_key_config_selectorIdlN6thrust23THRUST_200600_302600_NS4plusIlEEEEZZNS1_33reduce_by_key_impl_wrapped_configILNS1_25lookback_scan_determinismE0ES3_S9_PdNS6_17constant_iteratorIiNS6_11use_defaultESE_EENS6_10device_ptrIdEENSG_IlEEPmS8_NS6_8equal_toIdEEEE10hipError_tPvRmT2_T3_mT4_T5_T6_T7_T8_P12ihipStream_tbENKUlT_T0_E_clISt17integral_constantIbLb0EES13_EEDaSY_SZ_EUlSY_E_NS1_11comp_targetILNS1_3genE4ELNS1_11target_archE910ELNS1_3gpuE8ELNS1_3repE0EEENS1_30default_config_static_selectorELNS0_4arch9wavefront6targetE1EEEvT1_
                                        ; -- End function
	.set _ZN7rocprim17ROCPRIM_400000_NS6detail17trampoline_kernelINS0_14default_configENS1_29reduce_by_key_config_selectorIdlN6thrust23THRUST_200600_302600_NS4plusIlEEEEZZNS1_33reduce_by_key_impl_wrapped_configILNS1_25lookback_scan_determinismE0ES3_S9_PdNS6_17constant_iteratorIiNS6_11use_defaultESE_EENS6_10device_ptrIdEENSG_IlEEPmS8_NS6_8equal_toIdEEEE10hipError_tPvRmT2_T3_mT4_T5_T6_T7_T8_P12ihipStream_tbENKUlT_T0_E_clISt17integral_constantIbLb0EES13_EEDaSY_SZ_EUlSY_E_NS1_11comp_targetILNS1_3genE4ELNS1_11target_archE910ELNS1_3gpuE8ELNS1_3repE0EEENS1_30default_config_static_selectorELNS0_4arch9wavefront6targetE1EEEvT1_.num_vgpr, 0
	.set _ZN7rocprim17ROCPRIM_400000_NS6detail17trampoline_kernelINS0_14default_configENS1_29reduce_by_key_config_selectorIdlN6thrust23THRUST_200600_302600_NS4plusIlEEEEZZNS1_33reduce_by_key_impl_wrapped_configILNS1_25lookback_scan_determinismE0ES3_S9_PdNS6_17constant_iteratorIiNS6_11use_defaultESE_EENS6_10device_ptrIdEENSG_IlEEPmS8_NS6_8equal_toIdEEEE10hipError_tPvRmT2_T3_mT4_T5_T6_T7_T8_P12ihipStream_tbENKUlT_T0_E_clISt17integral_constantIbLb0EES13_EEDaSY_SZ_EUlSY_E_NS1_11comp_targetILNS1_3genE4ELNS1_11target_archE910ELNS1_3gpuE8ELNS1_3repE0EEENS1_30default_config_static_selectorELNS0_4arch9wavefront6targetE1EEEvT1_.num_agpr, 0
	.set _ZN7rocprim17ROCPRIM_400000_NS6detail17trampoline_kernelINS0_14default_configENS1_29reduce_by_key_config_selectorIdlN6thrust23THRUST_200600_302600_NS4plusIlEEEEZZNS1_33reduce_by_key_impl_wrapped_configILNS1_25lookback_scan_determinismE0ES3_S9_PdNS6_17constant_iteratorIiNS6_11use_defaultESE_EENS6_10device_ptrIdEENSG_IlEEPmS8_NS6_8equal_toIdEEEE10hipError_tPvRmT2_T3_mT4_T5_T6_T7_T8_P12ihipStream_tbENKUlT_T0_E_clISt17integral_constantIbLb0EES13_EEDaSY_SZ_EUlSY_E_NS1_11comp_targetILNS1_3genE4ELNS1_11target_archE910ELNS1_3gpuE8ELNS1_3repE0EEENS1_30default_config_static_selectorELNS0_4arch9wavefront6targetE1EEEvT1_.numbered_sgpr, 0
	.set _ZN7rocprim17ROCPRIM_400000_NS6detail17trampoline_kernelINS0_14default_configENS1_29reduce_by_key_config_selectorIdlN6thrust23THRUST_200600_302600_NS4plusIlEEEEZZNS1_33reduce_by_key_impl_wrapped_configILNS1_25lookback_scan_determinismE0ES3_S9_PdNS6_17constant_iteratorIiNS6_11use_defaultESE_EENS6_10device_ptrIdEENSG_IlEEPmS8_NS6_8equal_toIdEEEE10hipError_tPvRmT2_T3_mT4_T5_T6_T7_T8_P12ihipStream_tbENKUlT_T0_E_clISt17integral_constantIbLb0EES13_EEDaSY_SZ_EUlSY_E_NS1_11comp_targetILNS1_3genE4ELNS1_11target_archE910ELNS1_3gpuE8ELNS1_3repE0EEENS1_30default_config_static_selectorELNS0_4arch9wavefront6targetE1EEEvT1_.num_named_barrier, 0
	.set _ZN7rocprim17ROCPRIM_400000_NS6detail17trampoline_kernelINS0_14default_configENS1_29reduce_by_key_config_selectorIdlN6thrust23THRUST_200600_302600_NS4plusIlEEEEZZNS1_33reduce_by_key_impl_wrapped_configILNS1_25lookback_scan_determinismE0ES3_S9_PdNS6_17constant_iteratorIiNS6_11use_defaultESE_EENS6_10device_ptrIdEENSG_IlEEPmS8_NS6_8equal_toIdEEEE10hipError_tPvRmT2_T3_mT4_T5_T6_T7_T8_P12ihipStream_tbENKUlT_T0_E_clISt17integral_constantIbLb0EES13_EEDaSY_SZ_EUlSY_E_NS1_11comp_targetILNS1_3genE4ELNS1_11target_archE910ELNS1_3gpuE8ELNS1_3repE0EEENS1_30default_config_static_selectorELNS0_4arch9wavefront6targetE1EEEvT1_.private_seg_size, 0
	.set _ZN7rocprim17ROCPRIM_400000_NS6detail17trampoline_kernelINS0_14default_configENS1_29reduce_by_key_config_selectorIdlN6thrust23THRUST_200600_302600_NS4plusIlEEEEZZNS1_33reduce_by_key_impl_wrapped_configILNS1_25lookback_scan_determinismE0ES3_S9_PdNS6_17constant_iteratorIiNS6_11use_defaultESE_EENS6_10device_ptrIdEENSG_IlEEPmS8_NS6_8equal_toIdEEEE10hipError_tPvRmT2_T3_mT4_T5_T6_T7_T8_P12ihipStream_tbENKUlT_T0_E_clISt17integral_constantIbLb0EES13_EEDaSY_SZ_EUlSY_E_NS1_11comp_targetILNS1_3genE4ELNS1_11target_archE910ELNS1_3gpuE8ELNS1_3repE0EEENS1_30default_config_static_selectorELNS0_4arch9wavefront6targetE1EEEvT1_.uses_vcc, 0
	.set _ZN7rocprim17ROCPRIM_400000_NS6detail17trampoline_kernelINS0_14default_configENS1_29reduce_by_key_config_selectorIdlN6thrust23THRUST_200600_302600_NS4plusIlEEEEZZNS1_33reduce_by_key_impl_wrapped_configILNS1_25lookback_scan_determinismE0ES3_S9_PdNS6_17constant_iteratorIiNS6_11use_defaultESE_EENS6_10device_ptrIdEENSG_IlEEPmS8_NS6_8equal_toIdEEEE10hipError_tPvRmT2_T3_mT4_T5_T6_T7_T8_P12ihipStream_tbENKUlT_T0_E_clISt17integral_constantIbLb0EES13_EEDaSY_SZ_EUlSY_E_NS1_11comp_targetILNS1_3genE4ELNS1_11target_archE910ELNS1_3gpuE8ELNS1_3repE0EEENS1_30default_config_static_selectorELNS0_4arch9wavefront6targetE1EEEvT1_.uses_flat_scratch, 0
	.set _ZN7rocprim17ROCPRIM_400000_NS6detail17trampoline_kernelINS0_14default_configENS1_29reduce_by_key_config_selectorIdlN6thrust23THRUST_200600_302600_NS4plusIlEEEEZZNS1_33reduce_by_key_impl_wrapped_configILNS1_25lookback_scan_determinismE0ES3_S9_PdNS6_17constant_iteratorIiNS6_11use_defaultESE_EENS6_10device_ptrIdEENSG_IlEEPmS8_NS6_8equal_toIdEEEE10hipError_tPvRmT2_T3_mT4_T5_T6_T7_T8_P12ihipStream_tbENKUlT_T0_E_clISt17integral_constantIbLb0EES13_EEDaSY_SZ_EUlSY_E_NS1_11comp_targetILNS1_3genE4ELNS1_11target_archE910ELNS1_3gpuE8ELNS1_3repE0EEENS1_30default_config_static_selectorELNS0_4arch9wavefront6targetE1EEEvT1_.has_dyn_sized_stack, 0
	.set _ZN7rocprim17ROCPRIM_400000_NS6detail17trampoline_kernelINS0_14default_configENS1_29reduce_by_key_config_selectorIdlN6thrust23THRUST_200600_302600_NS4plusIlEEEEZZNS1_33reduce_by_key_impl_wrapped_configILNS1_25lookback_scan_determinismE0ES3_S9_PdNS6_17constant_iteratorIiNS6_11use_defaultESE_EENS6_10device_ptrIdEENSG_IlEEPmS8_NS6_8equal_toIdEEEE10hipError_tPvRmT2_T3_mT4_T5_T6_T7_T8_P12ihipStream_tbENKUlT_T0_E_clISt17integral_constantIbLb0EES13_EEDaSY_SZ_EUlSY_E_NS1_11comp_targetILNS1_3genE4ELNS1_11target_archE910ELNS1_3gpuE8ELNS1_3repE0EEENS1_30default_config_static_selectorELNS0_4arch9wavefront6targetE1EEEvT1_.has_recursion, 0
	.set _ZN7rocprim17ROCPRIM_400000_NS6detail17trampoline_kernelINS0_14default_configENS1_29reduce_by_key_config_selectorIdlN6thrust23THRUST_200600_302600_NS4plusIlEEEEZZNS1_33reduce_by_key_impl_wrapped_configILNS1_25lookback_scan_determinismE0ES3_S9_PdNS6_17constant_iteratorIiNS6_11use_defaultESE_EENS6_10device_ptrIdEENSG_IlEEPmS8_NS6_8equal_toIdEEEE10hipError_tPvRmT2_T3_mT4_T5_T6_T7_T8_P12ihipStream_tbENKUlT_T0_E_clISt17integral_constantIbLb0EES13_EEDaSY_SZ_EUlSY_E_NS1_11comp_targetILNS1_3genE4ELNS1_11target_archE910ELNS1_3gpuE8ELNS1_3repE0EEENS1_30default_config_static_selectorELNS0_4arch9wavefront6targetE1EEEvT1_.has_indirect_call, 0
	.section	.AMDGPU.csdata,"",@progbits
; Kernel info:
; codeLenInByte = 0
; TotalNumSgprs: 4
; NumVgprs: 0
; ScratchSize: 0
; MemoryBound: 0
; FloatMode: 240
; IeeeMode: 1
; LDSByteSize: 0 bytes/workgroup (compile time only)
; SGPRBlocks: 0
; VGPRBlocks: 0
; NumSGPRsForWavesPerEU: 4
; NumVGPRsForWavesPerEU: 1
; Occupancy: 10
; WaveLimiterHint : 0
; COMPUTE_PGM_RSRC2:SCRATCH_EN: 0
; COMPUTE_PGM_RSRC2:USER_SGPR: 6
; COMPUTE_PGM_RSRC2:TRAP_HANDLER: 0
; COMPUTE_PGM_RSRC2:TGID_X_EN: 1
; COMPUTE_PGM_RSRC2:TGID_Y_EN: 0
; COMPUTE_PGM_RSRC2:TGID_Z_EN: 0
; COMPUTE_PGM_RSRC2:TIDIG_COMP_CNT: 0
	.section	.text._ZN7rocprim17ROCPRIM_400000_NS6detail17trampoline_kernelINS0_14default_configENS1_29reduce_by_key_config_selectorIdlN6thrust23THRUST_200600_302600_NS4plusIlEEEEZZNS1_33reduce_by_key_impl_wrapped_configILNS1_25lookback_scan_determinismE0ES3_S9_PdNS6_17constant_iteratorIiNS6_11use_defaultESE_EENS6_10device_ptrIdEENSG_IlEEPmS8_NS6_8equal_toIdEEEE10hipError_tPvRmT2_T3_mT4_T5_T6_T7_T8_P12ihipStream_tbENKUlT_T0_E_clISt17integral_constantIbLb0EES13_EEDaSY_SZ_EUlSY_E_NS1_11comp_targetILNS1_3genE3ELNS1_11target_archE908ELNS1_3gpuE7ELNS1_3repE0EEENS1_30default_config_static_selectorELNS0_4arch9wavefront6targetE1EEEvT1_,"axG",@progbits,_ZN7rocprim17ROCPRIM_400000_NS6detail17trampoline_kernelINS0_14default_configENS1_29reduce_by_key_config_selectorIdlN6thrust23THRUST_200600_302600_NS4plusIlEEEEZZNS1_33reduce_by_key_impl_wrapped_configILNS1_25lookback_scan_determinismE0ES3_S9_PdNS6_17constant_iteratorIiNS6_11use_defaultESE_EENS6_10device_ptrIdEENSG_IlEEPmS8_NS6_8equal_toIdEEEE10hipError_tPvRmT2_T3_mT4_T5_T6_T7_T8_P12ihipStream_tbENKUlT_T0_E_clISt17integral_constantIbLb0EES13_EEDaSY_SZ_EUlSY_E_NS1_11comp_targetILNS1_3genE3ELNS1_11target_archE908ELNS1_3gpuE7ELNS1_3repE0EEENS1_30default_config_static_selectorELNS0_4arch9wavefront6targetE1EEEvT1_,comdat
	.protected	_ZN7rocprim17ROCPRIM_400000_NS6detail17trampoline_kernelINS0_14default_configENS1_29reduce_by_key_config_selectorIdlN6thrust23THRUST_200600_302600_NS4plusIlEEEEZZNS1_33reduce_by_key_impl_wrapped_configILNS1_25lookback_scan_determinismE0ES3_S9_PdNS6_17constant_iteratorIiNS6_11use_defaultESE_EENS6_10device_ptrIdEENSG_IlEEPmS8_NS6_8equal_toIdEEEE10hipError_tPvRmT2_T3_mT4_T5_T6_T7_T8_P12ihipStream_tbENKUlT_T0_E_clISt17integral_constantIbLb0EES13_EEDaSY_SZ_EUlSY_E_NS1_11comp_targetILNS1_3genE3ELNS1_11target_archE908ELNS1_3gpuE7ELNS1_3repE0EEENS1_30default_config_static_selectorELNS0_4arch9wavefront6targetE1EEEvT1_ ; -- Begin function _ZN7rocprim17ROCPRIM_400000_NS6detail17trampoline_kernelINS0_14default_configENS1_29reduce_by_key_config_selectorIdlN6thrust23THRUST_200600_302600_NS4plusIlEEEEZZNS1_33reduce_by_key_impl_wrapped_configILNS1_25lookback_scan_determinismE0ES3_S9_PdNS6_17constant_iteratorIiNS6_11use_defaultESE_EENS6_10device_ptrIdEENSG_IlEEPmS8_NS6_8equal_toIdEEEE10hipError_tPvRmT2_T3_mT4_T5_T6_T7_T8_P12ihipStream_tbENKUlT_T0_E_clISt17integral_constantIbLb0EES13_EEDaSY_SZ_EUlSY_E_NS1_11comp_targetILNS1_3genE3ELNS1_11target_archE908ELNS1_3gpuE7ELNS1_3repE0EEENS1_30default_config_static_selectorELNS0_4arch9wavefront6targetE1EEEvT1_
	.globl	_ZN7rocprim17ROCPRIM_400000_NS6detail17trampoline_kernelINS0_14default_configENS1_29reduce_by_key_config_selectorIdlN6thrust23THRUST_200600_302600_NS4plusIlEEEEZZNS1_33reduce_by_key_impl_wrapped_configILNS1_25lookback_scan_determinismE0ES3_S9_PdNS6_17constant_iteratorIiNS6_11use_defaultESE_EENS6_10device_ptrIdEENSG_IlEEPmS8_NS6_8equal_toIdEEEE10hipError_tPvRmT2_T3_mT4_T5_T6_T7_T8_P12ihipStream_tbENKUlT_T0_E_clISt17integral_constantIbLb0EES13_EEDaSY_SZ_EUlSY_E_NS1_11comp_targetILNS1_3genE3ELNS1_11target_archE908ELNS1_3gpuE7ELNS1_3repE0EEENS1_30default_config_static_selectorELNS0_4arch9wavefront6targetE1EEEvT1_
	.p2align	8
	.type	_ZN7rocprim17ROCPRIM_400000_NS6detail17trampoline_kernelINS0_14default_configENS1_29reduce_by_key_config_selectorIdlN6thrust23THRUST_200600_302600_NS4plusIlEEEEZZNS1_33reduce_by_key_impl_wrapped_configILNS1_25lookback_scan_determinismE0ES3_S9_PdNS6_17constant_iteratorIiNS6_11use_defaultESE_EENS6_10device_ptrIdEENSG_IlEEPmS8_NS6_8equal_toIdEEEE10hipError_tPvRmT2_T3_mT4_T5_T6_T7_T8_P12ihipStream_tbENKUlT_T0_E_clISt17integral_constantIbLb0EES13_EEDaSY_SZ_EUlSY_E_NS1_11comp_targetILNS1_3genE3ELNS1_11target_archE908ELNS1_3gpuE7ELNS1_3repE0EEENS1_30default_config_static_selectorELNS0_4arch9wavefront6targetE1EEEvT1_,@function
_ZN7rocprim17ROCPRIM_400000_NS6detail17trampoline_kernelINS0_14default_configENS1_29reduce_by_key_config_selectorIdlN6thrust23THRUST_200600_302600_NS4plusIlEEEEZZNS1_33reduce_by_key_impl_wrapped_configILNS1_25lookback_scan_determinismE0ES3_S9_PdNS6_17constant_iteratorIiNS6_11use_defaultESE_EENS6_10device_ptrIdEENSG_IlEEPmS8_NS6_8equal_toIdEEEE10hipError_tPvRmT2_T3_mT4_T5_T6_T7_T8_P12ihipStream_tbENKUlT_T0_E_clISt17integral_constantIbLb0EES13_EEDaSY_SZ_EUlSY_E_NS1_11comp_targetILNS1_3genE3ELNS1_11target_archE908ELNS1_3gpuE7ELNS1_3repE0EEENS1_30default_config_static_selectorELNS0_4arch9wavefront6targetE1EEEvT1_: ; @_ZN7rocprim17ROCPRIM_400000_NS6detail17trampoline_kernelINS0_14default_configENS1_29reduce_by_key_config_selectorIdlN6thrust23THRUST_200600_302600_NS4plusIlEEEEZZNS1_33reduce_by_key_impl_wrapped_configILNS1_25lookback_scan_determinismE0ES3_S9_PdNS6_17constant_iteratorIiNS6_11use_defaultESE_EENS6_10device_ptrIdEENSG_IlEEPmS8_NS6_8equal_toIdEEEE10hipError_tPvRmT2_T3_mT4_T5_T6_T7_T8_P12ihipStream_tbENKUlT_T0_E_clISt17integral_constantIbLb0EES13_EEDaSY_SZ_EUlSY_E_NS1_11comp_targetILNS1_3genE3ELNS1_11target_archE908ELNS1_3gpuE7ELNS1_3repE0EEENS1_30default_config_static_selectorELNS0_4arch9wavefront6targetE1EEEvT1_
; %bb.0:
	.section	.rodata,"a",@progbits
	.p2align	6, 0x0
	.amdhsa_kernel _ZN7rocprim17ROCPRIM_400000_NS6detail17trampoline_kernelINS0_14default_configENS1_29reduce_by_key_config_selectorIdlN6thrust23THRUST_200600_302600_NS4plusIlEEEEZZNS1_33reduce_by_key_impl_wrapped_configILNS1_25lookback_scan_determinismE0ES3_S9_PdNS6_17constant_iteratorIiNS6_11use_defaultESE_EENS6_10device_ptrIdEENSG_IlEEPmS8_NS6_8equal_toIdEEEE10hipError_tPvRmT2_T3_mT4_T5_T6_T7_T8_P12ihipStream_tbENKUlT_T0_E_clISt17integral_constantIbLb0EES13_EEDaSY_SZ_EUlSY_E_NS1_11comp_targetILNS1_3genE3ELNS1_11target_archE908ELNS1_3gpuE7ELNS1_3repE0EEENS1_30default_config_static_selectorELNS0_4arch9wavefront6targetE1EEEvT1_
		.amdhsa_group_segment_fixed_size 0
		.amdhsa_private_segment_fixed_size 0
		.amdhsa_kernarg_size 144
		.amdhsa_user_sgpr_count 6
		.amdhsa_user_sgpr_private_segment_buffer 1
		.amdhsa_user_sgpr_dispatch_ptr 0
		.amdhsa_user_sgpr_queue_ptr 0
		.amdhsa_user_sgpr_kernarg_segment_ptr 1
		.amdhsa_user_sgpr_dispatch_id 0
		.amdhsa_user_sgpr_flat_scratch_init 0
		.amdhsa_user_sgpr_private_segment_size 0
		.amdhsa_uses_dynamic_stack 0
		.amdhsa_system_sgpr_private_segment_wavefront_offset 0
		.amdhsa_system_sgpr_workgroup_id_x 1
		.amdhsa_system_sgpr_workgroup_id_y 0
		.amdhsa_system_sgpr_workgroup_id_z 0
		.amdhsa_system_sgpr_workgroup_info 0
		.amdhsa_system_vgpr_workitem_id 0
		.amdhsa_next_free_vgpr 1
		.amdhsa_next_free_sgpr 0
		.amdhsa_reserve_vcc 0
		.amdhsa_reserve_flat_scratch 0
		.amdhsa_float_round_mode_32 0
		.amdhsa_float_round_mode_16_64 0
		.amdhsa_float_denorm_mode_32 3
		.amdhsa_float_denorm_mode_16_64 3
		.amdhsa_dx10_clamp 1
		.amdhsa_ieee_mode 1
		.amdhsa_fp16_overflow 0
		.amdhsa_exception_fp_ieee_invalid_op 0
		.amdhsa_exception_fp_denorm_src 0
		.amdhsa_exception_fp_ieee_div_zero 0
		.amdhsa_exception_fp_ieee_overflow 0
		.amdhsa_exception_fp_ieee_underflow 0
		.amdhsa_exception_fp_ieee_inexact 0
		.amdhsa_exception_int_div_zero 0
	.end_amdhsa_kernel
	.section	.text._ZN7rocprim17ROCPRIM_400000_NS6detail17trampoline_kernelINS0_14default_configENS1_29reduce_by_key_config_selectorIdlN6thrust23THRUST_200600_302600_NS4plusIlEEEEZZNS1_33reduce_by_key_impl_wrapped_configILNS1_25lookback_scan_determinismE0ES3_S9_PdNS6_17constant_iteratorIiNS6_11use_defaultESE_EENS6_10device_ptrIdEENSG_IlEEPmS8_NS6_8equal_toIdEEEE10hipError_tPvRmT2_T3_mT4_T5_T6_T7_T8_P12ihipStream_tbENKUlT_T0_E_clISt17integral_constantIbLb0EES13_EEDaSY_SZ_EUlSY_E_NS1_11comp_targetILNS1_3genE3ELNS1_11target_archE908ELNS1_3gpuE7ELNS1_3repE0EEENS1_30default_config_static_selectorELNS0_4arch9wavefront6targetE1EEEvT1_,"axG",@progbits,_ZN7rocprim17ROCPRIM_400000_NS6detail17trampoline_kernelINS0_14default_configENS1_29reduce_by_key_config_selectorIdlN6thrust23THRUST_200600_302600_NS4plusIlEEEEZZNS1_33reduce_by_key_impl_wrapped_configILNS1_25lookback_scan_determinismE0ES3_S9_PdNS6_17constant_iteratorIiNS6_11use_defaultESE_EENS6_10device_ptrIdEENSG_IlEEPmS8_NS6_8equal_toIdEEEE10hipError_tPvRmT2_T3_mT4_T5_T6_T7_T8_P12ihipStream_tbENKUlT_T0_E_clISt17integral_constantIbLb0EES13_EEDaSY_SZ_EUlSY_E_NS1_11comp_targetILNS1_3genE3ELNS1_11target_archE908ELNS1_3gpuE7ELNS1_3repE0EEENS1_30default_config_static_selectorELNS0_4arch9wavefront6targetE1EEEvT1_,comdat
.Lfunc_end1691:
	.size	_ZN7rocprim17ROCPRIM_400000_NS6detail17trampoline_kernelINS0_14default_configENS1_29reduce_by_key_config_selectorIdlN6thrust23THRUST_200600_302600_NS4plusIlEEEEZZNS1_33reduce_by_key_impl_wrapped_configILNS1_25lookback_scan_determinismE0ES3_S9_PdNS6_17constant_iteratorIiNS6_11use_defaultESE_EENS6_10device_ptrIdEENSG_IlEEPmS8_NS6_8equal_toIdEEEE10hipError_tPvRmT2_T3_mT4_T5_T6_T7_T8_P12ihipStream_tbENKUlT_T0_E_clISt17integral_constantIbLb0EES13_EEDaSY_SZ_EUlSY_E_NS1_11comp_targetILNS1_3genE3ELNS1_11target_archE908ELNS1_3gpuE7ELNS1_3repE0EEENS1_30default_config_static_selectorELNS0_4arch9wavefront6targetE1EEEvT1_, .Lfunc_end1691-_ZN7rocprim17ROCPRIM_400000_NS6detail17trampoline_kernelINS0_14default_configENS1_29reduce_by_key_config_selectorIdlN6thrust23THRUST_200600_302600_NS4plusIlEEEEZZNS1_33reduce_by_key_impl_wrapped_configILNS1_25lookback_scan_determinismE0ES3_S9_PdNS6_17constant_iteratorIiNS6_11use_defaultESE_EENS6_10device_ptrIdEENSG_IlEEPmS8_NS6_8equal_toIdEEEE10hipError_tPvRmT2_T3_mT4_T5_T6_T7_T8_P12ihipStream_tbENKUlT_T0_E_clISt17integral_constantIbLb0EES13_EEDaSY_SZ_EUlSY_E_NS1_11comp_targetILNS1_3genE3ELNS1_11target_archE908ELNS1_3gpuE7ELNS1_3repE0EEENS1_30default_config_static_selectorELNS0_4arch9wavefront6targetE1EEEvT1_
                                        ; -- End function
	.set _ZN7rocprim17ROCPRIM_400000_NS6detail17trampoline_kernelINS0_14default_configENS1_29reduce_by_key_config_selectorIdlN6thrust23THRUST_200600_302600_NS4plusIlEEEEZZNS1_33reduce_by_key_impl_wrapped_configILNS1_25lookback_scan_determinismE0ES3_S9_PdNS6_17constant_iteratorIiNS6_11use_defaultESE_EENS6_10device_ptrIdEENSG_IlEEPmS8_NS6_8equal_toIdEEEE10hipError_tPvRmT2_T3_mT4_T5_T6_T7_T8_P12ihipStream_tbENKUlT_T0_E_clISt17integral_constantIbLb0EES13_EEDaSY_SZ_EUlSY_E_NS1_11comp_targetILNS1_3genE3ELNS1_11target_archE908ELNS1_3gpuE7ELNS1_3repE0EEENS1_30default_config_static_selectorELNS0_4arch9wavefront6targetE1EEEvT1_.num_vgpr, 0
	.set _ZN7rocprim17ROCPRIM_400000_NS6detail17trampoline_kernelINS0_14default_configENS1_29reduce_by_key_config_selectorIdlN6thrust23THRUST_200600_302600_NS4plusIlEEEEZZNS1_33reduce_by_key_impl_wrapped_configILNS1_25lookback_scan_determinismE0ES3_S9_PdNS6_17constant_iteratorIiNS6_11use_defaultESE_EENS6_10device_ptrIdEENSG_IlEEPmS8_NS6_8equal_toIdEEEE10hipError_tPvRmT2_T3_mT4_T5_T6_T7_T8_P12ihipStream_tbENKUlT_T0_E_clISt17integral_constantIbLb0EES13_EEDaSY_SZ_EUlSY_E_NS1_11comp_targetILNS1_3genE3ELNS1_11target_archE908ELNS1_3gpuE7ELNS1_3repE0EEENS1_30default_config_static_selectorELNS0_4arch9wavefront6targetE1EEEvT1_.num_agpr, 0
	.set _ZN7rocprim17ROCPRIM_400000_NS6detail17trampoline_kernelINS0_14default_configENS1_29reduce_by_key_config_selectorIdlN6thrust23THRUST_200600_302600_NS4plusIlEEEEZZNS1_33reduce_by_key_impl_wrapped_configILNS1_25lookback_scan_determinismE0ES3_S9_PdNS6_17constant_iteratorIiNS6_11use_defaultESE_EENS6_10device_ptrIdEENSG_IlEEPmS8_NS6_8equal_toIdEEEE10hipError_tPvRmT2_T3_mT4_T5_T6_T7_T8_P12ihipStream_tbENKUlT_T0_E_clISt17integral_constantIbLb0EES13_EEDaSY_SZ_EUlSY_E_NS1_11comp_targetILNS1_3genE3ELNS1_11target_archE908ELNS1_3gpuE7ELNS1_3repE0EEENS1_30default_config_static_selectorELNS0_4arch9wavefront6targetE1EEEvT1_.numbered_sgpr, 0
	.set _ZN7rocprim17ROCPRIM_400000_NS6detail17trampoline_kernelINS0_14default_configENS1_29reduce_by_key_config_selectorIdlN6thrust23THRUST_200600_302600_NS4plusIlEEEEZZNS1_33reduce_by_key_impl_wrapped_configILNS1_25lookback_scan_determinismE0ES3_S9_PdNS6_17constant_iteratorIiNS6_11use_defaultESE_EENS6_10device_ptrIdEENSG_IlEEPmS8_NS6_8equal_toIdEEEE10hipError_tPvRmT2_T3_mT4_T5_T6_T7_T8_P12ihipStream_tbENKUlT_T0_E_clISt17integral_constantIbLb0EES13_EEDaSY_SZ_EUlSY_E_NS1_11comp_targetILNS1_3genE3ELNS1_11target_archE908ELNS1_3gpuE7ELNS1_3repE0EEENS1_30default_config_static_selectorELNS0_4arch9wavefront6targetE1EEEvT1_.num_named_barrier, 0
	.set _ZN7rocprim17ROCPRIM_400000_NS6detail17trampoline_kernelINS0_14default_configENS1_29reduce_by_key_config_selectorIdlN6thrust23THRUST_200600_302600_NS4plusIlEEEEZZNS1_33reduce_by_key_impl_wrapped_configILNS1_25lookback_scan_determinismE0ES3_S9_PdNS6_17constant_iteratorIiNS6_11use_defaultESE_EENS6_10device_ptrIdEENSG_IlEEPmS8_NS6_8equal_toIdEEEE10hipError_tPvRmT2_T3_mT4_T5_T6_T7_T8_P12ihipStream_tbENKUlT_T0_E_clISt17integral_constantIbLb0EES13_EEDaSY_SZ_EUlSY_E_NS1_11comp_targetILNS1_3genE3ELNS1_11target_archE908ELNS1_3gpuE7ELNS1_3repE0EEENS1_30default_config_static_selectorELNS0_4arch9wavefront6targetE1EEEvT1_.private_seg_size, 0
	.set _ZN7rocprim17ROCPRIM_400000_NS6detail17trampoline_kernelINS0_14default_configENS1_29reduce_by_key_config_selectorIdlN6thrust23THRUST_200600_302600_NS4plusIlEEEEZZNS1_33reduce_by_key_impl_wrapped_configILNS1_25lookback_scan_determinismE0ES3_S9_PdNS6_17constant_iteratorIiNS6_11use_defaultESE_EENS6_10device_ptrIdEENSG_IlEEPmS8_NS6_8equal_toIdEEEE10hipError_tPvRmT2_T3_mT4_T5_T6_T7_T8_P12ihipStream_tbENKUlT_T0_E_clISt17integral_constantIbLb0EES13_EEDaSY_SZ_EUlSY_E_NS1_11comp_targetILNS1_3genE3ELNS1_11target_archE908ELNS1_3gpuE7ELNS1_3repE0EEENS1_30default_config_static_selectorELNS0_4arch9wavefront6targetE1EEEvT1_.uses_vcc, 0
	.set _ZN7rocprim17ROCPRIM_400000_NS6detail17trampoline_kernelINS0_14default_configENS1_29reduce_by_key_config_selectorIdlN6thrust23THRUST_200600_302600_NS4plusIlEEEEZZNS1_33reduce_by_key_impl_wrapped_configILNS1_25lookback_scan_determinismE0ES3_S9_PdNS6_17constant_iteratorIiNS6_11use_defaultESE_EENS6_10device_ptrIdEENSG_IlEEPmS8_NS6_8equal_toIdEEEE10hipError_tPvRmT2_T3_mT4_T5_T6_T7_T8_P12ihipStream_tbENKUlT_T0_E_clISt17integral_constantIbLb0EES13_EEDaSY_SZ_EUlSY_E_NS1_11comp_targetILNS1_3genE3ELNS1_11target_archE908ELNS1_3gpuE7ELNS1_3repE0EEENS1_30default_config_static_selectorELNS0_4arch9wavefront6targetE1EEEvT1_.uses_flat_scratch, 0
	.set _ZN7rocprim17ROCPRIM_400000_NS6detail17trampoline_kernelINS0_14default_configENS1_29reduce_by_key_config_selectorIdlN6thrust23THRUST_200600_302600_NS4plusIlEEEEZZNS1_33reduce_by_key_impl_wrapped_configILNS1_25lookback_scan_determinismE0ES3_S9_PdNS6_17constant_iteratorIiNS6_11use_defaultESE_EENS6_10device_ptrIdEENSG_IlEEPmS8_NS6_8equal_toIdEEEE10hipError_tPvRmT2_T3_mT4_T5_T6_T7_T8_P12ihipStream_tbENKUlT_T0_E_clISt17integral_constantIbLb0EES13_EEDaSY_SZ_EUlSY_E_NS1_11comp_targetILNS1_3genE3ELNS1_11target_archE908ELNS1_3gpuE7ELNS1_3repE0EEENS1_30default_config_static_selectorELNS0_4arch9wavefront6targetE1EEEvT1_.has_dyn_sized_stack, 0
	.set _ZN7rocprim17ROCPRIM_400000_NS6detail17trampoline_kernelINS0_14default_configENS1_29reduce_by_key_config_selectorIdlN6thrust23THRUST_200600_302600_NS4plusIlEEEEZZNS1_33reduce_by_key_impl_wrapped_configILNS1_25lookback_scan_determinismE0ES3_S9_PdNS6_17constant_iteratorIiNS6_11use_defaultESE_EENS6_10device_ptrIdEENSG_IlEEPmS8_NS6_8equal_toIdEEEE10hipError_tPvRmT2_T3_mT4_T5_T6_T7_T8_P12ihipStream_tbENKUlT_T0_E_clISt17integral_constantIbLb0EES13_EEDaSY_SZ_EUlSY_E_NS1_11comp_targetILNS1_3genE3ELNS1_11target_archE908ELNS1_3gpuE7ELNS1_3repE0EEENS1_30default_config_static_selectorELNS0_4arch9wavefront6targetE1EEEvT1_.has_recursion, 0
	.set _ZN7rocprim17ROCPRIM_400000_NS6detail17trampoline_kernelINS0_14default_configENS1_29reduce_by_key_config_selectorIdlN6thrust23THRUST_200600_302600_NS4plusIlEEEEZZNS1_33reduce_by_key_impl_wrapped_configILNS1_25lookback_scan_determinismE0ES3_S9_PdNS6_17constant_iteratorIiNS6_11use_defaultESE_EENS6_10device_ptrIdEENSG_IlEEPmS8_NS6_8equal_toIdEEEE10hipError_tPvRmT2_T3_mT4_T5_T6_T7_T8_P12ihipStream_tbENKUlT_T0_E_clISt17integral_constantIbLb0EES13_EEDaSY_SZ_EUlSY_E_NS1_11comp_targetILNS1_3genE3ELNS1_11target_archE908ELNS1_3gpuE7ELNS1_3repE0EEENS1_30default_config_static_selectorELNS0_4arch9wavefront6targetE1EEEvT1_.has_indirect_call, 0
	.section	.AMDGPU.csdata,"",@progbits
; Kernel info:
; codeLenInByte = 0
; TotalNumSgprs: 4
; NumVgprs: 0
; ScratchSize: 0
; MemoryBound: 0
; FloatMode: 240
; IeeeMode: 1
; LDSByteSize: 0 bytes/workgroup (compile time only)
; SGPRBlocks: 0
; VGPRBlocks: 0
; NumSGPRsForWavesPerEU: 4
; NumVGPRsForWavesPerEU: 1
; Occupancy: 10
; WaveLimiterHint : 0
; COMPUTE_PGM_RSRC2:SCRATCH_EN: 0
; COMPUTE_PGM_RSRC2:USER_SGPR: 6
; COMPUTE_PGM_RSRC2:TRAP_HANDLER: 0
; COMPUTE_PGM_RSRC2:TGID_X_EN: 1
; COMPUTE_PGM_RSRC2:TGID_Y_EN: 0
; COMPUTE_PGM_RSRC2:TGID_Z_EN: 0
; COMPUTE_PGM_RSRC2:TIDIG_COMP_CNT: 0
	.section	.text._ZN7rocprim17ROCPRIM_400000_NS6detail17trampoline_kernelINS0_14default_configENS1_29reduce_by_key_config_selectorIdlN6thrust23THRUST_200600_302600_NS4plusIlEEEEZZNS1_33reduce_by_key_impl_wrapped_configILNS1_25lookback_scan_determinismE0ES3_S9_PdNS6_17constant_iteratorIiNS6_11use_defaultESE_EENS6_10device_ptrIdEENSG_IlEEPmS8_NS6_8equal_toIdEEEE10hipError_tPvRmT2_T3_mT4_T5_T6_T7_T8_P12ihipStream_tbENKUlT_T0_E_clISt17integral_constantIbLb0EES13_EEDaSY_SZ_EUlSY_E_NS1_11comp_targetILNS1_3genE2ELNS1_11target_archE906ELNS1_3gpuE6ELNS1_3repE0EEENS1_30default_config_static_selectorELNS0_4arch9wavefront6targetE1EEEvT1_,"axG",@progbits,_ZN7rocprim17ROCPRIM_400000_NS6detail17trampoline_kernelINS0_14default_configENS1_29reduce_by_key_config_selectorIdlN6thrust23THRUST_200600_302600_NS4plusIlEEEEZZNS1_33reduce_by_key_impl_wrapped_configILNS1_25lookback_scan_determinismE0ES3_S9_PdNS6_17constant_iteratorIiNS6_11use_defaultESE_EENS6_10device_ptrIdEENSG_IlEEPmS8_NS6_8equal_toIdEEEE10hipError_tPvRmT2_T3_mT4_T5_T6_T7_T8_P12ihipStream_tbENKUlT_T0_E_clISt17integral_constantIbLb0EES13_EEDaSY_SZ_EUlSY_E_NS1_11comp_targetILNS1_3genE2ELNS1_11target_archE906ELNS1_3gpuE6ELNS1_3repE0EEENS1_30default_config_static_selectorELNS0_4arch9wavefront6targetE1EEEvT1_,comdat
	.protected	_ZN7rocprim17ROCPRIM_400000_NS6detail17trampoline_kernelINS0_14default_configENS1_29reduce_by_key_config_selectorIdlN6thrust23THRUST_200600_302600_NS4plusIlEEEEZZNS1_33reduce_by_key_impl_wrapped_configILNS1_25lookback_scan_determinismE0ES3_S9_PdNS6_17constant_iteratorIiNS6_11use_defaultESE_EENS6_10device_ptrIdEENSG_IlEEPmS8_NS6_8equal_toIdEEEE10hipError_tPvRmT2_T3_mT4_T5_T6_T7_T8_P12ihipStream_tbENKUlT_T0_E_clISt17integral_constantIbLb0EES13_EEDaSY_SZ_EUlSY_E_NS1_11comp_targetILNS1_3genE2ELNS1_11target_archE906ELNS1_3gpuE6ELNS1_3repE0EEENS1_30default_config_static_selectorELNS0_4arch9wavefront6targetE1EEEvT1_ ; -- Begin function _ZN7rocprim17ROCPRIM_400000_NS6detail17trampoline_kernelINS0_14default_configENS1_29reduce_by_key_config_selectorIdlN6thrust23THRUST_200600_302600_NS4plusIlEEEEZZNS1_33reduce_by_key_impl_wrapped_configILNS1_25lookback_scan_determinismE0ES3_S9_PdNS6_17constant_iteratorIiNS6_11use_defaultESE_EENS6_10device_ptrIdEENSG_IlEEPmS8_NS6_8equal_toIdEEEE10hipError_tPvRmT2_T3_mT4_T5_T6_T7_T8_P12ihipStream_tbENKUlT_T0_E_clISt17integral_constantIbLb0EES13_EEDaSY_SZ_EUlSY_E_NS1_11comp_targetILNS1_3genE2ELNS1_11target_archE906ELNS1_3gpuE6ELNS1_3repE0EEENS1_30default_config_static_selectorELNS0_4arch9wavefront6targetE1EEEvT1_
	.globl	_ZN7rocprim17ROCPRIM_400000_NS6detail17trampoline_kernelINS0_14default_configENS1_29reduce_by_key_config_selectorIdlN6thrust23THRUST_200600_302600_NS4plusIlEEEEZZNS1_33reduce_by_key_impl_wrapped_configILNS1_25lookback_scan_determinismE0ES3_S9_PdNS6_17constant_iteratorIiNS6_11use_defaultESE_EENS6_10device_ptrIdEENSG_IlEEPmS8_NS6_8equal_toIdEEEE10hipError_tPvRmT2_T3_mT4_T5_T6_T7_T8_P12ihipStream_tbENKUlT_T0_E_clISt17integral_constantIbLb0EES13_EEDaSY_SZ_EUlSY_E_NS1_11comp_targetILNS1_3genE2ELNS1_11target_archE906ELNS1_3gpuE6ELNS1_3repE0EEENS1_30default_config_static_selectorELNS0_4arch9wavefront6targetE1EEEvT1_
	.p2align	8
	.type	_ZN7rocprim17ROCPRIM_400000_NS6detail17trampoline_kernelINS0_14default_configENS1_29reduce_by_key_config_selectorIdlN6thrust23THRUST_200600_302600_NS4plusIlEEEEZZNS1_33reduce_by_key_impl_wrapped_configILNS1_25lookback_scan_determinismE0ES3_S9_PdNS6_17constant_iteratorIiNS6_11use_defaultESE_EENS6_10device_ptrIdEENSG_IlEEPmS8_NS6_8equal_toIdEEEE10hipError_tPvRmT2_T3_mT4_T5_T6_T7_T8_P12ihipStream_tbENKUlT_T0_E_clISt17integral_constantIbLb0EES13_EEDaSY_SZ_EUlSY_E_NS1_11comp_targetILNS1_3genE2ELNS1_11target_archE906ELNS1_3gpuE6ELNS1_3repE0EEENS1_30default_config_static_selectorELNS0_4arch9wavefront6targetE1EEEvT1_,@function
_ZN7rocprim17ROCPRIM_400000_NS6detail17trampoline_kernelINS0_14default_configENS1_29reduce_by_key_config_selectorIdlN6thrust23THRUST_200600_302600_NS4plusIlEEEEZZNS1_33reduce_by_key_impl_wrapped_configILNS1_25lookback_scan_determinismE0ES3_S9_PdNS6_17constant_iteratorIiNS6_11use_defaultESE_EENS6_10device_ptrIdEENSG_IlEEPmS8_NS6_8equal_toIdEEEE10hipError_tPvRmT2_T3_mT4_T5_T6_T7_T8_P12ihipStream_tbENKUlT_T0_E_clISt17integral_constantIbLb0EES13_EEDaSY_SZ_EUlSY_E_NS1_11comp_targetILNS1_3genE2ELNS1_11target_archE906ELNS1_3gpuE6ELNS1_3repE0EEENS1_30default_config_static_selectorELNS0_4arch9wavefront6targetE1EEEvT1_: ; @_ZN7rocprim17ROCPRIM_400000_NS6detail17trampoline_kernelINS0_14default_configENS1_29reduce_by_key_config_selectorIdlN6thrust23THRUST_200600_302600_NS4plusIlEEEEZZNS1_33reduce_by_key_impl_wrapped_configILNS1_25lookback_scan_determinismE0ES3_S9_PdNS6_17constant_iteratorIiNS6_11use_defaultESE_EENS6_10device_ptrIdEENSG_IlEEPmS8_NS6_8equal_toIdEEEE10hipError_tPvRmT2_T3_mT4_T5_T6_T7_T8_P12ihipStream_tbENKUlT_T0_E_clISt17integral_constantIbLb0EES13_EEDaSY_SZ_EUlSY_E_NS1_11comp_targetILNS1_3genE2ELNS1_11target_archE906ELNS1_3gpuE6ELNS1_3repE0EEENS1_30default_config_static_selectorELNS0_4arch9wavefront6targetE1EEEvT1_
; %bb.0:
	s_load_dwordx16 s[40:55], s[4:5], 0x40
	s_load_dwordx4 s[8:11], s[4:5], 0x0
	s_load_dword s12, s[4:5], 0x18
	s_load_dwordx4 s[56:59], s[4:5], 0x20
	s_load_dwordx2 s[38:39], s[4:5], 0x30
	s_add_u32 s0, s0, s7
	s_waitcnt lgkmcnt(0)
	s_mul_i32 s7, s48, s47
	s_mul_hi_u32 s13, s48, s46
	s_addc_u32 s1, s1, 0
	s_add_i32 s7, s13, s7
	s_mul_i32 s13, s49, s46
	s_add_i32 s7, s7, s13
	s_lshl_b64 s[10:11], s[10:11], 3
	s_add_u32 s10, s8, s10
	s_addc_u32 s11, s9, s11
	s_mul_i32 s8, s6, 0xf00
	s_mov_b32 s9, 0
	s_lshl_b64 s[8:9], s[8:9], 3
	s_add_u32 s62, s10, s8
	s_mul_i32 s13, s48, s46
	s_addc_u32 s63, s11, s9
	s_add_u32 s8, s13, s6
	s_addc_u32 s9, s7, 0
	s_add_u32 s16, s50, -1
	s_addc_u32 s17, s51, -1
	s_cmp_eq_u64 s[8:9], s[16:17]
	s_cselect_b64 s[48:49], -1, 0
	s_cmp_lg_u64 s[8:9], s[16:17]
	s_mov_b64 s[14:15], -1
	s_cselect_b64 s[10:11], -1, 0
	s_mul_i32 s33, s16, 0xfffff100
	s_and_b64 vcc, exec, s[48:49]
	s_cbranch_vccnz .LBB1692_2
; %bb.1:
	v_lshlrev_b32_e32 v35, 3, v0
	v_mov_b32_e32 v1, s63
	v_add_co_u32_e32 v29, vcc, s62, v35
	v_addc_co_u32_e32 v30, vcc, 0, v1, vcc
	v_add_co_u32_e32 v1, vcc, 0x1000, v29
	v_addc_co_u32_e32 v2, vcc, 0, v30, vcc
	global_load_dwordx2 v[3:4], v35, s[62:63]
	global_load_dwordx2 v[5:6], v35, s[62:63] offset:2048
	global_load_dwordx2 v[7:8], v[1:2], off
	global_load_dwordx2 v[9:10], v[1:2], off offset:2048
	v_add_co_u32_e32 v1, vcc, 0x2000, v29
	v_addc_co_u32_e32 v2, vcc, 0, v30, vcc
	v_add_co_u32_e32 v11, vcc, 0x3000, v29
	v_addc_co_u32_e32 v12, vcc, 0, v30, vcc
	global_load_dwordx2 v[13:14], v[1:2], off
	global_load_dwordx2 v[15:16], v[1:2], off offset:2048
	global_load_dwordx2 v[17:18], v[11:12], off
	global_load_dwordx2 v[19:20], v[11:12], off offset:2048
	v_add_co_u32_e32 v1, vcc, 0x4000, v29
	v_addc_co_u32_e32 v2, vcc, 0, v30, vcc
	v_add_co_u32_e32 v11, vcc, 0x5000, v29
	v_addc_co_u32_e32 v12, vcc, 0, v30, vcc
	global_load_dwordx2 v[21:22], v[1:2], off
	global_load_dwordx2 v[23:24], v[1:2], off offset:2048
	;; [unrolled: 8-line block ×3, first 2 shown]
	global_load_dwordx2 v[33:34], v[11:12], off
	s_movk_i32 s7, 0x70
	v_mad_u32_u24 v53, v0, s7, v35
	s_ashr_i32 s13, s12, 31
	v_mov_b32_e32 v1, s12
	v_mov_b32_e32 v2, s13
	s_waitcnt vmcnt(13)
	ds_write2st64_b64 v35, v[3:4], v[5:6] offset1:4
	s_waitcnt vmcnt(11)
	ds_write2st64_b64 v35, v[7:8], v[9:10] offset0:8 offset1:12
	s_waitcnt vmcnt(9)
	ds_write2st64_b64 v35, v[13:14], v[15:16] offset0:16 offset1:20
	;; [unrolled: 2-line block ×6, first 2 shown]
	s_waitcnt vmcnt(0)
	ds_write_b64 v35, v[33:34] offset:28672
	s_waitcnt lgkmcnt(0)
	s_barrier
	ds_read2_b64 v[29:32], v53 offset1:1
	ds_read2_b64 v[25:28], v53 offset0:2 offset1:3
	ds_read2_b64 v[21:24], v53 offset0:4 offset1:5
	;; [unrolled: 1-line block ×6, first 2 shown]
	ds_read_b64 v[57:58], v53 offset:112
	s_waitcnt lgkmcnt(0)
	s_barrier
	ds_write2st64_b64 v35, v[1:2], v[1:2] offset1:4
	ds_write2st64_b64 v35, v[1:2], v[1:2] offset0:8 offset1:12
	ds_write2st64_b64 v35, v[1:2], v[1:2] offset0:16 offset1:20
	;; [unrolled: 1-line block ×6, first 2 shown]
	ds_write_b64 v35, v[1:2] offset:28672
	s_waitcnt lgkmcnt(0)
	s_barrier
	s_load_dwordx2 s[60:61], s[4:5], 0x80
	s_add_i32 s33, s33, s52
	s_cbranch_execz .LBB1692_3
	s_branch .LBB1692_34
.LBB1692_2:
                                        ; implicit-def: $vgpr29_vgpr30
                                        ; implicit-def: $vgpr25_vgpr26
                                        ; implicit-def: $vgpr21_vgpr22
                                        ; implicit-def: $vgpr17_vgpr18
                                        ; implicit-def: $vgpr13_vgpr14
                                        ; implicit-def: $vgpr9_vgpr10
                                        ; implicit-def: $vgpr5_vgpr6
                                        ; implicit-def: $vgpr57_vgpr58
                                        ; implicit-def: $vgpr53
	s_load_dwordx2 s[60:61], s[4:5], 0x80
	s_andn2_b64 vcc, exec, s[14:15]
	s_add_i32 s33, s33, s52
	s_cbranch_vccnz .LBB1692_34
.LBB1692_3:
	v_cmp_gt_u32_e32 vcc, s33, v0
                                        ; implicit-def: $vgpr1_vgpr2
	s_and_saveexec_b64 s[4:5], vcc
	s_cbranch_execz .LBB1692_5
; %bb.4:
	v_lshlrev_b32_e32 v1, 3, v0
	global_load_dwordx2 v[1:2], v1, s[62:63]
.LBB1692_5:
	s_or_b64 exec, exec, s[4:5]
	v_or_b32_e32 v3, 0x100, v0
	v_cmp_gt_u32_e32 vcc, s33, v3
                                        ; implicit-def: $vgpr3_vgpr4
	s_and_saveexec_b64 s[4:5], vcc
	s_cbranch_execz .LBB1692_7
; %bb.6:
	v_lshlrev_b32_e32 v3, 3, v0
	global_load_dwordx2 v[3:4], v3, s[62:63] offset:2048
.LBB1692_7:
	s_or_b64 exec, exec, s[4:5]
	v_or_b32_e32 v7, 0x200, v0
	v_cmp_gt_u32_e32 vcc, s33, v7
                                        ; implicit-def: $vgpr5_vgpr6
	s_and_saveexec_b64 s[4:5], vcc
	s_cbranch_execz .LBB1692_9
; %bb.8:
	v_lshlrev_b32_e32 v5, 3, v7
	global_load_dwordx2 v[5:6], v5, s[62:63]
.LBB1692_9:
	s_or_b64 exec, exec, s[4:5]
	v_or_b32_e32 v9, 0x300, v0
	v_cmp_gt_u32_e32 vcc, s33, v9
                                        ; implicit-def: $vgpr7_vgpr8
	s_and_saveexec_b64 s[4:5], vcc
	s_cbranch_execz .LBB1692_11
; %bb.10:
	v_lshlrev_b32_e32 v7, 3, v9
	global_load_dwordx2 v[7:8], v7, s[62:63]
.LBB1692_11:
	s_or_b64 exec, exec, s[4:5]
	v_or_b32_e32 v11, 0x400, v0
	v_cmp_gt_u32_e32 vcc, s33, v11
                                        ; implicit-def: $vgpr9_vgpr10
	s_and_saveexec_b64 s[4:5], vcc
	s_cbranch_execz .LBB1692_13
; %bb.12:
	v_lshlrev_b32_e32 v9, 3, v11
	global_load_dwordx2 v[9:10], v9, s[62:63]
.LBB1692_13:
	s_or_b64 exec, exec, s[4:5]
	v_or_b32_e32 v13, 0x500, v0
	v_cmp_gt_u32_e32 vcc, s33, v13
                                        ; implicit-def: $vgpr11_vgpr12
	s_and_saveexec_b64 s[4:5], vcc
	s_cbranch_execz .LBB1692_15
; %bb.14:
	v_lshlrev_b32_e32 v11, 3, v13
	global_load_dwordx2 v[11:12], v11, s[62:63]
.LBB1692_15:
	s_or_b64 exec, exec, s[4:5]
	v_or_b32_e32 v15, 0x600, v0
	v_cmp_gt_u32_e32 vcc, s33, v15
                                        ; implicit-def: $vgpr13_vgpr14
	s_and_saveexec_b64 s[4:5], vcc
	s_cbranch_execz .LBB1692_17
; %bb.16:
	v_lshlrev_b32_e32 v13, 3, v15
	global_load_dwordx2 v[13:14], v13, s[62:63]
.LBB1692_17:
	s_or_b64 exec, exec, s[4:5]
	v_or_b32_e32 v17, 0x700, v0
	v_cmp_gt_u32_e32 vcc, s33, v17
                                        ; implicit-def: $vgpr15_vgpr16
	s_and_saveexec_b64 s[4:5], vcc
	s_cbranch_execz .LBB1692_19
; %bb.18:
	v_lshlrev_b32_e32 v15, 3, v17
	global_load_dwordx2 v[15:16], v15, s[62:63]
.LBB1692_19:
	s_or_b64 exec, exec, s[4:5]
	v_or_b32_e32 v19, 0x800, v0
	v_cmp_gt_u32_e32 vcc, s33, v19
                                        ; implicit-def: $vgpr17_vgpr18
	s_and_saveexec_b64 s[4:5], vcc
	s_cbranch_execz .LBB1692_21
; %bb.20:
	v_lshlrev_b32_e32 v17, 3, v19
	global_load_dwordx2 v[17:18], v17, s[62:63]
.LBB1692_21:
	s_or_b64 exec, exec, s[4:5]
	v_or_b32_e32 v21, 0x900, v0
	v_cmp_gt_u32_e32 vcc, s33, v21
                                        ; implicit-def: $vgpr19_vgpr20
	s_and_saveexec_b64 s[4:5], vcc
	s_cbranch_execz .LBB1692_23
; %bb.22:
	v_lshlrev_b32_e32 v19, 3, v21
	global_load_dwordx2 v[19:20], v19, s[62:63]
.LBB1692_23:
	s_or_b64 exec, exec, s[4:5]
	v_or_b32_e32 v23, 0xa00, v0
	v_cmp_gt_u32_e32 vcc, s33, v23
                                        ; implicit-def: $vgpr21_vgpr22
	s_and_saveexec_b64 s[4:5], vcc
	s_cbranch_execz .LBB1692_25
; %bb.24:
	v_lshlrev_b32_e32 v21, 3, v23
	global_load_dwordx2 v[21:22], v21, s[62:63]
.LBB1692_25:
	s_or_b64 exec, exec, s[4:5]
	v_or_b32_e32 v25, 0xb00, v0
	v_cmp_gt_u32_e32 vcc, s33, v25
                                        ; implicit-def: $vgpr23_vgpr24
	s_and_saveexec_b64 s[4:5], vcc
	s_cbranch_execz .LBB1692_27
; %bb.26:
	v_lshlrev_b32_e32 v23, 3, v25
	global_load_dwordx2 v[23:24], v23, s[62:63]
.LBB1692_27:
	s_or_b64 exec, exec, s[4:5]
	v_or_b32_e32 v27, 0xc00, v0
	v_cmp_gt_u32_e32 vcc, s33, v27
                                        ; implicit-def: $vgpr25_vgpr26
	s_and_saveexec_b64 s[4:5], vcc
	s_cbranch_execz .LBB1692_29
; %bb.28:
	v_lshlrev_b32_e32 v25, 3, v27
	global_load_dwordx2 v[25:26], v25, s[62:63]
.LBB1692_29:
	s_or_b64 exec, exec, s[4:5]
	v_or_b32_e32 v29, 0xd00, v0
	v_cmp_gt_u32_e32 vcc, s33, v29
                                        ; implicit-def: $vgpr27_vgpr28
	s_and_saveexec_b64 s[4:5], vcc
	s_cbranch_execz .LBB1692_31
; %bb.30:
	v_lshlrev_b32_e32 v27, 3, v29
	global_load_dwordx2 v[27:28], v27, s[62:63]
.LBB1692_31:
	s_or_b64 exec, exec, s[4:5]
	v_or_b32_e32 v31, 0xe00, v0
	v_cmp_gt_u32_e32 vcc, s33, v31
                                        ; implicit-def: $vgpr29_vgpr30
	s_and_saveexec_b64 s[4:5], vcc
	s_cbranch_execz .LBB1692_33
; %bb.32:
	v_lshlrev_b32_e32 v29, 3, v31
	global_load_dwordx2 v[29:30], v29, s[62:63]
.LBB1692_33:
	s_or_b64 exec, exec, s[4:5]
	v_lshlrev_b32_e32 v33, 3, v0
	s_movk_i32 s4, 0x70
	v_mad_u32_u24 v53, v0, s4, v33
	s_waitcnt vmcnt(0)
	ds_write2st64_b64 v33, v[1:2], v[3:4] offset1:4
	ds_write2st64_b64 v33, v[5:6], v[7:8] offset0:8 offset1:12
	ds_write2st64_b64 v33, v[9:10], v[11:12] offset0:16 offset1:20
	;; [unrolled: 1-line block ×6, first 2 shown]
	ds_write_b64 v33, v[29:30] offset:28672
	s_waitcnt lgkmcnt(0)
	s_barrier
	ds_read2_b64 v[29:32], v53 offset1:1
	ds_read2_b64 v[25:28], v53 offset0:2 offset1:3
	ds_read2_b64 v[21:24], v53 offset0:4 offset1:5
	;; [unrolled: 1-line block ×6, first 2 shown]
	ds_read_b64 v[57:58], v53 offset:112
	s_ashr_i32 s13, s12, 31
	v_mov_b32_e32 v1, s12
	v_mov_b32_e32 v2, s13
	s_waitcnt lgkmcnt(0)
	s_barrier
	ds_write2st64_b64 v33, v[1:2], v[1:2] offset1:4
	ds_write2st64_b64 v33, v[1:2], v[1:2] offset0:8 offset1:12
	ds_write2st64_b64 v33, v[1:2], v[1:2] offset0:16 offset1:20
	;; [unrolled: 1-line block ×6, first 2 shown]
	ds_write_b64 v33, v[1:2] offset:28672
	s_waitcnt lgkmcnt(0)
	s_barrier
.LBB1692_34:
	s_waitcnt lgkmcnt(0)
	ds_read_b64 v[63:64], v53 offset:112
	ds_read2_b64 v[1:4], v53 offset0:12 offset1:13
	ds_read2_b64 v[33:36], v53 offset0:10 offset1:11
	;; [unrolled: 1-line block ×6, first 2 shown]
	ds_read2_b64 v[53:56], v53 offset1:1
	s_cmp_eq_u64 s[8:9], 0
	s_cselect_b64 s[50:51], -1, 0
	s_cmp_lg_u64 s[8:9], 0
	s_mov_b64 s[64:65], 0
	s_cselect_b64 s[4:5], -1, 0
	s_and_b64 vcc, exec, s[10:11]
	s_waitcnt lgkmcnt(0)
	s_barrier
	s_cbranch_vccz .LBB1692_39
; %bb.35:
	s_and_b64 vcc, exec, s[4:5]
	s_cbranch_vccz .LBB1692_40
; %bb.36:
	v_cmp_neq_f64_e32 vcc, v[7:8], v[57:58]
	s_add_u32 s10, s62, -8
	s_addc_u32 s11, s63, -1
	s_load_dwordx2 s[10:11], s[10:11], 0x0
	v_lshlrev_b32_e32 v61, 3, v0
	ds_write_b64 v61, v[57:58]
	v_cndmask_b32_e64 v59, 0, 1, vcc
	v_cmp_neq_f64_e32 vcc, v[5:6], v[7:8]
	buffer_store_dword v59, off, s[0:3], 0 offset:56
	v_cndmask_b32_e64 v59, 0, 1, vcc
	v_cmp_neq_f64_e32 vcc, v[11:12], v[5:6]
	buffer_store_dword v59, off, s[0:3], 0 offset:52
	;; [unrolled: 3-line block ×13, first 2 shown]
	v_cndmask_b32_e64 v59, 0, 1, vcc
	buffer_store_dword v59, off, s[0:3], 0 offset:4
	s_waitcnt lgkmcnt(0)
	v_mov_b32_e32 v60, s11
	v_cmp_ne_u32_e32 vcc, 0, v0
	v_mov_b32_e32 v59, s10
	s_waitcnt vmcnt(0)
	s_barrier
	s_and_saveexec_b64 s[10:11], vcc
; %bb.37:
	v_add_u32_e32 v59, -8, v61
	ds_read_b64 v[59:60], v59
; %bb.38:
	s_or_b64 exec, exec, s[10:11]
	s_waitcnt lgkmcnt(0)
	v_cmp_neq_f64_e64 s[10:11], v[59:60], v[29:30]
	s_mov_b64 s[64:65], -1
	s_branch .LBB1692_44
.LBB1692_39:
                                        ; implicit-def: $sgpr10_sgpr11
	s_cbranch_execnz .LBB1692_45
	s_branch .LBB1692_53
.LBB1692_40:
                                        ; implicit-def: $sgpr10_sgpr11
	s_cbranch_execz .LBB1692_44
; %bb.41:
	v_cmp_neq_f64_e32 vcc, v[7:8], v[57:58]
	v_lshlrev_b32_e32 v59, 3, v0
	ds_write_b64 v59, v[57:58]
                                        ; implicit-def: $sgpr10_sgpr11
	v_cndmask_b32_e64 v60, 0, 1, vcc
	v_cmp_neq_f64_e32 vcc, v[5:6], v[7:8]
	buffer_store_dword v60, off, s[0:3], 0 offset:56
	v_cndmask_b32_e64 v60, 0, 1, vcc
	v_cmp_neq_f64_e32 vcc, v[11:12], v[5:6]
	buffer_store_dword v60, off, s[0:3], 0 offset:52
	;; [unrolled: 3-line block ×13, first 2 shown]
	v_cndmask_b32_e64 v60, 0, 1, vcc
	buffer_store_dword v60, off, s[0:3], 0 offset:4
	v_mov_b32_e32 v60, 1
	v_cmp_ne_u32_e32 vcc, 0, v0
	s_waitcnt vmcnt(0) lgkmcnt(0)
	s_barrier
	buffer_store_dword v60, off, s[0:3], 0
	s_and_saveexec_b64 s[12:13], vcc
	s_xor_b64 s[12:13], exec, s[12:13]
	s_cbranch_execz .LBB1692_43
; %bb.42:
	v_add_u32_e32 v59, -8, v59
	ds_read_b64 v[59:60], v59
	s_or_b64 s[64:65], s[64:65], exec
	s_waitcnt lgkmcnt(0)
	v_cmp_neq_f64_e64 s[10:11], v[59:60], v[29:30]
.LBB1692_43:
	s_or_b64 exec, exec, s[12:13]
.LBB1692_44:
	s_branch .LBB1692_53
.LBB1692_45:
	s_mul_i32 s7, s9, 0xfffff100
	s_mul_hi_u32 s9, s8, 0xfffff100
	s_sub_i32 s9, s9, s8
	s_add_i32 s9, s9, s7
	s_mul_i32 s7, s8, 0xfffff100
	s_add_u32 s52, s7, s52
	s_addc_u32 s53, s9, s53
	s_and_b64 vcc, exec, s[4:5]
	v_cmp_neq_f64_e64 s[34:35], v[7:8], v[57:58]
	v_cmp_neq_f64_e64 s[30:31], v[5:6], v[7:8]
	;; [unrolled: 1-line block ×14, first 2 shown]
	v_mad_u32_u24 v59, v0, 15, 14
	v_mad_u32_u24 v87, v0, 15, 13
	;; [unrolled: 1-line block ×14, first 2 shown]
	v_cmp_ne_u32_e64 s[8:9], 0, v0
	s_cbranch_vccz .LBB1692_49
; %bb.46:
	v_mov_b32_e32 v60, 0
	global_load_dwordx2 v[89:90], v60, s[62:63] offset:-8
	v_cmp_gt_u64_e32 vcc, s[52:53], v[59:60]
	v_mov_b32_e32 v88, v60
	s_and_b64 s[34:35], vcc, s[34:35]
	v_cmp_gt_u64_e32 vcc, s[52:53], v[87:88]
	v_mov_b32_e32 v86, v60
	s_and_b64 s[30:31], vcc, s[30:31]
	;; [unrolled: 3-line block ×6, first 2 shown]
	v_cmp_gt_u64_e32 vcc, s[52:53], v[77:78]
	v_mov_b32_e32 v76, v60
	v_cndmask_b32_e64 v62, 0, 1, s[34:35]
	s_and_b64 s[20:21], vcc, s[20:21]
	v_cmp_gt_u64_e32 vcc, s[52:53], v[75:76]
	buffer_store_dword v62, off, s[0:3], 0 offset:56
	v_cndmask_b32_e64 v62, 0, 1, s[30:31]
	v_mov_b32_e32 v74, v60
	buffer_store_dword v62, off, s[0:3], 0 offset:52
	v_cndmask_b32_e64 v62, 0, 1, s[28:29]
	s_and_b64 s[18:19], vcc, s[18:19]
	v_cmp_gt_u64_e32 vcc, s[52:53], v[73:74]
	buffer_store_dword v62, off, s[0:3], 0 offset:48
	v_cndmask_b32_e64 v62, 0, 1, s[26:27]
	v_mov_b32_e32 v72, v60
	buffer_store_dword v62, off, s[0:3], 0 offset:44
	;; [unrolled: 7-line block ×4, first 2 shown]
	v_cndmask_b32_e64 v62, 0, 1, s[16:17]
	s_and_b64 s[12:13], vcc, s[12:13]
	v_cmp_gt_u64_e32 vcc, s[52:53], v[67:68]
	buffer_store_dword v62, off, s[0:3], 0 offset:24
	v_cndmask_b32_e64 v62, 0, 1, s[14:15]
	buffer_store_dword v62, off, s[0:3], 0 offset:20
	v_cndmask_b32_e64 v62, 0, 1, s[12:13]
	s_and_b64 s[10:11], vcc, s[10:11]
	v_mov_b32_e32 v66, v60
	buffer_store_dword v62, off, s[0:3], 0 offset:16
	v_cndmask_b32_e64 v62, 0, 1, s[10:11]
	v_cmp_gt_u64_e32 vcc, s[52:53], v[65:66]
	buffer_store_dword v62, off, s[0:3], 0 offset:12
	v_mov_b32_e32 v62, v60
	s_and_b64 s[10:11], vcc, s[36:37]
	v_cmp_gt_u64_e32 vcc, s[52:53], v[61:62]
	v_lshlrev_b32_e32 v92, 3, v0
	s_and_b64 s[4:5], vcc, s[4:5]
	v_mul_u32_u24_e32 v91, 15, v0
	v_cndmask_b32_e64 v66, 0, 1, s[10:11]
	v_cndmask_b32_e64 v62, 0, 1, s[4:5]
	ds_write_b64 v92, v[57:58]
	buffer_store_dword v66, off, s[0:3], 0 offset:8
	buffer_store_dword v62, off, s[0:3], 0 offset:4
	s_waitcnt vmcnt(0) lgkmcnt(0)
	s_barrier
	s_and_saveexec_b64 s[4:5], s[8:9]
; %bb.47:
	v_add_u32_e32 v62, -8, v92
	ds_read_b64 v[89:90], v62
; %bb.48:
	s_or_b64 exec, exec, s[4:5]
	s_waitcnt lgkmcnt(0)
	v_cmp_neq_f64_e32 vcc, v[89:90], v[29:30]
	v_mov_b32_e32 v92, v60
	v_cmp_gt_u64_e64 s[4:5], s[52:53], v[91:92]
	s_mov_b64 s[64:65], -1
	s_and_b64 s[10:11], s[4:5], vcc
	s_branch .LBB1692_53
.LBB1692_49:
                                        ; implicit-def: $sgpr10_sgpr11
	s_cbranch_execz .LBB1692_53
; %bb.50:
	v_cmp_neq_f64_e32 vcc, v[7:8], v[57:58]
	v_cmp_neq_f64_e64 s[4:5], v[5:6], v[7:8]
	v_mov_b32_e32 v60, 0
	v_cmp_gt_u64_e64 s[8:9], s[52:53], v[59:60]
	v_mov_b32_e32 v88, v60
	v_mov_b32_e32 v86, v60
	;; [unrolled: 1-line block ×4, first 2 shown]
	s_and_b64 s[8:9], s[8:9], vcc
	v_cmp_gt_u64_e32 vcc, s[52:53], v[87:88]
	v_cndmask_b32_e64 v59, 0, 1, s[8:9]
	v_cmp_neq_f64_e64 s[8:9], v[11:12], v[5:6]
	s_and_b64 s[4:5], vcc, s[4:5]
	buffer_store_dword v59, off, s[0:3], 0 offset:56
	v_cndmask_b32_e64 v59, 0, 1, s[4:5]
	v_cmp_neq_f64_e64 s[4:5], v[9:10], v[11:12]
	v_cmp_gt_u64_e32 vcc, s[52:53], v[85:86]
	buffer_store_dword v59, off, s[0:3], 0 offset:52
	v_mov_b32_e32 v80, v60
	s_and_b64 s[8:9], vcc, s[8:9]
	v_cmp_gt_u64_e32 vcc, s[52:53], v[83:84]
	v_cndmask_b32_e64 v59, 0, 1, s[8:9]
	v_cmp_neq_f64_e64 s[8:9], v[15:16], v[9:10]
	s_and_b64 s[4:5], vcc, s[4:5]
	buffer_store_dword v59, off, s[0:3], 0 offset:48
	v_cndmask_b32_e64 v59, 0, 1, s[4:5]
	v_cmp_neq_f64_e64 s[4:5], v[13:14], v[15:16]
	v_cmp_gt_u64_e32 vcc, s[52:53], v[81:82]
	buffer_store_dword v59, off, s[0:3], 0 offset:44
	v_mov_b32_e32 v78, v60
	s_and_b64 s[8:9], vcc, s[8:9]
	v_cmp_gt_u64_e32 vcc, s[52:53], v[79:80]
	v_cndmask_b32_e64 v59, 0, 1, s[8:9]
	v_cmp_neq_f64_e64 s[8:9], v[19:20], v[13:14]
	s_and_b64 s[4:5], vcc, s[4:5]
	buffer_store_dword v59, off, s[0:3], 0 offset:40
	v_cndmask_b32_e64 v59, 0, 1, s[4:5]
	v_cmp_neq_f64_e64 s[4:5], v[17:18], v[19:20]
	v_cmp_gt_u64_e32 vcc, s[52:53], v[77:78]
	v_mov_b32_e32 v76, v60
	buffer_store_dword v59, off, s[0:3], 0 offset:36
	s_and_b64 s[8:9], vcc, s[8:9]
	v_cmp_gt_u64_e32 vcc, s[52:53], v[75:76]
	v_cndmask_b32_e64 v59, 0, 1, s[8:9]
	v_cmp_neq_f64_e64 s[8:9], v[23:24], v[17:18]
	s_and_b64 s[4:5], vcc, s[4:5]
	buffer_store_dword v59, off, s[0:3], 0 offset:32
	v_cndmask_b32_e64 v59, 0, 1, s[4:5]
	v_cmp_neq_f64_e64 s[4:5], v[21:22], v[23:24]
	v_mov_b32_e32 v74, v60
	v_cmp_gt_u64_e32 vcc, s[52:53], v[73:74]
	v_mov_b32_e32 v72, v60
	s_and_b64 s[8:9], vcc, s[8:9]
	v_cmp_gt_u64_e32 vcc, s[52:53], v[71:72]
	buffer_store_dword v59, off, s[0:3], 0 offset:28
	v_cndmask_b32_e64 v59, 0, 1, s[8:9]
	v_cmp_neq_f64_e64 s[8:9], v[27:28], v[21:22]
	s_and_b64 s[4:5], vcc, s[4:5]
	buffer_store_dword v59, off, s[0:3], 0 offset:24
	v_cndmask_b32_e64 v59, 0, 1, s[4:5]
	v_cmp_neq_f64_e64 s[4:5], v[25:26], v[27:28]
	v_mov_b32_e32 v70, v60
	v_cmp_gt_u64_e32 vcc, s[52:53], v[69:70]
	v_mov_b32_e32 v68, v60
	s_and_b64 s[8:9], vcc, s[8:9]
	v_cmp_gt_u64_e32 vcc, s[52:53], v[67:68]
	buffer_store_dword v59, off, s[0:3], 0 offset:20
	;; [unrolled: 12-line block ×3, first 2 shown]
	v_cndmask_b32_e64 v59, 0, 1, s[8:9]
	s_and_b64 s[4:5], vcc, s[4:5]
	v_lshlrev_b32_e32 v89, 3, v0
	buffer_store_dword v59, off, s[0:3], 0 offset:8
	v_mov_b32_e32 v59, 1
	v_cndmask_b32_e64 v61, 0, 1, s[4:5]
	v_cmp_ne_u32_e32 vcc, 0, v0
	ds_write_b64 v89, v[57:58]
	buffer_store_dword v61, off, s[0:3], 0 offset:4
	s_waitcnt vmcnt(0) lgkmcnt(0)
	s_barrier
	buffer_store_dword v59, off, s[0:3], 0
                                        ; implicit-def: $sgpr10_sgpr11
	s_and_saveexec_b64 s[8:9], vcc
	s_cbranch_execz .LBB1692_52
; %bb.51:
	v_add_u32_e32 v59, -8, v89
	ds_read_b64 v[61:62], v59
	v_mul_u32_u24_e32 v59, 15, v0
	v_cmp_gt_u64_e64 s[4:5], s[52:53], v[59:60]
	s_or_b64 s[64:65], s[64:65], exec
	s_waitcnt lgkmcnt(0)
	v_cmp_neq_f64_e32 vcc, v[61:62], v[29:30]
	s_and_b64 s[10:11], s[4:5], vcc
.LBB1692_52:
	s_or_b64 exec, exec, s[8:9]
.LBB1692_53:
	v_mov_b32_e32 v97, 1
	s_and_saveexec_b64 s[4:5], s[64:65]
	s_cbranch_execz .LBB1692_55
; %bb.54:
	v_cndmask_b32_e64 v97, 0, 1, s[10:11]
	buffer_store_dword v97, off, s[0:3], 0
.LBB1692_55:
	s_or_b64 exec, exec, s[4:5]
	buffer_load_dword v110, off, s[0:3], 0 offset:4
	buffer_load_dword v109, off, s[0:3], 0 offset:8
	;; [unrolled: 1-line block ×14, first 2 shown]
	s_cmp_eq_u64 s[46:47], 0
	s_cselect_b64 s[46:47], -1, 0
	s_cmp_lg_u32 s6, 0
	v_mbcnt_lo_u32_b32 v112, -1, 0
	s_waitcnt vmcnt(13)
	v_cmp_eq_u32_e64 s[28:29], 0, v110
	s_waitcnt vmcnt(12)
	v_add3_u32 v59, v110, v97, v109
	v_cmp_eq_u32_e64 s[26:27], 0, v109
	s_waitcnt vmcnt(11)
	v_cmp_eq_u32_e64 s[24:25], 0, v108
	s_waitcnt vmcnt(10)
	v_cmp_eq_u32_e64 s[22:23], 0, v98
	s_waitcnt vmcnt(9)
	v_cmp_eq_u32_e64 s[20:21], 0, v99
	s_waitcnt vmcnt(8)
	v_cmp_eq_u32_e64 s[18:19], 0, v100
	s_waitcnt vmcnt(7)
	v_cmp_eq_u32_e64 s[16:17], 0, v101
	s_waitcnt vmcnt(6)
	v_cmp_eq_u32_e64 s[14:15], 0, v102
	s_waitcnt vmcnt(5)
	v_cmp_eq_u32_e64 s[12:13], 0, v103
	s_waitcnt vmcnt(4)
	v_cmp_eq_u32_e64 s[10:11], 0, v104
	s_waitcnt vmcnt(3)
	v_cmp_eq_u32_e64 s[8:9], 0, v105
	s_waitcnt vmcnt(2)
	v_cmp_eq_u32_e64 s[34:35], 0, v106
	s_waitcnt vmcnt(1)
	v_cmp_eq_u32_e64 s[4:5], 0, v107
	s_waitcnt vmcnt(0)
	v_cmp_eq_u32_e32 vcc, 0, v111
	v_add3_u32 v113, v59, v108, v98
	s_cbranch_scc0 .LBB1692_117
; %bb.56:
	v_cndmask_b32_e64 v60, 0, v53, s[28:29]
	v_cndmask_b32_e64 v59, 0, v54, s[28:29]
	v_add_co_u32_e64 v60, s[30:31], v60, v55
	v_addc_co_u32_e64 v59, s[30:31], v59, v56, s[30:31]
	v_cndmask_b32_e64 v60, 0, v60, s[26:27]
	v_cndmask_b32_e64 v59, 0, v59, s[26:27]
	v_add_co_u32_e64 v60, s[30:31], v60, v49
	v_addc_co_u32_e64 v59, s[30:31], v59, v50, s[30:31]
	;; [unrolled: 4-line block ×11, first 2 shown]
	v_cndmask_b32_e64 v60, 0, v60, s[34:35]
	v_add3_u32 v61, v113, v99, v100
	v_cndmask_b32_e64 v59, 0, v59, s[34:35]
	v_add_co_u32_e64 v60, s[30:31], v60, v1
	v_add3_u32 v61, v61, v101, v102
	v_addc_co_u32_e64 v59, s[30:31], v59, v2, s[30:31]
	v_cndmask_b32_e64 v60, 0, v60, s[4:5]
	v_add3_u32 v61, v61, v103, v104
	v_cndmask_b32_e64 v59, 0, v59, s[4:5]
	v_add_co_u32_e64 v60, s[30:31], v60, v3
	v_add3_u32 v61, v61, v105, v106
	v_addc_co_u32_e64 v59, s[30:31], v59, v4, s[30:31]
	v_cndmask_b32_e32 v60, 0, v60, vcc
	v_add3_u32 v65, v61, v107, v111
	v_cndmask_b32_e32 v59, 0, v59, vcc
	v_add_co_u32_e32 v61, vcc, v60, v63
	v_mbcnt_hi_u32_b32 v70, -1, v112
	v_addc_co_u32_e32 v62, vcc, v59, v64, vcc
	v_and_b32_e32 v59, 15, v70
	v_mov_b32_dpp v66, v65 row_shr:1 row_mask:0xf bank_mask:0xf
	v_mov_b32_dpp v60, v61 row_shr:1 row_mask:0xf bank_mask:0xf
	;; [unrolled: 1-line block ×3, first 2 shown]
	v_cmp_ne_u32_e32 vcc, 0, v59
	s_and_saveexec_b64 s[30:31], vcc
; %bb.57:
	v_cmp_eq_u32_e32 vcc, 0, v65
	v_cndmask_b32_e32 v60, 0, v60, vcc
	v_add_u32_e32 v66, v66, v65
	v_cndmask_b32_e32 v65, 0, v67, vcc
	v_add_co_u32_e32 v61, vcc, v60, v61
	v_addc_co_u32_e32 v62, vcc, v65, v62, vcc
	v_mov_b32_e32 v65, v66
; %bb.58:
	s_or_b64 exec, exec, s[30:31]
	s_nop 0
	v_mov_b32_dpp v66, v65 row_shr:2 row_mask:0xf bank_mask:0xf
	v_mov_b32_dpp v60, v61 row_shr:2 row_mask:0xf bank_mask:0xf
	v_mov_b32_dpp v67, v62 row_shr:2 row_mask:0xf bank_mask:0xf
	v_cmp_lt_u32_e32 vcc, 1, v59
	s_and_saveexec_b64 s[30:31], vcc
; %bb.59:
	v_cmp_eq_u32_e32 vcc, 0, v65
	v_cndmask_b32_e32 v60, 0, v60, vcc
	v_add_u32_e32 v66, v66, v65
	v_cndmask_b32_e32 v65, 0, v67, vcc
	v_add_co_u32_e32 v61, vcc, v60, v61
	v_addc_co_u32_e32 v62, vcc, v65, v62, vcc
	v_mov_b32_e32 v65, v66
; %bb.60:
	s_or_b64 exec, exec, s[30:31]
	s_nop 0
	v_mov_b32_dpp v66, v65 row_shr:4 row_mask:0xf bank_mask:0xf
	v_mov_b32_dpp v60, v61 row_shr:4 row_mask:0xf bank_mask:0xf
	v_mov_b32_dpp v67, v62 row_shr:4 row_mask:0xf bank_mask:0xf
	v_cmp_lt_u32_e32 vcc, 3, v59
	;; [unrolled: 16-line block ×3, first 2 shown]
	s_and_saveexec_b64 s[30:31], vcc
; %bb.63:
	v_cmp_eq_u32_e32 vcc, 0, v65
	v_cndmask_b32_e32 v60, 0, v60, vcc
	v_add_u32_e32 v59, v66, v65
	v_cndmask_b32_e32 v65, 0, v67, vcc
	v_add_co_u32_e32 v61, vcc, v60, v61
	v_addc_co_u32_e32 v62, vcc, v65, v62, vcc
	v_mov_b32_e32 v65, v59
; %bb.64:
	s_or_b64 exec, exec, s[30:31]
	v_and_b32_e32 v67, 16, v70
	v_mov_b32_dpp v60, v65 row_bcast:15 row_mask:0xf bank_mask:0xf
	v_mov_b32_dpp v59, v61 row_bcast:15 row_mask:0xf bank_mask:0xf
	v_mov_b32_dpp v66, v62 row_bcast:15 row_mask:0xf bank_mask:0xf
	v_cmp_ne_u32_e32 vcc, 0, v67
	s_and_saveexec_b64 s[30:31], vcc
; %bb.65:
	v_cmp_eq_u32_e32 vcc, 0, v65
	v_cndmask_b32_e32 v59, 0, v59, vcc
	v_add_u32_e32 v60, v60, v65
	v_cndmask_b32_e32 v65, 0, v66, vcc
	v_add_co_u32_e32 v61, vcc, v59, v61
	v_addc_co_u32_e32 v62, vcc, v65, v62, vcc
	v_mov_b32_e32 v65, v60
; %bb.66:
	s_or_b64 exec, exec, s[30:31]
	s_nop 0
	v_mov_b32_dpp v60, v65 row_bcast:31 row_mask:0xf bank_mask:0xf
	v_mov_b32_dpp v59, v61 row_bcast:31 row_mask:0xf bank_mask:0xf
	;; [unrolled: 1-line block ×3, first 2 shown]
	v_cmp_lt_u32_e32 vcc, 31, v70
	s_and_saveexec_b64 s[30:31], vcc
; %bb.67:
	v_cmp_eq_u32_e32 vcc, 0, v65
	v_cndmask_b32_e32 v59, 0, v59, vcc
	v_add_u32_e32 v60, v60, v65
	v_cndmask_b32_e32 v65, 0, v66, vcc
	v_add_co_u32_e32 v61, vcc, v59, v61
	v_addc_co_u32_e32 v62, vcc, v65, v62, vcc
	v_mov_b32_e32 v65, v60
; %bb.68:
	s_or_b64 exec, exec, s[30:31]
	v_lshrrev_b32_e32 v59, 6, v0
	v_or_b32_e32 v60, 63, v0
	v_cmp_eq_u32_e32 vcc, v0, v60
	v_lshlrev_b32_e32 v66, 4, v59
	s_and_saveexec_b64 s[30:31], vcc
	s_cbranch_execz .LBB1692_70
; %bb.69:
	ds_write_b32 v66, v65 offset:4128
	ds_write_b64 v66, v[61:62] offset:4136
.LBB1692_70:
	s_or_b64 exec, exec, s[30:31]
	v_cmp_gt_u32_e32 vcc, 4, v0
	s_waitcnt lgkmcnt(0)
	s_barrier
	s_and_saveexec_b64 s[30:31], vcc
	s_cbranch_execz .LBB1692_76
; %bb.71:
	v_lshlrev_b32_e32 v67, 4, v0
	ds_read_b32 v68, v67 offset:4128
	ds_read_b64 v[59:60], v67 offset:4136
	v_and_b32_e32 v69, 3, v70
	v_cmp_ne_u32_e32 vcc, 0, v69
	s_waitcnt lgkmcnt(1)
	v_mov_b32_dpp v72, v68 row_shr:1 row_mask:0xf bank_mask:0xf
	s_waitcnt lgkmcnt(0)
	v_mov_b32_dpp v71, v59 row_shr:1 row_mask:0xf bank_mask:0xf
	v_mov_b32_dpp v73, v60 row_shr:1 row_mask:0xf bank_mask:0xf
	s_and_saveexec_b64 s[36:37], vcc
; %bb.72:
	v_cmp_eq_u32_e32 vcc, 0, v68
	v_cndmask_b32_e32 v71, 0, v71, vcc
	v_add_u32_e32 v72, v72, v68
	v_cndmask_b32_e32 v68, 0, v73, vcc
	v_add_co_u32_e32 v59, vcc, v71, v59
	v_addc_co_u32_e32 v60, vcc, v68, v60, vcc
	v_mov_b32_e32 v68, v72
; %bb.73:
	s_or_b64 exec, exec, s[36:37]
	s_nop 0
	v_mov_b32_dpp v72, v68 row_shr:2 row_mask:0xf bank_mask:0xf
	v_mov_b32_dpp v71, v59 row_shr:2 row_mask:0xf bank_mask:0xf
	;; [unrolled: 1-line block ×3, first 2 shown]
	v_cmp_lt_u32_e32 vcc, 1, v69
	s_and_saveexec_b64 s[36:37], vcc
; %bb.74:
	v_cmp_eq_u32_e32 vcc, 0, v68
	v_cndmask_b32_e32 v71, 0, v71, vcc
	v_add_u32_e32 v69, v72, v68
	v_cndmask_b32_e32 v68, 0, v73, vcc
	v_add_co_u32_e32 v59, vcc, v71, v59
	v_addc_co_u32_e32 v60, vcc, v68, v60, vcc
	v_mov_b32_e32 v68, v69
; %bb.75:
	s_or_b64 exec, exec, s[36:37]
	ds_write_b32 v67, v68 offset:4128
	ds_write_b64 v67, v[59:60] offset:4136
.LBB1692_76:
	s_or_b64 exec, exec, s[30:31]
	v_mov_b32_e32 v59, 0
	v_cmp_gt_u32_e32 vcc, 64, v0
	v_cmp_lt_u32_e64 s[30:31], 63, v0
	v_mov_b32_e32 v60, 0
	v_mov_b32_e32 v73, 0
	s_waitcnt lgkmcnt(0)
	s_barrier
	s_and_saveexec_b64 s[36:37], s[30:31]
	s_cbranch_execz .LBB1692_78
; %bb.77:
	ds_read_b32 v73, v66 offset:4112
	ds_read_b64 v[59:60], v66 offset:4120
	v_cmp_eq_u32_e64 s[30:31], 0, v65
	s_waitcnt lgkmcnt(1)
	v_add_u32_e32 v66, v73, v65
	s_waitcnt lgkmcnt(0)
	v_cndmask_b32_e64 v67, 0, v59, s[30:31]
	v_cndmask_b32_e64 v65, 0, v60, s[30:31]
	v_add_co_u32_e64 v61, s[30:31], v67, v61
	v_addc_co_u32_e64 v62, s[30:31], v65, v62, s[30:31]
	v_mov_b32_e32 v65, v66
.LBB1692_78:
	s_or_b64 exec, exec, s[36:37]
	v_subrev_co_u32_e64 v66, s[30:31], 1, v70
	v_and_b32_e32 v67, 64, v70
	v_cmp_lt_i32_e64 s[36:37], v66, v67
	v_cndmask_b32_e64 v66, v66, v70, s[36:37]
	v_lshlrev_b32_e32 v66, 2, v66
	ds_bpermute_b32 v74, v66, v65
	ds_bpermute_b32 v75, v66, v61
	ds_bpermute_b32 v76, v66, v62
	s_and_saveexec_b64 s[52:53], vcc
	s_cbranch_execz .LBB1692_122
; %bb.79:
	v_mov_b32_e32 v67, 0
	ds_read_b32 v77, v67 offset:4176
	ds_read_b64 v[61:62], v67 offset:4184
	s_and_saveexec_b64 s[36:37], s[30:31]
	s_cbranch_execz .LBB1692_81
; %bb.80:
	s_add_i32 s62, s6, 64
	s_mov_b32 s63, 0
	s_lshl_b64 s[64:65], s[62:63], 4
	s_add_u32 s64, s40, s64
	s_addc_u32 s65, s41, s65
	v_mov_b32_e32 v65, 1
	v_mov_b32_e32 v66, s62
	s_waitcnt lgkmcnt(1)
	global_store_dword v67, v77, s[64:65]
	s_waitcnt lgkmcnt(0)
	global_store_dwordx2 v67, v[61:62], s[64:65] offset:8
	s_waitcnt vmcnt(0)
	buffer_wbinvl1_vol
	global_store_byte v66, v65, s[44:45]
.LBB1692_81:
	s_or_b64 exec, exec, s[36:37]
	v_xad_u32 v65, v70, -1, s6
	v_add_u32_e32 v66, 64, v65
	global_load_ubyte v78, v66, s[44:45] glc
	s_waitcnt vmcnt(0)
	v_cmp_eq_u16_e32 vcc, 0, v78
	s_and_saveexec_b64 s[36:37], vcc
	s_cbranch_execz .LBB1692_85
; %bb.82:
	v_mov_b32_e32 v69, s45
	v_add_co_u32_e32 v68, vcc, s44, v66
	v_addc_co_u32_e32 v69, vcc, 0, v69, vcc
	s_mov_b64 s[62:63], 0
.LBB1692_83:                            ; =>This Inner Loop Header: Depth=1
	global_load_ubyte v78, v[68:69], off glc
	s_waitcnt vmcnt(0)
	v_cmp_ne_u16_e32 vcc, 0, v78
	s_or_b64 s[62:63], vcc, s[62:63]
	s_andn2_b64 exec, exec, s[62:63]
	s_cbranch_execnz .LBB1692_83
; %bb.84:
	s_or_b64 exec, exec, s[62:63]
.LBB1692_85:
	s_or_b64 exec, exec, s[36:37]
	v_mov_b32_e32 v68, s43
	v_mov_b32_e32 v69, s41
	v_cmp_eq_u16_e32 vcc, 1, v78
	v_cndmask_b32_e32 v68, v68, v69, vcc
	v_mov_b32_e32 v69, s42
	v_mov_b32_e32 v71, s40
	v_lshlrev_b64 v[66:67], 4, v[66:67]
	v_cndmask_b32_e32 v69, v69, v71, vcc
	v_add_co_u32_e32 v66, vcc, v69, v66
	v_addc_co_u32_e32 v67, vcc, v68, v67, vcc
	s_waitcnt lgkmcnt(0)
	buffer_wbinvl1_vol
	global_load_dword v93, v[66:67], off
	global_load_dwordx2 v[71:72], v[66:67], off offset:8
	v_and_b32_e32 v79, 63, v70
	v_lshlrev_b64 v[67:68], v70, -1
	v_cmp_ne_u32_e64 s[36:37], 63, v79
	v_cmp_eq_u16_e32 vcc, 2, v78
	v_addc_co_u32_e64 v66, s[36:37], 0, v70, s[36:37]
	v_and_b32_e32 v69, vcc_hi, v68
	v_lshlrev_b32_e32 v80, 2, v66
	v_or_b32_e32 v66, 0x80000000, v69
	v_and_b32_e32 v83, vcc_lo, v67
	v_ffbl_b32_e32 v66, v66
	v_add_u32_e32 v66, 32, v66
	v_ffbl_b32_e32 v83, v83
	v_min_u32_e32 v66, v83, v66
	v_cmp_lt_u32_e32 vcc, v79, v66
	s_waitcnt vmcnt(1)
	ds_bpermute_b32 v81, v80, v93
	s_waitcnt vmcnt(0)
	ds_bpermute_b32 v69, v80, v71
	ds_bpermute_b32 v82, v80, v72
	s_and_saveexec_b64 s[36:37], vcc
	s_cbranch_execz .LBB1692_87
; %bb.86:
	v_cmp_eq_u32_e32 vcc, 0, v93
	s_waitcnt lgkmcnt(1)
	v_cndmask_b32_e32 v69, 0, v69, vcc
	v_add_u32_e32 v81, v81, v93
	s_waitcnt lgkmcnt(0)
	v_cndmask_b32_e32 v82, 0, v82, vcc
	v_add_co_u32_e32 v71, vcc, v69, v71
	v_addc_co_u32_e32 v72, vcc, v82, v72, vcc
	v_mov_b32_e32 v93, v81
.LBB1692_87:
	s_or_b64 exec, exec, s[36:37]
	v_cmp_gt_u32_e32 vcc, 62, v79
	s_waitcnt lgkmcnt(1)
	v_cndmask_b32_e64 v69, 0, 2, vcc
	v_add_lshl_u32 v81, v69, v70, 2
	ds_bpermute_b32 v83, v81, v93
	ds_bpermute_b32 v69, v81, v71
	ds_bpermute_b32 v84, v81, v72
	s_waitcnt lgkmcnt(3)
	v_add_u32_e32 v82, 2, v79
	v_cmp_le_u32_e32 vcc, v82, v66
	s_and_saveexec_b64 s[36:37], vcc
	s_cbranch_execz .LBB1692_89
; %bb.88:
	v_cmp_eq_u32_e32 vcc, 0, v93
	s_waitcnt lgkmcnt(1)
	v_cndmask_b32_e32 v69, 0, v69, vcc
	v_add_u32_e32 v83, v83, v93
	s_waitcnt lgkmcnt(0)
	v_cndmask_b32_e32 v84, 0, v84, vcc
	v_add_co_u32_e32 v71, vcc, v69, v71
	v_addc_co_u32_e32 v72, vcc, v84, v72, vcc
	v_mov_b32_e32 v93, v83
.LBB1692_89:
	s_or_b64 exec, exec, s[36:37]
	v_cmp_gt_u32_e32 vcc, 60, v79
	s_waitcnt lgkmcnt(1)
	v_cndmask_b32_e64 v69, 0, 4, vcc
	v_add_lshl_u32 v83, v69, v70, 2
	ds_bpermute_b32 v85, v83, v93
	ds_bpermute_b32 v69, v83, v71
	ds_bpermute_b32 v86, v83, v72
	s_waitcnt lgkmcnt(3)
	v_add_u32_e32 v84, 4, v79
	v_cmp_le_u32_e32 vcc, v84, v66
	s_and_saveexec_b64 s[36:37], vcc
	s_cbranch_execz .LBB1692_91
; %bb.90:
	v_cmp_eq_u32_e32 vcc, 0, v93
	s_waitcnt lgkmcnt(1)
	v_cndmask_b32_e32 v69, 0, v69, vcc
	v_add_u32_e32 v85, v85, v93
	s_waitcnt lgkmcnt(0)
	v_cndmask_b32_e32 v86, 0, v86, vcc
	v_add_co_u32_e32 v71, vcc, v69, v71
	v_addc_co_u32_e32 v72, vcc, v86, v72, vcc
	v_mov_b32_e32 v93, v85
.LBB1692_91:
	s_or_b64 exec, exec, s[36:37]
	v_cmp_gt_u32_e32 vcc, 56, v79
	s_waitcnt lgkmcnt(1)
	v_cndmask_b32_e64 v69, 0, 8, vcc
	v_add_lshl_u32 v85, v69, v70, 2
	ds_bpermute_b32 v87, v85, v93
	ds_bpermute_b32 v69, v85, v71
	ds_bpermute_b32 v88, v85, v72
	s_waitcnt lgkmcnt(3)
	v_add_u32_e32 v86, 8, v79
	v_cmp_le_u32_e32 vcc, v86, v66
	s_and_saveexec_b64 s[36:37], vcc
	s_cbranch_execz .LBB1692_93
; %bb.92:
	v_cmp_eq_u32_e32 vcc, 0, v93
	s_waitcnt lgkmcnt(1)
	v_cndmask_b32_e32 v69, 0, v69, vcc
	v_add_u32_e32 v87, v87, v93
	s_waitcnt lgkmcnt(0)
	v_cndmask_b32_e32 v88, 0, v88, vcc
	v_add_co_u32_e32 v71, vcc, v69, v71
	v_addc_co_u32_e32 v72, vcc, v88, v72, vcc
	v_mov_b32_e32 v93, v87
.LBB1692_93:
	s_or_b64 exec, exec, s[36:37]
	v_cmp_gt_u32_e32 vcc, 48, v79
	s_waitcnt lgkmcnt(1)
	v_cndmask_b32_e64 v69, 0, 16, vcc
	v_add_lshl_u32 v87, v69, v70, 2
	ds_bpermute_b32 v89, v87, v93
	ds_bpermute_b32 v69, v87, v71
	ds_bpermute_b32 v90, v87, v72
	s_waitcnt lgkmcnt(3)
	v_add_u32_e32 v88, 16, v79
	v_cmp_le_u32_e32 vcc, v88, v66
	s_and_saveexec_b64 s[36:37], vcc
	s_cbranch_execz .LBB1692_95
; %bb.94:
	v_cmp_eq_u32_e32 vcc, 0, v93
	s_waitcnt lgkmcnt(1)
	v_cndmask_b32_e32 v69, 0, v69, vcc
	v_add_u32_e32 v89, v89, v93
	s_waitcnt lgkmcnt(0)
	v_cndmask_b32_e32 v90, 0, v90, vcc
	v_add_co_u32_e32 v71, vcc, v69, v71
	v_addc_co_u32_e32 v72, vcc, v90, v72, vcc
	v_mov_b32_e32 v93, v89
.LBB1692_95:
	s_or_b64 exec, exec, s[36:37]
	s_waitcnt lgkmcnt(1)
	v_mov_b32_e32 v69, 0x80
	s_waitcnt lgkmcnt(0)
	v_lshl_or_b32 v90, v70, 2, v69
	ds_bpermute_b32 v70, v90, v93
	ds_bpermute_b32 v69, v90, v71
	;; [unrolled: 1-line block ×3, first 2 shown]
	v_add_u32_e32 v91, 32, v79
	v_cmp_le_u32_e32 vcc, v91, v66
	s_and_saveexec_b64 s[36:37], vcc
	s_cbranch_execz .LBB1692_97
; %bb.96:
	v_cmp_eq_u32_e32 vcc, 0, v93
	s_waitcnt lgkmcnt(1)
	v_cndmask_b32_e32 v69, 0, v69, vcc
	v_add_u32_e32 v66, v70, v93
	s_waitcnt lgkmcnt(0)
	v_cndmask_b32_e32 v70, 0, v89, vcc
	v_add_co_u32_e32 v71, vcc, v69, v71
	v_addc_co_u32_e32 v72, vcc, v70, v72, vcc
	v_mov_b32_e32 v93, v66
.LBB1692_97:
	s_or_b64 exec, exec, s[36:37]
	v_mov_b32_e32 v66, 0
	v_mov_b32_e32 v92, 2
	s_branch .LBB1692_100
.LBB1692_98:                            ;   in Loop: Header=BB1692_100 Depth=1
	s_or_b64 exec, exec, s[36:37]
	v_cmp_eq_u32_e32 vcc, 0, v89
	v_cndmask_b32_e32 v71, 0, v71, vcc
	v_cndmask_b32_e32 v72, 0, v72, vcc
	v_add_co_u32_e32 v71, vcc, v71, v69
	v_subrev_u32_e32 v65, 64, v65
	v_add_u32_e32 v93, v94, v89
	v_addc_co_u32_e32 v72, vcc, v72, v70, vcc
	s_mov_b64 s[36:37], 0
.LBB1692_99:                            ;   in Loop: Header=BB1692_100 Depth=1
	s_and_b64 vcc, exec, s[36:37]
	s_cbranch_vccnz .LBB1692_118
.LBB1692_100:                           ; =>This Loop Header: Depth=1
                                        ;     Child Loop BB1692_103 Depth 2
	s_waitcnt lgkmcnt(1)
	v_mov_b32_e32 v69, v71
	v_cmp_ne_u16_sdwa s[36:37], v78, v92 src0_sel:BYTE_0 src1_sel:DWORD
	v_mov_b32_e32 v70, v72
	s_waitcnt lgkmcnt(0)
	v_mov_b32_e32 v89, v93
	s_cmp_lg_u64 s[36:37], exec
	s_mov_b64 s[36:37], -1
                                        ; implicit-def: $vgpr71_vgpr72
                                        ; implicit-def: $vgpr93
                                        ; implicit-def: $vgpr78
	s_cbranch_scc1 .LBB1692_99
; %bb.101:                              ;   in Loop: Header=BB1692_100 Depth=1
	global_load_ubyte v78, v65, s[44:45] glc
	s_waitcnt vmcnt(0)
	v_cmp_eq_u16_e32 vcc, 0, v78
	s_and_saveexec_b64 s[36:37], vcc
	s_cbranch_execz .LBB1692_105
; %bb.102:                              ;   in Loop: Header=BB1692_100 Depth=1
	v_mov_b32_e32 v72, s45
	v_add_co_u32_e32 v71, vcc, s44, v65
	v_addc_co_u32_e32 v72, vcc, 0, v72, vcc
	s_mov_b64 s[62:63], 0
.LBB1692_103:                           ;   Parent Loop BB1692_100 Depth=1
                                        ; =>  This Inner Loop Header: Depth=2
	global_load_ubyte v78, v[71:72], off glc
	s_waitcnt vmcnt(0)
	v_cmp_ne_u16_e32 vcc, 0, v78
	s_or_b64 s[62:63], vcc, s[62:63]
	s_andn2_b64 exec, exec, s[62:63]
	s_cbranch_execnz .LBB1692_103
; %bb.104:                              ;   in Loop: Header=BB1692_100 Depth=1
	s_or_b64 exec, exec, s[62:63]
.LBB1692_105:                           ;   in Loop: Header=BB1692_100 Depth=1
	s_or_b64 exec, exec, s[36:37]
	v_mov_b32_e32 v71, s43
	v_mov_b32_e32 v72, s41
	v_cmp_eq_u16_e32 vcc, 1, v78
	v_cndmask_b32_e32 v93, v71, v72, vcc
	v_mov_b32_e32 v71, s42
	v_mov_b32_e32 v72, s40
	v_cndmask_b32_e32 v94, v71, v72, vcc
	v_lshlrev_b64 v[71:72], 4, v[65:66]
	buffer_wbinvl1_vol
	v_add_co_u32_e32 v71, vcc, v94, v71
	v_addc_co_u32_e32 v72, vcc, v93, v72, vcc
	global_load_dword v94, v[71:72], off
	s_nop 0
	global_load_dwordx2 v[71:72], v[71:72], off offset:8
	v_cmp_eq_u16_e32 vcc, 2, v78
	v_and_b32_e32 v93, vcc_hi, v68
	v_or_b32_e32 v93, 0x80000000, v93
	v_and_b32_e32 v115, vcc_lo, v67
	v_ffbl_b32_e32 v93, v93
	v_add_u32_e32 v93, 32, v93
	v_ffbl_b32_e32 v115, v115
	v_min_u32_e32 v93, v115, v93
	v_cmp_lt_u32_e32 vcc, v79, v93
	s_waitcnt vmcnt(1)
	ds_bpermute_b32 v96, v80, v94
	s_waitcnt vmcnt(0)
	ds_bpermute_b32 v95, v80, v71
	ds_bpermute_b32 v114, v80, v72
	s_and_saveexec_b64 s[36:37], vcc
	s_cbranch_execz .LBB1692_107
; %bb.106:                              ;   in Loop: Header=BB1692_100 Depth=1
	v_cmp_eq_u32_e32 vcc, 0, v94
	s_waitcnt lgkmcnt(1)
	v_cndmask_b32_e32 v95, 0, v95, vcc
	v_add_u32_e32 v96, v96, v94
	s_waitcnt lgkmcnt(0)
	v_cndmask_b32_e32 v94, 0, v114, vcc
	v_add_co_u32_e32 v71, vcc, v95, v71
	v_addc_co_u32_e32 v72, vcc, v94, v72, vcc
	v_mov_b32_e32 v94, v96
.LBB1692_107:                           ;   in Loop: Header=BB1692_100 Depth=1
	s_or_b64 exec, exec, s[36:37]
	s_waitcnt lgkmcnt(2)
	ds_bpermute_b32 v96, v81, v94
	s_waitcnt lgkmcnt(2)
	ds_bpermute_b32 v95, v81, v71
	s_waitcnt lgkmcnt(2)
	ds_bpermute_b32 v114, v81, v72
	v_cmp_le_u32_e32 vcc, v82, v93
	s_and_saveexec_b64 s[36:37], vcc
	s_cbranch_execz .LBB1692_109
; %bb.108:                              ;   in Loop: Header=BB1692_100 Depth=1
	v_cmp_eq_u32_e32 vcc, 0, v94
	s_waitcnt lgkmcnt(1)
	v_cndmask_b32_e32 v95, 0, v95, vcc
	v_add_u32_e32 v96, v96, v94
	s_waitcnt lgkmcnt(0)
	v_cndmask_b32_e32 v94, 0, v114, vcc
	v_add_co_u32_e32 v71, vcc, v95, v71
	v_addc_co_u32_e32 v72, vcc, v94, v72, vcc
	v_mov_b32_e32 v94, v96
.LBB1692_109:                           ;   in Loop: Header=BB1692_100 Depth=1
	s_or_b64 exec, exec, s[36:37]
	s_waitcnt lgkmcnt(2)
	ds_bpermute_b32 v96, v83, v94
	s_waitcnt lgkmcnt(2)
	ds_bpermute_b32 v95, v83, v71
	s_waitcnt lgkmcnt(2)
	ds_bpermute_b32 v114, v83, v72
	v_cmp_le_u32_e32 vcc, v84, v93
	;; [unrolled: 21-line block ×5, first 2 shown]
	s_and_saveexec_b64 s[36:37], vcc
	s_cbranch_execz .LBB1692_98
; %bb.116:                              ;   in Loop: Header=BB1692_100 Depth=1
	v_cmp_eq_u32_e32 vcc, 0, v94
	s_waitcnt lgkmcnt(1)
	v_cndmask_b32_e32 v95, 0, v95, vcc
	v_add_u32_e32 v93, v96, v94
	s_waitcnt lgkmcnt(0)
	v_cndmask_b32_e32 v94, 0, v114, vcc
	v_add_co_u32_e32 v71, vcc, v95, v71
	v_addc_co_u32_e32 v72, vcc, v94, v72, vcc
	v_mov_b32_e32 v94, v93
	s_branch .LBB1692_98
.LBB1692_117:
                                        ; implicit-def: $vgpr59
                                        ; implicit-def: $vgpr61_vgpr62
                                        ; implicit-def: $vgpr65
                                        ; implicit-def: $vgpr91_vgpr92
                                        ; implicit-def: $vgpr67_vgpr68
                                        ; implicit-def: $vgpr69_vgpr70
                                        ; implicit-def: $vgpr71_vgpr72
                                        ; implicit-def: $vgpr73_vgpr74
                                        ; implicit-def: $vgpr75_vgpr76
                                        ; implicit-def: $vgpr77_vgpr78
                                        ; implicit-def: $vgpr79_vgpr80
                                        ; implicit-def: $vgpr81_vgpr82
                                        ; implicit-def: $vgpr83_vgpr84
                                        ; implicit-def: $vgpr85_vgpr86
                                        ; implicit-def: $vgpr87_vgpr88
                                        ; implicit-def: $vgpr89_vgpr90
                                        ; implicit-def: $vgpr93_vgpr94
                                        ; implicit-def: $vgpr95_vgpr96
                                        ; implicit-def: $vgpr60
	s_cbranch_execnz .LBB1692_123
	s_branch .LBB1692_150
.LBB1692_118:
	s_and_saveexec_b64 s[36:37], s[30:31]
	s_cbranch_execz .LBB1692_120
; %bb.119:
	s_mov_b32 s7, 0
	v_cmp_eq_u32_e32 vcc, 0, v77
	s_add_i32 s6, s6, 64
	v_cndmask_b32_e32 v65, 0, v69, vcc
	s_lshl_b64 s[40:41], s[6:7], 4
	v_cndmask_b32_e32 v66, 0, v70, vcc
	v_add_co_u32_e32 v65, vcc, v65, v61
	s_add_u32 s40, s42, s40
	v_add_u32_e32 v67, v89, v77
	v_addc_co_u32_e32 v66, vcc, v66, v62, vcc
	s_addc_u32 s41, s43, s41
	v_mov_b32_e32 v68, 0
	global_store_dword v68, v67, s[40:41]
	global_store_dwordx2 v68, v[65:66], s[40:41] offset:8
	v_mov_b32_e32 v65, 2
	v_mov_b32_e32 v66, s6
	s_waitcnt vmcnt(0) lgkmcnt(0)
	buffer_wbinvl1_vol
	global_store_byte v66, v65, s[44:45]
	ds_write_b32 v68, v77 offset:4096
	ds_write_b64 v68, v[61:62] offset:4104
	ds_write_b32 v68, v89 offset:4112
	ds_write_b64 v68, v[69:70] offset:4120
.LBB1692_120:
	s_or_b64 exec, exec, s[36:37]
	v_cmp_eq_u32_e32 vcc, 0, v0
	s_and_b64 exec, exec, vcc
	s_cbranch_execz .LBB1692_122
; %bb.121:
	v_mov_b32_e32 v61, 0
	ds_write_b32 v61, v89 offset:4176
	ds_write_b64 v61, v[69:70] offset:4184
.LBB1692_122:
	s_or_b64 exec, exec, s[52:53]
	v_mov_b32_e32 v66, 0
	s_waitcnt vmcnt(0) lgkmcnt(0)
	s_barrier
	ds_read_b32 v65, v66 offset:4176
	ds_read_b64 v[61:62], v66 offset:4184
	v_cndmask_b32_e64 v67, v74, v73, s[30:31]
	v_cmp_eq_u32_e32 vcc, 0, v67
	v_cndmask_b32_e64 v59, v75, v59, s[30:31]
	v_cndmask_b32_e64 v60, v76, v60, s[30:31]
	s_waitcnt lgkmcnt(0)
	v_cndmask_b32_e32 v69, 0, v61, vcc
	v_cndmask_b32_e32 v68, 0, v62, vcc
	v_add_co_u32_e32 v59, vcc, v69, v59
	v_addc_co_u32_e32 v68, vcc, v68, v60, vcc
	v_cmp_eq_u32_e32 vcc, 0, v0
	v_cndmask_b32_e64 v60, v67, 0, vcc
	v_cndmask_b32_e32 v92, v68, v62, vcc
	v_cndmask_b32_e32 v91, v59, v61, vcc
	v_cmp_eq_u32_e32 vcc, 0, v97
	v_cndmask_b32_e32 v61, 0, v91, vcc
	v_cndmask_b32_e32 v59, 0, v92, vcc
	v_add_co_u32_e32 v67, vcc, v61, v53
	v_addc_co_u32_e32 v68, vcc, v59, v54, vcc
	v_cndmask_b32_e64 v61, 0, v67, s[28:29]
	v_cndmask_b32_e64 v59, 0, v68, s[28:29]
	v_add_co_u32_e32 v69, vcc, v61, v55
	v_addc_co_u32_e32 v70, vcc, v59, v56, vcc
	v_cndmask_b32_e64 v61, 0, v69, s[26:27]
	v_cndmask_b32_e64 v59, 0, v70, s[26:27]
	;; [unrolled: 4-line block ×11, first 2 shown]
	v_add_co_u32_e32 v89, vcc, v61, v35
	v_add_u32_e32 v60, v65, v60
	v_addc_co_u32_e32 v90, vcc, v59, v36, vcc
	s_barrier
	ds_read_b32 v59, v66 offset:4096
	ds_read_b64 v[61:62], v66 offset:4104
	ds_read_b32 v65, v66 offset:4112
	ds_read_b64 v[114:115], v66 offset:4120
	v_cndmask_b32_e64 v93, 0, v89, s[34:35]
	v_cndmask_b32_e64 v94, 0, v90, s[34:35]
	v_add_co_u32_e32 v93, vcc, v93, v1
	v_addc_co_u32_e32 v94, vcc, v94, v2, vcc
	s_waitcnt lgkmcnt(3)
	v_cmp_eq_u32_e32 vcc, 0, v59
	s_waitcnt lgkmcnt(0)
	v_cndmask_b32_e32 v114, 0, v114, vcc
	v_cndmask_b32_e32 v66, 0, v115, vcc
	v_add_co_u32_e32 v61, vcc, v114, v61
	v_cndmask_b32_e64 v96, 0, v94, s[4:5]
	v_cndmask_b32_e64 v95, 0, v93, s[4:5]
	v_addc_co_u32_e32 v62, vcc, v66, v62, vcc
	s_branch .LBB1692_150
.LBB1692_123:
	s_cmp_eq_u64 s[60:61], 0
	s_cselect_b64 s[4:5], -1, 0
	s_or_b64 s[4:5], s[46:47], s[4:5]
	v_mov_b32_e32 v66, v54
	s_and_b64 vcc, exec, s[4:5]
	v_mov_b32_e32 v65, v53
	s_cbranch_vccnz .LBB1692_125
; %bb.124:
	v_mov_b32_e32 v59, 0
	global_load_dwordx2 v[65:66], v59, s[60:61]
.LBB1692_125:
	v_cmp_eq_u32_e64 s[26:27], 0, v110
	v_cndmask_b32_e64 v60, 0, v53, s[26:27]
	v_cndmask_b32_e64 v59, 0, v54, s[26:27]
	v_add_co_u32_e32 v60, vcc, v60, v55
	v_cmp_eq_u32_e64 s[24:25], 0, v109
	v_addc_co_u32_e32 v59, vcc, v59, v56, vcc
	v_cndmask_b32_e64 v60, 0, v60, s[24:25]
	v_cndmask_b32_e64 v59, 0, v59, s[24:25]
	v_add_co_u32_e32 v60, vcc, v60, v49
	v_cmp_eq_u32_e64 s[22:23], 0, v108
	v_addc_co_u32_e32 v59, vcc, v59, v50, vcc
	;; [unrolled: 5-line block ×11, first 2 shown]
	v_cndmask_b32_e64 v60, 0, v60, s[6:7]
	v_cndmask_b32_e64 v59, 0, v59, s[6:7]
	v_add_co_u32_e32 v60, vcc, v60, v1
	v_addc_co_u32_e32 v59, vcc, v59, v2, vcc
	v_cmp_eq_u32_e32 vcc, 0, v107
	v_add3_u32 v61, v113, v99, v100
	v_cndmask_b32_e32 v60, 0, v60, vcc
	v_add3_u32 v61, v61, v101, v102
	v_cndmask_b32_e32 v59, 0, v59, vcc
	v_add_co_u32_e64 v60, s[28:29], v60, v3
	v_add3_u32 v61, v61, v103, v104
	v_addc_co_u32_e64 v59, s[28:29], v59, v4, s[28:29]
	v_add3_u32 v61, v61, v105, v106
	v_cmp_eq_u32_e64 s[28:29], 0, v111
	v_add3_u32 v67, v61, v107, v111
	v_cndmask_b32_e64 v61, 0, v59, s[28:29]
	v_cndmask_b32_e64 v59, 0, v60, s[28:29]
	v_add_co_u32_e64 v59, s[28:29], v59, v63
	v_mbcnt_hi_u32_b32 v63, -1, v112
	v_addc_co_u32_e64 v60, s[28:29], v61, v64, s[28:29]
	v_and_b32_e32 v61, 15, v63
	v_mov_b32_dpp v64, v67 row_shr:1 row_mask:0xf bank_mask:0xf
	v_mov_b32_dpp v62, v59 row_shr:1 row_mask:0xf bank_mask:0xf
	;; [unrolled: 1-line block ×3, first 2 shown]
	v_cmp_ne_u32_e64 s[28:29], 0, v61
	s_and_saveexec_b64 s[30:31], s[28:29]
; %bb.126:
	v_cmp_eq_u32_e64 s[28:29], 0, v67
	v_cndmask_b32_e64 v62, 0, v62, s[28:29]
	v_add_u32_e32 v64, v64, v67
	v_cndmask_b32_e64 v67, 0, v68, s[28:29]
	v_add_co_u32_e64 v59, s[28:29], v62, v59
	v_addc_co_u32_e64 v60, s[28:29], v67, v60, s[28:29]
	v_mov_b32_e32 v67, v64
; %bb.127:
	s_or_b64 exec, exec, s[30:31]
	s_nop 0
	v_mov_b32_dpp v64, v67 row_shr:2 row_mask:0xf bank_mask:0xf
	v_mov_b32_dpp v62, v59 row_shr:2 row_mask:0xf bank_mask:0xf
	v_mov_b32_dpp v68, v60 row_shr:2 row_mask:0xf bank_mask:0xf
	v_cmp_lt_u32_e64 s[28:29], 1, v61
	s_and_saveexec_b64 s[30:31], s[28:29]
; %bb.128:
	v_cmp_eq_u32_e64 s[28:29], 0, v67
	v_cndmask_b32_e64 v62, 0, v62, s[28:29]
	v_add_u32_e32 v64, v64, v67
	v_cndmask_b32_e64 v67, 0, v68, s[28:29]
	v_add_co_u32_e64 v59, s[28:29], v62, v59
	v_addc_co_u32_e64 v60, s[28:29], v67, v60, s[28:29]
	v_mov_b32_e32 v67, v64
; %bb.129:
	s_or_b64 exec, exec, s[30:31]
	s_nop 0
	v_mov_b32_dpp v64, v67 row_shr:4 row_mask:0xf bank_mask:0xf
	v_mov_b32_dpp v62, v59 row_shr:4 row_mask:0xf bank_mask:0xf
	v_mov_b32_dpp v68, v60 row_shr:4 row_mask:0xf bank_mask:0xf
	v_cmp_lt_u32_e64 s[28:29], 3, v61
	;; [unrolled: 16-line block ×3, first 2 shown]
	s_and_saveexec_b64 s[30:31], s[28:29]
; %bb.132:
	v_cmp_eq_u32_e64 s[28:29], 0, v67
	v_cndmask_b32_e64 v62, 0, v62, s[28:29]
	v_add_u32_e32 v61, v64, v67
	v_cndmask_b32_e64 v64, 0, v68, s[28:29]
	v_add_co_u32_e64 v59, s[28:29], v62, v59
	v_addc_co_u32_e64 v60, s[28:29], v64, v60, s[28:29]
	v_mov_b32_e32 v67, v61
; %bb.133:
	s_or_b64 exec, exec, s[30:31]
	v_and_b32_e32 v68, 16, v63
	v_mov_b32_dpp v62, v67 row_bcast:15 row_mask:0xf bank_mask:0xf
	v_mov_b32_dpp v61, v59 row_bcast:15 row_mask:0xf bank_mask:0xf
	;; [unrolled: 1-line block ×3, first 2 shown]
	v_cmp_ne_u32_e64 s[28:29], 0, v68
	s_and_saveexec_b64 s[30:31], s[28:29]
; %bb.134:
	v_cmp_eq_u32_e64 s[28:29], 0, v67
	v_cndmask_b32_e64 v61, 0, v61, s[28:29]
	v_add_u32_e32 v62, v62, v67
	v_cndmask_b32_e64 v64, 0, v64, s[28:29]
	v_add_co_u32_e64 v59, s[28:29], v61, v59
	v_addc_co_u32_e64 v60, s[28:29], v64, v60, s[28:29]
	v_mov_b32_e32 v67, v62
; %bb.135:
	s_or_b64 exec, exec, s[30:31]
	s_nop 0
	v_mov_b32_dpp v62, v67 row_bcast:31 row_mask:0xf bank_mask:0xf
	v_mov_b32_dpp v61, v59 row_bcast:31 row_mask:0xf bank_mask:0xf
	;; [unrolled: 1-line block ×3, first 2 shown]
	v_cmp_lt_u32_e64 s[28:29], 31, v63
	s_and_saveexec_b64 s[30:31], s[28:29]
; %bb.136:
	v_cmp_eq_u32_e64 s[28:29], 0, v67
	v_cndmask_b32_e64 v61, 0, v61, s[28:29]
	v_add_u32_e32 v62, v62, v67
	v_cndmask_b32_e64 v64, 0, v64, s[28:29]
	v_add_co_u32_e64 v59, s[28:29], v61, v59
	v_addc_co_u32_e64 v60, s[28:29], v64, v60, s[28:29]
	v_mov_b32_e32 v67, v62
; %bb.137:
	s_or_b64 exec, exec, s[30:31]
	v_lshrrev_b32_e32 v61, 6, v0
	v_or_b32_e32 v62, 63, v0
	v_cmp_eq_u32_e64 s[28:29], v0, v62
	v_lshlrev_b32_e32 v68, 4, v61
	s_and_saveexec_b64 s[30:31], s[28:29]
	s_cbranch_execz .LBB1692_139
; %bb.138:
	ds_write_b32 v68, v67 offset:4128
	ds_write_b64 v68, v[59:60] offset:4136
.LBB1692_139:
	s_or_b64 exec, exec, s[30:31]
	v_cmp_gt_u32_e64 s[28:29], 4, v0
	s_waitcnt vmcnt(0) lgkmcnt(0)
	s_barrier
	s_and_saveexec_b64 s[30:31], s[28:29]
	s_cbranch_execz .LBB1692_145
; %bb.140:
	v_lshlrev_b32_e32 v64, 4, v0
	ds_read_b32 v69, v64 offset:4128
	ds_read_b64 v[61:62], v64 offset:4136
	v_and_b32_e32 v70, 3, v63
	v_cmp_ne_u32_e64 s[28:29], 0, v70
	s_waitcnt lgkmcnt(1)
	v_mov_b32_dpp v72, v69 row_shr:1 row_mask:0xf bank_mask:0xf
	s_waitcnt lgkmcnt(0)
	v_mov_b32_dpp v71, v61 row_shr:1 row_mask:0xf bank_mask:0xf
	v_mov_b32_dpp v73, v62 row_shr:1 row_mask:0xf bank_mask:0xf
	s_and_saveexec_b64 s[34:35], s[28:29]
; %bb.141:
	v_cmp_eq_u32_e64 s[28:29], 0, v69
	v_cndmask_b32_e64 v71, 0, v71, s[28:29]
	v_add_u32_e32 v72, v72, v69
	v_cndmask_b32_e64 v69, 0, v73, s[28:29]
	v_add_co_u32_e64 v61, s[28:29], v71, v61
	v_addc_co_u32_e64 v62, s[28:29], v69, v62, s[28:29]
	v_mov_b32_e32 v69, v72
; %bb.142:
	s_or_b64 exec, exec, s[34:35]
	s_nop 0
	v_mov_b32_dpp v72, v69 row_shr:2 row_mask:0xf bank_mask:0xf
	v_mov_b32_dpp v71, v61 row_shr:2 row_mask:0xf bank_mask:0xf
	;; [unrolled: 1-line block ×3, first 2 shown]
	v_cmp_lt_u32_e64 s[28:29], 1, v70
	s_and_saveexec_b64 s[34:35], s[28:29]
; %bb.143:
	v_cmp_eq_u32_e64 s[28:29], 0, v69
	v_cndmask_b32_e64 v71, 0, v71, s[28:29]
	v_add_u32_e32 v70, v72, v69
	v_cndmask_b32_e64 v69, 0, v73, s[28:29]
	v_add_co_u32_e64 v61, s[28:29], v71, v61
	v_addc_co_u32_e64 v62, s[28:29], v69, v62, s[28:29]
	v_mov_b32_e32 v69, v70
; %bb.144:
	s_or_b64 exec, exec, s[34:35]
	ds_write_b32 v64, v69 offset:4128
	ds_write_b64 v64, v[61:62] offset:4136
.LBB1692_145:
	s_or_b64 exec, exec, s[30:31]
	v_mov_b32_e32 v61, v65
	v_cmp_lt_u32_e64 s[28:29], 63, v0
	v_mov_b32_e32 v64, 0
	v_mov_b32_e32 v69, 0
	;; [unrolled: 1-line block ×3, first 2 shown]
	s_waitcnt lgkmcnt(0)
	s_barrier
	s_and_saveexec_b64 s[30:31], s[28:29]
	s_cbranch_execz .LBB1692_147
; %bb.146:
	ds_read_b32 v69, v68 offset:4112
	ds_read_b64 v[61:62], v68 offset:4120
	s_waitcnt lgkmcnt(1)
	v_cmp_eq_u32_e64 s[28:29], 0, v69
	v_cndmask_b32_e64 v70, 0, v65, s[28:29]
	v_cndmask_b32_e64 v68, 0, v66, s[28:29]
	s_waitcnt lgkmcnt(0)
	v_add_co_u32_e64 v61, s[28:29], v70, v61
	v_addc_co_u32_e64 v62, s[28:29], v68, v62, s[28:29]
.LBB1692_147:
	s_or_b64 exec, exec, s[30:31]
	v_cmp_eq_u32_e64 s[28:29], 0, v67
	v_cndmask_b32_e64 v70, 0, v61, s[28:29]
	v_add_u32_e32 v68, v69, v67
	v_cndmask_b32_e64 v67, 0, v62, s[28:29]
	v_add_co_u32_e64 v59, s[28:29], v70, v59
	v_addc_co_u32_e64 v60, s[28:29], v67, v60, s[28:29]
	v_subrev_co_u32_e64 v67, s[28:29], 1, v63
	v_and_b32_e32 v70, 64, v63
	v_cmp_lt_i32_e64 s[30:31], v67, v70
	v_cndmask_b32_e64 v63, v67, v63, s[30:31]
	v_lshlrev_b32_e32 v63, 2, v63
	ds_bpermute_b32 v67, v63, v68
	ds_bpermute_b32 v68, v63, v60
	;; [unrolled: 1-line block ×3, first 2 shown]
	v_cmp_eq_u32_e64 s[30:31], 0, v97
	s_waitcnt lgkmcnt(2)
	v_cndmask_b32_e64 v60, v67, v69, s[28:29]
	s_waitcnt lgkmcnt(1)
	v_cndmask_b32_e64 v92, v68, v62, s[28:29]
	;; [unrolled: 2-line block ×3, first 2 shown]
	v_cmp_eq_u32_e64 s[28:29], 0, v0
	v_cndmask_b32_e64 v59, v91, v65, s[28:29]
	v_cndmask_b32_e64 v61, v92, v66, s[28:29]
	;; [unrolled: 1-line block ×4, first 2 shown]
	v_add_co_u32_e64 v67, s[30:31], v59, v53
	v_addc_co_u32_e64 v68, s[30:31], v61, v54, s[30:31]
	v_cndmask_b32_e64 v54, 0, v67, s[26:27]
	v_cndmask_b32_e64 v53, 0, v68, s[26:27]
	v_add_co_u32_e64 v69, s[26:27], v54, v55
	v_addc_co_u32_e64 v70, s[26:27], v53, v56, s[26:27]
	v_cndmask_b32_e64 v54, 0, v69, s[24:25]
	v_cndmask_b32_e64 v53, 0, v70, s[24:25]
	;; [unrolled: 4-line block ×11, first 2 shown]
	v_add_co_u32_e64 v89, s[4:5], v34, v35
	v_addc_co_u32_e64 v90, s[4:5], v33, v36, s[4:5]
	v_cndmask_b32_e64 v34, 0, v89, s[6:7]
	ds_read_b32 v59, v64 offset:4176
	v_cndmask_b32_e64 v33, 0, v90, s[6:7]
	v_add_co_u32_e64 v93, s[4:5], v34, v1
	v_addc_co_u32_e64 v94, s[4:5], v33, v2, s[4:5]
	ds_read_b64 v[1:2], v64 offset:4184
	v_cndmask_b32_e32 v96, 0, v94, vcc
	v_cndmask_b32_e32 v95, 0, v93, vcc
	s_waitcnt lgkmcnt(1)
	v_cmp_eq_u32_e32 vcc, 0, v59
	v_cndmask_b32_e32 v34, 0, v65, vcc
	v_cndmask_b32_e32 v33, 0, v66, vcc
	s_waitcnt lgkmcnt(0)
	v_add_co_u32_e32 v61, vcc, v34, v1
	v_addc_co_u32_e32 v62, vcc, v33, v2, vcc
	s_and_saveexec_b64 s[4:5], s[28:29]
	s_cbranch_execz .LBB1692_149
; %bb.148:
	v_mov_b32_e32 v92, v66
	v_mov_b32_e32 v60, 0
	;; [unrolled: 1-line block ×4, first 2 shown]
	global_store_dword v60, v59, s[42:43] offset:1024
	global_store_dwordx2 v60, v[61:62], s[42:43] offset:1032
	s_waitcnt vmcnt(0)
	buffer_wbinvl1_vol
	global_store_byte v60, v1, s[44:45] offset:64
.LBB1692_149:
	s_or_b64 exec, exec, s[4:5]
	v_mov_b32_e32 v65, 0
.LBB1692_150:
	s_cmp_eq_u64 s[54:55], 0
	s_cselect_b64 s[4:5], -1, 0
	s_or_b64 s[4:5], s[46:47], s[4:5]
	v_mov_b32_e32 v1, 0
	s_and_b64 vcc, exec, s[4:5]
	v_mov_b32_e32 v2, 0
	s_waitcnt vmcnt(0)
	s_barrier
	s_cbranch_vccnz .LBB1692_152
; %bb.151:
	v_mov_b32_e32 v1, 0
	global_load_dwordx2 v[1:2], v1, s[54:55]
.LBB1692_152:
	s_nop 0
	buffer_load_dword v53, off, s[0:3], 0
	buffer_load_dword v54, off, s[0:3], 0 offset:4
	buffer_load_dword v55, off, s[0:3], 0 offset:8
	;; [unrolled: 1-line block ×13, first 2 shown]
	v_add_u32_e32 v50, v60, v97
	buffer_load_dword v97, off, s[0:3], 0 offset:56
	s_waitcnt vmcnt(15)
	v_lshlrev_b64 v[35:36], 3, v[1:2]
	v_mov_b32_e32 v66, 0
	v_mov_b32_e32 v37, s57
	v_lshlrev_b64 v[33:34], 3, v[65:66]
	v_add_co_u32_e32 v38, vcc, s56, v35
	v_addc_co_u32_e32 v37, vcc, v37, v36, vcc
	v_add_co_u32_e32 v51, vcc, v38, v33
	v_addc_co_u32_e32 v52, vcc, v37, v34, vcc
	v_add_u32_e32 v49, v50, v110
	v_add_u32_e32 v48, v49, v109
	;; [unrolled: 1-line block ×11, first 2 shown]
	s_movk_i32 s36, 0x100
	v_add_u32_e32 v38, v39, v106
	v_add_u32_e32 v37, v38, v107
	s_mov_b64 s[40:41], -1
	s_waitcnt vmcnt(14)
	v_cmp_eq_u32_e32 vcc, 0, v53
	v_cmp_ne_u32_e64 s[34:35], 0, v53
	v_cndmask_b32_e64 v53, 1, 2, vcc
	s_waitcnt vmcnt(13)
	v_cmp_eq_u32_e32 vcc, 0, v54
	v_cmp_ne_u32_e64 s[30:31], 0, v54
	v_cndmask_b32_e64 v54, 1, 2, vcc
	;; [unrolled: 4-line block ×3, first 2 shown]
	s_waitcnt vmcnt(11)
	v_cmp_eq_u32_e32 vcc, 0, v56
	v_and_b32_e32 v53, v54, v53
	v_cmp_ne_u32_e64 s[26:27], 0, v56
	v_cndmask_b32_e64 v56, 1, 2, vcc
	s_waitcnt vmcnt(10)
	v_cmp_eq_u32_e32 vcc, 0, v63
	v_and_b32_e32 v53, v53, v55
	v_cmp_ne_u32_e64 s[24:25], 0, v63
	v_cndmask_b32_e64 v63, 1, 2, vcc
	;; [unrolled: 5-line block ×3, first 2 shown]
	s_waitcnt vmcnt(8)
	v_cmp_eq_u32_e32 vcc, 0, v111
	v_and_b32_e32 v53, v53, v63
	v_cndmask_b32_e64 v66, 1, 2, vcc
	s_waitcnt vmcnt(7)
	v_cmp_eq_u32_e32 vcc, 0, v112
	v_and_b32_e32 v53, v53, v64
	v_cndmask_b32_e64 v98, 1, 2, vcc
	;; [unrolled: 4-line block ×7, first 2 shown]
	v_and_b32_e32 v53, v53, v102
	s_waitcnt vmcnt(1)
	v_cmp_eq_u32_e32 vcc, 0, v118
	v_and_b32_e32 v53, v53, v103
	v_cndmask_b32_e64 v54, 1, 2, vcc
	s_waitcnt vmcnt(0)
	v_cmp_eq_u32_e32 vcc, 0, v97
	v_and_b32_e32 v53, v53, v54
	v_cndmask_b32_e64 v54, 1, 2, vcc
	v_and_b32_e32 v53, v53, v54
	v_cmp_gt_u32_e32 vcc, s36, v59
	v_cmp_ne_u32_e64 s[20:21], 0, v111
	v_cmp_ne_u32_e64 s[18:19], 0, v112
	;; [unrolled: 1-line block ×9, first 2 shown]
	v_cmp_gt_i16_e64 s[36:37], 2, v53
	s_cbranch_vccz .LBB1692_159
; %bb.153:
	s_and_saveexec_b64 s[40:41], s[36:37]
	s_cbranch_execz .LBB1692_158
; %bb.154:
	v_cmp_ne_u16_e32 vcc, 1, v53
	s_mov_b64 s[42:43], 0
	s_and_saveexec_b64 s[36:37], vcc
	s_xor_b64 s[36:37], exec, s[36:37]
	s_cbranch_execnz .LBB1692_194
; %bb.155:
	s_andn2_saveexec_b64 s[36:37], s[36:37]
	s_cbranch_execnz .LBB1692_210
.LBB1692_156:
	s_or_b64 exec, exec, s[36:37]
	s_and_b64 exec, exec, s[42:43]
	s_cbranch_execz .LBB1692_158
.LBB1692_157:
	v_sub_u32_e32 v54, v37, v65
	v_mov_b32_e32 v55, 0
	v_lshlrev_b64 v[54:55], 3, v[54:55]
	v_add_co_u32_e32 v54, vcc, v51, v54
	v_addc_co_u32_e32 v55, vcc, v52, v55, vcc
	global_store_dwordx2 v[54:55], v[57:58], off
.LBB1692_158:
	s_or_b64 exec, exec, s[40:41]
	s_mov_b64 s[40:41], 0
.LBB1692_159:
	s_and_b64 vcc, exec, s[40:41]
	s_cbranch_vccz .LBB1692_169
; %bb.160:
	v_cmp_gt_i16_e32 vcc, 2, v53
	s_and_saveexec_b64 s[36:37], vcc
	s_cbranch_execz .LBB1692_165
; %bb.161:
	v_cmp_ne_u16_e32 vcc, 1, v53
	s_mov_b64 s[42:43], 0
	s_and_saveexec_b64 s[40:41], vcc
	s_xor_b64 s[40:41], exec, s[40:41]
	s_cbranch_execnz .LBB1692_211
; %bb.162:
	s_andn2_saveexec_b64 s[4:5], s[40:41]
	s_cbranch_execnz .LBB1692_227
.LBB1692_163:
	s_or_b64 exec, exec, s[4:5]
	s_and_b64 exec, exec, s[42:43]
.LBB1692_164:
	v_sub_u32_e32 v5, v37, v65
	v_lshlrev_b32_e32 v5, 3, v5
	ds_write_b64 v5, v[57:58]
.LBB1692_165:
	s_or_b64 exec, exec, s[36:37]
	v_cmp_lt_u32_e32 vcc, v0, v59
	s_waitcnt vmcnt(0) lgkmcnt(0)
	s_barrier
	s_and_saveexec_b64 s[6:7], vcc
	s_cbranch_execz .LBB1692_168
; %bb.166:
	v_lshlrev_b32_e32 v7, 3, v0
	s_mov_b64 s[8:9], 0
	v_mov_b32_e32 v6, 0
	v_mov_b32_e32 v5, v0
.LBB1692_167:                           ; =>This Inner Loop Header: Depth=1
	ds_read_b64 v[10:11], v7
	v_lshlrev_b64 v[8:9], 3, v[5:6]
	v_add_u32_e32 v5, 0x100, v5
	v_cmp_ge_u32_e32 vcc, v5, v59
	v_add_co_u32_e64 v8, s[4:5], v51, v8
	v_add_u32_e32 v7, 0x800, v7
	v_addc_co_u32_e64 v9, s[4:5], v52, v9, s[4:5]
	s_or_b64 s[8:9], vcc, s[8:9]
	s_waitcnt lgkmcnt(0)
	global_store_dwordx2 v[8:9], v[10:11], off
	s_andn2_b64 exec, exec, s[8:9]
	s_cbranch_execnz .LBB1692_167
.LBB1692_168:
	s_or_b64 exec, exec, s[6:7]
.LBB1692_169:
	v_cmp_eq_u32_e32 vcc, 0, v0
	s_and_b64 s[6:7], vcc, s[50:51]
	s_waitcnt vmcnt(0)
	s_barrier
	s_and_saveexec_b64 s[4:5], s[6:7]
	s_cbranch_execz .LBB1692_171
; %bb.170:
	v_mov_b32_e32 v5, 0
	buffer_store_dword v5, off, s[0:3], 0
.LBB1692_171:
	s_or_b64 exec, exec, s[4:5]
	s_mul_hi_u32 s4, s33, 0x88888889
	s_lshr_b32 s4, s4, 3
	v_cmp_eq_u32_e32 vcc, s4, v0
	s_and_b64 s[6:7], s[48:49], vcc
	s_and_saveexec_b64 s[4:5], s[6:7]
	s_cbranch_execz .LBB1692_173
; %bb.172:
	s_lshl_b32 s6, s33, 2
	v_mov_b32_e32 v5, s6
	s_movk_i32 s6, 0xffc4
	v_mad_i32_i24 v5, v0, s6, v5
	v_mov_b32_e32 v6, 1
	buffer_store_dword v6, v5, s[0:3], 0 offen
.LBB1692_173:
	s_or_b64 exec, exec, s[4:5]
	buffer_load_dword v11, off, s[0:3], 0
	buffer_load_dword v12, off, s[0:3], 0 offset:4
	buffer_load_dword v13, off, s[0:3], 0 offset:8
	;; [unrolled: 1-line block ×14, first 2 shown]
	v_add_co_u32_e32 v3, vcc, v95, v3
	v_addc_co_u32_e32 v4, vcc, v96, v4, vcc
	v_mov_b32_e32 v6, s59
	v_add_co_u32_e32 v8, vcc, s58, v35
	v_cndmask_b32_e64 v5, 0, 1, s[50:51]
	v_addc_co_u32_e32 v6, vcc, v6, v36, vcc
	v_sub_u32_e32 v7, v59, v5
	v_lshlrev_b32_e32 v9, 3, v5
	v_add_u32_e32 v10, v65, v5
	v_add_co_u32_e32 v5, vcc, v8, v33
	v_addc_co_u32_e32 v6, vcc, v6, v34, vcc
	v_add_co_u32_e32 v8, vcc, v5, v9
	v_addc_co_u32_e32 v9, vcc, 0, v6, vcc
	v_add_co_u32_e32 v8, vcc, -8, v8
	v_addc_co_u32_e32 v9, vcc, -1, v9, vcc
	s_cmpk_lg_i32 s33, 0xf00
	s_cselect_b64 s[4:5], -1, 0
	s_and_b64 s[4:5], s[48:49], s[4:5]
	v_cndmask_b32_e64 v26, 0, 1, s[4:5]
	v_add_u32_e32 v7, v7, v26
	s_movk_i32 s36, 0x100
	s_mov_b64 s[40:41], -1
	s_waitcnt vmcnt(14)
	v_cmp_eq_u32_e32 vcc, 0, v11
	v_cmp_ne_u32_e64 s[34:35], 0, v11
	v_cndmask_b32_e64 v11, 1, 2, vcc
	s_waitcnt vmcnt(13)
	v_cmp_eq_u32_e32 vcc, 0, v12
	v_cmp_ne_u32_e64 s[30:31], 0, v12
	v_cndmask_b32_e64 v12, 1, 2, vcc
	;; [unrolled: 4-line block ×3, first 2 shown]
	s_waitcnt vmcnt(11)
	v_cmp_eq_u32_e32 vcc, 0, v14
	v_and_b32_e32 v11, v12, v11
	v_cmp_ne_u32_e64 s[26:27], 0, v14
	v_cndmask_b32_e64 v14, 1, 2, vcc
	s_waitcnt vmcnt(10)
	v_cmp_eq_u32_e32 vcc, 0, v15
	v_and_b32_e32 v11, v11, v13
	v_cmp_ne_u32_e64 s[24:25], 0, v15
	v_cndmask_b32_e64 v15, 1, 2, vcc
	;; [unrolled: 5-line block ×9, first 2 shown]
	v_and_b32_e32 v11, v11, v21
	s_waitcnt vmcnt(2)
	v_cmp_eq_u32_e32 vcc, 0, v23
	v_and_b32_e32 v11, v11, v22
	v_cndmask_b32_e64 v12, 1, 2, vcc
	s_waitcnt vmcnt(1)
	v_cmp_eq_u32_e32 vcc, 0, v24
	v_and_b32_e32 v11, v11, v12
	v_cndmask_b32_e64 v12, 1, 2, vcc
	;; [unrolled: 4-line block ×3, first 2 shown]
	v_and_b32_e32 v11, v11, v12
	v_cmp_gt_u32_e32 vcc, s36, v7
	v_cmp_ne_u32_e64 s[10:11], 0, v23
	v_cmp_ne_u32_e64 s[6:7], 0, v24
	;; [unrolled: 1-line block ×3, first 2 shown]
	v_cmp_gt_i16_e64 s[36:37], 2, v11
	s_cbranch_vccz .LBB1692_180
; %bb.174:
	s_and_saveexec_b64 s[40:41], s[36:37]
	s_cbranch_execz .LBB1692_179
; %bb.175:
	v_cmp_ne_u16_e32 vcc, 1, v11
	s_mov_b64 s[42:43], 0
	s_and_saveexec_b64 s[36:37], vcc
	s_xor_b64 s[36:37], exec, s[36:37]
	s_cbranch_execnz .LBB1692_228
; %bb.176:
	s_andn2_saveexec_b64 s[36:37], s[36:37]
	s_cbranch_execnz .LBB1692_244
.LBB1692_177:
	s_or_b64 exec, exec, s[36:37]
	s_and_b64 exec, exec, s[42:43]
	s_cbranch_execz .LBB1692_179
.LBB1692_178:
	v_sub_u32_e32 v12, v37, v10
	v_mov_b32_e32 v13, 0
	v_lshlrev_b64 v[12:13], 3, v[12:13]
	v_add_co_u32_e32 v12, vcc, v8, v12
	v_addc_co_u32_e32 v13, vcc, v9, v13, vcc
	global_store_dwordx2 v[12:13], v[3:4], off
.LBB1692_179:
	s_or_b64 exec, exec, s[40:41]
	s_mov_b64 s[40:41], 0
.LBB1692_180:
	s_and_b64 vcc, exec, s[40:41]
	s_cbranch_vccz .LBB1692_190
; %bb.181:
	v_cmp_gt_i16_e32 vcc, 2, v11
	s_and_saveexec_b64 s[36:37], vcc
	s_cbranch_execz .LBB1692_186
; %bb.182:
	v_cmp_ne_u16_e32 vcc, 1, v11
	s_mov_b64 s[42:43], 0
	s_and_saveexec_b64 s[40:41], vcc
	s_xor_b64 s[40:41], exec, s[40:41]
	s_cbranch_execnz .LBB1692_245
; %bb.183:
	s_andn2_saveexec_b64 s[4:5], s[40:41]
	s_cbranch_execnz .LBB1692_261
.LBB1692_184:
	s_or_b64 exec, exec, s[4:5]
	s_and_b64 exec, exec, s[42:43]
.LBB1692_185:
	v_sub_u32_e32 v10, v37, v10
	v_lshlrev_b32_e32 v10, 3, v10
	ds_write_b64 v10, v[3:4]
.LBB1692_186:
	s_or_b64 exec, exec, s[36:37]
	v_cmp_lt_u32_e32 vcc, v0, v7
	s_waitcnt vmcnt(0) lgkmcnt(0)
	s_barrier
	s_and_saveexec_b64 s[6:7], vcc
	s_cbranch_execz .LBB1692_189
; %bb.187:
	v_lshlrev_b32_e32 v10, 3, v0
	s_mov_b64 s[8:9], 0
	v_mov_b32_e32 v4, 0
	v_mov_b32_e32 v3, v0
.LBB1692_188:                           ; =>This Inner Loop Header: Depth=1
	ds_read_b64 v[13:14], v10
	v_lshlrev_b64 v[11:12], 3, v[3:4]
	v_add_u32_e32 v3, 0x100, v3
	v_cmp_ge_u32_e32 vcc, v3, v7
	v_add_co_u32_e64 v11, s[4:5], v8, v11
	v_add_u32_e32 v10, 0x800, v10
	v_addc_co_u32_e64 v12, s[4:5], v9, v12, s[4:5]
	s_or_b64 s[8:9], vcc, s[8:9]
	s_waitcnt lgkmcnt(0)
	global_store_dwordx2 v[11:12], v[13:14], off
	s_andn2_b64 exec, exec, s[8:9]
	s_cbranch_execnz .LBB1692_188
.LBB1692_189:
	s_or_b64 exec, exec, s[6:7]
.LBB1692_190:
	s_movk_i32 s4, 0xff
	v_cmp_eq_u32_e32 vcc, s4, v0
	s_and_b64 s[4:5], vcc, s[48:49]
	s_and_saveexec_b64 s[6:7], s[4:5]
	s_cbranch_execz .LBB1692_193
; %bb.191:
	v_add_co_u32_e32 v0, vcc, v59, v65
	v_addc_co_u32_e64 v3, s[4:5], 0, 0, vcc
	v_add_co_u32_e32 v0, vcc, v0, v1
	v_mov_b32_e32 v60, 0
	v_addc_co_u32_e32 v1, vcc, v3, v2, vcc
	s_cmpk_lg_i32 s33, 0xf00
	global_store_dwordx2 v60, v[0:1], s[38:39]
	s_cbranch_scc1 .LBB1692_193
; %bb.192:
	v_lshlrev_b64 v[0:1], 3, v[59:60]
	v_add_co_u32_e32 v0, vcc, v5, v0
	v_addc_co_u32_e32 v1, vcc, v6, v1, vcc
	global_store_dwordx2 v[0:1], v[61:62], off offset:-8
.LBB1692_193:
	s_endpgm
.LBB1692_194:
	s_and_saveexec_b64 s[42:43], s[34:35]
	s_cbranch_execnz .LBB1692_262
; %bb.195:
	s_or_b64 exec, exec, s[42:43]
	s_and_saveexec_b64 s[42:43], s[30:31]
	s_cbranch_execnz .LBB1692_263
.LBB1692_196:
	s_or_b64 exec, exec, s[42:43]
	s_and_saveexec_b64 s[42:43], s[28:29]
	s_cbranch_execnz .LBB1692_264
.LBB1692_197:
	s_or_b64 exec, exec, s[42:43]
	s_and_saveexec_b64 s[42:43], s[26:27]
	s_cbranch_execnz .LBB1692_265
.LBB1692_198:
	s_or_b64 exec, exec, s[42:43]
	s_and_saveexec_b64 s[42:43], s[24:25]
	s_cbranch_execnz .LBB1692_266
.LBB1692_199:
	s_or_b64 exec, exec, s[42:43]
	s_and_saveexec_b64 s[42:43], s[22:23]
	s_cbranch_execnz .LBB1692_267
.LBB1692_200:
	s_or_b64 exec, exec, s[42:43]
	s_and_saveexec_b64 s[42:43], s[20:21]
	s_cbranch_execnz .LBB1692_268
.LBB1692_201:
	s_or_b64 exec, exec, s[42:43]
	s_and_saveexec_b64 s[42:43], s[18:19]
	s_cbranch_execnz .LBB1692_269
.LBB1692_202:
	s_or_b64 exec, exec, s[42:43]
	s_and_saveexec_b64 s[42:43], s[16:17]
	s_cbranch_execnz .LBB1692_270
.LBB1692_203:
	s_or_b64 exec, exec, s[42:43]
	s_and_saveexec_b64 s[42:43], s[14:15]
	s_cbranch_execnz .LBB1692_271
.LBB1692_204:
	s_or_b64 exec, exec, s[42:43]
	s_and_saveexec_b64 s[42:43], s[12:13]
	s_cbranch_execnz .LBB1692_272
.LBB1692_205:
	s_or_b64 exec, exec, s[42:43]
	s_and_saveexec_b64 s[42:43], s[10:11]
	s_cbranch_execnz .LBB1692_273
.LBB1692_206:
	s_or_b64 exec, exec, s[42:43]
	s_and_saveexec_b64 s[42:43], s[8:9]
	s_cbranch_execnz .LBB1692_274
.LBB1692_207:
	s_or_b64 exec, exec, s[42:43]
	s_and_saveexec_b64 s[42:43], s[4:5]
	s_cbranch_execz .LBB1692_209
.LBB1692_208:
	v_sub_u32_e32 v54, v38, v65
	v_mov_b32_e32 v55, 0
	v_lshlrev_b64 v[54:55], 3, v[54:55]
	v_add_co_u32_e32 v54, vcc, v51, v54
	v_addc_co_u32_e32 v55, vcc, v52, v55, vcc
	global_store_dwordx2 v[54:55], v[7:8], off
.LBB1692_209:
	s_or_b64 exec, exec, s[42:43]
	s_and_b64 s[42:43], s[6:7], exec
	s_andn2_saveexec_b64 s[36:37], s[36:37]
	s_cbranch_execz .LBB1692_156
.LBB1692_210:
	v_sub_u32_e32 v54, v60, v65
	v_mov_b32_e32 v55, 0
	v_lshlrev_b64 v[63:64], 3, v[54:55]
	v_sub_u32_e32 v54, v50, v65
	v_add_co_u32_e32 v63, vcc, v51, v63
	v_addc_co_u32_e32 v64, vcc, v52, v64, vcc
	global_store_dwordx2 v[63:64], v[29:30], off
	v_lshlrev_b64 v[63:64], 3, v[54:55]
	v_sub_u32_e32 v54, v49, v65
	v_add_co_u32_e32 v63, vcc, v51, v63
	v_addc_co_u32_e32 v64, vcc, v52, v64, vcc
	global_store_dwordx2 v[63:64], v[31:32], off
	;; [unrolled: 5-line block ×12, first 2 shown]
	v_lshlrev_b64 v[63:64], 3, v[54:55]
	v_sub_u32_e32 v54, v38, v65
	v_add_co_u32_e32 v63, vcc, v51, v63
	v_lshlrev_b64 v[54:55], 3, v[54:55]
	v_addc_co_u32_e32 v64, vcc, v52, v64, vcc
	v_add_co_u32_e32 v54, vcc, v51, v54
	v_addc_co_u32_e32 v55, vcc, v52, v55, vcc
	s_or_b64 s[42:43], s[42:43], exec
	global_store_dwordx2 v[63:64], v[5:6], off
	global_store_dwordx2 v[54:55], v[7:8], off
	s_or_b64 exec, exec, s[36:37]
	s_and_b64 exec, exec, s[42:43]
	s_cbranch_execnz .LBB1692_157
	s_branch .LBB1692_158
.LBB1692_211:
	s_and_saveexec_b64 s[42:43], s[34:35]
	s_cbranch_execnz .LBB1692_275
; %bb.212:
	s_or_b64 exec, exec, s[42:43]
	s_and_saveexec_b64 s[34:35], s[30:31]
	s_cbranch_execnz .LBB1692_276
.LBB1692_213:
	s_or_b64 exec, exec, s[34:35]
	s_and_saveexec_b64 s[30:31], s[28:29]
	s_cbranch_execnz .LBB1692_277
.LBB1692_214:
	s_or_b64 exec, exec, s[30:31]
	s_and_saveexec_b64 s[28:29], s[26:27]
	s_cbranch_execnz .LBB1692_278
.LBB1692_215:
	s_or_b64 exec, exec, s[28:29]
	s_and_saveexec_b64 s[26:27], s[24:25]
	s_cbranch_execnz .LBB1692_279
.LBB1692_216:
	s_or_b64 exec, exec, s[26:27]
	s_and_saveexec_b64 s[24:25], s[22:23]
	s_cbranch_execnz .LBB1692_280
.LBB1692_217:
	s_or_b64 exec, exec, s[24:25]
	s_and_saveexec_b64 s[22:23], s[20:21]
	s_cbranch_execnz .LBB1692_281
.LBB1692_218:
	s_or_b64 exec, exec, s[22:23]
	s_and_saveexec_b64 s[20:21], s[18:19]
	s_cbranch_execnz .LBB1692_282
.LBB1692_219:
	s_or_b64 exec, exec, s[20:21]
	s_and_saveexec_b64 s[18:19], s[16:17]
	s_cbranch_execnz .LBB1692_283
.LBB1692_220:
	s_or_b64 exec, exec, s[18:19]
	s_and_saveexec_b64 s[16:17], s[14:15]
	s_cbranch_execnz .LBB1692_284
.LBB1692_221:
	s_or_b64 exec, exec, s[16:17]
	s_and_saveexec_b64 s[14:15], s[12:13]
	s_cbranch_execnz .LBB1692_285
.LBB1692_222:
	s_or_b64 exec, exec, s[14:15]
	s_and_saveexec_b64 s[12:13], s[10:11]
	s_cbranch_execnz .LBB1692_286
.LBB1692_223:
	s_or_b64 exec, exec, s[12:13]
	s_and_saveexec_b64 s[10:11], s[8:9]
	s_cbranch_execnz .LBB1692_287
.LBB1692_224:
	s_or_b64 exec, exec, s[10:11]
	s_and_saveexec_b64 s[8:9], s[4:5]
.LBB1692_225:
	v_sub_u32_e32 v5, v38, v65
	v_lshlrev_b32_e32 v5, 3, v5
	ds_write_b64 v5, v[7:8]
.LBB1692_226:
	s_or_b64 exec, exec, s[8:9]
	s_and_b64 s[42:43], s[6:7], exec
                                        ; implicit-def: $vgpr29_vgpr30
                                        ; implicit-def: $vgpr25_vgpr26
                                        ; implicit-def: $vgpr21_vgpr22
                                        ; implicit-def: $vgpr17_vgpr18
                                        ; implicit-def: $vgpr13_vgpr14
                                        ; implicit-def: $vgpr9_vgpr10
                                        ; implicit-def: $vgpr5_vgpr6
	s_andn2_saveexec_b64 s[4:5], s[40:41]
	s_cbranch_execz .LBB1692_163
.LBB1692_227:
	v_sub_u32_e32 v53, v60, v65
	v_lshlrev_b32_e32 v53, 3, v53
	ds_write_b64 v53, v[29:30]
	v_sub_u32_e32 v29, v50, v65
	v_lshlrev_b32_e32 v29, 3, v29
	ds_write_b64 v29, v[31:32]
	v_sub_u32_e32 v29, v49, v65
	v_lshlrev_b32_e32 v29, 3, v29
	ds_write_b64 v29, v[25:26]
	v_sub_u32_e32 v25, v48, v65
	v_lshlrev_b32_e32 v25, 3, v25
	ds_write_b64 v25, v[27:28]
	v_sub_u32_e32 v25, v47, v65
	v_lshlrev_b32_e32 v25, 3, v25
	ds_write_b64 v25, v[21:22]
	v_sub_u32_e32 v21, v46, v65
	v_lshlrev_b32_e32 v21, 3, v21
	ds_write_b64 v21, v[23:24]
	v_sub_u32_e32 v21, v45, v65
	v_lshlrev_b32_e32 v21, 3, v21
	ds_write_b64 v21, v[17:18]
	v_sub_u32_e32 v17, v44, v65
	v_lshlrev_b32_e32 v17, 3, v17
	ds_write_b64 v17, v[19:20]
	v_sub_u32_e32 v17, v43, v65
	v_lshlrev_b32_e32 v17, 3, v17
	ds_write_b64 v17, v[13:14]
	v_sub_u32_e32 v13, v42, v65
	v_lshlrev_b32_e32 v13, 3, v13
	ds_write_b64 v13, v[15:16]
	v_sub_u32_e32 v13, v41, v65
	v_lshlrev_b32_e32 v13, 3, v13
	ds_write_b64 v13, v[9:10]
	v_sub_u32_e32 v9, v40, v65
	v_lshlrev_b32_e32 v9, 3, v9
	ds_write_b64 v9, v[11:12]
	v_sub_u32_e32 v9, v39, v65
	v_lshlrev_b32_e32 v9, 3, v9
	ds_write_b64 v9, v[5:6]
	v_sub_u32_e32 v5, v38, v65
	v_lshlrev_b32_e32 v5, 3, v5
	s_or_b64 s[42:43], s[42:43], exec
	ds_write_b64 v5, v[7:8]
	s_or_b64 exec, exec, s[4:5]
	s_and_b64 exec, exec, s[42:43]
	s_cbranch_execnz .LBB1692_164
	s_branch .LBB1692_165
.LBB1692_228:
	s_and_saveexec_b64 s[42:43], s[34:35]
	s_cbranch_execnz .LBB1692_288
; %bb.229:
	s_or_b64 exec, exec, s[42:43]
	s_and_saveexec_b64 s[42:43], s[30:31]
	s_cbranch_execnz .LBB1692_289
.LBB1692_230:
	s_or_b64 exec, exec, s[42:43]
	s_and_saveexec_b64 s[42:43], s[28:29]
	s_cbranch_execnz .LBB1692_290
.LBB1692_231:
	s_or_b64 exec, exec, s[42:43]
	s_and_saveexec_b64 s[42:43], s[26:27]
	s_cbranch_execnz .LBB1692_291
.LBB1692_232:
	s_or_b64 exec, exec, s[42:43]
	s_and_saveexec_b64 s[42:43], s[24:25]
	s_cbranch_execnz .LBB1692_292
.LBB1692_233:
	s_or_b64 exec, exec, s[42:43]
	s_and_saveexec_b64 s[42:43], s[22:23]
	s_cbranch_execnz .LBB1692_293
.LBB1692_234:
	s_or_b64 exec, exec, s[42:43]
	s_and_saveexec_b64 s[42:43], s[20:21]
	s_cbranch_execnz .LBB1692_294
.LBB1692_235:
	s_or_b64 exec, exec, s[42:43]
	s_and_saveexec_b64 s[42:43], s[18:19]
	s_cbranch_execnz .LBB1692_295
.LBB1692_236:
	s_or_b64 exec, exec, s[42:43]
	s_and_saveexec_b64 s[42:43], s[16:17]
	s_cbranch_execnz .LBB1692_296
.LBB1692_237:
	s_or_b64 exec, exec, s[42:43]
	s_and_saveexec_b64 s[42:43], s[14:15]
	s_cbranch_execnz .LBB1692_297
.LBB1692_238:
	s_or_b64 exec, exec, s[42:43]
	s_and_saveexec_b64 s[42:43], s[12:13]
	s_cbranch_execnz .LBB1692_298
.LBB1692_239:
	s_or_b64 exec, exec, s[42:43]
	s_and_saveexec_b64 s[42:43], s[8:9]
	s_cbranch_execnz .LBB1692_299
.LBB1692_240:
	s_or_b64 exec, exec, s[42:43]
	s_and_saveexec_b64 s[42:43], s[10:11]
	s_cbranch_execnz .LBB1692_300
.LBB1692_241:
	s_or_b64 exec, exec, s[42:43]
	s_and_saveexec_b64 s[42:43], s[6:7]
	s_cbranch_execz .LBB1692_243
.LBB1692_242:
	v_sub_u32_e32 v12, v38, v10
	v_mov_b32_e32 v13, 0
	v_lshlrev_b64 v[12:13], 3, v[12:13]
	v_add_co_u32_e32 v12, vcc, v8, v12
	v_addc_co_u32_e32 v13, vcc, v9, v13, vcc
	global_store_dwordx2 v[12:13], v[93:94], off
.LBB1692_243:
	s_or_b64 exec, exec, s[42:43]
	s_and_b64 s[42:43], s[4:5], exec
	s_andn2_saveexec_b64 s[36:37], s[36:37]
	s_cbranch_execz .LBB1692_177
.LBB1692_244:
	v_sub_u32_e32 v12, v60, v10
	v_mov_b32_e32 v13, 0
	v_lshlrev_b64 v[14:15], 3, v[12:13]
	v_sub_u32_e32 v12, v50, v10
	v_add_co_u32_e32 v14, vcc, v8, v14
	v_addc_co_u32_e32 v15, vcc, v9, v15, vcc
	global_store_dwordx2 v[14:15], v[91:92], off
	v_lshlrev_b64 v[14:15], 3, v[12:13]
	v_sub_u32_e32 v12, v49, v10
	v_add_co_u32_e32 v14, vcc, v8, v14
	v_addc_co_u32_e32 v15, vcc, v9, v15, vcc
	global_store_dwordx2 v[14:15], v[67:68], off
	;; [unrolled: 5-line block ×12, first 2 shown]
	v_lshlrev_b64 v[14:15], 3, v[12:13]
	v_sub_u32_e32 v12, v38, v10
	v_add_co_u32_e32 v14, vcc, v8, v14
	v_lshlrev_b64 v[12:13], 3, v[12:13]
	v_addc_co_u32_e32 v15, vcc, v9, v15, vcc
	v_add_co_u32_e32 v12, vcc, v8, v12
	v_addc_co_u32_e32 v13, vcc, v9, v13, vcc
	s_or_b64 s[42:43], s[42:43], exec
	global_store_dwordx2 v[14:15], v[89:90], off
	global_store_dwordx2 v[12:13], v[93:94], off
	s_or_b64 exec, exec, s[36:37]
	s_and_b64 exec, exec, s[42:43]
	s_cbranch_execnz .LBB1692_178
	s_branch .LBB1692_179
.LBB1692_245:
	s_and_saveexec_b64 s[42:43], s[34:35]
	s_cbranch_execnz .LBB1692_301
; %bb.246:
	s_or_b64 exec, exec, s[42:43]
	s_and_saveexec_b64 s[34:35], s[30:31]
	s_cbranch_execnz .LBB1692_302
.LBB1692_247:
	s_or_b64 exec, exec, s[34:35]
	s_and_saveexec_b64 s[30:31], s[28:29]
	s_cbranch_execnz .LBB1692_303
.LBB1692_248:
	s_or_b64 exec, exec, s[30:31]
	s_and_saveexec_b64 s[28:29], s[26:27]
	s_cbranch_execnz .LBB1692_304
.LBB1692_249:
	s_or_b64 exec, exec, s[28:29]
	s_and_saveexec_b64 s[26:27], s[24:25]
	s_cbranch_execnz .LBB1692_305
.LBB1692_250:
	s_or_b64 exec, exec, s[26:27]
	s_and_saveexec_b64 s[24:25], s[22:23]
	s_cbranch_execnz .LBB1692_306
.LBB1692_251:
	s_or_b64 exec, exec, s[24:25]
	s_and_saveexec_b64 s[22:23], s[20:21]
	s_cbranch_execnz .LBB1692_307
.LBB1692_252:
	s_or_b64 exec, exec, s[22:23]
	s_and_saveexec_b64 s[20:21], s[18:19]
	s_cbranch_execnz .LBB1692_308
.LBB1692_253:
	s_or_b64 exec, exec, s[20:21]
	s_and_saveexec_b64 s[18:19], s[16:17]
	s_cbranch_execnz .LBB1692_309
.LBB1692_254:
	s_or_b64 exec, exec, s[18:19]
	s_and_saveexec_b64 s[16:17], s[14:15]
	s_cbranch_execnz .LBB1692_310
.LBB1692_255:
	s_or_b64 exec, exec, s[16:17]
	s_and_saveexec_b64 s[14:15], s[12:13]
	s_cbranch_execnz .LBB1692_311
.LBB1692_256:
	s_or_b64 exec, exec, s[14:15]
	s_and_saveexec_b64 s[12:13], s[8:9]
	s_cbranch_execnz .LBB1692_312
.LBB1692_257:
	s_or_b64 exec, exec, s[12:13]
	s_and_saveexec_b64 s[8:9], s[10:11]
	s_cbranch_execnz .LBB1692_313
.LBB1692_258:
	s_or_b64 exec, exec, s[8:9]
	s_and_saveexec_b64 s[8:9], s[6:7]
.LBB1692_259:
	v_sub_u32_e32 v11, v38, v10
	v_lshlrev_b32_e32 v11, 3, v11
	ds_write_b64 v11, v[93:94]
.LBB1692_260:
	s_or_b64 exec, exec, s[8:9]
	s_and_b64 s[42:43], s[4:5], exec
                                        ; implicit-def: $vgpr91_vgpr92
                                        ; implicit-def: $vgpr67_vgpr68
                                        ; implicit-def: $vgpr69_vgpr70
                                        ; implicit-def: $vgpr71_vgpr72
                                        ; implicit-def: $vgpr73_vgpr74
                                        ; implicit-def: $vgpr75_vgpr76
                                        ; implicit-def: $vgpr77_vgpr78
                                        ; implicit-def: $vgpr79_vgpr80
                                        ; implicit-def: $vgpr81_vgpr82
                                        ; implicit-def: $vgpr83_vgpr84
                                        ; implicit-def: $vgpr85_vgpr86
                                        ; implicit-def: $vgpr87_vgpr88
                                        ; implicit-def: $vgpr89_vgpr90
                                        ; implicit-def: $vgpr93_vgpr94
                                        ; implicit-def: $vgpr60
                                        ; implicit-def: $vgpr50
                                        ; implicit-def: $vgpr49
                                        ; implicit-def: $vgpr48
                                        ; implicit-def: $vgpr47
                                        ; implicit-def: $vgpr46
                                        ; implicit-def: $vgpr45
                                        ; implicit-def: $vgpr44
                                        ; implicit-def: $vgpr43
                                        ; implicit-def: $vgpr42
                                        ; implicit-def: $vgpr41
                                        ; implicit-def: $vgpr40
                                        ; implicit-def: $vgpr39
                                        ; implicit-def: $vgpr38
	s_andn2_saveexec_b64 s[4:5], s[40:41]
	s_cbranch_execz .LBB1692_184
.LBB1692_261:
	v_sub_u32_e32 v11, v60, v10
	v_lshlrev_b32_e32 v11, 3, v11
	ds_write_b64 v11, v[91:92]
	v_sub_u32_e32 v11, v50, v10
	v_lshlrev_b32_e32 v11, 3, v11
	ds_write_b64 v11, v[67:68]
	;; [unrolled: 3-line block ×13, first 2 shown]
	v_sub_u32_e32 v11, v38, v10
	v_lshlrev_b32_e32 v11, 3, v11
	s_or_b64 s[42:43], s[42:43], exec
	ds_write_b64 v11, v[93:94]
	s_or_b64 exec, exec, s[4:5]
	s_and_b64 exec, exec, s[42:43]
	s_cbranch_execnz .LBB1692_185
	s_branch .LBB1692_186
.LBB1692_262:
	v_sub_u32_e32 v54, v60, v65
	v_mov_b32_e32 v55, 0
	v_lshlrev_b64 v[54:55], 3, v[54:55]
	v_add_co_u32_e32 v54, vcc, v51, v54
	v_addc_co_u32_e32 v55, vcc, v52, v55, vcc
	global_store_dwordx2 v[54:55], v[29:30], off
	s_or_b64 exec, exec, s[42:43]
	s_and_saveexec_b64 s[42:43], s[30:31]
	s_cbranch_execz .LBB1692_196
.LBB1692_263:
	v_sub_u32_e32 v54, v50, v65
	v_mov_b32_e32 v55, 0
	v_lshlrev_b64 v[54:55], 3, v[54:55]
	v_add_co_u32_e32 v54, vcc, v51, v54
	v_addc_co_u32_e32 v55, vcc, v52, v55, vcc
	global_store_dwordx2 v[54:55], v[31:32], off
	s_or_b64 exec, exec, s[42:43]
	s_and_saveexec_b64 s[42:43], s[28:29]
	s_cbranch_execz .LBB1692_197
.LBB1692_264:
	v_sub_u32_e32 v54, v49, v65
	v_mov_b32_e32 v55, 0
	v_lshlrev_b64 v[54:55], 3, v[54:55]
	v_add_co_u32_e32 v54, vcc, v51, v54
	v_addc_co_u32_e32 v55, vcc, v52, v55, vcc
	global_store_dwordx2 v[54:55], v[25:26], off
	s_or_b64 exec, exec, s[42:43]
	s_and_saveexec_b64 s[42:43], s[26:27]
	s_cbranch_execz .LBB1692_198
.LBB1692_265:
	v_sub_u32_e32 v54, v48, v65
	v_mov_b32_e32 v55, 0
	v_lshlrev_b64 v[54:55], 3, v[54:55]
	v_add_co_u32_e32 v54, vcc, v51, v54
	v_addc_co_u32_e32 v55, vcc, v52, v55, vcc
	global_store_dwordx2 v[54:55], v[27:28], off
	s_or_b64 exec, exec, s[42:43]
	s_and_saveexec_b64 s[42:43], s[24:25]
	s_cbranch_execz .LBB1692_199
.LBB1692_266:
	v_sub_u32_e32 v54, v47, v65
	v_mov_b32_e32 v55, 0
	v_lshlrev_b64 v[54:55], 3, v[54:55]
	v_add_co_u32_e32 v54, vcc, v51, v54
	v_addc_co_u32_e32 v55, vcc, v52, v55, vcc
	global_store_dwordx2 v[54:55], v[21:22], off
	s_or_b64 exec, exec, s[42:43]
	s_and_saveexec_b64 s[42:43], s[22:23]
	s_cbranch_execz .LBB1692_200
.LBB1692_267:
	v_sub_u32_e32 v54, v46, v65
	v_mov_b32_e32 v55, 0
	v_lshlrev_b64 v[54:55], 3, v[54:55]
	v_add_co_u32_e32 v54, vcc, v51, v54
	v_addc_co_u32_e32 v55, vcc, v52, v55, vcc
	global_store_dwordx2 v[54:55], v[23:24], off
	s_or_b64 exec, exec, s[42:43]
	s_and_saveexec_b64 s[42:43], s[20:21]
	s_cbranch_execz .LBB1692_201
.LBB1692_268:
	v_sub_u32_e32 v54, v45, v65
	v_mov_b32_e32 v55, 0
	v_lshlrev_b64 v[54:55], 3, v[54:55]
	v_add_co_u32_e32 v54, vcc, v51, v54
	v_addc_co_u32_e32 v55, vcc, v52, v55, vcc
	global_store_dwordx2 v[54:55], v[17:18], off
	s_or_b64 exec, exec, s[42:43]
	s_and_saveexec_b64 s[42:43], s[18:19]
	s_cbranch_execz .LBB1692_202
.LBB1692_269:
	v_sub_u32_e32 v54, v44, v65
	v_mov_b32_e32 v55, 0
	v_lshlrev_b64 v[54:55], 3, v[54:55]
	v_add_co_u32_e32 v54, vcc, v51, v54
	v_addc_co_u32_e32 v55, vcc, v52, v55, vcc
	global_store_dwordx2 v[54:55], v[19:20], off
	s_or_b64 exec, exec, s[42:43]
	s_and_saveexec_b64 s[42:43], s[16:17]
	s_cbranch_execz .LBB1692_203
.LBB1692_270:
	v_sub_u32_e32 v54, v43, v65
	v_mov_b32_e32 v55, 0
	v_lshlrev_b64 v[54:55], 3, v[54:55]
	v_add_co_u32_e32 v54, vcc, v51, v54
	v_addc_co_u32_e32 v55, vcc, v52, v55, vcc
	global_store_dwordx2 v[54:55], v[13:14], off
	s_or_b64 exec, exec, s[42:43]
	s_and_saveexec_b64 s[42:43], s[14:15]
	s_cbranch_execz .LBB1692_204
.LBB1692_271:
	v_sub_u32_e32 v54, v42, v65
	v_mov_b32_e32 v55, 0
	v_lshlrev_b64 v[54:55], 3, v[54:55]
	v_add_co_u32_e32 v54, vcc, v51, v54
	v_addc_co_u32_e32 v55, vcc, v52, v55, vcc
	global_store_dwordx2 v[54:55], v[15:16], off
	s_or_b64 exec, exec, s[42:43]
	s_and_saveexec_b64 s[42:43], s[12:13]
	s_cbranch_execz .LBB1692_205
.LBB1692_272:
	v_sub_u32_e32 v54, v41, v65
	v_mov_b32_e32 v55, 0
	v_lshlrev_b64 v[54:55], 3, v[54:55]
	v_add_co_u32_e32 v54, vcc, v51, v54
	v_addc_co_u32_e32 v55, vcc, v52, v55, vcc
	global_store_dwordx2 v[54:55], v[9:10], off
	s_or_b64 exec, exec, s[42:43]
	s_and_saveexec_b64 s[42:43], s[10:11]
	s_cbranch_execz .LBB1692_206
.LBB1692_273:
	v_sub_u32_e32 v54, v40, v65
	v_mov_b32_e32 v55, 0
	v_lshlrev_b64 v[54:55], 3, v[54:55]
	v_add_co_u32_e32 v54, vcc, v51, v54
	v_addc_co_u32_e32 v55, vcc, v52, v55, vcc
	global_store_dwordx2 v[54:55], v[11:12], off
	s_or_b64 exec, exec, s[42:43]
	s_and_saveexec_b64 s[42:43], s[8:9]
	s_cbranch_execz .LBB1692_207
.LBB1692_274:
	v_sub_u32_e32 v54, v39, v65
	v_mov_b32_e32 v55, 0
	v_lshlrev_b64 v[54:55], 3, v[54:55]
	v_add_co_u32_e32 v54, vcc, v51, v54
	v_addc_co_u32_e32 v55, vcc, v52, v55, vcc
	global_store_dwordx2 v[54:55], v[5:6], off
	s_or_b64 exec, exec, s[42:43]
	s_and_saveexec_b64 s[42:43], s[4:5]
	s_cbranch_execnz .LBB1692_208
	s_branch .LBB1692_209
.LBB1692_275:
	v_sub_u32_e32 v53, v60, v65
	v_lshlrev_b32_e32 v53, 3, v53
	ds_write_b64 v53, v[29:30]
	s_or_b64 exec, exec, s[42:43]
	s_and_saveexec_b64 s[34:35], s[30:31]
	s_cbranch_execz .LBB1692_213
.LBB1692_276:
	v_sub_u32_e32 v29, v50, v65
	v_lshlrev_b32_e32 v29, 3, v29
	ds_write_b64 v29, v[31:32]
	s_or_b64 exec, exec, s[34:35]
	s_and_saveexec_b64 s[30:31], s[28:29]
	s_cbranch_execz .LBB1692_214
.LBB1692_277:
	v_sub_u32_e32 v29, v49, v65
	v_lshlrev_b32_e32 v29, 3, v29
	ds_write_b64 v29, v[25:26]
	s_or_b64 exec, exec, s[30:31]
	s_and_saveexec_b64 s[28:29], s[26:27]
	s_cbranch_execz .LBB1692_215
.LBB1692_278:
	v_sub_u32_e32 v25, v48, v65
	v_lshlrev_b32_e32 v25, 3, v25
	ds_write_b64 v25, v[27:28]
	s_or_b64 exec, exec, s[28:29]
	s_and_saveexec_b64 s[26:27], s[24:25]
	s_cbranch_execz .LBB1692_216
.LBB1692_279:
	v_sub_u32_e32 v25, v47, v65
	v_lshlrev_b32_e32 v25, 3, v25
	ds_write_b64 v25, v[21:22]
	s_or_b64 exec, exec, s[26:27]
	s_and_saveexec_b64 s[24:25], s[22:23]
	s_cbranch_execz .LBB1692_217
.LBB1692_280:
	v_sub_u32_e32 v21, v46, v65
	v_lshlrev_b32_e32 v21, 3, v21
	ds_write_b64 v21, v[23:24]
	s_or_b64 exec, exec, s[24:25]
	s_and_saveexec_b64 s[22:23], s[20:21]
	s_cbranch_execz .LBB1692_218
.LBB1692_281:
	v_sub_u32_e32 v21, v45, v65
	v_lshlrev_b32_e32 v21, 3, v21
	ds_write_b64 v21, v[17:18]
	s_or_b64 exec, exec, s[22:23]
	s_and_saveexec_b64 s[20:21], s[18:19]
	s_cbranch_execz .LBB1692_219
.LBB1692_282:
	v_sub_u32_e32 v17, v44, v65
	v_lshlrev_b32_e32 v17, 3, v17
	ds_write_b64 v17, v[19:20]
	s_or_b64 exec, exec, s[20:21]
	s_and_saveexec_b64 s[18:19], s[16:17]
	s_cbranch_execz .LBB1692_220
.LBB1692_283:
	v_sub_u32_e32 v17, v43, v65
	v_lshlrev_b32_e32 v17, 3, v17
	ds_write_b64 v17, v[13:14]
	s_or_b64 exec, exec, s[18:19]
	s_and_saveexec_b64 s[16:17], s[14:15]
	s_cbranch_execz .LBB1692_221
.LBB1692_284:
	v_sub_u32_e32 v13, v42, v65
	v_lshlrev_b32_e32 v13, 3, v13
	ds_write_b64 v13, v[15:16]
	s_or_b64 exec, exec, s[16:17]
	s_and_saveexec_b64 s[14:15], s[12:13]
	s_cbranch_execz .LBB1692_222
.LBB1692_285:
	v_sub_u32_e32 v13, v41, v65
	v_lshlrev_b32_e32 v13, 3, v13
	ds_write_b64 v13, v[9:10]
	s_or_b64 exec, exec, s[14:15]
	s_and_saveexec_b64 s[12:13], s[10:11]
	s_cbranch_execz .LBB1692_223
.LBB1692_286:
	v_sub_u32_e32 v9, v40, v65
	v_lshlrev_b32_e32 v9, 3, v9
	ds_write_b64 v9, v[11:12]
	s_or_b64 exec, exec, s[12:13]
	s_and_saveexec_b64 s[10:11], s[8:9]
	s_cbranch_execz .LBB1692_224
.LBB1692_287:
	v_sub_u32_e32 v9, v39, v65
	v_lshlrev_b32_e32 v9, 3, v9
	ds_write_b64 v9, v[5:6]
	s_or_b64 exec, exec, s[10:11]
	s_and_saveexec_b64 s[8:9], s[4:5]
	s_cbranch_execnz .LBB1692_225
	s_branch .LBB1692_226
.LBB1692_288:
	v_sub_u32_e32 v12, v60, v10
	v_mov_b32_e32 v13, 0
	v_lshlrev_b64 v[12:13], 3, v[12:13]
	v_add_co_u32_e32 v12, vcc, v8, v12
	v_addc_co_u32_e32 v13, vcc, v9, v13, vcc
	global_store_dwordx2 v[12:13], v[91:92], off
	s_or_b64 exec, exec, s[42:43]
	s_and_saveexec_b64 s[42:43], s[30:31]
	s_cbranch_execz .LBB1692_230
.LBB1692_289:
	v_sub_u32_e32 v12, v50, v10
	v_mov_b32_e32 v13, 0
	v_lshlrev_b64 v[12:13], 3, v[12:13]
	v_add_co_u32_e32 v12, vcc, v8, v12
	v_addc_co_u32_e32 v13, vcc, v9, v13, vcc
	global_store_dwordx2 v[12:13], v[67:68], off
	s_or_b64 exec, exec, s[42:43]
	s_and_saveexec_b64 s[42:43], s[28:29]
	s_cbranch_execz .LBB1692_231
.LBB1692_290:
	v_sub_u32_e32 v12, v49, v10
	v_mov_b32_e32 v13, 0
	v_lshlrev_b64 v[12:13], 3, v[12:13]
	v_add_co_u32_e32 v12, vcc, v8, v12
	v_addc_co_u32_e32 v13, vcc, v9, v13, vcc
	global_store_dwordx2 v[12:13], v[69:70], off
	s_or_b64 exec, exec, s[42:43]
	s_and_saveexec_b64 s[42:43], s[26:27]
	s_cbranch_execz .LBB1692_232
.LBB1692_291:
	v_sub_u32_e32 v12, v48, v10
	v_mov_b32_e32 v13, 0
	v_lshlrev_b64 v[12:13], 3, v[12:13]
	v_add_co_u32_e32 v12, vcc, v8, v12
	v_addc_co_u32_e32 v13, vcc, v9, v13, vcc
	global_store_dwordx2 v[12:13], v[71:72], off
	s_or_b64 exec, exec, s[42:43]
	s_and_saveexec_b64 s[42:43], s[24:25]
	s_cbranch_execz .LBB1692_233
.LBB1692_292:
	v_sub_u32_e32 v12, v47, v10
	v_mov_b32_e32 v13, 0
	v_lshlrev_b64 v[12:13], 3, v[12:13]
	v_add_co_u32_e32 v12, vcc, v8, v12
	v_addc_co_u32_e32 v13, vcc, v9, v13, vcc
	global_store_dwordx2 v[12:13], v[73:74], off
	s_or_b64 exec, exec, s[42:43]
	s_and_saveexec_b64 s[42:43], s[22:23]
	s_cbranch_execz .LBB1692_234
.LBB1692_293:
	v_sub_u32_e32 v12, v46, v10
	v_mov_b32_e32 v13, 0
	v_lshlrev_b64 v[12:13], 3, v[12:13]
	v_add_co_u32_e32 v12, vcc, v8, v12
	v_addc_co_u32_e32 v13, vcc, v9, v13, vcc
	global_store_dwordx2 v[12:13], v[75:76], off
	s_or_b64 exec, exec, s[42:43]
	s_and_saveexec_b64 s[42:43], s[20:21]
	s_cbranch_execz .LBB1692_235
.LBB1692_294:
	v_sub_u32_e32 v12, v45, v10
	v_mov_b32_e32 v13, 0
	v_lshlrev_b64 v[12:13], 3, v[12:13]
	v_add_co_u32_e32 v12, vcc, v8, v12
	v_addc_co_u32_e32 v13, vcc, v9, v13, vcc
	global_store_dwordx2 v[12:13], v[77:78], off
	s_or_b64 exec, exec, s[42:43]
	s_and_saveexec_b64 s[42:43], s[18:19]
	s_cbranch_execz .LBB1692_236
.LBB1692_295:
	v_sub_u32_e32 v12, v44, v10
	v_mov_b32_e32 v13, 0
	v_lshlrev_b64 v[12:13], 3, v[12:13]
	v_add_co_u32_e32 v12, vcc, v8, v12
	v_addc_co_u32_e32 v13, vcc, v9, v13, vcc
	global_store_dwordx2 v[12:13], v[79:80], off
	s_or_b64 exec, exec, s[42:43]
	s_and_saveexec_b64 s[42:43], s[16:17]
	s_cbranch_execz .LBB1692_237
.LBB1692_296:
	v_sub_u32_e32 v12, v43, v10
	v_mov_b32_e32 v13, 0
	v_lshlrev_b64 v[12:13], 3, v[12:13]
	v_add_co_u32_e32 v12, vcc, v8, v12
	v_addc_co_u32_e32 v13, vcc, v9, v13, vcc
	global_store_dwordx2 v[12:13], v[81:82], off
	s_or_b64 exec, exec, s[42:43]
	s_and_saveexec_b64 s[42:43], s[14:15]
	s_cbranch_execz .LBB1692_238
.LBB1692_297:
	v_sub_u32_e32 v12, v42, v10
	v_mov_b32_e32 v13, 0
	v_lshlrev_b64 v[12:13], 3, v[12:13]
	v_add_co_u32_e32 v12, vcc, v8, v12
	v_addc_co_u32_e32 v13, vcc, v9, v13, vcc
	global_store_dwordx2 v[12:13], v[83:84], off
	s_or_b64 exec, exec, s[42:43]
	s_and_saveexec_b64 s[42:43], s[12:13]
	s_cbranch_execz .LBB1692_239
.LBB1692_298:
	v_sub_u32_e32 v12, v41, v10
	v_mov_b32_e32 v13, 0
	v_lshlrev_b64 v[12:13], 3, v[12:13]
	v_add_co_u32_e32 v12, vcc, v8, v12
	v_addc_co_u32_e32 v13, vcc, v9, v13, vcc
	global_store_dwordx2 v[12:13], v[85:86], off
	s_or_b64 exec, exec, s[42:43]
	s_and_saveexec_b64 s[42:43], s[8:9]
	s_cbranch_execz .LBB1692_240
.LBB1692_299:
	v_sub_u32_e32 v12, v40, v10
	v_mov_b32_e32 v13, 0
	v_lshlrev_b64 v[12:13], 3, v[12:13]
	v_add_co_u32_e32 v12, vcc, v8, v12
	v_addc_co_u32_e32 v13, vcc, v9, v13, vcc
	global_store_dwordx2 v[12:13], v[87:88], off
	s_or_b64 exec, exec, s[42:43]
	s_and_saveexec_b64 s[42:43], s[10:11]
	s_cbranch_execz .LBB1692_241
.LBB1692_300:
	v_sub_u32_e32 v12, v39, v10
	v_mov_b32_e32 v13, 0
	v_lshlrev_b64 v[12:13], 3, v[12:13]
	v_add_co_u32_e32 v12, vcc, v8, v12
	v_addc_co_u32_e32 v13, vcc, v9, v13, vcc
	global_store_dwordx2 v[12:13], v[89:90], off
	s_or_b64 exec, exec, s[42:43]
	s_and_saveexec_b64 s[42:43], s[6:7]
	s_cbranch_execnz .LBB1692_242
	s_branch .LBB1692_243
.LBB1692_301:
	v_sub_u32_e32 v11, v60, v10
	v_lshlrev_b32_e32 v11, 3, v11
	ds_write_b64 v11, v[91:92]
	s_or_b64 exec, exec, s[42:43]
	s_and_saveexec_b64 s[34:35], s[30:31]
	s_cbranch_execz .LBB1692_247
.LBB1692_302:
	v_sub_u32_e32 v11, v50, v10
	v_lshlrev_b32_e32 v11, 3, v11
	ds_write_b64 v11, v[67:68]
	s_or_b64 exec, exec, s[34:35]
	s_and_saveexec_b64 s[30:31], s[28:29]
	s_cbranch_execz .LBB1692_248
.LBB1692_303:
	v_sub_u32_e32 v11, v49, v10
	v_lshlrev_b32_e32 v11, 3, v11
	ds_write_b64 v11, v[69:70]
	s_or_b64 exec, exec, s[30:31]
	s_and_saveexec_b64 s[28:29], s[26:27]
	s_cbranch_execz .LBB1692_249
.LBB1692_304:
	v_sub_u32_e32 v11, v48, v10
	v_lshlrev_b32_e32 v11, 3, v11
	ds_write_b64 v11, v[71:72]
	s_or_b64 exec, exec, s[28:29]
	s_and_saveexec_b64 s[26:27], s[24:25]
	s_cbranch_execz .LBB1692_250
.LBB1692_305:
	v_sub_u32_e32 v11, v47, v10
	v_lshlrev_b32_e32 v11, 3, v11
	ds_write_b64 v11, v[73:74]
	s_or_b64 exec, exec, s[26:27]
	s_and_saveexec_b64 s[24:25], s[22:23]
	s_cbranch_execz .LBB1692_251
.LBB1692_306:
	v_sub_u32_e32 v11, v46, v10
	v_lshlrev_b32_e32 v11, 3, v11
	ds_write_b64 v11, v[75:76]
	s_or_b64 exec, exec, s[24:25]
	s_and_saveexec_b64 s[22:23], s[20:21]
	s_cbranch_execz .LBB1692_252
.LBB1692_307:
	v_sub_u32_e32 v11, v45, v10
	v_lshlrev_b32_e32 v11, 3, v11
	ds_write_b64 v11, v[77:78]
	s_or_b64 exec, exec, s[22:23]
	s_and_saveexec_b64 s[20:21], s[18:19]
	s_cbranch_execz .LBB1692_253
.LBB1692_308:
	v_sub_u32_e32 v11, v44, v10
	v_lshlrev_b32_e32 v11, 3, v11
	ds_write_b64 v11, v[79:80]
	s_or_b64 exec, exec, s[20:21]
	s_and_saveexec_b64 s[18:19], s[16:17]
	s_cbranch_execz .LBB1692_254
.LBB1692_309:
	v_sub_u32_e32 v11, v43, v10
	v_lshlrev_b32_e32 v11, 3, v11
	ds_write_b64 v11, v[81:82]
	s_or_b64 exec, exec, s[18:19]
	s_and_saveexec_b64 s[16:17], s[14:15]
	s_cbranch_execz .LBB1692_255
.LBB1692_310:
	v_sub_u32_e32 v11, v42, v10
	v_lshlrev_b32_e32 v11, 3, v11
	ds_write_b64 v11, v[83:84]
	s_or_b64 exec, exec, s[16:17]
	s_and_saveexec_b64 s[14:15], s[12:13]
	s_cbranch_execz .LBB1692_256
.LBB1692_311:
	v_sub_u32_e32 v11, v41, v10
	v_lshlrev_b32_e32 v11, 3, v11
	ds_write_b64 v11, v[85:86]
	s_or_b64 exec, exec, s[14:15]
	s_and_saveexec_b64 s[12:13], s[8:9]
	s_cbranch_execz .LBB1692_257
.LBB1692_312:
	v_sub_u32_e32 v11, v40, v10
	v_lshlrev_b32_e32 v11, 3, v11
	ds_write_b64 v11, v[87:88]
	s_or_b64 exec, exec, s[12:13]
	s_and_saveexec_b64 s[8:9], s[10:11]
	s_cbranch_execz .LBB1692_258
.LBB1692_313:
	v_sub_u32_e32 v11, v39, v10
	v_lshlrev_b32_e32 v11, 3, v11
	ds_write_b64 v11, v[89:90]
	s_or_b64 exec, exec, s[8:9]
	s_and_saveexec_b64 s[8:9], s[6:7]
	s_cbranch_execnz .LBB1692_259
	s_branch .LBB1692_260
	.section	.rodata,"a",@progbits
	.p2align	6, 0x0
	.amdhsa_kernel _ZN7rocprim17ROCPRIM_400000_NS6detail17trampoline_kernelINS0_14default_configENS1_29reduce_by_key_config_selectorIdlN6thrust23THRUST_200600_302600_NS4plusIlEEEEZZNS1_33reduce_by_key_impl_wrapped_configILNS1_25lookback_scan_determinismE0ES3_S9_PdNS6_17constant_iteratorIiNS6_11use_defaultESE_EENS6_10device_ptrIdEENSG_IlEEPmS8_NS6_8equal_toIdEEEE10hipError_tPvRmT2_T3_mT4_T5_T6_T7_T8_P12ihipStream_tbENKUlT_T0_E_clISt17integral_constantIbLb0EES13_EEDaSY_SZ_EUlSY_E_NS1_11comp_targetILNS1_3genE2ELNS1_11target_archE906ELNS1_3gpuE6ELNS1_3repE0EEENS1_30default_config_static_selectorELNS0_4arch9wavefront6targetE1EEEvT1_
		.amdhsa_group_segment_fixed_size 30720
		.amdhsa_private_segment_fixed_size 64
		.amdhsa_kernarg_size 144
		.amdhsa_user_sgpr_count 6
		.amdhsa_user_sgpr_private_segment_buffer 1
		.amdhsa_user_sgpr_dispatch_ptr 0
		.amdhsa_user_sgpr_queue_ptr 0
		.amdhsa_user_sgpr_kernarg_segment_ptr 1
		.amdhsa_user_sgpr_dispatch_id 0
		.amdhsa_user_sgpr_flat_scratch_init 0
		.amdhsa_user_sgpr_private_segment_size 0
		.amdhsa_uses_dynamic_stack 0
		.amdhsa_system_sgpr_private_segment_wavefront_offset 1
		.amdhsa_system_sgpr_workgroup_id_x 1
		.amdhsa_system_sgpr_workgroup_id_y 0
		.amdhsa_system_sgpr_workgroup_id_z 0
		.amdhsa_system_sgpr_workgroup_info 0
		.amdhsa_system_vgpr_workitem_id 0
		.amdhsa_next_free_vgpr 119
		.amdhsa_next_free_sgpr 98
		.amdhsa_reserve_vcc 1
		.amdhsa_reserve_flat_scratch 0
		.amdhsa_float_round_mode_32 0
		.amdhsa_float_round_mode_16_64 0
		.amdhsa_float_denorm_mode_32 3
		.amdhsa_float_denorm_mode_16_64 3
		.amdhsa_dx10_clamp 1
		.amdhsa_ieee_mode 1
		.amdhsa_fp16_overflow 0
		.amdhsa_exception_fp_ieee_invalid_op 0
		.amdhsa_exception_fp_denorm_src 0
		.amdhsa_exception_fp_ieee_div_zero 0
		.amdhsa_exception_fp_ieee_overflow 0
		.amdhsa_exception_fp_ieee_underflow 0
		.amdhsa_exception_fp_ieee_inexact 0
		.amdhsa_exception_int_div_zero 0
	.end_amdhsa_kernel
	.section	.text._ZN7rocprim17ROCPRIM_400000_NS6detail17trampoline_kernelINS0_14default_configENS1_29reduce_by_key_config_selectorIdlN6thrust23THRUST_200600_302600_NS4plusIlEEEEZZNS1_33reduce_by_key_impl_wrapped_configILNS1_25lookback_scan_determinismE0ES3_S9_PdNS6_17constant_iteratorIiNS6_11use_defaultESE_EENS6_10device_ptrIdEENSG_IlEEPmS8_NS6_8equal_toIdEEEE10hipError_tPvRmT2_T3_mT4_T5_T6_T7_T8_P12ihipStream_tbENKUlT_T0_E_clISt17integral_constantIbLb0EES13_EEDaSY_SZ_EUlSY_E_NS1_11comp_targetILNS1_3genE2ELNS1_11target_archE906ELNS1_3gpuE6ELNS1_3repE0EEENS1_30default_config_static_selectorELNS0_4arch9wavefront6targetE1EEEvT1_,"axG",@progbits,_ZN7rocprim17ROCPRIM_400000_NS6detail17trampoline_kernelINS0_14default_configENS1_29reduce_by_key_config_selectorIdlN6thrust23THRUST_200600_302600_NS4plusIlEEEEZZNS1_33reduce_by_key_impl_wrapped_configILNS1_25lookback_scan_determinismE0ES3_S9_PdNS6_17constant_iteratorIiNS6_11use_defaultESE_EENS6_10device_ptrIdEENSG_IlEEPmS8_NS6_8equal_toIdEEEE10hipError_tPvRmT2_T3_mT4_T5_T6_T7_T8_P12ihipStream_tbENKUlT_T0_E_clISt17integral_constantIbLb0EES13_EEDaSY_SZ_EUlSY_E_NS1_11comp_targetILNS1_3genE2ELNS1_11target_archE906ELNS1_3gpuE6ELNS1_3repE0EEENS1_30default_config_static_selectorELNS0_4arch9wavefront6targetE1EEEvT1_,comdat
.Lfunc_end1692:
	.size	_ZN7rocprim17ROCPRIM_400000_NS6detail17trampoline_kernelINS0_14default_configENS1_29reduce_by_key_config_selectorIdlN6thrust23THRUST_200600_302600_NS4plusIlEEEEZZNS1_33reduce_by_key_impl_wrapped_configILNS1_25lookback_scan_determinismE0ES3_S9_PdNS6_17constant_iteratorIiNS6_11use_defaultESE_EENS6_10device_ptrIdEENSG_IlEEPmS8_NS6_8equal_toIdEEEE10hipError_tPvRmT2_T3_mT4_T5_T6_T7_T8_P12ihipStream_tbENKUlT_T0_E_clISt17integral_constantIbLb0EES13_EEDaSY_SZ_EUlSY_E_NS1_11comp_targetILNS1_3genE2ELNS1_11target_archE906ELNS1_3gpuE6ELNS1_3repE0EEENS1_30default_config_static_selectorELNS0_4arch9wavefront6targetE1EEEvT1_, .Lfunc_end1692-_ZN7rocprim17ROCPRIM_400000_NS6detail17trampoline_kernelINS0_14default_configENS1_29reduce_by_key_config_selectorIdlN6thrust23THRUST_200600_302600_NS4plusIlEEEEZZNS1_33reduce_by_key_impl_wrapped_configILNS1_25lookback_scan_determinismE0ES3_S9_PdNS6_17constant_iteratorIiNS6_11use_defaultESE_EENS6_10device_ptrIdEENSG_IlEEPmS8_NS6_8equal_toIdEEEE10hipError_tPvRmT2_T3_mT4_T5_T6_T7_T8_P12ihipStream_tbENKUlT_T0_E_clISt17integral_constantIbLb0EES13_EEDaSY_SZ_EUlSY_E_NS1_11comp_targetILNS1_3genE2ELNS1_11target_archE906ELNS1_3gpuE6ELNS1_3repE0EEENS1_30default_config_static_selectorELNS0_4arch9wavefront6targetE1EEEvT1_
                                        ; -- End function
	.set _ZN7rocprim17ROCPRIM_400000_NS6detail17trampoline_kernelINS0_14default_configENS1_29reduce_by_key_config_selectorIdlN6thrust23THRUST_200600_302600_NS4plusIlEEEEZZNS1_33reduce_by_key_impl_wrapped_configILNS1_25lookback_scan_determinismE0ES3_S9_PdNS6_17constant_iteratorIiNS6_11use_defaultESE_EENS6_10device_ptrIdEENSG_IlEEPmS8_NS6_8equal_toIdEEEE10hipError_tPvRmT2_T3_mT4_T5_T6_T7_T8_P12ihipStream_tbENKUlT_T0_E_clISt17integral_constantIbLb0EES13_EEDaSY_SZ_EUlSY_E_NS1_11comp_targetILNS1_3genE2ELNS1_11target_archE906ELNS1_3gpuE6ELNS1_3repE0EEENS1_30default_config_static_selectorELNS0_4arch9wavefront6targetE1EEEvT1_.num_vgpr, 119
	.set _ZN7rocprim17ROCPRIM_400000_NS6detail17trampoline_kernelINS0_14default_configENS1_29reduce_by_key_config_selectorIdlN6thrust23THRUST_200600_302600_NS4plusIlEEEEZZNS1_33reduce_by_key_impl_wrapped_configILNS1_25lookback_scan_determinismE0ES3_S9_PdNS6_17constant_iteratorIiNS6_11use_defaultESE_EENS6_10device_ptrIdEENSG_IlEEPmS8_NS6_8equal_toIdEEEE10hipError_tPvRmT2_T3_mT4_T5_T6_T7_T8_P12ihipStream_tbENKUlT_T0_E_clISt17integral_constantIbLb0EES13_EEDaSY_SZ_EUlSY_E_NS1_11comp_targetILNS1_3genE2ELNS1_11target_archE906ELNS1_3gpuE6ELNS1_3repE0EEENS1_30default_config_static_selectorELNS0_4arch9wavefront6targetE1EEEvT1_.num_agpr, 0
	.set _ZN7rocprim17ROCPRIM_400000_NS6detail17trampoline_kernelINS0_14default_configENS1_29reduce_by_key_config_selectorIdlN6thrust23THRUST_200600_302600_NS4plusIlEEEEZZNS1_33reduce_by_key_impl_wrapped_configILNS1_25lookback_scan_determinismE0ES3_S9_PdNS6_17constant_iteratorIiNS6_11use_defaultESE_EENS6_10device_ptrIdEENSG_IlEEPmS8_NS6_8equal_toIdEEEE10hipError_tPvRmT2_T3_mT4_T5_T6_T7_T8_P12ihipStream_tbENKUlT_T0_E_clISt17integral_constantIbLb0EES13_EEDaSY_SZ_EUlSY_E_NS1_11comp_targetILNS1_3genE2ELNS1_11target_archE906ELNS1_3gpuE6ELNS1_3repE0EEENS1_30default_config_static_selectorELNS0_4arch9wavefront6targetE1EEEvT1_.numbered_sgpr, 66
	.set _ZN7rocprim17ROCPRIM_400000_NS6detail17trampoline_kernelINS0_14default_configENS1_29reduce_by_key_config_selectorIdlN6thrust23THRUST_200600_302600_NS4plusIlEEEEZZNS1_33reduce_by_key_impl_wrapped_configILNS1_25lookback_scan_determinismE0ES3_S9_PdNS6_17constant_iteratorIiNS6_11use_defaultESE_EENS6_10device_ptrIdEENSG_IlEEPmS8_NS6_8equal_toIdEEEE10hipError_tPvRmT2_T3_mT4_T5_T6_T7_T8_P12ihipStream_tbENKUlT_T0_E_clISt17integral_constantIbLb0EES13_EEDaSY_SZ_EUlSY_E_NS1_11comp_targetILNS1_3genE2ELNS1_11target_archE906ELNS1_3gpuE6ELNS1_3repE0EEENS1_30default_config_static_selectorELNS0_4arch9wavefront6targetE1EEEvT1_.num_named_barrier, 0
	.set _ZN7rocprim17ROCPRIM_400000_NS6detail17trampoline_kernelINS0_14default_configENS1_29reduce_by_key_config_selectorIdlN6thrust23THRUST_200600_302600_NS4plusIlEEEEZZNS1_33reduce_by_key_impl_wrapped_configILNS1_25lookback_scan_determinismE0ES3_S9_PdNS6_17constant_iteratorIiNS6_11use_defaultESE_EENS6_10device_ptrIdEENSG_IlEEPmS8_NS6_8equal_toIdEEEE10hipError_tPvRmT2_T3_mT4_T5_T6_T7_T8_P12ihipStream_tbENKUlT_T0_E_clISt17integral_constantIbLb0EES13_EEDaSY_SZ_EUlSY_E_NS1_11comp_targetILNS1_3genE2ELNS1_11target_archE906ELNS1_3gpuE6ELNS1_3repE0EEENS1_30default_config_static_selectorELNS0_4arch9wavefront6targetE1EEEvT1_.private_seg_size, 64
	.set _ZN7rocprim17ROCPRIM_400000_NS6detail17trampoline_kernelINS0_14default_configENS1_29reduce_by_key_config_selectorIdlN6thrust23THRUST_200600_302600_NS4plusIlEEEEZZNS1_33reduce_by_key_impl_wrapped_configILNS1_25lookback_scan_determinismE0ES3_S9_PdNS6_17constant_iteratorIiNS6_11use_defaultESE_EENS6_10device_ptrIdEENSG_IlEEPmS8_NS6_8equal_toIdEEEE10hipError_tPvRmT2_T3_mT4_T5_T6_T7_T8_P12ihipStream_tbENKUlT_T0_E_clISt17integral_constantIbLb0EES13_EEDaSY_SZ_EUlSY_E_NS1_11comp_targetILNS1_3genE2ELNS1_11target_archE906ELNS1_3gpuE6ELNS1_3repE0EEENS1_30default_config_static_selectorELNS0_4arch9wavefront6targetE1EEEvT1_.uses_vcc, 1
	.set _ZN7rocprim17ROCPRIM_400000_NS6detail17trampoline_kernelINS0_14default_configENS1_29reduce_by_key_config_selectorIdlN6thrust23THRUST_200600_302600_NS4plusIlEEEEZZNS1_33reduce_by_key_impl_wrapped_configILNS1_25lookback_scan_determinismE0ES3_S9_PdNS6_17constant_iteratorIiNS6_11use_defaultESE_EENS6_10device_ptrIdEENSG_IlEEPmS8_NS6_8equal_toIdEEEE10hipError_tPvRmT2_T3_mT4_T5_T6_T7_T8_P12ihipStream_tbENKUlT_T0_E_clISt17integral_constantIbLb0EES13_EEDaSY_SZ_EUlSY_E_NS1_11comp_targetILNS1_3genE2ELNS1_11target_archE906ELNS1_3gpuE6ELNS1_3repE0EEENS1_30default_config_static_selectorELNS0_4arch9wavefront6targetE1EEEvT1_.uses_flat_scratch, 0
	.set _ZN7rocprim17ROCPRIM_400000_NS6detail17trampoline_kernelINS0_14default_configENS1_29reduce_by_key_config_selectorIdlN6thrust23THRUST_200600_302600_NS4plusIlEEEEZZNS1_33reduce_by_key_impl_wrapped_configILNS1_25lookback_scan_determinismE0ES3_S9_PdNS6_17constant_iteratorIiNS6_11use_defaultESE_EENS6_10device_ptrIdEENSG_IlEEPmS8_NS6_8equal_toIdEEEE10hipError_tPvRmT2_T3_mT4_T5_T6_T7_T8_P12ihipStream_tbENKUlT_T0_E_clISt17integral_constantIbLb0EES13_EEDaSY_SZ_EUlSY_E_NS1_11comp_targetILNS1_3genE2ELNS1_11target_archE906ELNS1_3gpuE6ELNS1_3repE0EEENS1_30default_config_static_selectorELNS0_4arch9wavefront6targetE1EEEvT1_.has_dyn_sized_stack, 0
	.set _ZN7rocprim17ROCPRIM_400000_NS6detail17trampoline_kernelINS0_14default_configENS1_29reduce_by_key_config_selectorIdlN6thrust23THRUST_200600_302600_NS4plusIlEEEEZZNS1_33reduce_by_key_impl_wrapped_configILNS1_25lookback_scan_determinismE0ES3_S9_PdNS6_17constant_iteratorIiNS6_11use_defaultESE_EENS6_10device_ptrIdEENSG_IlEEPmS8_NS6_8equal_toIdEEEE10hipError_tPvRmT2_T3_mT4_T5_T6_T7_T8_P12ihipStream_tbENKUlT_T0_E_clISt17integral_constantIbLb0EES13_EEDaSY_SZ_EUlSY_E_NS1_11comp_targetILNS1_3genE2ELNS1_11target_archE906ELNS1_3gpuE6ELNS1_3repE0EEENS1_30default_config_static_selectorELNS0_4arch9wavefront6targetE1EEEvT1_.has_recursion, 0
	.set _ZN7rocprim17ROCPRIM_400000_NS6detail17trampoline_kernelINS0_14default_configENS1_29reduce_by_key_config_selectorIdlN6thrust23THRUST_200600_302600_NS4plusIlEEEEZZNS1_33reduce_by_key_impl_wrapped_configILNS1_25lookback_scan_determinismE0ES3_S9_PdNS6_17constant_iteratorIiNS6_11use_defaultESE_EENS6_10device_ptrIdEENSG_IlEEPmS8_NS6_8equal_toIdEEEE10hipError_tPvRmT2_T3_mT4_T5_T6_T7_T8_P12ihipStream_tbENKUlT_T0_E_clISt17integral_constantIbLb0EES13_EEDaSY_SZ_EUlSY_E_NS1_11comp_targetILNS1_3genE2ELNS1_11target_archE906ELNS1_3gpuE6ELNS1_3repE0EEENS1_30default_config_static_selectorELNS0_4arch9wavefront6targetE1EEEvT1_.has_indirect_call, 0
	.section	.AMDGPU.csdata,"",@progbits
; Kernel info:
; codeLenInByte = 16116
; TotalNumSgprs: 70
; NumVgprs: 119
; ScratchSize: 64
; MemoryBound: 0
; FloatMode: 240
; IeeeMode: 1
; LDSByteSize: 30720 bytes/workgroup (compile time only)
; SGPRBlocks: 12
; VGPRBlocks: 29
; NumSGPRsForWavesPerEU: 102
; NumVGPRsForWavesPerEU: 119
; Occupancy: 2
; WaveLimiterHint : 1
; COMPUTE_PGM_RSRC2:SCRATCH_EN: 1
; COMPUTE_PGM_RSRC2:USER_SGPR: 6
; COMPUTE_PGM_RSRC2:TRAP_HANDLER: 0
; COMPUTE_PGM_RSRC2:TGID_X_EN: 1
; COMPUTE_PGM_RSRC2:TGID_Y_EN: 0
; COMPUTE_PGM_RSRC2:TGID_Z_EN: 0
; COMPUTE_PGM_RSRC2:TIDIG_COMP_CNT: 0
	.section	.text._ZN7rocprim17ROCPRIM_400000_NS6detail17trampoline_kernelINS0_14default_configENS1_29reduce_by_key_config_selectorIdlN6thrust23THRUST_200600_302600_NS4plusIlEEEEZZNS1_33reduce_by_key_impl_wrapped_configILNS1_25lookback_scan_determinismE0ES3_S9_PdNS6_17constant_iteratorIiNS6_11use_defaultESE_EENS6_10device_ptrIdEENSG_IlEEPmS8_NS6_8equal_toIdEEEE10hipError_tPvRmT2_T3_mT4_T5_T6_T7_T8_P12ihipStream_tbENKUlT_T0_E_clISt17integral_constantIbLb0EES13_EEDaSY_SZ_EUlSY_E_NS1_11comp_targetILNS1_3genE10ELNS1_11target_archE1201ELNS1_3gpuE5ELNS1_3repE0EEENS1_30default_config_static_selectorELNS0_4arch9wavefront6targetE1EEEvT1_,"axG",@progbits,_ZN7rocprim17ROCPRIM_400000_NS6detail17trampoline_kernelINS0_14default_configENS1_29reduce_by_key_config_selectorIdlN6thrust23THRUST_200600_302600_NS4plusIlEEEEZZNS1_33reduce_by_key_impl_wrapped_configILNS1_25lookback_scan_determinismE0ES3_S9_PdNS6_17constant_iteratorIiNS6_11use_defaultESE_EENS6_10device_ptrIdEENSG_IlEEPmS8_NS6_8equal_toIdEEEE10hipError_tPvRmT2_T3_mT4_T5_T6_T7_T8_P12ihipStream_tbENKUlT_T0_E_clISt17integral_constantIbLb0EES13_EEDaSY_SZ_EUlSY_E_NS1_11comp_targetILNS1_3genE10ELNS1_11target_archE1201ELNS1_3gpuE5ELNS1_3repE0EEENS1_30default_config_static_selectorELNS0_4arch9wavefront6targetE1EEEvT1_,comdat
	.protected	_ZN7rocprim17ROCPRIM_400000_NS6detail17trampoline_kernelINS0_14default_configENS1_29reduce_by_key_config_selectorIdlN6thrust23THRUST_200600_302600_NS4plusIlEEEEZZNS1_33reduce_by_key_impl_wrapped_configILNS1_25lookback_scan_determinismE0ES3_S9_PdNS6_17constant_iteratorIiNS6_11use_defaultESE_EENS6_10device_ptrIdEENSG_IlEEPmS8_NS6_8equal_toIdEEEE10hipError_tPvRmT2_T3_mT4_T5_T6_T7_T8_P12ihipStream_tbENKUlT_T0_E_clISt17integral_constantIbLb0EES13_EEDaSY_SZ_EUlSY_E_NS1_11comp_targetILNS1_3genE10ELNS1_11target_archE1201ELNS1_3gpuE5ELNS1_3repE0EEENS1_30default_config_static_selectorELNS0_4arch9wavefront6targetE1EEEvT1_ ; -- Begin function _ZN7rocprim17ROCPRIM_400000_NS6detail17trampoline_kernelINS0_14default_configENS1_29reduce_by_key_config_selectorIdlN6thrust23THRUST_200600_302600_NS4plusIlEEEEZZNS1_33reduce_by_key_impl_wrapped_configILNS1_25lookback_scan_determinismE0ES3_S9_PdNS6_17constant_iteratorIiNS6_11use_defaultESE_EENS6_10device_ptrIdEENSG_IlEEPmS8_NS6_8equal_toIdEEEE10hipError_tPvRmT2_T3_mT4_T5_T6_T7_T8_P12ihipStream_tbENKUlT_T0_E_clISt17integral_constantIbLb0EES13_EEDaSY_SZ_EUlSY_E_NS1_11comp_targetILNS1_3genE10ELNS1_11target_archE1201ELNS1_3gpuE5ELNS1_3repE0EEENS1_30default_config_static_selectorELNS0_4arch9wavefront6targetE1EEEvT1_
	.globl	_ZN7rocprim17ROCPRIM_400000_NS6detail17trampoline_kernelINS0_14default_configENS1_29reduce_by_key_config_selectorIdlN6thrust23THRUST_200600_302600_NS4plusIlEEEEZZNS1_33reduce_by_key_impl_wrapped_configILNS1_25lookback_scan_determinismE0ES3_S9_PdNS6_17constant_iteratorIiNS6_11use_defaultESE_EENS6_10device_ptrIdEENSG_IlEEPmS8_NS6_8equal_toIdEEEE10hipError_tPvRmT2_T3_mT4_T5_T6_T7_T8_P12ihipStream_tbENKUlT_T0_E_clISt17integral_constantIbLb0EES13_EEDaSY_SZ_EUlSY_E_NS1_11comp_targetILNS1_3genE10ELNS1_11target_archE1201ELNS1_3gpuE5ELNS1_3repE0EEENS1_30default_config_static_selectorELNS0_4arch9wavefront6targetE1EEEvT1_
	.p2align	8
	.type	_ZN7rocprim17ROCPRIM_400000_NS6detail17trampoline_kernelINS0_14default_configENS1_29reduce_by_key_config_selectorIdlN6thrust23THRUST_200600_302600_NS4plusIlEEEEZZNS1_33reduce_by_key_impl_wrapped_configILNS1_25lookback_scan_determinismE0ES3_S9_PdNS6_17constant_iteratorIiNS6_11use_defaultESE_EENS6_10device_ptrIdEENSG_IlEEPmS8_NS6_8equal_toIdEEEE10hipError_tPvRmT2_T3_mT4_T5_T6_T7_T8_P12ihipStream_tbENKUlT_T0_E_clISt17integral_constantIbLb0EES13_EEDaSY_SZ_EUlSY_E_NS1_11comp_targetILNS1_3genE10ELNS1_11target_archE1201ELNS1_3gpuE5ELNS1_3repE0EEENS1_30default_config_static_selectorELNS0_4arch9wavefront6targetE1EEEvT1_,@function
_ZN7rocprim17ROCPRIM_400000_NS6detail17trampoline_kernelINS0_14default_configENS1_29reduce_by_key_config_selectorIdlN6thrust23THRUST_200600_302600_NS4plusIlEEEEZZNS1_33reduce_by_key_impl_wrapped_configILNS1_25lookback_scan_determinismE0ES3_S9_PdNS6_17constant_iteratorIiNS6_11use_defaultESE_EENS6_10device_ptrIdEENSG_IlEEPmS8_NS6_8equal_toIdEEEE10hipError_tPvRmT2_T3_mT4_T5_T6_T7_T8_P12ihipStream_tbENKUlT_T0_E_clISt17integral_constantIbLb0EES13_EEDaSY_SZ_EUlSY_E_NS1_11comp_targetILNS1_3genE10ELNS1_11target_archE1201ELNS1_3gpuE5ELNS1_3repE0EEENS1_30default_config_static_selectorELNS0_4arch9wavefront6targetE1EEEvT1_: ; @_ZN7rocprim17ROCPRIM_400000_NS6detail17trampoline_kernelINS0_14default_configENS1_29reduce_by_key_config_selectorIdlN6thrust23THRUST_200600_302600_NS4plusIlEEEEZZNS1_33reduce_by_key_impl_wrapped_configILNS1_25lookback_scan_determinismE0ES3_S9_PdNS6_17constant_iteratorIiNS6_11use_defaultESE_EENS6_10device_ptrIdEENSG_IlEEPmS8_NS6_8equal_toIdEEEE10hipError_tPvRmT2_T3_mT4_T5_T6_T7_T8_P12ihipStream_tbENKUlT_T0_E_clISt17integral_constantIbLb0EES13_EEDaSY_SZ_EUlSY_E_NS1_11comp_targetILNS1_3genE10ELNS1_11target_archE1201ELNS1_3gpuE5ELNS1_3repE0EEENS1_30default_config_static_selectorELNS0_4arch9wavefront6targetE1EEEvT1_
; %bb.0:
	.section	.rodata,"a",@progbits
	.p2align	6, 0x0
	.amdhsa_kernel _ZN7rocprim17ROCPRIM_400000_NS6detail17trampoline_kernelINS0_14default_configENS1_29reduce_by_key_config_selectorIdlN6thrust23THRUST_200600_302600_NS4plusIlEEEEZZNS1_33reduce_by_key_impl_wrapped_configILNS1_25lookback_scan_determinismE0ES3_S9_PdNS6_17constant_iteratorIiNS6_11use_defaultESE_EENS6_10device_ptrIdEENSG_IlEEPmS8_NS6_8equal_toIdEEEE10hipError_tPvRmT2_T3_mT4_T5_T6_T7_T8_P12ihipStream_tbENKUlT_T0_E_clISt17integral_constantIbLb0EES13_EEDaSY_SZ_EUlSY_E_NS1_11comp_targetILNS1_3genE10ELNS1_11target_archE1201ELNS1_3gpuE5ELNS1_3repE0EEENS1_30default_config_static_selectorELNS0_4arch9wavefront6targetE1EEEvT1_
		.amdhsa_group_segment_fixed_size 0
		.amdhsa_private_segment_fixed_size 0
		.amdhsa_kernarg_size 144
		.amdhsa_user_sgpr_count 6
		.amdhsa_user_sgpr_private_segment_buffer 1
		.amdhsa_user_sgpr_dispatch_ptr 0
		.amdhsa_user_sgpr_queue_ptr 0
		.amdhsa_user_sgpr_kernarg_segment_ptr 1
		.amdhsa_user_sgpr_dispatch_id 0
		.amdhsa_user_sgpr_flat_scratch_init 0
		.amdhsa_user_sgpr_private_segment_size 0
		.amdhsa_uses_dynamic_stack 0
		.amdhsa_system_sgpr_private_segment_wavefront_offset 0
		.amdhsa_system_sgpr_workgroup_id_x 1
		.amdhsa_system_sgpr_workgroup_id_y 0
		.amdhsa_system_sgpr_workgroup_id_z 0
		.amdhsa_system_sgpr_workgroup_info 0
		.amdhsa_system_vgpr_workitem_id 0
		.amdhsa_next_free_vgpr 1
		.amdhsa_next_free_sgpr 0
		.amdhsa_reserve_vcc 0
		.amdhsa_reserve_flat_scratch 0
		.amdhsa_float_round_mode_32 0
		.amdhsa_float_round_mode_16_64 0
		.amdhsa_float_denorm_mode_32 3
		.amdhsa_float_denorm_mode_16_64 3
		.amdhsa_dx10_clamp 1
		.amdhsa_ieee_mode 1
		.amdhsa_fp16_overflow 0
		.amdhsa_exception_fp_ieee_invalid_op 0
		.amdhsa_exception_fp_denorm_src 0
		.amdhsa_exception_fp_ieee_div_zero 0
		.amdhsa_exception_fp_ieee_overflow 0
		.amdhsa_exception_fp_ieee_underflow 0
		.amdhsa_exception_fp_ieee_inexact 0
		.amdhsa_exception_int_div_zero 0
	.end_amdhsa_kernel
	.section	.text._ZN7rocprim17ROCPRIM_400000_NS6detail17trampoline_kernelINS0_14default_configENS1_29reduce_by_key_config_selectorIdlN6thrust23THRUST_200600_302600_NS4plusIlEEEEZZNS1_33reduce_by_key_impl_wrapped_configILNS1_25lookback_scan_determinismE0ES3_S9_PdNS6_17constant_iteratorIiNS6_11use_defaultESE_EENS6_10device_ptrIdEENSG_IlEEPmS8_NS6_8equal_toIdEEEE10hipError_tPvRmT2_T3_mT4_T5_T6_T7_T8_P12ihipStream_tbENKUlT_T0_E_clISt17integral_constantIbLb0EES13_EEDaSY_SZ_EUlSY_E_NS1_11comp_targetILNS1_3genE10ELNS1_11target_archE1201ELNS1_3gpuE5ELNS1_3repE0EEENS1_30default_config_static_selectorELNS0_4arch9wavefront6targetE1EEEvT1_,"axG",@progbits,_ZN7rocprim17ROCPRIM_400000_NS6detail17trampoline_kernelINS0_14default_configENS1_29reduce_by_key_config_selectorIdlN6thrust23THRUST_200600_302600_NS4plusIlEEEEZZNS1_33reduce_by_key_impl_wrapped_configILNS1_25lookback_scan_determinismE0ES3_S9_PdNS6_17constant_iteratorIiNS6_11use_defaultESE_EENS6_10device_ptrIdEENSG_IlEEPmS8_NS6_8equal_toIdEEEE10hipError_tPvRmT2_T3_mT4_T5_T6_T7_T8_P12ihipStream_tbENKUlT_T0_E_clISt17integral_constantIbLb0EES13_EEDaSY_SZ_EUlSY_E_NS1_11comp_targetILNS1_3genE10ELNS1_11target_archE1201ELNS1_3gpuE5ELNS1_3repE0EEENS1_30default_config_static_selectorELNS0_4arch9wavefront6targetE1EEEvT1_,comdat
.Lfunc_end1693:
	.size	_ZN7rocprim17ROCPRIM_400000_NS6detail17trampoline_kernelINS0_14default_configENS1_29reduce_by_key_config_selectorIdlN6thrust23THRUST_200600_302600_NS4plusIlEEEEZZNS1_33reduce_by_key_impl_wrapped_configILNS1_25lookback_scan_determinismE0ES3_S9_PdNS6_17constant_iteratorIiNS6_11use_defaultESE_EENS6_10device_ptrIdEENSG_IlEEPmS8_NS6_8equal_toIdEEEE10hipError_tPvRmT2_T3_mT4_T5_T6_T7_T8_P12ihipStream_tbENKUlT_T0_E_clISt17integral_constantIbLb0EES13_EEDaSY_SZ_EUlSY_E_NS1_11comp_targetILNS1_3genE10ELNS1_11target_archE1201ELNS1_3gpuE5ELNS1_3repE0EEENS1_30default_config_static_selectorELNS0_4arch9wavefront6targetE1EEEvT1_, .Lfunc_end1693-_ZN7rocprim17ROCPRIM_400000_NS6detail17trampoline_kernelINS0_14default_configENS1_29reduce_by_key_config_selectorIdlN6thrust23THRUST_200600_302600_NS4plusIlEEEEZZNS1_33reduce_by_key_impl_wrapped_configILNS1_25lookback_scan_determinismE0ES3_S9_PdNS6_17constant_iteratorIiNS6_11use_defaultESE_EENS6_10device_ptrIdEENSG_IlEEPmS8_NS6_8equal_toIdEEEE10hipError_tPvRmT2_T3_mT4_T5_T6_T7_T8_P12ihipStream_tbENKUlT_T0_E_clISt17integral_constantIbLb0EES13_EEDaSY_SZ_EUlSY_E_NS1_11comp_targetILNS1_3genE10ELNS1_11target_archE1201ELNS1_3gpuE5ELNS1_3repE0EEENS1_30default_config_static_selectorELNS0_4arch9wavefront6targetE1EEEvT1_
                                        ; -- End function
	.set _ZN7rocprim17ROCPRIM_400000_NS6detail17trampoline_kernelINS0_14default_configENS1_29reduce_by_key_config_selectorIdlN6thrust23THRUST_200600_302600_NS4plusIlEEEEZZNS1_33reduce_by_key_impl_wrapped_configILNS1_25lookback_scan_determinismE0ES3_S9_PdNS6_17constant_iteratorIiNS6_11use_defaultESE_EENS6_10device_ptrIdEENSG_IlEEPmS8_NS6_8equal_toIdEEEE10hipError_tPvRmT2_T3_mT4_T5_T6_T7_T8_P12ihipStream_tbENKUlT_T0_E_clISt17integral_constantIbLb0EES13_EEDaSY_SZ_EUlSY_E_NS1_11comp_targetILNS1_3genE10ELNS1_11target_archE1201ELNS1_3gpuE5ELNS1_3repE0EEENS1_30default_config_static_selectorELNS0_4arch9wavefront6targetE1EEEvT1_.num_vgpr, 0
	.set _ZN7rocprim17ROCPRIM_400000_NS6detail17trampoline_kernelINS0_14default_configENS1_29reduce_by_key_config_selectorIdlN6thrust23THRUST_200600_302600_NS4plusIlEEEEZZNS1_33reduce_by_key_impl_wrapped_configILNS1_25lookback_scan_determinismE0ES3_S9_PdNS6_17constant_iteratorIiNS6_11use_defaultESE_EENS6_10device_ptrIdEENSG_IlEEPmS8_NS6_8equal_toIdEEEE10hipError_tPvRmT2_T3_mT4_T5_T6_T7_T8_P12ihipStream_tbENKUlT_T0_E_clISt17integral_constantIbLb0EES13_EEDaSY_SZ_EUlSY_E_NS1_11comp_targetILNS1_3genE10ELNS1_11target_archE1201ELNS1_3gpuE5ELNS1_3repE0EEENS1_30default_config_static_selectorELNS0_4arch9wavefront6targetE1EEEvT1_.num_agpr, 0
	.set _ZN7rocprim17ROCPRIM_400000_NS6detail17trampoline_kernelINS0_14default_configENS1_29reduce_by_key_config_selectorIdlN6thrust23THRUST_200600_302600_NS4plusIlEEEEZZNS1_33reduce_by_key_impl_wrapped_configILNS1_25lookback_scan_determinismE0ES3_S9_PdNS6_17constant_iteratorIiNS6_11use_defaultESE_EENS6_10device_ptrIdEENSG_IlEEPmS8_NS6_8equal_toIdEEEE10hipError_tPvRmT2_T3_mT4_T5_T6_T7_T8_P12ihipStream_tbENKUlT_T0_E_clISt17integral_constantIbLb0EES13_EEDaSY_SZ_EUlSY_E_NS1_11comp_targetILNS1_3genE10ELNS1_11target_archE1201ELNS1_3gpuE5ELNS1_3repE0EEENS1_30default_config_static_selectorELNS0_4arch9wavefront6targetE1EEEvT1_.numbered_sgpr, 0
	.set _ZN7rocprim17ROCPRIM_400000_NS6detail17trampoline_kernelINS0_14default_configENS1_29reduce_by_key_config_selectorIdlN6thrust23THRUST_200600_302600_NS4plusIlEEEEZZNS1_33reduce_by_key_impl_wrapped_configILNS1_25lookback_scan_determinismE0ES3_S9_PdNS6_17constant_iteratorIiNS6_11use_defaultESE_EENS6_10device_ptrIdEENSG_IlEEPmS8_NS6_8equal_toIdEEEE10hipError_tPvRmT2_T3_mT4_T5_T6_T7_T8_P12ihipStream_tbENKUlT_T0_E_clISt17integral_constantIbLb0EES13_EEDaSY_SZ_EUlSY_E_NS1_11comp_targetILNS1_3genE10ELNS1_11target_archE1201ELNS1_3gpuE5ELNS1_3repE0EEENS1_30default_config_static_selectorELNS0_4arch9wavefront6targetE1EEEvT1_.num_named_barrier, 0
	.set _ZN7rocprim17ROCPRIM_400000_NS6detail17trampoline_kernelINS0_14default_configENS1_29reduce_by_key_config_selectorIdlN6thrust23THRUST_200600_302600_NS4plusIlEEEEZZNS1_33reduce_by_key_impl_wrapped_configILNS1_25lookback_scan_determinismE0ES3_S9_PdNS6_17constant_iteratorIiNS6_11use_defaultESE_EENS6_10device_ptrIdEENSG_IlEEPmS8_NS6_8equal_toIdEEEE10hipError_tPvRmT2_T3_mT4_T5_T6_T7_T8_P12ihipStream_tbENKUlT_T0_E_clISt17integral_constantIbLb0EES13_EEDaSY_SZ_EUlSY_E_NS1_11comp_targetILNS1_3genE10ELNS1_11target_archE1201ELNS1_3gpuE5ELNS1_3repE0EEENS1_30default_config_static_selectorELNS0_4arch9wavefront6targetE1EEEvT1_.private_seg_size, 0
	.set _ZN7rocprim17ROCPRIM_400000_NS6detail17trampoline_kernelINS0_14default_configENS1_29reduce_by_key_config_selectorIdlN6thrust23THRUST_200600_302600_NS4plusIlEEEEZZNS1_33reduce_by_key_impl_wrapped_configILNS1_25lookback_scan_determinismE0ES3_S9_PdNS6_17constant_iteratorIiNS6_11use_defaultESE_EENS6_10device_ptrIdEENSG_IlEEPmS8_NS6_8equal_toIdEEEE10hipError_tPvRmT2_T3_mT4_T5_T6_T7_T8_P12ihipStream_tbENKUlT_T0_E_clISt17integral_constantIbLb0EES13_EEDaSY_SZ_EUlSY_E_NS1_11comp_targetILNS1_3genE10ELNS1_11target_archE1201ELNS1_3gpuE5ELNS1_3repE0EEENS1_30default_config_static_selectorELNS0_4arch9wavefront6targetE1EEEvT1_.uses_vcc, 0
	.set _ZN7rocprim17ROCPRIM_400000_NS6detail17trampoline_kernelINS0_14default_configENS1_29reduce_by_key_config_selectorIdlN6thrust23THRUST_200600_302600_NS4plusIlEEEEZZNS1_33reduce_by_key_impl_wrapped_configILNS1_25lookback_scan_determinismE0ES3_S9_PdNS6_17constant_iteratorIiNS6_11use_defaultESE_EENS6_10device_ptrIdEENSG_IlEEPmS8_NS6_8equal_toIdEEEE10hipError_tPvRmT2_T3_mT4_T5_T6_T7_T8_P12ihipStream_tbENKUlT_T0_E_clISt17integral_constantIbLb0EES13_EEDaSY_SZ_EUlSY_E_NS1_11comp_targetILNS1_3genE10ELNS1_11target_archE1201ELNS1_3gpuE5ELNS1_3repE0EEENS1_30default_config_static_selectorELNS0_4arch9wavefront6targetE1EEEvT1_.uses_flat_scratch, 0
	.set _ZN7rocprim17ROCPRIM_400000_NS6detail17trampoline_kernelINS0_14default_configENS1_29reduce_by_key_config_selectorIdlN6thrust23THRUST_200600_302600_NS4plusIlEEEEZZNS1_33reduce_by_key_impl_wrapped_configILNS1_25lookback_scan_determinismE0ES3_S9_PdNS6_17constant_iteratorIiNS6_11use_defaultESE_EENS6_10device_ptrIdEENSG_IlEEPmS8_NS6_8equal_toIdEEEE10hipError_tPvRmT2_T3_mT4_T5_T6_T7_T8_P12ihipStream_tbENKUlT_T0_E_clISt17integral_constantIbLb0EES13_EEDaSY_SZ_EUlSY_E_NS1_11comp_targetILNS1_3genE10ELNS1_11target_archE1201ELNS1_3gpuE5ELNS1_3repE0EEENS1_30default_config_static_selectorELNS0_4arch9wavefront6targetE1EEEvT1_.has_dyn_sized_stack, 0
	.set _ZN7rocprim17ROCPRIM_400000_NS6detail17trampoline_kernelINS0_14default_configENS1_29reduce_by_key_config_selectorIdlN6thrust23THRUST_200600_302600_NS4plusIlEEEEZZNS1_33reduce_by_key_impl_wrapped_configILNS1_25lookback_scan_determinismE0ES3_S9_PdNS6_17constant_iteratorIiNS6_11use_defaultESE_EENS6_10device_ptrIdEENSG_IlEEPmS8_NS6_8equal_toIdEEEE10hipError_tPvRmT2_T3_mT4_T5_T6_T7_T8_P12ihipStream_tbENKUlT_T0_E_clISt17integral_constantIbLb0EES13_EEDaSY_SZ_EUlSY_E_NS1_11comp_targetILNS1_3genE10ELNS1_11target_archE1201ELNS1_3gpuE5ELNS1_3repE0EEENS1_30default_config_static_selectorELNS0_4arch9wavefront6targetE1EEEvT1_.has_recursion, 0
	.set _ZN7rocprim17ROCPRIM_400000_NS6detail17trampoline_kernelINS0_14default_configENS1_29reduce_by_key_config_selectorIdlN6thrust23THRUST_200600_302600_NS4plusIlEEEEZZNS1_33reduce_by_key_impl_wrapped_configILNS1_25lookback_scan_determinismE0ES3_S9_PdNS6_17constant_iteratorIiNS6_11use_defaultESE_EENS6_10device_ptrIdEENSG_IlEEPmS8_NS6_8equal_toIdEEEE10hipError_tPvRmT2_T3_mT4_T5_T6_T7_T8_P12ihipStream_tbENKUlT_T0_E_clISt17integral_constantIbLb0EES13_EEDaSY_SZ_EUlSY_E_NS1_11comp_targetILNS1_3genE10ELNS1_11target_archE1201ELNS1_3gpuE5ELNS1_3repE0EEENS1_30default_config_static_selectorELNS0_4arch9wavefront6targetE1EEEvT1_.has_indirect_call, 0
	.section	.AMDGPU.csdata,"",@progbits
; Kernel info:
; codeLenInByte = 0
; TotalNumSgprs: 4
; NumVgprs: 0
; ScratchSize: 0
; MemoryBound: 0
; FloatMode: 240
; IeeeMode: 1
; LDSByteSize: 0 bytes/workgroup (compile time only)
; SGPRBlocks: 0
; VGPRBlocks: 0
; NumSGPRsForWavesPerEU: 4
; NumVGPRsForWavesPerEU: 1
; Occupancy: 10
; WaveLimiterHint : 0
; COMPUTE_PGM_RSRC2:SCRATCH_EN: 0
; COMPUTE_PGM_RSRC2:USER_SGPR: 6
; COMPUTE_PGM_RSRC2:TRAP_HANDLER: 0
; COMPUTE_PGM_RSRC2:TGID_X_EN: 1
; COMPUTE_PGM_RSRC2:TGID_Y_EN: 0
; COMPUTE_PGM_RSRC2:TGID_Z_EN: 0
; COMPUTE_PGM_RSRC2:TIDIG_COMP_CNT: 0
	.section	.text._ZN7rocprim17ROCPRIM_400000_NS6detail17trampoline_kernelINS0_14default_configENS1_29reduce_by_key_config_selectorIdlN6thrust23THRUST_200600_302600_NS4plusIlEEEEZZNS1_33reduce_by_key_impl_wrapped_configILNS1_25lookback_scan_determinismE0ES3_S9_PdNS6_17constant_iteratorIiNS6_11use_defaultESE_EENS6_10device_ptrIdEENSG_IlEEPmS8_NS6_8equal_toIdEEEE10hipError_tPvRmT2_T3_mT4_T5_T6_T7_T8_P12ihipStream_tbENKUlT_T0_E_clISt17integral_constantIbLb0EES13_EEDaSY_SZ_EUlSY_E_NS1_11comp_targetILNS1_3genE10ELNS1_11target_archE1200ELNS1_3gpuE4ELNS1_3repE0EEENS1_30default_config_static_selectorELNS0_4arch9wavefront6targetE1EEEvT1_,"axG",@progbits,_ZN7rocprim17ROCPRIM_400000_NS6detail17trampoline_kernelINS0_14default_configENS1_29reduce_by_key_config_selectorIdlN6thrust23THRUST_200600_302600_NS4plusIlEEEEZZNS1_33reduce_by_key_impl_wrapped_configILNS1_25lookback_scan_determinismE0ES3_S9_PdNS6_17constant_iteratorIiNS6_11use_defaultESE_EENS6_10device_ptrIdEENSG_IlEEPmS8_NS6_8equal_toIdEEEE10hipError_tPvRmT2_T3_mT4_T5_T6_T7_T8_P12ihipStream_tbENKUlT_T0_E_clISt17integral_constantIbLb0EES13_EEDaSY_SZ_EUlSY_E_NS1_11comp_targetILNS1_3genE10ELNS1_11target_archE1200ELNS1_3gpuE4ELNS1_3repE0EEENS1_30default_config_static_selectorELNS0_4arch9wavefront6targetE1EEEvT1_,comdat
	.protected	_ZN7rocprim17ROCPRIM_400000_NS6detail17trampoline_kernelINS0_14default_configENS1_29reduce_by_key_config_selectorIdlN6thrust23THRUST_200600_302600_NS4plusIlEEEEZZNS1_33reduce_by_key_impl_wrapped_configILNS1_25lookback_scan_determinismE0ES3_S9_PdNS6_17constant_iteratorIiNS6_11use_defaultESE_EENS6_10device_ptrIdEENSG_IlEEPmS8_NS6_8equal_toIdEEEE10hipError_tPvRmT2_T3_mT4_T5_T6_T7_T8_P12ihipStream_tbENKUlT_T0_E_clISt17integral_constantIbLb0EES13_EEDaSY_SZ_EUlSY_E_NS1_11comp_targetILNS1_3genE10ELNS1_11target_archE1200ELNS1_3gpuE4ELNS1_3repE0EEENS1_30default_config_static_selectorELNS0_4arch9wavefront6targetE1EEEvT1_ ; -- Begin function _ZN7rocprim17ROCPRIM_400000_NS6detail17trampoline_kernelINS0_14default_configENS1_29reduce_by_key_config_selectorIdlN6thrust23THRUST_200600_302600_NS4plusIlEEEEZZNS1_33reduce_by_key_impl_wrapped_configILNS1_25lookback_scan_determinismE0ES3_S9_PdNS6_17constant_iteratorIiNS6_11use_defaultESE_EENS6_10device_ptrIdEENSG_IlEEPmS8_NS6_8equal_toIdEEEE10hipError_tPvRmT2_T3_mT4_T5_T6_T7_T8_P12ihipStream_tbENKUlT_T0_E_clISt17integral_constantIbLb0EES13_EEDaSY_SZ_EUlSY_E_NS1_11comp_targetILNS1_3genE10ELNS1_11target_archE1200ELNS1_3gpuE4ELNS1_3repE0EEENS1_30default_config_static_selectorELNS0_4arch9wavefront6targetE1EEEvT1_
	.globl	_ZN7rocprim17ROCPRIM_400000_NS6detail17trampoline_kernelINS0_14default_configENS1_29reduce_by_key_config_selectorIdlN6thrust23THRUST_200600_302600_NS4plusIlEEEEZZNS1_33reduce_by_key_impl_wrapped_configILNS1_25lookback_scan_determinismE0ES3_S9_PdNS6_17constant_iteratorIiNS6_11use_defaultESE_EENS6_10device_ptrIdEENSG_IlEEPmS8_NS6_8equal_toIdEEEE10hipError_tPvRmT2_T3_mT4_T5_T6_T7_T8_P12ihipStream_tbENKUlT_T0_E_clISt17integral_constantIbLb0EES13_EEDaSY_SZ_EUlSY_E_NS1_11comp_targetILNS1_3genE10ELNS1_11target_archE1200ELNS1_3gpuE4ELNS1_3repE0EEENS1_30default_config_static_selectorELNS0_4arch9wavefront6targetE1EEEvT1_
	.p2align	8
	.type	_ZN7rocprim17ROCPRIM_400000_NS6detail17trampoline_kernelINS0_14default_configENS1_29reduce_by_key_config_selectorIdlN6thrust23THRUST_200600_302600_NS4plusIlEEEEZZNS1_33reduce_by_key_impl_wrapped_configILNS1_25lookback_scan_determinismE0ES3_S9_PdNS6_17constant_iteratorIiNS6_11use_defaultESE_EENS6_10device_ptrIdEENSG_IlEEPmS8_NS6_8equal_toIdEEEE10hipError_tPvRmT2_T3_mT4_T5_T6_T7_T8_P12ihipStream_tbENKUlT_T0_E_clISt17integral_constantIbLb0EES13_EEDaSY_SZ_EUlSY_E_NS1_11comp_targetILNS1_3genE10ELNS1_11target_archE1200ELNS1_3gpuE4ELNS1_3repE0EEENS1_30default_config_static_selectorELNS0_4arch9wavefront6targetE1EEEvT1_,@function
_ZN7rocprim17ROCPRIM_400000_NS6detail17trampoline_kernelINS0_14default_configENS1_29reduce_by_key_config_selectorIdlN6thrust23THRUST_200600_302600_NS4plusIlEEEEZZNS1_33reduce_by_key_impl_wrapped_configILNS1_25lookback_scan_determinismE0ES3_S9_PdNS6_17constant_iteratorIiNS6_11use_defaultESE_EENS6_10device_ptrIdEENSG_IlEEPmS8_NS6_8equal_toIdEEEE10hipError_tPvRmT2_T3_mT4_T5_T6_T7_T8_P12ihipStream_tbENKUlT_T0_E_clISt17integral_constantIbLb0EES13_EEDaSY_SZ_EUlSY_E_NS1_11comp_targetILNS1_3genE10ELNS1_11target_archE1200ELNS1_3gpuE4ELNS1_3repE0EEENS1_30default_config_static_selectorELNS0_4arch9wavefront6targetE1EEEvT1_: ; @_ZN7rocprim17ROCPRIM_400000_NS6detail17trampoline_kernelINS0_14default_configENS1_29reduce_by_key_config_selectorIdlN6thrust23THRUST_200600_302600_NS4plusIlEEEEZZNS1_33reduce_by_key_impl_wrapped_configILNS1_25lookback_scan_determinismE0ES3_S9_PdNS6_17constant_iteratorIiNS6_11use_defaultESE_EENS6_10device_ptrIdEENSG_IlEEPmS8_NS6_8equal_toIdEEEE10hipError_tPvRmT2_T3_mT4_T5_T6_T7_T8_P12ihipStream_tbENKUlT_T0_E_clISt17integral_constantIbLb0EES13_EEDaSY_SZ_EUlSY_E_NS1_11comp_targetILNS1_3genE10ELNS1_11target_archE1200ELNS1_3gpuE4ELNS1_3repE0EEENS1_30default_config_static_selectorELNS0_4arch9wavefront6targetE1EEEvT1_
; %bb.0:
	.section	.rodata,"a",@progbits
	.p2align	6, 0x0
	.amdhsa_kernel _ZN7rocprim17ROCPRIM_400000_NS6detail17trampoline_kernelINS0_14default_configENS1_29reduce_by_key_config_selectorIdlN6thrust23THRUST_200600_302600_NS4plusIlEEEEZZNS1_33reduce_by_key_impl_wrapped_configILNS1_25lookback_scan_determinismE0ES3_S9_PdNS6_17constant_iteratorIiNS6_11use_defaultESE_EENS6_10device_ptrIdEENSG_IlEEPmS8_NS6_8equal_toIdEEEE10hipError_tPvRmT2_T3_mT4_T5_T6_T7_T8_P12ihipStream_tbENKUlT_T0_E_clISt17integral_constantIbLb0EES13_EEDaSY_SZ_EUlSY_E_NS1_11comp_targetILNS1_3genE10ELNS1_11target_archE1200ELNS1_3gpuE4ELNS1_3repE0EEENS1_30default_config_static_selectorELNS0_4arch9wavefront6targetE1EEEvT1_
		.amdhsa_group_segment_fixed_size 0
		.amdhsa_private_segment_fixed_size 0
		.amdhsa_kernarg_size 144
		.amdhsa_user_sgpr_count 6
		.amdhsa_user_sgpr_private_segment_buffer 1
		.amdhsa_user_sgpr_dispatch_ptr 0
		.amdhsa_user_sgpr_queue_ptr 0
		.amdhsa_user_sgpr_kernarg_segment_ptr 1
		.amdhsa_user_sgpr_dispatch_id 0
		.amdhsa_user_sgpr_flat_scratch_init 0
		.amdhsa_user_sgpr_private_segment_size 0
		.amdhsa_uses_dynamic_stack 0
		.amdhsa_system_sgpr_private_segment_wavefront_offset 0
		.amdhsa_system_sgpr_workgroup_id_x 1
		.amdhsa_system_sgpr_workgroup_id_y 0
		.amdhsa_system_sgpr_workgroup_id_z 0
		.amdhsa_system_sgpr_workgroup_info 0
		.amdhsa_system_vgpr_workitem_id 0
		.amdhsa_next_free_vgpr 1
		.amdhsa_next_free_sgpr 0
		.amdhsa_reserve_vcc 0
		.amdhsa_reserve_flat_scratch 0
		.amdhsa_float_round_mode_32 0
		.amdhsa_float_round_mode_16_64 0
		.amdhsa_float_denorm_mode_32 3
		.amdhsa_float_denorm_mode_16_64 3
		.amdhsa_dx10_clamp 1
		.amdhsa_ieee_mode 1
		.amdhsa_fp16_overflow 0
		.amdhsa_exception_fp_ieee_invalid_op 0
		.amdhsa_exception_fp_denorm_src 0
		.amdhsa_exception_fp_ieee_div_zero 0
		.amdhsa_exception_fp_ieee_overflow 0
		.amdhsa_exception_fp_ieee_underflow 0
		.amdhsa_exception_fp_ieee_inexact 0
		.amdhsa_exception_int_div_zero 0
	.end_amdhsa_kernel
	.section	.text._ZN7rocprim17ROCPRIM_400000_NS6detail17trampoline_kernelINS0_14default_configENS1_29reduce_by_key_config_selectorIdlN6thrust23THRUST_200600_302600_NS4plusIlEEEEZZNS1_33reduce_by_key_impl_wrapped_configILNS1_25lookback_scan_determinismE0ES3_S9_PdNS6_17constant_iteratorIiNS6_11use_defaultESE_EENS6_10device_ptrIdEENSG_IlEEPmS8_NS6_8equal_toIdEEEE10hipError_tPvRmT2_T3_mT4_T5_T6_T7_T8_P12ihipStream_tbENKUlT_T0_E_clISt17integral_constantIbLb0EES13_EEDaSY_SZ_EUlSY_E_NS1_11comp_targetILNS1_3genE10ELNS1_11target_archE1200ELNS1_3gpuE4ELNS1_3repE0EEENS1_30default_config_static_selectorELNS0_4arch9wavefront6targetE1EEEvT1_,"axG",@progbits,_ZN7rocprim17ROCPRIM_400000_NS6detail17trampoline_kernelINS0_14default_configENS1_29reduce_by_key_config_selectorIdlN6thrust23THRUST_200600_302600_NS4plusIlEEEEZZNS1_33reduce_by_key_impl_wrapped_configILNS1_25lookback_scan_determinismE0ES3_S9_PdNS6_17constant_iteratorIiNS6_11use_defaultESE_EENS6_10device_ptrIdEENSG_IlEEPmS8_NS6_8equal_toIdEEEE10hipError_tPvRmT2_T3_mT4_T5_T6_T7_T8_P12ihipStream_tbENKUlT_T0_E_clISt17integral_constantIbLb0EES13_EEDaSY_SZ_EUlSY_E_NS1_11comp_targetILNS1_3genE10ELNS1_11target_archE1200ELNS1_3gpuE4ELNS1_3repE0EEENS1_30default_config_static_selectorELNS0_4arch9wavefront6targetE1EEEvT1_,comdat
.Lfunc_end1694:
	.size	_ZN7rocprim17ROCPRIM_400000_NS6detail17trampoline_kernelINS0_14default_configENS1_29reduce_by_key_config_selectorIdlN6thrust23THRUST_200600_302600_NS4plusIlEEEEZZNS1_33reduce_by_key_impl_wrapped_configILNS1_25lookback_scan_determinismE0ES3_S9_PdNS6_17constant_iteratorIiNS6_11use_defaultESE_EENS6_10device_ptrIdEENSG_IlEEPmS8_NS6_8equal_toIdEEEE10hipError_tPvRmT2_T3_mT4_T5_T6_T7_T8_P12ihipStream_tbENKUlT_T0_E_clISt17integral_constantIbLb0EES13_EEDaSY_SZ_EUlSY_E_NS1_11comp_targetILNS1_3genE10ELNS1_11target_archE1200ELNS1_3gpuE4ELNS1_3repE0EEENS1_30default_config_static_selectorELNS0_4arch9wavefront6targetE1EEEvT1_, .Lfunc_end1694-_ZN7rocprim17ROCPRIM_400000_NS6detail17trampoline_kernelINS0_14default_configENS1_29reduce_by_key_config_selectorIdlN6thrust23THRUST_200600_302600_NS4plusIlEEEEZZNS1_33reduce_by_key_impl_wrapped_configILNS1_25lookback_scan_determinismE0ES3_S9_PdNS6_17constant_iteratorIiNS6_11use_defaultESE_EENS6_10device_ptrIdEENSG_IlEEPmS8_NS6_8equal_toIdEEEE10hipError_tPvRmT2_T3_mT4_T5_T6_T7_T8_P12ihipStream_tbENKUlT_T0_E_clISt17integral_constantIbLb0EES13_EEDaSY_SZ_EUlSY_E_NS1_11comp_targetILNS1_3genE10ELNS1_11target_archE1200ELNS1_3gpuE4ELNS1_3repE0EEENS1_30default_config_static_selectorELNS0_4arch9wavefront6targetE1EEEvT1_
                                        ; -- End function
	.set _ZN7rocprim17ROCPRIM_400000_NS6detail17trampoline_kernelINS0_14default_configENS1_29reduce_by_key_config_selectorIdlN6thrust23THRUST_200600_302600_NS4plusIlEEEEZZNS1_33reduce_by_key_impl_wrapped_configILNS1_25lookback_scan_determinismE0ES3_S9_PdNS6_17constant_iteratorIiNS6_11use_defaultESE_EENS6_10device_ptrIdEENSG_IlEEPmS8_NS6_8equal_toIdEEEE10hipError_tPvRmT2_T3_mT4_T5_T6_T7_T8_P12ihipStream_tbENKUlT_T0_E_clISt17integral_constantIbLb0EES13_EEDaSY_SZ_EUlSY_E_NS1_11comp_targetILNS1_3genE10ELNS1_11target_archE1200ELNS1_3gpuE4ELNS1_3repE0EEENS1_30default_config_static_selectorELNS0_4arch9wavefront6targetE1EEEvT1_.num_vgpr, 0
	.set _ZN7rocprim17ROCPRIM_400000_NS6detail17trampoline_kernelINS0_14default_configENS1_29reduce_by_key_config_selectorIdlN6thrust23THRUST_200600_302600_NS4plusIlEEEEZZNS1_33reduce_by_key_impl_wrapped_configILNS1_25lookback_scan_determinismE0ES3_S9_PdNS6_17constant_iteratorIiNS6_11use_defaultESE_EENS6_10device_ptrIdEENSG_IlEEPmS8_NS6_8equal_toIdEEEE10hipError_tPvRmT2_T3_mT4_T5_T6_T7_T8_P12ihipStream_tbENKUlT_T0_E_clISt17integral_constantIbLb0EES13_EEDaSY_SZ_EUlSY_E_NS1_11comp_targetILNS1_3genE10ELNS1_11target_archE1200ELNS1_3gpuE4ELNS1_3repE0EEENS1_30default_config_static_selectorELNS0_4arch9wavefront6targetE1EEEvT1_.num_agpr, 0
	.set _ZN7rocprim17ROCPRIM_400000_NS6detail17trampoline_kernelINS0_14default_configENS1_29reduce_by_key_config_selectorIdlN6thrust23THRUST_200600_302600_NS4plusIlEEEEZZNS1_33reduce_by_key_impl_wrapped_configILNS1_25lookback_scan_determinismE0ES3_S9_PdNS6_17constant_iteratorIiNS6_11use_defaultESE_EENS6_10device_ptrIdEENSG_IlEEPmS8_NS6_8equal_toIdEEEE10hipError_tPvRmT2_T3_mT4_T5_T6_T7_T8_P12ihipStream_tbENKUlT_T0_E_clISt17integral_constantIbLb0EES13_EEDaSY_SZ_EUlSY_E_NS1_11comp_targetILNS1_3genE10ELNS1_11target_archE1200ELNS1_3gpuE4ELNS1_3repE0EEENS1_30default_config_static_selectorELNS0_4arch9wavefront6targetE1EEEvT1_.numbered_sgpr, 0
	.set _ZN7rocprim17ROCPRIM_400000_NS6detail17trampoline_kernelINS0_14default_configENS1_29reduce_by_key_config_selectorIdlN6thrust23THRUST_200600_302600_NS4plusIlEEEEZZNS1_33reduce_by_key_impl_wrapped_configILNS1_25lookback_scan_determinismE0ES3_S9_PdNS6_17constant_iteratorIiNS6_11use_defaultESE_EENS6_10device_ptrIdEENSG_IlEEPmS8_NS6_8equal_toIdEEEE10hipError_tPvRmT2_T3_mT4_T5_T6_T7_T8_P12ihipStream_tbENKUlT_T0_E_clISt17integral_constantIbLb0EES13_EEDaSY_SZ_EUlSY_E_NS1_11comp_targetILNS1_3genE10ELNS1_11target_archE1200ELNS1_3gpuE4ELNS1_3repE0EEENS1_30default_config_static_selectorELNS0_4arch9wavefront6targetE1EEEvT1_.num_named_barrier, 0
	.set _ZN7rocprim17ROCPRIM_400000_NS6detail17trampoline_kernelINS0_14default_configENS1_29reduce_by_key_config_selectorIdlN6thrust23THRUST_200600_302600_NS4plusIlEEEEZZNS1_33reduce_by_key_impl_wrapped_configILNS1_25lookback_scan_determinismE0ES3_S9_PdNS6_17constant_iteratorIiNS6_11use_defaultESE_EENS6_10device_ptrIdEENSG_IlEEPmS8_NS6_8equal_toIdEEEE10hipError_tPvRmT2_T3_mT4_T5_T6_T7_T8_P12ihipStream_tbENKUlT_T0_E_clISt17integral_constantIbLb0EES13_EEDaSY_SZ_EUlSY_E_NS1_11comp_targetILNS1_3genE10ELNS1_11target_archE1200ELNS1_3gpuE4ELNS1_3repE0EEENS1_30default_config_static_selectorELNS0_4arch9wavefront6targetE1EEEvT1_.private_seg_size, 0
	.set _ZN7rocprim17ROCPRIM_400000_NS6detail17trampoline_kernelINS0_14default_configENS1_29reduce_by_key_config_selectorIdlN6thrust23THRUST_200600_302600_NS4plusIlEEEEZZNS1_33reduce_by_key_impl_wrapped_configILNS1_25lookback_scan_determinismE0ES3_S9_PdNS6_17constant_iteratorIiNS6_11use_defaultESE_EENS6_10device_ptrIdEENSG_IlEEPmS8_NS6_8equal_toIdEEEE10hipError_tPvRmT2_T3_mT4_T5_T6_T7_T8_P12ihipStream_tbENKUlT_T0_E_clISt17integral_constantIbLb0EES13_EEDaSY_SZ_EUlSY_E_NS1_11comp_targetILNS1_3genE10ELNS1_11target_archE1200ELNS1_3gpuE4ELNS1_3repE0EEENS1_30default_config_static_selectorELNS0_4arch9wavefront6targetE1EEEvT1_.uses_vcc, 0
	.set _ZN7rocprim17ROCPRIM_400000_NS6detail17trampoline_kernelINS0_14default_configENS1_29reduce_by_key_config_selectorIdlN6thrust23THRUST_200600_302600_NS4plusIlEEEEZZNS1_33reduce_by_key_impl_wrapped_configILNS1_25lookback_scan_determinismE0ES3_S9_PdNS6_17constant_iteratorIiNS6_11use_defaultESE_EENS6_10device_ptrIdEENSG_IlEEPmS8_NS6_8equal_toIdEEEE10hipError_tPvRmT2_T3_mT4_T5_T6_T7_T8_P12ihipStream_tbENKUlT_T0_E_clISt17integral_constantIbLb0EES13_EEDaSY_SZ_EUlSY_E_NS1_11comp_targetILNS1_3genE10ELNS1_11target_archE1200ELNS1_3gpuE4ELNS1_3repE0EEENS1_30default_config_static_selectorELNS0_4arch9wavefront6targetE1EEEvT1_.uses_flat_scratch, 0
	.set _ZN7rocprim17ROCPRIM_400000_NS6detail17trampoline_kernelINS0_14default_configENS1_29reduce_by_key_config_selectorIdlN6thrust23THRUST_200600_302600_NS4plusIlEEEEZZNS1_33reduce_by_key_impl_wrapped_configILNS1_25lookback_scan_determinismE0ES3_S9_PdNS6_17constant_iteratorIiNS6_11use_defaultESE_EENS6_10device_ptrIdEENSG_IlEEPmS8_NS6_8equal_toIdEEEE10hipError_tPvRmT2_T3_mT4_T5_T6_T7_T8_P12ihipStream_tbENKUlT_T0_E_clISt17integral_constantIbLb0EES13_EEDaSY_SZ_EUlSY_E_NS1_11comp_targetILNS1_3genE10ELNS1_11target_archE1200ELNS1_3gpuE4ELNS1_3repE0EEENS1_30default_config_static_selectorELNS0_4arch9wavefront6targetE1EEEvT1_.has_dyn_sized_stack, 0
	.set _ZN7rocprim17ROCPRIM_400000_NS6detail17trampoline_kernelINS0_14default_configENS1_29reduce_by_key_config_selectorIdlN6thrust23THRUST_200600_302600_NS4plusIlEEEEZZNS1_33reduce_by_key_impl_wrapped_configILNS1_25lookback_scan_determinismE0ES3_S9_PdNS6_17constant_iteratorIiNS6_11use_defaultESE_EENS6_10device_ptrIdEENSG_IlEEPmS8_NS6_8equal_toIdEEEE10hipError_tPvRmT2_T3_mT4_T5_T6_T7_T8_P12ihipStream_tbENKUlT_T0_E_clISt17integral_constantIbLb0EES13_EEDaSY_SZ_EUlSY_E_NS1_11comp_targetILNS1_3genE10ELNS1_11target_archE1200ELNS1_3gpuE4ELNS1_3repE0EEENS1_30default_config_static_selectorELNS0_4arch9wavefront6targetE1EEEvT1_.has_recursion, 0
	.set _ZN7rocprim17ROCPRIM_400000_NS6detail17trampoline_kernelINS0_14default_configENS1_29reduce_by_key_config_selectorIdlN6thrust23THRUST_200600_302600_NS4plusIlEEEEZZNS1_33reduce_by_key_impl_wrapped_configILNS1_25lookback_scan_determinismE0ES3_S9_PdNS6_17constant_iteratorIiNS6_11use_defaultESE_EENS6_10device_ptrIdEENSG_IlEEPmS8_NS6_8equal_toIdEEEE10hipError_tPvRmT2_T3_mT4_T5_T6_T7_T8_P12ihipStream_tbENKUlT_T0_E_clISt17integral_constantIbLb0EES13_EEDaSY_SZ_EUlSY_E_NS1_11comp_targetILNS1_3genE10ELNS1_11target_archE1200ELNS1_3gpuE4ELNS1_3repE0EEENS1_30default_config_static_selectorELNS0_4arch9wavefront6targetE1EEEvT1_.has_indirect_call, 0
	.section	.AMDGPU.csdata,"",@progbits
; Kernel info:
; codeLenInByte = 0
; TotalNumSgprs: 4
; NumVgprs: 0
; ScratchSize: 0
; MemoryBound: 0
; FloatMode: 240
; IeeeMode: 1
; LDSByteSize: 0 bytes/workgroup (compile time only)
; SGPRBlocks: 0
; VGPRBlocks: 0
; NumSGPRsForWavesPerEU: 4
; NumVGPRsForWavesPerEU: 1
; Occupancy: 10
; WaveLimiterHint : 0
; COMPUTE_PGM_RSRC2:SCRATCH_EN: 0
; COMPUTE_PGM_RSRC2:USER_SGPR: 6
; COMPUTE_PGM_RSRC2:TRAP_HANDLER: 0
; COMPUTE_PGM_RSRC2:TGID_X_EN: 1
; COMPUTE_PGM_RSRC2:TGID_Y_EN: 0
; COMPUTE_PGM_RSRC2:TGID_Z_EN: 0
; COMPUTE_PGM_RSRC2:TIDIG_COMP_CNT: 0
	.section	.text._ZN7rocprim17ROCPRIM_400000_NS6detail17trampoline_kernelINS0_14default_configENS1_29reduce_by_key_config_selectorIdlN6thrust23THRUST_200600_302600_NS4plusIlEEEEZZNS1_33reduce_by_key_impl_wrapped_configILNS1_25lookback_scan_determinismE0ES3_S9_PdNS6_17constant_iteratorIiNS6_11use_defaultESE_EENS6_10device_ptrIdEENSG_IlEEPmS8_NS6_8equal_toIdEEEE10hipError_tPvRmT2_T3_mT4_T5_T6_T7_T8_P12ihipStream_tbENKUlT_T0_E_clISt17integral_constantIbLb0EES13_EEDaSY_SZ_EUlSY_E_NS1_11comp_targetILNS1_3genE9ELNS1_11target_archE1100ELNS1_3gpuE3ELNS1_3repE0EEENS1_30default_config_static_selectorELNS0_4arch9wavefront6targetE1EEEvT1_,"axG",@progbits,_ZN7rocprim17ROCPRIM_400000_NS6detail17trampoline_kernelINS0_14default_configENS1_29reduce_by_key_config_selectorIdlN6thrust23THRUST_200600_302600_NS4plusIlEEEEZZNS1_33reduce_by_key_impl_wrapped_configILNS1_25lookback_scan_determinismE0ES3_S9_PdNS6_17constant_iteratorIiNS6_11use_defaultESE_EENS6_10device_ptrIdEENSG_IlEEPmS8_NS6_8equal_toIdEEEE10hipError_tPvRmT2_T3_mT4_T5_T6_T7_T8_P12ihipStream_tbENKUlT_T0_E_clISt17integral_constantIbLb0EES13_EEDaSY_SZ_EUlSY_E_NS1_11comp_targetILNS1_3genE9ELNS1_11target_archE1100ELNS1_3gpuE3ELNS1_3repE0EEENS1_30default_config_static_selectorELNS0_4arch9wavefront6targetE1EEEvT1_,comdat
	.protected	_ZN7rocprim17ROCPRIM_400000_NS6detail17trampoline_kernelINS0_14default_configENS1_29reduce_by_key_config_selectorIdlN6thrust23THRUST_200600_302600_NS4plusIlEEEEZZNS1_33reduce_by_key_impl_wrapped_configILNS1_25lookback_scan_determinismE0ES3_S9_PdNS6_17constant_iteratorIiNS6_11use_defaultESE_EENS6_10device_ptrIdEENSG_IlEEPmS8_NS6_8equal_toIdEEEE10hipError_tPvRmT2_T3_mT4_T5_T6_T7_T8_P12ihipStream_tbENKUlT_T0_E_clISt17integral_constantIbLb0EES13_EEDaSY_SZ_EUlSY_E_NS1_11comp_targetILNS1_3genE9ELNS1_11target_archE1100ELNS1_3gpuE3ELNS1_3repE0EEENS1_30default_config_static_selectorELNS0_4arch9wavefront6targetE1EEEvT1_ ; -- Begin function _ZN7rocprim17ROCPRIM_400000_NS6detail17trampoline_kernelINS0_14default_configENS1_29reduce_by_key_config_selectorIdlN6thrust23THRUST_200600_302600_NS4plusIlEEEEZZNS1_33reduce_by_key_impl_wrapped_configILNS1_25lookback_scan_determinismE0ES3_S9_PdNS6_17constant_iteratorIiNS6_11use_defaultESE_EENS6_10device_ptrIdEENSG_IlEEPmS8_NS6_8equal_toIdEEEE10hipError_tPvRmT2_T3_mT4_T5_T6_T7_T8_P12ihipStream_tbENKUlT_T0_E_clISt17integral_constantIbLb0EES13_EEDaSY_SZ_EUlSY_E_NS1_11comp_targetILNS1_3genE9ELNS1_11target_archE1100ELNS1_3gpuE3ELNS1_3repE0EEENS1_30default_config_static_selectorELNS0_4arch9wavefront6targetE1EEEvT1_
	.globl	_ZN7rocprim17ROCPRIM_400000_NS6detail17trampoline_kernelINS0_14default_configENS1_29reduce_by_key_config_selectorIdlN6thrust23THRUST_200600_302600_NS4plusIlEEEEZZNS1_33reduce_by_key_impl_wrapped_configILNS1_25lookback_scan_determinismE0ES3_S9_PdNS6_17constant_iteratorIiNS6_11use_defaultESE_EENS6_10device_ptrIdEENSG_IlEEPmS8_NS6_8equal_toIdEEEE10hipError_tPvRmT2_T3_mT4_T5_T6_T7_T8_P12ihipStream_tbENKUlT_T0_E_clISt17integral_constantIbLb0EES13_EEDaSY_SZ_EUlSY_E_NS1_11comp_targetILNS1_3genE9ELNS1_11target_archE1100ELNS1_3gpuE3ELNS1_3repE0EEENS1_30default_config_static_selectorELNS0_4arch9wavefront6targetE1EEEvT1_
	.p2align	8
	.type	_ZN7rocprim17ROCPRIM_400000_NS6detail17trampoline_kernelINS0_14default_configENS1_29reduce_by_key_config_selectorIdlN6thrust23THRUST_200600_302600_NS4plusIlEEEEZZNS1_33reduce_by_key_impl_wrapped_configILNS1_25lookback_scan_determinismE0ES3_S9_PdNS6_17constant_iteratorIiNS6_11use_defaultESE_EENS6_10device_ptrIdEENSG_IlEEPmS8_NS6_8equal_toIdEEEE10hipError_tPvRmT2_T3_mT4_T5_T6_T7_T8_P12ihipStream_tbENKUlT_T0_E_clISt17integral_constantIbLb0EES13_EEDaSY_SZ_EUlSY_E_NS1_11comp_targetILNS1_3genE9ELNS1_11target_archE1100ELNS1_3gpuE3ELNS1_3repE0EEENS1_30default_config_static_selectorELNS0_4arch9wavefront6targetE1EEEvT1_,@function
_ZN7rocprim17ROCPRIM_400000_NS6detail17trampoline_kernelINS0_14default_configENS1_29reduce_by_key_config_selectorIdlN6thrust23THRUST_200600_302600_NS4plusIlEEEEZZNS1_33reduce_by_key_impl_wrapped_configILNS1_25lookback_scan_determinismE0ES3_S9_PdNS6_17constant_iteratorIiNS6_11use_defaultESE_EENS6_10device_ptrIdEENSG_IlEEPmS8_NS6_8equal_toIdEEEE10hipError_tPvRmT2_T3_mT4_T5_T6_T7_T8_P12ihipStream_tbENKUlT_T0_E_clISt17integral_constantIbLb0EES13_EEDaSY_SZ_EUlSY_E_NS1_11comp_targetILNS1_3genE9ELNS1_11target_archE1100ELNS1_3gpuE3ELNS1_3repE0EEENS1_30default_config_static_selectorELNS0_4arch9wavefront6targetE1EEEvT1_: ; @_ZN7rocprim17ROCPRIM_400000_NS6detail17trampoline_kernelINS0_14default_configENS1_29reduce_by_key_config_selectorIdlN6thrust23THRUST_200600_302600_NS4plusIlEEEEZZNS1_33reduce_by_key_impl_wrapped_configILNS1_25lookback_scan_determinismE0ES3_S9_PdNS6_17constant_iteratorIiNS6_11use_defaultESE_EENS6_10device_ptrIdEENSG_IlEEPmS8_NS6_8equal_toIdEEEE10hipError_tPvRmT2_T3_mT4_T5_T6_T7_T8_P12ihipStream_tbENKUlT_T0_E_clISt17integral_constantIbLb0EES13_EEDaSY_SZ_EUlSY_E_NS1_11comp_targetILNS1_3genE9ELNS1_11target_archE1100ELNS1_3gpuE3ELNS1_3repE0EEENS1_30default_config_static_selectorELNS0_4arch9wavefront6targetE1EEEvT1_
; %bb.0:
	.section	.rodata,"a",@progbits
	.p2align	6, 0x0
	.amdhsa_kernel _ZN7rocprim17ROCPRIM_400000_NS6detail17trampoline_kernelINS0_14default_configENS1_29reduce_by_key_config_selectorIdlN6thrust23THRUST_200600_302600_NS4plusIlEEEEZZNS1_33reduce_by_key_impl_wrapped_configILNS1_25lookback_scan_determinismE0ES3_S9_PdNS6_17constant_iteratorIiNS6_11use_defaultESE_EENS6_10device_ptrIdEENSG_IlEEPmS8_NS6_8equal_toIdEEEE10hipError_tPvRmT2_T3_mT4_T5_T6_T7_T8_P12ihipStream_tbENKUlT_T0_E_clISt17integral_constantIbLb0EES13_EEDaSY_SZ_EUlSY_E_NS1_11comp_targetILNS1_3genE9ELNS1_11target_archE1100ELNS1_3gpuE3ELNS1_3repE0EEENS1_30default_config_static_selectorELNS0_4arch9wavefront6targetE1EEEvT1_
		.amdhsa_group_segment_fixed_size 0
		.amdhsa_private_segment_fixed_size 0
		.amdhsa_kernarg_size 144
		.amdhsa_user_sgpr_count 6
		.amdhsa_user_sgpr_private_segment_buffer 1
		.amdhsa_user_sgpr_dispatch_ptr 0
		.amdhsa_user_sgpr_queue_ptr 0
		.amdhsa_user_sgpr_kernarg_segment_ptr 1
		.amdhsa_user_sgpr_dispatch_id 0
		.amdhsa_user_sgpr_flat_scratch_init 0
		.amdhsa_user_sgpr_private_segment_size 0
		.amdhsa_uses_dynamic_stack 0
		.amdhsa_system_sgpr_private_segment_wavefront_offset 0
		.amdhsa_system_sgpr_workgroup_id_x 1
		.amdhsa_system_sgpr_workgroup_id_y 0
		.amdhsa_system_sgpr_workgroup_id_z 0
		.amdhsa_system_sgpr_workgroup_info 0
		.amdhsa_system_vgpr_workitem_id 0
		.amdhsa_next_free_vgpr 1
		.amdhsa_next_free_sgpr 0
		.amdhsa_reserve_vcc 0
		.amdhsa_reserve_flat_scratch 0
		.amdhsa_float_round_mode_32 0
		.amdhsa_float_round_mode_16_64 0
		.amdhsa_float_denorm_mode_32 3
		.amdhsa_float_denorm_mode_16_64 3
		.amdhsa_dx10_clamp 1
		.amdhsa_ieee_mode 1
		.amdhsa_fp16_overflow 0
		.amdhsa_exception_fp_ieee_invalid_op 0
		.amdhsa_exception_fp_denorm_src 0
		.amdhsa_exception_fp_ieee_div_zero 0
		.amdhsa_exception_fp_ieee_overflow 0
		.amdhsa_exception_fp_ieee_underflow 0
		.amdhsa_exception_fp_ieee_inexact 0
		.amdhsa_exception_int_div_zero 0
	.end_amdhsa_kernel
	.section	.text._ZN7rocprim17ROCPRIM_400000_NS6detail17trampoline_kernelINS0_14default_configENS1_29reduce_by_key_config_selectorIdlN6thrust23THRUST_200600_302600_NS4plusIlEEEEZZNS1_33reduce_by_key_impl_wrapped_configILNS1_25lookback_scan_determinismE0ES3_S9_PdNS6_17constant_iteratorIiNS6_11use_defaultESE_EENS6_10device_ptrIdEENSG_IlEEPmS8_NS6_8equal_toIdEEEE10hipError_tPvRmT2_T3_mT4_T5_T6_T7_T8_P12ihipStream_tbENKUlT_T0_E_clISt17integral_constantIbLb0EES13_EEDaSY_SZ_EUlSY_E_NS1_11comp_targetILNS1_3genE9ELNS1_11target_archE1100ELNS1_3gpuE3ELNS1_3repE0EEENS1_30default_config_static_selectorELNS0_4arch9wavefront6targetE1EEEvT1_,"axG",@progbits,_ZN7rocprim17ROCPRIM_400000_NS6detail17trampoline_kernelINS0_14default_configENS1_29reduce_by_key_config_selectorIdlN6thrust23THRUST_200600_302600_NS4plusIlEEEEZZNS1_33reduce_by_key_impl_wrapped_configILNS1_25lookback_scan_determinismE0ES3_S9_PdNS6_17constant_iteratorIiNS6_11use_defaultESE_EENS6_10device_ptrIdEENSG_IlEEPmS8_NS6_8equal_toIdEEEE10hipError_tPvRmT2_T3_mT4_T5_T6_T7_T8_P12ihipStream_tbENKUlT_T0_E_clISt17integral_constantIbLb0EES13_EEDaSY_SZ_EUlSY_E_NS1_11comp_targetILNS1_3genE9ELNS1_11target_archE1100ELNS1_3gpuE3ELNS1_3repE0EEENS1_30default_config_static_selectorELNS0_4arch9wavefront6targetE1EEEvT1_,comdat
.Lfunc_end1695:
	.size	_ZN7rocprim17ROCPRIM_400000_NS6detail17trampoline_kernelINS0_14default_configENS1_29reduce_by_key_config_selectorIdlN6thrust23THRUST_200600_302600_NS4plusIlEEEEZZNS1_33reduce_by_key_impl_wrapped_configILNS1_25lookback_scan_determinismE0ES3_S9_PdNS6_17constant_iteratorIiNS6_11use_defaultESE_EENS6_10device_ptrIdEENSG_IlEEPmS8_NS6_8equal_toIdEEEE10hipError_tPvRmT2_T3_mT4_T5_T6_T7_T8_P12ihipStream_tbENKUlT_T0_E_clISt17integral_constantIbLb0EES13_EEDaSY_SZ_EUlSY_E_NS1_11comp_targetILNS1_3genE9ELNS1_11target_archE1100ELNS1_3gpuE3ELNS1_3repE0EEENS1_30default_config_static_selectorELNS0_4arch9wavefront6targetE1EEEvT1_, .Lfunc_end1695-_ZN7rocprim17ROCPRIM_400000_NS6detail17trampoline_kernelINS0_14default_configENS1_29reduce_by_key_config_selectorIdlN6thrust23THRUST_200600_302600_NS4plusIlEEEEZZNS1_33reduce_by_key_impl_wrapped_configILNS1_25lookback_scan_determinismE0ES3_S9_PdNS6_17constant_iteratorIiNS6_11use_defaultESE_EENS6_10device_ptrIdEENSG_IlEEPmS8_NS6_8equal_toIdEEEE10hipError_tPvRmT2_T3_mT4_T5_T6_T7_T8_P12ihipStream_tbENKUlT_T0_E_clISt17integral_constantIbLb0EES13_EEDaSY_SZ_EUlSY_E_NS1_11comp_targetILNS1_3genE9ELNS1_11target_archE1100ELNS1_3gpuE3ELNS1_3repE0EEENS1_30default_config_static_selectorELNS0_4arch9wavefront6targetE1EEEvT1_
                                        ; -- End function
	.set _ZN7rocprim17ROCPRIM_400000_NS6detail17trampoline_kernelINS0_14default_configENS1_29reduce_by_key_config_selectorIdlN6thrust23THRUST_200600_302600_NS4plusIlEEEEZZNS1_33reduce_by_key_impl_wrapped_configILNS1_25lookback_scan_determinismE0ES3_S9_PdNS6_17constant_iteratorIiNS6_11use_defaultESE_EENS6_10device_ptrIdEENSG_IlEEPmS8_NS6_8equal_toIdEEEE10hipError_tPvRmT2_T3_mT4_T5_T6_T7_T8_P12ihipStream_tbENKUlT_T0_E_clISt17integral_constantIbLb0EES13_EEDaSY_SZ_EUlSY_E_NS1_11comp_targetILNS1_3genE9ELNS1_11target_archE1100ELNS1_3gpuE3ELNS1_3repE0EEENS1_30default_config_static_selectorELNS0_4arch9wavefront6targetE1EEEvT1_.num_vgpr, 0
	.set _ZN7rocprim17ROCPRIM_400000_NS6detail17trampoline_kernelINS0_14default_configENS1_29reduce_by_key_config_selectorIdlN6thrust23THRUST_200600_302600_NS4plusIlEEEEZZNS1_33reduce_by_key_impl_wrapped_configILNS1_25lookback_scan_determinismE0ES3_S9_PdNS6_17constant_iteratorIiNS6_11use_defaultESE_EENS6_10device_ptrIdEENSG_IlEEPmS8_NS6_8equal_toIdEEEE10hipError_tPvRmT2_T3_mT4_T5_T6_T7_T8_P12ihipStream_tbENKUlT_T0_E_clISt17integral_constantIbLb0EES13_EEDaSY_SZ_EUlSY_E_NS1_11comp_targetILNS1_3genE9ELNS1_11target_archE1100ELNS1_3gpuE3ELNS1_3repE0EEENS1_30default_config_static_selectorELNS0_4arch9wavefront6targetE1EEEvT1_.num_agpr, 0
	.set _ZN7rocprim17ROCPRIM_400000_NS6detail17trampoline_kernelINS0_14default_configENS1_29reduce_by_key_config_selectorIdlN6thrust23THRUST_200600_302600_NS4plusIlEEEEZZNS1_33reduce_by_key_impl_wrapped_configILNS1_25lookback_scan_determinismE0ES3_S9_PdNS6_17constant_iteratorIiNS6_11use_defaultESE_EENS6_10device_ptrIdEENSG_IlEEPmS8_NS6_8equal_toIdEEEE10hipError_tPvRmT2_T3_mT4_T5_T6_T7_T8_P12ihipStream_tbENKUlT_T0_E_clISt17integral_constantIbLb0EES13_EEDaSY_SZ_EUlSY_E_NS1_11comp_targetILNS1_3genE9ELNS1_11target_archE1100ELNS1_3gpuE3ELNS1_3repE0EEENS1_30default_config_static_selectorELNS0_4arch9wavefront6targetE1EEEvT1_.numbered_sgpr, 0
	.set _ZN7rocprim17ROCPRIM_400000_NS6detail17trampoline_kernelINS0_14default_configENS1_29reduce_by_key_config_selectorIdlN6thrust23THRUST_200600_302600_NS4plusIlEEEEZZNS1_33reduce_by_key_impl_wrapped_configILNS1_25lookback_scan_determinismE0ES3_S9_PdNS6_17constant_iteratorIiNS6_11use_defaultESE_EENS6_10device_ptrIdEENSG_IlEEPmS8_NS6_8equal_toIdEEEE10hipError_tPvRmT2_T3_mT4_T5_T6_T7_T8_P12ihipStream_tbENKUlT_T0_E_clISt17integral_constantIbLb0EES13_EEDaSY_SZ_EUlSY_E_NS1_11comp_targetILNS1_3genE9ELNS1_11target_archE1100ELNS1_3gpuE3ELNS1_3repE0EEENS1_30default_config_static_selectorELNS0_4arch9wavefront6targetE1EEEvT1_.num_named_barrier, 0
	.set _ZN7rocprim17ROCPRIM_400000_NS6detail17trampoline_kernelINS0_14default_configENS1_29reduce_by_key_config_selectorIdlN6thrust23THRUST_200600_302600_NS4plusIlEEEEZZNS1_33reduce_by_key_impl_wrapped_configILNS1_25lookback_scan_determinismE0ES3_S9_PdNS6_17constant_iteratorIiNS6_11use_defaultESE_EENS6_10device_ptrIdEENSG_IlEEPmS8_NS6_8equal_toIdEEEE10hipError_tPvRmT2_T3_mT4_T5_T6_T7_T8_P12ihipStream_tbENKUlT_T0_E_clISt17integral_constantIbLb0EES13_EEDaSY_SZ_EUlSY_E_NS1_11comp_targetILNS1_3genE9ELNS1_11target_archE1100ELNS1_3gpuE3ELNS1_3repE0EEENS1_30default_config_static_selectorELNS0_4arch9wavefront6targetE1EEEvT1_.private_seg_size, 0
	.set _ZN7rocprim17ROCPRIM_400000_NS6detail17trampoline_kernelINS0_14default_configENS1_29reduce_by_key_config_selectorIdlN6thrust23THRUST_200600_302600_NS4plusIlEEEEZZNS1_33reduce_by_key_impl_wrapped_configILNS1_25lookback_scan_determinismE0ES3_S9_PdNS6_17constant_iteratorIiNS6_11use_defaultESE_EENS6_10device_ptrIdEENSG_IlEEPmS8_NS6_8equal_toIdEEEE10hipError_tPvRmT2_T3_mT4_T5_T6_T7_T8_P12ihipStream_tbENKUlT_T0_E_clISt17integral_constantIbLb0EES13_EEDaSY_SZ_EUlSY_E_NS1_11comp_targetILNS1_3genE9ELNS1_11target_archE1100ELNS1_3gpuE3ELNS1_3repE0EEENS1_30default_config_static_selectorELNS0_4arch9wavefront6targetE1EEEvT1_.uses_vcc, 0
	.set _ZN7rocprim17ROCPRIM_400000_NS6detail17trampoline_kernelINS0_14default_configENS1_29reduce_by_key_config_selectorIdlN6thrust23THRUST_200600_302600_NS4plusIlEEEEZZNS1_33reduce_by_key_impl_wrapped_configILNS1_25lookback_scan_determinismE0ES3_S9_PdNS6_17constant_iteratorIiNS6_11use_defaultESE_EENS6_10device_ptrIdEENSG_IlEEPmS8_NS6_8equal_toIdEEEE10hipError_tPvRmT2_T3_mT4_T5_T6_T7_T8_P12ihipStream_tbENKUlT_T0_E_clISt17integral_constantIbLb0EES13_EEDaSY_SZ_EUlSY_E_NS1_11comp_targetILNS1_3genE9ELNS1_11target_archE1100ELNS1_3gpuE3ELNS1_3repE0EEENS1_30default_config_static_selectorELNS0_4arch9wavefront6targetE1EEEvT1_.uses_flat_scratch, 0
	.set _ZN7rocprim17ROCPRIM_400000_NS6detail17trampoline_kernelINS0_14default_configENS1_29reduce_by_key_config_selectorIdlN6thrust23THRUST_200600_302600_NS4plusIlEEEEZZNS1_33reduce_by_key_impl_wrapped_configILNS1_25lookback_scan_determinismE0ES3_S9_PdNS6_17constant_iteratorIiNS6_11use_defaultESE_EENS6_10device_ptrIdEENSG_IlEEPmS8_NS6_8equal_toIdEEEE10hipError_tPvRmT2_T3_mT4_T5_T6_T7_T8_P12ihipStream_tbENKUlT_T0_E_clISt17integral_constantIbLb0EES13_EEDaSY_SZ_EUlSY_E_NS1_11comp_targetILNS1_3genE9ELNS1_11target_archE1100ELNS1_3gpuE3ELNS1_3repE0EEENS1_30default_config_static_selectorELNS0_4arch9wavefront6targetE1EEEvT1_.has_dyn_sized_stack, 0
	.set _ZN7rocprim17ROCPRIM_400000_NS6detail17trampoline_kernelINS0_14default_configENS1_29reduce_by_key_config_selectorIdlN6thrust23THRUST_200600_302600_NS4plusIlEEEEZZNS1_33reduce_by_key_impl_wrapped_configILNS1_25lookback_scan_determinismE0ES3_S9_PdNS6_17constant_iteratorIiNS6_11use_defaultESE_EENS6_10device_ptrIdEENSG_IlEEPmS8_NS6_8equal_toIdEEEE10hipError_tPvRmT2_T3_mT4_T5_T6_T7_T8_P12ihipStream_tbENKUlT_T0_E_clISt17integral_constantIbLb0EES13_EEDaSY_SZ_EUlSY_E_NS1_11comp_targetILNS1_3genE9ELNS1_11target_archE1100ELNS1_3gpuE3ELNS1_3repE0EEENS1_30default_config_static_selectorELNS0_4arch9wavefront6targetE1EEEvT1_.has_recursion, 0
	.set _ZN7rocprim17ROCPRIM_400000_NS6detail17trampoline_kernelINS0_14default_configENS1_29reduce_by_key_config_selectorIdlN6thrust23THRUST_200600_302600_NS4plusIlEEEEZZNS1_33reduce_by_key_impl_wrapped_configILNS1_25lookback_scan_determinismE0ES3_S9_PdNS6_17constant_iteratorIiNS6_11use_defaultESE_EENS6_10device_ptrIdEENSG_IlEEPmS8_NS6_8equal_toIdEEEE10hipError_tPvRmT2_T3_mT4_T5_T6_T7_T8_P12ihipStream_tbENKUlT_T0_E_clISt17integral_constantIbLb0EES13_EEDaSY_SZ_EUlSY_E_NS1_11comp_targetILNS1_3genE9ELNS1_11target_archE1100ELNS1_3gpuE3ELNS1_3repE0EEENS1_30default_config_static_selectorELNS0_4arch9wavefront6targetE1EEEvT1_.has_indirect_call, 0
	.section	.AMDGPU.csdata,"",@progbits
; Kernel info:
; codeLenInByte = 0
; TotalNumSgprs: 4
; NumVgprs: 0
; ScratchSize: 0
; MemoryBound: 0
; FloatMode: 240
; IeeeMode: 1
; LDSByteSize: 0 bytes/workgroup (compile time only)
; SGPRBlocks: 0
; VGPRBlocks: 0
; NumSGPRsForWavesPerEU: 4
; NumVGPRsForWavesPerEU: 1
; Occupancy: 10
; WaveLimiterHint : 0
; COMPUTE_PGM_RSRC2:SCRATCH_EN: 0
; COMPUTE_PGM_RSRC2:USER_SGPR: 6
; COMPUTE_PGM_RSRC2:TRAP_HANDLER: 0
; COMPUTE_PGM_RSRC2:TGID_X_EN: 1
; COMPUTE_PGM_RSRC2:TGID_Y_EN: 0
; COMPUTE_PGM_RSRC2:TGID_Z_EN: 0
; COMPUTE_PGM_RSRC2:TIDIG_COMP_CNT: 0
	.section	.text._ZN7rocprim17ROCPRIM_400000_NS6detail17trampoline_kernelINS0_14default_configENS1_29reduce_by_key_config_selectorIdlN6thrust23THRUST_200600_302600_NS4plusIlEEEEZZNS1_33reduce_by_key_impl_wrapped_configILNS1_25lookback_scan_determinismE0ES3_S9_PdNS6_17constant_iteratorIiNS6_11use_defaultESE_EENS6_10device_ptrIdEENSG_IlEEPmS8_NS6_8equal_toIdEEEE10hipError_tPvRmT2_T3_mT4_T5_T6_T7_T8_P12ihipStream_tbENKUlT_T0_E_clISt17integral_constantIbLb0EES13_EEDaSY_SZ_EUlSY_E_NS1_11comp_targetILNS1_3genE8ELNS1_11target_archE1030ELNS1_3gpuE2ELNS1_3repE0EEENS1_30default_config_static_selectorELNS0_4arch9wavefront6targetE1EEEvT1_,"axG",@progbits,_ZN7rocprim17ROCPRIM_400000_NS6detail17trampoline_kernelINS0_14default_configENS1_29reduce_by_key_config_selectorIdlN6thrust23THRUST_200600_302600_NS4plusIlEEEEZZNS1_33reduce_by_key_impl_wrapped_configILNS1_25lookback_scan_determinismE0ES3_S9_PdNS6_17constant_iteratorIiNS6_11use_defaultESE_EENS6_10device_ptrIdEENSG_IlEEPmS8_NS6_8equal_toIdEEEE10hipError_tPvRmT2_T3_mT4_T5_T6_T7_T8_P12ihipStream_tbENKUlT_T0_E_clISt17integral_constantIbLb0EES13_EEDaSY_SZ_EUlSY_E_NS1_11comp_targetILNS1_3genE8ELNS1_11target_archE1030ELNS1_3gpuE2ELNS1_3repE0EEENS1_30default_config_static_selectorELNS0_4arch9wavefront6targetE1EEEvT1_,comdat
	.protected	_ZN7rocprim17ROCPRIM_400000_NS6detail17trampoline_kernelINS0_14default_configENS1_29reduce_by_key_config_selectorIdlN6thrust23THRUST_200600_302600_NS4plusIlEEEEZZNS1_33reduce_by_key_impl_wrapped_configILNS1_25lookback_scan_determinismE0ES3_S9_PdNS6_17constant_iteratorIiNS6_11use_defaultESE_EENS6_10device_ptrIdEENSG_IlEEPmS8_NS6_8equal_toIdEEEE10hipError_tPvRmT2_T3_mT4_T5_T6_T7_T8_P12ihipStream_tbENKUlT_T0_E_clISt17integral_constantIbLb0EES13_EEDaSY_SZ_EUlSY_E_NS1_11comp_targetILNS1_3genE8ELNS1_11target_archE1030ELNS1_3gpuE2ELNS1_3repE0EEENS1_30default_config_static_selectorELNS0_4arch9wavefront6targetE1EEEvT1_ ; -- Begin function _ZN7rocprim17ROCPRIM_400000_NS6detail17trampoline_kernelINS0_14default_configENS1_29reduce_by_key_config_selectorIdlN6thrust23THRUST_200600_302600_NS4plusIlEEEEZZNS1_33reduce_by_key_impl_wrapped_configILNS1_25lookback_scan_determinismE0ES3_S9_PdNS6_17constant_iteratorIiNS6_11use_defaultESE_EENS6_10device_ptrIdEENSG_IlEEPmS8_NS6_8equal_toIdEEEE10hipError_tPvRmT2_T3_mT4_T5_T6_T7_T8_P12ihipStream_tbENKUlT_T0_E_clISt17integral_constantIbLb0EES13_EEDaSY_SZ_EUlSY_E_NS1_11comp_targetILNS1_3genE8ELNS1_11target_archE1030ELNS1_3gpuE2ELNS1_3repE0EEENS1_30default_config_static_selectorELNS0_4arch9wavefront6targetE1EEEvT1_
	.globl	_ZN7rocprim17ROCPRIM_400000_NS6detail17trampoline_kernelINS0_14default_configENS1_29reduce_by_key_config_selectorIdlN6thrust23THRUST_200600_302600_NS4plusIlEEEEZZNS1_33reduce_by_key_impl_wrapped_configILNS1_25lookback_scan_determinismE0ES3_S9_PdNS6_17constant_iteratorIiNS6_11use_defaultESE_EENS6_10device_ptrIdEENSG_IlEEPmS8_NS6_8equal_toIdEEEE10hipError_tPvRmT2_T3_mT4_T5_T6_T7_T8_P12ihipStream_tbENKUlT_T0_E_clISt17integral_constantIbLb0EES13_EEDaSY_SZ_EUlSY_E_NS1_11comp_targetILNS1_3genE8ELNS1_11target_archE1030ELNS1_3gpuE2ELNS1_3repE0EEENS1_30default_config_static_selectorELNS0_4arch9wavefront6targetE1EEEvT1_
	.p2align	8
	.type	_ZN7rocprim17ROCPRIM_400000_NS6detail17trampoline_kernelINS0_14default_configENS1_29reduce_by_key_config_selectorIdlN6thrust23THRUST_200600_302600_NS4plusIlEEEEZZNS1_33reduce_by_key_impl_wrapped_configILNS1_25lookback_scan_determinismE0ES3_S9_PdNS6_17constant_iteratorIiNS6_11use_defaultESE_EENS6_10device_ptrIdEENSG_IlEEPmS8_NS6_8equal_toIdEEEE10hipError_tPvRmT2_T3_mT4_T5_T6_T7_T8_P12ihipStream_tbENKUlT_T0_E_clISt17integral_constantIbLb0EES13_EEDaSY_SZ_EUlSY_E_NS1_11comp_targetILNS1_3genE8ELNS1_11target_archE1030ELNS1_3gpuE2ELNS1_3repE0EEENS1_30default_config_static_selectorELNS0_4arch9wavefront6targetE1EEEvT1_,@function
_ZN7rocprim17ROCPRIM_400000_NS6detail17trampoline_kernelINS0_14default_configENS1_29reduce_by_key_config_selectorIdlN6thrust23THRUST_200600_302600_NS4plusIlEEEEZZNS1_33reduce_by_key_impl_wrapped_configILNS1_25lookback_scan_determinismE0ES3_S9_PdNS6_17constant_iteratorIiNS6_11use_defaultESE_EENS6_10device_ptrIdEENSG_IlEEPmS8_NS6_8equal_toIdEEEE10hipError_tPvRmT2_T3_mT4_T5_T6_T7_T8_P12ihipStream_tbENKUlT_T0_E_clISt17integral_constantIbLb0EES13_EEDaSY_SZ_EUlSY_E_NS1_11comp_targetILNS1_3genE8ELNS1_11target_archE1030ELNS1_3gpuE2ELNS1_3repE0EEENS1_30default_config_static_selectorELNS0_4arch9wavefront6targetE1EEEvT1_: ; @_ZN7rocprim17ROCPRIM_400000_NS6detail17trampoline_kernelINS0_14default_configENS1_29reduce_by_key_config_selectorIdlN6thrust23THRUST_200600_302600_NS4plusIlEEEEZZNS1_33reduce_by_key_impl_wrapped_configILNS1_25lookback_scan_determinismE0ES3_S9_PdNS6_17constant_iteratorIiNS6_11use_defaultESE_EENS6_10device_ptrIdEENSG_IlEEPmS8_NS6_8equal_toIdEEEE10hipError_tPvRmT2_T3_mT4_T5_T6_T7_T8_P12ihipStream_tbENKUlT_T0_E_clISt17integral_constantIbLb0EES13_EEDaSY_SZ_EUlSY_E_NS1_11comp_targetILNS1_3genE8ELNS1_11target_archE1030ELNS1_3gpuE2ELNS1_3repE0EEENS1_30default_config_static_selectorELNS0_4arch9wavefront6targetE1EEEvT1_
; %bb.0:
	.section	.rodata,"a",@progbits
	.p2align	6, 0x0
	.amdhsa_kernel _ZN7rocprim17ROCPRIM_400000_NS6detail17trampoline_kernelINS0_14default_configENS1_29reduce_by_key_config_selectorIdlN6thrust23THRUST_200600_302600_NS4plusIlEEEEZZNS1_33reduce_by_key_impl_wrapped_configILNS1_25lookback_scan_determinismE0ES3_S9_PdNS6_17constant_iteratorIiNS6_11use_defaultESE_EENS6_10device_ptrIdEENSG_IlEEPmS8_NS6_8equal_toIdEEEE10hipError_tPvRmT2_T3_mT4_T5_T6_T7_T8_P12ihipStream_tbENKUlT_T0_E_clISt17integral_constantIbLb0EES13_EEDaSY_SZ_EUlSY_E_NS1_11comp_targetILNS1_3genE8ELNS1_11target_archE1030ELNS1_3gpuE2ELNS1_3repE0EEENS1_30default_config_static_selectorELNS0_4arch9wavefront6targetE1EEEvT1_
		.amdhsa_group_segment_fixed_size 0
		.amdhsa_private_segment_fixed_size 0
		.amdhsa_kernarg_size 144
		.amdhsa_user_sgpr_count 6
		.amdhsa_user_sgpr_private_segment_buffer 1
		.amdhsa_user_sgpr_dispatch_ptr 0
		.amdhsa_user_sgpr_queue_ptr 0
		.amdhsa_user_sgpr_kernarg_segment_ptr 1
		.amdhsa_user_sgpr_dispatch_id 0
		.amdhsa_user_sgpr_flat_scratch_init 0
		.amdhsa_user_sgpr_private_segment_size 0
		.amdhsa_uses_dynamic_stack 0
		.amdhsa_system_sgpr_private_segment_wavefront_offset 0
		.amdhsa_system_sgpr_workgroup_id_x 1
		.amdhsa_system_sgpr_workgroup_id_y 0
		.amdhsa_system_sgpr_workgroup_id_z 0
		.amdhsa_system_sgpr_workgroup_info 0
		.amdhsa_system_vgpr_workitem_id 0
		.amdhsa_next_free_vgpr 1
		.amdhsa_next_free_sgpr 0
		.amdhsa_reserve_vcc 0
		.amdhsa_reserve_flat_scratch 0
		.amdhsa_float_round_mode_32 0
		.amdhsa_float_round_mode_16_64 0
		.amdhsa_float_denorm_mode_32 3
		.amdhsa_float_denorm_mode_16_64 3
		.amdhsa_dx10_clamp 1
		.amdhsa_ieee_mode 1
		.amdhsa_fp16_overflow 0
		.amdhsa_exception_fp_ieee_invalid_op 0
		.amdhsa_exception_fp_denorm_src 0
		.amdhsa_exception_fp_ieee_div_zero 0
		.amdhsa_exception_fp_ieee_overflow 0
		.amdhsa_exception_fp_ieee_underflow 0
		.amdhsa_exception_fp_ieee_inexact 0
		.amdhsa_exception_int_div_zero 0
	.end_amdhsa_kernel
	.section	.text._ZN7rocprim17ROCPRIM_400000_NS6detail17trampoline_kernelINS0_14default_configENS1_29reduce_by_key_config_selectorIdlN6thrust23THRUST_200600_302600_NS4plusIlEEEEZZNS1_33reduce_by_key_impl_wrapped_configILNS1_25lookback_scan_determinismE0ES3_S9_PdNS6_17constant_iteratorIiNS6_11use_defaultESE_EENS6_10device_ptrIdEENSG_IlEEPmS8_NS6_8equal_toIdEEEE10hipError_tPvRmT2_T3_mT4_T5_T6_T7_T8_P12ihipStream_tbENKUlT_T0_E_clISt17integral_constantIbLb0EES13_EEDaSY_SZ_EUlSY_E_NS1_11comp_targetILNS1_3genE8ELNS1_11target_archE1030ELNS1_3gpuE2ELNS1_3repE0EEENS1_30default_config_static_selectorELNS0_4arch9wavefront6targetE1EEEvT1_,"axG",@progbits,_ZN7rocprim17ROCPRIM_400000_NS6detail17trampoline_kernelINS0_14default_configENS1_29reduce_by_key_config_selectorIdlN6thrust23THRUST_200600_302600_NS4plusIlEEEEZZNS1_33reduce_by_key_impl_wrapped_configILNS1_25lookback_scan_determinismE0ES3_S9_PdNS6_17constant_iteratorIiNS6_11use_defaultESE_EENS6_10device_ptrIdEENSG_IlEEPmS8_NS6_8equal_toIdEEEE10hipError_tPvRmT2_T3_mT4_T5_T6_T7_T8_P12ihipStream_tbENKUlT_T0_E_clISt17integral_constantIbLb0EES13_EEDaSY_SZ_EUlSY_E_NS1_11comp_targetILNS1_3genE8ELNS1_11target_archE1030ELNS1_3gpuE2ELNS1_3repE0EEENS1_30default_config_static_selectorELNS0_4arch9wavefront6targetE1EEEvT1_,comdat
.Lfunc_end1696:
	.size	_ZN7rocprim17ROCPRIM_400000_NS6detail17trampoline_kernelINS0_14default_configENS1_29reduce_by_key_config_selectorIdlN6thrust23THRUST_200600_302600_NS4plusIlEEEEZZNS1_33reduce_by_key_impl_wrapped_configILNS1_25lookback_scan_determinismE0ES3_S9_PdNS6_17constant_iteratorIiNS6_11use_defaultESE_EENS6_10device_ptrIdEENSG_IlEEPmS8_NS6_8equal_toIdEEEE10hipError_tPvRmT2_T3_mT4_T5_T6_T7_T8_P12ihipStream_tbENKUlT_T0_E_clISt17integral_constantIbLb0EES13_EEDaSY_SZ_EUlSY_E_NS1_11comp_targetILNS1_3genE8ELNS1_11target_archE1030ELNS1_3gpuE2ELNS1_3repE0EEENS1_30default_config_static_selectorELNS0_4arch9wavefront6targetE1EEEvT1_, .Lfunc_end1696-_ZN7rocprim17ROCPRIM_400000_NS6detail17trampoline_kernelINS0_14default_configENS1_29reduce_by_key_config_selectorIdlN6thrust23THRUST_200600_302600_NS4plusIlEEEEZZNS1_33reduce_by_key_impl_wrapped_configILNS1_25lookback_scan_determinismE0ES3_S9_PdNS6_17constant_iteratorIiNS6_11use_defaultESE_EENS6_10device_ptrIdEENSG_IlEEPmS8_NS6_8equal_toIdEEEE10hipError_tPvRmT2_T3_mT4_T5_T6_T7_T8_P12ihipStream_tbENKUlT_T0_E_clISt17integral_constantIbLb0EES13_EEDaSY_SZ_EUlSY_E_NS1_11comp_targetILNS1_3genE8ELNS1_11target_archE1030ELNS1_3gpuE2ELNS1_3repE0EEENS1_30default_config_static_selectorELNS0_4arch9wavefront6targetE1EEEvT1_
                                        ; -- End function
	.set _ZN7rocprim17ROCPRIM_400000_NS6detail17trampoline_kernelINS0_14default_configENS1_29reduce_by_key_config_selectorIdlN6thrust23THRUST_200600_302600_NS4plusIlEEEEZZNS1_33reduce_by_key_impl_wrapped_configILNS1_25lookback_scan_determinismE0ES3_S9_PdNS6_17constant_iteratorIiNS6_11use_defaultESE_EENS6_10device_ptrIdEENSG_IlEEPmS8_NS6_8equal_toIdEEEE10hipError_tPvRmT2_T3_mT4_T5_T6_T7_T8_P12ihipStream_tbENKUlT_T0_E_clISt17integral_constantIbLb0EES13_EEDaSY_SZ_EUlSY_E_NS1_11comp_targetILNS1_3genE8ELNS1_11target_archE1030ELNS1_3gpuE2ELNS1_3repE0EEENS1_30default_config_static_selectorELNS0_4arch9wavefront6targetE1EEEvT1_.num_vgpr, 0
	.set _ZN7rocprim17ROCPRIM_400000_NS6detail17trampoline_kernelINS0_14default_configENS1_29reduce_by_key_config_selectorIdlN6thrust23THRUST_200600_302600_NS4plusIlEEEEZZNS1_33reduce_by_key_impl_wrapped_configILNS1_25lookback_scan_determinismE0ES3_S9_PdNS6_17constant_iteratorIiNS6_11use_defaultESE_EENS6_10device_ptrIdEENSG_IlEEPmS8_NS6_8equal_toIdEEEE10hipError_tPvRmT2_T3_mT4_T5_T6_T7_T8_P12ihipStream_tbENKUlT_T0_E_clISt17integral_constantIbLb0EES13_EEDaSY_SZ_EUlSY_E_NS1_11comp_targetILNS1_3genE8ELNS1_11target_archE1030ELNS1_3gpuE2ELNS1_3repE0EEENS1_30default_config_static_selectorELNS0_4arch9wavefront6targetE1EEEvT1_.num_agpr, 0
	.set _ZN7rocprim17ROCPRIM_400000_NS6detail17trampoline_kernelINS0_14default_configENS1_29reduce_by_key_config_selectorIdlN6thrust23THRUST_200600_302600_NS4plusIlEEEEZZNS1_33reduce_by_key_impl_wrapped_configILNS1_25lookback_scan_determinismE0ES3_S9_PdNS6_17constant_iteratorIiNS6_11use_defaultESE_EENS6_10device_ptrIdEENSG_IlEEPmS8_NS6_8equal_toIdEEEE10hipError_tPvRmT2_T3_mT4_T5_T6_T7_T8_P12ihipStream_tbENKUlT_T0_E_clISt17integral_constantIbLb0EES13_EEDaSY_SZ_EUlSY_E_NS1_11comp_targetILNS1_3genE8ELNS1_11target_archE1030ELNS1_3gpuE2ELNS1_3repE0EEENS1_30default_config_static_selectorELNS0_4arch9wavefront6targetE1EEEvT1_.numbered_sgpr, 0
	.set _ZN7rocprim17ROCPRIM_400000_NS6detail17trampoline_kernelINS0_14default_configENS1_29reduce_by_key_config_selectorIdlN6thrust23THRUST_200600_302600_NS4plusIlEEEEZZNS1_33reduce_by_key_impl_wrapped_configILNS1_25lookback_scan_determinismE0ES3_S9_PdNS6_17constant_iteratorIiNS6_11use_defaultESE_EENS6_10device_ptrIdEENSG_IlEEPmS8_NS6_8equal_toIdEEEE10hipError_tPvRmT2_T3_mT4_T5_T6_T7_T8_P12ihipStream_tbENKUlT_T0_E_clISt17integral_constantIbLb0EES13_EEDaSY_SZ_EUlSY_E_NS1_11comp_targetILNS1_3genE8ELNS1_11target_archE1030ELNS1_3gpuE2ELNS1_3repE0EEENS1_30default_config_static_selectorELNS0_4arch9wavefront6targetE1EEEvT1_.num_named_barrier, 0
	.set _ZN7rocprim17ROCPRIM_400000_NS6detail17trampoline_kernelINS0_14default_configENS1_29reduce_by_key_config_selectorIdlN6thrust23THRUST_200600_302600_NS4plusIlEEEEZZNS1_33reduce_by_key_impl_wrapped_configILNS1_25lookback_scan_determinismE0ES3_S9_PdNS6_17constant_iteratorIiNS6_11use_defaultESE_EENS6_10device_ptrIdEENSG_IlEEPmS8_NS6_8equal_toIdEEEE10hipError_tPvRmT2_T3_mT4_T5_T6_T7_T8_P12ihipStream_tbENKUlT_T0_E_clISt17integral_constantIbLb0EES13_EEDaSY_SZ_EUlSY_E_NS1_11comp_targetILNS1_3genE8ELNS1_11target_archE1030ELNS1_3gpuE2ELNS1_3repE0EEENS1_30default_config_static_selectorELNS0_4arch9wavefront6targetE1EEEvT1_.private_seg_size, 0
	.set _ZN7rocprim17ROCPRIM_400000_NS6detail17trampoline_kernelINS0_14default_configENS1_29reduce_by_key_config_selectorIdlN6thrust23THRUST_200600_302600_NS4plusIlEEEEZZNS1_33reduce_by_key_impl_wrapped_configILNS1_25lookback_scan_determinismE0ES3_S9_PdNS6_17constant_iteratorIiNS6_11use_defaultESE_EENS6_10device_ptrIdEENSG_IlEEPmS8_NS6_8equal_toIdEEEE10hipError_tPvRmT2_T3_mT4_T5_T6_T7_T8_P12ihipStream_tbENKUlT_T0_E_clISt17integral_constantIbLb0EES13_EEDaSY_SZ_EUlSY_E_NS1_11comp_targetILNS1_3genE8ELNS1_11target_archE1030ELNS1_3gpuE2ELNS1_3repE0EEENS1_30default_config_static_selectorELNS0_4arch9wavefront6targetE1EEEvT1_.uses_vcc, 0
	.set _ZN7rocprim17ROCPRIM_400000_NS6detail17trampoline_kernelINS0_14default_configENS1_29reduce_by_key_config_selectorIdlN6thrust23THRUST_200600_302600_NS4plusIlEEEEZZNS1_33reduce_by_key_impl_wrapped_configILNS1_25lookback_scan_determinismE0ES3_S9_PdNS6_17constant_iteratorIiNS6_11use_defaultESE_EENS6_10device_ptrIdEENSG_IlEEPmS8_NS6_8equal_toIdEEEE10hipError_tPvRmT2_T3_mT4_T5_T6_T7_T8_P12ihipStream_tbENKUlT_T0_E_clISt17integral_constantIbLb0EES13_EEDaSY_SZ_EUlSY_E_NS1_11comp_targetILNS1_3genE8ELNS1_11target_archE1030ELNS1_3gpuE2ELNS1_3repE0EEENS1_30default_config_static_selectorELNS0_4arch9wavefront6targetE1EEEvT1_.uses_flat_scratch, 0
	.set _ZN7rocprim17ROCPRIM_400000_NS6detail17trampoline_kernelINS0_14default_configENS1_29reduce_by_key_config_selectorIdlN6thrust23THRUST_200600_302600_NS4plusIlEEEEZZNS1_33reduce_by_key_impl_wrapped_configILNS1_25lookback_scan_determinismE0ES3_S9_PdNS6_17constant_iteratorIiNS6_11use_defaultESE_EENS6_10device_ptrIdEENSG_IlEEPmS8_NS6_8equal_toIdEEEE10hipError_tPvRmT2_T3_mT4_T5_T6_T7_T8_P12ihipStream_tbENKUlT_T0_E_clISt17integral_constantIbLb0EES13_EEDaSY_SZ_EUlSY_E_NS1_11comp_targetILNS1_3genE8ELNS1_11target_archE1030ELNS1_3gpuE2ELNS1_3repE0EEENS1_30default_config_static_selectorELNS0_4arch9wavefront6targetE1EEEvT1_.has_dyn_sized_stack, 0
	.set _ZN7rocprim17ROCPRIM_400000_NS6detail17trampoline_kernelINS0_14default_configENS1_29reduce_by_key_config_selectorIdlN6thrust23THRUST_200600_302600_NS4plusIlEEEEZZNS1_33reduce_by_key_impl_wrapped_configILNS1_25lookback_scan_determinismE0ES3_S9_PdNS6_17constant_iteratorIiNS6_11use_defaultESE_EENS6_10device_ptrIdEENSG_IlEEPmS8_NS6_8equal_toIdEEEE10hipError_tPvRmT2_T3_mT4_T5_T6_T7_T8_P12ihipStream_tbENKUlT_T0_E_clISt17integral_constantIbLb0EES13_EEDaSY_SZ_EUlSY_E_NS1_11comp_targetILNS1_3genE8ELNS1_11target_archE1030ELNS1_3gpuE2ELNS1_3repE0EEENS1_30default_config_static_selectorELNS0_4arch9wavefront6targetE1EEEvT1_.has_recursion, 0
	.set _ZN7rocprim17ROCPRIM_400000_NS6detail17trampoline_kernelINS0_14default_configENS1_29reduce_by_key_config_selectorIdlN6thrust23THRUST_200600_302600_NS4plusIlEEEEZZNS1_33reduce_by_key_impl_wrapped_configILNS1_25lookback_scan_determinismE0ES3_S9_PdNS6_17constant_iteratorIiNS6_11use_defaultESE_EENS6_10device_ptrIdEENSG_IlEEPmS8_NS6_8equal_toIdEEEE10hipError_tPvRmT2_T3_mT4_T5_T6_T7_T8_P12ihipStream_tbENKUlT_T0_E_clISt17integral_constantIbLb0EES13_EEDaSY_SZ_EUlSY_E_NS1_11comp_targetILNS1_3genE8ELNS1_11target_archE1030ELNS1_3gpuE2ELNS1_3repE0EEENS1_30default_config_static_selectorELNS0_4arch9wavefront6targetE1EEEvT1_.has_indirect_call, 0
	.section	.AMDGPU.csdata,"",@progbits
; Kernel info:
; codeLenInByte = 0
; TotalNumSgprs: 4
; NumVgprs: 0
; ScratchSize: 0
; MemoryBound: 0
; FloatMode: 240
; IeeeMode: 1
; LDSByteSize: 0 bytes/workgroup (compile time only)
; SGPRBlocks: 0
; VGPRBlocks: 0
; NumSGPRsForWavesPerEU: 4
; NumVGPRsForWavesPerEU: 1
; Occupancy: 10
; WaveLimiterHint : 0
; COMPUTE_PGM_RSRC2:SCRATCH_EN: 0
; COMPUTE_PGM_RSRC2:USER_SGPR: 6
; COMPUTE_PGM_RSRC2:TRAP_HANDLER: 0
; COMPUTE_PGM_RSRC2:TGID_X_EN: 1
; COMPUTE_PGM_RSRC2:TGID_Y_EN: 0
; COMPUTE_PGM_RSRC2:TGID_Z_EN: 0
; COMPUTE_PGM_RSRC2:TIDIG_COMP_CNT: 0
	.section	.text._ZN7rocprim17ROCPRIM_400000_NS6detail17trampoline_kernelINS0_14default_configENS1_29reduce_by_key_config_selectorIdlN6thrust23THRUST_200600_302600_NS4plusIlEEEEZZNS1_33reduce_by_key_impl_wrapped_configILNS1_25lookback_scan_determinismE0ES3_S9_PdNS6_17constant_iteratorIiNS6_11use_defaultESE_EENS6_10device_ptrIdEENSG_IlEEPmS8_NS6_8equal_toIdEEEE10hipError_tPvRmT2_T3_mT4_T5_T6_T7_T8_P12ihipStream_tbENKUlT_T0_E_clISt17integral_constantIbLb1EES13_EEDaSY_SZ_EUlSY_E_NS1_11comp_targetILNS1_3genE0ELNS1_11target_archE4294967295ELNS1_3gpuE0ELNS1_3repE0EEENS1_30default_config_static_selectorELNS0_4arch9wavefront6targetE1EEEvT1_,"axG",@progbits,_ZN7rocprim17ROCPRIM_400000_NS6detail17trampoline_kernelINS0_14default_configENS1_29reduce_by_key_config_selectorIdlN6thrust23THRUST_200600_302600_NS4plusIlEEEEZZNS1_33reduce_by_key_impl_wrapped_configILNS1_25lookback_scan_determinismE0ES3_S9_PdNS6_17constant_iteratorIiNS6_11use_defaultESE_EENS6_10device_ptrIdEENSG_IlEEPmS8_NS6_8equal_toIdEEEE10hipError_tPvRmT2_T3_mT4_T5_T6_T7_T8_P12ihipStream_tbENKUlT_T0_E_clISt17integral_constantIbLb1EES13_EEDaSY_SZ_EUlSY_E_NS1_11comp_targetILNS1_3genE0ELNS1_11target_archE4294967295ELNS1_3gpuE0ELNS1_3repE0EEENS1_30default_config_static_selectorELNS0_4arch9wavefront6targetE1EEEvT1_,comdat
	.protected	_ZN7rocprim17ROCPRIM_400000_NS6detail17trampoline_kernelINS0_14default_configENS1_29reduce_by_key_config_selectorIdlN6thrust23THRUST_200600_302600_NS4plusIlEEEEZZNS1_33reduce_by_key_impl_wrapped_configILNS1_25lookback_scan_determinismE0ES3_S9_PdNS6_17constant_iteratorIiNS6_11use_defaultESE_EENS6_10device_ptrIdEENSG_IlEEPmS8_NS6_8equal_toIdEEEE10hipError_tPvRmT2_T3_mT4_T5_T6_T7_T8_P12ihipStream_tbENKUlT_T0_E_clISt17integral_constantIbLb1EES13_EEDaSY_SZ_EUlSY_E_NS1_11comp_targetILNS1_3genE0ELNS1_11target_archE4294967295ELNS1_3gpuE0ELNS1_3repE0EEENS1_30default_config_static_selectorELNS0_4arch9wavefront6targetE1EEEvT1_ ; -- Begin function _ZN7rocprim17ROCPRIM_400000_NS6detail17trampoline_kernelINS0_14default_configENS1_29reduce_by_key_config_selectorIdlN6thrust23THRUST_200600_302600_NS4plusIlEEEEZZNS1_33reduce_by_key_impl_wrapped_configILNS1_25lookback_scan_determinismE0ES3_S9_PdNS6_17constant_iteratorIiNS6_11use_defaultESE_EENS6_10device_ptrIdEENSG_IlEEPmS8_NS6_8equal_toIdEEEE10hipError_tPvRmT2_T3_mT4_T5_T6_T7_T8_P12ihipStream_tbENKUlT_T0_E_clISt17integral_constantIbLb1EES13_EEDaSY_SZ_EUlSY_E_NS1_11comp_targetILNS1_3genE0ELNS1_11target_archE4294967295ELNS1_3gpuE0ELNS1_3repE0EEENS1_30default_config_static_selectorELNS0_4arch9wavefront6targetE1EEEvT1_
	.globl	_ZN7rocprim17ROCPRIM_400000_NS6detail17trampoline_kernelINS0_14default_configENS1_29reduce_by_key_config_selectorIdlN6thrust23THRUST_200600_302600_NS4plusIlEEEEZZNS1_33reduce_by_key_impl_wrapped_configILNS1_25lookback_scan_determinismE0ES3_S9_PdNS6_17constant_iteratorIiNS6_11use_defaultESE_EENS6_10device_ptrIdEENSG_IlEEPmS8_NS6_8equal_toIdEEEE10hipError_tPvRmT2_T3_mT4_T5_T6_T7_T8_P12ihipStream_tbENKUlT_T0_E_clISt17integral_constantIbLb1EES13_EEDaSY_SZ_EUlSY_E_NS1_11comp_targetILNS1_3genE0ELNS1_11target_archE4294967295ELNS1_3gpuE0ELNS1_3repE0EEENS1_30default_config_static_selectorELNS0_4arch9wavefront6targetE1EEEvT1_
	.p2align	8
	.type	_ZN7rocprim17ROCPRIM_400000_NS6detail17trampoline_kernelINS0_14default_configENS1_29reduce_by_key_config_selectorIdlN6thrust23THRUST_200600_302600_NS4plusIlEEEEZZNS1_33reduce_by_key_impl_wrapped_configILNS1_25lookback_scan_determinismE0ES3_S9_PdNS6_17constant_iteratorIiNS6_11use_defaultESE_EENS6_10device_ptrIdEENSG_IlEEPmS8_NS6_8equal_toIdEEEE10hipError_tPvRmT2_T3_mT4_T5_T6_T7_T8_P12ihipStream_tbENKUlT_T0_E_clISt17integral_constantIbLb1EES13_EEDaSY_SZ_EUlSY_E_NS1_11comp_targetILNS1_3genE0ELNS1_11target_archE4294967295ELNS1_3gpuE0ELNS1_3repE0EEENS1_30default_config_static_selectorELNS0_4arch9wavefront6targetE1EEEvT1_,@function
_ZN7rocprim17ROCPRIM_400000_NS6detail17trampoline_kernelINS0_14default_configENS1_29reduce_by_key_config_selectorIdlN6thrust23THRUST_200600_302600_NS4plusIlEEEEZZNS1_33reduce_by_key_impl_wrapped_configILNS1_25lookback_scan_determinismE0ES3_S9_PdNS6_17constant_iteratorIiNS6_11use_defaultESE_EENS6_10device_ptrIdEENSG_IlEEPmS8_NS6_8equal_toIdEEEE10hipError_tPvRmT2_T3_mT4_T5_T6_T7_T8_P12ihipStream_tbENKUlT_T0_E_clISt17integral_constantIbLb1EES13_EEDaSY_SZ_EUlSY_E_NS1_11comp_targetILNS1_3genE0ELNS1_11target_archE4294967295ELNS1_3gpuE0ELNS1_3repE0EEENS1_30default_config_static_selectorELNS0_4arch9wavefront6targetE1EEEvT1_: ; @_ZN7rocprim17ROCPRIM_400000_NS6detail17trampoline_kernelINS0_14default_configENS1_29reduce_by_key_config_selectorIdlN6thrust23THRUST_200600_302600_NS4plusIlEEEEZZNS1_33reduce_by_key_impl_wrapped_configILNS1_25lookback_scan_determinismE0ES3_S9_PdNS6_17constant_iteratorIiNS6_11use_defaultESE_EENS6_10device_ptrIdEENSG_IlEEPmS8_NS6_8equal_toIdEEEE10hipError_tPvRmT2_T3_mT4_T5_T6_T7_T8_P12ihipStream_tbENKUlT_T0_E_clISt17integral_constantIbLb1EES13_EEDaSY_SZ_EUlSY_E_NS1_11comp_targetILNS1_3genE0ELNS1_11target_archE4294967295ELNS1_3gpuE0ELNS1_3repE0EEENS1_30default_config_static_selectorELNS0_4arch9wavefront6targetE1EEEvT1_
; %bb.0:
	.section	.rodata,"a",@progbits
	.p2align	6, 0x0
	.amdhsa_kernel _ZN7rocprim17ROCPRIM_400000_NS6detail17trampoline_kernelINS0_14default_configENS1_29reduce_by_key_config_selectorIdlN6thrust23THRUST_200600_302600_NS4plusIlEEEEZZNS1_33reduce_by_key_impl_wrapped_configILNS1_25lookback_scan_determinismE0ES3_S9_PdNS6_17constant_iteratorIiNS6_11use_defaultESE_EENS6_10device_ptrIdEENSG_IlEEPmS8_NS6_8equal_toIdEEEE10hipError_tPvRmT2_T3_mT4_T5_T6_T7_T8_P12ihipStream_tbENKUlT_T0_E_clISt17integral_constantIbLb1EES13_EEDaSY_SZ_EUlSY_E_NS1_11comp_targetILNS1_3genE0ELNS1_11target_archE4294967295ELNS1_3gpuE0ELNS1_3repE0EEENS1_30default_config_static_selectorELNS0_4arch9wavefront6targetE1EEEvT1_
		.amdhsa_group_segment_fixed_size 0
		.amdhsa_private_segment_fixed_size 0
		.amdhsa_kernarg_size 144
		.amdhsa_user_sgpr_count 6
		.amdhsa_user_sgpr_private_segment_buffer 1
		.amdhsa_user_sgpr_dispatch_ptr 0
		.amdhsa_user_sgpr_queue_ptr 0
		.amdhsa_user_sgpr_kernarg_segment_ptr 1
		.amdhsa_user_sgpr_dispatch_id 0
		.amdhsa_user_sgpr_flat_scratch_init 0
		.amdhsa_user_sgpr_private_segment_size 0
		.amdhsa_uses_dynamic_stack 0
		.amdhsa_system_sgpr_private_segment_wavefront_offset 0
		.amdhsa_system_sgpr_workgroup_id_x 1
		.amdhsa_system_sgpr_workgroup_id_y 0
		.amdhsa_system_sgpr_workgroup_id_z 0
		.amdhsa_system_sgpr_workgroup_info 0
		.amdhsa_system_vgpr_workitem_id 0
		.amdhsa_next_free_vgpr 1
		.amdhsa_next_free_sgpr 0
		.amdhsa_reserve_vcc 0
		.amdhsa_reserve_flat_scratch 0
		.amdhsa_float_round_mode_32 0
		.amdhsa_float_round_mode_16_64 0
		.amdhsa_float_denorm_mode_32 3
		.amdhsa_float_denorm_mode_16_64 3
		.amdhsa_dx10_clamp 1
		.amdhsa_ieee_mode 1
		.amdhsa_fp16_overflow 0
		.amdhsa_exception_fp_ieee_invalid_op 0
		.amdhsa_exception_fp_denorm_src 0
		.amdhsa_exception_fp_ieee_div_zero 0
		.amdhsa_exception_fp_ieee_overflow 0
		.amdhsa_exception_fp_ieee_underflow 0
		.amdhsa_exception_fp_ieee_inexact 0
		.amdhsa_exception_int_div_zero 0
	.end_amdhsa_kernel
	.section	.text._ZN7rocprim17ROCPRIM_400000_NS6detail17trampoline_kernelINS0_14default_configENS1_29reduce_by_key_config_selectorIdlN6thrust23THRUST_200600_302600_NS4plusIlEEEEZZNS1_33reduce_by_key_impl_wrapped_configILNS1_25lookback_scan_determinismE0ES3_S9_PdNS6_17constant_iteratorIiNS6_11use_defaultESE_EENS6_10device_ptrIdEENSG_IlEEPmS8_NS6_8equal_toIdEEEE10hipError_tPvRmT2_T3_mT4_T5_T6_T7_T8_P12ihipStream_tbENKUlT_T0_E_clISt17integral_constantIbLb1EES13_EEDaSY_SZ_EUlSY_E_NS1_11comp_targetILNS1_3genE0ELNS1_11target_archE4294967295ELNS1_3gpuE0ELNS1_3repE0EEENS1_30default_config_static_selectorELNS0_4arch9wavefront6targetE1EEEvT1_,"axG",@progbits,_ZN7rocprim17ROCPRIM_400000_NS6detail17trampoline_kernelINS0_14default_configENS1_29reduce_by_key_config_selectorIdlN6thrust23THRUST_200600_302600_NS4plusIlEEEEZZNS1_33reduce_by_key_impl_wrapped_configILNS1_25lookback_scan_determinismE0ES3_S9_PdNS6_17constant_iteratorIiNS6_11use_defaultESE_EENS6_10device_ptrIdEENSG_IlEEPmS8_NS6_8equal_toIdEEEE10hipError_tPvRmT2_T3_mT4_T5_T6_T7_T8_P12ihipStream_tbENKUlT_T0_E_clISt17integral_constantIbLb1EES13_EEDaSY_SZ_EUlSY_E_NS1_11comp_targetILNS1_3genE0ELNS1_11target_archE4294967295ELNS1_3gpuE0ELNS1_3repE0EEENS1_30default_config_static_selectorELNS0_4arch9wavefront6targetE1EEEvT1_,comdat
.Lfunc_end1697:
	.size	_ZN7rocprim17ROCPRIM_400000_NS6detail17trampoline_kernelINS0_14default_configENS1_29reduce_by_key_config_selectorIdlN6thrust23THRUST_200600_302600_NS4plusIlEEEEZZNS1_33reduce_by_key_impl_wrapped_configILNS1_25lookback_scan_determinismE0ES3_S9_PdNS6_17constant_iteratorIiNS6_11use_defaultESE_EENS6_10device_ptrIdEENSG_IlEEPmS8_NS6_8equal_toIdEEEE10hipError_tPvRmT2_T3_mT4_T5_T6_T7_T8_P12ihipStream_tbENKUlT_T0_E_clISt17integral_constantIbLb1EES13_EEDaSY_SZ_EUlSY_E_NS1_11comp_targetILNS1_3genE0ELNS1_11target_archE4294967295ELNS1_3gpuE0ELNS1_3repE0EEENS1_30default_config_static_selectorELNS0_4arch9wavefront6targetE1EEEvT1_, .Lfunc_end1697-_ZN7rocprim17ROCPRIM_400000_NS6detail17trampoline_kernelINS0_14default_configENS1_29reduce_by_key_config_selectorIdlN6thrust23THRUST_200600_302600_NS4plusIlEEEEZZNS1_33reduce_by_key_impl_wrapped_configILNS1_25lookback_scan_determinismE0ES3_S9_PdNS6_17constant_iteratorIiNS6_11use_defaultESE_EENS6_10device_ptrIdEENSG_IlEEPmS8_NS6_8equal_toIdEEEE10hipError_tPvRmT2_T3_mT4_T5_T6_T7_T8_P12ihipStream_tbENKUlT_T0_E_clISt17integral_constantIbLb1EES13_EEDaSY_SZ_EUlSY_E_NS1_11comp_targetILNS1_3genE0ELNS1_11target_archE4294967295ELNS1_3gpuE0ELNS1_3repE0EEENS1_30default_config_static_selectorELNS0_4arch9wavefront6targetE1EEEvT1_
                                        ; -- End function
	.set _ZN7rocprim17ROCPRIM_400000_NS6detail17trampoline_kernelINS0_14default_configENS1_29reduce_by_key_config_selectorIdlN6thrust23THRUST_200600_302600_NS4plusIlEEEEZZNS1_33reduce_by_key_impl_wrapped_configILNS1_25lookback_scan_determinismE0ES3_S9_PdNS6_17constant_iteratorIiNS6_11use_defaultESE_EENS6_10device_ptrIdEENSG_IlEEPmS8_NS6_8equal_toIdEEEE10hipError_tPvRmT2_T3_mT4_T5_T6_T7_T8_P12ihipStream_tbENKUlT_T0_E_clISt17integral_constantIbLb1EES13_EEDaSY_SZ_EUlSY_E_NS1_11comp_targetILNS1_3genE0ELNS1_11target_archE4294967295ELNS1_3gpuE0ELNS1_3repE0EEENS1_30default_config_static_selectorELNS0_4arch9wavefront6targetE1EEEvT1_.num_vgpr, 0
	.set _ZN7rocprim17ROCPRIM_400000_NS6detail17trampoline_kernelINS0_14default_configENS1_29reduce_by_key_config_selectorIdlN6thrust23THRUST_200600_302600_NS4plusIlEEEEZZNS1_33reduce_by_key_impl_wrapped_configILNS1_25lookback_scan_determinismE0ES3_S9_PdNS6_17constant_iteratorIiNS6_11use_defaultESE_EENS6_10device_ptrIdEENSG_IlEEPmS8_NS6_8equal_toIdEEEE10hipError_tPvRmT2_T3_mT4_T5_T6_T7_T8_P12ihipStream_tbENKUlT_T0_E_clISt17integral_constantIbLb1EES13_EEDaSY_SZ_EUlSY_E_NS1_11comp_targetILNS1_3genE0ELNS1_11target_archE4294967295ELNS1_3gpuE0ELNS1_3repE0EEENS1_30default_config_static_selectorELNS0_4arch9wavefront6targetE1EEEvT1_.num_agpr, 0
	.set _ZN7rocprim17ROCPRIM_400000_NS6detail17trampoline_kernelINS0_14default_configENS1_29reduce_by_key_config_selectorIdlN6thrust23THRUST_200600_302600_NS4plusIlEEEEZZNS1_33reduce_by_key_impl_wrapped_configILNS1_25lookback_scan_determinismE0ES3_S9_PdNS6_17constant_iteratorIiNS6_11use_defaultESE_EENS6_10device_ptrIdEENSG_IlEEPmS8_NS6_8equal_toIdEEEE10hipError_tPvRmT2_T3_mT4_T5_T6_T7_T8_P12ihipStream_tbENKUlT_T0_E_clISt17integral_constantIbLb1EES13_EEDaSY_SZ_EUlSY_E_NS1_11comp_targetILNS1_3genE0ELNS1_11target_archE4294967295ELNS1_3gpuE0ELNS1_3repE0EEENS1_30default_config_static_selectorELNS0_4arch9wavefront6targetE1EEEvT1_.numbered_sgpr, 0
	.set _ZN7rocprim17ROCPRIM_400000_NS6detail17trampoline_kernelINS0_14default_configENS1_29reduce_by_key_config_selectorIdlN6thrust23THRUST_200600_302600_NS4plusIlEEEEZZNS1_33reduce_by_key_impl_wrapped_configILNS1_25lookback_scan_determinismE0ES3_S9_PdNS6_17constant_iteratorIiNS6_11use_defaultESE_EENS6_10device_ptrIdEENSG_IlEEPmS8_NS6_8equal_toIdEEEE10hipError_tPvRmT2_T3_mT4_T5_T6_T7_T8_P12ihipStream_tbENKUlT_T0_E_clISt17integral_constantIbLb1EES13_EEDaSY_SZ_EUlSY_E_NS1_11comp_targetILNS1_3genE0ELNS1_11target_archE4294967295ELNS1_3gpuE0ELNS1_3repE0EEENS1_30default_config_static_selectorELNS0_4arch9wavefront6targetE1EEEvT1_.num_named_barrier, 0
	.set _ZN7rocprim17ROCPRIM_400000_NS6detail17trampoline_kernelINS0_14default_configENS1_29reduce_by_key_config_selectorIdlN6thrust23THRUST_200600_302600_NS4plusIlEEEEZZNS1_33reduce_by_key_impl_wrapped_configILNS1_25lookback_scan_determinismE0ES3_S9_PdNS6_17constant_iteratorIiNS6_11use_defaultESE_EENS6_10device_ptrIdEENSG_IlEEPmS8_NS6_8equal_toIdEEEE10hipError_tPvRmT2_T3_mT4_T5_T6_T7_T8_P12ihipStream_tbENKUlT_T0_E_clISt17integral_constantIbLb1EES13_EEDaSY_SZ_EUlSY_E_NS1_11comp_targetILNS1_3genE0ELNS1_11target_archE4294967295ELNS1_3gpuE0ELNS1_3repE0EEENS1_30default_config_static_selectorELNS0_4arch9wavefront6targetE1EEEvT1_.private_seg_size, 0
	.set _ZN7rocprim17ROCPRIM_400000_NS6detail17trampoline_kernelINS0_14default_configENS1_29reduce_by_key_config_selectorIdlN6thrust23THRUST_200600_302600_NS4plusIlEEEEZZNS1_33reduce_by_key_impl_wrapped_configILNS1_25lookback_scan_determinismE0ES3_S9_PdNS6_17constant_iteratorIiNS6_11use_defaultESE_EENS6_10device_ptrIdEENSG_IlEEPmS8_NS6_8equal_toIdEEEE10hipError_tPvRmT2_T3_mT4_T5_T6_T7_T8_P12ihipStream_tbENKUlT_T0_E_clISt17integral_constantIbLb1EES13_EEDaSY_SZ_EUlSY_E_NS1_11comp_targetILNS1_3genE0ELNS1_11target_archE4294967295ELNS1_3gpuE0ELNS1_3repE0EEENS1_30default_config_static_selectorELNS0_4arch9wavefront6targetE1EEEvT1_.uses_vcc, 0
	.set _ZN7rocprim17ROCPRIM_400000_NS6detail17trampoline_kernelINS0_14default_configENS1_29reduce_by_key_config_selectorIdlN6thrust23THRUST_200600_302600_NS4plusIlEEEEZZNS1_33reduce_by_key_impl_wrapped_configILNS1_25lookback_scan_determinismE0ES3_S9_PdNS6_17constant_iteratorIiNS6_11use_defaultESE_EENS6_10device_ptrIdEENSG_IlEEPmS8_NS6_8equal_toIdEEEE10hipError_tPvRmT2_T3_mT4_T5_T6_T7_T8_P12ihipStream_tbENKUlT_T0_E_clISt17integral_constantIbLb1EES13_EEDaSY_SZ_EUlSY_E_NS1_11comp_targetILNS1_3genE0ELNS1_11target_archE4294967295ELNS1_3gpuE0ELNS1_3repE0EEENS1_30default_config_static_selectorELNS0_4arch9wavefront6targetE1EEEvT1_.uses_flat_scratch, 0
	.set _ZN7rocprim17ROCPRIM_400000_NS6detail17trampoline_kernelINS0_14default_configENS1_29reduce_by_key_config_selectorIdlN6thrust23THRUST_200600_302600_NS4plusIlEEEEZZNS1_33reduce_by_key_impl_wrapped_configILNS1_25lookback_scan_determinismE0ES3_S9_PdNS6_17constant_iteratorIiNS6_11use_defaultESE_EENS6_10device_ptrIdEENSG_IlEEPmS8_NS6_8equal_toIdEEEE10hipError_tPvRmT2_T3_mT4_T5_T6_T7_T8_P12ihipStream_tbENKUlT_T0_E_clISt17integral_constantIbLb1EES13_EEDaSY_SZ_EUlSY_E_NS1_11comp_targetILNS1_3genE0ELNS1_11target_archE4294967295ELNS1_3gpuE0ELNS1_3repE0EEENS1_30default_config_static_selectorELNS0_4arch9wavefront6targetE1EEEvT1_.has_dyn_sized_stack, 0
	.set _ZN7rocprim17ROCPRIM_400000_NS6detail17trampoline_kernelINS0_14default_configENS1_29reduce_by_key_config_selectorIdlN6thrust23THRUST_200600_302600_NS4plusIlEEEEZZNS1_33reduce_by_key_impl_wrapped_configILNS1_25lookback_scan_determinismE0ES3_S9_PdNS6_17constant_iteratorIiNS6_11use_defaultESE_EENS6_10device_ptrIdEENSG_IlEEPmS8_NS6_8equal_toIdEEEE10hipError_tPvRmT2_T3_mT4_T5_T6_T7_T8_P12ihipStream_tbENKUlT_T0_E_clISt17integral_constantIbLb1EES13_EEDaSY_SZ_EUlSY_E_NS1_11comp_targetILNS1_3genE0ELNS1_11target_archE4294967295ELNS1_3gpuE0ELNS1_3repE0EEENS1_30default_config_static_selectorELNS0_4arch9wavefront6targetE1EEEvT1_.has_recursion, 0
	.set _ZN7rocprim17ROCPRIM_400000_NS6detail17trampoline_kernelINS0_14default_configENS1_29reduce_by_key_config_selectorIdlN6thrust23THRUST_200600_302600_NS4plusIlEEEEZZNS1_33reduce_by_key_impl_wrapped_configILNS1_25lookback_scan_determinismE0ES3_S9_PdNS6_17constant_iteratorIiNS6_11use_defaultESE_EENS6_10device_ptrIdEENSG_IlEEPmS8_NS6_8equal_toIdEEEE10hipError_tPvRmT2_T3_mT4_T5_T6_T7_T8_P12ihipStream_tbENKUlT_T0_E_clISt17integral_constantIbLb1EES13_EEDaSY_SZ_EUlSY_E_NS1_11comp_targetILNS1_3genE0ELNS1_11target_archE4294967295ELNS1_3gpuE0ELNS1_3repE0EEENS1_30default_config_static_selectorELNS0_4arch9wavefront6targetE1EEEvT1_.has_indirect_call, 0
	.section	.AMDGPU.csdata,"",@progbits
; Kernel info:
; codeLenInByte = 0
; TotalNumSgprs: 4
; NumVgprs: 0
; ScratchSize: 0
; MemoryBound: 0
; FloatMode: 240
; IeeeMode: 1
; LDSByteSize: 0 bytes/workgroup (compile time only)
; SGPRBlocks: 0
; VGPRBlocks: 0
; NumSGPRsForWavesPerEU: 4
; NumVGPRsForWavesPerEU: 1
; Occupancy: 10
; WaveLimiterHint : 0
; COMPUTE_PGM_RSRC2:SCRATCH_EN: 0
; COMPUTE_PGM_RSRC2:USER_SGPR: 6
; COMPUTE_PGM_RSRC2:TRAP_HANDLER: 0
; COMPUTE_PGM_RSRC2:TGID_X_EN: 1
; COMPUTE_PGM_RSRC2:TGID_Y_EN: 0
; COMPUTE_PGM_RSRC2:TGID_Z_EN: 0
; COMPUTE_PGM_RSRC2:TIDIG_COMP_CNT: 0
	.section	.text._ZN7rocprim17ROCPRIM_400000_NS6detail17trampoline_kernelINS0_14default_configENS1_29reduce_by_key_config_selectorIdlN6thrust23THRUST_200600_302600_NS4plusIlEEEEZZNS1_33reduce_by_key_impl_wrapped_configILNS1_25lookback_scan_determinismE0ES3_S9_PdNS6_17constant_iteratorIiNS6_11use_defaultESE_EENS6_10device_ptrIdEENSG_IlEEPmS8_NS6_8equal_toIdEEEE10hipError_tPvRmT2_T3_mT4_T5_T6_T7_T8_P12ihipStream_tbENKUlT_T0_E_clISt17integral_constantIbLb1EES13_EEDaSY_SZ_EUlSY_E_NS1_11comp_targetILNS1_3genE5ELNS1_11target_archE942ELNS1_3gpuE9ELNS1_3repE0EEENS1_30default_config_static_selectorELNS0_4arch9wavefront6targetE1EEEvT1_,"axG",@progbits,_ZN7rocprim17ROCPRIM_400000_NS6detail17trampoline_kernelINS0_14default_configENS1_29reduce_by_key_config_selectorIdlN6thrust23THRUST_200600_302600_NS4plusIlEEEEZZNS1_33reduce_by_key_impl_wrapped_configILNS1_25lookback_scan_determinismE0ES3_S9_PdNS6_17constant_iteratorIiNS6_11use_defaultESE_EENS6_10device_ptrIdEENSG_IlEEPmS8_NS6_8equal_toIdEEEE10hipError_tPvRmT2_T3_mT4_T5_T6_T7_T8_P12ihipStream_tbENKUlT_T0_E_clISt17integral_constantIbLb1EES13_EEDaSY_SZ_EUlSY_E_NS1_11comp_targetILNS1_3genE5ELNS1_11target_archE942ELNS1_3gpuE9ELNS1_3repE0EEENS1_30default_config_static_selectorELNS0_4arch9wavefront6targetE1EEEvT1_,comdat
	.protected	_ZN7rocprim17ROCPRIM_400000_NS6detail17trampoline_kernelINS0_14default_configENS1_29reduce_by_key_config_selectorIdlN6thrust23THRUST_200600_302600_NS4plusIlEEEEZZNS1_33reduce_by_key_impl_wrapped_configILNS1_25lookback_scan_determinismE0ES3_S9_PdNS6_17constant_iteratorIiNS6_11use_defaultESE_EENS6_10device_ptrIdEENSG_IlEEPmS8_NS6_8equal_toIdEEEE10hipError_tPvRmT2_T3_mT4_T5_T6_T7_T8_P12ihipStream_tbENKUlT_T0_E_clISt17integral_constantIbLb1EES13_EEDaSY_SZ_EUlSY_E_NS1_11comp_targetILNS1_3genE5ELNS1_11target_archE942ELNS1_3gpuE9ELNS1_3repE0EEENS1_30default_config_static_selectorELNS0_4arch9wavefront6targetE1EEEvT1_ ; -- Begin function _ZN7rocprim17ROCPRIM_400000_NS6detail17trampoline_kernelINS0_14default_configENS1_29reduce_by_key_config_selectorIdlN6thrust23THRUST_200600_302600_NS4plusIlEEEEZZNS1_33reduce_by_key_impl_wrapped_configILNS1_25lookback_scan_determinismE0ES3_S9_PdNS6_17constant_iteratorIiNS6_11use_defaultESE_EENS6_10device_ptrIdEENSG_IlEEPmS8_NS6_8equal_toIdEEEE10hipError_tPvRmT2_T3_mT4_T5_T6_T7_T8_P12ihipStream_tbENKUlT_T0_E_clISt17integral_constantIbLb1EES13_EEDaSY_SZ_EUlSY_E_NS1_11comp_targetILNS1_3genE5ELNS1_11target_archE942ELNS1_3gpuE9ELNS1_3repE0EEENS1_30default_config_static_selectorELNS0_4arch9wavefront6targetE1EEEvT1_
	.globl	_ZN7rocprim17ROCPRIM_400000_NS6detail17trampoline_kernelINS0_14default_configENS1_29reduce_by_key_config_selectorIdlN6thrust23THRUST_200600_302600_NS4plusIlEEEEZZNS1_33reduce_by_key_impl_wrapped_configILNS1_25lookback_scan_determinismE0ES3_S9_PdNS6_17constant_iteratorIiNS6_11use_defaultESE_EENS6_10device_ptrIdEENSG_IlEEPmS8_NS6_8equal_toIdEEEE10hipError_tPvRmT2_T3_mT4_T5_T6_T7_T8_P12ihipStream_tbENKUlT_T0_E_clISt17integral_constantIbLb1EES13_EEDaSY_SZ_EUlSY_E_NS1_11comp_targetILNS1_3genE5ELNS1_11target_archE942ELNS1_3gpuE9ELNS1_3repE0EEENS1_30default_config_static_selectorELNS0_4arch9wavefront6targetE1EEEvT1_
	.p2align	8
	.type	_ZN7rocprim17ROCPRIM_400000_NS6detail17trampoline_kernelINS0_14default_configENS1_29reduce_by_key_config_selectorIdlN6thrust23THRUST_200600_302600_NS4plusIlEEEEZZNS1_33reduce_by_key_impl_wrapped_configILNS1_25lookback_scan_determinismE0ES3_S9_PdNS6_17constant_iteratorIiNS6_11use_defaultESE_EENS6_10device_ptrIdEENSG_IlEEPmS8_NS6_8equal_toIdEEEE10hipError_tPvRmT2_T3_mT4_T5_T6_T7_T8_P12ihipStream_tbENKUlT_T0_E_clISt17integral_constantIbLb1EES13_EEDaSY_SZ_EUlSY_E_NS1_11comp_targetILNS1_3genE5ELNS1_11target_archE942ELNS1_3gpuE9ELNS1_3repE0EEENS1_30default_config_static_selectorELNS0_4arch9wavefront6targetE1EEEvT1_,@function
_ZN7rocprim17ROCPRIM_400000_NS6detail17trampoline_kernelINS0_14default_configENS1_29reduce_by_key_config_selectorIdlN6thrust23THRUST_200600_302600_NS4plusIlEEEEZZNS1_33reduce_by_key_impl_wrapped_configILNS1_25lookback_scan_determinismE0ES3_S9_PdNS6_17constant_iteratorIiNS6_11use_defaultESE_EENS6_10device_ptrIdEENSG_IlEEPmS8_NS6_8equal_toIdEEEE10hipError_tPvRmT2_T3_mT4_T5_T6_T7_T8_P12ihipStream_tbENKUlT_T0_E_clISt17integral_constantIbLb1EES13_EEDaSY_SZ_EUlSY_E_NS1_11comp_targetILNS1_3genE5ELNS1_11target_archE942ELNS1_3gpuE9ELNS1_3repE0EEENS1_30default_config_static_selectorELNS0_4arch9wavefront6targetE1EEEvT1_: ; @_ZN7rocprim17ROCPRIM_400000_NS6detail17trampoline_kernelINS0_14default_configENS1_29reduce_by_key_config_selectorIdlN6thrust23THRUST_200600_302600_NS4plusIlEEEEZZNS1_33reduce_by_key_impl_wrapped_configILNS1_25lookback_scan_determinismE0ES3_S9_PdNS6_17constant_iteratorIiNS6_11use_defaultESE_EENS6_10device_ptrIdEENSG_IlEEPmS8_NS6_8equal_toIdEEEE10hipError_tPvRmT2_T3_mT4_T5_T6_T7_T8_P12ihipStream_tbENKUlT_T0_E_clISt17integral_constantIbLb1EES13_EEDaSY_SZ_EUlSY_E_NS1_11comp_targetILNS1_3genE5ELNS1_11target_archE942ELNS1_3gpuE9ELNS1_3repE0EEENS1_30default_config_static_selectorELNS0_4arch9wavefront6targetE1EEEvT1_
; %bb.0:
	.section	.rodata,"a",@progbits
	.p2align	6, 0x0
	.amdhsa_kernel _ZN7rocprim17ROCPRIM_400000_NS6detail17trampoline_kernelINS0_14default_configENS1_29reduce_by_key_config_selectorIdlN6thrust23THRUST_200600_302600_NS4plusIlEEEEZZNS1_33reduce_by_key_impl_wrapped_configILNS1_25lookback_scan_determinismE0ES3_S9_PdNS6_17constant_iteratorIiNS6_11use_defaultESE_EENS6_10device_ptrIdEENSG_IlEEPmS8_NS6_8equal_toIdEEEE10hipError_tPvRmT2_T3_mT4_T5_T6_T7_T8_P12ihipStream_tbENKUlT_T0_E_clISt17integral_constantIbLb1EES13_EEDaSY_SZ_EUlSY_E_NS1_11comp_targetILNS1_3genE5ELNS1_11target_archE942ELNS1_3gpuE9ELNS1_3repE0EEENS1_30default_config_static_selectorELNS0_4arch9wavefront6targetE1EEEvT1_
		.amdhsa_group_segment_fixed_size 0
		.amdhsa_private_segment_fixed_size 0
		.amdhsa_kernarg_size 144
		.amdhsa_user_sgpr_count 6
		.amdhsa_user_sgpr_private_segment_buffer 1
		.amdhsa_user_sgpr_dispatch_ptr 0
		.amdhsa_user_sgpr_queue_ptr 0
		.amdhsa_user_sgpr_kernarg_segment_ptr 1
		.amdhsa_user_sgpr_dispatch_id 0
		.amdhsa_user_sgpr_flat_scratch_init 0
		.amdhsa_user_sgpr_private_segment_size 0
		.amdhsa_uses_dynamic_stack 0
		.amdhsa_system_sgpr_private_segment_wavefront_offset 0
		.amdhsa_system_sgpr_workgroup_id_x 1
		.amdhsa_system_sgpr_workgroup_id_y 0
		.amdhsa_system_sgpr_workgroup_id_z 0
		.amdhsa_system_sgpr_workgroup_info 0
		.amdhsa_system_vgpr_workitem_id 0
		.amdhsa_next_free_vgpr 1
		.amdhsa_next_free_sgpr 0
		.amdhsa_reserve_vcc 0
		.amdhsa_reserve_flat_scratch 0
		.amdhsa_float_round_mode_32 0
		.amdhsa_float_round_mode_16_64 0
		.amdhsa_float_denorm_mode_32 3
		.amdhsa_float_denorm_mode_16_64 3
		.amdhsa_dx10_clamp 1
		.amdhsa_ieee_mode 1
		.amdhsa_fp16_overflow 0
		.amdhsa_exception_fp_ieee_invalid_op 0
		.amdhsa_exception_fp_denorm_src 0
		.amdhsa_exception_fp_ieee_div_zero 0
		.amdhsa_exception_fp_ieee_overflow 0
		.amdhsa_exception_fp_ieee_underflow 0
		.amdhsa_exception_fp_ieee_inexact 0
		.amdhsa_exception_int_div_zero 0
	.end_amdhsa_kernel
	.section	.text._ZN7rocprim17ROCPRIM_400000_NS6detail17trampoline_kernelINS0_14default_configENS1_29reduce_by_key_config_selectorIdlN6thrust23THRUST_200600_302600_NS4plusIlEEEEZZNS1_33reduce_by_key_impl_wrapped_configILNS1_25lookback_scan_determinismE0ES3_S9_PdNS6_17constant_iteratorIiNS6_11use_defaultESE_EENS6_10device_ptrIdEENSG_IlEEPmS8_NS6_8equal_toIdEEEE10hipError_tPvRmT2_T3_mT4_T5_T6_T7_T8_P12ihipStream_tbENKUlT_T0_E_clISt17integral_constantIbLb1EES13_EEDaSY_SZ_EUlSY_E_NS1_11comp_targetILNS1_3genE5ELNS1_11target_archE942ELNS1_3gpuE9ELNS1_3repE0EEENS1_30default_config_static_selectorELNS0_4arch9wavefront6targetE1EEEvT1_,"axG",@progbits,_ZN7rocprim17ROCPRIM_400000_NS6detail17trampoline_kernelINS0_14default_configENS1_29reduce_by_key_config_selectorIdlN6thrust23THRUST_200600_302600_NS4plusIlEEEEZZNS1_33reduce_by_key_impl_wrapped_configILNS1_25lookback_scan_determinismE0ES3_S9_PdNS6_17constant_iteratorIiNS6_11use_defaultESE_EENS6_10device_ptrIdEENSG_IlEEPmS8_NS6_8equal_toIdEEEE10hipError_tPvRmT2_T3_mT4_T5_T6_T7_T8_P12ihipStream_tbENKUlT_T0_E_clISt17integral_constantIbLb1EES13_EEDaSY_SZ_EUlSY_E_NS1_11comp_targetILNS1_3genE5ELNS1_11target_archE942ELNS1_3gpuE9ELNS1_3repE0EEENS1_30default_config_static_selectorELNS0_4arch9wavefront6targetE1EEEvT1_,comdat
.Lfunc_end1698:
	.size	_ZN7rocprim17ROCPRIM_400000_NS6detail17trampoline_kernelINS0_14default_configENS1_29reduce_by_key_config_selectorIdlN6thrust23THRUST_200600_302600_NS4plusIlEEEEZZNS1_33reduce_by_key_impl_wrapped_configILNS1_25lookback_scan_determinismE0ES3_S9_PdNS6_17constant_iteratorIiNS6_11use_defaultESE_EENS6_10device_ptrIdEENSG_IlEEPmS8_NS6_8equal_toIdEEEE10hipError_tPvRmT2_T3_mT4_T5_T6_T7_T8_P12ihipStream_tbENKUlT_T0_E_clISt17integral_constantIbLb1EES13_EEDaSY_SZ_EUlSY_E_NS1_11comp_targetILNS1_3genE5ELNS1_11target_archE942ELNS1_3gpuE9ELNS1_3repE0EEENS1_30default_config_static_selectorELNS0_4arch9wavefront6targetE1EEEvT1_, .Lfunc_end1698-_ZN7rocprim17ROCPRIM_400000_NS6detail17trampoline_kernelINS0_14default_configENS1_29reduce_by_key_config_selectorIdlN6thrust23THRUST_200600_302600_NS4plusIlEEEEZZNS1_33reduce_by_key_impl_wrapped_configILNS1_25lookback_scan_determinismE0ES3_S9_PdNS6_17constant_iteratorIiNS6_11use_defaultESE_EENS6_10device_ptrIdEENSG_IlEEPmS8_NS6_8equal_toIdEEEE10hipError_tPvRmT2_T3_mT4_T5_T6_T7_T8_P12ihipStream_tbENKUlT_T0_E_clISt17integral_constantIbLb1EES13_EEDaSY_SZ_EUlSY_E_NS1_11comp_targetILNS1_3genE5ELNS1_11target_archE942ELNS1_3gpuE9ELNS1_3repE0EEENS1_30default_config_static_selectorELNS0_4arch9wavefront6targetE1EEEvT1_
                                        ; -- End function
	.set _ZN7rocprim17ROCPRIM_400000_NS6detail17trampoline_kernelINS0_14default_configENS1_29reduce_by_key_config_selectorIdlN6thrust23THRUST_200600_302600_NS4plusIlEEEEZZNS1_33reduce_by_key_impl_wrapped_configILNS1_25lookback_scan_determinismE0ES3_S9_PdNS6_17constant_iteratorIiNS6_11use_defaultESE_EENS6_10device_ptrIdEENSG_IlEEPmS8_NS6_8equal_toIdEEEE10hipError_tPvRmT2_T3_mT4_T5_T6_T7_T8_P12ihipStream_tbENKUlT_T0_E_clISt17integral_constantIbLb1EES13_EEDaSY_SZ_EUlSY_E_NS1_11comp_targetILNS1_3genE5ELNS1_11target_archE942ELNS1_3gpuE9ELNS1_3repE0EEENS1_30default_config_static_selectorELNS0_4arch9wavefront6targetE1EEEvT1_.num_vgpr, 0
	.set _ZN7rocprim17ROCPRIM_400000_NS6detail17trampoline_kernelINS0_14default_configENS1_29reduce_by_key_config_selectorIdlN6thrust23THRUST_200600_302600_NS4plusIlEEEEZZNS1_33reduce_by_key_impl_wrapped_configILNS1_25lookback_scan_determinismE0ES3_S9_PdNS6_17constant_iteratorIiNS6_11use_defaultESE_EENS6_10device_ptrIdEENSG_IlEEPmS8_NS6_8equal_toIdEEEE10hipError_tPvRmT2_T3_mT4_T5_T6_T7_T8_P12ihipStream_tbENKUlT_T0_E_clISt17integral_constantIbLb1EES13_EEDaSY_SZ_EUlSY_E_NS1_11comp_targetILNS1_3genE5ELNS1_11target_archE942ELNS1_3gpuE9ELNS1_3repE0EEENS1_30default_config_static_selectorELNS0_4arch9wavefront6targetE1EEEvT1_.num_agpr, 0
	.set _ZN7rocprim17ROCPRIM_400000_NS6detail17trampoline_kernelINS0_14default_configENS1_29reduce_by_key_config_selectorIdlN6thrust23THRUST_200600_302600_NS4plusIlEEEEZZNS1_33reduce_by_key_impl_wrapped_configILNS1_25lookback_scan_determinismE0ES3_S9_PdNS6_17constant_iteratorIiNS6_11use_defaultESE_EENS6_10device_ptrIdEENSG_IlEEPmS8_NS6_8equal_toIdEEEE10hipError_tPvRmT2_T3_mT4_T5_T6_T7_T8_P12ihipStream_tbENKUlT_T0_E_clISt17integral_constantIbLb1EES13_EEDaSY_SZ_EUlSY_E_NS1_11comp_targetILNS1_3genE5ELNS1_11target_archE942ELNS1_3gpuE9ELNS1_3repE0EEENS1_30default_config_static_selectorELNS0_4arch9wavefront6targetE1EEEvT1_.numbered_sgpr, 0
	.set _ZN7rocprim17ROCPRIM_400000_NS6detail17trampoline_kernelINS0_14default_configENS1_29reduce_by_key_config_selectorIdlN6thrust23THRUST_200600_302600_NS4plusIlEEEEZZNS1_33reduce_by_key_impl_wrapped_configILNS1_25lookback_scan_determinismE0ES3_S9_PdNS6_17constant_iteratorIiNS6_11use_defaultESE_EENS6_10device_ptrIdEENSG_IlEEPmS8_NS6_8equal_toIdEEEE10hipError_tPvRmT2_T3_mT4_T5_T6_T7_T8_P12ihipStream_tbENKUlT_T0_E_clISt17integral_constantIbLb1EES13_EEDaSY_SZ_EUlSY_E_NS1_11comp_targetILNS1_3genE5ELNS1_11target_archE942ELNS1_3gpuE9ELNS1_3repE0EEENS1_30default_config_static_selectorELNS0_4arch9wavefront6targetE1EEEvT1_.num_named_barrier, 0
	.set _ZN7rocprim17ROCPRIM_400000_NS6detail17trampoline_kernelINS0_14default_configENS1_29reduce_by_key_config_selectorIdlN6thrust23THRUST_200600_302600_NS4plusIlEEEEZZNS1_33reduce_by_key_impl_wrapped_configILNS1_25lookback_scan_determinismE0ES3_S9_PdNS6_17constant_iteratorIiNS6_11use_defaultESE_EENS6_10device_ptrIdEENSG_IlEEPmS8_NS6_8equal_toIdEEEE10hipError_tPvRmT2_T3_mT4_T5_T6_T7_T8_P12ihipStream_tbENKUlT_T0_E_clISt17integral_constantIbLb1EES13_EEDaSY_SZ_EUlSY_E_NS1_11comp_targetILNS1_3genE5ELNS1_11target_archE942ELNS1_3gpuE9ELNS1_3repE0EEENS1_30default_config_static_selectorELNS0_4arch9wavefront6targetE1EEEvT1_.private_seg_size, 0
	.set _ZN7rocprim17ROCPRIM_400000_NS6detail17trampoline_kernelINS0_14default_configENS1_29reduce_by_key_config_selectorIdlN6thrust23THRUST_200600_302600_NS4plusIlEEEEZZNS1_33reduce_by_key_impl_wrapped_configILNS1_25lookback_scan_determinismE0ES3_S9_PdNS6_17constant_iteratorIiNS6_11use_defaultESE_EENS6_10device_ptrIdEENSG_IlEEPmS8_NS6_8equal_toIdEEEE10hipError_tPvRmT2_T3_mT4_T5_T6_T7_T8_P12ihipStream_tbENKUlT_T0_E_clISt17integral_constantIbLb1EES13_EEDaSY_SZ_EUlSY_E_NS1_11comp_targetILNS1_3genE5ELNS1_11target_archE942ELNS1_3gpuE9ELNS1_3repE0EEENS1_30default_config_static_selectorELNS0_4arch9wavefront6targetE1EEEvT1_.uses_vcc, 0
	.set _ZN7rocprim17ROCPRIM_400000_NS6detail17trampoline_kernelINS0_14default_configENS1_29reduce_by_key_config_selectorIdlN6thrust23THRUST_200600_302600_NS4plusIlEEEEZZNS1_33reduce_by_key_impl_wrapped_configILNS1_25lookback_scan_determinismE0ES3_S9_PdNS6_17constant_iteratorIiNS6_11use_defaultESE_EENS6_10device_ptrIdEENSG_IlEEPmS8_NS6_8equal_toIdEEEE10hipError_tPvRmT2_T3_mT4_T5_T6_T7_T8_P12ihipStream_tbENKUlT_T0_E_clISt17integral_constantIbLb1EES13_EEDaSY_SZ_EUlSY_E_NS1_11comp_targetILNS1_3genE5ELNS1_11target_archE942ELNS1_3gpuE9ELNS1_3repE0EEENS1_30default_config_static_selectorELNS0_4arch9wavefront6targetE1EEEvT1_.uses_flat_scratch, 0
	.set _ZN7rocprim17ROCPRIM_400000_NS6detail17trampoline_kernelINS0_14default_configENS1_29reduce_by_key_config_selectorIdlN6thrust23THRUST_200600_302600_NS4plusIlEEEEZZNS1_33reduce_by_key_impl_wrapped_configILNS1_25lookback_scan_determinismE0ES3_S9_PdNS6_17constant_iteratorIiNS6_11use_defaultESE_EENS6_10device_ptrIdEENSG_IlEEPmS8_NS6_8equal_toIdEEEE10hipError_tPvRmT2_T3_mT4_T5_T6_T7_T8_P12ihipStream_tbENKUlT_T0_E_clISt17integral_constantIbLb1EES13_EEDaSY_SZ_EUlSY_E_NS1_11comp_targetILNS1_3genE5ELNS1_11target_archE942ELNS1_3gpuE9ELNS1_3repE0EEENS1_30default_config_static_selectorELNS0_4arch9wavefront6targetE1EEEvT1_.has_dyn_sized_stack, 0
	.set _ZN7rocprim17ROCPRIM_400000_NS6detail17trampoline_kernelINS0_14default_configENS1_29reduce_by_key_config_selectorIdlN6thrust23THRUST_200600_302600_NS4plusIlEEEEZZNS1_33reduce_by_key_impl_wrapped_configILNS1_25lookback_scan_determinismE0ES3_S9_PdNS6_17constant_iteratorIiNS6_11use_defaultESE_EENS6_10device_ptrIdEENSG_IlEEPmS8_NS6_8equal_toIdEEEE10hipError_tPvRmT2_T3_mT4_T5_T6_T7_T8_P12ihipStream_tbENKUlT_T0_E_clISt17integral_constantIbLb1EES13_EEDaSY_SZ_EUlSY_E_NS1_11comp_targetILNS1_3genE5ELNS1_11target_archE942ELNS1_3gpuE9ELNS1_3repE0EEENS1_30default_config_static_selectorELNS0_4arch9wavefront6targetE1EEEvT1_.has_recursion, 0
	.set _ZN7rocprim17ROCPRIM_400000_NS6detail17trampoline_kernelINS0_14default_configENS1_29reduce_by_key_config_selectorIdlN6thrust23THRUST_200600_302600_NS4plusIlEEEEZZNS1_33reduce_by_key_impl_wrapped_configILNS1_25lookback_scan_determinismE0ES3_S9_PdNS6_17constant_iteratorIiNS6_11use_defaultESE_EENS6_10device_ptrIdEENSG_IlEEPmS8_NS6_8equal_toIdEEEE10hipError_tPvRmT2_T3_mT4_T5_T6_T7_T8_P12ihipStream_tbENKUlT_T0_E_clISt17integral_constantIbLb1EES13_EEDaSY_SZ_EUlSY_E_NS1_11comp_targetILNS1_3genE5ELNS1_11target_archE942ELNS1_3gpuE9ELNS1_3repE0EEENS1_30default_config_static_selectorELNS0_4arch9wavefront6targetE1EEEvT1_.has_indirect_call, 0
	.section	.AMDGPU.csdata,"",@progbits
; Kernel info:
; codeLenInByte = 0
; TotalNumSgprs: 4
; NumVgprs: 0
; ScratchSize: 0
; MemoryBound: 0
; FloatMode: 240
; IeeeMode: 1
; LDSByteSize: 0 bytes/workgroup (compile time only)
; SGPRBlocks: 0
; VGPRBlocks: 0
; NumSGPRsForWavesPerEU: 4
; NumVGPRsForWavesPerEU: 1
; Occupancy: 10
; WaveLimiterHint : 0
; COMPUTE_PGM_RSRC2:SCRATCH_EN: 0
; COMPUTE_PGM_RSRC2:USER_SGPR: 6
; COMPUTE_PGM_RSRC2:TRAP_HANDLER: 0
; COMPUTE_PGM_RSRC2:TGID_X_EN: 1
; COMPUTE_PGM_RSRC2:TGID_Y_EN: 0
; COMPUTE_PGM_RSRC2:TGID_Z_EN: 0
; COMPUTE_PGM_RSRC2:TIDIG_COMP_CNT: 0
	.section	.text._ZN7rocprim17ROCPRIM_400000_NS6detail17trampoline_kernelINS0_14default_configENS1_29reduce_by_key_config_selectorIdlN6thrust23THRUST_200600_302600_NS4plusIlEEEEZZNS1_33reduce_by_key_impl_wrapped_configILNS1_25lookback_scan_determinismE0ES3_S9_PdNS6_17constant_iteratorIiNS6_11use_defaultESE_EENS6_10device_ptrIdEENSG_IlEEPmS8_NS6_8equal_toIdEEEE10hipError_tPvRmT2_T3_mT4_T5_T6_T7_T8_P12ihipStream_tbENKUlT_T0_E_clISt17integral_constantIbLb1EES13_EEDaSY_SZ_EUlSY_E_NS1_11comp_targetILNS1_3genE4ELNS1_11target_archE910ELNS1_3gpuE8ELNS1_3repE0EEENS1_30default_config_static_selectorELNS0_4arch9wavefront6targetE1EEEvT1_,"axG",@progbits,_ZN7rocprim17ROCPRIM_400000_NS6detail17trampoline_kernelINS0_14default_configENS1_29reduce_by_key_config_selectorIdlN6thrust23THRUST_200600_302600_NS4plusIlEEEEZZNS1_33reduce_by_key_impl_wrapped_configILNS1_25lookback_scan_determinismE0ES3_S9_PdNS6_17constant_iteratorIiNS6_11use_defaultESE_EENS6_10device_ptrIdEENSG_IlEEPmS8_NS6_8equal_toIdEEEE10hipError_tPvRmT2_T3_mT4_T5_T6_T7_T8_P12ihipStream_tbENKUlT_T0_E_clISt17integral_constantIbLb1EES13_EEDaSY_SZ_EUlSY_E_NS1_11comp_targetILNS1_3genE4ELNS1_11target_archE910ELNS1_3gpuE8ELNS1_3repE0EEENS1_30default_config_static_selectorELNS0_4arch9wavefront6targetE1EEEvT1_,comdat
	.protected	_ZN7rocprim17ROCPRIM_400000_NS6detail17trampoline_kernelINS0_14default_configENS1_29reduce_by_key_config_selectorIdlN6thrust23THRUST_200600_302600_NS4plusIlEEEEZZNS1_33reduce_by_key_impl_wrapped_configILNS1_25lookback_scan_determinismE0ES3_S9_PdNS6_17constant_iteratorIiNS6_11use_defaultESE_EENS6_10device_ptrIdEENSG_IlEEPmS8_NS6_8equal_toIdEEEE10hipError_tPvRmT2_T3_mT4_T5_T6_T7_T8_P12ihipStream_tbENKUlT_T0_E_clISt17integral_constantIbLb1EES13_EEDaSY_SZ_EUlSY_E_NS1_11comp_targetILNS1_3genE4ELNS1_11target_archE910ELNS1_3gpuE8ELNS1_3repE0EEENS1_30default_config_static_selectorELNS0_4arch9wavefront6targetE1EEEvT1_ ; -- Begin function _ZN7rocprim17ROCPRIM_400000_NS6detail17trampoline_kernelINS0_14default_configENS1_29reduce_by_key_config_selectorIdlN6thrust23THRUST_200600_302600_NS4plusIlEEEEZZNS1_33reduce_by_key_impl_wrapped_configILNS1_25lookback_scan_determinismE0ES3_S9_PdNS6_17constant_iteratorIiNS6_11use_defaultESE_EENS6_10device_ptrIdEENSG_IlEEPmS8_NS6_8equal_toIdEEEE10hipError_tPvRmT2_T3_mT4_T5_T6_T7_T8_P12ihipStream_tbENKUlT_T0_E_clISt17integral_constantIbLb1EES13_EEDaSY_SZ_EUlSY_E_NS1_11comp_targetILNS1_3genE4ELNS1_11target_archE910ELNS1_3gpuE8ELNS1_3repE0EEENS1_30default_config_static_selectorELNS0_4arch9wavefront6targetE1EEEvT1_
	.globl	_ZN7rocprim17ROCPRIM_400000_NS6detail17trampoline_kernelINS0_14default_configENS1_29reduce_by_key_config_selectorIdlN6thrust23THRUST_200600_302600_NS4plusIlEEEEZZNS1_33reduce_by_key_impl_wrapped_configILNS1_25lookback_scan_determinismE0ES3_S9_PdNS6_17constant_iteratorIiNS6_11use_defaultESE_EENS6_10device_ptrIdEENSG_IlEEPmS8_NS6_8equal_toIdEEEE10hipError_tPvRmT2_T3_mT4_T5_T6_T7_T8_P12ihipStream_tbENKUlT_T0_E_clISt17integral_constantIbLb1EES13_EEDaSY_SZ_EUlSY_E_NS1_11comp_targetILNS1_3genE4ELNS1_11target_archE910ELNS1_3gpuE8ELNS1_3repE0EEENS1_30default_config_static_selectorELNS0_4arch9wavefront6targetE1EEEvT1_
	.p2align	8
	.type	_ZN7rocprim17ROCPRIM_400000_NS6detail17trampoline_kernelINS0_14default_configENS1_29reduce_by_key_config_selectorIdlN6thrust23THRUST_200600_302600_NS4plusIlEEEEZZNS1_33reduce_by_key_impl_wrapped_configILNS1_25lookback_scan_determinismE0ES3_S9_PdNS6_17constant_iteratorIiNS6_11use_defaultESE_EENS6_10device_ptrIdEENSG_IlEEPmS8_NS6_8equal_toIdEEEE10hipError_tPvRmT2_T3_mT4_T5_T6_T7_T8_P12ihipStream_tbENKUlT_T0_E_clISt17integral_constantIbLb1EES13_EEDaSY_SZ_EUlSY_E_NS1_11comp_targetILNS1_3genE4ELNS1_11target_archE910ELNS1_3gpuE8ELNS1_3repE0EEENS1_30default_config_static_selectorELNS0_4arch9wavefront6targetE1EEEvT1_,@function
_ZN7rocprim17ROCPRIM_400000_NS6detail17trampoline_kernelINS0_14default_configENS1_29reduce_by_key_config_selectorIdlN6thrust23THRUST_200600_302600_NS4plusIlEEEEZZNS1_33reduce_by_key_impl_wrapped_configILNS1_25lookback_scan_determinismE0ES3_S9_PdNS6_17constant_iteratorIiNS6_11use_defaultESE_EENS6_10device_ptrIdEENSG_IlEEPmS8_NS6_8equal_toIdEEEE10hipError_tPvRmT2_T3_mT4_T5_T6_T7_T8_P12ihipStream_tbENKUlT_T0_E_clISt17integral_constantIbLb1EES13_EEDaSY_SZ_EUlSY_E_NS1_11comp_targetILNS1_3genE4ELNS1_11target_archE910ELNS1_3gpuE8ELNS1_3repE0EEENS1_30default_config_static_selectorELNS0_4arch9wavefront6targetE1EEEvT1_: ; @_ZN7rocprim17ROCPRIM_400000_NS6detail17trampoline_kernelINS0_14default_configENS1_29reduce_by_key_config_selectorIdlN6thrust23THRUST_200600_302600_NS4plusIlEEEEZZNS1_33reduce_by_key_impl_wrapped_configILNS1_25lookback_scan_determinismE0ES3_S9_PdNS6_17constant_iteratorIiNS6_11use_defaultESE_EENS6_10device_ptrIdEENSG_IlEEPmS8_NS6_8equal_toIdEEEE10hipError_tPvRmT2_T3_mT4_T5_T6_T7_T8_P12ihipStream_tbENKUlT_T0_E_clISt17integral_constantIbLb1EES13_EEDaSY_SZ_EUlSY_E_NS1_11comp_targetILNS1_3genE4ELNS1_11target_archE910ELNS1_3gpuE8ELNS1_3repE0EEENS1_30default_config_static_selectorELNS0_4arch9wavefront6targetE1EEEvT1_
; %bb.0:
	.section	.rodata,"a",@progbits
	.p2align	6, 0x0
	.amdhsa_kernel _ZN7rocprim17ROCPRIM_400000_NS6detail17trampoline_kernelINS0_14default_configENS1_29reduce_by_key_config_selectorIdlN6thrust23THRUST_200600_302600_NS4plusIlEEEEZZNS1_33reduce_by_key_impl_wrapped_configILNS1_25lookback_scan_determinismE0ES3_S9_PdNS6_17constant_iteratorIiNS6_11use_defaultESE_EENS6_10device_ptrIdEENSG_IlEEPmS8_NS6_8equal_toIdEEEE10hipError_tPvRmT2_T3_mT4_T5_T6_T7_T8_P12ihipStream_tbENKUlT_T0_E_clISt17integral_constantIbLb1EES13_EEDaSY_SZ_EUlSY_E_NS1_11comp_targetILNS1_3genE4ELNS1_11target_archE910ELNS1_3gpuE8ELNS1_3repE0EEENS1_30default_config_static_selectorELNS0_4arch9wavefront6targetE1EEEvT1_
		.amdhsa_group_segment_fixed_size 0
		.amdhsa_private_segment_fixed_size 0
		.amdhsa_kernarg_size 144
		.amdhsa_user_sgpr_count 6
		.amdhsa_user_sgpr_private_segment_buffer 1
		.amdhsa_user_sgpr_dispatch_ptr 0
		.amdhsa_user_sgpr_queue_ptr 0
		.amdhsa_user_sgpr_kernarg_segment_ptr 1
		.amdhsa_user_sgpr_dispatch_id 0
		.amdhsa_user_sgpr_flat_scratch_init 0
		.amdhsa_user_sgpr_private_segment_size 0
		.amdhsa_uses_dynamic_stack 0
		.amdhsa_system_sgpr_private_segment_wavefront_offset 0
		.amdhsa_system_sgpr_workgroup_id_x 1
		.amdhsa_system_sgpr_workgroup_id_y 0
		.amdhsa_system_sgpr_workgroup_id_z 0
		.amdhsa_system_sgpr_workgroup_info 0
		.amdhsa_system_vgpr_workitem_id 0
		.amdhsa_next_free_vgpr 1
		.amdhsa_next_free_sgpr 0
		.amdhsa_reserve_vcc 0
		.amdhsa_reserve_flat_scratch 0
		.amdhsa_float_round_mode_32 0
		.amdhsa_float_round_mode_16_64 0
		.amdhsa_float_denorm_mode_32 3
		.amdhsa_float_denorm_mode_16_64 3
		.amdhsa_dx10_clamp 1
		.amdhsa_ieee_mode 1
		.amdhsa_fp16_overflow 0
		.amdhsa_exception_fp_ieee_invalid_op 0
		.amdhsa_exception_fp_denorm_src 0
		.amdhsa_exception_fp_ieee_div_zero 0
		.amdhsa_exception_fp_ieee_overflow 0
		.amdhsa_exception_fp_ieee_underflow 0
		.amdhsa_exception_fp_ieee_inexact 0
		.amdhsa_exception_int_div_zero 0
	.end_amdhsa_kernel
	.section	.text._ZN7rocprim17ROCPRIM_400000_NS6detail17trampoline_kernelINS0_14default_configENS1_29reduce_by_key_config_selectorIdlN6thrust23THRUST_200600_302600_NS4plusIlEEEEZZNS1_33reduce_by_key_impl_wrapped_configILNS1_25lookback_scan_determinismE0ES3_S9_PdNS6_17constant_iteratorIiNS6_11use_defaultESE_EENS6_10device_ptrIdEENSG_IlEEPmS8_NS6_8equal_toIdEEEE10hipError_tPvRmT2_T3_mT4_T5_T6_T7_T8_P12ihipStream_tbENKUlT_T0_E_clISt17integral_constantIbLb1EES13_EEDaSY_SZ_EUlSY_E_NS1_11comp_targetILNS1_3genE4ELNS1_11target_archE910ELNS1_3gpuE8ELNS1_3repE0EEENS1_30default_config_static_selectorELNS0_4arch9wavefront6targetE1EEEvT1_,"axG",@progbits,_ZN7rocprim17ROCPRIM_400000_NS6detail17trampoline_kernelINS0_14default_configENS1_29reduce_by_key_config_selectorIdlN6thrust23THRUST_200600_302600_NS4plusIlEEEEZZNS1_33reduce_by_key_impl_wrapped_configILNS1_25lookback_scan_determinismE0ES3_S9_PdNS6_17constant_iteratorIiNS6_11use_defaultESE_EENS6_10device_ptrIdEENSG_IlEEPmS8_NS6_8equal_toIdEEEE10hipError_tPvRmT2_T3_mT4_T5_T6_T7_T8_P12ihipStream_tbENKUlT_T0_E_clISt17integral_constantIbLb1EES13_EEDaSY_SZ_EUlSY_E_NS1_11comp_targetILNS1_3genE4ELNS1_11target_archE910ELNS1_3gpuE8ELNS1_3repE0EEENS1_30default_config_static_selectorELNS0_4arch9wavefront6targetE1EEEvT1_,comdat
.Lfunc_end1699:
	.size	_ZN7rocprim17ROCPRIM_400000_NS6detail17trampoline_kernelINS0_14default_configENS1_29reduce_by_key_config_selectorIdlN6thrust23THRUST_200600_302600_NS4plusIlEEEEZZNS1_33reduce_by_key_impl_wrapped_configILNS1_25lookback_scan_determinismE0ES3_S9_PdNS6_17constant_iteratorIiNS6_11use_defaultESE_EENS6_10device_ptrIdEENSG_IlEEPmS8_NS6_8equal_toIdEEEE10hipError_tPvRmT2_T3_mT4_T5_T6_T7_T8_P12ihipStream_tbENKUlT_T0_E_clISt17integral_constantIbLb1EES13_EEDaSY_SZ_EUlSY_E_NS1_11comp_targetILNS1_3genE4ELNS1_11target_archE910ELNS1_3gpuE8ELNS1_3repE0EEENS1_30default_config_static_selectorELNS0_4arch9wavefront6targetE1EEEvT1_, .Lfunc_end1699-_ZN7rocprim17ROCPRIM_400000_NS6detail17trampoline_kernelINS0_14default_configENS1_29reduce_by_key_config_selectorIdlN6thrust23THRUST_200600_302600_NS4plusIlEEEEZZNS1_33reduce_by_key_impl_wrapped_configILNS1_25lookback_scan_determinismE0ES3_S9_PdNS6_17constant_iteratorIiNS6_11use_defaultESE_EENS6_10device_ptrIdEENSG_IlEEPmS8_NS6_8equal_toIdEEEE10hipError_tPvRmT2_T3_mT4_T5_T6_T7_T8_P12ihipStream_tbENKUlT_T0_E_clISt17integral_constantIbLb1EES13_EEDaSY_SZ_EUlSY_E_NS1_11comp_targetILNS1_3genE4ELNS1_11target_archE910ELNS1_3gpuE8ELNS1_3repE0EEENS1_30default_config_static_selectorELNS0_4arch9wavefront6targetE1EEEvT1_
                                        ; -- End function
	.set _ZN7rocprim17ROCPRIM_400000_NS6detail17trampoline_kernelINS0_14default_configENS1_29reduce_by_key_config_selectorIdlN6thrust23THRUST_200600_302600_NS4plusIlEEEEZZNS1_33reduce_by_key_impl_wrapped_configILNS1_25lookback_scan_determinismE0ES3_S9_PdNS6_17constant_iteratorIiNS6_11use_defaultESE_EENS6_10device_ptrIdEENSG_IlEEPmS8_NS6_8equal_toIdEEEE10hipError_tPvRmT2_T3_mT4_T5_T6_T7_T8_P12ihipStream_tbENKUlT_T0_E_clISt17integral_constantIbLb1EES13_EEDaSY_SZ_EUlSY_E_NS1_11comp_targetILNS1_3genE4ELNS1_11target_archE910ELNS1_3gpuE8ELNS1_3repE0EEENS1_30default_config_static_selectorELNS0_4arch9wavefront6targetE1EEEvT1_.num_vgpr, 0
	.set _ZN7rocprim17ROCPRIM_400000_NS6detail17trampoline_kernelINS0_14default_configENS1_29reduce_by_key_config_selectorIdlN6thrust23THRUST_200600_302600_NS4plusIlEEEEZZNS1_33reduce_by_key_impl_wrapped_configILNS1_25lookback_scan_determinismE0ES3_S9_PdNS6_17constant_iteratorIiNS6_11use_defaultESE_EENS6_10device_ptrIdEENSG_IlEEPmS8_NS6_8equal_toIdEEEE10hipError_tPvRmT2_T3_mT4_T5_T6_T7_T8_P12ihipStream_tbENKUlT_T0_E_clISt17integral_constantIbLb1EES13_EEDaSY_SZ_EUlSY_E_NS1_11comp_targetILNS1_3genE4ELNS1_11target_archE910ELNS1_3gpuE8ELNS1_3repE0EEENS1_30default_config_static_selectorELNS0_4arch9wavefront6targetE1EEEvT1_.num_agpr, 0
	.set _ZN7rocprim17ROCPRIM_400000_NS6detail17trampoline_kernelINS0_14default_configENS1_29reduce_by_key_config_selectorIdlN6thrust23THRUST_200600_302600_NS4plusIlEEEEZZNS1_33reduce_by_key_impl_wrapped_configILNS1_25lookback_scan_determinismE0ES3_S9_PdNS6_17constant_iteratorIiNS6_11use_defaultESE_EENS6_10device_ptrIdEENSG_IlEEPmS8_NS6_8equal_toIdEEEE10hipError_tPvRmT2_T3_mT4_T5_T6_T7_T8_P12ihipStream_tbENKUlT_T0_E_clISt17integral_constantIbLb1EES13_EEDaSY_SZ_EUlSY_E_NS1_11comp_targetILNS1_3genE4ELNS1_11target_archE910ELNS1_3gpuE8ELNS1_3repE0EEENS1_30default_config_static_selectorELNS0_4arch9wavefront6targetE1EEEvT1_.numbered_sgpr, 0
	.set _ZN7rocprim17ROCPRIM_400000_NS6detail17trampoline_kernelINS0_14default_configENS1_29reduce_by_key_config_selectorIdlN6thrust23THRUST_200600_302600_NS4plusIlEEEEZZNS1_33reduce_by_key_impl_wrapped_configILNS1_25lookback_scan_determinismE0ES3_S9_PdNS6_17constant_iteratorIiNS6_11use_defaultESE_EENS6_10device_ptrIdEENSG_IlEEPmS8_NS6_8equal_toIdEEEE10hipError_tPvRmT2_T3_mT4_T5_T6_T7_T8_P12ihipStream_tbENKUlT_T0_E_clISt17integral_constantIbLb1EES13_EEDaSY_SZ_EUlSY_E_NS1_11comp_targetILNS1_3genE4ELNS1_11target_archE910ELNS1_3gpuE8ELNS1_3repE0EEENS1_30default_config_static_selectorELNS0_4arch9wavefront6targetE1EEEvT1_.num_named_barrier, 0
	.set _ZN7rocprim17ROCPRIM_400000_NS6detail17trampoline_kernelINS0_14default_configENS1_29reduce_by_key_config_selectorIdlN6thrust23THRUST_200600_302600_NS4plusIlEEEEZZNS1_33reduce_by_key_impl_wrapped_configILNS1_25lookback_scan_determinismE0ES3_S9_PdNS6_17constant_iteratorIiNS6_11use_defaultESE_EENS6_10device_ptrIdEENSG_IlEEPmS8_NS6_8equal_toIdEEEE10hipError_tPvRmT2_T3_mT4_T5_T6_T7_T8_P12ihipStream_tbENKUlT_T0_E_clISt17integral_constantIbLb1EES13_EEDaSY_SZ_EUlSY_E_NS1_11comp_targetILNS1_3genE4ELNS1_11target_archE910ELNS1_3gpuE8ELNS1_3repE0EEENS1_30default_config_static_selectorELNS0_4arch9wavefront6targetE1EEEvT1_.private_seg_size, 0
	.set _ZN7rocprim17ROCPRIM_400000_NS6detail17trampoline_kernelINS0_14default_configENS1_29reduce_by_key_config_selectorIdlN6thrust23THRUST_200600_302600_NS4plusIlEEEEZZNS1_33reduce_by_key_impl_wrapped_configILNS1_25lookback_scan_determinismE0ES3_S9_PdNS6_17constant_iteratorIiNS6_11use_defaultESE_EENS6_10device_ptrIdEENSG_IlEEPmS8_NS6_8equal_toIdEEEE10hipError_tPvRmT2_T3_mT4_T5_T6_T7_T8_P12ihipStream_tbENKUlT_T0_E_clISt17integral_constantIbLb1EES13_EEDaSY_SZ_EUlSY_E_NS1_11comp_targetILNS1_3genE4ELNS1_11target_archE910ELNS1_3gpuE8ELNS1_3repE0EEENS1_30default_config_static_selectorELNS0_4arch9wavefront6targetE1EEEvT1_.uses_vcc, 0
	.set _ZN7rocprim17ROCPRIM_400000_NS6detail17trampoline_kernelINS0_14default_configENS1_29reduce_by_key_config_selectorIdlN6thrust23THRUST_200600_302600_NS4plusIlEEEEZZNS1_33reduce_by_key_impl_wrapped_configILNS1_25lookback_scan_determinismE0ES3_S9_PdNS6_17constant_iteratorIiNS6_11use_defaultESE_EENS6_10device_ptrIdEENSG_IlEEPmS8_NS6_8equal_toIdEEEE10hipError_tPvRmT2_T3_mT4_T5_T6_T7_T8_P12ihipStream_tbENKUlT_T0_E_clISt17integral_constantIbLb1EES13_EEDaSY_SZ_EUlSY_E_NS1_11comp_targetILNS1_3genE4ELNS1_11target_archE910ELNS1_3gpuE8ELNS1_3repE0EEENS1_30default_config_static_selectorELNS0_4arch9wavefront6targetE1EEEvT1_.uses_flat_scratch, 0
	.set _ZN7rocprim17ROCPRIM_400000_NS6detail17trampoline_kernelINS0_14default_configENS1_29reduce_by_key_config_selectorIdlN6thrust23THRUST_200600_302600_NS4plusIlEEEEZZNS1_33reduce_by_key_impl_wrapped_configILNS1_25lookback_scan_determinismE0ES3_S9_PdNS6_17constant_iteratorIiNS6_11use_defaultESE_EENS6_10device_ptrIdEENSG_IlEEPmS8_NS6_8equal_toIdEEEE10hipError_tPvRmT2_T3_mT4_T5_T6_T7_T8_P12ihipStream_tbENKUlT_T0_E_clISt17integral_constantIbLb1EES13_EEDaSY_SZ_EUlSY_E_NS1_11comp_targetILNS1_3genE4ELNS1_11target_archE910ELNS1_3gpuE8ELNS1_3repE0EEENS1_30default_config_static_selectorELNS0_4arch9wavefront6targetE1EEEvT1_.has_dyn_sized_stack, 0
	.set _ZN7rocprim17ROCPRIM_400000_NS6detail17trampoline_kernelINS0_14default_configENS1_29reduce_by_key_config_selectorIdlN6thrust23THRUST_200600_302600_NS4plusIlEEEEZZNS1_33reduce_by_key_impl_wrapped_configILNS1_25lookback_scan_determinismE0ES3_S9_PdNS6_17constant_iteratorIiNS6_11use_defaultESE_EENS6_10device_ptrIdEENSG_IlEEPmS8_NS6_8equal_toIdEEEE10hipError_tPvRmT2_T3_mT4_T5_T6_T7_T8_P12ihipStream_tbENKUlT_T0_E_clISt17integral_constantIbLb1EES13_EEDaSY_SZ_EUlSY_E_NS1_11comp_targetILNS1_3genE4ELNS1_11target_archE910ELNS1_3gpuE8ELNS1_3repE0EEENS1_30default_config_static_selectorELNS0_4arch9wavefront6targetE1EEEvT1_.has_recursion, 0
	.set _ZN7rocprim17ROCPRIM_400000_NS6detail17trampoline_kernelINS0_14default_configENS1_29reduce_by_key_config_selectorIdlN6thrust23THRUST_200600_302600_NS4plusIlEEEEZZNS1_33reduce_by_key_impl_wrapped_configILNS1_25lookback_scan_determinismE0ES3_S9_PdNS6_17constant_iteratorIiNS6_11use_defaultESE_EENS6_10device_ptrIdEENSG_IlEEPmS8_NS6_8equal_toIdEEEE10hipError_tPvRmT2_T3_mT4_T5_T6_T7_T8_P12ihipStream_tbENKUlT_T0_E_clISt17integral_constantIbLb1EES13_EEDaSY_SZ_EUlSY_E_NS1_11comp_targetILNS1_3genE4ELNS1_11target_archE910ELNS1_3gpuE8ELNS1_3repE0EEENS1_30default_config_static_selectorELNS0_4arch9wavefront6targetE1EEEvT1_.has_indirect_call, 0
	.section	.AMDGPU.csdata,"",@progbits
; Kernel info:
; codeLenInByte = 0
; TotalNumSgprs: 4
; NumVgprs: 0
; ScratchSize: 0
; MemoryBound: 0
; FloatMode: 240
; IeeeMode: 1
; LDSByteSize: 0 bytes/workgroup (compile time only)
; SGPRBlocks: 0
; VGPRBlocks: 0
; NumSGPRsForWavesPerEU: 4
; NumVGPRsForWavesPerEU: 1
; Occupancy: 10
; WaveLimiterHint : 0
; COMPUTE_PGM_RSRC2:SCRATCH_EN: 0
; COMPUTE_PGM_RSRC2:USER_SGPR: 6
; COMPUTE_PGM_RSRC2:TRAP_HANDLER: 0
; COMPUTE_PGM_RSRC2:TGID_X_EN: 1
; COMPUTE_PGM_RSRC2:TGID_Y_EN: 0
; COMPUTE_PGM_RSRC2:TGID_Z_EN: 0
; COMPUTE_PGM_RSRC2:TIDIG_COMP_CNT: 0
	.section	.text._ZN7rocprim17ROCPRIM_400000_NS6detail17trampoline_kernelINS0_14default_configENS1_29reduce_by_key_config_selectorIdlN6thrust23THRUST_200600_302600_NS4plusIlEEEEZZNS1_33reduce_by_key_impl_wrapped_configILNS1_25lookback_scan_determinismE0ES3_S9_PdNS6_17constant_iteratorIiNS6_11use_defaultESE_EENS6_10device_ptrIdEENSG_IlEEPmS8_NS6_8equal_toIdEEEE10hipError_tPvRmT2_T3_mT4_T5_T6_T7_T8_P12ihipStream_tbENKUlT_T0_E_clISt17integral_constantIbLb1EES13_EEDaSY_SZ_EUlSY_E_NS1_11comp_targetILNS1_3genE3ELNS1_11target_archE908ELNS1_3gpuE7ELNS1_3repE0EEENS1_30default_config_static_selectorELNS0_4arch9wavefront6targetE1EEEvT1_,"axG",@progbits,_ZN7rocprim17ROCPRIM_400000_NS6detail17trampoline_kernelINS0_14default_configENS1_29reduce_by_key_config_selectorIdlN6thrust23THRUST_200600_302600_NS4plusIlEEEEZZNS1_33reduce_by_key_impl_wrapped_configILNS1_25lookback_scan_determinismE0ES3_S9_PdNS6_17constant_iteratorIiNS6_11use_defaultESE_EENS6_10device_ptrIdEENSG_IlEEPmS8_NS6_8equal_toIdEEEE10hipError_tPvRmT2_T3_mT4_T5_T6_T7_T8_P12ihipStream_tbENKUlT_T0_E_clISt17integral_constantIbLb1EES13_EEDaSY_SZ_EUlSY_E_NS1_11comp_targetILNS1_3genE3ELNS1_11target_archE908ELNS1_3gpuE7ELNS1_3repE0EEENS1_30default_config_static_selectorELNS0_4arch9wavefront6targetE1EEEvT1_,comdat
	.protected	_ZN7rocprim17ROCPRIM_400000_NS6detail17trampoline_kernelINS0_14default_configENS1_29reduce_by_key_config_selectorIdlN6thrust23THRUST_200600_302600_NS4plusIlEEEEZZNS1_33reduce_by_key_impl_wrapped_configILNS1_25lookback_scan_determinismE0ES3_S9_PdNS6_17constant_iteratorIiNS6_11use_defaultESE_EENS6_10device_ptrIdEENSG_IlEEPmS8_NS6_8equal_toIdEEEE10hipError_tPvRmT2_T3_mT4_T5_T6_T7_T8_P12ihipStream_tbENKUlT_T0_E_clISt17integral_constantIbLb1EES13_EEDaSY_SZ_EUlSY_E_NS1_11comp_targetILNS1_3genE3ELNS1_11target_archE908ELNS1_3gpuE7ELNS1_3repE0EEENS1_30default_config_static_selectorELNS0_4arch9wavefront6targetE1EEEvT1_ ; -- Begin function _ZN7rocprim17ROCPRIM_400000_NS6detail17trampoline_kernelINS0_14default_configENS1_29reduce_by_key_config_selectorIdlN6thrust23THRUST_200600_302600_NS4plusIlEEEEZZNS1_33reduce_by_key_impl_wrapped_configILNS1_25lookback_scan_determinismE0ES3_S9_PdNS6_17constant_iteratorIiNS6_11use_defaultESE_EENS6_10device_ptrIdEENSG_IlEEPmS8_NS6_8equal_toIdEEEE10hipError_tPvRmT2_T3_mT4_T5_T6_T7_T8_P12ihipStream_tbENKUlT_T0_E_clISt17integral_constantIbLb1EES13_EEDaSY_SZ_EUlSY_E_NS1_11comp_targetILNS1_3genE3ELNS1_11target_archE908ELNS1_3gpuE7ELNS1_3repE0EEENS1_30default_config_static_selectorELNS0_4arch9wavefront6targetE1EEEvT1_
	.globl	_ZN7rocprim17ROCPRIM_400000_NS6detail17trampoline_kernelINS0_14default_configENS1_29reduce_by_key_config_selectorIdlN6thrust23THRUST_200600_302600_NS4plusIlEEEEZZNS1_33reduce_by_key_impl_wrapped_configILNS1_25lookback_scan_determinismE0ES3_S9_PdNS6_17constant_iteratorIiNS6_11use_defaultESE_EENS6_10device_ptrIdEENSG_IlEEPmS8_NS6_8equal_toIdEEEE10hipError_tPvRmT2_T3_mT4_T5_T6_T7_T8_P12ihipStream_tbENKUlT_T0_E_clISt17integral_constantIbLb1EES13_EEDaSY_SZ_EUlSY_E_NS1_11comp_targetILNS1_3genE3ELNS1_11target_archE908ELNS1_3gpuE7ELNS1_3repE0EEENS1_30default_config_static_selectorELNS0_4arch9wavefront6targetE1EEEvT1_
	.p2align	8
	.type	_ZN7rocprim17ROCPRIM_400000_NS6detail17trampoline_kernelINS0_14default_configENS1_29reduce_by_key_config_selectorIdlN6thrust23THRUST_200600_302600_NS4plusIlEEEEZZNS1_33reduce_by_key_impl_wrapped_configILNS1_25lookback_scan_determinismE0ES3_S9_PdNS6_17constant_iteratorIiNS6_11use_defaultESE_EENS6_10device_ptrIdEENSG_IlEEPmS8_NS6_8equal_toIdEEEE10hipError_tPvRmT2_T3_mT4_T5_T6_T7_T8_P12ihipStream_tbENKUlT_T0_E_clISt17integral_constantIbLb1EES13_EEDaSY_SZ_EUlSY_E_NS1_11comp_targetILNS1_3genE3ELNS1_11target_archE908ELNS1_3gpuE7ELNS1_3repE0EEENS1_30default_config_static_selectorELNS0_4arch9wavefront6targetE1EEEvT1_,@function
_ZN7rocprim17ROCPRIM_400000_NS6detail17trampoline_kernelINS0_14default_configENS1_29reduce_by_key_config_selectorIdlN6thrust23THRUST_200600_302600_NS4plusIlEEEEZZNS1_33reduce_by_key_impl_wrapped_configILNS1_25lookback_scan_determinismE0ES3_S9_PdNS6_17constant_iteratorIiNS6_11use_defaultESE_EENS6_10device_ptrIdEENSG_IlEEPmS8_NS6_8equal_toIdEEEE10hipError_tPvRmT2_T3_mT4_T5_T6_T7_T8_P12ihipStream_tbENKUlT_T0_E_clISt17integral_constantIbLb1EES13_EEDaSY_SZ_EUlSY_E_NS1_11comp_targetILNS1_3genE3ELNS1_11target_archE908ELNS1_3gpuE7ELNS1_3repE0EEENS1_30default_config_static_selectorELNS0_4arch9wavefront6targetE1EEEvT1_: ; @_ZN7rocprim17ROCPRIM_400000_NS6detail17trampoline_kernelINS0_14default_configENS1_29reduce_by_key_config_selectorIdlN6thrust23THRUST_200600_302600_NS4plusIlEEEEZZNS1_33reduce_by_key_impl_wrapped_configILNS1_25lookback_scan_determinismE0ES3_S9_PdNS6_17constant_iteratorIiNS6_11use_defaultESE_EENS6_10device_ptrIdEENSG_IlEEPmS8_NS6_8equal_toIdEEEE10hipError_tPvRmT2_T3_mT4_T5_T6_T7_T8_P12ihipStream_tbENKUlT_T0_E_clISt17integral_constantIbLb1EES13_EEDaSY_SZ_EUlSY_E_NS1_11comp_targetILNS1_3genE3ELNS1_11target_archE908ELNS1_3gpuE7ELNS1_3repE0EEENS1_30default_config_static_selectorELNS0_4arch9wavefront6targetE1EEEvT1_
; %bb.0:
	.section	.rodata,"a",@progbits
	.p2align	6, 0x0
	.amdhsa_kernel _ZN7rocprim17ROCPRIM_400000_NS6detail17trampoline_kernelINS0_14default_configENS1_29reduce_by_key_config_selectorIdlN6thrust23THRUST_200600_302600_NS4plusIlEEEEZZNS1_33reduce_by_key_impl_wrapped_configILNS1_25lookback_scan_determinismE0ES3_S9_PdNS6_17constant_iteratorIiNS6_11use_defaultESE_EENS6_10device_ptrIdEENSG_IlEEPmS8_NS6_8equal_toIdEEEE10hipError_tPvRmT2_T3_mT4_T5_T6_T7_T8_P12ihipStream_tbENKUlT_T0_E_clISt17integral_constantIbLb1EES13_EEDaSY_SZ_EUlSY_E_NS1_11comp_targetILNS1_3genE3ELNS1_11target_archE908ELNS1_3gpuE7ELNS1_3repE0EEENS1_30default_config_static_selectorELNS0_4arch9wavefront6targetE1EEEvT1_
		.amdhsa_group_segment_fixed_size 0
		.amdhsa_private_segment_fixed_size 0
		.amdhsa_kernarg_size 144
		.amdhsa_user_sgpr_count 6
		.amdhsa_user_sgpr_private_segment_buffer 1
		.amdhsa_user_sgpr_dispatch_ptr 0
		.amdhsa_user_sgpr_queue_ptr 0
		.amdhsa_user_sgpr_kernarg_segment_ptr 1
		.amdhsa_user_sgpr_dispatch_id 0
		.amdhsa_user_sgpr_flat_scratch_init 0
		.amdhsa_user_sgpr_private_segment_size 0
		.amdhsa_uses_dynamic_stack 0
		.amdhsa_system_sgpr_private_segment_wavefront_offset 0
		.amdhsa_system_sgpr_workgroup_id_x 1
		.amdhsa_system_sgpr_workgroup_id_y 0
		.amdhsa_system_sgpr_workgroup_id_z 0
		.amdhsa_system_sgpr_workgroup_info 0
		.amdhsa_system_vgpr_workitem_id 0
		.amdhsa_next_free_vgpr 1
		.amdhsa_next_free_sgpr 0
		.amdhsa_reserve_vcc 0
		.amdhsa_reserve_flat_scratch 0
		.amdhsa_float_round_mode_32 0
		.amdhsa_float_round_mode_16_64 0
		.amdhsa_float_denorm_mode_32 3
		.amdhsa_float_denorm_mode_16_64 3
		.amdhsa_dx10_clamp 1
		.amdhsa_ieee_mode 1
		.amdhsa_fp16_overflow 0
		.amdhsa_exception_fp_ieee_invalid_op 0
		.amdhsa_exception_fp_denorm_src 0
		.amdhsa_exception_fp_ieee_div_zero 0
		.amdhsa_exception_fp_ieee_overflow 0
		.amdhsa_exception_fp_ieee_underflow 0
		.amdhsa_exception_fp_ieee_inexact 0
		.amdhsa_exception_int_div_zero 0
	.end_amdhsa_kernel
	.section	.text._ZN7rocprim17ROCPRIM_400000_NS6detail17trampoline_kernelINS0_14default_configENS1_29reduce_by_key_config_selectorIdlN6thrust23THRUST_200600_302600_NS4plusIlEEEEZZNS1_33reduce_by_key_impl_wrapped_configILNS1_25lookback_scan_determinismE0ES3_S9_PdNS6_17constant_iteratorIiNS6_11use_defaultESE_EENS6_10device_ptrIdEENSG_IlEEPmS8_NS6_8equal_toIdEEEE10hipError_tPvRmT2_T3_mT4_T5_T6_T7_T8_P12ihipStream_tbENKUlT_T0_E_clISt17integral_constantIbLb1EES13_EEDaSY_SZ_EUlSY_E_NS1_11comp_targetILNS1_3genE3ELNS1_11target_archE908ELNS1_3gpuE7ELNS1_3repE0EEENS1_30default_config_static_selectorELNS0_4arch9wavefront6targetE1EEEvT1_,"axG",@progbits,_ZN7rocprim17ROCPRIM_400000_NS6detail17trampoline_kernelINS0_14default_configENS1_29reduce_by_key_config_selectorIdlN6thrust23THRUST_200600_302600_NS4plusIlEEEEZZNS1_33reduce_by_key_impl_wrapped_configILNS1_25lookback_scan_determinismE0ES3_S9_PdNS6_17constant_iteratorIiNS6_11use_defaultESE_EENS6_10device_ptrIdEENSG_IlEEPmS8_NS6_8equal_toIdEEEE10hipError_tPvRmT2_T3_mT4_T5_T6_T7_T8_P12ihipStream_tbENKUlT_T0_E_clISt17integral_constantIbLb1EES13_EEDaSY_SZ_EUlSY_E_NS1_11comp_targetILNS1_3genE3ELNS1_11target_archE908ELNS1_3gpuE7ELNS1_3repE0EEENS1_30default_config_static_selectorELNS0_4arch9wavefront6targetE1EEEvT1_,comdat
.Lfunc_end1700:
	.size	_ZN7rocprim17ROCPRIM_400000_NS6detail17trampoline_kernelINS0_14default_configENS1_29reduce_by_key_config_selectorIdlN6thrust23THRUST_200600_302600_NS4plusIlEEEEZZNS1_33reduce_by_key_impl_wrapped_configILNS1_25lookback_scan_determinismE0ES3_S9_PdNS6_17constant_iteratorIiNS6_11use_defaultESE_EENS6_10device_ptrIdEENSG_IlEEPmS8_NS6_8equal_toIdEEEE10hipError_tPvRmT2_T3_mT4_T5_T6_T7_T8_P12ihipStream_tbENKUlT_T0_E_clISt17integral_constantIbLb1EES13_EEDaSY_SZ_EUlSY_E_NS1_11comp_targetILNS1_3genE3ELNS1_11target_archE908ELNS1_3gpuE7ELNS1_3repE0EEENS1_30default_config_static_selectorELNS0_4arch9wavefront6targetE1EEEvT1_, .Lfunc_end1700-_ZN7rocprim17ROCPRIM_400000_NS6detail17trampoline_kernelINS0_14default_configENS1_29reduce_by_key_config_selectorIdlN6thrust23THRUST_200600_302600_NS4plusIlEEEEZZNS1_33reduce_by_key_impl_wrapped_configILNS1_25lookback_scan_determinismE0ES3_S9_PdNS6_17constant_iteratorIiNS6_11use_defaultESE_EENS6_10device_ptrIdEENSG_IlEEPmS8_NS6_8equal_toIdEEEE10hipError_tPvRmT2_T3_mT4_T5_T6_T7_T8_P12ihipStream_tbENKUlT_T0_E_clISt17integral_constantIbLb1EES13_EEDaSY_SZ_EUlSY_E_NS1_11comp_targetILNS1_3genE3ELNS1_11target_archE908ELNS1_3gpuE7ELNS1_3repE0EEENS1_30default_config_static_selectorELNS0_4arch9wavefront6targetE1EEEvT1_
                                        ; -- End function
	.set _ZN7rocprim17ROCPRIM_400000_NS6detail17trampoline_kernelINS0_14default_configENS1_29reduce_by_key_config_selectorIdlN6thrust23THRUST_200600_302600_NS4plusIlEEEEZZNS1_33reduce_by_key_impl_wrapped_configILNS1_25lookback_scan_determinismE0ES3_S9_PdNS6_17constant_iteratorIiNS6_11use_defaultESE_EENS6_10device_ptrIdEENSG_IlEEPmS8_NS6_8equal_toIdEEEE10hipError_tPvRmT2_T3_mT4_T5_T6_T7_T8_P12ihipStream_tbENKUlT_T0_E_clISt17integral_constantIbLb1EES13_EEDaSY_SZ_EUlSY_E_NS1_11comp_targetILNS1_3genE3ELNS1_11target_archE908ELNS1_3gpuE7ELNS1_3repE0EEENS1_30default_config_static_selectorELNS0_4arch9wavefront6targetE1EEEvT1_.num_vgpr, 0
	.set _ZN7rocprim17ROCPRIM_400000_NS6detail17trampoline_kernelINS0_14default_configENS1_29reduce_by_key_config_selectorIdlN6thrust23THRUST_200600_302600_NS4plusIlEEEEZZNS1_33reduce_by_key_impl_wrapped_configILNS1_25lookback_scan_determinismE0ES3_S9_PdNS6_17constant_iteratorIiNS6_11use_defaultESE_EENS6_10device_ptrIdEENSG_IlEEPmS8_NS6_8equal_toIdEEEE10hipError_tPvRmT2_T3_mT4_T5_T6_T7_T8_P12ihipStream_tbENKUlT_T0_E_clISt17integral_constantIbLb1EES13_EEDaSY_SZ_EUlSY_E_NS1_11comp_targetILNS1_3genE3ELNS1_11target_archE908ELNS1_3gpuE7ELNS1_3repE0EEENS1_30default_config_static_selectorELNS0_4arch9wavefront6targetE1EEEvT1_.num_agpr, 0
	.set _ZN7rocprim17ROCPRIM_400000_NS6detail17trampoline_kernelINS0_14default_configENS1_29reduce_by_key_config_selectorIdlN6thrust23THRUST_200600_302600_NS4plusIlEEEEZZNS1_33reduce_by_key_impl_wrapped_configILNS1_25lookback_scan_determinismE0ES3_S9_PdNS6_17constant_iteratorIiNS6_11use_defaultESE_EENS6_10device_ptrIdEENSG_IlEEPmS8_NS6_8equal_toIdEEEE10hipError_tPvRmT2_T3_mT4_T5_T6_T7_T8_P12ihipStream_tbENKUlT_T0_E_clISt17integral_constantIbLb1EES13_EEDaSY_SZ_EUlSY_E_NS1_11comp_targetILNS1_3genE3ELNS1_11target_archE908ELNS1_3gpuE7ELNS1_3repE0EEENS1_30default_config_static_selectorELNS0_4arch9wavefront6targetE1EEEvT1_.numbered_sgpr, 0
	.set _ZN7rocprim17ROCPRIM_400000_NS6detail17trampoline_kernelINS0_14default_configENS1_29reduce_by_key_config_selectorIdlN6thrust23THRUST_200600_302600_NS4plusIlEEEEZZNS1_33reduce_by_key_impl_wrapped_configILNS1_25lookback_scan_determinismE0ES3_S9_PdNS6_17constant_iteratorIiNS6_11use_defaultESE_EENS6_10device_ptrIdEENSG_IlEEPmS8_NS6_8equal_toIdEEEE10hipError_tPvRmT2_T3_mT4_T5_T6_T7_T8_P12ihipStream_tbENKUlT_T0_E_clISt17integral_constantIbLb1EES13_EEDaSY_SZ_EUlSY_E_NS1_11comp_targetILNS1_3genE3ELNS1_11target_archE908ELNS1_3gpuE7ELNS1_3repE0EEENS1_30default_config_static_selectorELNS0_4arch9wavefront6targetE1EEEvT1_.num_named_barrier, 0
	.set _ZN7rocprim17ROCPRIM_400000_NS6detail17trampoline_kernelINS0_14default_configENS1_29reduce_by_key_config_selectorIdlN6thrust23THRUST_200600_302600_NS4plusIlEEEEZZNS1_33reduce_by_key_impl_wrapped_configILNS1_25lookback_scan_determinismE0ES3_S9_PdNS6_17constant_iteratorIiNS6_11use_defaultESE_EENS6_10device_ptrIdEENSG_IlEEPmS8_NS6_8equal_toIdEEEE10hipError_tPvRmT2_T3_mT4_T5_T6_T7_T8_P12ihipStream_tbENKUlT_T0_E_clISt17integral_constantIbLb1EES13_EEDaSY_SZ_EUlSY_E_NS1_11comp_targetILNS1_3genE3ELNS1_11target_archE908ELNS1_3gpuE7ELNS1_3repE0EEENS1_30default_config_static_selectorELNS0_4arch9wavefront6targetE1EEEvT1_.private_seg_size, 0
	.set _ZN7rocprim17ROCPRIM_400000_NS6detail17trampoline_kernelINS0_14default_configENS1_29reduce_by_key_config_selectorIdlN6thrust23THRUST_200600_302600_NS4plusIlEEEEZZNS1_33reduce_by_key_impl_wrapped_configILNS1_25lookback_scan_determinismE0ES3_S9_PdNS6_17constant_iteratorIiNS6_11use_defaultESE_EENS6_10device_ptrIdEENSG_IlEEPmS8_NS6_8equal_toIdEEEE10hipError_tPvRmT2_T3_mT4_T5_T6_T7_T8_P12ihipStream_tbENKUlT_T0_E_clISt17integral_constantIbLb1EES13_EEDaSY_SZ_EUlSY_E_NS1_11comp_targetILNS1_3genE3ELNS1_11target_archE908ELNS1_3gpuE7ELNS1_3repE0EEENS1_30default_config_static_selectorELNS0_4arch9wavefront6targetE1EEEvT1_.uses_vcc, 0
	.set _ZN7rocprim17ROCPRIM_400000_NS6detail17trampoline_kernelINS0_14default_configENS1_29reduce_by_key_config_selectorIdlN6thrust23THRUST_200600_302600_NS4plusIlEEEEZZNS1_33reduce_by_key_impl_wrapped_configILNS1_25lookback_scan_determinismE0ES3_S9_PdNS6_17constant_iteratorIiNS6_11use_defaultESE_EENS6_10device_ptrIdEENSG_IlEEPmS8_NS6_8equal_toIdEEEE10hipError_tPvRmT2_T3_mT4_T5_T6_T7_T8_P12ihipStream_tbENKUlT_T0_E_clISt17integral_constantIbLb1EES13_EEDaSY_SZ_EUlSY_E_NS1_11comp_targetILNS1_3genE3ELNS1_11target_archE908ELNS1_3gpuE7ELNS1_3repE0EEENS1_30default_config_static_selectorELNS0_4arch9wavefront6targetE1EEEvT1_.uses_flat_scratch, 0
	.set _ZN7rocprim17ROCPRIM_400000_NS6detail17trampoline_kernelINS0_14default_configENS1_29reduce_by_key_config_selectorIdlN6thrust23THRUST_200600_302600_NS4plusIlEEEEZZNS1_33reduce_by_key_impl_wrapped_configILNS1_25lookback_scan_determinismE0ES3_S9_PdNS6_17constant_iteratorIiNS6_11use_defaultESE_EENS6_10device_ptrIdEENSG_IlEEPmS8_NS6_8equal_toIdEEEE10hipError_tPvRmT2_T3_mT4_T5_T6_T7_T8_P12ihipStream_tbENKUlT_T0_E_clISt17integral_constantIbLb1EES13_EEDaSY_SZ_EUlSY_E_NS1_11comp_targetILNS1_3genE3ELNS1_11target_archE908ELNS1_3gpuE7ELNS1_3repE0EEENS1_30default_config_static_selectorELNS0_4arch9wavefront6targetE1EEEvT1_.has_dyn_sized_stack, 0
	.set _ZN7rocprim17ROCPRIM_400000_NS6detail17trampoline_kernelINS0_14default_configENS1_29reduce_by_key_config_selectorIdlN6thrust23THRUST_200600_302600_NS4plusIlEEEEZZNS1_33reduce_by_key_impl_wrapped_configILNS1_25lookback_scan_determinismE0ES3_S9_PdNS6_17constant_iteratorIiNS6_11use_defaultESE_EENS6_10device_ptrIdEENSG_IlEEPmS8_NS6_8equal_toIdEEEE10hipError_tPvRmT2_T3_mT4_T5_T6_T7_T8_P12ihipStream_tbENKUlT_T0_E_clISt17integral_constantIbLb1EES13_EEDaSY_SZ_EUlSY_E_NS1_11comp_targetILNS1_3genE3ELNS1_11target_archE908ELNS1_3gpuE7ELNS1_3repE0EEENS1_30default_config_static_selectorELNS0_4arch9wavefront6targetE1EEEvT1_.has_recursion, 0
	.set _ZN7rocprim17ROCPRIM_400000_NS6detail17trampoline_kernelINS0_14default_configENS1_29reduce_by_key_config_selectorIdlN6thrust23THRUST_200600_302600_NS4plusIlEEEEZZNS1_33reduce_by_key_impl_wrapped_configILNS1_25lookback_scan_determinismE0ES3_S9_PdNS6_17constant_iteratorIiNS6_11use_defaultESE_EENS6_10device_ptrIdEENSG_IlEEPmS8_NS6_8equal_toIdEEEE10hipError_tPvRmT2_T3_mT4_T5_T6_T7_T8_P12ihipStream_tbENKUlT_T0_E_clISt17integral_constantIbLb1EES13_EEDaSY_SZ_EUlSY_E_NS1_11comp_targetILNS1_3genE3ELNS1_11target_archE908ELNS1_3gpuE7ELNS1_3repE0EEENS1_30default_config_static_selectorELNS0_4arch9wavefront6targetE1EEEvT1_.has_indirect_call, 0
	.section	.AMDGPU.csdata,"",@progbits
; Kernel info:
; codeLenInByte = 0
; TotalNumSgprs: 4
; NumVgprs: 0
; ScratchSize: 0
; MemoryBound: 0
; FloatMode: 240
; IeeeMode: 1
; LDSByteSize: 0 bytes/workgroup (compile time only)
; SGPRBlocks: 0
; VGPRBlocks: 0
; NumSGPRsForWavesPerEU: 4
; NumVGPRsForWavesPerEU: 1
; Occupancy: 10
; WaveLimiterHint : 0
; COMPUTE_PGM_RSRC2:SCRATCH_EN: 0
; COMPUTE_PGM_RSRC2:USER_SGPR: 6
; COMPUTE_PGM_RSRC2:TRAP_HANDLER: 0
; COMPUTE_PGM_RSRC2:TGID_X_EN: 1
; COMPUTE_PGM_RSRC2:TGID_Y_EN: 0
; COMPUTE_PGM_RSRC2:TGID_Z_EN: 0
; COMPUTE_PGM_RSRC2:TIDIG_COMP_CNT: 0
	.section	.text._ZN7rocprim17ROCPRIM_400000_NS6detail17trampoline_kernelINS0_14default_configENS1_29reduce_by_key_config_selectorIdlN6thrust23THRUST_200600_302600_NS4plusIlEEEEZZNS1_33reduce_by_key_impl_wrapped_configILNS1_25lookback_scan_determinismE0ES3_S9_PdNS6_17constant_iteratorIiNS6_11use_defaultESE_EENS6_10device_ptrIdEENSG_IlEEPmS8_NS6_8equal_toIdEEEE10hipError_tPvRmT2_T3_mT4_T5_T6_T7_T8_P12ihipStream_tbENKUlT_T0_E_clISt17integral_constantIbLb1EES13_EEDaSY_SZ_EUlSY_E_NS1_11comp_targetILNS1_3genE2ELNS1_11target_archE906ELNS1_3gpuE6ELNS1_3repE0EEENS1_30default_config_static_selectorELNS0_4arch9wavefront6targetE1EEEvT1_,"axG",@progbits,_ZN7rocprim17ROCPRIM_400000_NS6detail17trampoline_kernelINS0_14default_configENS1_29reduce_by_key_config_selectorIdlN6thrust23THRUST_200600_302600_NS4plusIlEEEEZZNS1_33reduce_by_key_impl_wrapped_configILNS1_25lookback_scan_determinismE0ES3_S9_PdNS6_17constant_iteratorIiNS6_11use_defaultESE_EENS6_10device_ptrIdEENSG_IlEEPmS8_NS6_8equal_toIdEEEE10hipError_tPvRmT2_T3_mT4_T5_T6_T7_T8_P12ihipStream_tbENKUlT_T0_E_clISt17integral_constantIbLb1EES13_EEDaSY_SZ_EUlSY_E_NS1_11comp_targetILNS1_3genE2ELNS1_11target_archE906ELNS1_3gpuE6ELNS1_3repE0EEENS1_30default_config_static_selectorELNS0_4arch9wavefront6targetE1EEEvT1_,comdat
	.protected	_ZN7rocprim17ROCPRIM_400000_NS6detail17trampoline_kernelINS0_14default_configENS1_29reduce_by_key_config_selectorIdlN6thrust23THRUST_200600_302600_NS4plusIlEEEEZZNS1_33reduce_by_key_impl_wrapped_configILNS1_25lookback_scan_determinismE0ES3_S9_PdNS6_17constant_iteratorIiNS6_11use_defaultESE_EENS6_10device_ptrIdEENSG_IlEEPmS8_NS6_8equal_toIdEEEE10hipError_tPvRmT2_T3_mT4_T5_T6_T7_T8_P12ihipStream_tbENKUlT_T0_E_clISt17integral_constantIbLb1EES13_EEDaSY_SZ_EUlSY_E_NS1_11comp_targetILNS1_3genE2ELNS1_11target_archE906ELNS1_3gpuE6ELNS1_3repE0EEENS1_30default_config_static_selectorELNS0_4arch9wavefront6targetE1EEEvT1_ ; -- Begin function _ZN7rocprim17ROCPRIM_400000_NS6detail17trampoline_kernelINS0_14default_configENS1_29reduce_by_key_config_selectorIdlN6thrust23THRUST_200600_302600_NS4plusIlEEEEZZNS1_33reduce_by_key_impl_wrapped_configILNS1_25lookback_scan_determinismE0ES3_S9_PdNS6_17constant_iteratorIiNS6_11use_defaultESE_EENS6_10device_ptrIdEENSG_IlEEPmS8_NS6_8equal_toIdEEEE10hipError_tPvRmT2_T3_mT4_T5_T6_T7_T8_P12ihipStream_tbENKUlT_T0_E_clISt17integral_constantIbLb1EES13_EEDaSY_SZ_EUlSY_E_NS1_11comp_targetILNS1_3genE2ELNS1_11target_archE906ELNS1_3gpuE6ELNS1_3repE0EEENS1_30default_config_static_selectorELNS0_4arch9wavefront6targetE1EEEvT1_
	.globl	_ZN7rocprim17ROCPRIM_400000_NS6detail17trampoline_kernelINS0_14default_configENS1_29reduce_by_key_config_selectorIdlN6thrust23THRUST_200600_302600_NS4plusIlEEEEZZNS1_33reduce_by_key_impl_wrapped_configILNS1_25lookback_scan_determinismE0ES3_S9_PdNS6_17constant_iteratorIiNS6_11use_defaultESE_EENS6_10device_ptrIdEENSG_IlEEPmS8_NS6_8equal_toIdEEEE10hipError_tPvRmT2_T3_mT4_T5_T6_T7_T8_P12ihipStream_tbENKUlT_T0_E_clISt17integral_constantIbLb1EES13_EEDaSY_SZ_EUlSY_E_NS1_11comp_targetILNS1_3genE2ELNS1_11target_archE906ELNS1_3gpuE6ELNS1_3repE0EEENS1_30default_config_static_selectorELNS0_4arch9wavefront6targetE1EEEvT1_
	.p2align	8
	.type	_ZN7rocprim17ROCPRIM_400000_NS6detail17trampoline_kernelINS0_14default_configENS1_29reduce_by_key_config_selectorIdlN6thrust23THRUST_200600_302600_NS4plusIlEEEEZZNS1_33reduce_by_key_impl_wrapped_configILNS1_25lookback_scan_determinismE0ES3_S9_PdNS6_17constant_iteratorIiNS6_11use_defaultESE_EENS6_10device_ptrIdEENSG_IlEEPmS8_NS6_8equal_toIdEEEE10hipError_tPvRmT2_T3_mT4_T5_T6_T7_T8_P12ihipStream_tbENKUlT_T0_E_clISt17integral_constantIbLb1EES13_EEDaSY_SZ_EUlSY_E_NS1_11comp_targetILNS1_3genE2ELNS1_11target_archE906ELNS1_3gpuE6ELNS1_3repE0EEENS1_30default_config_static_selectorELNS0_4arch9wavefront6targetE1EEEvT1_,@function
_ZN7rocprim17ROCPRIM_400000_NS6detail17trampoline_kernelINS0_14default_configENS1_29reduce_by_key_config_selectorIdlN6thrust23THRUST_200600_302600_NS4plusIlEEEEZZNS1_33reduce_by_key_impl_wrapped_configILNS1_25lookback_scan_determinismE0ES3_S9_PdNS6_17constant_iteratorIiNS6_11use_defaultESE_EENS6_10device_ptrIdEENSG_IlEEPmS8_NS6_8equal_toIdEEEE10hipError_tPvRmT2_T3_mT4_T5_T6_T7_T8_P12ihipStream_tbENKUlT_T0_E_clISt17integral_constantIbLb1EES13_EEDaSY_SZ_EUlSY_E_NS1_11comp_targetILNS1_3genE2ELNS1_11target_archE906ELNS1_3gpuE6ELNS1_3repE0EEENS1_30default_config_static_selectorELNS0_4arch9wavefront6targetE1EEEvT1_: ; @_ZN7rocprim17ROCPRIM_400000_NS6detail17trampoline_kernelINS0_14default_configENS1_29reduce_by_key_config_selectorIdlN6thrust23THRUST_200600_302600_NS4plusIlEEEEZZNS1_33reduce_by_key_impl_wrapped_configILNS1_25lookback_scan_determinismE0ES3_S9_PdNS6_17constant_iteratorIiNS6_11use_defaultESE_EENS6_10device_ptrIdEENSG_IlEEPmS8_NS6_8equal_toIdEEEE10hipError_tPvRmT2_T3_mT4_T5_T6_T7_T8_P12ihipStream_tbENKUlT_T0_E_clISt17integral_constantIbLb1EES13_EEDaSY_SZ_EUlSY_E_NS1_11comp_targetILNS1_3genE2ELNS1_11target_archE906ELNS1_3gpuE6ELNS1_3repE0EEENS1_30default_config_static_selectorELNS0_4arch9wavefront6targetE1EEEvT1_
; %bb.0:
	s_endpgm
	.section	.rodata,"a",@progbits
	.p2align	6, 0x0
	.amdhsa_kernel _ZN7rocprim17ROCPRIM_400000_NS6detail17trampoline_kernelINS0_14default_configENS1_29reduce_by_key_config_selectorIdlN6thrust23THRUST_200600_302600_NS4plusIlEEEEZZNS1_33reduce_by_key_impl_wrapped_configILNS1_25lookback_scan_determinismE0ES3_S9_PdNS6_17constant_iteratorIiNS6_11use_defaultESE_EENS6_10device_ptrIdEENSG_IlEEPmS8_NS6_8equal_toIdEEEE10hipError_tPvRmT2_T3_mT4_T5_T6_T7_T8_P12ihipStream_tbENKUlT_T0_E_clISt17integral_constantIbLb1EES13_EEDaSY_SZ_EUlSY_E_NS1_11comp_targetILNS1_3genE2ELNS1_11target_archE906ELNS1_3gpuE6ELNS1_3repE0EEENS1_30default_config_static_selectorELNS0_4arch9wavefront6targetE1EEEvT1_
		.amdhsa_group_segment_fixed_size 0
		.amdhsa_private_segment_fixed_size 0
		.amdhsa_kernarg_size 144
		.amdhsa_user_sgpr_count 6
		.amdhsa_user_sgpr_private_segment_buffer 1
		.amdhsa_user_sgpr_dispatch_ptr 0
		.amdhsa_user_sgpr_queue_ptr 0
		.amdhsa_user_sgpr_kernarg_segment_ptr 1
		.amdhsa_user_sgpr_dispatch_id 0
		.amdhsa_user_sgpr_flat_scratch_init 0
		.amdhsa_user_sgpr_private_segment_size 0
		.amdhsa_uses_dynamic_stack 0
		.amdhsa_system_sgpr_private_segment_wavefront_offset 0
		.amdhsa_system_sgpr_workgroup_id_x 1
		.amdhsa_system_sgpr_workgroup_id_y 0
		.amdhsa_system_sgpr_workgroup_id_z 0
		.amdhsa_system_sgpr_workgroup_info 0
		.amdhsa_system_vgpr_workitem_id 0
		.amdhsa_next_free_vgpr 1
		.amdhsa_next_free_sgpr 0
		.amdhsa_reserve_vcc 0
		.amdhsa_reserve_flat_scratch 0
		.amdhsa_float_round_mode_32 0
		.amdhsa_float_round_mode_16_64 0
		.amdhsa_float_denorm_mode_32 3
		.amdhsa_float_denorm_mode_16_64 3
		.amdhsa_dx10_clamp 1
		.amdhsa_ieee_mode 1
		.amdhsa_fp16_overflow 0
		.amdhsa_exception_fp_ieee_invalid_op 0
		.amdhsa_exception_fp_denorm_src 0
		.amdhsa_exception_fp_ieee_div_zero 0
		.amdhsa_exception_fp_ieee_overflow 0
		.amdhsa_exception_fp_ieee_underflow 0
		.amdhsa_exception_fp_ieee_inexact 0
		.amdhsa_exception_int_div_zero 0
	.end_amdhsa_kernel
	.section	.text._ZN7rocprim17ROCPRIM_400000_NS6detail17trampoline_kernelINS0_14default_configENS1_29reduce_by_key_config_selectorIdlN6thrust23THRUST_200600_302600_NS4plusIlEEEEZZNS1_33reduce_by_key_impl_wrapped_configILNS1_25lookback_scan_determinismE0ES3_S9_PdNS6_17constant_iteratorIiNS6_11use_defaultESE_EENS6_10device_ptrIdEENSG_IlEEPmS8_NS6_8equal_toIdEEEE10hipError_tPvRmT2_T3_mT4_T5_T6_T7_T8_P12ihipStream_tbENKUlT_T0_E_clISt17integral_constantIbLb1EES13_EEDaSY_SZ_EUlSY_E_NS1_11comp_targetILNS1_3genE2ELNS1_11target_archE906ELNS1_3gpuE6ELNS1_3repE0EEENS1_30default_config_static_selectorELNS0_4arch9wavefront6targetE1EEEvT1_,"axG",@progbits,_ZN7rocprim17ROCPRIM_400000_NS6detail17trampoline_kernelINS0_14default_configENS1_29reduce_by_key_config_selectorIdlN6thrust23THRUST_200600_302600_NS4plusIlEEEEZZNS1_33reduce_by_key_impl_wrapped_configILNS1_25lookback_scan_determinismE0ES3_S9_PdNS6_17constant_iteratorIiNS6_11use_defaultESE_EENS6_10device_ptrIdEENSG_IlEEPmS8_NS6_8equal_toIdEEEE10hipError_tPvRmT2_T3_mT4_T5_T6_T7_T8_P12ihipStream_tbENKUlT_T0_E_clISt17integral_constantIbLb1EES13_EEDaSY_SZ_EUlSY_E_NS1_11comp_targetILNS1_3genE2ELNS1_11target_archE906ELNS1_3gpuE6ELNS1_3repE0EEENS1_30default_config_static_selectorELNS0_4arch9wavefront6targetE1EEEvT1_,comdat
.Lfunc_end1701:
	.size	_ZN7rocprim17ROCPRIM_400000_NS6detail17trampoline_kernelINS0_14default_configENS1_29reduce_by_key_config_selectorIdlN6thrust23THRUST_200600_302600_NS4plusIlEEEEZZNS1_33reduce_by_key_impl_wrapped_configILNS1_25lookback_scan_determinismE0ES3_S9_PdNS6_17constant_iteratorIiNS6_11use_defaultESE_EENS6_10device_ptrIdEENSG_IlEEPmS8_NS6_8equal_toIdEEEE10hipError_tPvRmT2_T3_mT4_T5_T6_T7_T8_P12ihipStream_tbENKUlT_T0_E_clISt17integral_constantIbLb1EES13_EEDaSY_SZ_EUlSY_E_NS1_11comp_targetILNS1_3genE2ELNS1_11target_archE906ELNS1_3gpuE6ELNS1_3repE0EEENS1_30default_config_static_selectorELNS0_4arch9wavefront6targetE1EEEvT1_, .Lfunc_end1701-_ZN7rocprim17ROCPRIM_400000_NS6detail17trampoline_kernelINS0_14default_configENS1_29reduce_by_key_config_selectorIdlN6thrust23THRUST_200600_302600_NS4plusIlEEEEZZNS1_33reduce_by_key_impl_wrapped_configILNS1_25lookback_scan_determinismE0ES3_S9_PdNS6_17constant_iteratorIiNS6_11use_defaultESE_EENS6_10device_ptrIdEENSG_IlEEPmS8_NS6_8equal_toIdEEEE10hipError_tPvRmT2_T3_mT4_T5_T6_T7_T8_P12ihipStream_tbENKUlT_T0_E_clISt17integral_constantIbLb1EES13_EEDaSY_SZ_EUlSY_E_NS1_11comp_targetILNS1_3genE2ELNS1_11target_archE906ELNS1_3gpuE6ELNS1_3repE0EEENS1_30default_config_static_selectorELNS0_4arch9wavefront6targetE1EEEvT1_
                                        ; -- End function
	.set _ZN7rocprim17ROCPRIM_400000_NS6detail17trampoline_kernelINS0_14default_configENS1_29reduce_by_key_config_selectorIdlN6thrust23THRUST_200600_302600_NS4plusIlEEEEZZNS1_33reduce_by_key_impl_wrapped_configILNS1_25lookback_scan_determinismE0ES3_S9_PdNS6_17constant_iteratorIiNS6_11use_defaultESE_EENS6_10device_ptrIdEENSG_IlEEPmS8_NS6_8equal_toIdEEEE10hipError_tPvRmT2_T3_mT4_T5_T6_T7_T8_P12ihipStream_tbENKUlT_T0_E_clISt17integral_constantIbLb1EES13_EEDaSY_SZ_EUlSY_E_NS1_11comp_targetILNS1_3genE2ELNS1_11target_archE906ELNS1_3gpuE6ELNS1_3repE0EEENS1_30default_config_static_selectorELNS0_4arch9wavefront6targetE1EEEvT1_.num_vgpr, 0
	.set _ZN7rocprim17ROCPRIM_400000_NS6detail17trampoline_kernelINS0_14default_configENS1_29reduce_by_key_config_selectorIdlN6thrust23THRUST_200600_302600_NS4plusIlEEEEZZNS1_33reduce_by_key_impl_wrapped_configILNS1_25lookback_scan_determinismE0ES3_S9_PdNS6_17constant_iteratorIiNS6_11use_defaultESE_EENS6_10device_ptrIdEENSG_IlEEPmS8_NS6_8equal_toIdEEEE10hipError_tPvRmT2_T3_mT4_T5_T6_T7_T8_P12ihipStream_tbENKUlT_T0_E_clISt17integral_constantIbLb1EES13_EEDaSY_SZ_EUlSY_E_NS1_11comp_targetILNS1_3genE2ELNS1_11target_archE906ELNS1_3gpuE6ELNS1_3repE0EEENS1_30default_config_static_selectorELNS0_4arch9wavefront6targetE1EEEvT1_.num_agpr, 0
	.set _ZN7rocprim17ROCPRIM_400000_NS6detail17trampoline_kernelINS0_14default_configENS1_29reduce_by_key_config_selectorIdlN6thrust23THRUST_200600_302600_NS4plusIlEEEEZZNS1_33reduce_by_key_impl_wrapped_configILNS1_25lookback_scan_determinismE0ES3_S9_PdNS6_17constant_iteratorIiNS6_11use_defaultESE_EENS6_10device_ptrIdEENSG_IlEEPmS8_NS6_8equal_toIdEEEE10hipError_tPvRmT2_T3_mT4_T5_T6_T7_T8_P12ihipStream_tbENKUlT_T0_E_clISt17integral_constantIbLb1EES13_EEDaSY_SZ_EUlSY_E_NS1_11comp_targetILNS1_3genE2ELNS1_11target_archE906ELNS1_3gpuE6ELNS1_3repE0EEENS1_30default_config_static_selectorELNS0_4arch9wavefront6targetE1EEEvT1_.numbered_sgpr, 0
	.set _ZN7rocprim17ROCPRIM_400000_NS6detail17trampoline_kernelINS0_14default_configENS1_29reduce_by_key_config_selectorIdlN6thrust23THRUST_200600_302600_NS4plusIlEEEEZZNS1_33reduce_by_key_impl_wrapped_configILNS1_25lookback_scan_determinismE0ES3_S9_PdNS6_17constant_iteratorIiNS6_11use_defaultESE_EENS6_10device_ptrIdEENSG_IlEEPmS8_NS6_8equal_toIdEEEE10hipError_tPvRmT2_T3_mT4_T5_T6_T7_T8_P12ihipStream_tbENKUlT_T0_E_clISt17integral_constantIbLb1EES13_EEDaSY_SZ_EUlSY_E_NS1_11comp_targetILNS1_3genE2ELNS1_11target_archE906ELNS1_3gpuE6ELNS1_3repE0EEENS1_30default_config_static_selectorELNS0_4arch9wavefront6targetE1EEEvT1_.num_named_barrier, 0
	.set _ZN7rocprim17ROCPRIM_400000_NS6detail17trampoline_kernelINS0_14default_configENS1_29reduce_by_key_config_selectorIdlN6thrust23THRUST_200600_302600_NS4plusIlEEEEZZNS1_33reduce_by_key_impl_wrapped_configILNS1_25lookback_scan_determinismE0ES3_S9_PdNS6_17constant_iteratorIiNS6_11use_defaultESE_EENS6_10device_ptrIdEENSG_IlEEPmS8_NS6_8equal_toIdEEEE10hipError_tPvRmT2_T3_mT4_T5_T6_T7_T8_P12ihipStream_tbENKUlT_T0_E_clISt17integral_constantIbLb1EES13_EEDaSY_SZ_EUlSY_E_NS1_11comp_targetILNS1_3genE2ELNS1_11target_archE906ELNS1_3gpuE6ELNS1_3repE0EEENS1_30default_config_static_selectorELNS0_4arch9wavefront6targetE1EEEvT1_.private_seg_size, 0
	.set _ZN7rocprim17ROCPRIM_400000_NS6detail17trampoline_kernelINS0_14default_configENS1_29reduce_by_key_config_selectorIdlN6thrust23THRUST_200600_302600_NS4plusIlEEEEZZNS1_33reduce_by_key_impl_wrapped_configILNS1_25lookback_scan_determinismE0ES3_S9_PdNS6_17constant_iteratorIiNS6_11use_defaultESE_EENS6_10device_ptrIdEENSG_IlEEPmS8_NS6_8equal_toIdEEEE10hipError_tPvRmT2_T3_mT4_T5_T6_T7_T8_P12ihipStream_tbENKUlT_T0_E_clISt17integral_constantIbLb1EES13_EEDaSY_SZ_EUlSY_E_NS1_11comp_targetILNS1_3genE2ELNS1_11target_archE906ELNS1_3gpuE6ELNS1_3repE0EEENS1_30default_config_static_selectorELNS0_4arch9wavefront6targetE1EEEvT1_.uses_vcc, 0
	.set _ZN7rocprim17ROCPRIM_400000_NS6detail17trampoline_kernelINS0_14default_configENS1_29reduce_by_key_config_selectorIdlN6thrust23THRUST_200600_302600_NS4plusIlEEEEZZNS1_33reduce_by_key_impl_wrapped_configILNS1_25lookback_scan_determinismE0ES3_S9_PdNS6_17constant_iteratorIiNS6_11use_defaultESE_EENS6_10device_ptrIdEENSG_IlEEPmS8_NS6_8equal_toIdEEEE10hipError_tPvRmT2_T3_mT4_T5_T6_T7_T8_P12ihipStream_tbENKUlT_T0_E_clISt17integral_constantIbLb1EES13_EEDaSY_SZ_EUlSY_E_NS1_11comp_targetILNS1_3genE2ELNS1_11target_archE906ELNS1_3gpuE6ELNS1_3repE0EEENS1_30default_config_static_selectorELNS0_4arch9wavefront6targetE1EEEvT1_.uses_flat_scratch, 0
	.set _ZN7rocprim17ROCPRIM_400000_NS6detail17trampoline_kernelINS0_14default_configENS1_29reduce_by_key_config_selectorIdlN6thrust23THRUST_200600_302600_NS4plusIlEEEEZZNS1_33reduce_by_key_impl_wrapped_configILNS1_25lookback_scan_determinismE0ES3_S9_PdNS6_17constant_iteratorIiNS6_11use_defaultESE_EENS6_10device_ptrIdEENSG_IlEEPmS8_NS6_8equal_toIdEEEE10hipError_tPvRmT2_T3_mT4_T5_T6_T7_T8_P12ihipStream_tbENKUlT_T0_E_clISt17integral_constantIbLb1EES13_EEDaSY_SZ_EUlSY_E_NS1_11comp_targetILNS1_3genE2ELNS1_11target_archE906ELNS1_3gpuE6ELNS1_3repE0EEENS1_30default_config_static_selectorELNS0_4arch9wavefront6targetE1EEEvT1_.has_dyn_sized_stack, 0
	.set _ZN7rocprim17ROCPRIM_400000_NS6detail17trampoline_kernelINS0_14default_configENS1_29reduce_by_key_config_selectorIdlN6thrust23THRUST_200600_302600_NS4plusIlEEEEZZNS1_33reduce_by_key_impl_wrapped_configILNS1_25lookback_scan_determinismE0ES3_S9_PdNS6_17constant_iteratorIiNS6_11use_defaultESE_EENS6_10device_ptrIdEENSG_IlEEPmS8_NS6_8equal_toIdEEEE10hipError_tPvRmT2_T3_mT4_T5_T6_T7_T8_P12ihipStream_tbENKUlT_T0_E_clISt17integral_constantIbLb1EES13_EEDaSY_SZ_EUlSY_E_NS1_11comp_targetILNS1_3genE2ELNS1_11target_archE906ELNS1_3gpuE6ELNS1_3repE0EEENS1_30default_config_static_selectorELNS0_4arch9wavefront6targetE1EEEvT1_.has_recursion, 0
	.set _ZN7rocprim17ROCPRIM_400000_NS6detail17trampoline_kernelINS0_14default_configENS1_29reduce_by_key_config_selectorIdlN6thrust23THRUST_200600_302600_NS4plusIlEEEEZZNS1_33reduce_by_key_impl_wrapped_configILNS1_25lookback_scan_determinismE0ES3_S9_PdNS6_17constant_iteratorIiNS6_11use_defaultESE_EENS6_10device_ptrIdEENSG_IlEEPmS8_NS6_8equal_toIdEEEE10hipError_tPvRmT2_T3_mT4_T5_T6_T7_T8_P12ihipStream_tbENKUlT_T0_E_clISt17integral_constantIbLb1EES13_EEDaSY_SZ_EUlSY_E_NS1_11comp_targetILNS1_3genE2ELNS1_11target_archE906ELNS1_3gpuE6ELNS1_3repE0EEENS1_30default_config_static_selectorELNS0_4arch9wavefront6targetE1EEEvT1_.has_indirect_call, 0
	.section	.AMDGPU.csdata,"",@progbits
; Kernel info:
; codeLenInByte = 4
; TotalNumSgprs: 4
; NumVgprs: 0
; ScratchSize: 0
; MemoryBound: 0
; FloatMode: 240
; IeeeMode: 1
; LDSByteSize: 0 bytes/workgroup (compile time only)
; SGPRBlocks: 0
; VGPRBlocks: 0
; NumSGPRsForWavesPerEU: 4
; NumVGPRsForWavesPerEU: 1
; Occupancy: 10
; WaveLimiterHint : 0
; COMPUTE_PGM_RSRC2:SCRATCH_EN: 0
; COMPUTE_PGM_RSRC2:USER_SGPR: 6
; COMPUTE_PGM_RSRC2:TRAP_HANDLER: 0
; COMPUTE_PGM_RSRC2:TGID_X_EN: 1
; COMPUTE_PGM_RSRC2:TGID_Y_EN: 0
; COMPUTE_PGM_RSRC2:TGID_Z_EN: 0
; COMPUTE_PGM_RSRC2:TIDIG_COMP_CNT: 0
	.section	.text._ZN7rocprim17ROCPRIM_400000_NS6detail17trampoline_kernelINS0_14default_configENS1_29reduce_by_key_config_selectorIdlN6thrust23THRUST_200600_302600_NS4plusIlEEEEZZNS1_33reduce_by_key_impl_wrapped_configILNS1_25lookback_scan_determinismE0ES3_S9_PdNS6_17constant_iteratorIiNS6_11use_defaultESE_EENS6_10device_ptrIdEENSG_IlEEPmS8_NS6_8equal_toIdEEEE10hipError_tPvRmT2_T3_mT4_T5_T6_T7_T8_P12ihipStream_tbENKUlT_T0_E_clISt17integral_constantIbLb1EES13_EEDaSY_SZ_EUlSY_E_NS1_11comp_targetILNS1_3genE10ELNS1_11target_archE1201ELNS1_3gpuE5ELNS1_3repE0EEENS1_30default_config_static_selectorELNS0_4arch9wavefront6targetE1EEEvT1_,"axG",@progbits,_ZN7rocprim17ROCPRIM_400000_NS6detail17trampoline_kernelINS0_14default_configENS1_29reduce_by_key_config_selectorIdlN6thrust23THRUST_200600_302600_NS4plusIlEEEEZZNS1_33reduce_by_key_impl_wrapped_configILNS1_25lookback_scan_determinismE0ES3_S9_PdNS6_17constant_iteratorIiNS6_11use_defaultESE_EENS6_10device_ptrIdEENSG_IlEEPmS8_NS6_8equal_toIdEEEE10hipError_tPvRmT2_T3_mT4_T5_T6_T7_T8_P12ihipStream_tbENKUlT_T0_E_clISt17integral_constantIbLb1EES13_EEDaSY_SZ_EUlSY_E_NS1_11comp_targetILNS1_3genE10ELNS1_11target_archE1201ELNS1_3gpuE5ELNS1_3repE0EEENS1_30default_config_static_selectorELNS0_4arch9wavefront6targetE1EEEvT1_,comdat
	.protected	_ZN7rocprim17ROCPRIM_400000_NS6detail17trampoline_kernelINS0_14default_configENS1_29reduce_by_key_config_selectorIdlN6thrust23THRUST_200600_302600_NS4plusIlEEEEZZNS1_33reduce_by_key_impl_wrapped_configILNS1_25lookback_scan_determinismE0ES3_S9_PdNS6_17constant_iteratorIiNS6_11use_defaultESE_EENS6_10device_ptrIdEENSG_IlEEPmS8_NS6_8equal_toIdEEEE10hipError_tPvRmT2_T3_mT4_T5_T6_T7_T8_P12ihipStream_tbENKUlT_T0_E_clISt17integral_constantIbLb1EES13_EEDaSY_SZ_EUlSY_E_NS1_11comp_targetILNS1_3genE10ELNS1_11target_archE1201ELNS1_3gpuE5ELNS1_3repE0EEENS1_30default_config_static_selectorELNS0_4arch9wavefront6targetE1EEEvT1_ ; -- Begin function _ZN7rocprim17ROCPRIM_400000_NS6detail17trampoline_kernelINS0_14default_configENS1_29reduce_by_key_config_selectorIdlN6thrust23THRUST_200600_302600_NS4plusIlEEEEZZNS1_33reduce_by_key_impl_wrapped_configILNS1_25lookback_scan_determinismE0ES3_S9_PdNS6_17constant_iteratorIiNS6_11use_defaultESE_EENS6_10device_ptrIdEENSG_IlEEPmS8_NS6_8equal_toIdEEEE10hipError_tPvRmT2_T3_mT4_T5_T6_T7_T8_P12ihipStream_tbENKUlT_T0_E_clISt17integral_constantIbLb1EES13_EEDaSY_SZ_EUlSY_E_NS1_11comp_targetILNS1_3genE10ELNS1_11target_archE1201ELNS1_3gpuE5ELNS1_3repE0EEENS1_30default_config_static_selectorELNS0_4arch9wavefront6targetE1EEEvT1_
	.globl	_ZN7rocprim17ROCPRIM_400000_NS6detail17trampoline_kernelINS0_14default_configENS1_29reduce_by_key_config_selectorIdlN6thrust23THRUST_200600_302600_NS4plusIlEEEEZZNS1_33reduce_by_key_impl_wrapped_configILNS1_25lookback_scan_determinismE0ES3_S9_PdNS6_17constant_iteratorIiNS6_11use_defaultESE_EENS6_10device_ptrIdEENSG_IlEEPmS8_NS6_8equal_toIdEEEE10hipError_tPvRmT2_T3_mT4_T5_T6_T7_T8_P12ihipStream_tbENKUlT_T0_E_clISt17integral_constantIbLb1EES13_EEDaSY_SZ_EUlSY_E_NS1_11comp_targetILNS1_3genE10ELNS1_11target_archE1201ELNS1_3gpuE5ELNS1_3repE0EEENS1_30default_config_static_selectorELNS0_4arch9wavefront6targetE1EEEvT1_
	.p2align	8
	.type	_ZN7rocprim17ROCPRIM_400000_NS6detail17trampoline_kernelINS0_14default_configENS1_29reduce_by_key_config_selectorIdlN6thrust23THRUST_200600_302600_NS4plusIlEEEEZZNS1_33reduce_by_key_impl_wrapped_configILNS1_25lookback_scan_determinismE0ES3_S9_PdNS6_17constant_iteratorIiNS6_11use_defaultESE_EENS6_10device_ptrIdEENSG_IlEEPmS8_NS6_8equal_toIdEEEE10hipError_tPvRmT2_T3_mT4_T5_T6_T7_T8_P12ihipStream_tbENKUlT_T0_E_clISt17integral_constantIbLb1EES13_EEDaSY_SZ_EUlSY_E_NS1_11comp_targetILNS1_3genE10ELNS1_11target_archE1201ELNS1_3gpuE5ELNS1_3repE0EEENS1_30default_config_static_selectorELNS0_4arch9wavefront6targetE1EEEvT1_,@function
_ZN7rocprim17ROCPRIM_400000_NS6detail17trampoline_kernelINS0_14default_configENS1_29reduce_by_key_config_selectorIdlN6thrust23THRUST_200600_302600_NS4plusIlEEEEZZNS1_33reduce_by_key_impl_wrapped_configILNS1_25lookback_scan_determinismE0ES3_S9_PdNS6_17constant_iteratorIiNS6_11use_defaultESE_EENS6_10device_ptrIdEENSG_IlEEPmS8_NS6_8equal_toIdEEEE10hipError_tPvRmT2_T3_mT4_T5_T6_T7_T8_P12ihipStream_tbENKUlT_T0_E_clISt17integral_constantIbLb1EES13_EEDaSY_SZ_EUlSY_E_NS1_11comp_targetILNS1_3genE10ELNS1_11target_archE1201ELNS1_3gpuE5ELNS1_3repE0EEENS1_30default_config_static_selectorELNS0_4arch9wavefront6targetE1EEEvT1_: ; @_ZN7rocprim17ROCPRIM_400000_NS6detail17trampoline_kernelINS0_14default_configENS1_29reduce_by_key_config_selectorIdlN6thrust23THRUST_200600_302600_NS4plusIlEEEEZZNS1_33reduce_by_key_impl_wrapped_configILNS1_25lookback_scan_determinismE0ES3_S9_PdNS6_17constant_iteratorIiNS6_11use_defaultESE_EENS6_10device_ptrIdEENSG_IlEEPmS8_NS6_8equal_toIdEEEE10hipError_tPvRmT2_T3_mT4_T5_T6_T7_T8_P12ihipStream_tbENKUlT_T0_E_clISt17integral_constantIbLb1EES13_EEDaSY_SZ_EUlSY_E_NS1_11comp_targetILNS1_3genE10ELNS1_11target_archE1201ELNS1_3gpuE5ELNS1_3repE0EEENS1_30default_config_static_selectorELNS0_4arch9wavefront6targetE1EEEvT1_
; %bb.0:
	.section	.rodata,"a",@progbits
	.p2align	6, 0x0
	.amdhsa_kernel _ZN7rocprim17ROCPRIM_400000_NS6detail17trampoline_kernelINS0_14default_configENS1_29reduce_by_key_config_selectorIdlN6thrust23THRUST_200600_302600_NS4plusIlEEEEZZNS1_33reduce_by_key_impl_wrapped_configILNS1_25lookback_scan_determinismE0ES3_S9_PdNS6_17constant_iteratorIiNS6_11use_defaultESE_EENS6_10device_ptrIdEENSG_IlEEPmS8_NS6_8equal_toIdEEEE10hipError_tPvRmT2_T3_mT4_T5_T6_T7_T8_P12ihipStream_tbENKUlT_T0_E_clISt17integral_constantIbLb1EES13_EEDaSY_SZ_EUlSY_E_NS1_11comp_targetILNS1_3genE10ELNS1_11target_archE1201ELNS1_3gpuE5ELNS1_3repE0EEENS1_30default_config_static_selectorELNS0_4arch9wavefront6targetE1EEEvT1_
		.amdhsa_group_segment_fixed_size 0
		.amdhsa_private_segment_fixed_size 0
		.amdhsa_kernarg_size 144
		.amdhsa_user_sgpr_count 6
		.amdhsa_user_sgpr_private_segment_buffer 1
		.amdhsa_user_sgpr_dispatch_ptr 0
		.amdhsa_user_sgpr_queue_ptr 0
		.amdhsa_user_sgpr_kernarg_segment_ptr 1
		.amdhsa_user_sgpr_dispatch_id 0
		.amdhsa_user_sgpr_flat_scratch_init 0
		.amdhsa_user_sgpr_private_segment_size 0
		.amdhsa_uses_dynamic_stack 0
		.amdhsa_system_sgpr_private_segment_wavefront_offset 0
		.amdhsa_system_sgpr_workgroup_id_x 1
		.amdhsa_system_sgpr_workgroup_id_y 0
		.amdhsa_system_sgpr_workgroup_id_z 0
		.amdhsa_system_sgpr_workgroup_info 0
		.amdhsa_system_vgpr_workitem_id 0
		.amdhsa_next_free_vgpr 1
		.amdhsa_next_free_sgpr 0
		.amdhsa_reserve_vcc 0
		.amdhsa_reserve_flat_scratch 0
		.amdhsa_float_round_mode_32 0
		.amdhsa_float_round_mode_16_64 0
		.amdhsa_float_denorm_mode_32 3
		.amdhsa_float_denorm_mode_16_64 3
		.amdhsa_dx10_clamp 1
		.amdhsa_ieee_mode 1
		.amdhsa_fp16_overflow 0
		.amdhsa_exception_fp_ieee_invalid_op 0
		.amdhsa_exception_fp_denorm_src 0
		.amdhsa_exception_fp_ieee_div_zero 0
		.amdhsa_exception_fp_ieee_overflow 0
		.amdhsa_exception_fp_ieee_underflow 0
		.amdhsa_exception_fp_ieee_inexact 0
		.amdhsa_exception_int_div_zero 0
	.end_amdhsa_kernel
	.section	.text._ZN7rocprim17ROCPRIM_400000_NS6detail17trampoline_kernelINS0_14default_configENS1_29reduce_by_key_config_selectorIdlN6thrust23THRUST_200600_302600_NS4plusIlEEEEZZNS1_33reduce_by_key_impl_wrapped_configILNS1_25lookback_scan_determinismE0ES3_S9_PdNS6_17constant_iteratorIiNS6_11use_defaultESE_EENS6_10device_ptrIdEENSG_IlEEPmS8_NS6_8equal_toIdEEEE10hipError_tPvRmT2_T3_mT4_T5_T6_T7_T8_P12ihipStream_tbENKUlT_T0_E_clISt17integral_constantIbLb1EES13_EEDaSY_SZ_EUlSY_E_NS1_11comp_targetILNS1_3genE10ELNS1_11target_archE1201ELNS1_3gpuE5ELNS1_3repE0EEENS1_30default_config_static_selectorELNS0_4arch9wavefront6targetE1EEEvT1_,"axG",@progbits,_ZN7rocprim17ROCPRIM_400000_NS6detail17trampoline_kernelINS0_14default_configENS1_29reduce_by_key_config_selectorIdlN6thrust23THRUST_200600_302600_NS4plusIlEEEEZZNS1_33reduce_by_key_impl_wrapped_configILNS1_25lookback_scan_determinismE0ES3_S9_PdNS6_17constant_iteratorIiNS6_11use_defaultESE_EENS6_10device_ptrIdEENSG_IlEEPmS8_NS6_8equal_toIdEEEE10hipError_tPvRmT2_T3_mT4_T5_T6_T7_T8_P12ihipStream_tbENKUlT_T0_E_clISt17integral_constantIbLb1EES13_EEDaSY_SZ_EUlSY_E_NS1_11comp_targetILNS1_3genE10ELNS1_11target_archE1201ELNS1_3gpuE5ELNS1_3repE0EEENS1_30default_config_static_selectorELNS0_4arch9wavefront6targetE1EEEvT1_,comdat
.Lfunc_end1702:
	.size	_ZN7rocprim17ROCPRIM_400000_NS6detail17trampoline_kernelINS0_14default_configENS1_29reduce_by_key_config_selectorIdlN6thrust23THRUST_200600_302600_NS4plusIlEEEEZZNS1_33reduce_by_key_impl_wrapped_configILNS1_25lookback_scan_determinismE0ES3_S9_PdNS6_17constant_iteratorIiNS6_11use_defaultESE_EENS6_10device_ptrIdEENSG_IlEEPmS8_NS6_8equal_toIdEEEE10hipError_tPvRmT2_T3_mT4_T5_T6_T7_T8_P12ihipStream_tbENKUlT_T0_E_clISt17integral_constantIbLb1EES13_EEDaSY_SZ_EUlSY_E_NS1_11comp_targetILNS1_3genE10ELNS1_11target_archE1201ELNS1_3gpuE5ELNS1_3repE0EEENS1_30default_config_static_selectorELNS0_4arch9wavefront6targetE1EEEvT1_, .Lfunc_end1702-_ZN7rocprim17ROCPRIM_400000_NS6detail17trampoline_kernelINS0_14default_configENS1_29reduce_by_key_config_selectorIdlN6thrust23THRUST_200600_302600_NS4plusIlEEEEZZNS1_33reduce_by_key_impl_wrapped_configILNS1_25lookback_scan_determinismE0ES3_S9_PdNS6_17constant_iteratorIiNS6_11use_defaultESE_EENS6_10device_ptrIdEENSG_IlEEPmS8_NS6_8equal_toIdEEEE10hipError_tPvRmT2_T3_mT4_T5_T6_T7_T8_P12ihipStream_tbENKUlT_T0_E_clISt17integral_constantIbLb1EES13_EEDaSY_SZ_EUlSY_E_NS1_11comp_targetILNS1_3genE10ELNS1_11target_archE1201ELNS1_3gpuE5ELNS1_3repE0EEENS1_30default_config_static_selectorELNS0_4arch9wavefront6targetE1EEEvT1_
                                        ; -- End function
	.set _ZN7rocprim17ROCPRIM_400000_NS6detail17trampoline_kernelINS0_14default_configENS1_29reduce_by_key_config_selectorIdlN6thrust23THRUST_200600_302600_NS4plusIlEEEEZZNS1_33reduce_by_key_impl_wrapped_configILNS1_25lookback_scan_determinismE0ES3_S9_PdNS6_17constant_iteratorIiNS6_11use_defaultESE_EENS6_10device_ptrIdEENSG_IlEEPmS8_NS6_8equal_toIdEEEE10hipError_tPvRmT2_T3_mT4_T5_T6_T7_T8_P12ihipStream_tbENKUlT_T0_E_clISt17integral_constantIbLb1EES13_EEDaSY_SZ_EUlSY_E_NS1_11comp_targetILNS1_3genE10ELNS1_11target_archE1201ELNS1_3gpuE5ELNS1_3repE0EEENS1_30default_config_static_selectorELNS0_4arch9wavefront6targetE1EEEvT1_.num_vgpr, 0
	.set _ZN7rocprim17ROCPRIM_400000_NS6detail17trampoline_kernelINS0_14default_configENS1_29reduce_by_key_config_selectorIdlN6thrust23THRUST_200600_302600_NS4plusIlEEEEZZNS1_33reduce_by_key_impl_wrapped_configILNS1_25lookback_scan_determinismE0ES3_S9_PdNS6_17constant_iteratorIiNS6_11use_defaultESE_EENS6_10device_ptrIdEENSG_IlEEPmS8_NS6_8equal_toIdEEEE10hipError_tPvRmT2_T3_mT4_T5_T6_T7_T8_P12ihipStream_tbENKUlT_T0_E_clISt17integral_constantIbLb1EES13_EEDaSY_SZ_EUlSY_E_NS1_11comp_targetILNS1_3genE10ELNS1_11target_archE1201ELNS1_3gpuE5ELNS1_3repE0EEENS1_30default_config_static_selectorELNS0_4arch9wavefront6targetE1EEEvT1_.num_agpr, 0
	.set _ZN7rocprim17ROCPRIM_400000_NS6detail17trampoline_kernelINS0_14default_configENS1_29reduce_by_key_config_selectorIdlN6thrust23THRUST_200600_302600_NS4plusIlEEEEZZNS1_33reduce_by_key_impl_wrapped_configILNS1_25lookback_scan_determinismE0ES3_S9_PdNS6_17constant_iteratorIiNS6_11use_defaultESE_EENS6_10device_ptrIdEENSG_IlEEPmS8_NS6_8equal_toIdEEEE10hipError_tPvRmT2_T3_mT4_T5_T6_T7_T8_P12ihipStream_tbENKUlT_T0_E_clISt17integral_constantIbLb1EES13_EEDaSY_SZ_EUlSY_E_NS1_11comp_targetILNS1_3genE10ELNS1_11target_archE1201ELNS1_3gpuE5ELNS1_3repE0EEENS1_30default_config_static_selectorELNS0_4arch9wavefront6targetE1EEEvT1_.numbered_sgpr, 0
	.set _ZN7rocprim17ROCPRIM_400000_NS6detail17trampoline_kernelINS0_14default_configENS1_29reduce_by_key_config_selectorIdlN6thrust23THRUST_200600_302600_NS4plusIlEEEEZZNS1_33reduce_by_key_impl_wrapped_configILNS1_25lookback_scan_determinismE0ES3_S9_PdNS6_17constant_iteratorIiNS6_11use_defaultESE_EENS6_10device_ptrIdEENSG_IlEEPmS8_NS6_8equal_toIdEEEE10hipError_tPvRmT2_T3_mT4_T5_T6_T7_T8_P12ihipStream_tbENKUlT_T0_E_clISt17integral_constantIbLb1EES13_EEDaSY_SZ_EUlSY_E_NS1_11comp_targetILNS1_3genE10ELNS1_11target_archE1201ELNS1_3gpuE5ELNS1_3repE0EEENS1_30default_config_static_selectorELNS0_4arch9wavefront6targetE1EEEvT1_.num_named_barrier, 0
	.set _ZN7rocprim17ROCPRIM_400000_NS6detail17trampoline_kernelINS0_14default_configENS1_29reduce_by_key_config_selectorIdlN6thrust23THRUST_200600_302600_NS4plusIlEEEEZZNS1_33reduce_by_key_impl_wrapped_configILNS1_25lookback_scan_determinismE0ES3_S9_PdNS6_17constant_iteratorIiNS6_11use_defaultESE_EENS6_10device_ptrIdEENSG_IlEEPmS8_NS6_8equal_toIdEEEE10hipError_tPvRmT2_T3_mT4_T5_T6_T7_T8_P12ihipStream_tbENKUlT_T0_E_clISt17integral_constantIbLb1EES13_EEDaSY_SZ_EUlSY_E_NS1_11comp_targetILNS1_3genE10ELNS1_11target_archE1201ELNS1_3gpuE5ELNS1_3repE0EEENS1_30default_config_static_selectorELNS0_4arch9wavefront6targetE1EEEvT1_.private_seg_size, 0
	.set _ZN7rocprim17ROCPRIM_400000_NS6detail17trampoline_kernelINS0_14default_configENS1_29reduce_by_key_config_selectorIdlN6thrust23THRUST_200600_302600_NS4plusIlEEEEZZNS1_33reduce_by_key_impl_wrapped_configILNS1_25lookback_scan_determinismE0ES3_S9_PdNS6_17constant_iteratorIiNS6_11use_defaultESE_EENS6_10device_ptrIdEENSG_IlEEPmS8_NS6_8equal_toIdEEEE10hipError_tPvRmT2_T3_mT4_T5_T6_T7_T8_P12ihipStream_tbENKUlT_T0_E_clISt17integral_constantIbLb1EES13_EEDaSY_SZ_EUlSY_E_NS1_11comp_targetILNS1_3genE10ELNS1_11target_archE1201ELNS1_3gpuE5ELNS1_3repE0EEENS1_30default_config_static_selectorELNS0_4arch9wavefront6targetE1EEEvT1_.uses_vcc, 0
	.set _ZN7rocprim17ROCPRIM_400000_NS6detail17trampoline_kernelINS0_14default_configENS1_29reduce_by_key_config_selectorIdlN6thrust23THRUST_200600_302600_NS4plusIlEEEEZZNS1_33reduce_by_key_impl_wrapped_configILNS1_25lookback_scan_determinismE0ES3_S9_PdNS6_17constant_iteratorIiNS6_11use_defaultESE_EENS6_10device_ptrIdEENSG_IlEEPmS8_NS6_8equal_toIdEEEE10hipError_tPvRmT2_T3_mT4_T5_T6_T7_T8_P12ihipStream_tbENKUlT_T0_E_clISt17integral_constantIbLb1EES13_EEDaSY_SZ_EUlSY_E_NS1_11comp_targetILNS1_3genE10ELNS1_11target_archE1201ELNS1_3gpuE5ELNS1_3repE0EEENS1_30default_config_static_selectorELNS0_4arch9wavefront6targetE1EEEvT1_.uses_flat_scratch, 0
	.set _ZN7rocprim17ROCPRIM_400000_NS6detail17trampoline_kernelINS0_14default_configENS1_29reduce_by_key_config_selectorIdlN6thrust23THRUST_200600_302600_NS4plusIlEEEEZZNS1_33reduce_by_key_impl_wrapped_configILNS1_25lookback_scan_determinismE0ES3_S9_PdNS6_17constant_iteratorIiNS6_11use_defaultESE_EENS6_10device_ptrIdEENSG_IlEEPmS8_NS6_8equal_toIdEEEE10hipError_tPvRmT2_T3_mT4_T5_T6_T7_T8_P12ihipStream_tbENKUlT_T0_E_clISt17integral_constantIbLb1EES13_EEDaSY_SZ_EUlSY_E_NS1_11comp_targetILNS1_3genE10ELNS1_11target_archE1201ELNS1_3gpuE5ELNS1_3repE0EEENS1_30default_config_static_selectorELNS0_4arch9wavefront6targetE1EEEvT1_.has_dyn_sized_stack, 0
	.set _ZN7rocprim17ROCPRIM_400000_NS6detail17trampoline_kernelINS0_14default_configENS1_29reduce_by_key_config_selectorIdlN6thrust23THRUST_200600_302600_NS4plusIlEEEEZZNS1_33reduce_by_key_impl_wrapped_configILNS1_25lookback_scan_determinismE0ES3_S9_PdNS6_17constant_iteratorIiNS6_11use_defaultESE_EENS6_10device_ptrIdEENSG_IlEEPmS8_NS6_8equal_toIdEEEE10hipError_tPvRmT2_T3_mT4_T5_T6_T7_T8_P12ihipStream_tbENKUlT_T0_E_clISt17integral_constantIbLb1EES13_EEDaSY_SZ_EUlSY_E_NS1_11comp_targetILNS1_3genE10ELNS1_11target_archE1201ELNS1_3gpuE5ELNS1_3repE0EEENS1_30default_config_static_selectorELNS0_4arch9wavefront6targetE1EEEvT1_.has_recursion, 0
	.set _ZN7rocprim17ROCPRIM_400000_NS6detail17trampoline_kernelINS0_14default_configENS1_29reduce_by_key_config_selectorIdlN6thrust23THRUST_200600_302600_NS4plusIlEEEEZZNS1_33reduce_by_key_impl_wrapped_configILNS1_25lookback_scan_determinismE0ES3_S9_PdNS6_17constant_iteratorIiNS6_11use_defaultESE_EENS6_10device_ptrIdEENSG_IlEEPmS8_NS6_8equal_toIdEEEE10hipError_tPvRmT2_T3_mT4_T5_T6_T7_T8_P12ihipStream_tbENKUlT_T0_E_clISt17integral_constantIbLb1EES13_EEDaSY_SZ_EUlSY_E_NS1_11comp_targetILNS1_3genE10ELNS1_11target_archE1201ELNS1_3gpuE5ELNS1_3repE0EEENS1_30default_config_static_selectorELNS0_4arch9wavefront6targetE1EEEvT1_.has_indirect_call, 0
	.section	.AMDGPU.csdata,"",@progbits
; Kernel info:
; codeLenInByte = 0
; TotalNumSgprs: 4
; NumVgprs: 0
; ScratchSize: 0
; MemoryBound: 0
; FloatMode: 240
; IeeeMode: 1
; LDSByteSize: 0 bytes/workgroup (compile time only)
; SGPRBlocks: 0
; VGPRBlocks: 0
; NumSGPRsForWavesPerEU: 4
; NumVGPRsForWavesPerEU: 1
; Occupancy: 10
; WaveLimiterHint : 0
; COMPUTE_PGM_RSRC2:SCRATCH_EN: 0
; COMPUTE_PGM_RSRC2:USER_SGPR: 6
; COMPUTE_PGM_RSRC2:TRAP_HANDLER: 0
; COMPUTE_PGM_RSRC2:TGID_X_EN: 1
; COMPUTE_PGM_RSRC2:TGID_Y_EN: 0
; COMPUTE_PGM_RSRC2:TGID_Z_EN: 0
; COMPUTE_PGM_RSRC2:TIDIG_COMP_CNT: 0
	.section	.text._ZN7rocprim17ROCPRIM_400000_NS6detail17trampoline_kernelINS0_14default_configENS1_29reduce_by_key_config_selectorIdlN6thrust23THRUST_200600_302600_NS4plusIlEEEEZZNS1_33reduce_by_key_impl_wrapped_configILNS1_25lookback_scan_determinismE0ES3_S9_PdNS6_17constant_iteratorIiNS6_11use_defaultESE_EENS6_10device_ptrIdEENSG_IlEEPmS8_NS6_8equal_toIdEEEE10hipError_tPvRmT2_T3_mT4_T5_T6_T7_T8_P12ihipStream_tbENKUlT_T0_E_clISt17integral_constantIbLb1EES13_EEDaSY_SZ_EUlSY_E_NS1_11comp_targetILNS1_3genE10ELNS1_11target_archE1200ELNS1_3gpuE4ELNS1_3repE0EEENS1_30default_config_static_selectorELNS0_4arch9wavefront6targetE1EEEvT1_,"axG",@progbits,_ZN7rocprim17ROCPRIM_400000_NS6detail17trampoline_kernelINS0_14default_configENS1_29reduce_by_key_config_selectorIdlN6thrust23THRUST_200600_302600_NS4plusIlEEEEZZNS1_33reduce_by_key_impl_wrapped_configILNS1_25lookback_scan_determinismE0ES3_S9_PdNS6_17constant_iteratorIiNS6_11use_defaultESE_EENS6_10device_ptrIdEENSG_IlEEPmS8_NS6_8equal_toIdEEEE10hipError_tPvRmT2_T3_mT4_T5_T6_T7_T8_P12ihipStream_tbENKUlT_T0_E_clISt17integral_constantIbLb1EES13_EEDaSY_SZ_EUlSY_E_NS1_11comp_targetILNS1_3genE10ELNS1_11target_archE1200ELNS1_3gpuE4ELNS1_3repE0EEENS1_30default_config_static_selectorELNS0_4arch9wavefront6targetE1EEEvT1_,comdat
	.protected	_ZN7rocprim17ROCPRIM_400000_NS6detail17trampoline_kernelINS0_14default_configENS1_29reduce_by_key_config_selectorIdlN6thrust23THRUST_200600_302600_NS4plusIlEEEEZZNS1_33reduce_by_key_impl_wrapped_configILNS1_25lookback_scan_determinismE0ES3_S9_PdNS6_17constant_iteratorIiNS6_11use_defaultESE_EENS6_10device_ptrIdEENSG_IlEEPmS8_NS6_8equal_toIdEEEE10hipError_tPvRmT2_T3_mT4_T5_T6_T7_T8_P12ihipStream_tbENKUlT_T0_E_clISt17integral_constantIbLb1EES13_EEDaSY_SZ_EUlSY_E_NS1_11comp_targetILNS1_3genE10ELNS1_11target_archE1200ELNS1_3gpuE4ELNS1_3repE0EEENS1_30default_config_static_selectorELNS0_4arch9wavefront6targetE1EEEvT1_ ; -- Begin function _ZN7rocprim17ROCPRIM_400000_NS6detail17trampoline_kernelINS0_14default_configENS1_29reduce_by_key_config_selectorIdlN6thrust23THRUST_200600_302600_NS4plusIlEEEEZZNS1_33reduce_by_key_impl_wrapped_configILNS1_25lookback_scan_determinismE0ES3_S9_PdNS6_17constant_iteratorIiNS6_11use_defaultESE_EENS6_10device_ptrIdEENSG_IlEEPmS8_NS6_8equal_toIdEEEE10hipError_tPvRmT2_T3_mT4_T5_T6_T7_T8_P12ihipStream_tbENKUlT_T0_E_clISt17integral_constantIbLb1EES13_EEDaSY_SZ_EUlSY_E_NS1_11comp_targetILNS1_3genE10ELNS1_11target_archE1200ELNS1_3gpuE4ELNS1_3repE0EEENS1_30default_config_static_selectorELNS0_4arch9wavefront6targetE1EEEvT1_
	.globl	_ZN7rocprim17ROCPRIM_400000_NS6detail17trampoline_kernelINS0_14default_configENS1_29reduce_by_key_config_selectorIdlN6thrust23THRUST_200600_302600_NS4plusIlEEEEZZNS1_33reduce_by_key_impl_wrapped_configILNS1_25lookback_scan_determinismE0ES3_S9_PdNS6_17constant_iteratorIiNS6_11use_defaultESE_EENS6_10device_ptrIdEENSG_IlEEPmS8_NS6_8equal_toIdEEEE10hipError_tPvRmT2_T3_mT4_T5_T6_T7_T8_P12ihipStream_tbENKUlT_T0_E_clISt17integral_constantIbLb1EES13_EEDaSY_SZ_EUlSY_E_NS1_11comp_targetILNS1_3genE10ELNS1_11target_archE1200ELNS1_3gpuE4ELNS1_3repE0EEENS1_30default_config_static_selectorELNS0_4arch9wavefront6targetE1EEEvT1_
	.p2align	8
	.type	_ZN7rocprim17ROCPRIM_400000_NS6detail17trampoline_kernelINS0_14default_configENS1_29reduce_by_key_config_selectorIdlN6thrust23THRUST_200600_302600_NS4plusIlEEEEZZNS1_33reduce_by_key_impl_wrapped_configILNS1_25lookback_scan_determinismE0ES3_S9_PdNS6_17constant_iteratorIiNS6_11use_defaultESE_EENS6_10device_ptrIdEENSG_IlEEPmS8_NS6_8equal_toIdEEEE10hipError_tPvRmT2_T3_mT4_T5_T6_T7_T8_P12ihipStream_tbENKUlT_T0_E_clISt17integral_constantIbLb1EES13_EEDaSY_SZ_EUlSY_E_NS1_11comp_targetILNS1_3genE10ELNS1_11target_archE1200ELNS1_3gpuE4ELNS1_3repE0EEENS1_30default_config_static_selectorELNS0_4arch9wavefront6targetE1EEEvT1_,@function
_ZN7rocprim17ROCPRIM_400000_NS6detail17trampoline_kernelINS0_14default_configENS1_29reduce_by_key_config_selectorIdlN6thrust23THRUST_200600_302600_NS4plusIlEEEEZZNS1_33reduce_by_key_impl_wrapped_configILNS1_25lookback_scan_determinismE0ES3_S9_PdNS6_17constant_iteratorIiNS6_11use_defaultESE_EENS6_10device_ptrIdEENSG_IlEEPmS8_NS6_8equal_toIdEEEE10hipError_tPvRmT2_T3_mT4_T5_T6_T7_T8_P12ihipStream_tbENKUlT_T0_E_clISt17integral_constantIbLb1EES13_EEDaSY_SZ_EUlSY_E_NS1_11comp_targetILNS1_3genE10ELNS1_11target_archE1200ELNS1_3gpuE4ELNS1_3repE0EEENS1_30default_config_static_selectorELNS0_4arch9wavefront6targetE1EEEvT1_: ; @_ZN7rocprim17ROCPRIM_400000_NS6detail17trampoline_kernelINS0_14default_configENS1_29reduce_by_key_config_selectorIdlN6thrust23THRUST_200600_302600_NS4plusIlEEEEZZNS1_33reduce_by_key_impl_wrapped_configILNS1_25lookback_scan_determinismE0ES3_S9_PdNS6_17constant_iteratorIiNS6_11use_defaultESE_EENS6_10device_ptrIdEENSG_IlEEPmS8_NS6_8equal_toIdEEEE10hipError_tPvRmT2_T3_mT4_T5_T6_T7_T8_P12ihipStream_tbENKUlT_T0_E_clISt17integral_constantIbLb1EES13_EEDaSY_SZ_EUlSY_E_NS1_11comp_targetILNS1_3genE10ELNS1_11target_archE1200ELNS1_3gpuE4ELNS1_3repE0EEENS1_30default_config_static_selectorELNS0_4arch9wavefront6targetE1EEEvT1_
; %bb.0:
	.section	.rodata,"a",@progbits
	.p2align	6, 0x0
	.amdhsa_kernel _ZN7rocprim17ROCPRIM_400000_NS6detail17trampoline_kernelINS0_14default_configENS1_29reduce_by_key_config_selectorIdlN6thrust23THRUST_200600_302600_NS4plusIlEEEEZZNS1_33reduce_by_key_impl_wrapped_configILNS1_25lookback_scan_determinismE0ES3_S9_PdNS6_17constant_iteratorIiNS6_11use_defaultESE_EENS6_10device_ptrIdEENSG_IlEEPmS8_NS6_8equal_toIdEEEE10hipError_tPvRmT2_T3_mT4_T5_T6_T7_T8_P12ihipStream_tbENKUlT_T0_E_clISt17integral_constantIbLb1EES13_EEDaSY_SZ_EUlSY_E_NS1_11comp_targetILNS1_3genE10ELNS1_11target_archE1200ELNS1_3gpuE4ELNS1_3repE0EEENS1_30default_config_static_selectorELNS0_4arch9wavefront6targetE1EEEvT1_
		.amdhsa_group_segment_fixed_size 0
		.amdhsa_private_segment_fixed_size 0
		.amdhsa_kernarg_size 144
		.amdhsa_user_sgpr_count 6
		.amdhsa_user_sgpr_private_segment_buffer 1
		.amdhsa_user_sgpr_dispatch_ptr 0
		.amdhsa_user_sgpr_queue_ptr 0
		.amdhsa_user_sgpr_kernarg_segment_ptr 1
		.amdhsa_user_sgpr_dispatch_id 0
		.amdhsa_user_sgpr_flat_scratch_init 0
		.amdhsa_user_sgpr_private_segment_size 0
		.amdhsa_uses_dynamic_stack 0
		.amdhsa_system_sgpr_private_segment_wavefront_offset 0
		.amdhsa_system_sgpr_workgroup_id_x 1
		.amdhsa_system_sgpr_workgroup_id_y 0
		.amdhsa_system_sgpr_workgroup_id_z 0
		.amdhsa_system_sgpr_workgroup_info 0
		.amdhsa_system_vgpr_workitem_id 0
		.amdhsa_next_free_vgpr 1
		.amdhsa_next_free_sgpr 0
		.amdhsa_reserve_vcc 0
		.amdhsa_reserve_flat_scratch 0
		.amdhsa_float_round_mode_32 0
		.amdhsa_float_round_mode_16_64 0
		.amdhsa_float_denorm_mode_32 3
		.amdhsa_float_denorm_mode_16_64 3
		.amdhsa_dx10_clamp 1
		.amdhsa_ieee_mode 1
		.amdhsa_fp16_overflow 0
		.amdhsa_exception_fp_ieee_invalid_op 0
		.amdhsa_exception_fp_denorm_src 0
		.amdhsa_exception_fp_ieee_div_zero 0
		.amdhsa_exception_fp_ieee_overflow 0
		.amdhsa_exception_fp_ieee_underflow 0
		.amdhsa_exception_fp_ieee_inexact 0
		.amdhsa_exception_int_div_zero 0
	.end_amdhsa_kernel
	.section	.text._ZN7rocprim17ROCPRIM_400000_NS6detail17trampoline_kernelINS0_14default_configENS1_29reduce_by_key_config_selectorIdlN6thrust23THRUST_200600_302600_NS4plusIlEEEEZZNS1_33reduce_by_key_impl_wrapped_configILNS1_25lookback_scan_determinismE0ES3_S9_PdNS6_17constant_iteratorIiNS6_11use_defaultESE_EENS6_10device_ptrIdEENSG_IlEEPmS8_NS6_8equal_toIdEEEE10hipError_tPvRmT2_T3_mT4_T5_T6_T7_T8_P12ihipStream_tbENKUlT_T0_E_clISt17integral_constantIbLb1EES13_EEDaSY_SZ_EUlSY_E_NS1_11comp_targetILNS1_3genE10ELNS1_11target_archE1200ELNS1_3gpuE4ELNS1_3repE0EEENS1_30default_config_static_selectorELNS0_4arch9wavefront6targetE1EEEvT1_,"axG",@progbits,_ZN7rocprim17ROCPRIM_400000_NS6detail17trampoline_kernelINS0_14default_configENS1_29reduce_by_key_config_selectorIdlN6thrust23THRUST_200600_302600_NS4plusIlEEEEZZNS1_33reduce_by_key_impl_wrapped_configILNS1_25lookback_scan_determinismE0ES3_S9_PdNS6_17constant_iteratorIiNS6_11use_defaultESE_EENS6_10device_ptrIdEENSG_IlEEPmS8_NS6_8equal_toIdEEEE10hipError_tPvRmT2_T3_mT4_T5_T6_T7_T8_P12ihipStream_tbENKUlT_T0_E_clISt17integral_constantIbLb1EES13_EEDaSY_SZ_EUlSY_E_NS1_11comp_targetILNS1_3genE10ELNS1_11target_archE1200ELNS1_3gpuE4ELNS1_3repE0EEENS1_30default_config_static_selectorELNS0_4arch9wavefront6targetE1EEEvT1_,comdat
.Lfunc_end1703:
	.size	_ZN7rocprim17ROCPRIM_400000_NS6detail17trampoline_kernelINS0_14default_configENS1_29reduce_by_key_config_selectorIdlN6thrust23THRUST_200600_302600_NS4plusIlEEEEZZNS1_33reduce_by_key_impl_wrapped_configILNS1_25lookback_scan_determinismE0ES3_S9_PdNS6_17constant_iteratorIiNS6_11use_defaultESE_EENS6_10device_ptrIdEENSG_IlEEPmS8_NS6_8equal_toIdEEEE10hipError_tPvRmT2_T3_mT4_T5_T6_T7_T8_P12ihipStream_tbENKUlT_T0_E_clISt17integral_constantIbLb1EES13_EEDaSY_SZ_EUlSY_E_NS1_11comp_targetILNS1_3genE10ELNS1_11target_archE1200ELNS1_3gpuE4ELNS1_3repE0EEENS1_30default_config_static_selectorELNS0_4arch9wavefront6targetE1EEEvT1_, .Lfunc_end1703-_ZN7rocprim17ROCPRIM_400000_NS6detail17trampoline_kernelINS0_14default_configENS1_29reduce_by_key_config_selectorIdlN6thrust23THRUST_200600_302600_NS4plusIlEEEEZZNS1_33reduce_by_key_impl_wrapped_configILNS1_25lookback_scan_determinismE0ES3_S9_PdNS6_17constant_iteratorIiNS6_11use_defaultESE_EENS6_10device_ptrIdEENSG_IlEEPmS8_NS6_8equal_toIdEEEE10hipError_tPvRmT2_T3_mT4_T5_T6_T7_T8_P12ihipStream_tbENKUlT_T0_E_clISt17integral_constantIbLb1EES13_EEDaSY_SZ_EUlSY_E_NS1_11comp_targetILNS1_3genE10ELNS1_11target_archE1200ELNS1_3gpuE4ELNS1_3repE0EEENS1_30default_config_static_selectorELNS0_4arch9wavefront6targetE1EEEvT1_
                                        ; -- End function
	.set _ZN7rocprim17ROCPRIM_400000_NS6detail17trampoline_kernelINS0_14default_configENS1_29reduce_by_key_config_selectorIdlN6thrust23THRUST_200600_302600_NS4plusIlEEEEZZNS1_33reduce_by_key_impl_wrapped_configILNS1_25lookback_scan_determinismE0ES3_S9_PdNS6_17constant_iteratorIiNS6_11use_defaultESE_EENS6_10device_ptrIdEENSG_IlEEPmS8_NS6_8equal_toIdEEEE10hipError_tPvRmT2_T3_mT4_T5_T6_T7_T8_P12ihipStream_tbENKUlT_T0_E_clISt17integral_constantIbLb1EES13_EEDaSY_SZ_EUlSY_E_NS1_11comp_targetILNS1_3genE10ELNS1_11target_archE1200ELNS1_3gpuE4ELNS1_3repE0EEENS1_30default_config_static_selectorELNS0_4arch9wavefront6targetE1EEEvT1_.num_vgpr, 0
	.set _ZN7rocprim17ROCPRIM_400000_NS6detail17trampoline_kernelINS0_14default_configENS1_29reduce_by_key_config_selectorIdlN6thrust23THRUST_200600_302600_NS4plusIlEEEEZZNS1_33reduce_by_key_impl_wrapped_configILNS1_25lookback_scan_determinismE0ES3_S9_PdNS6_17constant_iteratorIiNS6_11use_defaultESE_EENS6_10device_ptrIdEENSG_IlEEPmS8_NS6_8equal_toIdEEEE10hipError_tPvRmT2_T3_mT4_T5_T6_T7_T8_P12ihipStream_tbENKUlT_T0_E_clISt17integral_constantIbLb1EES13_EEDaSY_SZ_EUlSY_E_NS1_11comp_targetILNS1_3genE10ELNS1_11target_archE1200ELNS1_3gpuE4ELNS1_3repE0EEENS1_30default_config_static_selectorELNS0_4arch9wavefront6targetE1EEEvT1_.num_agpr, 0
	.set _ZN7rocprim17ROCPRIM_400000_NS6detail17trampoline_kernelINS0_14default_configENS1_29reduce_by_key_config_selectorIdlN6thrust23THRUST_200600_302600_NS4plusIlEEEEZZNS1_33reduce_by_key_impl_wrapped_configILNS1_25lookback_scan_determinismE0ES3_S9_PdNS6_17constant_iteratorIiNS6_11use_defaultESE_EENS6_10device_ptrIdEENSG_IlEEPmS8_NS6_8equal_toIdEEEE10hipError_tPvRmT2_T3_mT4_T5_T6_T7_T8_P12ihipStream_tbENKUlT_T0_E_clISt17integral_constantIbLb1EES13_EEDaSY_SZ_EUlSY_E_NS1_11comp_targetILNS1_3genE10ELNS1_11target_archE1200ELNS1_3gpuE4ELNS1_3repE0EEENS1_30default_config_static_selectorELNS0_4arch9wavefront6targetE1EEEvT1_.numbered_sgpr, 0
	.set _ZN7rocprim17ROCPRIM_400000_NS6detail17trampoline_kernelINS0_14default_configENS1_29reduce_by_key_config_selectorIdlN6thrust23THRUST_200600_302600_NS4plusIlEEEEZZNS1_33reduce_by_key_impl_wrapped_configILNS1_25lookback_scan_determinismE0ES3_S9_PdNS6_17constant_iteratorIiNS6_11use_defaultESE_EENS6_10device_ptrIdEENSG_IlEEPmS8_NS6_8equal_toIdEEEE10hipError_tPvRmT2_T3_mT4_T5_T6_T7_T8_P12ihipStream_tbENKUlT_T0_E_clISt17integral_constantIbLb1EES13_EEDaSY_SZ_EUlSY_E_NS1_11comp_targetILNS1_3genE10ELNS1_11target_archE1200ELNS1_3gpuE4ELNS1_3repE0EEENS1_30default_config_static_selectorELNS0_4arch9wavefront6targetE1EEEvT1_.num_named_barrier, 0
	.set _ZN7rocprim17ROCPRIM_400000_NS6detail17trampoline_kernelINS0_14default_configENS1_29reduce_by_key_config_selectorIdlN6thrust23THRUST_200600_302600_NS4plusIlEEEEZZNS1_33reduce_by_key_impl_wrapped_configILNS1_25lookback_scan_determinismE0ES3_S9_PdNS6_17constant_iteratorIiNS6_11use_defaultESE_EENS6_10device_ptrIdEENSG_IlEEPmS8_NS6_8equal_toIdEEEE10hipError_tPvRmT2_T3_mT4_T5_T6_T7_T8_P12ihipStream_tbENKUlT_T0_E_clISt17integral_constantIbLb1EES13_EEDaSY_SZ_EUlSY_E_NS1_11comp_targetILNS1_3genE10ELNS1_11target_archE1200ELNS1_3gpuE4ELNS1_3repE0EEENS1_30default_config_static_selectorELNS0_4arch9wavefront6targetE1EEEvT1_.private_seg_size, 0
	.set _ZN7rocprim17ROCPRIM_400000_NS6detail17trampoline_kernelINS0_14default_configENS1_29reduce_by_key_config_selectorIdlN6thrust23THRUST_200600_302600_NS4plusIlEEEEZZNS1_33reduce_by_key_impl_wrapped_configILNS1_25lookback_scan_determinismE0ES3_S9_PdNS6_17constant_iteratorIiNS6_11use_defaultESE_EENS6_10device_ptrIdEENSG_IlEEPmS8_NS6_8equal_toIdEEEE10hipError_tPvRmT2_T3_mT4_T5_T6_T7_T8_P12ihipStream_tbENKUlT_T0_E_clISt17integral_constantIbLb1EES13_EEDaSY_SZ_EUlSY_E_NS1_11comp_targetILNS1_3genE10ELNS1_11target_archE1200ELNS1_3gpuE4ELNS1_3repE0EEENS1_30default_config_static_selectorELNS0_4arch9wavefront6targetE1EEEvT1_.uses_vcc, 0
	.set _ZN7rocprim17ROCPRIM_400000_NS6detail17trampoline_kernelINS0_14default_configENS1_29reduce_by_key_config_selectorIdlN6thrust23THRUST_200600_302600_NS4plusIlEEEEZZNS1_33reduce_by_key_impl_wrapped_configILNS1_25lookback_scan_determinismE0ES3_S9_PdNS6_17constant_iteratorIiNS6_11use_defaultESE_EENS6_10device_ptrIdEENSG_IlEEPmS8_NS6_8equal_toIdEEEE10hipError_tPvRmT2_T3_mT4_T5_T6_T7_T8_P12ihipStream_tbENKUlT_T0_E_clISt17integral_constantIbLb1EES13_EEDaSY_SZ_EUlSY_E_NS1_11comp_targetILNS1_3genE10ELNS1_11target_archE1200ELNS1_3gpuE4ELNS1_3repE0EEENS1_30default_config_static_selectorELNS0_4arch9wavefront6targetE1EEEvT1_.uses_flat_scratch, 0
	.set _ZN7rocprim17ROCPRIM_400000_NS6detail17trampoline_kernelINS0_14default_configENS1_29reduce_by_key_config_selectorIdlN6thrust23THRUST_200600_302600_NS4plusIlEEEEZZNS1_33reduce_by_key_impl_wrapped_configILNS1_25lookback_scan_determinismE0ES3_S9_PdNS6_17constant_iteratorIiNS6_11use_defaultESE_EENS6_10device_ptrIdEENSG_IlEEPmS8_NS6_8equal_toIdEEEE10hipError_tPvRmT2_T3_mT4_T5_T6_T7_T8_P12ihipStream_tbENKUlT_T0_E_clISt17integral_constantIbLb1EES13_EEDaSY_SZ_EUlSY_E_NS1_11comp_targetILNS1_3genE10ELNS1_11target_archE1200ELNS1_3gpuE4ELNS1_3repE0EEENS1_30default_config_static_selectorELNS0_4arch9wavefront6targetE1EEEvT1_.has_dyn_sized_stack, 0
	.set _ZN7rocprim17ROCPRIM_400000_NS6detail17trampoline_kernelINS0_14default_configENS1_29reduce_by_key_config_selectorIdlN6thrust23THRUST_200600_302600_NS4plusIlEEEEZZNS1_33reduce_by_key_impl_wrapped_configILNS1_25lookback_scan_determinismE0ES3_S9_PdNS6_17constant_iteratorIiNS6_11use_defaultESE_EENS6_10device_ptrIdEENSG_IlEEPmS8_NS6_8equal_toIdEEEE10hipError_tPvRmT2_T3_mT4_T5_T6_T7_T8_P12ihipStream_tbENKUlT_T0_E_clISt17integral_constantIbLb1EES13_EEDaSY_SZ_EUlSY_E_NS1_11comp_targetILNS1_3genE10ELNS1_11target_archE1200ELNS1_3gpuE4ELNS1_3repE0EEENS1_30default_config_static_selectorELNS0_4arch9wavefront6targetE1EEEvT1_.has_recursion, 0
	.set _ZN7rocprim17ROCPRIM_400000_NS6detail17trampoline_kernelINS0_14default_configENS1_29reduce_by_key_config_selectorIdlN6thrust23THRUST_200600_302600_NS4plusIlEEEEZZNS1_33reduce_by_key_impl_wrapped_configILNS1_25lookback_scan_determinismE0ES3_S9_PdNS6_17constant_iteratorIiNS6_11use_defaultESE_EENS6_10device_ptrIdEENSG_IlEEPmS8_NS6_8equal_toIdEEEE10hipError_tPvRmT2_T3_mT4_T5_T6_T7_T8_P12ihipStream_tbENKUlT_T0_E_clISt17integral_constantIbLb1EES13_EEDaSY_SZ_EUlSY_E_NS1_11comp_targetILNS1_3genE10ELNS1_11target_archE1200ELNS1_3gpuE4ELNS1_3repE0EEENS1_30default_config_static_selectorELNS0_4arch9wavefront6targetE1EEEvT1_.has_indirect_call, 0
	.section	.AMDGPU.csdata,"",@progbits
; Kernel info:
; codeLenInByte = 0
; TotalNumSgprs: 4
; NumVgprs: 0
; ScratchSize: 0
; MemoryBound: 0
; FloatMode: 240
; IeeeMode: 1
; LDSByteSize: 0 bytes/workgroup (compile time only)
; SGPRBlocks: 0
; VGPRBlocks: 0
; NumSGPRsForWavesPerEU: 4
; NumVGPRsForWavesPerEU: 1
; Occupancy: 10
; WaveLimiterHint : 0
; COMPUTE_PGM_RSRC2:SCRATCH_EN: 0
; COMPUTE_PGM_RSRC2:USER_SGPR: 6
; COMPUTE_PGM_RSRC2:TRAP_HANDLER: 0
; COMPUTE_PGM_RSRC2:TGID_X_EN: 1
; COMPUTE_PGM_RSRC2:TGID_Y_EN: 0
; COMPUTE_PGM_RSRC2:TGID_Z_EN: 0
; COMPUTE_PGM_RSRC2:TIDIG_COMP_CNT: 0
	.section	.text._ZN7rocprim17ROCPRIM_400000_NS6detail17trampoline_kernelINS0_14default_configENS1_29reduce_by_key_config_selectorIdlN6thrust23THRUST_200600_302600_NS4plusIlEEEEZZNS1_33reduce_by_key_impl_wrapped_configILNS1_25lookback_scan_determinismE0ES3_S9_PdNS6_17constant_iteratorIiNS6_11use_defaultESE_EENS6_10device_ptrIdEENSG_IlEEPmS8_NS6_8equal_toIdEEEE10hipError_tPvRmT2_T3_mT4_T5_T6_T7_T8_P12ihipStream_tbENKUlT_T0_E_clISt17integral_constantIbLb1EES13_EEDaSY_SZ_EUlSY_E_NS1_11comp_targetILNS1_3genE9ELNS1_11target_archE1100ELNS1_3gpuE3ELNS1_3repE0EEENS1_30default_config_static_selectorELNS0_4arch9wavefront6targetE1EEEvT1_,"axG",@progbits,_ZN7rocprim17ROCPRIM_400000_NS6detail17trampoline_kernelINS0_14default_configENS1_29reduce_by_key_config_selectorIdlN6thrust23THRUST_200600_302600_NS4plusIlEEEEZZNS1_33reduce_by_key_impl_wrapped_configILNS1_25lookback_scan_determinismE0ES3_S9_PdNS6_17constant_iteratorIiNS6_11use_defaultESE_EENS6_10device_ptrIdEENSG_IlEEPmS8_NS6_8equal_toIdEEEE10hipError_tPvRmT2_T3_mT4_T5_T6_T7_T8_P12ihipStream_tbENKUlT_T0_E_clISt17integral_constantIbLb1EES13_EEDaSY_SZ_EUlSY_E_NS1_11comp_targetILNS1_3genE9ELNS1_11target_archE1100ELNS1_3gpuE3ELNS1_3repE0EEENS1_30default_config_static_selectorELNS0_4arch9wavefront6targetE1EEEvT1_,comdat
	.protected	_ZN7rocprim17ROCPRIM_400000_NS6detail17trampoline_kernelINS0_14default_configENS1_29reduce_by_key_config_selectorIdlN6thrust23THRUST_200600_302600_NS4plusIlEEEEZZNS1_33reduce_by_key_impl_wrapped_configILNS1_25lookback_scan_determinismE0ES3_S9_PdNS6_17constant_iteratorIiNS6_11use_defaultESE_EENS6_10device_ptrIdEENSG_IlEEPmS8_NS6_8equal_toIdEEEE10hipError_tPvRmT2_T3_mT4_T5_T6_T7_T8_P12ihipStream_tbENKUlT_T0_E_clISt17integral_constantIbLb1EES13_EEDaSY_SZ_EUlSY_E_NS1_11comp_targetILNS1_3genE9ELNS1_11target_archE1100ELNS1_3gpuE3ELNS1_3repE0EEENS1_30default_config_static_selectorELNS0_4arch9wavefront6targetE1EEEvT1_ ; -- Begin function _ZN7rocprim17ROCPRIM_400000_NS6detail17trampoline_kernelINS0_14default_configENS1_29reduce_by_key_config_selectorIdlN6thrust23THRUST_200600_302600_NS4plusIlEEEEZZNS1_33reduce_by_key_impl_wrapped_configILNS1_25lookback_scan_determinismE0ES3_S9_PdNS6_17constant_iteratorIiNS6_11use_defaultESE_EENS6_10device_ptrIdEENSG_IlEEPmS8_NS6_8equal_toIdEEEE10hipError_tPvRmT2_T3_mT4_T5_T6_T7_T8_P12ihipStream_tbENKUlT_T0_E_clISt17integral_constantIbLb1EES13_EEDaSY_SZ_EUlSY_E_NS1_11comp_targetILNS1_3genE9ELNS1_11target_archE1100ELNS1_3gpuE3ELNS1_3repE0EEENS1_30default_config_static_selectorELNS0_4arch9wavefront6targetE1EEEvT1_
	.globl	_ZN7rocprim17ROCPRIM_400000_NS6detail17trampoline_kernelINS0_14default_configENS1_29reduce_by_key_config_selectorIdlN6thrust23THRUST_200600_302600_NS4plusIlEEEEZZNS1_33reduce_by_key_impl_wrapped_configILNS1_25lookback_scan_determinismE0ES3_S9_PdNS6_17constant_iteratorIiNS6_11use_defaultESE_EENS6_10device_ptrIdEENSG_IlEEPmS8_NS6_8equal_toIdEEEE10hipError_tPvRmT2_T3_mT4_T5_T6_T7_T8_P12ihipStream_tbENKUlT_T0_E_clISt17integral_constantIbLb1EES13_EEDaSY_SZ_EUlSY_E_NS1_11comp_targetILNS1_3genE9ELNS1_11target_archE1100ELNS1_3gpuE3ELNS1_3repE0EEENS1_30default_config_static_selectorELNS0_4arch9wavefront6targetE1EEEvT1_
	.p2align	8
	.type	_ZN7rocprim17ROCPRIM_400000_NS6detail17trampoline_kernelINS0_14default_configENS1_29reduce_by_key_config_selectorIdlN6thrust23THRUST_200600_302600_NS4plusIlEEEEZZNS1_33reduce_by_key_impl_wrapped_configILNS1_25lookback_scan_determinismE0ES3_S9_PdNS6_17constant_iteratorIiNS6_11use_defaultESE_EENS6_10device_ptrIdEENSG_IlEEPmS8_NS6_8equal_toIdEEEE10hipError_tPvRmT2_T3_mT4_T5_T6_T7_T8_P12ihipStream_tbENKUlT_T0_E_clISt17integral_constantIbLb1EES13_EEDaSY_SZ_EUlSY_E_NS1_11comp_targetILNS1_3genE9ELNS1_11target_archE1100ELNS1_3gpuE3ELNS1_3repE0EEENS1_30default_config_static_selectorELNS0_4arch9wavefront6targetE1EEEvT1_,@function
_ZN7rocprim17ROCPRIM_400000_NS6detail17trampoline_kernelINS0_14default_configENS1_29reduce_by_key_config_selectorIdlN6thrust23THRUST_200600_302600_NS4plusIlEEEEZZNS1_33reduce_by_key_impl_wrapped_configILNS1_25lookback_scan_determinismE0ES3_S9_PdNS6_17constant_iteratorIiNS6_11use_defaultESE_EENS6_10device_ptrIdEENSG_IlEEPmS8_NS6_8equal_toIdEEEE10hipError_tPvRmT2_T3_mT4_T5_T6_T7_T8_P12ihipStream_tbENKUlT_T0_E_clISt17integral_constantIbLb1EES13_EEDaSY_SZ_EUlSY_E_NS1_11comp_targetILNS1_3genE9ELNS1_11target_archE1100ELNS1_3gpuE3ELNS1_3repE0EEENS1_30default_config_static_selectorELNS0_4arch9wavefront6targetE1EEEvT1_: ; @_ZN7rocprim17ROCPRIM_400000_NS6detail17trampoline_kernelINS0_14default_configENS1_29reduce_by_key_config_selectorIdlN6thrust23THRUST_200600_302600_NS4plusIlEEEEZZNS1_33reduce_by_key_impl_wrapped_configILNS1_25lookback_scan_determinismE0ES3_S9_PdNS6_17constant_iteratorIiNS6_11use_defaultESE_EENS6_10device_ptrIdEENSG_IlEEPmS8_NS6_8equal_toIdEEEE10hipError_tPvRmT2_T3_mT4_T5_T6_T7_T8_P12ihipStream_tbENKUlT_T0_E_clISt17integral_constantIbLb1EES13_EEDaSY_SZ_EUlSY_E_NS1_11comp_targetILNS1_3genE9ELNS1_11target_archE1100ELNS1_3gpuE3ELNS1_3repE0EEENS1_30default_config_static_selectorELNS0_4arch9wavefront6targetE1EEEvT1_
; %bb.0:
	.section	.rodata,"a",@progbits
	.p2align	6, 0x0
	.amdhsa_kernel _ZN7rocprim17ROCPRIM_400000_NS6detail17trampoline_kernelINS0_14default_configENS1_29reduce_by_key_config_selectorIdlN6thrust23THRUST_200600_302600_NS4plusIlEEEEZZNS1_33reduce_by_key_impl_wrapped_configILNS1_25lookback_scan_determinismE0ES3_S9_PdNS6_17constant_iteratorIiNS6_11use_defaultESE_EENS6_10device_ptrIdEENSG_IlEEPmS8_NS6_8equal_toIdEEEE10hipError_tPvRmT2_T3_mT4_T5_T6_T7_T8_P12ihipStream_tbENKUlT_T0_E_clISt17integral_constantIbLb1EES13_EEDaSY_SZ_EUlSY_E_NS1_11comp_targetILNS1_3genE9ELNS1_11target_archE1100ELNS1_3gpuE3ELNS1_3repE0EEENS1_30default_config_static_selectorELNS0_4arch9wavefront6targetE1EEEvT1_
		.amdhsa_group_segment_fixed_size 0
		.amdhsa_private_segment_fixed_size 0
		.amdhsa_kernarg_size 144
		.amdhsa_user_sgpr_count 6
		.amdhsa_user_sgpr_private_segment_buffer 1
		.amdhsa_user_sgpr_dispatch_ptr 0
		.amdhsa_user_sgpr_queue_ptr 0
		.amdhsa_user_sgpr_kernarg_segment_ptr 1
		.amdhsa_user_sgpr_dispatch_id 0
		.amdhsa_user_sgpr_flat_scratch_init 0
		.amdhsa_user_sgpr_private_segment_size 0
		.amdhsa_uses_dynamic_stack 0
		.amdhsa_system_sgpr_private_segment_wavefront_offset 0
		.amdhsa_system_sgpr_workgroup_id_x 1
		.amdhsa_system_sgpr_workgroup_id_y 0
		.amdhsa_system_sgpr_workgroup_id_z 0
		.amdhsa_system_sgpr_workgroup_info 0
		.amdhsa_system_vgpr_workitem_id 0
		.amdhsa_next_free_vgpr 1
		.amdhsa_next_free_sgpr 0
		.amdhsa_reserve_vcc 0
		.amdhsa_reserve_flat_scratch 0
		.amdhsa_float_round_mode_32 0
		.amdhsa_float_round_mode_16_64 0
		.amdhsa_float_denorm_mode_32 3
		.amdhsa_float_denorm_mode_16_64 3
		.amdhsa_dx10_clamp 1
		.amdhsa_ieee_mode 1
		.amdhsa_fp16_overflow 0
		.amdhsa_exception_fp_ieee_invalid_op 0
		.amdhsa_exception_fp_denorm_src 0
		.amdhsa_exception_fp_ieee_div_zero 0
		.amdhsa_exception_fp_ieee_overflow 0
		.amdhsa_exception_fp_ieee_underflow 0
		.amdhsa_exception_fp_ieee_inexact 0
		.amdhsa_exception_int_div_zero 0
	.end_amdhsa_kernel
	.section	.text._ZN7rocprim17ROCPRIM_400000_NS6detail17trampoline_kernelINS0_14default_configENS1_29reduce_by_key_config_selectorIdlN6thrust23THRUST_200600_302600_NS4plusIlEEEEZZNS1_33reduce_by_key_impl_wrapped_configILNS1_25lookback_scan_determinismE0ES3_S9_PdNS6_17constant_iteratorIiNS6_11use_defaultESE_EENS6_10device_ptrIdEENSG_IlEEPmS8_NS6_8equal_toIdEEEE10hipError_tPvRmT2_T3_mT4_T5_T6_T7_T8_P12ihipStream_tbENKUlT_T0_E_clISt17integral_constantIbLb1EES13_EEDaSY_SZ_EUlSY_E_NS1_11comp_targetILNS1_3genE9ELNS1_11target_archE1100ELNS1_3gpuE3ELNS1_3repE0EEENS1_30default_config_static_selectorELNS0_4arch9wavefront6targetE1EEEvT1_,"axG",@progbits,_ZN7rocprim17ROCPRIM_400000_NS6detail17trampoline_kernelINS0_14default_configENS1_29reduce_by_key_config_selectorIdlN6thrust23THRUST_200600_302600_NS4plusIlEEEEZZNS1_33reduce_by_key_impl_wrapped_configILNS1_25lookback_scan_determinismE0ES3_S9_PdNS6_17constant_iteratorIiNS6_11use_defaultESE_EENS6_10device_ptrIdEENSG_IlEEPmS8_NS6_8equal_toIdEEEE10hipError_tPvRmT2_T3_mT4_T5_T6_T7_T8_P12ihipStream_tbENKUlT_T0_E_clISt17integral_constantIbLb1EES13_EEDaSY_SZ_EUlSY_E_NS1_11comp_targetILNS1_3genE9ELNS1_11target_archE1100ELNS1_3gpuE3ELNS1_3repE0EEENS1_30default_config_static_selectorELNS0_4arch9wavefront6targetE1EEEvT1_,comdat
.Lfunc_end1704:
	.size	_ZN7rocprim17ROCPRIM_400000_NS6detail17trampoline_kernelINS0_14default_configENS1_29reduce_by_key_config_selectorIdlN6thrust23THRUST_200600_302600_NS4plusIlEEEEZZNS1_33reduce_by_key_impl_wrapped_configILNS1_25lookback_scan_determinismE0ES3_S9_PdNS6_17constant_iteratorIiNS6_11use_defaultESE_EENS6_10device_ptrIdEENSG_IlEEPmS8_NS6_8equal_toIdEEEE10hipError_tPvRmT2_T3_mT4_T5_T6_T7_T8_P12ihipStream_tbENKUlT_T0_E_clISt17integral_constantIbLb1EES13_EEDaSY_SZ_EUlSY_E_NS1_11comp_targetILNS1_3genE9ELNS1_11target_archE1100ELNS1_3gpuE3ELNS1_3repE0EEENS1_30default_config_static_selectorELNS0_4arch9wavefront6targetE1EEEvT1_, .Lfunc_end1704-_ZN7rocprim17ROCPRIM_400000_NS6detail17trampoline_kernelINS0_14default_configENS1_29reduce_by_key_config_selectorIdlN6thrust23THRUST_200600_302600_NS4plusIlEEEEZZNS1_33reduce_by_key_impl_wrapped_configILNS1_25lookback_scan_determinismE0ES3_S9_PdNS6_17constant_iteratorIiNS6_11use_defaultESE_EENS6_10device_ptrIdEENSG_IlEEPmS8_NS6_8equal_toIdEEEE10hipError_tPvRmT2_T3_mT4_T5_T6_T7_T8_P12ihipStream_tbENKUlT_T0_E_clISt17integral_constantIbLb1EES13_EEDaSY_SZ_EUlSY_E_NS1_11comp_targetILNS1_3genE9ELNS1_11target_archE1100ELNS1_3gpuE3ELNS1_3repE0EEENS1_30default_config_static_selectorELNS0_4arch9wavefront6targetE1EEEvT1_
                                        ; -- End function
	.set _ZN7rocprim17ROCPRIM_400000_NS6detail17trampoline_kernelINS0_14default_configENS1_29reduce_by_key_config_selectorIdlN6thrust23THRUST_200600_302600_NS4plusIlEEEEZZNS1_33reduce_by_key_impl_wrapped_configILNS1_25lookback_scan_determinismE0ES3_S9_PdNS6_17constant_iteratorIiNS6_11use_defaultESE_EENS6_10device_ptrIdEENSG_IlEEPmS8_NS6_8equal_toIdEEEE10hipError_tPvRmT2_T3_mT4_T5_T6_T7_T8_P12ihipStream_tbENKUlT_T0_E_clISt17integral_constantIbLb1EES13_EEDaSY_SZ_EUlSY_E_NS1_11comp_targetILNS1_3genE9ELNS1_11target_archE1100ELNS1_3gpuE3ELNS1_3repE0EEENS1_30default_config_static_selectorELNS0_4arch9wavefront6targetE1EEEvT1_.num_vgpr, 0
	.set _ZN7rocprim17ROCPRIM_400000_NS6detail17trampoline_kernelINS0_14default_configENS1_29reduce_by_key_config_selectorIdlN6thrust23THRUST_200600_302600_NS4plusIlEEEEZZNS1_33reduce_by_key_impl_wrapped_configILNS1_25lookback_scan_determinismE0ES3_S9_PdNS6_17constant_iteratorIiNS6_11use_defaultESE_EENS6_10device_ptrIdEENSG_IlEEPmS8_NS6_8equal_toIdEEEE10hipError_tPvRmT2_T3_mT4_T5_T6_T7_T8_P12ihipStream_tbENKUlT_T0_E_clISt17integral_constantIbLb1EES13_EEDaSY_SZ_EUlSY_E_NS1_11comp_targetILNS1_3genE9ELNS1_11target_archE1100ELNS1_3gpuE3ELNS1_3repE0EEENS1_30default_config_static_selectorELNS0_4arch9wavefront6targetE1EEEvT1_.num_agpr, 0
	.set _ZN7rocprim17ROCPRIM_400000_NS6detail17trampoline_kernelINS0_14default_configENS1_29reduce_by_key_config_selectorIdlN6thrust23THRUST_200600_302600_NS4plusIlEEEEZZNS1_33reduce_by_key_impl_wrapped_configILNS1_25lookback_scan_determinismE0ES3_S9_PdNS6_17constant_iteratorIiNS6_11use_defaultESE_EENS6_10device_ptrIdEENSG_IlEEPmS8_NS6_8equal_toIdEEEE10hipError_tPvRmT2_T3_mT4_T5_T6_T7_T8_P12ihipStream_tbENKUlT_T0_E_clISt17integral_constantIbLb1EES13_EEDaSY_SZ_EUlSY_E_NS1_11comp_targetILNS1_3genE9ELNS1_11target_archE1100ELNS1_3gpuE3ELNS1_3repE0EEENS1_30default_config_static_selectorELNS0_4arch9wavefront6targetE1EEEvT1_.numbered_sgpr, 0
	.set _ZN7rocprim17ROCPRIM_400000_NS6detail17trampoline_kernelINS0_14default_configENS1_29reduce_by_key_config_selectorIdlN6thrust23THRUST_200600_302600_NS4plusIlEEEEZZNS1_33reduce_by_key_impl_wrapped_configILNS1_25lookback_scan_determinismE0ES3_S9_PdNS6_17constant_iteratorIiNS6_11use_defaultESE_EENS6_10device_ptrIdEENSG_IlEEPmS8_NS6_8equal_toIdEEEE10hipError_tPvRmT2_T3_mT4_T5_T6_T7_T8_P12ihipStream_tbENKUlT_T0_E_clISt17integral_constantIbLb1EES13_EEDaSY_SZ_EUlSY_E_NS1_11comp_targetILNS1_3genE9ELNS1_11target_archE1100ELNS1_3gpuE3ELNS1_3repE0EEENS1_30default_config_static_selectorELNS0_4arch9wavefront6targetE1EEEvT1_.num_named_barrier, 0
	.set _ZN7rocprim17ROCPRIM_400000_NS6detail17trampoline_kernelINS0_14default_configENS1_29reduce_by_key_config_selectorIdlN6thrust23THRUST_200600_302600_NS4plusIlEEEEZZNS1_33reduce_by_key_impl_wrapped_configILNS1_25lookback_scan_determinismE0ES3_S9_PdNS6_17constant_iteratorIiNS6_11use_defaultESE_EENS6_10device_ptrIdEENSG_IlEEPmS8_NS6_8equal_toIdEEEE10hipError_tPvRmT2_T3_mT4_T5_T6_T7_T8_P12ihipStream_tbENKUlT_T0_E_clISt17integral_constantIbLb1EES13_EEDaSY_SZ_EUlSY_E_NS1_11comp_targetILNS1_3genE9ELNS1_11target_archE1100ELNS1_3gpuE3ELNS1_3repE0EEENS1_30default_config_static_selectorELNS0_4arch9wavefront6targetE1EEEvT1_.private_seg_size, 0
	.set _ZN7rocprim17ROCPRIM_400000_NS6detail17trampoline_kernelINS0_14default_configENS1_29reduce_by_key_config_selectorIdlN6thrust23THRUST_200600_302600_NS4plusIlEEEEZZNS1_33reduce_by_key_impl_wrapped_configILNS1_25lookback_scan_determinismE0ES3_S9_PdNS6_17constant_iteratorIiNS6_11use_defaultESE_EENS6_10device_ptrIdEENSG_IlEEPmS8_NS6_8equal_toIdEEEE10hipError_tPvRmT2_T3_mT4_T5_T6_T7_T8_P12ihipStream_tbENKUlT_T0_E_clISt17integral_constantIbLb1EES13_EEDaSY_SZ_EUlSY_E_NS1_11comp_targetILNS1_3genE9ELNS1_11target_archE1100ELNS1_3gpuE3ELNS1_3repE0EEENS1_30default_config_static_selectorELNS0_4arch9wavefront6targetE1EEEvT1_.uses_vcc, 0
	.set _ZN7rocprim17ROCPRIM_400000_NS6detail17trampoline_kernelINS0_14default_configENS1_29reduce_by_key_config_selectorIdlN6thrust23THRUST_200600_302600_NS4plusIlEEEEZZNS1_33reduce_by_key_impl_wrapped_configILNS1_25lookback_scan_determinismE0ES3_S9_PdNS6_17constant_iteratorIiNS6_11use_defaultESE_EENS6_10device_ptrIdEENSG_IlEEPmS8_NS6_8equal_toIdEEEE10hipError_tPvRmT2_T3_mT4_T5_T6_T7_T8_P12ihipStream_tbENKUlT_T0_E_clISt17integral_constantIbLb1EES13_EEDaSY_SZ_EUlSY_E_NS1_11comp_targetILNS1_3genE9ELNS1_11target_archE1100ELNS1_3gpuE3ELNS1_3repE0EEENS1_30default_config_static_selectorELNS0_4arch9wavefront6targetE1EEEvT1_.uses_flat_scratch, 0
	.set _ZN7rocprim17ROCPRIM_400000_NS6detail17trampoline_kernelINS0_14default_configENS1_29reduce_by_key_config_selectorIdlN6thrust23THRUST_200600_302600_NS4plusIlEEEEZZNS1_33reduce_by_key_impl_wrapped_configILNS1_25lookback_scan_determinismE0ES3_S9_PdNS6_17constant_iteratorIiNS6_11use_defaultESE_EENS6_10device_ptrIdEENSG_IlEEPmS8_NS6_8equal_toIdEEEE10hipError_tPvRmT2_T3_mT4_T5_T6_T7_T8_P12ihipStream_tbENKUlT_T0_E_clISt17integral_constantIbLb1EES13_EEDaSY_SZ_EUlSY_E_NS1_11comp_targetILNS1_3genE9ELNS1_11target_archE1100ELNS1_3gpuE3ELNS1_3repE0EEENS1_30default_config_static_selectorELNS0_4arch9wavefront6targetE1EEEvT1_.has_dyn_sized_stack, 0
	.set _ZN7rocprim17ROCPRIM_400000_NS6detail17trampoline_kernelINS0_14default_configENS1_29reduce_by_key_config_selectorIdlN6thrust23THRUST_200600_302600_NS4plusIlEEEEZZNS1_33reduce_by_key_impl_wrapped_configILNS1_25lookback_scan_determinismE0ES3_S9_PdNS6_17constant_iteratorIiNS6_11use_defaultESE_EENS6_10device_ptrIdEENSG_IlEEPmS8_NS6_8equal_toIdEEEE10hipError_tPvRmT2_T3_mT4_T5_T6_T7_T8_P12ihipStream_tbENKUlT_T0_E_clISt17integral_constantIbLb1EES13_EEDaSY_SZ_EUlSY_E_NS1_11comp_targetILNS1_3genE9ELNS1_11target_archE1100ELNS1_3gpuE3ELNS1_3repE0EEENS1_30default_config_static_selectorELNS0_4arch9wavefront6targetE1EEEvT1_.has_recursion, 0
	.set _ZN7rocprim17ROCPRIM_400000_NS6detail17trampoline_kernelINS0_14default_configENS1_29reduce_by_key_config_selectorIdlN6thrust23THRUST_200600_302600_NS4plusIlEEEEZZNS1_33reduce_by_key_impl_wrapped_configILNS1_25lookback_scan_determinismE0ES3_S9_PdNS6_17constant_iteratorIiNS6_11use_defaultESE_EENS6_10device_ptrIdEENSG_IlEEPmS8_NS6_8equal_toIdEEEE10hipError_tPvRmT2_T3_mT4_T5_T6_T7_T8_P12ihipStream_tbENKUlT_T0_E_clISt17integral_constantIbLb1EES13_EEDaSY_SZ_EUlSY_E_NS1_11comp_targetILNS1_3genE9ELNS1_11target_archE1100ELNS1_3gpuE3ELNS1_3repE0EEENS1_30default_config_static_selectorELNS0_4arch9wavefront6targetE1EEEvT1_.has_indirect_call, 0
	.section	.AMDGPU.csdata,"",@progbits
; Kernel info:
; codeLenInByte = 0
; TotalNumSgprs: 4
; NumVgprs: 0
; ScratchSize: 0
; MemoryBound: 0
; FloatMode: 240
; IeeeMode: 1
; LDSByteSize: 0 bytes/workgroup (compile time only)
; SGPRBlocks: 0
; VGPRBlocks: 0
; NumSGPRsForWavesPerEU: 4
; NumVGPRsForWavesPerEU: 1
; Occupancy: 10
; WaveLimiterHint : 0
; COMPUTE_PGM_RSRC2:SCRATCH_EN: 0
; COMPUTE_PGM_RSRC2:USER_SGPR: 6
; COMPUTE_PGM_RSRC2:TRAP_HANDLER: 0
; COMPUTE_PGM_RSRC2:TGID_X_EN: 1
; COMPUTE_PGM_RSRC2:TGID_Y_EN: 0
; COMPUTE_PGM_RSRC2:TGID_Z_EN: 0
; COMPUTE_PGM_RSRC2:TIDIG_COMP_CNT: 0
	.section	.text._ZN7rocprim17ROCPRIM_400000_NS6detail17trampoline_kernelINS0_14default_configENS1_29reduce_by_key_config_selectorIdlN6thrust23THRUST_200600_302600_NS4plusIlEEEEZZNS1_33reduce_by_key_impl_wrapped_configILNS1_25lookback_scan_determinismE0ES3_S9_PdNS6_17constant_iteratorIiNS6_11use_defaultESE_EENS6_10device_ptrIdEENSG_IlEEPmS8_NS6_8equal_toIdEEEE10hipError_tPvRmT2_T3_mT4_T5_T6_T7_T8_P12ihipStream_tbENKUlT_T0_E_clISt17integral_constantIbLb1EES13_EEDaSY_SZ_EUlSY_E_NS1_11comp_targetILNS1_3genE8ELNS1_11target_archE1030ELNS1_3gpuE2ELNS1_3repE0EEENS1_30default_config_static_selectorELNS0_4arch9wavefront6targetE1EEEvT1_,"axG",@progbits,_ZN7rocprim17ROCPRIM_400000_NS6detail17trampoline_kernelINS0_14default_configENS1_29reduce_by_key_config_selectorIdlN6thrust23THRUST_200600_302600_NS4plusIlEEEEZZNS1_33reduce_by_key_impl_wrapped_configILNS1_25lookback_scan_determinismE0ES3_S9_PdNS6_17constant_iteratorIiNS6_11use_defaultESE_EENS6_10device_ptrIdEENSG_IlEEPmS8_NS6_8equal_toIdEEEE10hipError_tPvRmT2_T3_mT4_T5_T6_T7_T8_P12ihipStream_tbENKUlT_T0_E_clISt17integral_constantIbLb1EES13_EEDaSY_SZ_EUlSY_E_NS1_11comp_targetILNS1_3genE8ELNS1_11target_archE1030ELNS1_3gpuE2ELNS1_3repE0EEENS1_30default_config_static_selectorELNS0_4arch9wavefront6targetE1EEEvT1_,comdat
	.protected	_ZN7rocprim17ROCPRIM_400000_NS6detail17trampoline_kernelINS0_14default_configENS1_29reduce_by_key_config_selectorIdlN6thrust23THRUST_200600_302600_NS4plusIlEEEEZZNS1_33reduce_by_key_impl_wrapped_configILNS1_25lookback_scan_determinismE0ES3_S9_PdNS6_17constant_iteratorIiNS6_11use_defaultESE_EENS6_10device_ptrIdEENSG_IlEEPmS8_NS6_8equal_toIdEEEE10hipError_tPvRmT2_T3_mT4_T5_T6_T7_T8_P12ihipStream_tbENKUlT_T0_E_clISt17integral_constantIbLb1EES13_EEDaSY_SZ_EUlSY_E_NS1_11comp_targetILNS1_3genE8ELNS1_11target_archE1030ELNS1_3gpuE2ELNS1_3repE0EEENS1_30default_config_static_selectorELNS0_4arch9wavefront6targetE1EEEvT1_ ; -- Begin function _ZN7rocprim17ROCPRIM_400000_NS6detail17trampoline_kernelINS0_14default_configENS1_29reduce_by_key_config_selectorIdlN6thrust23THRUST_200600_302600_NS4plusIlEEEEZZNS1_33reduce_by_key_impl_wrapped_configILNS1_25lookback_scan_determinismE0ES3_S9_PdNS6_17constant_iteratorIiNS6_11use_defaultESE_EENS6_10device_ptrIdEENSG_IlEEPmS8_NS6_8equal_toIdEEEE10hipError_tPvRmT2_T3_mT4_T5_T6_T7_T8_P12ihipStream_tbENKUlT_T0_E_clISt17integral_constantIbLb1EES13_EEDaSY_SZ_EUlSY_E_NS1_11comp_targetILNS1_3genE8ELNS1_11target_archE1030ELNS1_3gpuE2ELNS1_3repE0EEENS1_30default_config_static_selectorELNS0_4arch9wavefront6targetE1EEEvT1_
	.globl	_ZN7rocprim17ROCPRIM_400000_NS6detail17trampoline_kernelINS0_14default_configENS1_29reduce_by_key_config_selectorIdlN6thrust23THRUST_200600_302600_NS4plusIlEEEEZZNS1_33reduce_by_key_impl_wrapped_configILNS1_25lookback_scan_determinismE0ES3_S9_PdNS6_17constant_iteratorIiNS6_11use_defaultESE_EENS6_10device_ptrIdEENSG_IlEEPmS8_NS6_8equal_toIdEEEE10hipError_tPvRmT2_T3_mT4_T5_T6_T7_T8_P12ihipStream_tbENKUlT_T0_E_clISt17integral_constantIbLb1EES13_EEDaSY_SZ_EUlSY_E_NS1_11comp_targetILNS1_3genE8ELNS1_11target_archE1030ELNS1_3gpuE2ELNS1_3repE0EEENS1_30default_config_static_selectorELNS0_4arch9wavefront6targetE1EEEvT1_
	.p2align	8
	.type	_ZN7rocprim17ROCPRIM_400000_NS6detail17trampoline_kernelINS0_14default_configENS1_29reduce_by_key_config_selectorIdlN6thrust23THRUST_200600_302600_NS4plusIlEEEEZZNS1_33reduce_by_key_impl_wrapped_configILNS1_25lookback_scan_determinismE0ES3_S9_PdNS6_17constant_iteratorIiNS6_11use_defaultESE_EENS6_10device_ptrIdEENSG_IlEEPmS8_NS6_8equal_toIdEEEE10hipError_tPvRmT2_T3_mT4_T5_T6_T7_T8_P12ihipStream_tbENKUlT_T0_E_clISt17integral_constantIbLb1EES13_EEDaSY_SZ_EUlSY_E_NS1_11comp_targetILNS1_3genE8ELNS1_11target_archE1030ELNS1_3gpuE2ELNS1_3repE0EEENS1_30default_config_static_selectorELNS0_4arch9wavefront6targetE1EEEvT1_,@function
_ZN7rocprim17ROCPRIM_400000_NS6detail17trampoline_kernelINS0_14default_configENS1_29reduce_by_key_config_selectorIdlN6thrust23THRUST_200600_302600_NS4plusIlEEEEZZNS1_33reduce_by_key_impl_wrapped_configILNS1_25lookback_scan_determinismE0ES3_S9_PdNS6_17constant_iteratorIiNS6_11use_defaultESE_EENS6_10device_ptrIdEENSG_IlEEPmS8_NS6_8equal_toIdEEEE10hipError_tPvRmT2_T3_mT4_T5_T6_T7_T8_P12ihipStream_tbENKUlT_T0_E_clISt17integral_constantIbLb1EES13_EEDaSY_SZ_EUlSY_E_NS1_11comp_targetILNS1_3genE8ELNS1_11target_archE1030ELNS1_3gpuE2ELNS1_3repE0EEENS1_30default_config_static_selectorELNS0_4arch9wavefront6targetE1EEEvT1_: ; @_ZN7rocprim17ROCPRIM_400000_NS6detail17trampoline_kernelINS0_14default_configENS1_29reduce_by_key_config_selectorIdlN6thrust23THRUST_200600_302600_NS4plusIlEEEEZZNS1_33reduce_by_key_impl_wrapped_configILNS1_25lookback_scan_determinismE0ES3_S9_PdNS6_17constant_iteratorIiNS6_11use_defaultESE_EENS6_10device_ptrIdEENSG_IlEEPmS8_NS6_8equal_toIdEEEE10hipError_tPvRmT2_T3_mT4_T5_T6_T7_T8_P12ihipStream_tbENKUlT_T0_E_clISt17integral_constantIbLb1EES13_EEDaSY_SZ_EUlSY_E_NS1_11comp_targetILNS1_3genE8ELNS1_11target_archE1030ELNS1_3gpuE2ELNS1_3repE0EEENS1_30default_config_static_selectorELNS0_4arch9wavefront6targetE1EEEvT1_
; %bb.0:
	.section	.rodata,"a",@progbits
	.p2align	6, 0x0
	.amdhsa_kernel _ZN7rocprim17ROCPRIM_400000_NS6detail17trampoline_kernelINS0_14default_configENS1_29reduce_by_key_config_selectorIdlN6thrust23THRUST_200600_302600_NS4plusIlEEEEZZNS1_33reduce_by_key_impl_wrapped_configILNS1_25lookback_scan_determinismE0ES3_S9_PdNS6_17constant_iteratorIiNS6_11use_defaultESE_EENS6_10device_ptrIdEENSG_IlEEPmS8_NS6_8equal_toIdEEEE10hipError_tPvRmT2_T3_mT4_T5_T6_T7_T8_P12ihipStream_tbENKUlT_T0_E_clISt17integral_constantIbLb1EES13_EEDaSY_SZ_EUlSY_E_NS1_11comp_targetILNS1_3genE8ELNS1_11target_archE1030ELNS1_3gpuE2ELNS1_3repE0EEENS1_30default_config_static_selectorELNS0_4arch9wavefront6targetE1EEEvT1_
		.amdhsa_group_segment_fixed_size 0
		.amdhsa_private_segment_fixed_size 0
		.amdhsa_kernarg_size 144
		.amdhsa_user_sgpr_count 6
		.amdhsa_user_sgpr_private_segment_buffer 1
		.amdhsa_user_sgpr_dispatch_ptr 0
		.amdhsa_user_sgpr_queue_ptr 0
		.amdhsa_user_sgpr_kernarg_segment_ptr 1
		.amdhsa_user_sgpr_dispatch_id 0
		.amdhsa_user_sgpr_flat_scratch_init 0
		.amdhsa_user_sgpr_private_segment_size 0
		.amdhsa_uses_dynamic_stack 0
		.amdhsa_system_sgpr_private_segment_wavefront_offset 0
		.amdhsa_system_sgpr_workgroup_id_x 1
		.amdhsa_system_sgpr_workgroup_id_y 0
		.amdhsa_system_sgpr_workgroup_id_z 0
		.amdhsa_system_sgpr_workgroup_info 0
		.amdhsa_system_vgpr_workitem_id 0
		.amdhsa_next_free_vgpr 1
		.amdhsa_next_free_sgpr 0
		.amdhsa_reserve_vcc 0
		.amdhsa_reserve_flat_scratch 0
		.amdhsa_float_round_mode_32 0
		.amdhsa_float_round_mode_16_64 0
		.amdhsa_float_denorm_mode_32 3
		.amdhsa_float_denorm_mode_16_64 3
		.amdhsa_dx10_clamp 1
		.amdhsa_ieee_mode 1
		.amdhsa_fp16_overflow 0
		.amdhsa_exception_fp_ieee_invalid_op 0
		.amdhsa_exception_fp_denorm_src 0
		.amdhsa_exception_fp_ieee_div_zero 0
		.amdhsa_exception_fp_ieee_overflow 0
		.amdhsa_exception_fp_ieee_underflow 0
		.amdhsa_exception_fp_ieee_inexact 0
		.amdhsa_exception_int_div_zero 0
	.end_amdhsa_kernel
	.section	.text._ZN7rocprim17ROCPRIM_400000_NS6detail17trampoline_kernelINS0_14default_configENS1_29reduce_by_key_config_selectorIdlN6thrust23THRUST_200600_302600_NS4plusIlEEEEZZNS1_33reduce_by_key_impl_wrapped_configILNS1_25lookback_scan_determinismE0ES3_S9_PdNS6_17constant_iteratorIiNS6_11use_defaultESE_EENS6_10device_ptrIdEENSG_IlEEPmS8_NS6_8equal_toIdEEEE10hipError_tPvRmT2_T3_mT4_T5_T6_T7_T8_P12ihipStream_tbENKUlT_T0_E_clISt17integral_constantIbLb1EES13_EEDaSY_SZ_EUlSY_E_NS1_11comp_targetILNS1_3genE8ELNS1_11target_archE1030ELNS1_3gpuE2ELNS1_3repE0EEENS1_30default_config_static_selectorELNS0_4arch9wavefront6targetE1EEEvT1_,"axG",@progbits,_ZN7rocprim17ROCPRIM_400000_NS6detail17trampoline_kernelINS0_14default_configENS1_29reduce_by_key_config_selectorIdlN6thrust23THRUST_200600_302600_NS4plusIlEEEEZZNS1_33reduce_by_key_impl_wrapped_configILNS1_25lookback_scan_determinismE0ES3_S9_PdNS6_17constant_iteratorIiNS6_11use_defaultESE_EENS6_10device_ptrIdEENSG_IlEEPmS8_NS6_8equal_toIdEEEE10hipError_tPvRmT2_T3_mT4_T5_T6_T7_T8_P12ihipStream_tbENKUlT_T0_E_clISt17integral_constantIbLb1EES13_EEDaSY_SZ_EUlSY_E_NS1_11comp_targetILNS1_3genE8ELNS1_11target_archE1030ELNS1_3gpuE2ELNS1_3repE0EEENS1_30default_config_static_selectorELNS0_4arch9wavefront6targetE1EEEvT1_,comdat
.Lfunc_end1705:
	.size	_ZN7rocprim17ROCPRIM_400000_NS6detail17trampoline_kernelINS0_14default_configENS1_29reduce_by_key_config_selectorIdlN6thrust23THRUST_200600_302600_NS4plusIlEEEEZZNS1_33reduce_by_key_impl_wrapped_configILNS1_25lookback_scan_determinismE0ES3_S9_PdNS6_17constant_iteratorIiNS6_11use_defaultESE_EENS6_10device_ptrIdEENSG_IlEEPmS8_NS6_8equal_toIdEEEE10hipError_tPvRmT2_T3_mT4_T5_T6_T7_T8_P12ihipStream_tbENKUlT_T0_E_clISt17integral_constantIbLb1EES13_EEDaSY_SZ_EUlSY_E_NS1_11comp_targetILNS1_3genE8ELNS1_11target_archE1030ELNS1_3gpuE2ELNS1_3repE0EEENS1_30default_config_static_selectorELNS0_4arch9wavefront6targetE1EEEvT1_, .Lfunc_end1705-_ZN7rocprim17ROCPRIM_400000_NS6detail17trampoline_kernelINS0_14default_configENS1_29reduce_by_key_config_selectorIdlN6thrust23THRUST_200600_302600_NS4plusIlEEEEZZNS1_33reduce_by_key_impl_wrapped_configILNS1_25lookback_scan_determinismE0ES3_S9_PdNS6_17constant_iteratorIiNS6_11use_defaultESE_EENS6_10device_ptrIdEENSG_IlEEPmS8_NS6_8equal_toIdEEEE10hipError_tPvRmT2_T3_mT4_T5_T6_T7_T8_P12ihipStream_tbENKUlT_T0_E_clISt17integral_constantIbLb1EES13_EEDaSY_SZ_EUlSY_E_NS1_11comp_targetILNS1_3genE8ELNS1_11target_archE1030ELNS1_3gpuE2ELNS1_3repE0EEENS1_30default_config_static_selectorELNS0_4arch9wavefront6targetE1EEEvT1_
                                        ; -- End function
	.set _ZN7rocprim17ROCPRIM_400000_NS6detail17trampoline_kernelINS0_14default_configENS1_29reduce_by_key_config_selectorIdlN6thrust23THRUST_200600_302600_NS4plusIlEEEEZZNS1_33reduce_by_key_impl_wrapped_configILNS1_25lookback_scan_determinismE0ES3_S9_PdNS6_17constant_iteratorIiNS6_11use_defaultESE_EENS6_10device_ptrIdEENSG_IlEEPmS8_NS6_8equal_toIdEEEE10hipError_tPvRmT2_T3_mT4_T5_T6_T7_T8_P12ihipStream_tbENKUlT_T0_E_clISt17integral_constantIbLb1EES13_EEDaSY_SZ_EUlSY_E_NS1_11comp_targetILNS1_3genE8ELNS1_11target_archE1030ELNS1_3gpuE2ELNS1_3repE0EEENS1_30default_config_static_selectorELNS0_4arch9wavefront6targetE1EEEvT1_.num_vgpr, 0
	.set _ZN7rocprim17ROCPRIM_400000_NS6detail17trampoline_kernelINS0_14default_configENS1_29reduce_by_key_config_selectorIdlN6thrust23THRUST_200600_302600_NS4plusIlEEEEZZNS1_33reduce_by_key_impl_wrapped_configILNS1_25lookback_scan_determinismE0ES3_S9_PdNS6_17constant_iteratorIiNS6_11use_defaultESE_EENS6_10device_ptrIdEENSG_IlEEPmS8_NS6_8equal_toIdEEEE10hipError_tPvRmT2_T3_mT4_T5_T6_T7_T8_P12ihipStream_tbENKUlT_T0_E_clISt17integral_constantIbLb1EES13_EEDaSY_SZ_EUlSY_E_NS1_11comp_targetILNS1_3genE8ELNS1_11target_archE1030ELNS1_3gpuE2ELNS1_3repE0EEENS1_30default_config_static_selectorELNS0_4arch9wavefront6targetE1EEEvT1_.num_agpr, 0
	.set _ZN7rocprim17ROCPRIM_400000_NS6detail17trampoline_kernelINS0_14default_configENS1_29reduce_by_key_config_selectorIdlN6thrust23THRUST_200600_302600_NS4plusIlEEEEZZNS1_33reduce_by_key_impl_wrapped_configILNS1_25lookback_scan_determinismE0ES3_S9_PdNS6_17constant_iteratorIiNS6_11use_defaultESE_EENS6_10device_ptrIdEENSG_IlEEPmS8_NS6_8equal_toIdEEEE10hipError_tPvRmT2_T3_mT4_T5_T6_T7_T8_P12ihipStream_tbENKUlT_T0_E_clISt17integral_constantIbLb1EES13_EEDaSY_SZ_EUlSY_E_NS1_11comp_targetILNS1_3genE8ELNS1_11target_archE1030ELNS1_3gpuE2ELNS1_3repE0EEENS1_30default_config_static_selectorELNS0_4arch9wavefront6targetE1EEEvT1_.numbered_sgpr, 0
	.set _ZN7rocprim17ROCPRIM_400000_NS6detail17trampoline_kernelINS0_14default_configENS1_29reduce_by_key_config_selectorIdlN6thrust23THRUST_200600_302600_NS4plusIlEEEEZZNS1_33reduce_by_key_impl_wrapped_configILNS1_25lookback_scan_determinismE0ES3_S9_PdNS6_17constant_iteratorIiNS6_11use_defaultESE_EENS6_10device_ptrIdEENSG_IlEEPmS8_NS6_8equal_toIdEEEE10hipError_tPvRmT2_T3_mT4_T5_T6_T7_T8_P12ihipStream_tbENKUlT_T0_E_clISt17integral_constantIbLb1EES13_EEDaSY_SZ_EUlSY_E_NS1_11comp_targetILNS1_3genE8ELNS1_11target_archE1030ELNS1_3gpuE2ELNS1_3repE0EEENS1_30default_config_static_selectorELNS0_4arch9wavefront6targetE1EEEvT1_.num_named_barrier, 0
	.set _ZN7rocprim17ROCPRIM_400000_NS6detail17trampoline_kernelINS0_14default_configENS1_29reduce_by_key_config_selectorIdlN6thrust23THRUST_200600_302600_NS4plusIlEEEEZZNS1_33reduce_by_key_impl_wrapped_configILNS1_25lookback_scan_determinismE0ES3_S9_PdNS6_17constant_iteratorIiNS6_11use_defaultESE_EENS6_10device_ptrIdEENSG_IlEEPmS8_NS6_8equal_toIdEEEE10hipError_tPvRmT2_T3_mT4_T5_T6_T7_T8_P12ihipStream_tbENKUlT_T0_E_clISt17integral_constantIbLb1EES13_EEDaSY_SZ_EUlSY_E_NS1_11comp_targetILNS1_3genE8ELNS1_11target_archE1030ELNS1_3gpuE2ELNS1_3repE0EEENS1_30default_config_static_selectorELNS0_4arch9wavefront6targetE1EEEvT1_.private_seg_size, 0
	.set _ZN7rocprim17ROCPRIM_400000_NS6detail17trampoline_kernelINS0_14default_configENS1_29reduce_by_key_config_selectorIdlN6thrust23THRUST_200600_302600_NS4plusIlEEEEZZNS1_33reduce_by_key_impl_wrapped_configILNS1_25lookback_scan_determinismE0ES3_S9_PdNS6_17constant_iteratorIiNS6_11use_defaultESE_EENS6_10device_ptrIdEENSG_IlEEPmS8_NS6_8equal_toIdEEEE10hipError_tPvRmT2_T3_mT4_T5_T6_T7_T8_P12ihipStream_tbENKUlT_T0_E_clISt17integral_constantIbLb1EES13_EEDaSY_SZ_EUlSY_E_NS1_11comp_targetILNS1_3genE8ELNS1_11target_archE1030ELNS1_3gpuE2ELNS1_3repE0EEENS1_30default_config_static_selectorELNS0_4arch9wavefront6targetE1EEEvT1_.uses_vcc, 0
	.set _ZN7rocprim17ROCPRIM_400000_NS6detail17trampoline_kernelINS0_14default_configENS1_29reduce_by_key_config_selectorIdlN6thrust23THRUST_200600_302600_NS4plusIlEEEEZZNS1_33reduce_by_key_impl_wrapped_configILNS1_25lookback_scan_determinismE0ES3_S9_PdNS6_17constant_iteratorIiNS6_11use_defaultESE_EENS6_10device_ptrIdEENSG_IlEEPmS8_NS6_8equal_toIdEEEE10hipError_tPvRmT2_T3_mT4_T5_T6_T7_T8_P12ihipStream_tbENKUlT_T0_E_clISt17integral_constantIbLb1EES13_EEDaSY_SZ_EUlSY_E_NS1_11comp_targetILNS1_3genE8ELNS1_11target_archE1030ELNS1_3gpuE2ELNS1_3repE0EEENS1_30default_config_static_selectorELNS0_4arch9wavefront6targetE1EEEvT1_.uses_flat_scratch, 0
	.set _ZN7rocprim17ROCPRIM_400000_NS6detail17trampoline_kernelINS0_14default_configENS1_29reduce_by_key_config_selectorIdlN6thrust23THRUST_200600_302600_NS4plusIlEEEEZZNS1_33reduce_by_key_impl_wrapped_configILNS1_25lookback_scan_determinismE0ES3_S9_PdNS6_17constant_iteratorIiNS6_11use_defaultESE_EENS6_10device_ptrIdEENSG_IlEEPmS8_NS6_8equal_toIdEEEE10hipError_tPvRmT2_T3_mT4_T5_T6_T7_T8_P12ihipStream_tbENKUlT_T0_E_clISt17integral_constantIbLb1EES13_EEDaSY_SZ_EUlSY_E_NS1_11comp_targetILNS1_3genE8ELNS1_11target_archE1030ELNS1_3gpuE2ELNS1_3repE0EEENS1_30default_config_static_selectorELNS0_4arch9wavefront6targetE1EEEvT1_.has_dyn_sized_stack, 0
	.set _ZN7rocprim17ROCPRIM_400000_NS6detail17trampoline_kernelINS0_14default_configENS1_29reduce_by_key_config_selectorIdlN6thrust23THRUST_200600_302600_NS4plusIlEEEEZZNS1_33reduce_by_key_impl_wrapped_configILNS1_25lookback_scan_determinismE0ES3_S9_PdNS6_17constant_iteratorIiNS6_11use_defaultESE_EENS6_10device_ptrIdEENSG_IlEEPmS8_NS6_8equal_toIdEEEE10hipError_tPvRmT2_T3_mT4_T5_T6_T7_T8_P12ihipStream_tbENKUlT_T0_E_clISt17integral_constantIbLb1EES13_EEDaSY_SZ_EUlSY_E_NS1_11comp_targetILNS1_3genE8ELNS1_11target_archE1030ELNS1_3gpuE2ELNS1_3repE0EEENS1_30default_config_static_selectorELNS0_4arch9wavefront6targetE1EEEvT1_.has_recursion, 0
	.set _ZN7rocprim17ROCPRIM_400000_NS6detail17trampoline_kernelINS0_14default_configENS1_29reduce_by_key_config_selectorIdlN6thrust23THRUST_200600_302600_NS4plusIlEEEEZZNS1_33reduce_by_key_impl_wrapped_configILNS1_25lookback_scan_determinismE0ES3_S9_PdNS6_17constant_iteratorIiNS6_11use_defaultESE_EENS6_10device_ptrIdEENSG_IlEEPmS8_NS6_8equal_toIdEEEE10hipError_tPvRmT2_T3_mT4_T5_T6_T7_T8_P12ihipStream_tbENKUlT_T0_E_clISt17integral_constantIbLb1EES13_EEDaSY_SZ_EUlSY_E_NS1_11comp_targetILNS1_3genE8ELNS1_11target_archE1030ELNS1_3gpuE2ELNS1_3repE0EEENS1_30default_config_static_selectorELNS0_4arch9wavefront6targetE1EEEvT1_.has_indirect_call, 0
	.section	.AMDGPU.csdata,"",@progbits
; Kernel info:
; codeLenInByte = 0
; TotalNumSgprs: 4
; NumVgprs: 0
; ScratchSize: 0
; MemoryBound: 0
; FloatMode: 240
; IeeeMode: 1
; LDSByteSize: 0 bytes/workgroup (compile time only)
; SGPRBlocks: 0
; VGPRBlocks: 0
; NumSGPRsForWavesPerEU: 4
; NumVGPRsForWavesPerEU: 1
; Occupancy: 10
; WaveLimiterHint : 0
; COMPUTE_PGM_RSRC2:SCRATCH_EN: 0
; COMPUTE_PGM_RSRC2:USER_SGPR: 6
; COMPUTE_PGM_RSRC2:TRAP_HANDLER: 0
; COMPUTE_PGM_RSRC2:TGID_X_EN: 1
; COMPUTE_PGM_RSRC2:TGID_Y_EN: 0
; COMPUTE_PGM_RSRC2:TGID_Z_EN: 0
; COMPUTE_PGM_RSRC2:TIDIG_COMP_CNT: 0
	.section	.text._ZN7rocprim17ROCPRIM_400000_NS6detail17trampoline_kernelINS0_14default_configENS1_29reduce_by_key_config_selectorIdlN6thrust23THRUST_200600_302600_NS4plusIlEEEEZZNS1_33reduce_by_key_impl_wrapped_configILNS1_25lookback_scan_determinismE0ES3_S9_PdNS6_17constant_iteratorIiNS6_11use_defaultESE_EENS6_10device_ptrIdEENSG_IlEEPmS8_NS6_8equal_toIdEEEE10hipError_tPvRmT2_T3_mT4_T5_T6_T7_T8_P12ihipStream_tbENKUlT_T0_E_clISt17integral_constantIbLb1EES12_IbLb0EEEEDaSY_SZ_EUlSY_E_NS1_11comp_targetILNS1_3genE0ELNS1_11target_archE4294967295ELNS1_3gpuE0ELNS1_3repE0EEENS1_30default_config_static_selectorELNS0_4arch9wavefront6targetE1EEEvT1_,"axG",@progbits,_ZN7rocprim17ROCPRIM_400000_NS6detail17trampoline_kernelINS0_14default_configENS1_29reduce_by_key_config_selectorIdlN6thrust23THRUST_200600_302600_NS4plusIlEEEEZZNS1_33reduce_by_key_impl_wrapped_configILNS1_25lookback_scan_determinismE0ES3_S9_PdNS6_17constant_iteratorIiNS6_11use_defaultESE_EENS6_10device_ptrIdEENSG_IlEEPmS8_NS6_8equal_toIdEEEE10hipError_tPvRmT2_T3_mT4_T5_T6_T7_T8_P12ihipStream_tbENKUlT_T0_E_clISt17integral_constantIbLb1EES12_IbLb0EEEEDaSY_SZ_EUlSY_E_NS1_11comp_targetILNS1_3genE0ELNS1_11target_archE4294967295ELNS1_3gpuE0ELNS1_3repE0EEENS1_30default_config_static_selectorELNS0_4arch9wavefront6targetE1EEEvT1_,comdat
	.protected	_ZN7rocprim17ROCPRIM_400000_NS6detail17trampoline_kernelINS0_14default_configENS1_29reduce_by_key_config_selectorIdlN6thrust23THRUST_200600_302600_NS4plusIlEEEEZZNS1_33reduce_by_key_impl_wrapped_configILNS1_25lookback_scan_determinismE0ES3_S9_PdNS6_17constant_iteratorIiNS6_11use_defaultESE_EENS6_10device_ptrIdEENSG_IlEEPmS8_NS6_8equal_toIdEEEE10hipError_tPvRmT2_T3_mT4_T5_T6_T7_T8_P12ihipStream_tbENKUlT_T0_E_clISt17integral_constantIbLb1EES12_IbLb0EEEEDaSY_SZ_EUlSY_E_NS1_11comp_targetILNS1_3genE0ELNS1_11target_archE4294967295ELNS1_3gpuE0ELNS1_3repE0EEENS1_30default_config_static_selectorELNS0_4arch9wavefront6targetE1EEEvT1_ ; -- Begin function _ZN7rocprim17ROCPRIM_400000_NS6detail17trampoline_kernelINS0_14default_configENS1_29reduce_by_key_config_selectorIdlN6thrust23THRUST_200600_302600_NS4plusIlEEEEZZNS1_33reduce_by_key_impl_wrapped_configILNS1_25lookback_scan_determinismE0ES3_S9_PdNS6_17constant_iteratorIiNS6_11use_defaultESE_EENS6_10device_ptrIdEENSG_IlEEPmS8_NS6_8equal_toIdEEEE10hipError_tPvRmT2_T3_mT4_T5_T6_T7_T8_P12ihipStream_tbENKUlT_T0_E_clISt17integral_constantIbLb1EES12_IbLb0EEEEDaSY_SZ_EUlSY_E_NS1_11comp_targetILNS1_3genE0ELNS1_11target_archE4294967295ELNS1_3gpuE0ELNS1_3repE0EEENS1_30default_config_static_selectorELNS0_4arch9wavefront6targetE1EEEvT1_
	.globl	_ZN7rocprim17ROCPRIM_400000_NS6detail17trampoline_kernelINS0_14default_configENS1_29reduce_by_key_config_selectorIdlN6thrust23THRUST_200600_302600_NS4plusIlEEEEZZNS1_33reduce_by_key_impl_wrapped_configILNS1_25lookback_scan_determinismE0ES3_S9_PdNS6_17constant_iteratorIiNS6_11use_defaultESE_EENS6_10device_ptrIdEENSG_IlEEPmS8_NS6_8equal_toIdEEEE10hipError_tPvRmT2_T3_mT4_T5_T6_T7_T8_P12ihipStream_tbENKUlT_T0_E_clISt17integral_constantIbLb1EES12_IbLb0EEEEDaSY_SZ_EUlSY_E_NS1_11comp_targetILNS1_3genE0ELNS1_11target_archE4294967295ELNS1_3gpuE0ELNS1_3repE0EEENS1_30default_config_static_selectorELNS0_4arch9wavefront6targetE1EEEvT1_
	.p2align	8
	.type	_ZN7rocprim17ROCPRIM_400000_NS6detail17trampoline_kernelINS0_14default_configENS1_29reduce_by_key_config_selectorIdlN6thrust23THRUST_200600_302600_NS4plusIlEEEEZZNS1_33reduce_by_key_impl_wrapped_configILNS1_25lookback_scan_determinismE0ES3_S9_PdNS6_17constant_iteratorIiNS6_11use_defaultESE_EENS6_10device_ptrIdEENSG_IlEEPmS8_NS6_8equal_toIdEEEE10hipError_tPvRmT2_T3_mT4_T5_T6_T7_T8_P12ihipStream_tbENKUlT_T0_E_clISt17integral_constantIbLb1EES12_IbLb0EEEEDaSY_SZ_EUlSY_E_NS1_11comp_targetILNS1_3genE0ELNS1_11target_archE4294967295ELNS1_3gpuE0ELNS1_3repE0EEENS1_30default_config_static_selectorELNS0_4arch9wavefront6targetE1EEEvT1_,@function
_ZN7rocprim17ROCPRIM_400000_NS6detail17trampoline_kernelINS0_14default_configENS1_29reduce_by_key_config_selectorIdlN6thrust23THRUST_200600_302600_NS4plusIlEEEEZZNS1_33reduce_by_key_impl_wrapped_configILNS1_25lookback_scan_determinismE0ES3_S9_PdNS6_17constant_iteratorIiNS6_11use_defaultESE_EENS6_10device_ptrIdEENSG_IlEEPmS8_NS6_8equal_toIdEEEE10hipError_tPvRmT2_T3_mT4_T5_T6_T7_T8_P12ihipStream_tbENKUlT_T0_E_clISt17integral_constantIbLb1EES12_IbLb0EEEEDaSY_SZ_EUlSY_E_NS1_11comp_targetILNS1_3genE0ELNS1_11target_archE4294967295ELNS1_3gpuE0ELNS1_3repE0EEENS1_30default_config_static_selectorELNS0_4arch9wavefront6targetE1EEEvT1_: ; @_ZN7rocprim17ROCPRIM_400000_NS6detail17trampoline_kernelINS0_14default_configENS1_29reduce_by_key_config_selectorIdlN6thrust23THRUST_200600_302600_NS4plusIlEEEEZZNS1_33reduce_by_key_impl_wrapped_configILNS1_25lookback_scan_determinismE0ES3_S9_PdNS6_17constant_iteratorIiNS6_11use_defaultESE_EENS6_10device_ptrIdEENSG_IlEEPmS8_NS6_8equal_toIdEEEE10hipError_tPvRmT2_T3_mT4_T5_T6_T7_T8_P12ihipStream_tbENKUlT_T0_E_clISt17integral_constantIbLb1EES12_IbLb0EEEEDaSY_SZ_EUlSY_E_NS1_11comp_targetILNS1_3genE0ELNS1_11target_archE4294967295ELNS1_3gpuE0ELNS1_3repE0EEENS1_30default_config_static_selectorELNS0_4arch9wavefront6targetE1EEEvT1_
; %bb.0:
	.section	.rodata,"a",@progbits
	.p2align	6, 0x0
	.amdhsa_kernel _ZN7rocprim17ROCPRIM_400000_NS6detail17trampoline_kernelINS0_14default_configENS1_29reduce_by_key_config_selectorIdlN6thrust23THRUST_200600_302600_NS4plusIlEEEEZZNS1_33reduce_by_key_impl_wrapped_configILNS1_25lookback_scan_determinismE0ES3_S9_PdNS6_17constant_iteratorIiNS6_11use_defaultESE_EENS6_10device_ptrIdEENSG_IlEEPmS8_NS6_8equal_toIdEEEE10hipError_tPvRmT2_T3_mT4_T5_T6_T7_T8_P12ihipStream_tbENKUlT_T0_E_clISt17integral_constantIbLb1EES12_IbLb0EEEEDaSY_SZ_EUlSY_E_NS1_11comp_targetILNS1_3genE0ELNS1_11target_archE4294967295ELNS1_3gpuE0ELNS1_3repE0EEENS1_30default_config_static_selectorELNS0_4arch9wavefront6targetE1EEEvT1_
		.amdhsa_group_segment_fixed_size 0
		.amdhsa_private_segment_fixed_size 0
		.amdhsa_kernarg_size 144
		.amdhsa_user_sgpr_count 6
		.amdhsa_user_sgpr_private_segment_buffer 1
		.amdhsa_user_sgpr_dispatch_ptr 0
		.amdhsa_user_sgpr_queue_ptr 0
		.amdhsa_user_sgpr_kernarg_segment_ptr 1
		.amdhsa_user_sgpr_dispatch_id 0
		.amdhsa_user_sgpr_flat_scratch_init 0
		.amdhsa_user_sgpr_private_segment_size 0
		.amdhsa_uses_dynamic_stack 0
		.amdhsa_system_sgpr_private_segment_wavefront_offset 0
		.amdhsa_system_sgpr_workgroup_id_x 1
		.amdhsa_system_sgpr_workgroup_id_y 0
		.amdhsa_system_sgpr_workgroup_id_z 0
		.amdhsa_system_sgpr_workgroup_info 0
		.amdhsa_system_vgpr_workitem_id 0
		.amdhsa_next_free_vgpr 1
		.amdhsa_next_free_sgpr 0
		.amdhsa_reserve_vcc 0
		.amdhsa_reserve_flat_scratch 0
		.amdhsa_float_round_mode_32 0
		.amdhsa_float_round_mode_16_64 0
		.amdhsa_float_denorm_mode_32 3
		.amdhsa_float_denorm_mode_16_64 3
		.amdhsa_dx10_clamp 1
		.amdhsa_ieee_mode 1
		.amdhsa_fp16_overflow 0
		.amdhsa_exception_fp_ieee_invalid_op 0
		.amdhsa_exception_fp_denorm_src 0
		.amdhsa_exception_fp_ieee_div_zero 0
		.amdhsa_exception_fp_ieee_overflow 0
		.amdhsa_exception_fp_ieee_underflow 0
		.amdhsa_exception_fp_ieee_inexact 0
		.amdhsa_exception_int_div_zero 0
	.end_amdhsa_kernel
	.section	.text._ZN7rocprim17ROCPRIM_400000_NS6detail17trampoline_kernelINS0_14default_configENS1_29reduce_by_key_config_selectorIdlN6thrust23THRUST_200600_302600_NS4plusIlEEEEZZNS1_33reduce_by_key_impl_wrapped_configILNS1_25lookback_scan_determinismE0ES3_S9_PdNS6_17constant_iteratorIiNS6_11use_defaultESE_EENS6_10device_ptrIdEENSG_IlEEPmS8_NS6_8equal_toIdEEEE10hipError_tPvRmT2_T3_mT4_T5_T6_T7_T8_P12ihipStream_tbENKUlT_T0_E_clISt17integral_constantIbLb1EES12_IbLb0EEEEDaSY_SZ_EUlSY_E_NS1_11comp_targetILNS1_3genE0ELNS1_11target_archE4294967295ELNS1_3gpuE0ELNS1_3repE0EEENS1_30default_config_static_selectorELNS0_4arch9wavefront6targetE1EEEvT1_,"axG",@progbits,_ZN7rocprim17ROCPRIM_400000_NS6detail17trampoline_kernelINS0_14default_configENS1_29reduce_by_key_config_selectorIdlN6thrust23THRUST_200600_302600_NS4plusIlEEEEZZNS1_33reduce_by_key_impl_wrapped_configILNS1_25lookback_scan_determinismE0ES3_S9_PdNS6_17constant_iteratorIiNS6_11use_defaultESE_EENS6_10device_ptrIdEENSG_IlEEPmS8_NS6_8equal_toIdEEEE10hipError_tPvRmT2_T3_mT4_T5_T6_T7_T8_P12ihipStream_tbENKUlT_T0_E_clISt17integral_constantIbLb1EES12_IbLb0EEEEDaSY_SZ_EUlSY_E_NS1_11comp_targetILNS1_3genE0ELNS1_11target_archE4294967295ELNS1_3gpuE0ELNS1_3repE0EEENS1_30default_config_static_selectorELNS0_4arch9wavefront6targetE1EEEvT1_,comdat
.Lfunc_end1706:
	.size	_ZN7rocprim17ROCPRIM_400000_NS6detail17trampoline_kernelINS0_14default_configENS1_29reduce_by_key_config_selectorIdlN6thrust23THRUST_200600_302600_NS4plusIlEEEEZZNS1_33reduce_by_key_impl_wrapped_configILNS1_25lookback_scan_determinismE0ES3_S9_PdNS6_17constant_iteratorIiNS6_11use_defaultESE_EENS6_10device_ptrIdEENSG_IlEEPmS8_NS6_8equal_toIdEEEE10hipError_tPvRmT2_T3_mT4_T5_T6_T7_T8_P12ihipStream_tbENKUlT_T0_E_clISt17integral_constantIbLb1EES12_IbLb0EEEEDaSY_SZ_EUlSY_E_NS1_11comp_targetILNS1_3genE0ELNS1_11target_archE4294967295ELNS1_3gpuE0ELNS1_3repE0EEENS1_30default_config_static_selectorELNS0_4arch9wavefront6targetE1EEEvT1_, .Lfunc_end1706-_ZN7rocprim17ROCPRIM_400000_NS6detail17trampoline_kernelINS0_14default_configENS1_29reduce_by_key_config_selectorIdlN6thrust23THRUST_200600_302600_NS4plusIlEEEEZZNS1_33reduce_by_key_impl_wrapped_configILNS1_25lookback_scan_determinismE0ES3_S9_PdNS6_17constant_iteratorIiNS6_11use_defaultESE_EENS6_10device_ptrIdEENSG_IlEEPmS8_NS6_8equal_toIdEEEE10hipError_tPvRmT2_T3_mT4_T5_T6_T7_T8_P12ihipStream_tbENKUlT_T0_E_clISt17integral_constantIbLb1EES12_IbLb0EEEEDaSY_SZ_EUlSY_E_NS1_11comp_targetILNS1_3genE0ELNS1_11target_archE4294967295ELNS1_3gpuE0ELNS1_3repE0EEENS1_30default_config_static_selectorELNS0_4arch9wavefront6targetE1EEEvT1_
                                        ; -- End function
	.set _ZN7rocprim17ROCPRIM_400000_NS6detail17trampoline_kernelINS0_14default_configENS1_29reduce_by_key_config_selectorIdlN6thrust23THRUST_200600_302600_NS4plusIlEEEEZZNS1_33reduce_by_key_impl_wrapped_configILNS1_25lookback_scan_determinismE0ES3_S9_PdNS6_17constant_iteratorIiNS6_11use_defaultESE_EENS6_10device_ptrIdEENSG_IlEEPmS8_NS6_8equal_toIdEEEE10hipError_tPvRmT2_T3_mT4_T5_T6_T7_T8_P12ihipStream_tbENKUlT_T0_E_clISt17integral_constantIbLb1EES12_IbLb0EEEEDaSY_SZ_EUlSY_E_NS1_11comp_targetILNS1_3genE0ELNS1_11target_archE4294967295ELNS1_3gpuE0ELNS1_3repE0EEENS1_30default_config_static_selectorELNS0_4arch9wavefront6targetE1EEEvT1_.num_vgpr, 0
	.set _ZN7rocprim17ROCPRIM_400000_NS6detail17trampoline_kernelINS0_14default_configENS1_29reduce_by_key_config_selectorIdlN6thrust23THRUST_200600_302600_NS4plusIlEEEEZZNS1_33reduce_by_key_impl_wrapped_configILNS1_25lookback_scan_determinismE0ES3_S9_PdNS6_17constant_iteratorIiNS6_11use_defaultESE_EENS6_10device_ptrIdEENSG_IlEEPmS8_NS6_8equal_toIdEEEE10hipError_tPvRmT2_T3_mT4_T5_T6_T7_T8_P12ihipStream_tbENKUlT_T0_E_clISt17integral_constantIbLb1EES12_IbLb0EEEEDaSY_SZ_EUlSY_E_NS1_11comp_targetILNS1_3genE0ELNS1_11target_archE4294967295ELNS1_3gpuE0ELNS1_3repE0EEENS1_30default_config_static_selectorELNS0_4arch9wavefront6targetE1EEEvT1_.num_agpr, 0
	.set _ZN7rocprim17ROCPRIM_400000_NS6detail17trampoline_kernelINS0_14default_configENS1_29reduce_by_key_config_selectorIdlN6thrust23THRUST_200600_302600_NS4plusIlEEEEZZNS1_33reduce_by_key_impl_wrapped_configILNS1_25lookback_scan_determinismE0ES3_S9_PdNS6_17constant_iteratorIiNS6_11use_defaultESE_EENS6_10device_ptrIdEENSG_IlEEPmS8_NS6_8equal_toIdEEEE10hipError_tPvRmT2_T3_mT4_T5_T6_T7_T8_P12ihipStream_tbENKUlT_T0_E_clISt17integral_constantIbLb1EES12_IbLb0EEEEDaSY_SZ_EUlSY_E_NS1_11comp_targetILNS1_3genE0ELNS1_11target_archE4294967295ELNS1_3gpuE0ELNS1_3repE0EEENS1_30default_config_static_selectorELNS0_4arch9wavefront6targetE1EEEvT1_.numbered_sgpr, 0
	.set _ZN7rocprim17ROCPRIM_400000_NS6detail17trampoline_kernelINS0_14default_configENS1_29reduce_by_key_config_selectorIdlN6thrust23THRUST_200600_302600_NS4plusIlEEEEZZNS1_33reduce_by_key_impl_wrapped_configILNS1_25lookback_scan_determinismE0ES3_S9_PdNS6_17constant_iteratorIiNS6_11use_defaultESE_EENS6_10device_ptrIdEENSG_IlEEPmS8_NS6_8equal_toIdEEEE10hipError_tPvRmT2_T3_mT4_T5_T6_T7_T8_P12ihipStream_tbENKUlT_T0_E_clISt17integral_constantIbLb1EES12_IbLb0EEEEDaSY_SZ_EUlSY_E_NS1_11comp_targetILNS1_3genE0ELNS1_11target_archE4294967295ELNS1_3gpuE0ELNS1_3repE0EEENS1_30default_config_static_selectorELNS0_4arch9wavefront6targetE1EEEvT1_.num_named_barrier, 0
	.set _ZN7rocprim17ROCPRIM_400000_NS6detail17trampoline_kernelINS0_14default_configENS1_29reduce_by_key_config_selectorIdlN6thrust23THRUST_200600_302600_NS4plusIlEEEEZZNS1_33reduce_by_key_impl_wrapped_configILNS1_25lookback_scan_determinismE0ES3_S9_PdNS6_17constant_iteratorIiNS6_11use_defaultESE_EENS6_10device_ptrIdEENSG_IlEEPmS8_NS6_8equal_toIdEEEE10hipError_tPvRmT2_T3_mT4_T5_T6_T7_T8_P12ihipStream_tbENKUlT_T0_E_clISt17integral_constantIbLb1EES12_IbLb0EEEEDaSY_SZ_EUlSY_E_NS1_11comp_targetILNS1_3genE0ELNS1_11target_archE4294967295ELNS1_3gpuE0ELNS1_3repE0EEENS1_30default_config_static_selectorELNS0_4arch9wavefront6targetE1EEEvT1_.private_seg_size, 0
	.set _ZN7rocprim17ROCPRIM_400000_NS6detail17trampoline_kernelINS0_14default_configENS1_29reduce_by_key_config_selectorIdlN6thrust23THRUST_200600_302600_NS4plusIlEEEEZZNS1_33reduce_by_key_impl_wrapped_configILNS1_25lookback_scan_determinismE0ES3_S9_PdNS6_17constant_iteratorIiNS6_11use_defaultESE_EENS6_10device_ptrIdEENSG_IlEEPmS8_NS6_8equal_toIdEEEE10hipError_tPvRmT2_T3_mT4_T5_T6_T7_T8_P12ihipStream_tbENKUlT_T0_E_clISt17integral_constantIbLb1EES12_IbLb0EEEEDaSY_SZ_EUlSY_E_NS1_11comp_targetILNS1_3genE0ELNS1_11target_archE4294967295ELNS1_3gpuE0ELNS1_3repE0EEENS1_30default_config_static_selectorELNS0_4arch9wavefront6targetE1EEEvT1_.uses_vcc, 0
	.set _ZN7rocprim17ROCPRIM_400000_NS6detail17trampoline_kernelINS0_14default_configENS1_29reduce_by_key_config_selectorIdlN6thrust23THRUST_200600_302600_NS4plusIlEEEEZZNS1_33reduce_by_key_impl_wrapped_configILNS1_25lookback_scan_determinismE0ES3_S9_PdNS6_17constant_iteratorIiNS6_11use_defaultESE_EENS6_10device_ptrIdEENSG_IlEEPmS8_NS6_8equal_toIdEEEE10hipError_tPvRmT2_T3_mT4_T5_T6_T7_T8_P12ihipStream_tbENKUlT_T0_E_clISt17integral_constantIbLb1EES12_IbLb0EEEEDaSY_SZ_EUlSY_E_NS1_11comp_targetILNS1_3genE0ELNS1_11target_archE4294967295ELNS1_3gpuE0ELNS1_3repE0EEENS1_30default_config_static_selectorELNS0_4arch9wavefront6targetE1EEEvT1_.uses_flat_scratch, 0
	.set _ZN7rocprim17ROCPRIM_400000_NS6detail17trampoline_kernelINS0_14default_configENS1_29reduce_by_key_config_selectorIdlN6thrust23THRUST_200600_302600_NS4plusIlEEEEZZNS1_33reduce_by_key_impl_wrapped_configILNS1_25lookback_scan_determinismE0ES3_S9_PdNS6_17constant_iteratorIiNS6_11use_defaultESE_EENS6_10device_ptrIdEENSG_IlEEPmS8_NS6_8equal_toIdEEEE10hipError_tPvRmT2_T3_mT4_T5_T6_T7_T8_P12ihipStream_tbENKUlT_T0_E_clISt17integral_constantIbLb1EES12_IbLb0EEEEDaSY_SZ_EUlSY_E_NS1_11comp_targetILNS1_3genE0ELNS1_11target_archE4294967295ELNS1_3gpuE0ELNS1_3repE0EEENS1_30default_config_static_selectorELNS0_4arch9wavefront6targetE1EEEvT1_.has_dyn_sized_stack, 0
	.set _ZN7rocprim17ROCPRIM_400000_NS6detail17trampoline_kernelINS0_14default_configENS1_29reduce_by_key_config_selectorIdlN6thrust23THRUST_200600_302600_NS4plusIlEEEEZZNS1_33reduce_by_key_impl_wrapped_configILNS1_25lookback_scan_determinismE0ES3_S9_PdNS6_17constant_iteratorIiNS6_11use_defaultESE_EENS6_10device_ptrIdEENSG_IlEEPmS8_NS6_8equal_toIdEEEE10hipError_tPvRmT2_T3_mT4_T5_T6_T7_T8_P12ihipStream_tbENKUlT_T0_E_clISt17integral_constantIbLb1EES12_IbLb0EEEEDaSY_SZ_EUlSY_E_NS1_11comp_targetILNS1_3genE0ELNS1_11target_archE4294967295ELNS1_3gpuE0ELNS1_3repE0EEENS1_30default_config_static_selectorELNS0_4arch9wavefront6targetE1EEEvT1_.has_recursion, 0
	.set _ZN7rocprim17ROCPRIM_400000_NS6detail17trampoline_kernelINS0_14default_configENS1_29reduce_by_key_config_selectorIdlN6thrust23THRUST_200600_302600_NS4plusIlEEEEZZNS1_33reduce_by_key_impl_wrapped_configILNS1_25lookback_scan_determinismE0ES3_S9_PdNS6_17constant_iteratorIiNS6_11use_defaultESE_EENS6_10device_ptrIdEENSG_IlEEPmS8_NS6_8equal_toIdEEEE10hipError_tPvRmT2_T3_mT4_T5_T6_T7_T8_P12ihipStream_tbENKUlT_T0_E_clISt17integral_constantIbLb1EES12_IbLb0EEEEDaSY_SZ_EUlSY_E_NS1_11comp_targetILNS1_3genE0ELNS1_11target_archE4294967295ELNS1_3gpuE0ELNS1_3repE0EEENS1_30default_config_static_selectorELNS0_4arch9wavefront6targetE1EEEvT1_.has_indirect_call, 0
	.section	.AMDGPU.csdata,"",@progbits
; Kernel info:
; codeLenInByte = 0
; TotalNumSgprs: 4
; NumVgprs: 0
; ScratchSize: 0
; MemoryBound: 0
; FloatMode: 240
; IeeeMode: 1
; LDSByteSize: 0 bytes/workgroup (compile time only)
; SGPRBlocks: 0
; VGPRBlocks: 0
; NumSGPRsForWavesPerEU: 4
; NumVGPRsForWavesPerEU: 1
; Occupancy: 10
; WaveLimiterHint : 0
; COMPUTE_PGM_RSRC2:SCRATCH_EN: 0
; COMPUTE_PGM_RSRC2:USER_SGPR: 6
; COMPUTE_PGM_RSRC2:TRAP_HANDLER: 0
; COMPUTE_PGM_RSRC2:TGID_X_EN: 1
; COMPUTE_PGM_RSRC2:TGID_Y_EN: 0
; COMPUTE_PGM_RSRC2:TGID_Z_EN: 0
; COMPUTE_PGM_RSRC2:TIDIG_COMP_CNT: 0
	.section	.text._ZN7rocprim17ROCPRIM_400000_NS6detail17trampoline_kernelINS0_14default_configENS1_29reduce_by_key_config_selectorIdlN6thrust23THRUST_200600_302600_NS4plusIlEEEEZZNS1_33reduce_by_key_impl_wrapped_configILNS1_25lookback_scan_determinismE0ES3_S9_PdNS6_17constant_iteratorIiNS6_11use_defaultESE_EENS6_10device_ptrIdEENSG_IlEEPmS8_NS6_8equal_toIdEEEE10hipError_tPvRmT2_T3_mT4_T5_T6_T7_T8_P12ihipStream_tbENKUlT_T0_E_clISt17integral_constantIbLb1EES12_IbLb0EEEEDaSY_SZ_EUlSY_E_NS1_11comp_targetILNS1_3genE5ELNS1_11target_archE942ELNS1_3gpuE9ELNS1_3repE0EEENS1_30default_config_static_selectorELNS0_4arch9wavefront6targetE1EEEvT1_,"axG",@progbits,_ZN7rocprim17ROCPRIM_400000_NS6detail17trampoline_kernelINS0_14default_configENS1_29reduce_by_key_config_selectorIdlN6thrust23THRUST_200600_302600_NS4plusIlEEEEZZNS1_33reduce_by_key_impl_wrapped_configILNS1_25lookback_scan_determinismE0ES3_S9_PdNS6_17constant_iteratorIiNS6_11use_defaultESE_EENS6_10device_ptrIdEENSG_IlEEPmS8_NS6_8equal_toIdEEEE10hipError_tPvRmT2_T3_mT4_T5_T6_T7_T8_P12ihipStream_tbENKUlT_T0_E_clISt17integral_constantIbLb1EES12_IbLb0EEEEDaSY_SZ_EUlSY_E_NS1_11comp_targetILNS1_3genE5ELNS1_11target_archE942ELNS1_3gpuE9ELNS1_3repE0EEENS1_30default_config_static_selectorELNS0_4arch9wavefront6targetE1EEEvT1_,comdat
	.protected	_ZN7rocprim17ROCPRIM_400000_NS6detail17trampoline_kernelINS0_14default_configENS1_29reduce_by_key_config_selectorIdlN6thrust23THRUST_200600_302600_NS4plusIlEEEEZZNS1_33reduce_by_key_impl_wrapped_configILNS1_25lookback_scan_determinismE0ES3_S9_PdNS6_17constant_iteratorIiNS6_11use_defaultESE_EENS6_10device_ptrIdEENSG_IlEEPmS8_NS6_8equal_toIdEEEE10hipError_tPvRmT2_T3_mT4_T5_T6_T7_T8_P12ihipStream_tbENKUlT_T0_E_clISt17integral_constantIbLb1EES12_IbLb0EEEEDaSY_SZ_EUlSY_E_NS1_11comp_targetILNS1_3genE5ELNS1_11target_archE942ELNS1_3gpuE9ELNS1_3repE0EEENS1_30default_config_static_selectorELNS0_4arch9wavefront6targetE1EEEvT1_ ; -- Begin function _ZN7rocprim17ROCPRIM_400000_NS6detail17trampoline_kernelINS0_14default_configENS1_29reduce_by_key_config_selectorIdlN6thrust23THRUST_200600_302600_NS4plusIlEEEEZZNS1_33reduce_by_key_impl_wrapped_configILNS1_25lookback_scan_determinismE0ES3_S9_PdNS6_17constant_iteratorIiNS6_11use_defaultESE_EENS6_10device_ptrIdEENSG_IlEEPmS8_NS6_8equal_toIdEEEE10hipError_tPvRmT2_T3_mT4_T5_T6_T7_T8_P12ihipStream_tbENKUlT_T0_E_clISt17integral_constantIbLb1EES12_IbLb0EEEEDaSY_SZ_EUlSY_E_NS1_11comp_targetILNS1_3genE5ELNS1_11target_archE942ELNS1_3gpuE9ELNS1_3repE0EEENS1_30default_config_static_selectorELNS0_4arch9wavefront6targetE1EEEvT1_
	.globl	_ZN7rocprim17ROCPRIM_400000_NS6detail17trampoline_kernelINS0_14default_configENS1_29reduce_by_key_config_selectorIdlN6thrust23THRUST_200600_302600_NS4plusIlEEEEZZNS1_33reduce_by_key_impl_wrapped_configILNS1_25lookback_scan_determinismE0ES3_S9_PdNS6_17constant_iteratorIiNS6_11use_defaultESE_EENS6_10device_ptrIdEENSG_IlEEPmS8_NS6_8equal_toIdEEEE10hipError_tPvRmT2_T3_mT4_T5_T6_T7_T8_P12ihipStream_tbENKUlT_T0_E_clISt17integral_constantIbLb1EES12_IbLb0EEEEDaSY_SZ_EUlSY_E_NS1_11comp_targetILNS1_3genE5ELNS1_11target_archE942ELNS1_3gpuE9ELNS1_3repE0EEENS1_30default_config_static_selectorELNS0_4arch9wavefront6targetE1EEEvT1_
	.p2align	8
	.type	_ZN7rocprim17ROCPRIM_400000_NS6detail17trampoline_kernelINS0_14default_configENS1_29reduce_by_key_config_selectorIdlN6thrust23THRUST_200600_302600_NS4plusIlEEEEZZNS1_33reduce_by_key_impl_wrapped_configILNS1_25lookback_scan_determinismE0ES3_S9_PdNS6_17constant_iteratorIiNS6_11use_defaultESE_EENS6_10device_ptrIdEENSG_IlEEPmS8_NS6_8equal_toIdEEEE10hipError_tPvRmT2_T3_mT4_T5_T6_T7_T8_P12ihipStream_tbENKUlT_T0_E_clISt17integral_constantIbLb1EES12_IbLb0EEEEDaSY_SZ_EUlSY_E_NS1_11comp_targetILNS1_3genE5ELNS1_11target_archE942ELNS1_3gpuE9ELNS1_3repE0EEENS1_30default_config_static_selectorELNS0_4arch9wavefront6targetE1EEEvT1_,@function
_ZN7rocprim17ROCPRIM_400000_NS6detail17trampoline_kernelINS0_14default_configENS1_29reduce_by_key_config_selectorIdlN6thrust23THRUST_200600_302600_NS4plusIlEEEEZZNS1_33reduce_by_key_impl_wrapped_configILNS1_25lookback_scan_determinismE0ES3_S9_PdNS6_17constant_iteratorIiNS6_11use_defaultESE_EENS6_10device_ptrIdEENSG_IlEEPmS8_NS6_8equal_toIdEEEE10hipError_tPvRmT2_T3_mT4_T5_T6_T7_T8_P12ihipStream_tbENKUlT_T0_E_clISt17integral_constantIbLb1EES12_IbLb0EEEEDaSY_SZ_EUlSY_E_NS1_11comp_targetILNS1_3genE5ELNS1_11target_archE942ELNS1_3gpuE9ELNS1_3repE0EEENS1_30default_config_static_selectorELNS0_4arch9wavefront6targetE1EEEvT1_: ; @_ZN7rocprim17ROCPRIM_400000_NS6detail17trampoline_kernelINS0_14default_configENS1_29reduce_by_key_config_selectorIdlN6thrust23THRUST_200600_302600_NS4plusIlEEEEZZNS1_33reduce_by_key_impl_wrapped_configILNS1_25lookback_scan_determinismE0ES3_S9_PdNS6_17constant_iteratorIiNS6_11use_defaultESE_EENS6_10device_ptrIdEENSG_IlEEPmS8_NS6_8equal_toIdEEEE10hipError_tPvRmT2_T3_mT4_T5_T6_T7_T8_P12ihipStream_tbENKUlT_T0_E_clISt17integral_constantIbLb1EES12_IbLb0EEEEDaSY_SZ_EUlSY_E_NS1_11comp_targetILNS1_3genE5ELNS1_11target_archE942ELNS1_3gpuE9ELNS1_3repE0EEENS1_30default_config_static_selectorELNS0_4arch9wavefront6targetE1EEEvT1_
; %bb.0:
	.section	.rodata,"a",@progbits
	.p2align	6, 0x0
	.amdhsa_kernel _ZN7rocprim17ROCPRIM_400000_NS6detail17trampoline_kernelINS0_14default_configENS1_29reduce_by_key_config_selectorIdlN6thrust23THRUST_200600_302600_NS4plusIlEEEEZZNS1_33reduce_by_key_impl_wrapped_configILNS1_25lookback_scan_determinismE0ES3_S9_PdNS6_17constant_iteratorIiNS6_11use_defaultESE_EENS6_10device_ptrIdEENSG_IlEEPmS8_NS6_8equal_toIdEEEE10hipError_tPvRmT2_T3_mT4_T5_T6_T7_T8_P12ihipStream_tbENKUlT_T0_E_clISt17integral_constantIbLb1EES12_IbLb0EEEEDaSY_SZ_EUlSY_E_NS1_11comp_targetILNS1_3genE5ELNS1_11target_archE942ELNS1_3gpuE9ELNS1_3repE0EEENS1_30default_config_static_selectorELNS0_4arch9wavefront6targetE1EEEvT1_
		.amdhsa_group_segment_fixed_size 0
		.amdhsa_private_segment_fixed_size 0
		.amdhsa_kernarg_size 144
		.amdhsa_user_sgpr_count 6
		.amdhsa_user_sgpr_private_segment_buffer 1
		.amdhsa_user_sgpr_dispatch_ptr 0
		.amdhsa_user_sgpr_queue_ptr 0
		.amdhsa_user_sgpr_kernarg_segment_ptr 1
		.amdhsa_user_sgpr_dispatch_id 0
		.amdhsa_user_sgpr_flat_scratch_init 0
		.amdhsa_user_sgpr_private_segment_size 0
		.amdhsa_uses_dynamic_stack 0
		.amdhsa_system_sgpr_private_segment_wavefront_offset 0
		.amdhsa_system_sgpr_workgroup_id_x 1
		.amdhsa_system_sgpr_workgroup_id_y 0
		.amdhsa_system_sgpr_workgroup_id_z 0
		.amdhsa_system_sgpr_workgroup_info 0
		.amdhsa_system_vgpr_workitem_id 0
		.amdhsa_next_free_vgpr 1
		.amdhsa_next_free_sgpr 0
		.amdhsa_reserve_vcc 0
		.amdhsa_reserve_flat_scratch 0
		.amdhsa_float_round_mode_32 0
		.amdhsa_float_round_mode_16_64 0
		.amdhsa_float_denorm_mode_32 3
		.amdhsa_float_denorm_mode_16_64 3
		.amdhsa_dx10_clamp 1
		.amdhsa_ieee_mode 1
		.amdhsa_fp16_overflow 0
		.amdhsa_exception_fp_ieee_invalid_op 0
		.amdhsa_exception_fp_denorm_src 0
		.amdhsa_exception_fp_ieee_div_zero 0
		.amdhsa_exception_fp_ieee_overflow 0
		.amdhsa_exception_fp_ieee_underflow 0
		.amdhsa_exception_fp_ieee_inexact 0
		.amdhsa_exception_int_div_zero 0
	.end_amdhsa_kernel
	.section	.text._ZN7rocprim17ROCPRIM_400000_NS6detail17trampoline_kernelINS0_14default_configENS1_29reduce_by_key_config_selectorIdlN6thrust23THRUST_200600_302600_NS4plusIlEEEEZZNS1_33reduce_by_key_impl_wrapped_configILNS1_25lookback_scan_determinismE0ES3_S9_PdNS6_17constant_iteratorIiNS6_11use_defaultESE_EENS6_10device_ptrIdEENSG_IlEEPmS8_NS6_8equal_toIdEEEE10hipError_tPvRmT2_T3_mT4_T5_T6_T7_T8_P12ihipStream_tbENKUlT_T0_E_clISt17integral_constantIbLb1EES12_IbLb0EEEEDaSY_SZ_EUlSY_E_NS1_11comp_targetILNS1_3genE5ELNS1_11target_archE942ELNS1_3gpuE9ELNS1_3repE0EEENS1_30default_config_static_selectorELNS0_4arch9wavefront6targetE1EEEvT1_,"axG",@progbits,_ZN7rocprim17ROCPRIM_400000_NS6detail17trampoline_kernelINS0_14default_configENS1_29reduce_by_key_config_selectorIdlN6thrust23THRUST_200600_302600_NS4plusIlEEEEZZNS1_33reduce_by_key_impl_wrapped_configILNS1_25lookback_scan_determinismE0ES3_S9_PdNS6_17constant_iteratorIiNS6_11use_defaultESE_EENS6_10device_ptrIdEENSG_IlEEPmS8_NS6_8equal_toIdEEEE10hipError_tPvRmT2_T3_mT4_T5_T6_T7_T8_P12ihipStream_tbENKUlT_T0_E_clISt17integral_constantIbLb1EES12_IbLb0EEEEDaSY_SZ_EUlSY_E_NS1_11comp_targetILNS1_3genE5ELNS1_11target_archE942ELNS1_3gpuE9ELNS1_3repE0EEENS1_30default_config_static_selectorELNS0_4arch9wavefront6targetE1EEEvT1_,comdat
.Lfunc_end1707:
	.size	_ZN7rocprim17ROCPRIM_400000_NS6detail17trampoline_kernelINS0_14default_configENS1_29reduce_by_key_config_selectorIdlN6thrust23THRUST_200600_302600_NS4plusIlEEEEZZNS1_33reduce_by_key_impl_wrapped_configILNS1_25lookback_scan_determinismE0ES3_S9_PdNS6_17constant_iteratorIiNS6_11use_defaultESE_EENS6_10device_ptrIdEENSG_IlEEPmS8_NS6_8equal_toIdEEEE10hipError_tPvRmT2_T3_mT4_T5_T6_T7_T8_P12ihipStream_tbENKUlT_T0_E_clISt17integral_constantIbLb1EES12_IbLb0EEEEDaSY_SZ_EUlSY_E_NS1_11comp_targetILNS1_3genE5ELNS1_11target_archE942ELNS1_3gpuE9ELNS1_3repE0EEENS1_30default_config_static_selectorELNS0_4arch9wavefront6targetE1EEEvT1_, .Lfunc_end1707-_ZN7rocprim17ROCPRIM_400000_NS6detail17trampoline_kernelINS0_14default_configENS1_29reduce_by_key_config_selectorIdlN6thrust23THRUST_200600_302600_NS4plusIlEEEEZZNS1_33reduce_by_key_impl_wrapped_configILNS1_25lookback_scan_determinismE0ES3_S9_PdNS6_17constant_iteratorIiNS6_11use_defaultESE_EENS6_10device_ptrIdEENSG_IlEEPmS8_NS6_8equal_toIdEEEE10hipError_tPvRmT2_T3_mT4_T5_T6_T7_T8_P12ihipStream_tbENKUlT_T0_E_clISt17integral_constantIbLb1EES12_IbLb0EEEEDaSY_SZ_EUlSY_E_NS1_11comp_targetILNS1_3genE5ELNS1_11target_archE942ELNS1_3gpuE9ELNS1_3repE0EEENS1_30default_config_static_selectorELNS0_4arch9wavefront6targetE1EEEvT1_
                                        ; -- End function
	.set _ZN7rocprim17ROCPRIM_400000_NS6detail17trampoline_kernelINS0_14default_configENS1_29reduce_by_key_config_selectorIdlN6thrust23THRUST_200600_302600_NS4plusIlEEEEZZNS1_33reduce_by_key_impl_wrapped_configILNS1_25lookback_scan_determinismE0ES3_S9_PdNS6_17constant_iteratorIiNS6_11use_defaultESE_EENS6_10device_ptrIdEENSG_IlEEPmS8_NS6_8equal_toIdEEEE10hipError_tPvRmT2_T3_mT4_T5_T6_T7_T8_P12ihipStream_tbENKUlT_T0_E_clISt17integral_constantIbLb1EES12_IbLb0EEEEDaSY_SZ_EUlSY_E_NS1_11comp_targetILNS1_3genE5ELNS1_11target_archE942ELNS1_3gpuE9ELNS1_3repE0EEENS1_30default_config_static_selectorELNS0_4arch9wavefront6targetE1EEEvT1_.num_vgpr, 0
	.set _ZN7rocprim17ROCPRIM_400000_NS6detail17trampoline_kernelINS0_14default_configENS1_29reduce_by_key_config_selectorIdlN6thrust23THRUST_200600_302600_NS4plusIlEEEEZZNS1_33reduce_by_key_impl_wrapped_configILNS1_25lookback_scan_determinismE0ES3_S9_PdNS6_17constant_iteratorIiNS6_11use_defaultESE_EENS6_10device_ptrIdEENSG_IlEEPmS8_NS6_8equal_toIdEEEE10hipError_tPvRmT2_T3_mT4_T5_T6_T7_T8_P12ihipStream_tbENKUlT_T0_E_clISt17integral_constantIbLb1EES12_IbLb0EEEEDaSY_SZ_EUlSY_E_NS1_11comp_targetILNS1_3genE5ELNS1_11target_archE942ELNS1_3gpuE9ELNS1_3repE0EEENS1_30default_config_static_selectorELNS0_4arch9wavefront6targetE1EEEvT1_.num_agpr, 0
	.set _ZN7rocprim17ROCPRIM_400000_NS6detail17trampoline_kernelINS0_14default_configENS1_29reduce_by_key_config_selectorIdlN6thrust23THRUST_200600_302600_NS4plusIlEEEEZZNS1_33reduce_by_key_impl_wrapped_configILNS1_25lookback_scan_determinismE0ES3_S9_PdNS6_17constant_iteratorIiNS6_11use_defaultESE_EENS6_10device_ptrIdEENSG_IlEEPmS8_NS6_8equal_toIdEEEE10hipError_tPvRmT2_T3_mT4_T5_T6_T7_T8_P12ihipStream_tbENKUlT_T0_E_clISt17integral_constantIbLb1EES12_IbLb0EEEEDaSY_SZ_EUlSY_E_NS1_11comp_targetILNS1_3genE5ELNS1_11target_archE942ELNS1_3gpuE9ELNS1_3repE0EEENS1_30default_config_static_selectorELNS0_4arch9wavefront6targetE1EEEvT1_.numbered_sgpr, 0
	.set _ZN7rocprim17ROCPRIM_400000_NS6detail17trampoline_kernelINS0_14default_configENS1_29reduce_by_key_config_selectorIdlN6thrust23THRUST_200600_302600_NS4plusIlEEEEZZNS1_33reduce_by_key_impl_wrapped_configILNS1_25lookback_scan_determinismE0ES3_S9_PdNS6_17constant_iteratorIiNS6_11use_defaultESE_EENS6_10device_ptrIdEENSG_IlEEPmS8_NS6_8equal_toIdEEEE10hipError_tPvRmT2_T3_mT4_T5_T6_T7_T8_P12ihipStream_tbENKUlT_T0_E_clISt17integral_constantIbLb1EES12_IbLb0EEEEDaSY_SZ_EUlSY_E_NS1_11comp_targetILNS1_3genE5ELNS1_11target_archE942ELNS1_3gpuE9ELNS1_3repE0EEENS1_30default_config_static_selectorELNS0_4arch9wavefront6targetE1EEEvT1_.num_named_barrier, 0
	.set _ZN7rocprim17ROCPRIM_400000_NS6detail17trampoline_kernelINS0_14default_configENS1_29reduce_by_key_config_selectorIdlN6thrust23THRUST_200600_302600_NS4plusIlEEEEZZNS1_33reduce_by_key_impl_wrapped_configILNS1_25lookback_scan_determinismE0ES3_S9_PdNS6_17constant_iteratorIiNS6_11use_defaultESE_EENS6_10device_ptrIdEENSG_IlEEPmS8_NS6_8equal_toIdEEEE10hipError_tPvRmT2_T3_mT4_T5_T6_T7_T8_P12ihipStream_tbENKUlT_T0_E_clISt17integral_constantIbLb1EES12_IbLb0EEEEDaSY_SZ_EUlSY_E_NS1_11comp_targetILNS1_3genE5ELNS1_11target_archE942ELNS1_3gpuE9ELNS1_3repE0EEENS1_30default_config_static_selectorELNS0_4arch9wavefront6targetE1EEEvT1_.private_seg_size, 0
	.set _ZN7rocprim17ROCPRIM_400000_NS6detail17trampoline_kernelINS0_14default_configENS1_29reduce_by_key_config_selectorIdlN6thrust23THRUST_200600_302600_NS4plusIlEEEEZZNS1_33reduce_by_key_impl_wrapped_configILNS1_25lookback_scan_determinismE0ES3_S9_PdNS6_17constant_iteratorIiNS6_11use_defaultESE_EENS6_10device_ptrIdEENSG_IlEEPmS8_NS6_8equal_toIdEEEE10hipError_tPvRmT2_T3_mT4_T5_T6_T7_T8_P12ihipStream_tbENKUlT_T0_E_clISt17integral_constantIbLb1EES12_IbLb0EEEEDaSY_SZ_EUlSY_E_NS1_11comp_targetILNS1_3genE5ELNS1_11target_archE942ELNS1_3gpuE9ELNS1_3repE0EEENS1_30default_config_static_selectorELNS0_4arch9wavefront6targetE1EEEvT1_.uses_vcc, 0
	.set _ZN7rocprim17ROCPRIM_400000_NS6detail17trampoline_kernelINS0_14default_configENS1_29reduce_by_key_config_selectorIdlN6thrust23THRUST_200600_302600_NS4plusIlEEEEZZNS1_33reduce_by_key_impl_wrapped_configILNS1_25lookback_scan_determinismE0ES3_S9_PdNS6_17constant_iteratorIiNS6_11use_defaultESE_EENS6_10device_ptrIdEENSG_IlEEPmS8_NS6_8equal_toIdEEEE10hipError_tPvRmT2_T3_mT4_T5_T6_T7_T8_P12ihipStream_tbENKUlT_T0_E_clISt17integral_constantIbLb1EES12_IbLb0EEEEDaSY_SZ_EUlSY_E_NS1_11comp_targetILNS1_3genE5ELNS1_11target_archE942ELNS1_3gpuE9ELNS1_3repE0EEENS1_30default_config_static_selectorELNS0_4arch9wavefront6targetE1EEEvT1_.uses_flat_scratch, 0
	.set _ZN7rocprim17ROCPRIM_400000_NS6detail17trampoline_kernelINS0_14default_configENS1_29reduce_by_key_config_selectorIdlN6thrust23THRUST_200600_302600_NS4plusIlEEEEZZNS1_33reduce_by_key_impl_wrapped_configILNS1_25lookback_scan_determinismE0ES3_S9_PdNS6_17constant_iteratorIiNS6_11use_defaultESE_EENS6_10device_ptrIdEENSG_IlEEPmS8_NS6_8equal_toIdEEEE10hipError_tPvRmT2_T3_mT4_T5_T6_T7_T8_P12ihipStream_tbENKUlT_T0_E_clISt17integral_constantIbLb1EES12_IbLb0EEEEDaSY_SZ_EUlSY_E_NS1_11comp_targetILNS1_3genE5ELNS1_11target_archE942ELNS1_3gpuE9ELNS1_3repE0EEENS1_30default_config_static_selectorELNS0_4arch9wavefront6targetE1EEEvT1_.has_dyn_sized_stack, 0
	.set _ZN7rocprim17ROCPRIM_400000_NS6detail17trampoline_kernelINS0_14default_configENS1_29reduce_by_key_config_selectorIdlN6thrust23THRUST_200600_302600_NS4plusIlEEEEZZNS1_33reduce_by_key_impl_wrapped_configILNS1_25lookback_scan_determinismE0ES3_S9_PdNS6_17constant_iteratorIiNS6_11use_defaultESE_EENS6_10device_ptrIdEENSG_IlEEPmS8_NS6_8equal_toIdEEEE10hipError_tPvRmT2_T3_mT4_T5_T6_T7_T8_P12ihipStream_tbENKUlT_T0_E_clISt17integral_constantIbLb1EES12_IbLb0EEEEDaSY_SZ_EUlSY_E_NS1_11comp_targetILNS1_3genE5ELNS1_11target_archE942ELNS1_3gpuE9ELNS1_3repE0EEENS1_30default_config_static_selectorELNS0_4arch9wavefront6targetE1EEEvT1_.has_recursion, 0
	.set _ZN7rocprim17ROCPRIM_400000_NS6detail17trampoline_kernelINS0_14default_configENS1_29reduce_by_key_config_selectorIdlN6thrust23THRUST_200600_302600_NS4plusIlEEEEZZNS1_33reduce_by_key_impl_wrapped_configILNS1_25lookback_scan_determinismE0ES3_S9_PdNS6_17constant_iteratorIiNS6_11use_defaultESE_EENS6_10device_ptrIdEENSG_IlEEPmS8_NS6_8equal_toIdEEEE10hipError_tPvRmT2_T3_mT4_T5_T6_T7_T8_P12ihipStream_tbENKUlT_T0_E_clISt17integral_constantIbLb1EES12_IbLb0EEEEDaSY_SZ_EUlSY_E_NS1_11comp_targetILNS1_3genE5ELNS1_11target_archE942ELNS1_3gpuE9ELNS1_3repE0EEENS1_30default_config_static_selectorELNS0_4arch9wavefront6targetE1EEEvT1_.has_indirect_call, 0
	.section	.AMDGPU.csdata,"",@progbits
; Kernel info:
; codeLenInByte = 0
; TotalNumSgprs: 4
; NumVgprs: 0
; ScratchSize: 0
; MemoryBound: 0
; FloatMode: 240
; IeeeMode: 1
; LDSByteSize: 0 bytes/workgroup (compile time only)
; SGPRBlocks: 0
; VGPRBlocks: 0
; NumSGPRsForWavesPerEU: 4
; NumVGPRsForWavesPerEU: 1
; Occupancy: 10
; WaveLimiterHint : 0
; COMPUTE_PGM_RSRC2:SCRATCH_EN: 0
; COMPUTE_PGM_RSRC2:USER_SGPR: 6
; COMPUTE_PGM_RSRC2:TRAP_HANDLER: 0
; COMPUTE_PGM_RSRC2:TGID_X_EN: 1
; COMPUTE_PGM_RSRC2:TGID_Y_EN: 0
; COMPUTE_PGM_RSRC2:TGID_Z_EN: 0
; COMPUTE_PGM_RSRC2:TIDIG_COMP_CNT: 0
	.section	.text._ZN7rocprim17ROCPRIM_400000_NS6detail17trampoline_kernelINS0_14default_configENS1_29reduce_by_key_config_selectorIdlN6thrust23THRUST_200600_302600_NS4plusIlEEEEZZNS1_33reduce_by_key_impl_wrapped_configILNS1_25lookback_scan_determinismE0ES3_S9_PdNS6_17constant_iteratorIiNS6_11use_defaultESE_EENS6_10device_ptrIdEENSG_IlEEPmS8_NS6_8equal_toIdEEEE10hipError_tPvRmT2_T3_mT4_T5_T6_T7_T8_P12ihipStream_tbENKUlT_T0_E_clISt17integral_constantIbLb1EES12_IbLb0EEEEDaSY_SZ_EUlSY_E_NS1_11comp_targetILNS1_3genE4ELNS1_11target_archE910ELNS1_3gpuE8ELNS1_3repE0EEENS1_30default_config_static_selectorELNS0_4arch9wavefront6targetE1EEEvT1_,"axG",@progbits,_ZN7rocprim17ROCPRIM_400000_NS6detail17trampoline_kernelINS0_14default_configENS1_29reduce_by_key_config_selectorIdlN6thrust23THRUST_200600_302600_NS4plusIlEEEEZZNS1_33reduce_by_key_impl_wrapped_configILNS1_25lookback_scan_determinismE0ES3_S9_PdNS6_17constant_iteratorIiNS6_11use_defaultESE_EENS6_10device_ptrIdEENSG_IlEEPmS8_NS6_8equal_toIdEEEE10hipError_tPvRmT2_T3_mT4_T5_T6_T7_T8_P12ihipStream_tbENKUlT_T0_E_clISt17integral_constantIbLb1EES12_IbLb0EEEEDaSY_SZ_EUlSY_E_NS1_11comp_targetILNS1_3genE4ELNS1_11target_archE910ELNS1_3gpuE8ELNS1_3repE0EEENS1_30default_config_static_selectorELNS0_4arch9wavefront6targetE1EEEvT1_,comdat
	.protected	_ZN7rocprim17ROCPRIM_400000_NS6detail17trampoline_kernelINS0_14default_configENS1_29reduce_by_key_config_selectorIdlN6thrust23THRUST_200600_302600_NS4plusIlEEEEZZNS1_33reduce_by_key_impl_wrapped_configILNS1_25lookback_scan_determinismE0ES3_S9_PdNS6_17constant_iteratorIiNS6_11use_defaultESE_EENS6_10device_ptrIdEENSG_IlEEPmS8_NS6_8equal_toIdEEEE10hipError_tPvRmT2_T3_mT4_T5_T6_T7_T8_P12ihipStream_tbENKUlT_T0_E_clISt17integral_constantIbLb1EES12_IbLb0EEEEDaSY_SZ_EUlSY_E_NS1_11comp_targetILNS1_3genE4ELNS1_11target_archE910ELNS1_3gpuE8ELNS1_3repE0EEENS1_30default_config_static_selectorELNS0_4arch9wavefront6targetE1EEEvT1_ ; -- Begin function _ZN7rocprim17ROCPRIM_400000_NS6detail17trampoline_kernelINS0_14default_configENS1_29reduce_by_key_config_selectorIdlN6thrust23THRUST_200600_302600_NS4plusIlEEEEZZNS1_33reduce_by_key_impl_wrapped_configILNS1_25lookback_scan_determinismE0ES3_S9_PdNS6_17constant_iteratorIiNS6_11use_defaultESE_EENS6_10device_ptrIdEENSG_IlEEPmS8_NS6_8equal_toIdEEEE10hipError_tPvRmT2_T3_mT4_T5_T6_T7_T8_P12ihipStream_tbENKUlT_T0_E_clISt17integral_constantIbLb1EES12_IbLb0EEEEDaSY_SZ_EUlSY_E_NS1_11comp_targetILNS1_3genE4ELNS1_11target_archE910ELNS1_3gpuE8ELNS1_3repE0EEENS1_30default_config_static_selectorELNS0_4arch9wavefront6targetE1EEEvT1_
	.globl	_ZN7rocprim17ROCPRIM_400000_NS6detail17trampoline_kernelINS0_14default_configENS1_29reduce_by_key_config_selectorIdlN6thrust23THRUST_200600_302600_NS4plusIlEEEEZZNS1_33reduce_by_key_impl_wrapped_configILNS1_25lookback_scan_determinismE0ES3_S9_PdNS6_17constant_iteratorIiNS6_11use_defaultESE_EENS6_10device_ptrIdEENSG_IlEEPmS8_NS6_8equal_toIdEEEE10hipError_tPvRmT2_T3_mT4_T5_T6_T7_T8_P12ihipStream_tbENKUlT_T0_E_clISt17integral_constantIbLb1EES12_IbLb0EEEEDaSY_SZ_EUlSY_E_NS1_11comp_targetILNS1_3genE4ELNS1_11target_archE910ELNS1_3gpuE8ELNS1_3repE0EEENS1_30default_config_static_selectorELNS0_4arch9wavefront6targetE1EEEvT1_
	.p2align	8
	.type	_ZN7rocprim17ROCPRIM_400000_NS6detail17trampoline_kernelINS0_14default_configENS1_29reduce_by_key_config_selectorIdlN6thrust23THRUST_200600_302600_NS4plusIlEEEEZZNS1_33reduce_by_key_impl_wrapped_configILNS1_25lookback_scan_determinismE0ES3_S9_PdNS6_17constant_iteratorIiNS6_11use_defaultESE_EENS6_10device_ptrIdEENSG_IlEEPmS8_NS6_8equal_toIdEEEE10hipError_tPvRmT2_T3_mT4_T5_T6_T7_T8_P12ihipStream_tbENKUlT_T0_E_clISt17integral_constantIbLb1EES12_IbLb0EEEEDaSY_SZ_EUlSY_E_NS1_11comp_targetILNS1_3genE4ELNS1_11target_archE910ELNS1_3gpuE8ELNS1_3repE0EEENS1_30default_config_static_selectorELNS0_4arch9wavefront6targetE1EEEvT1_,@function
_ZN7rocprim17ROCPRIM_400000_NS6detail17trampoline_kernelINS0_14default_configENS1_29reduce_by_key_config_selectorIdlN6thrust23THRUST_200600_302600_NS4plusIlEEEEZZNS1_33reduce_by_key_impl_wrapped_configILNS1_25lookback_scan_determinismE0ES3_S9_PdNS6_17constant_iteratorIiNS6_11use_defaultESE_EENS6_10device_ptrIdEENSG_IlEEPmS8_NS6_8equal_toIdEEEE10hipError_tPvRmT2_T3_mT4_T5_T6_T7_T8_P12ihipStream_tbENKUlT_T0_E_clISt17integral_constantIbLb1EES12_IbLb0EEEEDaSY_SZ_EUlSY_E_NS1_11comp_targetILNS1_3genE4ELNS1_11target_archE910ELNS1_3gpuE8ELNS1_3repE0EEENS1_30default_config_static_selectorELNS0_4arch9wavefront6targetE1EEEvT1_: ; @_ZN7rocprim17ROCPRIM_400000_NS6detail17trampoline_kernelINS0_14default_configENS1_29reduce_by_key_config_selectorIdlN6thrust23THRUST_200600_302600_NS4plusIlEEEEZZNS1_33reduce_by_key_impl_wrapped_configILNS1_25lookback_scan_determinismE0ES3_S9_PdNS6_17constant_iteratorIiNS6_11use_defaultESE_EENS6_10device_ptrIdEENSG_IlEEPmS8_NS6_8equal_toIdEEEE10hipError_tPvRmT2_T3_mT4_T5_T6_T7_T8_P12ihipStream_tbENKUlT_T0_E_clISt17integral_constantIbLb1EES12_IbLb0EEEEDaSY_SZ_EUlSY_E_NS1_11comp_targetILNS1_3genE4ELNS1_11target_archE910ELNS1_3gpuE8ELNS1_3repE0EEENS1_30default_config_static_selectorELNS0_4arch9wavefront6targetE1EEEvT1_
; %bb.0:
	.section	.rodata,"a",@progbits
	.p2align	6, 0x0
	.amdhsa_kernel _ZN7rocprim17ROCPRIM_400000_NS6detail17trampoline_kernelINS0_14default_configENS1_29reduce_by_key_config_selectorIdlN6thrust23THRUST_200600_302600_NS4plusIlEEEEZZNS1_33reduce_by_key_impl_wrapped_configILNS1_25lookback_scan_determinismE0ES3_S9_PdNS6_17constant_iteratorIiNS6_11use_defaultESE_EENS6_10device_ptrIdEENSG_IlEEPmS8_NS6_8equal_toIdEEEE10hipError_tPvRmT2_T3_mT4_T5_T6_T7_T8_P12ihipStream_tbENKUlT_T0_E_clISt17integral_constantIbLb1EES12_IbLb0EEEEDaSY_SZ_EUlSY_E_NS1_11comp_targetILNS1_3genE4ELNS1_11target_archE910ELNS1_3gpuE8ELNS1_3repE0EEENS1_30default_config_static_selectorELNS0_4arch9wavefront6targetE1EEEvT1_
		.amdhsa_group_segment_fixed_size 0
		.amdhsa_private_segment_fixed_size 0
		.amdhsa_kernarg_size 144
		.amdhsa_user_sgpr_count 6
		.amdhsa_user_sgpr_private_segment_buffer 1
		.amdhsa_user_sgpr_dispatch_ptr 0
		.amdhsa_user_sgpr_queue_ptr 0
		.amdhsa_user_sgpr_kernarg_segment_ptr 1
		.amdhsa_user_sgpr_dispatch_id 0
		.amdhsa_user_sgpr_flat_scratch_init 0
		.amdhsa_user_sgpr_private_segment_size 0
		.amdhsa_uses_dynamic_stack 0
		.amdhsa_system_sgpr_private_segment_wavefront_offset 0
		.amdhsa_system_sgpr_workgroup_id_x 1
		.amdhsa_system_sgpr_workgroup_id_y 0
		.amdhsa_system_sgpr_workgroup_id_z 0
		.amdhsa_system_sgpr_workgroup_info 0
		.amdhsa_system_vgpr_workitem_id 0
		.amdhsa_next_free_vgpr 1
		.amdhsa_next_free_sgpr 0
		.amdhsa_reserve_vcc 0
		.amdhsa_reserve_flat_scratch 0
		.amdhsa_float_round_mode_32 0
		.amdhsa_float_round_mode_16_64 0
		.amdhsa_float_denorm_mode_32 3
		.amdhsa_float_denorm_mode_16_64 3
		.amdhsa_dx10_clamp 1
		.amdhsa_ieee_mode 1
		.amdhsa_fp16_overflow 0
		.amdhsa_exception_fp_ieee_invalid_op 0
		.amdhsa_exception_fp_denorm_src 0
		.amdhsa_exception_fp_ieee_div_zero 0
		.amdhsa_exception_fp_ieee_overflow 0
		.amdhsa_exception_fp_ieee_underflow 0
		.amdhsa_exception_fp_ieee_inexact 0
		.amdhsa_exception_int_div_zero 0
	.end_amdhsa_kernel
	.section	.text._ZN7rocprim17ROCPRIM_400000_NS6detail17trampoline_kernelINS0_14default_configENS1_29reduce_by_key_config_selectorIdlN6thrust23THRUST_200600_302600_NS4plusIlEEEEZZNS1_33reduce_by_key_impl_wrapped_configILNS1_25lookback_scan_determinismE0ES3_S9_PdNS6_17constant_iteratorIiNS6_11use_defaultESE_EENS6_10device_ptrIdEENSG_IlEEPmS8_NS6_8equal_toIdEEEE10hipError_tPvRmT2_T3_mT4_T5_T6_T7_T8_P12ihipStream_tbENKUlT_T0_E_clISt17integral_constantIbLb1EES12_IbLb0EEEEDaSY_SZ_EUlSY_E_NS1_11comp_targetILNS1_3genE4ELNS1_11target_archE910ELNS1_3gpuE8ELNS1_3repE0EEENS1_30default_config_static_selectorELNS0_4arch9wavefront6targetE1EEEvT1_,"axG",@progbits,_ZN7rocprim17ROCPRIM_400000_NS6detail17trampoline_kernelINS0_14default_configENS1_29reduce_by_key_config_selectorIdlN6thrust23THRUST_200600_302600_NS4plusIlEEEEZZNS1_33reduce_by_key_impl_wrapped_configILNS1_25lookback_scan_determinismE0ES3_S9_PdNS6_17constant_iteratorIiNS6_11use_defaultESE_EENS6_10device_ptrIdEENSG_IlEEPmS8_NS6_8equal_toIdEEEE10hipError_tPvRmT2_T3_mT4_T5_T6_T7_T8_P12ihipStream_tbENKUlT_T0_E_clISt17integral_constantIbLb1EES12_IbLb0EEEEDaSY_SZ_EUlSY_E_NS1_11comp_targetILNS1_3genE4ELNS1_11target_archE910ELNS1_3gpuE8ELNS1_3repE0EEENS1_30default_config_static_selectorELNS0_4arch9wavefront6targetE1EEEvT1_,comdat
.Lfunc_end1708:
	.size	_ZN7rocprim17ROCPRIM_400000_NS6detail17trampoline_kernelINS0_14default_configENS1_29reduce_by_key_config_selectorIdlN6thrust23THRUST_200600_302600_NS4plusIlEEEEZZNS1_33reduce_by_key_impl_wrapped_configILNS1_25lookback_scan_determinismE0ES3_S9_PdNS6_17constant_iteratorIiNS6_11use_defaultESE_EENS6_10device_ptrIdEENSG_IlEEPmS8_NS6_8equal_toIdEEEE10hipError_tPvRmT2_T3_mT4_T5_T6_T7_T8_P12ihipStream_tbENKUlT_T0_E_clISt17integral_constantIbLb1EES12_IbLb0EEEEDaSY_SZ_EUlSY_E_NS1_11comp_targetILNS1_3genE4ELNS1_11target_archE910ELNS1_3gpuE8ELNS1_3repE0EEENS1_30default_config_static_selectorELNS0_4arch9wavefront6targetE1EEEvT1_, .Lfunc_end1708-_ZN7rocprim17ROCPRIM_400000_NS6detail17trampoline_kernelINS0_14default_configENS1_29reduce_by_key_config_selectorIdlN6thrust23THRUST_200600_302600_NS4plusIlEEEEZZNS1_33reduce_by_key_impl_wrapped_configILNS1_25lookback_scan_determinismE0ES3_S9_PdNS6_17constant_iteratorIiNS6_11use_defaultESE_EENS6_10device_ptrIdEENSG_IlEEPmS8_NS6_8equal_toIdEEEE10hipError_tPvRmT2_T3_mT4_T5_T6_T7_T8_P12ihipStream_tbENKUlT_T0_E_clISt17integral_constantIbLb1EES12_IbLb0EEEEDaSY_SZ_EUlSY_E_NS1_11comp_targetILNS1_3genE4ELNS1_11target_archE910ELNS1_3gpuE8ELNS1_3repE0EEENS1_30default_config_static_selectorELNS0_4arch9wavefront6targetE1EEEvT1_
                                        ; -- End function
	.set _ZN7rocprim17ROCPRIM_400000_NS6detail17trampoline_kernelINS0_14default_configENS1_29reduce_by_key_config_selectorIdlN6thrust23THRUST_200600_302600_NS4plusIlEEEEZZNS1_33reduce_by_key_impl_wrapped_configILNS1_25lookback_scan_determinismE0ES3_S9_PdNS6_17constant_iteratorIiNS6_11use_defaultESE_EENS6_10device_ptrIdEENSG_IlEEPmS8_NS6_8equal_toIdEEEE10hipError_tPvRmT2_T3_mT4_T5_T6_T7_T8_P12ihipStream_tbENKUlT_T0_E_clISt17integral_constantIbLb1EES12_IbLb0EEEEDaSY_SZ_EUlSY_E_NS1_11comp_targetILNS1_3genE4ELNS1_11target_archE910ELNS1_3gpuE8ELNS1_3repE0EEENS1_30default_config_static_selectorELNS0_4arch9wavefront6targetE1EEEvT1_.num_vgpr, 0
	.set _ZN7rocprim17ROCPRIM_400000_NS6detail17trampoline_kernelINS0_14default_configENS1_29reduce_by_key_config_selectorIdlN6thrust23THRUST_200600_302600_NS4plusIlEEEEZZNS1_33reduce_by_key_impl_wrapped_configILNS1_25lookback_scan_determinismE0ES3_S9_PdNS6_17constant_iteratorIiNS6_11use_defaultESE_EENS6_10device_ptrIdEENSG_IlEEPmS8_NS6_8equal_toIdEEEE10hipError_tPvRmT2_T3_mT4_T5_T6_T7_T8_P12ihipStream_tbENKUlT_T0_E_clISt17integral_constantIbLb1EES12_IbLb0EEEEDaSY_SZ_EUlSY_E_NS1_11comp_targetILNS1_3genE4ELNS1_11target_archE910ELNS1_3gpuE8ELNS1_3repE0EEENS1_30default_config_static_selectorELNS0_4arch9wavefront6targetE1EEEvT1_.num_agpr, 0
	.set _ZN7rocprim17ROCPRIM_400000_NS6detail17trampoline_kernelINS0_14default_configENS1_29reduce_by_key_config_selectorIdlN6thrust23THRUST_200600_302600_NS4plusIlEEEEZZNS1_33reduce_by_key_impl_wrapped_configILNS1_25lookback_scan_determinismE0ES3_S9_PdNS6_17constant_iteratorIiNS6_11use_defaultESE_EENS6_10device_ptrIdEENSG_IlEEPmS8_NS6_8equal_toIdEEEE10hipError_tPvRmT2_T3_mT4_T5_T6_T7_T8_P12ihipStream_tbENKUlT_T0_E_clISt17integral_constantIbLb1EES12_IbLb0EEEEDaSY_SZ_EUlSY_E_NS1_11comp_targetILNS1_3genE4ELNS1_11target_archE910ELNS1_3gpuE8ELNS1_3repE0EEENS1_30default_config_static_selectorELNS0_4arch9wavefront6targetE1EEEvT1_.numbered_sgpr, 0
	.set _ZN7rocprim17ROCPRIM_400000_NS6detail17trampoline_kernelINS0_14default_configENS1_29reduce_by_key_config_selectorIdlN6thrust23THRUST_200600_302600_NS4plusIlEEEEZZNS1_33reduce_by_key_impl_wrapped_configILNS1_25lookback_scan_determinismE0ES3_S9_PdNS6_17constant_iteratorIiNS6_11use_defaultESE_EENS6_10device_ptrIdEENSG_IlEEPmS8_NS6_8equal_toIdEEEE10hipError_tPvRmT2_T3_mT4_T5_T6_T7_T8_P12ihipStream_tbENKUlT_T0_E_clISt17integral_constantIbLb1EES12_IbLb0EEEEDaSY_SZ_EUlSY_E_NS1_11comp_targetILNS1_3genE4ELNS1_11target_archE910ELNS1_3gpuE8ELNS1_3repE0EEENS1_30default_config_static_selectorELNS0_4arch9wavefront6targetE1EEEvT1_.num_named_barrier, 0
	.set _ZN7rocprim17ROCPRIM_400000_NS6detail17trampoline_kernelINS0_14default_configENS1_29reduce_by_key_config_selectorIdlN6thrust23THRUST_200600_302600_NS4plusIlEEEEZZNS1_33reduce_by_key_impl_wrapped_configILNS1_25lookback_scan_determinismE0ES3_S9_PdNS6_17constant_iteratorIiNS6_11use_defaultESE_EENS6_10device_ptrIdEENSG_IlEEPmS8_NS6_8equal_toIdEEEE10hipError_tPvRmT2_T3_mT4_T5_T6_T7_T8_P12ihipStream_tbENKUlT_T0_E_clISt17integral_constantIbLb1EES12_IbLb0EEEEDaSY_SZ_EUlSY_E_NS1_11comp_targetILNS1_3genE4ELNS1_11target_archE910ELNS1_3gpuE8ELNS1_3repE0EEENS1_30default_config_static_selectorELNS0_4arch9wavefront6targetE1EEEvT1_.private_seg_size, 0
	.set _ZN7rocprim17ROCPRIM_400000_NS6detail17trampoline_kernelINS0_14default_configENS1_29reduce_by_key_config_selectorIdlN6thrust23THRUST_200600_302600_NS4plusIlEEEEZZNS1_33reduce_by_key_impl_wrapped_configILNS1_25lookback_scan_determinismE0ES3_S9_PdNS6_17constant_iteratorIiNS6_11use_defaultESE_EENS6_10device_ptrIdEENSG_IlEEPmS8_NS6_8equal_toIdEEEE10hipError_tPvRmT2_T3_mT4_T5_T6_T7_T8_P12ihipStream_tbENKUlT_T0_E_clISt17integral_constantIbLb1EES12_IbLb0EEEEDaSY_SZ_EUlSY_E_NS1_11comp_targetILNS1_3genE4ELNS1_11target_archE910ELNS1_3gpuE8ELNS1_3repE0EEENS1_30default_config_static_selectorELNS0_4arch9wavefront6targetE1EEEvT1_.uses_vcc, 0
	.set _ZN7rocprim17ROCPRIM_400000_NS6detail17trampoline_kernelINS0_14default_configENS1_29reduce_by_key_config_selectorIdlN6thrust23THRUST_200600_302600_NS4plusIlEEEEZZNS1_33reduce_by_key_impl_wrapped_configILNS1_25lookback_scan_determinismE0ES3_S9_PdNS6_17constant_iteratorIiNS6_11use_defaultESE_EENS6_10device_ptrIdEENSG_IlEEPmS8_NS6_8equal_toIdEEEE10hipError_tPvRmT2_T3_mT4_T5_T6_T7_T8_P12ihipStream_tbENKUlT_T0_E_clISt17integral_constantIbLb1EES12_IbLb0EEEEDaSY_SZ_EUlSY_E_NS1_11comp_targetILNS1_3genE4ELNS1_11target_archE910ELNS1_3gpuE8ELNS1_3repE0EEENS1_30default_config_static_selectorELNS0_4arch9wavefront6targetE1EEEvT1_.uses_flat_scratch, 0
	.set _ZN7rocprim17ROCPRIM_400000_NS6detail17trampoline_kernelINS0_14default_configENS1_29reduce_by_key_config_selectorIdlN6thrust23THRUST_200600_302600_NS4plusIlEEEEZZNS1_33reduce_by_key_impl_wrapped_configILNS1_25lookback_scan_determinismE0ES3_S9_PdNS6_17constant_iteratorIiNS6_11use_defaultESE_EENS6_10device_ptrIdEENSG_IlEEPmS8_NS6_8equal_toIdEEEE10hipError_tPvRmT2_T3_mT4_T5_T6_T7_T8_P12ihipStream_tbENKUlT_T0_E_clISt17integral_constantIbLb1EES12_IbLb0EEEEDaSY_SZ_EUlSY_E_NS1_11comp_targetILNS1_3genE4ELNS1_11target_archE910ELNS1_3gpuE8ELNS1_3repE0EEENS1_30default_config_static_selectorELNS0_4arch9wavefront6targetE1EEEvT1_.has_dyn_sized_stack, 0
	.set _ZN7rocprim17ROCPRIM_400000_NS6detail17trampoline_kernelINS0_14default_configENS1_29reduce_by_key_config_selectorIdlN6thrust23THRUST_200600_302600_NS4plusIlEEEEZZNS1_33reduce_by_key_impl_wrapped_configILNS1_25lookback_scan_determinismE0ES3_S9_PdNS6_17constant_iteratorIiNS6_11use_defaultESE_EENS6_10device_ptrIdEENSG_IlEEPmS8_NS6_8equal_toIdEEEE10hipError_tPvRmT2_T3_mT4_T5_T6_T7_T8_P12ihipStream_tbENKUlT_T0_E_clISt17integral_constantIbLb1EES12_IbLb0EEEEDaSY_SZ_EUlSY_E_NS1_11comp_targetILNS1_3genE4ELNS1_11target_archE910ELNS1_3gpuE8ELNS1_3repE0EEENS1_30default_config_static_selectorELNS0_4arch9wavefront6targetE1EEEvT1_.has_recursion, 0
	.set _ZN7rocprim17ROCPRIM_400000_NS6detail17trampoline_kernelINS0_14default_configENS1_29reduce_by_key_config_selectorIdlN6thrust23THRUST_200600_302600_NS4plusIlEEEEZZNS1_33reduce_by_key_impl_wrapped_configILNS1_25lookback_scan_determinismE0ES3_S9_PdNS6_17constant_iteratorIiNS6_11use_defaultESE_EENS6_10device_ptrIdEENSG_IlEEPmS8_NS6_8equal_toIdEEEE10hipError_tPvRmT2_T3_mT4_T5_T6_T7_T8_P12ihipStream_tbENKUlT_T0_E_clISt17integral_constantIbLb1EES12_IbLb0EEEEDaSY_SZ_EUlSY_E_NS1_11comp_targetILNS1_3genE4ELNS1_11target_archE910ELNS1_3gpuE8ELNS1_3repE0EEENS1_30default_config_static_selectorELNS0_4arch9wavefront6targetE1EEEvT1_.has_indirect_call, 0
	.section	.AMDGPU.csdata,"",@progbits
; Kernel info:
; codeLenInByte = 0
; TotalNumSgprs: 4
; NumVgprs: 0
; ScratchSize: 0
; MemoryBound: 0
; FloatMode: 240
; IeeeMode: 1
; LDSByteSize: 0 bytes/workgroup (compile time only)
; SGPRBlocks: 0
; VGPRBlocks: 0
; NumSGPRsForWavesPerEU: 4
; NumVGPRsForWavesPerEU: 1
; Occupancy: 10
; WaveLimiterHint : 0
; COMPUTE_PGM_RSRC2:SCRATCH_EN: 0
; COMPUTE_PGM_RSRC2:USER_SGPR: 6
; COMPUTE_PGM_RSRC2:TRAP_HANDLER: 0
; COMPUTE_PGM_RSRC2:TGID_X_EN: 1
; COMPUTE_PGM_RSRC2:TGID_Y_EN: 0
; COMPUTE_PGM_RSRC2:TGID_Z_EN: 0
; COMPUTE_PGM_RSRC2:TIDIG_COMP_CNT: 0
	.section	.text._ZN7rocprim17ROCPRIM_400000_NS6detail17trampoline_kernelINS0_14default_configENS1_29reduce_by_key_config_selectorIdlN6thrust23THRUST_200600_302600_NS4plusIlEEEEZZNS1_33reduce_by_key_impl_wrapped_configILNS1_25lookback_scan_determinismE0ES3_S9_PdNS6_17constant_iteratorIiNS6_11use_defaultESE_EENS6_10device_ptrIdEENSG_IlEEPmS8_NS6_8equal_toIdEEEE10hipError_tPvRmT2_T3_mT4_T5_T6_T7_T8_P12ihipStream_tbENKUlT_T0_E_clISt17integral_constantIbLb1EES12_IbLb0EEEEDaSY_SZ_EUlSY_E_NS1_11comp_targetILNS1_3genE3ELNS1_11target_archE908ELNS1_3gpuE7ELNS1_3repE0EEENS1_30default_config_static_selectorELNS0_4arch9wavefront6targetE1EEEvT1_,"axG",@progbits,_ZN7rocprim17ROCPRIM_400000_NS6detail17trampoline_kernelINS0_14default_configENS1_29reduce_by_key_config_selectorIdlN6thrust23THRUST_200600_302600_NS4plusIlEEEEZZNS1_33reduce_by_key_impl_wrapped_configILNS1_25lookback_scan_determinismE0ES3_S9_PdNS6_17constant_iteratorIiNS6_11use_defaultESE_EENS6_10device_ptrIdEENSG_IlEEPmS8_NS6_8equal_toIdEEEE10hipError_tPvRmT2_T3_mT4_T5_T6_T7_T8_P12ihipStream_tbENKUlT_T0_E_clISt17integral_constantIbLb1EES12_IbLb0EEEEDaSY_SZ_EUlSY_E_NS1_11comp_targetILNS1_3genE3ELNS1_11target_archE908ELNS1_3gpuE7ELNS1_3repE0EEENS1_30default_config_static_selectorELNS0_4arch9wavefront6targetE1EEEvT1_,comdat
	.protected	_ZN7rocprim17ROCPRIM_400000_NS6detail17trampoline_kernelINS0_14default_configENS1_29reduce_by_key_config_selectorIdlN6thrust23THRUST_200600_302600_NS4plusIlEEEEZZNS1_33reduce_by_key_impl_wrapped_configILNS1_25lookback_scan_determinismE0ES3_S9_PdNS6_17constant_iteratorIiNS6_11use_defaultESE_EENS6_10device_ptrIdEENSG_IlEEPmS8_NS6_8equal_toIdEEEE10hipError_tPvRmT2_T3_mT4_T5_T6_T7_T8_P12ihipStream_tbENKUlT_T0_E_clISt17integral_constantIbLb1EES12_IbLb0EEEEDaSY_SZ_EUlSY_E_NS1_11comp_targetILNS1_3genE3ELNS1_11target_archE908ELNS1_3gpuE7ELNS1_3repE0EEENS1_30default_config_static_selectorELNS0_4arch9wavefront6targetE1EEEvT1_ ; -- Begin function _ZN7rocprim17ROCPRIM_400000_NS6detail17trampoline_kernelINS0_14default_configENS1_29reduce_by_key_config_selectorIdlN6thrust23THRUST_200600_302600_NS4plusIlEEEEZZNS1_33reduce_by_key_impl_wrapped_configILNS1_25lookback_scan_determinismE0ES3_S9_PdNS6_17constant_iteratorIiNS6_11use_defaultESE_EENS6_10device_ptrIdEENSG_IlEEPmS8_NS6_8equal_toIdEEEE10hipError_tPvRmT2_T3_mT4_T5_T6_T7_T8_P12ihipStream_tbENKUlT_T0_E_clISt17integral_constantIbLb1EES12_IbLb0EEEEDaSY_SZ_EUlSY_E_NS1_11comp_targetILNS1_3genE3ELNS1_11target_archE908ELNS1_3gpuE7ELNS1_3repE0EEENS1_30default_config_static_selectorELNS0_4arch9wavefront6targetE1EEEvT1_
	.globl	_ZN7rocprim17ROCPRIM_400000_NS6detail17trampoline_kernelINS0_14default_configENS1_29reduce_by_key_config_selectorIdlN6thrust23THRUST_200600_302600_NS4plusIlEEEEZZNS1_33reduce_by_key_impl_wrapped_configILNS1_25lookback_scan_determinismE0ES3_S9_PdNS6_17constant_iteratorIiNS6_11use_defaultESE_EENS6_10device_ptrIdEENSG_IlEEPmS8_NS6_8equal_toIdEEEE10hipError_tPvRmT2_T3_mT4_T5_T6_T7_T8_P12ihipStream_tbENKUlT_T0_E_clISt17integral_constantIbLb1EES12_IbLb0EEEEDaSY_SZ_EUlSY_E_NS1_11comp_targetILNS1_3genE3ELNS1_11target_archE908ELNS1_3gpuE7ELNS1_3repE0EEENS1_30default_config_static_selectorELNS0_4arch9wavefront6targetE1EEEvT1_
	.p2align	8
	.type	_ZN7rocprim17ROCPRIM_400000_NS6detail17trampoline_kernelINS0_14default_configENS1_29reduce_by_key_config_selectorIdlN6thrust23THRUST_200600_302600_NS4plusIlEEEEZZNS1_33reduce_by_key_impl_wrapped_configILNS1_25lookback_scan_determinismE0ES3_S9_PdNS6_17constant_iteratorIiNS6_11use_defaultESE_EENS6_10device_ptrIdEENSG_IlEEPmS8_NS6_8equal_toIdEEEE10hipError_tPvRmT2_T3_mT4_T5_T6_T7_T8_P12ihipStream_tbENKUlT_T0_E_clISt17integral_constantIbLb1EES12_IbLb0EEEEDaSY_SZ_EUlSY_E_NS1_11comp_targetILNS1_3genE3ELNS1_11target_archE908ELNS1_3gpuE7ELNS1_3repE0EEENS1_30default_config_static_selectorELNS0_4arch9wavefront6targetE1EEEvT1_,@function
_ZN7rocprim17ROCPRIM_400000_NS6detail17trampoline_kernelINS0_14default_configENS1_29reduce_by_key_config_selectorIdlN6thrust23THRUST_200600_302600_NS4plusIlEEEEZZNS1_33reduce_by_key_impl_wrapped_configILNS1_25lookback_scan_determinismE0ES3_S9_PdNS6_17constant_iteratorIiNS6_11use_defaultESE_EENS6_10device_ptrIdEENSG_IlEEPmS8_NS6_8equal_toIdEEEE10hipError_tPvRmT2_T3_mT4_T5_T6_T7_T8_P12ihipStream_tbENKUlT_T0_E_clISt17integral_constantIbLb1EES12_IbLb0EEEEDaSY_SZ_EUlSY_E_NS1_11comp_targetILNS1_3genE3ELNS1_11target_archE908ELNS1_3gpuE7ELNS1_3repE0EEENS1_30default_config_static_selectorELNS0_4arch9wavefront6targetE1EEEvT1_: ; @_ZN7rocprim17ROCPRIM_400000_NS6detail17trampoline_kernelINS0_14default_configENS1_29reduce_by_key_config_selectorIdlN6thrust23THRUST_200600_302600_NS4plusIlEEEEZZNS1_33reduce_by_key_impl_wrapped_configILNS1_25lookback_scan_determinismE0ES3_S9_PdNS6_17constant_iteratorIiNS6_11use_defaultESE_EENS6_10device_ptrIdEENSG_IlEEPmS8_NS6_8equal_toIdEEEE10hipError_tPvRmT2_T3_mT4_T5_T6_T7_T8_P12ihipStream_tbENKUlT_T0_E_clISt17integral_constantIbLb1EES12_IbLb0EEEEDaSY_SZ_EUlSY_E_NS1_11comp_targetILNS1_3genE3ELNS1_11target_archE908ELNS1_3gpuE7ELNS1_3repE0EEENS1_30default_config_static_selectorELNS0_4arch9wavefront6targetE1EEEvT1_
; %bb.0:
	.section	.rodata,"a",@progbits
	.p2align	6, 0x0
	.amdhsa_kernel _ZN7rocprim17ROCPRIM_400000_NS6detail17trampoline_kernelINS0_14default_configENS1_29reduce_by_key_config_selectorIdlN6thrust23THRUST_200600_302600_NS4plusIlEEEEZZNS1_33reduce_by_key_impl_wrapped_configILNS1_25lookback_scan_determinismE0ES3_S9_PdNS6_17constant_iteratorIiNS6_11use_defaultESE_EENS6_10device_ptrIdEENSG_IlEEPmS8_NS6_8equal_toIdEEEE10hipError_tPvRmT2_T3_mT4_T5_T6_T7_T8_P12ihipStream_tbENKUlT_T0_E_clISt17integral_constantIbLb1EES12_IbLb0EEEEDaSY_SZ_EUlSY_E_NS1_11comp_targetILNS1_3genE3ELNS1_11target_archE908ELNS1_3gpuE7ELNS1_3repE0EEENS1_30default_config_static_selectorELNS0_4arch9wavefront6targetE1EEEvT1_
		.amdhsa_group_segment_fixed_size 0
		.amdhsa_private_segment_fixed_size 0
		.amdhsa_kernarg_size 144
		.amdhsa_user_sgpr_count 6
		.amdhsa_user_sgpr_private_segment_buffer 1
		.amdhsa_user_sgpr_dispatch_ptr 0
		.amdhsa_user_sgpr_queue_ptr 0
		.amdhsa_user_sgpr_kernarg_segment_ptr 1
		.amdhsa_user_sgpr_dispatch_id 0
		.amdhsa_user_sgpr_flat_scratch_init 0
		.amdhsa_user_sgpr_private_segment_size 0
		.amdhsa_uses_dynamic_stack 0
		.amdhsa_system_sgpr_private_segment_wavefront_offset 0
		.amdhsa_system_sgpr_workgroup_id_x 1
		.amdhsa_system_sgpr_workgroup_id_y 0
		.amdhsa_system_sgpr_workgroup_id_z 0
		.amdhsa_system_sgpr_workgroup_info 0
		.amdhsa_system_vgpr_workitem_id 0
		.amdhsa_next_free_vgpr 1
		.amdhsa_next_free_sgpr 0
		.amdhsa_reserve_vcc 0
		.amdhsa_reserve_flat_scratch 0
		.amdhsa_float_round_mode_32 0
		.amdhsa_float_round_mode_16_64 0
		.amdhsa_float_denorm_mode_32 3
		.amdhsa_float_denorm_mode_16_64 3
		.amdhsa_dx10_clamp 1
		.amdhsa_ieee_mode 1
		.amdhsa_fp16_overflow 0
		.amdhsa_exception_fp_ieee_invalid_op 0
		.amdhsa_exception_fp_denorm_src 0
		.amdhsa_exception_fp_ieee_div_zero 0
		.amdhsa_exception_fp_ieee_overflow 0
		.amdhsa_exception_fp_ieee_underflow 0
		.amdhsa_exception_fp_ieee_inexact 0
		.amdhsa_exception_int_div_zero 0
	.end_amdhsa_kernel
	.section	.text._ZN7rocprim17ROCPRIM_400000_NS6detail17trampoline_kernelINS0_14default_configENS1_29reduce_by_key_config_selectorIdlN6thrust23THRUST_200600_302600_NS4plusIlEEEEZZNS1_33reduce_by_key_impl_wrapped_configILNS1_25lookback_scan_determinismE0ES3_S9_PdNS6_17constant_iteratorIiNS6_11use_defaultESE_EENS6_10device_ptrIdEENSG_IlEEPmS8_NS6_8equal_toIdEEEE10hipError_tPvRmT2_T3_mT4_T5_T6_T7_T8_P12ihipStream_tbENKUlT_T0_E_clISt17integral_constantIbLb1EES12_IbLb0EEEEDaSY_SZ_EUlSY_E_NS1_11comp_targetILNS1_3genE3ELNS1_11target_archE908ELNS1_3gpuE7ELNS1_3repE0EEENS1_30default_config_static_selectorELNS0_4arch9wavefront6targetE1EEEvT1_,"axG",@progbits,_ZN7rocprim17ROCPRIM_400000_NS6detail17trampoline_kernelINS0_14default_configENS1_29reduce_by_key_config_selectorIdlN6thrust23THRUST_200600_302600_NS4plusIlEEEEZZNS1_33reduce_by_key_impl_wrapped_configILNS1_25lookback_scan_determinismE0ES3_S9_PdNS6_17constant_iteratorIiNS6_11use_defaultESE_EENS6_10device_ptrIdEENSG_IlEEPmS8_NS6_8equal_toIdEEEE10hipError_tPvRmT2_T3_mT4_T5_T6_T7_T8_P12ihipStream_tbENKUlT_T0_E_clISt17integral_constantIbLb1EES12_IbLb0EEEEDaSY_SZ_EUlSY_E_NS1_11comp_targetILNS1_3genE3ELNS1_11target_archE908ELNS1_3gpuE7ELNS1_3repE0EEENS1_30default_config_static_selectorELNS0_4arch9wavefront6targetE1EEEvT1_,comdat
.Lfunc_end1709:
	.size	_ZN7rocprim17ROCPRIM_400000_NS6detail17trampoline_kernelINS0_14default_configENS1_29reduce_by_key_config_selectorIdlN6thrust23THRUST_200600_302600_NS4plusIlEEEEZZNS1_33reduce_by_key_impl_wrapped_configILNS1_25lookback_scan_determinismE0ES3_S9_PdNS6_17constant_iteratorIiNS6_11use_defaultESE_EENS6_10device_ptrIdEENSG_IlEEPmS8_NS6_8equal_toIdEEEE10hipError_tPvRmT2_T3_mT4_T5_T6_T7_T8_P12ihipStream_tbENKUlT_T0_E_clISt17integral_constantIbLb1EES12_IbLb0EEEEDaSY_SZ_EUlSY_E_NS1_11comp_targetILNS1_3genE3ELNS1_11target_archE908ELNS1_3gpuE7ELNS1_3repE0EEENS1_30default_config_static_selectorELNS0_4arch9wavefront6targetE1EEEvT1_, .Lfunc_end1709-_ZN7rocprim17ROCPRIM_400000_NS6detail17trampoline_kernelINS0_14default_configENS1_29reduce_by_key_config_selectorIdlN6thrust23THRUST_200600_302600_NS4plusIlEEEEZZNS1_33reduce_by_key_impl_wrapped_configILNS1_25lookback_scan_determinismE0ES3_S9_PdNS6_17constant_iteratorIiNS6_11use_defaultESE_EENS6_10device_ptrIdEENSG_IlEEPmS8_NS6_8equal_toIdEEEE10hipError_tPvRmT2_T3_mT4_T5_T6_T7_T8_P12ihipStream_tbENKUlT_T0_E_clISt17integral_constantIbLb1EES12_IbLb0EEEEDaSY_SZ_EUlSY_E_NS1_11comp_targetILNS1_3genE3ELNS1_11target_archE908ELNS1_3gpuE7ELNS1_3repE0EEENS1_30default_config_static_selectorELNS0_4arch9wavefront6targetE1EEEvT1_
                                        ; -- End function
	.set _ZN7rocprim17ROCPRIM_400000_NS6detail17trampoline_kernelINS0_14default_configENS1_29reduce_by_key_config_selectorIdlN6thrust23THRUST_200600_302600_NS4plusIlEEEEZZNS1_33reduce_by_key_impl_wrapped_configILNS1_25lookback_scan_determinismE0ES3_S9_PdNS6_17constant_iteratorIiNS6_11use_defaultESE_EENS6_10device_ptrIdEENSG_IlEEPmS8_NS6_8equal_toIdEEEE10hipError_tPvRmT2_T3_mT4_T5_T6_T7_T8_P12ihipStream_tbENKUlT_T0_E_clISt17integral_constantIbLb1EES12_IbLb0EEEEDaSY_SZ_EUlSY_E_NS1_11comp_targetILNS1_3genE3ELNS1_11target_archE908ELNS1_3gpuE7ELNS1_3repE0EEENS1_30default_config_static_selectorELNS0_4arch9wavefront6targetE1EEEvT1_.num_vgpr, 0
	.set _ZN7rocprim17ROCPRIM_400000_NS6detail17trampoline_kernelINS0_14default_configENS1_29reduce_by_key_config_selectorIdlN6thrust23THRUST_200600_302600_NS4plusIlEEEEZZNS1_33reduce_by_key_impl_wrapped_configILNS1_25lookback_scan_determinismE0ES3_S9_PdNS6_17constant_iteratorIiNS6_11use_defaultESE_EENS6_10device_ptrIdEENSG_IlEEPmS8_NS6_8equal_toIdEEEE10hipError_tPvRmT2_T3_mT4_T5_T6_T7_T8_P12ihipStream_tbENKUlT_T0_E_clISt17integral_constantIbLb1EES12_IbLb0EEEEDaSY_SZ_EUlSY_E_NS1_11comp_targetILNS1_3genE3ELNS1_11target_archE908ELNS1_3gpuE7ELNS1_3repE0EEENS1_30default_config_static_selectorELNS0_4arch9wavefront6targetE1EEEvT1_.num_agpr, 0
	.set _ZN7rocprim17ROCPRIM_400000_NS6detail17trampoline_kernelINS0_14default_configENS1_29reduce_by_key_config_selectorIdlN6thrust23THRUST_200600_302600_NS4plusIlEEEEZZNS1_33reduce_by_key_impl_wrapped_configILNS1_25lookback_scan_determinismE0ES3_S9_PdNS6_17constant_iteratorIiNS6_11use_defaultESE_EENS6_10device_ptrIdEENSG_IlEEPmS8_NS6_8equal_toIdEEEE10hipError_tPvRmT2_T3_mT4_T5_T6_T7_T8_P12ihipStream_tbENKUlT_T0_E_clISt17integral_constantIbLb1EES12_IbLb0EEEEDaSY_SZ_EUlSY_E_NS1_11comp_targetILNS1_3genE3ELNS1_11target_archE908ELNS1_3gpuE7ELNS1_3repE0EEENS1_30default_config_static_selectorELNS0_4arch9wavefront6targetE1EEEvT1_.numbered_sgpr, 0
	.set _ZN7rocprim17ROCPRIM_400000_NS6detail17trampoline_kernelINS0_14default_configENS1_29reduce_by_key_config_selectorIdlN6thrust23THRUST_200600_302600_NS4plusIlEEEEZZNS1_33reduce_by_key_impl_wrapped_configILNS1_25lookback_scan_determinismE0ES3_S9_PdNS6_17constant_iteratorIiNS6_11use_defaultESE_EENS6_10device_ptrIdEENSG_IlEEPmS8_NS6_8equal_toIdEEEE10hipError_tPvRmT2_T3_mT4_T5_T6_T7_T8_P12ihipStream_tbENKUlT_T0_E_clISt17integral_constantIbLb1EES12_IbLb0EEEEDaSY_SZ_EUlSY_E_NS1_11comp_targetILNS1_3genE3ELNS1_11target_archE908ELNS1_3gpuE7ELNS1_3repE0EEENS1_30default_config_static_selectorELNS0_4arch9wavefront6targetE1EEEvT1_.num_named_barrier, 0
	.set _ZN7rocprim17ROCPRIM_400000_NS6detail17trampoline_kernelINS0_14default_configENS1_29reduce_by_key_config_selectorIdlN6thrust23THRUST_200600_302600_NS4plusIlEEEEZZNS1_33reduce_by_key_impl_wrapped_configILNS1_25lookback_scan_determinismE0ES3_S9_PdNS6_17constant_iteratorIiNS6_11use_defaultESE_EENS6_10device_ptrIdEENSG_IlEEPmS8_NS6_8equal_toIdEEEE10hipError_tPvRmT2_T3_mT4_T5_T6_T7_T8_P12ihipStream_tbENKUlT_T0_E_clISt17integral_constantIbLb1EES12_IbLb0EEEEDaSY_SZ_EUlSY_E_NS1_11comp_targetILNS1_3genE3ELNS1_11target_archE908ELNS1_3gpuE7ELNS1_3repE0EEENS1_30default_config_static_selectorELNS0_4arch9wavefront6targetE1EEEvT1_.private_seg_size, 0
	.set _ZN7rocprim17ROCPRIM_400000_NS6detail17trampoline_kernelINS0_14default_configENS1_29reduce_by_key_config_selectorIdlN6thrust23THRUST_200600_302600_NS4plusIlEEEEZZNS1_33reduce_by_key_impl_wrapped_configILNS1_25lookback_scan_determinismE0ES3_S9_PdNS6_17constant_iteratorIiNS6_11use_defaultESE_EENS6_10device_ptrIdEENSG_IlEEPmS8_NS6_8equal_toIdEEEE10hipError_tPvRmT2_T3_mT4_T5_T6_T7_T8_P12ihipStream_tbENKUlT_T0_E_clISt17integral_constantIbLb1EES12_IbLb0EEEEDaSY_SZ_EUlSY_E_NS1_11comp_targetILNS1_3genE3ELNS1_11target_archE908ELNS1_3gpuE7ELNS1_3repE0EEENS1_30default_config_static_selectorELNS0_4arch9wavefront6targetE1EEEvT1_.uses_vcc, 0
	.set _ZN7rocprim17ROCPRIM_400000_NS6detail17trampoline_kernelINS0_14default_configENS1_29reduce_by_key_config_selectorIdlN6thrust23THRUST_200600_302600_NS4plusIlEEEEZZNS1_33reduce_by_key_impl_wrapped_configILNS1_25lookback_scan_determinismE0ES3_S9_PdNS6_17constant_iteratorIiNS6_11use_defaultESE_EENS6_10device_ptrIdEENSG_IlEEPmS8_NS6_8equal_toIdEEEE10hipError_tPvRmT2_T3_mT4_T5_T6_T7_T8_P12ihipStream_tbENKUlT_T0_E_clISt17integral_constantIbLb1EES12_IbLb0EEEEDaSY_SZ_EUlSY_E_NS1_11comp_targetILNS1_3genE3ELNS1_11target_archE908ELNS1_3gpuE7ELNS1_3repE0EEENS1_30default_config_static_selectorELNS0_4arch9wavefront6targetE1EEEvT1_.uses_flat_scratch, 0
	.set _ZN7rocprim17ROCPRIM_400000_NS6detail17trampoline_kernelINS0_14default_configENS1_29reduce_by_key_config_selectorIdlN6thrust23THRUST_200600_302600_NS4plusIlEEEEZZNS1_33reduce_by_key_impl_wrapped_configILNS1_25lookback_scan_determinismE0ES3_S9_PdNS6_17constant_iteratorIiNS6_11use_defaultESE_EENS6_10device_ptrIdEENSG_IlEEPmS8_NS6_8equal_toIdEEEE10hipError_tPvRmT2_T3_mT4_T5_T6_T7_T8_P12ihipStream_tbENKUlT_T0_E_clISt17integral_constantIbLb1EES12_IbLb0EEEEDaSY_SZ_EUlSY_E_NS1_11comp_targetILNS1_3genE3ELNS1_11target_archE908ELNS1_3gpuE7ELNS1_3repE0EEENS1_30default_config_static_selectorELNS0_4arch9wavefront6targetE1EEEvT1_.has_dyn_sized_stack, 0
	.set _ZN7rocprim17ROCPRIM_400000_NS6detail17trampoline_kernelINS0_14default_configENS1_29reduce_by_key_config_selectorIdlN6thrust23THRUST_200600_302600_NS4plusIlEEEEZZNS1_33reduce_by_key_impl_wrapped_configILNS1_25lookback_scan_determinismE0ES3_S9_PdNS6_17constant_iteratorIiNS6_11use_defaultESE_EENS6_10device_ptrIdEENSG_IlEEPmS8_NS6_8equal_toIdEEEE10hipError_tPvRmT2_T3_mT4_T5_T6_T7_T8_P12ihipStream_tbENKUlT_T0_E_clISt17integral_constantIbLb1EES12_IbLb0EEEEDaSY_SZ_EUlSY_E_NS1_11comp_targetILNS1_3genE3ELNS1_11target_archE908ELNS1_3gpuE7ELNS1_3repE0EEENS1_30default_config_static_selectorELNS0_4arch9wavefront6targetE1EEEvT1_.has_recursion, 0
	.set _ZN7rocprim17ROCPRIM_400000_NS6detail17trampoline_kernelINS0_14default_configENS1_29reduce_by_key_config_selectorIdlN6thrust23THRUST_200600_302600_NS4plusIlEEEEZZNS1_33reduce_by_key_impl_wrapped_configILNS1_25lookback_scan_determinismE0ES3_S9_PdNS6_17constant_iteratorIiNS6_11use_defaultESE_EENS6_10device_ptrIdEENSG_IlEEPmS8_NS6_8equal_toIdEEEE10hipError_tPvRmT2_T3_mT4_T5_T6_T7_T8_P12ihipStream_tbENKUlT_T0_E_clISt17integral_constantIbLb1EES12_IbLb0EEEEDaSY_SZ_EUlSY_E_NS1_11comp_targetILNS1_3genE3ELNS1_11target_archE908ELNS1_3gpuE7ELNS1_3repE0EEENS1_30default_config_static_selectorELNS0_4arch9wavefront6targetE1EEEvT1_.has_indirect_call, 0
	.section	.AMDGPU.csdata,"",@progbits
; Kernel info:
; codeLenInByte = 0
; TotalNumSgprs: 4
; NumVgprs: 0
; ScratchSize: 0
; MemoryBound: 0
; FloatMode: 240
; IeeeMode: 1
; LDSByteSize: 0 bytes/workgroup (compile time only)
; SGPRBlocks: 0
; VGPRBlocks: 0
; NumSGPRsForWavesPerEU: 4
; NumVGPRsForWavesPerEU: 1
; Occupancy: 10
; WaveLimiterHint : 0
; COMPUTE_PGM_RSRC2:SCRATCH_EN: 0
; COMPUTE_PGM_RSRC2:USER_SGPR: 6
; COMPUTE_PGM_RSRC2:TRAP_HANDLER: 0
; COMPUTE_PGM_RSRC2:TGID_X_EN: 1
; COMPUTE_PGM_RSRC2:TGID_Y_EN: 0
; COMPUTE_PGM_RSRC2:TGID_Z_EN: 0
; COMPUTE_PGM_RSRC2:TIDIG_COMP_CNT: 0
	.section	.text._ZN7rocprim17ROCPRIM_400000_NS6detail17trampoline_kernelINS0_14default_configENS1_29reduce_by_key_config_selectorIdlN6thrust23THRUST_200600_302600_NS4plusIlEEEEZZNS1_33reduce_by_key_impl_wrapped_configILNS1_25lookback_scan_determinismE0ES3_S9_PdNS6_17constant_iteratorIiNS6_11use_defaultESE_EENS6_10device_ptrIdEENSG_IlEEPmS8_NS6_8equal_toIdEEEE10hipError_tPvRmT2_T3_mT4_T5_T6_T7_T8_P12ihipStream_tbENKUlT_T0_E_clISt17integral_constantIbLb1EES12_IbLb0EEEEDaSY_SZ_EUlSY_E_NS1_11comp_targetILNS1_3genE2ELNS1_11target_archE906ELNS1_3gpuE6ELNS1_3repE0EEENS1_30default_config_static_selectorELNS0_4arch9wavefront6targetE1EEEvT1_,"axG",@progbits,_ZN7rocprim17ROCPRIM_400000_NS6detail17trampoline_kernelINS0_14default_configENS1_29reduce_by_key_config_selectorIdlN6thrust23THRUST_200600_302600_NS4plusIlEEEEZZNS1_33reduce_by_key_impl_wrapped_configILNS1_25lookback_scan_determinismE0ES3_S9_PdNS6_17constant_iteratorIiNS6_11use_defaultESE_EENS6_10device_ptrIdEENSG_IlEEPmS8_NS6_8equal_toIdEEEE10hipError_tPvRmT2_T3_mT4_T5_T6_T7_T8_P12ihipStream_tbENKUlT_T0_E_clISt17integral_constantIbLb1EES12_IbLb0EEEEDaSY_SZ_EUlSY_E_NS1_11comp_targetILNS1_3genE2ELNS1_11target_archE906ELNS1_3gpuE6ELNS1_3repE0EEENS1_30default_config_static_selectorELNS0_4arch9wavefront6targetE1EEEvT1_,comdat
	.protected	_ZN7rocprim17ROCPRIM_400000_NS6detail17trampoline_kernelINS0_14default_configENS1_29reduce_by_key_config_selectorIdlN6thrust23THRUST_200600_302600_NS4plusIlEEEEZZNS1_33reduce_by_key_impl_wrapped_configILNS1_25lookback_scan_determinismE0ES3_S9_PdNS6_17constant_iteratorIiNS6_11use_defaultESE_EENS6_10device_ptrIdEENSG_IlEEPmS8_NS6_8equal_toIdEEEE10hipError_tPvRmT2_T3_mT4_T5_T6_T7_T8_P12ihipStream_tbENKUlT_T0_E_clISt17integral_constantIbLb1EES12_IbLb0EEEEDaSY_SZ_EUlSY_E_NS1_11comp_targetILNS1_3genE2ELNS1_11target_archE906ELNS1_3gpuE6ELNS1_3repE0EEENS1_30default_config_static_selectorELNS0_4arch9wavefront6targetE1EEEvT1_ ; -- Begin function _ZN7rocprim17ROCPRIM_400000_NS6detail17trampoline_kernelINS0_14default_configENS1_29reduce_by_key_config_selectorIdlN6thrust23THRUST_200600_302600_NS4plusIlEEEEZZNS1_33reduce_by_key_impl_wrapped_configILNS1_25lookback_scan_determinismE0ES3_S9_PdNS6_17constant_iteratorIiNS6_11use_defaultESE_EENS6_10device_ptrIdEENSG_IlEEPmS8_NS6_8equal_toIdEEEE10hipError_tPvRmT2_T3_mT4_T5_T6_T7_T8_P12ihipStream_tbENKUlT_T0_E_clISt17integral_constantIbLb1EES12_IbLb0EEEEDaSY_SZ_EUlSY_E_NS1_11comp_targetILNS1_3genE2ELNS1_11target_archE906ELNS1_3gpuE6ELNS1_3repE0EEENS1_30default_config_static_selectorELNS0_4arch9wavefront6targetE1EEEvT1_
	.globl	_ZN7rocprim17ROCPRIM_400000_NS6detail17trampoline_kernelINS0_14default_configENS1_29reduce_by_key_config_selectorIdlN6thrust23THRUST_200600_302600_NS4plusIlEEEEZZNS1_33reduce_by_key_impl_wrapped_configILNS1_25lookback_scan_determinismE0ES3_S9_PdNS6_17constant_iteratorIiNS6_11use_defaultESE_EENS6_10device_ptrIdEENSG_IlEEPmS8_NS6_8equal_toIdEEEE10hipError_tPvRmT2_T3_mT4_T5_T6_T7_T8_P12ihipStream_tbENKUlT_T0_E_clISt17integral_constantIbLb1EES12_IbLb0EEEEDaSY_SZ_EUlSY_E_NS1_11comp_targetILNS1_3genE2ELNS1_11target_archE906ELNS1_3gpuE6ELNS1_3repE0EEENS1_30default_config_static_selectorELNS0_4arch9wavefront6targetE1EEEvT1_
	.p2align	8
	.type	_ZN7rocprim17ROCPRIM_400000_NS6detail17trampoline_kernelINS0_14default_configENS1_29reduce_by_key_config_selectorIdlN6thrust23THRUST_200600_302600_NS4plusIlEEEEZZNS1_33reduce_by_key_impl_wrapped_configILNS1_25lookback_scan_determinismE0ES3_S9_PdNS6_17constant_iteratorIiNS6_11use_defaultESE_EENS6_10device_ptrIdEENSG_IlEEPmS8_NS6_8equal_toIdEEEE10hipError_tPvRmT2_T3_mT4_T5_T6_T7_T8_P12ihipStream_tbENKUlT_T0_E_clISt17integral_constantIbLb1EES12_IbLb0EEEEDaSY_SZ_EUlSY_E_NS1_11comp_targetILNS1_3genE2ELNS1_11target_archE906ELNS1_3gpuE6ELNS1_3repE0EEENS1_30default_config_static_selectorELNS0_4arch9wavefront6targetE1EEEvT1_,@function
_ZN7rocprim17ROCPRIM_400000_NS6detail17trampoline_kernelINS0_14default_configENS1_29reduce_by_key_config_selectorIdlN6thrust23THRUST_200600_302600_NS4plusIlEEEEZZNS1_33reduce_by_key_impl_wrapped_configILNS1_25lookback_scan_determinismE0ES3_S9_PdNS6_17constant_iteratorIiNS6_11use_defaultESE_EENS6_10device_ptrIdEENSG_IlEEPmS8_NS6_8equal_toIdEEEE10hipError_tPvRmT2_T3_mT4_T5_T6_T7_T8_P12ihipStream_tbENKUlT_T0_E_clISt17integral_constantIbLb1EES12_IbLb0EEEEDaSY_SZ_EUlSY_E_NS1_11comp_targetILNS1_3genE2ELNS1_11target_archE906ELNS1_3gpuE6ELNS1_3repE0EEENS1_30default_config_static_selectorELNS0_4arch9wavefront6targetE1EEEvT1_: ; @_ZN7rocprim17ROCPRIM_400000_NS6detail17trampoline_kernelINS0_14default_configENS1_29reduce_by_key_config_selectorIdlN6thrust23THRUST_200600_302600_NS4plusIlEEEEZZNS1_33reduce_by_key_impl_wrapped_configILNS1_25lookback_scan_determinismE0ES3_S9_PdNS6_17constant_iteratorIiNS6_11use_defaultESE_EENS6_10device_ptrIdEENSG_IlEEPmS8_NS6_8equal_toIdEEEE10hipError_tPvRmT2_T3_mT4_T5_T6_T7_T8_P12ihipStream_tbENKUlT_T0_E_clISt17integral_constantIbLb1EES12_IbLb0EEEEDaSY_SZ_EUlSY_E_NS1_11comp_targetILNS1_3genE2ELNS1_11target_archE906ELNS1_3gpuE6ELNS1_3repE0EEENS1_30default_config_static_selectorELNS0_4arch9wavefront6targetE1EEEvT1_
; %bb.0:
	s_endpgm
	.section	.rodata,"a",@progbits
	.p2align	6, 0x0
	.amdhsa_kernel _ZN7rocprim17ROCPRIM_400000_NS6detail17trampoline_kernelINS0_14default_configENS1_29reduce_by_key_config_selectorIdlN6thrust23THRUST_200600_302600_NS4plusIlEEEEZZNS1_33reduce_by_key_impl_wrapped_configILNS1_25lookback_scan_determinismE0ES3_S9_PdNS6_17constant_iteratorIiNS6_11use_defaultESE_EENS6_10device_ptrIdEENSG_IlEEPmS8_NS6_8equal_toIdEEEE10hipError_tPvRmT2_T3_mT4_T5_T6_T7_T8_P12ihipStream_tbENKUlT_T0_E_clISt17integral_constantIbLb1EES12_IbLb0EEEEDaSY_SZ_EUlSY_E_NS1_11comp_targetILNS1_3genE2ELNS1_11target_archE906ELNS1_3gpuE6ELNS1_3repE0EEENS1_30default_config_static_selectorELNS0_4arch9wavefront6targetE1EEEvT1_
		.amdhsa_group_segment_fixed_size 0
		.amdhsa_private_segment_fixed_size 0
		.amdhsa_kernarg_size 144
		.amdhsa_user_sgpr_count 6
		.amdhsa_user_sgpr_private_segment_buffer 1
		.amdhsa_user_sgpr_dispatch_ptr 0
		.amdhsa_user_sgpr_queue_ptr 0
		.amdhsa_user_sgpr_kernarg_segment_ptr 1
		.amdhsa_user_sgpr_dispatch_id 0
		.amdhsa_user_sgpr_flat_scratch_init 0
		.amdhsa_user_sgpr_private_segment_size 0
		.amdhsa_uses_dynamic_stack 0
		.amdhsa_system_sgpr_private_segment_wavefront_offset 0
		.amdhsa_system_sgpr_workgroup_id_x 1
		.amdhsa_system_sgpr_workgroup_id_y 0
		.amdhsa_system_sgpr_workgroup_id_z 0
		.amdhsa_system_sgpr_workgroup_info 0
		.amdhsa_system_vgpr_workitem_id 0
		.amdhsa_next_free_vgpr 1
		.amdhsa_next_free_sgpr 0
		.amdhsa_reserve_vcc 0
		.amdhsa_reserve_flat_scratch 0
		.amdhsa_float_round_mode_32 0
		.amdhsa_float_round_mode_16_64 0
		.amdhsa_float_denorm_mode_32 3
		.amdhsa_float_denorm_mode_16_64 3
		.amdhsa_dx10_clamp 1
		.amdhsa_ieee_mode 1
		.amdhsa_fp16_overflow 0
		.amdhsa_exception_fp_ieee_invalid_op 0
		.amdhsa_exception_fp_denorm_src 0
		.amdhsa_exception_fp_ieee_div_zero 0
		.amdhsa_exception_fp_ieee_overflow 0
		.amdhsa_exception_fp_ieee_underflow 0
		.amdhsa_exception_fp_ieee_inexact 0
		.amdhsa_exception_int_div_zero 0
	.end_amdhsa_kernel
	.section	.text._ZN7rocprim17ROCPRIM_400000_NS6detail17trampoline_kernelINS0_14default_configENS1_29reduce_by_key_config_selectorIdlN6thrust23THRUST_200600_302600_NS4plusIlEEEEZZNS1_33reduce_by_key_impl_wrapped_configILNS1_25lookback_scan_determinismE0ES3_S9_PdNS6_17constant_iteratorIiNS6_11use_defaultESE_EENS6_10device_ptrIdEENSG_IlEEPmS8_NS6_8equal_toIdEEEE10hipError_tPvRmT2_T3_mT4_T5_T6_T7_T8_P12ihipStream_tbENKUlT_T0_E_clISt17integral_constantIbLb1EES12_IbLb0EEEEDaSY_SZ_EUlSY_E_NS1_11comp_targetILNS1_3genE2ELNS1_11target_archE906ELNS1_3gpuE6ELNS1_3repE0EEENS1_30default_config_static_selectorELNS0_4arch9wavefront6targetE1EEEvT1_,"axG",@progbits,_ZN7rocprim17ROCPRIM_400000_NS6detail17trampoline_kernelINS0_14default_configENS1_29reduce_by_key_config_selectorIdlN6thrust23THRUST_200600_302600_NS4plusIlEEEEZZNS1_33reduce_by_key_impl_wrapped_configILNS1_25lookback_scan_determinismE0ES3_S9_PdNS6_17constant_iteratorIiNS6_11use_defaultESE_EENS6_10device_ptrIdEENSG_IlEEPmS8_NS6_8equal_toIdEEEE10hipError_tPvRmT2_T3_mT4_T5_T6_T7_T8_P12ihipStream_tbENKUlT_T0_E_clISt17integral_constantIbLb1EES12_IbLb0EEEEDaSY_SZ_EUlSY_E_NS1_11comp_targetILNS1_3genE2ELNS1_11target_archE906ELNS1_3gpuE6ELNS1_3repE0EEENS1_30default_config_static_selectorELNS0_4arch9wavefront6targetE1EEEvT1_,comdat
.Lfunc_end1710:
	.size	_ZN7rocprim17ROCPRIM_400000_NS6detail17trampoline_kernelINS0_14default_configENS1_29reduce_by_key_config_selectorIdlN6thrust23THRUST_200600_302600_NS4plusIlEEEEZZNS1_33reduce_by_key_impl_wrapped_configILNS1_25lookback_scan_determinismE0ES3_S9_PdNS6_17constant_iteratorIiNS6_11use_defaultESE_EENS6_10device_ptrIdEENSG_IlEEPmS8_NS6_8equal_toIdEEEE10hipError_tPvRmT2_T3_mT4_T5_T6_T7_T8_P12ihipStream_tbENKUlT_T0_E_clISt17integral_constantIbLb1EES12_IbLb0EEEEDaSY_SZ_EUlSY_E_NS1_11comp_targetILNS1_3genE2ELNS1_11target_archE906ELNS1_3gpuE6ELNS1_3repE0EEENS1_30default_config_static_selectorELNS0_4arch9wavefront6targetE1EEEvT1_, .Lfunc_end1710-_ZN7rocprim17ROCPRIM_400000_NS6detail17trampoline_kernelINS0_14default_configENS1_29reduce_by_key_config_selectorIdlN6thrust23THRUST_200600_302600_NS4plusIlEEEEZZNS1_33reduce_by_key_impl_wrapped_configILNS1_25lookback_scan_determinismE0ES3_S9_PdNS6_17constant_iteratorIiNS6_11use_defaultESE_EENS6_10device_ptrIdEENSG_IlEEPmS8_NS6_8equal_toIdEEEE10hipError_tPvRmT2_T3_mT4_T5_T6_T7_T8_P12ihipStream_tbENKUlT_T0_E_clISt17integral_constantIbLb1EES12_IbLb0EEEEDaSY_SZ_EUlSY_E_NS1_11comp_targetILNS1_3genE2ELNS1_11target_archE906ELNS1_3gpuE6ELNS1_3repE0EEENS1_30default_config_static_selectorELNS0_4arch9wavefront6targetE1EEEvT1_
                                        ; -- End function
	.set _ZN7rocprim17ROCPRIM_400000_NS6detail17trampoline_kernelINS0_14default_configENS1_29reduce_by_key_config_selectorIdlN6thrust23THRUST_200600_302600_NS4plusIlEEEEZZNS1_33reduce_by_key_impl_wrapped_configILNS1_25lookback_scan_determinismE0ES3_S9_PdNS6_17constant_iteratorIiNS6_11use_defaultESE_EENS6_10device_ptrIdEENSG_IlEEPmS8_NS6_8equal_toIdEEEE10hipError_tPvRmT2_T3_mT4_T5_T6_T7_T8_P12ihipStream_tbENKUlT_T0_E_clISt17integral_constantIbLb1EES12_IbLb0EEEEDaSY_SZ_EUlSY_E_NS1_11comp_targetILNS1_3genE2ELNS1_11target_archE906ELNS1_3gpuE6ELNS1_3repE0EEENS1_30default_config_static_selectorELNS0_4arch9wavefront6targetE1EEEvT1_.num_vgpr, 0
	.set _ZN7rocprim17ROCPRIM_400000_NS6detail17trampoline_kernelINS0_14default_configENS1_29reduce_by_key_config_selectorIdlN6thrust23THRUST_200600_302600_NS4plusIlEEEEZZNS1_33reduce_by_key_impl_wrapped_configILNS1_25lookback_scan_determinismE0ES3_S9_PdNS6_17constant_iteratorIiNS6_11use_defaultESE_EENS6_10device_ptrIdEENSG_IlEEPmS8_NS6_8equal_toIdEEEE10hipError_tPvRmT2_T3_mT4_T5_T6_T7_T8_P12ihipStream_tbENKUlT_T0_E_clISt17integral_constantIbLb1EES12_IbLb0EEEEDaSY_SZ_EUlSY_E_NS1_11comp_targetILNS1_3genE2ELNS1_11target_archE906ELNS1_3gpuE6ELNS1_3repE0EEENS1_30default_config_static_selectorELNS0_4arch9wavefront6targetE1EEEvT1_.num_agpr, 0
	.set _ZN7rocprim17ROCPRIM_400000_NS6detail17trampoline_kernelINS0_14default_configENS1_29reduce_by_key_config_selectorIdlN6thrust23THRUST_200600_302600_NS4plusIlEEEEZZNS1_33reduce_by_key_impl_wrapped_configILNS1_25lookback_scan_determinismE0ES3_S9_PdNS6_17constant_iteratorIiNS6_11use_defaultESE_EENS6_10device_ptrIdEENSG_IlEEPmS8_NS6_8equal_toIdEEEE10hipError_tPvRmT2_T3_mT4_T5_T6_T7_T8_P12ihipStream_tbENKUlT_T0_E_clISt17integral_constantIbLb1EES12_IbLb0EEEEDaSY_SZ_EUlSY_E_NS1_11comp_targetILNS1_3genE2ELNS1_11target_archE906ELNS1_3gpuE6ELNS1_3repE0EEENS1_30default_config_static_selectorELNS0_4arch9wavefront6targetE1EEEvT1_.numbered_sgpr, 0
	.set _ZN7rocprim17ROCPRIM_400000_NS6detail17trampoline_kernelINS0_14default_configENS1_29reduce_by_key_config_selectorIdlN6thrust23THRUST_200600_302600_NS4plusIlEEEEZZNS1_33reduce_by_key_impl_wrapped_configILNS1_25lookback_scan_determinismE0ES3_S9_PdNS6_17constant_iteratorIiNS6_11use_defaultESE_EENS6_10device_ptrIdEENSG_IlEEPmS8_NS6_8equal_toIdEEEE10hipError_tPvRmT2_T3_mT4_T5_T6_T7_T8_P12ihipStream_tbENKUlT_T0_E_clISt17integral_constantIbLb1EES12_IbLb0EEEEDaSY_SZ_EUlSY_E_NS1_11comp_targetILNS1_3genE2ELNS1_11target_archE906ELNS1_3gpuE6ELNS1_3repE0EEENS1_30default_config_static_selectorELNS0_4arch9wavefront6targetE1EEEvT1_.num_named_barrier, 0
	.set _ZN7rocprim17ROCPRIM_400000_NS6detail17trampoline_kernelINS0_14default_configENS1_29reduce_by_key_config_selectorIdlN6thrust23THRUST_200600_302600_NS4plusIlEEEEZZNS1_33reduce_by_key_impl_wrapped_configILNS1_25lookback_scan_determinismE0ES3_S9_PdNS6_17constant_iteratorIiNS6_11use_defaultESE_EENS6_10device_ptrIdEENSG_IlEEPmS8_NS6_8equal_toIdEEEE10hipError_tPvRmT2_T3_mT4_T5_T6_T7_T8_P12ihipStream_tbENKUlT_T0_E_clISt17integral_constantIbLb1EES12_IbLb0EEEEDaSY_SZ_EUlSY_E_NS1_11comp_targetILNS1_3genE2ELNS1_11target_archE906ELNS1_3gpuE6ELNS1_3repE0EEENS1_30default_config_static_selectorELNS0_4arch9wavefront6targetE1EEEvT1_.private_seg_size, 0
	.set _ZN7rocprim17ROCPRIM_400000_NS6detail17trampoline_kernelINS0_14default_configENS1_29reduce_by_key_config_selectorIdlN6thrust23THRUST_200600_302600_NS4plusIlEEEEZZNS1_33reduce_by_key_impl_wrapped_configILNS1_25lookback_scan_determinismE0ES3_S9_PdNS6_17constant_iteratorIiNS6_11use_defaultESE_EENS6_10device_ptrIdEENSG_IlEEPmS8_NS6_8equal_toIdEEEE10hipError_tPvRmT2_T3_mT4_T5_T6_T7_T8_P12ihipStream_tbENKUlT_T0_E_clISt17integral_constantIbLb1EES12_IbLb0EEEEDaSY_SZ_EUlSY_E_NS1_11comp_targetILNS1_3genE2ELNS1_11target_archE906ELNS1_3gpuE6ELNS1_3repE0EEENS1_30default_config_static_selectorELNS0_4arch9wavefront6targetE1EEEvT1_.uses_vcc, 0
	.set _ZN7rocprim17ROCPRIM_400000_NS6detail17trampoline_kernelINS0_14default_configENS1_29reduce_by_key_config_selectorIdlN6thrust23THRUST_200600_302600_NS4plusIlEEEEZZNS1_33reduce_by_key_impl_wrapped_configILNS1_25lookback_scan_determinismE0ES3_S9_PdNS6_17constant_iteratorIiNS6_11use_defaultESE_EENS6_10device_ptrIdEENSG_IlEEPmS8_NS6_8equal_toIdEEEE10hipError_tPvRmT2_T3_mT4_T5_T6_T7_T8_P12ihipStream_tbENKUlT_T0_E_clISt17integral_constantIbLb1EES12_IbLb0EEEEDaSY_SZ_EUlSY_E_NS1_11comp_targetILNS1_3genE2ELNS1_11target_archE906ELNS1_3gpuE6ELNS1_3repE0EEENS1_30default_config_static_selectorELNS0_4arch9wavefront6targetE1EEEvT1_.uses_flat_scratch, 0
	.set _ZN7rocprim17ROCPRIM_400000_NS6detail17trampoline_kernelINS0_14default_configENS1_29reduce_by_key_config_selectorIdlN6thrust23THRUST_200600_302600_NS4plusIlEEEEZZNS1_33reduce_by_key_impl_wrapped_configILNS1_25lookback_scan_determinismE0ES3_S9_PdNS6_17constant_iteratorIiNS6_11use_defaultESE_EENS6_10device_ptrIdEENSG_IlEEPmS8_NS6_8equal_toIdEEEE10hipError_tPvRmT2_T3_mT4_T5_T6_T7_T8_P12ihipStream_tbENKUlT_T0_E_clISt17integral_constantIbLb1EES12_IbLb0EEEEDaSY_SZ_EUlSY_E_NS1_11comp_targetILNS1_3genE2ELNS1_11target_archE906ELNS1_3gpuE6ELNS1_3repE0EEENS1_30default_config_static_selectorELNS0_4arch9wavefront6targetE1EEEvT1_.has_dyn_sized_stack, 0
	.set _ZN7rocprim17ROCPRIM_400000_NS6detail17trampoline_kernelINS0_14default_configENS1_29reduce_by_key_config_selectorIdlN6thrust23THRUST_200600_302600_NS4plusIlEEEEZZNS1_33reduce_by_key_impl_wrapped_configILNS1_25lookback_scan_determinismE0ES3_S9_PdNS6_17constant_iteratorIiNS6_11use_defaultESE_EENS6_10device_ptrIdEENSG_IlEEPmS8_NS6_8equal_toIdEEEE10hipError_tPvRmT2_T3_mT4_T5_T6_T7_T8_P12ihipStream_tbENKUlT_T0_E_clISt17integral_constantIbLb1EES12_IbLb0EEEEDaSY_SZ_EUlSY_E_NS1_11comp_targetILNS1_3genE2ELNS1_11target_archE906ELNS1_3gpuE6ELNS1_3repE0EEENS1_30default_config_static_selectorELNS0_4arch9wavefront6targetE1EEEvT1_.has_recursion, 0
	.set _ZN7rocprim17ROCPRIM_400000_NS6detail17trampoline_kernelINS0_14default_configENS1_29reduce_by_key_config_selectorIdlN6thrust23THRUST_200600_302600_NS4plusIlEEEEZZNS1_33reduce_by_key_impl_wrapped_configILNS1_25lookback_scan_determinismE0ES3_S9_PdNS6_17constant_iteratorIiNS6_11use_defaultESE_EENS6_10device_ptrIdEENSG_IlEEPmS8_NS6_8equal_toIdEEEE10hipError_tPvRmT2_T3_mT4_T5_T6_T7_T8_P12ihipStream_tbENKUlT_T0_E_clISt17integral_constantIbLb1EES12_IbLb0EEEEDaSY_SZ_EUlSY_E_NS1_11comp_targetILNS1_3genE2ELNS1_11target_archE906ELNS1_3gpuE6ELNS1_3repE0EEENS1_30default_config_static_selectorELNS0_4arch9wavefront6targetE1EEEvT1_.has_indirect_call, 0
	.section	.AMDGPU.csdata,"",@progbits
; Kernel info:
; codeLenInByte = 4
; TotalNumSgprs: 4
; NumVgprs: 0
; ScratchSize: 0
; MemoryBound: 0
; FloatMode: 240
; IeeeMode: 1
; LDSByteSize: 0 bytes/workgroup (compile time only)
; SGPRBlocks: 0
; VGPRBlocks: 0
; NumSGPRsForWavesPerEU: 4
; NumVGPRsForWavesPerEU: 1
; Occupancy: 10
; WaveLimiterHint : 0
; COMPUTE_PGM_RSRC2:SCRATCH_EN: 0
; COMPUTE_PGM_RSRC2:USER_SGPR: 6
; COMPUTE_PGM_RSRC2:TRAP_HANDLER: 0
; COMPUTE_PGM_RSRC2:TGID_X_EN: 1
; COMPUTE_PGM_RSRC2:TGID_Y_EN: 0
; COMPUTE_PGM_RSRC2:TGID_Z_EN: 0
; COMPUTE_PGM_RSRC2:TIDIG_COMP_CNT: 0
	.section	.text._ZN7rocprim17ROCPRIM_400000_NS6detail17trampoline_kernelINS0_14default_configENS1_29reduce_by_key_config_selectorIdlN6thrust23THRUST_200600_302600_NS4plusIlEEEEZZNS1_33reduce_by_key_impl_wrapped_configILNS1_25lookback_scan_determinismE0ES3_S9_PdNS6_17constant_iteratorIiNS6_11use_defaultESE_EENS6_10device_ptrIdEENSG_IlEEPmS8_NS6_8equal_toIdEEEE10hipError_tPvRmT2_T3_mT4_T5_T6_T7_T8_P12ihipStream_tbENKUlT_T0_E_clISt17integral_constantIbLb1EES12_IbLb0EEEEDaSY_SZ_EUlSY_E_NS1_11comp_targetILNS1_3genE10ELNS1_11target_archE1201ELNS1_3gpuE5ELNS1_3repE0EEENS1_30default_config_static_selectorELNS0_4arch9wavefront6targetE1EEEvT1_,"axG",@progbits,_ZN7rocprim17ROCPRIM_400000_NS6detail17trampoline_kernelINS0_14default_configENS1_29reduce_by_key_config_selectorIdlN6thrust23THRUST_200600_302600_NS4plusIlEEEEZZNS1_33reduce_by_key_impl_wrapped_configILNS1_25lookback_scan_determinismE0ES3_S9_PdNS6_17constant_iteratorIiNS6_11use_defaultESE_EENS6_10device_ptrIdEENSG_IlEEPmS8_NS6_8equal_toIdEEEE10hipError_tPvRmT2_T3_mT4_T5_T6_T7_T8_P12ihipStream_tbENKUlT_T0_E_clISt17integral_constantIbLb1EES12_IbLb0EEEEDaSY_SZ_EUlSY_E_NS1_11comp_targetILNS1_3genE10ELNS1_11target_archE1201ELNS1_3gpuE5ELNS1_3repE0EEENS1_30default_config_static_selectorELNS0_4arch9wavefront6targetE1EEEvT1_,comdat
	.protected	_ZN7rocprim17ROCPRIM_400000_NS6detail17trampoline_kernelINS0_14default_configENS1_29reduce_by_key_config_selectorIdlN6thrust23THRUST_200600_302600_NS4plusIlEEEEZZNS1_33reduce_by_key_impl_wrapped_configILNS1_25lookback_scan_determinismE0ES3_S9_PdNS6_17constant_iteratorIiNS6_11use_defaultESE_EENS6_10device_ptrIdEENSG_IlEEPmS8_NS6_8equal_toIdEEEE10hipError_tPvRmT2_T3_mT4_T5_T6_T7_T8_P12ihipStream_tbENKUlT_T0_E_clISt17integral_constantIbLb1EES12_IbLb0EEEEDaSY_SZ_EUlSY_E_NS1_11comp_targetILNS1_3genE10ELNS1_11target_archE1201ELNS1_3gpuE5ELNS1_3repE0EEENS1_30default_config_static_selectorELNS0_4arch9wavefront6targetE1EEEvT1_ ; -- Begin function _ZN7rocprim17ROCPRIM_400000_NS6detail17trampoline_kernelINS0_14default_configENS1_29reduce_by_key_config_selectorIdlN6thrust23THRUST_200600_302600_NS4plusIlEEEEZZNS1_33reduce_by_key_impl_wrapped_configILNS1_25lookback_scan_determinismE0ES3_S9_PdNS6_17constant_iteratorIiNS6_11use_defaultESE_EENS6_10device_ptrIdEENSG_IlEEPmS8_NS6_8equal_toIdEEEE10hipError_tPvRmT2_T3_mT4_T5_T6_T7_T8_P12ihipStream_tbENKUlT_T0_E_clISt17integral_constantIbLb1EES12_IbLb0EEEEDaSY_SZ_EUlSY_E_NS1_11comp_targetILNS1_3genE10ELNS1_11target_archE1201ELNS1_3gpuE5ELNS1_3repE0EEENS1_30default_config_static_selectorELNS0_4arch9wavefront6targetE1EEEvT1_
	.globl	_ZN7rocprim17ROCPRIM_400000_NS6detail17trampoline_kernelINS0_14default_configENS1_29reduce_by_key_config_selectorIdlN6thrust23THRUST_200600_302600_NS4plusIlEEEEZZNS1_33reduce_by_key_impl_wrapped_configILNS1_25lookback_scan_determinismE0ES3_S9_PdNS6_17constant_iteratorIiNS6_11use_defaultESE_EENS6_10device_ptrIdEENSG_IlEEPmS8_NS6_8equal_toIdEEEE10hipError_tPvRmT2_T3_mT4_T5_T6_T7_T8_P12ihipStream_tbENKUlT_T0_E_clISt17integral_constantIbLb1EES12_IbLb0EEEEDaSY_SZ_EUlSY_E_NS1_11comp_targetILNS1_3genE10ELNS1_11target_archE1201ELNS1_3gpuE5ELNS1_3repE0EEENS1_30default_config_static_selectorELNS0_4arch9wavefront6targetE1EEEvT1_
	.p2align	8
	.type	_ZN7rocprim17ROCPRIM_400000_NS6detail17trampoline_kernelINS0_14default_configENS1_29reduce_by_key_config_selectorIdlN6thrust23THRUST_200600_302600_NS4plusIlEEEEZZNS1_33reduce_by_key_impl_wrapped_configILNS1_25lookback_scan_determinismE0ES3_S9_PdNS6_17constant_iteratorIiNS6_11use_defaultESE_EENS6_10device_ptrIdEENSG_IlEEPmS8_NS6_8equal_toIdEEEE10hipError_tPvRmT2_T3_mT4_T5_T6_T7_T8_P12ihipStream_tbENKUlT_T0_E_clISt17integral_constantIbLb1EES12_IbLb0EEEEDaSY_SZ_EUlSY_E_NS1_11comp_targetILNS1_3genE10ELNS1_11target_archE1201ELNS1_3gpuE5ELNS1_3repE0EEENS1_30default_config_static_selectorELNS0_4arch9wavefront6targetE1EEEvT1_,@function
_ZN7rocprim17ROCPRIM_400000_NS6detail17trampoline_kernelINS0_14default_configENS1_29reduce_by_key_config_selectorIdlN6thrust23THRUST_200600_302600_NS4plusIlEEEEZZNS1_33reduce_by_key_impl_wrapped_configILNS1_25lookback_scan_determinismE0ES3_S9_PdNS6_17constant_iteratorIiNS6_11use_defaultESE_EENS6_10device_ptrIdEENSG_IlEEPmS8_NS6_8equal_toIdEEEE10hipError_tPvRmT2_T3_mT4_T5_T6_T7_T8_P12ihipStream_tbENKUlT_T0_E_clISt17integral_constantIbLb1EES12_IbLb0EEEEDaSY_SZ_EUlSY_E_NS1_11comp_targetILNS1_3genE10ELNS1_11target_archE1201ELNS1_3gpuE5ELNS1_3repE0EEENS1_30default_config_static_selectorELNS0_4arch9wavefront6targetE1EEEvT1_: ; @_ZN7rocprim17ROCPRIM_400000_NS6detail17trampoline_kernelINS0_14default_configENS1_29reduce_by_key_config_selectorIdlN6thrust23THRUST_200600_302600_NS4plusIlEEEEZZNS1_33reduce_by_key_impl_wrapped_configILNS1_25lookback_scan_determinismE0ES3_S9_PdNS6_17constant_iteratorIiNS6_11use_defaultESE_EENS6_10device_ptrIdEENSG_IlEEPmS8_NS6_8equal_toIdEEEE10hipError_tPvRmT2_T3_mT4_T5_T6_T7_T8_P12ihipStream_tbENKUlT_T0_E_clISt17integral_constantIbLb1EES12_IbLb0EEEEDaSY_SZ_EUlSY_E_NS1_11comp_targetILNS1_3genE10ELNS1_11target_archE1201ELNS1_3gpuE5ELNS1_3repE0EEENS1_30default_config_static_selectorELNS0_4arch9wavefront6targetE1EEEvT1_
; %bb.0:
	.section	.rodata,"a",@progbits
	.p2align	6, 0x0
	.amdhsa_kernel _ZN7rocprim17ROCPRIM_400000_NS6detail17trampoline_kernelINS0_14default_configENS1_29reduce_by_key_config_selectorIdlN6thrust23THRUST_200600_302600_NS4plusIlEEEEZZNS1_33reduce_by_key_impl_wrapped_configILNS1_25lookback_scan_determinismE0ES3_S9_PdNS6_17constant_iteratorIiNS6_11use_defaultESE_EENS6_10device_ptrIdEENSG_IlEEPmS8_NS6_8equal_toIdEEEE10hipError_tPvRmT2_T3_mT4_T5_T6_T7_T8_P12ihipStream_tbENKUlT_T0_E_clISt17integral_constantIbLb1EES12_IbLb0EEEEDaSY_SZ_EUlSY_E_NS1_11comp_targetILNS1_3genE10ELNS1_11target_archE1201ELNS1_3gpuE5ELNS1_3repE0EEENS1_30default_config_static_selectorELNS0_4arch9wavefront6targetE1EEEvT1_
		.amdhsa_group_segment_fixed_size 0
		.amdhsa_private_segment_fixed_size 0
		.amdhsa_kernarg_size 144
		.amdhsa_user_sgpr_count 6
		.amdhsa_user_sgpr_private_segment_buffer 1
		.amdhsa_user_sgpr_dispatch_ptr 0
		.amdhsa_user_sgpr_queue_ptr 0
		.amdhsa_user_sgpr_kernarg_segment_ptr 1
		.amdhsa_user_sgpr_dispatch_id 0
		.amdhsa_user_sgpr_flat_scratch_init 0
		.amdhsa_user_sgpr_private_segment_size 0
		.amdhsa_uses_dynamic_stack 0
		.amdhsa_system_sgpr_private_segment_wavefront_offset 0
		.amdhsa_system_sgpr_workgroup_id_x 1
		.amdhsa_system_sgpr_workgroup_id_y 0
		.amdhsa_system_sgpr_workgroup_id_z 0
		.amdhsa_system_sgpr_workgroup_info 0
		.amdhsa_system_vgpr_workitem_id 0
		.amdhsa_next_free_vgpr 1
		.amdhsa_next_free_sgpr 0
		.amdhsa_reserve_vcc 0
		.amdhsa_reserve_flat_scratch 0
		.amdhsa_float_round_mode_32 0
		.amdhsa_float_round_mode_16_64 0
		.amdhsa_float_denorm_mode_32 3
		.amdhsa_float_denorm_mode_16_64 3
		.amdhsa_dx10_clamp 1
		.amdhsa_ieee_mode 1
		.amdhsa_fp16_overflow 0
		.amdhsa_exception_fp_ieee_invalid_op 0
		.amdhsa_exception_fp_denorm_src 0
		.amdhsa_exception_fp_ieee_div_zero 0
		.amdhsa_exception_fp_ieee_overflow 0
		.amdhsa_exception_fp_ieee_underflow 0
		.amdhsa_exception_fp_ieee_inexact 0
		.amdhsa_exception_int_div_zero 0
	.end_amdhsa_kernel
	.section	.text._ZN7rocprim17ROCPRIM_400000_NS6detail17trampoline_kernelINS0_14default_configENS1_29reduce_by_key_config_selectorIdlN6thrust23THRUST_200600_302600_NS4plusIlEEEEZZNS1_33reduce_by_key_impl_wrapped_configILNS1_25lookback_scan_determinismE0ES3_S9_PdNS6_17constant_iteratorIiNS6_11use_defaultESE_EENS6_10device_ptrIdEENSG_IlEEPmS8_NS6_8equal_toIdEEEE10hipError_tPvRmT2_T3_mT4_T5_T6_T7_T8_P12ihipStream_tbENKUlT_T0_E_clISt17integral_constantIbLb1EES12_IbLb0EEEEDaSY_SZ_EUlSY_E_NS1_11comp_targetILNS1_3genE10ELNS1_11target_archE1201ELNS1_3gpuE5ELNS1_3repE0EEENS1_30default_config_static_selectorELNS0_4arch9wavefront6targetE1EEEvT1_,"axG",@progbits,_ZN7rocprim17ROCPRIM_400000_NS6detail17trampoline_kernelINS0_14default_configENS1_29reduce_by_key_config_selectorIdlN6thrust23THRUST_200600_302600_NS4plusIlEEEEZZNS1_33reduce_by_key_impl_wrapped_configILNS1_25lookback_scan_determinismE0ES3_S9_PdNS6_17constant_iteratorIiNS6_11use_defaultESE_EENS6_10device_ptrIdEENSG_IlEEPmS8_NS6_8equal_toIdEEEE10hipError_tPvRmT2_T3_mT4_T5_T6_T7_T8_P12ihipStream_tbENKUlT_T0_E_clISt17integral_constantIbLb1EES12_IbLb0EEEEDaSY_SZ_EUlSY_E_NS1_11comp_targetILNS1_3genE10ELNS1_11target_archE1201ELNS1_3gpuE5ELNS1_3repE0EEENS1_30default_config_static_selectorELNS0_4arch9wavefront6targetE1EEEvT1_,comdat
.Lfunc_end1711:
	.size	_ZN7rocprim17ROCPRIM_400000_NS6detail17trampoline_kernelINS0_14default_configENS1_29reduce_by_key_config_selectorIdlN6thrust23THRUST_200600_302600_NS4plusIlEEEEZZNS1_33reduce_by_key_impl_wrapped_configILNS1_25lookback_scan_determinismE0ES3_S9_PdNS6_17constant_iteratorIiNS6_11use_defaultESE_EENS6_10device_ptrIdEENSG_IlEEPmS8_NS6_8equal_toIdEEEE10hipError_tPvRmT2_T3_mT4_T5_T6_T7_T8_P12ihipStream_tbENKUlT_T0_E_clISt17integral_constantIbLb1EES12_IbLb0EEEEDaSY_SZ_EUlSY_E_NS1_11comp_targetILNS1_3genE10ELNS1_11target_archE1201ELNS1_3gpuE5ELNS1_3repE0EEENS1_30default_config_static_selectorELNS0_4arch9wavefront6targetE1EEEvT1_, .Lfunc_end1711-_ZN7rocprim17ROCPRIM_400000_NS6detail17trampoline_kernelINS0_14default_configENS1_29reduce_by_key_config_selectorIdlN6thrust23THRUST_200600_302600_NS4plusIlEEEEZZNS1_33reduce_by_key_impl_wrapped_configILNS1_25lookback_scan_determinismE0ES3_S9_PdNS6_17constant_iteratorIiNS6_11use_defaultESE_EENS6_10device_ptrIdEENSG_IlEEPmS8_NS6_8equal_toIdEEEE10hipError_tPvRmT2_T3_mT4_T5_T6_T7_T8_P12ihipStream_tbENKUlT_T0_E_clISt17integral_constantIbLb1EES12_IbLb0EEEEDaSY_SZ_EUlSY_E_NS1_11comp_targetILNS1_3genE10ELNS1_11target_archE1201ELNS1_3gpuE5ELNS1_3repE0EEENS1_30default_config_static_selectorELNS0_4arch9wavefront6targetE1EEEvT1_
                                        ; -- End function
	.set _ZN7rocprim17ROCPRIM_400000_NS6detail17trampoline_kernelINS0_14default_configENS1_29reduce_by_key_config_selectorIdlN6thrust23THRUST_200600_302600_NS4plusIlEEEEZZNS1_33reduce_by_key_impl_wrapped_configILNS1_25lookback_scan_determinismE0ES3_S9_PdNS6_17constant_iteratorIiNS6_11use_defaultESE_EENS6_10device_ptrIdEENSG_IlEEPmS8_NS6_8equal_toIdEEEE10hipError_tPvRmT2_T3_mT4_T5_T6_T7_T8_P12ihipStream_tbENKUlT_T0_E_clISt17integral_constantIbLb1EES12_IbLb0EEEEDaSY_SZ_EUlSY_E_NS1_11comp_targetILNS1_3genE10ELNS1_11target_archE1201ELNS1_3gpuE5ELNS1_3repE0EEENS1_30default_config_static_selectorELNS0_4arch9wavefront6targetE1EEEvT1_.num_vgpr, 0
	.set _ZN7rocprim17ROCPRIM_400000_NS6detail17trampoline_kernelINS0_14default_configENS1_29reduce_by_key_config_selectorIdlN6thrust23THRUST_200600_302600_NS4plusIlEEEEZZNS1_33reduce_by_key_impl_wrapped_configILNS1_25lookback_scan_determinismE0ES3_S9_PdNS6_17constant_iteratorIiNS6_11use_defaultESE_EENS6_10device_ptrIdEENSG_IlEEPmS8_NS6_8equal_toIdEEEE10hipError_tPvRmT2_T3_mT4_T5_T6_T7_T8_P12ihipStream_tbENKUlT_T0_E_clISt17integral_constantIbLb1EES12_IbLb0EEEEDaSY_SZ_EUlSY_E_NS1_11comp_targetILNS1_3genE10ELNS1_11target_archE1201ELNS1_3gpuE5ELNS1_3repE0EEENS1_30default_config_static_selectorELNS0_4arch9wavefront6targetE1EEEvT1_.num_agpr, 0
	.set _ZN7rocprim17ROCPRIM_400000_NS6detail17trampoline_kernelINS0_14default_configENS1_29reduce_by_key_config_selectorIdlN6thrust23THRUST_200600_302600_NS4plusIlEEEEZZNS1_33reduce_by_key_impl_wrapped_configILNS1_25lookback_scan_determinismE0ES3_S9_PdNS6_17constant_iteratorIiNS6_11use_defaultESE_EENS6_10device_ptrIdEENSG_IlEEPmS8_NS6_8equal_toIdEEEE10hipError_tPvRmT2_T3_mT4_T5_T6_T7_T8_P12ihipStream_tbENKUlT_T0_E_clISt17integral_constantIbLb1EES12_IbLb0EEEEDaSY_SZ_EUlSY_E_NS1_11comp_targetILNS1_3genE10ELNS1_11target_archE1201ELNS1_3gpuE5ELNS1_3repE0EEENS1_30default_config_static_selectorELNS0_4arch9wavefront6targetE1EEEvT1_.numbered_sgpr, 0
	.set _ZN7rocprim17ROCPRIM_400000_NS6detail17trampoline_kernelINS0_14default_configENS1_29reduce_by_key_config_selectorIdlN6thrust23THRUST_200600_302600_NS4plusIlEEEEZZNS1_33reduce_by_key_impl_wrapped_configILNS1_25lookback_scan_determinismE0ES3_S9_PdNS6_17constant_iteratorIiNS6_11use_defaultESE_EENS6_10device_ptrIdEENSG_IlEEPmS8_NS6_8equal_toIdEEEE10hipError_tPvRmT2_T3_mT4_T5_T6_T7_T8_P12ihipStream_tbENKUlT_T0_E_clISt17integral_constantIbLb1EES12_IbLb0EEEEDaSY_SZ_EUlSY_E_NS1_11comp_targetILNS1_3genE10ELNS1_11target_archE1201ELNS1_3gpuE5ELNS1_3repE0EEENS1_30default_config_static_selectorELNS0_4arch9wavefront6targetE1EEEvT1_.num_named_barrier, 0
	.set _ZN7rocprim17ROCPRIM_400000_NS6detail17trampoline_kernelINS0_14default_configENS1_29reduce_by_key_config_selectorIdlN6thrust23THRUST_200600_302600_NS4plusIlEEEEZZNS1_33reduce_by_key_impl_wrapped_configILNS1_25lookback_scan_determinismE0ES3_S9_PdNS6_17constant_iteratorIiNS6_11use_defaultESE_EENS6_10device_ptrIdEENSG_IlEEPmS8_NS6_8equal_toIdEEEE10hipError_tPvRmT2_T3_mT4_T5_T6_T7_T8_P12ihipStream_tbENKUlT_T0_E_clISt17integral_constantIbLb1EES12_IbLb0EEEEDaSY_SZ_EUlSY_E_NS1_11comp_targetILNS1_3genE10ELNS1_11target_archE1201ELNS1_3gpuE5ELNS1_3repE0EEENS1_30default_config_static_selectorELNS0_4arch9wavefront6targetE1EEEvT1_.private_seg_size, 0
	.set _ZN7rocprim17ROCPRIM_400000_NS6detail17trampoline_kernelINS0_14default_configENS1_29reduce_by_key_config_selectorIdlN6thrust23THRUST_200600_302600_NS4plusIlEEEEZZNS1_33reduce_by_key_impl_wrapped_configILNS1_25lookback_scan_determinismE0ES3_S9_PdNS6_17constant_iteratorIiNS6_11use_defaultESE_EENS6_10device_ptrIdEENSG_IlEEPmS8_NS6_8equal_toIdEEEE10hipError_tPvRmT2_T3_mT4_T5_T6_T7_T8_P12ihipStream_tbENKUlT_T0_E_clISt17integral_constantIbLb1EES12_IbLb0EEEEDaSY_SZ_EUlSY_E_NS1_11comp_targetILNS1_3genE10ELNS1_11target_archE1201ELNS1_3gpuE5ELNS1_3repE0EEENS1_30default_config_static_selectorELNS0_4arch9wavefront6targetE1EEEvT1_.uses_vcc, 0
	.set _ZN7rocprim17ROCPRIM_400000_NS6detail17trampoline_kernelINS0_14default_configENS1_29reduce_by_key_config_selectorIdlN6thrust23THRUST_200600_302600_NS4plusIlEEEEZZNS1_33reduce_by_key_impl_wrapped_configILNS1_25lookback_scan_determinismE0ES3_S9_PdNS6_17constant_iteratorIiNS6_11use_defaultESE_EENS6_10device_ptrIdEENSG_IlEEPmS8_NS6_8equal_toIdEEEE10hipError_tPvRmT2_T3_mT4_T5_T6_T7_T8_P12ihipStream_tbENKUlT_T0_E_clISt17integral_constantIbLb1EES12_IbLb0EEEEDaSY_SZ_EUlSY_E_NS1_11comp_targetILNS1_3genE10ELNS1_11target_archE1201ELNS1_3gpuE5ELNS1_3repE0EEENS1_30default_config_static_selectorELNS0_4arch9wavefront6targetE1EEEvT1_.uses_flat_scratch, 0
	.set _ZN7rocprim17ROCPRIM_400000_NS6detail17trampoline_kernelINS0_14default_configENS1_29reduce_by_key_config_selectorIdlN6thrust23THRUST_200600_302600_NS4plusIlEEEEZZNS1_33reduce_by_key_impl_wrapped_configILNS1_25lookback_scan_determinismE0ES3_S9_PdNS6_17constant_iteratorIiNS6_11use_defaultESE_EENS6_10device_ptrIdEENSG_IlEEPmS8_NS6_8equal_toIdEEEE10hipError_tPvRmT2_T3_mT4_T5_T6_T7_T8_P12ihipStream_tbENKUlT_T0_E_clISt17integral_constantIbLb1EES12_IbLb0EEEEDaSY_SZ_EUlSY_E_NS1_11comp_targetILNS1_3genE10ELNS1_11target_archE1201ELNS1_3gpuE5ELNS1_3repE0EEENS1_30default_config_static_selectorELNS0_4arch9wavefront6targetE1EEEvT1_.has_dyn_sized_stack, 0
	.set _ZN7rocprim17ROCPRIM_400000_NS6detail17trampoline_kernelINS0_14default_configENS1_29reduce_by_key_config_selectorIdlN6thrust23THRUST_200600_302600_NS4plusIlEEEEZZNS1_33reduce_by_key_impl_wrapped_configILNS1_25lookback_scan_determinismE0ES3_S9_PdNS6_17constant_iteratorIiNS6_11use_defaultESE_EENS6_10device_ptrIdEENSG_IlEEPmS8_NS6_8equal_toIdEEEE10hipError_tPvRmT2_T3_mT4_T5_T6_T7_T8_P12ihipStream_tbENKUlT_T0_E_clISt17integral_constantIbLb1EES12_IbLb0EEEEDaSY_SZ_EUlSY_E_NS1_11comp_targetILNS1_3genE10ELNS1_11target_archE1201ELNS1_3gpuE5ELNS1_3repE0EEENS1_30default_config_static_selectorELNS0_4arch9wavefront6targetE1EEEvT1_.has_recursion, 0
	.set _ZN7rocprim17ROCPRIM_400000_NS6detail17trampoline_kernelINS0_14default_configENS1_29reduce_by_key_config_selectorIdlN6thrust23THRUST_200600_302600_NS4plusIlEEEEZZNS1_33reduce_by_key_impl_wrapped_configILNS1_25lookback_scan_determinismE0ES3_S9_PdNS6_17constant_iteratorIiNS6_11use_defaultESE_EENS6_10device_ptrIdEENSG_IlEEPmS8_NS6_8equal_toIdEEEE10hipError_tPvRmT2_T3_mT4_T5_T6_T7_T8_P12ihipStream_tbENKUlT_T0_E_clISt17integral_constantIbLb1EES12_IbLb0EEEEDaSY_SZ_EUlSY_E_NS1_11comp_targetILNS1_3genE10ELNS1_11target_archE1201ELNS1_3gpuE5ELNS1_3repE0EEENS1_30default_config_static_selectorELNS0_4arch9wavefront6targetE1EEEvT1_.has_indirect_call, 0
	.section	.AMDGPU.csdata,"",@progbits
; Kernel info:
; codeLenInByte = 0
; TotalNumSgprs: 4
; NumVgprs: 0
; ScratchSize: 0
; MemoryBound: 0
; FloatMode: 240
; IeeeMode: 1
; LDSByteSize: 0 bytes/workgroup (compile time only)
; SGPRBlocks: 0
; VGPRBlocks: 0
; NumSGPRsForWavesPerEU: 4
; NumVGPRsForWavesPerEU: 1
; Occupancy: 10
; WaveLimiterHint : 0
; COMPUTE_PGM_RSRC2:SCRATCH_EN: 0
; COMPUTE_PGM_RSRC2:USER_SGPR: 6
; COMPUTE_PGM_RSRC2:TRAP_HANDLER: 0
; COMPUTE_PGM_RSRC2:TGID_X_EN: 1
; COMPUTE_PGM_RSRC2:TGID_Y_EN: 0
; COMPUTE_PGM_RSRC2:TGID_Z_EN: 0
; COMPUTE_PGM_RSRC2:TIDIG_COMP_CNT: 0
	.section	.text._ZN7rocprim17ROCPRIM_400000_NS6detail17trampoline_kernelINS0_14default_configENS1_29reduce_by_key_config_selectorIdlN6thrust23THRUST_200600_302600_NS4plusIlEEEEZZNS1_33reduce_by_key_impl_wrapped_configILNS1_25lookback_scan_determinismE0ES3_S9_PdNS6_17constant_iteratorIiNS6_11use_defaultESE_EENS6_10device_ptrIdEENSG_IlEEPmS8_NS6_8equal_toIdEEEE10hipError_tPvRmT2_T3_mT4_T5_T6_T7_T8_P12ihipStream_tbENKUlT_T0_E_clISt17integral_constantIbLb1EES12_IbLb0EEEEDaSY_SZ_EUlSY_E_NS1_11comp_targetILNS1_3genE10ELNS1_11target_archE1200ELNS1_3gpuE4ELNS1_3repE0EEENS1_30default_config_static_selectorELNS0_4arch9wavefront6targetE1EEEvT1_,"axG",@progbits,_ZN7rocprim17ROCPRIM_400000_NS6detail17trampoline_kernelINS0_14default_configENS1_29reduce_by_key_config_selectorIdlN6thrust23THRUST_200600_302600_NS4plusIlEEEEZZNS1_33reduce_by_key_impl_wrapped_configILNS1_25lookback_scan_determinismE0ES3_S9_PdNS6_17constant_iteratorIiNS6_11use_defaultESE_EENS6_10device_ptrIdEENSG_IlEEPmS8_NS6_8equal_toIdEEEE10hipError_tPvRmT2_T3_mT4_T5_T6_T7_T8_P12ihipStream_tbENKUlT_T0_E_clISt17integral_constantIbLb1EES12_IbLb0EEEEDaSY_SZ_EUlSY_E_NS1_11comp_targetILNS1_3genE10ELNS1_11target_archE1200ELNS1_3gpuE4ELNS1_3repE0EEENS1_30default_config_static_selectorELNS0_4arch9wavefront6targetE1EEEvT1_,comdat
	.protected	_ZN7rocprim17ROCPRIM_400000_NS6detail17trampoline_kernelINS0_14default_configENS1_29reduce_by_key_config_selectorIdlN6thrust23THRUST_200600_302600_NS4plusIlEEEEZZNS1_33reduce_by_key_impl_wrapped_configILNS1_25lookback_scan_determinismE0ES3_S9_PdNS6_17constant_iteratorIiNS6_11use_defaultESE_EENS6_10device_ptrIdEENSG_IlEEPmS8_NS6_8equal_toIdEEEE10hipError_tPvRmT2_T3_mT4_T5_T6_T7_T8_P12ihipStream_tbENKUlT_T0_E_clISt17integral_constantIbLb1EES12_IbLb0EEEEDaSY_SZ_EUlSY_E_NS1_11comp_targetILNS1_3genE10ELNS1_11target_archE1200ELNS1_3gpuE4ELNS1_3repE0EEENS1_30default_config_static_selectorELNS0_4arch9wavefront6targetE1EEEvT1_ ; -- Begin function _ZN7rocprim17ROCPRIM_400000_NS6detail17trampoline_kernelINS0_14default_configENS1_29reduce_by_key_config_selectorIdlN6thrust23THRUST_200600_302600_NS4plusIlEEEEZZNS1_33reduce_by_key_impl_wrapped_configILNS1_25lookback_scan_determinismE0ES3_S9_PdNS6_17constant_iteratorIiNS6_11use_defaultESE_EENS6_10device_ptrIdEENSG_IlEEPmS8_NS6_8equal_toIdEEEE10hipError_tPvRmT2_T3_mT4_T5_T6_T7_T8_P12ihipStream_tbENKUlT_T0_E_clISt17integral_constantIbLb1EES12_IbLb0EEEEDaSY_SZ_EUlSY_E_NS1_11comp_targetILNS1_3genE10ELNS1_11target_archE1200ELNS1_3gpuE4ELNS1_3repE0EEENS1_30default_config_static_selectorELNS0_4arch9wavefront6targetE1EEEvT1_
	.globl	_ZN7rocprim17ROCPRIM_400000_NS6detail17trampoline_kernelINS0_14default_configENS1_29reduce_by_key_config_selectorIdlN6thrust23THRUST_200600_302600_NS4plusIlEEEEZZNS1_33reduce_by_key_impl_wrapped_configILNS1_25lookback_scan_determinismE0ES3_S9_PdNS6_17constant_iteratorIiNS6_11use_defaultESE_EENS6_10device_ptrIdEENSG_IlEEPmS8_NS6_8equal_toIdEEEE10hipError_tPvRmT2_T3_mT4_T5_T6_T7_T8_P12ihipStream_tbENKUlT_T0_E_clISt17integral_constantIbLb1EES12_IbLb0EEEEDaSY_SZ_EUlSY_E_NS1_11comp_targetILNS1_3genE10ELNS1_11target_archE1200ELNS1_3gpuE4ELNS1_3repE0EEENS1_30default_config_static_selectorELNS0_4arch9wavefront6targetE1EEEvT1_
	.p2align	8
	.type	_ZN7rocprim17ROCPRIM_400000_NS6detail17trampoline_kernelINS0_14default_configENS1_29reduce_by_key_config_selectorIdlN6thrust23THRUST_200600_302600_NS4plusIlEEEEZZNS1_33reduce_by_key_impl_wrapped_configILNS1_25lookback_scan_determinismE0ES3_S9_PdNS6_17constant_iteratorIiNS6_11use_defaultESE_EENS6_10device_ptrIdEENSG_IlEEPmS8_NS6_8equal_toIdEEEE10hipError_tPvRmT2_T3_mT4_T5_T6_T7_T8_P12ihipStream_tbENKUlT_T0_E_clISt17integral_constantIbLb1EES12_IbLb0EEEEDaSY_SZ_EUlSY_E_NS1_11comp_targetILNS1_3genE10ELNS1_11target_archE1200ELNS1_3gpuE4ELNS1_3repE0EEENS1_30default_config_static_selectorELNS0_4arch9wavefront6targetE1EEEvT1_,@function
_ZN7rocprim17ROCPRIM_400000_NS6detail17trampoline_kernelINS0_14default_configENS1_29reduce_by_key_config_selectorIdlN6thrust23THRUST_200600_302600_NS4plusIlEEEEZZNS1_33reduce_by_key_impl_wrapped_configILNS1_25lookback_scan_determinismE0ES3_S9_PdNS6_17constant_iteratorIiNS6_11use_defaultESE_EENS6_10device_ptrIdEENSG_IlEEPmS8_NS6_8equal_toIdEEEE10hipError_tPvRmT2_T3_mT4_T5_T6_T7_T8_P12ihipStream_tbENKUlT_T0_E_clISt17integral_constantIbLb1EES12_IbLb0EEEEDaSY_SZ_EUlSY_E_NS1_11comp_targetILNS1_3genE10ELNS1_11target_archE1200ELNS1_3gpuE4ELNS1_3repE0EEENS1_30default_config_static_selectorELNS0_4arch9wavefront6targetE1EEEvT1_: ; @_ZN7rocprim17ROCPRIM_400000_NS6detail17trampoline_kernelINS0_14default_configENS1_29reduce_by_key_config_selectorIdlN6thrust23THRUST_200600_302600_NS4plusIlEEEEZZNS1_33reduce_by_key_impl_wrapped_configILNS1_25lookback_scan_determinismE0ES3_S9_PdNS6_17constant_iteratorIiNS6_11use_defaultESE_EENS6_10device_ptrIdEENSG_IlEEPmS8_NS6_8equal_toIdEEEE10hipError_tPvRmT2_T3_mT4_T5_T6_T7_T8_P12ihipStream_tbENKUlT_T0_E_clISt17integral_constantIbLb1EES12_IbLb0EEEEDaSY_SZ_EUlSY_E_NS1_11comp_targetILNS1_3genE10ELNS1_11target_archE1200ELNS1_3gpuE4ELNS1_3repE0EEENS1_30default_config_static_selectorELNS0_4arch9wavefront6targetE1EEEvT1_
; %bb.0:
	.section	.rodata,"a",@progbits
	.p2align	6, 0x0
	.amdhsa_kernel _ZN7rocprim17ROCPRIM_400000_NS6detail17trampoline_kernelINS0_14default_configENS1_29reduce_by_key_config_selectorIdlN6thrust23THRUST_200600_302600_NS4plusIlEEEEZZNS1_33reduce_by_key_impl_wrapped_configILNS1_25lookback_scan_determinismE0ES3_S9_PdNS6_17constant_iteratorIiNS6_11use_defaultESE_EENS6_10device_ptrIdEENSG_IlEEPmS8_NS6_8equal_toIdEEEE10hipError_tPvRmT2_T3_mT4_T5_T6_T7_T8_P12ihipStream_tbENKUlT_T0_E_clISt17integral_constantIbLb1EES12_IbLb0EEEEDaSY_SZ_EUlSY_E_NS1_11comp_targetILNS1_3genE10ELNS1_11target_archE1200ELNS1_3gpuE4ELNS1_3repE0EEENS1_30default_config_static_selectorELNS0_4arch9wavefront6targetE1EEEvT1_
		.amdhsa_group_segment_fixed_size 0
		.amdhsa_private_segment_fixed_size 0
		.amdhsa_kernarg_size 144
		.amdhsa_user_sgpr_count 6
		.amdhsa_user_sgpr_private_segment_buffer 1
		.amdhsa_user_sgpr_dispatch_ptr 0
		.amdhsa_user_sgpr_queue_ptr 0
		.amdhsa_user_sgpr_kernarg_segment_ptr 1
		.amdhsa_user_sgpr_dispatch_id 0
		.amdhsa_user_sgpr_flat_scratch_init 0
		.amdhsa_user_sgpr_private_segment_size 0
		.amdhsa_uses_dynamic_stack 0
		.amdhsa_system_sgpr_private_segment_wavefront_offset 0
		.amdhsa_system_sgpr_workgroup_id_x 1
		.amdhsa_system_sgpr_workgroup_id_y 0
		.amdhsa_system_sgpr_workgroup_id_z 0
		.amdhsa_system_sgpr_workgroup_info 0
		.amdhsa_system_vgpr_workitem_id 0
		.amdhsa_next_free_vgpr 1
		.amdhsa_next_free_sgpr 0
		.amdhsa_reserve_vcc 0
		.amdhsa_reserve_flat_scratch 0
		.amdhsa_float_round_mode_32 0
		.amdhsa_float_round_mode_16_64 0
		.amdhsa_float_denorm_mode_32 3
		.amdhsa_float_denorm_mode_16_64 3
		.amdhsa_dx10_clamp 1
		.amdhsa_ieee_mode 1
		.amdhsa_fp16_overflow 0
		.amdhsa_exception_fp_ieee_invalid_op 0
		.amdhsa_exception_fp_denorm_src 0
		.amdhsa_exception_fp_ieee_div_zero 0
		.amdhsa_exception_fp_ieee_overflow 0
		.amdhsa_exception_fp_ieee_underflow 0
		.amdhsa_exception_fp_ieee_inexact 0
		.amdhsa_exception_int_div_zero 0
	.end_amdhsa_kernel
	.section	.text._ZN7rocprim17ROCPRIM_400000_NS6detail17trampoline_kernelINS0_14default_configENS1_29reduce_by_key_config_selectorIdlN6thrust23THRUST_200600_302600_NS4plusIlEEEEZZNS1_33reduce_by_key_impl_wrapped_configILNS1_25lookback_scan_determinismE0ES3_S9_PdNS6_17constant_iteratorIiNS6_11use_defaultESE_EENS6_10device_ptrIdEENSG_IlEEPmS8_NS6_8equal_toIdEEEE10hipError_tPvRmT2_T3_mT4_T5_T6_T7_T8_P12ihipStream_tbENKUlT_T0_E_clISt17integral_constantIbLb1EES12_IbLb0EEEEDaSY_SZ_EUlSY_E_NS1_11comp_targetILNS1_3genE10ELNS1_11target_archE1200ELNS1_3gpuE4ELNS1_3repE0EEENS1_30default_config_static_selectorELNS0_4arch9wavefront6targetE1EEEvT1_,"axG",@progbits,_ZN7rocprim17ROCPRIM_400000_NS6detail17trampoline_kernelINS0_14default_configENS1_29reduce_by_key_config_selectorIdlN6thrust23THRUST_200600_302600_NS4plusIlEEEEZZNS1_33reduce_by_key_impl_wrapped_configILNS1_25lookback_scan_determinismE0ES3_S9_PdNS6_17constant_iteratorIiNS6_11use_defaultESE_EENS6_10device_ptrIdEENSG_IlEEPmS8_NS6_8equal_toIdEEEE10hipError_tPvRmT2_T3_mT4_T5_T6_T7_T8_P12ihipStream_tbENKUlT_T0_E_clISt17integral_constantIbLb1EES12_IbLb0EEEEDaSY_SZ_EUlSY_E_NS1_11comp_targetILNS1_3genE10ELNS1_11target_archE1200ELNS1_3gpuE4ELNS1_3repE0EEENS1_30default_config_static_selectorELNS0_4arch9wavefront6targetE1EEEvT1_,comdat
.Lfunc_end1712:
	.size	_ZN7rocprim17ROCPRIM_400000_NS6detail17trampoline_kernelINS0_14default_configENS1_29reduce_by_key_config_selectorIdlN6thrust23THRUST_200600_302600_NS4plusIlEEEEZZNS1_33reduce_by_key_impl_wrapped_configILNS1_25lookback_scan_determinismE0ES3_S9_PdNS6_17constant_iteratorIiNS6_11use_defaultESE_EENS6_10device_ptrIdEENSG_IlEEPmS8_NS6_8equal_toIdEEEE10hipError_tPvRmT2_T3_mT4_T5_T6_T7_T8_P12ihipStream_tbENKUlT_T0_E_clISt17integral_constantIbLb1EES12_IbLb0EEEEDaSY_SZ_EUlSY_E_NS1_11comp_targetILNS1_3genE10ELNS1_11target_archE1200ELNS1_3gpuE4ELNS1_3repE0EEENS1_30default_config_static_selectorELNS0_4arch9wavefront6targetE1EEEvT1_, .Lfunc_end1712-_ZN7rocprim17ROCPRIM_400000_NS6detail17trampoline_kernelINS0_14default_configENS1_29reduce_by_key_config_selectorIdlN6thrust23THRUST_200600_302600_NS4plusIlEEEEZZNS1_33reduce_by_key_impl_wrapped_configILNS1_25lookback_scan_determinismE0ES3_S9_PdNS6_17constant_iteratorIiNS6_11use_defaultESE_EENS6_10device_ptrIdEENSG_IlEEPmS8_NS6_8equal_toIdEEEE10hipError_tPvRmT2_T3_mT4_T5_T6_T7_T8_P12ihipStream_tbENKUlT_T0_E_clISt17integral_constantIbLb1EES12_IbLb0EEEEDaSY_SZ_EUlSY_E_NS1_11comp_targetILNS1_3genE10ELNS1_11target_archE1200ELNS1_3gpuE4ELNS1_3repE0EEENS1_30default_config_static_selectorELNS0_4arch9wavefront6targetE1EEEvT1_
                                        ; -- End function
	.set _ZN7rocprim17ROCPRIM_400000_NS6detail17trampoline_kernelINS0_14default_configENS1_29reduce_by_key_config_selectorIdlN6thrust23THRUST_200600_302600_NS4plusIlEEEEZZNS1_33reduce_by_key_impl_wrapped_configILNS1_25lookback_scan_determinismE0ES3_S9_PdNS6_17constant_iteratorIiNS6_11use_defaultESE_EENS6_10device_ptrIdEENSG_IlEEPmS8_NS6_8equal_toIdEEEE10hipError_tPvRmT2_T3_mT4_T5_T6_T7_T8_P12ihipStream_tbENKUlT_T0_E_clISt17integral_constantIbLb1EES12_IbLb0EEEEDaSY_SZ_EUlSY_E_NS1_11comp_targetILNS1_3genE10ELNS1_11target_archE1200ELNS1_3gpuE4ELNS1_3repE0EEENS1_30default_config_static_selectorELNS0_4arch9wavefront6targetE1EEEvT1_.num_vgpr, 0
	.set _ZN7rocprim17ROCPRIM_400000_NS6detail17trampoline_kernelINS0_14default_configENS1_29reduce_by_key_config_selectorIdlN6thrust23THRUST_200600_302600_NS4plusIlEEEEZZNS1_33reduce_by_key_impl_wrapped_configILNS1_25lookback_scan_determinismE0ES3_S9_PdNS6_17constant_iteratorIiNS6_11use_defaultESE_EENS6_10device_ptrIdEENSG_IlEEPmS8_NS6_8equal_toIdEEEE10hipError_tPvRmT2_T3_mT4_T5_T6_T7_T8_P12ihipStream_tbENKUlT_T0_E_clISt17integral_constantIbLb1EES12_IbLb0EEEEDaSY_SZ_EUlSY_E_NS1_11comp_targetILNS1_3genE10ELNS1_11target_archE1200ELNS1_3gpuE4ELNS1_3repE0EEENS1_30default_config_static_selectorELNS0_4arch9wavefront6targetE1EEEvT1_.num_agpr, 0
	.set _ZN7rocprim17ROCPRIM_400000_NS6detail17trampoline_kernelINS0_14default_configENS1_29reduce_by_key_config_selectorIdlN6thrust23THRUST_200600_302600_NS4plusIlEEEEZZNS1_33reduce_by_key_impl_wrapped_configILNS1_25lookback_scan_determinismE0ES3_S9_PdNS6_17constant_iteratorIiNS6_11use_defaultESE_EENS6_10device_ptrIdEENSG_IlEEPmS8_NS6_8equal_toIdEEEE10hipError_tPvRmT2_T3_mT4_T5_T6_T7_T8_P12ihipStream_tbENKUlT_T0_E_clISt17integral_constantIbLb1EES12_IbLb0EEEEDaSY_SZ_EUlSY_E_NS1_11comp_targetILNS1_3genE10ELNS1_11target_archE1200ELNS1_3gpuE4ELNS1_3repE0EEENS1_30default_config_static_selectorELNS0_4arch9wavefront6targetE1EEEvT1_.numbered_sgpr, 0
	.set _ZN7rocprim17ROCPRIM_400000_NS6detail17trampoline_kernelINS0_14default_configENS1_29reduce_by_key_config_selectorIdlN6thrust23THRUST_200600_302600_NS4plusIlEEEEZZNS1_33reduce_by_key_impl_wrapped_configILNS1_25lookback_scan_determinismE0ES3_S9_PdNS6_17constant_iteratorIiNS6_11use_defaultESE_EENS6_10device_ptrIdEENSG_IlEEPmS8_NS6_8equal_toIdEEEE10hipError_tPvRmT2_T3_mT4_T5_T6_T7_T8_P12ihipStream_tbENKUlT_T0_E_clISt17integral_constantIbLb1EES12_IbLb0EEEEDaSY_SZ_EUlSY_E_NS1_11comp_targetILNS1_3genE10ELNS1_11target_archE1200ELNS1_3gpuE4ELNS1_3repE0EEENS1_30default_config_static_selectorELNS0_4arch9wavefront6targetE1EEEvT1_.num_named_barrier, 0
	.set _ZN7rocprim17ROCPRIM_400000_NS6detail17trampoline_kernelINS0_14default_configENS1_29reduce_by_key_config_selectorIdlN6thrust23THRUST_200600_302600_NS4plusIlEEEEZZNS1_33reduce_by_key_impl_wrapped_configILNS1_25lookback_scan_determinismE0ES3_S9_PdNS6_17constant_iteratorIiNS6_11use_defaultESE_EENS6_10device_ptrIdEENSG_IlEEPmS8_NS6_8equal_toIdEEEE10hipError_tPvRmT2_T3_mT4_T5_T6_T7_T8_P12ihipStream_tbENKUlT_T0_E_clISt17integral_constantIbLb1EES12_IbLb0EEEEDaSY_SZ_EUlSY_E_NS1_11comp_targetILNS1_3genE10ELNS1_11target_archE1200ELNS1_3gpuE4ELNS1_3repE0EEENS1_30default_config_static_selectorELNS0_4arch9wavefront6targetE1EEEvT1_.private_seg_size, 0
	.set _ZN7rocprim17ROCPRIM_400000_NS6detail17trampoline_kernelINS0_14default_configENS1_29reduce_by_key_config_selectorIdlN6thrust23THRUST_200600_302600_NS4plusIlEEEEZZNS1_33reduce_by_key_impl_wrapped_configILNS1_25lookback_scan_determinismE0ES3_S9_PdNS6_17constant_iteratorIiNS6_11use_defaultESE_EENS6_10device_ptrIdEENSG_IlEEPmS8_NS6_8equal_toIdEEEE10hipError_tPvRmT2_T3_mT4_T5_T6_T7_T8_P12ihipStream_tbENKUlT_T0_E_clISt17integral_constantIbLb1EES12_IbLb0EEEEDaSY_SZ_EUlSY_E_NS1_11comp_targetILNS1_3genE10ELNS1_11target_archE1200ELNS1_3gpuE4ELNS1_3repE0EEENS1_30default_config_static_selectorELNS0_4arch9wavefront6targetE1EEEvT1_.uses_vcc, 0
	.set _ZN7rocprim17ROCPRIM_400000_NS6detail17trampoline_kernelINS0_14default_configENS1_29reduce_by_key_config_selectorIdlN6thrust23THRUST_200600_302600_NS4plusIlEEEEZZNS1_33reduce_by_key_impl_wrapped_configILNS1_25lookback_scan_determinismE0ES3_S9_PdNS6_17constant_iteratorIiNS6_11use_defaultESE_EENS6_10device_ptrIdEENSG_IlEEPmS8_NS6_8equal_toIdEEEE10hipError_tPvRmT2_T3_mT4_T5_T6_T7_T8_P12ihipStream_tbENKUlT_T0_E_clISt17integral_constantIbLb1EES12_IbLb0EEEEDaSY_SZ_EUlSY_E_NS1_11comp_targetILNS1_3genE10ELNS1_11target_archE1200ELNS1_3gpuE4ELNS1_3repE0EEENS1_30default_config_static_selectorELNS0_4arch9wavefront6targetE1EEEvT1_.uses_flat_scratch, 0
	.set _ZN7rocprim17ROCPRIM_400000_NS6detail17trampoline_kernelINS0_14default_configENS1_29reduce_by_key_config_selectorIdlN6thrust23THRUST_200600_302600_NS4plusIlEEEEZZNS1_33reduce_by_key_impl_wrapped_configILNS1_25lookback_scan_determinismE0ES3_S9_PdNS6_17constant_iteratorIiNS6_11use_defaultESE_EENS6_10device_ptrIdEENSG_IlEEPmS8_NS6_8equal_toIdEEEE10hipError_tPvRmT2_T3_mT4_T5_T6_T7_T8_P12ihipStream_tbENKUlT_T0_E_clISt17integral_constantIbLb1EES12_IbLb0EEEEDaSY_SZ_EUlSY_E_NS1_11comp_targetILNS1_3genE10ELNS1_11target_archE1200ELNS1_3gpuE4ELNS1_3repE0EEENS1_30default_config_static_selectorELNS0_4arch9wavefront6targetE1EEEvT1_.has_dyn_sized_stack, 0
	.set _ZN7rocprim17ROCPRIM_400000_NS6detail17trampoline_kernelINS0_14default_configENS1_29reduce_by_key_config_selectorIdlN6thrust23THRUST_200600_302600_NS4plusIlEEEEZZNS1_33reduce_by_key_impl_wrapped_configILNS1_25lookback_scan_determinismE0ES3_S9_PdNS6_17constant_iteratorIiNS6_11use_defaultESE_EENS6_10device_ptrIdEENSG_IlEEPmS8_NS6_8equal_toIdEEEE10hipError_tPvRmT2_T3_mT4_T5_T6_T7_T8_P12ihipStream_tbENKUlT_T0_E_clISt17integral_constantIbLb1EES12_IbLb0EEEEDaSY_SZ_EUlSY_E_NS1_11comp_targetILNS1_3genE10ELNS1_11target_archE1200ELNS1_3gpuE4ELNS1_3repE0EEENS1_30default_config_static_selectorELNS0_4arch9wavefront6targetE1EEEvT1_.has_recursion, 0
	.set _ZN7rocprim17ROCPRIM_400000_NS6detail17trampoline_kernelINS0_14default_configENS1_29reduce_by_key_config_selectorIdlN6thrust23THRUST_200600_302600_NS4plusIlEEEEZZNS1_33reduce_by_key_impl_wrapped_configILNS1_25lookback_scan_determinismE0ES3_S9_PdNS6_17constant_iteratorIiNS6_11use_defaultESE_EENS6_10device_ptrIdEENSG_IlEEPmS8_NS6_8equal_toIdEEEE10hipError_tPvRmT2_T3_mT4_T5_T6_T7_T8_P12ihipStream_tbENKUlT_T0_E_clISt17integral_constantIbLb1EES12_IbLb0EEEEDaSY_SZ_EUlSY_E_NS1_11comp_targetILNS1_3genE10ELNS1_11target_archE1200ELNS1_3gpuE4ELNS1_3repE0EEENS1_30default_config_static_selectorELNS0_4arch9wavefront6targetE1EEEvT1_.has_indirect_call, 0
	.section	.AMDGPU.csdata,"",@progbits
; Kernel info:
; codeLenInByte = 0
; TotalNumSgprs: 4
; NumVgprs: 0
; ScratchSize: 0
; MemoryBound: 0
; FloatMode: 240
; IeeeMode: 1
; LDSByteSize: 0 bytes/workgroup (compile time only)
; SGPRBlocks: 0
; VGPRBlocks: 0
; NumSGPRsForWavesPerEU: 4
; NumVGPRsForWavesPerEU: 1
; Occupancy: 10
; WaveLimiterHint : 0
; COMPUTE_PGM_RSRC2:SCRATCH_EN: 0
; COMPUTE_PGM_RSRC2:USER_SGPR: 6
; COMPUTE_PGM_RSRC2:TRAP_HANDLER: 0
; COMPUTE_PGM_RSRC2:TGID_X_EN: 1
; COMPUTE_PGM_RSRC2:TGID_Y_EN: 0
; COMPUTE_PGM_RSRC2:TGID_Z_EN: 0
; COMPUTE_PGM_RSRC2:TIDIG_COMP_CNT: 0
	.section	.text._ZN7rocprim17ROCPRIM_400000_NS6detail17trampoline_kernelINS0_14default_configENS1_29reduce_by_key_config_selectorIdlN6thrust23THRUST_200600_302600_NS4plusIlEEEEZZNS1_33reduce_by_key_impl_wrapped_configILNS1_25lookback_scan_determinismE0ES3_S9_PdNS6_17constant_iteratorIiNS6_11use_defaultESE_EENS6_10device_ptrIdEENSG_IlEEPmS8_NS6_8equal_toIdEEEE10hipError_tPvRmT2_T3_mT4_T5_T6_T7_T8_P12ihipStream_tbENKUlT_T0_E_clISt17integral_constantIbLb1EES12_IbLb0EEEEDaSY_SZ_EUlSY_E_NS1_11comp_targetILNS1_3genE9ELNS1_11target_archE1100ELNS1_3gpuE3ELNS1_3repE0EEENS1_30default_config_static_selectorELNS0_4arch9wavefront6targetE1EEEvT1_,"axG",@progbits,_ZN7rocprim17ROCPRIM_400000_NS6detail17trampoline_kernelINS0_14default_configENS1_29reduce_by_key_config_selectorIdlN6thrust23THRUST_200600_302600_NS4plusIlEEEEZZNS1_33reduce_by_key_impl_wrapped_configILNS1_25lookback_scan_determinismE0ES3_S9_PdNS6_17constant_iteratorIiNS6_11use_defaultESE_EENS6_10device_ptrIdEENSG_IlEEPmS8_NS6_8equal_toIdEEEE10hipError_tPvRmT2_T3_mT4_T5_T6_T7_T8_P12ihipStream_tbENKUlT_T0_E_clISt17integral_constantIbLb1EES12_IbLb0EEEEDaSY_SZ_EUlSY_E_NS1_11comp_targetILNS1_3genE9ELNS1_11target_archE1100ELNS1_3gpuE3ELNS1_3repE0EEENS1_30default_config_static_selectorELNS0_4arch9wavefront6targetE1EEEvT1_,comdat
	.protected	_ZN7rocprim17ROCPRIM_400000_NS6detail17trampoline_kernelINS0_14default_configENS1_29reduce_by_key_config_selectorIdlN6thrust23THRUST_200600_302600_NS4plusIlEEEEZZNS1_33reduce_by_key_impl_wrapped_configILNS1_25lookback_scan_determinismE0ES3_S9_PdNS6_17constant_iteratorIiNS6_11use_defaultESE_EENS6_10device_ptrIdEENSG_IlEEPmS8_NS6_8equal_toIdEEEE10hipError_tPvRmT2_T3_mT4_T5_T6_T7_T8_P12ihipStream_tbENKUlT_T0_E_clISt17integral_constantIbLb1EES12_IbLb0EEEEDaSY_SZ_EUlSY_E_NS1_11comp_targetILNS1_3genE9ELNS1_11target_archE1100ELNS1_3gpuE3ELNS1_3repE0EEENS1_30default_config_static_selectorELNS0_4arch9wavefront6targetE1EEEvT1_ ; -- Begin function _ZN7rocprim17ROCPRIM_400000_NS6detail17trampoline_kernelINS0_14default_configENS1_29reduce_by_key_config_selectorIdlN6thrust23THRUST_200600_302600_NS4plusIlEEEEZZNS1_33reduce_by_key_impl_wrapped_configILNS1_25lookback_scan_determinismE0ES3_S9_PdNS6_17constant_iteratorIiNS6_11use_defaultESE_EENS6_10device_ptrIdEENSG_IlEEPmS8_NS6_8equal_toIdEEEE10hipError_tPvRmT2_T3_mT4_T5_T6_T7_T8_P12ihipStream_tbENKUlT_T0_E_clISt17integral_constantIbLb1EES12_IbLb0EEEEDaSY_SZ_EUlSY_E_NS1_11comp_targetILNS1_3genE9ELNS1_11target_archE1100ELNS1_3gpuE3ELNS1_3repE0EEENS1_30default_config_static_selectorELNS0_4arch9wavefront6targetE1EEEvT1_
	.globl	_ZN7rocprim17ROCPRIM_400000_NS6detail17trampoline_kernelINS0_14default_configENS1_29reduce_by_key_config_selectorIdlN6thrust23THRUST_200600_302600_NS4plusIlEEEEZZNS1_33reduce_by_key_impl_wrapped_configILNS1_25lookback_scan_determinismE0ES3_S9_PdNS6_17constant_iteratorIiNS6_11use_defaultESE_EENS6_10device_ptrIdEENSG_IlEEPmS8_NS6_8equal_toIdEEEE10hipError_tPvRmT2_T3_mT4_T5_T6_T7_T8_P12ihipStream_tbENKUlT_T0_E_clISt17integral_constantIbLb1EES12_IbLb0EEEEDaSY_SZ_EUlSY_E_NS1_11comp_targetILNS1_3genE9ELNS1_11target_archE1100ELNS1_3gpuE3ELNS1_3repE0EEENS1_30default_config_static_selectorELNS0_4arch9wavefront6targetE1EEEvT1_
	.p2align	8
	.type	_ZN7rocprim17ROCPRIM_400000_NS6detail17trampoline_kernelINS0_14default_configENS1_29reduce_by_key_config_selectorIdlN6thrust23THRUST_200600_302600_NS4plusIlEEEEZZNS1_33reduce_by_key_impl_wrapped_configILNS1_25lookback_scan_determinismE0ES3_S9_PdNS6_17constant_iteratorIiNS6_11use_defaultESE_EENS6_10device_ptrIdEENSG_IlEEPmS8_NS6_8equal_toIdEEEE10hipError_tPvRmT2_T3_mT4_T5_T6_T7_T8_P12ihipStream_tbENKUlT_T0_E_clISt17integral_constantIbLb1EES12_IbLb0EEEEDaSY_SZ_EUlSY_E_NS1_11comp_targetILNS1_3genE9ELNS1_11target_archE1100ELNS1_3gpuE3ELNS1_3repE0EEENS1_30default_config_static_selectorELNS0_4arch9wavefront6targetE1EEEvT1_,@function
_ZN7rocprim17ROCPRIM_400000_NS6detail17trampoline_kernelINS0_14default_configENS1_29reduce_by_key_config_selectorIdlN6thrust23THRUST_200600_302600_NS4plusIlEEEEZZNS1_33reduce_by_key_impl_wrapped_configILNS1_25lookback_scan_determinismE0ES3_S9_PdNS6_17constant_iteratorIiNS6_11use_defaultESE_EENS6_10device_ptrIdEENSG_IlEEPmS8_NS6_8equal_toIdEEEE10hipError_tPvRmT2_T3_mT4_T5_T6_T7_T8_P12ihipStream_tbENKUlT_T0_E_clISt17integral_constantIbLb1EES12_IbLb0EEEEDaSY_SZ_EUlSY_E_NS1_11comp_targetILNS1_3genE9ELNS1_11target_archE1100ELNS1_3gpuE3ELNS1_3repE0EEENS1_30default_config_static_selectorELNS0_4arch9wavefront6targetE1EEEvT1_: ; @_ZN7rocprim17ROCPRIM_400000_NS6detail17trampoline_kernelINS0_14default_configENS1_29reduce_by_key_config_selectorIdlN6thrust23THRUST_200600_302600_NS4plusIlEEEEZZNS1_33reduce_by_key_impl_wrapped_configILNS1_25lookback_scan_determinismE0ES3_S9_PdNS6_17constant_iteratorIiNS6_11use_defaultESE_EENS6_10device_ptrIdEENSG_IlEEPmS8_NS6_8equal_toIdEEEE10hipError_tPvRmT2_T3_mT4_T5_T6_T7_T8_P12ihipStream_tbENKUlT_T0_E_clISt17integral_constantIbLb1EES12_IbLb0EEEEDaSY_SZ_EUlSY_E_NS1_11comp_targetILNS1_3genE9ELNS1_11target_archE1100ELNS1_3gpuE3ELNS1_3repE0EEENS1_30default_config_static_selectorELNS0_4arch9wavefront6targetE1EEEvT1_
; %bb.0:
	.section	.rodata,"a",@progbits
	.p2align	6, 0x0
	.amdhsa_kernel _ZN7rocprim17ROCPRIM_400000_NS6detail17trampoline_kernelINS0_14default_configENS1_29reduce_by_key_config_selectorIdlN6thrust23THRUST_200600_302600_NS4plusIlEEEEZZNS1_33reduce_by_key_impl_wrapped_configILNS1_25lookback_scan_determinismE0ES3_S9_PdNS6_17constant_iteratorIiNS6_11use_defaultESE_EENS6_10device_ptrIdEENSG_IlEEPmS8_NS6_8equal_toIdEEEE10hipError_tPvRmT2_T3_mT4_T5_T6_T7_T8_P12ihipStream_tbENKUlT_T0_E_clISt17integral_constantIbLb1EES12_IbLb0EEEEDaSY_SZ_EUlSY_E_NS1_11comp_targetILNS1_3genE9ELNS1_11target_archE1100ELNS1_3gpuE3ELNS1_3repE0EEENS1_30default_config_static_selectorELNS0_4arch9wavefront6targetE1EEEvT1_
		.amdhsa_group_segment_fixed_size 0
		.amdhsa_private_segment_fixed_size 0
		.amdhsa_kernarg_size 144
		.amdhsa_user_sgpr_count 6
		.amdhsa_user_sgpr_private_segment_buffer 1
		.amdhsa_user_sgpr_dispatch_ptr 0
		.amdhsa_user_sgpr_queue_ptr 0
		.amdhsa_user_sgpr_kernarg_segment_ptr 1
		.amdhsa_user_sgpr_dispatch_id 0
		.amdhsa_user_sgpr_flat_scratch_init 0
		.amdhsa_user_sgpr_private_segment_size 0
		.amdhsa_uses_dynamic_stack 0
		.amdhsa_system_sgpr_private_segment_wavefront_offset 0
		.amdhsa_system_sgpr_workgroup_id_x 1
		.amdhsa_system_sgpr_workgroup_id_y 0
		.amdhsa_system_sgpr_workgroup_id_z 0
		.amdhsa_system_sgpr_workgroup_info 0
		.amdhsa_system_vgpr_workitem_id 0
		.amdhsa_next_free_vgpr 1
		.amdhsa_next_free_sgpr 0
		.amdhsa_reserve_vcc 0
		.amdhsa_reserve_flat_scratch 0
		.amdhsa_float_round_mode_32 0
		.amdhsa_float_round_mode_16_64 0
		.amdhsa_float_denorm_mode_32 3
		.amdhsa_float_denorm_mode_16_64 3
		.amdhsa_dx10_clamp 1
		.amdhsa_ieee_mode 1
		.amdhsa_fp16_overflow 0
		.amdhsa_exception_fp_ieee_invalid_op 0
		.amdhsa_exception_fp_denorm_src 0
		.amdhsa_exception_fp_ieee_div_zero 0
		.amdhsa_exception_fp_ieee_overflow 0
		.amdhsa_exception_fp_ieee_underflow 0
		.amdhsa_exception_fp_ieee_inexact 0
		.amdhsa_exception_int_div_zero 0
	.end_amdhsa_kernel
	.section	.text._ZN7rocprim17ROCPRIM_400000_NS6detail17trampoline_kernelINS0_14default_configENS1_29reduce_by_key_config_selectorIdlN6thrust23THRUST_200600_302600_NS4plusIlEEEEZZNS1_33reduce_by_key_impl_wrapped_configILNS1_25lookback_scan_determinismE0ES3_S9_PdNS6_17constant_iteratorIiNS6_11use_defaultESE_EENS6_10device_ptrIdEENSG_IlEEPmS8_NS6_8equal_toIdEEEE10hipError_tPvRmT2_T3_mT4_T5_T6_T7_T8_P12ihipStream_tbENKUlT_T0_E_clISt17integral_constantIbLb1EES12_IbLb0EEEEDaSY_SZ_EUlSY_E_NS1_11comp_targetILNS1_3genE9ELNS1_11target_archE1100ELNS1_3gpuE3ELNS1_3repE0EEENS1_30default_config_static_selectorELNS0_4arch9wavefront6targetE1EEEvT1_,"axG",@progbits,_ZN7rocprim17ROCPRIM_400000_NS6detail17trampoline_kernelINS0_14default_configENS1_29reduce_by_key_config_selectorIdlN6thrust23THRUST_200600_302600_NS4plusIlEEEEZZNS1_33reduce_by_key_impl_wrapped_configILNS1_25lookback_scan_determinismE0ES3_S9_PdNS6_17constant_iteratorIiNS6_11use_defaultESE_EENS6_10device_ptrIdEENSG_IlEEPmS8_NS6_8equal_toIdEEEE10hipError_tPvRmT2_T3_mT4_T5_T6_T7_T8_P12ihipStream_tbENKUlT_T0_E_clISt17integral_constantIbLb1EES12_IbLb0EEEEDaSY_SZ_EUlSY_E_NS1_11comp_targetILNS1_3genE9ELNS1_11target_archE1100ELNS1_3gpuE3ELNS1_3repE0EEENS1_30default_config_static_selectorELNS0_4arch9wavefront6targetE1EEEvT1_,comdat
.Lfunc_end1713:
	.size	_ZN7rocprim17ROCPRIM_400000_NS6detail17trampoline_kernelINS0_14default_configENS1_29reduce_by_key_config_selectorIdlN6thrust23THRUST_200600_302600_NS4plusIlEEEEZZNS1_33reduce_by_key_impl_wrapped_configILNS1_25lookback_scan_determinismE0ES3_S9_PdNS6_17constant_iteratorIiNS6_11use_defaultESE_EENS6_10device_ptrIdEENSG_IlEEPmS8_NS6_8equal_toIdEEEE10hipError_tPvRmT2_T3_mT4_T5_T6_T7_T8_P12ihipStream_tbENKUlT_T0_E_clISt17integral_constantIbLb1EES12_IbLb0EEEEDaSY_SZ_EUlSY_E_NS1_11comp_targetILNS1_3genE9ELNS1_11target_archE1100ELNS1_3gpuE3ELNS1_3repE0EEENS1_30default_config_static_selectorELNS0_4arch9wavefront6targetE1EEEvT1_, .Lfunc_end1713-_ZN7rocprim17ROCPRIM_400000_NS6detail17trampoline_kernelINS0_14default_configENS1_29reduce_by_key_config_selectorIdlN6thrust23THRUST_200600_302600_NS4plusIlEEEEZZNS1_33reduce_by_key_impl_wrapped_configILNS1_25lookback_scan_determinismE0ES3_S9_PdNS6_17constant_iteratorIiNS6_11use_defaultESE_EENS6_10device_ptrIdEENSG_IlEEPmS8_NS6_8equal_toIdEEEE10hipError_tPvRmT2_T3_mT4_T5_T6_T7_T8_P12ihipStream_tbENKUlT_T0_E_clISt17integral_constantIbLb1EES12_IbLb0EEEEDaSY_SZ_EUlSY_E_NS1_11comp_targetILNS1_3genE9ELNS1_11target_archE1100ELNS1_3gpuE3ELNS1_3repE0EEENS1_30default_config_static_selectorELNS0_4arch9wavefront6targetE1EEEvT1_
                                        ; -- End function
	.set _ZN7rocprim17ROCPRIM_400000_NS6detail17trampoline_kernelINS0_14default_configENS1_29reduce_by_key_config_selectorIdlN6thrust23THRUST_200600_302600_NS4plusIlEEEEZZNS1_33reduce_by_key_impl_wrapped_configILNS1_25lookback_scan_determinismE0ES3_S9_PdNS6_17constant_iteratorIiNS6_11use_defaultESE_EENS6_10device_ptrIdEENSG_IlEEPmS8_NS6_8equal_toIdEEEE10hipError_tPvRmT2_T3_mT4_T5_T6_T7_T8_P12ihipStream_tbENKUlT_T0_E_clISt17integral_constantIbLb1EES12_IbLb0EEEEDaSY_SZ_EUlSY_E_NS1_11comp_targetILNS1_3genE9ELNS1_11target_archE1100ELNS1_3gpuE3ELNS1_3repE0EEENS1_30default_config_static_selectorELNS0_4arch9wavefront6targetE1EEEvT1_.num_vgpr, 0
	.set _ZN7rocprim17ROCPRIM_400000_NS6detail17trampoline_kernelINS0_14default_configENS1_29reduce_by_key_config_selectorIdlN6thrust23THRUST_200600_302600_NS4plusIlEEEEZZNS1_33reduce_by_key_impl_wrapped_configILNS1_25lookback_scan_determinismE0ES3_S9_PdNS6_17constant_iteratorIiNS6_11use_defaultESE_EENS6_10device_ptrIdEENSG_IlEEPmS8_NS6_8equal_toIdEEEE10hipError_tPvRmT2_T3_mT4_T5_T6_T7_T8_P12ihipStream_tbENKUlT_T0_E_clISt17integral_constantIbLb1EES12_IbLb0EEEEDaSY_SZ_EUlSY_E_NS1_11comp_targetILNS1_3genE9ELNS1_11target_archE1100ELNS1_3gpuE3ELNS1_3repE0EEENS1_30default_config_static_selectorELNS0_4arch9wavefront6targetE1EEEvT1_.num_agpr, 0
	.set _ZN7rocprim17ROCPRIM_400000_NS6detail17trampoline_kernelINS0_14default_configENS1_29reduce_by_key_config_selectorIdlN6thrust23THRUST_200600_302600_NS4plusIlEEEEZZNS1_33reduce_by_key_impl_wrapped_configILNS1_25lookback_scan_determinismE0ES3_S9_PdNS6_17constant_iteratorIiNS6_11use_defaultESE_EENS6_10device_ptrIdEENSG_IlEEPmS8_NS6_8equal_toIdEEEE10hipError_tPvRmT2_T3_mT4_T5_T6_T7_T8_P12ihipStream_tbENKUlT_T0_E_clISt17integral_constantIbLb1EES12_IbLb0EEEEDaSY_SZ_EUlSY_E_NS1_11comp_targetILNS1_3genE9ELNS1_11target_archE1100ELNS1_3gpuE3ELNS1_3repE0EEENS1_30default_config_static_selectorELNS0_4arch9wavefront6targetE1EEEvT1_.numbered_sgpr, 0
	.set _ZN7rocprim17ROCPRIM_400000_NS6detail17trampoline_kernelINS0_14default_configENS1_29reduce_by_key_config_selectorIdlN6thrust23THRUST_200600_302600_NS4plusIlEEEEZZNS1_33reduce_by_key_impl_wrapped_configILNS1_25lookback_scan_determinismE0ES3_S9_PdNS6_17constant_iteratorIiNS6_11use_defaultESE_EENS6_10device_ptrIdEENSG_IlEEPmS8_NS6_8equal_toIdEEEE10hipError_tPvRmT2_T3_mT4_T5_T6_T7_T8_P12ihipStream_tbENKUlT_T0_E_clISt17integral_constantIbLb1EES12_IbLb0EEEEDaSY_SZ_EUlSY_E_NS1_11comp_targetILNS1_3genE9ELNS1_11target_archE1100ELNS1_3gpuE3ELNS1_3repE0EEENS1_30default_config_static_selectorELNS0_4arch9wavefront6targetE1EEEvT1_.num_named_barrier, 0
	.set _ZN7rocprim17ROCPRIM_400000_NS6detail17trampoline_kernelINS0_14default_configENS1_29reduce_by_key_config_selectorIdlN6thrust23THRUST_200600_302600_NS4plusIlEEEEZZNS1_33reduce_by_key_impl_wrapped_configILNS1_25lookback_scan_determinismE0ES3_S9_PdNS6_17constant_iteratorIiNS6_11use_defaultESE_EENS6_10device_ptrIdEENSG_IlEEPmS8_NS6_8equal_toIdEEEE10hipError_tPvRmT2_T3_mT4_T5_T6_T7_T8_P12ihipStream_tbENKUlT_T0_E_clISt17integral_constantIbLb1EES12_IbLb0EEEEDaSY_SZ_EUlSY_E_NS1_11comp_targetILNS1_3genE9ELNS1_11target_archE1100ELNS1_3gpuE3ELNS1_3repE0EEENS1_30default_config_static_selectorELNS0_4arch9wavefront6targetE1EEEvT1_.private_seg_size, 0
	.set _ZN7rocprim17ROCPRIM_400000_NS6detail17trampoline_kernelINS0_14default_configENS1_29reduce_by_key_config_selectorIdlN6thrust23THRUST_200600_302600_NS4plusIlEEEEZZNS1_33reduce_by_key_impl_wrapped_configILNS1_25lookback_scan_determinismE0ES3_S9_PdNS6_17constant_iteratorIiNS6_11use_defaultESE_EENS6_10device_ptrIdEENSG_IlEEPmS8_NS6_8equal_toIdEEEE10hipError_tPvRmT2_T3_mT4_T5_T6_T7_T8_P12ihipStream_tbENKUlT_T0_E_clISt17integral_constantIbLb1EES12_IbLb0EEEEDaSY_SZ_EUlSY_E_NS1_11comp_targetILNS1_3genE9ELNS1_11target_archE1100ELNS1_3gpuE3ELNS1_3repE0EEENS1_30default_config_static_selectorELNS0_4arch9wavefront6targetE1EEEvT1_.uses_vcc, 0
	.set _ZN7rocprim17ROCPRIM_400000_NS6detail17trampoline_kernelINS0_14default_configENS1_29reduce_by_key_config_selectorIdlN6thrust23THRUST_200600_302600_NS4plusIlEEEEZZNS1_33reduce_by_key_impl_wrapped_configILNS1_25lookback_scan_determinismE0ES3_S9_PdNS6_17constant_iteratorIiNS6_11use_defaultESE_EENS6_10device_ptrIdEENSG_IlEEPmS8_NS6_8equal_toIdEEEE10hipError_tPvRmT2_T3_mT4_T5_T6_T7_T8_P12ihipStream_tbENKUlT_T0_E_clISt17integral_constantIbLb1EES12_IbLb0EEEEDaSY_SZ_EUlSY_E_NS1_11comp_targetILNS1_3genE9ELNS1_11target_archE1100ELNS1_3gpuE3ELNS1_3repE0EEENS1_30default_config_static_selectorELNS0_4arch9wavefront6targetE1EEEvT1_.uses_flat_scratch, 0
	.set _ZN7rocprim17ROCPRIM_400000_NS6detail17trampoline_kernelINS0_14default_configENS1_29reduce_by_key_config_selectorIdlN6thrust23THRUST_200600_302600_NS4plusIlEEEEZZNS1_33reduce_by_key_impl_wrapped_configILNS1_25lookback_scan_determinismE0ES3_S9_PdNS6_17constant_iteratorIiNS6_11use_defaultESE_EENS6_10device_ptrIdEENSG_IlEEPmS8_NS6_8equal_toIdEEEE10hipError_tPvRmT2_T3_mT4_T5_T6_T7_T8_P12ihipStream_tbENKUlT_T0_E_clISt17integral_constantIbLb1EES12_IbLb0EEEEDaSY_SZ_EUlSY_E_NS1_11comp_targetILNS1_3genE9ELNS1_11target_archE1100ELNS1_3gpuE3ELNS1_3repE0EEENS1_30default_config_static_selectorELNS0_4arch9wavefront6targetE1EEEvT1_.has_dyn_sized_stack, 0
	.set _ZN7rocprim17ROCPRIM_400000_NS6detail17trampoline_kernelINS0_14default_configENS1_29reduce_by_key_config_selectorIdlN6thrust23THRUST_200600_302600_NS4plusIlEEEEZZNS1_33reduce_by_key_impl_wrapped_configILNS1_25lookback_scan_determinismE0ES3_S9_PdNS6_17constant_iteratorIiNS6_11use_defaultESE_EENS6_10device_ptrIdEENSG_IlEEPmS8_NS6_8equal_toIdEEEE10hipError_tPvRmT2_T3_mT4_T5_T6_T7_T8_P12ihipStream_tbENKUlT_T0_E_clISt17integral_constantIbLb1EES12_IbLb0EEEEDaSY_SZ_EUlSY_E_NS1_11comp_targetILNS1_3genE9ELNS1_11target_archE1100ELNS1_3gpuE3ELNS1_3repE0EEENS1_30default_config_static_selectorELNS0_4arch9wavefront6targetE1EEEvT1_.has_recursion, 0
	.set _ZN7rocprim17ROCPRIM_400000_NS6detail17trampoline_kernelINS0_14default_configENS1_29reduce_by_key_config_selectorIdlN6thrust23THRUST_200600_302600_NS4plusIlEEEEZZNS1_33reduce_by_key_impl_wrapped_configILNS1_25lookback_scan_determinismE0ES3_S9_PdNS6_17constant_iteratorIiNS6_11use_defaultESE_EENS6_10device_ptrIdEENSG_IlEEPmS8_NS6_8equal_toIdEEEE10hipError_tPvRmT2_T3_mT4_T5_T6_T7_T8_P12ihipStream_tbENKUlT_T0_E_clISt17integral_constantIbLb1EES12_IbLb0EEEEDaSY_SZ_EUlSY_E_NS1_11comp_targetILNS1_3genE9ELNS1_11target_archE1100ELNS1_3gpuE3ELNS1_3repE0EEENS1_30default_config_static_selectorELNS0_4arch9wavefront6targetE1EEEvT1_.has_indirect_call, 0
	.section	.AMDGPU.csdata,"",@progbits
; Kernel info:
; codeLenInByte = 0
; TotalNumSgprs: 4
; NumVgprs: 0
; ScratchSize: 0
; MemoryBound: 0
; FloatMode: 240
; IeeeMode: 1
; LDSByteSize: 0 bytes/workgroup (compile time only)
; SGPRBlocks: 0
; VGPRBlocks: 0
; NumSGPRsForWavesPerEU: 4
; NumVGPRsForWavesPerEU: 1
; Occupancy: 10
; WaveLimiterHint : 0
; COMPUTE_PGM_RSRC2:SCRATCH_EN: 0
; COMPUTE_PGM_RSRC2:USER_SGPR: 6
; COMPUTE_PGM_RSRC2:TRAP_HANDLER: 0
; COMPUTE_PGM_RSRC2:TGID_X_EN: 1
; COMPUTE_PGM_RSRC2:TGID_Y_EN: 0
; COMPUTE_PGM_RSRC2:TGID_Z_EN: 0
; COMPUTE_PGM_RSRC2:TIDIG_COMP_CNT: 0
	.section	.text._ZN7rocprim17ROCPRIM_400000_NS6detail17trampoline_kernelINS0_14default_configENS1_29reduce_by_key_config_selectorIdlN6thrust23THRUST_200600_302600_NS4plusIlEEEEZZNS1_33reduce_by_key_impl_wrapped_configILNS1_25lookback_scan_determinismE0ES3_S9_PdNS6_17constant_iteratorIiNS6_11use_defaultESE_EENS6_10device_ptrIdEENSG_IlEEPmS8_NS6_8equal_toIdEEEE10hipError_tPvRmT2_T3_mT4_T5_T6_T7_T8_P12ihipStream_tbENKUlT_T0_E_clISt17integral_constantIbLb1EES12_IbLb0EEEEDaSY_SZ_EUlSY_E_NS1_11comp_targetILNS1_3genE8ELNS1_11target_archE1030ELNS1_3gpuE2ELNS1_3repE0EEENS1_30default_config_static_selectorELNS0_4arch9wavefront6targetE1EEEvT1_,"axG",@progbits,_ZN7rocprim17ROCPRIM_400000_NS6detail17trampoline_kernelINS0_14default_configENS1_29reduce_by_key_config_selectorIdlN6thrust23THRUST_200600_302600_NS4plusIlEEEEZZNS1_33reduce_by_key_impl_wrapped_configILNS1_25lookback_scan_determinismE0ES3_S9_PdNS6_17constant_iteratorIiNS6_11use_defaultESE_EENS6_10device_ptrIdEENSG_IlEEPmS8_NS6_8equal_toIdEEEE10hipError_tPvRmT2_T3_mT4_T5_T6_T7_T8_P12ihipStream_tbENKUlT_T0_E_clISt17integral_constantIbLb1EES12_IbLb0EEEEDaSY_SZ_EUlSY_E_NS1_11comp_targetILNS1_3genE8ELNS1_11target_archE1030ELNS1_3gpuE2ELNS1_3repE0EEENS1_30default_config_static_selectorELNS0_4arch9wavefront6targetE1EEEvT1_,comdat
	.protected	_ZN7rocprim17ROCPRIM_400000_NS6detail17trampoline_kernelINS0_14default_configENS1_29reduce_by_key_config_selectorIdlN6thrust23THRUST_200600_302600_NS4plusIlEEEEZZNS1_33reduce_by_key_impl_wrapped_configILNS1_25lookback_scan_determinismE0ES3_S9_PdNS6_17constant_iteratorIiNS6_11use_defaultESE_EENS6_10device_ptrIdEENSG_IlEEPmS8_NS6_8equal_toIdEEEE10hipError_tPvRmT2_T3_mT4_T5_T6_T7_T8_P12ihipStream_tbENKUlT_T0_E_clISt17integral_constantIbLb1EES12_IbLb0EEEEDaSY_SZ_EUlSY_E_NS1_11comp_targetILNS1_3genE8ELNS1_11target_archE1030ELNS1_3gpuE2ELNS1_3repE0EEENS1_30default_config_static_selectorELNS0_4arch9wavefront6targetE1EEEvT1_ ; -- Begin function _ZN7rocprim17ROCPRIM_400000_NS6detail17trampoline_kernelINS0_14default_configENS1_29reduce_by_key_config_selectorIdlN6thrust23THRUST_200600_302600_NS4plusIlEEEEZZNS1_33reduce_by_key_impl_wrapped_configILNS1_25lookback_scan_determinismE0ES3_S9_PdNS6_17constant_iteratorIiNS6_11use_defaultESE_EENS6_10device_ptrIdEENSG_IlEEPmS8_NS6_8equal_toIdEEEE10hipError_tPvRmT2_T3_mT4_T5_T6_T7_T8_P12ihipStream_tbENKUlT_T0_E_clISt17integral_constantIbLb1EES12_IbLb0EEEEDaSY_SZ_EUlSY_E_NS1_11comp_targetILNS1_3genE8ELNS1_11target_archE1030ELNS1_3gpuE2ELNS1_3repE0EEENS1_30default_config_static_selectorELNS0_4arch9wavefront6targetE1EEEvT1_
	.globl	_ZN7rocprim17ROCPRIM_400000_NS6detail17trampoline_kernelINS0_14default_configENS1_29reduce_by_key_config_selectorIdlN6thrust23THRUST_200600_302600_NS4plusIlEEEEZZNS1_33reduce_by_key_impl_wrapped_configILNS1_25lookback_scan_determinismE0ES3_S9_PdNS6_17constant_iteratorIiNS6_11use_defaultESE_EENS6_10device_ptrIdEENSG_IlEEPmS8_NS6_8equal_toIdEEEE10hipError_tPvRmT2_T3_mT4_T5_T6_T7_T8_P12ihipStream_tbENKUlT_T0_E_clISt17integral_constantIbLb1EES12_IbLb0EEEEDaSY_SZ_EUlSY_E_NS1_11comp_targetILNS1_3genE8ELNS1_11target_archE1030ELNS1_3gpuE2ELNS1_3repE0EEENS1_30default_config_static_selectorELNS0_4arch9wavefront6targetE1EEEvT1_
	.p2align	8
	.type	_ZN7rocprim17ROCPRIM_400000_NS6detail17trampoline_kernelINS0_14default_configENS1_29reduce_by_key_config_selectorIdlN6thrust23THRUST_200600_302600_NS4plusIlEEEEZZNS1_33reduce_by_key_impl_wrapped_configILNS1_25lookback_scan_determinismE0ES3_S9_PdNS6_17constant_iteratorIiNS6_11use_defaultESE_EENS6_10device_ptrIdEENSG_IlEEPmS8_NS6_8equal_toIdEEEE10hipError_tPvRmT2_T3_mT4_T5_T6_T7_T8_P12ihipStream_tbENKUlT_T0_E_clISt17integral_constantIbLb1EES12_IbLb0EEEEDaSY_SZ_EUlSY_E_NS1_11comp_targetILNS1_3genE8ELNS1_11target_archE1030ELNS1_3gpuE2ELNS1_3repE0EEENS1_30default_config_static_selectorELNS0_4arch9wavefront6targetE1EEEvT1_,@function
_ZN7rocprim17ROCPRIM_400000_NS6detail17trampoline_kernelINS0_14default_configENS1_29reduce_by_key_config_selectorIdlN6thrust23THRUST_200600_302600_NS4plusIlEEEEZZNS1_33reduce_by_key_impl_wrapped_configILNS1_25lookback_scan_determinismE0ES3_S9_PdNS6_17constant_iteratorIiNS6_11use_defaultESE_EENS6_10device_ptrIdEENSG_IlEEPmS8_NS6_8equal_toIdEEEE10hipError_tPvRmT2_T3_mT4_T5_T6_T7_T8_P12ihipStream_tbENKUlT_T0_E_clISt17integral_constantIbLb1EES12_IbLb0EEEEDaSY_SZ_EUlSY_E_NS1_11comp_targetILNS1_3genE8ELNS1_11target_archE1030ELNS1_3gpuE2ELNS1_3repE0EEENS1_30default_config_static_selectorELNS0_4arch9wavefront6targetE1EEEvT1_: ; @_ZN7rocprim17ROCPRIM_400000_NS6detail17trampoline_kernelINS0_14default_configENS1_29reduce_by_key_config_selectorIdlN6thrust23THRUST_200600_302600_NS4plusIlEEEEZZNS1_33reduce_by_key_impl_wrapped_configILNS1_25lookback_scan_determinismE0ES3_S9_PdNS6_17constant_iteratorIiNS6_11use_defaultESE_EENS6_10device_ptrIdEENSG_IlEEPmS8_NS6_8equal_toIdEEEE10hipError_tPvRmT2_T3_mT4_T5_T6_T7_T8_P12ihipStream_tbENKUlT_T0_E_clISt17integral_constantIbLb1EES12_IbLb0EEEEDaSY_SZ_EUlSY_E_NS1_11comp_targetILNS1_3genE8ELNS1_11target_archE1030ELNS1_3gpuE2ELNS1_3repE0EEENS1_30default_config_static_selectorELNS0_4arch9wavefront6targetE1EEEvT1_
; %bb.0:
	.section	.rodata,"a",@progbits
	.p2align	6, 0x0
	.amdhsa_kernel _ZN7rocprim17ROCPRIM_400000_NS6detail17trampoline_kernelINS0_14default_configENS1_29reduce_by_key_config_selectorIdlN6thrust23THRUST_200600_302600_NS4plusIlEEEEZZNS1_33reduce_by_key_impl_wrapped_configILNS1_25lookback_scan_determinismE0ES3_S9_PdNS6_17constant_iteratorIiNS6_11use_defaultESE_EENS6_10device_ptrIdEENSG_IlEEPmS8_NS6_8equal_toIdEEEE10hipError_tPvRmT2_T3_mT4_T5_T6_T7_T8_P12ihipStream_tbENKUlT_T0_E_clISt17integral_constantIbLb1EES12_IbLb0EEEEDaSY_SZ_EUlSY_E_NS1_11comp_targetILNS1_3genE8ELNS1_11target_archE1030ELNS1_3gpuE2ELNS1_3repE0EEENS1_30default_config_static_selectorELNS0_4arch9wavefront6targetE1EEEvT1_
		.amdhsa_group_segment_fixed_size 0
		.amdhsa_private_segment_fixed_size 0
		.amdhsa_kernarg_size 144
		.amdhsa_user_sgpr_count 6
		.amdhsa_user_sgpr_private_segment_buffer 1
		.amdhsa_user_sgpr_dispatch_ptr 0
		.amdhsa_user_sgpr_queue_ptr 0
		.amdhsa_user_sgpr_kernarg_segment_ptr 1
		.amdhsa_user_sgpr_dispatch_id 0
		.amdhsa_user_sgpr_flat_scratch_init 0
		.amdhsa_user_sgpr_private_segment_size 0
		.amdhsa_uses_dynamic_stack 0
		.amdhsa_system_sgpr_private_segment_wavefront_offset 0
		.amdhsa_system_sgpr_workgroup_id_x 1
		.amdhsa_system_sgpr_workgroup_id_y 0
		.amdhsa_system_sgpr_workgroup_id_z 0
		.amdhsa_system_sgpr_workgroup_info 0
		.amdhsa_system_vgpr_workitem_id 0
		.amdhsa_next_free_vgpr 1
		.amdhsa_next_free_sgpr 0
		.amdhsa_reserve_vcc 0
		.amdhsa_reserve_flat_scratch 0
		.amdhsa_float_round_mode_32 0
		.amdhsa_float_round_mode_16_64 0
		.amdhsa_float_denorm_mode_32 3
		.amdhsa_float_denorm_mode_16_64 3
		.amdhsa_dx10_clamp 1
		.amdhsa_ieee_mode 1
		.amdhsa_fp16_overflow 0
		.amdhsa_exception_fp_ieee_invalid_op 0
		.amdhsa_exception_fp_denorm_src 0
		.amdhsa_exception_fp_ieee_div_zero 0
		.amdhsa_exception_fp_ieee_overflow 0
		.amdhsa_exception_fp_ieee_underflow 0
		.amdhsa_exception_fp_ieee_inexact 0
		.amdhsa_exception_int_div_zero 0
	.end_amdhsa_kernel
	.section	.text._ZN7rocprim17ROCPRIM_400000_NS6detail17trampoline_kernelINS0_14default_configENS1_29reduce_by_key_config_selectorIdlN6thrust23THRUST_200600_302600_NS4plusIlEEEEZZNS1_33reduce_by_key_impl_wrapped_configILNS1_25lookback_scan_determinismE0ES3_S9_PdNS6_17constant_iteratorIiNS6_11use_defaultESE_EENS6_10device_ptrIdEENSG_IlEEPmS8_NS6_8equal_toIdEEEE10hipError_tPvRmT2_T3_mT4_T5_T6_T7_T8_P12ihipStream_tbENKUlT_T0_E_clISt17integral_constantIbLb1EES12_IbLb0EEEEDaSY_SZ_EUlSY_E_NS1_11comp_targetILNS1_3genE8ELNS1_11target_archE1030ELNS1_3gpuE2ELNS1_3repE0EEENS1_30default_config_static_selectorELNS0_4arch9wavefront6targetE1EEEvT1_,"axG",@progbits,_ZN7rocprim17ROCPRIM_400000_NS6detail17trampoline_kernelINS0_14default_configENS1_29reduce_by_key_config_selectorIdlN6thrust23THRUST_200600_302600_NS4plusIlEEEEZZNS1_33reduce_by_key_impl_wrapped_configILNS1_25lookback_scan_determinismE0ES3_S9_PdNS6_17constant_iteratorIiNS6_11use_defaultESE_EENS6_10device_ptrIdEENSG_IlEEPmS8_NS6_8equal_toIdEEEE10hipError_tPvRmT2_T3_mT4_T5_T6_T7_T8_P12ihipStream_tbENKUlT_T0_E_clISt17integral_constantIbLb1EES12_IbLb0EEEEDaSY_SZ_EUlSY_E_NS1_11comp_targetILNS1_3genE8ELNS1_11target_archE1030ELNS1_3gpuE2ELNS1_3repE0EEENS1_30default_config_static_selectorELNS0_4arch9wavefront6targetE1EEEvT1_,comdat
.Lfunc_end1714:
	.size	_ZN7rocprim17ROCPRIM_400000_NS6detail17trampoline_kernelINS0_14default_configENS1_29reduce_by_key_config_selectorIdlN6thrust23THRUST_200600_302600_NS4plusIlEEEEZZNS1_33reduce_by_key_impl_wrapped_configILNS1_25lookback_scan_determinismE0ES3_S9_PdNS6_17constant_iteratorIiNS6_11use_defaultESE_EENS6_10device_ptrIdEENSG_IlEEPmS8_NS6_8equal_toIdEEEE10hipError_tPvRmT2_T3_mT4_T5_T6_T7_T8_P12ihipStream_tbENKUlT_T0_E_clISt17integral_constantIbLb1EES12_IbLb0EEEEDaSY_SZ_EUlSY_E_NS1_11comp_targetILNS1_3genE8ELNS1_11target_archE1030ELNS1_3gpuE2ELNS1_3repE0EEENS1_30default_config_static_selectorELNS0_4arch9wavefront6targetE1EEEvT1_, .Lfunc_end1714-_ZN7rocprim17ROCPRIM_400000_NS6detail17trampoline_kernelINS0_14default_configENS1_29reduce_by_key_config_selectorIdlN6thrust23THRUST_200600_302600_NS4plusIlEEEEZZNS1_33reduce_by_key_impl_wrapped_configILNS1_25lookback_scan_determinismE0ES3_S9_PdNS6_17constant_iteratorIiNS6_11use_defaultESE_EENS6_10device_ptrIdEENSG_IlEEPmS8_NS6_8equal_toIdEEEE10hipError_tPvRmT2_T3_mT4_T5_T6_T7_T8_P12ihipStream_tbENKUlT_T0_E_clISt17integral_constantIbLb1EES12_IbLb0EEEEDaSY_SZ_EUlSY_E_NS1_11comp_targetILNS1_3genE8ELNS1_11target_archE1030ELNS1_3gpuE2ELNS1_3repE0EEENS1_30default_config_static_selectorELNS0_4arch9wavefront6targetE1EEEvT1_
                                        ; -- End function
	.set _ZN7rocprim17ROCPRIM_400000_NS6detail17trampoline_kernelINS0_14default_configENS1_29reduce_by_key_config_selectorIdlN6thrust23THRUST_200600_302600_NS4plusIlEEEEZZNS1_33reduce_by_key_impl_wrapped_configILNS1_25lookback_scan_determinismE0ES3_S9_PdNS6_17constant_iteratorIiNS6_11use_defaultESE_EENS6_10device_ptrIdEENSG_IlEEPmS8_NS6_8equal_toIdEEEE10hipError_tPvRmT2_T3_mT4_T5_T6_T7_T8_P12ihipStream_tbENKUlT_T0_E_clISt17integral_constantIbLb1EES12_IbLb0EEEEDaSY_SZ_EUlSY_E_NS1_11comp_targetILNS1_3genE8ELNS1_11target_archE1030ELNS1_3gpuE2ELNS1_3repE0EEENS1_30default_config_static_selectorELNS0_4arch9wavefront6targetE1EEEvT1_.num_vgpr, 0
	.set _ZN7rocprim17ROCPRIM_400000_NS6detail17trampoline_kernelINS0_14default_configENS1_29reduce_by_key_config_selectorIdlN6thrust23THRUST_200600_302600_NS4plusIlEEEEZZNS1_33reduce_by_key_impl_wrapped_configILNS1_25lookback_scan_determinismE0ES3_S9_PdNS6_17constant_iteratorIiNS6_11use_defaultESE_EENS6_10device_ptrIdEENSG_IlEEPmS8_NS6_8equal_toIdEEEE10hipError_tPvRmT2_T3_mT4_T5_T6_T7_T8_P12ihipStream_tbENKUlT_T0_E_clISt17integral_constantIbLb1EES12_IbLb0EEEEDaSY_SZ_EUlSY_E_NS1_11comp_targetILNS1_3genE8ELNS1_11target_archE1030ELNS1_3gpuE2ELNS1_3repE0EEENS1_30default_config_static_selectorELNS0_4arch9wavefront6targetE1EEEvT1_.num_agpr, 0
	.set _ZN7rocprim17ROCPRIM_400000_NS6detail17trampoline_kernelINS0_14default_configENS1_29reduce_by_key_config_selectorIdlN6thrust23THRUST_200600_302600_NS4plusIlEEEEZZNS1_33reduce_by_key_impl_wrapped_configILNS1_25lookback_scan_determinismE0ES3_S9_PdNS6_17constant_iteratorIiNS6_11use_defaultESE_EENS6_10device_ptrIdEENSG_IlEEPmS8_NS6_8equal_toIdEEEE10hipError_tPvRmT2_T3_mT4_T5_T6_T7_T8_P12ihipStream_tbENKUlT_T0_E_clISt17integral_constantIbLb1EES12_IbLb0EEEEDaSY_SZ_EUlSY_E_NS1_11comp_targetILNS1_3genE8ELNS1_11target_archE1030ELNS1_3gpuE2ELNS1_3repE0EEENS1_30default_config_static_selectorELNS0_4arch9wavefront6targetE1EEEvT1_.numbered_sgpr, 0
	.set _ZN7rocprim17ROCPRIM_400000_NS6detail17trampoline_kernelINS0_14default_configENS1_29reduce_by_key_config_selectorIdlN6thrust23THRUST_200600_302600_NS4plusIlEEEEZZNS1_33reduce_by_key_impl_wrapped_configILNS1_25lookback_scan_determinismE0ES3_S9_PdNS6_17constant_iteratorIiNS6_11use_defaultESE_EENS6_10device_ptrIdEENSG_IlEEPmS8_NS6_8equal_toIdEEEE10hipError_tPvRmT2_T3_mT4_T5_T6_T7_T8_P12ihipStream_tbENKUlT_T0_E_clISt17integral_constantIbLb1EES12_IbLb0EEEEDaSY_SZ_EUlSY_E_NS1_11comp_targetILNS1_3genE8ELNS1_11target_archE1030ELNS1_3gpuE2ELNS1_3repE0EEENS1_30default_config_static_selectorELNS0_4arch9wavefront6targetE1EEEvT1_.num_named_barrier, 0
	.set _ZN7rocprim17ROCPRIM_400000_NS6detail17trampoline_kernelINS0_14default_configENS1_29reduce_by_key_config_selectorIdlN6thrust23THRUST_200600_302600_NS4plusIlEEEEZZNS1_33reduce_by_key_impl_wrapped_configILNS1_25lookback_scan_determinismE0ES3_S9_PdNS6_17constant_iteratorIiNS6_11use_defaultESE_EENS6_10device_ptrIdEENSG_IlEEPmS8_NS6_8equal_toIdEEEE10hipError_tPvRmT2_T3_mT4_T5_T6_T7_T8_P12ihipStream_tbENKUlT_T0_E_clISt17integral_constantIbLb1EES12_IbLb0EEEEDaSY_SZ_EUlSY_E_NS1_11comp_targetILNS1_3genE8ELNS1_11target_archE1030ELNS1_3gpuE2ELNS1_3repE0EEENS1_30default_config_static_selectorELNS0_4arch9wavefront6targetE1EEEvT1_.private_seg_size, 0
	.set _ZN7rocprim17ROCPRIM_400000_NS6detail17trampoline_kernelINS0_14default_configENS1_29reduce_by_key_config_selectorIdlN6thrust23THRUST_200600_302600_NS4plusIlEEEEZZNS1_33reduce_by_key_impl_wrapped_configILNS1_25lookback_scan_determinismE0ES3_S9_PdNS6_17constant_iteratorIiNS6_11use_defaultESE_EENS6_10device_ptrIdEENSG_IlEEPmS8_NS6_8equal_toIdEEEE10hipError_tPvRmT2_T3_mT4_T5_T6_T7_T8_P12ihipStream_tbENKUlT_T0_E_clISt17integral_constantIbLb1EES12_IbLb0EEEEDaSY_SZ_EUlSY_E_NS1_11comp_targetILNS1_3genE8ELNS1_11target_archE1030ELNS1_3gpuE2ELNS1_3repE0EEENS1_30default_config_static_selectorELNS0_4arch9wavefront6targetE1EEEvT1_.uses_vcc, 0
	.set _ZN7rocprim17ROCPRIM_400000_NS6detail17trampoline_kernelINS0_14default_configENS1_29reduce_by_key_config_selectorIdlN6thrust23THRUST_200600_302600_NS4plusIlEEEEZZNS1_33reduce_by_key_impl_wrapped_configILNS1_25lookback_scan_determinismE0ES3_S9_PdNS6_17constant_iteratorIiNS6_11use_defaultESE_EENS6_10device_ptrIdEENSG_IlEEPmS8_NS6_8equal_toIdEEEE10hipError_tPvRmT2_T3_mT4_T5_T6_T7_T8_P12ihipStream_tbENKUlT_T0_E_clISt17integral_constantIbLb1EES12_IbLb0EEEEDaSY_SZ_EUlSY_E_NS1_11comp_targetILNS1_3genE8ELNS1_11target_archE1030ELNS1_3gpuE2ELNS1_3repE0EEENS1_30default_config_static_selectorELNS0_4arch9wavefront6targetE1EEEvT1_.uses_flat_scratch, 0
	.set _ZN7rocprim17ROCPRIM_400000_NS6detail17trampoline_kernelINS0_14default_configENS1_29reduce_by_key_config_selectorIdlN6thrust23THRUST_200600_302600_NS4plusIlEEEEZZNS1_33reduce_by_key_impl_wrapped_configILNS1_25lookback_scan_determinismE0ES3_S9_PdNS6_17constant_iteratorIiNS6_11use_defaultESE_EENS6_10device_ptrIdEENSG_IlEEPmS8_NS6_8equal_toIdEEEE10hipError_tPvRmT2_T3_mT4_T5_T6_T7_T8_P12ihipStream_tbENKUlT_T0_E_clISt17integral_constantIbLb1EES12_IbLb0EEEEDaSY_SZ_EUlSY_E_NS1_11comp_targetILNS1_3genE8ELNS1_11target_archE1030ELNS1_3gpuE2ELNS1_3repE0EEENS1_30default_config_static_selectorELNS0_4arch9wavefront6targetE1EEEvT1_.has_dyn_sized_stack, 0
	.set _ZN7rocprim17ROCPRIM_400000_NS6detail17trampoline_kernelINS0_14default_configENS1_29reduce_by_key_config_selectorIdlN6thrust23THRUST_200600_302600_NS4plusIlEEEEZZNS1_33reduce_by_key_impl_wrapped_configILNS1_25lookback_scan_determinismE0ES3_S9_PdNS6_17constant_iteratorIiNS6_11use_defaultESE_EENS6_10device_ptrIdEENSG_IlEEPmS8_NS6_8equal_toIdEEEE10hipError_tPvRmT2_T3_mT4_T5_T6_T7_T8_P12ihipStream_tbENKUlT_T0_E_clISt17integral_constantIbLb1EES12_IbLb0EEEEDaSY_SZ_EUlSY_E_NS1_11comp_targetILNS1_3genE8ELNS1_11target_archE1030ELNS1_3gpuE2ELNS1_3repE0EEENS1_30default_config_static_selectorELNS0_4arch9wavefront6targetE1EEEvT1_.has_recursion, 0
	.set _ZN7rocprim17ROCPRIM_400000_NS6detail17trampoline_kernelINS0_14default_configENS1_29reduce_by_key_config_selectorIdlN6thrust23THRUST_200600_302600_NS4plusIlEEEEZZNS1_33reduce_by_key_impl_wrapped_configILNS1_25lookback_scan_determinismE0ES3_S9_PdNS6_17constant_iteratorIiNS6_11use_defaultESE_EENS6_10device_ptrIdEENSG_IlEEPmS8_NS6_8equal_toIdEEEE10hipError_tPvRmT2_T3_mT4_T5_T6_T7_T8_P12ihipStream_tbENKUlT_T0_E_clISt17integral_constantIbLb1EES12_IbLb0EEEEDaSY_SZ_EUlSY_E_NS1_11comp_targetILNS1_3genE8ELNS1_11target_archE1030ELNS1_3gpuE2ELNS1_3repE0EEENS1_30default_config_static_selectorELNS0_4arch9wavefront6targetE1EEEvT1_.has_indirect_call, 0
	.section	.AMDGPU.csdata,"",@progbits
; Kernel info:
; codeLenInByte = 0
; TotalNumSgprs: 4
; NumVgprs: 0
; ScratchSize: 0
; MemoryBound: 0
; FloatMode: 240
; IeeeMode: 1
; LDSByteSize: 0 bytes/workgroup (compile time only)
; SGPRBlocks: 0
; VGPRBlocks: 0
; NumSGPRsForWavesPerEU: 4
; NumVGPRsForWavesPerEU: 1
; Occupancy: 10
; WaveLimiterHint : 0
; COMPUTE_PGM_RSRC2:SCRATCH_EN: 0
; COMPUTE_PGM_RSRC2:USER_SGPR: 6
; COMPUTE_PGM_RSRC2:TRAP_HANDLER: 0
; COMPUTE_PGM_RSRC2:TGID_X_EN: 1
; COMPUTE_PGM_RSRC2:TGID_Y_EN: 0
; COMPUTE_PGM_RSRC2:TGID_Z_EN: 0
; COMPUTE_PGM_RSRC2:TIDIG_COMP_CNT: 0
	.section	.text._ZN7rocprim17ROCPRIM_400000_NS6detail17trampoline_kernelINS0_14default_configENS1_29reduce_by_key_config_selectorIdlN6thrust23THRUST_200600_302600_NS4plusIlEEEEZZNS1_33reduce_by_key_impl_wrapped_configILNS1_25lookback_scan_determinismE0ES3_S9_PdNS6_17constant_iteratorIiNS6_11use_defaultESE_EENS6_10device_ptrIdEENSG_IlEEPmS8_NS6_8equal_toIdEEEE10hipError_tPvRmT2_T3_mT4_T5_T6_T7_T8_P12ihipStream_tbENKUlT_T0_E_clISt17integral_constantIbLb0EES12_IbLb1EEEEDaSY_SZ_EUlSY_E_NS1_11comp_targetILNS1_3genE0ELNS1_11target_archE4294967295ELNS1_3gpuE0ELNS1_3repE0EEENS1_30default_config_static_selectorELNS0_4arch9wavefront6targetE1EEEvT1_,"axG",@progbits,_ZN7rocprim17ROCPRIM_400000_NS6detail17trampoline_kernelINS0_14default_configENS1_29reduce_by_key_config_selectorIdlN6thrust23THRUST_200600_302600_NS4plusIlEEEEZZNS1_33reduce_by_key_impl_wrapped_configILNS1_25lookback_scan_determinismE0ES3_S9_PdNS6_17constant_iteratorIiNS6_11use_defaultESE_EENS6_10device_ptrIdEENSG_IlEEPmS8_NS6_8equal_toIdEEEE10hipError_tPvRmT2_T3_mT4_T5_T6_T7_T8_P12ihipStream_tbENKUlT_T0_E_clISt17integral_constantIbLb0EES12_IbLb1EEEEDaSY_SZ_EUlSY_E_NS1_11comp_targetILNS1_3genE0ELNS1_11target_archE4294967295ELNS1_3gpuE0ELNS1_3repE0EEENS1_30default_config_static_selectorELNS0_4arch9wavefront6targetE1EEEvT1_,comdat
	.protected	_ZN7rocprim17ROCPRIM_400000_NS6detail17trampoline_kernelINS0_14default_configENS1_29reduce_by_key_config_selectorIdlN6thrust23THRUST_200600_302600_NS4plusIlEEEEZZNS1_33reduce_by_key_impl_wrapped_configILNS1_25lookback_scan_determinismE0ES3_S9_PdNS6_17constant_iteratorIiNS6_11use_defaultESE_EENS6_10device_ptrIdEENSG_IlEEPmS8_NS6_8equal_toIdEEEE10hipError_tPvRmT2_T3_mT4_T5_T6_T7_T8_P12ihipStream_tbENKUlT_T0_E_clISt17integral_constantIbLb0EES12_IbLb1EEEEDaSY_SZ_EUlSY_E_NS1_11comp_targetILNS1_3genE0ELNS1_11target_archE4294967295ELNS1_3gpuE0ELNS1_3repE0EEENS1_30default_config_static_selectorELNS0_4arch9wavefront6targetE1EEEvT1_ ; -- Begin function _ZN7rocprim17ROCPRIM_400000_NS6detail17trampoline_kernelINS0_14default_configENS1_29reduce_by_key_config_selectorIdlN6thrust23THRUST_200600_302600_NS4plusIlEEEEZZNS1_33reduce_by_key_impl_wrapped_configILNS1_25lookback_scan_determinismE0ES3_S9_PdNS6_17constant_iteratorIiNS6_11use_defaultESE_EENS6_10device_ptrIdEENSG_IlEEPmS8_NS6_8equal_toIdEEEE10hipError_tPvRmT2_T3_mT4_T5_T6_T7_T8_P12ihipStream_tbENKUlT_T0_E_clISt17integral_constantIbLb0EES12_IbLb1EEEEDaSY_SZ_EUlSY_E_NS1_11comp_targetILNS1_3genE0ELNS1_11target_archE4294967295ELNS1_3gpuE0ELNS1_3repE0EEENS1_30default_config_static_selectorELNS0_4arch9wavefront6targetE1EEEvT1_
	.globl	_ZN7rocprim17ROCPRIM_400000_NS6detail17trampoline_kernelINS0_14default_configENS1_29reduce_by_key_config_selectorIdlN6thrust23THRUST_200600_302600_NS4plusIlEEEEZZNS1_33reduce_by_key_impl_wrapped_configILNS1_25lookback_scan_determinismE0ES3_S9_PdNS6_17constant_iteratorIiNS6_11use_defaultESE_EENS6_10device_ptrIdEENSG_IlEEPmS8_NS6_8equal_toIdEEEE10hipError_tPvRmT2_T3_mT4_T5_T6_T7_T8_P12ihipStream_tbENKUlT_T0_E_clISt17integral_constantIbLb0EES12_IbLb1EEEEDaSY_SZ_EUlSY_E_NS1_11comp_targetILNS1_3genE0ELNS1_11target_archE4294967295ELNS1_3gpuE0ELNS1_3repE0EEENS1_30default_config_static_selectorELNS0_4arch9wavefront6targetE1EEEvT1_
	.p2align	8
	.type	_ZN7rocprim17ROCPRIM_400000_NS6detail17trampoline_kernelINS0_14default_configENS1_29reduce_by_key_config_selectorIdlN6thrust23THRUST_200600_302600_NS4plusIlEEEEZZNS1_33reduce_by_key_impl_wrapped_configILNS1_25lookback_scan_determinismE0ES3_S9_PdNS6_17constant_iteratorIiNS6_11use_defaultESE_EENS6_10device_ptrIdEENSG_IlEEPmS8_NS6_8equal_toIdEEEE10hipError_tPvRmT2_T3_mT4_T5_T6_T7_T8_P12ihipStream_tbENKUlT_T0_E_clISt17integral_constantIbLb0EES12_IbLb1EEEEDaSY_SZ_EUlSY_E_NS1_11comp_targetILNS1_3genE0ELNS1_11target_archE4294967295ELNS1_3gpuE0ELNS1_3repE0EEENS1_30default_config_static_selectorELNS0_4arch9wavefront6targetE1EEEvT1_,@function
_ZN7rocprim17ROCPRIM_400000_NS6detail17trampoline_kernelINS0_14default_configENS1_29reduce_by_key_config_selectorIdlN6thrust23THRUST_200600_302600_NS4plusIlEEEEZZNS1_33reduce_by_key_impl_wrapped_configILNS1_25lookback_scan_determinismE0ES3_S9_PdNS6_17constant_iteratorIiNS6_11use_defaultESE_EENS6_10device_ptrIdEENSG_IlEEPmS8_NS6_8equal_toIdEEEE10hipError_tPvRmT2_T3_mT4_T5_T6_T7_T8_P12ihipStream_tbENKUlT_T0_E_clISt17integral_constantIbLb0EES12_IbLb1EEEEDaSY_SZ_EUlSY_E_NS1_11comp_targetILNS1_3genE0ELNS1_11target_archE4294967295ELNS1_3gpuE0ELNS1_3repE0EEENS1_30default_config_static_selectorELNS0_4arch9wavefront6targetE1EEEvT1_: ; @_ZN7rocprim17ROCPRIM_400000_NS6detail17trampoline_kernelINS0_14default_configENS1_29reduce_by_key_config_selectorIdlN6thrust23THRUST_200600_302600_NS4plusIlEEEEZZNS1_33reduce_by_key_impl_wrapped_configILNS1_25lookback_scan_determinismE0ES3_S9_PdNS6_17constant_iteratorIiNS6_11use_defaultESE_EENS6_10device_ptrIdEENSG_IlEEPmS8_NS6_8equal_toIdEEEE10hipError_tPvRmT2_T3_mT4_T5_T6_T7_T8_P12ihipStream_tbENKUlT_T0_E_clISt17integral_constantIbLb0EES12_IbLb1EEEEDaSY_SZ_EUlSY_E_NS1_11comp_targetILNS1_3genE0ELNS1_11target_archE4294967295ELNS1_3gpuE0ELNS1_3repE0EEENS1_30default_config_static_selectorELNS0_4arch9wavefront6targetE1EEEvT1_
; %bb.0:
	.section	.rodata,"a",@progbits
	.p2align	6, 0x0
	.amdhsa_kernel _ZN7rocprim17ROCPRIM_400000_NS6detail17trampoline_kernelINS0_14default_configENS1_29reduce_by_key_config_selectorIdlN6thrust23THRUST_200600_302600_NS4plusIlEEEEZZNS1_33reduce_by_key_impl_wrapped_configILNS1_25lookback_scan_determinismE0ES3_S9_PdNS6_17constant_iteratorIiNS6_11use_defaultESE_EENS6_10device_ptrIdEENSG_IlEEPmS8_NS6_8equal_toIdEEEE10hipError_tPvRmT2_T3_mT4_T5_T6_T7_T8_P12ihipStream_tbENKUlT_T0_E_clISt17integral_constantIbLb0EES12_IbLb1EEEEDaSY_SZ_EUlSY_E_NS1_11comp_targetILNS1_3genE0ELNS1_11target_archE4294967295ELNS1_3gpuE0ELNS1_3repE0EEENS1_30default_config_static_selectorELNS0_4arch9wavefront6targetE1EEEvT1_
		.amdhsa_group_segment_fixed_size 0
		.amdhsa_private_segment_fixed_size 0
		.amdhsa_kernarg_size 144
		.amdhsa_user_sgpr_count 6
		.amdhsa_user_sgpr_private_segment_buffer 1
		.amdhsa_user_sgpr_dispatch_ptr 0
		.amdhsa_user_sgpr_queue_ptr 0
		.amdhsa_user_sgpr_kernarg_segment_ptr 1
		.amdhsa_user_sgpr_dispatch_id 0
		.amdhsa_user_sgpr_flat_scratch_init 0
		.amdhsa_user_sgpr_private_segment_size 0
		.amdhsa_uses_dynamic_stack 0
		.amdhsa_system_sgpr_private_segment_wavefront_offset 0
		.amdhsa_system_sgpr_workgroup_id_x 1
		.amdhsa_system_sgpr_workgroup_id_y 0
		.amdhsa_system_sgpr_workgroup_id_z 0
		.amdhsa_system_sgpr_workgroup_info 0
		.amdhsa_system_vgpr_workitem_id 0
		.amdhsa_next_free_vgpr 1
		.amdhsa_next_free_sgpr 0
		.amdhsa_reserve_vcc 0
		.amdhsa_reserve_flat_scratch 0
		.amdhsa_float_round_mode_32 0
		.amdhsa_float_round_mode_16_64 0
		.amdhsa_float_denorm_mode_32 3
		.amdhsa_float_denorm_mode_16_64 3
		.amdhsa_dx10_clamp 1
		.amdhsa_ieee_mode 1
		.amdhsa_fp16_overflow 0
		.amdhsa_exception_fp_ieee_invalid_op 0
		.amdhsa_exception_fp_denorm_src 0
		.amdhsa_exception_fp_ieee_div_zero 0
		.amdhsa_exception_fp_ieee_overflow 0
		.amdhsa_exception_fp_ieee_underflow 0
		.amdhsa_exception_fp_ieee_inexact 0
		.amdhsa_exception_int_div_zero 0
	.end_amdhsa_kernel
	.section	.text._ZN7rocprim17ROCPRIM_400000_NS6detail17trampoline_kernelINS0_14default_configENS1_29reduce_by_key_config_selectorIdlN6thrust23THRUST_200600_302600_NS4plusIlEEEEZZNS1_33reduce_by_key_impl_wrapped_configILNS1_25lookback_scan_determinismE0ES3_S9_PdNS6_17constant_iteratorIiNS6_11use_defaultESE_EENS6_10device_ptrIdEENSG_IlEEPmS8_NS6_8equal_toIdEEEE10hipError_tPvRmT2_T3_mT4_T5_T6_T7_T8_P12ihipStream_tbENKUlT_T0_E_clISt17integral_constantIbLb0EES12_IbLb1EEEEDaSY_SZ_EUlSY_E_NS1_11comp_targetILNS1_3genE0ELNS1_11target_archE4294967295ELNS1_3gpuE0ELNS1_3repE0EEENS1_30default_config_static_selectorELNS0_4arch9wavefront6targetE1EEEvT1_,"axG",@progbits,_ZN7rocprim17ROCPRIM_400000_NS6detail17trampoline_kernelINS0_14default_configENS1_29reduce_by_key_config_selectorIdlN6thrust23THRUST_200600_302600_NS4plusIlEEEEZZNS1_33reduce_by_key_impl_wrapped_configILNS1_25lookback_scan_determinismE0ES3_S9_PdNS6_17constant_iteratorIiNS6_11use_defaultESE_EENS6_10device_ptrIdEENSG_IlEEPmS8_NS6_8equal_toIdEEEE10hipError_tPvRmT2_T3_mT4_T5_T6_T7_T8_P12ihipStream_tbENKUlT_T0_E_clISt17integral_constantIbLb0EES12_IbLb1EEEEDaSY_SZ_EUlSY_E_NS1_11comp_targetILNS1_3genE0ELNS1_11target_archE4294967295ELNS1_3gpuE0ELNS1_3repE0EEENS1_30default_config_static_selectorELNS0_4arch9wavefront6targetE1EEEvT1_,comdat
.Lfunc_end1715:
	.size	_ZN7rocprim17ROCPRIM_400000_NS6detail17trampoline_kernelINS0_14default_configENS1_29reduce_by_key_config_selectorIdlN6thrust23THRUST_200600_302600_NS4plusIlEEEEZZNS1_33reduce_by_key_impl_wrapped_configILNS1_25lookback_scan_determinismE0ES3_S9_PdNS6_17constant_iteratorIiNS6_11use_defaultESE_EENS6_10device_ptrIdEENSG_IlEEPmS8_NS6_8equal_toIdEEEE10hipError_tPvRmT2_T3_mT4_T5_T6_T7_T8_P12ihipStream_tbENKUlT_T0_E_clISt17integral_constantIbLb0EES12_IbLb1EEEEDaSY_SZ_EUlSY_E_NS1_11comp_targetILNS1_3genE0ELNS1_11target_archE4294967295ELNS1_3gpuE0ELNS1_3repE0EEENS1_30default_config_static_selectorELNS0_4arch9wavefront6targetE1EEEvT1_, .Lfunc_end1715-_ZN7rocprim17ROCPRIM_400000_NS6detail17trampoline_kernelINS0_14default_configENS1_29reduce_by_key_config_selectorIdlN6thrust23THRUST_200600_302600_NS4plusIlEEEEZZNS1_33reduce_by_key_impl_wrapped_configILNS1_25lookback_scan_determinismE0ES3_S9_PdNS6_17constant_iteratorIiNS6_11use_defaultESE_EENS6_10device_ptrIdEENSG_IlEEPmS8_NS6_8equal_toIdEEEE10hipError_tPvRmT2_T3_mT4_T5_T6_T7_T8_P12ihipStream_tbENKUlT_T0_E_clISt17integral_constantIbLb0EES12_IbLb1EEEEDaSY_SZ_EUlSY_E_NS1_11comp_targetILNS1_3genE0ELNS1_11target_archE4294967295ELNS1_3gpuE0ELNS1_3repE0EEENS1_30default_config_static_selectorELNS0_4arch9wavefront6targetE1EEEvT1_
                                        ; -- End function
	.set _ZN7rocprim17ROCPRIM_400000_NS6detail17trampoline_kernelINS0_14default_configENS1_29reduce_by_key_config_selectorIdlN6thrust23THRUST_200600_302600_NS4plusIlEEEEZZNS1_33reduce_by_key_impl_wrapped_configILNS1_25lookback_scan_determinismE0ES3_S9_PdNS6_17constant_iteratorIiNS6_11use_defaultESE_EENS6_10device_ptrIdEENSG_IlEEPmS8_NS6_8equal_toIdEEEE10hipError_tPvRmT2_T3_mT4_T5_T6_T7_T8_P12ihipStream_tbENKUlT_T0_E_clISt17integral_constantIbLb0EES12_IbLb1EEEEDaSY_SZ_EUlSY_E_NS1_11comp_targetILNS1_3genE0ELNS1_11target_archE4294967295ELNS1_3gpuE0ELNS1_3repE0EEENS1_30default_config_static_selectorELNS0_4arch9wavefront6targetE1EEEvT1_.num_vgpr, 0
	.set _ZN7rocprim17ROCPRIM_400000_NS6detail17trampoline_kernelINS0_14default_configENS1_29reduce_by_key_config_selectorIdlN6thrust23THRUST_200600_302600_NS4plusIlEEEEZZNS1_33reduce_by_key_impl_wrapped_configILNS1_25lookback_scan_determinismE0ES3_S9_PdNS6_17constant_iteratorIiNS6_11use_defaultESE_EENS6_10device_ptrIdEENSG_IlEEPmS8_NS6_8equal_toIdEEEE10hipError_tPvRmT2_T3_mT4_T5_T6_T7_T8_P12ihipStream_tbENKUlT_T0_E_clISt17integral_constantIbLb0EES12_IbLb1EEEEDaSY_SZ_EUlSY_E_NS1_11comp_targetILNS1_3genE0ELNS1_11target_archE4294967295ELNS1_3gpuE0ELNS1_3repE0EEENS1_30default_config_static_selectorELNS0_4arch9wavefront6targetE1EEEvT1_.num_agpr, 0
	.set _ZN7rocprim17ROCPRIM_400000_NS6detail17trampoline_kernelINS0_14default_configENS1_29reduce_by_key_config_selectorIdlN6thrust23THRUST_200600_302600_NS4plusIlEEEEZZNS1_33reduce_by_key_impl_wrapped_configILNS1_25lookback_scan_determinismE0ES3_S9_PdNS6_17constant_iteratorIiNS6_11use_defaultESE_EENS6_10device_ptrIdEENSG_IlEEPmS8_NS6_8equal_toIdEEEE10hipError_tPvRmT2_T3_mT4_T5_T6_T7_T8_P12ihipStream_tbENKUlT_T0_E_clISt17integral_constantIbLb0EES12_IbLb1EEEEDaSY_SZ_EUlSY_E_NS1_11comp_targetILNS1_3genE0ELNS1_11target_archE4294967295ELNS1_3gpuE0ELNS1_3repE0EEENS1_30default_config_static_selectorELNS0_4arch9wavefront6targetE1EEEvT1_.numbered_sgpr, 0
	.set _ZN7rocprim17ROCPRIM_400000_NS6detail17trampoline_kernelINS0_14default_configENS1_29reduce_by_key_config_selectorIdlN6thrust23THRUST_200600_302600_NS4plusIlEEEEZZNS1_33reduce_by_key_impl_wrapped_configILNS1_25lookback_scan_determinismE0ES3_S9_PdNS6_17constant_iteratorIiNS6_11use_defaultESE_EENS6_10device_ptrIdEENSG_IlEEPmS8_NS6_8equal_toIdEEEE10hipError_tPvRmT2_T3_mT4_T5_T6_T7_T8_P12ihipStream_tbENKUlT_T0_E_clISt17integral_constantIbLb0EES12_IbLb1EEEEDaSY_SZ_EUlSY_E_NS1_11comp_targetILNS1_3genE0ELNS1_11target_archE4294967295ELNS1_3gpuE0ELNS1_3repE0EEENS1_30default_config_static_selectorELNS0_4arch9wavefront6targetE1EEEvT1_.num_named_barrier, 0
	.set _ZN7rocprim17ROCPRIM_400000_NS6detail17trampoline_kernelINS0_14default_configENS1_29reduce_by_key_config_selectorIdlN6thrust23THRUST_200600_302600_NS4plusIlEEEEZZNS1_33reduce_by_key_impl_wrapped_configILNS1_25lookback_scan_determinismE0ES3_S9_PdNS6_17constant_iteratorIiNS6_11use_defaultESE_EENS6_10device_ptrIdEENSG_IlEEPmS8_NS6_8equal_toIdEEEE10hipError_tPvRmT2_T3_mT4_T5_T6_T7_T8_P12ihipStream_tbENKUlT_T0_E_clISt17integral_constantIbLb0EES12_IbLb1EEEEDaSY_SZ_EUlSY_E_NS1_11comp_targetILNS1_3genE0ELNS1_11target_archE4294967295ELNS1_3gpuE0ELNS1_3repE0EEENS1_30default_config_static_selectorELNS0_4arch9wavefront6targetE1EEEvT1_.private_seg_size, 0
	.set _ZN7rocprim17ROCPRIM_400000_NS6detail17trampoline_kernelINS0_14default_configENS1_29reduce_by_key_config_selectorIdlN6thrust23THRUST_200600_302600_NS4plusIlEEEEZZNS1_33reduce_by_key_impl_wrapped_configILNS1_25lookback_scan_determinismE0ES3_S9_PdNS6_17constant_iteratorIiNS6_11use_defaultESE_EENS6_10device_ptrIdEENSG_IlEEPmS8_NS6_8equal_toIdEEEE10hipError_tPvRmT2_T3_mT4_T5_T6_T7_T8_P12ihipStream_tbENKUlT_T0_E_clISt17integral_constantIbLb0EES12_IbLb1EEEEDaSY_SZ_EUlSY_E_NS1_11comp_targetILNS1_3genE0ELNS1_11target_archE4294967295ELNS1_3gpuE0ELNS1_3repE0EEENS1_30default_config_static_selectorELNS0_4arch9wavefront6targetE1EEEvT1_.uses_vcc, 0
	.set _ZN7rocprim17ROCPRIM_400000_NS6detail17trampoline_kernelINS0_14default_configENS1_29reduce_by_key_config_selectorIdlN6thrust23THRUST_200600_302600_NS4plusIlEEEEZZNS1_33reduce_by_key_impl_wrapped_configILNS1_25lookback_scan_determinismE0ES3_S9_PdNS6_17constant_iteratorIiNS6_11use_defaultESE_EENS6_10device_ptrIdEENSG_IlEEPmS8_NS6_8equal_toIdEEEE10hipError_tPvRmT2_T3_mT4_T5_T6_T7_T8_P12ihipStream_tbENKUlT_T0_E_clISt17integral_constantIbLb0EES12_IbLb1EEEEDaSY_SZ_EUlSY_E_NS1_11comp_targetILNS1_3genE0ELNS1_11target_archE4294967295ELNS1_3gpuE0ELNS1_3repE0EEENS1_30default_config_static_selectorELNS0_4arch9wavefront6targetE1EEEvT1_.uses_flat_scratch, 0
	.set _ZN7rocprim17ROCPRIM_400000_NS6detail17trampoline_kernelINS0_14default_configENS1_29reduce_by_key_config_selectorIdlN6thrust23THRUST_200600_302600_NS4plusIlEEEEZZNS1_33reduce_by_key_impl_wrapped_configILNS1_25lookback_scan_determinismE0ES3_S9_PdNS6_17constant_iteratorIiNS6_11use_defaultESE_EENS6_10device_ptrIdEENSG_IlEEPmS8_NS6_8equal_toIdEEEE10hipError_tPvRmT2_T3_mT4_T5_T6_T7_T8_P12ihipStream_tbENKUlT_T0_E_clISt17integral_constantIbLb0EES12_IbLb1EEEEDaSY_SZ_EUlSY_E_NS1_11comp_targetILNS1_3genE0ELNS1_11target_archE4294967295ELNS1_3gpuE0ELNS1_3repE0EEENS1_30default_config_static_selectorELNS0_4arch9wavefront6targetE1EEEvT1_.has_dyn_sized_stack, 0
	.set _ZN7rocprim17ROCPRIM_400000_NS6detail17trampoline_kernelINS0_14default_configENS1_29reduce_by_key_config_selectorIdlN6thrust23THRUST_200600_302600_NS4plusIlEEEEZZNS1_33reduce_by_key_impl_wrapped_configILNS1_25lookback_scan_determinismE0ES3_S9_PdNS6_17constant_iteratorIiNS6_11use_defaultESE_EENS6_10device_ptrIdEENSG_IlEEPmS8_NS6_8equal_toIdEEEE10hipError_tPvRmT2_T3_mT4_T5_T6_T7_T8_P12ihipStream_tbENKUlT_T0_E_clISt17integral_constantIbLb0EES12_IbLb1EEEEDaSY_SZ_EUlSY_E_NS1_11comp_targetILNS1_3genE0ELNS1_11target_archE4294967295ELNS1_3gpuE0ELNS1_3repE0EEENS1_30default_config_static_selectorELNS0_4arch9wavefront6targetE1EEEvT1_.has_recursion, 0
	.set _ZN7rocprim17ROCPRIM_400000_NS6detail17trampoline_kernelINS0_14default_configENS1_29reduce_by_key_config_selectorIdlN6thrust23THRUST_200600_302600_NS4plusIlEEEEZZNS1_33reduce_by_key_impl_wrapped_configILNS1_25lookback_scan_determinismE0ES3_S9_PdNS6_17constant_iteratorIiNS6_11use_defaultESE_EENS6_10device_ptrIdEENSG_IlEEPmS8_NS6_8equal_toIdEEEE10hipError_tPvRmT2_T3_mT4_T5_T6_T7_T8_P12ihipStream_tbENKUlT_T0_E_clISt17integral_constantIbLb0EES12_IbLb1EEEEDaSY_SZ_EUlSY_E_NS1_11comp_targetILNS1_3genE0ELNS1_11target_archE4294967295ELNS1_3gpuE0ELNS1_3repE0EEENS1_30default_config_static_selectorELNS0_4arch9wavefront6targetE1EEEvT1_.has_indirect_call, 0
	.section	.AMDGPU.csdata,"",@progbits
; Kernel info:
; codeLenInByte = 0
; TotalNumSgprs: 4
; NumVgprs: 0
; ScratchSize: 0
; MemoryBound: 0
; FloatMode: 240
; IeeeMode: 1
; LDSByteSize: 0 bytes/workgroup (compile time only)
; SGPRBlocks: 0
; VGPRBlocks: 0
; NumSGPRsForWavesPerEU: 4
; NumVGPRsForWavesPerEU: 1
; Occupancy: 10
; WaveLimiterHint : 0
; COMPUTE_PGM_RSRC2:SCRATCH_EN: 0
; COMPUTE_PGM_RSRC2:USER_SGPR: 6
; COMPUTE_PGM_RSRC2:TRAP_HANDLER: 0
; COMPUTE_PGM_RSRC2:TGID_X_EN: 1
; COMPUTE_PGM_RSRC2:TGID_Y_EN: 0
; COMPUTE_PGM_RSRC2:TGID_Z_EN: 0
; COMPUTE_PGM_RSRC2:TIDIG_COMP_CNT: 0
	.section	.text._ZN7rocprim17ROCPRIM_400000_NS6detail17trampoline_kernelINS0_14default_configENS1_29reduce_by_key_config_selectorIdlN6thrust23THRUST_200600_302600_NS4plusIlEEEEZZNS1_33reduce_by_key_impl_wrapped_configILNS1_25lookback_scan_determinismE0ES3_S9_PdNS6_17constant_iteratorIiNS6_11use_defaultESE_EENS6_10device_ptrIdEENSG_IlEEPmS8_NS6_8equal_toIdEEEE10hipError_tPvRmT2_T3_mT4_T5_T6_T7_T8_P12ihipStream_tbENKUlT_T0_E_clISt17integral_constantIbLb0EES12_IbLb1EEEEDaSY_SZ_EUlSY_E_NS1_11comp_targetILNS1_3genE5ELNS1_11target_archE942ELNS1_3gpuE9ELNS1_3repE0EEENS1_30default_config_static_selectorELNS0_4arch9wavefront6targetE1EEEvT1_,"axG",@progbits,_ZN7rocprim17ROCPRIM_400000_NS6detail17trampoline_kernelINS0_14default_configENS1_29reduce_by_key_config_selectorIdlN6thrust23THRUST_200600_302600_NS4plusIlEEEEZZNS1_33reduce_by_key_impl_wrapped_configILNS1_25lookback_scan_determinismE0ES3_S9_PdNS6_17constant_iteratorIiNS6_11use_defaultESE_EENS6_10device_ptrIdEENSG_IlEEPmS8_NS6_8equal_toIdEEEE10hipError_tPvRmT2_T3_mT4_T5_T6_T7_T8_P12ihipStream_tbENKUlT_T0_E_clISt17integral_constantIbLb0EES12_IbLb1EEEEDaSY_SZ_EUlSY_E_NS1_11comp_targetILNS1_3genE5ELNS1_11target_archE942ELNS1_3gpuE9ELNS1_3repE0EEENS1_30default_config_static_selectorELNS0_4arch9wavefront6targetE1EEEvT1_,comdat
	.protected	_ZN7rocprim17ROCPRIM_400000_NS6detail17trampoline_kernelINS0_14default_configENS1_29reduce_by_key_config_selectorIdlN6thrust23THRUST_200600_302600_NS4plusIlEEEEZZNS1_33reduce_by_key_impl_wrapped_configILNS1_25lookback_scan_determinismE0ES3_S9_PdNS6_17constant_iteratorIiNS6_11use_defaultESE_EENS6_10device_ptrIdEENSG_IlEEPmS8_NS6_8equal_toIdEEEE10hipError_tPvRmT2_T3_mT4_T5_T6_T7_T8_P12ihipStream_tbENKUlT_T0_E_clISt17integral_constantIbLb0EES12_IbLb1EEEEDaSY_SZ_EUlSY_E_NS1_11comp_targetILNS1_3genE5ELNS1_11target_archE942ELNS1_3gpuE9ELNS1_3repE0EEENS1_30default_config_static_selectorELNS0_4arch9wavefront6targetE1EEEvT1_ ; -- Begin function _ZN7rocprim17ROCPRIM_400000_NS6detail17trampoline_kernelINS0_14default_configENS1_29reduce_by_key_config_selectorIdlN6thrust23THRUST_200600_302600_NS4plusIlEEEEZZNS1_33reduce_by_key_impl_wrapped_configILNS1_25lookback_scan_determinismE0ES3_S9_PdNS6_17constant_iteratorIiNS6_11use_defaultESE_EENS6_10device_ptrIdEENSG_IlEEPmS8_NS6_8equal_toIdEEEE10hipError_tPvRmT2_T3_mT4_T5_T6_T7_T8_P12ihipStream_tbENKUlT_T0_E_clISt17integral_constantIbLb0EES12_IbLb1EEEEDaSY_SZ_EUlSY_E_NS1_11comp_targetILNS1_3genE5ELNS1_11target_archE942ELNS1_3gpuE9ELNS1_3repE0EEENS1_30default_config_static_selectorELNS0_4arch9wavefront6targetE1EEEvT1_
	.globl	_ZN7rocprim17ROCPRIM_400000_NS6detail17trampoline_kernelINS0_14default_configENS1_29reduce_by_key_config_selectorIdlN6thrust23THRUST_200600_302600_NS4plusIlEEEEZZNS1_33reduce_by_key_impl_wrapped_configILNS1_25lookback_scan_determinismE0ES3_S9_PdNS6_17constant_iteratorIiNS6_11use_defaultESE_EENS6_10device_ptrIdEENSG_IlEEPmS8_NS6_8equal_toIdEEEE10hipError_tPvRmT2_T3_mT4_T5_T6_T7_T8_P12ihipStream_tbENKUlT_T0_E_clISt17integral_constantIbLb0EES12_IbLb1EEEEDaSY_SZ_EUlSY_E_NS1_11comp_targetILNS1_3genE5ELNS1_11target_archE942ELNS1_3gpuE9ELNS1_3repE0EEENS1_30default_config_static_selectorELNS0_4arch9wavefront6targetE1EEEvT1_
	.p2align	8
	.type	_ZN7rocprim17ROCPRIM_400000_NS6detail17trampoline_kernelINS0_14default_configENS1_29reduce_by_key_config_selectorIdlN6thrust23THRUST_200600_302600_NS4plusIlEEEEZZNS1_33reduce_by_key_impl_wrapped_configILNS1_25lookback_scan_determinismE0ES3_S9_PdNS6_17constant_iteratorIiNS6_11use_defaultESE_EENS6_10device_ptrIdEENSG_IlEEPmS8_NS6_8equal_toIdEEEE10hipError_tPvRmT2_T3_mT4_T5_T6_T7_T8_P12ihipStream_tbENKUlT_T0_E_clISt17integral_constantIbLb0EES12_IbLb1EEEEDaSY_SZ_EUlSY_E_NS1_11comp_targetILNS1_3genE5ELNS1_11target_archE942ELNS1_3gpuE9ELNS1_3repE0EEENS1_30default_config_static_selectorELNS0_4arch9wavefront6targetE1EEEvT1_,@function
_ZN7rocprim17ROCPRIM_400000_NS6detail17trampoline_kernelINS0_14default_configENS1_29reduce_by_key_config_selectorIdlN6thrust23THRUST_200600_302600_NS4plusIlEEEEZZNS1_33reduce_by_key_impl_wrapped_configILNS1_25lookback_scan_determinismE0ES3_S9_PdNS6_17constant_iteratorIiNS6_11use_defaultESE_EENS6_10device_ptrIdEENSG_IlEEPmS8_NS6_8equal_toIdEEEE10hipError_tPvRmT2_T3_mT4_T5_T6_T7_T8_P12ihipStream_tbENKUlT_T0_E_clISt17integral_constantIbLb0EES12_IbLb1EEEEDaSY_SZ_EUlSY_E_NS1_11comp_targetILNS1_3genE5ELNS1_11target_archE942ELNS1_3gpuE9ELNS1_3repE0EEENS1_30default_config_static_selectorELNS0_4arch9wavefront6targetE1EEEvT1_: ; @_ZN7rocprim17ROCPRIM_400000_NS6detail17trampoline_kernelINS0_14default_configENS1_29reduce_by_key_config_selectorIdlN6thrust23THRUST_200600_302600_NS4plusIlEEEEZZNS1_33reduce_by_key_impl_wrapped_configILNS1_25lookback_scan_determinismE0ES3_S9_PdNS6_17constant_iteratorIiNS6_11use_defaultESE_EENS6_10device_ptrIdEENSG_IlEEPmS8_NS6_8equal_toIdEEEE10hipError_tPvRmT2_T3_mT4_T5_T6_T7_T8_P12ihipStream_tbENKUlT_T0_E_clISt17integral_constantIbLb0EES12_IbLb1EEEEDaSY_SZ_EUlSY_E_NS1_11comp_targetILNS1_3genE5ELNS1_11target_archE942ELNS1_3gpuE9ELNS1_3repE0EEENS1_30default_config_static_selectorELNS0_4arch9wavefront6targetE1EEEvT1_
; %bb.0:
	.section	.rodata,"a",@progbits
	.p2align	6, 0x0
	.amdhsa_kernel _ZN7rocprim17ROCPRIM_400000_NS6detail17trampoline_kernelINS0_14default_configENS1_29reduce_by_key_config_selectorIdlN6thrust23THRUST_200600_302600_NS4plusIlEEEEZZNS1_33reduce_by_key_impl_wrapped_configILNS1_25lookback_scan_determinismE0ES3_S9_PdNS6_17constant_iteratorIiNS6_11use_defaultESE_EENS6_10device_ptrIdEENSG_IlEEPmS8_NS6_8equal_toIdEEEE10hipError_tPvRmT2_T3_mT4_T5_T6_T7_T8_P12ihipStream_tbENKUlT_T0_E_clISt17integral_constantIbLb0EES12_IbLb1EEEEDaSY_SZ_EUlSY_E_NS1_11comp_targetILNS1_3genE5ELNS1_11target_archE942ELNS1_3gpuE9ELNS1_3repE0EEENS1_30default_config_static_selectorELNS0_4arch9wavefront6targetE1EEEvT1_
		.amdhsa_group_segment_fixed_size 0
		.amdhsa_private_segment_fixed_size 0
		.amdhsa_kernarg_size 144
		.amdhsa_user_sgpr_count 6
		.amdhsa_user_sgpr_private_segment_buffer 1
		.amdhsa_user_sgpr_dispatch_ptr 0
		.amdhsa_user_sgpr_queue_ptr 0
		.amdhsa_user_sgpr_kernarg_segment_ptr 1
		.amdhsa_user_sgpr_dispatch_id 0
		.amdhsa_user_sgpr_flat_scratch_init 0
		.amdhsa_user_sgpr_private_segment_size 0
		.amdhsa_uses_dynamic_stack 0
		.amdhsa_system_sgpr_private_segment_wavefront_offset 0
		.amdhsa_system_sgpr_workgroup_id_x 1
		.amdhsa_system_sgpr_workgroup_id_y 0
		.amdhsa_system_sgpr_workgroup_id_z 0
		.amdhsa_system_sgpr_workgroup_info 0
		.amdhsa_system_vgpr_workitem_id 0
		.amdhsa_next_free_vgpr 1
		.amdhsa_next_free_sgpr 0
		.amdhsa_reserve_vcc 0
		.amdhsa_reserve_flat_scratch 0
		.amdhsa_float_round_mode_32 0
		.amdhsa_float_round_mode_16_64 0
		.amdhsa_float_denorm_mode_32 3
		.amdhsa_float_denorm_mode_16_64 3
		.amdhsa_dx10_clamp 1
		.amdhsa_ieee_mode 1
		.amdhsa_fp16_overflow 0
		.amdhsa_exception_fp_ieee_invalid_op 0
		.amdhsa_exception_fp_denorm_src 0
		.amdhsa_exception_fp_ieee_div_zero 0
		.amdhsa_exception_fp_ieee_overflow 0
		.amdhsa_exception_fp_ieee_underflow 0
		.amdhsa_exception_fp_ieee_inexact 0
		.amdhsa_exception_int_div_zero 0
	.end_amdhsa_kernel
	.section	.text._ZN7rocprim17ROCPRIM_400000_NS6detail17trampoline_kernelINS0_14default_configENS1_29reduce_by_key_config_selectorIdlN6thrust23THRUST_200600_302600_NS4plusIlEEEEZZNS1_33reduce_by_key_impl_wrapped_configILNS1_25lookback_scan_determinismE0ES3_S9_PdNS6_17constant_iteratorIiNS6_11use_defaultESE_EENS6_10device_ptrIdEENSG_IlEEPmS8_NS6_8equal_toIdEEEE10hipError_tPvRmT2_T3_mT4_T5_T6_T7_T8_P12ihipStream_tbENKUlT_T0_E_clISt17integral_constantIbLb0EES12_IbLb1EEEEDaSY_SZ_EUlSY_E_NS1_11comp_targetILNS1_3genE5ELNS1_11target_archE942ELNS1_3gpuE9ELNS1_3repE0EEENS1_30default_config_static_selectorELNS0_4arch9wavefront6targetE1EEEvT1_,"axG",@progbits,_ZN7rocprim17ROCPRIM_400000_NS6detail17trampoline_kernelINS0_14default_configENS1_29reduce_by_key_config_selectorIdlN6thrust23THRUST_200600_302600_NS4plusIlEEEEZZNS1_33reduce_by_key_impl_wrapped_configILNS1_25lookback_scan_determinismE0ES3_S9_PdNS6_17constant_iteratorIiNS6_11use_defaultESE_EENS6_10device_ptrIdEENSG_IlEEPmS8_NS6_8equal_toIdEEEE10hipError_tPvRmT2_T3_mT4_T5_T6_T7_T8_P12ihipStream_tbENKUlT_T0_E_clISt17integral_constantIbLb0EES12_IbLb1EEEEDaSY_SZ_EUlSY_E_NS1_11comp_targetILNS1_3genE5ELNS1_11target_archE942ELNS1_3gpuE9ELNS1_3repE0EEENS1_30default_config_static_selectorELNS0_4arch9wavefront6targetE1EEEvT1_,comdat
.Lfunc_end1716:
	.size	_ZN7rocprim17ROCPRIM_400000_NS6detail17trampoline_kernelINS0_14default_configENS1_29reduce_by_key_config_selectorIdlN6thrust23THRUST_200600_302600_NS4plusIlEEEEZZNS1_33reduce_by_key_impl_wrapped_configILNS1_25lookback_scan_determinismE0ES3_S9_PdNS6_17constant_iteratorIiNS6_11use_defaultESE_EENS6_10device_ptrIdEENSG_IlEEPmS8_NS6_8equal_toIdEEEE10hipError_tPvRmT2_T3_mT4_T5_T6_T7_T8_P12ihipStream_tbENKUlT_T0_E_clISt17integral_constantIbLb0EES12_IbLb1EEEEDaSY_SZ_EUlSY_E_NS1_11comp_targetILNS1_3genE5ELNS1_11target_archE942ELNS1_3gpuE9ELNS1_3repE0EEENS1_30default_config_static_selectorELNS0_4arch9wavefront6targetE1EEEvT1_, .Lfunc_end1716-_ZN7rocprim17ROCPRIM_400000_NS6detail17trampoline_kernelINS0_14default_configENS1_29reduce_by_key_config_selectorIdlN6thrust23THRUST_200600_302600_NS4plusIlEEEEZZNS1_33reduce_by_key_impl_wrapped_configILNS1_25lookback_scan_determinismE0ES3_S9_PdNS6_17constant_iteratorIiNS6_11use_defaultESE_EENS6_10device_ptrIdEENSG_IlEEPmS8_NS6_8equal_toIdEEEE10hipError_tPvRmT2_T3_mT4_T5_T6_T7_T8_P12ihipStream_tbENKUlT_T0_E_clISt17integral_constantIbLb0EES12_IbLb1EEEEDaSY_SZ_EUlSY_E_NS1_11comp_targetILNS1_3genE5ELNS1_11target_archE942ELNS1_3gpuE9ELNS1_3repE0EEENS1_30default_config_static_selectorELNS0_4arch9wavefront6targetE1EEEvT1_
                                        ; -- End function
	.set _ZN7rocprim17ROCPRIM_400000_NS6detail17trampoline_kernelINS0_14default_configENS1_29reduce_by_key_config_selectorIdlN6thrust23THRUST_200600_302600_NS4plusIlEEEEZZNS1_33reduce_by_key_impl_wrapped_configILNS1_25lookback_scan_determinismE0ES3_S9_PdNS6_17constant_iteratorIiNS6_11use_defaultESE_EENS6_10device_ptrIdEENSG_IlEEPmS8_NS6_8equal_toIdEEEE10hipError_tPvRmT2_T3_mT4_T5_T6_T7_T8_P12ihipStream_tbENKUlT_T0_E_clISt17integral_constantIbLb0EES12_IbLb1EEEEDaSY_SZ_EUlSY_E_NS1_11comp_targetILNS1_3genE5ELNS1_11target_archE942ELNS1_3gpuE9ELNS1_3repE0EEENS1_30default_config_static_selectorELNS0_4arch9wavefront6targetE1EEEvT1_.num_vgpr, 0
	.set _ZN7rocprim17ROCPRIM_400000_NS6detail17trampoline_kernelINS0_14default_configENS1_29reduce_by_key_config_selectorIdlN6thrust23THRUST_200600_302600_NS4plusIlEEEEZZNS1_33reduce_by_key_impl_wrapped_configILNS1_25lookback_scan_determinismE0ES3_S9_PdNS6_17constant_iteratorIiNS6_11use_defaultESE_EENS6_10device_ptrIdEENSG_IlEEPmS8_NS6_8equal_toIdEEEE10hipError_tPvRmT2_T3_mT4_T5_T6_T7_T8_P12ihipStream_tbENKUlT_T0_E_clISt17integral_constantIbLb0EES12_IbLb1EEEEDaSY_SZ_EUlSY_E_NS1_11comp_targetILNS1_3genE5ELNS1_11target_archE942ELNS1_3gpuE9ELNS1_3repE0EEENS1_30default_config_static_selectorELNS0_4arch9wavefront6targetE1EEEvT1_.num_agpr, 0
	.set _ZN7rocprim17ROCPRIM_400000_NS6detail17trampoline_kernelINS0_14default_configENS1_29reduce_by_key_config_selectorIdlN6thrust23THRUST_200600_302600_NS4plusIlEEEEZZNS1_33reduce_by_key_impl_wrapped_configILNS1_25lookback_scan_determinismE0ES3_S9_PdNS6_17constant_iteratorIiNS6_11use_defaultESE_EENS6_10device_ptrIdEENSG_IlEEPmS8_NS6_8equal_toIdEEEE10hipError_tPvRmT2_T3_mT4_T5_T6_T7_T8_P12ihipStream_tbENKUlT_T0_E_clISt17integral_constantIbLb0EES12_IbLb1EEEEDaSY_SZ_EUlSY_E_NS1_11comp_targetILNS1_3genE5ELNS1_11target_archE942ELNS1_3gpuE9ELNS1_3repE0EEENS1_30default_config_static_selectorELNS0_4arch9wavefront6targetE1EEEvT1_.numbered_sgpr, 0
	.set _ZN7rocprim17ROCPRIM_400000_NS6detail17trampoline_kernelINS0_14default_configENS1_29reduce_by_key_config_selectorIdlN6thrust23THRUST_200600_302600_NS4plusIlEEEEZZNS1_33reduce_by_key_impl_wrapped_configILNS1_25lookback_scan_determinismE0ES3_S9_PdNS6_17constant_iteratorIiNS6_11use_defaultESE_EENS6_10device_ptrIdEENSG_IlEEPmS8_NS6_8equal_toIdEEEE10hipError_tPvRmT2_T3_mT4_T5_T6_T7_T8_P12ihipStream_tbENKUlT_T0_E_clISt17integral_constantIbLb0EES12_IbLb1EEEEDaSY_SZ_EUlSY_E_NS1_11comp_targetILNS1_3genE5ELNS1_11target_archE942ELNS1_3gpuE9ELNS1_3repE0EEENS1_30default_config_static_selectorELNS0_4arch9wavefront6targetE1EEEvT1_.num_named_barrier, 0
	.set _ZN7rocprim17ROCPRIM_400000_NS6detail17trampoline_kernelINS0_14default_configENS1_29reduce_by_key_config_selectorIdlN6thrust23THRUST_200600_302600_NS4plusIlEEEEZZNS1_33reduce_by_key_impl_wrapped_configILNS1_25lookback_scan_determinismE0ES3_S9_PdNS6_17constant_iteratorIiNS6_11use_defaultESE_EENS6_10device_ptrIdEENSG_IlEEPmS8_NS6_8equal_toIdEEEE10hipError_tPvRmT2_T3_mT4_T5_T6_T7_T8_P12ihipStream_tbENKUlT_T0_E_clISt17integral_constantIbLb0EES12_IbLb1EEEEDaSY_SZ_EUlSY_E_NS1_11comp_targetILNS1_3genE5ELNS1_11target_archE942ELNS1_3gpuE9ELNS1_3repE0EEENS1_30default_config_static_selectorELNS0_4arch9wavefront6targetE1EEEvT1_.private_seg_size, 0
	.set _ZN7rocprim17ROCPRIM_400000_NS6detail17trampoline_kernelINS0_14default_configENS1_29reduce_by_key_config_selectorIdlN6thrust23THRUST_200600_302600_NS4plusIlEEEEZZNS1_33reduce_by_key_impl_wrapped_configILNS1_25lookback_scan_determinismE0ES3_S9_PdNS6_17constant_iteratorIiNS6_11use_defaultESE_EENS6_10device_ptrIdEENSG_IlEEPmS8_NS6_8equal_toIdEEEE10hipError_tPvRmT2_T3_mT4_T5_T6_T7_T8_P12ihipStream_tbENKUlT_T0_E_clISt17integral_constantIbLb0EES12_IbLb1EEEEDaSY_SZ_EUlSY_E_NS1_11comp_targetILNS1_3genE5ELNS1_11target_archE942ELNS1_3gpuE9ELNS1_3repE0EEENS1_30default_config_static_selectorELNS0_4arch9wavefront6targetE1EEEvT1_.uses_vcc, 0
	.set _ZN7rocprim17ROCPRIM_400000_NS6detail17trampoline_kernelINS0_14default_configENS1_29reduce_by_key_config_selectorIdlN6thrust23THRUST_200600_302600_NS4plusIlEEEEZZNS1_33reduce_by_key_impl_wrapped_configILNS1_25lookback_scan_determinismE0ES3_S9_PdNS6_17constant_iteratorIiNS6_11use_defaultESE_EENS6_10device_ptrIdEENSG_IlEEPmS8_NS6_8equal_toIdEEEE10hipError_tPvRmT2_T3_mT4_T5_T6_T7_T8_P12ihipStream_tbENKUlT_T0_E_clISt17integral_constantIbLb0EES12_IbLb1EEEEDaSY_SZ_EUlSY_E_NS1_11comp_targetILNS1_3genE5ELNS1_11target_archE942ELNS1_3gpuE9ELNS1_3repE0EEENS1_30default_config_static_selectorELNS0_4arch9wavefront6targetE1EEEvT1_.uses_flat_scratch, 0
	.set _ZN7rocprim17ROCPRIM_400000_NS6detail17trampoline_kernelINS0_14default_configENS1_29reduce_by_key_config_selectorIdlN6thrust23THRUST_200600_302600_NS4plusIlEEEEZZNS1_33reduce_by_key_impl_wrapped_configILNS1_25lookback_scan_determinismE0ES3_S9_PdNS6_17constant_iteratorIiNS6_11use_defaultESE_EENS6_10device_ptrIdEENSG_IlEEPmS8_NS6_8equal_toIdEEEE10hipError_tPvRmT2_T3_mT4_T5_T6_T7_T8_P12ihipStream_tbENKUlT_T0_E_clISt17integral_constantIbLb0EES12_IbLb1EEEEDaSY_SZ_EUlSY_E_NS1_11comp_targetILNS1_3genE5ELNS1_11target_archE942ELNS1_3gpuE9ELNS1_3repE0EEENS1_30default_config_static_selectorELNS0_4arch9wavefront6targetE1EEEvT1_.has_dyn_sized_stack, 0
	.set _ZN7rocprim17ROCPRIM_400000_NS6detail17trampoline_kernelINS0_14default_configENS1_29reduce_by_key_config_selectorIdlN6thrust23THRUST_200600_302600_NS4plusIlEEEEZZNS1_33reduce_by_key_impl_wrapped_configILNS1_25lookback_scan_determinismE0ES3_S9_PdNS6_17constant_iteratorIiNS6_11use_defaultESE_EENS6_10device_ptrIdEENSG_IlEEPmS8_NS6_8equal_toIdEEEE10hipError_tPvRmT2_T3_mT4_T5_T6_T7_T8_P12ihipStream_tbENKUlT_T0_E_clISt17integral_constantIbLb0EES12_IbLb1EEEEDaSY_SZ_EUlSY_E_NS1_11comp_targetILNS1_3genE5ELNS1_11target_archE942ELNS1_3gpuE9ELNS1_3repE0EEENS1_30default_config_static_selectorELNS0_4arch9wavefront6targetE1EEEvT1_.has_recursion, 0
	.set _ZN7rocprim17ROCPRIM_400000_NS6detail17trampoline_kernelINS0_14default_configENS1_29reduce_by_key_config_selectorIdlN6thrust23THRUST_200600_302600_NS4plusIlEEEEZZNS1_33reduce_by_key_impl_wrapped_configILNS1_25lookback_scan_determinismE0ES3_S9_PdNS6_17constant_iteratorIiNS6_11use_defaultESE_EENS6_10device_ptrIdEENSG_IlEEPmS8_NS6_8equal_toIdEEEE10hipError_tPvRmT2_T3_mT4_T5_T6_T7_T8_P12ihipStream_tbENKUlT_T0_E_clISt17integral_constantIbLb0EES12_IbLb1EEEEDaSY_SZ_EUlSY_E_NS1_11comp_targetILNS1_3genE5ELNS1_11target_archE942ELNS1_3gpuE9ELNS1_3repE0EEENS1_30default_config_static_selectorELNS0_4arch9wavefront6targetE1EEEvT1_.has_indirect_call, 0
	.section	.AMDGPU.csdata,"",@progbits
; Kernel info:
; codeLenInByte = 0
; TotalNumSgprs: 4
; NumVgprs: 0
; ScratchSize: 0
; MemoryBound: 0
; FloatMode: 240
; IeeeMode: 1
; LDSByteSize: 0 bytes/workgroup (compile time only)
; SGPRBlocks: 0
; VGPRBlocks: 0
; NumSGPRsForWavesPerEU: 4
; NumVGPRsForWavesPerEU: 1
; Occupancy: 10
; WaveLimiterHint : 0
; COMPUTE_PGM_RSRC2:SCRATCH_EN: 0
; COMPUTE_PGM_RSRC2:USER_SGPR: 6
; COMPUTE_PGM_RSRC2:TRAP_HANDLER: 0
; COMPUTE_PGM_RSRC2:TGID_X_EN: 1
; COMPUTE_PGM_RSRC2:TGID_Y_EN: 0
; COMPUTE_PGM_RSRC2:TGID_Z_EN: 0
; COMPUTE_PGM_RSRC2:TIDIG_COMP_CNT: 0
	.section	.text._ZN7rocprim17ROCPRIM_400000_NS6detail17trampoline_kernelINS0_14default_configENS1_29reduce_by_key_config_selectorIdlN6thrust23THRUST_200600_302600_NS4plusIlEEEEZZNS1_33reduce_by_key_impl_wrapped_configILNS1_25lookback_scan_determinismE0ES3_S9_PdNS6_17constant_iteratorIiNS6_11use_defaultESE_EENS6_10device_ptrIdEENSG_IlEEPmS8_NS6_8equal_toIdEEEE10hipError_tPvRmT2_T3_mT4_T5_T6_T7_T8_P12ihipStream_tbENKUlT_T0_E_clISt17integral_constantIbLb0EES12_IbLb1EEEEDaSY_SZ_EUlSY_E_NS1_11comp_targetILNS1_3genE4ELNS1_11target_archE910ELNS1_3gpuE8ELNS1_3repE0EEENS1_30default_config_static_selectorELNS0_4arch9wavefront6targetE1EEEvT1_,"axG",@progbits,_ZN7rocprim17ROCPRIM_400000_NS6detail17trampoline_kernelINS0_14default_configENS1_29reduce_by_key_config_selectorIdlN6thrust23THRUST_200600_302600_NS4plusIlEEEEZZNS1_33reduce_by_key_impl_wrapped_configILNS1_25lookback_scan_determinismE0ES3_S9_PdNS6_17constant_iteratorIiNS6_11use_defaultESE_EENS6_10device_ptrIdEENSG_IlEEPmS8_NS6_8equal_toIdEEEE10hipError_tPvRmT2_T3_mT4_T5_T6_T7_T8_P12ihipStream_tbENKUlT_T0_E_clISt17integral_constantIbLb0EES12_IbLb1EEEEDaSY_SZ_EUlSY_E_NS1_11comp_targetILNS1_3genE4ELNS1_11target_archE910ELNS1_3gpuE8ELNS1_3repE0EEENS1_30default_config_static_selectorELNS0_4arch9wavefront6targetE1EEEvT1_,comdat
	.protected	_ZN7rocprim17ROCPRIM_400000_NS6detail17trampoline_kernelINS0_14default_configENS1_29reduce_by_key_config_selectorIdlN6thrust23THRUST_200600_302600_NS4plusIlEEEEZZNS1_33reduce_by_key_impl_wrapped_configILNS1_25lookback_scan_determinismE0ES3_S9_PdNS6_17constant_iteratorIiNS6_11use_defaultESE_EENS6_10device_ptrIdEENSG_IlEEPmS8_NS6_8equal_toIdEEEE10hipError_tPvRmT2_T3_mT4_T5_T6_T7_T8_P12ihipStream_tbENKUlT_T0_E_clISt17integral_constantIbLb0EES12_IbLb1EEEEDaSY_SZ_EUlSY_E_NS1_11comp_targetILNS1_3genE4ELNS1_11target_archE910ELNS1_3gpuE8ELNS1_3repE0EEENS1_30default_config_static_selectorELNS0_4arch9wavefront6targetE1EEEvT1_ ; -- Begin function _ZN7rocprim17ROCPRIM_400000_NS6detail17trampoline_kernelINS0_14default_configENS1_29reduce_by_key_config_selectorIdlN6thrust23THRUST_200600_302600_NS4plusIlEEEEZZNS1_33reduce_by_key_impl_wrapped_configILNS1_25lookback_scan_determinismE0ES3_S9_PdNS6_17constant_iteratorIiNS6_11use_defaultESE_EENS6_10device_ptrIdEENSG_IlEEPmS8_NS6_8equal_toIdEEEE10hipError_tPvRmT2_T3_mT4_T5_T6_T7_T8_P12ihipStream_tbENKUlT_T0_E_clISt17integral_constantIbLb0EES12_IbLb1EEEEDaSY_SZ_EUlSY_E_NS1_11comp_targetILNS1_3genE4ELNS1_11target_archE910ELNS1_3gpuE8ELNS1_3repE0EEENS1_30default_config_static_selectorELNS0_4arch9wavefront6targetE1EEEvT1_
	.globl	_ZN7rocprim17ROCPRIM_400000_NS6detail17trampoline_kernelINS0_14default_configENS1_29reduce_by_key_config_selectorIdlN6thrust23THRUST_200600_302600_NS4plusIlEEEEZZNS1_33reduce_by_key_impl_wrapped_configILNS1_25lookback_scan_determinismE0ES3_S9_PdNS6_17constant_iteratorIiNS6_11use_defaultESE_EENS6_10device_ptrIdEENSG_IlEEPmS8_NS6_8equal_toIdEEEE10hipError_tPvRmT2_T3_mT4_T5_T6_T7_T8_P12ihipStream_tbENKUlT_T0_E_clISt17integral_constantIbLb0EES12_IbLb1EEEEDaSY_SZ_EUlSY_E_NS1_11comp_targetILNS1_3genE4ELNS1_11target_archE910ELNS1_3gpuE8ELNS1_3repE0EEENS1_30default_config_static_selectorELNS0_4arch9wavefront6targetE1EEEvT1_
	.p2align	8
	.type	_ZN7rocprim17ROCPRIM_400000_NS6detail17trampoline_kernelINS0_14default_configENS1_29reduce_by_key_config_selectorIdlN6thrust23THRUST_200600_302600_NS4plusIlEEEEZZNS1_33reduce_by_key_impl_wrapped_configILNS1_25lookback_scan_determinismE0ES3_S9_PdNS6_17constant_iteratorIiNS6_11use_defaultESE_EENS6_10device_ptrIdEENSG_IlEEPmS8_NS6_8equal_toIdEEEE10hipError_tPvRmT2_T3_mT4_T5_T6_T7_T8_P12ihipStream_tbENKUlT_T0_E_clISt17integral_constantIbLb0EES12_IbLb1EEEEDaSY_SZ_EUlSY_E_NS1_11comp_targetILNS1_3genE4ELNS1_11target_archE910ELNS1_3gpuE8ELNS1_3repE0EEENS1_30default_config_static_selectorELNS0_4arch9wavefront6targetE1EEEvT1_,@function
_ZN7rocprim17ROCPRIM_400000_NS6detail17trampoline_kernelINS0_14default_configENS1_29reduce_by_key_config_selectorIdlN6thrust23THRUST_200600_302600_NS4plusIlEEEEZZNS1_33reduce_by_key_impl_wrapped_configILNS1_25lookback_scan_determinismE0ES3_S9_PdNS6_17constant_iteratorIiNS6_11use_defaultESE_EENS6_10device_ptrIdEENSG_IlEEPmS8_NS6_8equal_toIdEEEE10hipError_tPvRmT2_T3_mT4_T5_T6_T7_T8_P12ihipStream_tbENKUlT_T0_E_clISt17integral_constantIbLb0EES12_IbLb1EEEEDaSY_SZ_EUlSY_E_NS1_11comp_targetILNS1_3genE4ELNS1_11target_archE910ELNS1_3gpuE8ELNS1_3repE0EEENS1_30default_config_static_selectorELNS0_4arch9wavefront6targetE1EEEvT1_: ; @_ZN7rocprim17ROCPRIM_400000_NS6detail17trampoline_kernelINS0_14default_configENS1_29reduce_by_key_config_selectorIdlN6thrust23THRUST_200600_302600_NS4plusIlEEEEZZNS1_33reduce_by_key_impl_wrapped_configILNS1_25lookback_scan_determinismE0ES3_S9_PdNS6_17constant_iteratorIiNS6_11use_defaultESE_EENS6_10device_ptrIdEENSG_IlEEPmS8_NS6_8equal_toIdEEEE10hipError_tPvRmT2_T3_mT4_T5_T6_T7_T8_P12ihipStream_tbENKUlT_T0_E_clISt17integral_constantIbLb0EES12_IbLb1EEEEDaSY_SZ_EUlSY_E_NS1_11comp_targetILNS1_3genE4ELNS1_11target_archE910ELNS1_3gpuE8ELNS1_3repE0EEENS1_30default_config_static_selectorELNS0_4arch9wavefront6targetE1EEEvT1_
; %bb.0:
	.section	.rodata,"a",@progbits
	.p2align	6, 0x0
	.amdhsa_kernel _ZN7rocprim17ROCPRIM_400000_NS6detail17trampoline_kernelINS0_14default_configENS1_29reduce_by_key_config_selectorIdlN6thrust23THRUST_200600_302600_NS4plusIlEEEEZZNS1_33reduce_by_key_impl_wrapped_configILNS1_25lookback_scan_determinismE0ES3_S9_PdNS6_17constant_iteratorIiNS6_11use_defaultESE_EENS6_10device_ptrIdEENSG_IlEEPmS8_NS6_8equal_toIdEEEE10hipError_tPvRmT2_T3_mT4_T5_T6_T7_T8_P12ihipStream_tbENKUlT_T0_E_clISt17integral_constantIbLb0EES12_IbLb1EEEEDaSY_SZ_EUlSY_E_NS1_11comp_targetILNS1_3genE4ELNS1_11target_archE910ELNS1_3gpuE8ELNS1_3repE0EEENS1_30default_config_static_selectorELNS0_4arch9wavefront6targetE1EEEvT1_
		.amdhsa_group_segment_fixed_size 0
		.amdhsa_private_segment_fixed_size 0
		.amdhsa_kernarg_size 144
		.amdhsa_user_sgpr_count 6
		.amdhsa_user_sgpr_private_segment_buffer 1
		.amdhsa_user_sgpr_dispatch_ptr 0
		.amdhsa_user_sgpr_queue_ptr 0
		.amdhsa_user_sgpr_kernarg_segment_ptr 1
		.amdhsa_user_sgpr_dispatch_id 0
		.amdhsa_user_sgpr_flat_scratch_init 0
		.amdhsa_user_sgpr_private_segment_size 0
		.amdhsa_uses_dynamic_stack 0
		.amdhsa_system_sgpr_private_segment_wavefront_offset 0
		.amdhsa_system_sgpr_workgroup_id_x 1
		.amdhsa_system_sgpr_workgroup_id_y 0
		.amdhsa_system_sgpr_workgroup_id_z 0
		.amdhsa_system_sgpr_workgroup_info 0
		.amdhsa_system_vgpr_workitem_id 0
		.amdhsa_next_free_vgpr 1
		.amdhsa_next_free_sgpr 0
		.amdhsa_reserve_vcc 0
		.amdhsa_reserve_flat_scratch 0
		.amdhsa_float_round_mode_32 0
		.amdhsa_float_round_mode_16_64 0
		.amdhsa_float_denorm_mode_32 3
		.amdhsa_float_denorm_mode_16_64 3
		.amdhsa_dx10_clamp 1
		.amdhsa_ieee_mode 1
		.amdhsa_fp16_overflow 0
		.amdhsa_exception_fp_ieee_invalid_op 0
		.amdhsa_exception_fp_denorm_src 0
		.amdhsa_exception_fp_ieee_div_zero 0
		.amdhsa_exception_fp_ieee_overflow 0
		.amdhsa_exception_fp_ieee_underflow 0
		.amdhsa_exception_fp_ieee_inexact 0
		.amdhsa_exception_int_div_zero 0
	.end_amdhsa_kernel
	.section	.text._ZN7rocprim17ROCPRIM_400000_NS6detail17trampoline_kernelINS0_14default_configENS1_29reduce_by_key_config_selectorIdlN6thrust23THRUST_200600_302600_NS4plusIlEEEEZZNS1_33reduce_by_key_impl_wrapped_configILNS1_25lookback_scan_determinismE0ES3_S9_PdNS6_17constant_iteratorIiNS6_11use_defaultESE_EENS6_10device_ptrIdEENSG_IlEEPmS8_NS6_8equal_toIdEEEE10hipError_tPvRmT2_T3_mT4_T5_T6_T7_T8_P12ihipStream_tbENKUlT_T0_E_clISt17integral_constantIbLb0EES12_IbLb1EEEEDaSY_SZ_EUlSY_E_NS1_11comp_targetILNS1_3genE4ELNS1_11target_archE910ELNS1_3gpuE8ELNS1_3repE0EEENS1_30default_config_static_selectorELNS0_4arch9wavefront6targetE1EEEvT1_,"axG",@progbits,_ZN7rocprim17ROCPRIM_400000_NS6detail17trampoline_kernelINS0_14default_configENS1_29reduce_by_key_config_selectorIdlN6thrust23THRUST_200600_302600_NS4plusIlEEEEZZNS1_33reduce_by_key_impl_wrapped_configILNS1_25lookback_scan_determinismE0ES3_S9_PdNS6_17constant_iteratorIiNS6_11use_defaultESE_EENS6_10device_ptrIdEENSG_IlEEPmS8_NS6_8equal_toIdEEEE10hipError_tPvRmT2_T3_mT4_T5_T6_T7_T8_P12ihipStream_tbENKUlT_T0_E_clISt17integral_constantIbLb0EES12_IbLb1EEEEDaSY_SZ_EUlSY_E_NS1_11comp_targetILNS1_3genE4ELNS1_11target_archE910ELNS1_3gpuE8ELNS1_3repE0EEENS1_30default_config_static_selectorELNS0_4arch9wavefront6targetE1EEEvT1_,comdat
.Lfunc_end1717:
	.size	_ZN7rocprim17ROCPRIM_400000_NS6detail17trampoline_kernelINS0_14default_configENS1_29reduce_by_key_config_selectorIdlN6thrust23THRUST_200600_302600_NS4plusIlEEEEZZNS1_33reduce_by_key_impl_wrapped_configILNS1_25lookback_scan_determinismE0ES3_S9_PdNS6_17constant_iteratorIiNS6_11use_defaultESE_EENS6_10device_ptrIdEENSG_IlEEPmS8_NS6_8equal_toIdEEEE10hipError_tPvRmT2_T3_mT4_T5_T6_T7_T8_P12ihipStream_tbENKUlT_T0_E_clISt17integral_constantIbLb0EES12_IbLb1EEEEDaSY_SZ_EUlSY_E_NS1_11comp_targetILNS1_3genE4ELNS1_11target_archE910ELNS1_3gpuE8ELNS1_3repE0EEENS1_30default_config_static_selectorELNS0_4arch9wavefront6targetE1EEEvT1_, .Lfunc_end1717-_ZN7rocprim17ROCPRIM_400000_NS6detail17trampoline_kernelINS0_14default_configENS1_29reduce_by_key_config_selectorIdlN6thrust23THRUST_200600_302600_NS4plusIlEEEEZZNS1_33reduce_by_key_impl_wrapped_configILNS1_25lookback_scan_determinismE0ES3_S9_PdNS6_17constant_iteratorIiNS6_11use_defaultESE_EENS6_10device_ptrIdEENSG_IlEEPmS8_NS6_8equal_toIdEEEE10hipError_tPvRmT2_T3_mT4_T5_T6_T7_T8_P12ihipStream_tbENKUlT_T0_E_clISt17integral_constantIbLb0EES12_IbLb1EEEEDaSY_SZ_EUlSY_E_NS1_11comp_targetILNS1_3genE4ELNS1_11target_archE910ELNS1_3gpuE8ELNS1_3repE0EEENS1_30default_config_static_selectorELNS0_4arch9wavefront6targetE1EEEvT1_
                                        ; -- End function
	.set _ZN7rocprim17ROCPRIM_400000_NS6detail17trampoline_kernelINS0_14default_configENS1_29reduce_by_key_config_selectorIdlN6thrust23THRUST_200600_302600_NS4plusIlEEEEZZNS1_33reduce_by_key_impl_wrapped_configILNS1_25lookback_scan_determinismE0ES3_S9_PdNS6_17constant_iteratorIiNS6_11use_defaultESE_EENS6_10device_ptrIdEENSG_IlEEPmS8_NS6_8equal_toIdEEEE10hipError_tPvRmT2_T3_mT4_T5_T6_T7_T8_P12ihipStream_tbENKUlT_T0_E_clISt17integral_constantIbLb0EES12_IbLb1EEEEDaSY_SZ_EUlSY_E_NS1_11comp_targetILNS1_3genE4ELNS1_11target_archE910ELNS1_3gpuE8ELNS1_3repE0EEENS1_30default_config_static_selectorELNS0_4arch9wavefront6targetE1EEEvT1_.num_vgpr, 0
	.set _ZN7rocprim17ROCPRIM_400000_NS6detail17trampoline_kernelINS0_14default_configENS1_29reduce_by_key_config_selectorIdlN6thrust23THRUST_200600_302600_NS4plusIlEEEEZZNS1_33reduce_by_key_impl_wrapped_configILNS1_25lookback_scan_determinismE0ES3_S9_PdNS6_17constant_iteratorIiNS6_11use_defaultESE_EENS6_10device_ptrIdEENSG_IlEEPmS8_NS6_8equal_toIdEEEE10hipError_tPvRmT2_T3_mT4_T5_T6_T7_T8_P12ihipStream_tbENKUlT_T0_E_clISt17integral_constantIbLb0EES12_IbLb1EEEEDaSY_SZ_EUlSY_E_NS1_11comp_targetILNS1_3genE4ELNS1_11target_archE910ELNS1_3gpuE8ELNS1_3repE0EEENS1_30default_config_static_selectorELNS0_4arch9wavefront6targetE1EEEvT1_.num_agpr, 0
	.set _ZN7rocprim17ROCPRIM_400000_NS6detail17trampoline_kernelINS0_14default_configENS1_29reduce_by_key_config_selectorIdlN6thrust23THRUST_200600_302600_NS4plusIlEEEEZZNS1_33reduce_by_key_impl_wrapped_configILNS1_25lookback_scan_determinismE0ES3_S9_PdNS6_17constant_iteratorIiNS6_11use_defaultESE_EENS6_10device_ptrIdEENSG_IlEEPmS8_NS6_8equal_toIdEEEE10hipError_tPvRmT2_T3_mT4_T5_T6_T7_T8_P12ihipStream_tbENKUlT_T0_E_clISt17integral_constantIbLb0EES12_IbLb1EEEEDaSY_SZ_EUlSY_E_NS1_11comp_targetILNS1_3genE4ELNS1_11target_archE910ELNS1_3gpuE8ELNS1_3repE0EEENS1_30default_config_static_selectorELNS0_4arch9wavefront6targetE1EEEvT1_.numbered_sgpr, 0
	.set _ZN7rocprim17ROCPRIM_400000_NS6detail17trampoline_kernelINS0_14default_configENS1_29reduce_by_key_config_selectorIdlN6thrust23THRUST_200600_302600_NS4plusIlEEEEZZNS1_33reduce_by_key_impl_wrapped_configILNS1_25lookback_scan_determinismE0ES3_S9_PdNS6_17constant_iteratorIiNS6_11use_defaultESE_EENS6_10device_ptrIdEENSG_IlEEPmS8_NS6_8equal_toIdEEEE10hipError_tPvRmT2_T3_mT4_T5_T6_T7_T8_P12ihipStream_tbENKUlT_T0_E_clISt17integral_constantIbLb0EES12_IbLb1EEEEDaSY_SZ_EUlSY_E_NS1_11comp_targetILNS1_3genE4ELNS1_11target_archE910ELNS1_3gpuE8ELNS1_3repE0EEENS1_30default_config_static_selectorELNS0_4arch9wavefront6targetE1EEEvT1_.num_named_barrier, 0
	.set _ZN7rocprim17ROCPRIM_400000_NS6detail17trampoline_kernelINS0_14default_configENS1_29reduce_by_key_config_selectorIdlN6thrust23THRUST_200600_302600_NS4plusIlEEEEZZNS1_33reduce_by_key_impl_wrapped_configILNS1_25lookback_scan_determinismE0ES3_S9_PdNS6_17constant_iteratorIiNS6_11use_defaultESE_EENS6_10device_ptrIdEENSG_IlEEPmS8_NS6_8equal_toIdEEEE10hipError_tPvRmT2_T3_mT4_T5_T6_T7_T8_P12ihipStream_tbENKUlT_T0_E_clISt17integral_constantIbLb0EES12_IbLb1EEEEDaSY_SZ_EUlSY_E_NS1_11comp_targetILNS1_3genE4ELNS1_11target_archE910ELNS1_3gpuE8ELNS1_3repE0EEENS1_30default_config_static_selectorELNS0_4arch9wavefront6targetE1EEEvT1_.private_seg_size, 0
	.set _ZN7rocprim17ROCPRIM_400000_NS6detail17trampoline_kernelINS0_14default_configENS1_29reduce_by_key_config_selectorIdlN6thrust23THRUST_200600_302600_NS4plusIlEEEEZZNS1_33reduce_by_key_impl_wrapped_configILNS1_25lookback_scan_determinismE0ES3_S9_PdNS6_17constant_iteratorIiNS6_11use_defaultESE_EENS6_10device_ptrIdEENSG_IlEEPmS8_NS6_8equal_toIdEEEE10hipError_tPvRmT2_T3_mT4_T5_T6_T7_T8_P12ihipStream_tbENKUlT_T0_E_clISt17integral_constantIbLb0EES12_IbLb1EEEEDaSY_SZ_EUlSY_E_NS1_11comp_targetILNS1_3genE4ELNS1_11target_archE910ELNS1_3gpuE8ELNS1_3repE0EEENS1_30default_config_static_selectorELNS0_4arch9wavefront6targetE1EEEvT1_.uses_vcc, 0
	.set _ZN7rocprim17ROCPRIM_400000_NS6detail17trampoline_kernelINS0_14default_configENS1_29reduce_by_key_config_selectorIdlN6thrust23THRUST_200600_302600_NS4plusIlEEEEZZNS1_33reduce_by_key_impl_wrapped_configILNS1_25lookback_scan_determinismE0ES3_S9_PdNS6_17constant_iteratorIiNS6_11use_defaultESE_EENS6_10device_ptrIdEENSG_IlEEPmS8_NS6_8equal_toIdEEEE10hipError_tPvRmT2_T3_mT4_T5_T6_T7_T8_P12ihipStream_tbENKUlT_T0_E_clISt17integral_constantIbLb0EES12_IbLb1EEEEDaSY_SZ_EUlSY_E_NS1_11comp_targetILNS1_3genE4ELNS1_11target_archE910ELNS1_3gpuE8ELNS1_3repE0EEENS1_30default_config_static_selectorELNS0_4arch9wavefront6targetE1EEEvT1_.uses_flat_scratch, 0
	.set _ZN7rocprim17ROCPRIM_400000_NS6detail17trampoline_kernelINS0_14default_configENS1_29reduce_by_key_config_selectorIdlN6thrust23THRUST_200600_302600_NS4plusIlEEEEZZNS1_33reduce_by_key_impl_wrapped_configILNS1_25lookback_scan_determinismE0ES3_S9_PdNS6_17constant_iteratorIiNS6_11use_defaultESE_EENS6_10device_ptrIdEENSG_IlEEPmS8_NS6_8equal_toIdEEEE10hipError_tPvRmT2_T3_mT4_T5_T6_T7_T8_P12ihipStream_tbENKUlT_T0_E_clISt17integral_constantIbLb0EES12_IbLb1EEEEDaSY_SZ_EUlSY_E_NS1_11comp_targetILNS1_3genE4ELNS1_11target_archE910ELNS1_3gpuE8ELNS1_3repE0EEENS1_30default_config_static_selectorELNS0_4arch9wavefront6targetE1EEEvT1_.has_dyn_sized_stack, 0
	.set _ZN7rocprim17ROCPRIM_400000_NS6detail17trampoline_kernelINS0_14default_configENS1_29reduce_by_key_config_selectorIdlN6thrust23THRUST_200600_302600_NS4plusIlEEEEZZNS1_33reduce_by_key_impl_wrapped_configILNS1_25lookback_scan_determinismE0ES3_S9_PdNS6_17constant_iteratorIiNS6_11use_defaultESE_EENS6_10device_ptrIdEENSG_IlEEPmS8_NS6_8equal_toIdEEEE10hipError_tPvRmT2_T3_mT4_T5_T6_T7_T8_P12ihipStream_tbENKUlT_T0_E_clISt17integral_constantIbLb0EES12_IbLb1EEEEDaSY_SZ_EUlSY_E_NS1_11comp_targetILNS1_3genE4ELNS1_11target_archE910ELNS1_3gpuE8ELNS1_3repE0EEENS1_30default_config_static_selectorELNS0_4arch9wavefront6targetE1EEEvT1_.has_recursion, 0
	.set _ZN7rocprim17ROCPRIM_400000_NS6detail17trampoline_kernelINS0_14default_configENS1_29reduce_by_key_config_selectorIdlN6thrust23THRUST_200600_302600_NS4plusIlEEEEZZNS1_33reduce_by_key_impl_wrapped_configILNS1_25lookback_scan_determinismE0ES3_S9_PdNS6_17constant_iteratorIiNS6_11use_defaultESE_EENS6_10device_ptrIdEENSG_IlEEPmS8_NS6_8equal_toIdEEEE10hipError_tPvRmT2_T3_mT4_T5_T6_T7_T8_P12ihipStream_tbENKUlT_T0_E_clISt17integral_constantIbLb0EES12_IbLb1EEEEDaSY_SZ_EUlSY_E_NS1_11comp_targetILNS1_3genE4ELNS1_11target_archE910ELNS1_3gpuE8ELNS1_3repE0EEENS1_30default_config_static_selectorELNS0_4arch9wavefront6targetE1EEEvT1_.has_indirect_call, 0
	.section	.AMDGPU.csdata,"",@progbits
; Kernel info:
; codeLenInByte = 0
; TotalNumSgprs: 4
; NumVgprs: 0
; ScratchSize: 0
; MemoryBound: 0
; FloatMode: 240
; IeeeMode: 1
; LDSByteSize: 0 bytes/workgroup (compile time only)
; SGPRBlocks: 0
; VGPRBlocks: 0
; NumSGPRsForWavesPerEU: 4
; NumVGPRsForWavesPerEU: 1
; Occupancy: 10
; WaveLimiterHint : 0
; COMPUTE_PGM_RSRC2:SCRATCH_EN: 0
; COMPUTE_PGM_RSRC2:USER_SGPR: 6
; COMPUTE_PGM_RSRC2:TRAP_HANDLER: 0
; COMPUTE_PGM_RSRC2:TGID_X_EN: 1
; COMPUTE_PGM_RSRC2:TGID_Y_EN: 0
; COMPUTE_PGM_RSRC2:TGID_Z_EN: 0
; COMPUTE_PGM_RSRC2:TIDIG_COMP_CNT: 0
	.section	.text._ZN7rocprim17ROCPRIM_400000_NS6detail17trampoline_kernelINS0_14default_configENS1_29reduce_by_key_config_selectorIdlN6thrust23THRUST_200600_302600_NS4plusIlEEEEZZNS1_33reduce_by_key_impl_wrapped_configILNS1_25lookback_scan_determinismE0ES3_S9_PdNS6_17constant_iteratorIiNS6_11use_defaultESE_EENS6_10device_ptrIdEENSG_IlEEPmS8_NS6_8equal_toIdEEEE10hipError_tPvRmT2_T3_mT4_T5_T6_T7_T8_P12ihipStream_tbENKUlT_T0_E_clISt17integral_constantIbLb0EES12_IbLb1EEEEDaSY_SZ_EUlSY_E_NS1_11comp_targetILNS1_3genE3ELNS1_11target_archE908ELNS1_3gpuE7ELNS1_3repE0EEENS1_30default_config_static_selectorELNS0_4arch9wavefront6targetE1EEEvT1_,"axG",@progbits,_ZN7rocprim17ROCPRIM_400000_NS6detail17trampoline_kernelINS0_14default_configENS1_29reduce_by_key_config_selectorIdlN6thrust23THRUST_200600_302600_NS4plusIlEEEEZZNS1_33reduce_by_key_impl_wrapped_configILNS1_25lookback_scan_determinismE0ES3_S9_PdNS6_17constant_iteratorIiNS6_11use_defaultESE_EENS6_10device_ptrIdEENSG_IlEEPmS8_NS6_8equal_toIdEEEE10hipError_tPvRmT2_T3_mT4_T5_T6_T7_T8_P12ihipStream_tbENKUlT_T0_E_clISt17integral_constantIbLb0EES12_IbLb1EEEEDaSY_SZ_EUlSY_E_NS1_11comp_targetILNS1_3genE3ELNS1_11target_archE908ELNS1_3gpuE7ELNS1_3repE0EEENS1_30default_config_static_selectorELNS0_4arch9wavefront6targetE1EEEvT1_,comdat
	.protected	_ZN7rocprim17ROCPRIM_400000_NS6detail17trampoline_kernelINS0_14default_configENS1_29reduce_by_key_config_selectorIdlN6thrust23THRUST_200600_302600_NS4plusIlEEEEZZNS1_33reduce_by_key_impl_wrapped_configILNS1_25lookback_scan_determinismE0ES3_S9_PdNS6_17constant_iteratorIiNS6_11use_defaultESE_EENS6_10device_ptrIdEENSG_IlEEPmS8_NS6_8equal_toIdEEEE10hipError_tPvRmT2_T3_mT4_T5_T6_T7_T8_P12ihipStream_tbENKUlT_T0_E_clISt17integral_constantIbLb0EES12_IbLb1EEEEDaSY_SZ_EUlSY_E_NS1_11comp_targetILNS1_3genE3ELNS1_11target_archE908ELNS1_3gpuE7ELNS1_3repE0EEENS1_30default_config_static_selectorELNS0_4arch9wavefront6targetE1EEEvT1_ ; -- Begin function _ZN7rocprim17ROCPRIM_400000_NS6detail17trampoline_kernelINS0_14default_configENS1_29reduce_by_key_config_selectorIdlN6thrust23THRUST_200600_302600_NS4plusIlEEEEZZNS1_33reduce_by_key_impl_wrapped_configILNS1_25lookback_scan_determinismE0ES3_S9_PdNS6_17constant_iteratorIiNS6_11use_defaultESE_EENS6_10device_ptrIdEENSG_IlEEPmS8_NS6_8equal_toIdEEEE10hipError_tPvRmT2_T3_mT4_T5_T6_T7_T8_P12ihipStream_tbENKUlT_T0_E_clISt17integral_constantIbLb0EES12_IbLb1EEEEDaSY_SZ_EUlSY_E_NS1_11comp_targetILNS1_3genE3ELNS1_11target_archE908ELNS1_3gpuE7ELNS1_3repE0EEENS1_30default_config_static_selectorELNS0_4arch9wavefront6targetE1EEEvT1_
	.globl	_ZN7rocprim17ROCPRIM_400000_NS6detail17trampoline_kernelINS0_14default_configENS1_29reduce_by_key_config_selectorIdlN6thrust23THRUST_200600_302600_NS4plusIlEEEEZZNS1_33reduce_by_key_impl_wrapped_configILNS1_25lookback_scan_determinismE0ES3_S9_PdNS6_17constant_iteratorIiNS6_11use_defaultESE_EENS6_10device_ptrIdEENSG_IlEEPmS8_NS6_8equal_toIdEEEE10hipError_tPvRmT2_T3_mT4_T5_T6_T7_T8_P12ihipStream_tbENKUlT_T0_E_clISt17integral_constantIbLb0EES12_IbLb1EEEEDaSY_SZ_EUlSY_E_NS1_11comp_targetILNS1_3genE3ELNS1_11target_archE908ELNS1_3gpuE7ELNS1_3repE0EEENS1_30default_config_static_selectorELNS0_4arch9wavefront6targetE1EEEvT1_
	.p2align	8
	.type	_ZN7rocprim17ROCPRIM_400000_NS6detail17trampoline_kernelINS0_14default_configENS1_29reduce_by_key_config_selectorIdlN6thrust23THRUST_200600_302600_NS4plusIlEEEEZZNS1_33reduce_by_key_impl_wrapped_configILNS1_25lookback_scan_determinismE0ES3_S9_PdNS6_17constant_iteratorIiNS6_11use_defaultESE_EENS6_10device_ptrIdEENSG_IlEEPmS8_NS6_8equal_toIdEEEE10hipError_tPvRmT2_T3_mT4_T5_T6_T7_T8_P12ihipStream_tbENKUlT_T0_E_clISt17integral_constantIbLb0EES12_IbLb1EEEEDaSY_SZ_EUlSY_E_NS1_11comp_targetILNS1_3genE3ELNS1_11target_archE908ELNS1_3gpuE7ELNS1_3repE0EEENS1_30default_config_static_selectorELNS0_4arch9wavefront6targetE1EEEvT1_,@function
_ZN7rocprim17ROCPRIM_400000_NS6detail17trampoline_kernelINS0_14default_configENS1_29reduce_by_key_config_selectorIdlN6thrust23THRUST_200600_302600_NS4plusIlEEEEZZNS1_33reduce_by_key_impl_wrapped_configILNS1_25lookback_scan_determinismE0ES3_S9_PdNS6_17constant_iteratorIiNS6_11use_defaultESE_EENS6_10device_ptrIdEENSG_IlEEPmS8_NS6_8equal_toIdEEEE10hipError_tPvRmT2_T3_mT4_T5_T6_T7_T8_P12ihipStream_tbENKUlT_T0_E_clISt17integral_constantIbLb0EES12_IbLb1EEEEDaSY_SZ_EUlSY_E_NS1_11comp_targetILNS1_3genE3ELNS1_11target_archE908ELNS1_3gpuE7ELNS1_3repE0EEENS1_30default_config_static_selectorELNS0_4arch9wavefront6targetE1EEEvT1_: ; @_ZN7rocprim17ROCPRIM_400000_NS6detail17trampoline_kernelINS0_14default_configENS1_29reduce_by_key_config_selectorIdlN6thrust23THRUST_200600_302600_NS4plusIlEEEEZZNS1_33reduce_by_key_impl_wrapped_configILNS1_25lookback_scan_determinismE0ES3_S9_PdNS6_17constant_iteratorIiNS6_11use_defaultESE_EENS6_10device_ptrIdEENSG_IlEEPmS8_NS6_8equal_toIdEEEE10hipError_tPvRmT2_T3_mT4_T5_T6_T7_T8_P12ihipStream_tbENKUlT_T0_E_clISt17integral_constantIbLb0EES12_IbLb1EEEEDaSY_SZ_EUlSY_E_NS1_11comp_targetILNS1_3genE3ELNS1_11target_archE908ELNS1_3gpuE7ELNS1_3repE0EEENS1_30default_config_static_selectorELNS0_4arch9wavefront6targetE1EEEvT1_
; %bb.0:
	.section	.rodata,"a",@progbits
	.p2align	6, 0x0
	.amdhsa_kernel _ZN7rocprim17ROCPRIM_400000_NS6detail17trampoline_kernelINS0_14default_configENS1_29reduce_by_key_config_selectorIdlN6thrust23THRUST_200600_302600_NS4plusIlEEEEZZNS1_33reduce_by_key_impl_wrapped_configILNS1_25lookback_scan_determinismE0ES3_S9_PdNS6_17constant_iteratorIiNS6_11use_defaultESE_EENS6_10device_ptrIdEENSG_IlEEPmS8_NS6_8equal_toIdEEEE10hipError_tPvRmT2_T3_mT4_T5_T6_T7_T8_P12ihipStream_tbENKUlT_T0_E_clISt17integral_constantIbLb0EES12_IbLb1EEEEDaSY_SZ_EUlSY_E_NS1_11comp_targetILNS1_3genE3ELNS1_11target_archE908ELNS1_3gpuE7ELNS1_3repE0EEENS1_30default_config_static_selectorELNS0_4arch9wavefront6targetE1EEEvT1_
		.amdhsa_group_segment_fixed_size 0
		.amdhsa_private_segment_fixed_size 0
		.amdhsa_kernarg_size 144
		.amdhsa_user_sgpr_count 6
		.amdhsa_user_sgpr_private_segment_buffer 1
		.amdhsa_user_sgpr_dispatch_ptr 0
		.amdhsa_user_sgpr_queue_ptr 0
		.amdhsa_user_sgpr_kernarg_segment_ptr 1
		.amdhsa_user_sgpr_dispatch_id 0
		.amdhsa_user_sgpr_flat_scratch_init 0
		.amdhsa_user_sgpr_private_segment_size 0
		.amdhsa_uses_dynamic_stack 0
		.amdhsa_system_sgpr_private_segment_wavefront_offset 0
		.amdhsa_system_sgpr_workgroup_id_x 1
		.amdhsa_system_sgpr_workgroup_id_y 0
		.amdhsa_system_sgpr_workgroup_id_z 0
		.amdhsa_system_sgpr_workgroup_info 0
		.amdhsa_system_vgpr_workitem_id 0
		.amdhsa_next_free_vgpr 1
		.amdhsa_next_free_sgpr 0
		.amdhsa_reserve_vcc 0
		.amdhsa_reserve_flat_scratch 0
		.amdhsa_float_round_mode_32 0
		.amdhsa_float_round_mode_16_64 0
		.amdhsa_float_denorm_mode_32 3
		.amdhsa_float_denorm_mode_16_64 3
		.amdhsa_dx10_clamp 1
		.amdhsa_ieee_mode 1
		.amdhsa_fp16_overflow 0
		.amdhsa_exception_fp_ieee_invalid_op 0
		.amdhsa_exception_fp_denorm_src 0
		.amdhsa_exception_fp_ieee_div_zero 0
		.amdhsa_exception_fp_ieee_overflow 0
		.amdhsa_exception_fp_ieee_underflow 0
		.amdhsa_exception_fp_ieee_inexact 0
		.amdhsa_exception_int_div_zero 0
	.end_amdhsa_kernel
	.section	.text._ZN7rocprim17ROCPRIM_400000_NS6detail17trampoline_kernelINS0_14default_configENS1_29reduce_by_key_config_selectorIdlN6thrust23THRUST_200600_302600_NS4plusIlEEEEZZNS1_33reduce_by_key_impl_wrapped_configILNS1_25lookback_scan_determinismE0ES3_S9_PdNS6_17constant_iteratorIiNS6_11use_defaultESE_EENS6_10device_ptrIdEENSG_IlEEPmS8_NS6_8equal_toIdEEEE10hipError_tPvRmT2_T3_mT4_T5_T6_T7_T8_P12ihipStream_tbENKUlT_T0_E_clISt17integral_constantIbLb0EES12_IbLb1EEEEDaSY_SZ_EUlSY_E_NS1_11comp_targetILNS1_3genE3ELNS1_11target_archE908ELNS1_3gpuE7ELNS1_3repE0EEENS1_30default_config_static_selectorELNS0_4arch9wavefront6targetE1EEEvT1_,"axG",@progbits,_ZN7rocprim17ROCPRIM_400000_NS6detail17trampoline_kernelINS0_14default_configENS1_29reduce_by_key_config_selectorIdlN6thrust23THRUST_200600_302600_NS4plusIlEEEEZZNS1_33reduce_by_key_impl_wrapped_configILNS1_25lookback_scan_determinismE0ES3_S9_PdNS6_17constant_iteratorIiNS6_11use_defaultESE_EENS6_10device_ptrIdEENSG_IlEEPmS8_NS6_8equal_toIdEEEE10hipError_tPvRmT2_T3_mT4_T5_T6_T7_T8_P12ihipStream_tbENKUlT_T0_E_clISt17integral_constantIbLb0EES12_IbLb1EEEEDaSY_SZ_EUlSY_E_NS1_11comp_targetILNS1_3genE3ELNS1_11target_archE908ELNS1_3gpuE7ELNS1_3repE0EEENS1_30default_config_static_selectorELNS0_4arch9wavefront6targetE1EEEvT1_,comdat
.Lfunc_end1718:
	.size	_ZN7rocprim17ROCPRIM_400000_NS6detail17trampoline_kernelINS0_14default_configENS1_29reduce_by_key_config_selectorIdlN6thrust23THRUST_200600_302600_NS4plusIlEEEEZZNS1_33reduce_by_key_impl_wrapped_configILNS1_25lookback_scan_determinismE0ES3_S9_PdNS6_17constant_iteratorIiNS6_11use_defaultESE_EENS6_10device_ptrIdEENSG_IlEEPmS8_NS6_8equal_toIdEEEE10hipError_tPvRmT2_T3_mT4_T5_T6_T7_T8_P12ihipStream_tbENKUlT_T0_E_clISt17integral_constantIbLb0EES12_IbLb1EEEEDaSY_SZ_EUlSY_E_NS1_11comp_targetILNS1_3genE3ELNS1_11target_archE908ELNS1_3gpuE7ELNS1_3repE0EEENS1_30default_config_static_selectorELNS0_4arch9wavefront6targetE1EEEvT1_, .Lfunc_end1718-_ZN7rocprim17ROCPRIM_400000_NS6detail17trampoline_kernelINS0_14default_configENS1_29reduce_by_key_config_selectorIdlN6thrust23THRUST_200600_302600_NS4plusIlEEEEZZNS1_33reduce_by_key_impl_wrapped_configILNS1_25lookback_scan_determinismE0ES3_S9_PdNS6_17constant_iteratorIiNS6_11use_defaultESE_EENS6_10device_ptrIdEENSG_IlEEPmS8_NS6_8equal_toIdEEEE10hipError_tPvRmT2_T3_mT4_T5_T6_T7_T8_P12ihipStream_tbENKUlT_T0_E_clISt17integral_constantIbLb0EES12_IbLb1EEEEDaSY_SZ_EUlSY_E_NS1_11comp_targetILNS1_3genE3ELNS1_11target_archE908ELNS1_3gpuE7ELNS1_3repE0EEENS1_30default_config_static_selectorELNS0_4arch9wavefront6targetE1EEEvT1_
                                        ; -- End function
	.set _ZN7rocprim17ROCPRIM_400000_NS6detail17trampoline_kernelINS0_14default_configENS1_29reduce_by_key_config_selectorIdlN6thrust23THRUST_200600_302600_NS4plusIlEEEEZZNS1_33reduce_by_key_impl_wrapped_configILNS1_25lookback_scan_determinismE0ES3_S9_PdNS6_17constant_iteratorIiNS6_11use_defaultESE_EENS6_10device_ptrIdEENSG_IlEEPmS8_NS6_8equal_toIdEEEE10hipError_tPvRmT2_T3_mT4_T5_T6_T7_T8_P12ihipStream_tbENKUlT_T0_E_clISt17integral_constantIbLb0EES12_IbLb1EEEEDaSY_SZ_EUlSY_E_NS1_11comp_targetILNS1_3genE3ELNS1_11target_archE908ELNS1_3gpuE7ELNS1_3repE0EEENS1_30default_config_static_selectorELNS0_4arch9wavefront6targetE1EEEvT1_.num_vgpr, 0
	.set _ZN7rocprim17ROCPRIM_400000_NS6detail17trampoline_kernelINS0_14default_configENS1_29reduce_by_key_config_selectorIdlN6thrust23THRUST_200600_302600_NS4plusIlEEEEZZNS1_33reduce_by_key_impl_wrapped_configILNS1_25lookback_scan_determinismE0ES3_S9_PdNS6_17constant_iteratorIiNS6_11use_defaultESE_EENS6_10device_ptrIdEENSG_IlEEPmS8_NS6_8equal_toIdEEEE10hipError_tPvRmT2_T3_mT4_T5_T6_T7_T8_P12ihipStream_tbENKUlT_T0_E_clISt17integral_constantIbLb0EES12_IbLb1EEEEDaSY_SZ_EUlSY_E_NS1_11comp_targetILNS1_3genE3ELNS1_11target_archE908ELNS1_3gpuE7ELNS1_3repE0EEENS1_30default_config_static_selectorELNS0_4arch9wavefront6targetE1EEEvT1_.num_agpr, 0
	.set _ZN7rocprim17ROCPRIM_400000_NS6detail17trampoline_kernelINS0_14default_configENS1_29reduce_by_key_config_selectorIdlN6thrust23THRUST_200600_302600_NS4plusIlEEEEZZNS1_33reduce_by_key_impl_wrapped_configILNS1_25lookback_scan_determinismE0ES3_S9_PdNS6_17constant_iteratorIiNS6_11use_defaultESE_EENS6_10device_ptrIdEENSG_IlEEPmS8_NS6_8equal_toIdEEEE10hipError_tPvRmT2_T3_mT4_T5_T6_T7_T8_P12ihipStream_tbENKUlT_T0_E_clISt17integral_constantIbLb0EES12_IbLb1EEEEDaSY_SZ_EUlSY_E_NS1_11comp_targetILNS1_3genE3ELNS1_11target_archE908ELNS1_3gpuE7ELNS1_3repE0EEENS1_30default_config_static_selectorELNS0_4arch9wavefront6targetE1EEEvT1_.numbered_sgpr, 0
	.set _ZN7rocprim17ROCPRIM_400000_NS6detail17trampoline_kernelINS0_14default_configENS1_29reduce_by_key_config_selectorIdlN6thrust23THRUST_200600_302600_NS4plusIlEEEEZZNS1_33reduce_by_key_impl_wrapped_configILNS1_25lookback_scan_determinismE0ES3_S9_PdNS6_17constant_iteratorIiNS6_11use_defaultESE_EENS6_10device_ptrIdEENSG_IlEEPmS8_NS6_8equal_toIdEEEE10hipError_tPvRmT2_T3_mT4_T5_T6_T7_T8_P12ihipStream_tbENKUlT_T0_E_clISt17integral_constantIbLb0EES12_IbLb1EEEEDaSY_SZ_EUlSY_E_NS1_11comp_targetILNS1_3genE3ELNS1_11target_archE908ELNS1_3gpuE7ELNS1_3repE0EEENS1_30default_config_static_selectorELNS0_4arch9wavefront6targetE1EEEvT1_.num_named_barrier, 0
	.set _ZN7rocprim17ROCPRIM_400000_NS6detail17trampoline_kernelINS0_14default_configENS1_29reduce_by_key_config_selectorIdlN6thrust23THRUST_200600_302600_NS4plusIlEEEEZZNS1_33reduce_by_key_impl_wrapped_configILNS1_25lookback_scan_determinismE0ES3_S9_PdNS6_17constant_iteratorIiNS6_11use_defaultESE_EENS6_10device_ptrIdEENSG_IlEEPmS8_NS6_8equal_toIdEEEE10hipError_tPvRmT2_T3_mT4_T5_T6_T7_T8_P12ihipStream_tbENKUlT_T0_E_clISt17integral_constantIbLb0EES12_IbLb1EEEEDaSY_SZ_EUlSY_E_NS1_11comp_targetILNS1_3genE3ELNS1_11target_archE908ELNS1_3gpuE7ELNS1_3repE0EEENS1_30default_config_static_selectorELNS0_4arch9wavefront6targetE1EEEvT1_.private_seg_size, 0
	.set _ZN7rocprim17ROCPRIM_400000_NS6detail17trampoline_kernelINS0_14default_configENS1_29reduce_by_key_config_selectorIdlN6thrust23THRUST_200600_302600_NS4plusIlEEEEZZNS1_33reduce_by_key_impl_wrapped_configILNS1_25lookback_scan_determinismE0ES3_S9_PdNS6_17constant_iteratorIiNS6_11use_defaultESE_EENS6_10device_ptrIdEENSG_IlEEPmS8_NS6_8equal_toIdEEEE10hipError_tPvRmT2_T3_mT4_T5_T6_T7_T8_P12ihipStream_tbENKUlT_T0_E_clISt17integral_constantIbLb0EES12_IbLb1EEEEDaSY_SZ_EUlSY_E_NS1_11comp_targetILNS1_3genE3ELNS1_11target_archE908ELNS1_3gpuE7ELNS1_3repE0EEENS1_30default_config_static_selectorELNS0_4arch9wavefront6targetE1EEEvT1_.uses_vcc, 0
	.set _ZN7rocprim17ROCPRIM_400000_NS6detail17trampoline_kernelINS0_14default_configENS1_29reduce_by_key_config_selectorIdlN6thrust23THRUST_200600_302600_NS4plusIlEEEEZZNS1_33reduce_by_key_impl_wrapped_configILNS1_25lookback_scan_determinismE0ES3_S9_PdNS6_17constant_iteratorIiNS6_11use_defaultESE_EENS6_10device_ptrIdEENSG_IlEEPmS8_NS6_8equal_toIdEEEE10hipError_tPvRmT2_T3_mT4_T5_T6_T7_T8_P12ihipStream_tbENKUlT_T0_E_clISt17integral_constantIbLb0EES12_IbLb1EEEEDaSY_SZ_EUlSY_E_NS1_11comp_targetILNS1_3genE3ELNS1_11target_archE908ELNS1_3gpuE7ELNS1_3repE0EEENS1_30default_config_static_selectorELNS0_4arch9wavefront6targetE1EEEvT1_.uses_flat_scratch, 0
	.set _ZN7rocprim17ROCPRIM_400000_NS6detail17trampoline_kernelINS0_14default_configENS1_29reduce_by_key_config_selectorIdlN6thrust23THRUST_200600_302600_NS4plusIlEEEEZZNS1_33reduce_by_key_impl_wrapped_configILNS1_25lookback_scan_determinismE0ES3_S9_PdNS6_17constant_iteratorIiNS6_11use_defaultESE_EENS6_10device_ptrIdEENSG_IlEEPmS8_NS6_8equal_toIdEEEE10hipError_tPvRmT2_T3_mT4_T5_T6_T7_T8_P12ihipStream_tbENKUlT_T0_E_clISt17integral_constantIbLb0EES12_IbLb1EEEEDaSY_SZ_EUlSY_E_NS1_11comp_targetILNS1_3genE3ELNS1_11target_archE908ELNS1_3gpuE7ELNS1_3repE0EEENS1_30default_config_static_selectorELNS0_4arch9wavefront6targetE1EEEvT1_.has_dyn_sized_stack, 0
	.set _ZN7rocprim17ROCPRIM_400000_NS6detail17trampoline_kernelINS0_14default_configENS1_29reduce_by_key_config_selectorIdlN6thrust23THRUST_200600_302600_NS4plusIlEEEEZZNS1_33reduce_by_key_impl_wrapped_configILNS1_25lookback_scan_determinismE0ES3_S9_PdNS6_17constant_iteratorIiNS6_11use_defaultESE_EENS6_10device_ptrIdEENSG_IlEEPmS8_NS6_8equal_toIdEEEE10hipError_tPvRmT2_T3_mT4_T5_T6_T7_T8_P12ihipStream_tbENKUlT_T0_E_clISt17integral_constantIbLb0EES12_IbLb1EEEEDaSY_SZ_EUlSY_E_NS1_11comp_targetILNS1_3genE3ELNS1_11target_archE908ELNS1_3gpuE7ELNS1_3repE0EEENS1_30default_config_static_selectorELNS0_4arch9wavefront6targetE1EEEvT1_.has_recursion, 0
	.set _ZN7rocprim17ROCPRIM_400000_NS6detail17trampoline_kernelINS0_14default_configENS1_29reduce_by_key_config_selectorIdlN6thrust23THRUST_200600_302600_NS4plusIlEEEEZZNS1_33reduce_by_key_impl_wrapped_configILNS1_25lookback_scan_determinismE0ES3_S9_PdNS6_17constant_iteratorIiNS6_11use_defaultESE_EENS6_10device_ptrIdEENSG_IlEEPmS8_NS6_8equal_toIdEEEE10hipError_tPvRmT2_T3_mT4_T5_T6_T7_T8_P12ihipStream_tbENKUlT_T0_E_clISt17integral_constantIbLb0EES12_IbLb1EEEEDaSY_SZ_EUlSY_E_NS1_11comp_targetILNS1_3genE3ELNS1_11target_archE908ELNS1_3gpuE7ELNS1_3repE0EEENS1_30default_config_static_selectorELNS0_4arch9wavefront6targetE1EEEvT1_.has_indirect_call, 0
	.section	.AMDGPU.csdata,"",@progbits
; Kernel info:
; codeLenInByte = 0
; TotalNumSgprs: 4
; NumVgprs: 0
; ScratchSize: 0
; MemoryBound: 0
; FloatMode: 240
; IeeeMode: 1
; LDSByteSize: 0 bytes/workgroup (compile time only)
; SGPRBlocks: 0
; VGPRBlocks: 0
; NumSGPRsForWavesPerEU: 4
; NumVGPRsForWavesPerEU: 1
; Occupancy: 10
; WaveLimiterHint : 0
; COMPUTE_PGM_RSRC2:SCRATCH_EN: 0
; COMPUTE_PGM_RSRC2:USER_SGPR: 6
; COMPUTE_PGM_RSRC2:TRAP_HANDLER: 0
; COMPUTE_PGM_RSRC2:TGID_X_EN: 1
; COMPUTE_PGM_RSRC2:TGID_Y_EN: 0
; COMPUTE_PGM_RSRC2:TGID_Z_EN: 0
; COMPUTE_PGM_RSRC2:TIDIG_COMP_CNT: 0
	.section	.text._ZN7rocprim17ROCPRIM_400000_NS6detail17trampoline_kernelINS0_14default_configENS1_29reduce_by_key_config_selectorIdlN6thrust23THRUST_200600_302600_NS4plusIlEEEEZZNS1_33reduce_by_key_impl_wrapped_configILNS1_25lookback_scan_determinismE0ES3_S9_PdNS6_17constant_iteratorIiNS6_11use_defaultESE_EENS6_10device_ptrIdEENSG_IlEEPmS8_NS6_8equal_toIdEEEE10hipError_tPvRmT2_T3_mT4_T5_T6_T7_T8_P12ihipStream_tbENKUlT_T0_E_clISt17integral_constantIbLb0EES12_IbLb1EEEEDaSY_SZ_EUlSY_E_NS1_11comp_targetILNS1_3genE2ELNS1_11target_archE906ELNS1_3gpuE6ELNS1_3repE0EEENS1_30default_config_static_selectorELNS0_4arch9wavefront6targetE1EEEvT1_,"axG",@progbits,_ZN7rocprim17ROCPRIM_400000_NS6detail17trampoline_kernelINS0_14default_configENS1_29reduce_by_key_config_selectorIdlN6thrust23THRUST_200600_302600_NS4plusIlEEEEZZNS1_33reduce_by_key_impl_wrapped_configILNS1_25lookback_scan_determinismE0ES3_S9_PdNS6_17constant_iteratorIiNS6_11use_defaultESE_EENS6_10device_ptrIdEENSG_IlEEPmS8_NS6_8equal_toIdEEEE10hipError_tPvRmT2_T3_mT4_T5_T6_T7_T8_P12ihipStream_tbENKUlT_T0_E_clISt17integral_constantIbLb0EES12_IbLb1EEEEDaSY_SZ_EUlSY_E_NS1_11comp_targetILNS1_3genE2ELNS1_11target_archE906ELNS1_3gpuE6ELNS1_3repE0EEENS1_30default_config_static_selectorELNS0_4arch9wavefront6targetE1EEEvT1_,comdat
	.protected	_ZN7rocprim17ROCPRIM_400000_NS6detail17trampoline_kernelINS0_14default_configENS1_29reduce_by_key_config_selectorIdlN6thrust23THRUST_200600_302600_NS4plusIlEEEEZZNS1_33reduce_by_key_impl_wrapped_configILNS1_25lookback_scan_determinismE0ES3_S9_PdNS6_17constant_iteratorIiNS6_11use_defaultESE_EENS6_10device_ptrIdEENSG_IlEEPmS8_NS6_8equal_toIdEEEE10hipError_tPvRmT2_T3_mT4_T5_T6_T7_T8_P12ihipStream_tbENKUlT_T0_E_clISt17integral_constantIbLb0EES12_IbLb1EEEEDaSY_SZ_EUlSY_E_NS1_11comp_targetILNS1_3genE2ELNS1_11target_archE906ELNS1_3gpuE6ELNS1_3repE0EEENS1_30default_config_static_selectorELNS0_4arch9wavefront6targetE1EEEvT1_ ; -- Begin function _ZN7rocprim17ROCPRIM_400000_NS6detail17trampoline_kernelINS0_14default_configENS1_29reduce_by_key_config_selectorIdlN6thrust23THRUST_200600_302600_NS4plusIlEEEEZZNS1_33reduce_by_key_impl_wrapped_configILNS1_25lookback_scan_determinismE0ES3_S9_PdNS6_17constant_iteratorIiNS6_11use_defaultESE_EENS6_10device_ptrIdEENSG_IlEEPmS8_NS6_8equal_toIdEEEE10hipError_tPvRmT2_T3_mT4_T5_T6_T7_T8_P12ihipStream_tbENKUlT_T0_E_clISt17integral_constantIbLb0EES12_IbLb1EEEEDaSY_SZ_EUlSY_E_NS1_11comp_targetILNS1_3genE2ELNS1_11target_archE906ELNS1_3gpuE6ELNS1_3repE0EEENS1_30default_config_static_selectorELNS0_4arch9wavefront6targetE1EEEvT1_
	.globl	_ZN7rocprim17ROCPRIM_400000_NS6detail17trampoline_kernelINS0_14default_configENS1_29reduce_by_key_config_selectorIdlN6thrust23THRUST_200600_302600_NS4plusIlEEEEZZNS1_33reduce_by_key_impl_wrapped_configILNS1_25lookback_scan_determinismE0ES3_S9_PdNS6_17constant_iteratorIiNS6_11use_defaultESE_EENS6_10device_ptrIdEENSG_IlEEPmS8_NS6_8equal_toIdEEEE10hipError_tPvRmT2_T3_mT4_T5_T6_T7_T8_P12ihipStream_tbENKUlT_T0_E_clISt17integral_constantIbLb0EES12_IbLb1EEEEDaSY_SZ_EUlSY_E_NS1_11comp_targetILNS1_3genE2ELNS1_11target_archE906ELNS1_3gpuE6ELNS1_3repE0EEENS1_30default_config_static_selectorELNS0_4arch9wavefront6targetE1EEEvT1_
	.p2align	8
	.type	_ZN7rocprim17ROCPRIM_400000_NS6detail17trampoline_kernelINS0_14default_configENS1_29reduce_by_key_config_selectorIdlN6thrust23THRUST_200600_302600_NS4plusIlEEEEZZNS1_33reduce_by_key_impl_wrapped_configILNS1_25lookback_scan_determinismE0ES3_S9_PdNS6_17constant_iteratorIiNS6_11use_defaultESE_EENS6_10device_ptrIdEENSG_IlEEPmS8_NS6_8equal_toIdEEEE10hipError_tPvRmT2_T3_mT4_T5_T6_T7_T8_P12ihipStream_tbENKUlT_T0_E_clISt17integral_constantIbLb0EES12_IbLb1EEEEDaSY_SZ_EUlSY_E_NS1_11comp_targetILNS1_3genE2ELNS1_11target_archE906ELNS1_3gpuE6ELNS1_3repE0EEENS1_30default_config_static_selectorELNS0_4arch9wavefront6targetE1EEEvT1_,@function
_ZN7rocprim17ROCPRIM_400000_NS6detail17trampoline_kernelINS0_14default_configENS1_29reduce_by_key_config_selectorIdlN6thrust23THRUST_200600_302600_NS4plusIlEEEEZZNS1_33reduce_by_key_impl_wrapped_configILNS1_25lookback_scan_determinismE0ES3_S9_PdNS6_17constant_iteratorIiNS6_11use_defaultESE_EENS6_10device_ptrIdEENSG_IlEEPmS8_NS6_8equal_toIdEEEE10hipError_tPvRmT2_T3_mT4_T5_T6_T7_T8_P12ihipStream_tbENKUlT_T0_E_clISt17integral_constantIbLb0EES12_IbLb1EEEEDaSY_SZ_EUlSY_E_NS1_11comp_targetILNS1_3genE2ELNS1_11target_archE906ELNS1_3gpuE6ELNS1_3repE0EEENS1_30default_config_static_selectorELNS0_4arch9wavefront6targetE1EEEvT1_: ; @_ZN7rocprim17ROCPRIM_400000_NS6detail17trampoline_kernelINS0_14default_configENS1_29reduce_by_key_config_selectorIdlN6thrust23THRUST_200600_302600_NS4plusIlEEEEZZNS1_33reduce_by_key_impl_wrapped_configILNS1_25lookback_scan_determinismE0ES3_S9_PdNS6_17constant_iteratorIiNS6_11use_defaultESE_EENS6_10device_ptrIdEENSG_IlEEPmS8_NS6_8equal_toIdEEEE10hipError_tPvRmT2_T3_mT4_T5_T6_T7_T8_P12ihipStream_tbENKUlT_T0_E_clISt17integral_constantIbLb0EES12_IbLb1EEEEDaSY_SZ_EUlSY_E_NS1_11comp_targetILNS1_3genE2ELNS1_11target_archE906ELNS1_3gpuE6ELNS1_3repE0EEENS1_30default_config_static_selectorELNS0_4arch9wavefront6targetE1EEEvT1_
; %bb.0:
	s_load_dwordx4 s[56:59], s[4:5], 0x20
	s_load_dwordx2 s[60:61], s[4:5], 0x30
	s_load_dwordx2 s[36:37], s[4:5], 0x80
	s_add_u32 s0, s0, s7
	s_addc_u32 s1, s1, 0
	v_cmp_ne_u32_e64 s[6:7], 0, v0
	v_cmp_eq_u32_e64 s[38:39], 0, v0
	s_and_saveexec_b64 s[8:9], s[38:39]
	s_cbranch_execz .LBB1719_4
; %bb.1:
	s_mov_b64 s[12:13], exec
	v_mbcnt_lo_u32_b32 v1, s12, 0
	v_mbcnt_hi_u32_b32 v1, s13, v1
	v_cmp_eq_u32_e32 vcc, 0, v1
                                        ; implicit-def: $vgpr2
	s_and_saveexec_b64 s[10:11], vcc
	s_cbranch_execz .LBB1719_3
; %bb.2:
	s_load_dwordx2 s[14:15], s[4:5], 0x88
	s_bcnt1_i32_b64 s12, s[12:13]
	v_mov_b32_e32 v2, 0
	v_mov_b32_e32 v3, s12
	s_waitcnt lgkmcnt(0)
	global_atomic_add v2, v2, v3, s[14:15] glc
.LBB1719_3:
	s_or_b64 exec, exec, s[10:11]
	s_waitcnt vmcnt(0)
	v_readfirstlane_b32 s10, v2
	v_add_u32_e32 v1, s10, v1
	v_mov_b32_e32 v2, 0
	ds_write_b32 v2, v1
.LBB1719_4:
	s_or_b64 exec, exec, s[8:9]
	s_load_dwordx4 s[8:11], s[4:5], 0x0
	s_load_dword s12, s[4:5], 0x18
	s_load_dwordx16 s[40:55], s[4:5], 0x40
	v_mov_b32_e32 v2, 0
	s_waitcnt lgkmcnt(0)
	s_barrier
	ds_read_b32 v1, v2
	s_mul_i32 s4, s48, s47
	s_mul_hi_u32 s5, s48, s46
	s_add_i32 s4, s5, s4
	s_mul_i32 s5, s49, s46
	s_add_i32 s13, s4, s5
	s_lshl_b64 s[4:5], s[10:11], 3
	s_add_u32 s4, s8, s4
	s_movk_i32 s8, 0xf00
	s_waitcnt lgkmcnt(0)
	v_readfirstlane_b32 s64, v1
	v_mul_lo_u32 v1, v1, s8
	s_mul_i32 s14, s48, s46
	s_addc_u32 s5, s9, s5
	v_mov_b32_e32 v3, s5
	v_lshlrev_b64 v[1:2], 3, v[1:2]
	s_mov_b64 s[10:11], -1
	v_add_co_u32_e32 v59, vcc, s4, v1
	s_add_u32 s4, s14, s64
	s_addc_u32 s5, s13, 0
	s_add_u32 s14, s50, -1
	s_addc_u32 s15, s51, -1
	s_cmp_eq_u64 s[4:5], s[14:15]
	v_addc_co_u32_e32 v60, vcc, v3, v2, vcc
	s_cselect_b64 s[48:49], -1, 0
	s_cmp_lg_u64 s[4:5], s[14:15]
	s_cselect_b64 s[8:9], -1, 0
	s_mul_i32 s33, s14, 0xfffff100
	s_and_b64 vcc, exec, s[48:49]
	s_barrier
	s_cbranch_vccnz .LBB1719_6
; %bb.5:
	v_lshlrev_b32_e32 v35, 3, v0
	v_add_co_u32_e32 v29, vcc, v59, v35
	v_addc_co_u32_e32 v30, vcc, 0, v60, vcc
	v_add_co_u32_e32 v1, vcc, 0x1000, v29
	v_readfirstlane_b32 s10, v59
	v_readfirstlane_b32 s11, v60
	v_addc_co_u32_e32 v2, vcc, 0, v30, vcc
	s_nop 3
	global_load_dwordx2 v[3:4], v35, s[10:11]
	global_load_dwordx2 v[5:6], v35, s[10:11] offset:2048
	global_load_dwordx2 v[7:8], v[1:2], off
	global_load_dwordx2 v[9:10], v[1:2], off offset:2048
	v_add_co_u32_e32 v1, vcc, 0x2000, v29
	v_addc_co_u32_e32 v2, vcc, 0, v30, vcc
	v_add_co_u32_e32 v11, vcc, 0x3000, v29
	v_addc_co_u32_e32 v12, vcc, 0, v30, vcc
	global_load_dwordx2 v[13:14], v[1:2], off
	global_load_dwordx2 v[15:16], v[1:2], off offset:2048
	global_load_dwordx2 v[17:18], v[11:12], off
	global_load_dwordx2 v[19:20], v[11:12], off offset:2048
	v_add_co_u32_e32 v1, vcc, 0x4000, v29
	v_addc_co_u32_e32 v2, vcc, 0, v30, vcc
	v_add_co_u32_e32 v11, vcc, 0x5000, v29
	v_addc_co_u32_e32 v12, vcc, 0, v30, vcc
	global_load_dwordx2 v[21:22], v[1:2], off
	global_load_dwordx2 v[23:24], v[1:2], off offset:2048
	;; [unrolled: 8-line block ×3, first 2 shown]
	global_load_dwordx2 v[33:34], v[11:12], off
	s_movk_i32 s10, 0x70
	v_mad_u32_u24 v53, v0, s10, v35
	s_ashr_i32 s13, s12, 31
	v_mov_b32_e32 v1, s12
	v_mov_b32_e32 v2, s13
	s_waitcnt vmcnt(13)
	ds_write2st64_b64 v35, v[3:4], v[5:6] offset1:4
	s_waitcnt vmcnt(11)
	ds_write2st64_b64 v35, v[7:8], v[9:10] offset0:8 offset1:12
	s_waitcnt vmcnt(9)
	ds_write2st64_b64 v35, v[13:14], v[15:16] offset0:16 offset1:20
	;; [unrolled: 2-line block ×6, first 2 shown]
	s_waitcnt vmcnt(0)
	ds_write_b64 v35, v[33:34] offset:28672
	s_waitcnt lgkmcnt(0)
	s_barrier
	ds_read2_b64 v[29:32], v53 offset1:1
	ds_read2_b64 v[25:28], v53 offset0:2 offset1:3
	ds_read2_b64 v[21:24], v53 offset0:4 offset1:5
	;; [unrolled: 1-line block ×6, first 2 shown]
	ds_read_b64 v[57:58], v53 offset:112
	s_waitcnt lgkmcnt(0)
	s_barrier
	ds_write2st64_b64 v35, v[1:2], v[1:2] offset1:4
	ds_write2st64_b64 v35, v[1:2], v[1:2] offset0:8 offset1:12
	ds_write2st64_b64 v35, v[1:2], v[1:2] offset0:16 offset1:20
	;; [unrolled: 1-line block ×6, first 2 shown]
	ds_write_b64 v35, v[1:2] offset:28672
	s_waitcnt lgkmcnt(0)
	s_barrier
	s_add_i32 s33, s33, s52
	s_cbranch_execz .LBB1719_7
	s_branch .LBB1719_38
.LBB1719_6:
                                        ; implicit-def: $vgpr29_vgpr30
                                        ; implicit-def: $vgpr25_vgpr26
                                        ; implicit-def: $vgpr21_vgpr22
                                        ; implicit-def: $vgpr17_vgpr18
                                        ; implicit-def: $vgpr13_vgpr14
                                        ; implicit-def: $vgpr9_vgpr10
                                        ; implicit-def: $vgpr5_vgpr6
                                        ; implicit-def: $vgpr57_vgpr58
                                        ; implicit-def: $vgpr53
	s_andn2_b64 vcc, exec, s[10:11]
	s_add_i32 s33, s33, s52
	s_cbranch_vccnz .LBB1719_38
.LBB1719_7:
	v_cmp_gt_u32_e32 vcc, s33, v0
                                        ; implicit-def: $vgpr1_vgpr2
	s_and_saveexec_b64 s[10:11], vcc
	s_cbranch_execz .LBB1719_9
; %bb.8:
	v_lshlrev_b32_e32 v1, 3, v0
	v_readfirstlane_b32 s14, v59
	v_readfirstlane_b32 s15, v60
	s_nop 4
	global_load_dwordx2 v[1:2], v1, s[14:15]
.LBB1719_9:
	s_or_b64 exec, exec, s[10:11]
	v_or_b32_e32 v3, 0x100, v0
	v_cmp_gt_u32_e32 vcc, s33, v3
                                        ; implicit-def: $vgpr3_vgpr4
	s_and_saveexec_b64 s[10:11], vcc
	s_cbranch_execz .LBB1719_11
; %bb.10:
	v_lshlrev_b32_e32 v3, 3, v0
	v_readfirstlane_b32 s14, v59
	v_readfirstlane_b32 s15, v60
	s_nop 4
	global_load_dwordx2 v[3:4], v3, s[14:15] offset:2048
.LBB1719_11:
	s_or_b64 exec, exec, s[10:11]
	v_or_b32_e32 v7, 0x200, v0
	v_cmp_gt_u32_e32 vcc, s33, v7
                                        ; implicit-def: $vgpr5_vgpr6
	s_and_saveexec_b64 s[10:11], vcc
	s_cbranch_execz .LBB1719_13
; %bb.12:
	v_lshlrev_b32_e32 v5, 3, v7
	v_readfirstlane_b32 s14, v59
	v_readfirstlane_b32 s15, v60
	s_nop 4
	global_load_dwordx2 v[5:6], v5, s[14:15]
.LBB1719_13:
	s_or_b64 exec, exec, s[10:11]
	v_or_b32_e32 v9, 0x300, v0
	v_cmp_gt_u32_e32 vcc, s33, v9
                                        ; implicit-def: $vgpr7_vgpr8
	s_and_saveexec_b64 s[10:11], vcc
	s_cbranch_execz .LBB1719_15
; %bb.14:
	v_lshlrev_b32_e32 v7, 3, v9
	v_readfirstlane_b32 s14, v59
	v_readfirstlane_b32 s15, v60
	s_nop 4
	global_load_dwordx2 v[7:8], v7, s[14:15]
.LBB1719_15:
	s_or_b64 exec, exec, s[10:11]
	v_or_b32_e32 v11, 0x400, v0
	v_cmp_gt_u32_e32 vcc, s33, v11
                                        ; implicit-def: $vgpr9_vgpr10
	s_and_saveexec_b64 s[10:11], vcc
	s_cbranch_execz .LBB1719_17
; %bb.16:
	v_lshlrev_b32_e32 v9, 3, v11
	v_readfirstlane_b32 s14, v59
	v_readfirstlane_b32 s15, v60
	s_nop 4
	global_load_dwordx2 v[9:10], v9, s[14:15]
.LBB1719_17:
	s_or_b64 exec, exec, s[10:11]
	v_or_b32_e32 v13, 0x500, v0
	v_cmp_gt_u32_e32 vcc, s33, v13
                                        ; implicit-def: $vgpr11_vgpr12
	s_and_saveexec_b64 s[10:11], vcc
	s_cbranch_execz .LBB1719_19
; %bb.18:
	v_lshlrev_b32_e32 v11, 3, v13
	v_readfirstlane_b32 s14, v59
	v_readfirstlane_b32 s15, v60
	s_nop 4
	global_load_dwordx2 v[11:12], v11, s[14:15]
.LBB1719_19:
	s_or_b64 exec, exec, s[10:11]
	v_or_b32_e32 v15, 0x600, v0
	v_cmp_gt_u32_e32 vcc, s33, v15
                                        ; implicit-def: $vgpr13_vgpr14
	s_and_saveexec_b64 s[10:11], vcc
	s_cbranch_execz .LBB1719_21
; %bb.20:
	v_lshlrev_b32_e32 v13, 3, v15
	v_readfirstlane_b32 s14, v59
	v_readfirstlane_b32 s15, v60
	s_nop 4
	global_load_dwordx2 v[13:14], v13, s[14:15]
.LBB1719_21:
	s_or_b64 exec, exec, s[10:11]
	v_or_b32_e32 v17, 0x700, v0
	v_cmp_gt_u32_e32 vcc, s33, v17
                                        ; implicit-def: $vgpr15_vgpr16
	s_and_saveexec_b64 s[10:11], vcc
	s_cbranch_execz .LBB1719_23
; %bb.22:
	v_lshlrev_b32_e32 v15, 3, v17
	v_readfirstlane_b32 s14, v59
	v_readfirstlane_b32 s15, v60
	s_nop 4
	global_load_dwordx2 v[15:16], v15, s[14:15]
.LBB1719_23:
	s_or_b64 exec, exec, s[10:11]
	v_or_b32_e32 v19, 0x800, v0
	v_cmp_gt_u32_e32 vcc, s33, v19
                                        ; implicit-def: $vgpr17_vgpr18
	s_and_saveexec_b64 s[10:11], vcc
	s_cbranch_execz .LBB1719_25
; %bb.24:
	v_lshlrev_b32_e32 v17, 3, v19
	v_readfirstlane_b32 s14, v59
	v_readfirstlane_b32 s15, v60
	s_nop 4
	global_load_dwordx2 v[17:18], v17, s[14:15]
.LBB1719_25:
	s_or_b64 exec, exec, s[10:11]
	v_or_b32_e32 v21, 0x900, v0
	v_cmp_gt_u32_e32 vcc, s33, v21
                                        ; implicit-def: $vgpr19_vgpr20
	s_and_saveexec_b64 s[10:11], vcc
	s_cbranch_execz .LBB1719_27
; %bb.26:
	v_lshlrev_b32_e32 v19, 3, v21
	v_readfirstlane_b32 s14, v59
	v_readfirstlane_b32 s15, v60
	s_nop 4
	global_load_dwordx2 v[19:20], v19, s[14:15]
.LBB1719_27:
	s_or_b64 exec, exec, s[10:11]
	v_or_b32_e32 v23, 0xa00, v0
	v_cmp_gt_u32_e32 vcc, s33, v23
                                        ; implicit-def: $vgpr21_vgpr22
	s_and_saveexec_b64 s[10:11], vcc
	s_cbranch_execz .LBB1719_29
; %bb.28:
	v_lshlrev_b32_e32 v21, 3, v23
	v_readfirstlane_b32 s14, v59
	v_readfirstlane_b32 s15, v60
	s_nop 4
	global_load_dwordx2 v[21:22], v21, s[14:15]
.LBB1719_29:
	s_or_b64 exec, exec, s[10:11]
	v_or_b32_e32 v25, 0xb00, v0
	v_cmp_gt_u32_e32 vcc, s33, v25
                                        ; implicit-def: $vgpr23_vgpr24
	s_and_saveexec_b64 s[10:11], vcc
	s_cbranch_execz .LBB1719_31
; %bb.30:
	v_lshlrev_b32_e32 v23, 3, v25
	v_readfirstlane_b32 s14, v59
	v_readfirstlane_b32 s15, v60
	s_nop 4
	global_load_dwordx2 v[23:24], v23, s[14:15]
.LBB1719_31:
	s_or_b64 exec, exec, s[10:11]
	v_or_b32_e32 v27, 0xc00, v0
	v_cmp_gt_u32_e32 vcc, s33, v27
                                        ; implicit-def: $vgpr25_vgpr26
	s_and_saveexec_b64 s[10:11], vcc
	s_cbranch_execz .LBB1719_33
; %bb.32:
	v_lshlrev_b32_e32 v25, 3, v27
	v_readfirstlane_b32 s14, v59
	v_readfirstlane_b32 s15, v60
	s_nop 4
	global_load_dwordx2 v[25:26], v25, s[14:15]
.LBB1719_33:
	s_or_b64 exec, exec, s[10:11]
	v_or_b32_e32 v29, 0xd00, v0
	v_cmp_gt_u32_e32 vcc, s33, v29
                                        ; implicit-def: $vgpr27_vgpr28
	s_and_saveexec_b64 s[10:11], vcc
	s_cbranch_execz .LBB1719_35
; %bb.34:
	v_lshlrev_b32_e32 v27, 3, v29
	v_readfirstlane_b32 s14, v59
	v_readfirstlane_b32 s15, v60
	s_nop 4
	global_load_dwordx2 v[27:28], v27, s[14:15]
.LBB1719_35:
	s_or_b64 exec, exec, s[10:11]
	v_or_b32_e32 v31, 0xe00, v0
	v_cmp_gt_u32_e32 vcc, s33, v31
                                        ; implicit-def: $vgpr29_vgpr30
	s_and_saveexec_b64 s[10:11], vcc
	s_cbranch_execz .LBB1719_37
; %bb.36:
	v_lshlrev_b32_e32 v29, 3, v31
	v_readfirstlane_b32 s14, v59
	v_readfirstlane_b32 s15, v60
	s_nop 4
	global_load_dwordx2 v[29:30], v29, s[14:15]
.LBB1719_37:
	s_or_b64 exec, exec, s[10:11]
	v_lshlrev_b32_e32 v33, 3, v0
	s_movk_i32 s10, 0x70
	v_mad_u32_u24 v53, v0, s10, v33
	s_waitcnt vmcnt(0)
	ds_write2st64_b64 v33, v[1:2], v[3:4] offset1:4
	ds_write2st64_b64 v33, v[5:6], v[7:8] offset0:8 offset1:12
	ds_write2st64_b64 v33, v[9:10], v[11:12] offset0:16 offset1:20
	;; [unrolled: 1-line block ×6, first 2 shown]
	ds_write_b64 v33, v[29:30] offset:28672
	s_waitcnt lgkmcnt(0)
	s_barrier
	ds_read2_b64 v[29:32], v53 offset1:1
	ds_read2_b64 v[25:28], v53 offset0:2 offset1:3
	ds_read2_b64 v[21:24], v53 offset0:4 offset1:5
	;; [unrolled: 1-line block ×6, first 2 shown]
	ds_read_b64 v[57:58], v53 offset:112
	s_ashr_i32 s13, s12, 31
	v_mov_b32_e32 v1, s12
	v_mov_b32_e32 v2, s13
	s_waitcnt lgkmcnt(0)
	s_barrier
	ds_write2st64_b64 v33, v[1:2], v[1:2] offset1:4
	ds_write2st64_b64 v33, v[1:2], v[1:2] offset0:8 offset1:12
	ds_write2st64_b64 v33, v[1:2], v[1:2] offset0:16 offset1:20
	ds_write2st64_b64 v33, v[1:2], v[1:2] offset0:24 offset1:28
	ds_write2st64_b64 v33, v[1:2], v[1:2] offset0:32 offset1:36
	ds_write2st64_b64 v33, v[1:2], v[1:2] offset0:40 offset1:44
	ds_write2st64_b64 v33, v[1:2], v[1:2] offset0:48 offset1:52
	ds_write_b64 v33, v[1:2] offset:28672
	s_waitcnt lgkmcnt(0)
	s_barrier
.LBB1719_38:
	ds_read_b64 v[63:64], v53 offset:112
	ds_read2_b64 v[1:4], v53 offset0:12 offset1:13
	ds_read2_b64 v[33:36], v53 offset0:10 offset1:11
	;; [unrolled: 1-line block ×6, first 2 shown]
	ds_read2_b64 v[53:56], v53 offset1:1
	s_cmp_eq_u64 s[4:5], 0
	s_cselect_b64 s[50:51], -1, 0
	s_cmp_lg_u64 s[4:5], 0
	s_mov_b64 s[62:63], 0
	s_cselect_b64 s[10:11], -1, 0
	s_and_b64 vcc, exec, s[8:9]
	s_waitcnt lgkmcnt(0)
	s_barrier
	s_cbranch_vccz .LBB1719_43
; %bb.39:
	s_and_b64 vcc, exec, s[10:11]
	s_cbranch_vccz .LBB1719_44
; %bb.40:
	v_cmp_neq_f64_e32 vcc, v[7:8], v[57:58]
	global_load_dwordx2 v[61:62], v[59:60], off offset:-8
	v_lshlrev_b32_e32 v65, 3, v0
	ds_write_b64 v65, v[57:58]
	v_cndmask_b32_e64 v66, 0, 1, vcc
	v_cmp_neq_f64_e32 vcc, v[5:6], v[7:8]
	buffer_store_dword v66, off, s[0:3], 0 offset:56
	v_cndmask_b32_e64 v66, 0, 1, vcc
	v_cmp_neq_f64_e32 vcc, v[11:12], v[5:6]
	buffer_store_dword v66, off, s[0:3], 0 offset:52
	;; [unrolled: 3-line block ×13, first 2 shown]
	v_cndmask_b32_e64 v66, 0, 1, vcc
	buffer_store_dword v66, off, s[0:3], 0 offset:4
	s_waitcnt vmcnt(0) lgkmcnt(0)
	s_barrier
	s_and_saveexec_b64 s[8:9], s[6:7]
; %bb.41:
	v_add_u32_e32 v61, -8, v65
	ds_read_b64 v[61:62], v61
; %bb.42:
	s_or_b64 exec, exec, s[8:9]
	s_waitcnt lgkmcnt(0)
	v_cmp_neq_f64_e64 s[8:9], v[61:62], v[29:30]
	s_mov_b64 s[62:63], -1
	s_branch .LBB1719_48
.LBB1719_43:
                                        ; implicit-def: $sgpr8_sgpr9
	s_cbranch_execnz .LBB1719_49
	s_branch .LBB1719_57
.LBB1719_44:
                                        ; implicit-def: $sgpr8_sgpr9
	s_cbranch_execz .LBB1719_48
; %bb.45:
	v_cmp_neq_f64_e32 vcc, v[7:8], v[57:58]
	v_lshlrev_b32_e32 v61, 3, v0
	ds_write_b64 v61, v[57:58]
                                        ; implicit-def: $sgpr8_sgpr9
	v_cndmask_b32_e64 v62, 0, 1, vcc
	v_cmp_neq_f64_e32 vcc, v[5:6], v[7:8]
	buffer_store_dword v62, off, s[0:3], 0 offset:56
	v_cndmask_b32_e64 v62, 0, 1, vcc
	v_cmp_neq_f64_e32 vcc, v[11:12], v[5:6]
	buffer_store_dword v62, off, s[0:3], 0 offset:52
	;; [unrolled: 3-line block ×13, first 2 shown]
	v_cndmask_b32_e64 v62, 0, 1, vcc
	buffer_store_dword v62, off, s[0:3], 0 offset:4
	v_mov_b32_e32 v62, 1
	s_waitcnt vmcnt(0) lgkmcnt(0)
	s_barrier
	buffer_store_dword v62, off, s[0:3], 0
	s_and_saveexec_b64 s[12:13], s[6:7]
	s_xor_b64 s[12:13], exec, s[12:13]
	s_cbranch_execz .LBB1719_47
; %bb.46:
	v_add_u32_e32 v61, -8, v61
	ds_read_b64 v[61:62], v61
	s_or_b64 s[62:63], s[62:63], exec
	s_waitcnt lgkmcnt(0)
	v_cmp_neq_f64_e64 s[8:9], v[61:62], v[29:30]
.LBB1719_47:
	s_or_b64 exec, exec, s[12:13]
.LBB1719_48:
	s_branch .LBB1719_57
.LBB1719_49:
	s_mul_hi_u32 s8, s4, 0xfffff100
	s_mulk_i32 s5, 0xf100
	s_sub_i32 s8, s8, s4
	s_add_i32 s8, s8, s5
	s_mulk_i32 s4, 0xf100
	s_add_u32 s52, s4, s52
	s_addc_u32 s53, s8, s53
	s_and_b64 vcc, exec, s[10:11]
	v_cmp_neq_f64_e64 s[4:5], v[7:8], v[57:58]
	v_cmp_neq_f64_e64 s[34:35], v[5:6], v[7:8]
	;; [unrolled: 1-line block ×14, first 2 shown]
	v_mad_u32_u24 v61, v0, 15, 14
	v_mad_u32_u24 v89, v0, 15, 13
	;; [unrolled: 1-line block ×14, first 2 shown]
	s_cbranch_vccz .LBB1719_53
; %bb.50:
	global_load_dwordx2 v[59:60], v[59:60], off offset:-8
	v_mov_b32_e32 v62, 0
	v_cmp_gt_u64_e32 vcc, s[52:53], v[61:62]
	v_mov_b32_e32 v90, v62
	s_and_b64 s[4:5], vcc, s[4:5]
	v_cmp_gt_u64_e32 vcc, s[52:53], v[89:90]
	v_mov_b32_e32 v88, v62
	v_cndmask_b32_e64 v66, 0, 1, s[4:5]
	s_and_b64 s[4:5], vcc, s[34:35]
	v_cmp_gt_u64_e32 vcc, s[52:53], v[87:88]
	v_mov_b32_e32 v86, v62
	buffer_store_dword v66, off, s[0:3], 0 offset:56
	v_cndmask_b32_e64 v66, 0, 1, s[4:5]
	s_and_b64 s[4:5], vcc, s[30:31]
	v_cmp_gt_u64_e32 vcc, s[52:53], v[85:86]
	v_mov_b32_e32 v84, v62
	buffer_store_dword v66, off, s[0:3], 0 offset:52
	;; [unrolled: 5-line block ×9, first 2 shown]
	v_cndmask_b32_e64 v66, 0, 1, s[4:5]
	s_and_b64 s[4:5], vcc, s[14:15]
	v_cmp_gt_u64_e32 vcc, s[52:53], v[69:70]
	buffer_store_dword v66, off, s[0:3], 0 offset:20
	v_cndmask_b32_e64 v66, 0, 1, s[4:5]
	s_and_b64 s[4:5], vcc, s[12:13]
	v_mov_b32_e32 v68, v62
	buffer_store_dword v66, off, s[0:3], 0 offset:16
	v_cndmask_b32_e64 v66, 0, 1, s[4:5]
	v_cmp_gt_u64_e32 vcc, s[52:53], v[67:68]
	buffer_store_dword v66, off, s[0:3], 0 offset:12
	v_mov_b32_e32 v66, v62
	s_and_b64 s[4:5], vcc, s[10:11]
	v_cmp_gt_u64_e32 vcc, s[52:53], v[65:66]
	v_cndmask_b32_e64 v68, 0, 1, s[4:5]
	s_and_b64 s[4:5], vcc, s[8:9]
	v_lshlrev_b32_e32 v92, 3, v0
	v_mul_u32_u24_e32 v91, 15, v0
	v_cndmask_b32_e64 v66, 0, 1, s[4:5]
	ds_write_b64 v92, v[57:58]
	buffer_store_dword v68, off, s[0:3], 0 offset:8
	buffer_store_dword v66, off, s[0:3], 0 offset:4
	s_waitcnt vmcnt(0) lgkmcnt(0)
	s_barrier
	s_and_saveexec_b64 s[4:5], s[6:7]
; %bb.51:
	v_add_u32_e32 v59, -8, v92
	ds_read_b64 v[59:60], v59
; %bb.52:
	s_or_b64 exec, exec, s[4:5]
	s_waitcnt lgkmcnt(0)
	v_cmp_neq_f64_e32 vcc, v[59:60], v[29:30]
	v_mov_b32_e32 v92, v62
	v_cmp_gt_u64_e64 s[4:5], s[52:53], v[91:92]
	s_mov_b64 s[62:63], -1
	s_and_b64 s[8:9], s[4:5], vcc
	s_branch .LBB1719_57
.LBB1719_53:
                                        ; implicit-def: $sgpr8_sgpr9
	s_cbranch_execz .LBB1719_57
; %bb.54:
	v_cmp_neq_f64_e32 vcc, v[7:8], v[57:58]
	v_cmp_neq_f64_e64 s[4:5], v[5:6], v[7:8]
	v_mov_b32_e32 v62, 0
	v_cmp_gt_u64_e64 s[8:9], s[52:53], v[61:62]
	v_mov_b32_e32 v90, v62
	v_mov_b32_e32 v88, v62
	;; [unrolled: 1-line block ×4, first 2 shown]
	s_and_b64 s[8:9], s[8:9], vcc
	v_cmp_gt_u64_e32 vcc, s[52:53], v[89:90]
	v_cndmask_b32_e64 v60, 0, 1, s[8:9]
	v_cmp_neq_f64_e64 s[8:9], v[11:12], v[5:6]
	s_and_b64 s[4:5], vcc, s[4:5]
	buffer_store_dword v60, off, s[0:3], 0 offset:56
	v_cndmask_b32_e64 v60, 0, 1, s[4:5]
	v_cmp_neq_f64_e64 s[4:5], v[9:10], v[11:12]
	v_cmp_gt_u64_e32 vcc, s[52:53], v[87:88]
	buffer_store_dword v60, off, s[0:3], 0 offset:52
	v_mov_b32_e32 v82, v62
	s_and_b64 s[8:9], vcc, s[8:9]
	v_cmp_gt_u64_e32 vcc, s[52:53], v[85:86]
	v_cndmask_b32_e64 v60, 0, 1, s[8:9]
	v_cmp_neq_f64_e64 s[8:9], v[15:16], v[9:10]
	s_and_b64 s[4:5], vcc, s[4:5]
	buffer_store_dword v60, off, s[0:3], 0 offset:48
	v_cndmask_b32_e64 v60, 0, 1, s[4:5]
	v_cmp_neq_f64_e64 s[4:5], v[13:14], v[15:16]
	v_cmp_gt_u64_e32 vcc, s[52:53], v[83:84]
	buffer_store_dword v60, off, s[0:3], 0 offset:44
	v_mov_b32_e32 v80, v62
	s_and_b64 s[8:9], vcc, s[8:9]
	v_cmp_gt_u64_e32 vcc, s[52:53], v[81:82]
	v_cndmask_b32_e64 v60, 0, 1, s[8:9]
	v_cmp_neq_f64_e64 s[8:9], v[19:20], v[13:14]
	s_and_b64 s[4:5], vcc, s[4:5]
	buffer_store_dword v60, off, s[0:3], 0 offset:40
	v_cndmask_b32_e64 v60, 0, 1, s[4:5]
	v_cmp_neq_f64_e64 s[4:5], v[17:18], v[19:20]
	v_cmp_gt_u64_e32 vcc, s[52:53], v[79:80]
	v_mov_b32_e32 v78, v62
	buffer_store_dword v60, off, s[0:3], 0 offset:36
	s_and_b64 s[8:9], vcc, s[8:9]
	v_cmp_gt_u64_e32 vcc, s[52:53], v[77:78]
	v_cndmask_b32_e64 v60, 0, 1, s[8:9]
	v_cmp_neq_f64_e64 s[8:9], v[23:24], v[17:18]
	s_and_b64 s[4:5], vcc, s[4:5]
	buffer_store_dword v60, off, s[0:3], 0 offset:32
	v_cndmask_b32_e64 v60, 0, 1, s[4:5]
	v_cmp_neq_f64_e64 s[4:5], v[21:22], v[23:24]
	v_mov_b32_e32 v76, v62
	v_cmp_gt_u64_e32 vcc, s[52:53], v[75:76]
	v_mov_b32_e32 v74, v62
	s_and_b64 s[8:9], vcc, s[8:9]
	v_cmp_gt_u64_e32 vcc, s[52:53], v[73:74]
	buffer_store_dword v60, off, s[0:3], 0 offset:28
	v_cndmask_b32_e64 v60, 0, 1, s[8:9]
	v_cmp_neq_f64_e64 s[8:9], v[27:28], v[21:22]
	s_and_b64 s[4:5], vcc, s[4:5]
	buffer_store_dword v60, off, s[0:3], 0 offset:24
	v_cndmask_b32_e64 v60, 0, 1, s[4:5]
	v_cmp_neq_f64_e64 s[4:5], v[25:26], v[27:28]
	v_mov_b32_e32 v72, v62
	v_cmp_gt_u64_e32 vcc, s[52:53], v[71:72]
	v_mov_b32_e32 v70, v62
	s_and_b64 s[8:9], vcc, s[8:9]
	v_cmp_gt_u64_e32 vcc, s[52:53], v[69:70]
	buffer_store_dword v60, off, s[0:3], 0 offset:20
	;; [unrolled: 12-line block ×3, first 2 shown]
	v_cndmask_b32_e64 v60, 0, 1, s[8:9]
	s_and_b64 s[4:5], vcc, s[4:5]
	v_lshlrev_b32_e32 v59, 3, v0
	buffer_store_dword v60, off, s[0:3], 0 offset:8
	v_mov_b32_e32 v60, 1
	v_cndmask_b32_e64 v61, 0, 1, s[4:5]
	ds_write_b64 v59, v[57:58]
	buffer_store_dword v61, off, s[0:3], 0 offset:4
	s_waitcnt vmcnt(0) lgkmcnt(0)
	s_barrier
	buffer_store_dword v60, off, s[0:3], 0
                                        ; implicit-def: $sgpr8_sgpr9
	s_and_saveexec_b64 s[10:11], s[6:7]
	s_cbranch_execz .LBB1719_56
; %bb.55:
	v_add_u32_e32 v59, -8, v59
	ds_read_b64 v[59:60], v59
	v_mul_u32_u24_e32 v61, 15, v0
	v_cmp_gt_u64_e64 s[4:5], s[52:53], v[61:62]
	s_or_b64 s[62:63], s[62:63], exec
	s_waitcnt lgkmcnt(0)
	v_cmp_neq_f64_e32 vcc, v[59:60], v[29:30]
	s_and_b64 s[8:9], s[4:5], vcc
.LBB1719_56:
	s_or_b64 exec, exec, s[10:11]
.LBB1719_57:
	v_mov_b32_e32 v97, 1
	s_and_saveexec_b64 s[4:5], s[62:63]
	s_cbranch_execz .LBB1719_59
; %bb.58:
	v_cndmask_b32_e64 v97, 0, 1, s[8:9]
	buffer_store_dword v97, off, s[0:3], 0
.LBB1719_59:
	s_or_b64 exec, exec, s[4:5]
	buffer_load_dword v110, off, s[0:3], 0 offset:4
	buffer_load_dword v109, off, s[0:3], 0 offset:8
	;; [unrolled: 1-line block ×14, first 2 shown]
	s_cmp_eq_u64 s[46:47], 0
	s_cselect_b64 s[46:47], -1, 0
	s_cmp_lg_u32 s64, 0
	v_mbcnt_lo_u32_b32 v112, -1, 0
	s_waitcnt vmcnt(13)
	v_cmp_eq_u32_e64 s[30:31], 0, v110
	s_waitcnt vmcnt(12)
	v_add3_u32 v59, v110, v97, v109
	v_cmp_eq_u32_e64 s[28:29], 0, v109
	s_waitcnt vmcnt(11)
	v_cmp_eq_u32_e64 s[26:27], 0, v108
	s_waitcnt vmcnt(10)
	;; [unrolled: 2-line block ×12, first 2 shown]
	v_cmp_eq_u32_e32 vcc, 0, v111
	v_add3_u32 v113, v59, v108, v98
	s_cbranch_scc0 .LBB1719_121
; %bb.60:
	v_cndmask_b32_e64 v60, 0, v53, s[30:31]
	v_cndmask_b32_e64 v59, 0, v54, s[30:31]
	v_add_co_u32_e64 v60, s[4:5], v60, v55
	v_addc_co_u32_e64 v59, s[4:5], v59, v56, s[4:5]
	v_cndmask_b32_e64 v60, 0, v60, s[28:29]
	v_cndmask_b32_e64 v59, 0, v59, s[28:29]
	v_add_co_u32_e64 v60, s[4:5], v60, v49
	v_addc_co_u32_e64 v59, s[4:5], v59, v50, s[4:5]
	;; [unrolled: 4-line block ×11, first 2 shown]
	v_cndmask_b32_e64 v60, 0, v60, s[8:9]
	v_add3_u32 v61, v113, v99, v100
	v_cndmask_b32_e64 v59, 0, v59, s[8:9]
	v_add_co_u32_e64 v60, s[4:5], v60, v1
	v_add3_u32 v61, v61, v101, v102
	v_addc_co_u32_e64 v59, s[4:5], v59, v2, s[4:5]
	v_cndmask_b32_e64 v60, 0, v60, s[6:7]
	v_add3_u32 v61, v61, v103, v104
	v_cndmask_b32_e64 v59, 0, v59, s[6:7]
	v_add_co_u32_e64 v60, s[4:5], v60, v3
	v_add3_u32 v61, v61, v105, v106
	v_addc_co_u32_e64 v59, s[4:5], v59, v4, s[4:5]
	v_cndmask_b32_e32 v60, 0, v60, vcc
	v_add3_u32 v65, v61, v107, v111
	v_cndmask_b32_e32 v59, 0, v59, vcc
	v_add_co_u32_e32 v61, vcc, v60, v63
	v_mbcnt_hi_u32_b32 v70, -1, v112
	v_addc_co_u32_e32 v62, vcc, v59, v64, vcc
	v_and_b32_e32 v59, 15, v70
	v_mov_b32_dpp v66, v65 row_shr:1 row_mask:0xf bank_mask:0xf
	v_mov_b32_dpp v60, v61 row_shr:1 row_mask:0xf bank_mask:0xf
	v_mov_b32_dpp v67, v62 row_shr:1 row_mask:0xf bank_mask:0xf
	v_cmp_ne_u32_e32 vcc, 0, v59
	s_and_saveexec_b64 s[4:5], vcc
; %bb.61:
	v_cmp_eq_u32_e32 vcc, 0, v65
	v_cndmask_b32_e32 v60, 0, v60, vcc
	v_add_u32_e32 v66, v66, v65
	v_cndmask_b32_e32 v65, 0, v67, vcc
	v_add_co_u32_e32 v61, vcc, v60, v61
	v_addc_co_u32_e32 v62, vcc, v65, v62, vcc
	v_mov_b32_e32 v65, v66
; %bb.62:
	s_or_b64 exec, exec, s[4:5]
	s_nop 0
	v_mov_b32_dpp v66, v65 row_shr:2 row_mask:0xf bank_mask:0xf
	v_mov_b32_dpp v60, v61 row_shr:2 row_mask:0xf bank_mask:0xf
	v_mov_b32_dpp v67, v62 row_shr:2 row_mask:0xf bank_mask:0xf
	v_cmp_lt_u32_e32 vcc, 1, v59
	s_and_saveexec_b64 s[4:5], vcc
; %bb.63:
	v_cmp_eq_u32_e32 vcc, 0, v65
	v_cndmask_b32_e32 v60, 0, v60, vcc
	v_add_u32_e32 v66, v66, v65
	v_cndmask_b32_e32 v65, 0, v67, vcc
	v_add_co_u32_e32 v61, vcc, v60, v61
	v_addc_co_u32_e32 v62, vcc, v65, v62, vcc
	v_mov_b32_e32 v65, v66
; %bb.64:
	s_or_b64 exec, exec, s[4:5]
	s_nop 0
	v_mov_b32_dpp v66, v65 row_shr:4 row_mask:0xf bank_mask:0xf
	v_mov_b32_dpp v60, v61 row_shr:4 row_mask:0xf bank_mask:0xf
	v_mov_b32_dpp v67, v62 row_shr:4 row_mask:0xf bank_mask:0xf
	v_cmp_lt_u32_e32 vcc, 3, v59
	s_and_saveexec_b64 s[4:5], vcc
; %bb.65:
	v_cmp_eq_u32_e32 vcc, 0, v65
	v_cndmask_b32_e32 v60, 0, v60, vcc
	v_add_u32_e32 v66, v66, v65
	v_cndmask_b32_e32 v65, 0, v67, vcc
	v_add_co_u32_e32 v61, vcc, v60, v61
	v_addc_co_u32_e32 v62, vcc, v65, v62, vcc
	v_mov_b32_e32 v65, v66
; %bb.66:
	s_or_b64 exec, exec, s[4:5]
	s_nop 0
	v_mov_b32_dpp v66, v65 row_shr:8 row_mask:0xf bank_mask:0xf
	v_mov_b32_dpp v60, v61 row_shr:8 row_mask:0xf bank_mask:0xf
	v_mov_b32_dpp v67, v62 row_shr:8 row_mask:0xf bank_mask:0xf
	v_cmp_lt_u32_e32 vcc, 7, v59
	s_and_saveexec_b64 s[4:5], vcc
; %bb.67:
	v_cmp_eq_u32_e32 vcc, 0, v65
	v_cndmask_b32_e32 v60, 0, v60, vcc
	v_add_u32_e32 v59, v66, v65
	v_cndmask_b32_e32 v65, 0, v67, vcc
	v_add_co_u32_e32 v61, vcc, v60, v61
	v_addc_co_u32_e32 v62, vcc, v65, v62, vcc
	v_mov_b32_e32 v65, v59
; %bb.68:
	s_or_b64 exec, exec, s[4:5]
	v_and_b32_e32 v67, 16, v70
	v_mov_b32_dpp v60, v65 row_bcast:15 row_mask:0xf bank_mask:0xf
	v_mov_b32_dpp v59, v61 row_bcast:15 row_mask:0xf bank_mask:0xf
	;; [unrolled: 1-line block ×3, first 2 shown]
	v_cmp_ne_u32_e32 vcc, 0, v67
	s_and_saveexec_b64 s[4:5], vcc
; %bb.69:
	v_cmp_eq_u32_e32 vcc, 0, v65
	v_cndmask_b32_e32 v59, 0, v59, vcc
	v_add_u32_e32 v60, v60, v65
	v_cndmask_b32_e32 v65, 0, v66, vcc
	v_add_co_u32_e32 v61, vcc, v59, v61
	v_addc_co_u32_e32 v62, vcc, v65, v62, vcc
	v_mov_b32_e32 v65, v60
; %bb.70:
	s_or_b64 exec, exec, s[4:5]
	s_nop 0
	v_mov_b32_dpp v60, v65 row_bcast:31 row_mask:0xf bank_mask:0xf
	v_mov_b32_dpp v59, v61 row_bcast:31 row_mask:0xf bank_mask:0xf
	;; [unrolled: 1-line block ×3, first 2 shown]
	v_cmp_lt_u32_e32 vcc, 31, v70
	s_and_saveexec_b64 s[4:5], vcc
; %bb.71:
	v_cmp_eq_u32_e32 vcc, 0, v65
	v_cndmask_b32_e32 v59, 0, v59, vcc
	v_add_u32_e32 v60, v60, v65
	v_cndmask_b32_e32 v65, 0, v66, vcc
	v_add_co_u32_e32 v61, vcc, v59, v61
	v_addc_co_u32_e32 v62, vcc, v65, v62, vcc
	v_mov_b32_e32 v65, v60
; %bb.72:
	s_or_b64 exec, exec, s[4:5]
	v_lshrrev_b32_e32 v59, 6, v0
	v_or_b32_e32 v60, 63, v0
	v_cmp_eq_u32_e32 vcc, v0, v60
	v_lshlrev_b32_e32 v66, 4, v59
	s_and_saveexec_b64 s[4:5], vcc
	s_cbranch_execz .LBB1719_74
; %bb.73:
	ds_write_b32 v66, v65 offset:4128
	ds_write_b64 v66, v[61:62] offset:4136
.LBB1719_74:
	s_or_b64 exec, exec, s[4:5]
	v_cmp_gt_u32_e32 vcc, 4, v0
	s_waitcnt lgkmcnt(0)
	s_barrier
	s_and_saveexec_b64 s[4:5], vcc
	s_cbranch_execz .LBB1719_80
; %bb.75:
	v_lshlrev_b32_e32 v67, 4, v0
	ds_read_b32 v68, v67 offset:4128
	ds_read_b64 v[59:60], v67 offset:4136
	v_and_b32_e32 v69, 3, v70
	v_cmp_ne_u32_e32 vcc, 0, v69
	s_waitcnt lgkmcnt(1)
	v_mov_b32_dpp v72, v68 row_shr:1 row_mask:0xf bank_mask:0xf
	s_waitcnt lgkmcnt(0)
	v_mov_b32_dpp v71, v59 row_shr:1 row_mask:0xf bank_mask:0xf
	v_mov_b32_dpp v73, v60 row_shr:1 row_mask:0xf bank_mask:0xf
	s_and_saveexec_b64 s[34:35], vcc
; %bb.76:
	v_cmp_eq_u32_e32 vcc, 0, v68
	v_cndmask_b32_e32 v71, 0, v71, vcc
	v_add_u32_e32 v72, v72, v68
	v_cndmask_b32_e32 v68, 0, v73, vcc
	v_add_co_u32_e32 v59, vcc, v71, v59
	v_addc_co_u32_e32 v60, vcc, v68, v60, vcc
	v_mov_b32_e32 v68, v72
; %bb.77:
	s_or_b64 exec, exec, s[34:35]
	s_nop 0
	v_mov_b32_dpp v72, v68 row_shr:2 row_mask:0xf bank_mask:0xf
	v_mov_b32_dpp v71, v59 row_shr:2 row_mask:0xf bank_mask:0xf
	;; [unrolled: 1-line block ×3, first 2 shown]
	v_cmp_lt_u32_e32 vcc, 1, v69
	s_and_saveexec_b64 s[34:35], vcc
; %bb.78:
	v_cmp_eq_u32_e32 vcc, 0, v68
	v_cndmask_b32_e32 v71, 0, v71, vcc
	v_add_u32_e32 v69, v72, v68
	v_cndmask_b32_e32 v68, 0, v73, vcc
	v_add_co_u32_e32 v59, vcc, v71, v59
	v_addc_co_u32_e32 v60, vcc, v68, v60, vcc
	v_mov_b32_e32 v68, v69
; %bb.79:
	s_or_b64 exec, exec, s[34:35]
	ds_write_b32 v67, v68 offset:4128
	ds_write_b64 v67, v[59:60] offset:4136
.LBB1719_80:
	s_or_b64 exec, exec, s[4:5]
	v_mov_b32_e32 v59, 0
	v_cmp_gt_u32_e32 vcc, 64, v0
	v_cmp_lt_u32_e64 s[4:5], 63, v0
	v_mov_b32_e32 v60, 0
	v_mov_b32_e32 v73, 0
	s_waitcnt lgkmcnt(0)
	s_barrier
	s_and_saveexec_b64 s[34:35], s[4:5]
	s_cbranch_execz .LBB1719_82
; %bb.81:
	ds_read_b32 v73, v66 offset:4112
	ds_read_b64 v[59:60], v66 offset:4120
	v_cmp_eq_u32_e64 s[4:5], 0, v65
	s_waitcnt lgkmcnt(1)
	v_add_u32_e32 v66, v73, v65
	s_waitcnt lgkmcnt(0)
	v_cndmask_b32_e64 v67, 0, v59, s[4:5]
	v_cndmask_b32_e64 v65, 0, v60, s[4:5]
	v_add_co_u32_e64 v61, s[4:5], v67, v61
	v_addc_co_u32_e64 v62, s[4:5], v65, v62, s[4:5]
	v_mov_b32_e32 v65, v66
.LBB1719_82:
	s_or_b64 exec, exec, s[34:35]
	v_subrev_co_u32_e64 v66, s[34:35], 1, v70
	v_and_b32_e32 v67, 64, v70
	v_cmp_lt_i32_e64 s[4:5], v66, v67
	v_cndmask_b32_e64 v66, v66, v70, s[4:5]
	v_lshlrev_b32_e32 v66, 2, v66
	ds_bpermute_b32 v74, v66, v65
	ds_bpermute_b32 v75, v66, v61
	;; [unrolled: 1-line block ×3, first 2 shown]
	s_and_saveexec_b64 s[52:53], vcc
	s_cbranch_execz .LBB1719_126
; %bb.83:
	v_mov_b32_e32 v67, 0
	ds_read_b32 v77, v67 offset:4176
	ds_read_b64 v[61:62], v67 offset:4184
	s_and_saveexec_b64 s[4:5], s[34:35]
	s_cbranch_execz .LBB1719_85
; %bb.84:
	s_add_i32 s62, s64, 64
	s_mov_b32 s63, 0
	s_lshl_b64 s[66:67], s[62:63], 4
	s_add_u32 s66, s40, s66
	s_addc_u32 s67, s41, s67
	v_mov_b32_e32 v65, 1
	v_mov_b32_e32 v66, s62
	s_waitcnt lgkmcnt(1)
	global_store_dword v67, v77, s[66:67]
	s_waitcnt lgkmcnt(0)
	global_store_dwordx2 v67, v[61:62], s[66:67] offset:8
	s_waitcnt vmcnt(0)
	buffer_wbinvl1_vol
	global_store_byte v66, v65, s[44:45]
.LBB1719_85:
	s_or_b64 exec, exec, s[4:5]
	v_xad_u32 v65, v70, -1, s64
	v_add_u32_e32 v66, 64, v65
	global_load_ubyte v78, v66, s[44:45] glc
	s_waitcnt vmcnt(0)
	v_cmp_eq_u16_e32 vcc, 0, v78
	s_and_saveexec_b64 s[4:5], vcc
	s_cbranch_execz .LBB1719_89
; %bb.86:
	v_mov_b32_e32 v69, s45
	v_add_co_u32_e32 v68, vcc, s44, v66
	v_addc_co_u32_e32 v69, vcc, 0, v69, vcc
	s_mov_b64 s[62:63], 0
.LBB1719_87:                            ; =>This Inner Loop Header: Depth=1
	global_load_ubyte v78, v[68:69], off glc
	s_waitcnt vmcnt(0)
	v_cmp_ne_u16_e32 vcc, 0, v78
	s_or_b64 s[62:63], vcc, s[62:63]
	s_andn2_b64 exec, exec, s[62:63]
	s_cbranch_execnz .LBB1719_87
; %bb.88:
	s_or_b64 exec, exec, s[62:63]
.LBB1719_89:
	s_or_b64 exec, exec, s[4:5]
	v_mov_b32_e32 v68, s43
	v_mov_b32_e32 v69, s41
	v_cmp_eq_u16_e32 vcc, 1, v78
	v_cndmask_b32_e32 v68, v68, v69, vcc
	v_mov_b32_e32 v69, s42
	v_mov_b32_e32 v71, s40
	v_lshlrev_b64 v[66:67], 4, v[66:67]
	v_cndmask_b32_e32 v69, v69, v71, vcc
	v_add_co_u32_e32 v66, vcc, v69, v66
	v_addc_co_u32_e32 v67, vcc, v68, v67, vcc
	s_waitcnt lgkmcnt(0)
	buffer_wbinvl1_vol
	global_load_dword v93, v[66:67], off
	global_load_dwordx2 v[71:72], v[66:67], off offset:8
	v_and_b32_e32 v79, 63, v70
	v_lshlrev_b64 v[67:68], v70, -1
	v_cmp_ne_u32_e64 s[4:5], 63, v79
	v_cmp_eq_u16_e32 vcc, 2, v78
	v_addc_co_u32_e64 v66, s[4:5], 0, v70, s[4:5]
	v_and_b32_e32 v69, vcc_hi, v68
	v_lshlrev_b32_e32 v80, 2, v66
	v_or_b32_e32 v66, 0x80000000, v69
	v_and_b32_e32 v83, vcc_lo, v67
	v_ffbl_b32_e32 v66, v66
	v_add_u32_e32 v66, 32, v66
	v_ffbl_b32_e32 v83, v83
	v_min_u32_e32 v66, v83, v66
	v_cmp_lt_u32_e32 vcc, v79, v66
	s_waitcnt vmcnt(1)
	ds_bpermute_b32 v81, v80, v93
	s_waitcnt vmcnt(0)
	ds_bpermute_b32 v69, v80, v71
	ds_bpermute_b32 v82, v80, v72
	s_and_saveexec_b64 s[4:5], vcc
	s_cbranch_execz .LBB1719_91
; %bb.90:
	v_cmp_eq_u32_e32 vcc, 0, v93
	s_waitcnt lgkmcnt(1)
	v_cndmask_b32_e32 v69, 0, v69, vcc
	v_add_u32_e32 v81, v81, v93
	s_waitcnt lgkmcnt(0)
	v_cndmask_b32_e32 v82, 0, v82, vcc
	v_add_co_u32_e32 v71, vcc, v69, v71
	v_addc_co_u32_e32 v72, vcc, v82, v72, vcc
	v_mov_b32_e32 v93, v81
.LBB1719_91:
	s_or_b64 exec, exec, s[4:5]
	v_cmp_gt_u32_e32 vcc, 62, v79
	s_waitcnt lgkmcnt(1)
	v_cndmask_b32_e64 v69, 0, 2, vcc
	v_add_lshl_u32 v81, v69, v70, 2
	ds_bpermute_b32 v83, v81, v93
	ds_bpermute_b32 v69, v81, v71
	ds_bpermute_b32 v84, v81, v72
	s_waitcnt lgkmcnt(3)
	v_add_u32_e32 v82, 2, v79
	v_cmp_le_u32_e32 vcc, v82, v66
	s_and_saveexec_b64 s[4:5], vcc
	s_cbranch_execz .LBB1719_93
; %bb.92:
	v_cmp_eq_u32_e32 vcc, 0, v93
	s_waitcnt lgkmcnt(1)
	v_cndmask_b32_e32 v69, 0, v69, vcc
	v_add_u32_e32 v83, v83, v93
	s_waitcnt lgkmcnt(0)
	v_cndmask_b32_e32 v84, 0, v84, vcc
	v_add_co_u32_e32 v71, vcc, v69, v71
	v_addc_co_u32_e32 v72, vcc, v84, v72, vcc
	v_mov_b32_e32 v93, v83
.LBB1719_93:
	s_or_b64 exec, exec, s[4:5]
	v_cmp_gt_u32_e32 vcc, 60, v79
	s_waitcnt lgkmcnt(1)
	v_cndmask_b32_e64 v69, 0, 4, vcc
	v_add_lshl_u32 v83, v69, v70, 2
	ds_bpermute_b32 v85, v83, v93
	ds_bpermute_b32 v69, v83, v71
	ds_bpermute_b32 v86, v83, v72
	s_waitcnt lgkmcnt(3)
	v_add_u32_e32 v84, 4, v79
	v_cmp_le_u32_e32 vcc, v84, v66
	;; [unrolled: 24-line block ×4, first 2 shown]
	s_and_saveexec_b64 s[4:5], vcc
	s_cbranch_execz .LBB1719_99
; %bb.98:
	v_cmp_eq_u32_e32 vcc, 0, v93
	s_waitcnt lgkmcnt(1)
	v_cndmask_b32_e32 v69, 0, v69, vcc
	v_add_u32_e32 v89, v89, v93
	s_waitcnt lgkmcnt(0)
	v_cndmask_b32_e32 v90, 0, v90, vcc
	v_add_co_u32_e32 v71, vcc, v69, v71
	v_addc_co_u32_e32 v72, vcc, v90, v72, vcc
	v_mov_b32_e32 v93, v89
.LBB1719_99:
	s_or_b64 exec, exec, s[4:5]
	s_waitcnt lgkmcnt(1)
	v_mov_b32_e32 v69, 0x80
	s_waitcnt lgkmcnt(0)
	v_lshl_or_b32 v90, v70, 2, v69
	ds_bpermute_b32 v70, v90, v93
	ds_bpermute_b32 v69, v90, v71
	ds_bpermute_b32 v89, v90, v72
	v_add_u32_e32 v91, 32, v79
	v_cmp_le_u32_e32 vcc, v91, v66
	s_and_saveexec_b64 s[4:5], vcc
	s_cbranch_execz .LBB1719_101
; %bb.100:
	v_cmp_eq_u32_e32 vcc, 0, v93
	s_waitcnt lgkmcnt(1)
	v_cndmask_b32_e32 v69, 0, v69, vcc
	v_add_u32_e32 v66, v70, v93
	s_waitcnt lgkmcnt(0)
	v_cndmask_b32_e32 v70, 0, v89, vcc
	v_add_co_u32_e32 v71, vcc, v69, v71
	v_addc_co_u32_e32 v72, vcc, v70, v72, vcc
	v_mov_b32_e32 v93, v66
.LBB1719_101:
	s_or_b64 exec, exec, s[4:5]
	v_mov_b32_e32 v66, 0
	v_mov_b32_e32 v92, 2
	s_branch .LBB1719_104
.LBB1719_102:                           ;   in Loop: Header=BB1719_104 Depth=1
	s_or_b64 exec, exec, s[4:5]
	v_cmp_eq_u32_e32 vcc, 0, v89
	v_cndmask_b32_e32 v71, 0, v71, vcc
	v_cndmask_b32_e32 v72, 0, v72, vcc
	v_add_co_u32_e32 v71, vcc, v71, v69
	v_subrev_u32_e32 v65, 64, v65
	v_add_u32_e32 v93, v94, v89
	v_addc_co_u32_e32 v72, vcc, v72, v70, vcc
	s_mov_b64 s[4:5], 0
.LBB1719_103:                           ;   in Loop: Header=BB1719_104 Depth=1
	s_and_b64 vcc, exec, s[4:5]
	s_cbranch_vccnz .LBB1719_122
.LBB1719_104:                           ; =>This Loop Header: Depth=1
                                        ;     Child Loop BB1719_107 Depth 2
	s_waitcnt lgkmcnt(1)
	v_mov_b32_e32 v69, v71
	v_cmp_ne_u16_sdwa s[4:5], v78, v92 src0_sel:BYTE_0 src1_sel:DWORD
	v_mov_b32_e32 v70, v72
	s_waitcnt lgkmcnt(0)
	v_mov_b32_e32 v89, v93
	s_cmp_lg_u64 s[4:5], exec
	s_mov_b64 s[4:5], -1
                                        ; implicit-def: $vgpr71_vgpr72
                                        ; implicit-def: $vgpr93
                                        ; implicit-def: $vgpr78
	s_cbranch_scc1 .LBB1719_103
; %bb.105:                              ;   in Loop: Header=BB1719_104 Depth=1
	global_load_ubyte v78, v65, s[44:45] glc
	s_waitcnt vmcnt(0)
	v_cmp_eq_u16_e32 vcc, 0, v78
	s_and_saveexec_b64 s[4:5], vcc
	s_cbranch_execz .LBB1719_109
; %bb.106:                              ;   in Loop: Header=BB1719_104 Depth=1
	v_mov_b32_e32 v72, s45
	v_add_co_u32_e32 v71, vcc, s44, v65
	v_addc_co_u32_e32 v72, vcc, 0, v72, vcc
	s_mov_b64 s[62:63], 0
.LBB1719_107:                           ;   Parent Loop BB1719_104 Depth=1
                                        ; =>  This Inner Loop Header: Depth=2
	global_load_ubyte v78, v[71:72], off glc
	s_waitcnt vmcnt(0)
	v_cmp_ne_u16_e32 vcc, 0, v78
	s_or_b64 s[62:63], vcc, s[62:63]
	s_andn2_b64 exec, exec, s[62:63]
	s_cbranch_execnz .LBB1719_107
; %bb.108:                              ;   in Loop: Header=BB1719_104 Depth=1
	s_or_b64 exec, exec, s[62:63]
.LBB1719_109:                           ;   in Loop: Header=BB1719_104 Depth=1
	s_or_b64 exec, exec, s[4:5]
	v_mov_b32_e32 v71, s43
	v_mov_b32_e32 v72, s41
	v_cmp_eq_u16_e32 vcc, 1, v78
	v_cndmask_b32_e32 v93, v71, v72, vcc
	v_mov_b32_e32 v71, s42
	v_mov_b32_e32 v72, s40
	v_cndmask_b32_e32 v94, v71, v72, vcc
	v_lshlrev_b64 v[71:72], 4, v[65:66]
	buffer_wbinvl1_vol
	v_add_co_u32_e32 v71, vcc, v94, v71
	v_addc_co_u32_e32 v72, vcc, v93, v72, vcc
	global_load_dword v94, v[71:72], off
	s_nop 0
	global_load_dwordx2 v[71:72], v[71:72], off offset:8
	v_cmp_eq_u16_e32 vcc, 2, v78
	v_and_b32_e32 v93, vcc_hi, v68
	v_or_b32_e32 v93, 0x80000000, v93
	v_and_b32_e32 v115, vcc_lo, v67
	v_ffbl_b32_e32 v93, v93
	v_add_u32_e32 v93, 32, v93
	v_ffbl_b32_e32 v115, v115
	v_min_u32_e32 v93, v115, v93
	v_cmp_lt_u32_e32 vcc, v79, v93
	s_waitcnt vmcnt(1)
	ds_bpermute_b32 v96, v80, v94
	s_waitcnt vmcnt(0)
	ds_bpermute_b32 v95, v80, v71
	ds_bpermute_b32 v114, v80, v72
	s_and_saveexec_b64 s[4:5], vcc
	s_cbranch_execz .LBB1719_111
; %bb.110:                              ;   in Loop: Header=BB1719_104 Depth=1
	v_cmp_eq_u32_e32 vcc, 0, v94
	s_waitcnt lgkmcnt(1)
	v_cndmask_b32_e32 v95, 0, v95, vcc
	v_add_u32_e32 v96, v96, v94
	s_waitcnt lgkmcnt(0)
	v_cndmask_b32_e32 v94, 0, v114, vcc
	v_add_co_u32_e32 v71, vcc, v95, v71
	v_addc_co_u32_e32 v72, vcc, v94, v72, vcc
	v_mov_b32_e32 v94, v96
.LBB1719_111:                           ;   in Loop: Header=BB1719_104 Depth=1
	s_or_b64 exec, exec, s[4:5]
	s_waitcnt lgkmcnt(2)
	ds_bpermute_b32 v96, v81, v94
	s_waitcnt lgkmcnt(2)
	ds_bpermute_b32 v95, v81, v71
	s_waitcnt lgkmcnt(2)
	ds_bpermute_b32 v114, v81, v72
	v_cmp_le_u32_e32 vcc, v82, v93
	s_and_saveexec_b64 s[4:5], vcc
	s_cbranch_execz .LBB1719_113
; %bb.112:                              ;   in Loop: Header=BB1719_104 Depth=1
	v_cmp_eq_u32_e32 vcc, 0, v94
	s_waitcnt lgkmcnt(1)
	v_cndmask_b32_e32 v95, 0, v95, vcc
	v_add_u32_e32 v96, v96, v94
	s_waitcnt lgkmcnt(0)
	v_cndmask_b32_e32 v94, 0, v114, vcc
	v_add_co_u32_e32 v71, vcc, v95, v71
	v_addc_co_u32_e32 v72, vcc, v94, v72, vcc
	v_mov_b32_e32 v94, v96
.LBB1719_113:                           ;   in Loop: Header=BB1719_104 Depth=1
	s_or_b64 exec, exec, s[4:5]
	s_waitcnt lgkmcnt(2)
	ds_bpermute_b32 v96, v83, v94
	s_waitcnt lgkmcnt(2)
	ds_bpermute_b32 v95, v83, v71
	s_waitcnt lgkmcnt(2)
	ds_bpermute_b32 v114, v83, v72
	v_cmp_le_u32_e32 vcc, v84, v93
	;; [unrolled: 21-line block ×5, first 2 shown]
	s_and_saveexec_b64 s[4:5], vcc
	s_cbranch_execz .LBB1719_102
; %bb.120:                              ;   in Loop: Header=BB1719_104 Depth=1
	v_cmp_eq_u32_e32 vcc, 0, v94
	s_waitcnt lgkmcnt(1)
	v_cndmask_b32_e32 v95, 0, v95, vcc
	v_add_u32_e32 v93, v96, v94
	s_waitcnt lgkmcnt(0)
	v_cndmask_b32_e32 v94, 0, v114, vcc
	v_add_co_u32_e32 v71, vcc, v95, v71
	v_addc_co_u32_e32 v72, vcc, v94, v72, vcc
	v_mov_b32_e32 v94, v93
	s_branch .LBB1719_102
.LBB1719_121:
                                        ; implicit-def: $vgpr59
                                        ; implicit-def: $vgpr61_vgpr62
                                        ; implicit-def: $vgpr65
                                        ; implicit-def: $vgpr91_vgpr92
                                        ; implicit-def: $vgpr67_vgpr68
                                        ; implicit-def: $vgpr69_vgpr70
                                        ; implicit-def: $vgpr71_vgpr72
                                        ; implicit-def: $vgpr73_vgpr74
                                        ; implicit-def: $vgpr75_vgpr76
                                        ; implicit-def: $vgpr77_vgpr78
                                        ; implicit-def: $vgpr79_vgpr80
                                        ; implicit-def: $vgpr81_vgpr82
                                        ; implicit-def: $vgpr83_vgpr84
                                        ; implicit-def: $vgpr85_vgpr86
                                        ; implicit-def: $vgpr87_vgpr88
                                        ; implicit-def: $vgpr89_vgpr90
                                        ; implicit-def: $vgpr93_vgpr94
                                        ; implicit-def: $vgpr95_vgpr96
                                        ; implicit-def: $vgpr60
	s_cbranch_execnz .LBB1719_127
	s_branch .LBB1719_154
.LBB1719_122:
	s_and_saveexec_b64 s[4:5], s[34:35]
	s_cbranch_execz .LBB1719_124
; %bb.123:
	s_mov_b32 s41, 0
	v_cmp_eq_u32_e32 vcc, 0, v77
	s_add_i32 s40, s64, 64
	v_cndmask_b32_e32 v65, 0, v69, vcc
	s_lshl_b64 s[62:63], s[40:41], 4
	v_cndmask_b32_e32 v66, 0, v70, vcc
	v_add_co_u32_e32 v65, vcc, v65, v61
	s_add_u32 s62, s42, s62
	v_add_u32_e32 v67, v89, v77
	v_addc_co_u32_e32 v66, vcc, v66, v62, vcc
	s_addc_u32 s63, s43, s63
	v_mov_b32_e32 v68, 0
	global_store_dword v68, v67, s[62:63]
	global_store_dwordx2 v68, v[65:66], s[62:63] offset:8
	v_mov_b32_e32 v65, 2
	v_mov_b32_e32 v66, s40
	s_waitcnt vmcnt(0) lgkmcnt(0)
	buffer_wbinvl1_vol
	global_store_byte v66, v65, s[44:45]
	ds_write_b32 v68, v77 offset:4096
	ds_write_b64 v68, v[61:62] offset:4104
	ds_write_b32 v68, v89 offset:4112
	ds_write_b64 v68, v[69:70] offset:4120
.LBB1719_124:
	s_or_b64 exec, exec, s[4:5]
	s_and_b64 exec, exec, s[38:39]
	s_cbranch_execz .LBB1719_126
; %bb.125:
	v_mov_b32_e32 v61, 0
	ds_write_b32 v61, v89 offset:4176
	ds_write_b64 v61, v[69:70] offset:4184
.LBB1719_126:
	s_or_b64 exec, exec, s[52:53]
	v_mov_b32_e32 v66, 0
	s_waitcnt vmcnt(0) lgkmcnt(0)
	s_barrier
	ds_read_b32 v65, v66 offset:4176
	ds_read_b64 v[61:62], v66 offset:4184
	v_cndmask_b32_e64 v67, v74, v73, s[34:35]
	v_cmp_eq_u32_e32 vcc, 0, v67
	v_cndmask_b32_e64 v59, v75, v59, s[34:35]
	v_cndmask_b32_e64 v60, v76, v60, s[34:35]
	s_waitcnt lgkmcnt(0)
	v_cndmask_b32_e32 v69, 0, v61, vcc
	v_cndmask_b32_e32 v68, 0, v62, vcc
	v_add_co_u32_e32 v59, vcc, v69, v59
	v_addc_co_u32_e32 v68, vcc, v68, v60, vcc
	v_cndmask_b32_e64 v91, v59, v61, s[38:39]
	v_cmp_eq_u32_e32 vcc, 0, v97
	v_cndmask_b32_e64 v92, v68, v62, s[38:39]
	v_cndmask_b32_e32 v61, 0, v91, vcc
	v_cndmask_b32_e64 v60, v67, 0, s[38:39]
	v_cndmask_b32_e32 v59, 0, v92, vcc
	v_add_co_u32_e32 v67, vcc, v61, v53
	v_addc_co_u32_e32 v68, vcc, v59, v54, vcc
	v_cndmask_b32_e64 v61, 0, v67, s[30:31]
	v_cndmask_b32_e64 v59, 0, v68, s[30:31]
	v_add_co_u32_e32 v69, vcc, v61, v55
	v_addc_co_u32_e32 v70, vcc, v59, v56, vcc
	v_cndmask_b32_e64 v61, 0, v69, s[28:29]
	v_cndmask_b32_e64 v59, 0, v70, s[28:29]
	;; [unrolled: 4-line block ×11, first 2 shown]
	v_add_co_u32_e32 v89, vcc, v61, v35
	v_add_u32_e32 v60, v65, v60
	v_addc_co_u32_e32 v90, vcc, v59, v36, vcc
	s_barrier
	ds_read_b32 v59, v66 offset:4096
	ds_read_b64 v[61:62], v66 offset:4104
	ds_read_b32 v65, v66 offset:4112
	ds_read_b64 v[114:115], v66 offset:4120
	v_cndmask_b32_e64 v93, 0, v89, s[8:9]
	v_cndmask_b32_e64 v94, 0, v90, s[8:9]
	v_add_co_u32_e32 v93, vcc, v93, v1
	v_addc_co_u32_e32 v94, vcc, v94, v2, vcc
	s_waitcnt lgkmcnt(3)
	v_cmp_eq_u32_e32 vcc, 0, v59
	s_waitcnt lgkmcnt(0)
	v_cndmask_b32_e32 v114, 0, v114, vcc
	v_cndmask_b32_e32 v66, 0, v115, vcc
	v_add_co_u32_e32 v61, vcc, v114, v61
	v_cndmask_b32_e64 v96, 0, v94, s[6:7]
	v_cndmask_b32_e64 v95, 0, v93, s[6:7]
	v_addc_co_u32_e32 v62, vcc, v66, v62, vcc
	s_branch .LBB1719_154
.LBB1719_127:
	s_cmp_eq_u64 s[36:37], 0
	s_cselect_b64 s[4:5], -1, 0
	s_or_b64 s[4:5], s[46:47], s[4:5]
	v_mov_b32_e32 v66, v54
	s_and_b64 vcc, exec, s[4:5]
	v_mov_b32_e32 v65, v53
	s_cbranch_vccnz .LBB1719_129
; %bb.128:
	v_mov_b32_e32 v59, 0
	global_load_dwordx2 v[65:66], v59, s[36:37]
.LBB1719_129:
	v_cmp_eq_u32_e64 s[28:29], 0, v110
	v_cndmask_b32_e64 v60, 0, v53, s[28:29]
	v_cndmask_b32_e64 v59, 0, v54, s[28:29]
	v_add_co_u32_e32 v60, vcc, v60, v55
	v_cmp_eq_u32_e64 s[26:27], 0, v109
	v_addc_co_u32_e32 v59, vcc, v59, v56, vcc
	v_cndmask_b32_e64 v60, 0, v60, s[26:27]
	v_cndmask_b32_e64 v59, 0, v59, s[26:27]
	v_add_co_u32_e32 v60, vcc, v60, v49
	v_cmp_eq_u32_e64 s[24:25], 0, v108
	v_addc_co_u32_e32 v59, vcc, v59, v50, vcc
	;; [unrolled: 5-line block ×11, first 2 shown]
	v_cndmask_b32_e64 v60, 0, v60, s[8:9]
	v_cndmask_b32_e64 v59, 0, v59, s[8:9]
	v_add_co_u32_e32 v60, vcc, v60, v1
	v_addc_co_u32_e32 v59, vcc, v59, v2, vcc
	v_cmp_eq_u32_e32 vcc, 0, v107
	v_add3_u32 v61, v113, v99, v100
	v_cndmask_b32_e32 v60, 0, v60, vcc
	v_add3_u32 v61, v61, v101, v102
	v_cndmask_b32_e32 v59, 0, v59, vcc
	v_add_co_u32_e64 v60, s[4:5], v60, v3
	v_add3_u32 v61, v61, v103, v104
	v_addc_co_u32_e64 v59, s[4:5], v59, v4, s[4:5]
	v_add3_u32 v61, v61, v105, v106
	v_cmp_eq_u32_e64 s[4:5], 0, v111
	v_add3_u32 v67, v61, v107, v111
	v_cndmask_b32_e64 v61, 0, v59, s[4:5]
	v_cndmask_b32_e64 v59, 0, v60, s[4:5]
	v_add_co_u32_e64 v59, s[4:5], v59, v63
	v_mbcnt_hi_u32_b32 v63, -1, v112
	v_addc_co_u32_e64 v60, s[4:5], v61, v64, s[4:5]
	v_and_b32_e32 v61, 15, v63
	v_mov_b32_dpp v64, v67 row_shr:1 row_mask:0xf bank_mask:0xf
	v_mov_b32_dpp v62, v59 row_shr:1 row_mask:0xf bank_mask:0xf
	;; [unrolled: 1-line block ×3, first 2 shown]
	v_cmp_ne_u32_e64 s[4:5], 0, v61
	s_and_saveexec_b64 s[30:31], s[4:5]
; %bb.130:
	v_cmp_eq_u32_e64 s[4:5], 0, v67
	v_cndmask_b32_e64 v62, 0, v62, s[4:5]
	v_add_u32_e32 v64, v64, v67
	v_cndmask_b32_e64 v67, 0, v68, s[4:5]
	v_add_co_u32_e64 v59, s[4:5], v62, v59
	v_addc_co_u32_e64 v60, s[4:5], v67, v60, s[4:5]
	v_mov_b32_e32 v67, v64
; %bb.131:
	s_or_b64 exec, exec, s[30:31]
	s_nop 0
	v_mov_b32_dpp v64, v67 row_shr:2 row_mask:0xf bank_mask:0xf
	v_mov_b32_dpp v62, v59 row_shr:2 row_mask:0xf bank_mask:0xf
	v_mov_b32_dpp v68, v60 row_shr:2 row_mask:0xf bank_mask:0xf
	v_cmp_lt_u32_e64 s[4:5], 1, v61
	s_and_saveexec_b64 s[30:31], s[4:5]
; %bb.132:
	v_cmp_eq_u32_e64 s[4:5], 0, v67
	v_cndmask_b32_e64 v62, 0, v62, s[4:5]
	v_add_u32_e32 v64, v64, v67
	v_cndmask_b32_e64 v67, 0, v68, s[4:5]
	v_add_co_u32_e64 v59, s[4:5], v62, v59
	v_addc_co_u32_e64 v60, s[4:5], v67, v60, s[4:5]
	v_mov_b32_e32 v67, v64
; %bb.133:
	s_or_b64 exec, exec, s[30:31]
	s_nop 0
	v_mov_b32_dpp v64, v67 row_shr:4 row_mask:0xf bank_mask:0xf
	v_mov_b32_dpp v62, v59 row_shr:4 row_mask:0xf bank_mask:0xf
	v_mov_b32_dpp v68, v60 row_shr:4 row_mask:0xf bank_mask:0xf
	v_cmp_lt_u32_e64 s[4:5], 3, v61
	;; [unrolled: 16-line block ×3, first 2 shown]
	s_and_saveexec_b64 s[30:31], s[4:5]
; %bb.136:
	v_cmp_eq_u32_e64 s[4:5], 0, v67
	v_cndmask_b32_e64 v62, 0, v62, s[4:5]
	v_add_u32_e32 v61, v64, v67
	v_cndmask_b32_e64 v64, 0, v68, s[4:5]
	v_add_co_u32_e64 v59, s[4:5], v62, v59
	v_addc_co_u32_e64 v60, s[4:5], v64, v60, s[4:5]
	v_mov_b32_e32 v67, v61
; %bb.137:
	s_or_b64 exec, exec, s[30:31]
	v_and_b32_e32 v68, 16, v63
	v_mov_b32_dpp v62, v67 row_bcast:15 row_mask:0xf bank_mask:0xf
	v_mov_b32_dpp v61, v59 row_bcast:15 row_mask:0xf bank_mask:0xf
	;; [unrolled: 1-line block ×3, first 2 shown]
	v_cmp_ne_u32_e64 s[4:5], 0, v68
	s_and_saveexec_b64 s[30:31], s[4:5]
; %bb.138:
	v_cmp_eq_u32_e64 s[4:5], 0, v67
	v_cndmask_b32_e64 v61, 0, v61, s[4:5]
	v_add_u32_e32 v62, v62, v67
	v_cndmask_b32_e64 v64, 0, v64, s[4:5]
	v_add_co_u32_e64 v59, s[4:5], v61, v59
	v_addc_co_u32_e64 v60, s[4:5], v64, v60, s[4:5]
	v_mov_b32_e32 v67, v62
; %bb.139:
	s_or_b64 exec, exec, s[30:31]
	s_nop 0
	v_mov_b32_dpp v62, v67 row_bcast:31 row_mask:0xf bank_mask:0xf
	v_mov_b32_dpp v61, v59 row_bcast:31 row_mask:0xf bank_mask:0xf
	;; [unrolled: 1-line block ×3, first 2 shown]
	v_cmp_lt_u32_e64 s[4:5], 31, v63
	s_and_saveexec_b64 s[30:31], s[4:5]
; %bb.140:
	v_cmp_eq_u32_e64 s[4:5], 0, v67
	v_cndmask_b32_e64 v61, 0, v61, s[4:5]
	v_add_u32_e32 v62, v62, v67
	v_cndmask_b32_e64 v64, 0, v64, s[4:5]
	v_add_co_u32_e64 v59, s[4:5], v61, v59
	v_addc_co_u32_e64 v60, s[4:5], v64, v60, s[4:5]
	v_mov_b32_e32 v67, v62
; %bb.141:
	s_or_b64 exec, exec, s[30:31]
	v_lshrrev_b32_e32 v61, 6, v0
	v_or_b32_e32 v62, 63, v0
	v_cmp_eq_u32_e64 s[4:5], v0, v62
	v_lshlrev_b32_e32 v68, 4, v61
	s_and_saveexec_b64 s[30:31], s[4:5]
	s_cbranch_execz .LBB1719_143
; %bb.142:
	ds_write_b32 v68, v67 offset:4128
	ds_write_b64 v68, v[59:60] offset:4136
.LBB1719_143:
	s_or_b64 exec, exec, s[30:31]
	v_cmp_gt_u32_e64 s[4:5], 4, v0
	s_waitcnt vmcnt(0) lgkmcnt(0)
	s_barrier
	s_and_saveexec_b64 s[30:31], s[4:5]
	s_cbranch_execz .LBB1719_149
; %bb.144:
	v_lshlrev_b32_e32 v64, 4, v0
	ds_read_b32 v69, v64 offset:4128
	ds_read_b64 v[61:62], v64 offset:4136
	v_and_b32_e32 v70, 3, v63
	v_cmp_ne_u32_e64 s[4:5], 0, v70
	s_waitcnt lgkmcnt(1)
	v_mov_b32_dpp v72, v69 row_shr:1 row_mask:0xf bank_mask:0xf
	s_waitcnt lgkmcnt(0)
	v_mov_b32_dpp v71, v61 row_shr:1 row_mask:0xf bank_mask:0xf
	v_mov_b32_dpp v73, v62 row_shr:1 row_mask:0xf bank_mask:0xf
	s_and_saveexec_b64 s[34:35], s[4:5]
; %bb.145:
	v_cmp_eq_u32_e64 s[4:5], 0, v69
	v_cndmask_b32_e64 v71, 0, v71, s[4:5]
	v_add_u32_e32 v72, v72, v69
	v_cndmask_b32_e64 v69, 0, v73, s[4:5]
	v_add_co_u32_e64 v61, s[4:5], v71, v61
	v_addc_co_u32_e64 v62, s[4:5], v69, v62, s[4:5]
	v_mov_b32_e32 v69, v72
; %bb.146:
	s_or_b64 exec, exec, s[34:35]
	s_nop 0
	v_mov_b32_dpp v72, v69 row_shr:2 row_mask:0xf bank_mask:0xf
	v_mov_b32_dpp v71, v61 row_shr:2 row_mask:0xf bank_mask:0xf
	;; [unrolled: 1-line block ×3, first 2 shown]
	v_cmp_lt_u32_e64 s[4:5], 1, v70
	s_and_saveexec_b64 s[34:35], s[4:5]
; %bb.147:
	v_cmp_eq_u32_e64 s[4:5], 0, v69
	v_cndmask_b32_e64 v71, 0, v71, s[4:5]
	v_add_u32_e32 v70, v72, v69
	v_cndmask_b32_e64 v69, 0, v73, s[4:5]
	v_add_co_u32_e64 v61, s[4:5], v71, v61
	v_addc_co_u32_e64 v62, s[4:5], v69, v62, s[4:5]
	v_mov_b32_e32 v69, v70
; %bb.148:
	s_or_b64 exec, exec, s[34:35]
	ds_write_b32 v64, v69 offset:4128
	ds_write_b64 v64, v[61:62] offset:4136
.LBB1719_149:
	s_or_b64 exec, exec, s[30:31]
	v_mov_b32_e32 v61, v65
	v_cmp_lt_u32_e64 s[4:5], 63, v0
	v_mov_b32_e32 v64, 0
	v_mov_b32_e32 v69, 0
	;; [unrolled: 1-line block ×3, first 2 shown]
	s_waitcnt lgkmcnt(0)
	s_barrier
	s_and_saveexec_b64 s[30:31], s[4:5]
	s_cbranch_execz .LBB1719_151
; %bb.150:
	ds_read_b32 v69, v68 offset:4112
	ds_read_b64 v[61:62], v68 offset:4120
	s_waitcnt lgkmcnt(1)
	v_cmp_eq_u32_e64 s[4:5], 0, v69
	v_cndmask_b32_e64 v70, 0, v65, s[4:5]
	v_cndmask_b32_e64 v68, 0, v66, s[4:5]
	s_waitcnt lgkmcnt(0)
	v_add_co_u32_e64 v61, s[4:5], v70, v61
	v_addc_co_u32_e64 v62, s[4:5], v68, v62, s[4:5]
.LBB1719_151:
	s_or_b64 exec, exec, s[30:31]
	v_cmp_eq_u32_e64 s[4:5], 0, v67
	v_cndmask_b32_e64 v70, 0, v61, s[4:5]
	v_add_u32_e32 v68, v69, v67
	v_cndmask_b32_e64 v67, 0, v62, s[4:5]
	v_add_co_u32_e64 v59, s[4:5], v70, v59
	v_addc_co_u32_e64 v60, s[4:5], v67, v60, s[4:5]
	v_subrev_co_u32_e64 v67, s[4:5], 1, v63
	v_and_b32_e32 v70, 64, v63
	v_cmp_lt_i32_e64 s[30:31], v67, v70
	v_cndmask_b32_e64 v63, v67, v63, s[30:31]
	v_lshlrev_b32_e32 v63, 2, v63
	ds_bpermute_b32 v59, v63, v59
	ds_bpermute_b32 v67, v63, v68
	;; [unrolled: 1-line block ×3, first 2 shown]
	s_waitcnt lgkmcnt(2)
	v_cndmask_b32_e64 v91, v59, v61, s[4:5]
	s_waitcnt lgkmcnt(1)
	v_cndmask_b32_e64 v60, v67, v69, s[4:5]
	s_waitcnt lgkmcnt(0)
	v_cndmask_b32_e64 v92, v68, v62, s[4:5]
	v_cndmask_b32_e64 v59, v91, v65, s[38:39]
	v_cmp_eq_u32_e64 s[4:5], 0, v97
	v_cndmask_b32_e64 v61, v92, v66, s[38:39]
	v_cndmask_b32_e64 v59, 0, v59, s[4:5]
	;; [unrolled: 1-line block ×3, first 2 shown]
	v_add_co_u32_e64 v67, s[4:5], v59, v53
	v_addc_co_u32_e64 v68, s[4:5], v61, v54, s[4:5]
	v_cndmask_b32_e64 v54, 0, v67, s[28:29]
	v_cndmask_b32_e64 v53, 0, v68, s[28:29]
	v_add_co_u32_e64 v69, s[4:5], v54, v55
	v_addc_co_u32_e64 v70, s[4:5], v53, v56, s[4:5]
	v_cndmask_b32_e64 v54, 0, v69, s[26:27]
	v_cndmask_b32_e64 v53, 0, v70, s[26:27]
	;; [unrolled: 4-line block ×11, first 2 shown]
	v_add_co_u32_e64 v89, s[4:5], v34, v35
	v_addc_co_u32_e64 v90, s[4:5], v33, v36, s[4:5]
	v_cndmask_b32_e64 v34, 0, v89, s[8:9]
	ds_read_b32 v59, v64 offset:4176
	v_cndmask_b32_e64 v33, 0, v90, s[8:9]
	v_add_co_u32_e64 v93, s[4:5], v34, v1
	v_addc_co_u32_e64 v94, s[4:5], v33, v2, s[4:5]
	ds_read_b64 v[1:2], v64 offset:4184
	v_cndmask_b32_e32 v96, 0, v94, vcc
	v_cndmask_b32_e32 v95, 0, v93, vcc
	s_waitcnt lgkmcnt(1)
	v_cmp_eq_u32_e32 vcc, 0, v59
	v_cndmask_b32_e32 v34, 0, v65, vcc
	v_cndmask_b32_e32 v33, 0, v66, vcc
	s_waitcnt lgkmcnt(0)
	v_add_co_u32_e32 v61, vcc, v34, v1
	v_addc_co_u32_e32 v62, vcc, v33, v2, vcc
	s_and_saveexec_b64 s[4:5], s[38:39]
	s_cbranch_execz .LBB1719_153
; %bb.152:
	v_mov_b32_e32 v92, v66
	v_mov_b32_e32 v60, 0
	;; [unrolled: 1-line block ×4, first 2 shown]
	global_store_dword v60, v59, s[42:43] offset:1024
	global_store_dwordx2 v60, v[61:62], s[42:43] offset:1032
	s_waitcnt vmcnt(0)
	buffer_wbinvl1_vol
	global_store_byte v60, v1, s[44:45] offset:64
.LBB1719_153:
	s_or_b64 exec, exec, s[4:5]
	v_mov_b32_e32 v65, 0
.LBB1719_154:
	s_cmp_eq_u64 s[54:55], 0
	s_cselect_b64 s[4:5], -1, 0
	s_or_b64 s[4:5], s[46:47], s[4:5]
	v_mov_b32_e32 v1, 0
	s_and_b64 vcc, exec, s[4:5]
	v_mov_b32_e32 v2, 0
	s_waitcnt vmcnt(0)
	s_barrier
	s_cbranch_vccnz .LBB1719_156
; %bb.155:
	v_mov_b32_e32 v1, 0
	global_load_dwordx2 v[1:2], v1, s[54:55]
.LBB1719_156:
	s_nop 0
	buffer_load_dword v53, off, s[0:3], 0
	buffer_load_dword v54, off, s[0:3], 0 offset:4
	buffer_load_dword v55, off, s[0:3], 0 offset:8
	;; [unrolled: 1-line block ×13, first 2 shown]
	v_add_u32_e32 v50, v60, v97
	buffer_load_dword v97, off, s[0:3], 0 offset:56
	s_waitcnt vmcnt(15)
	v_lshlrev_b64 v[35:36], 3, v[1:2]
	v_mov_b32_e32 v66, 0
	v_mov_b32_e32 v37, s57
	v_lshlrev_b64 v[33:34], 3, v[65:66]
	v_add_co_u32_e32 v38, vcc, s56, v35
	v_addc_co_u32_e32 v37, vcc, v37, v36, vcc
	v_add_co_u32_e32 v51, vcc, v38, v33
	v_addc_co_u32_e32 v52, vcc, v37, v34, vcc
	v_add_u32_e32 v49, v50, v110
	v_add_u32_e32 v48, v49, v109
	;; [unrolled: 1-line block ×11, first 2 shown]
	s_movk_i32 s4, 0x100
	v_add_u32_e32 v38, v39, v106
	v_add_u32_e32 v37, v38, v107
	s_mov_b64 s[40:41], -1
	s_waitcnt vmcnt(14)
	v_cmp_eq_u32_e32 vcc, 0, v53
	v_cmp_ne_u32_e64 s[36:37], 0, v53
	v_cndmask_b32_e64 v53, 1, 2, vcc
	s_waitcnt vmcnt(13)
	v_cmp_eq_u32_e32 vcc, 0, v54
	v_cmp_ne_u32_e64 s[34:35], 0, v54
	v_cndmask_b32_e64 v54, 1, 2, vcc
	;; [unrolled: 4-line block ×3, first 2 shown]
	s_waitcnt vmcnt(11)
	v_cmp_eq_u32_e32 vcc, 0, v56
	v_and_b32_e32 v53, v54, v53
	v_cmp_ne_u32_e64 s[28:29], 0, v56
	v_cndmask_b32_e64 v56, 1, 2, vcc
	s_waitcnt vmcnt(10)
	v_cmp_eq_u32_e32 vcc, 0, v63
	v_and_b32_e32 v53, v53, v55
	v_cmp_ne_u32_e64 s[26:27], 0, v63
	v_cndmask_b32_e64 v63, 1, 2, vcc
	;; [unrolled: 5-line block ×3, first 2 shown]
	s_waitcnt vmcnt(8)
	v_cmp_eq_u32_e32 vcc, 0, v111
	v_and_b32_e32 v53, v53, v63
	v_cndmask_b32_e64 v66, 1, 2, vcc
	s_waitcnt vmcnt(7)
	v_cmp_eq_u32_e32 vcc, 0, v112
	v_and_b32_e32 v53, v53, v64
	v_cndmask_b32_e64 v98, 1, 2, vcc
	;; [unrolled: 4-line block ×7, first 2 shown]
	v_and_b32_e32 v53, v53, v102
	s_waitcnt vmcnt(1)
	v_cmp_eq_u32_e32 vcc, 0, v118
	v_and_b32_e32 v53, v53, v103
	v_cndmask_b32_e64 v54, 1, 2, vcc
	s_waitcnt vmcnt(0)
	v_cmp_eq_u32_e32 vcc, 0, v97
	v_and_b32_e32 v53, v53, v54
	v_cndmask_b32_e64 v54, 1, 2, vcc
	v_and_b32_e32 v53, v53, v54
	v_cmp_gt_u32_e32 vcc, s4, v59
	v_cmp_ne_u32_e64 s[22:23], 0, v111
	v_cmp_ne_u32_e64 s[20:21], 0, v112
	v_cmp_ne_u32_e64 s[18:19], 0, v113
	v_cmp_ne_u32_e64 s[16:17], 0, v114
	v_cmp_ne_u32_e64 s[14:15], 0, v115
	v_cmp_ne_u32_e64 s[12:13], 0, v116
	v_cmp_ne_u32_e64 s[10:11], 0, v117
	v_cmp_ne_u32_e64 s[6:7], 0, v118
	v_cmp_ne_u32_e64 s[8:9], 0, v97
	v_cmp_gt_i16_e64 s[4:5], 2, v53
	s_cbranch_vccz .LBB1719_163
; %bb.157:
	s_and_saveexec_b64 s[40:41], s[4:5]
	s_cbranch_execz .LBB1719_162
; %bb.158:
	v_cmp_ne_u16_e32 vcc, 1, v53
	s_mov_b64 s[42:43], 0
	s_and_saveexec_b64 s[4:5], vcc
	s_xor_b64 s[4:5], exec, s[4:5]
	s_cbranch_execnz .LBB1719_198
; %bb.159:
	s_andn2_saveexec_b64 s[4:5], s[4:5]
	s_cbranch_execnz .LBB1719_214
.LBB1719_160:
	s_or_b64 exec, exec, s[4:5]
	s_and_b64 exec, exec, s[42:43]
	s_cbranch_execz .LBB1719_162
.LBB1719_161:
	v_sub_u32_e32 v54, v37, v65
	v_mov_b32_e32 v55, 0
	v_lshlrev_b64 v[54:55], 3, v[54:55]
	v_add_co_u32_e32 v54, vcc, v51, v54
	v_addc_co_u32_e32 v55, vcc, v52, v55, vcc
	global_store_dwordx2 v[54:55], v[57:58], off
.LBB1719_162:
	s_or_b64 exec, exec, s[40:41]
	s_mov_b64 s[40:41], 0
.LBB1719_163:
	s_and_b64 vcc, exec, s[40:41]
	s_cbranch_vccz .LBB1719_173
; %bb.164:
	v_cmp_gt_i16_e32 vcc, 2, v53
	s_and_saveexec_b64 s[4:5], vcc
	s_cbranch_execz .LBB1719_169
; %bb.165:
	v_cmp_ne_u16_e32 vcc, 1, v53
	s_mov_b64 s[42:43], 0
	s_and_saveexec_b64 s[40:41], vcc
	s_xor_b64 s[40:41], exec, s[40:41]
	s_cbranch_execnz .LBB1719_215
; %bb.166:
	s_andn2_saveexec_b64 s[6:7], s[40:41]
	s_cbranch_execnz .LBB1719_231
.LBB1719_167:
	s_or_b64 exec, exec, s[6:7]
	s_and_b64 exec, exec, s[42:43]
.LBB1719_168:
	v_sub_u32_e32 v5, v37, v65
	v_lshlrev_b32_e32 v5, 3, v5
	ds_write_b64 v5, v[57:58]
.LBB1719_169:
	s_or_b64 exec, exec, s[4:5]
	v_cmp_lt_u32_e32 vcc, v0, v59
	s_waitcnt vmcnt(0) lgkmcnt(0)
	s_barrier
	s_and_saveexec_b64 s[6:7], vcc
	s_cbranch_execz .LBB1719_172
; %bb.170:
	v_lshlrev_b32_e32 v7, 3, v0
	s_mov_b64 s[8:9], 0
	v_mov_b32_e32 v6, 0
	v_mov_b32_e32 v5, v0
.LBB1719_171:                           ; =>This Inner Loop Header: Depth=1
	ds_read_b64 v[10:11], v7
	v_lshlrev_b64 v[8:9], 3, v[5:6]
	v_add_u32_e32 v5, 0x100, v5
	v_cmp_ge_u32_e32 vcc, v5, v59
	v_add_co_u32_e64 v8, s[4:5], v51, v8
	v_add_u32_e32 v7, 0x800, v7
	v_addc_co_u32_e64 v9, s[4:5], v52, v9, s[4:5]
	s_or_b64 s[8:9], vcc, s[8:9]
	s_waitcnt lgkmcnt(0)
	global_store_dwordx2 v[8:9], v[10:11], off
	s_andn2_b64 exec, exec, s[8:9]
	s_cbranch_execnz .LBB1719_171
.LBB1719_172:
	s_or_b64 exec, exec, s[6:7]
.LBB1719_173:
	s_and_b64 s[6:7], s[38:39], s[50:51]
	s_waitcnt vmcnt(0)
	s_barrier
	s_and_saveexec_b64 s[4:5], s[6:7]
	s_cbranch_execz .LBB1719_175
; %bb.174:
	v_mov_b32_e32 v5, 0
	buffer_store_dword v5, off, s[0:3], 0
.LBB1719_175:
	s_or_b64 exec, exec, s[4:5]
	s_mul_hi_u32 s4, s33, 0x88888889
	s_lshr_b32 s4, s4, 3
	v_cmp_eq_u32_e32 vcc, s4, v0
	s_and_b64 s[6:7], vcc, s[48:49]
	s_and_saveexec_b64 s[4:5], s[6:7]
	s_cbranch_execz .LBB1719_177
; %bb.176:
	s_lshl_b32 s6, s33, 2
	v_mov_b32_e32 v5, s6
	s_movk_i32 s6, 0xffc4
	v_mad_i32_i24 v5, v0, s6, v5
	v_mov_b32_e32 v6, 1
	buffer_store_dword v6, v5, s[0:3], 0 offen
.LBB1719_177:
	s_or_b64 exec, exec, s[4:5]
	buffer_load_dword v11, off, s[0:3], 0
	buffer_load_dword v12, off, s[0:3], 0 offset:4
	buffer_load_dword v13, off, s[0:3], 0 offset:8
	;; [unrolled: 1-line block ×14, first 2 shown]
	v_add_co_u32_e32 v3, vcc, v95, v3
	v_addc_co_u32_e32 v4, vcc, v96, v4, vcc
	v_mov_b32_e32 v6, s59
	v_add_co_u32_e32 v8, vcc, s58, v35
	v_cndmask_b32_e64 v5, 0, 1, s[50:51]
	v_addc_co_u32_e32 v6, vcc, v6, v36, vcc
	v_sub_u32_e32 v7, v59, v5
	v_lshlrev_b32_e32 v9, 3, v5
	v_add_u32_e32 v10, v65, v5
	v_add_co_u32_e32 v5, vcc, v8, v33
	v_addc_co_u32_e32 v6, vcc, v6, v34, vcc
	v_add_co_u32_e32 v8, vcc, v5, v9
	v_addc_co_u32_e32 v9, vcc, 0, v6, vcc
	v_add_co_u32_e32 v8, vcc, -8, v8
	v_addc_co_u32_e32 v9, vcc, -1, v9, vcc
	s_cmpk_lg_i32 s33, 0xf00
	s_cselect_b64 s[4:5], -1, 0
	s_and_b64 s[4:5], s[4:5], s[48:49]
	v_cndmask_b32_e64 v26, 0, 1, s[4:5]
	v_add_u32_e32 v7, v7, v26
	s_movk_i32 s36, 0x100
	s_mov_b64 s[38:39], -1
	s_waitcnt vmcnt(14)
	v_cmp_eq_u32_e32 vcc, 0, v11
	v_cmp_ne_u32_e64 s[34:35], 0, v11
	v_cndmask_b32_e64 v11, 1, 2, vcc
	s_waitcnt vmcnt(13)
	v_cmp_eq_u32_e32 vcc, 0, v12
	v_cmp_ne_u32_e64 s[30:31], 0, v12
	v_cndmask_b32_e64 v12, 1, 2, vcc
	;; [unrolled: 4-line block ×3, first 2 shown]
	s_waitcnt vmcnt(11)
	v_cmp_eq_u32_e32 vcc, 0, v14
	v_and_b32_e32 v11, v12, v11
	v_cmp_ne_u32_e64 s[26:27], 0, v14
	v_cndmask_b32_e64 v14, 1, 2, vcc
	s_waitcnt vmcnt(10)
	v_cmp_eq_u32_e32 vcc, 0, v15
	v_and_b32_e32 v11, v11, v13
	v_cmp_ne_u32_e64 s[24:25], 0, v15
	v_cndmask_b32_e64 v15, 1, 2, vcc
	;; [unrolled: 5-line block ×9, first 2 shown]
	v_and_b32_e32 v11, v11, v21
	s_waitcnt vmcnt(2)
	v_cmp_eq_u32_e32 vcc, 0, v23
	v_and_b32_e32 v11, v11, v22
	v_cndmask_b32_e64 v12, 1, 2, vcc
	s_waitcnt vmcnt(1)
	v_cmp_eq_u32_e32 vcc, 0, v24
	v_and_b32_e32 v11, v11, v12
	v_cndmask_b32_e64 v12, 1, 2, vcc
	;; [unrolled: 4-line block ×3, first 2 shown]
	v_and_b32_e32 v11, v11, v12
	v_cmp_gt_u32_e32 vcc, s36, v7
	v_cmp_ne_u32_e64 s[10:11], 0, v23
	v_cmp_ne_u32_e64 s[6:7], 0, v24
	;; [unrolled: 1-line block ×3, first 2 shown]
	v_cmp_gt_i16_e64 s[36:37], 2, v11
	s_cbranch_vccz .LBB1719_184
; %bb.178:
	s_and_saveexec_b64 s[38:39], s[36:37]
	s_cbranch_execz .LBB1719_183
; %bb.179:
	v_cmp_ne_u16_e32 vcc, 1, v11
	s_mov_b64 s[40:41], 0
	s_and_saveexec_b64 s[36:37], vcc
	s_xor_b64 s[36:37], exec, s[36:37]
	s_cbranch_execnz .LBB1719_232
; %bb.180:
	s_andn2_saveexec_b64 s[36:37], s[36:37]
	s_cbranch_execnz .LBB1719_248
.LBB1719_181:
	s_or_b64 exec, exec, s[36:37]
	s_and_b64 exec, exec, s[40:41]
	s_cbranch_execz .LBB1719_183
.LBB1719_182:
	v_sub_u32_e32 v12, v37, v10
	v_mov_b32_e32 v13, 0
	v_lshlrev_b64 v[12:13], 3, v[12:13]
	v_add_co_u32_e32 v12, vcc, v8, v12
	v_addc_co_u32_e32 v13, vcc, v9, v13, vcc
	global_store_dwordx2 v[12:13], v[3:4], off
.LBB1719_183:
	s_or_b64 exec, exec, s[38:39]
	s_mov_b64 s[38:39], 0
.LBB1719_184:
	s_and_b64 vcc, exec, s[38:39]
	s_cbranch_vccz .LBB1719_194
; %bb.185:
	v_cmp_gt_i16_e32 vcc, 2, v11
	s_and_saveexec_b64 s[36:37], vcc
	s_cbranch_execz .LBB1719_190
; %bb.186:
	v_cmp_ne_u16_e32 vcc, 1, v11
	s_mov_b64 s[40:41], 0
	s_and_saveexec_b64 s[38:39], vcc
	s_xor_b64 s[38:39], exec, s[38:39]
	s_cbranch_execnz .LBB1719_249
; %bb.187:
	s_andn2_saveexec_b64 s[4:5], s[38:39]
	s_cbranch_execnz .LBB1719_265
.LBB1719_188:
	s_or_b64 exec, exec, s[4:5]
	s_and_b64 exec, exec, s[40:41]
.LBB1719_189:
	v_sub_u32_e32 v10, v37, v10
	v_lshlrev_b32_e32 v10, 3, v10
	ds_write_b64 v10, v[3:4]
.LBB1719_190:
	s_or_b64 exec, exec, s[36:37]
	v_cmp_lt_u32_e32 vcc, v0, v7
	s_waitcnt vmcnt(0) lgkmcnt(0)
	s_barrier
	s_and_saveexec_b64 s[6:7], vcc
	s_cbranch_execz .LBB1719_193
; %bb.191:
	v_lshlrev_b32_e32 v10, 3, v0
	s_mov_b64 s[8:9], 0
	v_mov_b32_e32 v4, 0
	v_mov_b32_e32 v3, v0
.LBB1719_192:                           ; =>This Inner Loop Header: Depth=1
	ds_read_b64 v[13:14], v10
	v_lshlrev_b64 v[11:12], 3, v[3:4]
	v_add_u32_e32 v3, 0x100, v3
	v_cmp_ge_u32_e32 vcc, v3, v7
	v_add_co_u32_e64 v11, s[4:5], v8, v11
	v_add_u32_e32 v10, 0x800, v10
	v_addc_co_u32_e64 v12, s[4:5], v9, v12, s[4:5]
	s_or_b64 s[8:9], vcc, s[8:9]
	s_waitcnt lgkmcnt(0)
	global_store_dwordx2 v[11:12], v[13:14], off
	s_andn2_b64 exec, exec, s[8:9]
	s_cbranch_execnz .LBB1719_192
.LBB1719_193:
	s_or_b64 exec, exec, s[6:7]
.LBB1719_194:
	s_movk_i32 s4, 0xff
	v_cmp_eq_u32_e32 vcc, s4, v0
	s_and_b64 s[4:5], vcc, s[48:49]
	s_and_saveexec_b64 s[6:7], s[4:5]
	s_cbranch_execz .LBB1719_197
; %bb.195:
	v_add_co_u32_e32 v0, vcc, v59, v65
	v_addc_co_u32_e64 v3, s[4:5], 0, 0, vcc
	v_add_co_u32_e32 v0, vcc, v0, v1
	v_mov_b32_e32 v60, 0
	v_addc_co_u32_e32 v1, vcc, v3, v2, vcc
	s_cmpk_lg_i32 s33, 0xf00
	global_store_dwordx2 v60, v[0:1], s[60:61]
	s_cbranch_scc1 .LBB1719_197
; %bb.196:
	v_lshlrev_b64 v[0:1], 3, v[59:60]
	v_add_co_u32_e32 v0, vcc, v5, v0
	v_addc_co_u32_e32 v1, vcc, v6, v1, vcc
	global_store_dwordx2 v[0:1], v[61:62], off offset:-8
.LBB1719_197:
	s_endpgm
.LBB1719_198:
	s_and_saveexec_b64 s[42:43], s[36:37]
	s_cbranch_execnz .LBB1719_266
; %bb.199:
	s_or_b64 exec, exec, s[42:43]
	s_and_saveexec_b64 s[42:43], s[34:35]
	s_cbranch_execnz .LBB1719_267
.LBB1719_200:
	s_or_b64 exec, exec, s[42:43]
	s_and_saveexec_b64 s[42:43], s[30:31]
	s_cbranch_execnz .LBB1719_268
.LBB1719_201:
	s_or_b64 exec, exec, s[42:43]
	s_and_saveexec_b64 s[42:43], s[28:29]
	s_cbranch_execnz .LBB1719_269
.LBB1719_202:
	s_or_b64 exec, exec, s[42:43]
	s_and_saveexec_b64 s[42:43], s[26:27]
	s_cbranch_execnz .LBB1719_270
.LBB1719_203:
	s_or_b64 exec, exec, s[42:43]
	s_and_saveexec_b64 s[42:43], s[24:25]
	s_cbranch_execnz .LBB1719_271
.LBB1719_204:
	s_or_b64 exec, exec, s[42:43]
	s_and_saveexec_b64 s[42:43], s[22:23]
	s_cbranch_execnz .LBB1719_272
.LBB1719_205:
	s_or_b64 exec, exec, s[42:43]
	s_and_saveexec_b64 s[42:43], s[20:21]
	s_cbranch_execnz .LBB1719_273
.LBB1719_206:
	s_or_b64 exec, exec, s[42:43]
	s_and_saveexec_b64 s[42:43], s[18:19]
	s_cbranch_execnz .LBB1719_274
.LBB1719_207:
	s_or_b64 exec, exec, s[42:43]
	s_and_saveexec_b64 s[42:43], s[16:17]
	s_cbranch_execnz .LBB1719_275
.LBB1719_208:
	s_or_b64 exec, exec, s[42:43]
	s_and_saveexec_b64 s[42:43], s[14:15]
	s_cbranch_execnz .LBB1719_276
.LBB1719_209:
	s_or_b64 exec, exec, s[42:43]
	s_and_saveexec_b64 s[42:43], s[12:13]
	s_cbranch_execnz .LBB1719_277
.LBB1719_210:
	s_or_b64 exec, exec, s[42:43]
	s_and_saveexec_b64 s[42:43], s[10:11]
	s_cbranch_execnz .LBB1719_278
.LBB1719_211:
	s_or_b64 exec, exec, s[42:43]
	s_and_saveexec_b64 s[42:43], s[6:7]
	s_cbranch_execz .LBB1719_213
.LBB1719_212:
	v_sub_u32_e32 v54, v38, v65
	v_mov_b32_e32 v55, 0
	v_lshlrev_b64 v[54:55], 3, v[54:55]
	v_add_co_u32_e32 v54, vcc, v51, v54
	v_addc_co_u32_e32 v55, vcc, v52, v55, vcc
	global_store_dwordx2 v[54:55], v[7:8], off
.LBB1719_213:
	s_or_b64 exec, exec, s[42:43]
	s_and_b64 s[42:43], s[8:9], exec
	s_andn2_saveexec_b64 s[4:5], s[4:5]
	s_cbranch_execz .LBB1719_160
.LBB1719_214:
	v_sub_u32_e32 v54, v60, v65
	v_mov_b32_e32 v55, 0
	v_lshlrev_b64 v[63:64], 3, v[54:55]
	v_sub_u32_e32 v54, v50, v65
	v_add_co_u32_e32 v63, vcc, v51, v63
	v_addc_co_u32_e32 v64, vcc, v52, v64, vcc
	global_store_dwordx2 v[63:64], v[29:30], off
	v_lshlrev_b64 v[63:64], 3, v[54:55]
	v_sub_u32_e32 v54, v49, v65
	v_add_co_u32_e32 v63, vcc, v51, v63
	v_addc_co_u32_e32 v64, vcc, v52, v64, vcc
	global_store_dwordx2 v[63:64], v[31:32], off
	;; [unrolled: 5-line block ×12, first 2 shown]
	v_lshlrev_b64 v[63:64], 3, v[54:55]
	v_sub_u32_e32 v54, v38, v65
	v_add_co_u32_e32 v63, vcc, v51, v63
	v_lshlrev_b64 v[54:55], 3, v[54:55]
	v_addc_co_u32_e32 v64, vcc, v52, v64, vcc
	v_add_co_u32_e32 v54, vcc, v51, v54
	v_addc_co_u32_e32 v55, vcc, v52, v55, vcc
	s_or_b64 s[42:43], s[42:43], exec
	global_store_dwordx2 v[63:64], v[5:6], off
	global_store_dwordx2 v[54:55], v[7:8], off
	s_or_b64 exec, exec, s[4:5]
	s_and_b64 exec, exec, s[42:43]
	s_cbranch_execnz .LBB1719_161
	s_branch .LBB1719_162
.LBB1719_215:
	s_and_saveexec_b64 s[42:43], s[36:37]
	s_cbranch_execnz .LBB1719_279
; %bb.216:
	s_or_b64 exec, exec, s[42:43]
	s_and_saveexec_b64 s[36:37], s[34:35]
	s_cbranch_execnz .LBB1719_280
.LBB1719_217:
	s_or_b64 exec, exec, s[36:37]
	s_and_saveexec_b64 s[34:35], s[30:31]
	s_cbranch_execnz .LBB1719_281
.LBB1719_218:
	s_or_b64 exec, exec, s[34:35]
	s_and_saveexec_b64 s[30:31], s[28:29]
	s_cbranch_execnz .LBB1719_282
.LBB1719_219:
	s_or_b64 exec, exec, s[30:31]
	s_and_saveexec_b64 s[28:29], s[26:27]
	s_cbranch_execnz .LBB1719_283
.LBB1719_220:
	s_or_b64 exec, exec, s[28:29]
	s_and_saveexec_b64 s[26:27], s[24:25]
	s_cbranch_execnz .LBB1719_284
.LBB1719_221:
	s_or_b64 exec, exec, s[26:27]
	s_and_saveexec_b64 s[24:25], s[22:23]
	s_cbranch_execnz .LBB1719_285
.LBB1719_222:
	s_or_b64 exec, exec, s[24:25]
	s_and_saveexec_b64 s[22:23], s[20:21]
	s_cbranch_execnz .LBB1719_286
.LBB1719_223:
	s_or_b64 exec, exec, s[22:23]
	s_and_saveexec_b64 s[20:21], s[18:19]
	s_cbranch_execnz .LBB1719_287
.LBB1719_224:
	s_or_b64 exec, exec, s[20:21]
	s_and_saveexec_b64 s[18:19], s[16:17]
	s_cbranch_execnz .LBB1719_288
.LBB1719_225:
	s_or_b64 exec, exec, s[18:19]
	s_and_saveexec_b64 s[16:17], s[14:15]
	s_cbranch_execnz .LBB1719_289
.LBB1719_226:
	s_or_b64 exec, exec, s[16:17]
	s_and_saveexec_b64 s[14:15], s[12:13]
	s_cbranch_execnz .LBB1719_290
.LBB1719_227:
	s_or_b64 exec, exec, s[14:15]
	s_and_saveexec_b64 s[12:13], s[10:11]
	s_cbranch_execnz .LBB1719_291
.LBB1719_228:
	s_or_b64 exec, exec, s[12:13]
	s_and_saveexec_b64 s[10:11], s[6:7]
.LBB1719_229:
	v_sub_u32_e32 v5, v38, v65
	v_lshlrev_b32_e32 v5, 3, v5
	ds_write_b64 v5, v[7:8]
.LBB1719_230:
	s_or_b64 exec, exec, s[10:11]
	s_and_b64 s[42:43], s[8:9], exec
                                        ; implicit-def: $vgpr29_vgpr30
                                        ; implicit-def: $vgpr25_vgpr26
                                        ; implicit-def: $vgpr21_vgpr22
                                        ; implicit-def: $vgpr17_vgpr18
                                        ; implicit-def: $vgpr13_vgpr14
                                        ; implicit-def: $vgpr9_vgpr10
                                        ; implicit-def: $vgpr5_vgpr6
	s_andn2_saveexec_b64 s[6:7], s[40:41]
	s_cbranch_execz .LBB1719_167
.LBB1719_231:
	v_sub_u32_e32 v53, v60, v65
	v_lshlrev_b32_e32 v53, 3, v53
	ds_write_b64 v53, v[29:30]
	v_sub_u32_e32 v29, v50, v65
	v_lshlrev_b32_e32 v29, 3, v29
	ds_write_b64 v29, v[31:32]
	;; [unrolled: 3-line block ×13, first 2 shown]
	v_sub_u32_e32 v5, v38, v65
	v_lshlrev_b32_e32 v5, 3, v5
	s_or_b64 s[42:43], s[42:43], exec
	ds_write_b64 v5, v[7:8]
	s_or_b64 exec, exec, s[6:7]
	s_and_b64 exec, exec, s[42:43]
	s_cbranch_execnz .LBB1719_168
	s_branch .LBB1719_169
.LBB1719_232:
	s_and_saveexec_b64 s[40:41], s[34:35]
	s_cbranch_execnz .LBB1719_292
; %bb.233:
	s_or_b64 exec, exec, s[40:41]
	s_and_saveexec_b64 s[40:41], s[30:31]
	s_cbranch_execnz .LBB1719_293
.LBB1719_234:
	s_or_b64 exec, exec, s[40:41]
	s_and_saveexec_b64 s[40:41], s[28:29]
	s_cbranch_execnz .LBB1719_294
.LBB1719_235:
	s_or_b64 exec, exec, s[40:41]
	s_and_saveexec_b64 s[40:41], s[26:27]
	s_cbranch_execnz .LBB1719_295
.LBB1719_236:
	s_or_b64 exec, exec, s[40:41]
	s_and_saveexec_b64 s[40:41], s[24:25]
	s_cbranch_execnz .LBB1719_296
.LBB1719_237:
	s_or_b64 exec, exec, s[40:41]
	s_and_saveexec_b64 s[40:41], s[22:23]
	s_cbranch_execnz .LBB1719_297
.LBB1719_238:
	s_or_b64 exec, exec, s[40:41]
	s_and_saveexec_b64 s[40:41], s[20:21]
	s_cbranch_execnz .LBB1719_298
.LBB1719_239:
	s_or_b64 exec, exec, s[40:41]
	s_and_saveexec_b64 s[40:41], s[18:19]
	s_cbranch_execnz .LBB1719_299
.LBB1719_240:
	s_or_b64 exec, exec, s[40:41]
	s_and_saveexec_b64 s[40:41], s[16:17]
	s_cbranch_execnz .LBB1719_300
.LBB1719_241:
	s_or_b64 exec, exec, s[40:41]
	s_and_saveexec_b64 s[40:41], s[14:15]
	s_cbranch_execnz .LBB1719_301
.LBB1719_242:
	s_or_b64 exec, exec, s[40:41]
	s_and_saveexec_b64 s[40:41], s[12:13]
	s_cbranch_execnz .LBB1719_302
.LBB1719_243:
	s_or_b64 exec, exec, s[40:41]
	s_and_saveexec_b64 s[40:41], s[8:9]
	s_cbranch_execnz .LBB1719_303
.LBB1719_244:
	s_or_b64 exec, exec, s[40:41]
	s_and_saveexec_b64 s[40:41], s[10:11]
	s_cbranch_execnz .LBB1719_304
.LBB1719_245:
	s_or_b64 exec, exec, s[40:41]
	s_and_saveexec_b64 s[40:41], s[6:7]
	s_cbranch_execz .LBB1719_247
.LBB1719_246:
	v_sub_u32_e32 v12, v38, v10
	v_mov_b32_e32 v13, 0
	v_lshlrev_b64 v[12:13], 3, v[12:13]
	v_add_co_u32_e32 v12, vcc, v8, v12
	v_addc_co_u32_e32 v13, vcc, v9, v13, vcc
	global_store_dwordx2 v[12:13], v[93:94], off
.LBB1719_247:
	s_or_b64 exec, exec, s[40:41]
	s_and_b64 s[40:41], s[4:5], exec
	s_andn2_saveexec_b64 s[36:37], s[36:37]
	s_cbranch_execz .LBB1719_181
.LBB1719_248:
	v_sub_u32_e32 v12, v60, v10
	v_mov_b32_e32 v13, 0
	v_lshlrev_b64 v[14:15], 3, v[12:13]
	v_sub_u32_e32 v12, v50, v10
	v_add_co_u32_e32 v14, vcc, v8, v14
	v_addc_co_u32_e32 v15, vcc, v9, v15, vcc
	global_store_dwordx2 v[14:15], v[91:92], off
	v_lshlrev_b64 v[14:15], 3, v[12:13]
	v_sub_u32_e32 v12, v49, v10
	v_add_co_u32_e32 v14, vcc, v8, v14
	v_addc_co_u32_e32 v15, vcc, v9, v15, vcc
	global_store_dwordx2 v[14:15], v[67:68], off
	v_lshlrev_b64 v[14:15], 3, v[12:13]
	v_sub_u32_e32 v12, v48, v10
	v_add_co_u32_e32 v14, vcc, v8, v14
	v_addc_co_u32_e32 v15, vcc, v9, v15, vcc
	global_store_dwordx2 v[14:15], v[69:70], off
	v_lshlrev_b64 v[14:15], 3, v[12:13]
	v_sub_u32_e32 v12, v47, v10
	v_add_co_u32_e32 v14, vcc, v8, v14
	v_addc_co_u32_e32 v15, vcc, v9, v15, vcc
	global_store_dwordx2 v[14:15], v[71:72], off
	v_lshlrev_b64 v[14:15], 3, v[12:13]
	v_sub_u32_e32 v12, v46, v10
	v_add_co_u32_e32 v14, vcc, v8, v14
	v_addc_co_u32_e32 v15, vcc, v9, v15, vcc
	global_store_dwordx2 v[14:15], v[73:74], off
	v_lshlrev_b64 v[14:15], 3, v[12:13]
	v_sub_u32_e32 v12, v45, v10
	v_add_co_u32_e32 v14, vcc, v8, v14
	v_addc_co_u32_e32 v15, vcc, v9, v15, vcc
	global_store_dwordx2 v[14:15], v[75:76], off
	v_lshlrev_b64 v[14:15], 3, v[12:13]
	v_sub_u32_e32 v12, v44, v10
	v_add_co_u32_e32 v14, vcc, v8, v14
	v_addc_co_u32_e32 v15, vcc, v9, v15, vcc
	global_store_dwordx2 v[14:15], v[77:78], off
	v_lshlrev_b64 v[14:15], 3, v[12:13]
	v_sub_u32_e32 v12, v43, v10
	v_add_co_u32_e32 v14, vcc, v8, v14
	v_addc_co_u32_e32 v15, vcc, v9, v15, vcc
	global_store_dwordx2 v[14:15], v[79:80], off
	v_lshlrev_b64 v[14:15], 3, v[12:13]
	v_sub_u32_e32 v12, v42, v10
	v_add_co_u32_e32 v14, vcc, v8, v14
	v_addc_co_u32_e32 v15, vcc, v9, v15, vcc
	global_store_dwordx2 v[14:15], v[81:82], off
	v_lshlrev_b64 v[14:15], 3, v[12:13]
	v_sub_u32_e32 v12, v41, v10
	v_add_co_u32_e32 v14, vcc, v8, v14
	v_addc_co_u32_e32 v15, vcc, v9, v15, vcc
	global_store_dwordx2 v[14:15], v[83:84], off
	v_lshlrev_b64 v[14:15], 3, v[12:13]
	v_sub_u32_e32 v12, v40, v10
	v_add_co_u32_e32 v14, vcc, v8, v14
	v_addc_co_u32_e32 v15, vcc, v9, v15, vcc
	global_store_dwordx2 v[14:15], v[85:86], off
	v_lshlrev_b64 v[14:15], 3, v[12:13]
	v_sub_u32_e32 v12, v39, v10
	v_add_co_u32_e32 v14, vcc, v8, v14
	v_addc_co_u32_e32 v15, vcc, v9, v15, vcc
	global_store_dwordx2 v[14:15], v[87:88], off
	v_lshlrev_b64 v[14:15], 3, v[12:13]
	v_sub_u32_e32 v12, v38, v10
	v_add_co_u32_e32 v14, vcc, v8, v14
	v_lshlrev_b64 v[12:13], 3, v[12:13]
	v_addc_co_u32_e32 v15, vcc, v9, v15, vcc
	v_add_co_u32_e32 v12, vcc, v8, v12
	v_addc_co_u32_e32 v13, vcc, v9, v13, vcc
	s_or_b64 s[40:41], s[40:41], exec
	global_store_dwordx2 v[14:15], v[89:90], off
	global_store_dwordx2 v[12:13], v[93:94], off
	s_or_b64 exec, exec, s[36:37]
	s_and_b64 exec, exec, s[40:41]
	s_cbranch_execnz .LBB1719_182
	s_branch .LBB1719_183
.LBB1719_249:
	s_and_saveexec_b64 s[40:41], s[34:35]
	s_cbranch_execnz .LBB1719_305
; %bb.250:
	s_or_b64 exec, exec, s[40:41]
	s_and_saveexec_b64 s[34:35], s[30:31]
	s_cbranch_execnz .LBB1719_306
.LBB1719_251:
	s_or_b64 exec, exec, s[34:35]
	s_and_saveexec_b64 s[30:31], s[28:29]
	s_cbranch_execnz .LBB1719_307
.LBB1719_252:
	s_or_b64 exec, exec, s[30:31]
	s_and_saveexec_b64 s[28:29], s[26:27]
	s_cbranch_execnz .LBB1719_308
.LBB1719_253:
	s_or_b64 exec, exec, s[28:29]
	s_and_saveexec_b64 s[26:27], s[24:25]
	s_cbranch_execnz .LBB1719_309
.LBB1719_254:
	s_or_b64 exec, exec, s[26:27]
	s_and_saveexec_b64 s[24:25], s[22:23]
	s_cbranch_execnz .LBB1719_310
.LBB1719_255:
	s_or_b64 exec, exec, s[24:25]
	s_and_saveexec_b64 s[22:23], s[20:21]
	s_cbranch_execnz .LBB1719_311
.LBB1719_256:
	s_or_b64 exec, exec, s[22:23]
	s_and_saveexec_b64 s[20:21], s[18:19]
	s_cbranch_execnz .LBB1719_312
.LBB1719_257:
	s_or_b64 exec, exec, s[20:21]
	s_and_saveexec_b64 s[18:19], s[16:17]
	s_cbranch_execnz .LBB1719_313
.LBB1719_258:
	s_or_b64 exec, exec, s[18:19]
	s_and_saveexec_b64 s[16:17], s[14:15]
	s_cbranch_execnz .LBB1719_314
.LBB1719_259:
	s_or_b64 exec, exec, s[16:17]
	s_and_saveexec_b64 s[14:15], s[12:13]
	s_cbranch_execnz .LBB1719_315
.LBB1719_260:
	s_or_b64 exec, exec, s[14:15]
	s_and_saveexec_b64 s[12:13], s[8:9]
	s_cbranch_execnz .LBB1719_316
.LBB1719_261:
	s_or_b64 exec, exec, s[12:13]
	s_and_saveexec_b64 s[8:9], s[10:11]
	s_cbranch_execnz .LBB1719_317
.LBB1719_262:
	s_or_b64 exec, exec, s[8:9]
	s_and_saveexec_b64 s[8:9], s[6:7]
.LBB1719_263:
	v_sub_u32_e32 v11, v38, v10
	v_lshlrev_b32_e32 v11, 3, v11
	ds_write_b64 v11, v[93:94]
.LBB1719_264:
	s_or_b64 exec, exec, s[8:9]
	s_and_b64 s[40:41], s[4:5], exec
                                        ; implicit-def: $vgpr91_vgpr92
                                        ; implicit-def: $vgpr67_vgpr68
                                        ; implicit-def: $vgpr69_vgpr70
                                        ; implicit-def: $vgpr71_vgpr72
                                        ; implicit-def: $vgpr73_vgpr74
                                        ; implicit-def: $vgpr75_vgpr76
                                        ; implicit-def: $vgpr77_vgpr78
                                        ; implicit-def: $vgpr79_vgpr80
                                        ; implicit-def: $vgpr81_vgpr82
                                        ; implicit-def: $vgpr83_vgpr84
                                        ; implicit-def: $vgpr85_vgpr86
                                        ; implicit-def: $vgpr87_vgpr88
                                        ; implicit-def: $vgpr89_vgpr90
                                        ; implicit-def: $vgpr93_vgpr94
                                        ; implicit-def: $vgpr60
                                        ; implicit-def: $vgpr50
                                        ; implicit-def: $vgpr49
                                        ; implicit-def: $vgpr48
                                        ; implicit-def: $vgpr47
                                        ; implicit-def: $vgpr46
                                        ; implicit-def: $vgpr45
                                        ; implicit-def: $vgpr44
                                        ; implicit-def: $vgpr43
                                        ; implicit-def: $vgpr42
                                        ; implicit-def: $vgpr41
                                        ; implicit-def: $vgpr40
                                        ; implicit-def: $vgpr39
                                        ; implicit-def: $vgpr38
	s_andn2_saveexec_b64 s[4:5], s[38:39]
	s_cbranch_execz .LBB1719_188
.LBB1719_265:
	v_sub_u32_e32 v11, v60, v10
	v_lshlrev_b32_e32 v11, 3, v11
	ds_write_b64 v11, v[91:92]
	v_sub_u32_e32 v11, v50, v10
	v_lshlrev_b32_e32 v11, 3, v11
	ds_write_b64 v11, v[67:68]
	;; [unrolled: 3-line block ×13, first 2 shown]
	v_sub_u32_e32 v11, v38, v10
	v_lshlrev_b32_e32 v11, 3, v11
	s_or_b64 s[40:41], s[40:41], exec
	ds_write_b64 v11, v[93:94]
	s_or_b64 exec, exec, s[4:5]
	s_and_b64 exec, exec, s[40:41]
	s_cbranch_execnz .LBB1719_189
	s_branch .LBB1719_190
.LBB1719_266:
	v_sub_u32_e32 v54, v60, v65
	v_mov_b32_e32 v55, 0
	v_lshlrev_b64 v[54:55], 3, v[54:55]
	v_add_co_u32_e32 v54, vcc, v51, v54
	v_addc_co_u32_e32 v55, vcc, v52, v55, vcc
	global_store_dwordx2 v[54:55], v[29:30], off
	s_or_b64 exec, exec, s[42:43]
	s_and_saveexec_b64 s[42:43], s[34:35]
	s_cbranch_execz .LBB1719_200
.LBB1719_267:
	v_sub_u32_e32 v54, v50, v65
	v_mov_b32_e32 v55, 0
	v_lshlrev_b64 v[54:55], 3, v[54:55]
	v_add_co_u32_e32 v54, vcc, v51, v54
	v_addc_co_u32_e32 v55, vcc, v52, v55, vcc
	global_store_dwordx2 v[54:55], v[31:32], off
	s_or_b64 exec, exec, s[42:43]
	s_and_saveexec_b64 s[42:43], s[30:31]
	s_cbranch_execz .LBB1719_201
.LBB1719_268:
	v_sub_u32_e32 v54, v49, v65
	v_mov_b32_e32 v55, 0
	v_lshlrev_b64 v[54:55], 3, v[54:55]
	v_add_co_u32_e32 v54, vcc, v51, v54
	v_addc_co_u32_e32 v55, vcc, v52, v55, vcc
	global_store_dwordx2 v[54:55], v[25:26], off
	s_or_b64 exec, exec, s[42:43]
	s_and_saveexec_b64 s[42:43], s[28:29]
	s_cbranch_execz .LBB1719_202
.LBB1719_269:
	v_sub_u32_e32 v54, v48, v65
	v_mov_b32_e32 v55, 0
	v_lshlrev_b64 v[54:55], 3, v[54:55]
	v_add_co_u32_e32 v54, vcc, v51, v54
	v_addc_co_u32_e32 v55, vcc, v52, v55, vcc
	global_store_dwordx2 v[54:55], v[27:28], off
	s_or_b64 exec, exec, s[42:43]
	s_and_saveexec_b64 s[42:43], s[26:27]
	s_cbranch_execz .LBB1719_203
.LBB1719_270:
	v_sub_u32_e32 v54, v47, v65
	v_mov_b32_e32 v55, 0
	v_lshlrev_b64 v[54:55], 3, v[54:55]
	v_add_co_u32_e32 v54, vcc, v51, v54
	v_addc_co_u32_e32 v55, vcc, v52, v55, vcc
	global_store_dwordx2 v[54:55], v[21:22], off
	s_or_b64 exec, exec, s[42:43]
	s_and_saveexec_b64 s[42:43], s[24:25]
	s_cbranch_execz .LBB1719_204
.LBB1719_271:
	v_sub_u32_e32 v54, v46, v65
	v_mov_b32_e32 v55, 0
	v_lshlrev_b64 v[54:55], 3, v[54:55]
	v_add_co_u32_e32 v54, vcc, v51, v54
	v_addc_co_u32_e32 v55, vcc, v52, v55, vcc
	global_store_dwordx2 v[54:55], v[23:24], off
	s_or_b64 exec, exec, s[42:43]
	s_and_saveexec_b64 s[42:43], s[22:23]
	s_cbranch_execz .LBB1719_205
.LBB1719_272:
	v_sub_u32_e32 v54, v45, v65
	v_mov_b32_e32 v55, 0
	v_lshlrev_b64 v[54:55], 3, v[54:55]
	v_add_co_u32_e32 v54, vcc, v51, v54
	v_addc_co_u32_e32 v55, vcc, v52, v55, vcc
	global_store_dwordx2 v[54:55], v[17:18], off
	s_or_b64 exec, exec, s[42:43]
	s_and_saveexec_b64 s[42:43], s[20:21]
	s_cbranch_execz .LBB1719_206
.LBB1719_273:
	v_sub_u32_e32 v54, v44, v65
	v_mov_b32_e32 v55, 0
	v_lshlrev_b64 v[54:55], 3, v[54:55]
	v_add_co_u32_e32 v54, vcc, v51, v54
	v_addc_co_u32_e32 v55, vcc, v52, v55, vcc
	global_store_dwordx2 v[54:55], v[19:20], off
	s_or_b64 exec, exec, s[42:43]
	s_and_saveexec_b64 s[42:43], s[18:19]
	s_cbranch_execz .LBB1719_207
.LBB1719_274:
	v_sub_u32_e32 v54, v43, v65
	v_mov_b32_e32 v55, 0
	v_lshlrev_b64 v[54:55], 3, v[54:55]
	v_add_co_u32_e32 v54, vcc, v51, v54
	v_addc_co_u32_e32 v55, vcc, v52, v55, vcc
	global_store_dwordx2 v[54:55], v[13:14], off
	s_or_b64 exec, exec, s[42:43]
	s_and_saveexec_b64 s[42:43], s[16:17]
	s_cbranch_execz .LBB1719_208
.LBB1719_275:
	v_sub_u32_e32 v54, v42, v65
	v_mov_b32_e32 v55, 0
	v_lshlrev_b64 v[54:55], 3, v[54:55]
	v_add_co_u32_e32 v54, vcc, v51, v54
	v_addc_co_u32_e32 v55, vcc, v52, v55, vcc
	global_store_dwordx2 v[54:55], v[15:16], off
	s_or_b64 exec, exec, s[42:43]
	s_and_saveexec_b64 s[42:43], s[14:15]
	s_cbranch_execz .LBB1719_209
.LBB1719_276:
	v_sub_u32_e32 v54, v41, v65
	v_mov_b32_e32 v55, 0
	v_lshlrev_b64 v[54:55], 3, v[54:55]
	v_add_co_u32_e32 v54, vcc, v51, v54
	v_addc_co_u32_e32 v55, vcc, v52, v55, vcc
	global_store_dwordx2 v[54:55], v[9:10], off
	s_or_b64 exec, exec, s[42:43]
	s_and_saveexec_b64 s[42:43], s[12:13]
	s_cbranch_execz .LBB1719_210
.LBB1719_277:
	v_sub_u32_e32 v54, v40, v65
	v_mov_b32_e32 v55, 0
	v_lshlrev_b64 v[54:55], 3, v[54:55]
	v_add_co_u32_e32 v54, vcc, v51, v54
	v_addc_co_u32_e32 v55, vcc, v52, v55, vcc
	global_store_dwordx2 v[54:55], v[11:12], off
	s_or_b64 exec, exec, s[42:43]
	s_and_saveexec_b64 s[42:43], s[10:11]
	s_cbranch_execz .LBB1719_211
.LBB1719_278:
	v_sub_u32_e32 v54, v39, v65
	v_mov_b32_e32 v55, 0
	v_lshlrev_b64 v[54:55], 3, v[54:55]
	v_add_co_u32_e32 v54, vcc, v51, v54
	v_addc_co_u32_e32 v55, vcc, v52, v55, vcc
	global_store_dwordx2 v[54:55], v[5:6], off
	s_or_b64 exec, exec, s[42:43]
	s_and_saveexec_b64 s[42:43], s[6:7]
	s_cbranch_execnz .LBB1719_212
	s_branch .LBB1719_213
.LBB1719_279:
	v_sub_u32_e32 v53, v60, v65
	v_lshlrev_b32_e32 v53, 3, v53
	ds_write_b64 v53, v[29:30]
	s_or_b64 exec, exec, s[42:43]
	s_and_saveexec_b64 s[36:37], s[34:35]
	s_cbranch_execz .LBB1719_217
.LBB1719_280:
	v_sub_u32_e32 v29, v50, v65
	v_lshlrev_b32_e32 v29, 3, v29
	ds_write_b64 v29, v[31:32]
	s_or_b64 exec, exec, s[36:37]
	s_and_saveexec_b64 s[34:35], s[30:31]
	s_cbranch_execz .LBB1719_218
.LBB1719_281:
	v_sub_u32_e32 v29, v49, v65
	v_lshlrev_b32_e32 v29, 3, v29
	ds_write_b64 v29, v[25:26]
	s_or_b64 exec, exec, s[34:35]
	s_and_saveexec_b64 s[30:31], s[28:29]
	s_cbranch_execz .LBB1719_219
.LBB1719_282:
	v_sub_u32_e32 v25, v48, v65
	v_lshlrev_b32_e32 v25, 3, v25
	ds_write_b64 v25, v[27:28]
	s_or_b64 exec, exec, s[30:31]
	s_and_saveexec_b64 s[28:29], s[26:27]
	s_cbranch_execz .LBB1719_220
.LBB1719_283:
	v_sub_u32_e32 v25, v47, v65
	v_lshlrev_b32_e32 v25, 3, v25
	ds_write_b64 v25, v[21:22]
	s_or_b64 exec, exec, s[28:29]
	s_and_saveexec_b64 s[26:27], s[24:25]
	s_cbranch_execz .LBB1719_221
.LBB1719_284:
	v_sub_u32_e32 v21, v46, v65
	v_lshlrev_b32_e32 v21, 3, v21
	ds_write_b64 v21, v[23:24]
	s_or_b64 exec, exec, s[26:27]
	s_and_saveexec_b64 s[24:25], s[22:23]
	s_cbranch_execz .LBB1719_222
.LBB1719_285:
	v_sub_u32_e32 v21, v45, v65
	v_lshlrev_b32_e32 v21, 3, v21
	ds_write_b64 v21, v[17:18]
	s_or_b64 exec, exec, s[24:25]
	s_and_saveexec_b64 s[22:23], s[20:21]
	s_cbranch_execz .LBB1719_223
.LBB1719_286:
	v_sub_u32_e32 v17, v44, v65
	v_lshlrev_b32_e32 v17, 3, v17
	ds_write_b64 v17, v[19:20]
	s_or_b64 exec, exec, s[22:23]
	s_and_saveexec_b64 s[20:21], s[18:19]
	s_cbranch_execz .LBB1719_224
.LBB1719_287:
	v_sub_u32_e32 v17, v43, v65
	v_lshlrev_b32_e32 v17, 3, v17
	ds_write_b64 v17, v[13:14]
	s_or_b64 exec, exec, s[20:21]
	s_and_saveexec_b64 s[18:19], s[16:17]
	s_cbranch_execz .LBB1719_225
.LBB1719_288:
	v_sub_u32_e32 v13, v42, v65
	v_lshlrev_b32_e32 v13, 3, v13
	ds_write_b64 v13, v[15:16]
	s_or_b64 exec, exec, s[18:19]
	s_and_saveexec_b64 s[16:17], s[14:15]
	s_cbranch_execz .LBB1719_226
.LBB1719_289:
	v_sub_u32_e32 v13, v41, v65
	v_lshlrev_b32_e32 v13, 3, v13
	ds_write_b64 v13, v[9:10]
	s_or_b64 exec, exec, s[16:17]
	s_and_saveexec_b64 s[14:15], s[12:13]
	s_cbranch_execz .LBB1719_227
.LBB1719_290:
	v_sub_u32_e32 v9, v40, v65
	v_lshlrev_b32_e32 v9, 3, v9
	ds_write_b64 v9, v[11:12]
	s_or_b64 exec, exec, s[14:15]
	s_and_saveexec_b64 s[12:13], s[10:11]
	s_cbranch_execz .LBB1719_228
.LBB1719_291:
	v_sub_u32_e32 v9, v39, v65
	v_lshlrev_b32_e32 v9, 3, v9
	ds_write_b64 v9, v[5:6]
	s_or_b64 exec, exec, s[12:13]
	s_and_saveexec_b64 s[10:11], s[6:7]
	s_cbranch_execnz .LBB1719_229
	s_branch .LBB1719_230
.LBB1719_292:
	v_sub_u32_e32 v12, v60, v10
	v_mov_b32_e32 v13, 0
	v_lshlrev_b64 v[12:13], 3, v[12:13]
	v_add_co_u32_e32 v12, vcc, v8, v12
	v_addc_co_u32_e32 v13, vcc, v9, v13, vcc
	global_store_dwordx2 v[12:13], v[91:92], off
	s_or_b64 exec, exec, s[40:41]
	s_and_saveexec_b64 s[40:41], s[30:31]
	s_cbranch_execz .LBB1719_234
.LBB1719_293:
	v_sub_u32_e32 v12, v50, v10
	v_mov_b32_e32 v13, 0
	v_lshlrev_b64 v[12:13], 3, v[12:13]
	v_add_co_u32_e32 v12, vcc, v8, v12
	v_addc_co_u32_e32 v13, vcc, v9, v13, vcc
	global_store_dwordx2 v[12:13], v[67:68], off
	s_or_b64 exec, exec, s[40:41]
	s_and_saveexec_b64 s[40:41], s[28:29]
	s_cbranch_execz .LBB1719_235
.LBB1719_294:
	v_sub_u32_e32 v12, v49, v10
	v_mov_b32_e32 v13, 0
	v_lshlrev_b64 v[12:13], 3, v[12:13]
	v_add_co_u32_e32 v12, vcc, v8, v12
	v_addc_co_u32_e32 v13, vcc, v9, v13, vcc
	global_store_dwordx2 v[12:13], v[69:70], off
	s_or_b64 exec, exec, s[40:41]
	s_and_saveexec_b64 s[40:41], s[26:27]
	s_cbranch_execz .LBB1719_236
.LBB1719_295:
	v_sub_u32_e32 v12, v48, v10
	v_mov_b32_e32 v13, 0
	v_lshlrev_b64 v[12:13], 3, v[12:13]
	v_add_co_u32_e32 v12, vcc, v8, v12
	v_addc_co_u32_e32 v13, vcc, v9, v13, vcc
	global_store_dwordx2 v[12:13], v[71:72], off
	s_or_b64 exec, exec, s[40:41]
	s_and_saveexec_b64 s[40:41], s[24:25]
	s_cbranch_execz .LBB1719_237
.LBB1719_296:
	v_sub_u32_e32 v12, v47, v10
	v_mov_b32_e32 v13, 0
	v_lshlrev_b64 v[12:13], 3, v[12:13]
	v_add_co_u32_e32 v12, vcc, v8, v12
	v_addc_co_u32_e32 v13, vcc, v9, v13, vcc
	global_store_dwordx2 v[12:13], v[73:74], off
	s_or_b64 exec, exec, s[40:41]
	s_and_saveexec_b64 s[40:41], s[22:23]
	s_cbranch_execz .LBB1719_238
.LBB1719_297:
	v_sub_u32_e32 v12, v46, v10
	v_mov_b32_e32 v13, 0
	v_lshlrev_b64 v[12:13], 3, v[12:13]
	v_add_co_u32_e32 v12, vcc, v8, v12
	v_addc_co_u32_e32 v13, vcc, v9, v13, vcc
	global_store_dwordx2 v[12:13], v[75:76], off
	s_or_b64 exec, exec, s[40:41]
	s_and_saveexec_b64 s[40:41], s[20:21]
	s_cbranch_execz .LBB1719_239
.LBB1719_298:
	v_sub_u32_e32 v12, v45, v10
	v_mov_b32_e32 v13, 0
	v_lshlrev_b64 v[12:13], 3, v[12:13]
	v_add_co_u32_e32 v12, vcc, v8, v12
	v_addc_co_u32_e32 v13, vcc, v9, v13, vcc
	global_store_dwordx2 v[12:13], v[77:78], off
	s_or_b64 exec, exec, s[40:41]
	s_and_saveexec_b64 s[40:41], s[18:19]
	s_cbranch_execz .LBB1719_240
.LBB1719_299:
	v_sub_u32_e32 v12, v44, v10
	v_mov_b32_e32 v13, 0
	v_lshlrev_b64 v[12:13], 3, v[12:13]
	v_add_co_u32_e32 v12, vcc, v8, v12
	v_addc_co_u32_e32 v13, vcc, v9, v13, vcc
	global_store_dwordx2 v[12:13], v[79:80], off
	s_or_b64 exec, exec, s[40:41]
	s_and_saveexec_b64 s[40:41], s[16:17]
	s_cbranch_execz .LBB1719_241
.LBB1719_300:
	v_sub_u32_e32 v12, v43, v10
	v_mov_b32_e32 v13, 0
	v_lshlrev_b64 v[12:13], 3, v[12:13]
	v_add_co_u32_e32 v12, vcc, v8, v12
	v_addc_co_u32_e32 v13, vcc, v9, v13, vcc
	global_store_dwordx2 v[12:13], v[81:82], off
	s_or_b64 exec, exec, s[40:41]
	s_and_saveexec_b64 s[40:41], s[14:15]
	s_cbranch_execz .LBB1719_242
.LBB1719_301:
	v_sub_u32_e32 v12, v42, v10
	v_mov_b32_e32 v13, 0
	v_lshlrev_b64 v[12:13], 3, v[12:13]
	v_add_co_u32_e32 v12, vcc, v8, v12
	v_addc_co_u32_e32 v13, vcc, v9, v13, vcc
	global_store_dwordx2 v[12:13], v[83:84], off
	s_or_b64 exec, exec, s[40:41]
	s_and_saveexec_b64 s[40:41], s[12:13]
	s_cbranch_execz .LBB1719_243
.LBB1719_302:
	v_sub_u32_e32 v12, v41, v10
	v_mov_b32_e32 v13, 0
	v_lshlrev_b64 v[12:13], 3, v[12:13]
	v_add_co_u32_e32 v12, vcc, v8, v12
	v_addc_co_u32_e32 v13, vcc, v9, v13, vcc
	global_store_dwordx2 v[12:13], v[85:86], off
	s_or_b64 exec, exec, s[40:41]
	s_and_saveexec_b64 s[40:41], s[8:9]
	s_cbranch_execz .LBB1719_244
.LBB1719_303:
	v_sub_u32_e32 v12, v40, v10
	v_mov_b32_e32 v13, 0
	v_lshlrev_b64 v[12:13], 3, v[12:13]
	v_add_co_u32_e32 v12, vcc, v8, v12
	v_addc_co_u32_e32 v13, vcc, v9, v13, vcc
	global_store_dwordx2 v[12:13], v[87:88], off
	s_or_b64 exec, exec, s[40:41]
	s_and_saveexec_b64 s[40:41], s[10:11]
	s_cbranch_execz .LBB1719_245
.LBB1719_304:
	v_sub_u32_e32 v12, v39, v10
	v_mov_b32_e32 v13, 0
	v_lshlrev_b64 v[12:13], 3, v[12:13]
	v_add_co_u32_e32 v12, vcc, v8, v12
	v_addc_co_u32_e32 v13, vcc, v9, v13, vcc
	global_store_dwordx2 v[12:13], v[89:90], off
	s_or_b64 exec, exec, s[40:41]
	s_and_saveexec_b64 s[40:41], s[6:7]
	s_cbranch_execnz .LBB1719_246
	s_branch .LBB1719_247
.LBB1719_305:
	v_sub_u32_e32 v11, v60, v10
	v_lshlrev_b32_e32 v11, 3, v11
	ds_write_b64 v11, v[91:92]
	s_or_b64 exec, exec, s[40:41]
	s_and_saveexec_b64 s[34:35], s[30:31]
	s_cbranch_execz .LBB1719_251
.LBB1719_306:
	v_sub_u32_e32 v11, v50, v10
	v_lshlrev_b32_e32 v11, 3, v11
	ds_write_b64 v11, v[67:68]
	s_or_b64 exec, exec, s[34:35]
	s_and_saveexec_b64 s[30:31], s[28:29]
	s_cbranch_execz .LBB1719_252
.LBB1719_307:
	v_sub_u32_e32 v11, v49, v10
	v_lshlrev_b32_e32 v11, 3, v11
	ds_write_b64 v11, v[69:70]
	s_or_b64 exec, exec, s[30:31]
	s_and_saveexec_b64 s[28:29], s[26:27]
	s_cbranch_execz .LBB1719_253
.LBB1719_308:
	v_sub_u32_e32 v11, v48, v10
	v_lshlrev_b32_e32 v11, 3, v11
	ds_write_b64 v11, v[71:72]
	s_or_b64 exec, exec, s[28:29]
	s_and_saveexec_b64 s[26:27], s[24:25]
	s_cbranch_execz .LBB1719_254
.LBB1719_309:
	v_sub_u32_e32 v11, v47, v10
	v_lshlrev_b32_e32 v11, 3, v11
	ds_write_b64 v11, v[73:74]
	s_or_b64 exec, exec, s[26:27]
	s_and_saveexec_b64 s[24:25], s[22:23]
	s_cbranch_execz .LBB1719_255
.LBB1719_310:
	v_sub_u32_e32 v11, v46, v10
	v_lshlrev_b32_e32 v11, 3, v11
	ds_write_b64 v11, v[75:76]
	s_or_b64 exec, exec, s[24:25]
	s_and_saveexec_b64 s[22:23], s[20:21]
	s_cbranch_execz .LBB1719_256
.LBB1719_311:
	v_sub_u32_e32 v11, v45, v10
	v_lshlrev_b32_e32 v11, 3, v11
	ds_write_b64 v11, v[77:78]
	s_or_b64 exec, exec, s[22:23]
	s_and_saveexec_b64 s[20:21], s[18:19]
	s_cbranch_execz .LBB1719_257
.LBB1719_312:
	v_sub_u32_e32 v11, v44, v10
	v_lshlrev_b32_e32 v11, 3, v11
	ds_write_b64 v11, v[79:80]
	s_or_b64 exec, exec, s[20:21]
	s_and_saveexec_b64 s[18:19], s[16:17]
	s_cbranch_execz .LBB1719_258
.LBB1719_313:
	v_sub_u32_e32 v11, v43, v10
	v_lshlrev_b32_e32 v11, 3, v11
	ds_write_b64 v11, v[81:82]
	s_or_b64 exec, exec, s[18:19]
	s_and_saveexec_b64 s[16:17], s[14:15]
	s_cbranch_execz .LBB1719_259
.LBB1719_314:
	v_sub_u32_e32 v11, v42, v10
	v_lshlrev_b32_e32 v11, 3, v11
	ds_write_b64 v11, v[83:84]
	s_or_b64 exec, exec, s[16:17]
	s_and_saveexec_b64 s[14:15], s[12:13]
	s_cbranch_execz .LBB1719_260
.LBB1719_315:
	v_sub_u32_e32 v11, v41, v10
	v_lshlrev_b32_e32 v11, 3, v11
	ds_write_b64 v11, v[85:86]
	s_or_b64 exec, exec, s[14:15]
	s_and_saveexec_b64 s[12:13], s[8:9]
	s_cbranch_execz .LBB1719_261
.LBB1719_316:
	v_sub_u32_e32 v11, v40, v10
	v_lshlrev_b32_e32 v11, 3, v11
	ds_write_b64 v11, v[87:88]
	s_or_b64 exec, exec, s[12:13]
	s_and_saveexec_b64 s[8:9], s[10:11]
	s_cbranch_execz .LBB1719_262
.LBB1719_317:
	v_sub_u32_e32 v11, v39, v10
	v_lshlrev_b32_e32 v11, 3, v11
	ds_write_b64 v11, v[89:90]
	s_or_b64 exec, exec, s[8:9]
	s_and_saveexec_b64 s[8:9], s[6:7]
	s_cbranch_execnz .LBB1719_263
	s_branch .LBB1719_264
	.section	.rodata,"a",@progbits
	.p2align	6, 0x0
	.amdhsa_kernel _ZN7rocprim17ROCPRIM_400000_NS6detail17trampoline_kernelINS0_14default_configENS1_29reduce_by_key_config_selectorIdlN6thrust23THRUST_200600_302600_NS4plusIlEEEEZZNS1_33reduce_by_key_impl_wrapped_configILNS1_25lookback_scan_determinismE0ES3_S9_PdNS6_17constant_iteratorIiNS6_11use_defaultESE_EENS6_10device_ptrIdEENSG_IlEEPmS8_NS6_8equal_toIdEEEE10hipError_tPvRmT2_T3_mT4_T5_T6_T7_T8_P12ihipStream_tbENKUlT_T0_E_clISt17integral_constantIbLb0EES12_IbLb1EEEEDaSY_SZ_EUlSY_E_NS1_11comp_targetILNS1_3genE2ELNS1_11target_archE906ELNS1_3gpuE6ELNS1_3repE0EEENS1_30default_config_static_selectorELNS0_4arch9wavefront6targetE1EEEvT1_
		.amdhsa_group_segment_fixed_size 30720
		.amdhsa_private_segment_fixed_size 64
		.amdhsa_kernarg_size 144
		.amdhsa_user_sgpr_count 6
		.amdhsa_user_sgpr_private_segment_buffer 1
		.amdhsa_user_sgpr_dispatch_ptr 0
		.amdhsa_user_sgpr_queue_ptr 0
		.amdhsa_user_sgpr_kernarg_segment_ptr 1
		.amdhsa_user_sgpr_dispatch_id 0
		.amdhsa_user_sgpr_flat_scratch_init 0
		.amdhsa_user_sgpr_private_segment_size 0
		.amdhsa_uses_dynamic_stack 0
		.amdhsa_system_sgpr_private_segment_wavefront_offset 1
		.amdhsa_system_sgpr_workgroup_id_x 1
		.amdhsa_system_sgpr_workgroup_id_y 0
		.amdhsa_system_sgpr_workgroup_id_z 0
		.amdhsa_system_sgpr_workgroup_info 0
		.amdhsa_system_vgpr_workitem_id 0
		.amdhsa_next_free_vgpr 119
		.amdhsa_next_free_sgpr 98
		.amdhsa_reserve_vcc 1
		.amdhsa_reserve_flat_scratch 0
		.amdhsa_float_round_mode_32 0
		.amdhsa_float_round_mode_16_64 0
		.amdhsa_float_denorm_mode_32 3
		.amdhsa_float_denorm_mode_16_64 3
		.amdhsa_dx10_clamp 1
		.amdhsa_ieee_mode 1
		.amdhsa_fp16_overflow 0
		.amdhsa_exception_fp_ieee_invalid_op 0
		.amdhsa_exception_fp_denorm_src 0
		.amdhsa_exception_fp_ieee_div_zero 0
		.amdhsa_exception_fp_ieee_overflow 0
		.amdhsa_exception_fp_ieee_underflow 0
		.amdhsa_exception_fp_ieee_inexact 0
		.amdhsa_exception_int_div_zero 0
	.end_amdhsa_kernel
	.section	.text._ZN7rocprim17ROCPRIM_400000_NS6detail17trampoline_kernelINS0_14default_configENS1_29reduce_by_key_config_selectorIdlN6thrust23THRUST_200600_302600_NS4plusIlEEEEZZNS1_33reduce_by_key_impl_wrapped_configILNS1_25lookback_scan_determinismE0ES3_S9_PdNS6_17constant_iteratorIiNS6_11use_defaultESE_EENS6_10device_ptrIdEENSG_IlEEPmS8_NS6_8equal_toIdEEEE10hipError_tPvRmT2_T3_mT4_T5_T6_T7_T8_P12ihipStream_tbENKUlT_T0_E_clISt17integral_constantIbLb0EES12_IbLb1EEEEDaSY_SZ_EUlSY_E_NS1_11comp_targetILNS1_3genE2ELNS1_11target_archE906ELNS1_3gpuE6ELNS1_3repE0EEENS1_30default_config_static_selectorELNS0_4arch9wavefront6targetE1EEEvT1_,"axG",@progbits,_ZN7rocprim17ROCPRIM_400000_NS6detail17trampoline_kernelINS0_14default_configENS1_29reduce_by_key_config_selectorIdlN6thrust23THRUST_200600_302600_NS4plusIlEEEEZZNS1_33reduce_by_key_impl_wrapped_configILNS1_25lookback_scan_determinismE0ES3_S9_PdNS6_17constant_iteratorIiNS6_11use_defaultESE_EENS6_10device_ptrIdEENSG_IlEEPmS8_NS6_8equal_toIdEEEE10hipError_tPvRmT2_T3_mT4_T5_T6_T7_T8_P12ihipStream_tbENKUlT_T0_E_clISt17integral_constantIbLb0EES12_IbLb1EEEEDaSY_SZ_EUlSY_E_NS1_11comp_targetILNS1_3genE2ELNS1_11target_archE906ELNS1_3gpuE6ELNS1_3repE0EEENS1_30default_config_static_selectorELNS0_4arch9wavefront6targetE1EEEvT1_,comdat
.Lfunc_end1719:
	.size	_ZN7rocprim17ROCPRIM_400000_NS6detail17trampoline_kernelINS0_14default_configENS1_29reduce_by_key_config_selectorIdlN6thrust23THRUST_200600_302600_NS4plusIlEEEEZZNS1_33reduce_by_key_impl_wrapped_configILNS1_25lookback_scan_determinismE0ES3_S9_PdNS6_17constant_iteratorIiNS6_11use_defaultESE_EENS6_10device_ptrIdEENSG_IlEEPmS8_NS6_8equal_toIdEEEE10hipError_tPvRmT2_T3_mT4_T5_T6_T7_T8_P12ihipStream_tbENKUlT_T0_E_clISt17integral_constantIbLb0EES12_IbLb1EEEEDaSY_SZ_EUlSY_E_NS1_11comp_targetILNS1_3genE2ELNS1_11target_archE906ELNS1_3gpuE6ELNS1_3repE0EEENS1_30default_config_static_selectorELNS0_4arch9wavefront6targetE1EEEvT1_, .Lfunc_end1719-_ZN7rocprim17ROCPRIM_400000_NS6detail17trampoline_kernelINS0_14default_configENS1_29reduce_by_key_config_selectorIdlN6thrust23THRUST_200600_302600_NS4plusIlEEEEZZNS1_33reduce_by_key_impl_wrapped_configILNS1_25lookback_scan_determinismE0ES3_S9_PdNS6_17constant_iteratorIiNS6_11use_defaultESE_EENS6_10device_ptrIdEENSG_IlEEPmS8_NS6_8equal_toIdEEEE10hipError_tPvRmT2_T3_mT4_T5_T6_T7_T8_P12ihipStream_tbENKUlT_T0_E_clISt17integral_constantIbLb0EES12_IbLb1EEEEDaSY_SZ_EUlSY_E_NS1_11comp_targetILNS1_3genE2ELNS1_11target_archE906ELNS1_3gpuE6ELNS1_3repE0EEENS1_30default_config_static_selectorELNS0_4arch9wavefront6targetE1EEEvT1_
                                        ; -- End function
	.set _ZN7rocprim17ROCPRIM_400000_NS6detail17trampoline_kernelINS0_14default_configENS1_29reduce_by_key_config_selectorIdlN6thrust23THRUST_200600_302600_NS4plusIlEEEEZZNS1_33reduce_by_key_impl_wrapped_configILNS1_25lookback_scan_determinismE0ES3_S9_PdNS6_17constant_iteratorIiNS6_11use_defaultESE_EENS6_10device_ptrIdEENSG_IlEEPmS8_NS6_8equal_toIdEEEE10hipError_tPvRmT2_T3_mT4_T5_T6_T7_T8_P12ihipStream_tbENKUlT_T0_E_clISt17integral_constantIbLb0EES12_IbLb1EEEEDaSY_SZ_EUlSY_E_NS1_11comp_targetILNS1_3genE2ELNS1_11target_archE906ELNS1_3gpuE6ELNS1_3repE0EEENS1_30default_config_static_selectorELNS0_4arch9wavefront6targetE1EEEvT1_.num_vgpr, 119
	.set _ZN7rocprim17ROCPRIM_400000_NS6detail17trampoline_kernelINS0_14default_configENS1_29reduce_by_key_config_selectorIdlN6thrust23THRUST_200600_302600_NS4plusIlEEEEZZNS1_33reduce_by_key_impl_wrapped_configILNS1_25lookback_scan_determinismE0ES3_S9_PdNS6_17constant_iteratorIiNS6_11use_defaultESE_EENS6_10device_ptrIdEENSG_IlEEPmS8_NS6_8equal_toIdEEEE10hipError_tPvRmT2_T3_mT4_T5_T6_T7_T8_P12ihipStream_tbENKUlT_T0_E_clISt17integral_constantIbLb0EES12_IbLb1EEEEDaSY_SZ_EUlSY_E_NS1_11comp_targetILNS1_3genE2ELNS1_11target_archE906ELNS1_3gpuE6ELNS1_3repE0EEENS1_30default_config_static_selectorELNS0_4arch9wavefront6targetE1EEEvT1_.num_agpr, 0
	.set _ZN7rocprim17ROCPRIM_400000_NS6detail17trampoline_kernelINS0_14default_configENS1_29reduce_by_key_config_selectorIdlN6thrust23THRUST_200600_302600_NS4plusIlEEEEZZNS1_33reduce_by_key_impl_wrapped_configILNS1_25lookback_scan_determinismE0ES3_S9_PdNS6_17constant_iteratorIiNS6_11use_defaultESE_EENS6_10device_ptrIdEENSG_IlEEPmS8_NS6_8equal_toIdEEEE10hipError_tPvRmT2_T3_mT4_T5_T6_T7_T8_P12ihipStream_tbENKUlT_T0_E_clISt17integral_constantIbLb0EES12_IbLb1EEEEDaSY_SZ_EUlSY_E_NS1_11comp_targetILNS1_3genE2ELNS1_11target_archE906ELNS1_3gpuE6ELNS1_3repE0EEENS1_30default_config_static_selectorELNS0_4arch9wavefront6targetE1EEEvT1_.numbered_sgpr, 68
	.set _ZN7rocprim17ROCPRIM_400000_NS6detail17trampoline_kernelINS0_14default_configENS1_29reduce_by_key_config_selectorIdlN6thrust23THRUST_200600_302600_NS4plusIlEEEEZZNS1_33reduce_by_key_impl_wrapped_configILNS1_25lookback_scan_determinismE0ES3_S9_PdNS6_17constant_iteratorIiNS6_11use_defaultESE_EENS6_10device_ptrIdEENSG_IlEEPmS8_NS6_8equal_toIdEEEE10hipError_tPvRmT2_T3_mT4_T5_T6_T7_T8_P12ihipStream_tbENKUlT_T0_E_clISt17integral_constantIbLb0EES12_IbLb1EEEEDaSY_SZ_EUlSY_E_NS1_11comp_targetILNS1_3genE2ELNS1_11target_archE906ELNS1_3gpuE6ELNS1_3repE0EEENS1_30default_config_static_selectorELNS0_4arch9wavefront6targetE1EEEvT1_.num_named_barrier, 0
	.set _ZN7rocprim17ROCPRIM_400000_NS6detail17trampoline_kernelINS0_14default_configENS1_29reduce_by_key_config_selectorIdlN6thrust23THRUST_200600_302600_NS4plusIlEEEEZZNS1_33reduce_by_key_impl_wrapped_configILNS1_25lookback_scan_determinismE0ES3_S9_PdNS6_17constant_iteratorIiNS6_11use_defaultESE_EENS6_10device_ptrIdEENSG_IlEEPmS8_NS6_8equal_toIdEEEE10hipError_tPvRmT2_T3_mT4_T5_T6_T7_T8_P12ihipStream_tbENKUlT_T0_E_clISt17integral_constantIbLb0EES12_IbLb1EEEEDaSY_SZ_EUlSY_E_NS1_11comp_targetILNS1_3genE2ELNS1_11target_archE906ELNS1_3gpuE6ELNS1_3repE0EEENS1_30default_config_static_selectorELNS0_4arch9wavefront6targetE1EEEvT1_.private_seg_size, 64
	.set _ZN7rocprim17ROCPRIM_400000_NS6detail17trampoline_kernelINS0_14default_configENS1_29reduce_by_key_config_selectorIdlN6thrust23THRUST_200600_302600_NS4plusIlEEEEZZNS1_33reduce_by_key_impl_wrapped_configILNS1_25lookback_scan_determinismE0ES3_S9_PdNS6_17constant_iteratorIiNS6_11use_defaultESE_EENS6_10device_ptrIdEENSG_IlEEPmS8_NS6_8equal_toIdEEEE10hipError_tPvRmT2_T3_mT4_T5_T6_T7_T8_P12ihipStream_tbENKUlT_T0_E_clISt17integral_constantIbLb0EES12_IbLb1EEEEDaSY_SZ_EUlSY_E_NS1_11comp_targetILNS1_3genE2ELNS1_11target_archE906ELNS1_3gpuE6ELNS1_3repE0EEENS1_30default_config_static_selectorELNS0_4arch9wavefront6targetE1EEEvT1_.uses_vcc, 1
	.set _ZN7rocprim17ROCPRIM_400000_NS6detail17trampoline_kernelINS0_14default_configENS1_29reduce_by_key_config_selectorIdlN6thrust23THRUST_200600_302600_NS4plusIlEEEEZZNS1_33reduce_by_key_impl_wrapped_configILNS1_25lookback_scan_determinismE0ES3_S9_PdNS6_17constant_iteratorIiNS6_11use_defaultESE_EENS6_10device_ptrIdEENSG_IlEEPmS8_NS6_8equal_toIdEEEE10hipError_tPvRmT2_T3_mT4_T5_T6_T7_T8_P12ihipStream_tbENKUlT_T0_E_clISt17integral_constantIbLb0EES12_IbLb1EEEEDaSY_SZ_EUlSY_E_NS1_11comp_targetILNS1_3genE2ELNS1_11target_archE906ELNS1_3gpuE6ELNS1_3repE0EEENS1_30default_config_static_selectorELNS0_4arch9wavefront6targetE1EEEvT1_.uses_flat_scratch, 0
	.set _ZN7rocprim17ROCPRIM_400000_NS6detail17trampoline_kernelINS0_14default_configENS1_29reduce_by_key_config_selectorIdlN6thrust23THRUST_200600_302600_NS4plusIlEEEEZZNS1_33reduce_by_key_impl_wrapped_configILNS1_25lookback_scan_determinismE0ES3_S9_PdNS6_17constant_iteratorIiNS6_11use_defaultESE_EENS6_10device_ptrIdEENSG_IlEEPmS8_NS6_8equal_toIdEEEE10hipError_tPvRmT2_T3_mT4_T5_T6_T7_T8_P12ihipStream_tbENKUlT_T0_E_clISt17integral_constantIbLb0EES12_IbLb1EEEEDaSY_SZ_EUlSY_E_NS1_11comp_targetILNS1_3genE2ELNS1_11target_archE906ELNS1_3gpuE6ELNS1_3repE0EEENS1_30default_config_static_selectorELNS0_4arch9wavefront6targetE1EEEvT1_.has_dyn_sized_stack, 0
	.set _ZN7rocprim17ROCPRIM_400000_NS6detail17trampoline_kernelINS0_14default_configENS1_29reduce_by_key_config_selectorIdlN6thrust23THRUST_200600_302600_NS4plusIlEEEEZZNS1_33reduce_by_key_impl_wrapped_configILNS1_25lookback_scan_determinismE0ES3_S9_PdNS6_17constant_iteratorIiNS6_11use_defaultESE_EENS6_10device_ptrIdEENSG_IlEEPmS8_NS6_8equal_toIdEEEE10hipError_tPvRmT2_T3_mT4_T5_T6_T7_T8_P12ihipStream_tbENKUlT_T0_E_clISt17integral_constantIbLb0EES12_IbLb1EEEEDaSY_SZ_EUlSY_E_NS1_11comp_targetILNS1_3genE2ELNS1_11target_archE906ELNS1_3gpuE6ELNS1_3repE0EEENS1_30default_config_static_selectorELNS0_4arch9wavefront6targetE1EEEvT1_.has_recursion, 0
	.set _ZN7rocprim17ROCPRIM_400000_NS6detail17trampoline_kernelINS0_14default_configENS1_29reduce_by_key_config_selectorIdlN6thrust23THRUST_200600_302600_NS4plusIlEEEEZZNS1_33reduce_by_key_impl_wrapped_configILNS1_25lookback_scan_determinismE0ES3_S9_PdNS6_17constant_iteratorIiNS6_11use_defaultESE_EENS6_10device_ptrIdEENSG_IlEEPmS8_NS6_8equal_toIdEEEE10hipError_tPvRmT2_T3_mT4_T5_T6_T7_T8_P12ihipStream_tbENKUlT_T0_E_clISt17integral_constantIbLb0EES12_IbLb1EEEEDaSY_SZ_EUlSY_E_NS1_11comp_targetILNS1_3genE2ELNS1_11target_archE906ELNS1_3gpuE6ELNS1_3repE0EEENS1_30default_config_static_selectorELNS0_4arch9wavefront6targetE1EEEvT1_.has_indirect_call, 0
	.section	.AMDGPU.csdata,"",@progbits
; Kernel info:
; codeLenInByte = 16388
; TotalNumSgprs: 72
; NumVgprs: 119
; ScratchSize: 64
; MemoryBound: 0
; FloatMode: 240
; IeeeMode: 1
; LDSByteSize: 30720 bytes/workgroup (compile time only)
; SGPRBlocks: 12
; VGPRBlocks: 29
; NumSGPRsForWavesPerEU: 102
; NumVGPRsForWavesPerEU: 119
; Occupancy: 2
; WaveLimiterHint : 1
; COMPUTE_PGM_RSRC2:SCRATCH_EN: 1
; COMPUTE_PGM_RSRC2:USER_SGPR: 6
; COMPUTE_PGM_RSRC2:TRAP_HANDLER: 0
; COMPUTE_PGM_RSRC2:TGID_X_EN: 1
; COMPUTE_PGM_RSRC2:TGID_Y_EN: 0
; COMPUTE_PGM_RSRC2:TGID_Z_EN: 0
; COMPUTE_PGM_RSRC2:TIDIG_COMP_CNT: 0
	.section	.text._ZN7rocprim17ROCPRIM_400000_NS6detail17trampoline_kernelINS0_14default_configENS1_29reduce_by_key_config_selectorIdlN6thrust23THRUST_200600_302600_NS4plusIlEEEEZZNS1_33reduce_by_key_impl_wrapped_configILNS1_25lookback_scan_determinismE0ES3_S9_PdNS6_17constant_iteratorIiNS6_11use_defaultESE_EENS6_10device_ptrIdEENSG_IlEEPmS8_NS6_8equal_toIdEEEE10hipError_tPvRmT2_T3_mT4_T5_T6_T7_T8_P12ihipStream_tbENKUlT_T0_E_clISt17integral_constantIbLb0EES12_IbLb1EEEEDaSY_SZ_EUlSY_E_NS1_11comp_targetILNS1_3genE10ELNS1_11target_archE1201ELNS1_3gpuE5ELNS1_3repE0EEENS1_30default_config_static_selectorELNS0_4arch9wavefront6targetE1EEEvT1_,"axG",@progbits,_ZN7rocprim17ROCPRIM_400000_NS6detail17trampoline_kernelINS0_14default_configENS1_29reduce_by_key_config_selectorIdlN6thrust23THRUST_200600_302600_NS4plusIlEEEEZZNS1_33reduce_by_key_impl_wrapped_configILNS1_25lookback_scan_determinismE0ES3_S9_PdNS6_17constant_iteratorIiNS6_11use_defaultESE_EENS6_10device_ptrIdEENSG_IlEEPmS8_NS6_8equal_toIdEEEE10hipError_tPvRmT2_T3_mT4_T5_T6_T7_T8_P12ihipStream_tbENKUlT_T0_E_clISt17integral_constantIbLb0EES12_IbLb1EEEEDaSY_SZ_EUlSY_E_NS1_11comp_targetILNS1_3genE10ELNS1_11target_archE1201ELNS1_3gpuE5ELNS1_3repE0EEENS1_30default_config_static_selectorELNS0_4arch9wavefront6targetE1EEEvT1_,comdat
	.protected	_ZN7rocprim17ROCPRIM_400000_NS6detail17trampoline_kernelINS0_14default_configENS1_29reduce_by_key_config_selectorIdlN6thrust23THRUST_200600_302600_NS4plusIlEEEEZZNS1_33reduce_by_key_impl_wrapped_configILNS1_25lookback_scan_determinismE0ES3_S9_PdNS6_17constant_iteratorIiNS6_11use_defaultESE_EENS6_10device_ptrIdEENSG_IlEEPmS8_NS6_8equal_toIdEEEE10hipError_tPvRmT2_T3_mT4_T5_T6_T7_T8_P12ihipStream_tbENKUlT_T0_E_clISt17integral_constantIbLb0EES12_IbLb1EEEEDaSY_SZ_EUlSY_E_NS1_11comp_targetILNS1_3genE10ELNS1_11target_archE1201ELNS1_3gpuE5ELNS1_3repE0EEENS1_30default_config_static_selectorELNS0_4arch9wavefront6targetE1EEEvT1_ ; -- Begin function _ZN7rocprim17ROCPRIM_400000_NS6detail17trampoline_kernelINS0_14default_configENS1_29reduce_by_key_config_selectorIdlN6thrust23THRUST_200600_302600_NS4plusIlEEEEZZNS1_33reduce_by_key_impl_wrapped_configILNS1_25lookback_scan_determinismE0ES3_S9_PdNS6_17constant_iteratorIiNS6_11use_defaultESE_EENS6_10device_ptrIdEENSG_IlEEPmS8_NS6_8equal_toIdEEEE10hipError_tPvRmT2_T3_mT4_T5_T6_T7_T8_P12ihipStream_tbENKUlT_T0_E_clISt17integral_constantIbLb0EES12_IbLb1EEEEDaSY_SZ_EUlSY_E_NS1_11comp_targetILNS1_3genE10ELNS1_11target_archE1201ELNS1_3gpuE5ELNS1_3repE0EEENS1_30default_config_static_selectorELNS0_4arch9wavefront6targetE1EEEvT1_
	.globl	_ZN7rocprim17ROCPRIM_400000_NS6detail17trampoline_kernelINS0_14default_configENS1_29reduce_by_key_config_selectorIdlN6thrust23THRUST_200600_302600_NS4plusIlEEEEZZNS1_33reduce_by_key_impl_wrapped_configILNS1_25lookback_scan_determinismE0ES3_S9_PdNS6_17constant_iteratorIiNS6_11use_defaultESE_EENS6_10device_ptrIdEENSG_IlEEPmS8_NS6_8equal_toIdEEEE10hipError_tPvRmT2_T3_mT4_T5_T6_T7_T8_P12ihipStream_tbENKUlT_T0_E_clISt17integral_constantIbLb0EES12_IbLb1EEEEDaSY_SZ_EUlSY_E_NS1_11comp_targetILNS1_3genE10ELNS1_11target_archE1201ELNS1_3gpuE5ELNS1_3repE0EEENS1_30default_config_static_selectorELNS0_4arch9wavefront6targetE1EEEvT1_
	.p2align	8
	.type	_ZN7rocprim17ROCPRIM_400000_NS6detail17trampoline_kernelINS0_14default_configENS1_29reduce_by_key_config_selectorIdlN6thrust23THRUST_200600_302600_NS4plusIlEEEEZZNS1_33reduce_by_key_impl_wrapped_configILNS1_25lookback_scan_determinismE0ES3_S9_PdNS6_17constant_iteratorIiNS6_11use_defaultESE_EENS6_10device_ptrIdEENSG_IlEEPmS8_NS6_8equal_toIdEEEE10hipError_tPvRmT2_T3_mT4_T5_T6_T7_T8_P12ihipStream_tbENKUlT_T0_E_clISt17integral_constantIbLb0EES12_IbLb1EEEEDaSY_SZ_EUlSY_E_NS1_11comp_targetILNS1_3genE10ELNS1_11target_archE1201ELNS1_3gpuE5ELNS1_3repE0EEENS1_30default_config_static_selectorELNS0_4arch9wavefront6targetE1EEEvT1_,@function
_ZN7rocprim17ROCPRIM_400000_NS6detail17trampoline_kernelINS0_14default_configENS1_29reduce_by_key_config_selectorIdlN6thrust23THRUST_200600_302600_NS4plusIlEEEEZZNS1_33reduce_by_key_impl_wrapped_configILNS1_25lookback_scan_determinismE0ES3_S9_PdNS6_17constant_iteratorIiNS6_11use_defaultESE_EENS6_10device_ptrIdEENSG_IlEEPmS8_NS6_8equal_toIdEEEE10hipError_tPvRmT2_T3_mT4_T5_T6_T7_T8_P12ihipStream_tbENKUlT_T0_E_clISt17integral_constantIbLb0EES12_IbLb1EEEEDaSY_SZ_EUlSY_E_NS1_11comp_targetILNS1_3genE10ELNS1_11target_archE1201ELNS1_3gpuE5ELNS1_3repE0EEENS1_30default_config_static_selectorELNS0_4arch9wavefront6targetE1EEEvT1_: ; @_ZN7rocprim17ROCPRIM_400000_NS6detail17trampoline_kernelINS0_14default_configENS1_29reduce_by_key_config_selectorIdlN6thrust23THRUST_200600_302600_NS4plusIlEEEEZZNS1_33reduce_by_key_impl_wrapped_configILNS1_25lookback_scan_determinismE0ES3_S9_PdNS6_17constant_iteratorIiNS6_11use_defaultESE_EENS6_10device_ptrIdEENSG_IlEEPmS8_NS6_8equal_toIdEEEE10hipError_tPvRmT2_T3_mT4_T5_T6_T7_T8_P12ihipStream_tbENKUlT_T0_E_clISt17integral_constantIbLb0EES12_IbLb1EEEEDaSY_SZ_EUlSY_E_NS1_11comp_targetILNS1_3genE10ELNS1_11target_archE1201ELNS1_3gpuE5ELNS1_3repE0EEENS1_30default_config_static_selectorELNS0_4arch9wavefront6targetE1EEEvT1_
; %bb.0:
	.section	.rodata,"a",@progbits
	.p2align	6, 0x0
	.amdhsa_kernel _ZN7rocprim17ROCPRIM_400000_NS6detail17trampoline_kernelINS0_14default_configENS1_29reduce_by_key_config_selectorIdlN6thrust23THRUST_200600_302600_NS4plusIlEEEEZZNS1_33reduce_by_key_impl_wrapped_configILNS1_25lookback_scan_determinismE0ES3_S9_PdNS6_17constant_iteratorIiNS6_11use_defaultESE_EENS6_10device_ptrIdEENSG_IlEEPmS8_NS6_8equal_toIdEEEE10hipError_tPvRmT2_T3_mT4_T5_T6_T7_T8_P12ihipStream_tbENKUlT_T0_E_clISt17integral_constantIbLb0EES12_IbLb1EEEEDaSY_SZ_EUlSY_E_NS1_11comp_targetILNS1_3genE10ELNS1_11target_archE1201ELNS1_3gpuE5ELNS1_3repE0EEENS1_30default_config_static_selectorELNS0_4arch9wavefront6targetE1EEEvT1_
		.amdhsa_group_segment_fixed_size 0
		.amdhsa_private_segment_fixed_size 0
		.amdhsa_kernarg_size 144
		.amdhsa_user_sgpr_count 6
		.amdhsa_user_sgpr_private_segment_buffer 1
		.amdhsa_user_sgpr_dispatch_ptr 0
		.amdhsa_user_sgpr_queue_ptr 0
		.amdhsa_user_sgpr_kernarg_segment_ptr 1
		.amdhsa_user_sgpr_dispatch_id 0
		.amdhsa_user_sgpr_flat_scratch_init 0
		.amdhsa_user_sgpr_private_segment_size 0
		.amdhsa_uses_dynamic_stack 0
		.amdhsa_system_sgpr_private_segment_wavefront_offset 0
		.amdhsa_system_sgpr_workgroup_id_x 1
		.amdhsa_system_sgpr_workgroup_id_y 0
		.amdhsa_system_sgpr_workgroup_id_z 0
		.amdhsa_system_sgpr_workgroup_info 0
		.amdhsa_system_vgpr_workitem_id 0
		.amdhsa_next_free_vgpr 1
		.amdhsa_next_free_sgpr 0
		.amdhsa_reserve_vcc 0
		.amdhsa_reserve_flat_scratch 0
		.amdhsa_float_round_mode_32 0
		.amdhsa_float_round_mode_16_64 0
		.amdhsa_float_denorm_mode_32 3
		.amdhsa_float_denorm_mode_16_64 3
		.amdhsa_dx10_clamp 1
		.amdhsa_ieee_mode 1
		.amdhsa_fp16_overflow 0
		.amdhsa_exception_fp_ieee_invalid_op 0
		.amdhsa_exception_fp_denorm_src 0
		.amdhsa_exception_fp_ieee_div_zero 0
		.amdhsa_exception_fp_ieee_overflow 0
		.amdhsa_exception_fp_ieee_underflow 0
		.amdhsa_exception_fp_ieee_inexact 0
		.amdhsa_exception_int_div_zero 0
	.end_amdhsa_kernel
	.section	.text._ZN7rocprim17ROCPRIM_400000_NS6detail17trampoline_kernelINS0_14default_configENS1_29reduce_by_key_config_selectorIdlN6thrust23THRUST_200600_302600_NS4plusIlEEEEZZNS1_33reduce_by_key_impl_wrapped_configILNS1_25lookback_scan_determinismE0ES3_S9_PdNS6_17constant_iteratorIiNS6_11use_defaultESE_EENS6_10device_ptrIdEENSG_IlEEPmS8_NS6_8equal_toIdEEEE10hipError_tPvRmT2_T3_mT4_T5_T6_T7_T8_P12ihipStream_tbENKUlT_T0_E_clISt17integral_constantIbLb0EES12_IbLb1EEEEDaSY_SZ_EUlSY_E_NS1_11comp_targetILNS1_3genE10ELNS1_11target_archE1201ELNS1_3gpuE5ELNS1_3repE0EEENS1_30default_config_static_selectorELNS0_4arch9wavefront6targetE1EEEvT1_,"axG",@progbits,_ZN7rocprim17ROCPRIM_400000_NS6detail17trampoline_kernelINS0_14default_configENS1_29reduce_by_key_config_selectorIdlN6thrust23THRUST_200600_302600_NS4plusIlEEEEZZNS1_33reduce_by_key_impl_wrapped_configILNS1_25lookback_scan_determinismE0ES3_S9_PdNS6_17constant_iteratorIiNS6_11use_defaultESE_EENS6_10device_ptrIdEENSG_IlEEPmS8_NS6_8equal_toIdEEEE10hipError_tPvRmT2_T3_mT4_T5_T6_T7_T8_P12ihipStream_tbENKUlT_T0_E_clISt17integral_constantIbLb0EES12_IbLb1EEEEDaSY_SZ_EUlSY_E_NS1_11comp_targetILNS1_3genE10ELNS1_11target_archE1201ELNS1_3gpuE5ELNS1_3repE0EEENS1_30default_config_static_selectorELNS0_4arch9wavefront6targetE1EEEvT1_,comdat
.Lfunc_end1720:
	.size	_ZN7rocprim17ROCPRIM_400000_NS6detail17trampoline_kernelINS0_14default_configENS1_29reduce_by_key_config_selectorIdlN6thrust23THRUST_200600_302600_NS4plusIlEEEEZZNS1_33reduce_by_key_impl_wrapped_configILNS1_25lookback_scan_determinismE0ES3_S9_PdNS6_17constant_iteratorIiNS6_11use_defaultESE_EENS6_10device_ptrIdEENSG_IlEEPmS8_NS6_8equal_toIdEEEE10hipError_tPvRmT2_T3_mT4_T5_T6_T7_T8_P12ihipStream_tbENKUlT_T0_E_clISt17integral_constantIbLb0EES12_IbLb1EEEEDaSY_SZ_EUlSY_E_NS1_11comp_targetILNS1_3genE10ELNS1_11target_archE1201ELNS1_3gpuE5ELNS1_3repE0EEENS1_30default_config_static_selectorELNS0_4arch9wavefront6targetE1EEEvT1_, .Lfunc_end1720-_ZN7rocprim17ROCPRIM_400000_NS6detail17trampoline_kernelINS0_14default_configENS1_29reduce_by_key_config_selectorIdlN6thrust23THRUST_200600_302600_NS4plusIlEEEEZZNS1_33reduce_by_key_impl_wrapped_configILNS1_25lookback_scan_determinismE0ES3_S9_PdNS6_17constant_iteratorIiNS6_11use_defaultESE_EENS6_10device_ptrIdEENSG_IlEEPmS8_NS6_8equal_toIdEEEE10hipError_tPvRmT2_T3_mT4_T5_T6_T7_T8_P12ihipStream_tbENKUlT_T0_E_clISt17integral_constantIbLb0EES12_IbLb1EEEEDaSY_SZ_EUlSY_E_NS1_11comp_targetILNS1_3genE10ELNS1_11target_archE1201ELNS1_3gpuE5ELNS1_3repE0EEENS1_30default_config_static_selectorELNS0_4arch9wavefront6targetE1EEEvT1_
                                        ; -- End function
	.set _ZN7rocprim17ROCPRIM_400000_NS6detail17trampoline_kernelINS0_14default_configENS1_29reduce_by_key_config_selectorIdlN6thrust23THRUST_200600_302600_NS4plusIlEEEEZZNS1_33reduce_by_key_impl_wrapped_configILNS1_25lookback_scan_determinismE0ES3_S9_PdNS6_17constant_iteratorIiNS6_11use_defaultESE_EENS6_10device_ptrIdEENSG_IlEEPmS8_NS6_8equal_toIdEEEE10hipError_tPvRmT2_T3_mT4_T5_T6_T7_T8_P12ihipStream_tbENKUlT_T0_E_clISt17integral_constantIbLb0EES12_IbLb1EEEEDaSY_SZ_EUlSY_E_NS1_11comp_targetILNS1_3genE10ELNS1_11target_archE1201ELNS1_3gpuE5ELNS1_3repE0EEENS1_30default_config_static_selectorELNS0_4arch9wavefront6targetE1EEEvT1_.num_vgpr, 0
	.set _ZN7rocprim17ROCPRIM_400000_NS6detail17trampoline_kernelINS0_14default_configENS1_29reduce_by_key_config_selectorIdlN6thrust23THRUST_200600_302600_NS4plusIlEEEEZZNS1_33reduce_by_key_impl_wrapped_configILNS1_25lookback_scan_determinismE0ES3_S9_PdNS6_17constant_iteratorIiNS6_11use_defaultESE_EENS6_10device_ptrIdEENSG_IlEEPmS8_NS6_8equal_toIdEEEE10hipError_tPvRmT2_T3_mT4_T5_T6_T7_T8_P12ihipStream_tbENKUlT_T0_E_clISt17integral_constantIbLb0EES12_IbLb1EEEEDaSY_SZ_EUlSY_E_NS1_11comp_targetILNS1_3genE10ELNS1_11target_archE1201ELNS1_3gpuE5ELNS1_3repE0EEENS1_30default_config_static_selectorELNS0_4arch9wavefront6targetE1EEEvT1_.num_agpr, 0
	.set _ZN7rocprim17ROCPRIM_400000_NS6detail17trampoline_kernelINS0_14default_configENS1_29reduce_by_key_config_selectorIdlN6thrust23THRUST_200600_302600_NS4plusIlEEEEZZNS1_33reduce_by_key_impl_wrapped_configILNS1_25lookback_scan_determinismE0ES3_S9_PdNS6_17constant_iteratorIiNS6_11use_defaultESE_EENS6_10device_ptrIdEENSG_IlEEPmS8_NS6_8equal_toIdEEEE10hipError_tPvRmT2_T3_mT4_T5_T6_T7_T8_P12ihipStream_tbENKUlT_T0_E_clISt17integral_constantIbLb0EES12_IbLb1EEEEDaSY_SZ_EUlSY_E_NS1_11comp_targetILNS1_3genE10ELNS1_11target_archE1201ELNS1_3gpuE5ELNS1_3repE0EEENS1_30default_config_static_selectorELNS0_4arch9wavefront6targetE1EEEvT1_.numbered_sgpr, 0
	.set _ZN7rocprim17ROCPRIM_400000_NS6detail17trampoline_kernelINS0_14default_configENS1_29reduce_by_key_config_selectorIdlN6thrust23THRUST_200600_302600_NS4plusIlEEEEZZNS1_33reduce_by_key_impl_wrapped_configILNS1_25lookback_scan_determinismE0ES3_S9_PdNS6_17constant_iteratorIiNS6_11use_defaultESE_EENS6_10device_ptrIdEENSG_IlEEPmS8_NS6_8equal_toIdEEEE10hipError_tPvRmT2_T3_mT4_T5_T6_T7_T8_P12ihipStream_tbENKUlT_T0_E_clISt17integral_constantIbLb0EES12_IbLb1EEEEDaSY_SZ_EUlSY_E_NS1_11comp_targetILNS1_3genE10ELNS1_11target_archE1201ELNS1_3gpuE5ELNS1_3repE0EEENS1_30default_config_static_selectorELNS0_4arch9wavefront6targetE1EEEvT1_.num_named_barrier, 0
	.set _ZN7rocprim17ROCPRIM_400000_NS6detail17trampoline_kernelINS0_14default_configENS1_29reduce_by_key_config_selectorIdlN6thrust23THRUST_200600_302600_NS4plusIlEEEEZZNS1_33reduce_by_key_impl_wrapped_configILNS1_25lookback_scan_determinismE0ES3_S9_PdNS6_17constant_iteratorIiNS6_11use_defaultESE_EENS6_10device_ptrIdEENSG_IlEEPmS8_NS6_8equal_toIdEEEE10hipError_tPvRmT2_T3_mT4_T5_T6_T7_T8_P12ihipStream_tbENKUlT_T0_E_clISt17integral_constantIbLb0EES12_IbLb1EEEEDaSY_SZ_EUlSY_E_NS1_11comp_targetILNS1_3genE10ELNS1_11target_archE1201ELNS1_3gpuE5ELNS1_3repE0EEENS1_30default_config_static_selectorELNS0_4arch9wavefront6targetE1EEEvT1_.private_seg_size, 0
	.set _ZN7rocprim17ROCPRIM_400000_NS6detail17trampoline_kernelINS0_14default_configENS1_29reduce_by_key_config_selectorIdlN6thrust23THRUST_200600_302600_NS4plusIlEEEEZZNS1_33reduce_by_key_impl_wrapped_configILNS1_25lookback_scan_determinismE0ES3_S9_PdNS6_17constant_iteratorIiNS6_11use_defaultESE_EENS6_10device_ptrIdEENSG_IlEEPmS8_NS6_8equal_toIdEEEE10hipError_tPvRmT2_T3_mT4_T5_T6_T7_T8_P12ihipStream_tbENKUlT_T0_E_clISt17integral_constantIbLb0EES12_IbLb1EEEEDaSY_SZ_EUlSY_E_NS1_11comp_targetILNS1_3genE10ELNS1_11target_archE1201ELNS1_3gpuE5ELNS1_3repE0EEENS1_30default_config_static_selectorELNS0_4arch9wavefront6targetE1EEEvT1_.uses_vcc, 0
	.set _ZN7rocprim17ROCPRIM_400000_NS6detail17trampoline_kernelINS0_14default_configENS1_29reduce_by_key_config_selectorIdlN6thrust23THRUST_200600_302600_NS4plusIlEEEEZZNS1_33reduce_by_key_impl_wrapped_configILNS1_25lookback_scan_determinismE0ES3_S9_PdNS6_17constant_iteratorIiNS6_11use_defaultESE_EENS6_10device_ptrIdEENSG_IlEEPmS8_NS6_8equal_toIdEEEE10hipError_tPvRmT2_T3_mT4_T5_T6_T7_T8_P12ihipStream_tbENKUlT_T0_E_clISt17integral_constantIbLb0EES12_IbLb1EEEEDaSY_SZ_EUlSY_E_NS1_11comp_targetILNS1_3genE10ELNS1_11target_archE1201ELNS1_3gpuE5ELNS1_3repE0EEENS1_30default_config_static_selectorELNS0_4arch9wavefront6targetE1EEEvT1_.uses_flat_scratch, 0
	.set _ZN7rocprim17ROCPRIM_400000_NS6detail17trampoline_kernelINS0_14default_configENS1_29reduce_by_key_config_selectorIdlN6thrust23THRUST_200600_302600_NS4plusIlEEEEZZNS1_33reduce_by_key_impl_wrapped_configILNS1_25lookback_scan_determinismE0ES3_S9_PdNS6_17constant_iteratorIiNS6_11use_defaultESE_EENS6_10device_ptrIdEENSG_IlEEPmS8_NS6_8equal_toIdEEEE10hipError_tPvRmT2_T3_mT4_T5_T6_T7_T8_P12ihipStream_tbENKUlT_T0_E_clISt17integral_constantIbLb0EES12_IbLb1EEEEDaSY_SZ_EUlSY_E_NS1_11comp_targetILNS1_3genE10ELNS1_11target_archE1201ELNS1_3gpuE5ELNS1_3repE0EEENS1_30default_config_static_selectorELNS0_4arch9wavefront6targetE1EEEvT1_.has_dyn_sized_stack, 0
	.set _ZN7rocprim17ROCPRIM_400000_NS6detail17trampoline_kernelINS0_14default_configENS1_29reduce_by_key_config_selectorIdlN6thrust23THRUST_200600_302600_NS4plusIlEEEEZZNS1_33reduce_by_key_impl_wrapped_configILNS1_25lookback_scan_determinismE0ES3_S9_PdNS6_17constant_iteratorIiNS6_11use_defaultESE_EENS6_10device_ptrIdEENSG_IlEEPmS8_NS6_8equal_toIdEEEE10hipError_tPvRmT2_T3_mT4_T5_T6_T7_T8_P12ihipStream_tbENKUlT_T0_E_clISt17integral_constantIbLb0EES12_IbLb1EEEEDaSY_SZ_EUlSY_E_NS1_11comp_targetILNS1_3genE10ELNS1_11target_archE1201ELNS1_3gpuE5ELNS1_3repE0EEENS1_30default_config_static_selectorELNS0_4arch9wavefront6targetE1EEEvT1_.has_recursion, 0
	.set _ZN7rocprim17ROCPRIM_400000_NS6detail17trampoline_kernelINS0_14default_configENS1_29reduce_by_key_config_selectorIdlN6thrust23THRUST_200600_302600_NS4plusIlEEEEZZNS1_33reduce_by_key_impl_wrapped_configILNS1_25lookback_scan_determinismE0ES3_S9_PdNS6_17constant_iteratorIiNS6_11use_defaultESE_EENS6_10device_ptrIdEENSG_IlEEPmS8_NS6_8equal_toIdEEEE10hipError_tPvRmT2_T3_mT4_T5_T6_T7_T8_P12ihipStream_tbENKUlT_T0_E_clISt17integral_constantIbLb0EES12_IbLb1EEEEDaSY_SZ_EUlSY_E_NS1_11comp_targetILNS1_3genE10ELNS1_11target_archE1201ELNS1_3gpuE5ELNS1_3repE0EEENS1_30default_config_static_selectorELNS0_4arch9wavefront6targetE1EEEvT1_.has_indirect_call, 0
	.section	.AMDGPU.csdata,"",@progbits
; Kernel info:
; codeLenInByte = 0
; TotalNumSgprs: 4
; NumVgprs: 0
; ScratchSize: 0
; MemoryBound: 0
; FloatMode: 240
; IeeeMode: 1
; LDSByteSize: 0 bytes/workgroup (compile time only)
; SGPRBlocks: 0
; VGPRBlocks: 0
; NumSGPRsForWavesPerEU: 4
; NumVGPRsForWavesPerEU: 1
; Occupancy: 10
; WaveLimiterHint : 0
; COMPUTE_PGM_RSRC2:SCRATCH_EN: 0
; COMPUTE_PGM_RSRC2:USER_SGPR: 6
; COMPUTE_PGM_RSRC2:TRAP_HANDLER: 0
; COMPUTE_PGM_RSRC2:TGID_X_EN: 1
; COMPUTE_PGM_RSRC2:TGID_Y_EN: 0
; COMPUTE_PGM_RSRC2:TGID_Z_EN: 0
; COMPUTE_PGM_RSRC2:TIDIG_COMP_CNT: 0
	.section	.text._ZN7rocprim17ROCPRIM_400000_NS6detail17trampoline_kernelINS0_14default_configENS1_29reduce_by_key_config_selectorIdlN6thrust23THRUST_200600_302600_NS4plusIlEEEEZZNS1_33reduce_by_key_impl_wrapped_configILNS1_25lookback_scan_determinismE0ES3_S9_PdNS6_17constant_iteratorIiNS6_11use_defaultESE_EENS6_10device_ptrIdEENSG_IlEEPmS8_NS6_8equal_toIdEEEE10hipError_tPvRmT2_T3_mT4_T5_T6_T7_T8_P12ihipStream_tbENKUlT_T0_E_clISt17integral_constantIbLb0EES12_IbLb1EEEEDaSY_SZ_EUlSY_E_NS1_11comp_targetILNS1_3genE10ELNS1_11target_archE1200ELNS1_3gpuE4ELNS1_3repE0EEENS1_30default_config_static_selectorELNS0_4arch9wavefront6targetE1EEEvT1_,"axG",@progbits,_ZN7rocprim17ROCPRIM_400000_NS6detail17trampoline_kernelINS0_14default_configENS1_29reduce_by_key_config_selectorIdlN6thrust23THRUST_200600_302600_NS4plusIlEEEEZZNS1_33reduce_by_key_impl_wrapped_configILNS1_25lookback_scan_determinismE0ES3_S9_PdNS6_17constant_iteratorIiNS6_11use_defaultESE_EENS6_10device_ptrIdEENSG_IlEEPmS8_NS6_8equal_toIdEEEE10hipError_tPvRmT2_T3_mT4_T5_T6_T7_T8_P12ihipStream_tbENKUlT_T0_E_clISt17integral_constantIbLb0EES12_IbLb1EEEEDaSY_SZ_EUlSY_E_NS1_11comp_targetILNS1_3genE10ELNS1_11target_archE1200ELNS1_3gpuE4ELNS1_3repE0EEENS1_30default_config_static_selectorELNS0_4arch9wavefront6targetE1EEEvT1_,comdat
	.protected	_ZN7rocprim17ROCPRIM_400000_NS6detail17trampoline_kernelINS0_14default_configENS1_29reduce_by_key_config_selectorIdlN6thrust23THRUST_200600_302600_NS4plusIlEEEEZZNS1_33reduce_by_key_impl_wrapped_configILNS1_25lookback_scan_determinismE0ES3_S9_PdNS6_17constant_iteratorIiNS6_11use_defaultESE_EENS6_10device_ptrIdEENSG_IlEEPmS8_NS6_8equal_toIdEEEE10hipError_tPvRmT2_T3_mT4_T5_T6_T7_T8_P12ihipStream_tbENKUlT_T0_E_clISt17integral_constantIbLb0EES12_IbLb1EEEEDaSY_SZ_EUlSY_E_NS1_11comp_targetILNS1_3genE10ELNS1_11target_archE1200ELNS1_3gpuE4ELNS1_3repE0EEENS1_30default_config_static_selectorELNS0_4arch9wavefront6targetE1EEEvT1_ ; -- Begin function _ZN7rocprim17ROCPRIM_400000_NS6detail17trampoline_kernelINS0_14default_configENS1_29reduce_by_key_config_selectorIdlN6thrust23THRUST_200600_302600_NS4plusIlEEEEZZNS1_33reduce_by_key_impl_wrapped_configILNS1_25lookback_scan_determinismE0ES3_S9_PdNS6_17constant_iteratorIiNS6_11use_defaultESE_EENS6_10device_ptrIdEENSG_IlEEPmS8_NS6_8equal_toIdEEEE10hipError_tPvRmT2_T3_mT4_T5_T6_T7_T8_P12ihipStream_tbENKUlT_T0_E_clISt17integral_constantIbLb0EES12_IbLb1EEEEDaSY_SZ_EUlSY_E_NS1_11comp_targetILNS1_3genE10ELNS1_11target_archE1200ELNS1_3gpuE4ELNS1_3repE0EEENS1_30default_config_static_selectorELNS0_4arch9wavefront6targetE1EEEvT1_
	.globl	_ZN7rocprim17ROCPRIM_400000_NS6detail17trampoline_kernelINS0_14default_configENS1_29reduce_by_key_config_selectorIdlN6thrust23THRUST_200600_302600_NS4plusIlEEEEZZNS1_33reduce_by_key_impl_wrapped_configILNS1_25lookback_scan_determinismE0ES3_S9_PdNS6_17constant_iteratorIiNS6_11use_defaultESE_EENS6_10device_ptrIdEENSG_IlEEPmS8_NS6_8equal_toIdEEEE10hipError_tPvRmT2_T3_mT4_T5_T6_T7_T8_P12ihipStream_tbENKUlT_T0_E_clISt17integral_constantIbLb0EES12_IbLb1EEEEDaSY_SZ_EUlSY_E_NS1_11comp_targetILNS1_3genE10ELNS1_11target_archE1200ELNS1_3gpuE4ELNS1_3repE0EEENS1_30default_config_static_selectorELNS0_4arch9wavefront6targetE1EEEvT1_
	.p2align	8
	.type	_ZN7rocprim17ROCPRIM_400000_NS6detail17trampoline_kernelINS0_14default_configENS1_29reduce_by_key_config_selectorIdlN6thrust23THRUST_200600_302600_NS4plusIlEEEEZZNS1_33reduce_by_key_impl_wrapped_configILNS1_25lookback_scan_determinismE0ES3_S9_PdNS6_17constant_iteratorIiNS6_11use_defaultESE_EENS6_10device_ptrIdEENSG_IlEEPmS8_NS6_8equal_toIdEEEE10hipError_tPvRmT2_T3_mT4_T5_T6_T7_T8_P12ihipStream_tbENKUlT_T0_E_clISt17integral_constantIbLb0EES12_IbLb1EEEEDaSY_SZ_EUlSY_E_NS1_11comp_targetILNS1_3genE10ELNS1_11target_archE1200ELNS1_3gpuE4ELNS1_3repE0EEENS1_30default_config_static_selectorELNS0_4arch9wavefront6targetE1EEEvT1_,@function
_ZN7rocprim17ROCPRIM_400000_NS6detail17trampoline_kernelINS0_14default_configENS1_29reduce_by_key_config_selectorIdlN6thrust23THRUST_200600_302600_NS4plusIlEEEEZZNS1_33reduce_by_key_impl_wrapped_configILNS1_25lookback_scan_determinismE0ES3_S9_PdNS6_17constant_iteratorIiNS6_11use_defaultESE_EENS6_10device_ptrIdEENSG_IlEEPmS8_NS6_8equal_toIdEEEE10hipError_tPvRmT2_T3_mT4_T5_T6_T7_T8_P12ihipStream_tbENKUlT_T0_E_clISt17integral_constantIbLb0EES12_IbLb1EEEEDaSY_SZ_EUlSY_E_NS1_11comp_targetILNS1_3genE10ELNS1_11target_archE1200ELNS1_3gpuE4ELNS1_3repE0EEENS1_30default_config_static_selectorELNS0_4arch9wavefront6targetE1EEEvT1_: ; @_ZN7rocprim17ROCPRIM_400000_NS6detail17trampoline_kernelINS0_14default_configENS1_29reduce_by_key_config_selectorIdlN6thrust23THRUST_200600_302600_NS4plusIlEEEEZZNS1_33reduce_by_key_impl_wrapped_configILNS1_25lookback_scan_determinismE0ES3_S9_PdNS6_17constant_iteratorIiNS6_11use_defaultESE_EENS6_10device_ptrIdEENSG_IlEEPmS8_NS6_8equal_toIdEEEE10hipError_tPvRmT2_T3_mT4_T5_T6_T7_T8_P12ihipStream_tbENKUlT_T0_E_clISt17integral_constantIbLb0EES12_IbLb1EEEEDaSY_SZ_EUlSY_E_NS1_11comp_targetILNS1_3genE10ELNS1_11target_archE1200ELNS1_3gpuE4ELNS1_3repE0EEENS1_30default_config_static_selectorELNS0_4arch9wavefront6targetE1EEEvT1_
; %bb.0:
	.section	.rodata,"a",@progbits
	.p2align	6, 0x0
	.amdhsa_kernel _ZN7rocprim17ROCPRIM_400000_NS6detail17trampoline_kernelINS0_14default_configENS1_29reduce_by_key_config_selectorIdlN6thrust23THRUST_200600_302600_NS4plusIlEEEEZZNS1_33reduce_by_key_impl_wrapped_configILNS1_25lookback_scan_determinismE0ES3_S9_PdNS6_17constant_iteratorIiNS6_11use_defaultESE_EENS6_10device_ptrIdEENSG_IlEEPmS8_NS6_8equal_toIdEEEE10hipError_tPvRmT2_T3_mT4_T5_T6_T7_T8_P12ihipStream_tbENKUlT_T0_E_clISt17integral_constantIbLb0EES12_IbLb1EEEEDaSY_SZ_EUlSY_E_NS1_11comp_targetILNS1_3genE10ELNS1_11target_archE1200ELNS1_3gpuE4ELNS1_3repE0EEENS1_30default_config_static_selectorELNS0_4arch9wavefront6targetE1EEEvT1_
		.amdhsa_group_segment_fixed_size 0
		.amdhsa_private_segment_fixed_size 0
		.amdhsa_kernarg_size 144
		.amdhsa_user_sgpr_count 6
		.amdhsa_user_sgpr_private_segment_buffer 1
		.amdhsa_user_sgpr_dispatch_ptr 0
		.amdhsa_user_sgpr_queue_ptr 0
		.amdhsa_user_sgpr_kernarg_segment_ptr 1
		.amdhsa_user_sgpr_dispatch_id 0
		.amdhsa_user_sgpr_flat_scratch_init 0
		.amdhsa_user_sgpr_private_segment_size 0
		.amdhsa_uses_dynamic_stack 0
		.amdhsa_system_sgpr_private_segment_wavefront_offset 0
		.amdhsa_system_sgpr_workgroup_id_x 1
		.amdhsa_system_sgpr_workgroup_id_y 0
		.amdhsa_system_sgpr_workgroup_id_z 0
		.amdhsa_system_sgpr_workgroup_info 0
		.amdhsa_system_vgpr_workitem_id 0
		.amdhsa_next_free_vgpr 1
		.amdhsa_next_free_sgpr 0
		.amdhsa_reserve_vcc 0
		.amdhsa_reserve_flat_scratch 0
		.amdhsa_float_round_mode_32 0
		.amdhsa_float_round_mode_16_64 0
		.amdhsa_float_denorm_mode_32 3
		.amdhsa_float_denorm_mode_16_64 3
		.amdhsa_dx10_clamp 1
		.amdhsa_ieee_mode 1
		.amdhsa_fp16_overflow 0
		.amdhsa_exception_fp_ieee_invalid_op 0
		.amdhsa_exception_fp_denorm_src 0
		.amdhsa_exception_fp_ieee_div_zero 0
		.amdhsa_exception_fp_ieee_overflow 0
		.amdhsa_exception_fp_ieee_underflow 0
		.amdhsa_exception_fp_ieee_inexact 0
		.amdhsa_exception_int_div_zero 0
	.end_amdhsa_kernel
	.section	.text._ZN7rocprim17ROCPRIM_400000_NS6detail17trampoline_kernelINS0_14default_configENS1_29reduce_by_key_config_selectorIdlN6thrust23THRUST_200600_302600_NS4plusIlEEEEZZNS1_33reduce_by_key_impl_wrapped_configILNS1_25lookback_scan_determinismE0ES3_S9_PdNS6_17constant_iteratorIiNS6_11use_defaultESE_EENS6_10device_ptrIdEENSG_IlEEPmS8_NS6_8equal_toIdEEEE10hipError_tPvRmT2_T3_mT4_T5_T6_T7_T8_P12ihipStream_tbENKUlT_T0_E_clISt17integral_constantIbLb0EES12_IbLb1EEEEDaSY_SZ_EUlSY_E_NS1_11comp_targetILNS1_3genE10ELNS1_11target_archE1200ELNS1_3gpuE4ELNS1_3repE0EEENS1_30default_config_static_selectorELNS0_4arch9wavefront6targetE1EEEvT1_,"axG",@progbits,_ZN7rocprim17ROCPRIM_400000_NS6detail17trampoline_kernelINS0_14default_configENS1_29reduce_by_key_config_selectorIdlN6thrust23THRUST_200600_302600_NS4plusIlEEEEZZNS1_33reduce_by_key_impl_wrapped_configILNS1_25lookback_scan_determinismE0ES3_S9_PdNS6_17constant_iteratorIiNS6_11use_defaultESE_EENS6_10device_ptrIdEENSG_IlEEPmS8_NS6_8equal_toIdEEEE10hipError_tPvRmT2_T3_mT4_T5_T6_T7_T8_P12ihipStream_tbENKUlT_T0_E_clISt17integral_constantIbLb0EES12_IbLb1EEEEDaSY_SZ_EUlSY_E_NS1_11comp_targetILNS1_3genE10ELNS1_11target_archE1200ELNS1_3gpuE4ELNS1_3repE0EEENS1_30default_config_static_selectorELNS0_4arch9wavefront6targetE1EEEvT1_,comdat
.Lfunc_end1721:
	.size	_ZN7rocprim17ROCPRIM_400000_NS6detail17trampoline_kernelINS0_14default_configENS1_29reduce_by_key_config_selectorIdlN6thrust23THRUST_200600_302600_NS4plusIlEEEEZZNS1_33reduce_by_key_impl_wrapped_configILNS1_25lookback_scan_determinismE0ES3_S9_PdNS6_17constant_iteratorIiNS6_11use_defaultESE_EENS6_10device_ptrIdEENSG_IlEEPmS8_NS6_8equal_toIdEEEE10hipError_tPvRmT2_T3_mT4_T5_T6_T7_T8_P12ihipStream_tbENKUlT_T0_E_clISt17integral_constantIbLb0EES12_IbLb1EEEEDaSY_SZ_EUlSY_E_NS1_11comp_targetILNS1_3genE10ELNS1_11target_archE1200ELNS1_3gpuE4ELNS1_3repE0EEENS1_30default_config_static_selectorELNS0_4arch9wavefront6targetE1EEEvT1_, .Lfunc_end1721-_ZN7rocprim17ROCPRIM_400000_NS6detail17trampoline_kernelINS0_14default_configENS1_29reduce_by_key_config_selectorIdlN6thrust23THRUST_200600_302600_NS4plusIlEEEEZZNS1_33reduce_by_key_impl_wrapped_configILNS1_25lookback_scan_determinismE0ES3_S9_PdNS6_17constant_iteratorIiNS6_11use_defaultESE_EENS6_10device_ptrIdEENSG_IlEEPmS8_NS6_8equal_toIdEEEE10hipError_tPvRmT2_T3_mT4_T5_T6_T7_T8_P12ihipStream_tbENKUlT_T0_E_clISt17integral_constantIbLb0EES12_IbLb1EEEEDaSY_SZ_EUlSY_E_NS1_11comp_targetILNS1_3genE10ELNS1_11target_archE1200ELNS1_3gpuE4ELNS1_3repE0EEENS1_30default_config_static_selectorELNS0_4arch9wavefront6targetE1EEEvT1_
                                        ; -- End function
	.set _ZN7rocprim17ROCPRIM_400000_NS6detail17trampoline_kernelINS0_14default_configENS1_29reduce_by_key_config_selectorIdlN6thrust23THRUST_200600_302600_NS4plusIlEEEEZZNS1_33reduce_by_key_impl_wrapped_configILNS1_25lookback_scan_determinismE0ES3_S9_PdNS6_17constant_iteratorIiNS6_11use_defaultESE_EENS6_10device_ptrIdEENSG_IlEEPmS8_NS6_8equal_toIdEEEE10hipError_tPvRmT2_T3_mT4_T5_T6_T7_T8_P12ihipStream_tbENKUlT_T0_E_clISt17integral_constantIbLb0EES12_IbLb1EEEEDaSY_SZ_EUlSY_E_NS1_11comp_targetILNS1_3genE10ELNS1_11target_archE1200ELNS1_3gpuE4ELNS1_3repE0EEENS1_30default_config_static_selectorELNS0_4arch9wavefront6targetE1EEEvT1_.num_vgpr, 0
	.set _ZN7rocprim17ROCPRIM_400000_NS6detail17trampoline_kernelINS0_14default_configENS1_29reduce_by_key_config_selectorIdlN6thrust23THRUST_200600_302600_NS4plusIlEEEEZZNS1_33reduce_by_key_impl_wrapped_configILNS1_25lookback_scan_determinismE0ES3_S9_PdNS6_17constant_iteratorIiNS6_11use_defaultESE_EENS6_10device_ptrIdEENSG_IlEEPmS8_NS6_8equal_toIdEEEE10hipError_tPvRmT2_T3_mT4_T5_T6_T7_T8_P12ihipStream_tbENKUlT_T0_E_clISt17integral_constantIbLb0EES12_IbLb1EEEEDaSY_SZ_EUlSY_E_NS1_11comp_targetILNS1_3genE10ELNS1_11target_archE1200ELNS1_3gpuE4ELNS1_3repE0EEENS1_30default_config_static_selectorELNS0_4arch9wavefront6targetE1EEEvT1_.num_agpr, 0
	.set _ZN7rocprim17ROCPRIM_400000_NS6detail17trampoline_kernelINS0_14default_configENS1_29reduce_by_key_config_selectorIdlN6thrust23THRUST_200600_302600_NS4plusIlEEEEZZNS1_33reduce_by_key_impl_wrapped_configILNS1_25lookback_scan_determinismE0ES3_S9_PdNS6_17constant_iteratorIiNS6_11use_defaultESE_EENS6_10device_ptrIdEENSG_IlEEPmS8_NS6_8equal_toIdEEEE10hipError_tPvRmT2_T3_mT4_T5_T6_T7_T8_P12ihipStream_tbENKUlT_T0_E_clISt17integral_constantIbLb0EES12_IbLb1EEEEDaSY_SZ_EUlSY_E_NS1_11comp_targetILNS1_3genE10ELNS1_11target_archE1200ELNS1_3gpuE4ELNS1_3repE0EEENS1_30default_config_static_selectorELNS0_4arch9wavefront6targetE1EEEvT1_.numbered_sgpr, 0
	.set _ZN7rocprim17ROCPRIM_400000_NS6detail17trampoline_kernelINS0_14default_configENS1_29reduce_by_key_config_selectorIdlN6thrust23THRUST_200600_302600_NS4plusIlEEEEZZNS1_33reduce_by_key_impl_wrapped_configILNS1_25lookback_scan_determinismE0ES3_S9_PdNS6_17constant_iteratorIiNS6_11use_defaultESE_EENS6_10device_ptrIdEENSG_IlEEPmS8_NS6_8equal_toIdEEEE10hipError_tPvRmT2_T3_mT4_T5_T6_T7_T8_P12ihipStream_tbENKUlT_T0_E_clISt17integral_constantIbLb0EES12_IbLb1EEEEDaSY_SZ_EUlSY_E_NS1_11comp_targetILNS1_3genE10ELNS1_11target_archE1200ELNS1_3gpuE4ELNS1_3repE0EEENS1_30default_config_static_selectorELNS0_4arch9wavefront6targetE1EEEvT1_.num_named_barrier, 0
	.set _ZN7rocprim17ROCPRIM_400000_NS6detail17trampoline_kernelINS0_14default_configENS1_29reduce_by_key_config_selectorIdlN6thrust23THRUST_200600_302600_NS4plusIlEEEEZZNS1_33reduce_by_key_impl_wrapped_configILNS1_25lookback_scan_determinismE0ES3_S9_PdNS6_17constant_iteratorIiNS6_11use_defaultESE_EENS6_10device_ptrIdEENSG_IlEEPmS8_NS6_8equal_toIdEEEE10hipError_tPvRmT2_T3_mT4_T5_T6_T7_T8_P12ihipStream_tbENKUlT_T0_E_clISt17integral_constantIbLb0EES12_IbLb1EEEEDaSY_SZ_EUlSY_E_NS1_11comp_targetILNS1_3genE10ELNS1_11target_archE1200ELNS1_3gpuE4ELNS1_3repE0EEENS1_30default_config_static_selectorELNS0_4arch9wavefront6targetE1EEEvT1_.private_seg_size, 0
	.set _ZN7rocprim17ROCPRIM_400000_NS6detail17trampoline_kernelINS0_14default_configENS1_29reduce_by_key_config_selectorIdlN6thrust23THRUST_200600_302600_NS4plusIlEEEEZZNS1_33reduce_by_key_impl_wrapped_configILNS1_25lookback_scan_determinismE0ES3_S9_PdNS6_17constant_iteratorIiNS6_11use_defaultESE_EENS6_10device_ptrIdEENSG_IlEEPmS8_NS6_8equal_toIdEEEE10hipError_tPvRmT2_T3_mT4_T5_T6_T7_T8_P12ihipStream_tbENKUlT_T0_E_clISt17integral_constantIbLb0EES12_IbLb1EEEEDaSY_SZ_EUlSY_E_NS1_11comp_targetILNS1_3genE10ELNS1_11target_archE1200ELNS1_3gpuE4ELNS1_3repE0EEENS1_30default_config_static_selectorELNS0_4arch9wavefront6targetE1EEEvT1_.uses_vcc, 0
	.set _ZN7rocprim17ROCPRIM_400000_NS6detail17trampoline_kernelINS0_14default_configENS1_29reduce_by_key_config_selectorIdlN6thrust23THRUST_200600_302600_NS4plusIlEEEEZZNS1_33reduce_by_key_impl_wrapped_configILNS1_25lookback_scan_determinismE0ES3_S9_PdNS6_17constant_iteratorIiNS6_11use_defaultESE_EENS6_10device_ptrIdEENSG_IlEEPmS8_NS6_8equal_toIdEEEE10hipError_tPvRmT2_T3_mT4_T5_T6_T7_T8_P12ihipStream_tbENKUlT_T0_E_clISt17integral_constantIbLb0EES12_IbLb1EEEEDaSY_SZ_EUlSY_E_NS1_11comp_targetILNS1_3genE10ELNS1_11target_archE1200ELNS1_3gpuE4ELNS1_3repE0EEENS1_30default_config_static_selectorELNS0_4arch9wavefront6targetE1EEEvT1_.uses_flat_scratch, 0
	.set _ZN7rocprim17ROCPRIM_400000_NS6detail17trampoline_kernelINS0_14default_configENS1_29reduce_by_key_config_selectorIdlN6thrust23THRUST_200600_302600_NS4plusIlEEEEZZNS1_33reduce_by_key_impl_wrapped_configILNS1_25lookback_scan_determinismE0ES3_S9_PdNS6_17constant_iteratorIiNS6_11use_defaultESE_EENS6_10device_ptrIdEENSG_IlEEPmS8_NS6_8equal_toIdEEEE10hipError_tPvRmT2_T3_mT4_T5_T6_T7_T8_P12ihipStream_tbENKUlT_T0_E_clISt17integral_constantIbLb0EES12_IbLb1EEEEDaSY_SZ_EUlSY_E_NS1_11comp_targetILNS1_3genE10ELNS1_11target_archE1200ELNS1_3gpuE4ELNS1_3repE0EEENS1_30default_config_static_selectorELNS0_4arch9wavefront6targetE1EEEvT1_.has_dyn_sized_stack, 0
	.set _ZN7rocprim17ROCPRIM_400000_NS6detail17trampoline_kernelINS0_14default_configENS1_29reduce_by_key_config_selectorIdlN6thrust23THRUST_200600_302600_NS4plusIlEEEEZZNS1_33reduce_by_key_impl_wrapped_configILNS1_25lookback_scan_determinismE0ES3_S9_PdNS6_17constant_iteratorIiNS6_11use_defaultESE_EENS6_10device_ptrIdEENSG_IlEEPmS8_NS6_8equal_toIdEEEE10hipError_tPvRmT2_T3_mT4_T5_T6_T7_T8_P12ihipStream_tbENKUlT_T0_E_clISt17integral_constantIbLb0EES12_IbLb1EEEEDaSY_SZ_EUlSY_E_NS1_11comp_targetILNS1_3genE10ELNS1_11target_archE1200ELNS1_3gpuE4ELNS1_3repE0EEENS1_30default_config_static_selectorELNS0_4arch9wavefront6targetE1EEEvT1_.has_recursion, 0
	.set _ZN7rocprim17ROCPRIM_400000_NS6detail17trampoline_kernelINS0_14default_configENS1_29reduce_by_key_config_selectorIdlN6thrust23THRUST_200600_302600_NS4plusIlEEEEZZNS1_33reduce_by_key_impl_wrapped_configILNS1_25lookback_scan_determinismE0ES3_S9_PdNS6_17constant_iteratorIiNS6_11use_defaultESE_EENS6_10device_ptrIdEENSG_IlEEPmS8_NS6_8equal_toIdEEEE10hipError_tPvRmT2_T3_mT4_T5_T6_T7_T8_P12ihipStream_tbENKUlT_T0_E_clISt17integral_constantIbLb0EES12_IbLb1EEEEDaSY_SZ_EUlSY_E_NS1_11comp_targetILNS1_3genE10ELNS1_11target_archE1200ELNS1_3gpuE4ELNS1_3repE0EEENS1_30default_config_static_selectorELNS0_4arch9wavefront6targetE1EEEvT1_.has_indirect_call, 0
	.section	.AMDGPU.csdata,"",@progbits
; Kernel info:
; codeLenInByte = 0
; TotalNumSgprs: 4
; NumVgprs: 0
; ScratchSize: 0
; MemoryBound: 0
; FloatMode: 240
; IeeeMode: 1
; LDSByteSize: 0 bytes/workgroup (compile time only)
; SGPRBlocks: 0
; VGPRBlocks: 0
; NumSGPRsForWavesPerEU: 4
; NumVGPRsForWavesPerEU: 1
; Occupancy: 10
; WaveLimiterHint : 0
; COMPUTE_PGM_RSRC2:SCRATCH_EN: 0
; COMPUTE_PGM_RSRC2:USER_SGPR: 6
; COMPUTE_PGM_RSRC2:TRAP_HANDLER: 0
; COMPUTE_PGM_RSRC2:TGID_X_EN: 1
; COMPUTE_PGM_RSRC2:TGID_Y_EN: 0
; COMPUTE_PGM_RSRC2:TGID_Z_EN: 0
; COMPUTE_PGM_RSRC2:TIDIG_COMP_CNT: 0
	.section	.text._ZN7rocprim17ROCPRIM_400000_NS6detail17trampoline_kernelINS0_14default_configENS1_29reduce_by_key_config_selectorIdlN6thrust23THRUST_200600_302600_NS4plusIlEEEEZZNS1_33reduce_by_key_impl_wrapped_configILNS1_25lookback_scan_determinismE0ES3_S9_PdNS6_17constant_iteratorIiNS6_11use_defaultESE_EENS6_10device_ptrIdEENSG_IlEEPmS8_NS6_8equal_toIdEEEE10hipError_tPvRmT2_T3_mT4_T5_T6_T7_T8_P12ihipStream_tbENKUlT_T0_E_clISt17integral_constantIbLb0EES12_IbLb1EEEEDaSY_SZ_EUlSY_E_NS1_11comp_targetILNS1_3genE9ELNS1_11target_archE1100ELNS1_3gpuE3ELNS1_3repE0EEENS1_30default_config_static_selectorELNS0_4arch9wavefront6targetE1EEEvT1_,"axG",@progbits,_ZN7rocprim17ROCPRIM_400000_NS6detail17trampoline_kernelINS0_14default_configENS1_29reduce_by_key_config_selectorIdlN6thrust23THRUST_200600_302600_NS4plusIlEEEEZZNS1_33reduce_by_key_impl_wrapped_configILNS1_25lookback_scan_determinismE0ES3_S9_PdNS6_17constant_iteratorIiNS6_11use_defaultESE_EENS6_10device_ptrIdEENSG_IlEEPmS8_NS6_8equal_toIdEEEE10hipError_tPvRmT2_T3_mT4_T5_T6_T7_T8_P12ihipStream_tbENKUlT_T0_E_clISt17integral_constantIbLb0EES12_IbLb1EEEEDaSY_SZ_EUlSY_E_NS1_11comp_targetILNS1_3genE9ELNS1_11target_archE1100ELNS1_3gpuE3ELNS1_3repE0EEENS1_30default_config_static_selectorELNS0_4arch9wavefront6targetE1EEEvT1_,comdat
	.protected	_ZN7rocprim17ROCPRIM_400000_NS6detail17trampoline_kernelINS0_14default_configENS1_29reduce_by_key_config_selectorIdlN6thrust23THRUST_200600_302600_NS4plusIlEEEEZZNS1_33reduce_by_key_impl_wrapped_configILNS1_25lookback_scan_determinismE0ES3_S9_PdNS6_17constant_iteratorIiNS6_11use_defaultESE_EENS6_10device_ptrIdEENSG_IlEEPmS8_NS6_8equal_toIdEEEE10hipError_tPvRmT2_T3_mT4_T5_T6_T7_T8_P12ihipStream_tbENKUlT_T0_E_clISt17integral_constantIbLb0EES12_IbLb1EEEEDaSY_SZ_EUlSY_E_NS1_11comp_targetILNS1_3genE9ELNS1_11target_archE1100ELNS1_3gpuE3ELNS1_3repE0EEENS1_30default_config_static_selectorELNS0_4arch9wavefront6targetE1EEEvT1_ ; -- Begin function _ZN7rocprim17ROCPRIM_400000_NS6detail17trampoline_kernelINS0_14default_configENS1_29reduce_by_key_config_selectorIdlN6thrust23THRUST_200600_302600_NS4plusIlEEEEZZNS1_33reduce_by_key_impl_wrapped_configILNS1_25lookback_scan_determinismE0ES3_S9_PdNS6_17constant_iteratorIiNS6_11use_defaultESE_EENS6_10device_ptrIdEENSG_IlEEPmS8_NS6_8equal_toIdEEEE10hipError_tPvRmT2_T3_mT4_T5_T6_T7_T8_P12ihipStream_tbENKUlT_T0_E_clISt17integral_constantIbLb0EES12_IbLb1EEEEDaSY_SZ_EUlSY_E_NS1_11comp_targetILNS1_3genE9ELNS1_11target_archE1100ELNS1_3gpuE3ELNS1_3repE0EEENS1_30default_config_static_selectorELNS0_4arch9wavefront6targetE1EEEvT1_
	.globl	_ZN7rocprim17ROCPRIM_400000_NS6detail17trampoline_kernelINS0_14default_configENS1_29reduce_by_key_config_selectorIdlN6thrust23THRUST_200600_302600_NS4plusIlEEEEZZNS1_33reduce_by_key_impl_wrapped_configILNS1_25lookback_scan_determinismE0ES3_S9_PdNS6_17constant_iteratorIiNS6_11use_defaultESE_EENS6_10device_ptrIdEENSG_IlEEPmS8_NS6_8equal_toIdEEEE10hipError_tPvRmT2_T3_mT4_T5_T6_T7_T8_P12ihipStream_tbENKUlT_T0_E_clISt17integral_constantIbLb0EES12_IbLb1EEEEDaSY_SZ_EUlSY_E_NS1_11comp_targetILNS1_3genE9ELNS1_11target_archE1100ELNS1_3gpuE3ELNS1_3repE0EEENS1_30default_config_static_selectorELNS0_4arch9wavefront6targetE1EEEvT1_
	.p2align	8
	.type	_ZN7rocprim17ROCPRIM_400000_NS6detail17trampoline_kernelINS0_14default_configENS1_29reduce_by_key_config_selectorIdlN6thrust23THRUST_200600_302600_NS4plusIlEEEEZZNS1_33reduce_by_key_impl_wrapped_configILNS1_25lookback_scan_determinismE0ES3_S9_PdNS6_17constant_iteratorIiNS6_11use_defaultESE_EENS6_10device_ptrIdEENSG_IlEEPmS8_NS6_8equal_toIdEEEE10hipError_tPvRmT2_T3_mT4_T5_T6_T7_T8_P12ihipStream_tbENKUlT_T0_E_clISt17integral_constantIbLb0EES12_IbLb1EEEEDaSY_SZ_EUlSY_E_NS1_11comp_targetILNS1_3genE9ELNS1_11target_archE1100ELNS1_3gpuE3ELNS1_3repE0EEENS1_30default_config_static_selectorELNS0_4arch9wavefront6targetE1EEEvT1_,@function
_ZN7rocprim17ROCPRIM_400000_NS6detail17trampoline_kernelINS0_14default_configENS1_29reduce_by_key_config_selectorIdlN6thrust23THRUST_200600_302600_NS4plusIlEEEEZZNS1_33reduce_by_key_impl_wrapped_configILNS1_25lookback_scan_determinismE0ES3_S9_PdNS6_17constant_iteratorIiNS6_11use_defaultESE_EENS6_10device_ptrIdEENSG_IlEEPmS8_NS6_8equal_toIdEEEE10hipError_tPvRmT2_T3_mT4_T5_T6_T7_T8_P12ihipStream_tbENKUlT_T0_E_clISt17integral_constantIbLb0EES12_IbLb1EEEEDaSY_SZ_EUlSY_E_NS1_11comp_targetILNS1_3genE9ELNS1_11target_archE1100ELNS1_3gpuE3ELNS1_3repE0EEENS1_30default_config_static_selectorELNS0_4arch9wavefront6targetE1EEEvT1_: ; @_ZN7rocprim17ROCPRIM_400000_NS6detail17trampoline_kernelINS0_14default_configENS1_29reduce_by_key_config_selectorIdlN6thrust23THRUST_200600_302600_NS4plusIlEEEEZZNS1_33reduce_by_key_impl_wrapped_configILNS1_25lookback_scan_determinismE0ES3_S9_PdNS6_17constant_iteratorIiNS6_11use_defaultESE_EENS6_10device_ptrIdEENSG_IlEEPmS8_NS6_8equal_toIdEEEE10hipError_tPvRmT2_T3_mT4_T5_T6_T7_T8_P12ihipStream_tbENKUlT_T0_E_clISt17integral_constantIbLb0EES12_IbLb1EEEEDaSY_SZ_EUlSY_E_NS1_11comp_targetILNS1_3genE9ELNS1_11target_archE1100ELNS1_3gpuE3ELNS1_3repE0EEENS1_30default_config_static_selectorELNS0_4arch9wavefront6targetE1EEEvT1_
; %bb.0:
	.section	.rodata,"a",@progbits
	.p2align	6, 0x0
	.amdhsa_kernel _ZN7rocprim17ROCPRIM_400000_NS6detail17trampoline_kernelINS0_14default_configENS1_29reduce_by_key_config_selectorIdlN6thrust23THRUST_200600_302600_NS4plusIlEEEEZZNS1_33reduce_by_key_impl_wrapped_configILNS1_25lookback_scan_determinismE0ES3_S9_PdNS6_17constant_iteratorIiNS6_11use_defaultESE_EENS6_10device_ptrIdEENSG_IlEEPmS8_NS6_8equal_toIdEEEE10hipError_tPvRmT2_T3_mT4_T5_T6_T7_T8_P12ihipStream_tbENKUlT_T0_E_clISt17integral_constantIbLb0EES12_IbLb1EEEEDaSY_SZ_EUlSY_E_NS1_11comp_targetILNS1_3genE9ELNS1_11target_archE1100ELNS1_3gpuE3ELNS1_3repE0EEENS1_30default_config_static_selectorELNS0_4arch9wavefront6targetE1EEEvT1_
		.amdhsa_group_segment_fixed_size 0
		.amdhsa_private_segment_fixed_size 0
		.amdhsa_kernarg_size 144
		.amdhsa_user_sgpr_count 6
		.amdhsa_user_sgpr_private_segment_buffer 1
		.amdhsa_user_sgpr_dispatch_ptr 0
		.amdhsa_user_sgpr_queue_ptr 0
		.amdhsa_user_sgpr_kernarg_segment_ptr 1
		.amdhsa_user_sgpr_dispatch_id 0
		.amdhsa_user_sgpr_flat_scratch_init 0
		.amdhsa_user_sgpr_private_segment_size 0
		.amdhsa_uses_dynamic_stack 0
		.amdhsa_system_sgpr_private_segment_wavefront_offset 0
		.amdhsa_system_sgpr_workgroup_id_x 1
		.amdhsa_system_sgpr_workgroup_id_y 0
		.amdhsa_system_sgpr_workgroup_id_z 0
		.amdhsa_system_sgpr_workgroup_info 0
		.amdhsa_system_vgpr_workitem_id 0
		.amdhsa_next_free_vgpr 1
		.amdhsa_next_free_sgpr 0
		.amdhsa_reserve_vcc 0
		.amdhsa_reserve_flat_scratch 0
		.amdhsa_float_round_mode_32 0
		.amdhsa_float_round_mode_16_64 0
		.amdhsa_float_denorm_mode_32 3
		.amdhsa_float_denorm_mode_16_64 3
		.amdhsa_dx10_clamp 1
		.amdhsa_ieee_mode 1
		.amdhsa_fp16_overflow 0
		.amdhsa_exception_fp_ieee_invalid_op 0
		.amdhsa_exception_fp_denorm_src 0
		.amdhsa_exception_fp_ieee_div_zero 0
		.amdhsa_exception_fp_ieee_overflow 0
		.amdhsa_exception_fp_ieee_underflow 0
		.amdhsa_exception_fp_ieee_inexact 0
		.amdhsa_exception_int_div_zero 0
	.end_amdhsa_kernel
	.section	.text._ZN7rocprim17ROCPRIM_400000_NS6detail17trampoline_kernelINS0_14default_configENS1_29reduce_by_key_config_selectorIdlN6thrust23THRUST_200600_302600_NS4plusIlEEEEZZNS1_33reduce_by_key_impl_wrapped_configILNS1_25lookback_scan_determinismE0ES3_S9_PdNS6_17constant_iteratorIiNS6_11use_defaultESE_EENS6_10device_ptrIdEENSG_IlEEPmS8_NS6_8equal_toIdEEEE10hipError_tPvRmT2_T3_mT4_T5_T6_T7_T8_P12ihipStream_tbENKUlT_T0_E_clISt17integral_constantIbLb0EES12_IbLb1EEEEDaSY_SZ_EUlSY_E_NS1_11comp_targetILNS1_3genE9ELNS1_11target_archE1100ELNS1_3gpuE3ELNS1_3repE0EEENS1_30default_config_static_selectorELNS0_4arch9wavefront6targetE1EEEvT1_,"axG",@progbits,_ZN7rocprim17ROCPRIM_400000_NS6detail17trampoline_kernelINS0_14default_configENS1_29reduce_by_key_config_selectorIdlN6thrust23THRUST_200600_302600_NS4plusIlEEEEZZNS1_33reduce_by_key_impl_wrapped_configILNS1_25lookback_scan_determinismE0ES3_S9_PdNS6_17constant_iteratorIiNS6_11use_defaultESE_EENS6_10device_ptrIdEENSG_IlEEPmS8_NS6_8equal_toIdEEEE10hipError_tPvRmT2_T3_mT4_T5_T6_T7_T8_P12ihipStream_tbENKUlT_T0_E_clISt17integral_constantIbLb0EES12_IbLb1EEEEDaSY_SZ_EUlSY_E_NS1_11comp_targetILNS1_3genE9ELNS1_11target_archE1100ELNS1_3gpuE3ELNS1_3repE0EEENS1_30default_config_static_selectorELNS0_4arch9wavefront6targetE1EEEvT1_,comdat
.Lfunc_end1722:
	.size	_ZN7rocprim17ROCPRIM_400000_NS6detail17trampoline_kernelINS0_14default_configENS1_29reduce_by_key_config_selectorIdlN6thrust23THRUST_200600_302600_NS4plusIlEEEEZZNS1_33reduce_by_key_impl_wrapped_configILNS1_25lookback_scan_determinismE0ES3_S9_PdNS6_17constant_iteratorIiNS6_11use_defaultESE_EENS6_10device_ptrIdEENSG_IlEEPmS8_NS6_8equal_toIdEEEE10hipError_tPvRmT2_T3_mT4_T5_T6_T7_T8_P12ihipStream_tbENKUlT_T0_E_clISt17integral_constantIbLb0EES12_IbLb1EEEEDaSY_SZ_EUlSY_E_NS1_11comp_targetILNS1_3genE9ELNS1_11target_archE1100ELNS1_3gpuE3ELNS1_3repE0EEENS1_30default_config_static_selectorELNS0_4arch9wavefront6targetE1EEEvT1_, .Lfunc_end1722-_ZN7rocprim17ROCPRIM_400000_NS6detail17trampoline_kernelINS0_14default_configENS1_29reduce_by_key_config_selectorIdlN6thrust23THRUST_200600_302600_NS4plusIlEEEEZZNS1_33reduce_by_key_impl_wrapped_configILNS1_25lookback_scan_determinismE0ES3_S9_PdNS6_17constant_iteratorIiNS6_11use_defaultESE_EENS6_10device_ptrIdEENSG_IlEEPmS8_NS6_8equal_toIdEEEE10hipError_tPvRmT2_T3_mT4_T5_T6_T7_T8_P12ihipStream_tbENKUlT_T0_E_clISt17integral_constantIbLb0EES12_IbLb1EEEEDaSY_SZ_EUlSY_E_NS1_11comp_targetILNS1_3genE9ELNS1_11target_archE1100ELNS1_3gpuE3ELNS1_3repE0EEENS1_30default_config_static_selectorELNS0_4arch9wavefront6targetE1EEEvT1_
                                        ; -- End function
	.set _ZN7rocprim17ROCPRIM_400000_NS6detail17trampoline_kernelINS0_14default_configENS1_29reduce_by_key_config_selectorIdlN6thrust23THRUST_200600_302600_NS4plusIlEEEEZZNS1_33reduce_by_key_impl_wrapped_configILNS1_25lookback_scan_determinismE0ES3_S9_PdNS6_17constant_iteratorIiNS6_11use_defaultESE_EENS6_10device_ptrIdEENSG_IlEEPmS8_NS6_8equal_toIdEEEE10hipError_tPvRmT2_T3_mT4_T5_T6_T7_T8_P12ihipStream_tbENKUlT_T0_E_clISt17integral_constantIbLb0EES12_IbLb1EEEEDaSY_SZ_EUlSY_E_NS1_11comp_targetILNS1_3genE9ELNS1_11target_archE1100ELNS1_3gpuE3ELNS1_3repE0EEENS1_30default_config_static_selectorELNS0_4arch9wavefront6targetE1EEEvT1_.num_vgpr, 0
	.set _ZN7rocprim17ROCPRIM_400000_NS6detail17trampoline_kernelINS0_14default_configENS1_29reduce_by_key_config_selectorIdlN6thrust23THRUST_200600_302600_NS4plusIlEEEEZZNS1_33reduce_by_key_impl_wrapped_configILNS1_25lookback_scan_determinismE0ES3_S9_PdNS6_17constant_iteratorIiNS6_11use_defaultESE_EENS6_10device_ptrIdEENSG_IlEEPmS8_NS6_8equal_toIdEEEE10hipError_tPvRmT2_T3_mT4_T5_T6_T7_T8_P12ihipStream_tbENKUlT_T0_E_clISt17integral_constantIbLb0EES12_IbLb1EEEEDaSY_SZ_EUlSY_E_NS1_11comp_targetILNS1_3genE9ELNS1_11target_archE1100ELNS1_3gpuE3ELNS1_3repE0EEENS1_30default_config_static_selectorELNS0_4arch9wavefront6targetE1EEEvT1_.num_agpr, 0
	.set _ZN7rocprim17ROCPRIM_400000_NS6detail17trampoline_kernelINS0_14default_configENS1_29reduce_by_key_config_selectorIdlN6thrust23THRUST_200600_302600_NS4plusIlEEEEZZNS1_33reduce_by_key_impl_wrapped_configILNS1_25lookback_scan_determinismE0ES3_S9_PdNS6_17constant_iteratorIiNS6_11use_defaultESE_EENS6_10device_ptrIdEENSG_IlEEPmS8_NS6_8equal_toIdEEEE10hipError_tPvRmT2_T3_mT4_T5_T6_T7_T8_P12ihipStream_tbENKUlT_T0_E_clISt17integral_constantIbLb0EES12_IbLb1EEEEDaSY_SZ_EUlSY_E_NS1_11comp_targetILNS1_3genE9ELNS1_11target_archE1100ELNS1_3gpuE3ELNS1_3repE0EEENS1_30default_config_static_selectorELNS0_4arch9wavefront6targetE1EEEvT1_.numbered_sgpr, 0
	.set _ZN7rocprim17ROCPRIM_400000_NS6detail17trampoline_kernelINS0_14default_configENS1_29reduce_by_key_config_selectorIdlN6thrust23THRUST_200600_302600_NS4plusIlEEEEZZNS1_33reduce_by_key_impl_wrapped_configILNS1_25lookback_scan_determinismE0ES3_S9_PdNS6_17constant_iteratorIiNS6_11use_defaultESE_EENS6_10device_ptrIdEENSG_IlEEPmS8_NS6_8equal_toIdEEEE10hipError_tPvRmT2_T3_mT4_T5_T6_T7_T8_P12ihipStream_tbENKUlT_T0_E_clISt17integral_constantIbLb0EES12_IbLb1EEEEDaSY_SZ_EUlSY_E_NS1_11comp_targetILNS1_3genE9ELNS1_11target_archE1100ELNS1_3gpuE3ELNS1_3repE0EEENS1_30default_config_static_selectorELNS0_4arch9wavefront6targetE1EEEvT1_.num_named_barrier, 0
	.set _ZN7rocprim17ROCPRIM_400000_NS6detail17trampoline_kernelINS0_14default_configENS1_29reduce_by_key_config_selectorIdlN6thrust23THRUST_200600_302600_NS4plusIlEEEEZZNS1_33reduce_by_key_impl_wrapped_configILNS1_25lookback_scan_determinismE0ES3_S9_PdNS6_17constant_iteratorIiNS6_11use_defaultESE_EENS6_10device_ptrIdEENSG_IlEEPmS8_NS6_8equal_toIdEEEE10hipError_tPvRmT2_T3_mT4_T5_T6_T7_T8_P12ihipStream_tbENKUlT_T0_E_clISt17integral_constantIbLb0EES12_IbLb1EEEEDaSY_SZ_EUlSY_E_NS1_11comp_targetILNS1_3genE9ELNS1_11target_archE1100ELNS1_3gpuE3ELNS1_3repE0EEENS1_30default_config_static_selectorELNS0_4arch9wavefront6targetE1EEEvT1_.private_seg_size, 0
	.set _ZN7rocprim17ROCPRIM_400000_NS6detail17trampoline_kernelINS0_14default_configENS1_29reduce_by_key_config_selectorIdlN6thrust23THRUST_200600_302600_NS4plusIlEEEEZZNS1_33reduce_by_key_impl_wrapped_configILNS1_25lookback_scan_determinismE0ES3_S9_PdNS6_17constant_iteratorIiNS6_11use_defaultESE_EENS6_10device_ptrIdEENSG_IlEEPmS8_NS6_8equal_toIdEEEE10hipError_tPvRmT2_T3_mT4_T5_T6_T7_T8_P12ihipStream_tbENKUlT_T0_E_clISt17integral_constantIbLb0EES12_IbLb1EEEEDaSY_SZ_EUlSY_E_NS1_11comp_targetILNS1_3genE9ELNS1_11target_archE1100ELNS1_3gpuE3ELNS1_3repE0EEENS1_30default_config_static_selectorELNS0_4arch9wavefront6targetE1EEEvT1_.uses_vcc, 0
	.set _ZN7rocprim17ROCPRIM_400000_NS6detail17trampoline_kernelINS0_14default_configENS1_29reduce_by_key_config_selectorIdlN6thrust23THRUST_200600_302600_NS4plusIlEEEEZZNS1_33reduce_by_key_impl_wrapped_configILNS1_25lookback_scan_determinismE0ES3_S9_PdNS6_17constant_iteratorIiNS6_11use_defaultESE_EENS6_10device_ptrIdEENSG_IlEEPmS8_NS6_8equal_toIdEEEE10hipError_tPvRmT2_T3_mT4_T5_T6_T7_T8_P12ihipStream_tbENKUlT_T0_E_clISt17integral_constantIbLb0EES12_IbLb1EEEEDaSY_SZ_EUlSY_E_NS1_11comp_targetILNS1_3genE9ELNS1_11target_archE1100ELNS1_3gpuE3ELNS1_3repE0EEENS1_30default_config_static_selectorELNS0_4arch9wavefront6targetE1EEEvT1_.uses_flat_scratch, 0
	.set _ZN7rocprim17ROCPRIM_400000_NS6detail17trampoline_kernelINS0_14default_configENS1_29reduce_by_key_config_selectorIdlN6thrust23THRUST_200600_302600_NS4plusIlEEEEZZNS1_33reduce_by_key_impl_wrapped_configILNS1_25lookback_scan_determinismE0ES3_S9_PdNS6_17constant_iteratorIiNS6_11use_defaultESE_EENS6_10device_ptrIdEENSG_IlEEPmS8_NS6_8equal_toIdEEEE10hipError_tPvRmT2_T3_mT4_T5_T6_T7_T8_P12ihipStream_tbENKUlT_T0_E_clISt17integral_constantIbLb0EES12_IbLb1EEEEDaSY_SZ_EUlSY_E_NS1_11comp_targetILNS1_3genE9ELNS1_11target_archE1100ELNS1_3gpuE3ELNS1_3repE0EEENS1_30default_config_static_selectorELNS0_4arch9wavefront6targetE1EEEvT1_.has_dyn_sized_stack, 0
	.set _ZN7rocprim17ROCPRIM_400000_NS6detail17trampoline_kernelINS0_14default_configENS1_29reduce_by_key_config_selectorIdlN6thrust23THRUST_200600_302600_NS4plusIlEEEEZZNS1_33reduce_by_key_impl_wrapped_configILNS1_25lookback_scan_determinismE0ES3_S9_PdNS6_17constant_iteratorIiNS6_11use_defaultESE_EENS6_10device_ptrIdEENSG_IlEEPmS8_NS6_8equal_toIdEEEE10hipError_tPvRmT2_T3_mT4_T5_T6_T7_T8_P12ihipStream_tbENKUlT_T0_E_clISt17integral_constantIbLb0EES12_IbLb1EEEEDaSY_SZ_EUlSY_E_NS1_11comp_targetILNS1_3genE9ELNS1_11target_archE1100ELNS1_3gpuE3ELNS1_3repE0EEENS1_30default_config_static_selectorELNS0_4arch9wavefront6targetE1EEEvT1_.has_recursion, 0
	.set _ZN7rocprim17ROCPRIM_400000_NS6detail17trampoline_kernelINS0_14default_configENS1_29reduce_by_key_config_selectorIdlN6thrust23THRUST_200600_302600_NS4plusIlEEEEZZNS1_33reduce_by_key_impl_wrapped_configILNS1_25lookback_scan_determinismE0ES3_S9_PdNS6_17constant_iteratorIiNS6_11use_defaultESE_EENS6_10device_ptrIdEENSG_IlEEPmS8_NS6_8equal_toIdEEEE10hipError_tPvRmT2_T3_mT4_T5_T6_T7_T8_P12ihipStream_tbENKUlT_T0_E_clISt17integral_constantIbLb0EES12_IbLb1EEEEDaSY_SZ_EUlSY_E_NS1_11comp_targetILNS1_3genE9ELNS1_11target_archE1100ELNS1_3gpuE3ELNS1_3repE0EEENS1_30default_config_static_selectorELNS0_4arch9wavefront6targetE1EEEvT1_.has_indirect_call, 0
	.section	.AMDGPU.csdata,"",@progbits
; Kernel info:
; codeLenInByte = 0
; TotalNumSgprs: 4
; NumVgprs: 0
; ScratchSize: 0
; MemoryBound: 0
; FloatMode: 240
; IeeeMode: 1
; LDSByteSize: 0 bytes/workgroup (compile time only)
; SGPRBlocks: 0
; VGPRBlocks: 0
; NumSGPRsForWavesPerEU: 4
; NumVGPRsForWavesPerEU: 1
; Occupancy: 10
; WaveLimiterHint : 0
; COMPUTE_PGM_RSRC2:SCRATCH_EN: 0
; COMPUTE_PGM_RSRC2:USER_SGPR: 6
; COMPUTE_PGM_RSRC2:TRAP_HANDLER: 0
; COMPUTE_PGM_RSRC2:TGID_X_EN: 1
; COMPUTE_PGM_RSRC2:TGID_Y_EN: 0
; COMPUTE_PGM_RSRC2:TGID_Z_EN: 0
; COMPUTE_PGM_RSRC2:TIDIG_COMP_CNT: 0
	.section	.text._ZN7rocprim17ROCPRIM_400000_NS6detail17trampoline_kernelINS0_14default_configENS1_29reduce_by_key_config_selectorIdlN6thrust23THRUST_200600_302600_NS4plusIlEEEEZZNS1_33reduce_by_key_impl_wrapped_configILNS1_25lookback_scan_determinismE0ES3_S9_PdNS6_17constant_iteratorIiNS6_11use_defaultESE_EENS6_10device_ptrIdEENSG_IlEEPmS8_NS6_8equal_toIdEEEE10hipError_tPvRmT2_T3_mT4_T5_T6_T7_T8_P12ihipStream_tbENKUlT_T0_E_clISt17integral_constantIbLb0EES12_IbLb1EEEEDaSY_SZ_EUlSY_E_NS1_11comp_targetILNS1_3genE8ELNS1_11target_archE1030ELNS1_3gpuE2ELNS1_3repE0EEENS1_30default_config_static_selectorELNS0_4arch9wavefront6targetE1EEEvT1_,"axG",@progbits,_ZN7rocprim17ROCPRIM_400000_NS6detail17trampoline_kernelINS0_14default_configENS1_29reduce_by_key_config_selectorIdlN6thrust23THRUST_200600_302600_NS4plusIlEEEEZZNS1_33reduce_by_key_impl_wrapped_configILNS1_25lookback_scan_determinismE0ES3_S9_PdNS6_17constant_iteratorIiNS6_11use_defaultESE_EENS6_10device_ptrIdEENSG_IlEEPmS8_NS6_8equal_toIdEEEE10hipError_tPvRmT2_T3_mT4_T5_T6_T7_T8_P12ihipStream_tbENKUlT_T0_E_clISt17integral_constantIbLb0EES12_IbLb1EEEEDaSY_SZ_EUlSY_E_NS1_11comp_targetILNS1_3genE8ELNS1_11target_archE1030ELNS1_3gpuE2ELNS1_3repE0EEENS1_30default_config_static_selectorELNS0_4arch9wavefront6targetE1EEEvT1_,comdat
	.protected	_ZN7rocprim17ROCPRIM_400000_NS6detail17trampoline_kernelINS0_14default_configENS1_29reduce_by_key_config_selectorIdlN6thrust23THRUST_200600_302600_NS4plusIlEEEEZZNS1_33reduce_by_key_impl_wrapped_configILNS1_25lookback_scan_determinismE0ES3_S9_PdNS6_17constant_iteratorIiNS6_11use_defaultESE_EENS6_10device_ptrIdEENSG_IlEEPmS8_NS6_8equal_toIdEEEE10hipError_tPvRmT2_T3_mT4_T5_T6_T7_T8_P12ihipStream_tbENKUlT_T0_E_clISt17integral_constantIbLb0EES12_IbLb1EEEEDaSY_SZ_EUlSY_E_NS1_11comp_targetILNS1_3genE8ELNS1_11target_archE1030ELNS1_3gpuE2ELNS1_3repE0EEENS1_30default_config_static_selectorELNS0_4arch9wavefront6targetE1EEEvT1_ ; -- Begin function _ZN7rocprim17ROCPRIM_400000_NS6detail17trampoline_kernelINS0_14default_configENS1_29reduce_by_key_config_selectorIdlN6thrust23THRUST_200600_302600_NS4plusIlEEEEZZNS1_33reduce_by_key_impl_wrapped_configILNS1_25lookback_scan_determinismE0ES3_S9_PdNS6_17constant_iteratorIiNS6_11use_defaultESE_EENS6_10device_ptrIdEENSG_IlEEPmS8_NS6_8equal_toIdEEEE10hipError_tPvRmT2_T3_mT4_T5_T6_T7_T8_P12ihipStream_tbENKUlT_T0_E_clISt17integral_constantIbLb0EES12_IbLb1EEEEDaSY_SZ_EUlSY_E_NS1_11comp_targetILNS1_3genE8ELNS1_11target_archE1030ELNS1_3gpuE2ELNS1_3repE0EEENS1_30default_config_static_selectorELNS0_4arch9wavefront6targetE1EEEvT1_
	.globl	_ZN7rocprim17ROCPRIM_400000_NS6detail17trampoline_kernelINS0_14default_configENS1_29reduce_by_key_config_selectorIdlN6thrust23THRUST_200600_302600_NS4plusIlEEEEZZNS1_33reduce_by_key_impl_wrapped_configILNS1_25lookback_scan_determinismE0ES3_S9_PdNS6_17constant_iteratorIiNS6_11use_defaultESE_EENS6_10device_ptrIdEENSG_IlEEPmS8_NS6_8equal_toIdEEEE10hipError_tPvRmT2_T3_mT4_T5_T6_T7_T8_P12ihipStream_tbENKUlT_T0_E_clISt17integral_constantIbLb0EES12_IbLb1EEEEDaSY_SZ_EUlSY_E_NS1_11comp_targetILNS1_3genE8ELNS1_11target_archE1030ELNS1_3gpuE2ELNS1_3repE0EEENS1_30default_config_static_selectorELNS0_4arch9wavefront6targetE1EEEvT1_
	.p2align	8
	.type	_ZN7rocprim17ROCPRIM_400000_NS6detail17trampoline_kernelINS0_14default_configENS1_29reduce_by_key_config_selectorIdlN6thrust23THRUST_200600_302600_NS4plusIlEEEEZZNS1_33reduce_by_key_impl_wrapped_configILNS1_25lookback_scan_determinismE0ES3_S9_PdNS6_17constant_iteratorIiNS6_11use_defaultESE_EENS6_10device_ptrIdEENSG_IlEEPmS8_NS6_8equal_toIdEEEE10hipError_tPvRmT2_T3_mT4_T5_T6_T7_T8_P12ihipStream_tbENKUlT_T0_E_clISt17integral_constantIbLb0EES12_IbLb1EEEEDaSY_SZ_EUlSY_E_NS1_11comp_targetILNS1_3genE8ELNS1_11target_archE1030ELNS1_3gpuE2ELNS1_3repE0EEENS1_30default_config_static_selectorELNS0_4arch9wavefront6targetE1EEEvT1_,@function
_ZN7rocprim17ROCPRIM_400000_NS6detail17trampoline_kernelINS0_14default_configENS1_29reduce_by_key_config_selectorIdlN6thrust23THRUST_200600_302600_NS4plusIlEEEEZZNS1_33reduce_by_key_impl_wrapped_configILNS1_25lookback_scan_determinismE0ES3_S9_PdNS6_17constant_iteratorIiNS6_11use_defaultESE_EENS6_10device_ptrIdEENSG_IlEEPmS8_NS6_8equal_toIdEEEE10hipError_tPvRmT2_T3_mT4_T5_T6_T7_T8_P12ihipStream_tbENKUlT_T0_E_clISt17integral_constantIbLb0EES12_IbLb1EEEEDaSY_SZ_EUlSY_E_NS1_11comp_targetILNS1_3genE8ELNS1_11target_archE1030ELNS1_3gpuE2ELNS1_3repE0EEENS1_30default_config_static_selectorELNS0_4arch9wavefront6targetE1EEEvT1_: ; @_ZN7rocprim17ROCPRIM_400000_NS6detail17trampoline_kernelINS0_14default_configENS1_29reduce_by_key_config_selectorIdlN6thrust23THRUST_200600_302600_NS4plusIlEEEEZZNS1_33reduce_by_key_impl_wrapped_configILNS1_25lookback_scan_determinismE0ES3_S9_PdNS6_17constant_iteratorIiNS6_11use_defaultESE_EENS6_10device_ptrIdEENSG_IlEEPmS8_NS6_8equal_toIdEEEE10hipError_tPvRmT2_T3_mT4_T5_T6_T7_T8_P12ihipStream_tbENKUlT_T0_E_clISt17integral_constantIbLb0EES12_IbLb1EEEEDaSY_SZ_EUlSY_E_NS1_11comp_targetILNS1_3genE8ELNS1_11target_archE1030ELNS1_3gpuE2ELNS1_3repE0EEENS1_30default_config_static_selectorELNS0_4arch9wavefront6targetE1EEEvT1_
; %bb.0:
	.section	.rodata,"a",@progbits
	.p2align	6, 0x0
	.amdhsa_kernel _ZN7rocprim17ROCPRIM_400000_NS6detail17trampoline_kernelINS0_14default_configENS1_29reduce_by_key_config_selectorIdlN6thrust23THRUST_200600_302600_NS4plusIlEEEEZZNS1_33reduce_by_key_impl_wrapped_configILNS1_25lookback_scan_determinismE0ES3_S9_PdNS6_17constant_iteratorIiNS6_11use_defaultESE_EENS6_10device_ptrIdEENSG_IlEEPmS8_NS6_8equal_toIdEEEE10hipError_tPvRmT2_T3_mT4_T5_T6_T7_T8_P12ihipStream_tbENKUlT_T0_E_clISt17integral_constantIbLb0EES12_IbLb1EEEEDaSY_SZ_EUlSY_E_NS1_11comp_targetILNS1_3genE8ELNS1_11target_archE1030ELNS1_3gpuE2ELNS1_3repE0EEENS1_30default_config_static_selectorELNS0_4arch9wavefront6targetE1EEEvT1_
		.amdhsa_group_segment_fixed_size 0
		.amdhsa_private_segment_fixed_size 0
		.amdhsa_kernarg_size 144
		.amdhsa_user_sgpr_count 6
		.amdhsa_user_sgpr_private_segment_buffer 1
		.amdhsa_user_sgpr_dispatch_ptr 0
		.amdhsa_user_sgpr_queue_ptr 0
		.amdhsa_user_sgpr_kernarg_segment_ptr 1
		.amdhsa_user_sgpr_dispatch_id 0
		.amdhsa_user_sgpr_flat_scratch_init 0
		.amdhsa_user_sgpr_private_segment_size 0
		.amdhsa_uses_dynamic_stack 0
		.amdhsa_system_sgpr_private_segment_wavefront_offset 0
		.amdhsa_system_sgpr_workgroup_id_x 1
		.amdhsa_system_sgpr_workgroup_id_y 0
		.amdhsa_system_sgpr_workgroup_id_z 0
		.amdhsa_system_sgpr_workgroup_info 0
		.amdhsa_system_vgpr_workitem_id 0
		.amdhsa_next_free_vgpr 1
		.amdhsa_next_free_sgpr 0
		.amdhsa_reserve_vcc 0
		.amdhsa_reserve_flat_scratch 0
		.amdhsa_float_round_mode_32 0
		.amdhsa_float_round_mode_16_64 0
		.amdhsa_float_denorm_mode_32 3
		.amdhsa_float_denorm_mode_16_64 3
		.amdhsa_dx10_clamp 1
		.amdhsa_ieee_mode 1
		.amdhsa_fp16_overflow 0
		.amdhsa_exception_fp_ieee_invalid_op 0
		.amdhsa_exception_fp_denorm_src 0
		.amdhsa_exception_fp_ieee_div_zero 0
		.amdhsa_exception_fp_ieee_overflow 0
		.amdhsa_exception_fp_ieee_underflow 0
		.amdhsa_exception_fp_ieee_inexact 0
		.amdhsa_exception_int_div_zero 0
	.end_amdhsa_kernel
	.section	.text._ZN7rocprim17ROCPRIM_400000_NS6detail17trampoline_kernelINS0_14default_configENS1_29reduce_by_key_config_selectorIdlN6thrust23THRUST_200600_302600_NS4plusIlEEEEZZNS1_33reduce_by_key_impl_wrapped_configILNS1_25lookback_scan_determinismE0ES3_S9_PdNS6_17constant_iteratorIiNS6_11use_defaultESE_EENS6_10device_ptrIdEENSG_IlEEPmS8_NS6_8equal_toIdEEEE10hipError_tPvRmT2_T3_mT4_T5_T6_T7_T8_P12ihipStream_tbENKUlT_T0_E_clISt17integral_constantIbLb0EES12_IbLb1EEEEDaSY_SZ_EUlSY_E_NS1_11comp_targetILNS1_3genE8ELNS1_11target_archE1030ELNS1_3gpuE2ELNS1_3repE0EEENS1_30default_config_static_selectorELNS0_4arch9wavefront6targetE1EEEvT1_,"axG",@progbits,_ZN7rocprim17ROCPRIM_400000_NS6detail17trampoline_kernelINS0_14default_configENS1_29reduce_by_key_config_selectorIdlN6thrust23THRUST_200600_302600_NS4plusIlEEEEZZNS1_33reduce_by_key_impl_wrapped_configILNS1_25lookback_scan_determinismE0ES3_S9_PdNS6_17constant_iteratorIiNS6_11use_defaultESE_EENS6_10device_ptrIdEENSG_IlEEPmS8_NS6_8equal_toIdEEEE10hipError_tPvRmT2_T3_mT4_T5_T6_T7_T8_P12ihipStream_tbENKUlT_T0_E_clISt17integral_constantIbLb0EES12_IbLb1EEEEDaSY_SZ_EUlSY_E_NS1_11comp_targetILNS1_3genE8ELNS1_11target_archE1030ELNS1_3gpuE2ELNS1_3repE0EEENS1_30default_config_static_selectorELNS0_4arch9wavefront6targetE1EEEvT1_,comdat
.Lfunc_end1723:
	.size	_ZN7rocprim17ROCPRIM_400000_NS6detail17trampoline_kernelINS0_14default_configENS1_29reduce_by_key_config_selectorIdlN6thrust23THRUST_200600_302600_NS4plusIlEEEEZZNS1_33reduce_by_key_impl_wrapped_configILNS1_25lookback_scan_determinismE0ES3_S9_PdNS6_17constant_iteratorIiNS6_11use_defaultESE_EENS6_10device_ptrIdEENSG_IlEEPmS8_NS6_8equal_toIdEEEE10hipError_tPvRmT2_T3_mT4_T5_T6_T7_T8_P12ihipStream_tbENKUlT_T0_E_clISt17integral_constantIbLb0EES12_IbLb1EEEEDaSY_SZ_EUlSY_E_NS1_11comp_targetILNS1_3genE8ELNS1_11target_archE1030ELNS1_3gpuE2ELNS1_3repE0EEENS1_30default_config_static_selectorELNS0_4arch9wavefront6targetE1EEEvT1_, .Lfunc_end1723-_ZN7rocprim17ROCPRIM_400000_NS6detail17trampoline_kernelINS0_14default_configENS1_29reduce_by_key_config_selectorIdlN6thrust23THRUST_200600_302600_NS4plusIlEEEEZZNS1_33reduce_by_key_impl_wrapped_configILNS1_25lookback_scan_determinismE0ES3_S9_PdNS6_17constant_iteratorIiNS6_11use_defaultESE_EENS6_10device_ptrIdEENSG_IlEEPmS8_NS6_8equal_toIdEEEE10hipError_tPvRmT2_T3_mT4_T5_T6_T7_T8_P12ihipStream_tbENKUlT_T0_E_clISt17integral_constantIbLb0EES12_IbLb1EEEEDaSY_SZ_EUlSY_E_NS1_11comp_targetILNS1_3genE8ELNS1_11target_archE1030ELNS1_3gpuE2ELNS1_3repE0EEENS1_30default_config_static_selectorELNS0_4arch9wavefront6targetE1EEEvT1_
                                        ; -- End function
	.set _ZN7rocprim17ROCPRIM_400000_NS6detail17trampoline_kernelINS0_14default_configENS1_29reduce_by_key_config_selectorIdlN6thrust23THRUST_200600_302600_NS4plusIlEEEEZZNS1_33reduce_by_key_impl_wrapped_configILNS1_25lookback_scan_determinismE0ES3_S9_PdNS6_17constant_iteratorIiNS6_11use_defaultESE_EENS6_10device_ptrIdEENSG_IlEEPmS8_NS6_8equal_toIdEEEE10hipError_tPvRmT2_T3_mT4_T5_T6_T7_T8_P12ihipStream_tbENKUlT_T0_E_clISt17integral_constantIbLb0EES12_IbLb1EEEEDaSY_SZ_EUlSY_E_NS1_11comp_targetILNS1_3genE8ELNS1_11target_archE1030ELNS1_3gpuE2ELNS1_3repE0EEENS1_30default_config_static_selectorELNS0_4arch9wavefront6targetE1EEEvT1_.num_vgpr, 0
	.set _ZN7rocprim17ROCPRIM_400000_NS6detail17trampoline_kernelINS0_14default_configENS1_29reduce_by_key_config_selectorIdlN6thrust23THRUST_200600_302600_NS4plusIlEEEEZZNS1_33reduce_by_key_impl_wrapped_configILNS1_25lookback_scan_determinismE0ES3_S9_PdNS6_17constant_iteratorIiNS6_11use_defaultESE_EENS6_10device_ptrIdEENSG_IlEEPmS8_NS6_8equal_toIdEEEE10hipError_tPvRmT2_T3_mT4_T5_T6_T7_T8_P12ihipStream_tbENKUlT_T0_E_clISt17integral_constantIbLb0EES12_IbLb1EEEEDaSY_SZ_EUlSY_E_NS1_11comp_targetILNS1_3genE8ELNS1_11target_archE1030ELNS1_3gpuE2ELNS1_3repE0EEENS1_30default_config_static_selectorELNS0_4arch9wavefront6targetE1EEEvT1_.num_agpr, 0
	.set _ZN7rocprim17ROCPRIM_400000_NS6detail17trampoline_kernelINS0_14default_configENS1_29reduce_by_key_config_selectorIdlN6thrust23THRUST_200600_302600_NS4plusIlEEEEZZNS1_33reduce_by_key_impl_wrapped_configILNS1_25lookback_scan_determinismE0ES3_S9_PdNS6_17constant_iteratorIiNS6_11use_defaultESE_EENS6_10device_ptrIdEENSG_IlEEPmS8_NS6_8equal_toIdEEEE10hipError_tPvRmT2_T3_mT4_T5_T6_T7_T8_P12ihipStream_tbENKUlT_T0_E_clISt17integral_constantIbLb0EES12_IbLb1EEEEDaSY_SZ_EUlSY_E_NS1_11comp_targetILNS1_3genE8ELNS1_11target_archE1030ELNS1_3gpuE2ELNS1_3repE0EEENS1_30default_config_static_selectorELNS0_4arch9wavefront6targetE1EEEvT1_.numbered_sgpr, 0
	.set _ZN7rocprim17ROCPRIM_400000_NS6detail17trampoline_kernelINS0_14default_configENS1_29reduce_by_key_config_selectorIdlN6thrust23THRUST_200600_302600_NS4plusIlEEEEZZNS1_33reduce_by_key_impl_wrapped_configILNS1_25lookback_scan_determinismE0ES3_S9_PdNS6_17constant_iteratorIiNS6_11use_defaultESE_EENS6_10device_ptrIdEENSG_IlEEPmS8_NS6_8equal_toIdEEEE10hipError_tPvRmT2_T3_mT4_T5_T6_T7_T8_P12ihipStream_tbENKUlT_T0_E_clISt17integral_constantIbLb0EES12_IbLb1EEEEDaSY_SZ_EUlSY_E_NS1_11comp_targetILNS1_3genE8ELNS1_11target_archE1030ELNS1_3gpuE2ELNS1_3repE0EEENS1_30default_config_static_selectorELNS0_4arch9wavefront6targetE1EEEvT1_.num_named_barrier, 0
	.set _ZN7rocprim17ROCPRIM_400000_NS6detail17trampoline_kernelINS0_14default_configENS1_29reduce_by_key_config_selectorIdlN6thrust23THRUST_200600_302600_NS4plusIlEEEEZZNS1_33reduce_by_key_impl_wrapped_configILNS1_25lookback_scan_determinismE0ES3_S9_PdNS6_17constant_iteratorIiNS6_11use_defaultESE_EENS6_10device_ptrIdEENSG_IlEEPmS8_NS6_8equal_toIdEEEE10hipError_tPvRmT2_T3_mT4_T5_T6_T7_T8_P12ihipStream_tbENKUlT_T0_E_clISt17integral_constantIbLb0EES12_IbLb1EEEEDaSY_SZ_EUlSY_E_NS1_11comp_targetILNS1_3genE8ELNS1_11target_archE1030ELNS1_3gpuE2ELNS1_3repE0EEENS1_30default_config_static_selectorELNS0_4arch9wavefront6targetE1EEEvT1_.private_seg_size, 0
	.set _ZN7rocprim17ROCPRIM_400000_NS6detail17trampoline_kernelINS0_14default_configENS1_29reduce_by_key_config_selectorIdlN6thrust23THRUST_200600_302600_NS4plusIlEEEEZZNS1_33reduce_by_key_impl_wrapped_configILNS1_25lookback_scan_determinismE0ES3_S9_PdNS6_17constant_iteratorIiNS6_11use_defaultESE_EENS6_10device_ptrIdEENSG_IlEEPmS8_NS6_8equal_toIdEEEE10hipError_tPvRmT2_T3_mT4_T5_T6_T7_T8_P12ihipStream_tbENKUlT_T0_E_clISt17integral_constantIbLb0EES12_IbLb1EEEEDaSY_SZ_EUlSY_E_NS1_11comp_targetILNS1_3genE8ELNS1_11target_archE1030ELNS1_3gpuE2ELNS1_3repE0EEENS1_30default_config_static_selectorELNS0_4arch9wavefront6targetE1EEEvT1_.uses_vcc, 0
	.set _ZN7rocprim17ROCPRIM_400000_NS6detail17trampoline_kernelINS0_14default_configENS1_29reduce_by_key_config_selectorIdlN6thrust23THRUST_200600_302600_NS4plusIlEEEEZZNS1_33reduce_by_key_impl_wrapped_configILNS1_25lookback_scan_determinismE0ES3_S9_PdNS6_17constant_iteratorIiNS6_11use_defaultESE_EENS6_10device_ptrIdEENSG_IlEEPmS8_NS6_8equal_toIdEEEE10hipError_tPvRmT2_T3_mT4_T5_T6_T7_T8_P12ihipStream_tbENKUlT_T0_E_clISt17integral_constantIbLb0EES12_IbLb1EEEEDaSY_SZ_EUlSY_E_NS1_11comp_targetILNS1_3genE8ELNS1_11target_archE1030ELNS1_3gpuE2ELNS1_3repE0EEENS1_30default_config_static_selectorELNS0_4arch9wavefront6targetE1EEEvT1_.uses_flat_scratch, 0
	.set _ZN7rocprim17ROCPRIM_400000_NS6detail17trampoline_kernelINS0_14default_configENS1_29reduce_by_key_config_selectorIdlN6thrust23THRUST_200600_302600_NS4plusIlEEEEZZNS1_33reduce_by_key_impl_wrapped_configILNS1_25lookback_scan_determinismE0ES3_S9_PdNS6_17constant_iteratorIiNS6_11use_defaultESE_EENS6_10device_ptrIdEENSG_IlEEPmS8_NS6_8equal_toIdEEEE10hipError_tPvRmT2_T3_mT4_T5_T6_T7_T8_P12ihipStream_tbENKUlT_T0_E_clISt17integral_constantIbLb0EES12_IbLb1EEEEDaSY_SZ_EUlSY_E_NS1_11comp_targetILNS1_3genE8ELNS1_11target_archE1030ELNS1_3gpuE2ELNS1_3repE0EEENS1_30default_config_static_selectorELNS0_4arch9wavefront6targetE1EEEvT1_.has_dyn_sized_stack, 0
	.set _ZN7rocprim17ROCPRIM_400000_NS6detail17trampoline_kernelINS0_14default_configENS1_29reduce_by_key_config_selectorIdlN6thrust23THRUST_200600_302600_NS4plusIlEEEEZZNS1_33reduce_by_key_impl_wrapped_configILNS1_25lookback_scan_determinismE0ES3_S9_PdNS6_17constant_iteratorIiNS6_11use_defaultESE_EENS6_10device_ptrIdEENSG_IlEEPmS8_NS6_8equal_toIdEEEE10hipError_tPvRmT2_T3_mT4_T5_T6_T7_T8_P12ihipStream_tbENKUlT_T0_E_clISt17integral_constantIbLb0EES12_IbLb1EEEEDaSY_SZ_EUlSY_E_NS1_11comp_targetILNS1_3genE8ELNS1_11target_archE1030ELNS1_3gpuE2ELNS1_3repE0EEENS1_30default_config_static_selectorELNS0_4arch9wavefront6targetE1EEEvT1_.has_recursion, 0
	.set _ZN7rocprim17ROCPRIM_400000_NS6detail17trampoline_kernelINS0_14default_configENS1_29reduce_by_key_config_selectorIdlN6thrust23THRUST_200600_302600_NS4plusIlEEEEZZNS1_33reduce_by_key_impl_wrapped_configILNS1_25lookback_scan_determinismE0ES3_S9_PdNS6_17constant_iteratorIiNS6_11use_defaultESE_EENS6_10device_ptrIdEENSG_IlEEPmS8_NS6_8equal_toIdEEEE10hipError_tPvRmT2_T3_mT4_T5_T6_T7_T8_P12ihipStream_tbENKUlT_T0_E_clISt17integral_constantIbLb0EES12_IbLb1EEEEDaSY_SZ_EUlSY_E_NS1_11comp_targetILNS1_3genE8ELNS1_11target_archE1030ELNS1_3gpuE2ELNS1_3repE0EEENS1_30default_config_static_selectorELNS0_4arch9wavefront6targetE1EEEvT1_.has_indirect_call, 0
	.section	.AMDGPU.csdata,"",@progbits
; Kernel info:
; codeLenInByte = 0
; TotalNumSgprs: 4
; NumVgprs: 0
; ScratchSize: 0
; MemoryBound: 0
; FloatMode: 240
; IeeeMode: 1
; LDSByteSize: 0 bytes/workgroup (compile time only)
; SGPRBlocks: 0
; VGPRBlocks: 0
; NumSGPRsForWavesPerEU: 4
; NumVGPRsForWavesPerEU: 1
; Occupancy: 10
; WaveLimiterHint : 0
; COMPUTE_PGM_RSRC2:SCRATCH_EN: 0
; COMPUTE_PGM_RSRC2:USER_SGPR: 6
; COMPUTE_PGM_RSRC2:TRAP_HANDLER: 0
; COMPUTE_PGM_RSRC2:TGID_X_EN: 1
; COMPUTE_PGM_RSRC2:TGID_Y_EN: 0
; COMPUTE_PGM_RSRC2:TGID_Z_EN: 0
; COMPUTE_PGM_RSRC2:TIDIG_COMP_CNT: 0
	.section	.text._ZN7rocprim17ROCPRIM_400000_NS6detail17trampoline_kernelINS0_14default_configENS1_22reduce_config_selectorIN6thrust23THRUST_200600_302600_NS5tupleIblNS6_9null_typeES8_S8_S8_S8_S8_S8_S8_EEEEZNS1_11reduce_implILb1ES3_NS6_12zip_iteratorINS7_INS6_11hip_rocprim26transform_input_iterator_tIbPdNS6_6detail10functional5actorINSH_9compositeIJNSH_27transparent_binary_operatorINS6_8equal_toIvEEEENSI_INSH_8argumentILj0EEEEENSH_5valueIdEEEEEEEEENSD_19counting_iterator_tIlEES8_S8_S8_S8_S8_S8_S8_S8_EEEEPS9_S9_NSD_9__find_if7functorIS9_EEEE10hipError_tPvRmT1_T2_T3_mT4_P12ihipStream_tbEUlT_E0_NS1_11comp_targetILNS1_3genE0ELNS1_11target_archE4294967295ELNS1_3gpuE0ELNS1_3repE0EEENS1_30default_config_static_selectorELNS0_4arch9wavefront6targetE1EEEvS17_,"axG",@progbits,_ZN7rocprim17ROCPRIM_400000_NS6detail17trampoline_kernelINS0_14default_configENS1_22reduce_config_selectorIN6thrust23THRUST_200600_302600_NS5tupleIblNS6_9null_typeES8_S8_S8_S8_S8_S8_S8_EEEEZNS1_11reduce_implILb1ES3_NS6_12zip_iteratorINS7_INS6_11hip_rocprim26transform_input_iterator_tIbPdNS6_6detail10functional5actorINSH_9compositeIJNSH_27transparent_binary_operatorINS6_8equal_toIvEEEENSI_INSH_8argumentILj0EEEEENSH_5valueIdEEEEEEEEENSD_19counting_iterator_tIlEES8_S8_S8_S8_S8_S8_S8_S8_EEEEPS9_S9_NSD_9__find_if7functorIS9_EEEE10hipError_tPvRmT1_T2_T3_mT4_P12ihipStream_tbEUlT_E0_NS1_11comp_targetILNS1_3genE0ELNS1_11target_archE4294967295ELNS1_3gpuE0ELNS1_3repE0EEENS1_30default_config_static_selectorELNS0_4arch9wavefront6targetE1EEEvS17_,comdat
	.protected	_ZN7rocprim17ROCPRIM_400000_NS6detail17trampoline_kernelINS0_14default_configENS1_22reduce_config_selectorIN6thrust23THRUST_200600_302600_NS5tupleIblNS6_9null_typeES8_S8_S8_S8_S8_S8_S8_EEEEZNS1_11reduce_implILb1ES3_NS6_12zip_iteratorINS7_INS6_11hip_rocprim26transform_input_iterator_tIbPdNS6_6detail10functional5actorINSH_9compositeIJNSH_27transparent_binary_operatorINS6_8equal_toIvEEEENSI_INSH_8argumentILj0EEEEENSH_5valueIdEEEEEEEEENSD_19counting_iterator_tIlEES8_S8_S8_S8_S8_S8_S8_S8_EEEEPS9_S9_NSD_9__find_if7functorIS9_EEEE10hipError_tPvRmT1_T2_T3_mT4_P12ihipStream_tbEUlT_E0_NS1_11comp_targetILNS1_3genE0ELNS1_11target_archE4294967295ELNS1_3gpuE0ELNS1_3repE0EEENS1_30default_config_static_selectorELNS0_4arch9wavefront6targetE1EEEvS17_ ; -- Begin function _ZN7rocprim17ROCPRIM_400000_NS6detail17trampoline_kernelINS0_14default_configENS1_22reduce_config_selectorIN6thrust23THRUST_200600_302600_NS5tupleIblNS6_9null_typeES8_S8_S8_S8_S8_S8_S8_EEEEZNS1_11reduce_implILb1ES3_NS6_12zip_iteratorINS7_INS6_11hip_rocprim26transform_input_iterator_tIbPdNS6_6detail10functional5actorINSH_9compositeIJNSH_27transparent_binary_operatorINS6_8equal_toIvEEEENSI_INSH_8argumentILj0EEEEENSH_5valueIdEEEEEEEEENSD_19counting_iterator_tIlEES8_S8_S8_S8_S8_S8_S8_S8_EEEEPS9_S9_NSD_9__find_if7functorIS9_EEEE10hipError_tPvRmT1_T2_T3_mT4_P12ihipStream_tbEUlT_E0_NS1_11comp_targetILNS1_3genE0ELNS1_11target_archE4294967295ELNS1_3gpuE0ELNS1_3repE0EEENS1_30default_config_static_selectorELNS0_4arch9wavefront6targetE1EEEvS17_
	.globl	_ZN7rocprim17ROCPRIM_400000_NS6detail17trampoline_kernelINS0_14default_configENS1_22reduce_config_selectorIN6thrust23THRUST_200600_302600_NS5tupleIblNS6_9null_typeES8_S8_S8_S8_S8_S8_S8_EEEEZNS1_11reduce_implILb1ES3_NS6_12zip_iteratorINS7_INS6_11hip_rocprim26transform_input_iterator_tIbPdNS6_6detail10functional5actorINSH_9compositeIJNSH_27transparent_binary_operatorINS6_8equal_toIvEEEENSI_INSH_8argumentILj0EEEEENSH_5valueIdEEEEEEEEENSD_19counting_iterator_tIlEES8_S8_S8_S8_S8_S8_S8_S8_EEEEPS9_S9_NSD_9__find_if7functorIS9_EEEE10hipError_tPvRmT1_T2_T3_mT4_P12ihipStream_tbEUlT_E0_NS1_11comp_targetILNS1_3genE0ELNS1_11target_archE4294967295ELNS1_3gpuE0ELNS1_3repE0EEENS1_30default_config_static_selectorELNS0_4arch9wavefront6targetE1EEEvS17_
	.p2align	8
	.type	_ZN7rocprim17ROCPRIM_400000_NS6detail17trampoline_kernelINS0_14default_configENS1_22reduce_config_selectorIN6thrust23THRUST_200600_302600_NS5tupleIblNS6_9null_typeES8_S8_S8_S8_S8_S8_S8_EEEEZNS1_11reduce_implILb1ES3_NS6_12zip_iteratorINS7_INS6_11hip_rocprim26transform_input_iterator_tIbPdNS6_6detail10functional5actorINSH_9compositeIJNSH_27transparent_binary_operatorINS6_8equal_toIvEEEENSI_INSH_8argumentILj0EEEEENSH_5valueIdEEEEEEEEENSD_19counting_iterator_tIlEES8_S8_S8_S8_S8_S8_S8_S8_EEEEPS9_S9_NSD_9__find_if7functorIS9_EEEE10hipError_tPvRmT1_T2_T3_mT4_P12ihipStream_tbEUlT_E0_NS1_11comp_targetILNS1_3genE0ELNS1_11target_archE4294967295ELNS1_3gpuE0ELNS1_3repE0EEENS1_30default_config_static_selectorELNS0_4arch9wavefront6targetE1EEEvS17_,@function
_ZN7rocprim17ROCPRIM_400000_NS6detail17trampoline_kernelINS0_14default_configENS1_22reduce_config_selectorIN6thrust23THRUST_200600_302600_NS5tupleIblNS6_9null_typeES8_S8_S8_S8_S8_S8_S8_EEEEZNS1_11reduce_implILb1ES3_NS6_12zip_iteratorINS7_INS6_11hip_rocprim26transform_input_iterator_tIbPdNS6_6detail10functional5actorINSH_9compositeIJNSH_27transparent_binary_operatorINS6_8equal_toIvEEEENSI_INSH_8argumentILj0EEEEENSH_5valueIdEEEEEEEEENSD_19counting_iterator_tIlEES8_S8_S8_S8_S8_S8_S8_S8_EEEEPS9_S9_NSD_9__find_if7functorIS9_EEEE10hipError_tPvRmT1_T2_T3_mT4_P12ihipStream_tbEUlT_E0_NS1_11comp_targetILNS1_3genE0ELNS1_11target_archE4294967295ELNS1_3gpuE0ELNS1_3repE0EEENS1_30default_config_static_selectorELNS0_4arch9wavefront6targetE1EEEvS17_: ; @_ZN7rocprim17ROCPRIM_400000_NS6detail17trampoline_kernelINS0_14default_configENS1_22reduce_config_selectorIN6thrust23THRUST_200600_302600_NS5tupleIblNS6_9null_typeES8_S8_S8_S8_S8_S8_S8_EEEEZNS1_11reduce_implILb1ES3_NS6_12zip_iteratorINS7_INS6_11hip_rocprim26transform_input_iterator_tIbPdNS6_6detail10functional5actorINSH_9compositeIJNSH_27transparent_binary_operatorINS6_8equal_toIvEEEENSI_INSH_8argumentILj0EEEEENSH_5valueIdEEEEEEEEENSD_19counting_iterator_tIlEES8_S8_S8_S8_S8_S8_S8_S8_EEEEPS9_S9_NSD_9__find_if7functorIS9_EEEE10hipError_tPvRmT1_T2_T3_mT4_P12ihipStream_tbEUlT_E0_NS1_11comp_targetILNS1_3genE0ELNS1_11target_archE4294967295ELNS1_3gpuE0ELNS1_3repE0EEENS1_30default_config_static_selectorELNS0_4arch9wavefront6targetE1EEEvS17_
; %bb.0:
	.section	.rodata,"a",@progbits
	.p2align	6, 0x0
	.amdhsa_kernel _ZN7rocprim17ROCPRIM_400000_NS6detail17trampoline_kernelINS0_14default_configENS1_22reduce_config_selectorIN6thrust23THRUST_200600_302600_NS5tupleIblNS6_9null_typeES8_S8_S8_S8_S8_S8_S8_EEEEZNS1_11reduce_implILb1ES3_NS6_12zip_iteratorINS7_INS6_11hip_rocprim26transform_input_iterator_tIbPdNS6_6detail10functional5actorINSH_9compositeIJNSH_27transparent_binary_operatorINS6_8equal_toIvEEEENSI_INSH_8argumentILj0EEEEENSH_5valueIdEEEEEEEEENSD_19counting_iterator_tIlEES8_S8_S8_S8_S8_S8_S8_S8_EEEEPS9_S9_NSD_9__find_if7functorIS9_EEEE10hipError_tPvRmT1_T2_T3_mT4_P12ihipStream_tbEUlT_E0_NS1_11comp_targetILNS1_3genE0ELNS1_11target_archE4294967295ELNS1_3gpuE0ELNS1_3repE0EEENS1_30default_config_static_selectorELNS0_4arch9wavefront6targetE1EEEvS17_
		.amdhsa_group_segment_fixed_size 0
		.amdhsa_private_segment_fixed_size 0
		.amdhsa_kernarg_size 96
		.amdhsa_user_sgpr_count 6
		.amdhsa_user_sgpr_private_segment_buffer 1
		.amdhsa_user_sgpr_dispatch_ptr 0
		.amdhsa_user_sgpr_queue_ptr 0
		.amdhsa_user_sgpr_kernarg_segment_ptr 1
		.amdhsa_user_sgpr_dispatch_id 0
		.amdhsa_user_sgpr_flat_scratch_init 0
		.amdhsa_user_sgpr_private_segment_size 0
		.amdhsa_uses_dynamic_stack 0
		.amdhsa_system_sgpr_private_segment_wavefront_offset 0
		.amdhsa_system_sgpr_workgroup_id_x 1
		.amdhsa_system_sgpr_workgroup_id_y 0
		.amdhsa_system_sgpr_workgroup_id_z 0
		.amdhsa_system_sgpr_workgroup_info 0
		.amdhsa_system_vgpr_workitem_id 0
		.amdhsa_next_free_vgpr 1
		.amdhsa_next_free_sgpr 0
		.amdhsa_reserve_vcc 0
		.amdhsa_reserve_flat_scratch 0
		.amdhsa_float_round_mode_32 0
		.amdhsa_float_round_mode_16_64 0
		.amdhsa_float_denorm_mode_32 3
		.amdhsa_float_denorm_mode_16_64 3
		.amdhsa_dx10_clamp 1
		.amdhsa_ieee_mode 1
		.amdhsa_fp16_overflow 0
		.amdhsa_exception_fp_ieee_invalid_op 0
		.amdhsa_exception_fp_denorm_src 0
		.amdhsa_exception_fp_ieee_div_zero 0
		.amdhsa_exception_fp_ieee_overflow 0
		.amdhsa_exception_fp_ieee_underflow 0
		.amdhsa_exception_fp_ieee_inexact 0
		.amdhsa_exception_int_div_zero 0
	.end_amdhsa_kernel
	.section	.text._ZN7rocprim17ROCPRIM_400000_NS6detail17trampoline_kernelINS0_14default_configENS1_22reduce_config_selectorIN6thrust23THRUST_200600_302600_NS5tupleIblNS6_9null_typeES8_S8_S8_S8_S8_S8_S8_EEEEZNS1_11reduce_implILb1ES3_NS6_12zip_iteratorINS7_INS6_11hip_rocprim26transform_input_iterator_tIbPdNS6_6detail10functional5actorINSH_9compositeIJNSH_27transparent_binary_operatorINS6_8equal_toIvEEEENSI_INSH_8argumentILj0EEEEENSH_5valueIdEEEEEEEEENSD_19counting_iterator_tIlEES8_S8_S8_S8_S8_S8_S8_S8_EEEEPS9_S9_NSD_9__find_if7functorIS9_EEEE10hipError_tPvRmT1_T2_T3_mT4_P12ihipStream_tbEUlT_E0_NS1_11comp_targetILNS1_3genE0ELNS1_11target_archE4294967295ELNS1_3gpuE0ELNS1_3repE0EEENS1_30default_config_static_selectorELNS0_4arch9wavefront6targetE1EEEvS17_,"axG",@progbits,_ZN7rocprim17ROCPRIM_400000_NS6detail17trampoline_kernelINS0_14default_configENS1_22reduce_config_selectorIN6thrust23THRUST_200600_302600_NS5tupleIblNS6_9null_typeES8_S8_S8_S8_S8_S8_S8_EEEEZNS1_11reduce_implILb1ES3_NS6_12zip_iteratorINS7_INS6_11hip_rocprim26transform_input_iterator_tIbPdNS6_6detail10functional5actorINSH_9compositeIJNSH_27transparent_binary_operatorINS6_8equal_toIvEEEENSI_INSH_8argumentILj0EEEEENSH_5valueIdEEEEEEEEENSD_19counting_iterator_tIlEES8_S8_S8_S8_S8_S8_S8_S8_EEEEPS9_S9_NSD_9__find_if7functorIS9_EEEE10hipError_tPvRmT1_T2_T3_mT4_P12ihipStream_tbEUlT_E0_NS1_11comp_targetILNS1_3genE0ELNS1_11target_archE4294967295ELNS1_3gpuE0ELNS1_3repE0EEENS1_30default_config_static_selectorELNS0_4arch9wavefront6targetE1EEEvS17_,comdat
.Lfunc_end1724:
	.size	_ZN7rocprim17ROCPRIM_400000_NS6detail17trampoline_kernelINS0_14default_configENS1_22reduce_config_selectorIN6thrust23THRUST_200600_302600_NS5tupleIblNS6_9null_typeES8_S8_S8_S8_S8_S8_S8_EEEEZNS1_11reduce_implILb1ES3_NS6_12zip_iteratorINS7_INS6_11hip_rocprim26transform_input_iterator_tIbPdNS6_6detail10functional5actorINSH_9compositeIJNSH_27transparent_binary_operatorINS6_8equal_toIvEEEENSI_INSH_8argumentILj0EEEEENSH_5valueIdEEEEEEEEENSD_19counting_iterator_tIlEES8_S8_S8_S8_S8_S8_S8_S8_EEEEPS9_S9_NSD_9__find_if7functorIS9_EEEE10hipError_tPvRmT1_T2_T3_mT4_P12ihipStream_tbEUlT_E0_NS1_11comp_targetILNS1_3genE0ELNS1_11target_archE4294967295ELNS1_3gpuE0ELNS1_3repE0EEENS1_30default_config_static_selectorELNS0_4arch9wavefront6targetE1EEEvS17_, .Lfunc_end1724-_ZN7rocprim17ROCPRIM_400000_NS6detail17trampoline_kernelINS0_14default_configENS1_22reduce_config_selectorIN6thrust23THRUST_200600_302600_NS5tupleIblNS6_9null_typeES8_S8_S8_S8_S8_S8_S8_EEEEZNS1_11reduce_implILb1ES3_NS6_12zip_iteratorINS7_INS6_11hip_rocprim26transform_input_iterator_tIbPdNS6_6detail10functional5actorINSH_9compositeIJNSH_27transparent_binary_operatorINS6_8equal_toIvEEEENSI_INSH_8argumentILj0EEEEENSH_5valueIdEEEEEEEEENSD_19counting_iterator_tIlEES8_S8_S8_S8_S8_S8_S8_S8_EEEEPS9_S9_NSD_9__find_if7functorIS9_EEEE10hipError_tPvRmT1_T2_T3_mT4_P12ihipStream_tbEUlT_E0_NS1_11comp_targetILNS1_3genE0ELNS1_11target_archE4294967295ELNS1_3gpuE0ELNS1_3repE0EEENS1_30default_config_static_selectorELNS0_4arch9wavefront6targetE1EEEvS17_
                                        ; -- End function
	.set _ZN7rocprim17ROCPRIM_400000_NS6detail17trampoline_kernelINS0_14default_configENS1_22reduce_config_selectorIN6thrust23THRUST_200600_302600_NS5tupleIblNS6_9null_typeES8_S8_S8_S8_S8_S8_S8_EEEEZNS1_11reduce_implILb1ES3_NS6_12zip_iteratorINS7_INS6_11hip_rocprim26transform_input_iterator_tIbPdNS6_6detail10functional5actorINSH_9compositeIJNSH_27transparent_binary_operatorINS6_8equal_toIvEEEENSI_INSH_8argumentILj0EEEEENSH_5valueIdEEEEEEEEENSD_19counting_iterator_tIlEES8_S8_S8_S8_S8_S8_S8_S8_EEEEPS9_S9_NSD_9__find_if7functorIS9_EEEE10hipError_tPvRmT1_T2_T3_mT4_P12ihipStream_tbEUlT_E0_NS1_11comp_targetILNS1_3genE0ELNS1_11target_archE4294967295ELNS1_3gpuE0ELNS1_3repE0EEENS1_30default_config_static_selectorELNS0_4arch9wavefront6targetE1EEEvS17_.num_vgpr, 0
	.set _ZN7rocprim17ROCPRIM_400000_NS6detail17trampoline_kernelINS0_14default_configENS1_22reduce_config_selectorIN6thrust23THRUST_200600_302600_NS5tupleIblNS6_9null_typeES8_S8_S8_S8_S8_S8_S8_EEEEZNS1_11reduce_implILb1ES3_NS6_12zip_iteratorINS7_INS6_11hip_rocprim26transform_input_iterator_tIbPdNS6_6detail10functional5actorINSH_9compositeIJNSH_27transparent_binary_operatorINS6_8equal_toIvEEEENSI_INSH_8argumentILj0EEEEENSH_5valueIdEEEEEEEEENSD_19counting_iterator_tIlEES8_S8_S8_S8_S8_S8_S8_S8_EEEEPS9_S9_NSD_9__find_if7functorIS9_EEEE10hipError_tPvRmT1_T2_T3_mT4_P12ihipStream_tbEUlT_E0_NS1_11comp_targetILNS1_3genE0ELNS1_11target_archE4294967295ELNS1_3gpuE0ELNS1_3repE0EEENS1_30default_config_static_selectorELNS0_4arch9wavefront6targetE1EEEvS17_.num_agpr, 0
	.set _ZN7rocprim17ROCPRIM_400000_NS6detail17trampoline_kernelINS0_14default_configENS1_22reduce_config_selectorIN6thrust23THRUST_200600_302600_NS5tupleIblNS6_9null_typeES8_S8_S8_S8_S8_S8_S8_EEEEZNS1_11reduce_implILb1ES3_NS6_12zip_iteratorINS7_INS6_11hip_rocprim26transform_input_iterator_tIbPdNS6_6detail10functional5actorINSH_9compositeIJNSH_27transparent_binary_operatorINS6_8equal_toIvEEEENSI_INSH_8argumentILj0EEEEENSH_5valueIdEEEEEEEEENSD_19counting_iterator_tIlEES8_S8_S8_S8_S8_S8_S8_S8_EEEEPS9_S9_NSD_9__find_if7functorIS9_EEEE10hipError_tPvRmT1_T2_T3_mT4_P12ihipStream_tbEUlT_E0_NS1_11comp_targetILNS1_3genE0ELNS1_11target_archE4294967295ELNS1_3gpuE0ELNS1_3repE0EEENS1_30default_config_static_selectorELNS0_4arch9wavefront6targetE1EEEvS17_.numbered_sgpr, 0
	.set _ZN7rocprim17ROCPRIM_400000_NS6detail17trampoline_kernelINS0_14default_configENS1_22reduce_config_selectorIN6thrust23THRUST_200600_302600_NS5tupleIblNS6_9null_typeES8_S8_S8_S8_S8_S8_S8_EEEEZNS1_11reduce_implILb1ES3_NS6_12zip_iteratorINS7_INS6_11hip_rocprim26transform_input_iterator_tIbPdNS6_6detail10functional5actorINSH_9compositeIJNSH_27transparent_binary_operatorINS6_8equal_toIvEEEENSI_INSH_8argumentILj0EEEEENSH_5valueIdEEEEEEEEENSD_19counting_iterator_tIlEES8_S8_S8_S8_S8_S8_S8_S8_EEEEPS9_S9_NSD_9__find_if7functorIS9_EEEE10hipError_tPvRmT1_T2_T3_mT4_P12ihipStream_tbEUlT_E0_NS1_11comp_targetILNS1_3genE0ELNS1_11target_archE4294967295ELNS1_3gpuE0ELNS1_3repE0EEENS1_30default_config_static_selectorELNS0_4arch9wavefront6targetE1EEEvS17_.num_named_barrier, 0
	.set _ZN7rocprim17ROCPRIM_400000_NS6detail17trampoline_kernelINS0_14default_configENS1_22reduce_config_selectorIN6thrust23THRUST_200600_302600_NS5tupleIblNS6_9null_typeES8_S8_S8_S8_S8_S8_S8_EEEEZNS1_11reduce_implILb1ES3_NS6_12zip_iteratorINS7_INS6_11hip_rocprim26transform_input_iterator_tIbPdNS6_6detail10functional5actorINSH_9compositeIJNSH_27transparent_binary_operatorINS6_8equal_toIvEEEENSI_INSH_8argumentILj0EEEEENSH_5valueIdEEEEEEEEENSD_19counting_iterator_tIlEES8_S8_S8_S8_S8_S8_S8_S8_EEEEPS9_S9_NSD_9__find_if7functorIS9_EEEE10hipError_tPvRmT1_T2_T3_mT4_P12ihipStream_tbEUlT_E0_NS1_11comp_targetILNS1_3genE0ELNS1_11target_archE4294967295ELNS1_3gpuE0ELNS1_3repE0EEENS1_30default_config_static_selectorELNS0_4arch9wavefront6targetE1EEEvS17_.private_seg_size, 0
	.set _ZN7rocprim17ROCPRIM_400000_NS6detail17trampoline_kernelINS0_14default_configENS1_22reduce_config_selectorIN6thrust23THRUST_200600_302600_NS5tupleIblNS6_9null_typeES8_S8_S8_S8_S8_S8_S8_EEEEZNS1_11reduce_implILb1ES3_NS6_12zip_iteratorINS7_INS6_11hip_rocprim26transform_input_iterator_tIbPdNS6_6detail10functional5actorINSH_9compositeIJNSH_27transparent_binary_operatorINS6_8equal_toIvEEEENSI_INSH_8argumentILj0EEEEENSH_5valueIdEEEEEEEEENSD_19counting_iterator_tIlEES8_S8_S8_S8_S8_S8_S8_S8_EEEEPS9_S9_NSD_9__find_if7functorIS9_EEEE10hipError_tPvRmT1_T2_T3_mT4_P12ihipStream_tbEUlT_E0_NS1_11comp_targetILNS1_3genE0ELNS1_11target_archE4294967295ELNS1_3gpuE0ELNS1_3repE0EEENS1_30default_config_static_selectorELNS0_4arch9wavefront6targetE1EEEvS17_.uses_vcc, 0
	.set _ZN7rocprim17ROCPRIM_400000_NS6detail17trampoline_kernelINS0_14default_configENS1_22reduce_config_selectorIN6thrust23THRUST_200600_302600_NS5tupleIblNS6_9null_typeES8_S8_S8_S8_S8_S8_S8_EEEEZNS1_11reduce_implILb1ES3_NS6_12zip_iteratorINS7_INS6_11hip_rocprim26transform_input_iterator_tIbPdNS6_6detail10functional5actorINSH_9compositeIJNSH_27transparent_binary_operatorINS6_8equal_toIvEEEENSI_INSH_8argumentILj0EEEEENSH_5valueIdEEEEEEEEENSD_19counting_iterator_tIlEES8_S8_S8_S8_S8_S8_S8_S8_EEEEPS9_S9_NSD_9__find_if7functorIS9_EEEE10hipError_tPvRmT1_T2_T3_mT4_P12ihipStream_tbEUlT_E0_NS1_11comp_targetILNS1_3genE0ELNS1_11target_archE4294967295ELNS1_3gpuE0ELNS1_3repE0EEENS1_30default_config_static_selectorELNS0_4arch9wavefront6targetE1EEEvS17_.uses_flat_scratch, 0
	.set _ZN7rocprim17ROCPRIM_400000_NS6detail17trampoline_kernelINS0_14default_configENS1_22reduce_config_selectorIN6thrust23THRUST_200600_302600_NS5tupleIblNS6_9null_typeES8_S8_S8_S8_S8_S8_S8_EEEEZNS1_11reduce_implILb1ES3_NS6_12zip_iteratorINS7_INS6_11hip_rocprim26transform_input_iterator_tIbPdNS6_6detail10functional5actorINSH_9compositeIJNSH_27transparent_binary_operatorINS6_8equal_toIvEEEENSI_INSH_8argumentILj0EEEEENSH_5valueIdEEEEEEEEENSD_19counting_iterator_tIlEES8_S8_S8_S8_S8_S8_S8_S8_EEEEPS9_S9_NSD_9__find_if7functorIS9_EEEE10hipError_tPvRmT1_T2_T3_mT4_P12ihipStream_tbEUlT_E0_NS1_11comp_targetILNS1_3genE0ELNS1_11target_archE4294967295ELNS1_3gpuE0ELNS1_3repE0EEENS1_30default_config_static_selectorELNS0_4arch9wavefront6targetE1EEEvS17_.has_dyn_sized_stack, 0
	.set _ZN7rocprim17ROCPRIM_400000_NS6detail17trampoline_kernelINS0_14default_configENS1_22reduce_config_selectorIN6thrust23THRUST_200600_302600_NS5tupleIblNS6_9null_typeES8_S8_S8_S8_S8_S8_S8_EEEEZNS1_11reduce_implILb1ES3_NS6_12zip_iteratorINS7_INS6_11hip_rocprim26transform_input_iterator_tIbPdNS6_6detail10functional5actorINSH_9compositeIJNSH_27transparent_binary_operatorINS6_8equal_toIvEEEENSI_INSH_8argumentILj0EEEEENSH_5valueIdEEEEEEEEENSD_19counting_iterator_tIlEES8_S8_S8_S8_S8_S8_S8_S8_EEEEPS9_S9_NSD_9__find_if7functorIS9_EEEE10hipError_tPvRmT1_T2_T3_mT4_P12ihipStream_tbEUlT_E0_NS1_11comp_targetILNS1_3genE0ELNS1_11target_archE4294967295ELNS1_3gpuE0ELNS1_3repE0EEENS1_30default_config_static_selectorELNS0_4arch9wavefront6targetE1EEEvS17_.has_recursion, 0
	.set _ZN7rocprim17ROCPRIM_400000_NS6detail17trampoline_kernelINS0_14default_configENS1_22reduce_config_selectorIN6thrust23THRUST_200600_302600_NS5tupleIblNS6_9null_typeES8_S8_S8_S8_S8_S8_S8_EEEEZNS1_11reduce_implILb1ES3_NS6_12zip_iteratorINS7_INS6_11hip_rocprim26transform_input_iterator_tIbPdNS6_6detail10functional5actorINSH_9compositeIJNSH_27transparent_binary_operatorINS6_8equal_toIvEEEENSI_INSH_8argumentILj0EEEEENSH_5valueIdEEEEEEEEENSD_19counting_iterator_tIlEES8_S8_S8_S8_S8_S8_S8_S8_EEEEPS9_S9_NSD_9__find_if7functorIS9_EEEE10hipError_tPvRmT1_T2_T3_mT4_P12ihipStream_tbEUlT_E0_NS1_11comp_targetILNS1_3genE0ELNS1_11target_archE4294967295ELNS1_3gpuE0ELNS1_3repE0EEENS1_30default_config_static_selectorELNS0_4arch9wavefront6targetE1EEEvS17_.has_indirect_call, 0
	.section	.AMDGPU.csdata,"",@progbits
; Kernel info:
; codeLenInByte = 0
; TotalNumSgprs: 4
; NumVgprs: 0
; ScratchSize: 0
; MemoryBound: 0
; FloatMode: 240
; IeeeMode: 1
; LDSByteSize: 0 bytes/workgroup (compile time only)
; SGPRBlocks: 0
; VGPRBlocks: 0
; NumSGPRsForWavesPerEU: 4
; NumVGPRsForWavesPerEU: 1
; Occupancy: 10
; WaveLimiterHint : 0
; COMPUTE_PGM_RSRC2:SCRATCH_EN: 0
; COMPUTE_PGM_RSRC2:USER_SGPR: 6
; COMPUTE_PGM_RSRC2:TRAP_HANDLER: 0
; COMPUTE_PGM_RSRC2:TGID_X_EN: 1
; COMPUTE_PGM_RSRC2:TGID_Y_EN: 0
; COMPUTE_PGM_RSRC2:TGID_Z_EN: 0
; COMPUTE_PGM_RSRC2:TIDIG_COMP_CNT: 0
	.section	.text._ZN7rocprim17ROCPRIM_400000_NS6detail17trampoline_kernelINS0_14default_configENS1_22reduce_config_selectorIN6thrust23THRUST_200600_302600_NS5tupleIblNS6_9null_typeES8_S8_S8_S8_S8_S8_S8_EEEEZNS1_11reduce_implILb1ES3_NS6_12zip_iteratorINS7_INS6_11hip_rocprim26transform_input_iterator_tIbPdNS6_6detail10functional5actorINSH_9compositeIJNSH_27transparent_binary_operatorINS6_8equal_toIvEEEENSI_INSH_8argumentILj0EEEEENSH_5valueIdEEEEEEEEENSD_19counting_iterator_tIlEES8_S8_S8_S8_S8_S8_S8_S8_EEEEPS9_S9_NSD_9__find_if7functorIS9_EEEE10hipError_tPvRmT1_T2_T3_mT4_P12ihipStream_tbEUlT_E0_NS1_11comp_targetILNS1_3genE5ELNS1_11target_archE942ELNS1_3gpuE9ELNS1_3repE0EEENS1_30default_config_static_selectorELNS0_4arch9wavefront6targetE1EEEvS17_,"axG",@progbits,_ZN7rocprim17ROCPRIM_400000_NS6detail17trampoline_kernelINS0_14default_configENS1_22reduce_config_selectorIN6thrust23THRUST_200600_302600_NS5tupleIblNS6_9null_typeES8_S8_S8_S8_S8_S8_S8_EEEEZNS1_11reduce_implILb1ES3_NS6_12zip_iteratorINS7_INS6_11hip_rocprim26transform_input_iterator_tIbPdNS6_6detail10functional5actorINSH_9compositeIJNSH_27transparent_binary_operatorINS6_8equal_toIvEEEENSI_INSH_8argumentILj0EEEEENSH_5valueIdEEEEEEEEENSD_19counting_iterator_tIlEES8_S8_S8_S8_S8_S8_S8_S8_EEEEPS9_S9_NSD_9__find_if7functorIS9_EEEE10hipError_tPvRmT1_T2_T3_mT4_P12ihipStream_tbEUlT_E0_NS1_11comp_targetILNS1_3genE5ELNS1_11target_archE942ELNS1_3gpuE9ELNS1_3repE0EEENS1_30default_config_static_selectorELNS0_4arch9wavefront6targetE1EEEvS17_,comdat
	.protected	_ZN7rocprim17ROCPRIM_400000_NS6detail17trampoline_kernelINS0_14default_configENS1_22reduce_config_selectorIN6thrust23THRUST_200600_302600_NS5tupleIblNS6_9null_typeES8_S8_S8_S8_S8_S8_S8_EEEEZNS1_11reduce_implILb1ES3_NS6_12zip_iteratorINS7_INS6_11hip_rocprim26transform_input_iterator_tIbPdNS6_6detail10functional5actorINSH_9compositeIJNSH_27transparent_binary_operatorINS6_8equal_toIvEEEENSI_INSH_8argumentILj0EEEEENSH_5valueIdEEEEEEEEENSD_19counting_iterator_tIlEES8_S8_S8_S8_S8_S8_S8_S8_EEEEPS9_S9_NSD_9__find_if7functorIS9_EEEE10hipError_tPvRmT1_T2_T3_mT4_P12ihipStream_tbEUlT_E0_NS1_11comp_targetILNS1_3genE5ELNS1_11target_archE942ELNS1_3gpuE9ELNS1_3repE0EEENS1_30default_config_static_selectorELNS0_4arch9wavefront6targetE1EEEvS17_ ; -- Begin function _ZN7rocprim17ROCPRIM_400000_NS6detail17trampoline_kernelINS0_14default_configENS1_22reduce_config_selectorIN6thrust23THRUST_200600_302600_NS5tupleIblNS6_9null_typeES8_S8_S8_S8_S8_S8_S8_EEEEZNS1_11reduce_implILb1ES3_NS6_12zip_iteratorINS7_INS6_11hip_rocprim26transform_input_iterator_tIbPdNS6_6detail10functional5actorINSH_9compositeIJNSH_27transparent_binary_operatorINS6_8equal_toIvEEEENSI_INSH_8argumentILj0EEEEENSH_5valueIdEEEEEEEEENSD_19counting_iterator_tIlEES8_S8_S8_S8_S8_S8_S8_S8_EEEEPS9_S9_NSD_9__find_if7functorIS9_EEEE10hipError_tPvRmT1_T2_T3_mT4_P12ihipStream_tbEUlT_E0_NS1_11comp_targetILNS1_3genE5ELNS1_11target_archE942ELNS1_3gpuE9ELNS1_3repE0EEENS1_30default_config_static_selectorELNS0_4arch9wavefront6targetE1EEEvS17_
	.globl	_ZN7rocprim17ROCPRIM_400000_NS6detail17trampoline_kernelINS0_14default_configENS1_22reduce_config_selectorIN6thrust23THRUST_200600_302600_NS5tupleIblNS6_9null_typeES8_S8_S8_S8_S8_S8_S8_EEEEZNS1_11reduce_implILb1ES3_NS6_12zip_iteratorINS7_INS6_11hip_rocprim26transform_input_iterator_tIbPdNS6_6detail10functional5actorINSH_9compositeIJNSH_27transparent_binary_operatorINS6_8equal_toIvEEEENSI_INSH_8argumentILj0EEEEENSH_5valueIdEEEEEEEEENSD_19counting_iterator_tIlEES8_S8_S8_S8_S8_S8_S8_S8_EEEEPS9_S9_NSD_9__find_if7functorIS9_EEEE10hipError_tPvRmT1_T2_T3_mT4_P12ihipStream_tbEUlT_E0_NS1_11comp_targetILNS1_3genE5ELNS1_11target_archE942ELNS1_3gpuE9ELNS1_3repE0EEENS1_30default_config_static_selectorELNS0_4arch9wavefront6targetE1EEEvS17_
	.p2align	8
	.type	_ZN7rocprim17ROCPRIM_400000_NS6detail17trampoline_kernelINS0_14default_configENS1_22reduce_config_selectorIN6thrust23THRUST_200600_302600_NS5tupleIblNS6_9null_typeES8_S8_S8_S8_S8_S8_S8_EEEEZNS1_11reduce_implILb1ES3_NS6_12zip_iteratorINS7_INS6_11hip_rocprim26transform_input_iterator_tIbPdNS6_6detail10functional5actorINSH_9compositeIJNSH_27transparent_binary_operatorINS6_8equal_toIvEEEENSI_INSH_8argumentILj0EEEEENSH_5valueIdEEEEEEEEENSD_19counting_iterator_tIlEES8_S8_S8_S8_S8_S8_S8_S8_EEEEPS9_S9_NSD_9__find_if7functorIS9_EEEE10hipError_tPvRmT1_T2_T3_mT4_P12ihipStream_tbEUlT_E0_NS1_11comp_targetILNS1_3genE5ELNS1_11target_archE942ELNS1_3gpuE9ELNS1_3repE0EEENS1_30default_config_static_selectorELNS0_4arch9wavefront6targetE1EEEvS17_,@function
_ZN7rocprim17ROCPRIM_400000_NS6detail17trampoline_kernelINS0_14default_configENS1_22reduce_config_selectorIN6thrust23THRUST_200600_302600_NS5tupleIblNS6_9null_typeES8_S8_S8_S8_S8_S8_S8_EEEEZNS1_11reduce_implILb1ES3_NS6_12zip_iteratorINS7_INS6_11hip_rocprim26transform_input_iterator_tIbPdNS6_6detail10functional5actorINSH_9compositeIJNSH_27transparent_binary_operatorINS6_8equal_toIvEEEENSI_INSH_8argumentILj0EEEEENSH_5valueIdEEEEEEEEENSD_19counting_iterator_tIlEES8_S8_S8_S8_S8_S8_S8_S8_EEEEPS9_S9_NSD_9__find_if7functorIS9_EEEE10hipError_tPvRmT1_T2_T3_mT4_P12ihipStream_tbEUlT_E0_NS1_11comp_targetILNS1_3genE5ELNS1_11target_archE942ELNS1_3gpuE9ELNS1_3repE0EEENS1_30default_config_static_selectorELNS0_4arch9wavefront6targetE1EEEvS17_: ; @_ZN7rocprim17ROCPRIM_400000_NS6detail17trampoline_kernelINS0_14default_configENS1_22reduce_config_selectorIN6thrust23THRUST_200600_302600_NS5tupleIblNS6_9null_typeES8_S8_S8_S8_S8_S8_S8_EEEEZNS1_11reduce_implILb1ES3_NS6_12zip_iteratorINS7_INS6_11hip_rocprim26transform_input_iterator_tIbPdNS6_6detail10functional5actorINSH_9compositeIJNSH_27transparent_binary_operatorINS6_8equal_toIvEEEENSI_INSH_8argumentILj0EEEEENSH_5valueIdEEEEEEEEENSD_19counting_iterator_tIlEES8_S8_S8_S8_S8_S8_S8_S8_EEEEPS9_S9_NSD_9__find_if7functorIS9_EEEE10hipError_tPvRmT1_T2_T3_mT4_P12ihipStream_tbEUlT_E0_NS1_11comp_targetILNS1_3genE5ELNS1_11target_archE942ELNS1_3gpuE9ELNS1_3repE0EEENS1_30default_config_static_selectorELNS0_4arch9wavefront6targetE1EEEvS17_
; %bb.0:
	.section	.rodata,"a",@progbits
	.p2align	6, 0x0
	.amdhsa_kernel _ZN7rocprim17ROCPRIM_400000_NS6detail17trampoline_kernelINS0_14default_configENS1_22reduce_config_selectorIN6thrust23THRUST_200600_302600_NS5tupleIblNS6_9null_typeES8_S8_S8_S8_S8_S8_S8_EEEEZNS1_11reduce_implILb1ES3_NS6_12zip_iteratorINS7_INS6_11hip_rocprim26transform_input_iterator_tIbPdNS6_6detail10functional5actorINSH_9compositeIJNSH_27transparent_binary_operatorINS6_8equal_toIvEEEENSI_INSH_8argumentILj0EEEEENSH_5valueIdEEEEEEEEENSD_19counting_iterator_tIlEES8_S8_S8_S8_S8_S8_S8_S8_EEEEPS9_S9_NSD_9__find_if7functorIS9_EEEE10hipError_tPvRmT1_T2_T3_mT4_P12ihipStream_tbEUlT_E0_NS1_11comp_targetILNS1_3genE5ELNS1_11target_archE942ELNS1_3gpuE9ELNS1_3repE0EEENS1_30default_config_static_selectorELNS0_4arch9wavefront6targetE1EEEvS17_
		.amdhsa_group_segment_fixed_size 0
		.amdhsa_private_segment_fixed_size 0
		.amdhsa_kernarg_size 96
		.amdhsa_user_sgpr_count 6
		.amdhsa_user_sgpr_private_segment_buffer 1
		.amdhsa_user_sgpr_dispatch_ptr 0
		.amdhsa_user_sgpr_queue_ptr 0
		.amdhsa_user_sgpr_kernarg_segment_ptr 1
		.amdhsa_user_sgpr_dispatch_id 0
		.amdhsa_user_sgpr_flat_scratch_init 0
		.amdhsa_user_sgpr_private_segment_size 0
		.amdhsa_uses_dynamic_stack 0
		.amdhsa_system_sgpr_private_segment_wavefront_offset 0
		.amdhsa_system_sgpr_workgroup_id_x 1
		.amdhsa_system_sgpr_workgroup_id_y 0
		.amdhsa_system_sgpr_workgroup_id_z 0
		.amdhsa_system_sgpr_workgroup_info 0
		.amdhsa_system_vgpr_workitem_id 0
		.amdhsa_next_free_vgpr 1
		.amdhsa_next_free_sgpr 0
		.amdhsa_reserve_vcc 0
		.amdhsa_reserve_flat_scratch 0
		.amdhsa_float_round_mode_32 0
		.amdhsa_float_round_mode_16_64 0
		.amdhsa_float_denorm_mode_32 3
		.amdhsa_float_denorm_mode_16_64 3
		.amdhsa_dx10_clamp 1
		.amdhsa_ieee_mode 1
		.amdhsa_fp16_overflow 0
		.amdhsa_exception_fp_ieee_invalid_op 0
		.amdhsa_exception_fp_denorm_src 0
		.amdhsa_exception_fp_ieee_div_zero 0
		.amdhsa_exception_fp_ieee_overflow 0
		.amdhsa_exception_fp_ieee_underflow 0
		.amdhsa_exception_fp_ieee_inexact 0
		.amdhsa_exception_int_div_zero 0
	.end_amdhsa_kernel
	.section	.text._ZN7rocprim17ROCPRIM_400000_NS6detail17trampoline_kernelINS0_14default_configENS1_22reduce_config_selectorIN6thrust23THRUST_200600_302600_NS5tupleIblNS6_9null_typeES8_S8_S8_S8_S8_S8_S8_EEEEZNS1_11reduce_implILb1ES3_NS6_12zip_iteratorINS7_INS6_11hip_rocprim26transform_input_iterator_tIbPdNS6_6detail10functional5actorINSH_9compositeIJNSH_27transparent_binary_operatorINS6_8equal_toIvEEEENSI_INSH_8argumentILj0EEEEENSH_5valueIdEEEEEEEEENSD_19counting_iterator_tIlEES8_S8_S8_S8_S8_S8_S8_S8_EEEEPS9_S9_NSD_9__find_if7functorIS9_EEEE10hipError_tPvRmT1_T2_T3_mT4_P12ihipStream_tbEUlT_E0_NS1_11comp_targetILNS1_3genE5ELNS1_11target_archE942ELNS1_3gpuE9ELNS1_3repE0EEENS1_30default_config_static_selectorELNS0_4arch9wavefront6targetE1EEEvS17_,"axG",@progbits,_ZN7rocprim17ROCPRIM_400000_NS6detail17trampoline_kernelINS0_14default_configENS1_22reduce_config_selectorIN6thrust23THRUST_200600_302600_NS5tupleIblNS6_9null_typeES8_S8_S8_S8_S8_S8_S8_EEEEZNS1_11reduce_implILb1ES3_NS6_12zip_iteratorINS7_INS6_11hip_rocprim26transform_input_iterator_tIbPdNS6_6detail10functional5actorINSH_9compositeIJNSH_27transparent_binary_operatorINS6_8equal_toIvEEEENSI_INSH_8argumentILj0EEEEENSH_5valueIdEEEEEEEEENSD_19counting_iterator_tIlEES8_S8_S8_S8_S8_S8_S8_S8_EEEEPS9_S9_NSD_9__find_if7functorIS9_EEEE10hipError_tPvRmT1_T2_T3_mT4_P12ihipStream_tbEUlT_E0_NS1_11comp_targetILNS1_3genE5ELNS1_11target_archE942ELNS1_3gpuE9ELNS1_3repE0EEENS1_30default_config_static_selectorELNS0_4arch9wavefront6targetE1EEEvS17_,comdat
.Lfunc_end1725:
	.size	_ZN7rocprim17ROCPRIM_400000_NS6detail17trampoline_kernelINS0_14default_configENS1_22reduce_config_selectorIN6thrust23THRUST_200600_302600_NS5tupleIblNS6_9null_typeES8_S8_S8_S8_S8_S8_S8_EEEEZNS1_11reduce_implILb1ES3_NS6_12zip_iteratorINS7_INS6_11hip_rocprim26transform_input_iterator_tIbPdNS6_6detail10functional5actorINSH_9compositeIJNSH_27transparent_binary_operatorINS6_8equal_toIvEEEENSI_INSH_8argumentILj0EEEEENSH_5valueIdEEEEEEEEENSD_19counting_iterator_tIlEES8_S8_S8_S8_S8_S8_S8_S8_EEEEPS9_S9_NSD_9__find_if7functorIS9_EEEE10hipError_tPvRmT1_T2_T3_mT4_P12ihipStream_tbEUlT_E0_NS1_11comp_targetILNS1_3genE5ELNS1_11target_archE942ELNS1_3gpuE9ELNS1_3repE0EEENS1_30default_config_static_selectorELNS0_4arch9wavefront6targetE1EEEvS17_, .Lfunc_end1725-_ZN7rocprim17ROCPRIM_400000_NS6detail17trampoline_kernelINS0_14default_configENS1_22reduce_config_selectorIN6thrust23THRUST_200600_302600_NS5tupleIblNS6_9null_typeES8_S8_S8_S8_S8_S8_S8_EEEEZNS1_11reduce_implILb1ES3_NS6_12zip_iteratorINS7_INS6_11hip_rocprim26transform_input_iterator_tIbPdNS6_6detail10functional5actorINSH_9compositeIJNSH_27transparent_binary_operatorINS6_8equal_toIvEEEENSI_INSH_8argumentILj0EEEEENSH_5valueIdEEEEEEEEENSD_19counting_iterator_tIlEES8_S8_S8_S8_S8_S8_S8_S8_EEEEPS9_S9_NSD_9__find_if7functorIS9_EEEE10hipError_tPvRmT1_T2_T3_mT4_P12ihipStream_tbEUlT_E0_NS1_11comp_targetILNS1_3genE5ELNS1_11target_archE942ELNS1_3gpuE9ELNS1_3repE0EEENS1_30default_config_static_selectorELNS0_4arch9wavefront6targetE1EEEvS17_
                                        ; -- End function
	.set _ZN7rocprim17ROCPRIM_400000_NS6detail17trampoline_kernelINS0_14default_configENS1_22reduce_config_selectorIN6thrust23THRUST_200600_302600_NS5tupleIblNS6_9null_typeES8_S8_S8_S8_S8_S8_S8_EEEEZNS1_11reduce_implILb1ES3_NS6_12zip_iteratorINS7_INS6_11hip_rocprim26transform_input_iterator_tIbPdNS6_6detail10functional5actorINSH_9compositeIJNSH_27transparent_binary_operatorINS6_8equal_toIvEEEENSI_INSH_8argumentILj0EEEEENSH_5valueIdEEEEEEEEENSD_19counting_iterator_tIlEES8_S8_S8_S8_S8_S8_S8_S8_EEEEPS9_S9_NSD_9__find_if7functorIS9_EEEE10hipError_tPvRmT1_T2_T3_mT4_P12ihipStream_tbEUlT_E0_NS1_11comp_targetILNS1_3genE5ELNS1_11target_archE942ELNS1_3gpuE9ELNS1_3repE0EEENS1_30default_config_static_selectorELNS0_4arch9wavefront6targetE1EEEvS17_.num_vgpr, 0
	.set _ZN7rocprim17ROCPRIM_400000_NS6detail17trampoline_kernelINS0_14default_configENS1_22reduce_config_selectorIN6thrust23THRUST_200600_302600_NS5tupleIblNS6_9null_typeES8_S8_S8_S8_S8_S8_S8_EEEEZNS1_11reduce_implILb1ES3_NS6_12zip_iteratorINS7_INS6_11hip_rocprim26transform_input_iterator_tIbPdNS6_6detail10functional5actorINSH_9compositeIJNSH_27transparent_binary_operatorINS6_8equal_toIvEEEENSI_INSH_8argumentILj0EEEEENSH_5valueIdEEEEEEEEENSD_19counting_iterator_tIlEES8_S8_S8_S8_S8_S8_S8_S8_EEEEPS9_S9_NSD_9__find_if7functorIS9_EEEE10hipError_tPvRmT1_T2_T3_mT4_P12ihipStream_tbEUlT_E0_NS1_11comp_targetILNS1_3genE5ELNS1_11target_archE942ELNS1_3gpuE9ELNS1_3repE0EEENS1_30default_config_static_selectorELNS0_4arch9wavefront6targetE1EEEvS17_.num_agpr, 0
	.set _ZN7rocprim17ROCPRIM_400000_NS6detail17trampoline_kernelINS0_14default_configENS1_22reduce_config_selectorIN6thrust23THRUST_200600_302600_NS5tupleIblNS6_9null_typeES8_S8_S8_S8_S8_S8_S8_EEEEZNS1_11reduce_implILb1ES3_NS6_12zip_iteratorINS7_INS6_11hip_rocprim26transform_input_iterator_tIbPdNS6_6detail10functional5actorINSH_9compositeIJNSH_27transparent_binary_operatorINS6_8equal_toIvEEEENSI_INSH_8argumentILj0EEEEENSH_5valueIdEEEEEEEEENSD_19counting_iterator_tIlEES8_S8_S8_S8_S8_S8_S8_S8_EEEEPS9_S9_NSD_9__find_if7functorIS9_EEEE10hipError_tPvRmT1_T2_T3_mT4_P12ihipStream_tbEUlT_E0_NS1_11comp_targetILNS1_3genE5ELNS1_11target_archE942ELNS1_3gpuE9ELNS1_3repE0EEENS1_30default_config_static_selectorELNS0_4arch9wavefront6targetE1EEEvS17_.numbered_sgpr, 0
	.set _ZN7rocprim17ROCPRIM_400000_NS6detail17trampoline_kernelINS0_14default_configENS1_22reduce_config_selectorIN6thrust23THRUST_200600_302600_NS5tupleIblNS6_9null_typeES8_S8_S8_S8_S8_S8_S8_EEEEZNS1_11reduce_implILb1ES3_NS6_12zip_iteratorINS7_INS6_11hip_rocprim26transform_input_iterator_tIbPdNS6_6detail10functional5actorINSH_9compositeIJNSH_27transparent_binary_operatorINS6_8equal_toIvEEEENSI_INSH_8argumentILj0EEEEENSH_5valueIdEEEEEEEEENSD_19counting_iterator_tIlEES8_S8_S8_S8_S8_S8_S8_S8_EEEEPS9_S9_NSD_9__find_if7functorIS9_EEEE10hipError_tPvRmT1_T2_T3_mT4_P12ihipStream_tbEUlT_E0_NS1_11comp_targetILNS1_3genE5ELNS1_11target_archE942ELNS1_3gpuE9ELNS1_3repE0EEENS1_30default_config_static_selectorELNS0_4arch9wavefront6targetE1EEEvS17_.num_named_barrier, 0
	.set _ZN7rocprim17ROCPRIM_400000_NS6detail17trampoline_kernelINS0_14default_configENS1_22reduce_config_selectorIN6thrust23THRUST_200600_302600_NS5tupleIblNS6_9null_typeES8_S8_S8_S8_S8_S8_S8_EEEEZNS1_11reduce_implILb1ES3_NS6_12zip_iteratorINS7_INS6_11hip_rocprim26transform_input_iterator_tIbPdNS6_6detail10functional5actorINSH_9compositeIJNSH_27transparent_binary_operatorINS6_8equal_toIvEEEENSI_INSH_8argumentILj0EEEEENSH_5valueIdEEEEEEEEENSD_19counting_iterator_tIlEES8_S8_S8_S8_S8_S8_S8_S8_EEEEPS9_S9_NSD_9__find_if7functorIS9_EEEE10hipError_tPvRmT1_T2_T3_mT4_P12ihipStream_tbEUlT_E0_NS1_11comp_targetILNS1_3genE5ELNS1_11target_archE942ELNS1_3gpuE9ELNS1_3repE0EEENS1_30default_config_static_selectorELNS0_4arch9wavefront6targetE1EEEvS17_.private_seg_size, 0
	.set _ZN7rocprim17ROCPRIM_400000_NS6detail17trampoline_kernelINS0_14default_configENS1_22reduce_config_selectorIN6thrust23THRUST_200600_302600_NS5tupleIblNS6_9null_typeES8_S8_S8_S8_S8_S8_S8_EEEEZNS1_11reduce_implILb1ES3_NS6_12zip_iteratorINS7_INS6_11hip_rocprim26transform_input_iterator_tIbPdNS6_6detail10functional5actorINSH_9compositeIJNSH_27transparent_binary_operatorINS6_8equal_toIvEEEENSI_INSH_8argumentILj0EEEEENSH_5valueIdEEEEEEEEENSD_19counting_iterator_tIlEES8_S8_S8_S8_S8_S8_S8_S8_EEEEPS9_S9_NSD_9__find_if7functorIS9_EEEE10hipError_tPvRmT1_T2_T3_mT4_P12ihipStream_tbEUlT_E0_NS1_11comp_targetILNS1_3genE5ELNS1_11target_archE942ELNS1_3gpuE9ELNS1_3repE0EEENS1_30default_config_static_selectorELNS0_4arch9wavefront6targetE1EEEvS17_.uses_vcc, 0
	.set _ZN7rocprim17ROCPRIM_400000_NS6detail17trampoline_kernelINS0_14default_configENS1_22reduce_config_selectorIN6thrust23THRUST_200600_302600_NS5tupleIblNS6_9null_typeES8_S8_S8_S8_S8_S8_S8_EEEEZNS1_11reduce_implILb1ES3_NS6_12zip_iteratorINS7_INS6_11hip_rocprim26transform_input_iterator_tIbPdNS6_6detail10functional5actorINSH_9compositeIJNSH_27transparent_binary_operatorINS6_8equal_toIvEEEENSI_INSH_8argumentILj0EEEEENSH_5valueIdEEEEEEEEENSD_19counting_iterator_tIlEES8_S8_S8_S8_S8_S8_S8_S8_EEEEPS9_S9_NSD_9__find_if7functorIS9_EEEE10hipError_tPvRmT1_T2_T3_mT4_P12ihipStream_tbEUlT_E0_NS1_11comp_targetILNS1_3genE5ELNS1_11target_archE942ELNS1_3gpuE9ELNS1_3repE0EEENS1_30default_config_static_selectorELNS0_4arch9wavefront6targetE1EEEvS17_.uses_flat_scratch, 0
	.set _ZN7rocprim17ROCPRIM_400000_NS6detail17trampoline_kernelINS0_14default_configENS1_22reduce_config_selectorIN6thrust23THRUST_200600_302600_NS5tupleIblNS6_9null_typeES8_S8_S8_S8_S8_S8_S8_EEEEZNS1_11reduce_implILb1ES3_NS6_12zip_iteratorINS7_INS6_11hip_rocprim26transform_input_iterator_tIbPdNS6_6detail10functional5actorINSH_9compositeIJNSH_27transparent_binary_operatorINS6_8equal_toIvEEEENSI_INSH_8argumentILj0EEEEENSH_5valueIdEEEEEEEEENSD_19counting_iterator_tIlEES8_S8_S8_S8_S8_S8_S8_S8_EEEEPS9_S9_NSD_9__find_if7functorIS9_EEEE10hipError_tPvRmT1_T2_T3_mT4_P12ihipStream_tbEUlT_E0_NS1_11comp_targetILNS1_3genE5ELNS1_11target_archE942ELNS1_3gpuE9ELNS1_3repE0EEENS1_30default_config_static_selectorELNS0_4arch9wavefront6targetE1EEEvS17_.has_dyn_sized_stack, 0
	.set _ZN7rocprim17ROCPRIM_400000_NS6detail17trampoline_kernelINS0_14default_configENS1_22reduce_config_selectorIN6thrust23THRUST_200600_302600_NS5tupleIblNS6_9null_typeES8_S8_S8_S8_S8_S8_S8_EEEEZNS1_11reduce_implILb1ES3_NS6_12zip_iteratorINS7_INS6_11hip_rocprim26transform_input_iterator_tIbPdNS6_6detail10functional5actorINSH_9compositeIJNSH_27transparent_binary_operatorINS6_8equal_toIvEEEENSI_INSH_8argumentILj0EEEEENSH_5valueIdEEEEEEEEENSD_19counting_iterator_tIlEES8_S8_S8_S8_S8_S8_S8_S8_EEEEPS9_S9_NSD_9__find_if7functorIS9_EEEE10hipError_tPvRmT1_T2_T3_mT4_P12ihipStream_tbEUlT_E0_NS1_11comp_targetILNS1_3genE5ELNS1_11target_archE942ELNS1_3gpuE9ELNS1_3repE0EEENS1_30default_config_static_selectorELNS0_4arch9wavefront6targetE1EEEvS17_.has_recursion, 0
	.set _ZN7rocprim17ROCPRIM_400000_NS6detail17trampoline_kernelINS0_14default_configENS1_22reduce_config_selectorIN6thrust23THRUST_200600_302600_NS5tupleIblNS6_9null_typeES8_S8_S8_S8_S8_S8_S8_EEEEZNS1_11reduce_implILb1ES3_NS6_12zip_iteratorINS7_INS6_11hip_rocprim26transform_input_iterator_tIbPdNS6_6detail10functional5actorINSH_9compositeIJNSH_27transparent_binary_operatorINS6_8equal_toIvEEEENSI_INSH_8argumentILj0EEEEENSH_5valueIdEEEEEEEEENSD_19counting_iterator_tIlEES8_S8_S8_S8_S8_S8_S8_S8_EEEEPS9_S9_NSD_9__find_if7functorIS9_EEEE10hipError_tPvRmT1_T2_T3_mT4_P12ihipStream_tbEUlT_E0_NS1_11comp_targetILNS1_3genE5ELNS1_11target_archE942ELNS1_3gpuE9ELNS1_3repE0EEENS1_30default_config_static_selectorELNS0_4arch9wavefront6targetE1EEEvS17_.has_indirect_call, 0
	.section	.AMDGPU.csdata,"",@progbits
; Kernel info:
; codeLenInByte = 0
; TotalNumSgprs: 4
; NumVgprs: 0
; ScratchSize: 0
; MemoryBound: 0
; FloatMode: 240
; IeeeMode: 1
; LDSByteSize: 0 bytes/workgroup (compile time only)
; SGPRBlocks: 0
; VGPRBlocks: 0
; NumSGPRsForWavesPerEU: 4
; NumVGPRsForWavesPerEU: 1
; Occupancy: 10
; WaveLimiterHint : 0
; COMPUTE_PGM_RSRC2:SCRATCH_EN: 0
; COMPUTE_PGM_RSRC2:USER_SGPR: 6
; COMPUTE_PGM_RSRC2:TRAP_HANDLER: 0
; COMPUTE_PGM_RSRC2:TGID_X_EN: 1
; COMPUTE_PGM_RSRC2:TGID_Y_EN: 0
; COMPUTE_PGM_RSRC2:TGID_Z_EN: 0
; COMPUTE_PGM_RSRC2:TIDIG_COMP_CNT: 0
	.section	.text._ZN7rocprim17ROCPRIM_400000_NS6detail17trampoline_kernelINS0_14default_configENS1_22reduce_config_selectorIN6thrust23THRUST_200600_302600_NS5tupleIblNS6_9null_typeES8_S8_S8_S8_S8_S8_S8_EEEEZNS1_11reduce_implILb1ES3_NS6_12zip_iteratorINS7_INS6_11hip_rocprim26transform_input_iterator_tIbPdNS6_6detail10functional5actorINSH_9compositeIJNSH_27transparent_binary_operatorINS6_8equal_toIvEEEENSI_INSH_8argumentILj0EEEEENSH_5valueIdEEEEEEEEENSD_19counting_iterator_tIlEES8_S8_S8_S8_S8_S8_S8_S8_EEEEPS9_S9_NSD_9__find_if7functorIS9_EEEE10hipError_tPvRmT1_T2_T3_mT4_P12ihipStream_tbEUlT_E0_NS1_11comp_targetILNS1_3genE4ELNS1_11target_archE910ELNS1_3gpuE8ELNS1_3repE0EEENS1_30default_config_static_selectorELNS0_4arch9wavefront6targetE1EEEvS17_,"axG",@progbits,_ZN7rocprim17ROCPRIM_400000_NS6detail17trampoline_kernelINS0_14default_configENS1_22reduce_config_selectorIN6thrust23THRUST_200600_302600_NS5tupleIblNS6_9null_typeES8_S8_S8_S8_S8_S8_S8_EEEEZNS1_11reduce_implILb1ES3_NS6_12zip_iteratorINS7_INS6_11hip_rocprim26transform_input_iterator_tIbPdNS6_6detail10functional5actorINSH_9compositeIJNSH_27transparent_binary_operatorINS6_8equal_toIvEEEENSI_INSH_8argumentILj0EEEEENSH_5valueIdEEEEEEEEENSD_19counting_iterator_tIlEES8_S8_S8_S8_S8_S8_S8_S8_EEEEPS9_S9_NSD_9__find_if7functorIS9_EEEE10hipError_tPvRmT1_T2_T3_mT4_P12ihipStream_tbEUlT_E0_NS1_11comp_targetILNS1_3genE4ELNS1_11target_archE910ELNS1_3gpuE8ELNS1_3repE0EEENS1_30default_config_static_selectorELNS0_4arch9wavefront6targetE1EEEvS17_,comdat
	.protected	_ZN7rocprim17ROCPRIM_400000_NS6detail17trampoline_kernelINS0_14default_configENS1_22reduce_config_selectorIN6thrust23THRUST_200600_302600_NS5tupleIblNS6_9null_typeES8_S8_S8_S8_S8_S8_S8_EEEEZNS1_11reduce_implILb1ES3_NS6_12zip_iteratorINS7_INS6_11hip_rocprim26transform_input_iterator_tIbPdNS6_6detail10functional5actorINSH_9compositeIJNSH_27transparent_binary_operatorINS6_8equal_toIvEEEENSI_INSH_8argumentILj0EEEEENSH_5valueIdEEEEEEEEENSD_19counting_iterator_tIlEES8_S8_S8_S8_S8_S8_S8_S8_EEEEPS9_S9_NSD_9__find_if7functorIS9_EEEE10hipError_tPvRmT1_T2_T3_mT4_P12ihipStream_tbEUlT_E0_NS1_11comp_targetILNS1_3genE4ELNS1_11target_archE910ELNS1_3gpuE8ELNS1_3repE0EEENS1_30default_config_static_selectorELNS0_4arch9wavefront6targetE1EEEvS17_ ; -- Begin function _ZN7rocprim17ROCPRIM_400000_NS6detail17trampoline_kernelINS0_14default_configENS1_22reduce_config_selectorIN6thrust23THRUST_200600_302600_NS5tupleIblNS6_9null_typeES8_S8_S8_S8_S8_S8_S8_EEEEZNS1_11reduce_implILb1ES3_NS6_12zip_iteratorINS7_INS6_11hip_rocprim26transform_input_iterator_tIbPdNS6_6detail10functional5actorINSH_9compositeIJNSH_27transparent_binary_operatorINS6_8equal_toIvEEEENSI_INSH_8argumentILj0EEEEENSH_5valueIdEEEEEEEEENSD_19counting_iterator_tIlEES8_S8_S8_S8_S8_S8_S8_S8_EEEEPS9_S9_NSD_9__find_if7functorIS9_EEEE10hipError_tPvRmT1_T2_T3_mT4_P12ihipStream_tbEUlT_E0_NS1_11comp_targetILNS1_3genE4ELNS1_11target_archE910ELNS1_3gpuE8ELNS1_3repE0EEENS1_30default_config_static_selectorELNS0_4arch9wavefront6targetE1EEEvS17_
	.globl	_ZN7rocprim17ROCPRIM_400000_NS6detail17trampoline_kernelINS0_14default_configENS1_22reduce_config_selectorIN6thrust23THRUST_200600_302600_NS5tupleIblNS6_9null_typeES8_S8_S8_S8_S8_S8_S8_EEEEZNS1_11reduce_implILb1ES3_NS6_12zip_iteratorINS7_INS6_11hip_rocprim26transform_input_iterator_tIbPdNS6_6detail10functional5actorINSH_9compositeIJNSH_27transparent_binary_operatorINS6_8equal_toIvEEEENSI_INSH_8argumentILj0EEEEENSH_5valueIdEEEEEEEEENSD_19counting_iterator_tIlEES8_S8_S8_S8_S8_S8_S8_S8_EEEEPS9_S9_NSD_9__find_if7functorIS9_EEEE10hipError_tPvRmT1_T2_T3_mT4_P12ihipStream_tbEUlT_E0_NS1_11comp_targetILNS1_3genE4ELNS1_11target_archE910ELNS1_3gpuE8ELNS1_3repE0EEENS1_30default_config_static_selectorELNS0_4arch9wavefront6targetE1EEEvS17_
	.p2align	8
	.type	_ZN7rocprim17ROCPRIM_400000_NS6detail17trampoline_kernelINS0_14default_configENS1_22reduce_config_selectorIN6thrust23THRUST_200600_302600_NS5tupleIblNS6_9null_typeES8_S8_S8_S8_S8_S8_S8_EEEEZNS1_11reduce_implILb1ES3_NS6_12zip_iteratorINS7_INS6_11hip_rocprim26transform_input_iterator_tIbPdNS6_6detail10functional5actorINSH_9compositeIJNSH_27transparent_binary_operatorINS6_8equal_toIvEEEENSI_INSH_8argumentILj0EEEEENSH_5valueIdEEEEEEEEENSD_19counting_iterator_tIlEES8_S8_S8_S8_S8_S8_S8_S8_EEEEPS9_S9_NSD_9__find_if7functorIS9_EEEE10hipError_tPvRmT1_T2_T3_mT4_P12ihipStream_tbEUlT_E0_NS1_11comp_targetILNS1_3genE4ELNS1_11target_archE910ELNS1_3gpuE8ELNS1_3repE0EEENS1_30default_config_static_selectorELNS0_4arch9wavefront6targetE1EEEvS17_,@function
_ZN7rocprim17ROCPRIM_400000_NS6detail17trampoline_kernelINS0_14default_configENS1_22reduce_config_selectorIN6thrust23THRUST_200600_302600_NS5tupleIblNS6_9null_typeES8_S8_S8_S8_S8_S8_S8_EEEEZNS1_11reduce_implILb1ES3_NS6_12zip_iteratorINS7_INS6_11hip_rocprim26transform_input_iterator_tIbPdNS6_6detail10functional5actorINSH_9compositeIJNSH_27transparent_binary_operatorINS6_8equal_toIvEEEENSI_INSH_8argumentILj0EEEEENSH_5valueIdEEEEEEEEENSD_19counting_iterator_tIlEES8_S8_S8_S8_S8_S8_S8_S8_EEEEPS9_S9_NSD_9__find_if7functorIS9_EEEE10hipError_tPvRmT1_T2_T3_mT4_P12ihipStream_tbEUlT_E0_NS1_11comp_targetILNS1_3genE4ELNS1_11target_archE910ELNS1_3gpuE8ELNS1_3repE0EEENS1_30default_config_static_selectorELNS0_4arch9wavefront6targetE1EEEvS17_: ; @_ZN7rocprim17ROCPRIM_400000_NS6detail17trampoline_kernelINS0_14default_configENS1_22reduce_config_selectorIN6thrust23THRUST_200600_302600_NS5tupleIblNS6_9null_typeES8_S8_S8_S8_S8_S8_S8_EEEEZNS1_11reduce_implILb1ES3_NS6_12zip_iteratorINS7_INS6_11hip_rocprim26transform_input_iterator_tIbPdNS6_6detail10functional5actorINSH_9compositeIJNSH_27transparent_binary_operatorINS6_8equal_toIvEEEENSI_INSH_8argumentILj0EEEEENSH_5valueIdEEEEEEEEENSD_19counting_iterator_tIlEES8_S8_S8_S8_S8_S8_S8_S8_EEEEPS9_S9_NSD_9__find_if7functorIS9_EEEE10hipError_tPvRmT1_T2_T3_mT4_P12ihipStream_tbEUlT_E0_NS1_11comp_targetILNS1_3genE4ELNS1_11target_archE910ELNS1_3gpuE8ELNS1_3repE0EEENS1_30default_config_static_selectorELNS0_4arch9wavefront6targetE1EEEvS17_
; %bb.0:
	.section	.rodata,"a",@progbits
	.p2align	6, 0x0
	.amdhsa_kernel _ZN7rocprim17ROCPRIM_400000_NS6detail17trampoline_kernelINS0_14default_configENS1_22reduce_config_selectorIN6thrust23THRUST_200600_302600_NS5tupleIblNS6_9null_typeES8_S8_S8_S8_S8_S8_S8_EEEEZNS1_11reduce_implILb1ES3_NS6_12zip_iteratorINS7_INS6_11hip_rocprim26transform_input_iterator_tIbPdNS6_6detail10functional5actorINSH_9compositeIJNSH_27transparent_binary_operatorINS6_8equal_toIvEEEENSI_INSH_8argumentILj0EEEEENSH_5valueIdEEEEEEEEENSD_19counting_iterator_tIlEES8_S8_S8_S8_S8_S8_S8_S8_EEEEPS9_S9_NSD_9__find_if7functorIS9_EEEE10hipError_tPvRmT1_T2_T3_mT4_P12ihipStream_tbEUlT_E0_NS1_11comp_targetILNS1_3genE4ELNS1_11target_archE910ELNS1_3gpuE8ELNS1_3repE0EEENS1_30default_config_static_selectorELNS0_4arch9wavefront6targetE1EEEvS17_
		.amdhsa_group_segment_fixed_size 0
		.amdhsa_private_segment_fixed_size 0
		.amdhsa_kernarg_size 96
		.amdhsa_user_sgpr_count 6
		.amdhsa_user_sgpr_private_segment_buffer 1
		.amdhsa_user_sgpr_dispatch_ptr 0
		.amdhsa_user_sgpr_queue_ptr 0
		.amdhsa_user_sgpr_kernarg_segment_ptr 1
		.amdhsa_user_sgpr_dispatch_id 0
		.amdhsa_user_sgpr_flat_scratch_init 0
		.amdhsa_user_sgpr_private_segment_size 0
		.amdhsa_uses_dynamic_stack 0
		.amdhsa_system_sgpr_private_segment_wavefront_offset 0
		.amdhsa_system_sgpr_workgroup_id_x 1
		.amdhsa_system_sgpr_workgroup_id_y 0
		.amdhsa_system_sgpr_workgroup_id_z 0
		.amdhsa_system_sgpr_workgroup_info 0
		.amdhsa_system_vgpr_workitem_id 0
		.amdhsa_next_free_vgpr 1
		.amdhsa_next_free_sgpr 0
		.amdhsa_reserve_vcc 0
		.amdhsa_reserve_flat_scratch 0
		.amdhsa_float_round_mode_32 0
		.amdhsa_float_round_mode_16_64 0
		.amdhsa_float_denorm_mode_32 3
		.amdhsa_float_denorm_mode_16_64 3
		.amdhsa_dx10_clamp 1
		.amdhsa_ieee_mode 1
		.amdhsa_fp16_overflow 0
		.amdhsa_exception_fp_ieee_invalid_op 0
		.amdhsa_exception_fp_denorm_src 0
		.amdhsa_exception_fp_ieee_div_zero 0
		.amdhsa_exception_fp_ieee_overflow 0
		.amdhsa_exception_fp_ieee_underflow 0
		.amdhsa_exception_fp_ieee_inexact 0
		.amdhsa_exception_int_div_zero 0
	.end_amdhsa_kernel
	.section	.text._ZN7rocprim17ROCPRIM_400000_NS6detail17trampoline_kernelINS0_14default_configENS1_22reduce_config_selectorIN6thrust23THRUST_200600_302600_NS5tupleIblNS6_9null_typeES8_S8_S8_S8_S8_S8_S8_EEEEZNS1_11reduce_implILb1ES3_NS6_12zip_iteratorINS7_INS6_11hip_rocprim26transform_input_iterator_tIbPdNS6_6detail10functional5actorINSH_9compositeIJNSH_27transparent_binary_operatorINS6_8equal_toIvEEEENSI_INSH_8argumentILj0EEEEENSH_5valueIdEEEEEEEEENSD_19counting_iterator_tIlEES8_S8_S8_S8_S8_S8_S8_S8_EEEEPS9_S9_NSD_9__find_if7functorIS9_EEEE10hipError_tPvRmT1_T2_T3_mT4_P12ihipStream_tbEUlT_E0_NS1_11comp_targetILNS1_3genE4ELNS1_11target_archE910ELNS1_3gpuE8ELNS1_3repE0EEENS1_30default_config_static_selectorELNS0_4arch9wavefront6targetE1EEEvS17_,"axG",@progbits,_ZN7rocprim17ROCPRIM_400000_NS6detail17trampoline_kernelINS0_14default_configENS1_22reduce_config_selectorIN6thrust23THRUST_200600_302600_NS5tupleIblNS6_9null_typeES8_S8_S8_S8_S8_S8_S8_EEEEZNS1_11reduce_implILb1ES3_NS6_12zip_iteratorINS7_INS6_11hip_rocprim26transform_input_iterator_tIbPdNS6_6detail10functional5actorINSH_9compositeIJNSH_27transparent_binary_operatorINS6_8equal_toIvEEEENSI_INSH_8argumentILj0EEEEENSH_5valueIdEEEEEEEEENSD_19counting_iterator_tIlEES8_S8_S8_S8_S8_S8_S8_S8_EEEEPS9_S9_NSD_9__find_if7functorIS9_EEEE10hipError_tPvRmT1_T2_T3_mT4_P12ihipStream_tbEUlT_E0_NS1_11comp_targetILNS1_3genE4ELNS1_11target_archE910ELNS1_3gpuE8ELNS1_3repE0EEENS1_30default_config_static_selectorELNS0_4arch9wavefront6targetE1EEEvS17_,comdat
.Lfunc_end1726:
	.size	_ZN7rocprim17ROCPRIM_400000_NS6detail17trampoline_kernelINS0_14default_configENS1_22reduce_config_selectorIN6thrust23THRUST_200600_302600_NS5tupleIblNS6_9null_typeES8_S8_S8_S8_S8_S8_S8_EEEEZNS1_11reduce_implILb1ES3_NS6_12zip_iteratorINS7_INS6_11hip_rocprim26transform_input_iterator_tIbPdNS6_6detail10functional5actorINSH_9compositeIJNSH_27transparent_binary_operatorINS6_8equal_toIvEEEENSI_INSH_8argumentILj0EEEEENSH_5valueIdEEEEEEEEENSD_19counting_iterator_tIlEES8_S8_S8_S8_S8_S8_S8_S8_EEEEPS9_S9_NSD_9__find_if7functorIS9_EEEE10hipError_tPvRmT1_T2_T3_mT4_P12ihipStream_tbEUlT_E0_NS1_11comp_targetILNS1_3genE4ELNS1_11target_archE910ELNS1_3gpuE8ELNS1_3repE0EEENS1_30default_config_static_selectorELNS0_4arch9wavefront6targetE1EEEvS17_, .Lfunc_end1726-_ZN7rocprim17ROCPRIM_400000_NS6detail17trampoline_kernelINS0_14default_configENS1_22reduce_config_selectorIN6thrust23THRUST_200600_302600_NS5tupleIblNS6_9null_typeES8_S8_S8_S8_S8_S8_S8_EEEEZNS1_11reduce_implILb1ES3_NS6_12zip_iteratorINS7_INS6_11hip_rocprim26transform_input_iterator_tIbPdNS6_6detail10functional5actorINSH_9compositeIJNSH_27transparent_binary_operatorINS6_8equal_toIvEEEENSI_INSH_8argumentILj0EEEEENSH_5valueIdEEEEEEEEENSD_19counting_iterator_tIlEES8_S8_S8_S8_S8_S8_S8_S8_EEEEPS9_S9_NSD_9__find_if7functorIS9_EEEE10hipError_tPvRmT1_T2_T3_mT4_P12ihipStream_tbEUlT_E0_NS1_11comp_targetILNS1_3genE4ELNS1_11target_archE910ELNS1_3gpuE8ELNS1_3repE0EEENS1_30default_config_static_selectorELNS0_4arch9wavefront6targetE1EEEvS17_
                                        ; -- End function
	.set _ZN7rocprim17ROCPRIM_400000_NS6detail17trampoline_kernelINS0_14default_configENS1_22reduce_config_selectorIN6thrust23THRUST_200600_302600_NS5tupleIblNS6_9null_typeES8_S8_S8_S8_S8_S8_S8_EEEEZNS1_11reduce_implILb1ES3_NS6_12zip_iteratorINS7_INS6_11hip_rocprim26transform_input_iterator_tIbPdNS6_6detail10functional5actorINSH_9compositeIJNSH_27transparent_binary_operatorINS6_8equal_toIvEEEENSI_INSH_8argumentILj0EEEEENSH_5valueIdEEEEEEEEENSD_19counting_iterator_tIlEES8_S8_S8_S8_S8_S8_S8_S8_EEEEPS9_S9_NSD_9__find_if7functorIS9_EEEE10hipError_tPvRmT1_T2_T3_mT4_P12ihipStream_tbEUlT_E0_NS1_11comp_targetILNS1_3genE4ELNS1_11target_archE910ELNS1_3gpuE8ELNS1_3repE0EEENS1_30default_config_static_selectorELNS0_4arch9wavefront6targetE1EEEvS17_.num_vgpr, 0
	.set _ZN7rocprim17ROCPRIM_400000_NS6detail17trampoline_kernelINS0_14default_configENS1_22reduce_config_selectorIN6thrust23THRUST_200600_302600_NS5tupleIblNS6_9null_typeES8_S8_S8_S8_S8_S8_S8_EEEEZNS1_11reduce_implILb1ES3_NS6_12zip_iteratorINS7_INS6_11hip_rocprim26transform_input_iterator_tIbPdNS6_6detail10functional5actorINSH_9compositeIJNSH_27transparent_binary_operatorINS6_8equal_toIvEEEENSI_INSH_8argumentILj0EEEEENSH_5valueIdEEEEEEEEENSD_19counting_iterator_tIlEES8_S8_S8_S8_S8_S8_S8_S8_EEEEPS9_S9_NSD_9__find_if7functorIS9_EEEE10hipError_tPvRmT1_T2_T3_mT4_P12ihipStream_tbEUlT_E0_NS1_11comp_targetILNS1_3genE4ELNS1_11target_archE910ELNS1_3gpuE8ELNS1_3repE0EEENS1_30default_config_static_selectorELNS0_4arch9wavefront6targetE1EEEvS17_.num_agpr, 0
	.set _ZN7rocprim17ROCPRIM_400000_NS6detail17trampoline_kernelINS0_14default_configENS1_22reduce_config_selectorIN6thrust23THRUST_200600_302600_NS5tupleIblNS6_9null_typeES8_S8_S8_S8_S8_S8_S8_EEEEZNS1_11reduce_implILb1ES3_NS6_12zip_iteratorINS7_INS6_11hip_rocprim26transform_input_iterator_tIbPdNS6_6detail10functional5actorINSH_9compositeIJNSH_27transparent_binary_operatorINS6_8equal_toIvEEEENSI_INSH_8argumentILj0EEEEENSH_5valueIdEEEEEEEEENSD_19counting_iterator_tIlEES8_S8_S8_S8_S8_S8_S8_S8_EEEEPS9_S9_NSD_9__find_if7functorIS9_EEEE10hipError_tPvRmT1_T2_T3_mT4_P12ihipStream_tbEUlT_E0_NS1_11comp_targetILNS1_3genE4ELNS1_11target_archE910ELNS1_3gpuE8ELNS1_3repE0EEENS1_30default_config_static_selectorELNS0_4arch9wavefront6targetE1EEEvS17_.numbered_sgpr, 0
	.set _ZN7rocprim17ROCPRIM_400000_NS6detail17trampoline_kernelINS0_14default_configENS1_22reduce_config_selectorIN6thrust23THRUST_200600_302600_NS5tupleIblNS6_9null_typeES8_S8_S8_S8_S8_S8_S8_EEEEZNS1_11reduce_implILb1ES3_NS6_12zip_iteratorINS7_INS6_11hip_rocprim26transform_input_iterator_tIbPdNS6_6detail10functional5actorINSH_9compositeIJNSH_27transparent_binary_operatorINS6_8equal_toIvEEEENSI_INSH_8argumentILj0EEEEENSH_5valueIdEEEEEEEEENSD_19counting_iterator_tIlEES8_S8_S8_S8_S8_S8_S8_S8_EEEEPS9_S9_NSD_9__find_if7functorIS9_EEEE10hipError_tPvRmT1_T2_T3_mT4_P12ihipStream_tbEUlT_E0_NS1_11comp_targetILNS1_3genE4ELNS1_11target_archE910ELNS1_3gpuE8ELNS1_3repE0EEENS1_30default_config_static_selectorELNS0_4arch9wavefront6targetE1EEEvS17_.num_named_barrier, 0
	.set _ZN7rocprim17ROCPRIM_400000_NS6detail17trampoline_kernelINS0_14default_configENS1_22reduce_config_selectorIN6thrust23THRUST_200600_302600_NS5tupleIblNS6_9null_typeES8_S8_S8_S8_S8_S8_S8_EEEEZNS1_11reduce_implILb1ES3_NS6_12zip_iteratorINS7_INS6_11hip_rocprim26transform_input_iterator_tIbPdNS6_6detail10functional5actorINSH_9compositeIJNSH_27transparent_binary_operatorINS6_8equal_toIvEEEENSI_INSH_8argumentILj0EEEEENSH_5valueIdEEEEEEEEENSD_19counting_iterator_tIlEES8_S8_S8_S8_S8_S8_S8_S8_EEEEPS9_S9_NSD_9__find_if7functorIS9_EEEE10hipError_tPvRmT1_T2_T3_mT4_P12ihipStream_tbEUlT_E0_NS1_11comp_targetILNS1_3genE4ELNS1_11target_archE910ELNS1_3gpuE8ELNS1_3repE0EEENS1_30default_config_static_selectorELNS0_4arch9wavefront6targetE1EEEvS17_.private_seg_size, 0
	.set _ZN7rocprim17ROCPRIM_400000_NS6detail17trampoline_kernelINS0_14default_configENS1_22reduce_config_selectorIN6thrust23THRUST_200600_302600_NS5tupleIblNS6_9null_typeES8_S8_S8_S8_S8_S8_S8_EEEEZNS1_11reduce_implILb1ES3_NS6_12zip_iteratorINS7_INS6_11hip_rocprim26transform_input_iterator_tIbPdNS6_6detail10functional5actorINSH_9compositeIJNSH_27transparent_binary_operatorINS6_8equal_toIvEEEENSI_INSH_8argumentILj0EEEEENSH_5valueIdEEEEEEEEENSD_19counting_iterator_tIlEES8_S8_S8_S8_S8_S8_S8_S8_EEEEPS9_S9_NSD_9__find_if7functorIS9_EEEE10hipError_tPvRmT1_T2_T3_mT4_P12ihipStream_tbEUlT_E0_NS1_11comp_targetILNS1_3genE4ELNS1_11target_archE910ELNS1_3gpuE8ELNS1_3repE0EEENS1_30default_config_static_selectorELNS0_4arch9wavefront6targetE1EEEvS17_.uses_vcc, 0
	.set _ZN7rocprim17ROCPRIM_400000_NS6detail17trampoline_kernelINS0_14default_configENS1_22reduce_config_selectorIN6thrust23THRUST_200600_302600_NS5tupleIblNS6_9null_typeES8_S8_S8_S8_S8_S8_S8_EEEEZNS1_11reduce_implILb1ES3_NS6_12zip_iteratorINS7_INS6_11hip_rocprim26transform_input_iterator_tIbPdNS6_6detail10functional5actorINSH_9compositeIJNSH_27transparent_binary_operatorINS6_8equal_toIvEEEENSI_INSH_8argumentILj0EEEEENSH_5valueIdEEEEEEEEENSD_19counting_iterator_tIlEES8_S8_S8_S8_S8_S8_S8_S8_EEEEPS9_S9_NSD_9__find_if7functorIS9_EEEE10hipError_tPvRmT1_T2_T3_mT4_P12ihipStream_tbEUlT_E0_NS1_11comp_targetILNS1_3genE4ELNS1_11target_archE910ELNS1_3gpuE8ELNS1_3repE0EEENS1_30default_config_static_selectorELNS0_4arch9wavefront6targetE1EEEvS17_.uses_flat_scratch, 0
	.set _ZN7rocprim17ROCPRIM_400000_NS6detail17trampoline_kernelINS0_14default_configENS1_22reduce_config_selectorIN6thrust23THRUST_200600_302600_NS5tupleIblNS6_9null_typeES8_S8_S8_S8_S8_S8_S8_EEEEZNS1_11reduce_implILb1ES3_NS6_12zip_iteratorINS7_INS6_11hip_rocprim26transform_input_iterator_tIbPdNS6_6detail10functional5actorINSH_9compositeIJNSH_27transparent_binary_operatorINS6_8equal_toIvEEEENSI_INSH_8argumentILj0EEEEENSH_5valueIdEEEEEEEEENSD_19counting_iterator_tIlEES8_S8_S8_S8_S8_S8_S8_S8_EEEEPS9_S9_NSD_9__find_if7functorIS9_EEEE10hipError_tPvRmT1_T2_T3_mT4_P12ihipStream_tbEUlT_E0_NS1_11comp_targetILNS1_3genE4ELNS1_11target_archE910ELNS1_3gpuE8ELNS1_3repE0EEENS1_30default_config_static_selectorELNS0_4arch9wavefront6targetE1EEEvS17_.has_dyn_sized_stack, 0
	.set _ZN7rocprim17ROCPRIM_400000_NS6detail17trampoline_kernelINS0_14default_configENS1_22reduce_config_selectorIN6thrust23THRUST_200600_302600_NS5tupleIblNS6_9null_typeES8_S8_S8_S8_S8_S8_S8_EEEEZNS1_11reduce_implILb1ES3_NS6_12zip_iteratorINS7_INS6_11hip_rocprim26transform_input_iterator_tIbPdNS6_6detail10functional5actorINSH_9compositeIJNSH_27transparent_binary_operatorINS6_8equal_toIvEEEENSI_INSH_8argumentILj0EEEEENSH_5valueIdEEEEEEEEENSD_19counting_iterator_tIlEES8_S8_S8_S8_S8_S8_S8_S8_EEEEPS9_S9_NSD_9__find_if7functorIS9_EEEE10hipError_tPvRmT1_T2_T3_mT4_P12ihipStream_tbEUlT_E0_NS1_11comp_targetILNS1_3genE4ELNS1_11target_archE910ELNS1_3gpuE8ELNS1_3repE0EEENS1_30default_config_static_selectorELNS0_4arch9wavefront6targetE1EEEvS17_.has_recursion, 0
	.set _ZN7rocprim17ROCPRIM_400000_NS6detail17trampoline_kernelINS0_14default_configENS1_22reduce_config_selectorIN6thrust23THRUST_200600_302600_NS5tupleIblNS6_9null_typeES8_S8_S8_S8_S8_S8_S8_EEEEZNS1_11reduce_implILb1ES3_NS6_12zip_iteratorINS7_INS6_11hip_rocprim26transform_input_iterator_tIbPdNS6_6detail10functional5actorINSH_9compositeIJNSH_27transparent_binary_operatorINS6_8equal_toIvEEEENSI_INSH_8argumentILj0EEEEENSH_5valueIdEEEEEEEEENSD_19counting_iterator_tIlEES8_S8_S8_S8_S8_S8_S8_S8_EEEEPS9_S9_NSD_9__find_if7functorIS9_EEEE10hipError_tPvRmT1_T2_T3_mT4_P12ihipStream_tbEUlT_E0_NS1_11comp_targetILNS1_3genE4ELNS1_11target_archE910ELNS1_3gpuE8ELNS1_3repE0EEENS1_30default_config_static_selectorELNS0_4arch9wavefront6targetE1EEEvS17_.has_indirect_call, 0
	.section	.AMDGPU.csdata,"",@progbits
; Kernel info:
; codeLenInByte = 0
; TotalNumSgprs: 4
; NumVgprs: 0
; ScratchSize: 0
; MemoryBound: 0
; FloatMode: 240
; IeeeMode: 1
; LDSByteSize: 0 bytes/workgroup (compile time only)
; SGPRBlocks: 0
; VGPRBlocks: 0
; NumSGPRsForWavesPerEU: 4
; NumVGPRsForWavesPerEU: 1
; Occupancy: 10
; WaveLimiterHint : 0
; COMPUTE_PGM_RSRC2:SCRATCH_EN: 0
; COMPUTE_PGM_RSRC2:USER_SGPR: 6
; COMPUTE_PGM_RSRC2:TRAP_HANDLER: 0
; COMPUTE_PGM_RSRC2:TGID_X_EN: 1
; COMPUTE_PGM_RSRC2:TGID_Y_EN: 0
; COMPUTE_PGM_RSRC2:TGID_Z_EN: 0
; COMPUTE_PGM_RSRC2:TIDIG_COMP_CNT: 0
	.section	.text._ZN7rocprim17ROCPRIM_400000_NS6detail17trampoline_kernelINS0_14default_configENS1_22reduce_config_selectorIN6thrust23THRUST_200600_302600_NS5tupleIblNS6_9null_typeES8_S8_S8_S8_S8_S8_S8_EEEEZNS1_11reduce_implILb1ES3_NS6_12zip_iteratorINS7_INS6_11hip_rocprim26transform_input_iterator_tIbPdNS6_6detail10functional5actorINSH_9compositeIJNSH_27transparent_binary_operatorINS6_8equal_toIvEEEENSI_INSH_8argumentILj0EEEEENSH_5valueIdEEEEEEEEENSD_19counting_iterator_tIlEES8_S8_S8_S8_S8_S8_S8_S8_EEEEPS9_S9_NSD_9__find_if7functorIS9_EEEE10hipError_tPvRmT1_T2_T3_mT4_P12ihipStream_tbEUlT_E0_NS1_11comp_targetILNS1_3genE3ELNS1_11target_archE908ELNS1_3gpuE7ELNS1_3repE0EEENS1_30default_config_static_selectorELNS0_4arch9wavefront6targetE1EEEvS17_,"axG",@progbits,_ZN7rocprim17ROCPRIM_400000_NS6detail17trampoline_kernelINS0_14default_configENS1_22reduce_config_selectorIN6thrust23THRUST_200600_302600_NS5tupleIblNS6_9null_typeES8_S8_S8_S8_S8_S8_S8_EEEEZNS1_11reduce_implILb1ES3_NS6_12zip_iteratorINS7_INS6_11hip_rocprim26transform_input_iterator_tIbPdNS6_6detail10functional5actorINSH_9compositeIJNSH_27transparent_binary_operatorINS6_8equal_toIvEEEENSI_INSH_8argumentILj0EEEEENSH_5valueIdEEEEEEEEENSD_19counting_iterator_tIlEES8_S8_S8_S8_S8_S8_S8_S8_EEEEPS9_S9_NSD_9__find_if7functorIS9_EEEE10hipError_tPvRmT1_T2_T3_mT4_P12ihipStream_tbEUlT_E0_NS1_11comp_targetILNS1_3genE3ELNS1_11target_archE908ELNS1_3gpuE7ELNS1_3repE0EEENS1_30default_config_static_selectorELNS0_4arch9wavefront6targetE1EEEvS17_,comdat
	.protected	_ZN7rocprim17ROCPRIM_400000_NS6detail17trampoline_kernelINS0_14default_configENS1_22reduce_config_selectorIN6thrust23THRUST_200600_302600_NS5tupleIblNS6_9null_typeES8_S8_S8_S8_S8_S8_S8_EEEEZNS1_11reduce_implILb1ES3_NS6_12zip_iteratorINS7_INS6_11hip_rocprim26transform_input_iterator_tIbPdNS6_6detail10functional5actorINSH_9compositeIJNSH_27transparent_binary_operatorINS6_8equal_toIvEEEENSI_INSH_8argumentILj0EEEEENSH_5valueIdEEEEEEEEENSD_19counting_iterator_tIlEES8_S8_S8_S8_S8_S8_S8_S8_EEEEPS9_S9_NSD_9__find_if7functorIS9_EEEE10hipError_tPvRmT1_T2_T3_mT4_P12ihipStream_tbEUlT_E0_NS1_11comp_targetILNS1_3genE3ELNS1_11target_archE908ELNS1_3gpuE7ELNS1_3repE0EEENS1_30default_config_static_selectorELNS0_4arch9wavefront6targetE1EEEvS17_ ; -- Begin function _ZN7rocprim17ROCPRIM_400000_NS6detail17trampoline_kernelINS0_14default_configENS1_22reduce_config_selectorIN6thrust23THRUST_200600_302600_NS5tupleIblNS6_9null_typeES8_S8_S8_S8_S8_S8_S8_EEEEZNS1_11reduce_implILb1ES3_NS6_12zip_iteratorINS7_INS6_11hip_rocprim26transform_input_iterator_tIbPdNS6_6detail10functional5actorINSH_9compositeIJNSH_27transparent_binary_operatorINS6_8equal_toIvEEEENSI_INSH_8argumentILj0EEEEENSH_5valueIdEEEEEEEEENSD_19counting_iterator_tIlEES8_S8_S8_S8_S8_S8_S8_S8_EEEEPS9_S9_NSD_9__find_if7functorIS9_EEEE10hipError_tPvRmT1_T2_T3_mT4_P12ihipStream_tbEUlT_E0_NS1_11comp_targetILNS1_3genE3ELNS1_11target_archE908ELNS1_3gpuE7ELNS1_3repE0EEENS1_30default_config_static_selectorELNS0_4arch9wavefront6targetE1EEEvS17_
	.globl	_ZN7rocprim17ROCPRIM_400000_NS6detail17trampoline_kernelINS0_14default_configENS1_22reduce_config_selectorIN6thrust23THRUST_200600_302600_NS5tupleIblNS6_9null_typeES8_S8_S8_S8_S8_S8_S8_EEEEZNS1_11reduce_implILb1ES3_NS6_12zip_iteratorINS7_INS6_11hip_rocprim26transform_input_iterator_tIbPdNS6_6detail10functional5actorINSH_9compositeIJNSH_27transparent_binary_operatorINS6_8equal_toIvEEEENSI_INSH_8argumentILj0EEEEENSH_5valueIdEEEEEEEEENSD_19counting_iterator_tIlEES8_S8_S8_S8_S8_S8_S8_S8_EEEEPS9_S9_NSD_9__find_if7functorIS9_EEEE10hipError_tPvRmT1_T2_T3_mT4_P12ihipStream_tbEUlT_E0_NS1_11comp_targetILNS1_3genE3ELNS1_11target_archE908ELNS1_3gpuE7ELNS1_3repE0EEENS1_30default_config_static_selectorELNS0_4arch9wavefront6targetE1EEEvS17_
	.p2align	8
	.type	_ZN7rocprim17ROCPRIM_400000_NS6detail17trampoline_kernelINS0_14default_configENS1_22reduce_config_selectorIN6thrust23THRUST_200600_302600_NS5tupleIblNS6_9null_typeES8_S8_S8_S8_S8_S8_S8_EEEEZNS1_11reduce_implILb1ES3_NS6_12zip_iteratorINS7_INS6_11hip_rocprim26transform_input_iterator_tIbPdNS6_6detail10functional5actorINSH_9compositeIJNSH_27transparent_binary_operatorINS6_8equal_toIvEEEENSI_INSH_8argumentILj0EEEEENSH_5valueIdEEEEEEEEENSD_19counting_iterator_tIlEES8_S8_S8_S8_S8_S8_S8_S8_EEEEPS9_S9_NSD_9__find_if7functorIS9_EEEE10hipError_tPvRmT1_T2_T3_mT4_P12ihipStream_tbEUlT_E0_NS1_11comp_targetILNS1_3genE3ELNS1_11target_archE908ELNS1_3gpuE7ELNS1_3repE0EEENS1_30default_config_static_selectorELNS0_4arch9wavefront6targetE1EEEvS17_,@function
_ZN7rocprim17ROCPRIM_400000_NS6detail17trampoline_kernelINS0_14default_configENS1_22reduce_config_selectorIN6thrust23THRUST_200600_302600_NS5tupleIblNS6_9null_typeES8_S8_S8_S8_S8_S8_S8_EEEEZNS1_11reduce_implILb1ES3_NS6_12zip_iteratorINS7_INS6_11hip_rocprim26transform_input_iterator_tIbPdNS6_6detail10functional5actorINSH_9compositeIJNSH_27transparent_binary_operatorINS6_8equal_toIvEEEENSI_INSH_8argumentILj0EEEEENSH_5valueIdEEEEEEEEENSD_19counting_iterator_tIlEES8_S8_S8_S8_S8_S8_S8_S8_EEEEPS9_S9_NSD_9__find_if7functorIS9_EEEE10hipError_tPvRmT1_T2_T3_mT4_P12ihipStream_tbEUlT_E0_NS1_11comp_targetILNS1_3genE3ELNS1_11target_archE908ELNS1_3gpuE7ELNS1_3repE0EEENS1_30default_config_static_selectorELNS0_4arch9wavefront6targetE1EEEvS17_: ; @_ZN7rocprim17ROCPRIM_400000_NS6detail17trampoline_kernelINS0_14default_configENS1_22reduce_config_selectorIN6thrust23THRUST_200600_302600_NS5tupleIblNS6_9null_typeES8_S8_S8_S8_S8_S8_S8_EEEEZNS1_11reduce_implILb1ES3_NS6_12zip_iteratorINS7_INS6_11hip_rocprim26transform_input_iterator_tIbPdNS6_6detail10functional5actorINSH_9compositeIJNSH_27transparent_binary_operatorINS6_8equal_toIvEEEENSI_INSH_8argumentILj0EEEEENSH_5valueIdEEEEEEEEENSD_19counting_iterator_tIlEES8_S8_S8_S8_S8_S8_S8_S8_EEEEPS9_S9_NSD_9__find_if7functorIS9_EEEE10hipError_tPvRmT1_T2_T3_mT4_P12ihipStream_tbEUlT_E0_NS1_11comp_targetILNS1_3genE3ELNS1_11target_archE908ELNS1_3gpuE7ELNS1_3repE0EEENS1_30default_config_static_selectorELNS0_4arch9wavefront6targetE1EEEvS17_
; %bb.0:
	.section	.rodata,"a",@progbits
	.p2align	6, 0x0
	.amdhsa_kernel _ZN7rocprim17ROCPRIM_400000_NS6detail17trampoline_kernelINS0_14default_configENS1_22reduce_config_selectorIN6thrust23THRUST_200600_302600_NS5tupleIblNS6_9null_typeES8_S8_S8_S8_S8_S8_S8_EEEEZNS1_11reduce_implILb1ES3_NS6_12zip_iteratorINS7_INS6_11hip_rocprim26transform_input_iterator_tIbPdNS6_6detail10functional5actorINSH_9compositeIJNSH_27transparent_binary_operatorINS6_8equal_toIvEEEENSI_INSH_8argumentILj0EEEEENSH_5valueIdEEEEEEEEENSD_19counting_iterator_tIlEES8_S8_S8_S8_S8_S8_S8_S8_EEEEPS9_S9_NSD_9__find_if7functorIS9_EEEE10hipError_tPvRmT1_T2_T3_mT4_P12ihipStream_tbEUlT_E0_NS1_11comp_targetILNS1_3genE3ELNS1_11target_archE908ELNS1_3gpuE7ELNS1_3repE0EEENS1_30default_config_static_selectorELNS0_4arch9wavefront6targetE1EEEvS17_
		.amdhsa_group_segment_fixed_size 0
		.amdhsa_private_segment_fixed_size 0
		.amdhsa_kernarg_size 96
		.amdhsa_user_sgpr_count 6
		.amdhsa_user_sgpr_private_segment_buffer 1
		.amdhsa_user_sgpr_dispatch_ptr 0
		.amdhsa_user_sgpr_queue_ptr 0
		.amdhsa_user_sgpr_kernarg_segment_ptr 1
		.amdhsa_user_sgpr_dispatch_id 0
		.amdhsa_user_sgpr_flat_scratch_init 0
		.amdhsa_user_sgpr_private_segment_size 0
		.amdhsa_uses_dynamic_stack 0
		.amdhsa_system_sgpr_private_segment_wavefront_offset 0
		.amdhsa_system_sgpr_workgroup_id_x 1
		.amdhsa_system_sgpr_workgroup_id_y 0
		.amdhsa_system_sgpr_workgroup_id_z 0
		.amdhsa_system_sgpr_workgroup_info 0
		.amdhsa_system_vgpr_workitem_id 0
		.amdhsa_next_free_vgpr 1
		.amdhsa_next_free_sgpr 0
		.amdhsa_reserve_vcc 0
		.amdhsa_reserve_flat_scratch 0
		.amdhsa_float_round_mode_32 0
		.amdhsa_float_round_mode_16_64 0
		.amdhsa_float_denorm_mode_32 3
		.amdhsa_float_denorm_mode_16_64 3
		.amdhsa_dx10_clamp 1
		.amdhsa_ieee_mode 1
		.amdhsa_fp16_overflow 0
		.amdhsa_exception_fp_ieee_invalid_op 0
		.amdhsa_exception_fp_denorm_src 0
		.amdhsa_exception_fp_ieee_div_zero 0
		.amdhsa_exception_fp_ieee_overflow 0
		.amdhsa_exception_fp_ieee_underflow 0
		.amdhsa_exception_fp_ieee_inexact 0
		.amdhsa_exception_int_div_zero 0
	.end_amdhsa_kernel
	.section	.text._ZN7rocprim17ROCPRIM_400000_NS6detail17trampoline_kernelINS0_14default_configENS1_22reduce_config_selectorIN6thrust23THRUST_200600_302600_NS5tupleIblNS6_9null_typeES8_S8_S8_S8_S8_S8_S8_EEEEZNS1_11reduce_implILb1ES3_NS6_12zip_iteratorINS7_INS6_11hip_rocprim26transform_input_iterator_tIbPdNS6_6detail10functional5actorINSH_9compositeIJNSH_27transparent_binary_operatorINS6_8equal_toIvEEEENSI_INSH_8argumentILj0EEEEENSH_5valueIdEEEEEEEEENSD_19counting_iterator_tIlEES8_S8_S8_S8_S8_S8_S8_S8_EEEEPS9_S9_NSD_9__find_if7functorIS9_EEEE10hipError_tPvRmT1_T2_T3_mT4_P12ihipStream_tbEUlT_E0_NS1_11comp_targetILNS1_3genE3ELNS1_11target_archE908ELNS1_3gpuE7ELNS1_3repE0EEENS1_30default_config_static_selectorELNS0_4arch9wavefront6targetE1EEEvS17_,"axG",@progbits,_ZN7rocprim17ROCPRIM_400000_NS6detail17trampoline_kernelINS0_14default_configENS1_22reduce_config_selectorIN6thrust23THRUST_200600_302600_NS5tupleIblNS6_9null_typeES8_S8_S8_S8_S8_S8_S8_EEEEZNS1_11reduce_implILb1ES3_NS6_12zip_iteratorINS7_INS6_11hip_rocprim26transform_input_iterator_tIbPdNS6_6detail10functional5actorINSH_9compositeIJNSH_27transparent_binary_operatorINS6_8equal_toIvEEEENSI_INSH_8argumentILj0EEEEENSH_5valueIdEEEEEEEEENSD_19counting_iterator_tIlEES8_S8_S8_S8_S8_S8_S8_S8_EEEEPS9_S9_NSD_9__find_if7functorIS9_EEEE10hipError_tPvRmT1_T2_T3_mT4_P12ihipStream_tbEUlT_E0_NS1_11comp_targetILNS1_3genE3ELNS1_11target_archE908ELNS1_3gpuE7ELNS1_3repE0EEENS1_30default_config_static_selectorELNS0_4arch9wavefront6targetE1EEEvS17_,comdat
.Lfunc_end1727:
	.size	_ZN7rocprim17ROCPRIM_400000_NS6detail17trampoline_kernelINS0_14default_configENS1_22reduce_config_selectorIN6thrust23THRUST_200600_302600_NS5tupleIblNS6_9null_typeES8_S8_S8_S8_S8_S8_S8_EEEEZNS1_11reduce_implILb1ES3_NS6_12zip_iteratorINS7_INS6_11hip_rocprim26transform_input_iterator_tIbPdNS6_6detail10functional5actorINSH_9compositeIJNSH_27transparent_binary_operatorINS6_8equal_toIvEEEENSI_INSH_8argumentILj0EEEEENSH_5valueIdEEEEEEEEENSD_19counting_iterator_tIlEES8_S8_S8_S8_S8_S8_S8_S8_EEEEPS9_S9_NSD_9__find_if7functorIS9_EEEE10hipError_tPvRmT1_T2_T3_mT4_P12ihipStream_tbEUlT_E0_NS1_11comp_targetILNS1_3genE3ELNS1_11target_archE908ELNS1_3gpuE7ELNS1_3repE0EEENS1_30default_config_static_selectorELNS0_4arch9wavefront6targetE1EEEvS17_, .Lfunc_end1727-_ZN7rocprim17ROCPRIM_400000_NS6detail17trampoline_kernelINS0_14default_configENS1_22reduce_config_selectorIN6thrust23THRUST_200600_302600_NS5tupleIblNS6_9null_typeES8_S8_S8_S8_S8_S8_S8_EEEEZNS1_11reduce_implILb1ES3_NS6_12zip_iteratorINS7_INS6_11hip_rocprim26transform_input_iterator_tIbPdNS6_6detail10functional5actorINSH_9compositeIJNSH_27transparent_binary_operatorINS6_8equal_toIvEEEENSI_INSH_8argumentILj0EEEEENSH_5valueIdEEEEEEEEENSD_19counting_iterator_tIlEES8_S8_S8_S8_S8_S8_S8_S8_EEEEPS9_S9_NSD_9__find_if7functorIS9_EEEE10hipError_tPvRmT1_T2_T3_mT4_P12ihipStream_tbEUlT_E0_NS1_11comp_targetILNS1_3genE3ELNS1_11target_archE908ELNS1_3gpuE7ELNS1_3repE0EEENS1_30default_config_static_selectorELNS0_4arch9wavefront6targetE1EEEvS17_
                                        ; -- End function
	.set _ZN7rocprim17ROCPRIM_400000_NS6detail17trampoline_kernelINS0_14default_configENS1_22reduce_config_selectorIN6thrust23THRUST_200600_302600_NS5tupleIblNS6_9null_typeES8_S8_S8_S8_S8_S8_S8_EEEEZNS1_11reduce_implILb1ES3_NS6_12zip_iteratorINS7_INS6_11hip_rocprim26transform_input_iterator_tIbPdNS6_6detail10functional5actorINSH_9compositeIJNSH_27transparent_binary_operatorINS6_8equal_toIvEEEENSI_INSH_8argumentILj0EEEEENSH_5valueIdEEEEEEEEENSD_19counting_iterator_tIlEES8_S8_S8_S8_S8_S8_S8_S8_EEEEPS9_S9_NSD_9__find_if7functorIS9_EEEE10hipError_tPvRmT1_T2_T3_mT4_P12ihipStream_tbEUlT_E0_NS1_11comp_targetILNS1_3genE3ELNS1_11target_archE908ELNS1_3gpuE7ELNS1_3repE0EEENS1_30default_config_static_selectorELNS0_4arch9wavefront6targetE1EEEvS17_.num_vgpr, 0
	.set _ZN7rocprim17ROCPRIM_400000_NS6detail17trampoline_kernelINS0_14default_configENS1_22reduce_config_selectorIN6thrust23THRUST_200600_302600_NS5tupleIblNS6_9null_typeES8_S8_S8_S8_S8_S8_S8_EEEEZNS1_11reduce_implILb1ES3_NS6_12zip_iteratorINS7_INS6_11hip_rocprim26transform_input_iterator_tIbPdNS6_6detail10functional5actorINSH_9compositeIJNSH_27transparent_binary_operatorINS6_8equal_toIvEEEENSI_INSH_8argumentILj0EEEEENSH_5valueIdEEEEEEEEENSD_19counting_iterator_tIlEES8_S8_S8_S8_S8_S8_S8_S8_EEEEPS9_S9_NSD_9__find_if7functorIS9_EEEE10hipError_tPvRmT1_T2_T3_mT4_P12ihipStream_tbEUlT_E0_NS1_11comp_targetILNS1_3genE3ELNS1_11target_archE908ELNS1_3gpuE7ELNS1_3repE0EEENS1_30default_config_static_selectorELNS0_4arch9wavefront6targetE1EEEvS17_.num_agpr, 0
	.set _ZN7rocprim17ROCPRIM_400000_NS6detail17trampoline_kernelINS0_14default_configENS1_22reduce_config_selectorIN6thrust23THRUST_200600_302600_NS5tupleIblNS6_9null_typeES8_S8_S8_S8_S8_S8_S8_EEEEZNS1_11reduce_implILb1ES3_NS6_12zip_iteratorINS7_INS6_11hip_rocprim26transform_input_iterator_tIbPdNS6_6detail10functional5actorINSH_9compositeIJNSH_27transparent_binary_operatorINS6_8equal_toIvEEEENSI_INSH_8argumentILj0EEEEENSH_5valueIdEEEEEEEEENSD_19counting_iterator_tIlEES8_S8_S8_S8_S8_S8_S8_S8_EEEEPS9_S9_NSD_9__find_if7functorIS9_EEEE10hipError_tPvRmT1_T2_T3_mT4_P12ihipStream_tbEUlT_E0_NS1_11comp_targetILNS1_3genE3ELNS1_11target_archE908ELNS1_3gpuE7ELNS1_3repE0EEENS1_30default_config_static_selectorELNS0_4arch9wavefront6targetE1EEEvS17_.numbered_sgpr, 0
	.set _ZN7rocprim17ROCPRIM_400000_NS6detail17trampoline_kernelINS0_14default_configENS1_22reduce_config_selectorIN6thrust23THRUST_200600_302600_NS5tupleIblNS6_9null_typeES8_S8_S8_S8_S8_S8_S8_EEEEZNS1_11reduce_implILb1ES3_NS6_12zip_iteratorINS7_INS6_11hip_rocprim26transform_input_iterator_tIbPdNS6_6detail10functional5actorINSH_9compositeIJNSH_27transparent_binary_operatorINS6_8equal_toIvEEEENSI_INSH_8argumentILj0EEEEENSH_5valueIdEEEEEEEEENSD_19counting_iterator_tIlEES8_S8_S8_S8_S8_S8_S8_S8_EEEEPS9_S9_NSD_9__find_if7functorIS9_EEEE10hipError_tPvRmT1_T2_T3_mT4_P12ihipStream_tbEUlT_E0_NS1_11comp_targetILNS1_3genE3ELNS1_11target_archE908ELNS1_3gpuE7ELNS1_3repE0EEENS1_30default_config_static_selectorELNS0_4arch9wavefront6targetE1EEEvS17_.num_named_barrier, 0
	.set _ZN7rocprim17ROCPRIM_400000_NS6detail17trampoline_kernelINS0_14default_configENS1_22reduce_config_selectorIN6thrust23THRUST_200600_302600_NS5tupleIblNS6_9null_typeES8_S8_S8_S8_S8_S8_S8_EEEEZNS1_11reduce_implILb1ES3_NS6_12zip_iteratorINS7_INS6_11hip_rocprim26transform_input_iterator_tIbPdNS6_6detail10functional5actorINSH_9compositeIJNSH_27transparent_binary_operatorINS6_8equal_toIvEEEENSI_INSH_8argumentILj0EEEEENSH_5valueIdEEEEEEEEENSD_19counting_iterator_tIlEES8_S8_S8_S8_S8_S8_S8_S8_EEEEPS9_S9_NSD_9__find_if7functorIS9_EEEE10hipError_tPvRmT1_T2_T3_mT4_P12ihipStream_tbEUlT_E0_NS1_11comp_targetILNS1_3genE3ELNS1_11target_archE908ELNS1_3gpuE7ELNS1_3repE0EEENS1_30default_config_static_selectorELNS0_4arch9wavefront6targetE1EEEvS17_.private_seg_size, 0
	.set _ZN7rocprim17ROCPRIM_400000_NS6detail17trampoline_kernelINS0_14default_configENS1_22reduce_config_selectorIN6thrust23THRUST_200600_302600_NS5tupleIblNS6_9null_typeES8_S8_S8_S8_S8_S8_S8_EEEEZNS1_11reduce_implILb1ES3_NS6_12zip_iteratorINS7_INS6_11hip_rocprim26transform_input_iterator_tIbPdNS6_6detail10functional5actorINSH_9compositeIJNSH_27transparent_binary_operatorINS6_8equal_toIvEEEENSI_INSH_8argumentILj0EEEEENSH_5valueIdEEEEEEEEENSD_19counting_iterator_tIlEES8_S8_S8_S8_S8_S8_S8_S8_EEEEPS9_S9_NSD_9__find_if7functorIS9_EEEE10hipError_tPvRmT1_T2_T3_mT4_P12ihipStream_tbEUlT_E0_NS1_11comp_targetILNS1_3genE3ELNS1_11target_archE908ELNS1_3gpuE7ELNS1_3repE0EEENS1_30default_config_static_selectorELNS0_4arch9wavefront6targetE1EEEvS17_.uses_vcc, 0
	.set _ZN7rocprim17ROCPRIM_400000_NS6detail17trampoline_kernelINS0_14default_configENS1_22reduce_config_selectorIN6thrust23THRUST_200600_302600_NS5tupleIblNS6_9null_typeES8_S8_S8_S8_S8_S8_S8_EEEEZNS1_11reduce_implILb1ES3_NS6_12zip_iteratorINS7_INS6_11hip_rocprim26transform_input_iterator_tIbPdNS6_6detail10functional5actorINSH_9compositeIJNSH_27transparent_binary_operatorINS6_8equal_toIvEEEENSI_INSH_8argumentILj0EEEEENSH_5valueIdEEEEEEEEENSD_19counting_iterator_tIlEES8_S8_S8_S8_S8_S8_S8_S8_EEEEPS9_S9_NSD_9__find_if7functorIS9_EEEE10hipError_tPvRmT1_T2_T3_mT4_P12ihipStream_tbEUlT_E0_NS1_11comp_targetILNS1_3genE3ELNS1_11target_archE908ELNS1_3gpuE7ELNS1_3repE0EEENS1_30default_config_static_selectorELNS0_4arch9wavefront6targetE1EEEvS17_.uses_flat_scratch, 0
	.set _ZN7rocprim17ROCPRIM_400000_NS6detail17trampoline_kernelINS0_14default_configENS1_22reduce_config_selectorIN6thrust23THRUST_200600_302600_NS5tupleIblNS6_9null_typeES8_S8_S8_S8_S8_S8_S8_EEEEZNS1_11reduce_implILb1ES3_NS6_12zip_iteratorINS7_INS6_11hip_rocprim26transform_input_iterator_tIbPdNS6_6detail10functional5actorINSH_9compositeIJNSH_27transparent_binary_operatorINS6_8equal_toIvEEEENSI_INSH_8argumentILj0EEEEENSH_5valueIdEEEEEEEEENSD_19counting_iterator_tIlEES8_S8_S8_S8_S8_S8_S8_S8_EEEEPS9_S9_NSD_9__find_if7functorIS9_EEEE10hipError_tPvRmT1_T2_T3_mT4_P12ihipStream_tbEUlT_E0_NS1_11comp_targetILNS1_3genE3ELNS1_11target_archE908ELNS1_3gpuE7ELNS1_3repE0EEENS1_30default_config_static_selectorELNS0_4arch9wavefront6targetE1EEEvS17_.has_dyn_sized_stack, 0
	.set _ZN7rocprim17ROCPRIM_400000_NS6detail17trampoline_kernelINS0_14default_configENS1_22reduce_config_selectorIN6thrust23THRUST_200600_302600_NS5tupleIblNS6_9null_typeES8_S8_S8_S8_S8_S8_S8_EEEEZNS1_11reduce_implILb1ES3_NS6_12zip_iteratorINS7_INS6_11hip_rocprim26transform_input_iterator_tIbPdNS6_6detail10functional5actorINSH_9compositeIJNSH_27transparent_binary_operatorINS6_8equal_toIvEEEENSI_INSH_8argumentILj0EEEEENSH_5valueIdEEEEEEEEENSD_19counting_iterator_tIlEES8_S8_S8_S8_S8_S8_S8_S8_EEEEPS9_S9_NSD_9__find_if7functorIS9_EEEE10hipError_tPvRmT1_T2_T3_mT4_P12ihipStream_tbEUlT_E0_NS1_11comp_targetILNS1_3genE3ELNS1_11target_archE908ELNS1_3gpuE7ELNS1_3repE0EEENS1_30default_config_static_selectorELNS0_4arch9wavefront6targetE1EEEvS17_.has_recursion, 0
	.set _ZN7rocprim17ROCPRIM_400000_NS6detail17trampoline_kernelINS0_14default_configENS1_22reduce_config_selectorIN6thrust23THRUST_200600_302600_NS5tupleIblNS6_9null_typeES8_S8_S8_S8_S8_S8_S8_EEEEZNS1_11reduce_implILb1ES3_NS6_12zip_iteratorINS7_INS6_11hip_rocprim26transform_input_iterator_tIbPdNS6_6detail10functional5actorINSH_9compositeIJNSH_27transparent_binary_operatorINS6_8equal_toIvEEEENSI_INSH_8argumentILj0EEEEENSH_5valueIdEEEEEEEEENSD_19counting_iterator_tIlEES8_S8_S8_S8_S8_S8_S8_S8_EEEEPS9_S9_NSD_9__find_if7functorIS9_EEEE10hipError_tPvRmT1_T2_T3_mT4_P12ihipStream_tbEUlT_E0_NS1_11comp_targetILNS1_3genE3ELNS1_11target_archE908ELNS1_3gpuE7ELNS1_3repE0EEENS1_30default_config_static_selectorELNS0_4arch9wavefront6targetE1EEEvS17_.has_indirect_call, 0
	.section	.AMDGPU.csdata,"",@progbits
; Kernel info:
; codeLenInByte = 0
; TotalNumSgprs: 4
; NumVgprs: 0
; ScratchSize: 0
; MemoryBound: 0
; FloatMode: 240
; IeeeMode: 1
; LDSByteSize: 0 bytes/workgroup (compile time only)
; SGPRBlocks: 0
; VGPRBlocks: 0
; NumSGPRsForWavesPerEU: 4
; NumVGPRsForWavesPerEU: 1
; Occupancy: 10
; WaveLimiterHint : 0
; COMPUTE_PGM_RSRC2:SCRATCH_EN: 0
; COMPUTE_PGM_RSRC2:USER_SGPR: 6
; COMPUTE_PGM_RSRC2:TRAP_HANDLER: 0
; COMPUTE_PGM_RSRC2:TGID_X_EN: 1
; COMPUTE_PGM_RSRC2:TGID_Y_EN: 0
; COMPUTE_PGM_RSRC2:TGID_Z_EN: 0
; COMPUTE_PGM_RSRC2:TIDIG_COMP_CNT: 0
	.section	.text._ZN7rocprim17ROCPRIM_400000_NS6detail17trampoline_kernelINS0_14default_configENS1_22reduce_config_selectorIN6thrust23THRUST_200600_302600_NS5tupleIblNS6_9null_typeES8_S8_S8_S8_S8_S8_S8_EEEEZNS1_11reduce_implILb1ES3_NS6_12zip_iteratorINS7_INS6_11hip_rocprim26transform_input_iterator_tIbPdNS6_6detail10functional5actorINSH_9compositeIJNSH_27transparent_binary_operatorINS6_8equal_toIvEEEENSI_INSH_8argumentILj0EEEEENSH_5valueIdEEEEEEEEENSD_19counting_iterator_tIlEES8_S8_S8_S8_S8_S8_S8_S8_EEEEPS9_S9_NSD_9__find_if7functorIS9_EEEE10hipError_tPvRmT1_T2_T3_mT4_P12ihipStream_tbEUlT_E0_NS1_11comp_targetILNS1_3genE2ELNS1_11target_archE906ELNS1_3gpuE6ELNS1_3repE0EEENS1_30default_config_static_selectorELNS0_4arch9wavefront6targetE1EEEvS17_,"axG",@progbits,_ZN7rocprim17ROCPRIM_400000_NS6detail17trampoline_kernelINS0_14default_configENS1_22reduce_config_selectorIN6thrust23THRUST_200600_302600_NS5tupleIblNS6_9null_typeES8_S8_S8_S8_S8_S8_S8_EEEEZNS1_11reduce_implILb1ES3_NS6_12zip_iteratorINS7_INS6_11hip_rocprim26transform_input_iterator_tIbPdNS6_6detail10functional5actorINSH_9compositeIJNSH_27transparent_binary_operatorINS6_8equal_toIvEEEENSI_INSH_8argumentILj0EEEEENSH_5valueIdEEEEEEEEENSD_19counting_iterator_tIlEES8_S8_S8_S8_S8_S8_S8_S8_EEEEPS9_S9_NSD_9__find_if7functorIS9_EEEE10hipError_tPvRmT1_T2_T3_mT4_P12ihipStream_tbEUlT_E0_NS1_11comp_targetILNS1_3genE2ELNS1_11target_archE906ELNS1_3gpuE6ELNS1_3repE0EEENS1_30default_config_static_selectorELNS0_4arch9wavefront6targetE1EEEvS17_,comdat
	.protected	_ZN7rocprim17ROCPRIM_400000_NS6detail17trampoline_kernelINS0_14default_configENS1_22reduce_config_selectorIN6thrust23THRUST_200600_302600_NS5tupleIblNS6_9null_typeES8_S8_S8_S8_S8_S8_S8_EEEEZNS1_11reduce_implILb1ES3_NS6_12zip_iteratorINS7_INS6_11hip_rocprim26transform_input_iterator_tIbPdNS6_6detail10functional5actorINSH_9compositeIJNSH_27transparent_binary_operatorINS6_8equal_toIvEEEENSI_INSH_8argumentILj0EEEEENSH_5valueIdEEEEEEEEENSD_19counting_iterator_tIlEES8_S8_S8_S8_S8_S8_S8_S8_EEEEPS9_S9_NSD_9__find_if7functorIS9_EEEE10hipError_tPvRmT1_T2_T3_mT4_P12ihipStream_tbEUlT_E0_NS1_11comp_targetILNS1_3genE2ELNS1_11target_archE906ELNS1_3gpuE6ELNS1_3repE0EEENS1_30default_config_static_selectorELNS0_4arch9wavefront6targetE1EEEvS17_ ; -- Begin function _ZN7rocprim17ROCPRIM_400000_NS6detail17trampoline_kernelINS0_14default_configENS1_22reduce_config_selectorIN6thrust23THRUST_200600_302600_NS5tupleIblNS6_9null_typeES8_S8_S8_S8_S8_S8_S8_EEEEZNS1_11reduce_implILb1ES3_NS6_12zip_iteratorINS7_INS6_11hip_rocprim26transform_input_iterator_tIbPdNS6_6detail10functional5actorINSH_9compositeIJNSH_27transparent_binary_operatorINS6_8equal_toIvEEEENSI_INSH_8argumentILj0EEEEENSH_5valueIdEEEEEEEEENSD_19counting_iterator_tIlEES8_S8_S8_S8_S8_S8_S8_S8_EEEEPS9_S9_NSD_9__find_if7functorIS9_EEEE10hipError_tPvRmT1_T2_T3_mT4_P12ihipStream_tbEUlT_E0_NS1_11comp_targetILNS1_3genE2ELNS1_11target_archE906ELNS1_3gpuE6ELNS1_3repE0EEENS1_30default_config_static_selectorELNS0_4arch9wavefront6targetE1EEEvS17_
	.globl	_ZN7rocprim17ROCPRIM_400000_NS6detail17trampoline_kernelINS0_14default_configENS1_22reduce_config_selectorIN6thrust23THRUST_200600_302600_NS5tupleIblNS6_9null_typeES8_S8_S8_S8_S8_S8_S8_EEEEZNS1_11reduce_implILb1ES3_NS6_12zip_iteratorINS7_INS6_11hip_rocprim26transform_input_iterator_tIbPdNS6_6detail10functional5actorINSH_9compositeIJNSH_27transparent_binary_operatorINS6_8equal_toIvEEEENSI_INSH_8argumentILj0EEEEENSH_5valueIdEEEEEEEEENSD_19counting_iterator_tIlEES8_S8_S8_S8_S8_S8_S8_S8_EEEEPS9_S9_NSD_9__find_if7functorIS9_EEEE10hipError_tPvRmT1_T2_T3_mT4_P12ihipStream_tbEUlT_E0_NS1_11comp_targetILNS1_3genE2ELNS1_11target_archE906ELNS1_3gpuE6ELNS1_3repE0EEENS1_30default_config_static_selectorELNS0_4arch9wavefront6targetE1EEEvS17_
	.p2align	8
	.type	_ZN7rocprim17ROCPRIM_400000_NS6detail17trampoline_kernelINS0_14default_configENS1_22reduce_config_selectorIN6thrust23THRUST_200600_302600_NS5tupleIblNS6_9null_typeES8_S8_S8_S8_S8_S8_S8_EEEEZNS1_11reduce_implILb1ES3_NS6_12zip_iteratorINS7_INS6_11hip_rocprim26transform_input_iterator_tIbPdNS6_6detail10functional5actorINSH_9compositeIJNSH_27transparent_binary_operatorINS6_8equal_toIvEEEENSI_INSH_8argumentILj0EEEEENSH_5valueIdEEEEEEEEENSD_19counting_iterator_tIlEES8_S8_S8_S8_S8_S8_S8_S8_EEEEPS9_S9_NSD_9__find_if7functorIS9_EEEE10hipError_tPvRmT1_T2_T3_mT4_P12ihipStream_tbEUlT_E0_NS1_11comp_targetILNS1_3genE2ELNS1_11target_archE906ELNS1_3gpuE6ELNS1_3repE0EEENS1_30default_config_static_selectorELNS0_4arch9wavefront6targetE1EEEvS17_,@function
_ZN7rocprim17ROCPRIM_400000_NS6detail17trampoline_kernelINS0_14default_configENS1_22reduce_config_selectorIN6thrust23THRUST_200600_302600_NS5tupleIblNS6_9null_typeES8_S8_S8_S8_S8_S8_S8_EEEEZNS1_11reduce_implILb1ES3_NS6_12zip_iteratorINS7_INS6_11hip_rocprim26transform_input_iterator_tIbPdNS6_6detail10functional5actorINSH_9compositeIJNSH_27transparent_binary_operatorINS6_8equal_toIvEEEENSI_INSH_8argumentILj0EEEEENSH_5valueIdEEEEEEEEENSD_19counting_iterator_tIlEES8_S8_S8_S8_S8_S8_S8_S8_EEEEPS9_S9_NSD_9__find_if7functorIS9_EEEE10hipError_tPvRmT1_T2_T3_mT4_P12ihipStream_tbEUlT_E0_NS1_11comp_targetILNS1_3genE2ELNS1_11target_archE906ELNS1_3gpuE6ELNS1_3repE0EEENS1_30default_config_static_selectorELNS0_4arch9wavefront6targetE1EEEvS17_: ; @_ZN7rocprim17ROCPRIM_400000_NS6detail17trampoline_kernelINS0_14default_configENS1_22reduce_config_selectorIN6thrust23THRUST_200600_302600_NS5tupleIblNS6_9null_typeES8_S8_S8_S8_S8_S8_S8_EEEEZNS1_11reduce_implILb1ES3_NS6_12zip_iteratorINS7_INS6_11hip_rocprim26transform_input_iterator_tIbPdNS6_6detail10functional5actorINSH_9compositeIJNSH_27transparent_binary_operatorINS6_8equal_toIvEEEENSI_INSH_8argumentILj0EEEEENSH_5valueIdEEEEEEEEENSD_19counting_iterator_tIlEES8_S8_S8_S8_S8_S8_S8_S8_EEEEPS9_S9_NSD_9__find_if7functorIS9_EEEE10hipError_tPvRmT1_T2_T3_mT4_P12ihipStream_tbEUlT_E0_NS1_11comp_targetILNS1_3genE2ELNS1_11target_archE906ELNS1_3gpuE6ELNS1_3repE0EEENS1_30default_config_static_selectorELNS0_4arch9wavefront6targetE1EEEvS17_
; %bb.0:
	s_load_dwordx8 s[16:23], s[4:5], 0x10
	s_load_dwordx2 s[0:1], s[4:5], 0x0
	s_load_dwordx2 s[14:15], s[4:5], 0x40
	s_load_dwordx4 s[24:27], s[4:5], 0x30
	s_mov_b32 s31, 0
	s_waitcnt lgkmcnt(0)
	s_lshl_b64 s[2:3], s[20:21], 3
	s_add_u32 s8, s0, s2
	s_addc_u32 s9, s1, s3
	s_lshl_b32 s30, s6, 8
	s_lshr_b64 s[0:1], s[22:23], 8
	s_lshl_b64 s[2:3], s[30:31], 3
	s_add_u32 s28, s8, s2
	s_addc_u32 s29, s9, s3
	s_add_u32 s2, s18, s30
	s_addc_u32 s3, s19, 0
	s_add_u32 s18, s2, s20
	s_mov_b32 s7, s31
	s_addc_u32 s19, s3, s21
	s_cmp_lg_u64 s[0:1], s[6:7]
	v_lshlrev_b32_e32 v9, 3, v0
	v_mbcnt_lo_u32_b32 v8, -1, 0
	s_cbranch_scc0 .LBB1728_10
; %bb.1:
	global_load_dwordx2 v[1:2], v9, s[28:29]
	global_load_dwordx2 v[3:4], v9, s[28:29] offset:1024
	v_mov_b32_e32 v5, s19
	v_add_co_u32_e32 v6, vcc, s18, v0
	v_addc_co_u32_e32 v7, vcc, 0, v5, vcc
	v_add_co_u32_e32 v10, vcc, 0x80, v6
	v_addc_co_u32_e32 v11, vcc, 0, v7, vcc
	s_waitcnt vmcnt(1)
	v_cmp_eq_f64_e32 vcc, s[16:17], v[1:2]
	s_waitcnt vmcnt(0)
	v_cmp_eq_f64_e64 s[0:1], s[16:17], v[3:4]
	v_mbcnt_hi_u32_b32 v3, -1, v8
	v_lshlrev_b32_e32 v5, 2, v3
	v_or_b32_e32 v4, 0xfc, v5
	v_cndmask_b32_e32 v2, v11, v7, vcc
	v_cndmask_b32_e32 v1, v10, v6, vcc
	s_nop 0
	v_mov_b32_dpp v7, v2 quad_perm:[1,0,3,2] row_mask:0xf bank_mask:0xf bound_ctrl:1
	s_or_b64 s[0:1], vcc, s[0:1]
	v_mov_b32_dpp v6, v1 quad_perm:[1,0,3,2] row_mask:0xf bank_mask:0xf bound_ctrl:1
	v_cndmask_b32_e64 v10, 0, 1, s[0:1]
	v_cmp_lt_i64_e32 vcc, v[1:2], v[6:7]
	s_and_b64 vcc, s[0:1], vcc
	v_mov_b32_dpp v11, v10 quad_perm:[1,0,3,2] row_mask:0xf bank_mask:0xf bound_ctrl:1
	v_and_b32_e32 v11, 1, v11
	v_cndmask_b32_e32 v6, v6, v1, vcc
	v_cndmask_b32_e32 v7, v7, v2, vcc
	v_cmp_eq_u32_e32 vcc, 1, v11
	v_cndmask_b32_e32 v2, v2, v7, vcc
	v_cndmask_b32_e32 v1, v1, v6, vcc
	v_cndmask_b32_e64 v10, v10, 1, vcc
	v_mov_b32_dpp v7, v2 quad_perm:[2,3,0,1] row_mask:0xf bank_mask:0xf bound_ctrl:1
	v_mov_b32_dpp v6, v1 quad_perm:[2,3,0,1] row_mask:0xf bank_mask:0xf bound_ctrl:1
	v_and_b32_e32 v12, 1, v10
	v_cmp_lt_i64_e64 s[0:1], v[1:2], v[6:7]
	v_mov_b32_dpp v11, v10 quad_perm:[2,3,0,1] row_mask:0xf bank_mask:0xf bound_ctrl:1
	v_cmp_eq_u32_e32 vcc, 1, v12
	v_and_b32_e32 v11, 1, v11
	s_and_b64 vcc, vcc, s[0:1]
	v_cmp_eq_u32_e64 s[2:3], 1, v11
	v_cndmask_b32_e32 v6, v6, v1, vcc
	v_cndmask_b32_e32 v7, v7, v2, vcc
	v_cndmask_b32_e64 v1, v1, v6, s[2:3]
	v_cndmask_b32_e64 v2, v2, v7, s[2:3]
	v_cndmask_b32_e64 v10, v10, 1, s[2:3]
	v_mov_b32_dpp v6, v1 row_ror:4 row_mask:0xf bank_mask:0xf bound_ctrl:1
	v_mov_b32_dpp v7, v2 row_ror:4 row_mask:0xf bank_mask:0xf bound_ctrl:1
	v_and_b32_e32 v12, 1, v10
	v_cmp_lt_i64_e64 s[2:3], v[1:2], v[6:7]
	v_mov_b32_dpp v11, v10 row_ror:4 row_mask:0xf bank_mask:0xf bound_ctrl:1
	v_cmp_eq_u32_e32 vcc, 1, v12
	v_and_b32_e32 v11, 1, v11
	s_and_b64 vcc, vcc, s[2:3]
	v_cmp_eq_u32_e64 s[0:1], 1, v11
	v_cndmask_b32_e32 v6, v6, v1, vcc
	v_cndmask_b32_e32 v7, v7, v2, vcc
	v_cndmask_b32_e64 v1, v1, v6, s[0:1]
	v_cndmask_b32_e64 v2, v2, v7, s[0:1]
	;; [unrolled: 1-line block ×3, first 2 shown]
	v_mov_b32_dpp v6, v1 row_ror:8 row_mask:0xf bank_mask:0xf bound_ctrl:1
	v_mov_b32_dpp v7, v2 row_ror:8 row_mask:0xf bank_mask:0xf bound_ctrl:1
	;; [unrolled: 1-line block ×3, first 2 shown]
	v_and_b32_e32 v12, 1, v10
	v_cmp_lt_i64_e64 s[2:3], v[1:2], v[6:7]
	v_and_b32_e32 v11, 1, v11
	v_cmp_eq_u32_e64 s[8:9], 1, v12
	v_cmp_eq_u32_e64 s[10:11], 1, v11
	s_and_b64 s[2:3], s[8:9], s[2:3]
	v_cndmask_b32_e64 v10, v10, 1, s[10:11]
	v_cndmask_b32_e64 v6, v6, v1, s[2:3]
	;; [unrolled: 1-line block ×3, first 2 shown]
	v_mov_b32_dpp v11, v10 row_bcast:15 row_mask:0xf bank_mask:0xf bound_ctrl:1
	v_cndmask_b32_e64 v1, v1, v6, s[10:11]
	v_cndmask_b32_e64 v2, v2, v7, s[10:11]
	v_and_b32_e32 v11, 1, v11
	v_mov_b32_dpp v6, v1 row_bcast:15 row_mask:0xf bank_mask:0xf bound_ctrl:1
	v_mov_b32_dpp v7, v2 row_bcast:15 row_mask:0xf bank_mask:0xf bound_ctrl:1
	v_and_b32_e32 v12, 1, v10
	v_cmp_eq_u32_e64 s[0:1], 1, v11
	v_cmp_lt_i64_e64 s[2:3], v[1:2], v[6:7]
	v_cmp_eq_u32_e32 vcc, 1, v12
	v_cndmask_b32_e64 v10, v10, 1, s[0:1]
	s_and_b64 vcc, vcc, s[2:3]
	v_cndmask_b32_e32 v6, v6, v1, vcc
	v_mov_b32_dpp v11, v10 row_bcast:31 row_mask:0xf bank_mask:0xf bound_ctrl:1
	v_and_b32_e32 v11, 1, v11
	v_cndmask_b32_e32 v7, v7, v2, vcc
	v_and_b32_e32 v12, 1, v10
	v_cmp_eq_u32_e64 s[8:9], 1, v11
	v_cndmask_b32_e64 v1, v1, v6, s[0:1]
	v_cndmask_b32_e64 v2, v2, v7, s[0:1]
	v_cmp_eq_u32_e64 s[12:13], 1, v12
	v_cndmask_b32_e64 v12, v10, 1, s[8:9]
	v_mov_b32_dpp v10, v1 row_bcast:31 row_mask:0xf bank_mask:0xf bound_ctrl:1
	v_mov_b32_dpp v11, v2 row_bcast:31 row_mask:0xf bank_mask:0xf bound_ctrl:1
	v_cmp_lt_i64_e32 vcc, v[1:2], v[10:11]
	ds_bpermute_b32 v7, v4, v12
	s_and_b64 vcc, s[12:13], vcc
	v_cndmask_b32_e32 v6, v10, v1, vcc
	v_cndmask_b32_e32 v10, v11, v2, vcc
	v_cndmask_b32_e64 v1, v1, v6, s[8:9]
	v_cndmask_b32_e64 v2, v2, v10, s[8:9]
	ds_bpermute_b32 v1, v4, v1
	ds_bpermute_b32 v2, v4, v2
	v_cmp_eq_u32_e32 vcc, 0, v3
	s_and_saveexec_b64 s[0:1], vcc
	s_cbranch_execz .LBB1728_3
; %bb.2:
	v_lshrrev_b32_e32 v4, 2, v0
	v_and_b32_e32 v4, 16, v4
	s_waitcnt lgkmcnt(2)
	ds_write_b8 v4, v7
	s_waitcnt lgkmcnt(1)
	ds_write_b64 v4, v[1:2] offset:8
.LBB1728_3:
	s_or_b64 exec, exec, s[0:1]
	v_cmp_gt_u32_e32 vcc, 64, v0
	s_waitcnt lgkmcnt(0)
	s_barrier
	s_and_saveexec_b64 s[0:1], vcc
	s_cbranch_execz .LBB1728_9
; %bb.4:
	v_and_b32_e32 v1, 1, v3
	v_lshlrev_b32_e32 v1, 4, v1
	ds_read_u8 v10, v1
	ds_read_b64 v[3:4], v1 offset:8
	v_or_b32_e32 v2, 4, v5
	s_waitcnt lgkmcnt(1)
	v_and_b32_e32 v1, 0xff, v10
	ds_bpermute_b32 v11, v2, v1
	s_waitcnt lgkmcnt(1)
	ds_bpermute_b32 v5, v2, v3
	ds_bpermute_b32 v6, v2, v4
	s_waitcnt lgkmcnt(2)
	v_and_b32_e32 v1, v10, v11
	v_and_b32_e32 v1, 1, v1
	v_cmp_eq_u32_e32 vcc, 1, v1
                                        ; implicit-def: $vgpr1_vgpr2
	s_and_saveexec_b64 s[2:3], vcc
	s_xor_b64 s[2:3], exec, s[2:3]
	s_cbranch_execz .LBB1728_6
; %bb.5:
	s_waitcnt lgkmcnt(0)
	v_cmp_lt_i64_e32 vcc, v[5:6], v[3:4]
                                        ; implicit-def: $vgpr10
                                        ; implicit-def: $vgpr11
	v_cndmask_b32_e32 v2, v4, v6, vcc
	v_cndmask_b32_e32 v1, v3, v5, vcc
                                        ; implicit-def: $vgpr5_vgpr6
                                        ; implicit-def: $vgpr3_vgpr4
.LBB1728_6:
	s_or_saveexec_b64 s[2:3], s[2:3]
	v_mov_b32_e32 v7, 1
	s_xor_b64 exec, exec, s[2:3]
	s_cbranch_execz .LBB1728_8
; %bb.7:
	v_and_b32_e32 v1, 1, v10
	v_cmp_eq_u32_e32 vcc, 1, v1
	s_waitcnt lgkmcnt(0)
	v_cndmask_b32_e32 v2, v6, v4, vcc
	v_cndmask_b32_e32 v1, v5, v3, vcc
	v_cndmask_b32_e64 v7, v11, 1, vcc
.LBB1728_8:
	s_or_b64 exec, exec, s[2:3]
.LBB1728_9:
	s_or_b64 exec, exec, s[0:1]
	s_load_dword s10, s[4:5], 0x48
	s_load_dwordx2 s[8:9], s[4:5], 0x50
	s_branch .LBB1728_62
.LBB1728_10:
                                        ; implicit-def: $vgpr1_vgpr2
                                        ; implicit-def: $vgpr7
	s_load_dword s10, s[4:5], 0x48
	s_load_dwordx2 s[8:9], s[4:5], 0x50
	s_cbranch_execz .LBB1728_62
; %bb.11:
	s_sub_i32 s11, s22, s30
	v_mov_b32_e32 v3, 0
	v_mov_b32_e32 v1, 0
	v_cmp_gt_u32_e32 vcc, s11, v0
	s_waitcnt lgkmcnt(0)
	v_mov_b32_e32 v5, 0
	v_mov_b32_e32 v4, 0
	;; [unrolled: 1-line block ×4, first 2 shown]
	s_and_saveexec_b64 s[0:1], vcc
	s_cbranch_execz .LBB1728_13
; %bb.12:
	global_load_dwordx2 v[6:7], v9, s[28:29]
	v_mov_b32_e32 v2, s19
	v_add_co_u32_e32 v1, vcc, s18, v0
	v_addc_co_u32_e32 v2, vcc, 0, v2, vcc
	s_waitcnt vmcnt(0)
	v_cmp_eq_f64_e32 vcc, s[16:17], v[6:7]
	v_cndmask_b32_e64 v6, 0, 1, vcc
.LBB1728_13:
	s_or_b64 exec, exec, s[0:1]
	v_or_b32_e32 v7, 0x80, v0
	v_cmp_gt_u32_e32 vcc, s11, v7
	s_and_saveexec_b64 s[2:3], vcc
	s_cbranch_execz .LBB1728_15
; %bb.14:
	global_load_dwordx2 v[9:10], v9, s[28:29] offset:1024
	v_mov_b32_e32 v4, s19
	v_add_co_u32_e64 v3, s[0:1], s18, v7
	v_addc_co_u32_e64 v4, s[0:1], 0, v4, s[0:1]
	s_waitcnt vmcnt(0)
	v_cmp_eq_f64_e64 s[0:1], s[16:17], v[9:10]
	v_cndmask_b32_e64 v5, 0, 1, s[0:1]
.LBB1728_15:
	s_or_b64 exec, exec, s[2:3]
	v_and_b32_e32 v9, 0xffff, v5
	v_and_b32_e32 v5, 1, v5
	v_cmp_eq_u32_e64 s[0:1], 1, v5
	v_and_b32_e32 v5, 1, v6
	v_cmp_lt_i64_e64 s[2:3], v[3:4], v[1:2]
	v_cmp_eq_u32_e64 s[4:5], 1, v5
	v_and_b32_e32 v7, 0xffff, v6
	v_cndmask_b32_e64 v5, v9, 1, s[4:5]
	s_and_b64 s[0:1], s[0:1], s[2:3]
	v_cndmask_b32_e64 v6, v2, v4, s[0:1]
	v_cndmask_b32_e64 v9, v1, v3, s[0:1]
	v_cndmask_b32_e32 v7, v7, v5, vcc
	v_mbcnt_hi_u32_b32 v5, -1, v8
	v_cndmask_b32_e64 v3, v3, v9, s[4:5]
	v_cndmask_b32_e64 v4, v4, v6, s[4:5]
	v_and_b32_e32 v6, 63, v5
	v_cndmask_b32_e32 v2, v2, v4, vcc
	v_cndmask_b32_e32 v1, v1, v3, vcc
	v_cmp_ne_u32_e32 vcc, 63, v6
	v_addc_co_u32_e32 v3, vcc, 0, v5, vcc
	v_lshlrev_b32_e32 v4, 2, v3
	ds_bpermute_b32 v9, v4, v7
	ds_bpermute_b32 v3, v4, v1
	;; [unrolled: 1-line block ×3, first 2 shown]
	s_min_u32 s4, s11, 0x80
	v_and_b32_e32 v8, 64, v0
	v_sub_u32_e64 v8, s4, v8 clamp
	v_add_u32_e32 v10, 1, v6
	v_cmp_lt_u32_e32 vcc, v10, v8
	s_and_saveexec_b64 s[0:1], vcc
	s_cbranch_execz .LBB1728_21
; %bb.16:
	s_waitcnt lgkmcnt(2)
	v_and_b32_e32 v10, v9, v7
	v_cmp_ne_u32_e32 vcc, 0, v10
	s_and_saveexec_b64 s[2:3], vcc
	s_xor_b64 s[2:3], exec, s[2:3]
	s_cbranch_execz .LBB1728_18
; %bb.17:
	s_waitcnt lgkmcnt(0)
	v_cmp_lt_i64_e32 vcc, v[3:4], v[1:2]
                                        ; implicit-def: $vgpr7
                                        ; implicit-def: $vgpr9
	v_cndmask_b32_e32 v2, v2, v4, vcc
	v_cndmask_b32_e32 v1, v1, v3, vcc
                                        ; implicit-def: $vgpr3_vgpr4
.LBB1728_18:
	s_or_saveexec_b64 s[2:3], s[2:3]
	v_mov_b32_e32 v10, 1
	s_xor_b64 exec, exec, s[2:3]
	s_cbranch_execz .LBB1728_20
; %bb.19:
	v_and_b32_e32 v7, 1, v7
	v_cmp_eq_u32_e32 vcc, 1, v7
	s_waitcnt lgkmcnt(1)
	v_cndmask_b32_e32 v1, v3, v1, vcc
	v_and_b32_e32 v3, 0xff, v9
	s_waitcnt lgkmcnt(0)
	v_cndmask_b32_e32 v2, v4, v2, vcc
	v_cndmask_b32_e64 v10, v3, 1, vcc
.LBB1728_20:
	s_or_b64 exec, exec, s[2:3]
	v_mov_b32_e32 v7, v10
.LBB1728_21:
	s_or_b64 exec, exec, s[0:1]
	v_cmp_gt_u32_e32 vcc, 62, v6
	s_waitcnt lgkmcnt(1)
	v_cndmask_b32_e64 v3, 0, 2, vcc
	s_waitcnt lgkmcnt(0)
	v_add_lshl_u32 v4, v3, v5, 2
	ds_bpermute_b32 v9, v4, v7
	ds_bpermute_b32 v3, v4, v1
	ds_bpermute_b32 v4, v4, v2
	v_add_u32_e32 v10, 2, v6
	v_cmp_lt_u32_e32 vcc, v10, v8
	s_and_saveexec_b64 s[0:1], vcc
	s_cbranch_execz .LBB1728_27
; %bb.22:
	s_waitcnt lgkmcnt(2)
	v_and_b32_e32 v10, v7, v9
	v_and_b32_e32 v10, 1, v10
	v_cmp_eq_u32_e32 vcc, 1, v10
	s_and_saveexec_b64 s[2:3], vcc
	s_xor_b64 s[2:3], exec, s[2:3]
	s_cbranch_execz .LBB1728_24
; %bb.23:
	s_waitcnt lgkmcnt(0)
	v_cmp_lt_i64_e32 vcc, v[3:4], v[1:2]
                                        ; implicit-def: $vgpr7
                                        ; implicit-def: $vgpr9
	v_cndmask_b32_e32 v2, v2, v4, vcc
	v_cndmask_b32_e32 v1, v1, v3, vcc
                                        ; implicit-def: $vgpr3_vgpr4
.LBB1728_24:
	s_or_saveexec_b64 s[2:3], s[2:3]
	v_mov_b32_e32 v10, 1
	s_xor_b64 exec, exec, s[2:3]
	s_cbranch_execz .LBB1728_26
; %bb.25:
	v_and_b32_e32 v7, 1, v7
	v_cmp_eq_u32_e32 vcc, 1, v7
	s_waitcnt lgkmcnt(1)
	v_cndmask_b32_e32 v1, v3, v1, vcc
	v_and_b32_e32 v3, 0xff, v9
	s_waitcnt lgkmcnt(0)
	v_cndmask_b32_e32 v2, v4, v2, vcc
	v_cndmask_b32_e64 v10, v3, 1, vcc
.LBB1728_26:
	s_or_b64 exec, exec, s[2:3]
	v_mov_b32_e32 v7, v10
.LBB1728_27:
	s_or_b64 exec, exec, s[0:1]
	v_cmp_gt_u32_e32 vcc, 60, v6
	s_waitcnt lgkmcnt(1)
	v_cndmask_b32_e64 v3, 0, 4, vcc
	s_waitcnt lgkmcnt(0)
	v_add_lshl_u32 v4, v3, v5, 2
	ds_bpermute_b32 v9, v4, v7
	ds_bpermute_b32 v3, v4, v1
	ds_bpermute_b32 v4, v4, v2
	v_add_u32_e32 v10, 4, v6
	v_cmp_lt_u32_e32 vcc, v10, v8
	s_and_saveexec_b64 s[0:1], vcc
	s_cbranch_execz .LBB1728_33
; %bb.28:
	s_waitcnt lgkmcnt(2)
	v_and_b32_e32 v10, v7, v9
	v_and_b32_e32 v10, 1, v10
	v_cmp_eq_u32_e32 vcc, 1, v10
	s_and_saveexec_b64 s[2:3], vcc
	s_xor_b64 s[2:3], exec, s[2:3]
	s_cbranch_execz .LBB1728_30
; %bb.29:
	s_waitcnt lgkmcnt(0)
	v_cmp_lt_i64_e32 vcc, v[3:4], v[1:2]
                                        ; implicit-def: $vgpr7
                                        ; implicit-def: $vgpr9
	v_cndmask_b32_e32 v2, v2, v4, vcc
	v_cndmask_b32_e32 v1, v1, v3, vcc
                                        ; implicit-def: $vgpr3_vgpr4
.LBB1728_30:
	s_or_saveexec_b64 s[2:3], s[2:3]
	v_mov_b32_e32 v10, 1
	s_xor_b64 exec, exec, s[2:3]
	s_cbranch_execz .LBB1728_32
; %bb.31:
	v_and_b32_e32 v7, 1, v7
	v_cmp_eq_u32_e32 vcc, 1, v7
	s_waitcnt lgkmcnt(1)
	v_cndmask_b32_e32 v1, v3, v1, vcc
	v_and_b32_e32 v3, 0xff, v9
	s_waitcnt lgkmcnt(0)
	v_cndmask_b32_e32 v2, v4, v2, vcc
	v_cndmask_b32_e64 v10, v3, 1, vcc
.LBB1728_32:
	s_or_b64 exec, exec, s[2:3]
	v_mov_b32_e32 v7, v10
.LBB1728_33:
	;; [unrolled: 47-line block ×4, first 2 shown]
	s_or_b64 exec, exec, s[0:1]
	s_waitcnt lgkmcnt(2)
	v_lshlrev_b32_e32 v9, 2, v5
	s_waitcnt lgkmcnt(0)
	v_or_b32_e32 v4, 0x80, v9
	ds_bpermute_b32 v10, v4, v7
	ds_bpermute_b32 v3, v4, v1
	ds_bpermute_b32 v4, v4, v2
	v_add_u32_e32 v6, 32, v6
	v_cmp_lt_u32_e32 vcc, v6, v8
	v_mov_b32_e32 v6, v7
	s_and_saveexec_b64 s[0:1], vcc
	s_cbranch_execz .LBB1728_51
; %bb.46:
	s_waitcnt lgkmcnt(2)
	v_and_b32_e32 v6, v7, v10
	v_and_b32_e32 v6, 1, v6
	v_cmp_eq_u32_e32 vcc, 1, v6
	s_and_saveexec_b64 s[2:3], vcc
	s_xor_b64 s[2:3], exec, s[2:3]
	s_cbranch_execz .LBB1728_48
; %bb.47:
	s_waitcnt lgkmcnt(0)
	v_cmp_lt_i64_e32 vcc, v[3:4], v[1:2]
                                        ; implicit-def: $vgpr7
                                        ; implicit-def: $vgpr10
	v_cndmask_b32_e32 v2, v2, v4, vcc
	v_cndmask_b32_e32 v1, v1, v3, vcc
                                        ; implicit-def: $vgpr3_vgpr4
.LBB1728_48:
	s_or_saveexec_b64 s[2:3], s[2:3]
	v_mov_b32_e32 v6, 1
	s_xor_b64 exec, exec, s[2:3]
	s_cbranch_execz .LBB1728_50
; %bb.49:
	v_and_b32_e32 v6, 1, v7
	v_cmp_eq_u32_e32 vcc, 1, v6
	v_cndmask_b32_e64 v6, v10, 1, vcc
	s_waitcnt lgkmcnt(0)
	v_cndmask_b32_e32 v2, v4, v2, vcc
	v_cndmask_b32_e32 v1, v3, v1, vcc
.LBB1728_50:
	s_or_b64 exec, exec, s[2:3]
	v_and_b32_e32 v7, 0xff, v6
.LBB1728_51:
	s_or_b64 exec, exec, s[0:1]
	v_cmp_eq_u32_e32 vcc, 0, v5
	s_and_saveexec_b64 s[0:1], vcc
	s_cbranch_execz .LBB1728_53
; %bb.52:
	s_waitcnt lgkmcnt(1)
	v_lshrrev_b32_e32 v3, 2, v0
	v_and_b32_e32 v3, 16, v3
	ds_write_b8 v3, v6 offset:32
	ds_write_b64 v3, v[1:2] offset:40
.LBB1728_53:
	s_or_b64 exec, exec, s[0:1]
	v_cmp_gt_u32_e32 vcc, 2, v0
	s_waitcnt lgkmcnt(0)
	s_barrier
	s_and_saveexec_b64 s[0:1], vcc
	s_cbranch_execz .LBB1728_61
; %bb.54:
	v_lshlrev_b32_e32 v1, 4, v5
	ds_read_u8 v6, v1 offset:32
	ds_read_b64 v[1:2], v1 offset:40
	v_or_b32_e32 v4, 4, v9
	s_add_i32 s4, s4, 63
	v_and_b32_e32 v5, 1, v5
	s_waitcnt lgkmcnt(1)
	v_and_b32_e32 v7, 0xff, v6
	s_waitcnt lgkmcnt(0)
	ds_bpermute_b32 v3, v4, v1
	ds_bpermute_b32 v8, v4, v7
	;; [unrolled: 1-line block ×3, first 2 shown]
	s_lshr_b32 s2, s4, 6
	v_add_u32_e32 v5, 1, v5
	v_cmp_gt_u32_e32 vcc, s2, v5
	s_and_saveexec_b64 s[2:3], vcc
	s_cbranch_execz .LBB1728_60
; %bb.55:
	s_waitcnt lgkmcnt(1)
	v_and_b32_e32 v5, v7, v8
	v_and_b32_e32 v5, 1, v5
	v_cmp_eq_u32_e32 vcc, 1, v5
	s_and_saveexec_b64 s[4:5], vcc
	s_xor_b64 s[4:5], exec, s[4:5]
	s_cbranch_execz .LBB1728_57
; %bb.56:
	s_waitcnt lgkmcnt(0)
	v_cmp_lt_i64_e32 vcc, v[3:4], v[1:2]
                                        ; implicit-def: $vgpr6
                                        ; implicit-def: $vgpr8
	v_cndmask_b32_e32 v2, v2, v4, vcc
	v_cndmask_b32_e32 v1, v1, v3, vcc
                                        ; implicit-def: $vgpr3_vgpr4
.LBB1728_57:
	s_or_saveexec_b64 s[4:5], s[4:5]
	v_mov_b32_e32 v7, 1
	s_xor_b64 exec, exec, s[4:5]
	s_cbranch_execz .LBB1728_59
; %bb.58:
	v_and_b32_e32 v5, 1, v6
	v_cmp_eq_u32_e32 vcc, 1, v5
	s_waitcnt lgkmcnt(0)
	v_cndmask_b32_e32 v2, v4, v2, vcc
	v_cndmask_b32_e32 v1, v3, v1, vcc
	v_cndmask_b32_e64 v7, v8, 1, vcc
.LBB1728_59:
	s_or_b64 exec, exec, s[4:5]
.LBB1728_60:
	s_or_b64 exec, exec, s[2:3]
.LBB1728_61:
	s_or_b64 exec, exec, s[0:1]
.LBB1728_62:
	v_cmp_eq_u32_e32 vcc, 0, v0
	s_and_saveexec_b64 s[0:1], vcc
	s_cbranch_execnz .LBB1728_64
; %bb.63:
	s_endpgm
.LBB1728_64:
	s_mul_i32 s0, s14, s27
	s_mul_hi_u32 s1, s14, s26
	s_add_i32 s0, s1, s0
	s_mul_i32 s1, s15, s26
	s_add_i32 s1, s0, s1
	s_mul_i32 s0, s14, s26
	s_lshl_b64 s[0:1], s[0:1], 4
	s_add_u32 s2, s24, s0
	s_addc_u32 s3, s25, s1
	s_cmp_eq_u64 s[22:23], 0
	s_waitcnt lgkmcnt(0)
	v_mov_b32_e32 v0, s9
	s_cselect_b64 vcc, -1, 0
	v_cndmask_b32_e32 v2, v2, v0, vcc
	v_mov_b32_e32 v0, s8
	s_lshl_b64 s[0:1], s[6:7], 4
	v_cndmask_b32_e32 v1, v1, v0, vcc
	v_mov_b32_e32 v0, s10
	s_add_u32 s0, s2, s0
	v_cndmask_b32_e32 v0, v7, v0, vcc
	s_addc_u32 s1, s3, s1
	v_mov_b32_e32 v3, 0
	global_store_byte v3, v0, s[0:1]
	global_store_dwordx2 v3, v[1:2], s[0:1] offset:8
	s_endpgm
	.section	.rodata,"a",@progbits
	.p2align	6, 0x0
	.amdhsa_kernel _ZN7rocprim17ROCPRIM_400000_NS6detail17trampoline_kernelINS0_14default_configENS1_22reduce_config_selectorIN6thrust23THRUST_200600_302600_NS5tupleIblNS6_9null_typeES8_S8_S8_S8_S8_S8_S8_EEEEZNS1_11reduce_implILb1ES3_NS6_12zip_iteratorINS7_INS6_11hip_rocprim26transform_input_iterator_tIbPdNS6_6detail10functional5actorINSH_9compositeIJNSH_27transparent_binary_operatorINS6_8equal_toIvEEEENSI_INSH_8argumentILj0EEEEENSH_5valueIdEEEEEEEEENSD_19counting_iterator_tIlEES8_S8_S8_S8_S8_S8_S8_S8_EEEEPS9_S9_NSD_9__find_if7functorIS9_EEEE10hipError_tPvRmT1_T2_T3_mT4_P12ihipStream_tbEUlT_E0_NS1_11comp_targetILNS1_3genE2ELNS1_11target_archE906ELNS1_3gpuE6ELNS1_3repE0EEENS1_30default_config_static_selectorELNS0_4arch9wavefront6targetE1EEEvS17_
		.amdhsa_group_segment_fixed_size 64
		.amdhsa_private_segment_fixed_size 0
		.amdhsa_kernarg_size 96
		.amdhsa_user_sgpr_count 6
		.amdhsa_user_sgpr_private_segment_buffer 1
		.amdhsa_user_sgpr_dispatch_ptr 0
		.amdhsa_user_sgpr_queue_ptr 0
		.amdhsa_user_sgpr_kernarg_segment_ptr 1
		.amdhsa_user_sgpr_dispatch_id 0
		.amdhsa_user_sgpr_flat_scratch_init 0
		.amdhsa_user_sgpr_private_segment_size 0
		.amdhsa_uses_dynamic_stack 0
		.amdhsa_system_sgpr_private_segment_wavefront_offset 0
		.amdhsa_system_sgpr_workgroup_id_x 1
		.amdhsa_system_sgpr_workgroup_id_y 0
		.amdhsa_system_sgpr_workgroup_id_z 0
		.amdhsa_system_sgpr_workgroup_info 0
		.amdhsa_system_vgpr_workitem_id 0
		.amdhsa_next_free_vgpr 13
		.amdhsa_next_free_sgpr 32
		.amdhsa_reserve_vcc 1
		.amdhsa_reserve_flat_scratch 0
		.amdhsa_float_round_mode_32 0
		.amdhsa_float_round_mode_16_64 0
		.amdhsa_float_denorm_mode_32 3
		.amdhsa_float_denorm_mode_16_64 3
		.amdhsa_dx10_clamp 1
		.amdhsa_ieee_mode 1
		.amdhsa_fp16_overflow 0
		.amdhsa_exception_fp_ieee_invalid_op 0
		.amdhsa_exception_fp_denorm_src 0
		.amdhsa_exception_fp_ieee_div_zero 0
		.amdhsa_exception_fp_ieee_overflow 0
		.amdhsa_exception_fp_ieee_underflow 0
		.amdhsa_exception_fp_ieee_inexact 0
		.amdhsa_exception_int_div_zero 0
	.end_amdhsa_kernel
	.section	.text._ZN7rocprim17ROCPRIM_400000_NS6detail17trampoline_kernelINS0_14default_configENS1_22reduce_config_selectorIN6thrust23THRUST_200600_302600_NS5tupleIblNS6_9null_typeES8_S8_S8_S8_S8_S8_S8_EEEEZNS1_11reduce_implILb1ES3_NS6_12zip_iteratorINS7_INS6_11hip_rocprim26transform_input_iterator_tIbPdNS6_6detail10functional5actorINSH_9compositeIJNSH_27transparent_binary_operatorINS6_8equal_toIvEEEENSI_INSH_8argumentILj0EEEEENSH_5valueIdEEEEEEEEENSD_19counting_iterator_tIlEES8_S8_S8_S8_S8_S8_S8_S8_EEEEPS9_S9_NSD_9__find_if7functorIS9_EEEE10hipError_tPvRmT1_T2_T3_mT4_P12ihipStream_tbEUlT_E0_NS1_11comp_targetILNS1_3genE2ELNS1_11target_archE906ELNS1_3gpuE6ELNS1_3repE0EEENS1_30default_config_static_selectorELNS0_4arch9wavefront6targetE1EEEvS17_,"axG",@progbits,_ZN7rocprim17ROCPRIM_400000_NS6detail17trampoline_kernelINS0_14default_configENS1_22reduce_config_selectorIN6thrust23THRUST_200600_302600_NS5tupleIblNS6_9null_typeES8_S8_S8_S8_S8_S8_S8_EEEEZNS1_11reduce_implILb1ES3_NS6_12zip_iteratorINS7_INS6_11hip_rocprim26transform_input_iterator_tIbPdNS6_6detail10functional5actorINSH_9compositeIJNSH_27transparent_binary_operatorINS6_8equal_toIvEEEENSI_INSH_8argumentILj0EEEEENSH_5valueIdEEEEEEEEENSD_19counting_iterator_tIlEES8_S8_S8_S8_S8_S8_S8_S8_EEEEPS9_S9_NSD_9__find_if7functorIS9_EEEE10hipError_tPvRmT1_T2_T3_mT4_P12ihipStream_tbEUlT_E0_NS1_11comp_targetILNS1_3genE2ELNS1_11target_archE906ELNS1_3gpuE6ELNS1_3repE0EEENS1_30default_config_static_selectorELNS0_4arch9wavefront6targetE1EEEvS17_,comdat
.Lfunc_end1728:
	.size	_ZN7rocprim17ROCPRIM_400000_NS6detail17trampoline_kernelINS0_14default_configENS1_22reduce_config_selectorIN6thrust23THRUST_200600_302600_NS5tupleIblNS6_9null_typeES8_S8_S8_S8_S8_S8_S8_EEEEZNS1_11reduce_implILb1ES3_NS6_12zip_iteratorINS7_INS6_11hip_rocprim26transform_input_iterator_tIbPdNS6_6detail10functional5actorINSH_9compositeIJNSH_27transparent_binary_operatorINS6_8equal_toIvEEEENSI_INSH_8argumentILj0EEEEENSH_5valueIdEEEEEEEEENSD_19counting_iterator_tIlEES8_S8_S8_S8_S8_S8_S8_S8_EEEEPS9_S9_NSD_9__find_if7functorIS9_EEEE10hipError_tPvRmT1_T2_T3_mT4_P12ihipStream_tbEUlT_E0_NS1_11comp_targetILNS1_3genE2ELNS1_11target_archE906ELNS1_3gpuE6ELNS1_3repE0EEENS1_30default_config_static_selectorELNS0_4arch9wavefront6targetE1EEEvS17_, .Lfunc_end1728-_ZN7rocprim17ROCPRIM_400000_NS6detail17trampoline_kernelINS0_14default_configENS1_22reduce_config_selectorIN6thrust23THRUST_200600_302600_NS5tupleIblNS6_9null_typeES8_S8_S8_S8_S8_S8_S8_EEEEZNS1_11reduce_implILb1ES3_NS6_12zip_iteratorINS7_INS6_11hip_rocprim26transform_input_iterator_tIbPdNS6_6detail10functional5actorINSH_9compositeIJNSH_27transparent_binary_operatorINS6_8equal_toIvEEEENSI_INSH_8argumentILj0EEEEENSH_5valueIdEEEEEEEEENSD_19counting_iterator_tIlEES8_S8_S8_S8_S8_S8_S8_S8_EEEEPS9_S9_NSD_9__find_if7functorIS9_EEEE10hipError_tPvRmT1_T2_T3_mT4_P12ihipStream_tbEUlT_E0_NS1_11comp_targetILNS1_3genE2ELNS1_11target_archE906ELNS1_3gpuE6ELNS1_3repE0EEENS1_30default_config_static_selectorELNS0_4arch9wavefront6targetE1EEEvS17_
                                        ; -- End function
	.set _ZN7rocprim17ROCPRIM_400000_NS6detail17trampoline_kernelINS0_14default_configENS1_22reduce_config_selectorIN6thrust23THRUST_200600_302600_NS5tupleIblNS6_9null_typeES8_S8_S8_S8_S8_S8_S8_EEEEZNS1_11reduce_implILb1ES3_NS6_12zip_iteratorINS7_INS6_11hip_rocprim26transform_input_iterator_tIbPdNS6_6detail10functional5actorINSH_9compositeIJNSH_27transparent_binary_operatorINS6_8equal_toIvEEEENSI_INSH_8argumentILj0EEEEENSH_5valueIdEEEEEEEEENSD_19counting_iterator_tIlEES8_S8_S8_S8_S8_S8_S8_S8_EEEEPS9_S9_NSD_9__find_if7functorIS9_EEEE10hipError_tPvRmT1_T2_T3_mT4_P12ihipStream_tbEUlT_E0_NS1_11comp_targetILNS1_3genE2ELNS1_11target_archE906ELNS1_3gpuE6ELNS1_3repE0EEENS1_30default_config_static_selectorELNS0_4arch9wavefront6targetE1EEEvS17_.num_vgpr, 13
	.set _ZN7rocprim17ROCPRIM_400000_NS6detail17trampoline_kernelINS0_14default_configENS1_22reduce_config_selectorIN6thrust23THRUST_200600_302600_NS5tupleIblNS6_9null_typeES8_S8_S8_S8_S8_S8_S8_EEEEZNS1_11reduce_implILb1ES3_NS6_12zip_iteratorINS7_INS6_11hip_rocprim26transform_input_iterator_tIbPdNS6_6detail10functional5actorINSH_9compositeIJNSH_27transparent_binary_operatorINS6_8equal_toIvEEEENSI_INSH_8argumentILj0EEEEENSH_5valueIdEEEEEEEEENSD_19counting_iterator_tIlEES8_S8_S8_S8_S8_S8_S8_S8_EEEEPS9_S9_NSD_9__find_if7functorIS9_EEEE10hipError_tPvRmT1_T2_T3_mT4_P12ihipStream_tbEUlT_E0_NS1_11comp_targetILNS1_3genE2ELNS1_11target_archE906ELNS1_3gpuE6ELNS1_3repE0EEENS1_30default_config_static_selectorELNS0_4arch9wavefront6targetE1EEEvS17_.num_agpr, 0
	.set _ZN7rocprim17ROCPRIM_400000_NS6detail17trampoline_kernelINS0_14default_configENS1_22reduce_config_selectorIN6thrust23THRUST_200600_302600_NS5tupleIblNS6_9null_typeES8_S8_S8_S8_S8_S8_S8_EEEEZNS1_11reduce_implILb1ES3_NS6_12zip_iteratorINS7_INS6_11hip_rocprim26transform_input_iterator_tIbPdNS6_6detail10functional5actorINSH_9compositeIJNSH_27transparent_binary_operatorINS6_8equal_toIvEEEENSI_INSH_8argumentILj0EEEEENSH_5valueIdEEEEEEEEENSD_19counting_iterator_tIlEES8_S8_S8_S8_S8_S8_S8_S8_EEEEPS9_S9_NSD_9__find_if7functorIS9_EEEE10hipError_tPvRmT1_T2_T3_mT4_P12ihipStream_tbEUlT_E0_NS1_11comp_targetILNS1_3genE2ELNS1_11target_archE906ELNS1_3gpuE6ELNS1_3repE0EEENS1_30default_config_static_selectorELNS0_4arch9wavefront6targetE1EEEvS17_.numbered_sgpr, 32
	.set _ZN7rocprim17ROCPRIM_400000_NS6detail17trampoline_kernelINS0_14default_configENS1_22reduce_config_selectorIN6thrust23THRUST_200600_302600_NS5tupleIblNS6_9null_typeES8_S8_S8_S8_S8_S8_S8_EEEEZNS1_11reduce_implILb1ES3_NS6_12zip_iteratorINS7_INS6_11hip_rocprim26transform_input_iterator_tIbPdNS6_6detail10functional5actorINSH_9compositeIJNSH_27transparent_binary_operatorINS6_8equal_toIvEEEENSI_INSH_8argumentILj0EEEEENSH_5valueIdEEEEEEEEENSD_19counting_iterator_tIlEES8_S8_S8_S8_S8_S8_S8_S8_EEEEPS9_S9_NSD_9__find_if7functorIS9_EEEE10hipError_tPvRmT1_T2_T3_mT4_P12ihipStream_tbEUlT_E0_NS1_11comp_targetILNS1_3genE2ELNS1_11target_archE906ELNS1_3gpuE6ELNS1_3repE0EEENS1_30default_config_static_selectorELNS0_4arch9wavefront6targetE1EEEvS17_.num_named_barrier, 0
	.set _ZN7rocprim17ROCPRIM_400000_NS6detail17trampoline_kernelINS0_14default_configENS1_22reduce_config_selectorIN6thrust23THRUST_200600_302600_NS5tupleIblNS6_9null_typeES8_S8_S8_S8_S8_S8_S8_EEEEZNS1_11reduce_implILb1ES3_NS6_12zip_iteratorINS7_INS6_11hip_rocprim26transform_input_iterator_tIbPdNS6_6detail10functional5actorINSH_9compositeIJNSH_27transparent_binary_operatorINS6_8equal_toIvEEEENSI_INSH_8argumentILj0EEEEENSH_5valueIdEEEEEEEEENSD_19counting_iterator_tIlEES8_S8_S8_S8_S8_S8_S8_S8_EEEEPS9_S9_NSD_9__find_if7functorIS9_EEEE10hipError_tPvRmT1_T2_T3_mT4_P12ihipStream_tbEUlT_E0_NS1_11comp_targetILNS1_3genE2ELNS1_11target_archE906ELNS1_3gpuE6ELNS1_3repE0EEENS1_30default_config_static_selectorELNS0_4arch9wavefront6targetE1EEEvS17_.private_seg_size, 0
	.set _ZN7rocprim17ROCPRIM_400000_NS6detail17trampoline_kernelINS0_14default_configENS1_22reduce_config_selectorIN6thrust23THRUST_200600_302600_NS5tupleIblNS6_9null_typeES8_S8_S8_S8_S8_S8_S8_EEEEZNS1_11reduce_implILb1ES3_NS6_12zip_iteratorINS7_INS6_11hip_rocprim26transform_input_iterator_tIbPdNS6_6detail10functional5actorINSH_9compositeIJNSH_27transparent_binary_operatorINS6_8equal_toIvEEEENSI_INSH_8argumentILj0EEEEENSH_5valueIdEEEEEEEEENSD_19counting_iterator_tIlEES8_S8_S8_S8_S8_S8_S8_S8_EEEEPS9_S9_NSD_9__find_if7functorIS9_EEEE10hipError_tPvRmT1_T2_T3_mT4_P12ihipStream_tbEUlT_E0_NS1_11comp_targetILNS1_3genE2ELNS1_11target_archE906ELNS1_3gpuE6ELNS1_3repE0EEENS1_30default_config_static_selectorELNS0_4arch9wavefront6targetE1EEEvS17_.uses_vcc, 1
	.set _ZN7rocprim17ROCPRIM_400000_NS6detail17trampoline_kernelINS0_14default_configENS1_22reduce_config_selectorIN6thrust23THRUST_200600_302600_NS5tupleIblNS6_9null_typeES8_S8_S8_S8_S8_S8_S8_EEEEZNS1_11reduce_implILb1ES3_NS6_12zip_iteratorINS7_INS6_11hip_rocprim26transform_input_iterator_tIbPdNS6_6detail10functional5actorINSH_9compositeIJNSH_27transparent_binary_operatorINS6_8equal_toIvEEEENSI_INSH_8argumentILj0EEEEENSH_5valueIdEEEEEEEEENSD_19counting_iterator_tIlEES8_S8_S8_S8_S8_S8_S8_S8_EEEEPS9_S9_NSD_9__find_if7functorIS9_EEEE10hipError_tPvRmT1_T2_T3_mT4_P12ihipStream_tbEUlT_E0_NS1_11comp_targetILNS1_3genE2ELNS1_11target_archE906ELNS1_3gpuE6ELNS1_3repE0EEENS1_30default_config_static_selectorELNS0_4arch9wavefront6targetE1EEEvS17_.uses_flat_scratch, 0
	.set _ZN7rocprim17ROCPRIM_400000_NS6detail17trampoline_kernelINS0_14default_configENS1_22reduce_config_selectorIN6thrust23THRUST_200600_302600_NS5tupleIblNS6_9null_typeES8_S8_S8_S8_S8_S8_S8_EEEEZNS1_11reduce_implILb1ES3_NS6_12zip_iteratorINS7_INS6_11hip_rocprim26transform_input_iterator_tIbPdNS6_6detail10functional5actorINSH_9compositeIJNSH_27transparent_binary_operatorINS6_8equal_toIvEEEENSI_INSH_8argumentILj0EEEEENSH_5valueIdEEEEEEEEENSD_19counting_iterator_tIlEES8_S8_S8_S8_S8_S8_S8_S8_EEEEPS9_S9_NSD_9__find_if7functorIS9_EEEE10hipError_tPvRmT1_T2_T3_mT4_P12ihipStream_tbEUlT_E0_NS1_11comp_targetILNS1_3genE2ELNS1_11target_archE906ELNS1_3gpuE6ELNS1_3repE0EEENS1_30default_config_static_selectorELNS0_4arch9wavefront6targetE1EEEvS17_.has_dyn_sized_stack, 0
	.set _ZN7rocprim17ROCPRIM_400000_NS6detail17trampoline_kernelINS0_14default_configENS1_22reduce_config_selectorIN6thrust23THRUST_200600_302600_NS5tupleIblNS6_9null_typeES8_S8_S8_S8_S8_S8_S8_EEEEZNS1_11reduce_implILb1ES3_NS6_12zip_iteratorINS7_INS6_11hip_rocprim26transform_input_iterator_tIbPdNS6_6detail10functional5actorINSH_9compositeIJNSH_27transparent_binary_operatorINS6_8equal_toIvEEEENSI_INSH_8argumentILj0EEEEENSH_5valueIdEEEEEEEEENSD_19counting_iterator_tIlEES8_S8_S8_S8_S8_S8_S8_S8_EEEEPS9_S9_NSD_9__find_if7functorIS9_EEEE10hipError_tPvRmT1_T2_T3_mT4_P12ihipStream_tbEUlT_E0_NS1_11comp_targetILNS1_3genE2ELNS1_11target_archE906ELNS1_3gpuE6ELNS1_3repE0EEENS1_30default_config_static_selectorELNS0_4arch9wavefront6targetE1EEEvS17_.has_recursion, 0
	.set _ZN7rocprim17ROCPRIM_400000_NS6detail17trampoline_kernelINS0_14default_configENS1_22reduce_config_selectorIN6thrust23THRUST_200600_302600_NS5tupleIblNS6_9null_typeES8_S8_S8_S8_S8_S8_S8_EEEEZNS1_11reduce_implILb1ES3_NS6_12zip_iteratorINS7_INS6_11hip_rocprim26transform_input_iterator_tIbPdNS6_6detail10functional5actorINSH_9compositeIJNSH_27transparent_binary_operatorINS6_8equal_toIvEEEENSI_INSH_8argumentILj0EEEEENSH_5valueIdEEEEEEEEENSD_19counting_iterator_tIlEES8_S8_S8_S8_S8_S8_S8_S8_EEEEPS9_S9_NSD_9__find_if7functorIS9_EEEE10hipError_tPvRmT1_T2_T3_mT4_P12ihipStream_tbEUlT_E0_NS1_11comp_targetILNS1_3genE2ELNS1_11target_archE906ELNS1_3gpuE6ELNS1_3repE0EEENS1_30default_config_static_selectorELNS0_4arch9wavefront6targetE1EEEvS17_.has_indirect_call, 0
	.section	.AMDGPU.csdata,"",@progbits
; Kernel info:
; codeLenInByte = 2748
; TotalNumSgprs: 36
; NumVgprs: 13
; ScratchSize: 0
; MemoryBound: 0
; FloatMode: 240
; IeeeMode: 1
; LDSByteSize: 64 bytes/workgroup (compile time only)
; SGPRBlocks: 4
; VGPRBlocks: 3
; NumSGPRsForWavesPerEU: 36
; NumVGPRsForWavesPerEU: 13
; Occupancy: 10
; WaveLimiterHint : 1
; COMPUTE_PGM_RSRC2:SCRATCH_EN: 0
; COMPUTE_PGM_RSRC2:USER_SGPR: 6
; COMPUTE_PGM_RSRC2:TRAP_HANDLER: 0
; COMPUTE_PGM_RSRC2:TGID_X_EN: 1
; COMPUTE_PGM_RSRC2:TGID_Y_EN: 0
; COMPUTE_PGM_RSRC2:TGID_Z_EN: 0
; COMPUTE_PGM_RSRC2:TIDIG_COMP_CNT: 0
	.section	.text._ZN7rocprim17ROCPRIM_400000_NS6detail17trampoline_kernelINS0_14default_configENS1_22reduce_config_selectorIN6thrust23THRUST_200600_302600_NS5tupleIblNS6_9null_typeES8_S8_S8_S8_S8_S8_S8_EEEEZNS1_11reduce_implILb1ES3_NS6_12zip_iteratorINS7_INS6_11hip_rocprim26transform_input_iterator_tIbPdNS6_6detail10functional5actorINSH_9compositeIJNSH_27transparent_binary_operatorINS6_8equal_toIvEEEENSI_INSH_8argumentILj0EEEEENSH_5valueIdEEEEEEEEENSD_19counting_iterator_tIlEES8_S8_S8_S8_S8_S8_S8_S8_EEEEPS9_S9_NSD_9__find_if7functorIS9_EEEE10hipError_tPvRmT1_T2_T3_mT4_P12ihipStream_tbEUlT_E0_NS1_11comp_targetILNS1_3genE10ELNS1_11target_archE1201ELNS1_3gpuE5ELNS1_3repE0EEENS1_30default_config_static_selectorELNS0_4arch9wavefront6targetE1EEEvS17_,"axG",@progbits,_ZN7rocprim17ROCPRIM_400000_NS6detail17trampoline_kernelINS0_14default_configENS1_22reduce_config_selectorIN6thrust23THRUST_200600_302600_NS5tupleIblNS6_9null_typeES8_S8_S8_S8_S8_S8_S8_EEEEZNS1_11reduce_implILb1ES3_NS6_12zip_iteratorINS7_INS6_11hip_rocprim26transform_input_iterator_tIbPdNS6_6detail10functional5actorINSH_9compositeIJNSH_27transparent_binary_operatorINS6_8equal_toIvEEEENSI_INSH_8argumentILj0EEEEENSH_5valueIdEEEEEEEEENSD_19counting_iterator_tIlEES8_S8_S8_S8_S8_S8_S8_S8_EEEEPS9_S9_NSD_9__find_if7functorIS9_EEEE10hipError_tPvRmT1_T2_T3_mT4_P12ihipStream_tbEUlT_E0_NS1_11comp_targetILNS1_3genE10ELNS1_11target_archE1201ELNS1_3gpuE5ELNS1_3repE0EEENS1_30default_config_static_selectorELNS0_4arch9wavefront6targetE1EEEvS17_,comdat
	.protected	_ZN7rocprim17ROCPRIM_400000_NS6detail17trampoline_kernelINS0_14default_configENS1_22reduce_config_selectorIN6thrust23THRUST_200600_302600_NS5tupleIblNS6_9null_typeES8_S8_S8_S8_S8_S8_S8_EEEEZNS1_11reduce_implILb1ES3_NS6_12zip_iteratorINS7_INS6_11hip_rocprim26transform_input_iterator_tIbPdNS6_6detail10functional5actorINSH_9compositeIJNSH_27transparent_binary_operatorINS6_8equal_toIvEEEENSI_INSH_8argumentILj0EEEEENSH_5valueIdEEEEEEEEENSD_19counting_iterator_tIlEES8_S8_S8_S8_S8_S8_S8_S8_EEEEPS9_S9_NSD_9__find_if7functorIS9_EEEE10hipError_tPvRmT1_T2_T3_mT4_P12ihipStream_tbEUlT_E0_NS1_11comp_targetILNS1_3genE10ELNS1_11target_archE1201ELNS1_3gpuE5ELNS1_3repE0EEENS1_30default_config_static_selectorELNS0_4arch9wavefront6targetE1EEEvS17_ ; -- Begin function _ZN7rocprim17ROCPRIM_400000_NS6detail17trampoline_kernelINS0_14default_configENS1_22reduce_config_selectorIN6thrust23THRUST_200600_302600_NS5tupleIblNS6_9null_typeES8_S8_S8_S8_S8_S8_S8_EEEEZNS1_11reduce_implILb1ES3_NS6_12zip_iteratorINS7_INS6_11hip_rocprim26transform_input_iterator_tIbPdNS6_6detail10functional5actorINSH_9compositeIJNSH_27transparent_binary_operatorINS6_8equal_toIvEEEENSI_INSH_8argumentILj0EEEEENSH_5valueIdEEEEEEEEENSD_19counting_iterator_tIlEES8_S8_S8_S8_S8_S8_S8_S8_EEEEPS9_S9_NSD_9__find_if7functorIS9_EEEE10hipError_tPvRmT1_T2_T3_mT4_P12ihipStream_tbEUlT_E0_NS1_11comp_targetILNS1_3genE10ELNS1_11target_archE1201ELNS1_3gpuE5ELNS1_3repE0EEENS1_30default_config_static_selectorELNS0_4arch9wavefront6targetE1EEEvS17_
	.globl	_ZN7rocprim17ROCPRIM_400000_NS6detail17trampoline_kernelINS0_14default_configENS1_22reduce_config_selectorIN6thrust23THRUST_200600_302600_NS5tupleIblNS6_9null_typeES8_S8_S8_S8_S8_S8_S8_EEEEZNS1_11reduce_implILb1ES3_NS6_12zip_iteratorINS7_INS6_11hip_rocprim26transform_input_iterator_tIbPdNS6_6detail10functional5actorINSH_9compositeIJNSH_27transparent_binary_operatorINS6_8equal_toIvEEEENSI_INSH_8argumentILj0EEEEENSH_5valueIdEEEEEEEEENSD_19counting_iterator_tIlEES8_S8_S8_S8_S8_S8_S8_S8_EEEEPS9_S9_NSD_9__find_if7functorIS9_EEEE10hipError_tPvRmT1_T2_T3_mT4_P12ihipStream_tbEUlT_E0_NS1_11comp_targetILNS1_3genE10ELNS1_11target_archE1201ELNS1_3gpuE5ELNS1_3repE0EEENS1_30default_config_static_selectorELNS0_4arch9wavefront6targetE1EEEvS17_
	.p2align	8
	.type	_ZN7rocprim17ROCPRIM_400000_NS6detail17trampoline_kernelINS0_14default_configENS1_22reduce_config_selectorIN6thrust23THRUST_200600_302600_NS5tupleIblNS6_9null_typeES8_S8_S8_S8_S8_S8_S8_EEEEZNS1_11reduce_implILb1ES3_NS6_12zip_iteratorINS7_INS6_11hip_rocprim26transform_input_iterator_tIbPdNS6_6detail10functional5actorINSH_9compositeIJNSH_27transparent_binary_operatorINS6_8equal_toIvEEEENSI_INSH_8argumentILj0EEEEENSH_5valueIdEEEEEEEEENSD_19counting_iterator_tIlEES8_S8_S8_S8_S8_S8_S8_S8_EEEEPS9_S9_NSD_9__find_if7functorIS9_EEEE10hipError_tPvRmT1_T2_T3_mT4_P12ihipStream_tbEUlT_E0_NS1_11comp_targetILNS1_3genE10ELNS1_11target_archE1201ELNS1_3gpuE5ELNS1_3repE0EEENS1_30default_config_static_selectorELNS0_4arch9wavefront6targetE1EEEvS17_,@function
_ZN7rocprim17ROCPRIM_400000_NS6detail17trampoline_kernelINS0_14default_configENS1_22reduce_config_selectorIN6thrust23THRUST_200600_302600_NS5tupleIblNS6_9null_typeES8_S8_S8_S8_S8_S8_S8_EEEEZNS1_11reduce_implILb1ES3_NS6_12zip_iteratorINS7_INS6_11hip_rocprim26transform_input_iterator_tIbPdNS6_6detail10functional5actorINSH_9compositeIJNSH_27transparent_binary_operatorINS6_8equal_toIvEEEENSI_INSH_8argumentILj0EEEEENSH_5valueIdEEEEEEEEENSD_19counting_iterator_tIlEES8_S8_S8_S8_S8_S8_S8_S8_EEEEPS9_S9_NSD_9__find_if7functorIS9_EEEE10hipError_tPvRmT1_T2_T3_mT4_P12ihipStream_tbEUlT_E0_NS1_11comp_targetILNS1_3genE10ELNS1_11target_archE1201ELNS1_3gpuE5ELNS1_3repE0EEENS1_30default_config_static_selectorELNS0_4arch9wavefront6targetE1EEEvS17_: ; @_ZN7rocprim17ROCPRIM_400000_NS6detail17trampoline_kernelINS0_14default_configENS1_22reduce_config_selectorIN6thrust23THRUST_200600_302600_NS5tupleIblNS6_9null_typeES8_S8_S8_S8_S8_S8_S8_EEEEZNS1_11reduce_implILb1ES3_NS6_12zip_iteratorINS7_INS6_11hip_rocprim26transform_input_iterator_tIbPdNS6_6detail10functional5actorINSH_9compositeIJNSH_27transparent_binary_operatorINS6_8equal_toIvEEEENSI_INSH_8argumentILj0EEEEENSH_5valueIdEEEEEEEEENSD_19counting_iterator_tIlEES8_S8_S8_S8_S8_S8_S8_S8_EEEEPS9_S9_NSD_9__find_if7functorIS9_EEEE10hipError_tPvRmT1_T2_T3_mT4_P12ihipStream_tbEUlT_E0_NS1_11comp_targetILNS1_3genE10ELNS1_11target_archE1201ELNS1_3gpuE5ELNS1_3repE0EEENS1_30default_config_static_selectorELNS0_4arch9wavefront6targetE1EEEvS17_
; %bb.0:
	.section	.rodata,"a",@progbits
	.p2align	6, 0x0
	.amdhsa_kernel _ZN7rocprim17ROCPRIM_400000_NS6detail17trampoline_kernelINS0_14default_configENS1_22reduce_config_selectorIN6thrust23THRUST_200600_302600_NS5tupleIblNS6_9null_typeES8_S8_S8_S8_S8_S8_S8_EEEEZNS1_11reduce_implILb1ES3_NS6_12zip_iteratorINS7_INS6_11hip_rocprim26transform_input_iterator_tIbPdNS6_6detail10functional5actorINSH_9compositeIJNSH_27transparent_binary_operatorINS6_8equal_toIvEEEENSI_INSH_8argumentILj0EEEEENSH_5valueIdEEEEEEEEENSD_19counting_iterator_tIlEES8_S8_S8_S8_S8_S8_S8_S8_EEEEPS9_S9_NSD_9__find_if7functorIS9_EEEE10hipError_tPvRmT1_T2_T3_mT4_P12ihipStream_tbEUlT_E0_NS1_11comp_targetILNS1_3genE10ELNS1_11target_archE1201ELNS1_3gpuE5ELNS1_3repE0EEENS1_30default_config_static_selectorELNS0_4arch9wavefront6targetE1EEEvS17_
		.amdhsa_group_segment_fixed_size 0
		.amdhsa_private_segment_fixed_size 0
		.amdhsa_kernarg_size 96
		.amdhsa_user_sgpr_count 6
		.amdhsa_user_sgpr_private_segment_buffer 1
		.amdhsa_user_sgpr_dispatch_ptr 0
		.amdhsa_user_sgpr_queue_ptr 0
		.amdhsa_user_sgpr_kernarg_segment_ptr 1
		.amdhsa_user_sgpr_dispatch_id 0
		.amdhsa_user_sgpr_flat_scratch_init 0
		.amdhsa_user_sgpr_private_segment_size 0
		.amdhsa_uses_dynamic_stack 0
		.amdhsa_system_sgpr_private_segment_wavefront_offset 0
		.amdhsa_system_sgpr_workgroup_id_x 1
		.amdhsa_system_sgpr_workgroup_id_y 0
		.amdhsa_system_sgpr_workgroup_id_z 0
		.amdhsa_system_sgpr_workgroup_info 0
		.amdhsa_system_vgpr_workitem_id 0
		.amdhsa_next_free_vgpr 1
		.amdhsa_next_free_sgpr 0
		.amdhsa_reserve_vcc 0
		.amdhsa_reserve_flat_scratch 0
		.amdhsa_float_round_mode_32 0
		.amdhsa_float_round_mode_16_64 0
		.amdhsa_float_denorm_mode_32 3
		.amdhsa_float_denorm_mode_16_64 3
		.amdhsa_dx10_clamp 1
		.amdhsa_ieee_mode 1
		.amdhsa_fp16_overflow 0
		.amdhsa_exception_fp_ieee_invalid_op 0
		.amdhsa_exception_fp_denorm_src 0
		.amdhsa_exception_fp_ieee_div_zero 0
		.amdhsa_exception_fp_ieee_overflow 0
		.amdhsa_exception_fp_ieee_underflow 0
		.amdhsa_exception_fp_ieee_inexact 0
		.amdhsa_exception_int_div_zero 0
	.end_amdhsa_kernel
	.section	.text._ZN7rocprim17ROCPRIM_400000_NS6detail17trampoline_kernelINS0_14default_configENS1_22reduce_config_selectorIN6thrust23THRUST_200600_302600_NS5tupleIblNS6_9null_typeES8_S8_S8_S8_S8_S8_S8_EEEEZNS1_11reduce_implILb1ES3_NS6_12zip_iteratorINS7_INS6_11hip_rocprim26transform_input_iterator_tIbPdNS6_6detail10functional5actorINSH_9compositeIJNSH_27transparent_binary_operatorINS6_8equal_toIvEEEENSI_INSH_8argumentILj0EEEEENSH_5valueIdEEEEEEEEENSD_19counting_iterator_tIlEES8_S8_S8_S8_S8_S8_S8_S8_EEEEPS9_S9_NSD_9__find_if7functorIS9_EEEE10hipError_tPvRmT1_T2_T3_mT4_P12ihipStream_tbEUlT_E0_NS1_11comp_targetILNS1_3genE10ELNS1_11target_archE1201ELNS1_3gpuE5ELNS1_3repE0EEENS1_30default_config_static_selectorELNS0_4arch9wavefront6targetE1EEEvS17_,"axG",@progbits,_ZN7rocprim17ROCPRIM_400000_NS6detail17trampoline_kernelINS0_14default_configENS1_22reduce_config_selectorIN6thrust23THRUST_200600_302600_NS5tupleIblNS6_9null_typeES8_S8_S8_S8_S8_S8_S8_EEEEZNS1_11reduce_implILb1ES3_NS6_12zip_iteratorINS7_INS6_11hip_rocprim26transform_input_iterator_tIbPdNS6_6detail10functional5actorINSH_9compositeIJNSH_27transparent_binary_operatorINS6_8equal_toIvEEEENSI_INSH_8argumentILj0EEEEENSH_5valueIdEEEEEEEEENSD_19counting_iterator_tIlEES8_S8_S8_S8_S8_S8_S8_S8_EEEEPS9_S9_NSD_9__find_if7functorIS9_EEEE10hipError_tPvRmT1_T2_T3_mT4_P12ihipStream_tbEUlT_E0_NS1_11comp_targetILNS1_3genE10ELNS1_11target_archE1201ELNS1_3gpuE5ELNS1_3repE0EEENS1_30default_config_static_selectorELNS0_4arch9wavefront6targetE1EEEvS17_,comdat
.Lfunc_end1729:
	.size	_ZN7rocprim17ROCPRIM_400000_NS6detail17trampoline_kernelINS0_14default_configENS1_22reduce_config_selectorIN6thrust23THRUST_200600_302600_NS5tupleIblNS6_9null_typeES8_S8_S8_S8_S8_S8_S8_EEEEZNS1_11reduce_implILb1ES3_NS6_12zip_iteratorINS7_INS6_11hip_rocprim26transform_input_iterator_tIbPdNS6_6detail10functional5actorINSH_9compositeIJNSH_27transparent_binary_operatorINS6_8equal_toIvEEEENSI_INSH_8argumentILj0EEEEENSH_5valueIdEEEEEEEEENSD_19counting_iterator_tIlEES8_S8_S8_S8_S8_S8_S8_S8_EEEEPS9_S9_NSD_9__find_if7functorIS9_EEEE10hipError_tPvRmT1_T2_T3_mT4_P12ihipStream_tbEUlT_E0_NS1_11comp_targetILNS1_3genE10ELNS1_11target_archE1201ELNS1_3gpuE5ELNS1_3repE0EEENS1_30default_config_static_selectorELNS0_4arch9wavefront6targetE1EEEvS17_, .Lfunc_end1729-_ZN7rocprim17ROCPRIM_400000_NS6detail17trampoline_kernelINS0_14default_configENS1_22reduce_config_selectorIN6thrust23THRUST_200600_302600_NS5tupleIblNS6_9null_typeES8_S8_S8_S8_S8_S8_S8_EEEEZNS1_11reduce_implILb1ES3_NS6_12zip_iteratorINS7_INS6_11hip_rocprim26transform_input_iterator_tIbPdNS6_6detail10functional5actorINSH_9compositeIJNSH_27transparent_binary_operatorINS6_8equal_toIvEEEENSI_INSH_8argumentILj0EEEEENSH_5valueIdEEEEEEEEENSD_19counting_iterator_tIlEES8_S8_S8_S8_S8_S8_S8_S8_EEEEPS9_S9_NSD_9__find_if7functorIS9_EEEE10hipError_tPvRmT1_T2_T3_mT4_P12ihipStream_tbEUlT_E0_NS1_11comp_targetILNS1_3genE10ELNS1_11target_archE1201ELNS1_3gpuE5ELNS1_3repE0EEENS1_30default_config_static_selectorELNS0_4arch9wavefront6targetE1EEEvS17_
                                        ; -- End function
	.set _ZN7rocprim17ROCPRIM_400000_NS6detail17trampoline_kernelINS0_14default_configENS1_22reduce_config_selectorIN6thrust23THRUST_200600_302600_NS5tupleIblNS6_9null_typeES8_S8_S8_S8_S8_S8_S8_EEEEZNS1_11reduce_implILb1ES3_NS6_12zip_iteratorINS7_INS6_11hip_rocprim26transform_input_iterator_tIbPdNS6_6detail10functional5actorINSH_9compositeIJNSH_27transparent_binary_operatorINS6_8equal_toIvEEEENSI_INSH_8argumentILj0EEEEENSH_5valueIdEEEEEEEEENSD_19counting_iterator_tIlEES8_S8_S8_S8_S8_S8_S8_S8_EEEEPS9_S9_NSD_9__find_if7functorIS9_EEEE10hipError_tPvRmT1_T2_T3_mT4_P12ihipStream_tbEUlT_E0_NS1_11comp_targetILNS1_3genE10ELNS1_11target_archE1201ELNS1_3gpuE5ELNS1_3repE0EEENS1_30default_config_static_selectorELNS0_4arch9wavefront6targetE1EEEvS17_.num_vgpr, 0
	.set _ZN7rocprim17ROCPRIM_400000_NS6detail17trampoline_kernelINS0_14default_configENS1_22reduce_config_selectorIN6thrust23THRUST_200600_302600_NS5tupleIblNS6_9null_typeES8_S8_S8_S8_S8_S8_S8_EEEEZNS1_11reduce_implILb1ES3_NS6_12zip_iteratorINS7_INS6_11hip_rocprim26transform_input_iterator_tIbPdNS6_6detail10functional5actorINSH_9compositeIJNSH_27transparent_binary_operatorINS6_8equal_toIvEEEENSI_INSH_8argumentILj0EEEEENSH_5valueIdEEEEEEEEENSD_19counting_iterator_tIlEES8_S8_S8_S8_S8_S8_S8_S8_EEEEPS9_S9_NSD_9__find_if7functorIS9_EEEE10hipError_tPvRmT1_T2_T3_mT4_P12ihipStream_tbEUlT_E0_NS1_11comp_targetILNS1_3genE10ELNS1_11target_archE1201ELNS1_3gpuE5ELNS1_3repE0EEENS1_30default_config_static_selectorELNS0_4arch9wavefront6targetE1EEEvS17_.num_agpr, 0
	.set _ZN7rocprim17ROCPRIM_400000_NS6detail17trampoline_kernelINS0_14default_configENS1_22reduce_config_selectorIN6thrust23THRUST_200600_302600_NS5tupleIblNS6_9null_typeES8_S8_S8_S8_S8_S8_S8_EEEEZNS1_11reduce_implILb1ES3_NS6_12zip_iteratorINS7_INS6_11hip_rocprim26transform_input_iterator_tIbPdNS6_6detail10functional5actorINSH_9compositeIJNSH_27transparent_binary_operatorINS6_8equal_toIvEEEENSI_INSH_8argumentILj0EEEEENSH_5valueIdEEEEEEEEENSD_19counting_iterator_tIlEES8_S8_S8_S8_S8_S8_S8_S8_EEEEPS9_S9_NSD_9__find_if7functorIS9_EEEE10hipError_tPvRmT1_T2_T3_mT4_P12ihipStream_tbEUlT_E0_NS1_11comp_targetILNS1_3genE10ELNS1_11target_archE1201ELNS1_3gpuE5ELNS1_3repE0EEENS1_30default_config_static_selectorELNS0_4arch9wavefront6targetE1EEEvS17_.numbered_sgpr, 0
	.set _ZN7rocprim17ROCPRIM_400000_NS6detail17trampoline_kernelINS0_14default_configENS1_22reduce_config_selectorIN6thrust23THRUST_200600_302600_NS5tupleIblNS6_9null_typeES8_S8_S8_S8_S8_S8_S8_EEEEZNS1_11reduce_implILb1ES3_NS6_12zip_iteratorINS7_INS6_11hip_rocprim26transform_input_iterator_tIbPdNS6_6detail10functional5actorINSH_9compositeIJNSH_27transparent_binary_operatorINS6_8equal_toIvEEEENSI_INSH_8argumentILj0EEEEENSH_5valueIdEEEEEEEEENSD_19counting_iterator_tIlEES8_S8_S8_S8_S8_S8_S8_S8_EEEEPS9_S9_NSD_9__find_if7functorIS9_EEEE10hipError_tPvRmT1_T2_T3_mT4_P12ihipStream_tbEUlT_E0_NS1_11comp_targetILNS1_3genE10ELNS1_11target_archE1201ELNS1_3gpuE5ELNS1_3repE0EEENS1_30default_config_static_selectorELNS0_4arch9wavefront6targetE1EEEvS17_.num_named_barrier, 0
	.set _ZN7rocprim17ROCPRIM_400000_NS6detail17trampoline_kernelINS0_14default_configENS1_22reduce_config_selectorIN6thrust23THRUST_200600_302600_NS5tupleIblNS6_9null_typeES8_S8_S8_S8_S8_S8_S8_EEEEZNS1_11reduce_implILb1ES3_NS6_12zip_iteratorINS7_INS6_11hip_rocprim26transform_input_iterator_tIbPdNS6_6detail10functional5actorINSH_9compositeIJNSH_27transparent_binary_operatorINS6_8equal_toIvEEEENSI_INSH_8argumentILj0EEEEENSH_5valueIdEEEEEEEEENSD_19counting_iterator_tIlEES8_S8_S8_S8_S8_S8_S8_S8_EEEEPS9_S9_NSD_9__find_if7functorIS9_EEEE10hipError_tPvRmT1_T2_T3_mT4_P12ihipStream_tbEUlT_E0_NS1_11comp_targetILNS1_3genE10ELNS1_11target_archE1201ELNS1_3gpuE5ELNS1_3repE0EEENS1_30default_config_static_selectorELNS0_4arch9wavefront6targetE1EEEvS17_.private_seg_size, 0
	.set _ZN7rocprim17ROCPRIM_400000_NS6detail17trampoline_kernelINS0_14default_configENS1_22reduce_config_selectorIN6thrust23THRUST_200600_302600_NS5tupleIblNS6_9null_typeES8_S8_S8_S8_S8_S8_S8_EEEEZNS1_11reduce_implILb1ES3_NS6_12zip_iteratorINS7_INS6_11hip_rocprim26transform_input_iterator_tIbPdNS6_6detail10functional5actorINSH_9compositeIJNSH_27transparent_binary_operatorINS6_8equal_toIvEEEENSI_INSH_8argumentILj0EEEEENSH_5valueIdEEEEEEEEENSD_19counting_iterator_tIlEES8_S8_S8_S8_S8_S8_S8_S8_EEEEPS9_S9_NSD_9__find_if7functorIS9_EEEE10hipError_tPvRmT1_T2_T3_mT4_P12ihipStream_tbEUlT_E0_NS1_11comp_targetILNS1_3genE10ELNS1_11target_archE1201ELNS1_3gpuE5ELNS1_3repE0EEENS1_30default_config_static_selectorELNS0_4arch9wavefront6targetE1EEEvS17_.uses_vcc, 0
	.set _ZN7rocprim17ROCPRIM_400000_NS6detail17trampoline_kernelINS0_14default_configENS1_22reduce_config_selectorIN6thrust23THRUST_200600_302600_NS5tupleIblNS6_9null_typeES8_S8_S8_S8_S8_S8_S8_EEEEZNS1_11reduce_implILb1ES3_NS6_12zip_iteratorINS7_INS6_11hip_rocprim26transform_input_iterator_tIbPdNS6_6detail10functional5actorINSH_9compositeIJNSH_27transparent_binary_operatorINS6_8equal_toIvEEEENSI_INSH_8argumentILj0EEEEENSH_5valueIdEEEEEEEEENSD_19counting_iterator_tIlEES8_S8_S8_S8_S8_S8_S8_S8_EEEEPS9_S9_NSD_9__find_if7functorIS9_EEEE10hipError_tPvRmT1_T2_T3_mT4_P12ihipStream_tbEUlT_E0_NS1_11comp_targetILNS1_3genE10ELNS1_11target_archE1201ELNS1_3gpuE5ELNS1_3repE0EEENS1_30default_config_static_selectorELNS0_4arch9wavefront6targetE1EEEvS17_.uses_flat_scratch, 0
	.set _ZN7rocprim17ROCPRIM_400000_NS6detail17trampoline_kernelINS0_14default_configENS1_22reduce_config_selectorIN6thrust23THRUST_200600_302600_NS5tupleIblNS6_9null_typeES8_S8_S8_S8_S8_S8_S8_EEEEZNS1_11reduce_implILb1ES3_NS6_12zip_iteratorINS7_INS6_11hip_rocprim26transform_input_iterator_tIbPdNS6_6detail10functional5actorINSH_9compositeIJNSH_27transparent_binary_operatorINS6_8equal_toIvEEEENSI_INSH_8argumentILj0EEEEENSH_5valueIdEEEEEEEEENSD_19counting_iterator_tIlEES8_S8_S8_S8_S8_S8_S8_S8_EEEEPS9_S9_NSD_9__find_if7functorIS9_EEEE10hipError_tPvRmT1_T2_T3_mT4_P12ihipStream_tbEUlT_E0_NS1_11comp_targetILNS1_3genE10ELNS1_11target_archE1201ELNS1_3gpuE5ELNS1_3repE0EEENS1_30default_config_static_selectorELNS0_4arch9wavefront6targetE1EEEvS17_.has_dyn_sized_stack, 0
	.set _ZN7rocprim17ROCPRIM_400000_NS6detail17trampoline_kernelINS0_14default_configENS1_22reduce_config_selectorIN6thrust23THRUST_200600_302600_NS5tupleIblNS6_9null_typeES8_S8_S8_S8_S8_S8_S8_EEEEZNS1_11reduce_implILb1ES3_NS6_12zip_iteratorINS7_INS6_11hip_rocprim26transform_input_iterator_tIbPdNS6_6detail10functional5actorINSH_9compositeIJNSH_27transparent_binary_operatorINS6_8equal_toIvEEEENSI_INSH_8argumentILj0EEEEENSH_5valueIdEEEEEEEEENSD_19counting_iterator_tIlEES8_S8_S8_S8_S8_S8_S8_S8_EEEEPS9_S9_NSD_9__find_if7functorIS9_EEEE10hipError_tPvRmT1_T2_T3_mT4_P12ihipStream_tbEUlT_E0_NS1_11comp_targetILNS1_3genE10ELNS1_11target_archE1201ELNS1_3gpuE5ELNS1_3repE0EEENS1_30default_config_static_selectorELNS0_4arch9wavefront6targetE1EEEvS17_.has_recursion, 0
	.set _ZN7rocprim17ROCPRIM_400000_NS6detail17trampoline_kernelINS0_14default_configENS1_22reduce_config_selectorIN6thrust23THRUST_200600_302600_NS5tupleIblNS6_9null_typeES8_S8_S8_S8_S8_S8_S8_EEEEZNS1_11reduce_implILb1ES3_NS6_12zip_iteratorINS7_INS6_11hip_rocprim26transform_input_iterator_tIbPdNS6_6detail10functional5actorINSH_9compositeIJNSH_27transparent_binary_operatorINS6_8equal_toIvEEEENSI_INSH_8argumentILj0EEEEENSH_5valueIdEEEEEEEEENSD_19counting_iterator_tIlEES8_S8_S8_S8_S8_S8_S8_S8_EEEEPS9_S9_NSD_9__find_if7functorIS9_EEEE10hipError_tPvRmT1_T2_T3_mT4_P12ihipStream_tbEUlT_E0_NS1_11comp_targetILNS1_3genE10ELNS1_11target_archE1201ELNS1_3gpuE5ELNS1_3repE0EEENS1_30default_config_static_selectorELNS0_4arch9wavefront6targetE1EEEvS17_.has_indirect_call, 0
	.section	.AMDGPU.csdata,"",@progbits
; Kernel info:
; codeLenInByte = 0
; TotalNumSgprs: 4
; NumVgprs: 0
; ScratchSize: 0
; MemoryBound: 0
; FloatMode: 240
; IeeeMode: 1
; LDSByteSize: 0 bytes/workgroup (compile time only)
; SGPRBlocks: 0
; VGPRBlocks: 0
; NumSGPRsForWavesPerEU: 4
; NumVGPRsForWavesPerEU: 1
; Occupancy: 10
; WaveLimiterHint : 0
; COMPUTE_PGM_RSRC2:SCRATCH_EN: 0
; COMPUTE_PGM_RSRC2:USER_SGPR: 6
; COMPUTE_PGM_RSRC2:TRAP_HANDLER: 0
; COMPUTE_PGM_RSRC2:TGID_X_EN: 1
; COMPUTE_PGM_RSRC2:TGID_Y_EN: 0
; COMPUTE_PGM_RSRC2:TGID_Z_EN: 0
; COMPUTE_PGM_RSRC2:TIDIG_COMP_CNT: 0
	.section	.text._ZN7rocprim17ROCPRIM_400000_NS6detail17trampoline_kernelINS0_14default_configENS1_22reduce_config_selectorIN6thrust23THRUST_200600_302600_NS5tupleIblNS6_9null_typeES8_S8_S8_S8_S8_S8_S8_EEEEZNS1_11reduce_implILb1ES3_NS6_12zip_iteratorINS7_INS6_11hip_rocprim26transform_input_iterator_tIbPdNS6_6detail10functional5actorINSH_9compositeIJNSH_27transparent_binary_operatorINS6_8equal_toIvEEEENSI_INSH_8argumentILj0EEEEENSH_5valueIdEEEEEEEEENSD_19counting_iterator_tIlEES8_S8_S8_S8_S8_S8_S8_S8_EEEEPS9_S9_NSD_9__find_if7functorIS9_EEEE10hipError_tPvRmT1_T2_T3_mT4_P12ihipStream_tbEUlT_E0_NS1_11comp_targetILNS1_3genE10ELNS1_11target_archE1200ELNS1_3gpuE4ELNS1_3repE0EEENS1_30default_config_static_selectorELNS0_4arch9wavefront6targetE1EEEvS17_,"axG",@progbits,_ZN7rocprim17ROCPRIM_400000_NS6detail17trampoline_kernelINS0_14default_configENS1_22reduce_config_selectorIN6thrust23THRUST_200600_302600_NS5tupleIblNS6_9null_typeES8_S8_S8_S8_S8_S8_S8_EEEEZNS1_11reduce_implILb1ES3_NS6_12zip_iteratorINS7_INS6_11hip_rocprim26transform_input_iterator_tIbPdNS6_6detail10functional5actorINSH_9compositeIJNSH_27transparent_binary_operatorINS6_8equal_toIvEEEENSI_INSH_8argumentILj0EEEEENSH_5valueIdEEEEEEEEENSD_19counting_iterator_tIlEES8_S8_S8_S8_S8_S8_S8_S8_EEEEPS9_S9_NSD_9__find_if7functorIS9_EEEE10hipError_tPvRmT1_T2_T3_mT4_P12ihipStream_tbEUlT_E0_NS1_11comp_targetILNS1_3genE10ELNS1_11target_archE1200ELNS1_3gpuE4ELNS1_3repE0EEENS1_30default_config_static_selectorELNS0_4arch9wavefront6targetE1EEEvS17_,comdat
	.protected	_ZN7rocprim17ROCPRIM_400000_NS6detail17trampoline_kernelINS0_14default_configENS1_22reduce_config_selectorIN6thrust23THRUST_200600_302600_NS5tupleIblNS6_9null_typeES8_S8_S8_S8_S8_S8_S8_EEEEZNS1_11reduce_implILb1ES3_NS6_12zip_iteratorINS7_INS6_11hip_rocprim26transform_input_iterator_tIbPdNS6_6detail10functional5actorINSH_9compositeIJNSH_27transparent_binary_operatorINS6_8equal_toIvEEEENSI_INSH_8argumentILj0EEEEENSH_5valueIdEEEEEEEEENSD_19counting_iterator_tIlEES8_S8_S8_S8_S8_S8_S8_S8_EEEEPS9_S9_NSD_9__find_if7functorIS9_EEEE10hipError_tPvRmT1_T2_T3_mT4_P12ihipStream_tbEUlT_E0_NS1_11comp_targetILNS1_3genE10ELNS1_11target_archE1200ELNS1_3gpuE4ELNS1_3repE0EEENS1_30default_config_static_selectorELNS0_4arch9wavefront6targetE1EEEvS17_ ; -- Begin function _ZN7rocprim17ROCPRIM_400000_NS6detail17trampoline_kernelINS0_14default_configENS1_22reduce_config_selectorIN6thrust23THRUST_200600_302600_NS5tupleIblNS6_9null_typeES8_S8_S8_S8_S8_S8_S8_EEEEZNS1_11reduce_implILb1ES3_NS6_12zip_iteratorINS7_INS6_11hip_rocprim26transform_input_iterator_tIbPdNS6_6detail10functional5actorINSH_9compositeIJNSH_27transparent_binary_operatorINS6_8equal_toIvEEEENSI_INSH_8argumentILj0EEEEENSH_5valueIdEEEEEEEEENSD_19counting_iterator_tIlEES8_S8_S8_S8_S8_S8_S8_S8_EEEEPS9_S9_NSD_9__find_if7functorIS9_EEEE10hipError_tPvRmT1_T2_T3_mT4_P12ihipStream_tbEUlT_E0_NS1_11comp_targetILNS1_3genE10ELNS1_11target_archE1200ELNS1_3gpuE4ELNS1_3repE0EEENS1_30default_config_static_selectorELNS0_4arch9wavefront6targetE1EEEvS17_
	.globl	_ZN7rocprim17ROCPRIM_400000_NS6detail17trampoline_kernelINS0_14default_configENS1_22reduce_config_selectorIN6thrust23THRUST_200600_302600_NS5tupleIblNS6_9null_typeES8_S8_S8_S8_S8_S8_S8_EEEEZNS1_11reduce_implILb1ES3_NS6_12zip_iteratorINS7_INS6_11hip_rocprim26transform_input_iterator_tIbPdNS6_6detail10functional5actorINSH_9compositeIJNSH_27transparent_binary_operatorINS6_8equal_toIvEEEENSI_INSH_8argumentILj0EEEEENSH_5valueIdEEEEEEEEENSD_19counting_iterator_tIlEES8_S8_S8_S8_S8_S8_S8_S8_EEEEPS9_S9_NSD_9__find_if7functorIS9_EEEE10hipError_tPvRmT1_T2_T3_mT4_P12ihipStream_tbEUlT_E0_NS1_11comp_targetILNS1_3genE10ELNS1_11target_archE1200ELNS1_3gpuE4ELNS1_3repE0EEENS1_30default_config_static_selectorELNS0_4arch9wavefront6targetE1EEEvS17_
	.p2align	8
	.type	_ZN7rocprim17ROCPRIM_400000_NS6detail17trampoline_kernelINS0_14default_configENS1_22reduce_config_selectorIN6thrust23THRUST_200600_302600_NS5tupleIblNS6_9null_typeES8_S8_S8_S8_S8_S8_S8_EEEEZNS1_11reduce_implILb1ES3_NS6_12zip_iteratorINS7_INS6_11hip_rocprim26transform_input_iterator_tIbPdNS6_6detail10functional5actorINSH_9compositeIJNSH_27transparent_binary_operatorINS6_8equal_toIvEEEENSI_INSH_8argumentILj0EEEEENSH_5valueIdEEEEEEEEENSD_19counting_iterator_tIlEES8_S8_S8_S8_S8_S8_S8_S8_EEEEPS9_S9_NSD_9__find_if7functorIS9_EEEE10hipError_tPvRmT1_T2_T3_mT4_P12ihipStream_tbEUlT_E0_NS1_11comp_targetILNS1_3genE10ELNS1_11target_archE1200ELNS1_3gpuE4ELNS1_3repE0EEENS1_30default_config_static_selectorELNS0_4arch9wavefront6targetE1EEEvS17_,@function
_ZN7rocprim17ROCPRIM_400000_NS6detail17trampoline_kernelINS0_14default_configENS1_22reduce_config_selectorIN6thrust23THRUST_200600_302600_NS5tupleIblNS6_9null_typeES8_S8_S8_S8_S8_S8_S8_EEEEZNS1_11reduce_implILb1ES3_NS6_12zip_iteratorINS7_INS6_11hip_rocprim26transform_input_iterator_tIbPdNS6_6detail10functional5actorINSH_9compositeIJNSH_27transparent_binary_operatorINS6_8equal_toIvEEEENSI_INSH_8argumentILj0EEEEENSH_5valueIdEEEEEEEEENSD_19counting_iterator_tIlEES8_S8_S8_S8_S8_S8_S8_S8_EEEEPS9_S9_NSD_9__find_if7functorIS9_EEEE10hipError_tPvRmT1_T2_T3_mT4_P12ihipStream_tbEUlT_E0_NS1_11comp_targetILNS1_3genE10ELNS1_11target_archE1200ELNS1_3gpuE4ELNS1_3repE0EEENS1_30default_config_static_selectorELNS0_4arch9wavefront6targetE1EEEvS17_: ; @_ZN7rocprim17ROCPRIM_400000_NS6detail17trampoline_kernelINS0_14default_configENS1_22reduce_config_selectorIN6thrust23THRUST_200600_302600_NS5tupleIblNS6_9null_typeES8_S8_S8_S8_S8_S8_S8_EEEEZNS1_11reduce_implILb1ES3_NS6_12zip_iteratorINS7_INS6_11hip_rocprim26transform_input_iterator_tIbPdNS6_6detail10functional5actorINSH_9compositeIJNSH_27transparent_binary_operatorINS6_8equal_toIvEEEENSI_INSH_8argumentILj0EEEEENSH_5valueIdEEEEEEEEENSD_19counting_iterator_tIlEES8_S8_S8_S8_S8_S8_S8_S8_EEEEPS9_S9_NSD_9__find_if7functorIS9_EEEE10hipError_tPvRmT1_T2_T3_mT4_P12ihipStream_tbEUlT_E0_NS1_11comp_targetILNS1_3genE10ELNS1_11target_archE1200ELNS1_3gpuE4ELNS1_3repE0EEENS1_30default_config_static_selectorELNS0_4arch9wavefront6targetE1EEEvS17_
; %bb.0:
	.section	.rodata,"a",@progbits
	.p2align	6, 0x0
	.amdhsa_kernel _ZN7rocprim17ROCPRIM_400000_NS6detail17trampoline_kernelINS0_14default_configENS1_22reduce_config_selectorIN6thrust23THRUST_200600_302600_NS5tupleIblNS6_9null_typeES8_S8_S8_S8_S8_S8_S8_EEEEZNS1_11reduce_implILb1ES3_NS6_12zip_iteratorINS7_INS6_11hip_rocprim26transform_input_iterator_tIbPdNS6_6detail10functional5actorINSH_9compositeIJNSH_27transparent_binary_operatorINS6_8equal_toIvEEEENSI_INSH_8argumentILj0EEEEENSH_5valueIdEEEEEEEEENSD_19counting_iterator_tIlEES8_S8_S8_S8_S8_S8_S8_S8_EEEEPS9_S9_NSD_9__find_if7functorIS9_EEEE10hipError_tPvRmT1_T2_T3_mT4_P12ihipStream_tbEUlT_E0_NS1_11comp_targetILNS1_3genE10ELNS1_11target_archE1200ELNS1_3gpuE4ELNS1_3repE0EEENS1_30default_config_static_selectorELNS0_4arch9wavefront6targetE1EEEvS17_
		.amdhsa_group_segment_fixed_size 0
		.amdhsa_private_segment_fixed_size 0
		.amdhsa_kernarg_size 96
		.amdhsa_user_sgpr_count 6
		.amdhsa_user_sgpr_private_segment_buffer 1
		.amdhsa_user_sgpr_dispatch_ptr 0
		.amdhsa_user_sgpr_queue_ptr 0
		.amdhsa_user_sgpr_kernarg_segment_ptr 1
		.amdhsa_user_sgpr_dispatch_id 0
		.amdhsa_user_sgpr_flat_scratch_init 0
		.amdhsa_user_sgpr_private_segment_size 0
		.amdhsa_uses_dynamic_stack 0
		.amdhsa_system_sgpr_private_segment_wavefront_offset 0
		.amdhsa_system_sgpr_workgroup_id_x 1
		.amdhsa_system_sgpr_workgroup_id_y 0
		.amdhsa_system_sgpr_workgroup_id_z 0
		.amdhsa_system_sgpr_workgroup_info 0
		.amdhsa_system_vgpr_workitem_id 0
		.amdhsa_next_free_vgpr 1
		.amdhsa_next_free_sgpr 0
		.amdhsa_reserve_vcc 0
		.amdhsa_reserve_flat_scratch 0
		.amdhsa_float_round_mode_32 0
		.amdhsa_float_round_mode_16_64 0
		.amdhsa_float_denorm_mode_32 3
		.amdhsa_float_denorm_mode_16_64 3
		.amdhsa_dx10_clamp 1
		.amdhsa_ieee_mode 1
		.amdhsa_fp16_overflow 0
		.amdhsa_exception_fp_ieee_invalid_op 0
		.amdhsa_exception_fp_denorm_src 0
		.amdhsa_exception_fp_ieee_div_zero 0
		.amdhsa_exception_fp_ieee_overflow 0
		.amdhsa_exception_fp_ieee_underflow 0
		.amdhsa_exception_fp_ieee_inexact 0
		.amdhsa_exception_int_div_zero 0
	.end_amdhsa_kernel
	.section	.text._ZN7rocprim17ROCPRIM_400000_NS6detail17trampoline_kernelINS0_14default_configENS1_22reduce_config_selectorIN6thrust23THRUST_200600_302600_NS5tupleIblNS6_9null_typeES8_S8_S8_S8_S8_S8_S8_EEEEZNS1_11reduce_implILb1ES3_NS6_12zip_iteratorINS7_INS6_11hip_rocprim26transform_input_iterator_tIbPdNS6_6detail10functional5actorINSH_9compositeIJNSH_27transparent_binary_operatorINS6_8equal_toIvEEEENSI_INSH_8argumentILj0EEEEENSH_5valueIdEEEEEEEEENSD_19counting_iterator_tIlEES8_S8_S8_S8_S8_S8_S8_S8_EEEEPS9_S9_NSD_9__find_if7functorIS9_EEEE10hipError_tPvRmT1_T2_T3_mT4_P12ihipStream_tbEUlT_E0_NS1_11comp_targetILNS1_3genE10ELNS1_11target_archE1200ELNS1_3gpuE4ELNS1_3repE0EEENS1_30default_config_static_selectorELNS0_4arch9wavefront6targetE1EEEvS17_,"axG",@progbits,_ZN7rocprim17ROCPRIM_400000_NS6detail17trampoline_kernelINS0_14default_configENS1_22reduce_config_selectorIN6thrust23THRUST_200600_302600_NS5tupleIblNS6_9null_typeES8_S8_S8_S8_S8_S8_S8_EEEEZNS1_11reduce_implILb1ES3_NS6_12zip_iteratorINS7_INS6_11hip_rocprim26transform_input_iterator_tIbPdNS6_6detail10functional5actorINSH_9compositeIJNSH_27transparent_binary_operatorINS6_8equal_toIvEEEENSI_INSH_8argumentILj0EEEEENSH_5valueIdEEEEEEEEENSD_19counting_iterator_tIlEES8_S8_S8_S8_S8_S8_S8_S8_EEEEPS9_S9_NSD_9__find_if7functorIS9_EEEE10hipError_tPvRmT1_T2_T3_mT4_P12ihipStream_tbEUlT_E0_NS1_11comp_targetILNS1_3genE10ELNS1_11target_archE1200ELNS1_3gpuE4ELNS1_3repE0EEENS1_30default_config_static_selectorELNS0_4arch9wavefront6targetE1EEEvS17_,comdat
.Lfunc_end1730:
	.size	_ZN7rocprim17ROCPRIM_400000_NS6detail17trampoline_kernelINS0_14default_configENS1_22reduce_config_selectorIN6thrust23THRUST_200600_302600_NS5tupleIblNS6_9null_typeES8_S8_S8_S8_S8_S8_S8_EEEEZNS1_11reduce_implILb1ES3_NS6_12zip_iteratorINS7_INS6_11hip_rocprim26transform_input_iterator_tIbPdNS6_6detail10functional5actorINSH_9compositeIJNSH_27transparent_binary_operatorINS6_8equal_toIvEEEENSI_INSH_8argumentILj0EEEEENSH_5valueIdEEEEEEEEENSD_19counting_iterator_tIlEES8_S8_S8_S8_S8_S8_S8_S8_EEEEPS9_S9_NSD_9__find_if7functorIS9_EEEE10hipError_tPvRmT1_T2_T3_mT4_P12ihipStream_tbEUlT_E0_NS1_11comp_targetILNS1_3genE10ELNS1_11target_archE1200ELNS1_3gpuE4ELNS1_3repE0EEENS1_30default_config_static_selectorELNS0_4arch9wavefront6targetE1EEEvS17_, .Lfunc_end1730-_ZN7rocprim17ROCPRIM_400000_NS6detail17trampoline_kernelINS0_14default_configENS1_22reduce_config_selectorIN6thrust23THRUST_200600_302600_NS5tupleIblNS6_9null_typeES8_S8_S8_S8_S8_S8_S8_EEEEZNS1_11reduce_implILb1ES3_NS6_12zip_iteratorINS7_INS6_11hip_rocprim26transform_input_iterator_tIbPdNS6_6detail10functional5actorINSH_9compositeIJNSH_27transparent_binary_operatorINS6_8equal_toIvEEEENSI_INSH_8argumentILj0EEEEENSH_5valueIdEEEEEEEEENSD_19counting_iterator_tIlEES8_S8_S8_S8_S8_S8_S8_S8_EEEEPS9_S9_NSD_9__find_if7functorIS9_EEEE10hipError_tPvRmT1_T2_T3_mT4_P12ihipStream_tbEUlT_E0_NS1_11comp_targetILNS1_3genE10ELNS1_11target_archE1200ELNS1_3gpuE4ELNS1_3repE0EEENS1_30default_config_static_selectorELNS0_4arch9wavefront6targetE1EEEvS17_
                                        ; -- End function
	.set _ZN7rocprim17ROCPRIM_400000_NS6detail17trampoline_kernelINS0_14default_configENS1_22reduce_config_selectorIN6thrust23THRUST_200600_302600_NS5tupleIblNS6_9null_typeES8_S8_S8_S8_S8_S8_S8_EEEEZNS1_11reduce_implILb1ES3_NS6_12zip_iteratorINS7_INS6_11hip_rocprim26transform_input_iterator_tIbPdNS6_6detail10functional5actorINSH_9compositeIJNSH_27transparent_binary_operatorINS6_8equal_toIvEEEENSI_INSH_8argumentILj0EEEEENSH_5valueIdEEEEEEEEENSD_19counting_iterator_tIlEES8_S8_S8_S8_S8_S8_S8_S8_EEEEPS9_S9_NSD_9__find_if7functorIS9_EEEE10hipError_tPvRmT1_T2_T3_mT4_P12ihipStream_tbEUlT_E0_NS1_11comp_targetILNS1_3genE10ELNS1_11target_archE1200ELNS1_3gpuE4ELNS1_3repE0EEENS1_30default_config_static_selectorELNS0_4arch9wavefront6targetE1EEEvS17_.num_vgpr, 0
	.set _ZN7rocprim17ROCPRIM_400000_NS6detail17trampoline_kernelINS0_14default_configENS1_22reduce_config_selectorIN6thrust23THRUST_200600_302600_NS5tupleIblNS6_9null_typeES8_S8_S8_S8_S8_S8_S8_EEEEZNS1_11reduce_implILb1ES3_NS6_12zip_iteratorINS7_INS6_11hip_rocprim26transform_input_iterator_tIbPdNS6_6detail10functional5actorINSH_9compositeIJNSH_27transparent_binary_operatorINS6_8equal_toIvEEEENSI_INSH_8argumentILj0EEEEENSH_5valueIdEEEEEEEEENSD_19counting_iterator_tIlEES8_S8_S8_S8_S8_S8_S8_S8_EEEEPS9_S9_NSD_9__find_if7functorIS9_EEEE10hipError_tPvRmT1_T2_T3_mT4_P12ihipStream_tbEUlT_E0_NS1_11comp_targetILNS1_3genE10ELNS1_11target_archE1200ELNS1_3gpuE4ELNS1_3repE0EEENS1_30default_config_static_selectorELNS0_4arch9wavefront6targetE1EEEvS17_.num_agpr, 0
	.set _ZN7rocprim17ROCPRIM_400000_NS6detail17trampoline_kernelINS0_14default_configENS1_22reduce_config_selectorIN6thrust23THRUST_200600_302600_NS5tupleIblNS6_9null_typeES8_S8_S8_S8_S8_S8_S8_EEEEZNS1_11reduce_implILb1ES3_NS6_12zip_iteratorINS7_INS6_11hip_rocprim26transform_input_iterator_tIbPdNS6_6detail10functional5actorINSH_9compositeIJNSH_27transparent_binary_operatorINS6_8equal_toIvEEEENSI_INSH_8argumentILj0EEEEENSH_5valueIdEEEEEEEEENSD_19counting_iterator_tIlEES8_S8_S8_S8_S8_S8_S8_S8_EEEEPS9_S9_NSD_9__find_if7functorIS9_EEEE10hipError_tPvRmT1_T2_T3_mT4_P12ihipStream_tbEUlT_E0_NS1_11comp_targetILNS1_3genE10ELNS1_11target_archE1200ELNS1_3gpuE4ELNS1_3repE0EEENS1_30default_config_static_selectorELNS0_4arch9wavefront6targetE1EEEvS17_.numbered_sgpr, 0
	.set _ZN7rocprim17ROCPRIM_400000_NS6detail17trampoline_kernelINS0_14default_configENS1_22reduce_config_selectorIN6thrust23THRUST_200600_302600_NS5tupleIblNS6_9null_typeES8_S8_S8_S8_S8_S8_S8_EEEEZNS1_11reduce_implILb1ES3_NS6_12zip_iteratorINS7_INS6_11hip_rocprim26transform_input_iterator_tIbPdNS6_6detail10functional5actorINSH_9compositeIJNSH_27transparent_binary_operatorINS6_8equal_toIvEEEENSI_INSH_8argumentILj0EEEEENSH_5valueIdEEEEEEEEENSD_19counting_iterator_tIlEES8_S8_S8_S8_S8_S8_S8_S8_EEEEPS9_S9_NSD_9__find_if7functorIS9_EEEE10hipError_tPvRmT1_T2_T3_mT4_P12ihipStream_tbEUlT_E0_NS1_11comp_targetILNS1_3genE10ELNS1_11target_archE1200ELNS1_3gpuE4ELNS1_3repE0EEENS1_30default_config_static_selectorELNS0_4arch9wavefront6targetE1EEEvS17_.num_named_barrier, 0
	.set _ZN7rocprim17ROCPRIM_400000_NS6detail17trampoline_kernelINS0_14default_configENS1_22reduce_config_selectorIN6thrust23THRUST_200600_302600_NS5tupleIblNS6_9null_typeES8_S8_S8_S8_S8_S8_S8_EEEEZNS1_11reduce_implILb1ES3_NS6_12zip_iteratorINS7_INS6_11hip_rocprim26transform_input_iterator_tIbPdNS6_6detail10functional5actorINSH_9compositeIJNSH_27transparent_binary_operatorINS6_8equal_toIvEEEENSI_INSH_8argumentILj0EEEEENSH_5valueIdEEEEEEEEENSD_19counting_iterator_tIlEES8_S8_S8_S8_S8_S8_S8_S8_EEEEPS9_S9_NSD_9__find_if7functorIS9_EEEE10hipError_tPvRmT1_T2_T3_mT4_P12ihipStream_tbEUlT_E0_NS1_11comp_targetILNS1_3genE10ELNS1_11target_archE1200ELNS1_3gpuE4ELNS1_3repE0EEENS1_30default_config_static_selectorELNS0_4arch9wavefront6targetE1EEEvS17_.private_seg_size, 0
	.set _ZN7rocprim17ROCPRIM_400000_NS6detail17trampoline_kernelINS0_14default_configENS1_22reduce_config_selectorIN6thrust23THRUST_200600_302600_NS5tupleIblNS6_9null_typeES8_S8_S8_S8_S8_S8_S8_EEEEZNS1_11reduce_implILb1ES3_NS6_12zip_iteratorINS7_INS6_11hip_rocprim26transform_input_iterator_tIbPdNS6_6detail10functional5actorINSH_9compositeIJNSH_27transparent_binary_operatorINS6_8equal_toIvEEEENSI_INSH_8argumentILj0EEEEENSH_5valueIdEEEEEEEEENSD_19counting_iterator_tIlEES8_S8_S8_S8_S8_S8_S8_S8_EEEEPS9_S9_NSD_9__find_if7functorIS9_EEEE10hipError_tPvRmT1_T2_T3_mT4_P12ihipStream_tbEUlT_E0_NS1_11comp_targetILNS1_3genE10ELNS1_11target_archE1200ELNS1_3gpuE4ELNS1_3repE0EEENS1_30default_config_static_selectorELNS0_4arch9wavefront6targetE1EEEvS17_.uses_vcc, 0
	.set _ZN7rocprim17ROCPRIM_400000_NS6detail17trampoline_kernelINS0_14default_configENS1_22reduce_config_selectorIN6thrust23THRUST_200600_302600_NS5tupleIblNS6_9null_typeES8_S8_S8_S8_S8_S8_S8_EEEEZNS1_11reduce_implILb1ES3_NS6_12zip_iteratorINS7_INS6_11hip_rocprim26transform_input_iterator_tIbPdNS6_6detail10functional5actorINSH_9compositeIJNSH_27transparent_binary_operatorINS6_8equal_toIvEEEENSI_INSH_8argumentILj0EEEEENSH_5valueIdEEEEEEEEENSD_19counting_iterator_tIlEES8_S8_S8_S8_S8_S8_S8_S8_EEEEPS9_S9_NSD_9__find_if7functorIS9_EEEE10hipError_tPvRmT1_T2_T3_mT4_P12ihipStream_tbEUlT_E0_NS1_11comp_targetILNS1_3genE10ELNS1_11target_archE1200ELNS1_3gpuE4ELNS1_3repE0EEENS1_30default_config_static_selectorELNS0_4arch9wavefront6targetE1EEEvS17_.uses_flat_scratch, 0
	.set _ZN7rocprim17ROCPRIM_400000_NS6detail17trampoline_kernelINS0_14default_configENS1_22reduce_config_selectorIN6thrust23THRUST_200600_302600_NS5tupleIblNS6_9null_typeES8_S8_S8_S8_S8_S8_S8_EEEEZNS1_11reduce_implILb1ES3_NS6_12zip_iteratorINS7_INS6_11hip_rocprim26transform_input_iterator_tIbPdNS6_6detail10functional5actorINSH_9compositeIJNSH_27transparent_binary_operatorINS6_8equal_toIvEEEENSI_INSH_8argumentILj0EEEEENSH_5valueIdEEEEEEEEENSD_19counting_iterator_tIlEES8_S8_S8_S8_S8_S8_S8_S8_EEEEPS9_S9_NSD_9__find_if7functorIS9_EEEE10hipError_tPvRmT1_T2_T3_mT4_P12ihipStream_tbEUlT_E0_NS1_11comp_targetILNS1_3genE10ELNS1_11target_archE1200ELNS1_3gpuE4ELNS1_3repE0EEENS1_30default_config_static_selectorELNS0_4arch9wavefront6targetE1EEEvS17_.has_dyn_sized_stack, 0
	.set _ZN7rocprim17ROCPRIM_400000_NS6detail17trampoline_kernelINS0_14default_configENS1_22reduce_config_selectorIN6thrust23THRUST_200600_302600_NS5tupleIblNS6_9null_typeES8_S8_S8_S8_S8_S8_S8_EEEEZNS1_11reduce_implILb1ES3_NS6_12zip_iteratorINS7_INS6_11hip_rocprim26transform_input_iterator_tIbPdNS6_6detail10functional5actorINSH_9compositeIJNSH_27transparent_binary_operatorINS6_8equal_toIvEEEENSI_INSH_8argumentILj0EEEEENSH_5valueIdEEEEEEEEENSD_19counting_iterator_tIlEES8_S8_S8_S8_S8_S8_S8_S8_EEEEPS9_S9_NSD_9__find_if7functorIS9_EEEE10hipError_tPvRmT1_T2_T3_mT4_P12ihipStream_tbEUlT_E0_NS1_11comp_targetILNS1_3genE10ELNS1_11target_archE1200ELNS1_3gpuE4ELNS1_3repE0EEENS1_30default_config_static_selectorELNS0_4arch9wavefront6targetE1EEEvS17_.has_recursion, 0
	.set _ZN7rocprim17ROCPRIM_400000_NS6detail17trampoline_kernelINS0_14default_configENS1_22reduce_config_selectorIN6thrust23THRUST_200600_302600_NS5tupleIblNS6_9null_typeES8_S8_S8_S8_S8_S8_S8_EEEEZNS1_11reduce_implILb1ES3_NS6_12zip_iteratorINS7_INS6_11hip_rocprim26transform_input_iterator_tIbPdNS6_6detail10functional5actorINSH_9compositeIJNSH_27transparent_binary_operatorINS6_8equal_toIvEEEENSI_INSH_8argumentILj0EEEEENSH_5valueIdEEEEEEEEENSD_19counting_iterator_tIlEES8_S8_S8_S8_S8_S8_S8_S8_EEEEPS9_S9_NSD_9__find_if7functorIS9_EEEE10hipError_tPvRmT1_T2_T3_mT4_P12ihipStream_tbEUlT_E0_NS1_11comp_targetILNS1_3genE10ELNS1_11target_archE1200ELNS1_3gpuE4ELNS1_3repE0EEENS1_30default_config_static_selectorELNS0_4arch9wavefront6targetE1EEEvS17_.has_indirect_call, 0
	.section	.AMDGPU.csdata,"",@progbits
; Kernel info:
; codeLenInByte = 0
; TotalNumSgprs: 4
; NumVgprs: 0
; ScratchSize: 0
; MemoryBound: 0
; FloatMode: 240
; IeeeMode: 1
; LDSByteSize: 0 bytes/workgroup (compile time only)
; SGPRBlocks: 0
; VGPRBlocks: 0
; NumSGPRsForWavesPerEU: 4
; NumVGPRsForWavesPerEU: 1
; Occupancy: 10
; WaveLimiterHint : 0
; COMPUTE_PGM_RSRC2:SCRATCH_EN: 0
; COMPUTE_PGM_RSRC2:USER_SGPR: 6
; COMPUTE_PGM_RSRC2:TRAP_HANDLER: 0
; COMPUTE_PGM_RSRC2:TGID_X_EN: 1
; COMPUTE_PGM_RSRC2:TGID_Y_EN: 0
; COMPUTE_PGM_RSRC2:TGID_Z_EN: 0
; COMPUTE_PGM_RSRC2:TIDIG_COMP_CNT: 0
	.section	.text._ZN7rocprim17ROCPRIM_400000_NS6detail17trampoline_kernelINS0_14default_configENS1_22reduce_config_selectorIN6thrust23THRUST_200600_302600_NS5tupleIblNS6_9null_typeES8_S8_S8_S8_S8_S8_S8_EEEEZNS1_11reduce_implILb1ES3_NS6_12zip_iteratorINS7_INS6_11hip_rocprim26transform_input_iterator_tIbPdNS6_6detail10functional5actorINSH_9compositeIJNSH_27transparent_binary_operatorINS6_8equal_toIvEEEENSI_INSH_8argumentILj0EEEEENSH_5valueIdEEEEEEEEENSD_19counting_iterator_tIlEES8_S8_S8_S8_S8_S8_S8_S8_EEEEPS9_S9_NSD_9__find_if7functorIS9_EEEE10hipError_tPvRmT1_T2_T3_mT4_P12ihipStream_tbEUlT_E0_NS1_11comp_targetILNS1_3genE9ELNS1_11target_archE1100ELNS1_3gpuE3ELNS1_3repE0EEENS1_30default_config_static_selectorELNS0_4arch9wavefront6targetE1EEEvS17_,"axG",@progbits,_ZN7rocprim17ROCPRIM_400000_NS6detail17trampoline_kernelINS0_14default_configENS1_22reduce_config_selectorIN6thrust23THRUST_200600_302600_NS5tupleIblNS6_9null_typeES8_S8_S8_S8_S8_S8_S8_EEEEZNS1_11reduce_implILb1ES3_NS6_12zip_iteratorINS7_INS6_11hip_rocprim26transform_input_iterator_tIbPdNS6_6detail10functional5actorINSH_9compositeIJNSH_27transparent_binary_operatorINS6_8equal_toIvEEEENSI_INSH_8argumentILj0EEEEENSH_5valueIdEEEEEEEEENSD_19counting_iterator_tIlEES8_S8_S8_S8_S8_S8_S8_S8_EEEEPS9_S9_NSD_9__find_if7functorIS9_EEEE10hipError_tPvRmT1_T2_T3_mT4_P12ihipStream_tbEUlT_E0_NS1_11comp_targetILNS1_3genE9ELNS1_11target_archE1100ELNS1_3gpuE3ELNS1_3repE0EEENS1_30default_config_static_selectorELNS0_4arch9wavefront6targetE1EEEvS17_,comdat
	.protected	_ZN7rocprim17ROCPRIM_400000_NS6detail17trampoline_kernelINS0_14default_configENS1_22reduce_config_selectorIN6thrust23THRUST_200600_302600_NS5tupleIblNS6_9null_typeES8_S8_S8_S8_S8_S8_S8_EEEEZNS1_11reduce_implILb1ES3_NS6_12zip_iteratorINS7_INS6_11hip_rocprim26transform_input_iterator_tIbPdNS6_6detail10functional5actorINSH_9compositeIJNSH_27transparent_binary_operatorINS6_8equal_toIvEEEENSI_INSH_8argumentILj0EEEEENSH_5valueIdEEEEEEEEENSD_19counting_iterator_tIlEES8_S8_S8_S8_S8_S8_S8_S8_EEEEPS9_S9_NSD_9__find_if7functorIS9_EEEE10hipError_tPvRmT1_T2_T3_mT4_P12ihipStream_tbEUlT_E0_NS1_11comp_targetILNS1_3genE9ELNS1_11target_archE1100ELNS1_3gpuE3ELNS1_3repE0EEENS1_30default_config_static_selectorELNS0_4arch9wavefront6targetE1EEEvS17_ ; -- Begin function _ZN7rocprim17ROCPRIM_400000_NS6detail17trampoline_kernelINS0_14default_configENS1_22reduce_config_selectorIN6thrust23THRUST_200600_302600_NS5tupleIblNS6_9null_typeES8_S8_S8_S8_S8_S8_S8_EEEEZNS1_11reduce_implILb1ES3_NS6_12zip_iteratorINS7_INS6_11hip_rocprim26transform_input_iterator_tIbPdNS6_6detail10functional5actorINSH_9compositeIJNSH_27transparent_binary_operatorINS6_8equal_toIvEEEENSI_INSH_8argumentILj0EEEEENSH_5valueIdEEEEEEEEENSD_19counting_iterator_tIlEES8_S8_S8_S8_S8_S8_S8_S8_EEEEPS9_S9_NSD_9__find_if7functorIS9_EEEE10hipError_tPvRmT1_T2_T3_mT4_P12ihipStream_tbEUlT_E0_NS1_11comp_targetILNS1_3genE9ELNS1_11target_archE1100ELNS1_3gpuE3ELNS1_3repE0EEENS1_30default_config_static_selectorELNS0_4arch9wavefront6targetE1EEEvS17_
	.globl	_ZN7rocprim17ROCPRIM_400000_NS6detail17trampoline_kernelINS0_14default_configENS1_22reduce_config_selectorIN6thrust23THRUST_200600_302600_NS5tupleIblNS6_9null_typeES8_S8_S8_S8_S8_S8_S8_EEEEZNS1_11reduce_implILb1ES3_NS6_12zip_iteratorINS7_INS6_11hip_rocprim26transform_input_iterator_tIbPdNS6_6detail10functional5actorINSH_9compositeIJNSH_27transparent_binary_operatorINS6_8equal_toIvEEEENSI_INSH_8argumentILj0EEEEENSH_5valueIdEEEEEEEEENSD_19counting_iterator_tIlEES8_S8_S8_S8_S8_S8_S8_S8_EEEEPS9_S9_NSD_9__find_if7functorIS9_EEEE10hipError_tPvRmT1_T2_T3_mT4_P12ihipStream_tbEUlT_E0_NS1_11comp_targetILNS1_3genE9ELNS1_11target_archE1100ELNS1_3gpuE3ELNS1_3repE0EEENS1_30default_config_static_selectorELNS0_4arch9wavefront6targetE1EEEvS17_
	.p2align	8
	.type	_ZN7rocprim17ROCPRIM_400000_NS6detail17trampoline_kernelINS0_14default_configENS1_22reduce_config_selectorIN6thrust23THRUST_200600_302600_NS5tupleIblNS6_9null_typeES8_S8_S8_S8_S8_S8_S8_EEEEZNS1_11reduce_implILb1ES3_NS6_12zip_iteratorINS7_INS6_11hip_rocprim26transform_input_iterator_tIbPdNS6_6detail10functional5actorINSH_9compositeIJNSH_27transparent_binary_operatorINS6_8equal_toIvEEEENSI_INSH_8argumentILj0EEEEENSH_5valueIdEEEEEEEEENSD_19counting_iterator_tIlEES8_S8_S8_S8_S8_S8_S8_S8_EEEEPS9_S9_NSD_9__find_if7functorIS9_EEEE10hipError_tPvRmT1_T2_T3_mT4_P12ihipStream_tbEUlT_E0_NS1_11comp_targetILNS1_3genE9ELNS1_11target_archE1100ELNS1_3gpuE3ELNS1_3repE0EEENS1_30default_config_static_selectorELNS0_4arch9wavefront6targetE1EEEvS17_,@function
_ZN7rocprim17ROCPRIM_400000_NS6detail17trampoline_kernelINS0_14default_configENS1_22reduce_config_selectorIN6thrust23THRUST_200600_302600_NS5tupleIblNS6_9null_typeES8_S8_S8_S8_S8_S8_S8_EEEEZNS1_11reduce_implILb1ES3_NS6_12zip_iteratorINS7_INS6_11hip_rocprim26transform_input_iterator_tIbPdNS6_6detail10functional5actorINSH_9compositeIJNSH_27transparent_binary_operatorINS6_8equal_toIvEEEENSI_INSH_8argumentILj0EEEEENSH_5valueIdEEEEEEEEENSD_19counting_iterator_tIlEES8_S8_S8_S8_S8_S8_S8_S8_EEEEPS9_S9_NSD_9__find_if7functorIS9_EEEE10hipError_tPvRmT1_T2_T3_mT4_P12ihipStream_tbEUlT_E0_NS1_11comp_targetILNS1_3genE9ELNS1_11target_archE1100ELNS1_3gpuE3ELNS1_3repE0EEENS1_30default_config_static_selectorELNS0_4arch9wavefront6targetE1EEEvS17_: ; @_ZN7rocprim17ROCPRIM_400000_NS6detail17trampoline_kernelINS0_14default_configENS1_22reduce_config_selectorIN6thrust23THRUST_200600_302600_NS5tupleIblNS6_9null_typeES8_S8_S8_S8_S8_S8_S8_EEEEZNS1_11reduce_implILb1ES3_NS6_12zip_iteratorINS7_INS6_11hip_rocprim26transform_input_iterator_tIbPdNS6_6detail10functional5actorINSH_9compositeIJNSH_27transparent_binary_operatorINS6_8equal_toIvEEEENSI_INSH_8argumentILj0EEEEENSH_5valueIdEEEEEEEEENSD_19counting_iterator_tIlEES8_S8_S8_S8_S8_S8_S8_S8_EEEEPS9_S9_NSD_9__find_if7functorIS9_EEEE10hipError_tPvRmT1_T2_T3_mT4_P12ihipStream_tbEUlT_E0_NS1_11comp_targetILNS1_3genE9ELNS1_11target_archE1100ELNS1_3gpuE3ELNS1_3repE0EEENS1_30default_config_static_selectorELNS0_4arch9wavefront6targetE1EEEvS17_
; %bb.0:
	.section	.rodata,"a",@progbits
	.p2align	6, 0x0
	.amdhsa_kernel _ZN7rocprim17ROCPRIM_400000_NS6detail17trampoline_kernelINS0_14default_configENS1_22reduce_config_selectorIN6thrust23THRUST_200600_302600_NS5tupleIblNS6_9null_typeES8_S8_S8_S8_S8_S8_S8_EEEEZNS1_11reduce_implILb1ES3_NS6_12zip_iteratorINS7_INS6_11hip_rocprim26transform_input_iterator_tIbPdNS6_6detail10functional5actorINSH_9compositeIJNSH_27transparent_binary_operatorINS6_8equal_toIvEEEENSI_INSH_8argumentILj0EEEEENSH_5valueIdEEEEEEEEENSD_19counting_iterator_tIlEES8_S8_S8_S8_S8_S8_S8_S8_EEEEPS9_S9_NSD_9__find_if7functorIS9_EEEE10hipError_tPvRmT1_T2_T3_mT4_P12ihipStream_tbEUlT_E0_NS1_11comp_targetILNS1_3genE9ELNS1_11target_archE1100ELNS1_3gpuE3ELNS1_3repE0EEENS1_30default_config_static_selectorELNS0_4arch9wavefront6targetE1EEEvS17_
		.amdhsa_group_segment_fixed_size 0
		.amdhsa_private_segment_fixed_size 0
		.amdhsa_kernarg_size 96
		.amdhsa_user_sgpr_count 6
		.amdhsa_user_sgpr_private_segment_buffer 1
		.amdhsa_user_sgpr_dispatch_ptr 0
		.amdhsa_user_sgpr_queue_ptr 0
		.amdhsa_user_sgpr_kernarg_segment_ptr 1
		.amdhsa_user_sgpr_dispatch_id 0
		.amdhsa_user_sgpr_flat_scratch_init 0
		.amdhsa_user_sgpr_private_segment_size 0
		.amdhsa_uses_dynamic_stack 0
		.amdhsa_system_sgpr_private_segment_wavefront_offset 0
		.amdhsa_system_sgpr_workgroup_id_x 1
		.amdhsa_system_sgpr_workgroup_id_y 0
		.amdhsa_system_sgpr_workgroup_id_z 0
		.amdhsa_system_sgpr_workgroup_info 0
		.amdhsa_system_vgpr_workitem_id 0
		.amdhsa_next_free_vgpr 1
		.amdhsa_next_free_sgpr 0
		.amdhsa_reserve_vcc 0
		.amdhsa_reserve_flat_scratch 0
		.amdhsa_float_round_mode_32 0
		.amdhsa_float_round_mode_16_64 0
		.amdhsa_float_denorm_mode_32 3
		.amdhsa_float_denorm_mode_16_64 3
		.amdhsa_dx10_clamp 1
		.amdhsa_ieee_mode 1
		.amdhsa_fp16_overflow 0
		.amdhsa_exception_fp_ieee_invalid_op 0
		.amdhsa_exception_fp_denorm_src 0
		.amdhsa_exception_fp_ieee_div_zero 0
		.amdhsa_exception_fp_ieee_overflow 0
		.amdhsa_exception_fp_ieee_underflow 0
		.amdhsa_exception_fp_ieee_inexact 0
		.amdhsa_exception_int_div_zero 0
	.end_amdhsa_kernel
	.section	.text._ZN7rocprim17ROCPRIM_400000_NS6detail17trampoline_kernelINS0_14default_configENS1_22reduce_config_selectorIN6thrust23THRUST_200600_302600_NS5tupleIblNS6_9null_typeES8_S8_S8_S8_S8_S8_S8_EEEEZNS1_11reduce_implILb1ES3_NS6_12zip_iteratorINS7_INS6_11hip_rocprim26transform_input_iterator_tIbPdNS6_6detail10functional5actorINSH_9compositeIJNSH_27transparent_binary_operatorINS6_8equal_toIvEEEENSI_INSH_8argumentILj0EEEEENSH_5valueIdEEEEEEEEENSD_19counting_iterator_tIlEES8_S8_S8_S8_S8_S8_S8_S8_EEEEPS9_S9_NSD_9__find_if7functorIS9_EEEE10hipError_tPvRmT1_T2_T3_mT4_P12ihipStream_tbEUlT_E0_NS1_11comp_targetILNS1_3genE9ELNS1_11target_archE1100ELNS1_3gpuE3ELNS1_3repE0EEENS1_30default_config_static_selectorELNS0_4arch9wavefront6targetE1EEEvS17_,"axG",@progbits,_ZN7rocprim17ROCPRIM_400000_NS6detail17trampoline_kernelINS0_14default_configENS1_22reduce_config_selectorIN6thrust23THRUST_200600_302600_NS5tupleIblNS6_9null_typeES8_S8_S8_S8_S8_S8_S8_EEEEZNS1_11reduce_implILb1ES3_NS6_12zip_iteratorINS7_INS6_11hip_rocprim26transform_input_iterator_tIbPdNS6_6detail10functional5actorINSH_9compositeIJNSH_27transparent_binary_operatorINS6_8equal_toIvEEEENSI_INSH_8argumentILj0EEEEENSH_5valueIdEEEEEEEEENSD_19counting_iterator_tIlEES8_S8_S8_S8_S8_S8_S8_S8_EEEEPS9_S9_NSD_9__find_if7functorIS9_EEEE10hipError_tPvRmT1_T2_T3_mT4_P12ihipStream_tbEUlT_E0_NS1_11comp_targetILNS1_3genE9ELNS1_11target_archE1100ELNS1_3gpuE3ELNS1_3repE0EEENS1_30default_config_static_selectorELNS0_4arch9wavefront6targetE1EEEvS17_,comdat
.Lfunc_end1731:
	.size	_ZN7rocprim17ROCPRIM_400000_NS6detail17trampoline_kernelINS0_14default_configENS1_22reduce_config_selectorIN6thrust23THRUST_200600_302600_NS5tupleIblNS6_9null_typeES8_S8_S8_S8_S8_S8_S8_EEEEZNS1_11reduce_implILb1ES3_NS6_12zip_iteratorINS7_INS6_11hip_rocprim26transform_input_iterator_tIbPdNS6_6detail10functional5actorINSH_9compositeIJNSH_27transparent_binary_operatorINS6_8equal_toIvEEEENSI_INSH_8argumentILj0EEEEENSH_5valueIdEEEEEEEEENSD_19counting_iterator_tIlEES8_S8_S8_S8_S8_S8_S8_S8_EEEEPS9_S9_NSD_9__find_if7functorIS9_EEEE10hipError_tPvRmT1_T2_T3_mT4_P12ihipStream_tbEUlT_E0_NS1_11comp_targetILNS1_3genE9ELNS1_11target_archE1100ELNS1_3gpuE3ELNS1_3repE0EEENS1_30default_config_static_selectorELNS0_4arch9wavefront6targetE1EEEvS17_, .Lfunc_end1731-_ZN7rocprim17ROCPRIM_400000_NS6detail17trampoline_kernelINS0_14default_configENS1_22reduce_config_selectorIN6thrust23THRUST_200600_302600_NS5tupleIblNS6_9null_typeES8_S8_S8_S8_S8_S8_S8_EEEEZNS1_11reduce_implILb1ES3_NS6_12zip_iteratorINS7_INS6_11hip_rocprim26transform_input_iterator_tIbPdNS6_6detail10functional5actorINSH_9compositeIJNSH_27transparent_binary_operatorINS6_8equal_toIvEEEENSI_INSH_8argumentILj0EEEEENSH_5valueIdEEEEEEEEENSD_19counting_iterator_tIlEES8_S8_S8_S8_S8_S8_S8_S8_EEEEPS9_S9_NSD_9__find_if7functorIS9_EEEE10hipError_tPvRmT1_T2_T3_mT4_P12ihipStream_tbEUlT_E0_NS1_11comp_targetILNS1_3genE9ELNS1_11target_archE1100ELNS1_3gpuE3ELNS1_3repE0EEENS1_30default_config_static_selectorELNS0_4arch9wavefront6targetE1EEEvS17_
                                        ; -- End function
	.set _ZN7rocprim17ROCPRIM_400000_NS6detail17trampoline_kernelINS0_14default_configENS1_22reduce_config_selectorIN6thrust23THRUST_200600_302600_NS5tupleIblNS6_9null_typeES8_S8_S8_S8_S8_S8_S8_EEEEZNS1_11reduce_implILb1ES3_NS6_12zip_iteratorINS7_INS6_11hip_rocprim26transform_input_iterator_tIbPdNS6_6detail10functional5actorINSH_9compositeIJNSH_27transparent_binary_operatorINS6_8equal_toIvEEEENSI_INSH_8argumentILj0EEEEENSH_5valueIdEEEEEEEEENSD_19counting_iterator_tIlEES8_S8_S8_S8_S8_S8_S8_S8_EEEEPS9_S9_NSD_9__find_if7functorIS9_EEEE10hipError_tPvRmT1_T2_T3_mT4_P12ihipStream_tbEUlT_E0_NS1_11comp_targetILNS1_3genE9ELNS1_11target_archE1100ELNS1_3gpuE3ELNS1_3repE0EEENS1_30default_config_static_selectorELNS0_4arch9wavefront6targetE1EEEvS17_.num_vgpr, 0
	.set _ZN7rocprim17ROCPRIM_400000_NS6detail17trampoline_kernelINS0_14default_configENS1_22reduce_config_selectorIN6thrust23THRUST_200600_302600_NS5tupleIblNS6_9null_typeES8_S8_S8_S8_S8_S8_S8_EEEEZNS1_11reduce_implILb1ES3_NS6_12zip_iteratorINS7_INS6_11hip_rocprim26transform_input_iterator_tIbPdNS6_6detail10functional5actorINSH_9compositeIJNSH_27transparent_binary_operatorINS6_8equal_toIvEEEENSI_INSH_8argumentILj0EEEEENSH_5valueIdEEEEEEEEENSD_19counting_iterator_tIlEES8_S8_S8_S8_S8_S8_S8_S8_EEEEPS9_S9_NSD_9__find_if7functorIS9_EEEE10hipError_tPvRmT1_T2_T3_mT4_P12ihipStream_tbEUlT_E0_NS1_11comp_targetILNS1_3genE9ELNS1_11target_archE1100ELNS1_3gpuE3ELNS1_3repE0EEENS1_30default_config_static_selectorELNS0_4arch9wavefront6targetE1EEEvS17_.num_agpr, 0
	.set _ZN7rocprim17ROCPRIM_400000_NS6detail17trampoline_kernelINS0_14default_configENS1_22reduce_config_selectorIN6thrust23THRUST_200600_302600_NS5tupleIblNS6_9null_typeES8_S8_S8_S8_S8_S8_S8_EEEEZNS1_11reduce_implILb1ES3_NS6_12zip_iteratorINS7_INS6_11hip_rocprim26transform_input_iterator_tIbPdNS6_6detail10functional5actorINSH_9compositeIJNSH_27transparent_binary_operatorINS6_8equal_toIvEEEENSI_INSH_8argumentILj0EEEEENSH_5valueIdEEEEEEEEENSD_19counting_iterator_tIlEES8_S8_S8_S8_S8_S8_S8_S8_EEEEPS9_S9_NSD_9__find_if7functorIS9_EEEE10hipError_tPvRmT1_T2_T3_mT4_P12ihipStream_tbEUlT_E0_NS1_11comp_targetILNS1_3genE9ELNS1_11target_archE1100ELNS1_3gpuE3ELNS1_3repE0EEENS1_30default_config_static_selectorELNS0_4arch9wavefront6targetE1EEEvS17_.numbered_sgpr, 0
	.set _ZN7rocprim17ROCPRIM_400000_NS6detail17trampoline_kernelINS0_14default_configENS1_22reduce_config_selectorIN6thrust23THRUST_200600_302600_NS5tupleIblNS6_9null_typeES8_S8_S8_S8_S8_S8_S8_EEEEZNS1_11reduce_implILb1ES3_NS6_12zip_iteratorINS7_INS6_11hip_rocprim26transform_input_iterator_tIbPdNS6_6detail10functional5actorINSH_9compositeIJNSH_27transparent_binary_operatorINS6_8equal_toIvEEEENSI_INSH_8argumentILj0EEEEENSH_5valueIdEEEEEEEEENSD_19counting_iterator_tIlEES8_S8_S8_S8_S8_S8_S8_S8_EEEEPS9_S9_NSD_9__find_if7functorIS9_EEEE10hipError_tPvRmT1_T2_T3_mT4_P12ihipStream_tbEUlT_E0_NS1_11comp_targetILNS1_3genE9ELNS1_11target_archE1100ELNS1_3gpuE3ELNS1_3repE0EEENS1_30default_config_static_selectorELNS0_4arch9wavefront6targetE1EEEvS17_.num_named_barrier, 0
	.set _ZN7rocprim17ROCPRIM_400000_NS6detail17trampoline_kernelINS0_14default_configENS1_22reduce_config_selectorIN6thrust23THRUST_200600_302600_NS5tupleIblNS6_9null_typeES8_S8_S8_S8_S8_S8_S8_EEEEZNS1_11reduce_implILb1ES3_NS6_12zip_iteratorINS7_INS6_11hip_rocprim26transform_input_iterator_tIbPdNS6_6detail10functional5actorINSH_9compositeIJNSH_27transparent_binary_operatorINS6_8equal_toIvEEEENSI_INSH_8argumentILj0EEEEENSH_5valueIdEEEEEEEEENSD_19counting_iterator_tIlEES8_S8_S8_S8_S8_S8_S8_S8_EEEEPS9_S9_NSD_9__find_if7functorIS9_EEEE10hipError_tPvRmT1_T2_T3_mT4_P12ihipStream_tbEUlT_E0_NS1_11comp_targetILNS1_3genE9ELNS1_11target_archE1100ELNS1_3gpuE3ELNS1_3repE0EEENS1_30default_config_static_selectorELNS0_4arch9wavefront6targetE1EEEvS17_.private_seg_size, 0
	.set _ZN7rocprim17ROCPRIM_400000_NS6detail17trampoline_kernelINS0_14default_configENS1_22reduce_config_selectorIN6thrust23THRUST_200600_302600_NS5tupleIblNS6_9null_typeES8_S8_S8_S8_S8_S8_S8_EEEEZNS1_11reduce_implILb1ES3_NS6_12zip_iteratorINS7_INS6_11hip_rocprim26transform_input_iterator_tIbPdNS6_6detail10functional5actorINSH_9compositeIJNSH_27transparent_binary_operatorINS6_8equal_toIvEEEENSI_INSH_8argumentILj0EEEEENSH_5valueIdEEEEEEEEENSD_19counting_iterator_tIlEES8_S8_S8_S8_S8_S8_S8_S8_EEEEPS9_S9_NSD_9__find_if7functorIS9_EEEE10hipError_tPvRmT1_T2_T3_mT4_P12ihipStream_tbEUlT_E0_NS1_11comp_targetILNS1_3genE9ELNS1_11target_archE1100ELNS1_3gpuE3ELNS1_3repE0EEENS1_30default_config_static_selectorELNS0_4arch9wavefront6targetE1EEEvS17_.uses_vcc, 0
	.set _ZN7rocprim17ROCPRIM_400000_NS6detail17trampoline_kernelINS0_14default_configENS1_22reduce_config_selectorIN6thrust23THRUST_200600_302600_NS5tupleIblNS6_9null_typeES8_S8_S8_S8_S8_S8_S8_EEEEZNS1_11reduce_implILb1ES3_NS6_12zip_iteratorINS7_INS6_11hip_rocprim26transform_input_iterator_tIbPdNS6_6detail10functional5actorINSH_9compositeIJNSH_27transparent_binary_operatorINS6_8equal_toIvEEEENSI_INSH_8argumentILj0EEEEENSH_5valueIdEEEEEEEEENSD_19counting_iterator_tIlEES8_S8_S8_S8_S8_S8_S8_S8_EEEEPS9_S9_NSD_9__find_if7functorIS9_EEEE10hipError_tPvRmT1_T2_T3_mT4_P12ihipStream_tbEUlT_E0_NS1_11comp_targetILNS1_3genE9ELNS1_11target_archE1100ELNS1_3gpuE3ELNS1_3repE0EEENS1_30default_config_static_selectorELNS0_4arch9wavefront6targetE1EEEvS17_.uses_flat_scratch, 0
	.set _ZN7rocprim17ROCPRIM_400000_NS6detail17trampoline_kernelINS0_14default_configENS1_22reduce_config_selectorIN6thrust23THRUST_200600_302600_NS5tupleIblNS6_9null_typeES8_S8_S8_S8_S8_S8_S8_EEEEZNS1_11reduce_implILb1ES3_NS6_12zip_iteratorINS7_INS6_11hip_rocprim26transform_input_iterator_tIbPdNS6_6detail10functional5actorINSH_9compositeIJNSH_27transparent_binary_operatorINS6_8equal_toIvEEEENSI_INSH_8argumentILj0EEEEENSH_5valueIdEEEEEEEEENSD_19counting_iterator_tIlEES8_S8_S8_S8_S8_S8_S8_S8_EEEEPS9_S9_NSD_9__find_if7functorIS9_EEEE10hipError_tPvRmT1_T2_T3_mT4_P12ihipStream_tbEUlT_E0_NS1_11comp_targetILNS1_3genE9ELNS1_11target_archE1100ELNS1_3gpuE3ELNS1_3repE0EEENS1_30default_config_static_selectorELNS0_4arch9wavefront6targetE1EEEvS17_.has_dyn_sized_stack, 0
	.set _ZN7rocprim17ROCPRIM_400000_NS6detail17trampoline_kernelINS0_14default_configENS1_22reduce_config_selectorIN6thrust23THRUST_200600_302600_NS5tupleIblNS6_9null_typeES8_S8_S8_S8_S8_S8_S8_EEEEZNS1_11reduce_implILb1ES3_NS6_12zip_iteratorINS7_INS6_11hip_rocprim26transform_input_iterator_tIbPdNS6_6detail10functional5actorINSH_9compositeIJNSH_27transparent_binary_operatorINS6_8equal_toIvEEEENSI_INSH_8argumentILj0EEEEENSH_5valueIdEEEEEEEEENSD_19counting_iterator_tIlEES8_S8_S8_S8_S8_S8_S8_S8_EEEEPS9_S9_NSD_9__find_if7functorIS9_EEEE10hipError_tPvRmT1_T2_T3_mT4_P12ihipStream_tbEUlT_E0_NS1_11comp_targetILNS1_3genE9ELNS1_11target_archE1100ELNS1_3gpuE3ELNS1_3repE0EEENS1_30default_config_static_selectorELNS0_4arch9wavefront6targetE1EEEvS17_.has_recursion, 0
	.set _ZN7rocprim17ROCPRIM_400000_NS6detail17trampoline_kernelINS0_14default_configENS1_22reduce_config_selectorIN6thrust23THRUST_200600_302600_NS5tupleIblNS6_9null_typeES8_S8_S8_S8_S8_S8_S8_EEEEZNS1_11reduce_implILb1ES3_NS6_12zip_iteratorINS7_INS6_11hip_rocprim26transform_input_iterator_tIbPdNS6_6detail10functional5actorINSH_9compositeIJNSH_27transparent_binary_operatorINS6_8equal_toIvEEEENSI_INSH_8argumentILj0EEEEENSH_5valueIdEEEEEEEEENSD_19counting_iterator_tIlEES8_S8_S8_S8_S8_S8_S8_S8_EEEEPS9_S9_NSD_9__find_if7functorIS9_EEEE10hipError_tPvRmT1_T2_T3_mT4_P12ihipStream_tbEUlT_E0_NS1_11comp_targetILNS1_3genE9ELNS1_11target_archE1100ELNS1_3gpuE3ELNS1_3repE0EEENS1_30default_config_static_selectorELNS0_4arch9wavefront6targetE1EEEvS17_.has_indirect_call, 0
	.section	.AMDGPU.csdata,"",@progbits
; Kernel info:
; codeLenInByte = 0
; TotalNumSgprs: 4
; NumVgprs: 0
; ScratchSize: 0
; MemoryBound: 0
; FloatMode: 240
; IeeeMode: 1
; LDSByteSize: 0 bytes/workgroup (compile time only)
; SGPRBlocks: 0
; VGPRBlocks: 0
; NumSGPRsForWavesPerEU: 4
; NumVGPRsForWavesPerEU: 1
; Occupancy: 10
; WaveLimiterHint : 0
; COMPUTE_PGM_RSRC2:SCRATCH_EN: 0
; COMPUTE_PGM_RSRC2:USER_SGPR: 6
; COMPUTE_PGM_RSRC2:TRAP_HANDLER: 0
; COMPUTE_PGM_RSRC2:TGID_X_EN: 1
; COMPUTE_PGM_RSRC2:TGID_Y_EN: 0
; COMPUTE_PGM_RSRC2:TGID_Z_EN: 0
; COMPUTE_PGM_RSRC2:TIDIG_COMP_CNT: 0
	.section	.text._ZN7rocprim17ROCPRIM_400000_NS6detail17trampoline_kernelINS0_14default_configENS1_22reduce_config_selectorIN6thrust23THRUST_200600_302600_NS5tupleIblNS6_9null_typeES8_S8_S8_S8_S8_S8_S8_EEEEZNS1_11reduce_implILb1ES3_NS6_12zip_iteratorINS7_INS6_11hip_rocprim26transform_input_iterator_tIbPdNS6_6detail10functional5actorINSH_9compositeIJNSH_27transparent_binary_operatorINS6_8equal_toIvEEEENSI_INSH_8argumentILj0EEEEENSH_5valueIdEEEEEEEEENSD_19counting_iterator_tIlEES8_S8_S8_S8_S8_S8_S8_S8_EEEEPS9_S9_NSD_9__find_if7functorIS9_EEEE10hipError_tPvRmT1_T2_T3_mT4_P12ihipStream_tbEUlT_E0_NS1_11comp_targetILNS1_3genE8ELNS1_11target_archE1030ELNS1_3gpuE2ELNS1_3repE0EEENS1_30default_config_static_selectorELNS0_4arch9wavefront6targetE1EEEvS17_,"axG",@progbits,_ZN7rocprim17ROCPRIM_400000_NS6detail17trampoline_kernelINS0_14default_configENS1_22reduce_config_selectorIN6thrust23THRUST_200600_302600_NS5tupleIblNS6_9null_typeES8_S8_S8_S8_S8_S8_S8_EEEEZNS1_11reduce_implILb1ES3_NS6_12zip_iteratorINS7_INS6_11hip_rocprim26transform_input_iterator_tIbPdNS6_6detail10functional5actorINSH_9compositeIJNSH_27transparent_binary_operatorINS6_8equal_toIvEEEENSI_INSH_8argumentILj0EEEEENSH_5valueIdEEEEEEEEENSD_19counting_iterator_tIlEES8_S8_S8_S8_S8_S8_S8_S8_EEEEPS9_S9_NSD_9__find_if7functorIS9_EEEE10hipError_tPvRmT1_T2_T3_mT4_P12ihipStream_tbEUlT_E0_NS1_11comp_targetILNS1_3genE8ELNS1_11target_archE1030ELNS1_3gpuE2ELNS1_3repE0EEENS1_30default_config_static_selectorELNS0_4arch9wavefront6targetE1EEEvS17_,comdat
	.protected	_ZN7rocprim17ROCPRIM_400000_NS6detail17trampoline_kernelINS0_14default_configENS1_22reduce_config_selectorIN6thrust23THRUST_200600_302600_NS5tupleIblNS6_9null_typeES8_S8_S8_S8_S8_S8_S8_EEEEZNS1_11reduce_implILb1ES3_NS6_12zip_iteratorINS7_INS6_11hip_rocprim26transform_input_iterator_tIbPdNS6_6detail10functional5actorINSH_9compositeIJNSH_27transparent_binary_operatorINS6_8equal_toIvEEEENSI_INSH_8argumentILj0EEEEENSH_5valueIdEEEEEEEEENSD_19counting_iterator_tIlEES8_S8_S8_S8_S8_S8_S8_S8_EEEEPS9_S9_NSD_9__find_if7functorIS9_EEEE10hipError_tPvRmT1_T2_T3_mT4_P12ihipStream_tbEUlT_E0_NS1_11comp_targetILNS1_3genE8ELNS1_11target_archE1030ELNS1_3gpuE2ELNS1_3repE0EEENS1_30default_config_static_selectorELNS0_4arch9wavefront6targetE1EEEvS17_ ; -- Begin function _ZN7rocprim17ROCPRIM_400000_NS6detail17trampoline_kernelINS0_14default_configENS1_22reduce_config_selectorIN6thrust23THRUST_200600_302600_NS5tupleIblNS6_9null_typeES8_S8_S8_S8_S8_S8_S8_EEEEZNS1_11reduce_implILb1ES3_NS6_12zip_iteratorINS7_INS6_11hip_rocprim26transform_input_iterator_tIbPdNS6_6detail10functional5actorINSH_9compositeIJNSH_27transparent_binary_operatorINS6_8equal_toIvEEEENSI_INSH_8argumentILj0EEEEENSH_5valueIdEEEEEEEEENSD_19counting_iterator_tIlEES8_S8_S8_S8_S8_S8_S8_S8_EEEEPS9_S9_NSD_9__find_if7functorIS9_EEEE10hipError_tPvRmT1_T2_T3_mT4_P12ihipStream_tbEUlT_E0_NS1_11comp_targetILNS1_3genE8ELNS1_11target_archE1030ELNS1_3gpuE2ELNS1_3repE0EEENS1_30default_config_static_selectorELNS0_4arch9wavefront6targetE1EEEvS17_
	.globl	_ZN7rocprim17ROCPRIM_400000_NS6detail17trampoline_kernelINS0_14default_configENS1_22reduce_config_selectorIN6thrust23THRUST_200600_302600_NS5tupleIblNS6_9null_typeES8_S8_S8_S8_S8_S8_S8_EEEEZNS1_11reduce_implILb1ES3_NS6_12zip_iteratorINS7_INS6_11hip_rocprim26transform_input_iterator_tIbPdNS6_6detail10functional5actorINSH_9compositeIJNSH_27transparent_binary_operatorINS6_8equal_toIvEEEENSI_INSH_8argumentILj0EEEEENSH_5valueIdEEEEEEEEENSD_19counting_iterator_tIlEES8_S8_S8_S8_S8_S8_S8_S8_EEEEPS9_S9_NSD_9__find_if7functorIS9_EEEE10hipError_tPvRmT1_T2_T3_mT4_P12ihipStream_tbEUlT_E0_NS1_11comp_targetILNS1_3genE8ELNS1_11target_archE1030ELNS1_3gpuE2ELNS1_3repE0EEENS1_30default_config_static_selectorELNS0_4arch9wavefront6targetE1EEEvS17_
	.p2align	8
	.type	_ZN7rocprim17ROCPRIM_400000_NS6detail17trampoline_kernelINS0_14default_configENS1_22reduce_config_selectorIN6thrust23THRUST_200600_302600_NS5tupleIblNS6_9null_typeES8_S8_S8_S8_S8_S8_S8_EEEEZNS1_11reduce_implILb1ES3_NS6_12zip_iteratorINS7_INS6_11hip_rocprim26transform_input_iterator_tIbPdNS6_6detail10functional5actorINSH_9compositeIJNSH_27transparent_binary_operatorINS6_8equal_toIvEEEENSI_INSH_8argumentILj0EEEEENSH_5valueIdEEEEEEEEENSD_19counting_iterator_tIlEES8_S8_S8_S8_S8_S8_S8_S8_EEEEPS9_S9_NSD_9__find_if7functorIS9_EEEE10hipError_tPvRmT1_T2_T3_mT4_P12ihipStream_tbEUlT_E0_NS1_11comp_targetILNS1_3genE8ELNS1_11target_archE1030ELNS1_3gpuE2ELNS1_3repE0EEENS1_30default_config_static_selectorELNS0_4arch9wavefront6targetE1EEEvS17_,@function
_ZN7rocprim17ROCPRIM_400000_NS6detail17trampoline_kernelINS0_14default_configENS1_22reduce_config_selectorIN6thrust23THRUST_200600_302600_NS5tupleIblNS6_9null_typeES8_S8_S8_S8_S8_S8_S8_EEEEZNS1_11reduce_implILb1ES3_NS6_12zip_iteratorINS7_INS6_11hip_rocprim26transform_input_iterator_tIbPdNS6_6detail10functional5actorINSH_9compositeIJNSH_27transparent_binary_operatorINS6_8equal_toIvEEEENSI_INSH_8argumentILj0EEEEENSH_5valueIdEEEEEEEEENSD_19counting_iterator_tIlEES8_S8_S8_S8_S8_S8_S8_S8_EEEEPS9_S9_NSD_9__find_if7functorIS9_EEEE10hipError_tPvRmT1_T2_T3_mT4_P12ihipStream_tbEUlT_E0_NS1_11comp_targetILNS1_3genE8ELNS1_11target_archE1030ELNS1_3gpuE2ELNS1_3repE0EEENS1_30default_config_static_selectorELNS0_4arch9wavefront6targetE1EEEvS17_: ; @_ZN7rocprim17ROCPRIM_400000_NS6detail17trampoline_kernelINS0_14default_configENS1_22reduce_config_selectorIN6thrust23THRUST_200600_302600_NS5tupleIblNS6_9null_typeES8_S8_S8_S8_S8_S8_S8_EEEEZNS1_11reduce_implILb1ES3_NS6_12zip_iteratorINS7_INS6_11hip_rocprim26transform_input_iterator_tIbPdNS6_6detail10functional5actorINSH_9compositeIJNSH_27transparent_binary_operatorINS6_8equal_toIvEEEENSI_INSH_8argumentILj0EEEEENSH_5valueIdEEEEEEEEENSD_19counting_iterator_tIlEES8_S8_S8_S8_S8_S8_S8_S8_EEEEPS9_S9_NSD_9__find_if7functorIS9_EEEE10hipError_tPvRmT1_T2_T3_mT4_P12ihipStream_tbEUlT_E0_NS1_11comp_targetILNS1_3genE8ELNS1_11target_archE1030ELNS1_3gpuE2ELNS1_3repE0EEENS1_30default_config_static_selectorELNS0_4arch9wavefront6targetE1EEEvS17_
; %bb.0:
	.section	.rodata,"a",@progbits
	.p2align	6, 0x0
	.amdhsa_kernel _ZN7rocprim17ROCPRIM_400000_NS6detail17trampoline_kernelINS0_14default_configENS1_22reduce_config_selectorIN6thrust23THRUST_200600_302600_NS5tupleIblNS6_9null_typeES8_S8_S8_S8_S8_S8_S8_EEEEZNS1_11reduce_implILb1ES3_NS6_12zip_iteratorINS7_INS6_11hip_rocprim26transform_input_iterator_tIbPdNS6_6detail10functional5actorINSH_9compositeIJNSH_27transparent_binary_operatorINS6_8equal_toIvEEEENSI_INSH_8argumentILj0EEEEENSH_5valueIdEEEEEEEEENSD_19counting_iterator_tIlEES8_S8_S8_S8_S8_S8_S8_S8_EEEEPS9_S9_NSD_9__find_if7functorIS9_EEEE10hipError_tPvRmT1_T2_T3_mT4_P12ihipStream_tbEUlT_E0_NS1_11comp_targetILNS1_3genE8ELNS1_11target_archE1030ELNS1_3gpuE2ELNS1_3repE0EEENS1_30default_config_static_selectorELNS0_4arch9wavefront6targetE1EEEvS17_
		.amdhsa_group_segment_fixed_size 0
		.amdhsa_private_segment_fixed_size 0
		.amdhsa_kernarg_size 96
		.amdhsa_user_sgpr_count 6
		.amdhsa_user_sgpr_private_segment_buffer 1
		.amdhsa_user_sgpr_dispatch_ptr 0
		.amdhsa_user_sgpr_queue_ptr 0
		.amdhsa_user_sgpr_kernarg_segment_ptr 1
		.amdhsa_user_sgpr_dispatch_id 0
		.amdhsa_user_sgpr_flat_scratch_init 0
		.amdhsa_user_sgpr_private_segment_size 0
		.amdhsa_uses_dynamic_stack 0
		.amdhsa_system_sgpr_private_segment_wavefront_offset 0
		.amdhsa_system_sgpr_workgroup_id_x 1
		.amdhsa_system_sgpr_workgroup_id_y 0
		.amdhsa_system_sgpr_workgroup_id_z 0
		.amdhsa_system_sgpr_workgroup_info 0
		.amdhsa_system_vgpr_workitem_id 0
		.amdhsa_next_free_vgpr 1
		.amdhsa_next_free_sgpr 0
		.amdhsa_reserve_vcc 0
		.amdhsa_reserve_flat_scratch 0
		.amdhsa_float_round_mode_32 0
		.amdhsa_float_round_mode_16_64 0
		.amdhsa_float_denorm_mode_32 3
		.amdhsa_float_denorm_mode_16_64 3
		.amdhsa_dx10_clamp 1
		.amdhsa_ieee_mode 1
		.amdhsa_fp16_overflow 0
		.amdhsa_exception_fp_ieee_invalid_op 0
		.amdhsa_exception_fp_denorm_src 0
		.amdhsa_exception_fp_ieee_div_zero 0
		.amdhsa_exception_fp_ieee_overflow 0
		.amdhsa_exception_fp_ieee_underflow 0
		.amdhsa_exception_fp_ieee_inexact 0
		.amdhsa_exception_int_div_zero 0
	.end_amdhsa_kernel
	.section	.text._ZN7rocprim17ROCPRIM_400000_NS6detail17trampoline_kernelINS0_14default_configENS1_22reduce_config_selectorIN6thrust23THRUST_200600_302600_NS5tupleIblNS6_9null_typeES8_S8_S8_S8_S8_S8_S8_EEEEZNS1_11reduce_implILb1ES3_NS6_12zip_iteratorINS7_INS6_11hip_rocprim26transform_input_iterator_tIbPdNS6_6detail10functional5actorINSH_9compositeIJNSH_27transparent_binary_operatorINS6_8equal_toIvEEEENSI_INSH_8argumentILj0EEEEENSH_5valueIdEEEEEEEEENSD_19counting_iterator_tIlEES8_S8_S8_S8_S8_S8_S8_S8_EEEEPS9_S9_NSD_9__find_if7functorIS9_EEEE10hipError_tPvRmT1_T2_T3_mT4_P12ihipStream_tbEUlT_E0_NS1_11comp_targetILNS1_3genE8ELNS1_11target_archE1030ELNS1_3gpuE2ELNS1_3repE0EEENS1_30default_config_static_selectorELNS0_4arch9wavefront6targetE1EEEvS17_,"axG",@progbits,_ZN7rocprim17ROCPRIM_400000_NS6detail17trampoline_kernelINS0_14default_configENS1_22reduce_config_selectorIN6thrust23THRUST_200600_302600_NS5tupleIblNS6_9null_typeES8_S8_S8_S8_S8_S8_S8_EEEEZNS1_11reduce_implILb1ES3_NS6_12zip_iteratorINS7_INS6_11hip_rocprim26transform_input_iterator_tIbPdNS6_6detail10functional5actorINSH_9compositeIJNSH_27transparent_binary_operatorINS6_8equal_toIvEEEENSI_INSH_8argumentILj0EEEEENSH_5valueIdEEEEEEEEENSD_19counting_iterator_tIlEES8_S8_S8_S8_S8_S8_S8_S8_EEEEPS9_S9_NSD_9__find_if7functorIS9_EEEE10hipError_tPvRmT1_T2_T3_mT4_P12ihipStream_tbEUlT_E0_NS1_11comp_targetILNS1_3genE8ELNS1_11target_archE1030ELNS1_3gpuE2ELNS1_3repE0EEENS1_30default_config_static_selectorELNS0_4arch9wavefront6targetE1EEEvS17_,comdat
.Lfunc_end1732:
	.size	_ZN7rocprim17ROCPRIM_400000_NS6detail17trampoline_kernelINS0_14default_configENS1_22reduce_config_selectorIN6thrust23THRUST_200600_302600_NS5tupleIblNS6_9null_typeES8_S8_S8_S8_S8_S8_S8_EEEEZNS1_11reduce_implILb1ES3_NS6_12zip_iteratorINS7_INS6_11hip_rocprim26transform_input_iterator_tIbPdNS6_6detail10functional5actorINSH_9compositeIJNSH_27transparent_binary_operatorINS6_8equal_toIvEEEENSI_INSH_8argumentILj0EEEEENSH_5valueIdEEEEEEEEENSD_19counting_iterator_tIlEES8_S8_S8_S8_S8_S8_S8_S8_EEEEPS9_S9_NSD_9__find_if7functorIS9_EEEE10hipError_tPvRmT1_T2_T3_mT4_P12ihipStream_tbEUlT_E0_NS1_11comp_targetILNS1_3genE8ELNS1_11target_archE1030ELNS1_3gpuE2ELNS1_3repE0EEENS1_30default_config_static_selectorELNS0_4arch9wavefront6targetE1EEEvS17_, .Lfunc_end1732-_ZN7rocprim17ROCPRIM_400000_NS6detail17trampoline_kernelINS0_14default_configENS1_22reduce_config_selectorIN6thrust23THRUST_200600_302600_NS5tupleIblNS6_9null_typeES8_S8_S8_S8_S8_S8_S8_EEEEZNS1_11reduce_implILb1ES3_NS6_12zip_iteratorINS7_INS6_11hip_rocprim26transform_input_iterator_tIbPdNS6_6detail10functional5actorINSH_9compositeIJNSH_27transparent_binary_operatorINS6_8equal_toIvEEEENSI_INSH_8argumentILj0EEEEENSH_5valueIdEEEEEEEEENSD_19counting_iterator_tIlEES8_S8_S8_S8_S8_S8_S8_S8_EEEEPS9_S9_NSD_9__find_if7functorIS9_EEEE10hipError_tPvRmT1_T2_T3_mT4_P12ihipStream_tbEUlT_E0_NS1_11comp_targetILNS1_3genE8ELNS1_11target_archE1030ELNS1_3gpuE2ELNS1_3repE0EEENS1_30default_config_static_selectorELNS0_4arch9wavefront6targetE1EEEvS17_
                                        ; -- End function
	.set _ZN7rocprim17ROCPRIM_400000_NS6detail17trampoline_kernelINS0_14default_configENS1_22reduce_config_selectorIN6thrust23THRUST_200600_302600_NS5tupleIblNS6_9null_typeES8_S8_S8_S8_S8_S8_S8_EEEEZNS1_11reduce_implILb1ES3_NS6_12zip_iteratorINS7_INS6_11hip_rocprim26transform_input_iterator_tIbPdNS6_6detail10functional5actorINSH_9compositeIJNSH_27transparent_binary_operatorINS6_8equal_toIvEEEENSI_INSH_8argumentILj0EEEEENSH_5valueIdEEEEEEEEENSD_19counting_iterator_tIlEES8_S8_S8_S8_S8_S8_S8_S8_EEEEPS9_S9_NSD_9__find_if7functorIS9_EEEE10hipError_tPvRmT1_T2_T3_mT4_P12ihipStream_tbEUlT_E0_NS1_11comp_targetILNS1_3genE8ELNS1_11target_archE1030ELNS1_3gpuE2ELNS1_3repE0EEENS1_30default_config_static_selectorELNS0_4arch9wavefront6targetE1EEEvS17_.num_vgpr, 0
	.set _ZN7rocprim17ROCPRIM_400000_NS6detail17trampoline_kernelINS0_14default_configENS1_22reduce_config_selectorIN6thrust23THRUST_200600_302600_NS5tupleIblNS6_9null_typeES8_S8_S8_S8_S8_S8_S8_EEEEZNS1_11reduce_implILb1ES3_NS6_12zip_iteratorINS7_INS6_11hip_rocprim26transform_input_iterator_tIbPdNS6_6detail10functional5actorINSH_9compositeIJNSH_27transparent_binary_operatorINS6_8equal_toIvEEEENSI_INSH_8argumentILj0EEEEENSH_5valueIdEEEEEEEEENSD_19counting_iterator_tIlEES8_S8_S8_S8_S8_S8_S8_S8_EEEEPS9_S9_NSD_9__find_if7functorIS9_EEEE10hipError_tPvRmT1_T2_T3_mT4_P12ihipStream_tbEUlT_E0_NS1_11comp_targetILNS1_3genE8ELNS1_11target_archE1030ELNS1_3gpuE2ELNS1_3repE0EEENS1_30default_config_static_selectorELNS0_4arch9wavefront6targetE1EEEvS17_.num_agpr, 0
	.set _ZN7rocprim17ROCPRIM_400000_NS6detail17trampoline_kernelINS0_14default_configENS1_22reduce_config_selectorIN6thrust23THRUST_200600_302600_NS5tupleIblNS6_9null_typeES8_S8_S8_S8_S8_S8_S8_EEEEZNS1_11reduce_implILb1ES3_NS6_12zip_iteratorINS7_INS6_11hip_rocprim26transform_input_iterator_tIbPdNS6_6detail10functional5actorINSH_9compositeIJNSH_27transparent_binary_operatorINS6_8equal_toIvEEEENSI_INSH_8argumentILj0EEEEENSH_5valueIdEEEEEEEEENSD_19counting_iterator_tIlEES8_S8_S8_S8_S8_S8_S8_S8_EEEEPS9_S9_NSD_9__find_if7functorIS9_EEEE10hipError_tPvRmT1_T2_T3_mT4_P12ihipStream_tbEUlT_E0_NS1_11comp_targetILNS1_3genE8ELNS1_11target_archE1030ELNS1_3gpuE2ELNS1_3repE0EEENS1_30default_config_static_selectorELNS0_4arch9wavefront6targetE1EEEvS17_.numbered_sgpr, 0
	.set _ZN7rocprim17ROCPRIM_400000_NS6detail17trampoline_kernelINS0_14default_configENS1_22reduce_config_selectorIN6thrust23THRUST_200600_302600_NS5tupleIblNS6_9null_typeES8_S8_S8_S8_S8_S8_S8_EEEEZNS1_11reduce_implILb1ES3_NS6_12zip_iteratorINS7_INS6_11hip_rocprim26transform_input_iterator_tIbPdNS6_6detail10functional5actorINSH_9compositeIJNSH_27transparent_binary_operatorINS6_8equal_toIvEEEENSI_INSH_8argumentILj0EEEEENSH_5valueIdEEEEEEEEENSD_19counting_iterator_tIlEES8_S8_S8_S8_S8_S8_S8_S8_EEEEPS9_S9_NSD_9__find_if7functorIS9_EEEE10hipError_tPvRmT1_T2_T3_mT4_P12ihipStream_tbEUlT_E0_NS1_11comp_targetILNS1_3genE8ELNS1_11target_archE1030ELNS1_3gpuE2ELNS1_3repE0EEENS1_30default_config_static_selectorELNS0_4arch9wavefront6targetE1EEEvS17_.num_named_barrier, 0
	.set _ZN7rocprim17ROCPRIM_400000_NS6detail17trampoline_kernelINS0_14default_configENS1_22reduce_config_selectorIN6thrust23THRUST_200600_302600_NS5tupleIblNS6_9null_typeES8_S8_S8_S8_S8_S8_S8_EEEEZNS1_11reduce_implILb1ES3_NS6_12zip_iteratorINS7_INS6_11hip_rocprim26transform_input_iterator_tIbPdNS6_6detail10functional5actorINSH_9compositeIJNSH_27transparent_binary_operatorINS6_8equal_toIvEEEENSI_INSH_8argumentILj0EEEEENSH_5valueIdEEEEEEEEENSD_19counting_iterator_tIlEES8_S8_S8_S8_S8_S8_S8_S8_EEEEPS9_S9_NSD_9__find_if7functorIS9_EEEE10hipError_tPvRmT1_T2_T3_mT4_P12ihipStream_tbEUlT_E0_NS1_11comp_targetILNS1_3genE8ELNS1_11target_archE1030ELNS1_3gpuE2ELNS1_3repE0EEENS1_30default_config_static_selectorELNS0_4arch9wavefront6targetE1EEEvS17_.private_seg_size, 0
	.set _ZN7rocprim17ROCPRIM_400000_NS6detail17trampoline_kernelINS0_14default_configENS1_22reduce_config_selectorIN6thrust23THRUST_200600_302600_NS5tupleIblNS6_9null_typeES8_S8_S8_S8_S8_S8_S8_EEEEZNS1_11reduce_implILb1ES3_NS6_12zip_iteratorINS7_INS6_11hip_rocprim26transform_input_iterator_tIbPdNS6_6detail10functional5actorINSH_9compositeIJNSH_27transparent_binary_operatorINS6_8equal_toIvEEEENSI_INSH_8argumentILj0EEEEENSH_5valueIdEEEEEEEEENSD_19counting_iterator_tIlEES8_S8_S8_S8_S8_S8_S8_S8_EEEEPS9_S9_NSD_9__find_if7functorIS9_EEEE10hipError_tPvRmT1_T2_T3_mT4_P12ihipStream_tbEUlT_E0_NS1_11comp_targetILNS1_3genE8ELNS1_11target_archE1030ELNS1_3gpuE2ELNS1_3repE0EEENS1_30default_config_static_selectorELNS0_4arch9wavefront6targetE1EEEvS17_.uses_vcc, 0
	.set _ZN7rocprim17ROCPRIM_400000_NS6detail17trampoline_kernelINS0_14default_configENS1_22reduce_config_selectorIN6thrust23THRUST_200600_302600_NS5tupleIblNS6_9null_typeES8_S8_S8_S8_S8_S8_S8_EEEEZNS1_11reduce_implILb1ES3_NS6_12zip_iteratorINS7_INS6_11hip_rocprim26transform_input_iterator_tIbPdNS6_6detail10functional5actorINSH_9compositeIJNSH_27transparent_binary_operatorINS6_8equal_toIvEEEENSI_INSH_8argumentILj0EEEEENSH_5valueIdEEEEEEEEENSD_19counting_iterator_tIlEES8_S8_S8_S8_S8_S8_S8_S8_EEEEPS9_S9_NSD_9__find_if7functorIS9_EEEE10hipError_tPvRmT1_T2_T3_mT4_P12ihipStream_tbEUlT_E0_NS1_11comp_targetILNS1_3genE8ELNS1_11target_archE1030ELNS1_3gpuE2ELNS1_3repE0EEENS1_30default_config_static_selectorELNS0_4arch9wavefront6targetE1EEEvS17_.uses_flat_scratch, 0
	.set _ZN7rocprim17ROCPRIM_400000_NS6detail17trampoline_kernelINS0_14default_configENS1_22reduce_config_selectorIN6thrust23THRUST_200600_302600_NS5tupleIblNS6_9null_typeES8_S8_S8_S8_S8_S8_S8_EEEEZNS1_11reduce_implILb1ES3_NS6_12zip_iteratorINS7_INS6_11hip_rocprim26transform_input_iterator_tIbPdNS6_6detail10functional5actorINSH_9compositeIJNSH_27transparent_binary_operatorINS6_8equal_toIvEEEENSI_INSH_8argumentILj0EEEEENSH_5valueIdEEEEEEEEENSD_19counting_iterator_tIlEES8_S8_S8_S8_S8_S8_S8_S8_EEEEPS9_S9_NSD_9__find_if7functorIS9_EEEE10hipError_tPvRmT1_T2_T3_mT4_P12ihipStream_tbEUlT_E0_NS1_11comp_targetILNS1_3genE8ELNS1_11target_archE1030ELNS1_3gpuE2ELNS1_3repE0EEENS1_30default_config_static_selectorELNS0_4arch9wavefront6targetE1EEEvS17_.has_dyn_sized_stack, 0
	.set _ZN7rocprim17ROCPRIM_400000_NS6detail17trampoline_kernelINS0_14default_configENS1_22reduce_config_selectorIN6thrust23THRUST_200600_302600_NS5tupleIblNS6_9null_typeES8_S8_S8_S8_S8_S8_S8_EEEEZNS1_11reduce_implILb1ES3_NS6_12zip_iteratorINS7_INS6_11hip_rocprim26transform_input_iterator_tIbPdNS6_6detail10functional5actorINSH_9compositeIJNSH_27transparent_binary_operatorINS6_8equal_toIvEEEENSI_INSH_8argumentILj0EEEEENSH_5valueIdEEEEEEEEENSD_19counting_iterator_tIlEES8_S8_S8_S8_S8_S8_S8_S8_EEEEPS9_S9_NSD_9__find_if7functorIS9_EEEE10hipError_tPvRmT1_T2_T3_mT4_P12ihipStream_tbEUlT_E0_NS1_11comp_targetILNS1_3genE8ELNS1_11target_archE1030ELNS1_3gpuE2ELNS1_3repE0EEENS1_30default_config_static_selectorELNS0_4arch9wavefront6targetE1EEEvS17_.has_recursion, 0
	.set _ZN7rocprim17ROCPRIM_400000_NS6detail17trampoline_kernelINS0_14default_configENS1_22reduce_config_selectorIN6thrust23THRUST_200600_302600_NS5tupleIblNS6_9null_typeES8_S8_S8_S8_S8_S8_S8_EEEEZNS1_11reduce_implILb1ES3_NS6_12zip_iteratorINS7_INS6_11hip_rocprim26transform_input_iterator_tIbPdNS6_6detail10functional5actorINSH_9compositeIJNSH_27transparent_binary_operatorINS6_8equal_toIvEEEENSI_INSH_8argumentILj0EEEEENSH_5valueIdEEEEEEEEENSD_19counting_iterator_tIlEES8_S8_S8_S8_S8_S8_S8_S8_EEEEPS9_S9_NSD_9__find_if7functorIS9_EEEE10hipError_tPvRmT1_T2_T3_mT4_P12ihipStream_tbEUlT_E0_NS1_11comp_targetILNS1_3genE8ELNS1_11target_archE1030ELNS1_3gpuE2ELNS1_3repE0EEENS1_30default_config_static_selectorELNS0_4arch9wavefront6targetE1EEEvS17_.has_indirect_call, 0
	.section	.AMDGPU.csdata,"",@progbits
; Kernel info:
; codeLenInByte = 0
; TotalNumSgprs: 4
; NumVgprs: 0
; ScratchSize: 0
; MemoryBound: 0
; FloatMode: 240
; IeeeMode: 1
; LDSByteSize: 0 bytes/workgroup (compile time only)
; SGPRBlocks: 0
; VGPRBlocks: 0
; NumSGPRsForWavesPerEU: 4
; NumVGPRsForWavesPerEU: 1
; Occupancy: 10
; WaveLimiterHint : 0
; COMPUTE_PGM_RSRC2:SCRATCH_EN: 0
; COMPUTE_PGM_RSRC2:USER_SGPR: 6
; COMPUTE_PGM_RSRC2:TRAP_HANDLER: 0
; COMPUTE_PGM_RSRC2:TGID_X_EN: 1
; COMPUTE_PGM_RSRC2:TGID_Y_EN: 0
; COMPUTE_PGM_RSRC2:TGID_Z_EN: 0
; COMPUTE_PGM_RSRC2:TIDIG_COMP_CNT: 0
	.section	.text._ZN7rocprim17ROCPRIM_400000_NS6detail17trampoline_kernelINS0_14default_configENS1_22reduce_config_selectorIN6thrust23THRUST_200600_302600_NS5tupleIblNS6_9null_typeES8_S8_S8_S8_S8_S8_S8_EEEEZNS1_11reduce_implILb1ES3_NS6_12zip_iteratorINS7_INS6_11hip_rocprim26transform_input_iterator_tIbPdNS6_6detail10functional5actorINSH_9compositeIJNSH_27transparent_binary_operatorINS6_8equal_toIvEEEENSI_INSH_8argumentILj0EEEEENSH_5valueIdEEEEEEEEENSD_19counting_iterator_tIlEES8_S8_S8_S8_S8_S8_S8_S8_EEEEPS9_S9_NSD_9__find_if7functorIS9_EEEE10hipError_tPvRmT1_T2_T3_mT4_P12ihipStream_tbEUlT_E1_NS1_11comp_targetILNS1_3genE0ELNS1_11target_archE4294967295ELNS1_3gpuE0ELNS1_3repE0EEENS1_30default_config_static_selectorELNS0_4arch9wavefront6targetE1EEEvS17_,"axG",@progbits,_ZN7rocprim17ROCPRIM_400000_NS6detail17trampoline_kernelINS0_14default_configENS1_22reduce_config_selectorIN6thrust23THRUST_200600_302600_NS5tupleIblNS6_9null_typeES8_S8_S8_S8_S8_S8_S8_EEEEZNS1_11reduce_implILb1ES3_NS6_12zip_iteratorINS7_INS6_11hip_rocprim26transform_input_iterator_tIbPdNS6_6detail10functional5actorINSH_9compositeIJNSH_27transparent_binary_operatorINS6_8equal_toIvEEEENSI_INSH_8argumentILj0EEEEENSH_5valueIdEEEEEEEEENSD_19counting_iterator_tIlEES8_S8_S8_S8_S8_S8_S8_S8_EEEEPS9_S9_NSD_9__find_if7functorIS9_EEEE10hipError_tPvRmT1_T2_T3_mT4_P12ihipStream_tbEUlT_E1_NS1_11comp_targetILNS1_3genE0ELNS1_11target_archE4294967295ELNS1_3gpuE0ELNS1_3repE0EEENS1_30default_config_static_selectorELNS0_4arch9wavefront6targetE1EEEvS17_,comdat
	.protected	_ZN7rocprim17ROCPRIM_400000_NS6detail17trampoline_kernelINS0_14default_configENS1_22reduce_config_selectorIN6thrust23THRUST_200600_302600_NS5tupleIblNS6_9null_typeES8_S8_S8_S8_S8_S8_S8_EEEEZNS1_11reduce_implILb1ES3_NS6_12zip_iteratorINS7_INS6_11hip_rocprim26transform_input_iterator_tIbPdNS6_6detail10functional5actorINSH_9compositeIJNSH_27transparent_binary_operatorINS6_8equal_toIvEEEENSI_INSH_8argumentILj0EEEEENSH_5valueIdEEEEEEEEENSD_19counting_iterator_tIlEES8_S8_S8_S8_S8_S8_S8_S8_EEEEPS9_S9_NSD_9__find_if7functorIS9_EEEE10hipError_tPvRmT1_T2_T3_mT4_P12ihipStream_tbEUlT_E1_NS1_11comp_targetILNS1_3genE0ELNS1_11target_archE4294967295ELNS1_3gpuE0ELNS1_3repE0EEENS1_30default_config_static_selectorELNS0_4arch9wavefront6targetE1EEEvS17_ ; -- Begin function _ZN7rocprim17ROCPRIM_400000_NS6detail17trampoline_kernelINS0_14default_configENS1_22reduce_config_selectorIN6thrust23THRUST_200600_302600_NS5tupleIblNS6_9null_typeES8_S8_S8_S8_S8_S8_S8_EEEEZNS1_11reduce_implILb1ES3_NS6_12zip_iteratorINS7_INS6_11hip_rocprim26transform_input_iterator_tIbPdNS6_6detail10functional5actorINSH_9compositeIJNSH_27transparent_binary_operatorINS6_8equal_toIvEEEENSI_INSH_8argumentILj0EEEEENSH_5valueIdEEEEEEEEENSD_19counting_iterator_tIlEES8_S8_S8_S8_S8_S8_S8_S8_EEEEPS9_S9_NSD_9__find_if7functorIS9_EEEE10hipError_tPvRmT1_T2_T3_mT4_P12ihipStream_tbEUlT_E1_NS1_11comp_targetILNS1_3genE0ELNS1_11target_archE4294967295ELNS1_3gpuE0ELNS1_3repE0EEENS1_30default_config_static_selectorELNS0_4arch9wavefront6targetE1EEEvS17_
	.globl	_ZN7rocprim17ROCPRIM_400000_NS6detail17trampoline_kernelINS0_14default_configENS1_22reduce_config_selectorIN6thrust23THRUST_200600_302600_NS5tupleIblNS6_9null_typeES8_S8_S8_S8_S8_S8_S8_EEEEZNS1_11reduce_implILb1ES3_NS6_12zip_iteratorINS7_INS6_11hip_rocprim26transform_input_iterator_tIbPdNS6_6detail10functional5actorINSH_9compositeIJNSH_27transparent_binary_operatorINS6_8equal_toIvEEEENSI_INSH_8argumentILj0EEEEENSH_5valueIdEEEEEEEEENSD_19counting_iterator_tIlEES8_S8_S8_S8_S8_S8_S8_S8_EEEEPS9_S9_NSD_9__find_if7functorIS9_EEEE10hipError_tPvRmT1_T2_T3_mT4_P12ihipStream_tbEUlT_E1_NS1_11comp_targetILNS1_3genE0ELNS1_11target_archE4294967295ELNS1_3gpuE0ELNS1_3repE0EEENS1_30default_config_static_selectorELNS0_4arch9wavefront6targetE1EEEvS17_
	.p2align	8
	.type	_ZN7rocprim17ROCPRIM_400000_NS6detail17trampoline_kernelINS0_14default_configENS1_22reduce_config_selectorIN6thrust23THRUST_200600_302600_NS5tupleIblNS6_9null_typeES8_S8_S8_S8_S8_S8_S8_EEEEZNS1_11reduce_implILb1ES3_NS6_12zip_iteratorINS7_INS6_11hip_rocprim26transform_input_iterator_tIbPdNS6_6detail10functional5actorINSH_9compositeIJNSH_27transparent_binary_operatorINS6_8equal_toIvEEEENSI_INSH_8argumentILj0EEEEENSH_5valueIdEEEEEEEEENSD_19counting_iterator_tIlEES8_S8_S8_S8_S8_S8_S8_S8_EEEEPS9_S9_NSD_9__find_if7functorIS9_EEEE10hipError_tPvRmT1_T2_T3_mT4_P12ihipStream_tbEUlT_E1_NS1_11comp_targetILNS1_3genE0ELNS1_11target_archE4294967295ELNS1_3gpuE0ELNS1_3repE0EEENS1_30default_config_static_selectorELNS0_4arch9wavefront6targetE1EEEvS17_,@function
_ZN7rocprim17ROCPRIM_400000_NS6detail17trampoline_kernelINS0_14default_configENS1_22reduce_config_selectorIN6thrust23THRUST_200600_302600_NS5tupleIblNS6_9null_typeES8_S8_S8_S8_S8_S8_S8_EEEEZNS1_11reduce_implILb1ES3_NS6_12zip_iteratorINS7_INS6_11hip_rocprim26transform_input_iterator_tIbPdNS6_6detail10functional5actorINSH_9compositeIJNSH_27transparent_binary_operatorINS6_8equal_toIvEEEENSI_INSH_8argumentILj0EEEEENSH_5valueIdEEEEEEEEENSD_19counting_iterator_tIlEES8_S8_S8_S8_S8_S8_S8_S8_EEEEPS9_S9_NSD_9__find_if7functorIS9_EEEE10hipError_tPvRmT1_T2_T3_mT4_P12ihipStream_tbEUlT_E1_NS1_11comp_targetILNS1_3genE0ELNS1_11target_archE4294967295ELNS1_3gpuE0ELNS1_3repE0EEENS1_30default_config_static_selectorELNS0_4arch9wavefront6targetE1EEEvS17_: ; @_ZN7rocprim17ROCPRIM_400000_NS6detail17trampoline_kernelINS0_14default_configENS1_22reduce_config_selectorIN6thrust23THRUST_200600_302600_NS5tupleIblNS6_9null_typeES8_S8_S8_S8_S8_S8_S8_EEEEZNS1_11reduce_implILb1ES3_NS6_12zip_iteratorINS7_INS6_11hip_rocprim26transform_input_iterator_tIbPdNS6_6detail10functional5actorINSH_9compositeIJNSH_27transparent_binary_operatorINS6_8equal_toIvEEEENSI_INSH_8argumentILj0EEEEENSH_5valueIdEEEEEEEEENSD_19counting_iterator_tIlEES8_S8_S8_S8_S8_S8_S8_S8_EEEEPS9_S9_NSD_9__find_if7functorIS9_EEEE10hipError_tPvRmT1_T2_T3_mT4_P12ihipStream_tbEUlT_E1_NS1_11comp_targetILNS1_3genE0ELNS1_11target_archE4294967295ELNS1_3gpuE0ELNS1_3repE0EEENS1_30default_config_static_selectorELNS0_4arch9wavefront6targetE1EEEvS17_
; %bb.0:
	.section	.rodata,"a",@progbits
	.p2align	6, 0x0
	.amdhsa_kernel _ZN7rocprim17ROCPRIM_400000_NS6detail17trampoline_kernelINS0_14default_configENS1_22reduce_config_selectorIN6thrust23THRUST_200600_302600_NS5tupleIblNS6_9null_typeES8_S8_S8_S8_S8_S8_S8_EEEEZNS1_11reduce_implILb1ES3_NS6_12zip_iteratorINS7_INS6_11hip_rocprim26transform_input_iterator_tIbPdNS6_6detail10functional5actorINSH_9compositeIJNSH_27transparent_binary_operatorINS6_8equal_toIvEEEENSI_INSH_8argumentILj0EEEEENSH_5valueIdEEEEEEEEENSD_19counting_iterator_tIlEES8_S8_S8_S8_S8_S8_S8_S8_EEEEPS9_S9_NSD_9__find_if7functorIS9_EEEE10hipError_tPvRmT1_T2_T3_mT4_P12ihipStream_tbEUlT_E1_NS1_11comp_targetILNS1_3genE0ELNS1_11target_archE4294967295ELNS1_3gpuE0ELNS1_3repE0EEENS1_30default_config_static_selectorELNS0_4arch9wavefront6targetE1EEEvS17_
		.amdhsa_group_segment_fixed_size 0
		.amdhsa_private_segment_fixed_size 0
		.amdhsa_kernarg_size 80
		.amdhsa_user_sgpr_count 6
		.amdhsa_user_sgpr_private_segment_buffer 1
		.amdhsa_user_sgpr_dispatch_ptr 0
		.amdhsa_user_sgpr_queue_ptr 0
		.amdhsa_user_sgpr_kernarg_segment_ptr 1
		.amdhsa_user_sgpr_dispatch_id 0
		.amdhsa_user_sgpr_flat_scratch_init 0
		.amdhsa_user_sgpr_private_segment_size 0
		.amdhsa_uses_dynamic_stack 0
		.amdhsa_system_sgpr_private_segment_wavefront_offset 0
		.amdhsa_system_sgpr_workgroup_id_x 1
		.amdhsa_system_sgpr_workgroup_id_y 0
		.amdhsa_system_sgpr_workgroup_id_z 0
		.amdhsa_system_sgpr_workgroup_info 0
		.amdhsa_system_vgpr_workitem_id 0
		.amdhsa_next_free_vgpr 1
		.amdhsa_next_free_sgpr 0
		.amdhsa_reserve_vcc 0
		.amdhsa_reserve_flat_scratch 0
		.amdhsa_float_round_mode_32 0
		.amdhsa_float_round_mode_16_64 0
		.amdhsa_float_denorm_mode_32 3
		.amdhsa_float_denorm_mode_16_64 3
		.amdhsa_dx10_clamp 1
		.amdhsa_ieee_mode 1
		.amdhsa_fp16_overflow 0
		.amdhsa_exception_fp_ieee_invalid_op 0
		.amdhsa_exception_fp_denorm_src 0
		.amdhsa_exception_fp_ieee_div_zero 0
		.amdhsa_exception_fp_ieee_overflow 0
		.amdhsa_exception_fp_ieee_underflow 0
		.amdhsa_exception_fp_ieee_inexact 0
		.amdhsa_exception_int_div_zero 0
	.end_amdhsa_kernel
	.section	.text._ZN7rocprim17ROCPRIM_400000_NS6detail17trampoline_kernelINS0_14default_configENS1_22reduce_config_selectorIN6thrust23THRUST_200600_302600_NS5tupleIblNS6_9null_typeES8_S8_S8_S8_S8_S8_S8_EEEEZNS1_11reduce_implILb1ES3_NS6_12zip_iteratorINS7_INS6_11hip_rocprim26transform_input_iterator_tIbPdNS6_6detail10functional5actorINSH_9compositeIJNSH_27transparent_binary_operatorINS6_8equal_toIvEEEENSI_INSH_8argumentILj0EEEEENSH_5valueIdEEEEEEEEENSD_19counting_iterator_tIlEES8_S8_S8_S8_S8_S8_S8_S8_EEEEPS9_S9_NSD_9__find_if7functorIS9_EEEE10hipError_tPvRmT1_T2_T3_mT4_P12ihipStream_tbEUlT_E1_NS1_11comp_targetILNS1_3genE0ELNS1_11target_archE4294967295ELNS1_3gpuE0ELNS1_3repE0EEENS1_30default_config_static_selectorELNS0_4arch9wavefront6targetE1EEEvS17_,"axG",@progbits,_ZN7rocprim17ROCPRIM_400000_NS6detail17trampoline_kernelINS0_14default_configENS1_22reduce_config_selectorIN6thrust23THRUST_200600_302600_NS5tupleIblNS6_9null_typeES8_S8_S8_S8_S8_S8_S8_EEEEZNS1_11reduce_implILb1ES3_NS6_12zip_iteratorINS7_INS6_11hip_rocprim26transform_input_iterator_tIbPdNS6_6detail10functional5actorINSH_9compositeIJNSH_27transparent_binary_operatorINS6_8equal_toIvEEEENSI_INSH_8argumentILj0EEEEENSH_5valueIdEEEEEEEEENSD_19counting_iterator_tIlEES8_S8_S8_S8_S8_S8_S8_S8_EEEEPS9_S9_NSD_9__find_if7functorIS9_EEEE10hipError_tPvRmT1_T2_T3_mT4_P12ihipStream_tbEUlT_E1_NS1_11comp_targetILNS1_3genE0ELNS1_11target_archE4294967295ELNS1_3gpuE0ELNS1_3repE0EEENS1_30default_config_static_selectorELNS0_4arch9wavefront6targetE1EEEvS17_,comdat
.Lfunc_end1733:
	.size	_ZN7rocprim17ROCPRIM_400000_NS6detail17trampoline_kernelINS0_14default_configENS1_22reduce_config_selectorIN6thrust23THRUST_200600_302600_NS5tupleIblNS6_9null_typeES8_S8_S8_S8_S8_S8_S8_EEEEZNS1_11reduce_implILb1ES3_NS6_12zip_iteratorINS7_INS6_11hip_rocprim26transform_input_iterator_tIbPdNS6_6detail10functional5actorINSH_9compositeIJNSH_27transparent_binary_operatorINS6_8equal_toIvEEEENSI_INSH_8argumentILj0EEEEENSH_5valueIdEEEEEEEEENSD_19counting_iterator_tIlEES8_S8_S8_S8_S8_S8_S8_S8_EEEEPS9_S9_NSD_9__find_if7functorIS9_EEEE10hipError_tPvRmT1_T2_T3_mT4_P12ihipStream_tbEUlT_E1_NS1_11comp_targetILNS1_3genE0ELNS1_11target_archE4294967295ELNS1_3gpuE0ELNS1_3repE0EEENS1_30default_config_static_selectorELNS0_4arch9wavefront6targetE1EEEvS17_, .Lfunc_end1733-_ZN7rocprim17ROCPRIM_400000_NS6detail17trampoline_kernelINS0_14default_configENS1_22reduce_config_selectorIN6thrust23THRUST_200600_302600_NS5tupleIblNS6_9null_typeES8_S8_S8_S8_S8_S8_S8_EEEEZNS1_11reduce_implILb1ES3_NS6_12zip_iteratorINS7_INS6_11hip_rocprim26transform_input_iterator_tIbPdNS6_6detail10functional5actorINSH_9compositeIJNSH_27transparent_binary_operatorINS6_8equal_toIvEEEENSI_INSH_8argumentILj0EEEEENSH_5valueIdEEEEEEEEENSD_19counting_iterator_tIlEES8_S8_S8_S8_S8_S8_S8_S8_EEEEPS9_S9_NSD_9__find_if7functorIS9_EEEE10hipError_tPvRmT1_T2_T3_mT4_P12ihipStream_tbEUlT_E1_NS1_11comp_targetILNS1_3genE0ELNS1_11target_archE4294967295ELNS1_3gpuE0ELNS1_3repE0EEENS1_30default_config_static_selectorELNS0_4arch9wavefront6targetE1EEEvS17_
                                        ; -- End function
	.set _ZN7rocprim17ROCPRIM_400000_NS6detail17trampoline_kernelINS0_14default_configENS1_22reduce_config_selectorIN6thrust23THRUST_200600_302600_NS5tupleIblNS6_9null_typeES8_S8_S8_S8_S8_S8_S8_EEEEZNS1_11reduce_implILb1ES3_NS6_12zip_iteratorINS7_INS6_11hip_rocprim26transform_input_iterator_tIbPdNS6_6detail10functional5actorINSH_9compositeIJNSH_27transparent_binary_operatorINS6_8equal_toIvEEEENSI_INSH_8argumentILj0EEEEENSH_5valueIdEEEEEEEEENSD_19counting_iterator_tIlEES8_S8_S8_S8_S8_S8_S8_S8_EEEEPS9_S9_NSD_9__find_if7functorIS9_EEEE10hipError_tPvRmT1_T2_T3_mT4_P12ihipStream_tbEUlT_E1_NS1_11comp_targetILNS1_3genE0ELNS1_11target_archE4294967295ELNS1_3gpuE0ELNS1_3repE0EEENS1_30default_config_static_selectorELNS0_4arch9wavefront6targetE1EEEvS17_.num_vgpr, 0
	.set _ZN7rocprim17ROCPRIM_400000_NS6detail17trampoline_kernelINS0_14default_configENS1_22reduce_config_selectorIN6thrust23THRUST_200600_302600_NS5tupleIblNS6_9null_typeES8_S8_S8_S8_S8_S8_S8_EEEEZNS1_11reduce_implILb1ES3_NS6_12zip_iteratorINS7_INS6_11hip_rocprim26transform_input_iterator_tIbPdNS6_6detail10functional5actorINSH_9compositeIJNSH_27transparent_binary_operatorINS6_8equal_toIvEEEENSI_INSH_8argumentILj0EEEEENSH_5valueIdEEEEEEEEENSD_19counting_iterator_tIlEES8_S8_S8_S8_S8_S8_S8_S8_EEEEPS9_S9_NSD_9__find_if7functorIS9_EEEE10hipError_tPvRmT1_T2_T3_mT4_P12ihipStream_tbEUlT_E1_NS1_11comp_targetILNS1_3genE0ELNS1_11target_archE4294967295ELNS1_3gpuE0ELNS1_3repE0EEENS1_30default_config_static_selectorELNS0_4arch9wavefront6targetE1EEEvS17_.num_agpr, 0
	.set _ZN7rocprim17ROCPRIM_400000_NS6detail17trampoline_kernelINS0_14default_configENS1_22reduce_config_selectorIN6thrust23THRUST_200600_302600_NS5tupleIblNS6_9null_typeES8_S8_S8_S8_S8_S8_S8_EEEEZNS1_11reduce_implILb1ES3_NS6_12zip_iteratorINS7_INS6_11hip_rocprim26transform_input_iterator_tIbPdNS6_6detail10functional5actorINSH_9compositeIJNSH_27transparent_binary_operatorINS6_8equal_toIvEEEENSI_INSH_8argumentILj0EEEEENSH_5valueIdEEEEEEEEENSD_19counting_iterator_tIlEES8_S8_S8_S8_S8_S8_S8_S8_EEEEPS9_S9_NSD_9__find_if7functorIS9_EEEE10hipError_tPvRmT1_T2_T3_mT4_P12ihipStream_tbEUlT_E1_NS1_11comp_targetILNS1_3genE0ELNS1_11target_archE4294967295ELNS1_3gpuE0ELNS1_3repE0EEENS1_30default_config_static_selectorELNS0_4arch9wavefront6targetE1EEEvS17_.numbered_sgpr, 0
	.set _ZN7rocprim17ROCPRIM_400000_NS6detail17trampoline_kernelINS0_14default_configENS1_22reduce_config_selectorIN6thrust23THRUST_200600_302600_NS5tupleIblNS6_9null_typeES8_S8_S8_S8_S8_S8_S8_EEEEZNS1_11reduce_implILb1ES3_NS6_12zip_iteratorINS7_INS6_11hip_rocprim26transform_input_iterator_tIbPdNS6_6detail10functional5actorINSH_9compositeIJNSH_27transparent_binary_operatorINS6_8equal_toIvEEEENSI_INSH_8argumentILj0EEEEENSH_5valueIdEEEEEEEEENSD_19counting_iterator_tIlEES8_S8_S8_S8_S8_S8_S8_S8_EEEEPS9_S9_NSD_9__find_if7functorIS9_EEEE10hipError_tPvRmT1_T2_T3_mT4_P12ihipStream_tbEUlT_E1_NS1_11comp_targetILNS1_3genE0ELNS1_11target_archE4294967295ELNS1_3gpuE0ELNS1_3repE0EEENS1_30default_config_static_selectorELNS0_4arch9wavefront6targetE1EEEvS17_.num_named_barrier, 0
	.set _ZN7rocprim17ROCPRIM_400000_NS6detail17trampoline_kernelINS0_14default_configENS1_22reduce_config_selectorIN6thrust23THRUST_200600_302600_NS5tupleIblNS6_9null_typeES8_S8_S8_S8_S8_S8_S8_EEEEZNS1_11reduce_implILb1ES3_NS6_12zip_iteratorINS7_INS6_11hip_rocprim26transform_input_iterator_tIbPdNS6_6detail10functional5actorINSH_9compositeIJNSH_27transparent_binary_operatorINS6_8equal_toIvEEEENSI_INSH_8argumentILj0EEEEENSH_5valueIdEEEEEEEEENSD_19counting_iterator_tIlEES8_S8_S8_S8_S8_S8_S8_S8_EEEEPS9_S9_NSD_9__find_if7functorIS9_EEEE10hipError_tPvRmT1_T2_T3_mT4_P12ihipStream_tbEUlT_E1_NS1_11comp_targetILNS1_3genE0ELNS1_11target_archE4294967295ELNS1_3gpuE0ELNS1_3repE0EEENS1_30default_config_static_selectorELNS0_4arch9wavefront6targetE1EEEvS17_.private_seg_size, 0
	.set _ZN7rocprim17ROCPRIM_400000_NS6detail17trampoline_kernelINS0_14default_configENS1_22reduce_config_selectorIN6thrust23THRUST_200600_302600_NS5tupleIblNS6_9null_typeES8_S8_S8_S8_S8_S8_S8_EEEEZNS1_11reduce_implILb1ES3_NS6_12zip_iteratorINS7_INS6_11hip_rocprim26transform_input_iterator_tIbPdNS6_6detail10functional5actorINSH_9compositeIJNSH_27transparent_binary_operatorINS6_8equal_toIvEEEENSI_INSH_8argumentILj0EEEEENSH_5valueIdEEEEEEEEENSD_19counting_iterator_tIlEES8_S8_S8_S8_S8_S8_S8_S8_EEEEPS9_S9_NSD_9__find_if7functorIS9_EEEE10hipError_tPvRmT1_T2_T3_mT4_P12ihipStream_tbEUlT_E1_NS1_11comp_targetILNS1_3genE0ELNS1_11target_archE4294967295ELNS1_3gpuE0ELNS1_3repE0EEENS1_30default_config_static_selectorELNS0_4arch9wavefront6targetE1EEEvS17_.uses_vcc, 0
	.set _ZN7rocprim17ROCPRIM_400000_NS6detail17trampoline_kernelINS0_14default_configENS1_22reduce_config_selectorIN6thrust23THRUST_200600_302600_NS5tupleIblNS6_9null_typeES8_S8_S8_S8_S8_S8_S8_EEEEZNS1_11reduce_implILb1ES3_NS6_12zip_iteratorINS7_INS6_11hip_rocprim26transform_input_iterator_tIbPdNS6_6detail10functional5actorINSH_9compositeIJNSH_27transparent_binary_operatorINS6_8equal_toIvEEEENSI_INSH_8argumentILj0EEEEENSH_5valueIdEEEEEEEEENSD_19counting_iterator_tIlEES8_S8_S8_S8_S8_S8_S8_S8_EEEEPS9_S9_NSD_9__find_if7functorIS9_EEEE10hipError_tPvRmT1_T2_T3_mT4_P12ihipStream_tbEUlT_E1_NS1_11comp_targetILNS1_3genE0ELNS1_11target_archE4294967295ELNS1_3gpuE0ELNS1_3repE0EEENS1_30default_config_static_selectorELNS0_4arch9wavefront6targetE1EEEvS17_.uses_flat_scratch, 0
	.set _ZN7rocprim17ROCPRIM_400000_NS6detail17trampoline_kernelINS0_14default_configENS1_22reduce_config_selectorIN6thrust23THRUST_200600_302600_NS5tupleIblNS6_9null_typeES8_S8_S8_S8_S8_S8_S8_EEEEZNS1_11reduce_implILb1ES3_NS6_12zip_iteratorINS7_INS6_11hip_rocprim26transform_input_iterator_tIbPdNS6_6detail10functional5actorINSH_9compositeIJNSH_27transparent_binary_operatorINS6_8equal_toIvEEEENSI_INSH_8argumentILj0EEEEENSH_5valueIdEEEEEEEEENSD_19counting_iterator_tIlEES8_S8_S8_S8_S8_S8_S8_S8_EEEEPS9_S9_NSD_9__find_if7functorIS9_EEEE10hipError_tPvRmT1_T2_T3_mT4_P12ihipStream_tbEUlT_E1_NS1_11comp_targetILNS1_3genE0ELNS1_11target_archE4294967295ELNS1_3gpuE0ELNS1_3repE0EEENS1_30default_config_static_selectorELNS0_4arch9wavefront6targetE1EEEvS17_.has_dyn_sized_stack, 0
	.set _ZN7rocprim17ROCPRIM_400000_NS6detail17trampoline_kernelINS0_14default_configENS1_22reduce_config_selectorIN6thrust23THRUST_200600_302600_NS5tupleIblNS6_9null_typeES8_S8_S8_S8_S8_S8_S8_EEEEZNS1_11reduce_implILb1ES3_NS6_12zip_iteratorINS7_INS6_11hip_rocprim26transform_input_iterator_tIbPdNS6_6detail10functional5actorINSH_9compositeIJNSH_27transparent_binary_operatorINS6_8equal_toIvEEEENSI_INSH_8argumentILj0EEEEENSH_5valueIdEEEEEEEEENSD_19counting_iterator_tIlEES8_S8_S8_S8_S8_S8_S8_S8_EEEEPS9_S9_NSD_9__find_if7functorIS9_EEEE10hipError_tPvRmT1_T2_T3_mT4_P12ihipStream_tbEUlT_E1_NS1_11comp_targetILNS1_3genE0ELNS1_11target_archE4294967295ELNS1_3gpuE0ELNS1_3repE0EEENS1_30default_config_static_selectorELNS0_4arch9wavefront6targetE1EEEvS17_.has_recursion, 0
	.set _ZN7rocprim17ROCPRIM_400000_NS6detail17trampoline_kernelINS0_14default_configENS1_22reduce_config_selectorIN6thrust23THRUST_200600_302600_NS5tupleIblNS6_9null_typeES8_S8_S8_S8_S8_S8_S8_EEEEZNS1_11reduce_implILb1ES3_NS6_12zip_iteratorINS7_INS6_11hip_rocprim26transform_input_iterator_tIbPdNS6_6detail10functional5actorINSH_9compositeIJNSH_27transparent_binary_operatorINS6_8equal_toIvEEEENSI_INSH_8argumentILj0EEEEENSH_5valueIdEEEEEEEEENSD_19counting_iterator_tIlEES8_S8_S8_S8_S8_S8_S8_S8_EEEEPS9_S9_NSD_9__find_if7functorIS9_EEEE10hipError_tPvRmT1_T2_T3_mT4_P12ihipStream_tbEUlT_E1_NS1_11comp_targetILNS1_3genE0ELNS1_11target_archE4294967295ELNS1_3gpuE0ELNS1_3repE0EEENS1_30default_config_static_selectorELNS0_4arch9wavefront6targetE1EEEvS17_.has_indirect_call, 0
	.section	.AMDGPU.csdata,"",@progbits
; Kernel info:
; codeLenInByte = 0
; TotalNumSgprs: 4
; NumVgprs: 0
; ScratchSize: 0
; MemoryBound: 0
; FloatMode: 240
; IeeeMode: 1
; LDSByteSize: 0 bytes/workgroup (compile time only)
; SGPRBlocks: 0
; VGPRBlocks: 0
; NumSGPRsForWavesPerEU: 4
; NumVGPRsForWavesPerEU: 1
; Occupancy: 10
; WaveLimiterHint : 0
; COMPUTE_PGM_RSRC2:SCRATCH_EN: 0
; COMPUTE_PGM_RSRC2:USER_SGPR: 6
; COMPUTE_PGM_RSRC2:TRAP_HANDLER: 0
; COMPUTE_PGM_RSRC2:TGID_X_EN: 1
; COMPUTE_PGM_RSRC2:TGID_Y_EN: 0
; COMPUTE_PGM_RSRC2:TGID_Z_EN: 0
; COMPUTE_PGM_RSRC2:TIDIG_COMP_CNT: 0
	.section	.text._ZN7rocprim17ROCPRIM_400000_NS6detail17trampoline_kernelINS0_14default_configENS1_22reduce_config_selectorIN6thrust23THRUST_200600_302600_NS5tupleIblNS6_9null_typeES8_S8_S8_S8_S8_S8_S8_EEEEZNS1_11reduce_implILb1ES3_NS6_12zip_iteratorINS7_INS6_11hip_rocprim26transform_input_iterator_tIbPdNS6_6detail10functional5actorINSH_9compositeIJNSH_27transparent_binary_operatorINS6_8equal_toIvEEEENSI_INSH_8argumentILj0EEEEENSH_5valueIdEEEEEEEEENSD_19counting_iterator_tIlEES8_S8_S8_S8_S8_S8_S8_S8_EEEEPS9_S9_NSD_9__find_if7functorIS9_EEEE10hipError_tPvRmT1_T2_T3_mT4_P12ihipStream_tbEUlT_E1_NS1_11comp_targetILNS1_3genE5ELNS1_11target_archE942ELNS1_3gpuE9ELNS1_3repE0EEENS1_30default_config_static_selectorELNS0_4arch9wavefront6targetE1EEEvS17_,"axG",@progbits,_ZN7rocprim17ROCPRIM_400000_NS6detail17trampoline_kernelINS0_14default_configENS1_22reduce_config_selectorIN6thrust23THRUST_200600_302600_NS5tupleIblNS6_9null_typeES8_S8_S8_S8_S8_S8_S8_EEEEZNS1_11reduce_implILb1ES3_NS6_12zip_iteratorINS7_INS6_11hip_rocprim26transform_input_iterator_tIbPdNS6_6detail10functional5actorINSH_9compositeIJNSH_27transparent_binary_operatorINS6_8equal_toIvEEEENSI_INSH_8argumentILj0EEEEENSH_5valueIdEEEEEEEEENSD_19counting_iterator_tIlEES8_S8_S8_S8_S8_S8_S8_S8_EEEEPS9_S9_NSD_9__find_if7functorIS9_EEEE10hipError_tPvRmT1_T2_T3_mT4_P12ihipStream_tbEUlT_E1_NS1_11comp_targetILNS1_3genE5ELNS1_11target_archE942ELNS1_3gpuE9ELNS1_3repE0EEENS1_30default_config_static_selectorELNS0_4arch9wavefront6targetE1EEEvS17_,comdat
	.protected	_ZN7rocprim17ROCPRIM_400000_NS6detail17trampoline_kernelINS0_14default_configENS1_22reduce_config_selectorIN6thrust23THRUST_200600_302600_NS5tupleIblNS6_9null_typeES8_S8_S8_S8_S8_S8_S8_EEEEZNS1_11reduce_implILb1ES3_NS6_12zip_iteratorINS7_INS6_11hip_rocprim26transform_input_iterator_tIbPdNS6_6detail10functional5actorINSH_9compositeIJNSH_27transparent_binary_operatorINS6_8equal_toIvEEEENSI_INSH_8argumentILj0EEEEENSH_5valueIdEEEEEEEEENSD_19counting_iterator_tIlEES8_S8_S8_S8_S8_S8_S8_S8_EEEEPS9_S9_NSD_9__find_if7functorIS9_EEEE10hipError_tPvRmT1_T2_T3_mT4_P12ihipStream_tbEUlT_E1_NS1_11comp_targetILNS1_3genE5ELNS1_11target_archE942ELNS1_3gpuE9ELNS1_3repE0EEENS1_30default_config_static_selectorELNS0_4arch9wavefront6targetE1EEEvS17_ ; -- Begin function _ZN7rocprim17ROCPRIM_400000_NS6detail17trampoline_kernelINS0_14default_configENS1_22reduce_config_selectorIN6thrust23THRUST_200600_302600_NS5tupleIblNS6_9null_typeES8_S8_S8_S8_S8_S8_S8_EEEEZNS1_11reduce_implILb1ES3_NS6_12zip_iteratorINS7_INS6_11hip_rocprim26transform_input_iterator_tIbPdNS6_6detail10functional5actorINSH_9compositeIJNSH_27transparent_binary_operatorINS6_8equal_toIvEEEENSI_INSH_8argumentILj0EEEEENSH_5valueIdEEEEEEEEENSD_19counting_iterator_tIlEES8_S8_S8_S8_S8_S8_S8_S8_EEEEPS9_S9_NSD_9__find_if7functorIS9_EEEE10hipError_tPvRmT1_T2_T3_mT4_P12ihipStream_tbEUlT_E1_NS1_11comp_targetILNS1_3genE5ELNS1_11target_archE942ELNS1_3gpuE9ELNS1_3repE0EEENS1_30default_config_static_selectorELNS0_4arch9wavefront6targetE1EEEvS17_
	.globl	_ZN7rocprim17ROCPRIM_400000_NS6detail17trampoline_kernelINS0_14default_configENS1_22reduce_config_selectorIN6thrust23THRUST_200600_302600_NS5tupleIblNS6_9null_typeES8_S8_S8_S8_S8_S8_S8_EEEEZNS1_11reduce_implILb1ES3_NS6_12zip_iteratorINS7_INS6_11hip_rocprim26transform_input_iterator_tIbPdNS6_6detail10functional5actorINSH_9compositeIJNSH_27transparent_binary_operatorINS6_8equal_toIvEEEENSI_INSH_8argumentILj0EEEEENSH_5valueIdEEEEEEEEENSD_19counting_iterator_tIlEES8_S8_S8_S8_S8_S8_S8_S8_EEEEPS9_S9_NSD_9__find_if7functorIS9_EEEE10hipError_tPvRmT1_T2_T3_mT4_P12ihipStream_tbEUlT_E1_NS1_11comp_targetILNS1_3genE5ELNS1_11target_archE942ELNS1_3gpuE9ELNS1_3repE0EEENS1_30default_config_static_selectorELNS0_4arch9wavefront6targetE1EEEvS17_
	.p2align	8
	.type	_ZN7rocprim17ROCPRIM_400000_NS6detail17trampoline_kernelINS0_14default_configENS1_22reduce_config_selectorIN6thrust23THRUST_200600_302600_NS5tupleIblNS6_9null_typeES8_S8_S8_S8_S8_S8_S8_EEEEZNS1_11reduce_implILb1ES3_NS6_12zip_iteratorINS7_INS6_11hip_rocprim26transform_input_iterator_tIbPdNS6_6detail10functional5actorINSH_9compositeIJNSH_27transparent_binary_operatorINS6_8equal_toIvEEEENSI_INSH_8argumentILj0EEEEENSH_5valueIdEEEEEEEEENSD_19counting_iterator_tIlEES8_S8_S8_S8_S8_S8_S8_S8_EEEEPS9_S9_NSD_9__find_if7functorIS9_EEEE10hipError_tPvRmT1_T2_T3_mT4_P12ihipStream_tbEUlT_E1_NS1_11comp_targetILNS1_3genE5ELNS1_11target_archE942ELNS1_3gpuE9ELNS1_3repE0EEENS1_30default_config_static_selectorELNS0_4arch9wavefront6targetE1EEEvS17_,@function
_ZN7rocprim17ROCPRIM_400000_NS6detail17trampoline_kernelINS0_14default_configENS1_22reduce_config_selectorIN6thrust23THRUST_200600_302600_NS5tupleIblNS6_9null_typeES8_S8_S8_S8_S8_S8_S8_EEEEZNS1_11reduce_implILb1ES3_NS6_12zip_iteratorINS7_INS6_11hip_rocprim26transform_input_iterator_tIbPdNS6_6detail10functional5actorINSH_9compositeIJNSH_27transparent_binary_operatorINS6_8equal_toIvEEEENSI_INSH_8argumentILj0EEEEENSH_5valueIdEEEEEEEEENSD_19counting_iterator_tIlEES8_S8_S8_S8_S8_S8_S8_S8_EEEEPS9_S9_NSD_9__find_if7functorIS9_EEEE10hipError_tPvRmT1_T2_T3_mT4_P12ihipStream_tbEUlT_E1_NS1_11comp_targetILNS1_3genE5ELNS1_11target_archE942ELNS1_3gpuE9ELNS1_3repE0EEENS1_30default_config_static_selectorELNS0_4arch9wavefront6targetE1EEEvS17_: ; @_ZN7rocprim17ROCPRIM_400000_NS6detail17trampoline_kernelINS0_14default_configENS1_22reduce_config_selectorIN6thrust23THRUST_200600_302600_NS5tupleIblNS6_9null_typeES8_S8_S8_S8_S8_S8_S8_EEEEZNS1_11reduce_implILb1ES3_NS6_12zip_iteratorINS7_INS6_11hip_rocprim26transform_input_iterator_tIbPdNS6_6detail10functional5actorINSH_9compositeIJNSH_27transparent_binary_operatorINS6_8equal_toIvEEEENSI_INSH_8argumentILj0EEEEENSH_5valueIdEEEEEEEEENSD_19counting_iterator_tIlEES8_S8_S8_S8_S8_S8_S8_S8_EEEEPS9_S9_NSD_9__find_if7functorIS9_EEEE10hipError_tPvRmT1_T2_T3_mT4_P12ihipStream_tbEUlT_E1_NS1_11comp_targetILNS1_3genE5ELNS1_11target_archE942ELNS1_3gpuE9ELNS1_3repE0EEENS1_30default_config_static_selectorELNS0_4arch9wavefront6targetE1EEEvS17_
; %bb.0:
	.section	.rodata,"a",@progbits
	.p2align	6, 0x0
	.amdhsa_kernel _ZN7rocprim17ROCPRIM_400000_NS6detail17trampoline_kernelINS0_14default_configENS1_22reduce_config_selectorIN6thrust23THRUST_200600_302600_NS5tupleIblNS6_9null_typeES8_S8_S8_S8_S8_S8_S8_EEEEZNS1_11reduce_implILb1ES3_NS6_12zip_iteratorINS7_INS6_11hip_rocprim26transform_input_iterator_tIbPdNS6_6detail10functional5actorINSH_9compositeIJNSH_27transparent_binary_operatorINS6_8equal_toIvEEEENSI_INSH_8argumentILj0EEEEENSH_5valueIdEEEEEEEEENSD_19counting_iterator_tIlEES8_S8_S8_S8_S8_S8_S8_S8_EEEEPS9_S9_NSD_9__find_if7functorIS9_EEEE10hipError_tPvRmT1_T2_T3_mT4_P12ihipStream_tbEUlT_E1_NS1_11comp_targetILNS1_3genE5ELNS1_11target_archE942ELNS1_3gpuE9ELNS1_3repE0EEENS1_30default_config_static_selectorELNS0_4arch9wavefront6targetE1EEEvS17_
		.amdhsa_group_segment_fixed_size 0
		.amdhsa_private_segment_fixed_size 0
		.amdhsa_kernarg_size 80
		.amdhsa_user_sgpr_count 6
		.amdhsa_user_sgpr_private_segment_buffer 1
		.amdhsa_user_sgpr_dispatch_ptr 0
		.amdhsa_user_sgpr_queue_ptr 0
		.amdhsa_user_sgpr_kernarg_segment_ptr 1
		.amdhsa_user_sgpr_dispatch_id 0
		.amdhsa_user_sgpr_flat_scratch_init 0
		.amdhsa_user_sgpr_private_segment_size 0
		.amdhsa_uses_dynamic_stack 0
		.amdhsa_system_sgpr_private_segment_wavefront_offset 0
		.amdhsa_system_sgpr_workgroup_id_x 1
		.amdhsa_system_sgpr_workgroup_id_y 0
		.amdhsa_system_sgpr_workgroup_id_z 0
		.amdhsa_system_sgpr_workgroup_info 0
		.amdhsa_system_vgpr_workitem_id 0
		.amdhsa_next_free_vgpr 1
		.amdhsa_next_free_sgpr 0
		.amdhsa_reserve_vcc 0
		.amdhsa_reserve_flat_scratch 0
		.amdhsa_float_round_mode_32 0
		.amdhsa_float_round_mode_16_64 0
		.amdhsa_float_denorm_mode_32 3
		.amdhsa_float_denorm_mode_16_64 3
		.amdhsa_dx10_clamp 1
		.amdhsa_ieee_mode 1
		.amdhsa_fp16_overflow 0
		.amdhsa_exception_fp_ieee_invalid_op 0
		.amdhsa_exception_fp_denorm_src 0
		.amdhsa_exception_fp_ieee_div_zero 0
		.amdhsa_exception_fp_ieee_overflow 0
		.amdhsa_exception_fp_ieee_underflow 0
		.amdhsa_exception_fp_ieee_inexact 0
		.amdhsa_exception_int_div_zero 0
	.end_amdhsa_kernel
	.section	.text._ZN7rocprim17ROCPRIM_400000_NS6detail17trampoline_kernelINS0_14default_configENS1_22reduce_config_selectorIN6thrust23THRUST_200600_302600_NS5tupleIblNS6_9null_typeES8_S8_S8_S8_S8_S8_S8_EEEEZNS1_11reduce_implILb1ES3_NS6_12zip_iteratorINS7_INS6_11hip_rocprim26transform_input_iterator_tIbPdNS6_6detail10functional5actorINSH_9compositeIJNSH_27transparent_binary_operatorINS6_8equal_toIvEEEENSI_INSH_8argumentILj0EEEEENSH_5valueIdEEEEEEEEENSD_19counting_iterator_tIlEES8_S8_S8_S8_S8_S8_S8_S8_EEEEPS9_S9_NSD_9__find_if7functorIS9_EEEE10hipError_tPvRmT1_T2_T3_mT4_P12ihipStream_tbEUlT_E1_NS1_11comp_targetILNS1_3genE5ELNS1_11target_archE942ELNS1_3gpuE9ELNS1_3repE0EEENS1_30default_config_static_selectorELNS0_4arch9wavefront6targetE1EEEvS17_,"axG",@progbits,_ZN7rocprim17ROCPRIM_400000_NS6detail17trampoline_kernelINS0_14default_configENS1_22reduce_config_selectorIN6thrust23THRUST_200600_302600_NS5tupleIblNS6_9null_typeES8_S8_S8_S8_S8_S8_S8_EEEEZNS1_11reduce_implILb1ES3_NS6_12zip_iteratorINS7_INS6_11hip_rocprim26transform_input_iterator_tIbPdNS6_6detail10functional5actorINSH_9compositeIJNSH_27transparent_binary_operatorINS6_8equal_toIvEEEENSI_INSH_8argumentILj0EEEEENSH_5valueIdEEEEEEEEENSD_19counting_iterator_tIlEES8_S8_S8_S8_S8_S8_S8_S8_EEEEPS9_S9_NSD_9__find_if7functorIS9_EEEE10hipError_tPvRmT1_T2_T3_mT4_P12ihipStream_tbEUlT_E1_NS1_11comp_targetILNS1_3genE5ELNS1_11target_archE942ELNS1_3gpuE9ELNS1_3repE0EEENS1_30default_config_static_selectorELNS0_4arch9wavefront6targetE1EEEvS17_,comdat
.Lfunc_end1734:
	.size	_ZN7rocprim17ROCPRIM_400000_NS6detail17trampoline_kernelINS0_14default_configENS1_22reduce_config_selectorIN6thrust23THRUST_200600_302600_NS5tupleIblNS6_9null_typeES8_S8_S8_S8_S8_S8_S8_EEEEZNS1_11reduce_implILb1ES3_NS6_12zip_iteratorINS7_INS6_11hip_rocprim26transform_input_iterator_tIbPdNS6_6detail10functional5actorINSH_9compositeIJNSH_27transparent_binary_operatorINS6_8equal_toIvEEEENSI_INSH_8argumentILj0EEEEENSH_5valueIdEEEEEEEEENSD_19counting_iterator_tIlEES8_S8_S8_S8_S8_S8_S8_S8_EEEEPS9_S9_NSD_9__find_if7functorIS9_EEEE10hipError_tPvRmT1_T2_T3_mT4_P12ihipStream_tbEUlT_E1_NS1_11comp_targetILNS1_3genE5ELNS1_11target_archE942ELNS1_3gpuE9ELNS1_3repE0EEENS1_30default_config_static_selectorELNS0_4arch9wavefront6targetE1EEEvS17_, .Lfunc_end1734-_ZN7rocprim17ROCPRIM_400000_NS6detail17trampoline_kernelINS0_14default_configENS1_22reduce_config_selectorIN6thrust23THRUST_200600_302600_NS5tupleIblNS6_9null_typeES8_S8_S8_S8_S8_S8_S8_EEEEZNS1_11reduce_implILb1ES3_NS6_12zip_iteratorINS7_INS6_11hip_rocprim26transform_input_iterator_tIbPdNS6_6detail10functional5actorINSH_9compositeIJNSH_27transparent_binary_operatorINS6_8equal_toIvEEEENSI_INSH_8argumentILj0EEEEENSH_5valueIdEEEEEEEEENSD_19counting_iterator_tIlEES8_S8_S8_S8_S8_S8_S8_S8_EEEEPS9_S9_NSD_9__find_if7functorIS9_EEEE10hipError_tPvRmT1_T2_T3_mT4_P12ihipStream_tbEUlT_E1_NS1_11comp_targetILNS1_3genE5ELNS1_11target_archE942ELNS1_3gpuE9ELNS1_3repE0EEENS1_30default_config_static_selectorELNS0_4arch9wavefront6targetE1EEEvS17_
                                        ; -- End function
	.set _ZN7rocprim17ROCPRIM_400000_NS6detail17trampoline_kernelINS0_14default_configENS1_22reduce_config_selectorIN6thrust23THRUST_200600_302600_NS5tupleIblNS6_9null_typeES8_S8_S8_S8_S8_S8_S8_EEEEZNS1_11reduce_implILb1ES3_NS6_12zip_iteratorINS7_INS6_11hip_rocprim26transform_input_iterator_tIbPdNS6_6detail10functional5actorINSH_9compositeIJNSH_27transparent_binary_operatorINS6_8equal_toIvEEEENSI_INSH_8argumentILj0EEEEENSH_5valueIdEEEEEEEEENSD_19counting_iterator_tIlEES8_S8_S8_S8_S8_S8_S8_S8_EEEEPS9_S9_NSD_9__find_if7functorIS9_EEEE10hipError_tPvRmT1_T2_T3_mT4_P12ihipStream_tbEUlT_E1_NS1_11comp_targetILNS1_3genE5ELNS1_11target_archE942ELNS1_3gpuE9ELNS1_3repE0EEENS1_30default_config_static_selectorELNS0_4arch9wavefront6targetE1EEEvS17_.num_vgpr, 0
	.set _ZN7rocprim17ROCPRIM_400000_NS6detail17trampoline_kernelINS0_14default_configENS1_22reduce_config_selectorIN6thrust23THRUST_200600_302600_NS5tupleIblNS6_9null_typeES8_S8_S8_S8_S8_S8_S8_EEEEZNS1_11reduce_implILb1ES3_NS6_12zip_iteratorINS7_INS6_11hip_rocprim26transform_input_iterator_tIbPdNS6_6detail10functional5actorINSH_9compositeIJNSH_27transparent_binary_operatorINS6_8equal_toIvEEEENSI_INSH_8argumentILj0EEEEENSH_5valueIdEEEEEEEEENSD_19counting_iterator_tIlEES8_S8_S8_S8_S8_S8_S8_S8_EEEEPS9_S9_NSD_9__find_if7functorIS9_EEEE10hipError_tPvRmT1_T2_T3_mT4_P12ihipStream_tbEUlT_E1_NS1_11comp_targetILNS1_3genE5ELNS1_11target_archE942ELNS1_3gpuE9ELNS1_3repE0EEENS1_30default_config_static_selectorELNS0_4arch9wavefront6targetE1EEEvS17_.num_agpr, 0
	.set _ZN7rocprim17ROCPRIM_400000_NS6detail17trampoline_kernelINS0_14default_configENS1_22reduce_config_selectorIN6thrust23THRUST_200600_302600_NS5tupleIblNS6_9null_typeES8_S8_S8_S8_S8_S8_S8_EEEEZNS1_11reduce_implILb1ES3_NS6_12zip_iteratorINS7_INS6_11hip_rocprim26transform_input_iterator_tIbPdNS6_6detail10functional5actorINSH_9compositeIJNSH_27transparent_binary_operatorINS6_8equal_toIvEEEENSI_INSH_8argumentILj0EEEEENSH_5valueIdEEEEEEEEENSD_19counting_iterator_tIlEES8_S8_S8_S8_S8_S8_S8_S8_EEEEPS9_S9_NSD_9__find_if7functorIS9_EEEE10hipError_tPvRmT1_T2_T3_mT4_P12ihipStream_tbEUlT_E1_NS1_11comp_targetILNS1_3genE5ELNS1_11target_archE942ELNS1_3gpuE9ELNS1_3repE0EEENS1_30default_config_static_selectorELNS0_4arch9wavefront6targetE1EEEvS17_.numbered_sgpr, 0
	.set _ZN7rocprim17ROCPRIM_400000_NS6detail17trampoline_kernelINS0_14default_configENS1_22reduce_config_selectorIN6thrust23THRUST_200600_302600_NS5tupleIblNS6_9null_typeES8_S8_S8_S8_S8_S8_S8_EEEEZNS1_11reduce_implILb1ES3_NS6_12zip_iteratorINS7_INS6_11hip_rocprim26transform_input_iterator_tIbPdNS6_6detail10functional5actorINSH_9compositeIJNSH_27transparent_binary_operatorINS6_8equal_toIvEEEENSI_INSH_8argumentILj0EEEEENSH_5valueIdEEEEEEEEENSD_19counting_iterator_tIlEES8_S8_S8_S8_S8_S8_S8_S8_EEEEPS9_S9_NSD_9__find_if7functorIS9_EEEE10hipError_tPvRmT1_T2_T3_mT4_P12ihipStream_tbEUlT_E1_NS1_11comp_targetILNS1_3genE5ELNS1_11target_archE942ELNS1_3gpuE9ELNS1_3repE0EEENS1_30default_config_static_selectorELNS0_4arch9wavefront6targetE1EEEvS17_.num_named_barrier, 0
	.set _ZN7rocprim17ROCPRIM_400000_NS6detail17trampoline_kernelINS0_14default_configENS1_22reduce_config_selectorIN6thrust23THRUST_200600_302600_NS5tupleIblNS6_9null_typeES8_S8_S8_S8_S8_S8_S8_EEEEZNS1_11reduce_implILb1ES3_NS6_12zip_iteratorINS7_INS6_11hip_rocprim26transform_input_iterator_tIbPdNS6_6detail10functional5actorINSH_9compositeIJNSH_27transparent_binary_operatorINS6_8equal_toIvEEEENSI_INSH_8argumentILj0EEEEENSH_5valueIdEEEEEEEEENSD_19counting_iterator_tIlEES8_S8_S8_S8_S8_S8_S8_S8_EEEEPS9_S9_NSD_9__find_if7functorIS9_EEEE10hipError_tPvRmT1_T2_T3_mT4_P12ihipStream_tbEUlT_E1_NS1_11comp_targetILNS1_3genE5ELNS1_11target_archE942ELNS1_3gpuE9ELNS1_3repE0EEENS1_30default_config_static_selectorELNS0_4arch9wavefront6targetE1EEEvS17_.private_seg_size, 0
	.set _ZN7rocprim17ROCPRIM_400000_NS6detail17trampoline_kernelINS0_14default_configENS1_22reduce_config_selectorIN6thrust23THRUST_200600_302600_NS5tupleIblNS6_9null_typeES8_S8_S8_S8_S8_S8_S8_EEEEZNS1_11reduce_implILb1ES3_NS6_12zip_iteratorINS7_INS6_11hip_rocprim26transform_input_iterator_tIbPdNS6_6detail10functional5actorINSH_9compositeIJNSH_27transparent_binary_operatorINS6_8equal_toIvEEEENSI_INSH_8argumentILj0EEEEENSH_5valueIdEEEEEEEEENSD_19counting_iterator_tIlEES8_S8_S8_S8_S8_S8_S8_S8_EEEEPS9_S9_NSD_9__find_if7functorIS9_EEEE10hipError_tPvRmT1_T2_T3_mT4_P12ihipStream_tbEUlT_E1_NS1_11comp_targetILNS1_3genE5ELNS1_11target_archE942ELNS1_3gpuE9ELNS1_3repE0EEENS1_30default_config_static_selectorELNS0_4arch9wavefront6targetE1EEEvS17_.uses_vcc, 0
	.set _ZN7rocprim17ROCPRIM_400000_NS6detail17trampoline_kernelINS0_14default_configENS1_22reduce_config_selectorIN6thrust23THRUST_200600_302600_NS5tupleIblNS6_9null_typeES8_S8_S8_S8_S8_S8_S8_EEEEZNS1_11reduce_implILb1ES3_NS6_12zip_iteratorINS7_INS6_11hip_rocprim26transform_input_iterator_tIbPdNS6_6detail10functional5actorINSH_9compositeIJNSH_27transparent_binary_operatorINS6_8equal_toIvEEEENSI_INSH_8argumentILj0EEEEENSH_5valueIdEEEEEEEEENSD_19counting_iterator_tIlEES8_S8_S8_S8_S8_S8_S8_S8_EEEEPS9_S9_NSD_9__find_if7functorIS9_EEEE10hipError_tPvRmT1_T2_T3_mT4_P12ihipStream_tbEUlT_E1_NS1_11comp_targetILNS1_3genE5ELNS1_11target_archE942ELNS1_3gpuE9ELNS1_3repE0EEENS1_30default_config_static_selectorELNS0_4arch9wavefront6targetE1EEEvS17_.uses_flat_scratch, 0
	.set _ZN7rocprim17ROCPRIM_400000_NS6detail17trampoline_kernelINS0_14default_configENS1_22reduce_config_selectorIN6thrust23THRUST_200600_302600_NS5tupleIblNS6_9null_typeES8_S8_S8_S8_S8_S8_S8_EEEEZNS1_11reduce_implILb1ES3_NS6_12zip_iteratorINS7_INS6_11hip_rocprim26transform_input_iterator_tIbPdNS6_6detail10functional5actorINSH_9compositeIJNSH_27transparent_binary_operatorINS6_8equal_toIvEEEENSI_INSH_8argumentILj0EEEEENSH_5valueIdEEEEEEEEENSD_19counting_iterator_tIlEES8_S8_S8_S8_S8_S8_S8_S8_EEEEPS9_S9_NSD_9__find_if7functorIS9_EEEE10hipError_tPvRmT1_T2_T3_mT4_P12ihipStream_tbEUlT_E1_NS1_11comp_targetILNS1_3genE5ELNS1_11target_archE942ELNS1_3gpuE9ELNS1_3repE0EEENS1_30default_config_static_selectorELNS0_4arch9wavefront6targetE1EEEvS17_.has_dyn_sized_stack, 0
	.set _ZN7rocprim17ROCPRIM_400000_NS6detail17trampoline_kernelINS0_14default_configENS1_22reduce_config_selectorIN6thrust23THRUST_200600_302600_NS5tupleIblNS6_9null_typeES8_S8_S8_S8_S8_S8_S8_EEEEZNS1_11reduce_implILb1ES3_NS6_12zip_iteratorINS7_INS6_11hip_rocprim26transform_input_iterator_tIbPdNS6_6detail10functional5actorINSH_9compositeIJNSH_27transparent_binary_operatorINS6_8equal_toIvEEEENSI_INSH_8argumentILj0EEEEENSH_5valueIdEEEEEEEEENSD_19counting_iterator_tIlEES8_S8_S8_S8_S8_S8_S8_S8_EEEEPS9_S9_NSD_9__find_if7functorIS9_EEEE10hipError_tPvRmT1_T2_T3_mT4_P12ihipStream_tbEUlT_E1_NS1_11comp_targetILNS1_3genE5ELNS1_11target_archE942ELNS1_3gpuE9ELNS1_3repE0EEENS1_30default_config_static_selectorELNS0_4arch9wavefront6targetE1EEEvS17_.has_recursion, 0
	.set _ZN7rocprim17ROCPRIM_400000_NS6detail17trampoline_kernelINS0_14default_configENS1_22reduce_config_selectorIN6thrust23THRUST_200600_302600_NS5tupleIblNS6_9null_typeES8_S8_S8_S8_S8_S8_S8_EEEEZNS1_11reduce_implILb1ES3_NS6_12zip_iteratorINS7_INS6_11hip_rocprim26transform_input_iterator_tIbPdNS6_6detail10functional5actorINSH_9compositeIJNSH_27transparent_binary_operatorINS6_8equal_toIvEEEENSI_INSH_8argumentILj0EEEEENSH_5valueIdEEEEEEEEENSD_19counting_iterator_tIlEES8_S8_S8_S8_S8_S8_S8_S8_EEEEPS9_S9_NSD_9__find_if7functorIS9_EEEE10hipError_tPvRmT1_T2_T3_mT4_P12ihipStream_tbEUlT_E1_NS1_11comp_targetILNS1_3genE5ELNS1_11target_archE942ELNS1_3gpuE9ELNS1_3repE0EEENS1_30default_config_static_selectorELNS0_4arch9wavefront6targetE1EEEvS17_.has_indirect_call, 0
	.section	.AMDGPU.csdata,"",@progbits
; Kernel info:
; codeLenInByte = 0
; TotalNumSgprs: 4
; NumVgprs: 0
; ScratchSize: 0
; MemoryBound: 0
; FloatMode: 240
; IeeeMode: 1
; LDSByteSize: 0 bytes/workgroup (compile time only)
; SGPRBlocks: 0
; VGPRBlocks: 0
; NumSGPRsForWavesPerEU: 4
; NumVGPRsForWavesPerEU: 1
; Occupancy: 10
; WaveLimiterHint : 0
; COMPUTE_PGM_RSRC2:SCRATCH_EN: 0
; COMPUTE_PGM_RSRC2:USER_SGPR: 6
; COMPUTE_PGM_RSRC2:TRAP_HANDLER: 0
; COMPUTE_PGM_RSRC2:TGID_X_EN: 1
; COMPUTE_PGM_RSRC2:TGID_Y_EN: 0
; COMPUTE_PGM_RSRC2:TGID_Z_EN: 0
; COMPUTE_PGM_RSRC2:TIDIG_COMP_CNT: 0
	.section	.text._ZN7rocprim17ROCPRIM_400000_NS6detail17trampoline_kernelINS0_14default_configENS1_22reduce_config_selectorIN6thrust23THRUST_200600_302600_NS5tupleIblNS6_9null_typeES8_S8_S8_S8_S8_S8_S8_EEEEZNS1_11reduce_implILb1ES3_NS6_12zip_iteratorINS7_INS6_11hip_rocprim26transform_input_iterator_tIbPdNS6_6detail10functional5actorINSH_9compositeIJNSH_27transparent_binary_operatorINS6_8equal_toIvEEEENSI_INSH_8argumentILj0EEEEENSH_5valueIdEEEEEEEEENSD_19counting_iterator_tIlEES8_S8_S8_S8_S8_S8_S8_S8_EEEEPS9_S9_NSD_9__find_if7functorIS9_EEEE10hipError_tPvRmT1_T2_T3_mT4_P12ihipStream_tbEUlT_E1_NS1_11comp_targetILNS1_3genE4ELNS1_11target_archE910ELNS1_3gpuE8ELNS1_3repE0EEENS1_30default_config_static_selectorELNS0_4arch9wavefront6targetE1EEEvS17_,"axG",@progbits,_ZN7rocprim17ROCPRIM_400000_NS6detail17trampoline_kernelINS0_14default_configENS1_22reduce_config_selectorIN6thrust23THRUST_200600_302600_NS5tupleIblNS6_9null_typeES8_S8_S8_S8_S8_S8_S8_EEEEZNS1_11reduce_implILb1ES3_NS6_12zip_iteratorINS7_INS6_11hip_rocprim26transform_input_iterator_tIbPdNS6_6detail10functional5actorINSH_9compositeIJNSH_27transparent_binary_operatorINS6_8equal_toIvEEEENSI_INSH_8argumentILj0EEEEENSH_5valueIdEEEEEEEEENSD_19counting_iterator_tIlEES8_S8_S8_S8_S8_S8_S8_S8_EEEEPS9_S9_NSD_9__find_if7functorIS9_EEEE10hipError_tPvRmT1_T2_T3_mT4_P12ihipStream_tbEUlT_E1_NS1_11comp_targetILNS1_3genE4ELNS1_11target_archE910ELNS1_3gpuE8ELNS1_3repE0EEENS1_30default_config_static_selectorELNS0_4arch9wavefront6targetE1EEEvS17_,comdat
	.protected	_ZN7rocprim17ROCPRIM_400000_NS6detail17trampoline_kernelINS0_14default_configENS1_22reduce_config_selectorIN6thrust23THRUST_200600_302600_NS5tupleIblNS6_9null_typeES8_S8_S8_S8_S8_S8_S8_EEEEZNS1_11reduce_implILb1ES3_NS6_12zip_iteratorINS7_INS6_11hip_rocprim26transform_input_iterator_tIbPdNS6_6detail10functional5actorINSH_9compositeIJNSH_27transparent_binary_operatorINS6_8equal_toIvEEEENSI_INSH_8argumentILj0EEEEENSH_5valueIdEEEEEEEEENSD_19counting_iterator_tIlEES8_S8_S8_S8_S8_S8_S8_S8_EEEEPS9_S9_NSD_9__find_if7functorIS9_EEEE10hipError_tPvRmT1_T2_T3_mT4_P12ihipStream_tbEUlT_E1_NS1_11comp_targetILNS1_3genE4ELNS1_11target_archE910ELNS1_3gpuE8ELNS1_3repE0EEENS1_30default_config_static_selectorELNS0_4arch9wavefront6targetE1EEEvS17_ ; -- Begin function _ZN7rocprim17ROCPRIM_400000_NS6detail17trampoline_kernelINS0_14default_configENS1_22reduce_config_selectorIN6thrust23THRUST_200600_302600_NS5tupleIblNS6_9null_typeES8_S8_S8_S8_S8_S8_S8_EEEEZNS1_11reduce_implILb1ES3_NS6_12zip_iteratorINS7_INS6_11hip_rocprim26transform_input_iterator_tIbPdNS6_6detail10functional5actorINSH_9compositeIJNSH_27transparent_binary_operatorINS6_8equal_toIvEEEENSI_INSH_8argumentILj0EEEEENSH_5valueIdEEEEEEEEENSD_19counting_iterator_tIlEES8_S8_S8_S8_S8_S8_S8_S8_EEEEPS9_S9_NSD_9__find_if7functorIS9_EEEE10hipError_tPvRmT1_T2_T3_mT4_P12ihipStream_tbEUlT_E1_NS1_11comp_targetILNS1_3genE4ELNS1_11target_archE910ELNS1_3gpuE8ELNS1_3repE0EEENS1_30default_config_static_selectorELNS0_4arch9wavefront6targetE1EEEvS17_
	.globl	_ZN7rocprim17ROCPRIM_400000_NS6detail17trampoline_kernelINS0_14default_configENS1_22reduce_config_selectorIN6thrust23THRUST_200600_302600_NS5tupleIblNS6_9null_typeES8_S8_S8_S8_S8_S8_S8_EEEEZNS1_11reduce_implILb1ES3_NS6_12zip_iteratorINS7_INS6_11hip_rocprim26transform_input_iterator_tIbPdNS6_6detail10functional5actorINSH_9compositeIJNSH_27transparent_binary_operatorINS6_8equal_toIvEEEENSI_INSH_8argumentILj0EEEEENSH_5valueIdEEEEEEEEENSD_19counting_iterator_tIlEES8_S8_S8_S8_S8_S8_S8_S8_EEEEPS9_S9_NSD_9__find_if7functorIS9_EEEE10hipError_tPvRmT1_T2_T3_mT4_P12ihipStream_tbEUlT_E1_NS1_11comp_targetILNS1_3genE4ELNS1_11target_archE910ELNS1_3gpuE8ELNS1_3repE0EEENS1_30default_config_static_selectorELNS0_4arch9wavefront6targetE1EEEvS17_
	.p2align	8
	.type	_ZN7rocprim17ROCPRIM_400000_NS6detail17trampoline_kernelINS0_14default_configENS1_22reduce_config_selectorIN6thrust23THRUST_200600_302600_NS5tupleIblNS6_9null_typeES8_S8_S8_S8_S8_S8_S8_EEEEZNS1_11reduce_implILb1ES3_NS6_12zip_iteratorINS7_INS6_11hip_rocprim26transform_input_iterator_tIbPdNS6_6detail10functional5actorINSH_9compositeIJNSH_27transparent_binary_operatorINS6_8equal_toIvEEEENSI_INSH_8argumentILj0EEEEENSH_5valueIdEEEEEEEEENSD_19counting_iterator_tIlEES8_S8_S8_S8_S8_S8_S8_S8_EEEEPS9_S9_NSD_9__find_if7functorIS9_EEEE10hipError_tPvRmT1_T2_T3_mT4_P12ihipStream_tbEUlT_E1_NS1_11comp_targetILNS1_3genE4ELNS1_11target_archE910ELNS1_3gpuE8ELNS1_3repE0EEENS1_30default_config_static_selectorELNS0_4arch9wavefront6targetE1EEEvS17_,@function
_ZN7rocprim17ROCPRIM_400000_NS6detail17trampoline_kernelINS0_14default_configENS1_22reduce_config_selectorIN6thrust23THRUST_200600_302600_NS5tupleIblNS6_9null_typeES8_S8_S8_S8_S8_S8_S8_EEEEZNS1_11reduce_implILb1ES3_NS6_12zip_iteratorINS7_INS6_11hip_rocprim26transform_input_iterator_tIbPdNS6_6detail10functional5actorINSH_9compositeIJNSH_27transparent_binary_operatorINS6_8equal_toIvEEEENSI_INSH_8argumentILj0EEEEENSH_5valueIdEEEEEEEEENSD_19counting_iterator_tIlEES8_S8_S8_S8_S8_S8_S8_S8_EEEEPS9_S9_NSD_9__find_if7functorIS9_EEEE10hipError_tPvRmT1_T2_T3_mT4_P12ihipStream_tbEUlT_E1_NS1_11comp_targetILNS1_3genE4ELNS1_11target_archE910ELNS1_3gpuE8ELNS1_3repE0EEENS1_30default_config_static_selectorELNS0_4arch9wavefront6targetE1EEEvS17_: ; @_ZN7rocprim17ROCPRIM_400000_NS6detail17trampoline_kernelINS0_14default_configENS1_22reduce_config_selectorIN6thrust23THRUST_200600_302600_NS5tupleIblNS6_9null_typeES8_S8_S8_S8_S8_S8_S8_EEEEZNS1_11reduce_implILb1ES3_NS6_12zip_iteratorINS7_INS6_11hip_rocprim26transform_input_iterator_tIbPdNS6_6detail10functional5actorINSH_9compositeIJNSH_27transparent_binary_operatorINS6_8equal_toIvEEEENSI_INSH_8argumentILj0EEEEENSH_5valueIdEEEEEEEEENSD_19counting_iterator_tIlEES8_S8_S8_S8_S8_S8_S8_S8_EEEEPS9_S9_NSD_9__find_if7functorIS9_EEEE10hipError_tPvRmT1_T2_T3_mT4_P12ihipStream_tbEUlT_E1_NS1_11comp_targetILNS1_3genE4ELNS1_11target_archE910ELNS1_3gpuE8ELNS1_3repE0EEENS1_30default_config_static_selectorELNS0_4arch9wavefront6targetE1EEEvS17_
; %bb.0:
	.section	.rodata,"a",@progbits
	.p2align	6, 0x0
	.amdhsa_kernel _ZN7rocprim17ROCPRIM_400000_NS6detail17trampoline_kernelINS0_14default_configENS1_22reduce_config_selectorIN6thrust23THRUST_200600_302600_NS5tupleIblNS6_9null_typeES8_S8_S8_S8_S8_S8_S8_EEEEZNS1_11reduce_implILb1ES3_NS6_12zip_iteratorINS7_INS6_11hip_rocprim26transform_input_iterator_tIbPdNS6_6detail10functional5actorINSH_9compositeIJNSH_27transparent_binary_operatorINS6_8equal_toIvEEEENSI_INSH_8argumentILj0EEEEENSH_5valueIdEEEEEEEEENSD_19counting_iterator_tIlEES8_S8_S8_S8_S8_S8_S8_S8_EEEEPS9_S9_NSD_9__find_if7functorIS9_EEEE10hipError_tPvRmT1_T2_T3_mT4_P12ihipStream_tbEUlT_E1_NS1_11comp_targetILNS1_3genE4ELNS1_11target_archE910ELNS1_3gpuE8ELNS1_3repE0EEENS1_30default_config_static_selectorELNS0_4arch9wavefront6targetE1EEEvS17_
		.amdhsa_group_segment_fixed_size 0
		.amdhsa_private_segment_fixed_size 0
		.amdhsa_kernarg_size 80
		.amdhsa_user_sgpr_count 6
		.amdhsa_user_sgpr_private_segment_buffer 1
		.amdhsa_user_sgpr_dispatch_ptr 0
		.amdhsa_user_sgpr_queue_ptr 0
		.amdhsa_user_sgpr_kernarg_segment_ptr 1
		.amdhsa_user_sgpr_dispatch_id 0
		.amdhsa_user_sgpr_flat_scratch_init 0
		.amdhsa_user_sgpr_private_segment_size 0
		.amdhsa_uses_dynamic_stack 0
		.amdhsa_system_sgpr_private_segment_wavefront_offset 0
		.amdhsa_system_sgpr_workgroup_id_x 1
		.amdhsa_system_sgpr_workgroup_id_y 0
		.amdhsa_system_sgpr_workgroup_id_z 0
		.amdhsa_system_sgpr_workgroup_info 0
		.amdhsa_system_vgpr_workitem_id 0
		.amdhsa_next_free_vgpr 1
		.amdhsa_next_free_sgpr 0
		.amdhsa_reserve_vcc 0
		.amdhsa_reserve_flat_scratch 0
		.amdhsa_float_round_mode_32 0
		.amdhsa_float_round_mode_16_64 0
		.amdhsa_float_denorm_mode_32 3
		.amdhsa_float_denorm_mode_16_64 3
		.amdhsa_dx10_clamp 1
		.amdhsa_ieee_mode 1
		.amdhsa_fp16_overflow 0
		.amdhsa_exception_fp_ieee_invalid_op 0
		.amdhsa_exception_fp_denorm_src 0
		.amdhsa_exception_fp_ieee_div_zero 0
		.amdhsa_exception_fp_ieee_overflow 0
		.amdhsa_exception_fp_ieee_underflow 0
		.amdhsa_exception_fp_ieee_inexact 0
		.amdhsa_exception_int_div_zero 0
	.end_amdhsa_kernel
	.section	.text._ZN7rocprim17ROCPRIM_400000_NS6detail17trampoline_kernelINS0_14default_configENS1_22reduce_config_selectorIN6thrust23THRUST_200600_302600_NS5tupleIblNS6_9null_typeES8_S8_S8_S8_S8_S8_S8_EEEEZNS1_11reduce_implILb1ES3_NS6_12zip_iteratorINS7_INS6_11hip_rocprim26transform_input_iterator_tIbPdNS6_6detail10functional5actorINSH_9compositeIJNSH_27transparent_binary_operatorINS6_8equal_toIvEEEENSI_INSH_8argumentILj0EEEEENSH_5valueIdEEEEEEEEENSD_19counting_iterator_tIlEES8_S8_S8_S8_S8_S8_S8_S8_EEEEPS9_S9_NSD_9__find_if7functorIS9_EEEE10hipError_tPvRmT1_T2_T3_mT4_P12ihipStream_tbEUlT_E1_NS1_11comp_targetILNS1_3genE4ELNS1_11target_archE910ELNS1_3gpuE8ELNS1_3repE0EEENS1_30default_config_static_selectorELNS0_4arch9wavefront6targetE1EEEvS17_,"axG",@progbits,_ZN7rocprim17ROCPRIM_400000_NS6detail17trampoline_kernelINS0_14default_configENS1_22reduce_config_selectorIN6thrust23THRUST_200600_302600_NS5tupleIblNS6_9null_typeES8_S8_S8_S8_S8_S8_S8_EEEEZNS1_11reduce_implILb1ES3_NS6_12zip_iteratorINS7_INS6_11hip_rocprim26transform_input_iterator_tIbPdNS6_6detail10functional5actorINSH_9compositeIJNSH_27transparent_binary_operatorINS6_8equal_toIvEEEENSI_INSH_8argumentILj0EEEEENSH_5valueIdEEEEEEEEENSD_19counting_iterator_tIlEES8_S8_S8_S8_S8_S8_S8_S8_EEEEPS9_S9_NSD_9__find_if7functorIS9_EEEE10hipError_tPvRmT1_T2_T3_mT4_P12ihipStream_tbEUlT_E1_NS1_11comp_targetILNS1_3genE4ELNS1_11target_archE910ELNS1_3gpuE8ELNS1_3repE0EEENS1_30default_config_static_selectorELNS0_4arch9wavefront6targetE1EEEvS17_,comdat
.Lfunc_end1735:
	.size	_ZN7rocprim17ROCPRIM_400000_NS6detail17trampoline_kernelINS0_14default_configENS1_22reduce_config_selectorIN6thrust23THRUST_200600_302600_NS5tupleIblNS6_9null_typeES8_S8_S8_S8_S8_S8_S8_EEEEZNS1_11reduce_implILb1ES3_NS6_12zip_iteratorINS7_INS6_11hip_rocprim26transform_input_iterator_tIbPdNS6_6detail10functional5actorINSH_9compositeIJNSH_27transparent_binary_operatorINS6_8equal_toIvEEEENSI_INSH_8argumentILj0EEEEENSH_5valueIdEEEEEEEEENSD_19counting_iterator_tIlEES8_S8_S8_S8_S8_S8_S8_S8_EEEEPS9_S9_NSD_9__find_if7functorIS9_EEEE10hipError_tPvRmT1_T2_T3_mT4_P12ihipStream_tbEUlT_E1_NS1_11comp_targetILNS1_3genE4ELNS1_11target_archE910ELNS1_3gpuE8ELNS1_3repE0EEENS1_30default_config_static_selectorELNS0_4arch9wavefront6targetE1EEEvS17_, .Lfunc_end1735-_ZN7rocprim17ROCPRIM_400000_NS6detail17trampoline_kernelINS0_14default_configENS1_22reduce_config_selectorIN6thrust23THRUST_200600_302600_NS5tupleIblNS6_9null_typeES8_S8_S8_S8_S8_S8_S8_EEEEZNS1_11reduce_implILb1ES3_NS6_12zip_iteratorINS7_INS6_11hip_rocprim26transform_input_iterator_tIbPdNS6_6detail10functional5actorINSH_9compositeIJNSH_27transparent_binary_operatorINS6_8equal_toIvEEEENSI_INSH_8argumentILj0EEEEENSH_5valueIdEEEEEEEEENSD_19counting_iterator_tIlEES8_S8_S8_S8_S8_S8_S8_S8_EEEEPS9_S9_NSD_9__find_if7functorIS9_EEEE10hipError_tPvRmT1_T2_T3_mT4_P12ihipStream_tbEUlT_E1_NS1_11comp_targetILNS1_3genE4ELNS1_11target_archE910ELNS1_3gpuE8ELNS1_3repE0EEENS1_30default_config_static_selectorELNS0_4arch9wavefront6targetE1EEEvS17_
                                        ; -- End function
	.set _ZN7rocprim17ROCPRIM_400000_NS6detail17trampoline_kernelINS0_14default_configENS1_22reduce_config_selectorIN6thrust23THRUST_200600_302600_NS5tupleIblNS6_9null_typeES8_S8_S8_S8_S8_S8_S8_EEEEZNS1_11reduce_implILb1ES3_NS6_12zip_iteratorINS7_INS6_11hip_rocprim26transform_input_iterator_tIbPdNS6_6detail10functional5actorINSH_9compositeIJNSH_27transparent_binary_operatorINS6_8equal_toIvEEEENSI_INSH_8argumentILj0EEEEENSH_5valueIdEEEEEEEEENSD_19counting_iterator_tIlEES8_S8_S8_S8_S8_S8_S8_S8_EEEEPS9_S9_NSD_9__find_if7functorIS9_EEEE10hipError_tPvRmT1_T2_T3_mT4_P12ihipStream_tbEUlT_E1_NS1_11comp_targetILNS1_3genE4ELNS1_11target_archE910ELNS1_3gpuE8ELNS1_3repE0EEENS1_30default_config_static_selectorELNS0_4arch9wavefront6targetE1EEEvS17_.num_vgpr, 0
	.set _ZN7rocprim17ROCPRIM_400000_NS6detail17trampoline_kernelINS0_14default_configENS1_22reduce_config_selectorIN6thrust23THRUST_200600_302600_NS5tupleIblNS6_9null_typeES8_S8_S8_S8_S8_S8_S8_EEEEZNS1_11reduce_implILb1ES3_NS6_12zip_iteratorINS7_INS6_11hip_rocprim26transform_input_iterator_tIbPdNS6_6detail10functional5actorINSH_9compositeIJNSH_27transparent_binary_operatorINS6_8equal_toIvEEEENSI_INSH_8argumentILj0EEEEENSH_5valueIdEEEEEEEEENSD_19counting_iterator_tIlEES8_S8_S8_S8_S8_S8_S8_S8_EEEEPS9_S9_NSD_9__find_if7functorIS9_EEEE10hipError_tPvRmT1_T2_T3_mT4_P12ihipStream_tbEUlT_E1_NS1_11comp_targetILNS1_3genE4ELNS1_11target_archE910ELNS1_3gpuE8ELNS1_3repE0EEENS1_30default_config_static_selectorELNS0_4arch9wavefront6targetE1EEEvS17_.num_agpr, 0
	.set _ZN7rocprim17ROCPRIM_400000_NS6detail17trampoline_kernelINS0_14default_configENS1_22reduce_config_selectorIN6thrust23THRUST_200600_302600_NS5tupleIblNS6_9null_typeES8_S8_S8_S8_S8_S8_S8_EEEEZNS1_11reduce_implILb1ES3_NS6_12zip_iteratorINS7_INS6_11hip_rocprim26transform_input_iterator_tIbPdNS6_6detail10functional5actorINSH_9compositeIJNSH_27transparent_binary_operatorINS6_8equal_toIvEEEENSI_INSH_8argumentILj0EEEEENSH_5valueIdEEEEEEEEENSD_19counting_iterator_tIlEES8_S8_S8_S8_S8_S8_S8_S8_EEEEPS9_S9_NSD_9__find_if7functorIS9_EEEE10hipError_tPvRmT1_T2_T3_mT4_P12ihipStream_tbEUlT_E1_NS1_11comp_targetILNS1_3genE4ELNS1_11target_archE910ELNS1_3gpuE8ELNS1_3repE0EEENS1_30default_config_static_selectorELNS0_4arch9wavefront6targetE1EEEvS17_.numbered_sgpr, 0
	.set _ZN7rocprim17ROCPRIM_400000_NS6detail17trampoline_kernelINS0_14default_configENS1_22reduce_config_selectorIN6thrust23THRUST_200600_302600_NS5tupleIblNS6_9null_typeES8_S8_S8_S8_S8_S8_S8_EEEEZNS1_11reduce_implILb1ES3_NS6_12zip_iteratorINS7_INS6_11hip_rocprim26transform_input_iterator_tIbPdNS6_6detail10functional5actorINSH_9compositeIJNSH_27transparent_binary_operatorINS6_8equal_toIvEEEENSI_INSH_8argumentILj0EEEEENSH_5valueIdEEEEEEEEENSD_19counting_iterator_tIlEES8_S8_S8_S8_S8_S8_S8_S8_EEEEPS9_S9_NSD_9__find_if7functorIS9_EEEE10hipError_tPvRmT1_T2_T3_mT4_P12ihipStream_tbEUlT_E1_NS1_11comp_targetILNS1_3genE4ELNS1_11target_archE910ELNS1_3gpuE8ELNS1_3repE0EEENS1_30default_config_static_selectorELNS0_4arch9wavefront6targetE1EEEvS17_.num_named_barrier, 0
	.set _ZN7rocprim17ROCPRIM_400000_NS6detail17trampoline_kernelINS0_14default_configENS1_22reduce_config_selectorIN6thrust23THRUST_200600_302600_NS5tupleIblNS6_9null_typeES8_S8_S8_S8_S8_S8_S8_EEEEZNS1_11reduce_implILb1ES3_NS6_12zip_iteratorINS7_INS6_11hip_rocprim26transform_input_iterator_tIbPdNS6_6detail10functional5actorINSH_9compositeIJNSH_27transparent_binary_operatorINS6_8equal_toIvEEEENSI_INSH_8argumentILj0EEEEENSH_5valueIdEEEEEEEEENSD_19counting_iterator_tIlEES8_S8_S8_S8_S8_S8_S8_S8_EEEEPS9_S9_NSD_9__find_if7functorIS9_EEEE10hipError_tPvRmT1_T2_T3_mT4_P12ihipStream_tbEUlT_E1_NS1_11comp_targetILNS1_3genE4ELNS1_11target_archE910ELNS1_3gpuE8ELNS1_3repE0EEENS1_30default_config_static_selectorELNS0_4arch9wavefront6targetE1EEEvS17_.private_seg_size, 0
	.set _ZN7rocprim17ROCPRIM_400000_NS6detail17trampoline_kernelINS0_14default_configENS1_22reduce_config_selectorIN6thrust23THRUST_200600_302600_NS5tupleIblNS6_9null_typeES8_S8_S8_S8_S8_S8_S8_EEEEZNS1_11reduce_implILb1ES3_NS6_12zip_iteratorINS7_INS6_11hip_rocprim26transform_input_iterator_tIbPdNS6_6detail10functional5actorINSH_9compositeIJNSH_27transparent_binary_operatorINS6_8equal_toIvEEEENSI_INSH_8argumentILj0EEEEENSH_5valueIdEEEEEEEEENSD_19counting_iterator_tIlEES8_S8_S8_S8_S8_S8_S8_S8_EEEEPS9_S9_NSD_9__find_if7functorIS9_EEEE10hipError_tPvRmT1_T2_T3_mT4_P12ihipStream_tbEUlT_E1_NS1_11comp_targetILNS1_3genE4ELNS1_11target_archE910ELNS1_3gpuE8ELNS1_3repE0EEENS1_30default_config_static_selectorELNS0_4arch9wavefront6targetE1EEEvS17_.uses_vcc, 0
	.set _ZN7rocprim17ROCPRIM_400000_NS6detail17trampoline_kernelINS0_14default_configENS1_22reduce_config_selectorIN6thrust23THRUST_200600_302600_NS5tupleIblNS6_9null_typeES8_S8_S8_S8_S8_S8_S8_EEEEZNS1_11reduce_implILb1ES3_NS6_12zip_iteratorINS7_INS6_11hip_rocprim26transform_input_iterator_tIbPdNS6_6detail10functional5actorINSH_9compositeIJNSH_27transparent_binary_operatorINS6_8equal_toIvEEEENSI_INSH_8argumentILj0EEEEENSH_5valueIdEEEEEEEEENSD_19counting_iterator_tIlEES8_S8_S8_S8_S8_S8_S8_S8_EEEEPS9_S9_NSD_9__find_if7functorIS9_EEEE10hipError_tPvRmT1_T2_T3_mT4_P12ihipStream_tbEUlT_E1_NS1_11comp_targetILNS1_3genE4ELNS1_11target_archE910ELNS1_3gpuE8ELNS1_3repE0EEENS1_30default_config_static_selectorELNS0_4arch9wavefront6targetE1EEEvS17_.uses_flat_scratch, 0
	.set _ZN7rocprim17ROCPRIM_400000_NS6detail17trampoline_kernelINS0_14default_configENS1_22reduce_config_selectorIN6thrust23THRUST_200600_302600_NS5tupleIblNS6_9null_typeES8_S8_S8_S8_S8_S8_S8_EEEEZNS1_11reduce_implILb1ES3_NS6_12zip_iteratorINS7_INS6_11hip_rocprim26transform_input_iterator_tIbPdNS6_6detail10functional5actorINSH_9compositeIJNSH_27transparent_binary_operatorINS6_8equal_toIvEEEENSI_INSH_8argumentILj0EEEEENSH_5valueIdEEEEEEEEENSD_19counting_iterator_tIlEES8_S8_S8_S8_S8_S8_S8_S8_EEEEPS9_S9_NSD_9__find_if7functorIS9_EEEE10hipError_tPvRmT1_T2_T3_mT4_P12ihipStream_tbEUlT_E1_NS1_11comp_targetILNS1_3genE4ELNS1_11target_archE910ELNS1_3gpuE8ELNS1_3repE0EEENS1_30default_config_static_selectorELNS0_4arch9wavefront6targetE1EEEvS17_.has_dyn_sized_stack, 0
	.set _ZN7rocprim17ROCPRIM_400000_NS6detail17trampoline_kernelINS0_14default_configENS1_22reduce_config_selectorIN6thrust23THRUST_200600_302600_NS5tupleIblNS6_9null_typeES8_S8_S8_S8_S8_S8_S8_EEEEZNS1_11reduce_implILb1ES3_NS6_12zip_iteratorINS7_INS6_11hip_rocprim26transform_input_iterator_tIbPdNS6_6detail10functional5actorINSH_9compositeIJNSH_27transparent_binary_operatorINS6_8equal_toIvEEEENSI_INSH_8argumentILj0EEEEENSH_5valueIdEEEEEEEEENSD_19counting_iterator_tIlEES8_S8_S8_S8_S8_S8_S8_S8_EEEEPS9_S9_NSD_9__find_if7functorIS9_EEEE10hipError_tPvRmT1_T2_T3_mT4_P12ihipStream_tbEUlT_E1_NS1_11comp_targetILNS1_3genE4ELNS1_11target_archE910ELNS1_3gpuE8ELNS1_3repE0EEENS1_30default_config_static_selectorELNS0_4arch9wavefront6targetE1EEEvS17_.has_recursion, 0
	.set _ZN7rocprim17ROCPRIM_400000_NS6detail17trampoline_kernelINS0_14default_configENS1_22reduce_config_selectorIN6thrust23THRUST_200600_302600_NS5tupleIblNS6_9null_typeES8_S8_S8_S8_S8_S8_S8_EEEEZNS1_11reduce_implILb1ES3_NS6_12zip_iteratorINS7_INS6_11hip_rocprim26transform_input_iterator_tIbPdNS6_6detail10functional5actorINSH_9compositeIJNSH_27transparent_binary_operatorINS6_8equal_toIvEEEENSI_INSH_8argumentILj0EEEEENSH_5valueIdEEEEEEEEENSD_19counting_iterator_tIlEES8_S8_S8_S8_S8_S8_S8_S8_EEEEPS9_S9_NSD_9__find_if7functorIS9_EEEE10hipError_tPvRmT1_T2_T3_mT4_P12ihipStream_tbEUlT_E1_NS1_11comp_targetILNS1_3genE4ELNS1_11target_archE910ELNS1_3gpuE8ELNS1_3repE0EEENS1_30default_config_static_selectorELNS0_4arch9wavefront6targetE1EEEvS17_.has_indirect_call, 0
	.section	.AMDGPU.csdata,"",@progbits
; Kernel info:
; codeLenInByte = 0
; TotalNumSgprs: 4
; NumVgprs: 0
; ScratchSize: 0
; MemoryBound: 0
; FloatMode: 240
; IeeeMode: 1
; LDSByteSize: 0 bytes/workgroup (compile time only)
; SGPRBlocks: 0
; VGPRBlocks: 0
; NumSGPRsForWavesPerEU: 4
; NumVGPRsForWavesPerEU: 1
; Occupancy: 10
; WaveLimiterHint : 0
; COMPUTE_PGM_RSRC2:SCRATCH_EN: 0
; COMPUTE_PGM_RSRC2:USER_SGPR: 6
; COMPUTE_PGM_RSRC2:TRAP_HANDLER: 0
; COMPUTE_PGM_RSRC2:TGID_X_EN: 1
; COMPUTE_PGM_RSRC2:TGID_Y_EN: 0
; COMPUTE_PGM_RSRC2:TGID_Z_EN: 0
; COMPUTE_PGM_RSRC2:TIDIG_COMP_CNT: 0
	.section	.text._ZN7rocprim17ROCPRIM_400000_NS6detail17trampoline_kernelINS0_14default_configENS1_22reduce_config_selectorIN6thrust23THRUST_200600_302600_NS5tupleIblNS6_9null_typeES8_S8_S8_S8_S8_S8_S8_EEEEZNS1_11reduce_implILb1ES3_NS6_12zip_iteratorINS7_INS6_11hip_rocprim26transform_input_iterator_tIbPdNS6_6detail10functional5actorINSH_9compositeIJNSH_27transparent_binary_operatorINS6_8equal_toIvEEEENSI_INSH_8argumentILj0EEEEENSH_5valueIdEEEEEEEEENSD_19counting_iterator_tIlEES8_S8_S8_S8_S8_S8_S8_S8_EEEEPS9_S9_NSD_9__find_if7functorIS9_EEEE10hipError_tPvRmT1_T2_T3_mT4_P12ihipStream_tbEUlT_E1_NS1_11comp_targetILNS1_3genE3ELNS1_11target_archE908ELNS1_3gpuE7ELNS1_3repE0EEENS1_30default_config_static_selectorELNS0_4arch9wavefront6targetE1EEEvS17_,"axG",@progbits,_ZN7rocprim17ROCPRIM_400000_NS6detail17trampoline_kernelINS0_14default_configENS1_22reduce_config_selectorIN6thrust23THRUST_200600_302600_NS5tupleIblNS6_9null_typeES8_S8_S8_S8_S8_S8_S8_EEEEZNS1_11reduce_implILb1ES3_NS6_12zip_iteratorINS7_INS6_11hip_rocprim26transform_input_iterator_tIbPdNS6_6detail10functional5actorINSH_9compositeIJNSH_27transparent_binary_operatorINS6_8equal_toIvEEEENSI_INSH_8argumentILj0EEEEENSH_5valueIdEEEEEEEEENSD_19counting_iterator_tIlEES8_S8_S8_S8_S8_S8_S8_S8_EEEEPS9_S9_NSD_9__find_if7functorIS9_EEEE10hipError_tPvRmT1_T2_T3_mT4_P12ihipStream_tbEUlT_E1_NS1_11comp_targetILNS1_3genE3ELNS1_11target_archE908ELNS1_3gpuE7ELNS1_3repE0EEENS1_30default_config_static_selectorELNS0_4arch9wavefront6targetE1EEEvS17_,comdat
	.protected	_ZN7rocprim17ROCPRIM_400000_NS6detail17trampoline_kernelINS0_14default_configENS1_22reduce_config_selectorIN6thrust23THRUST_200600_302600_NS5tupleIblNS6_9null_typeES8_S8_S8_S8_S8_S8_S8_EEEEZNS1_11reduce_implILb1ES3_NS6_12zip_iteratorINS7_INS6_11hip_rocprim26transform_input_iterator_tIbPdNS6_6detail10functional5actorINSH_9compositeIJNSH_27transparent_binary_operatorINS6_8equal_toIvEEEENSI_INSH_8argumentILj0EEEEENSH_5valueIdEEEEEEEEENSD_19counting_iterator_tIlEES8_S8_S8_S8_S8_S8_S8_S8_EEEEPS9_S9_NSD_9__find_if7functorIS9_EEEE10hipError_tPvRmT1_T2_T3_mT4_P12ihipStream_tbEUlT_E1_NS1_11comp_targetILNS1_3genE3ELNS1_11target_archE908ELNS1_3gpuE7ELNS1_3repE0EEENS1_30default_config_static_selectorELNS0_4arch9wavefront6targetE1EEEvS17_ ; -- Begin function _ZN7rocprim17ROCPRIM_400000_NS6detail17trampoline_kernelINS0_14default_configENS1_22reduce_config_selectorIN6thrust23THRUST_200600_302600_NS5tupleIblNS6_9null_typeES8_S8_S8_S8_S8_S8_S8_EEEEZNS1_11reduce_implILb1ES3_NS6_12zip_iteratorINS7_INS6_11hip_rocprim26transform_input_iterator_tIbPdNS6_6detail10functional5actorINSH_9compositeIJNSH_27transparent_binary_operatorINS6_8equal_toIvEEEENSI_INSH_8argumentILj0EEEEENSH_5valueIdEEEEEEEEENSD_19counting_iterator_tIlEES8_S8_S8_S8_S8_S8_S8_S8_EEEEPS9_S9_NSD_9__find_if7functorIS9_EEEE10hipError_tPvRmT1_T2_T3_mT4_P12ihipStream_tbEUlT_E1_NS1_11comp_targetILNS1_3genE3ELNS1_11target_archE908ELNS1_3gpuE7ELNS1_3repE0EEENS1_30default_config_static_selectorELNS0_4arch9wavefront6targetE1EEEvS17_
	.globl	_ZN7rocprim17ROCPRIM_400000_NS6detail17trampoline_kernelINS0_14default_configENS1_22reduce_config_selectorIN6thrust23THRUST_200600_302600_NS5tupleIblNS6_9null_typeES8_S8_S8_S8_S8_S8_S8_EEEEZNS1_11reduce_implILb1ES3_NS6_12zip_iteratorINS7_INS6_11hip_rocprim26transform_input_iterator_tIbPdNS6_6detail10functional5actorINSH_9compositeIJNSH_27transparent_binary_operatorINS6_8equal_toIvEEEENSI_INSH_8argumentILj0EEEEENSH_5valueIdEEEEEEEEENSD_19counting_iterator_tIlEES8_S8_S8_S8_S8_S8_S8_S8_EEEEPS9_S9_NSD_9__find_if7functorIS9_EEEE10hipError_tPvRmT1_T2_T3_mT4_P12ihipStream_tbEUlT_E1_NS1_11comp_targetILNS1_3genE3ELNS1_11target_archE908ELNS1_3gpuE7ELNS1_3repE0EEENS1_30default_config_static_selectorELNS0_4arch9wavefront6targetE1EEEvS17_
	.p2align	8
	.type	_ZN7rocprim17ROCPRIM_400000_NS6detail17trampoline_kernelINS0_14default_configENS1_22reduce_config_selectorIN6thrust23THRUST_200600_302600_NS5tupleIblNS6_9null_typeES8_S8_S8_S8_S8_S8_S8_EEEEZNS1_11reduce_implILb1ES3_NS6_12zip_iteratorINS7_INS6_11hip_rocprim26transform_input_iterator_tIbPdNS6_6detail10functional5actorINSH_9compositeIJNSH_27transparent_binary_operatorINS6_8equal_toIvEEEENSI_INSH_8argumentILj0EEEEENSH_5valueIdEEEEEEEEENSD_19counting_iterator_tIlEES8_S8_S8_S8_S8_S8_S8_S8_EEEEPS9_S9_NSD_9__find_if7functorIS9_EEEE10hipError_tPvRmT1_T2_T3_mT4_P12ihipStream_tbEUlT_E1_NS1_11comp_targetILNS1_3genE3ELNS1_11target_archE908ELNS1_3gpuE7ELNS1_3repE0EEENS1_30default_config_static_selectorELNS0_4arch9wavefront6targetE1EEEvS17_,@function
_ZN7rocprim17ROCPRIM_400000_NS6detail17trampoline_kernelINS0_14default_configENS1_22reduce_config_selectorIN6thrust23THRUST_200600_302600_NS5tupleIblNS6_9null_typeES8_S8_S8_S8_S8_S8_S8_EEEEZNS1_11reduce_implILb1ES3_NS6_12zip_iteratorINS7_INS6_11hip_rocprim26transform_input_iterator_tIbPdNS6_6detail10functional5actorINSH_9compositeIJNSH_27transparent_binary_operatorINS6_8equal_toIvEEEENSI_INSH_8argumentILj0EEEEENSH_5valueIdEEEEEEEEENSD_19counting_iterator_tIlEES8_S8_S8_S8_S8_S8_S8_S8_EEEEPS9_S9_NSD_9__find_if7functorIS9_EEEE10hipError_tPvRmT1_T2_T3_mT4_P12ihipStream_tbEUlT_E1_NS1_11comp_targetILNS1_3genE3ELNS1_11target_archE908ELNS1_3gpuE7ELNS1_3repE0EEENS1_30default_config_static_selectorELNS0_4arch9wavefront6targetE1EEEvS17_: ; @_ZN7rocprim17ROCPRIM_400000_NS6detail17trampoline_kernelINS0_14default_configENS1_22reduce_config_selectorIN6thrust23THRUST_200600_302600_NS5tupleIblNS6_9null_typeES8_S8_S8_S8_S8_S8_S8_EEEEZNS1_11reduce_implILb1ES3_NS6_12zip_iteratorINS7_INS6_11hip_rocprim26transform_input_iterator_tIbPdNS6_6detail10functional5actorINSH_9compositeIJNSH_27transparent_binary_operatorINS6_8equal_toIvEEEENSI_INSH_8argumentILj0EEEEENSH_5valueIdEEEEEEEEENSD_19counting_iterator_tIlEES8_S8_S8_S8_S8_S8_S8_S8_EEEEPS9_S9_NSD_9__find_if7functorIS9_EEEE10hipError_tPvRmT1_T2_T3_mT4_P12ihipStream_tbEUlT_E1_NS1_11comp_targetILNS1_3genE3ELNS1_11target_archE908ELNS1_3gpuE7ELNS1_3repE0EEENS1_30default_config_static_selectorELNS0_4arch9wavefront6targetE1EEEvS17_
; %bb.0:
	.section	.rodata,"a",@progbits
	.p2align	6, 0x0
	.amdhsa_kernel _ZN7rocprim17ROCPRIM_400000_NS6detail17trampoline_kernelINS0_14default_configENS1_22reduce_config_selectorIN6thrust23THRUST_200600_302600_NS5tupleIblNS6_9null_typeES8_S8_S8_S8_S8_S8_S8_EEEEZNS1_11reduce_implILb1ES3_NS6_12zip_iteratorINS7_INS6_11hip_rocprim26transform_input_iterator_tIbPdNS6_6detail10functional5actorINSH_9compositeIJNSH_27transparent_binary_operatorINS6_8equal_toIvEEEENSI_INSH_8argumentILj0EEEEENSH_5valueIdEEEEEEEEENSD_19counting_iterator_tIlEES8_S8_S8_S8_S8_S8_S8_S8_EEEEPS9_S9_NSD_9__find_if7functorIS9_EEEE10hipError_tPvRmT1_T2_T3_mT4_P12ihipStream_tbEUlT_E1_NS1_11comp_targetILNS1_3genE3ELNS1_11target_archE908ELNS1_3gpuE7ELNS1_3repE0EEENS1_30default_config_static_selectorELNS0_4arch9wavefront6targetE1EEEvS17_
		.amdhsa_group_segment_fixed_size 0
		.amdhsa_private_segment_fixed_size 0
		.amdhsa_kernarg_size 80
		.amdhsa_user_sgpr_count 6
		.amdhsa_user_sgpr_private_segment_buffer 1
		.amdhsa_user_sgpr_dispatch_ptr 0
		.amdhsa_user_sgpr_queue_ptr 0
		.amdhsa_user_sgpr_kernarg_segment_ptr 1
		.amdhsa_user_sgpr_dispatch_id 0
		.amdhsa_user_sgpr_flat_scratch_init 0
		.amdhsa_user_sgpr_private_segment_size 0
		.amdhsa_uses_dynamic_stack 0
		.amdhsa_system_sgpr_private_segment_wavefront_offset 0
		.amdhsa_system_sgpr_workgroup_id_x 1
		.amdhsa_system_sgpr_workgroup_id_y 0
		.amdhsa_system_sgpr_workgroup_id_z 0
		.amdhsa_system_sgpr_workgroup_info 0
		.amdhsa_system_vgpr_workitem_id 0
		.amdhsa_next_free_vgpr 1
		.amdhsa_next_free_sgpr 0
		.amdhsa_reserve_vcc 0
		.amdhsa_reserve_flat_scratch 0
		.amdhsa_float_round_mode_32 0
		.amdhsa_float_round_mode_16_64 0
		.amdhsa_float_denorm_mode_32 3
		.amdhsa_float_denorm_mode_16_64 3
		.amdhsa_dx10_clamp 1
		.amdhsa_ieee_mode 1
		.amdhsa_fp16_overflow 0
		.amdhsa_exception_fp_ieee_invalid_op 0
		.amdhsa_exception_fp_denorm_src 0
		.amdhsa_exception_fp_ieee_div_zero 0
		.amdhsa_exception_fp_ieee_overflow 0
		.amdhsa_exception_fp_ieee_underflow 0
		.amdhsa_exception_fp_ieee_inexact 0
		.amdhsa_exception_int_div_zero 0
	.end_amdhsa_kernel
	.section	.text._ZN7rocprim17ROCPRIM_400000_NS6detail17trampoline_kernelINS0_14default_configENS1_22reduce_config_selectorIN6thrust23THRUST_200600_302600_NS5tupleIblNS6_9null_typeES8_S8_S8_S8_S8_S8_S8_EEEEZNS1_11reduce_implILb1ES3_NS6_12zip_iteratorINS7_INS6_11hip_rocprim26transform_input_iterator_tIbPdNS6_6detail10functional5actorINSH_9compositeIJNSH_27transparent_binary_operatorINS6_8equal_toIvEEEENSI_INSH_8argumentILj0EEEEENSH_5valueIdEEEEEEEEENSD_19counting_iterator_tIlEES8_S8_S8_S8_S8_S8_S8_S8_EEEEPS9_S9_NSD_9__find_if7functorIS9_EEEE10hipError_tPvRmT1_T2_T3_mT4_P12ihipStream_tbEUlT_E1_NS1_11comp_targetILNS1_3genE3ELNS1_11target_archE908ELNS1_3gpuE7ELNS1_3repE0EEENS1_30default_config_static_selectorELNS0_4arch9wavefront6targetE1EEEvS17_,"axG",@progbits,_ZN7rocprim17ROCPRIM_400000_NS6detail17trampoline_kernelINS0_14default_configENS1_22reduce_config_selectorIN6thrust23THRUST_200600_302600_NS5tupleIblNS6_9null_typeES8_S8_S8_S8_S8_S8_S8_EEEEZNS1_11reduce_implILb1ES3_NS6_12zip_iteratorINS7_INS6_11hip_rocprim26transform_input_iterator_tIbPdNS6_6detail10functional5actorINSH_9compositeIJNSH_27transparent_binary_operatorINS6_8equal_toIvEEEENSI_INSH_8argumentILj0EEEEENSH_5valueIdEEEEEEEEENSD_19counting_iterator_tIlEES8_S8_S8_S8_S8_S8_S8_S8_EEEEPS9_S9_NSD_9__find_if7functorIS9_EEEE10hipError_tPvRmT1_T2_T3_mT4_P12ihipStream_tbEUlT_E1_NS1_11comp_targetILNS1_3genE3ELNS1_11target_archE908ELNS1_3gpuE7ELNS1_3repE0EEENS1_30default_config_static_selectorELNS0_4arch9wavefront6targetE1EEEvS17_,comdat
.Lfunc_end1736:
	.size	_ZN7rocprim17ROCPRIM_400000_NS6detail17trampoline_kernelINS0_14default_configENS1_22reduce_config_selectorIN6thrust23THRUST_200600_302600_NS5tupleIblNS6_9null_typeES8_S8_S8_S8_S8_S8_S8_EEEEZNS1_11reduce_implILb1ES3_NS6_12zip_iteratorINS7_INS6_11hip_rocprim26transform_input_iterator_tIbPdNS6_6detail10functional5actorINSH_9compositeIJNSH_27transparent_binary_operatorINS6_8equal_toIvEEEENSI_INSH_8argumentILj0EEEEENSH_5valueIdEEEEEEEEENSD_19counting_iterator_tIlEES8_S8_S8_S8_S8_S8_S8_S8_EEEEPS9_S9_NSD_9__find_if7functorIS9_EEEE10hipError_tPvRmT1_T2_T3_mT4_P12ihipStream_tbEUlT_E1_NS1_11comp_targetILNS1_3genE3ELNS1_11target_archE908ELNS1_3gpuE7ELNS1_3repE0EEENS1_30default_config_static_selectorELNS0_4arch9wavefront6targetE1EEEvS17_, .Lfunc_end1736-_ZN7rocprim17ROCPRIM_400000_NS6detail17trampoline_kernelINS0_14default_configENS1_22reduce_config_selectorIN6thrust23THRUST_200600_302600_NS5tupleIblNS6_9null_typeES8_S8_S8_S8_S8_S8_S8_EEEEZNS1_11reduce_implILb1ES3_NS6_12zip_iteratorINS7_INS6_11hip_rocprim26transform_input_iterator_tIbPdNS6_6detail10functional5actorINSH_9compositeIJNSH_27transparent_binary_operatorINS6_8equal_toIvEEEENSI_INSH_8argumentILj0EEEEENSH_5valueIdEEEEEEEEENSD_19counting_iterator_tIlEES8_S8_S8_S8_S8_S8_S8_S8_EEEEPS9_S9_NSD_9__find_if7functorIS9_EEEE10hipError_tPvRmT1_T2_T3_mT4_P12ihipStream_tbEUlT_E1_NS1_11comp_targetILNS1_3genE3ELNS1_11target_archE908ELNS1_3gpuE7ELNS1_3repE0EEENS1_30default_config_static_selectorELNS0_4arch9wavefront6targetE1EEEvS17_
                                        ; -- End function
	.set _ZN7rocprim17ROCPRIM_400000_NS6detail17trampoline_kernelINS0_14default_configENS1_22reduce_config_selectorIN6thrust23THRUST_200600_302600_NS5tupleIblNS6_9null_typeES8_S8_S8_S8_S8_S8_S8_EEEEZNS1_11reduce_implILb1ES3_NS6_12zip_iteratorINS7_INS6_11hip_rocprim26transform_input_iterator_tIbPdNS6_6detail10functional5actorINSH_9compositeIJNSH_27transparent_binary_operatorINS6_8equal_toIvEEEENSI_INSH_8argumentILj0EEEEENSH_5valueIdEEEEEEEEENSD_19counting_iterator_tIlEES8_S8_S8_S8_S8_S8_S8_S8_EEEEPS9_S9_NSD_9__find_if7functorIS9_EEEE10hipError_tPvRmT1_T2_T3_mT4_P12ihipStream_tbEUlT_E1_NS1_11comp_targetILNS1_3genE3ELNS1_11target_archE908ELNS1_3gpuE7ELNS1_3repE0EEENS1_30default_config_static_selectorELNS0_4arch9wavefront6targetE1EEEvS17_.num_vgpr, 0
	.set _ZN7rocprim17ROCPRIM_400000_NS6detail17trampoline_kernelINS0_14default_configENS1_22reduce_config_selectorIN6thrust23THRUST_200600_302600_NS5tupleIblNS6_9null_typeES8_S8_S8_S8_S8_S8_S8_EEEEZNS1_11reduce_implILb1ES3_NS6_12zip_iteratorINS7_INS6_11hip_rocprim26transform_input_iterator_tIbPdNS6_6detail10functional5actorINSH_9compositeIJNSH_27transparent_binary_operatorINS6_8equal_toIvEEEENSI_INSH_8argumentILj0EEEEENSH_5valueIdEEEEEEEEENSD_19counting_iterator_tIlEES8_S8_S8_S8_S8_S8_S8_S8_EEEEPS9_S9_NSD_9__find_if7functorIS9_EEEE10hipError_tPvRmT1_T2_T3_mT4_P12ihipStream_tbEUlT_E1_NS1_11comp_targetILNS1_3genE3ELNS1_11target_archE908ELNS1_3gpuE7ELNS1_3repE0EEENS1_30default_config_static_selectorELNS0_4arch9wavefront6targetE1EEEvS17_.num_agpr, 0
	.set _ZN7rocprim17ROCPRIM_400000_NS6detail17trampoline_kernelINS0_14default_configENS1_22reduce_config_selectorIN6thrust23THRUST_200600_302600_NS5tupleIblNS6_9null_typeES8_S8_S8_S8_S8_S8_S8_EEEEZNS1_11reduce_implILb1ES3_NS6_12zip_iteratorINS7_INS6_11hip_rocprim26transform_input_iterator_tIbPdNS6_6detail10functional5actorINSH_9compositeIJNSH_27transparent_binary_operatorINS6_8equal_toIvEEEENSI_INSH_8argumentILj0EEEEENSH_5valueIdEEEEEEEEENSD_19counting_iterator_tIlEES8_S8_S8_S8_S8_S8_S8_S8_EEEEPS9_S9_NSD_9__find_if7functorIS9_EEEE10hipError_tPvRmT1_T2_T3_mT4_P12ihipStream_tbEUlT_E1_NS1_11comp_targetILNS1_3genE3ELNS1_11target_archE908ELNS1_3gpuE7ELNS1_3repE0EEENS1_30default_config_static_selectorELNS0_4arch9wavefront6targetE1EEEvS17_.numbered_sgpr, 0
	.set _ZN7rocprim17ROCPRIM_400000_NS6detail17trampoline_kernelINS0_14default_configENS1_22reduce_config_selectorIN6thrust23THRUST_200600_302600_NS5tupleIblNS6_9null_typeES8_S8_S8_S8_S8_S8_S8_EEEEZNS1_11reduce_implILb1ES3_NS6_12zip_iteratorINS7_INS6_11hip_rocprim26transform_input_iterator_tIbPdNS6_6detail10functional5actorINSH_9compositeIJNSH_27transparent_binary_operatorINS6_8equal_toIvEEEENSI_INSH_8argumentILj0EEEEENSH_5valueIdEEEEEEEEENSD_19counting_iterator_tIlEES8_S8_S8_S8_S8_S8_S8_S8_EEEEPS9_S9_NSD_9__find_if7functorIS9_EEEE10hipError_tPvRmT1_T2_T3_mT4_P12ihipStream_tbEUlT_E1_NS1_11comp_targetILNS1_3genE3ELNS1_11target_archE908ELNS1_3gpuE7ELNS1_3repE0EEENS1_30default_config_static_selectorELNS0_4arch9wavefront6targetE1EEEvS17_.num_named_barrier, 0
	.set _ZN7rocprim17ROCPRIM_400000_NS6detail17trampoline_kernelINS0_14default_configENS1_22reduce_config_selectorIN6thrust23THRUST_200600_302600_NS5tupleIblNS6_9null_typeES8_S8_S8_S8_S8_S8_S8_EEEEZNS1_11reduce_implILb1ES3_NS6_12zip_iteratorINS7_INS6_11hip_rocprim26transform_input_iterator_tIbPdNS6_6detail10functional5actorINSH_9compositeIJNSH_27transparent_binary_operatorINS6_8equal_toIvEEEENSI_INSH_8argumentILj0EEEEENSH_5valueIdEEEEEEEEENSD_19counting_iterator_tIlEES8_S8_S8_S8_S8_S8_S8_S8_EEEEPS9_S9_NSD_9__find_if7functorIS9_EEEE10hipError_tPvRmT1_T2_T3_mT4_P12ihipStream_tbEUlT_E1_NS1_11comp_targetILNS1_3genE3ELNS1_11target_archE908ELNS1_3gpuE7ELNS1_3repE0EEENS1_30default_config_static_selectorELNS0_4arch9wavefront6targetE1EEEvS17_.private_seg_size, 0
	.set _ZN7rocprim17ROCPRIM_400000_NS6detail17trampoline_kernelINS0_14default_configENS1_22reduce_config_selectorIN6thrust23THRUST_200600_302600_NS5tupleIblNS6_9null_typeES8_S8_S8_S8_S8_S8_S8_EEEEZNS1_11reduce_implILb1ES3_NS6_12zip_iteratorINS7_INS6_11hip_rocprim26transform_input_iterator_tIbPdNS6_6detail10functional5actorINSH_9compositeIJNSH_27transparent_binary_operatorINS6_8equal_toIvEEEENSI_INSH_8argumentILj0EEEEENSH_5valueIdEEEEEEEEENSD_19counting_iterator_tIlEES8_S8_S8_S8_S8_S8_S8_S8_EEEEPS9_S9_NSD_9__find_if7functorIS9_EEEE10hipError_tPvRmT1_T2_T3_mT4_P12ihipStream_tbEUlT_E1_NS1_11comp_targetILNS1_3genE3ELNS1_11target_archE908ELNS1_3gpuE7ELNS1_3repE0EEENS1_30default_config_static_selectorELNS0_4arch9wavefront6targetE1EEEvS17_.uses_vcc, 0
	.set _ZN7rocprim17ROCPRIM_400000_NS6detail17trampoline_kernelINS0_14default_configENS1_22reduce_config_selectorIN6thrust23THRUST_200600_302600_NS5tupleIblNS6_9null_typeES8_S8_S8_S8_S8_S8_S8_EEEEZNS1_11reduce_implILb1ES3_NS6_12zip_iteratorINS7_INS6_11hip_rocprim26transform_input_iterator_tIbPdNS6_6detail10functional5actorINSH_9compositeIJNSH_27transparent_binary_operatorINS6_8equal_toIvEEEENSI_INSH_8argumentILj0EEEEENSH_5valueIdEEEEEEEEENSD_19counting_iterator_tIlEES8_S8_S8_S8_S8_S8_S8_S8_EEEEPS9_S9_NSD_9__find_if7functorIS9_EEEE10hipError_tPvRmT1_T2_T3_mT4_P12ihipStream_tbEUlT_E1_NS1_11comp_targetILNS1_3genE3ELNS1_11target_archE908ELNS1_3gpuE7ELNS1_3repE0EEENS1_30default_config_static_selectorELNS0_4arch9wavefront6targetE1EEEvS17_.uses_flat_scratch, 0
	.set _ZN7rocprim17ROCPRIM_400000_NS6detail17trampoline_kernelINS0_14default_configENS1_22reduce_config_selectorIN6thrust23THRUST_200600_302600_NS5tupleIblNS6_9null_typeES8_S8_S8_S8_S8_S8_S8_EEEEZNS1_11reduce_implILb1ES3_NS6_12zip_iteratorINS7_INS6_11hip_rocprim26transform_input_iterator_tIbPdNS6_6detail10functional5actorINSH_9compositeIJNSH_27transparent_binary_operatorINS6_8equal_toIvEEEENSI_INSH_8argumentILj0EEEEENSH_5valueIdEEEEEEEEENSD_19counting_iterator_tIlEES8_S8_S8_S8_S8_S8_S8_S8_EEEEPS9_S9_NSD_9__find_if7functorIS9_EEEE10hipError_tPvRmT1_T2_T3_mT4_P12ihipStream_tbEUlT_E1_NS1_11comp_targetILNS1_3genE3ELNS1_11target_archE908ELNS1_3gpuE7ELNS1_3repE0EEENS1_30default_config_static_selectorELNS0_4arch9wavefront6targetE1EEEvS17_.has_dyn_sized_stack, 0
	.set _ZN7rocprim17ROCPRIM_400000_NS6detail17trampoline_kernelINS0_14default_configENS1_22reduce_config_selectorIN6thrust23THRUST_200600_302600_NS5tupleIblNS6_9null_typeES8_S8_S8_S8_S8_S8_S8_EEEEZNS1_11reduce_implILb1ES3_NS6_12zip_iteratorINS7_INS6_11hip_rocprim26transform_input_iterator_tIbPdNS6_6detail10functional5actorINSH_9compositeIJNSH_27transparent_binary_operatorINS6_8equal_toIvEEEENSI_INSH_8argumentILj0EEEEENSH_5valueIdEEEEEEEEENSD_19counting_iterator_tIlEES8_S8_S8_S8_S8_S8_S8_S8_EEEEPS9_S9_NSD_9__find_if7functorIS9_EEEE10hipError_tPvRmT1_T2_T3_mT4_P12ihipStream_tbEUlT_E1_NS1_11comp_targetILNS1_3genE3ELNS1_11target_archE908ELNS1_3gpuE7ELNS1_3repE0EEENS1_30default_config_static_selectorELNS0_4arch9wavefront6targetE1EEEvS17_.has_recursion, 0
	.set _ZN7rocprim17ROCPRIM_400000_NS6detail17trampoline_kernelINS0_14default_configENS1_22reduce_config_selectorIN6thrust23THRUST_200600_302600_NS5tupleIblNS6_9null_typeES8_S8_S8_S8_S8_S8_S8_EEEEZNS1_11reduce_implILb1ES3_NS6_12zip_iteratorINS7_INS6_11hip_rocprim26transform_input_iterator_tIbPdNS6_6detail10functional5actorINSH_9compositeIJNSH_27transparent_binary_operatorINS6_8equal_toIvEEEENSI_INSH_8argumentILj0EEEEENSH_5valueIdEEEEEEEEENSD_19counting_iterator_tIlEES8_S8_S8_S8_S8_S8_S8_S8_EEEEPS9_S9_NSD_9__find_if7functorIS9_EEEE10hipError_tPvRmT1_T2_T3_mT4_P12ihipStream_tbEUlT_E1_NS1_11comp_targetILNS1_3genE3ELNS1_11target_archE908ELNS1_3gpuE7ELNS1_3repE0EEENS1_30default_config_static_selectorELNS0_4arch9wavefront6targetE1EEEvS17_.has_indirect_call, 0
	.section	.AMDGPU.csdata,"",@progbits
; Kernel info:
; codeLenInByte = 0
; TotalNumSgprs: 4
; NumVgprs: 0
; ScratchSize: 0
; MemoryBound: 0
; FloatMode: 240
; IeeeMode: 1
; LDSByteSize: 0 bytes/workgroup (compile time only)
; SGPRBlocks: 0
; VGPRBlocks: 0
; NumSGPRsForWavesPerEU: 4
; NumVGPRsForWavesPerEU: 1
; Occupancy: 10
; WaveLimiterHint : 0
; COMPUTE_PGM_RSRC2:SCRATCH_EN: 0
; COMPUTE_PGM_RSRC2:USER_SGPR: 6
; COMPUTE_PGM_RSRC2:TRAP_HANDLER: 0
; COMPUTE_PGM_RSRC2:TGID_X_EN: 1
; COMPUTE_PGM_RSRC2:TGID_Y_EN: 0
; COMPUTE_PGM_RSRC2:TGID_Z_EN: 0
; COMPUTE_PGM_RSRC2:TIDIG_COMP_CNT: 0
	.section	.text._ZN7rocprim17ROCPRIM_400000_NS6detail17trampoline_kernelINS0_14default_configENS1_22reduce_config_selectorIN6thrust23THRUST_200600_302600_NS5tupleIblNS6_9null_typeES8_S8_S8_S8_S8_S8_S8_EEEEZNS1_11reduce_implILb1ES3_NS6_12zip_iteratorINS7_INS6_11hip_rocprim26transform_input_iterator_tIbPdNS6_6detail10functional5actorINSH_9compositeIJNSH_27transparent_binary_operatorINS6_8equal_toIvEEEENSI_INSH_8argumentILj0EEEEENSH_5valueIdEEEEEEEEENSD_19counting_iterator_tIlEES8_S8_S8_S8_S8_S8_S8_S8_EEEEPS9_S9_NSD_9__find_if7functorIS9_EEEE10hipError_tPvRmT1_T2_T3_mT4_P12ihipStream_tbEUlT_E1_NS1_11comp_targetILNS1_3genE2ELNS1_11target_archE906ELNS1_3gpuE6ELNS1_3repE0EEENS1_30default_config_static_selectorELNS0_4arch9wavefront6targetE1EEEvS17_,"axG",@progbits,_ZN7rocprim17ROCPRIM_400000_NS6detail17trampoline_kernelINS0_14default_configENS1_22reduce_config_selectorIN6thrust23THRUST_200600_302600_NS5tupleIblNS6_9null_typeES8_S8_S8_S8_S8_S8_S8_EEEEZNS1_11reduce_implILb1ES3_NS6_12zip_iteratorINS7_INS6_11hip_rocprim26transform_input_iterator_tIbPdNS6_6detail10functional5actorINSH_9compositeIJNSH_27transparent_binary_operatorINS6_8equal_toIvEEEENSI_INSH_8argumentILj0EEEEENSH_5valueIdEEEEEEEEENSD_19counting_iterator_tIlEES8_S8_S8_S8_S8_S8_S8_S8_EEEEPS9_S9_NSD_9__find_if7functorIS9_EEEE10hipError_tPvRmT1_T2_T3_mT4_P12ihipStream_tbEUlT_E1_NS1_11comp_targetILNS1_3genE2ELNS1_11target_archE906ELNS1_3gpuE6ELNS1_3repE0EEENS1_30default_config_static_selectorELNS0_4arch9wavefront6targetE1EEEvS17_,comdat
	.protected	_ZN7rocprim17ROCPRIM_400000_NS6detail17trampoline_kernelINS0_14default_configENS1_22reduce_config_selectorIN6thrust23THRUST_200600_302600_NS5tupleIblNS6_9null_typeES8_S8_S8_S8_S8_S8_S8_EEEEZNS1_11reduce_implILb1ES3_NS6_12zip_iteratorINS7_INS6_11hip_rocprim26transform_input_iterator_tIbPdNS6_6detail10functional5actorINSH_9compositeIJNSH_27transparent_binary_operatorINS6_8equal_toIvEEEENSI_INSH_8argumentILj0EEEEENSH_5valueIdEEEEEEEEENSD_19counting_iterator_tIlEES8_S8_S8_S8_S8_S8_S8_S8_EEEEPS9_S9_NSD_9__find_if7functorIS9_EEEE10hipError_tPvRmT1_T2_T3_mT4_P12ihipStream_tbEUlT_E1_NS1_11comp_targetILNS1_3genE2ELNS1_11target_archE906ELNS1_3gpuE6ELNS1_3repE0EEENS1_30default_config_static_selectorELNS0_4arch9wavefront6targetE1EEEvS17_ ; -- Begin function _ZN7rocprim17ROCPRIM_400000_NS6detail17trampoline_kernelINS0_14default_configENS1_22reduce_config_selectorIN6thrust23THRUST_200600_302600_NS5tupleIblNS6_9null_typeES8_S8_S8_S8_S8_S8_S8_EEEEZNS1_11reduce_implILb1ES3_NS6_12zip_iteratorINS7_INS6_11hip_rocprim26transform_input_iterator_tIbPdNS6_6detail10functional5actorINSH_9compositeIJNSH_27transparent_binary_operatorINS6_8equal_toIvEEEENSI_INSH_8argumentILj0EEEEENSH_5valueIdEEEEEEEEENSD_19counting_iterator_tIlEES8_S8_S8_S8_S8_S8_S8_S8_EEEEPS9_S9_NSD_9__find_if7functorIS9_EEEE10hipError_tPvRmT1_T2_T3_mT4_P12ihipStream_tbEUlT_E1_NS1_11comp_targetILNS1_3genE2ELNS1_11target_archE906ELNS1_3gpuE6ELNS1_3repE0EEENS1_30default_config_static_selectorELNS0_4arch9wavefront6targetE1EEEvS17_
	.globl	_ZN7rocprim17ROCPRIM_400000_NS6detail17trampoline_kernelINS0_14default_configENS1_22reduce_config_selectorIN6thrust23THRUST_200600_302600_NS5tupleIblNS6_9null_typeES8_S8_S8_S8_S8_S8_S8_EEEEZNS1_11reduce_implILb1ES3_NS6_12zip_iteratorINS7_INS6_11hip_rocprim26transform_input_iterator_tIbPdNS6_6detail10functional5actorINSH_9compositeIJNSH_27transparent_binary_operatorINS6_8equal_toIvEEEENSI_INSH_8argumentILj0EEEEENSH_5valueIdEEEEEEEEENSD_19counting_iterator_tIlEES8_S8_S8_S8_S8_S8_S8_S8_EEEEPS9_S9_NSD_9__find_if7functorIS9_EEEE10hipError_tPvRmT1_T2_T3_mT4_P12ihipStream_tbEUlT_E1_NS1_11comp_targetILNS1_3genE2ELNS1_11target_archE906ELNS1_3gpuE6ELNS1_3repE0EEENS1_30default_config_static_selectorELNS0_4arch9wavefront6targetE1EEEvS17_
	.p2align	8
	.type	_ZN7rocprim17ROCPRIM_400000_NS6detail17trampoline_kernelINS0_14default_configENS1_22reduce_config_selectorIN6thrust23THRUST_200600_302600_NS5tupleIblNS6_9null_typeES8_S8_S8_S8_S8_S8_S8_EEEEZNS1_11reduce_implILb1ES3_NS6_12zip_iteratorINS7_INS6_11hip_rocprim26transform_input_iterator_tIbPdNS6_6detail10functional5actorINSH_9compositeIJNSH_27transparent_binary_operatorINS6_8equal_toIvEEEENSI_INSH_8argumentILj0EEEEENSH_5valueIdEEEEEEEEENSD_19counting_iterator_tIlEES8_S8_S8_S8_S8_S8_S8_S8_EEEEPS9_S9_NSD_9__find_if7functorIS9_EEEE10hipError_tPvRmT1_T2_T3_mT4_P12ihipStream_tbEUlT_E1_NS1_11comp_targetILNS1_3genE2ELNS1_11target_archE906ELNS1_3gpuE6ELNS1_3repE0EEENS1_30default_config_static_selectorELNS0_4arch9wavefront6targetE1EEEvS17_,@function
_ZN7rocprim17ROCPRIM_400000_NS6detail17trampoline_kernelINS0_14default_configENS1_22reduce_config_selectorIN6thrust23THRUST_200600_302600_NS5tupleIblNS6_9null_typeES8_S8_S8_S8_S8_S8_S8_EEEEZNS1_11reduce_implILb1ES3_NS6_12zip_iteratorINS7_INS6_11hip_rocprim26transform_input_iterator_tIbPdNS6_6detail10functional5actorINSH_9compositeIJNSH_27transparent_binary_operatorINS6_8equal_toIvEEEENSI_INSH_8argumentILj0EEEEENSH_5valueIdEEEEEEEEENSD_19counting_iterator_tIlEES8_S8_S8_S8_S8_S8_S8_S8_EEEEPS9_S9_NSD_9__find_if7functorIS9_EEEE10hipError_tPvRmT1_T2_T3_mT4_P12ihipStream_tbEUlT_E1_NS1_11comp_targetILNS1_3genE2ELNS1_11target_archE906ELNS1_3gpuE6ELNS1_3repE0EEENS1_30default_config_static_selectorELNS0_4arch9wavefront6targetE1EEEvS17_: ; @_ZN7rocprim17ROCPRIM_400000_NS6detail17trampoline_kernelINS0_14default_configENS1_22reduce_config_selectorIN6thrust23THRUST_200600_302600_NS5tupleIblNS6_9null_typeES8_S8_S8_S8_S8_S8_S8_EEEEZNS1_11reduce_implILb1ES3_NS6_12zip_iteratorINS7_INS6_11hip_rocprim26transform_input_iterator_tIbPdNS6_6detail10functional5actorINSH_9compositeIJNSH_27transparent_binary_operatorINS6_8equal_toIvEEEENSI_INSH_8argumentILj0EEEEENSH_5valueIdEEEEEEEEENSD_19counting_iterator_tIlEES8_S8_S8_S8_S8_S8_S8_S8_EEEEPS9_S9_NSD_9__find_if7functorIS9_EEEE10hipError_tPvRmT1_T2_T3_mT4_P12ihipStream_tbEUlT_E1_NS1_11comp_targetILNS1_3genE2ELNS1_11target_archE906ELNS1_3gpuE6ELNS1_3repE0EEENS1_30default_config_static_selectorELNS0_4arch9wavefront6targetE1EEEvS17_
; %bb.0:
	s_load_dword s36, s[4:5], 0x4
	s_load_dwordx2 s[26:27], s[4:5], 0x8
	s_load_dwordx8 s[16:23], s[4:5], 0x18
	s_load_dword s33, s[4:5], 0x38
	s_load_dwordx2 s[24:25], s[4:5], 0x40
	s_waitcnt lgkmcnt(0)
	s_cmp_lt_i32 s36, 4
	s_cbranch_scc1 .LBB1737_13
; %bb.1:
	s_cmp_gt_i32 s36, 7
	s_cbranch_scc0 .LBB1737_14
; %bb.2:
	s_cmp_eq_u32 s36, 8
	s_mov_b64 s[28:29], 0
	s_cbranch_scc0 .LBB1737_15
; %bb.3:
	s_mov_b32 s7, 0
	s_lshl_b32 s34, s6, 10
	s_mov_b32 s35, s7
	s_lshr_b64 s[0:1], s[20:21], 10
	s_lshl_b64 s[2:3], s[34:35], 3
	s_add_u32 s30, s26, s2
	s_addc_u32 s31, s27, s3
	s_add_u32 s38, s18, s34
	s_addc_u32 s39, s19, 0
	s_cmp_lg_u64 s[0:1], s[6:7]
	s_cbranch_scc0 .LBB1737_28
; %bb.4:
	v_lshlrev_b32_e32 v3, 3, v0
	global_load_dwordx2 v[1:2], v3, s[30:31] offset:1024
	v_mov_b32_e32 v4, s31
	v_add_co_u32_e32 v10, vcc, s30, v3
	v_addc_co_u32_e32 v11, vcc, 0, v4, vcc
	global_load_dwordx2 v[4:5], v3, s[30:31] offset:2048
	global_load_dwordx2 v[6:7], v3, s[30:31] offset:3072
	global_load_dwordx2 v[8:9], v3, s[30:31]
	v_add_co_u32_e32 v10, vcc, 0x1000, v10
	v_addc_co_u32_e32 v11, vcc, 0, v11, vcc
	global_load_dwordx2 v[12:13], v[10:11], off
	global_load_dwordx2 v[14:15], v[10:11], off offset:2048
	global_load_dwordx2 v[16:17], v[10:11], off offset:3072
	;; [unrolled: 1-line block ×3, first 2 shown]
	v_mov_b32_e32 v10, 0x100
	v_mov_b32_e32 v11, 0x80
	;; [unrolled: 1-line block ×7, first 2 shown]
	s_waitcnt vmcnt(7)
	v_cmp_eq_f64_e32 vcc, s[16:17], v[1:2]
	v_mbcnt_lo_u32_b32 v2, -1, 0
	v_mov_b32_e32 v1, 0x380
	s_waitcnt vmcnt(6)
	v_cmp_eq_f64_e64 s[2:3], s[16:17], v[4:5]
	s_waitcnt vmcnt(5)
	v_cmp_eq_f64_e64 s[4:5], s[16:17], v[6:7]
	;; [unrolled: 2-line block ×3, first 2 shown]
	v_cndmask_b32_e32 v10, v10, v11, vcc
	v_add_co_u32_e64 v11, s[0:1], s38, v0
	v_addc_co_u32_e64 v24, s[0:1], 0, v3, s[0:1]
	v_cmp_eq_f64_e64 s[0:1], s[16:17], v[8:9]
	s_waitcnt vmcnt(0)
	v_cmp_eq_f64_e64 s[14:15], s[16:17], v[18:19]
	v_cmp_eq_f64_e64 s[10:11], s[16:17], v[14:15]
	;; [unrolled: 1-line block ×3, first 2 shown]
	v_mbcnt_hi_u32_b32 v3, -1, v2
	v_cndmask_b32_e64 v2, v20, v21, s[4:5]
	v_cndmask_b32_e64 v4, v10, 0, s[0:1]
	s_or_b64 s[0:1], s[0:1], vcc
	s_or_b64 vcc, s[0:1], s[2:3]
	s_or_b64 s[0:1], vcc, s[4:5]
	v_cndmask_b32_e32 v2, v2, v4, vcc
	s_or_b64 vcc, s[0:1], s[8:9]
	v_cndmask_b32_e64 v5, v22, v23, s[14:15]
	s_or_b64 s[0:1], vcc, s[14:15]
	v_cndmask_b32_e32 v2, v5, v2, vcc
	s_or_b64 vcc, s[0:1], s[10:11]
	v_cndmask_b32_e32 v1, v1, v2, vcc
	v_add_co_u32_e64 v1, s[0:1], v11, v1
	v_addc_co_u32_e64 v2, s[0:1], 0, v24, s[0:1]
	s_or_b64 s[0:1], vcc, s[12:13]
	v_mov_b32_dpp v4, v1 quad_perm:[1,0,3,2] row_mask:0xf bank_mask:0xf bound_ctrl:1
	v_mov_b32_dpp v5, v2 quad_perm:[1,0,3,2] row_mask:0xf bank_mask:0xf bound_ctrl:1
	v_cndmask_b32_e64 v6, 0, 1, s[0:1]
	v_cmp_lt_i64_e32 vcc, v[1:2], v[4:5]
	s_and_b64 vcc, s[0:1], vcc
	v_mov_b32_dpp v7, v6 quad_perm:[1,0,3,2] row_mask:0xf bank_mask:0xf bound_ctrl:1
	v_and_b32_e32 v7, 1, v7
	v_cndmask_b32_e32 v4, v4, v1, vcc
	v_cndmask_b32_e32 v5, v5, v2, vcc
	v_cmp_eq_u32_e32 vcc, 1, v7
	v_cndmask_b32_e32 v2, v2, v5, vcc
	v_cndmask_b32_e32 v1, v1, v4, vcc
	v_cndmask_b32_e64 v6, v6, 1, vcc
	v_mov_b32_dpp v5, v2 quad_perm:[2,3,0,1] row_mask:0xf bank_mask:0xf bound_ctrl:1
	v_mov_b32_dpp v4, v1 quad_perm:[2,3,0,1] row_mask:0xf bank_mask:0xf bound_ctrl:1
	v_and_b32_e32 v8, 1, v6
	v_cmp_lt_i64_e64 s[0:1], v[1:2], v[4:5]
	v_mov_b32_dpp v7, v6 quad_perm:[2,3,0,1] row_mask:0xf bank_mask:0xf bound_ctrl:1
	v_cmp_eq_u32_e32 vcc, 1, v8
	v_and_b32_e32 v7, 1, v7
	s_and_b64 vcc, vcc, s[0:1]
	v_cmp_eq_u32_e64 s[2:3], 1, v7
	v_cndmask_b32_e32 v4, v4, v1, vcc
	v_cndmask_b32_e32 v5, v5, v2, vcc
	v_cndmask_b32_e64 v1, v1, v4, s[2:3]
	v_cndmask_b32_e64 v2, v2, v5, s[2:3]
	v_cndmask_b32_e64 v6, v6, 1, s[2:3]
	v_mov_b32_dpp v4, v1 row_ror:4 row_mask:0xf bank_mask:0xf bound_ctrl:1
	v_mov_b32_dpp v5, v2 row_ror:4 row_mask:0xf bank_mask:0xf bound_ctrl:1
	v_and_b32_e32 v8, 1, v6
	v_cmp_lt_i64_e64 s[2:3], v[1:2], v[4:5]
	v_mov_b32_dpp v7, v6 row_ror:4 row_mask:0xf bank_mask:0xf bound_ctrl:1
	v_cmp_eq_u32_e32 vcc, 1, v8
	v_and_b32_e32 v7, 1, v7
	s_and_b64 vcc, vcc, s[2:3]
	v_cmp_eq_u32_e64 s[0:1], 1, v7
	v_cndmask_b32_e32 v4, v4, v1, vcc
	v_cndmask_b32_e32 v5, v5, v2, vcc
	v_cndmask_b32_e64 v1, v1, v4, s[0:1]
	v_cndmask_b32_e64 v2, v2, v5, s[0:1]
	v_cndmask_b32_e64 v6, v6, 1, s[0:1]
	v_mov_b32_dpp v4, v1 row_ror:8 row_mask:0xf bank_mask:0xf bound_ctrl:1
	v_mov_b32_dpp v5, v2 row_ror:8 row_mask:0xf bank_mask:0xf bound_ctrl:1
	v_and_b32_e32 v8, 1, v6
	v_cmp_lt_i64_e32 vcc, v[1:2], v[4:5]
	v_mov_b32_dpp v7, v6 row_ror:8 row_mask:0xf bank_mask:0xf bound_ctrl:1
	v_cmp_eq_u32_e64 s[4:5], 1, v8
	v_and_b32_e32 v7, 1, v7
	s_and_b64 vcc, s[4:5], vcc
	v_cmp_eq_u32_e64 s[8:9], 1, v7
	v_cndmask_b32_e32 v4, v4, v1, vcc
	v_cndmask_b32_e32 v5, v5, v2, vcc
	v_cndmask_b32_e64 v1, v1, v4, s[8:9]
	v_cndmask_b32_e64 v2, v2, v5, s[8:9]
	;; [unrolled: 1-line block ×3, first 2 shown]
	v_mov_b32_dpp v4, v1 row_bcast:15 row_mask:0xf bank_mask:0xf bound_ctrl:1
	v_mov_b32_dpp v5, v2 row_bcast:15 row_mask:0xf bank_mask:0xf bound_ctrl:1
	v_and_b32_e32 v8, 1, v6
	v_cmp_lt_i64_e32 vcc, v[1:2], v[4:5]
	v_mov_b32_dpp v7, v6 row_bcast:15 row_mask:0xf bank_mask:0xf bound_ctrl:1
	v_cmp_eq_u32_e64 s[0:1], 1, v8
	v_and_b32_e32 v7, 1, v7
	s_and_b64 vcc, s[0:1], vcc
	v_cmp_eq_u32_e64 s[2:3], 1, v7
	v_cndmask_b32_e32 v4, v4, v1, vcc
	v_cndmask_b32_e32 v5, v5, v2, vcc
	v_cndmask_b32_e64 v2, v2, v5, s[2:3]
	v_cndmask_b32_e64 v1, v1, v4, s[2:3]
	v_cndmask_b32_e64 v6, v6, 1, s[2:3]
	v_mov_b32_dpp v5, v2 row_bcast:31 row_mask:0xf bank_mask:0xf bound_ctrl:1
	v_mov_b32_dpp v4, v1 row_bcast:31 row_mask:0xf bank_mask:0xf bound_ctrl:1
	v_and_b32_e32 v8, 1, v6
	v_cmp_lt_i64_e64 s[0:1], v[1:2], v[4:5]
	v_mov_b32_dpp v7, v6 row_bcast:31 row_mask:0xf bank_mask:0xf bound_ctrl:1
	v_cmp_eq_u32_e32 vcc, 1, v8
	v_and_b32_e32 v7, 1, v7
	s_and_b64 vcc, vcc, s[0:1]
	v_cmp_eq_u32_e64 s[2:3], 1, v7
	v_cndmask_b32_e32 v5, v5, v2, vcc
	v_cndmask_b32_e32 v4, v4, v1, vcc
	v_cndmask_b32_e64 v2, v2, v5, s[2:3]
	v_lshlrev_b32_e32 v5, 2, v3
	v_cndmask_b32_e64 v6, v6, 1, s[2:3]
	v_cndmask_b32_e64 v1, v1, v4, s[2:3]
	v_or_b32_e32 v4, 0xfc, v5
	ds_bpermute_b32 v17, v4, v6
	ds_bpermute_b32 v1, v4, v1
	ds_bpermute_b32 v2, v4, v2
	v_cmp_eq_u32_e32 vcc, 0, v3
	s_and_saveexec_b64 s[0:1], vcc
	s_cbranch_execz .LBB1737_6
; %bb.5:
	v_lshrrev_b32_e32 v4, 2, v0
	v_and_b32_e32 v4, 16, v4
	s_waitcnt lgkmcnt(2)
	ds_write_b8 v4, v17 offset:96
	s_waitcnt lgkmcnt(1)
	ds_write_b64 v4, v[1:2] offset:104
.LBB1737_6:
	s_or_b64 exec, exec, s[0:1]
	v_cmp_gt_u32_e32 vcc, 64, v0
	s_waitcnt lgkmcnt(0)
	s_barrier
	s_and_saveexec_b64 s[0:1], vcc
	s_cbranch_execz .LBB1737_12
; %bb.7:
	v_and_b32_e32 v1, 1, v3
	v_lshlrev_b32_e32 v1, 4, v1
	ds_read_u8 v7, v1 offset:96
	ds_read_b64 v[3:4], v1 offset:104
	v_or_b32_e32 v2, 4, v5
	s_waitcnt lgkmcnt(1)
	v_and_b32_e32 v1, 0xff, v7
	ds_bpermute_b32 v8, v2, v1
	s_waitcnt lgkmcnt(1)
	ds_bpermute_b32 v5, v2, v3
	ds_bpermute_b32 v6, v2, v4
	s_waitcnt lgkmcnt(2)
	v_and_b32_e32 v1, v7, v8
	v_and_b32_e32 v1, 1, v1
	v_cmp_eq_u32_e32 vcc, 1, v1
                                        ; implicit-def: $vgpr1_vgpr2
	s_and_saveexec_b64 s[2:3], vcc
	s_xor_b64 s[2:3], exec, s[2:3]
	s_cbranch_execz .LBB1737_9
; %bb.8:
	s_waitcnt lgkmcnt(0)
	v_cmp_lt_i64_e32 vcc, v[5:6], v[3:4]
                                        ; implicit-def: $vgpr7
                                        ; implicit-def: $vgpr8
	v_cndmask_b32_e32 v2, v4, v6, vcc
	v_cndmask_b32_e32 v1, v3, v5, vcc
                                        ; implicit-def: $vgpr5_vgpr6
                                        ; implicit-def: $vgpr3_vgpr4
.LBB1737_9:
	s_or_saveexec_b64 s[2:3], s[2:3]
	v_mov_b32_e32 v17, 1
	s_xor_b64 exec, exec, s[2:3]
	s_cbranch_execz .LBB1737_11
; %bb.10:
	v_and_b32_e32 v1, 1, v7
	v_cmp_eq_u32_e32 vcc, 1, v1
	s_waitcnt lgkmcnt(0)
	v_cndmask_b32_e32 v2, v6, v4, vcc
	v_cndmask_b32_e32 v1, v5, v3, vcc
	v_cndmask_b32_e64 v17, v8, 1, vcc
.LBB1737_11:
	s_or_b64 exec, exec, s[2:3]
.LBB1737_12:
	s_or_b64 exec, exec, s[0:1]
	s_branch .LBB1737_145
.LBB1737_13:
	s_mov_b64 s[12:13], 0
                                        ; implicit-def: $vgpr3_vgpr4
                                        ; implicit-def: $vgpr5
                                        ; implicit-def: $vgpr1_vgpr2
	s_cbranch_execnz .LBB1737_219
	s_branch .LBB1737_306
.LBB1737_14:
	s_mov_b64 s[28:29], -1
.LBB1737_15:
	s_mov_b64 s[12:13], 0
                                        ; implicit-def: $vgpr3_vgpr4
                                        ; implicit-def: $vgpr5
                                        ; implicit-def: $vgpr1_vgpr2
	s_and_b64 vcc, exec, s[28:29]
	s_cbranch_vccz .LBB1737_150
.LBB1737_16:
	s_cmp_eq_u32 s36, 4
	s_cbranch_scc0 .LBB1737_27
; %bb.17:
	s_mov_b32 s7, 0
	s_lshl_b32 s28, s6, 9
	s_mov_b32 s29, s7
	s_lshr_b64 s[0:1], s[20:21], 9
	s_lshl_b64 s[2:3], s[28:29], 3
	s_add_u32 s14, s26, s2
	s_addc_u32 s15, s27, s3
	s_add_u32 s29, s18, s28
	s_addc_u32 s30, s19, 0
	s_cmp_lg_u64 s[0:1], s[6:7]
	s_cbranch_scc0 .LBB1737_51
; %bb.18:
	v_lshlrev_b32_e32 v9, 3, v0
	global_load_dwordx2 v[1:2], v9, s[14:15] offset:1024
	s_waitcnt lgkmcnt(0)
	global_load_dwordx2 v[3:4], v9, s[14:15]
	global_load_dwordx2 v[5:6], v9, s[14:15] offset:2048
	global_load_dwordx2 v[7:8], v9, s[14:15] offset:3072
	v_mov_b32_e32 v9, s30
	v_mov_b32_e32 v10, 0x100
	;; [unrolled: 1-line block ×4, first 2 shown]
	v_mbcnt_lo_u32_b32 v13, -1, 0
	s_waitcnt vmcnt(3)
	v_cmp_eq_f64_e32 vcc, s[16:17], v[1:2]
	s_waitcnt vmcnt(2)
	v_cmp_eq_f64_e64 s[0:1], s[16:17], v[3:4]
	s_waitcnt vmcnt(1)
	v_cmp_eq_f64_e64 s[2:3], s[16:17], v[5:6]
	v_add_co_u32_e64 v2, s[4:5], s29, v0
	v_addc_co_u32_e64 v4, s[4:5], 0, v9, s[4:5]
	s_waitcnt vmcnt(0)
	v_cmp_eq_f64_e64 s[4:5], s[16:17], v[7:8]
	v_cndmask_b32_e32 v1, v10, v11, vcc
	v_cndmask_b32_e64 v1, v1, 0, s[0:1]
	s_or_b64 s[0:1], s[0:1], vcc
	s_or_b64 vcc, s[0:1], s[2:3]
	v_cndmask_b32_e32 v1, v12, v1, vcc
	v_add_co_u32_e64 v1, s[0:1], v2, v1
	v_addc_co_u32_e64 v2, s[0:1], 0, v4, s[0:1]
	s_or_b64 s[0:1], vcc, s[4:5]
	v_mov_b32_dpp v6, v1 quad_perm:[1,0,3,2] row_mask:0xf bank_mask:0xf bound_ctrl:1
	v_mov_b32_dpp v7, v2 quad_perm:[1,0,3,2] row_mask:0xf bank_mask:0xf bound_ctrl:1
	v_cndmask_b32_e64 v4, 0, 1, s[0:1]
	v_cmp_lt_i64_e32 vcc, v[1:2], v[6:7]
	v_mbcnt_hi_u32_b32 v3, -1, v13
	v_mov_b32_dpp v8, v4 quad_perm:[1,0,3,2] row_mask:0xf bank_mask:0xf bound_ctrl:1
	v_and_b32_e32 v8, 1, v8
	s_and_b64 vcc, s[0:1], vcc
	v_cndmask_b32_e32 v6, v6, v1, vcc
	v_cndmask_b32_e32 v7, v7, v2, vcc
	v_cmp_eq_u32_e32 vcc, 1, v8
	v_cndmask_b32_e32 v2, v2, v7, vcc
	v_cndmask_b32_e32 v1, v1, v6, vcc
	v_cndmask_b32_e64 v4, v4, 1, vcc
	v_mov_b32_dpp v7, v2 quad_perm:[2,3,0,1] row_mask:0xf bank_mask:0xf bound_ctrl:1
	v_mov_b32_dpp v6, v1 quad_perm:[2,3,0,1] row_mask:0xf bank_mask:0xf bound_ctrl:1
	v_and_b32_e32 v9, 1, v4
	v_cmp_lt_i64_e64 s[0:1], v[1:2], v[6:7]
	v_mov_b32_dpp v8, v4 quad_perm:[2,3,0,1] row_mask:0xf bank_mask:0xf bound_ctrl:1
	v_cmp_eq_u32_e32 vcc, 1, v9
	v_and_b32_e32 v8, 1, v8
	s_and_b64 vcc, vcc, s[0:1]
	v_cmp_eq_u32_e64 s[2:3], 1, v8
	v_cndmask_b32_e32 v6, v6, v1, vcc
	v_cndmask_b32_e32 v7, v7, v2, vcc
	v_cndmask_b32_e64 v1, v1, v6, s[2:3]
	v_cndmask_b32_e64 v2, v2, v7, s[2:3]
	;; [unrolled: 1-line block ×3, first 2 shown]
	v_mov_b32_dpp v6, v1 row_ror:4 row_mask:0xf bank_mask:0xf bound_ctrl:1
	v_mov_b32_dpp v7, v2 row_ror:4 row_mask:0xf bank_mask:0xf bound_ctrl:1
	v_and_b32_e32 v9, 1, v4
	v_cmp_lt_i64_e64 s[2:3], v[1:2], v[6:7]
	v_mov_b32_dpp v8, v4 row_ror:4 row_mask:0xf bank_mask:0xf bound_ctrl:1
	v_cmp_eq_u32_e32 vcc, 1, v9
	v_and_b32_e32 v8, 1, v8
	s_and_b64 vcc, vcc, s[2:3]
	v_cmp_eq_u32_e64 s[0:1], 1, v8
	v_cndmask_b32_e32 v6, v6, v1, vcc
	v_cndmask_b32_e32 v7, v7, v2, vcc
	v_cndmask_b32_e64 v1, v1, v6, s[0:1]
	v_cndmask_b32_e64 v2, v2, v7, s[0:1]
	;; [unrolled: 1-line block ×3, first 2 shown]
	v_mov_b32_dpp v6, v1 row_ror:8 row_mask:0xf bank_mask:0xf bound_ctrl:1
	v_mov_b32_dpp v7, v2 row_ror:8 row_mask:0xf bank_mask:0xf bound_ctrl:1
	v_and_b32_e32 v9, 1, v4
	v_cmp_lt_i64_e64 s[2:3], v[1:2], v[6:7]
	v_mov_b32_dpp v8, v4 row_ror:8 row_mask:0xf bank_mask:0xf bound_ctrl:1
	v_cmp_eq_u32_e64 s[4:5], 1, v9
	v_and_b32_e32 v8, 1, v8
	s_and_b64 s[2:3], s[4:5], s[2:3]
	v_cmp_eq_u32_e64 s[8:9], 1, v8
	v_cndmask_b32_e64 v6, v6, v1, s[2:3]
	v_cndmask_b32_e64 v7, v7, v2, s[2:3]
	v_cndmask_b32_e64 v1, v1, v6, s[8:9]
	v_cndmask_b32_e64 v2, v2, v7, s[8:9]
	v_cndmask_b32_e64 v4, v4, 1, s[8:9]
	v_mov_b32_dpp v6, v1 row_bcast:15 row_mask:0xf bank_mask:0xf bound_ctrl:1
	v_mov_b32_dpp v7, v2 row_bcast:15 row_mask:0xf bank_mask:0xf bound_ctrl:1
	v_and_b32_e32 v9, 1, v4
	v_cmp_lt_i64_e64 s[2:3], v[1:2], v[6:7]
	v_mov_b32_dpp v8, v4 row_bcast:15 row_mask:0xf bank_mask:0xf bound_ctrl:1
	v_cmp_eq_u32_e32 vcc, 1, v9
	v_and_b32_e32 v8, 1, v8
	s_and_b64 vcc, vcc, s[2:3]
	v_cmp_eq_u32_e64 s[0:1], 1, v8
	v_cndmask_b32_e32 v6, v6, v1, vcc
	v_cndmask_b32_e32 v7, v7, v2, vcc
	v_cndmask_b32_e64 v4, v4, 1, s[0:1]
	v_cndmask_b32_e64 v1, v1, v6, s[0:1]
	;; [unrolled: 1-line block ×3, first 2 shown]
	v_mov_b32_dpp v8, v4 row_bcast:31 row_mask:0xf bank_mask:0xf bound_ctrl:1
	v_mov_b32_dpp v6, v1 row_bcast:31 row_mask:0xf bank_mask:0xf bound_ctrl:1
	v_mov_b32_dpp v7, v2 row_bcast:31 row_mask:0xf bank_mask:0xf bound_ctrl:1
	v_and_b32_e32 v9, 1, v4
	v_and_b32_e32 v8, 1, v8
	v_cmp_lt_i64_e32 vcc, v[1:2], v[6:7]
	v_lshlrev_b32_e32 v5, 2, v3
	v_cmp_eq_u32_e64 s[10:11], 1, v9
	v_cmp_eq_u32_e64 s[4:5], 1, v8
	v_or_b32_e32 v10, 0xfc, v5
	v_cndmask_b32_e64 v4, v4, 1, s[4:5]
	s_and_b64 vcc, s[10:11], vcc
	ds_bpermute_b32 v9, v10, v4
	v_cndmask_b32_e32 v4, v6, v1, vcc
	v_cndmask_b32_e32 v6, v7, v2, vcc
	v_cndmask_b32_e64 v1, v1, v4, s[4:5]
	v_cndmask_b32_e64 v2, v2, v6, s[4:5]
	ds_bpermute_b32 v1, v10, v1
	ds_bpermute_b32 v2, v10, v2
	v_cmp_eq_u32_e32 vcc, 0, v3
	s_and_saveexec_b64 s[0:1], vcc
	s_cbranch_execz .LBB1737_20
; %bb.19:
	v_lshrrev_b32_e32 v4, 2, v0
	v_and_b32_e32 v4, 16, v4
	s_waitcnt lgkmcnt(2)
	ds_write_b8 v4, v9 offset:64
	s_waitcnt lgkmcnt(1)
	ds_write_b64 v4, v[1:2] offset:72
.LBB1737_20:
	s_or_b64 exec, exec, s[0:1]
	v_cmp_gt_u32_e32 vcc, 64, v0
	s_waitcnt lgkmcnt(0)
	s_barrier
	s_and_saveexec_b64 s[0:1], vcc
	s_cbranch_execz .LBB1737_26
; %bb.21:
	v_and_b32_e32 v1, 1, v3
	v_lshlrev_b32_e32 v1, 4, v1
	ds_read_u8 v7, v1 offset:64
	ds_read_b64 v[3:4], v1 offset:72
	v_or_b32_e32 v2, 4, v5
	s_waitcnt lgkmcnt(1)
	v_and_b32_e32 v1, 0xff, v7
	ds_bpermute_b32 v8, v2, v1
	s_waitcnt lgkmcnt(1)
	ds_bpermute_b32 v5, v2, v3
	ds_bpermute_b32 v6, v2, v4
	s_waitcnt lgkmcnt(2)
	v_and_b32_e32 v1, v7, v8
	v_and_b32_e32 v1, 1, v1
	v_cmp_eq_u32_e32 vcc, 1, v1
                                        ; implicit-def: $vgpr1_vgpr2
	s_and_saveexec_b64 s[2:3], vcc
	s_xor_b64 s[2:3], exec, s[2:3]
	s_cbranch_execz .LBB1737_23
; %bb.22:
	s_waitcnt lgkmcnt(0)
	v_cmp_lt_i64_e32 vcc, v[5:6], v[3:4]
                                        ; implicit-def: $vgpr7
                                        ; implicit-def: $vgpr8
	v_cndmask_b32_e32 v2, v4, v6, vcc
	v_cndmask_b32_e32 v1, v3, v5, vcc
                                        ; implicit-def: $vgpr5_vgpr6
                                        ; implicit-def: $vgpr3_vgpr4
.LBB1737_23:
	s_or_saveexec_b64 s[2:3], s[2:3]
	v_mov_b32_e32 v9, 1
	s_xor_b64 exec, exec, s[2:3]
	s_cbranch_execz .LBB1737_25
; %bb.24:
	v_and_b32_e32 v1, 1, v7
	v_cmp_eq_u32_e32 vcc, 1, v1
	s_waitcnt lgkmcnt(0)
	v_cndmask_b32_e32 v2, v6, v4, vcc
	v_cndmask_b32_e32 v1, v5, v3, vcc
	v_cndmask_b32_e64 v9, v8, 1, vcc
.LBB1737_25:
	s_or_b64 exec, exec, s[2:3]
.LBB1737_26:
	s_or_b64 exec, exec, s[0:1]
	s_branch .LBB1737_214
.LBB1737_27:
                                        ; implicit-def: $vgpr3_vgpr4
                                        ; implicit-def: $vgpr5
                                        ; implicit-def: $vgpr1_vgpr2
	s_branch .LBB1737_306
.LBB1737_28:
                                        ; implicit-def: $vgpr1_vgpr2
                                        ; implicit-def: $vgpr17
	s_cbranch_execz .LBB1737_145
; %bb.29:
	s_sub_i32 s37, s20, s34
	v_mov_b32_e32 v15, 0
	v_mov_b32_e32 v1, 0
	v_cmp_gt_u32_e32 vcc, s37, v0
	v_mov_b32_e32 v24, 0
	v_mov_b32_e32 v16, 0
	;; [unrolled: 1-line block ×4, first 2 shown]
	s_and_saveexec_b64 s[0:1], vcc
	s_cbranch_execz .LBB1737_31
; %bb.30:
	v_lshlrev_b32_e32 v1, 3, v0
	global_load_dwordx2 v[3:4], v1, s[30:31]
	v_mov_b32_e32 v2, s39
	v_add_co_u32_e32 v1, vcc, s38, v0
	v_addc_co_u32_e32 v2, vcc, 0, v2, vcc
	s_waitcnt vmcnt(0)
	v_cmp_eq_f64_e32 vcc, s[16:17], v[3:4]
	v_cndmask_b32_e64 v17, 0, 1, vcc
.LBB1737_31:
	s_or_b64 exec, exec, s[0:1]
	v_or_b32_e32 v3, 0x80, v0
	v_cmp_gt_u32_e64 s[12:13], s37, v3
	s_and_saveexec_b64 s[0:1], s[12:13]
	s_cbranch_execz .LBB1737_33
; %bb.32:
	v_lshlrev_b32_e32 v4, 3, v0
	s_waitcnt lgkmcnt(1)
	global_load_dwordx2 v[4:5], v4, s[30:31] offset:1024
	s_waitcnt lgkmcnt(0)
	v_mov_b32_e32 v6, s39
	v_add_co_u32_e32 v15, vcc, s38, v3
	v_addc_co_u32_e32 v16, vcc, 0, v6, vcc
	s_waitcnt vmcnt(0)
	v_cmp_eq_f64_e32 vcc, s[16:17], v[4:5]
	v_cndmask_b32_e64 v24, 0, 1, vcc
.LBB1737_33:
	s_or_b64 exec, exec, s[0:1]
	v_or_b32_e32 v3, 0x100, v0
	v_mov_b32_e32 v11, 0
	v_mov_b32_e32 v13, 0
	v_cmp_gt_u32_e64 s[10:11], s37, v3
	v_mov_b32_e32 v22, 0
	v_mov_b32_e32 v12, 0
	;; [unrolled: 1-line block ×4, first 2 shown]
	s_and_saveexec_b64 s[0:1], s[10:11]
	s_cbranch_execz .LBB1737_35
; %bb.34:
	v_lshlrev_b32_e32 v4, 3, v0
	s_waitcnt lgkmcnt(1)
	global_load_dwordx2 v[4:5], v4, s[30:31] offset:2048
	s_waitcnt lgkmcnt(0)
	v_mov_b32_e32 v6, s39
	v_add_co_u32_e32 v13, vcc, s38, v3
	v_addc_co_u32_e32 v14, vcc, 0, v6, vcc
	s_waitcnt vmcnt(0)
	v_cmp_eq_f64_e32 vcc, s[16:17], v[4:5]
	v_cndmask_b32_e64 v23, 0, 1, vcc
.LBB1737_35:
	s_or_b64 exec, exec, s[0:1]
	v_or_b32_e32 v3, 0x180, v0
	v_cmp_gt_u32_e64 s[8:9], s37, v3
	s_and_saveexec_b64 s[0:1], s[8:9]
	s_cbranch_execz .LBB1737_37
; %bb.36:
	v_lshlrev_b32_e32 v4, 3, v0
	s_waitcnt lgkmcnt(1)
	global_load_dwordx2 v[4:5], v4, s[30:31] offset:3072
	s_waitcnt lgkmcnt(0)
	v_mov_b32_e32 v6, s39
	v_add_co_u32_e32 v11, vcc, s38, v3
	v_addc_co_u32_e32 v12, vcc, 0, v6, vcc
	s_waitcnt vmcnt(0)
	v_cmp_eq_f64_e32 vcc, s[16:17], v[4:5]
	v_cndmask_b32_e64 v22, 0, 1, vcc
.LBB1737_37:
	s_or_b64 exec, exec, s[0:1]
	v_or_b32_e32 v3, 0x200, v0
	v_mov_b32_e32 v7, 0
	v_mov_b32_e32 v9, 0
	v_cmp_gt_u32_e64 s[4:5], s37, v3
	v_mov_b32_e32 v20, 0
	v_mov_b32_e32 v8, 0
	;; [unrolled: 1-line block ×4, first 2 shown]
	s_and_saveexec_b64 s[0:1], s[4:5]
	s_cbranch_execz .LBB1737_39
; %bb.38:
	v_lshlrev_b32_e32 v4, 3, v3
	s_waitcnt lgkmcnt(1)
	global_load_dwordx2 v[4:5], v4, s[30:31]
	s_waitcnt lgkmcnt(0)
	v_mov_b32_e32 v6, s39
	v_add_co_u32_e32 v9, vcc, s38, v3
	v_addc_co_u32_e32 v10, vcc, 0, v6, vcc
	s_waitcnt vmcnt(0)
	v_cmp_eq_f64_e32 vcc, s[16:17], v[4:5]
	v_cndmask_b32_e64 v21, 0, 1, vcc
.LBB1737_39:
	s_or_b64 exec, exec, s[0:1]
	v_or_b32_e32 v3, 0x280, v0
	v_cmp_gt_u32_e64 s[2:3], s37, v3
	s_and_saveexec_b64 s[0:1], s[2:3]
	s_cbranch_execz .LBB1737_41
; %bb.40:
	v_lshlrev_b32_e32 v4, 3, v3
	s_waitcnt lgkmcnt(1)
	global_load_dwordx2 v[4:5], v4, s[30:31]
	s_waitcnt lgkmcnt(0)
	v_mov_b32_e32 v6, s39
	v_add_co_u32_e32 v7, vcc, s38, v3
	v_addc_co_u32_e32 v8, vcc, 0, v6, vcc
	s_waitcnt vmcnt(0)
	v_cmp_eq_f64_e32 vcc, s[16:17], v[4:5]
	v_cndmask_b32_e64 v20, 0, 1, vcc
.LBB1737_41:
	s_or_b64 exec, exec, s[0:1]
	v_or_b32_e32 v25, 0x300, v0
	v_mov_b32_e32 v3, 0
	s_waitcnt lgkmcnt(0)
	v_mov_b32_e32 v5, 0
	v_cmp_gt_u32_e64 s[0:1], s37, v25
	v_mov_b32_e32 v4, 0
	v_mov_b32_e32 v18, 0
	;; [unrolled: 1-line block ×4, first 2 shown]
	s_and_saveexec_b64 s[14:15], s[0:1]
	s_cbranch_execz .LBB1737_43
; %bb.42:
	v_lshlrev_b32_e32 v5, 3, v25
	global_load_dwordx2 v[26:27], v5, s[30:31]
	v_mov_b32_e32 v6, s39
	v_add_co_u32_e32 v5, vcc, s38, v25
	v_addc_co_u32_e32 v6, vcc, 0, v6, vcc
	s_waitcnt vmcnt(0)
	v_cmp_eq_f64_e32 vcc, s[16:17], v[26:27]
	v_cndmask_b32_e64 v19, 0, 1, vcc
.LBB1737_43:
	s_or_b64 exec, exec, s[14:15]
	v_or_b32_e32 v25, 0x380, v0
	v_cmp_gt_u32_e32 vcc, s37, v25
	s_and_saveexec_b64 s[34:35], vcc
	s_cbranch_execnz .LBB1737_62
; %bb.44:
	s_or_b64 exec, exec, s[34:35]
	s_and_saveexec_b64 s[30:31], s[12:13]
	s_cbranch_execnz .LBB1737_63
.LBB1737_45:
	s_or_b64 exec, exec, s[30:31]
	s_and_saveexec_b64 s[14:15], s[10:11]
	s_cbranch_execnz .LBB1737_68
.LBB1737_46:
	s_or_b64 exec, exec, s[14:15]
	s_and_saveexec_b64 s[12:13], s[8:9]
	s_cbranch_execnz .LBB1737_73
.LBB1737_47:
	s_or_b64 exec, exec, s[12:13]
	s_and_saveexec_b64 s[10:11], s[4:5]
	s_cbranch_execnz .LBB1737_78
.LBB1737_48:
	s_or_b64 exec, exec, s[10:11]
	s_and_saveexec_b64 s[8:9], s[2:3]
	s_cbranch_execnz .LBB1737_83
.LBB1737_49:
	s_or_b64 exec, exec, s[8:9]
	s_and_saveexec_b64 s[4:5], s[0:1]
	s_cbranch_execnz .LBB1737_88
.LBB1737_50:
	s_or_b64 exec, exec, s[4:5]
	s_and_saveexec_b64 s[2:3], vcc
	s_cbranch_execnz .LBB1737_93
	s_branch .LBB1737_98
.LBB1737_51:
                                        ; implicit-def: $vgpr1_vgpr2
                                        ; implicit-def: $vgpr9
	s_cbranch_execz .LBB1737_214
; %bb.52:
	s_sub_i32 s10, s20, s28
	s_waitcnt lgkmcnt(1)
	v_mov_b32_e32 v7, 0
	v_mov_b32_e32 v1, 0
	v_cmp_gt_u32_e32 vcc, s10, v0
	v_mov_b32_e32 v12, 0
	v_mov_b32_e32 v8, 0
	;; [unrolled: 1-line block ×4, first 2 shown]
	s_and_saveexec_b64 s[0:1], vcc
	s_cbranch_execz .LBB1737_54
; %bb.53:
	v_lshlrev_b32_e32 v1, 3, v0
	s_waitcnt lgkmcnt(0)
	global_load_dwordx2 v[3:4], v1, s[14:15]
	v_mov_b32_e32 v2, s30
	v_add_co_u32_e32 v1, vcc, s29, v0
	v_addc_co_u32_e32 v2, vcc, 0, v2, vcc
	s_waitcnt vmcnt(0)
	v_cmp_eq_f64_e32 vcc, s[16:17], v[3:4]
	v_cndmask_b32_e64 v9, 0, 1, vcc
.LBB1737_54:
	s_or_b64 exec, exec, s[0:1]
	v_or_b32_e32 v3, 0x80, v0
	v_cmp_gt_u32_e64 s[2:3], s10, v3
	s_and_saveexec_b64 s[0:1], s[2:3]
	s_cbranch_execz .LBB1737_56
; %bb.55:
	s_waitcnt lgkmcnt(0)
	v_lshlrev_b32_e32 v4, 3, v0
	global_load_dwordx2 v[4:5], v4, s[14:15] offset:1024
	v_mov_b32_e32 v6, s30
	v_add_co_u32_e32 v7, vcc, s29, v3
	v_addc_co_u32_e32 v8, vcc, 0, v6, vcc
	s_waitcnt vmcnt(0)
	v_cmp_eq_f64_e32 vcc, s[16:17], v[4:5]
	v_cndmask_b32_e64 v12, 0, 1, vcc
.LBB1737_56:
	s_or_b64 exec, exec, s[0:1]
	v_or_b32_e32 v13, 0x100, v0
	s_waitcnt lgkmcnt(0)
	v_mov_b32_e32 v3, 0
	v_mov_b32_e32 v5, 0
	v_cmp_gt_u32_e64 s[0:1], s10, v13
	v_mov_b32_e32 v10, 0
	v_mov_b32_e32 v4, 0
	;; [unrolled: 1-line block ×4, first 2 shown]
	s_and_saveexec_b64 s[4:5], s[0:1]
	s_cbranch_execz .LBB1737_58
; %bb.57:
	v_lshlrev_b32_e32 v5, 3, v0
	global_load_dwordx2 v[14:15], v5, s[14:15] offset:2048
	v_mov_b32_e32 v6, s30
	v_add_co_u32_e32 v5, vcc, s29, v13
	v_addc_co_u32_e32 v6, vcc, 0, v6, vcc
	s_waitcnt vmcnt(0)
	v_cmp_eq_f64_e32 vcc, s[16:17], v[14:15]
	v_cndmask_b32_e64 v11, 0, 1, vcc
.LBB1737_58:
	s_or_b64 exec, exec, s[4:5]
	v_or_b32_e32 v13, 0x180, v0
	v_cmp_gt_u32_e32 vcc, s10, v13
	s_and_saveexec_b64 s[8:9], vcc
	s_cbranch_execnz .LBB1737_151
; %bb.59:
	s_or_b64 exec, exec, s[8:9]
	s_and_saveexec_b64 s[8:9], s[2:3]
	s_cbranch_execnz .LBB1737_152
.LBB1737_60:
	s_or_b64 exec, exec, s[8:9]
	s_and_saveexec_b64 s[4:5], s[0:1]
	s_cbranch_execnz .LBB1737_157
.LBB1737_61:
	s_or_b64 exec, exec, s[4:5]
	s_and_saveexec_b64 s[2:3], vcc
	s_cbranch_execnz .LBB1737_162
	s_branch .LBB1737_167
.LBB1737_62:
	v_lshlrev_b32_e32 v3, 3, v25
	global_load_dwordx2 v[26:27], v3, s[30:31]
	v_mov_b32_e32 v4, s39
	v_add_co_u32_e64 v3, s[14:15], s38, v25
	v_addc_co_u32_e64 v4, s[14:15], 0, v4, s[14:15]
	s_waitcnt vmcnt(0)
	v_cmp_eq_f64_e64 s[14:15], s[16:17], v[26:27]
	v_cndmask_b32_e64 v18, 0, 1, s[14:15]
	s_or_b64 exec, exec, s[34:35]
	s_and_saveexec_b64 s[30:31], s[12:13]
	s_cbranch_execz .LBB1737_45
.LBB1737_63:
	v_and_b32_e32 v17, 1, v17
	v_cmp_eq_u32_e64 s[12:13], 1, v17
	v_and_b32_e32 v17, 1, v24
	v_cmp_eq_u32_e64 s[14:15], 1, v17
	s_and_b64 s[14:15], s[12:13], s[14:15]
	s_xor_b64 s[14:15], s[14:15], -1
                                        ; implicit-def: $vgpr17
	s_and_saveexec_b64 s[34:35], s[14:15]
	s_xor_b64 s[14:15], exec, s[34:35]
; %bb.64:
	v_and_b32_e32 v17, 0xffff, v24
	v_cndmask_b32_e64 v17, v17, 1, s[12:13]
	v_cndmask_b32_e64 v2, v16, v2, s[12:13]
	;; [unrolled: 1-line block ×3, first 2 shown]
                                        ; implicit-def: $vgpr15_vgpr16
; %bb.65:
	s_andn2_saveexec_b64 s[14:15], s[14:15]
; %bb.66:
	v_cmp_lt_i64_e64 s[12:13], v[15:16], v[1:2]
	v_mov_b32_e32 v17, 1
	v_cndmask_b32_e64 v2, v2, v16, s[12:13]
	v_cndmask_b32_e64 v1, v1, v15, s[12:13]
; %bb.67:
	s_or_b64 exec, exec, s[14:15]
	s_or_b64 exec, exec, s[30:31]
	s_and_saveexec_b64 s[14:15], s[10:11]
	s_cbranch_execz .LBB1737_46
.LBB1737_68:
	v_and_b32_e32 v15, 1, v17
	v_cmp_eq_u32_e64 s[10:11], 1, v15
	v_and_b32_e32 v15, 1, v23
	v_cmp_eq_u32_e64 s[12:13], 1, v15
	s_and_b64 s[12:13], s[10:11], s[12:13]
	s_xor_b64 s[12:13], s[12:13], -1
                                        ; implicit-def: $vgpr17
	s_and_saveexec_b64 s[30:31], s[12:13]
	s_xor_b64 s[12:13], exec, s[30:31]
; %bb.69:
	v_and_b32_e32 v15, 0xffff, v23
	v_cndmask_b32_e64 v17, v15, 1, s[10:11]
	v_cndmask_b32_e64 v2, v14, v2, s[10:11]
	;; [unrolled: 1-line block ×3, first 2 shown]
                                        ; implicit-def: $vgpr13_vgpr14
; %bb.70:
	s_andn2_saveexec_b64 s[12:13], s[12:13]
; %bb.71:
	v_cmp_lt_i64_e64 s[10:11], v[13:14], v[1:2]
	v_mov_b32_e32 v17, 1
	v_cndmask_b32_e64 v2, v2, v14, s[10:11]
	v_cndmask_b32_e64 v1, v1, v13, s[10:11]
; %bb.72:
	s_or_b64 exec, exec, s[12:13]
	s_or_b64 exec, exec, s[14:15]
	s_and_saveexec_b64 s[12:13], s[8:9]
	s_cbranch_execz .LBB1737_47
.LBB1737_73:
	v_and_b32_e32 v13, 1, v17
	v_cmp_eq_u32_e64 s[8:9], 1, v13
	v_and_b32_e32 v13, 1, v22
	v_cmp_eq_u32_e64 s[10:11], 1, v13
	s_and_b64 s[10:11], s[8:9], s[10:11]
	s_xor_b64 s[10:11], s[10:11], -1
                                        ; implicit-def: $vgpr17
	s_and_saveexec_b64 s[14:15], s[10:11]
	s_xor_b64 s[10:11], exec, s[14:15]
; %bb.74:
	v_and_b32_e32 v13, 0xffff, v22
	v_cndmask_b32_e64 v17, v13, 1, s[8:9]
	v_cndmask_b32_e64 v2, v12, v2, s[8:9]
	;; [unrolled: 1-line block ×3, first 2 shown]
                                        ; implicit-def: $vgpr11_vgpr12
; %bb.75:
	s_andn2_saveexec_b64 s[10:11], s[10:11]
; %bb.76:
	v_cmp_lt_i64_e64 s[8:9], v[11:12], v[1:2]
	v_mov_b32_e32 v17, 1
	v_cndmask_b32_e64 v2, v2, v12, s[8:9]
	v_cndmask_b32_e64 v1, v1, v11, s[8:9]
; %bb.77:
	s_or_b64 exec, exec, s[10:11]
	s_or_b64 exec, exec, s[12:13]
	s_and_saveexec_b64 s[10:11], s[4:5]
	s_cbranch_execz .LBB1737_48
.LBB1737_78:
	v_and_b32_e32 v11, 1, v17
	v_cmp_eq_u32_e64 s[4:5], 1, v11
	v_and_b32_e32 v11, 1, v21
	v_cmp_eq_u32_e64 s[8:9], 1, v11
	s_and_b64 s[8:9], s[4:5], s[8:9]
	s_xor_b64 s[8:9], s[8:9], -1
                                        ; implicit-def: $vgpr17
	s_and_saveexec_b64 s[12:13], s[8:9]
	s_xor_b64 s[8:9], exec, s[12:13]
; %bb.79:
	v_and_b32_e32 v11, 0xffff, v21
	v_cndmask_b32_e64 v17, v11, 1, s[4:5]
	v_cndmask_b32_e64 v2, v10, v2, s[4:5]
	;; [unrolled: 1-line block ×3, first 2 shown]
                                        ; implicit-def: $vgpr9_vgpr10
; %bb.80:
	s_andn2_saveexec_b64 s[8:9], s[8:9]
; %bb.81:
	v_cmp_lt_i64_e64 s[4:5], v[9:10], v[1:2]
	v_mov_b32_e32 v17, 1
	v_cndmask_b32_e64 v2, v2, v10, s[4:5]
	v_cndmask_b32_e64 v1, v1, v9, s[4:5]
; %bb.82:
	s_or_b64 exec, exec, s[8:9]
	s_or_b64 exec, exec, s[10:11]
	s_and_saveexec_b64 s[8:9], s[2:3]
	s_cbranch_execz .LBB1737_49
.LBB1737_83:
	v_and_b32_e32 v9, 1, v17
	v_cmp_eq_u32_e64 s[2:3], 1, v9
	v_and_b32_e32 v9, 1, v20
	v_cmp_eq_u32_e64 s[4:5], 1, v9
	s_and_b64 s[4:5], s[2:3], s[4:5]
	s_xor_b64 s[4:5], s[4:5], -1
                                        ; implicit-def: $vgpr17
	s_and_saveexec_b64 s[10:11], s[4:5]
	s_xor_b64 s[4:5], exec, s[10:11]
; %bb.84:
	v_and_b32_e32 v9, 0xffff, v20
	v_cndmask_b32_e64 v17, v9, 1, s[2:3]
	v_cndmask_b32_e64 v2, v8, v2, s[2:3]
	v_cndmask_b32_e64 v1, v7, v1, s[2:3]
                                        ; implicit-def: $vgpr7_vgpr8
; %bb.85:
	s_andn2_saveexec_b64 s[4:5], s[4:5]
; %bb.86:
	v_cmp_lt_i64_e64 s[2:3], v[7:8], v[1:2]
	v_mov_b32_e32 v17, 1
	v_cndmask_b32_e64 v2, v2, v8, s[2:3]
	v_cndmask_b32_e64 v1, v1, v7, s[2:3]
; %bb.87:
	s_or_b64 exec, exec, s[4:5]
	s_or_b64 exec, exec, s[8:9]
	s_and_saveexec_b64 s[4:5], s[0:1]
	s_cbranch_execz .LBB1737_50
.LBB1737_88:
	v_and_b32_e32 v7, 1, v17
	v_cmp_eq_u32_e64 s[0:1], 1, v7
	v_and_b32_e32 v7, 1, v19
	v_cmp_eq_u32_e64 s[2:3], 1, v7
	s_and_b64 s[2:3], s[0:1], s[2:3]
	s_xor_b64 s[2:3], s[2:3], -1
                                        ; implicit-def: $vgpr17
	s_and_saveexec_b64 s[8:9], s[2:3]
	s_xor_b64 s[2:3], exec, s[8:9]
; %bb.89:
	v_and_b32_e32 v7, 0xffff, v19
	v_cndmask_b32_e64 v17, v7, 1, s[0:1]
	v_cndmask_b32_e64 v2, v6, v2, s[0:1]
	;; [unrolled: 1-line block ×3, first 2 shown]
                                        ; implicit-def: $vgpr5_vgpr6
; %bb.90:
	s_andn2_saveexec_b64 s[2:3], s[2:3]
; %bb.91:
	v_cmp_lt_i64_e64 s[0:1], v[5:6], v[1:2]
	v_mov_b32_e32 v17, 1
	v_cndmask_b32_e64 v2, v2, v6, s[0:1]
	v_cndmask_b32_e64 v1, v1, v5, s[0:1]
; %bb.92:
	s_or_b64 exec, exec, s[2:3]
	s_or_b64 exec, exec, s[4:5]
	s_and_saveexec_b64 s[2:3], vcc
	s_cbranch_execz .LBB1737_98
.LBB1737_93:
	v_and_b32_e32 v5, 1, v17
	v_cmp_eq_u32_e32 vcc, 1, v5
	v_and_b32_e32 v5, 1, v18
	v_cmp_eq_u32_e64 s[0:1], 1, v5
	s_and_b64 s[0:1], vcc, s[0:1]
	s_xor_b64 s[0:1], s[0:1], -1
                                        ; implicit-def: $vgpr17
	s_and_saveexec_b64 s[4:5], s[0:1]
	s_xor_b64 s[0:1], exec, s[4:5]
; %bb.94:
	v_and_b32_e32 v5, 0xffff, v18
	v_cndmask_b32_e64 v17, v5, 1, vcc
	v_cndmask_b32_e32 v2, v4, v2, vcc
	v_cndmask_b32_e32 v1, v3, v1, vcc
                                        ; implicit-def: $vgpr3_vgpr4
; %bb.95:
	s_andn2_saveexec_b64 s[0:1], s[0:1]
; %bb.96:
	v_cmp_lt_i64_e32 vcc, v[3:4], v[1:2]
	v_mov_b32_e32 v17, 1
	v_cndmask_b32_e32 v2, v2, v4, vcc
	v_cndmask_b32_e32 v1, v1, v3, vcc
; %bb.97:
	s_or_b64 exec, exec, s[0:1]
.LBB1737_98:
	s_or_b64 exec, exec, s[2:3]
	v_mbcnt_lo_u32_b32 v3, -1, 0
	v_mbcnt_hi_u32_b32 v5, -1, v3
	v_and_b32_e32 v6, 63, v5
	v_cmp_ne_u32_e32 vcc, 63, v6
	v_addc_co_u32_e32 v3, vcc, 0, v5, vcc
	v_lshlrev_b32_e32 v4, 2, v3
	ds_bpermute_b32 v8, v4, v17
	ds_bpermute_b32 v3, v4, v1
	;; [unrolled: 1-line block ×3, first 2 shown]
	s_min_u32 s4, s37, 0x80
	v_and_b32_e32 v7, 64, v0
	v_sub_u32_e64 v7, s4, v7 clamp
	v_add_u32_e32 v9, 1, v6
	v_cmp_lt_u32_e32 vcc, v9, v7
	s_and_saveexec_b64 s[0:1], vcc
	s_xor_b64 s[0:1], exec, s[0:1]
	s_cbranch_execz .LBB1737_104
; %bb.99:
	s_waitcnt lgkmcnt(2)
	v_and_b32_e32 v9, v8, v17
	v_cmp_ne_u32_e32 vcc, 0, v9
	s_and_saveexec_b64 s[2:3], vcc
	s_xor_b64 s[2:3], exec, s[2:3]
	s_cbranch_execz .LBB1737_101
; %bb.100:
	s_waitcnt lgkmcnt(0)
	v_cmp_lt_i64_e32 vcc, v[3:4], v[1:2]
                                        ; implicit-def: $vgpr17
                                        ; implicit-def: $vgpr8
	v_cndmask_b32_e32 v2, v2, v4, vcc
	v_cndmask_b32_e32 v1, v1, v3, vcc
                                        ; implicit-def: $vgpr3_vgpr4
.LBB1737_101:
	s_or_saveexec_b64 s[2:3], s[2:3]
	v_mov_b32_e32 v9, 1
	s_xor_b64 exec, exec, s[2:3]
	s_cbranch_execz .LBB1737_103
; %bb.102:
	v_and_b32_e32 v9, 1, v17
	v_cmp_eq_u32_e32 vcc, 1, v9
	s_waitcnt lgkmcnt(1)
	v_cndmask_b32_e32 v1, v3, v1, vcc
	v_and_b32_e32 v3, 0xff, v8
	s_waitcnt lgkmcnt(0)
	v_cndmask_b32_e32 v2, v4, v2, vcc
	v_cndmask_b32_e64 v9, v3, 1, vcc
.LBB1737_103:
	s_or_b64 exec, exec, s[2:3]
	v_mov_b32_e32 v17, v9
.LBB1737_104:
	s_or_b64 exec, exec, s[0:1]
	v_cmp_gt_u32_e32 vcc, 62, v6
	s_waitcnt lgkmcnt(1)
	v_cndmask_b32_e64 v3, 0, 2, vcc
	s_waitcnt lgkmcnt(0)
	v_add_lshl_u32 v4, v3, v5, 2
	ds_bpermute_b32 v8, v4, v17
	ds_bpermute_b32 v3, v4, v1
	ds_bpermute_b32 v4, v4, v2
	v_add_u32_e32 v9, 2, v6
	v_cmp_lt_u32_e32 vcc, v9, v7
	s_and_saveexec_b64 s[0:1], vcc
	s_cbranch_execz .LBB1737_110
; %bb.105:
	s_waitcnt lgkmcnt(2)
	v_and_b32_e32 v9, v17, v8
	v_and_b32_e32 v9, 1, v9
	v_cmp_eq_u32_e32 vcc, 1, v9
	s_and_saveexec_b64 s[2:3], vcc
	s_xor_b64 s[2:3], exec, s[2:3]
	s_cbranch_execz .LBB1737_107
; %bb.106:
	s_waitcnt lgkmcnt(0)
	v_cmp_lt_i64_e32 vcc, v[3:4], v[1:2]
                                        ; implicit-def: $vgpr17
                                        ; implicit-def: $vgpr8
	v_cndmask_b32_e32 v2, v2, v4, vcc
	v_cndmask_b32_e32 v1, v1, v3, vcc
                                        ; implicit-def: $vgpr3_vgpr4
.LBB1737_107:
	s_or_saveexec_b64 s[2:3], s[2:3]
	v_mov_b32_e32 v9, 1
	s_xor_b64 exec, exec, s[2:3]
	s_cbranch_execz .LBB1737_109
; %bb.108:
	v_and_b32_e32 v9, 1, v17
	v_cmp_eq_u32_e32 vcc, 1, v9
	s_waitcnt lgkmcnt(1)
	v_cndmask_b32_e32 v1, v3, v1, vcc
	v_and_b32_e32 v3, 0xff, v8
	s_waitcnt lgkmcnt(0)
	v_cndmask_b32_e32 v2, v4, v2, vcc
	v_cndmask_b32_e64 v9, v3, 1, vcc
.LBB1737_109:
	s_or_b64 exec, exec, s[2:3]
	v_mov_b32_e32 v17, v9
.LBB1737_110:
	s_or_b64 exec, exec, s[0:1]
	v_cmp_gt_u32_e32 vcc, 60, v6
	s_waitcnt lgkmcnt(1)
	v_cndmask_b32_e64 v3, 0, 4, vcc
	s_waitcnt lgkmcnt(0)
	v_add_lshl_u32 v4, v3, v5, 2
	ds_bpermute_b32 v8, v4, v17
	ds_bpermute_b32 v3, v4, v1
	ds_bpermute_b32 v4, v4, v2
	v_add_u32_e32 v9, 4, v6
	v_cmp_lt_u32_e32 vcc, v9, v7
	s_and_saveexec_b64 s[0:1], vcc
	s_cbranch_execz .LBB1737_116
; %bb.111:
	s_waitcnt lgkmcnt(2)
	v_and_b32_e32 v9, v17, v8
	v_and_b32_e32 v9, 1, v9
	v_cmp_eq_u32_e32 vcc, 1, v9
	s_and_saveexec_b64 s[2:3], vcc
	s_xor_b64 s[2:3], exec, s[2:3]
	s_cbranch_execz .LBB1737_113
; %bb.112:
	s_waitcnt lgkmcnt(0)
	v_cmp_lt_i64_e32 vcc, v[3:4], v[1:2]
                                        ; implicit-def: $vgpr17
                                        ; implicit-def: $vgpr8
	v_cndmask_b32_e32 v2, v2, v4, vcc
	v_cndmask_b32_e32 v1, v1, v3, vcc
                                        ; implicit-def: $vgpr3_vgpr4
.LBB1737_113:
	s_or_saveexec_b64 s[2:3], s[2:3]
	v_mov_b32_e32 v9, 1
	s_xor_b64 exec, exec, s[2:3]
	s_cbranch_execz .LBB1737_115
; %bb.114:
	v_and_b32_e32 v9, 1, v17
	v_cmp_eq_u32_e32 vcc, 1, v9
	s_waitcnt lgkmcnt(1)
	v_cndmask_b32_e32 v1, v3, v1, vcc
	v_and_b32_e32 v3, 0xff, v8
	s_waitcnt lgkmcnt(0)
	v_cndmask_b32_e32 v2, v4, v2, vcc
	v_cndmask_b32_e64 v9, v3, 1, vcc
.LBB1737_115:
	s_or_b64 exec, exec, s[2:3]
	v_mov_b32_e32 v17, v9
.LBB1737_116:
	;; [unrolled: 47-line block ×4, first 2 shown]
	s_or_b64 exec, exec, s[0:1]
	s_waitcnt lgkmcnt(2)
	v_lshlrev_b32_e32 v8, 2, v5
	s_waitcnt lgkmcnt(0)
	v_or_b32_e32 v4, 0x80, v8
	ds_bpermute_b32 v9, v4, v17
	ds_bpermute_b32 v3, v4, v1
	;; [unrolled: 1-line block ×3, first 2 shown]
	v_add_u32_e32 v6, 32, v6
	v_cmp_lt_u32_e32 vcc, v6, v7
	v_mov_b32_e32 v6, v17
	s_and_saveexec_b64 s[0:1], vcc
	s_cbranch_execz .LBB1737_134
; %bb.129:
	s_waitcnt lgkmcnt(2)
	v_and_b32_e32 v6, v17, v9
	v_and_b32_e32 v6, 1, v6
	v_cmp_eq_u32_e32 vcc, 1, v6
	s_and_saveexec_b64 s[2:3], vcc
	s_xor_b64 s[2:3], exec, s[2:3]
	s_cbranch_execz .LBB1737_131
; %bb.130:
	s_waitcnt lgkmcnt(0)
	v_cmp_lt_i64_e32 vcc, v[3:4], v[1:2]
                                        ; implicit-def: $vgpr17
                                        ; implicit-def: $vgpr9
	v_cndmask_b32_e32 v2, v2, v4, vcc
	v_cndmask_b32_e32 v1, v1, v3, vcc
                                        ; implicit-def: $vgpr3_vgpr4
.LBB1737_131:
	s_or_saveexec_b64 s[2:3], s[2:3]
	v_mov_b32_e32 v6, 1
	s_xor_b64 exec, exec, s[2:3]
	s_cbranch_execz .LBB1737_133
; %bb.132:
	v_and_b32_e32 v6, 1, v17
	v_cmp_eq_u32_e32 vcc, 1, v6
	v_cndmask_b32_e64 v6, v9, 1, vcc
	s_waitcnt lgkmcnt(0)
	v_cndmask_b32_e32 v2, v4, v2, vcc
	v_cndmask_b32_e32 v1, v3, v1, vcc
.LBB1737_133:
	s_or_b64 exec, exec, s[2:3]
	v_and_b32_e32 v17, 0xff, v6
.LBB1737_134:
	s_or_b64 exec, exec, s[0:1]
	v_cmp_eq_u32_e32 vcc, 0, v5
	s_and_saveexec_b64 s[0:1], vcc
	s_cbranch_execz .LBB1737_136
; %bb.135:
	s_waitcnt lgkmcnt(1)
	v_lshrrev_b32_e32 v3, 2, v0
	v_and_b32_e32 v3, 16, v3
	ds_write_b8 v3, v6 offset:128
	ds_write_b64 v3, v[1:2] offset:136
.LBB1737_136:
	s_or_b64 exec, exec, s[0:1]
	v_cmp_gt_u32_e32 vcc, 2, v0
	s_waitcnt lgkmcnt(0)
	s_barrier
	s_and_saveexec_b64 s[0:1], vcc
	s_cbranch_execz .LBB1737_144
; %bb.137:
	v_lshlrev_b32_e32 v1, 4, v5
	ds_read_u8 v6, v1 offset:128
	ds_read_b64 v[1:2], v1 offset:136
	v_or_b32_e32 v4, 4, v8
	s_add_i32 s4, s4, 63
	v_and_b32_e32 v5, 1, v5
	s_waitcnt lgkmcnt(1)
	v_and_b32_e32 v17, 0xff, v6
	s_waitcnt lgkmcnt(0)
	ds_bpermute_b32 v3, v4, v1
	ds_bpermute_b32 v7, v4, v17
	;; [unrolled: 1-line block ×3, first 2 shown]
	s_lshr_b32 s2, s4, 6
	v_add_u32_e32 v5, 1, v5
	v_cmp_gt_u32_e32 vcc, s2, v5
	s_and_saveexec_b64 s[2:3], vcc
	s_cbranch_execz .LBB1737_143
; %bb.138:
	s_waitcnt lgkmcnt(1)
	v_and_b32_e32 v5, v17, v7
	v_and_b32_e32 v5, 1, v5
	v_cmp_eq_u32_e32 vcc, 1, v5
	s_and_saveexec_b64 s[4:5], vcc
	s_xor_b64 s[4:5], exec, s[4:5]
	s_cbranch_execz .LBB1737_140
; %bb.139:
	s_waitcnt lgkmcnt(0)
	v_cmp_lt_i64_e32 vcc, v[3:4], v[1:2]
                                        ; implicit-def: $vgpr6
                                        ; implicit-def: $vgpr7
	v_cndmask_b32_e32 v2, v2, v4, vcc
	v_cndmask_b32_e32 v1, v1, v3, vcc
                                        ; implicit-def: $vgpr3_vgpr4
.LBB1737_140:
	s_or_saveexec_b64 s[4:5], s[4:5]
	v_mov_b32_e32 v17, 1
	s_xor_b64 exec, exec, s[4:5]
	s_cbranch_execz .LBB1737_142
; %bb.141:
	v_and_b32_e32 v5, 1, v6
	v_cmp_eq_u32_e32 vcc, 1, v5
	s_waitcnt lgkmcnt(0)
	v_cndmask_b32_e32 v2, v4, v2, vcc
	v_cndmask_b32_e32 v1, v3, v1, vcc
	v_cndmask_b32_e64 v17, v7, 1, vcc
.LBB1737_142:
	s_or_b64 exec, exec, s[4:5]
.LBB1737_143:
	s_or_b64 exec, exec, s[2:3]
.LBB1737_144:
	s_or_b64 exec, exec, s[0:1]
.LBB1737_145:
	v_cmp_eq_u32_e32 vcc, 0, v0
	s_mov_b64 s[12:13], 0
                                        ; implicit-def: $vgpr3_vgpr4
                                        ; implicit-def: $vgpr5
	s_and_saveexec_b64 s[0:1], vcc
	s_xor_b64 s[4:5], exec, s[0:1]
	s_cbranch_execz .LBB1737_149
; %bb.146:
	s_waitcnt lgkmcnt(0)
	v_mov_b32_e32 v3, s24
	s_cmp_eq_u64 s[20:21], 0
	v_mov_b32_e32 v4, s25
	v_mov_b32_e32 v5, s33
	s_cbranch_scc1 .LBB1737_148
; %bb.147:
	v_and_b32_e32 v3, 1, v17
	v_cmp_gt_i64_e64 s[0:1], s[24:25], v[1:2]
	s_bitcmp1_b32 s33, 0
	v_cmp_eq_u32_e32 vcc, 1, v3
	s_cselect_b64 s[2:3], -1, 0
	v_mov_b32_e32 v3, s24
	s_and_b64 vcc, vcc, s[0:1]
	v_mov_b32_e32 v4, s25
	v_cndmask_b32_e32 v3, v3, v1, vcc
	v_cndmask_b32_e32 v4, v4, v2, vcc
	v_cndmask_b32_e64 v5, v17, 1, s[2:3]
	v_cndmask_b32_e64 v4, v2, v4, s[2:3]
	;; [unrolled: 1-line block ×3, first 2 shown]
.LBB1737_148:
	s_mov_b64 s[12:13], exec
.LBB1737_149:
	s_or_b64 exec, exec, s[4:5]
	v_mov_b32_e32 v1, s6
	v_mov_b32_e32 v2, s7
	s_and_b64 vcc, exec, s[28:29]
	s_cbranch_vccnz .LBB1737_16
.LBB1737_150:
	s_branch .LBB1737_306
.LBB1737_151:
	v_lshlrev_b32_e32 v3, 3, v0
	global_load_dwordx2 v[14:15], v3, s[14:15] offset:3072
	v_mov_b32_e32 v4, s30
	v_add_co_u32_e64 v3, s[4:5], s29, v13
	v_addc_co_u32_e64 v4, s[4:5], 0, v4, s[4:5]
	s_waitcnt vmcnt(0)
	v_cmp_eq_f64_e64 s[4:5], s[16:17], v[14:15]
	v_cndmask_b32_e64 v10, 0, 1, s[4:5]
	s_or_b64 exec, exec, s[8:9]
	s_and_saveexec_b64 s[8:9], s[2:3]
	s_cbranch_execz .LBB1737_60
.LBB1737_152:
	v_and_b32_e32 v9, 1, v9
	v_cmp_eq_u32_e64 s[2:3], 1, v9
	v_and_b32_e32 v9, 1, v12
	v_cmp_eq_u32_e64 s[4:5], 1, v9
	s_and_b64 s[4:5], s[2:3], s[4:5]
	s_xor_b64 s[4:5], s[4:5], -1
                                        ; implicit-def: $vgpr9
	s_and_saveexec_b64 s[14:15], s[4:5]
	s_xor_b64 s[4:5], exec, s[14:15]
; %bb.153:
	v_and_b32_e32 v9, 0xffff, v12
	v_cndmask_b32_e64 v9, v9, 1, s[2:3]
	v_cndmask_b32_e64 v2, v8, v2, s[2:3]
	;; [unrolled: 1-line block ×3, first 2 shown]
                                        ; implicit-def: $vgpr7_vgpr8
; %bb.154:
	s_andn2_saveexec_b64 s[4:5], s[4:5]
; %bb.155:
	v_cmp_lt_i64_e64 s[2:3], v[7:8], v[1:2]
	v_mov_b32_e32 v9, 1
	v_cndmask_b32_e64 v2, v2, v8, s[2:3]
	v_cndmask_b32_e64 v1, v1, v7, s[2:3]
; %bb.156:
	s_or_b64 exec, exec, s[4:5]
	s_or_b64 exec, exec, s[8:9]
	s_and_saveexec_b64 s[4:5], s[0:1]
	s_cbranch_execz .LBB1737_61
.LBB1737_157:
	v_and_b32_e32 v7, 1, v9
	v_cmp_eq_u32_e64 s[0:1], 1, v7
	v_and_b32_e32 v7, 1, v11
	v_cmp_eq_u32_e64 s[2:3], 1, v7
	s_and_b64 s[2:3], s[0:1], s[2:3]
	s_xor_b64 s[2:3], s[2:3], -1
                                        ; implicit-def: $vgpr9
	s_and_saveexec_b64 s[8:9], s[2:3]
	s_xor_b64 s[2:3], exec, s[8:9]
; %bb.158:
	v_and_b32_e32 v7, 0xffff, v11
	v_cndmask_b32_e64 v9, v7, 1, s[0:1]
	v_cndmask_b32_e64 v2, v6, v2, s[0:1]
	;; [unrolled: 1-line block ×3, first 2 shown]
                                        ; implicit-def: $vgpr5_vgpr6
; %bb.159:
	s_andn2_saveexec_b64 s[2:3], s[2:3]
; %bb.160:
	v_cmp_lt_i64_e64 s[0:1], v[5:6], v[1:2]
	v_mov_b32_e32 v9, 1
	v_cndmask_b32_e64 v2, v2, v6, s[0:1]
	v_cndmask_b32_e64 v1, v1, v5, s[0:1]
; %bb.161:
	s_or_b64 exec, exec, s[2:3]
	s_or_b64 exec, exec, s[4:5]
	s_and_saveexec_b64 s[2:3], vcc
	s_cbranch_execz .LBB1737_167
.LBB1737_162:
	v_and_b32_e32 v5, 1, v9
	v_cmp_eq_u32_e32 vcc, 1, v5
	v_and_b32_e32 v5, 1, v10
	v_cmp_eq_u32_e64 s[0:1], 1, v5
	s_and_b64 s[0:1], vcc, s[0:1]
	s_xor_b64 s[0:1], s[0:1], -1
                                        ; implicit-def: $vgpr9
	s_and_saveexec_b64 s[4:5], s[0:1]
	s_xor_b64 s[0:1], exec, s[4:5]
; %bb.163:
	v_and_b32_e32 v5, 0xffff, v10
	v_cndmask_b32_e64 v9, v5, 1, vcc
	v_cndmask_b32_e32 v2, v4, v2, vcc
	v_cndmask_b32_e32 v1, v3, v1, vcc
                                        ; implicit-def: $vgpr3_vgpr4
; %bb.164:
	s_andn2_saveexec_b64 s[0:1], s[0:1]
; %bb.165:
	v_cmp_lt_i64_e32 vcc, v[3:4], v[1:2]
	v_mov_b32_e32 v9, 1
	v_cndmask_b32_e32 v2, v2, v4, vcc
	v_cndmask_b32_e32 v1, v1, v3, vcc
; %bb.166:
	s_or_b64 exec, exec, s[0:1]
.LBB1737_167:
	s_or_b64 exec, exec, s[2:3]
	v_mbcnt_lo_u32_b32 v3, -1, 0
	v_mbcnt_hi_u32_b32 v5, -1, v3
	v_and_b32_e32 v6, 63, v5
	v_cmp_ne_u32_e32 vcc, 63, v6
	v_addc_co_u32_e32 v3, vcc, 0, v5, vcc
	v_lshlrev_b32_e32 v4, 2, v3
	ds_bpermute_b32 v8, v4, v9
	ds_bpermute_b32 v3, v4, v1
	;; [unrolled: 1-line block ×3, first 2 shown]
	s_min_u32 s4, s10, 0x80
	v_and_b32_e32 v7, 64, v0
	v_sub_u32_e64 v7, s4, v7 clamp
	v_add_u32_e32 v10, 1, v6
	v_cmp_lt_u32_e32 vcc, v10, v7
	s_and_saveexec_b64 s[0:1], vcc
	s_xor_b64 s[0:1], exec, s[0:1]
	s_cbranch_execz .LBB1737_173
; %bb.168:
	s_waitcnt lgkmcnt(2)
	v_and_b32_e32 v10, v8, v9
	v_cmp_ne_u32_e32 vcc, 0, v10
	s_and_saveexec_b64 s[2:3], vcc
	s_xor_b64 s[2:3], exec, s[2:3]
	s_cbranch_execz .LBB1737_170
; %bb.169:
	s_waitcnt lgkmcnt(0)
	v_cmp_lt_i64_e32 vcc, v[3:4], v[1:2]
                                        ; implicit-def: $vgpr9
                                        ; implicit-def: $vgpr8
	v_cndmask_b32_e32 v2, v2, v4, vcc
	v_cndmask_b32_e32 v1, v1, v3, vcc
                                        ; implicit-def: $vgpr3_vgpr4
.LBB1737_170:
	s_or_saveexec_b64 s[2:3], s[2:3]
	v_mov_b32_e32 v10, 1
	s_xor_b64 exec, exec, s[2:3]
	s_cbranch_execz .LBB1737_172
; %bb.171:
	v_and_b32_e32 v9, 1, v9
	v_cmp_eq_u32_e32 vcc, 1, v9
	s_waitcnt lgkmcnt(1)
	v_cndmask_b32_e32 v1, v3, v1, vcc
	v_and_b32_e32 v3, 0xff, v8
	s_waitcnt lgkmcnt(0)
	v_cndmask_b32_e32 v2, v4, v2, vcc
	v_cndmask_b32_e64 v10, v3, 1, vcc
.LBB1737_172:
	s_or_b64 exec, exec, s[2:3]
	v_mov_b32_e32 v9, v10
.LBB1737_173:
	s_or_b64 exec, exec, s[0:1]
	v_cmp_gt_u32_e32 vcc, 62, v6
	s_waitcnt lgkmcnt(1)
	v_cndmask_b32_e64 v3, 0, 2, vcc
	s_waitcnt lgkmcnt(0)
	v_add_lshl_u32 v4, v3, v5, 2
	ds_bpermute_b32 v8, v4, v9
	ds_bpermute_b32 v3, v4, v1
	ds_bpermute_b32 v4, v4, v2
	v_add_u32_e32 v10, 2, v6
	v_cmp_lt_u32_e32 vcc, v10, v7
	s_and_saveexec_b64 s[0:1], vcc
	s_cbranch_execz .LBB1737_179
; %bb.174:
	s_waitcnt lgkmcnt(2)
	v_and_b32_e32 v10, v9, v8
	v_and_b32_e32 v10, 1, v10
	v_cmp_eq_u32_e32 vcc, 1, v10
	s_and_saveexec_b64 s[2:3], vcc
	s_xor_b64 s[2:3], exec, s[2:3]
	s_cbranch_execz .LBB1737_176
; %bb.175:
	s_waitcnt lgkmcnt(0)
	v_cmp_lt_i64_e32 vcc, v[3:4], v[1:2]
                                        ; implicit-def: $vgpr9
                                        ; implicit-def: $vgpr8
	v_cndmask_b32_e32 v2, v2, v4, vcc
	v_cndmask_b32_e32 v1, v1, v3, vcc
                                        ; implicit-def: $vgpr3_vgpr4
.LBB1737_176:
	s_or_saveexec_b64 s[2:3], s[2:3]
	v_mov_b32_e32 v10, 1
	s_xor_b64 exec, exec, s[2:3]
	s_cbranch_execz .LBB1737_178
; %bb.177:
	v_and_b32_e32 v9, 1, v9
	v_cmp_eq_u32_e32 vcc, 1, v9
	s_waitcnt lgkmcnt(1)
	v_cndmask_b32_e32 v1, v3, v1, vcc
	v_and_b32_e32 v3, 0xff, v8
	s_waitcnt lgkmcnt(0)
	v_cndmask_b32_e32 v2, v4, v2, vcc
	v_cndmask_b32_e64 v10, v3, 1, vcc
.LBB1737_178:
	s_or_b64 exec, exec, s[2:3]
	v_mov_b32_e32 v9, v10
.LBB1737_179:
	s_or_b64 exec, exec, s[0:1]
	v_cmp_gt_u32_e32 vcc, 60, v6
	s_waitcnt lgkmcnt(1)
	v_cndmask_b32_e64 v3, 0, 4, vcc
	s_waitcnt lgkmcnt(0)
	v_add_lshl_u32 v4, v3, v5, 2
	ds_bpermute_b32 v8, v4, v9
	ds_bpermute_b32 v3, v4, v1
	ds_bpermute_b32 v4, v4, v2
	v_add_u32_e32 v10, 4, v6
	v_cmp_lt_u32_e32 vcc, v10, v7
	s_and_saveexec_b64 s[0:1], vcc
	s_cbranch_execz .LBB1737_185
; %bb.180:
	s_waitcnt lgkmcnt(2)
	v_and_b32_e32 v10, v9, v8
	v_and_b32_e32 v10, 1, v10
	v_cmp_eq_u32_e32 vcc, 1, v10
	s_and_saveexec_b64 s[2:3], vcc
	s_xor_b64 s[2:3], exec, s[2:3]
	s_cbranch_execz .LBB1737_182
; %bb.181:
	s_waitcnt lgkmcnt(0)
	v_cmp_lt_i64_e32 vcc, v[3:4], v[1:2]
                                        ; implicit-def: $vgpr9
                                        ; implicit-def: $vgpr8
	v_cndmask_b32_e32 v2, v2, v4, vcc
	v_cndmask_b32_e32 v1, v1, v3, vcc
                                        ; implicit-def: $vgpr3_vgpr4
.LBB1737_182:
	s_or_saveexec_b64 s[2:3], s[2:3]
	v_mov_b32_e32 v10, 1
	s_xor_b64 exec, exec, s[2:3]
	s_cbranch_execz .LBB1737_184
; %bb.183:
	v_and_b32_e32 v9, 1, v9
	v_cmp_eq_u32_e32 vcc, 1, v9
	s_waitcnt lgkmcnt(1)
	v_cndmask_b32_e32 v1, v3, v1, vcc
	v_and_b32_e32 v3, 0xff, v8
	s_waitcnt lgkmcnt(0)
	v_cndmask_b32_e32 v2, v4, v2, vcc
	v_cndmask_b32_e64 v10, v3, 1, vcc
.LBB1737_184:
	s_or_b64 exec, exec, s[2:3]
	v_mov_b32_e32 v9, v10
.LBB1737_185:
	;; [unrolled: 47-line block ×4, first 2 shown]
	s_or_b64 exec, exec, s[0:1]
	s_waitcnt lgkmcnt(2)
	v_lshlrev_b32_e32 v8, 2, v5
	s_waitcnt lgkmcnt(0)
	v_or_b32_e32 v4, 0x80, v8
	ds_bpermute_b32 v10, v4, v9
	ds_bpermute_b32 v3, v4, v1
	;; [unrolled: 1-line block ×3, first 2 shown]
	v_add_u32_e32 v6, 32, v6
	v_cmp_lt_u32_e32 vcc, v6, v7
	v_mov_b32_e32 v6, v9
	s_and_saveexec_b64 s[0:1], vcc
	s_cbranch_execz .LBB1737_203
; %bb.198:
	s_waitcnt lgkmcnt(2)
	v_and_b32_e32 v6, v9, v10
	v_and_b32_e32 v6, 1, v6
	v_cmp_eq_u32_e32 vcc, 1, v6
	s_and_saveexec_b64 s[2:3], vcc
	s_xor_b64 s[2:3], exec, s[2:3]
	s_cbranch_execz .LBB1737_200
; %bb.199:
	s_waitcnt lgkmcnt(0)
	v_cmp_lt_i64_e32 vcc, v[3:4], v[1:2]
                                        ; implicit-def: $vgpr9
                                        ; implicit-def: $vgpr10
	v_cndmask_b32_e32 v2, v2, v4, vcc
	v_cndmask_b32_e32 v1, v1, v3, vcc
                                        ; implicit-def: $vgpr3_vgpr4
.LBB1737_200:
	s_or_saveexec_b64 s[2:3], s[2:3]
	v_mov_b32_e32 v6, 1
	s_xor_b64 exec, exec, s[2:3]
	s_cbranch_execz .LBB1737_202
; %bb.201:
	v_and_b32_e32 v6, 1, v9
	v_cmp_eq_u32_e32 vcc, 1, v6
	v_cndmask_b32_e64 v6, v10, 1, vcc
	s_waitcnt lgkmcnt(0)
	v_cndmask_b32_e32 v2, v4, v2, vcc
	v_cndmask_b32_e32 v1, v3, v1, vcc
.LBB1737_202:
	s_or_b64 exec, exec, s[2:3]
	v_and_b32_e32 v9, 0xff, v6
.LBB1737_203:
	s_or_b64 exec, exec, s[0:1]
	v_cmp_eq_u32_e32 vcc, 0, v5
	s_and_saveexec_b64 s[0:1], vcc
	s_cbranch_execz .LBB1737_205
; %bb.204:
	s_waitcnt lgkmcnt(1)
	v_lshrrev_b32_e32 v3, 2, v0
	v_and_b32_e32 v3, 16, v3
	ds_write_b8 v3, v6 offset:128
	ds_write_b64 v3, v[1:2] offset:136
.LBB1737_205:
	s_or_b64 exec, exec, s[0:1]
	v_cmp_gt_u32_e32 vcc, 2, v0
	s_waitcnt lgkmcnt(0)
	s_barrier
	s_and_saveexec_b64 s[0:1], vcc
	s_cbranch_execz .LBB1737_213
; %bb.206:
	v_lshlrev_b32_e32 v1, 4, v5
	ds_read_u8 v6, v1 offset:128
	ds_read_b64 v[1:2], v1 offset:136
	v_or_b32_e32 v4, 4, v8
	s_add_i32 s4, s4, 63
	v_and_b32_e32 v5, 1, v5
	s_waitcnt lgkmcnt(1)
	v_and_b32_e32 v9, 0xff, v6
	s_waitcnt lgkmcnt(0)
	ds_bpermute_b32 v3, v4, v1
	ds_bpermute_b32 v7, v4, v9
	;; [unrolled: 1-line block ×3, first 2 shown]
	s_lshr_b32 s2, s4, 6
	v_add_u32_e32 v5, 1, v5
	v_cmp_gt_u32_e32 vcc, s2, v5
	s_and_saveexec_b64 s[2:3], vcc
	s_cbranch_execz .LBB1737_212
; %bb.207:
	s_waitcnt lgkmcnt(1)
	v_and_b32_e32 v5, v9, v7
	v_and_b32_e32 v5, 1, v5
	v_cmp_eq_u32_e32 vcc, 1, v5
	s_and_saveexec_b64 s[4:5], vcc
	s_xor_b64 s[4:5], exec, s[4:5]
	s_cbranch_execz .LBB1737_209
; %bb.208:
	s_waitcnt lgkmcnt(0)
	v_cmp_lt_i64_e32 vcc, v[3:4], v[1:2]
                                        ; implicit-def: $vgpr6
                                        ; implicit-def: $vgpr7
	v_cndmask_b32_e32 v2, v2, v4, vcc
	v_cndmask_b32_e32 v1, v1, v3, vcc
                                        ; implicit-def: $vgpr3_vgpr4
.LBB1737_209:
	s_or_saveexec_b64 s[4:5], s[4:5]
	v_mov_b32_e32 v9, 1
	s_xor_b64 exec, exec, s[4:5]
	s_cbranch_execz .LBB1737_211
; %bb.210:
	v_and_b32_e32 v5, 1, v6
	v_cmp_eq_u32_e32 vcc, 1, v5
	s_waitcnt lgkmcnt(0)
	v_cndmask_b32_e32 v2, v4, v2, vcc
	v_cndmask_b32_e32 v1, v3, v1, vcc
	v_cndmask_b32_e64 v9, v7, 1, vcc
.LBB1737_211:
	s_or_b64 exec, exec, s[4:5]
.LBB1737_212:
	s_or_b64 exec, exec, s[2:3]
.LBB1737_213:
	s_or_b64 exec, exec, s[0:1]
.LBB1737_214:
	v_cmp_eq_u32_e32 vcc, 0, v0
                                        ; implicit-def: $vgpr3_vgpr4
                                        ; implicit-def: $vgpr5
	s_and_saveexec_b64 s[0:1], vcc
	s_xor_b64 s[4:5], exec, s[0:1]
	s_cbranch_execz .LBB1737_218
; %bb.215:
	s_waitcnt lgkmcnt(0)
	v_mov_b32_e32 v3, s24
	s_cmp_eq_u64 s[20:21], 0
	v_mov_b32_e32 v4, s25
	v_mov_b32_e32 v5, s33
	s_cbranch_scc1 .LBB1737_217
; %bb.216:
	v_and_b32_e32 v3, 1, v9
	v_cmp_gt_i64_e64 s[0:1], s[24:25], v[1:2]
	s_bitcmp1_b32 s33, 0
	v_cmp_eq_u32_e32 vcc, 1, v3
	s_cselect_b64 s[2:3], -1, 0
	v_mov_b32_e32 v3, s24
	s_and_b64 vcc, vcc, s[0:1]
	v_mov_b32_e32 v4, s25
	v_cndmask_b32_e32 v3, v3, v1, vcc
	v_cndmask_b32_e32 v4, v4, v2, vcc
	v_cndmask_b32_e64 v5, v9, 1, s[2:3]
	v_cndmask_b32_e64 v4, v2, v4, s[2:3]
	;; [unrolled: 1-line block ×3, first 2 shown]
.LBB1737_217:
	s_or_b64 s[12:13], s[12:13], exec
.LBB1737_218:
	s_or_b64 exec, exec, s[4:5]
	v_mov_b32_e32 v1, s6
	v_mov_b32_e32 v2, s7
	s_branch .LBB1737_306
.LBB1737_219:
	s_cmp_gt_i32 s36, 1
	s_cbranch_scc0 .LBB1737_231
; %bb.220:
	s_cmp_eq_u32 s36, 2
	s_cbranch_scc0 .LBB1737_232
; %bb.221:
	s_mov_b32 s7, 0
	s_lshl_b32 s28, s6, 8
	s_mov_b32 s29, s7
	s_lshr_b64 s[0:1], s[20:21], 8
	s_lshl_b64 s[2:3], s[28:29], 3
	s_add_u32 s14, s26, s2
	s_addc_u32 s15, s27, s3
	s_add_u32 s29, s18, s28
	s_addc_u32 s30, s19, 0
	s_cmp_lg_u64 s[0:1], s[6:7]
	s_cbranch_scc0 .LBB1737_233
; %bb.222:
	s_waitcnt lgkmcnt(1)
	v_lshlrev_b32_e32 v5, 3, v0
	global_load_dwordx2 v[1:2], v5, s[14:15]
	s_waitcnt lgkmcnt(0)
	global_load_dwordx2 v[3:4], v5, s[14:15] offset:1024
	v_mov_b32_e32 v5, s30
	v_add_co_u32_e32 v6, vcc, s29, v0
	v_addc_co_u32_e32 v7, vcc, 0, v5, vcc
	v_add_co_u32_e32 v8, vcc, 0x80, v6
	v_addc_co_u32_e32 v9, vcc, 0, v7, vcc
	s_waitcnt vmcnt(1)
	v_cmp_eq_f64_e32 vcc, s[16:17], v[1:2]
	s_waitcnt vmcnt(0)
	v_cmp_eq_f64_e64 s[0:1], s[16:17], v[3:4]
	v_mbcnt_lo_u32_b32 v1, -1, 0
	v_mbcnt_hi_u32_b32 v3, -1, v1
	v_lshlrev_b32_e32 v5, 2, v3
	v_or_b32_e32 v4, 0xfc, v5
	v_cndmask_b32_e32 v2, v9, v7, vcc
	v_cndmask_b32_e32 v1, v8, v6, vcc
	s_nop 0
	v_mov_b32_dpp v7, v2 quad_perm:[1,0,3,2] row_mask:0xf bank_mask:0xf bound_ctrl:1
	s_or_b64 s[0:1], vcc, s[0:1]
	v_mov_b32_dpp v6, v1 quad_perm:[1,0,3,2] row_mask:0xf bank_mask:0xf bound_ctrl:1
	v_cndmask_b32_e64 v8, 0, 1, s[0:1]
	v_cmp_lt_i64_e32 vcc, v[1:2], v[6:7]
	s_and_b64 vcc, s[0:1], vcc
	v_mov_b32_dpp v9, v8 quad_perm:[1,0,3,2] row_mask:0xf bank_mask:0xf bound_ctrl:1
	v_and_b32_e32 v9, 1, v9
	v_cndmask_b32_e32 v6, v6, v1, vcc
	v_cndmask_b32_e32 v7, v7, v2, vcc
	v_cmp_eq_u32_e32 vcc, 1, v9
	v_cndmask_b32_e32 v2, v2, v7, vcc
	v_cndmask_b32_e32 v1, v1, v6, vcc
	v_cndmask_b32_e64 v8, v8, 1, vcc
	v_mov_b32_dpp v7, v2 quad_perm:[2,3,0,1] row_mask:0xf bank_mask:0xf bound_ctrl:1
	v_mov_b32_dpp v6, v1 quad_perm:[2,3,0,1] row_mask:0xf bank_mask:0xf bound_ctrl:1
	v_and_b32_e32 v10, 1, v8
	v_cmp_lt_i64_e64 s[0:1], v[1:2], v[6:7]
	v_mov_b32_dpp v9, v8 quad_perm:[2,3,0,1] row_mask:0xf bank_mask:0xf bound_ctrl:1
	v_cmp_eq_u32_e32 vcc, 1, v10
	v_and_b32_e32 v9, 1, v9
	s_and_b64 vcc, vcc, s[0:1]
	v_cmp_eq_u32_e64 s[2:3], 1, v9
	v_cndmask_b32_e32 v6, v6, v1, vcc
	v_cndmask_b32_e32 v7, v7, v2, vcc
	v_cndmask_b32_e64 v1, v1, v6, s[2:3]
	v_cndmask_b32_e64 v2, v2, v7, s[2:3]
	v_cndmask_b32_e64 v8, v8, 1, s[2:3]
	v_mov_b32_dpp v6, v1 row_ror:4 row_mask:0xf bank_mask:0xf bound_ctrl:1
	v_mov_b32_dpp v7, v2 row_ror:4 row_mask:0xf bank_mask:0xf bound_ctrl:1
	v_and_b32_e32 v10, 1, v8
	v_cmp_lt_i64_e64 s[2:3], v[1:2], v[6:7]
	v_mov_b32_dpp v9, v8 row_ror:4 row_mask:0xf bank_mask:0xf bound_ctrl:1
	v_cmp_eq_u32_e32 vcc, 1, v10
	v_and_b32_e32 v9, 1, v9
	s_and_b64 vcc, vcc, s[2:3]
	v_cmp_eq_u32_e64 s[0:1], 1, v9
	v_cndmask_b32_e32 v6, v6, v1, vcc
	v_cndmask_b32_e32 v7, v7, v2, vcc
	v_cndmask_b32_e64 v1, v1, v6, s[0:1]
	v_cndmask_b32_e64 v2, v2, v7, s[0:1]
	;; [unrolled: 1-line block ×3, first 2 shown]
	v_mov_b32_dpp v6, v1 row_ror:8 row_mask:0xf bank_mask:0xf bound_ctrl:1
	v_mov_b32_dpp v7, v2 row_ror:8 row_mask:0xf bank_mask:0xf bound_ctrl:1
	;; [unrolled: 1-line block ×3, first 2 shown]
	v_and_b32_e32 v10, 1, v8
	v_cmp_lt_i64_e64 s[2:3], v[1:2], v[6:7]
	v_and_b32_e32 v9, 1, v9
	v_cmp_eq_u32_e64 s[4:5], 1, v10
	v_cmp_eq_u32_e64 s[8:9], 1, v9
	s_and_b64 s[2:3], s[4:5], s[2:3]
	v_cndmask_b32_e64 v8, v8, 1, s[8:9]
	v_cndmask_b32_e64 v6, v6, v1, s[2:3]
	;; [unrolled: 1-line block ×3, first 2 shown]
	v_mov_b32_dpp v9, v8 row_bcast:15 row_mask:0xf bank_mask:0xf bound_ctrl:1
	v_cndmask_b32_e64 v1, v1, v6, s[8:9]
	v_cndmask_b32_e64 v2, v2, v7, s[8:9]
	v_and_b32_e32 v9, 1, v9
	v_mov_b32_dpp v6, v1 row_bcast:15 row_mask:0xf bank_mask:0xf bound_ctrl:1
	v_mov_b32_dpp v7, v2 row_bcast:15 row_mask:0xf bank_mask:0xf bound_ctrl:1
	v_and_b32_e32 v10, 1, v8
	v_cmp_eq_u32_e64 s[0:1], 1, v9
	v_cmp_lt_i64_e64 s[2:3], v[1:2], v[6:7]
	v_cmp_eq_u32_e32 vcc, 1, v10
	v_cndmask_b32_e64 v8, v8, 1, s[0:1]
	s_and_b64 vcc, vcc, s[2:3]
	v_cndmask_b32_e32 v6, v6, v1, vcc
	v_mov_b32_dpp v9, v8 row_bcast:31 row_mask:0xf bank_mask:0xf bound_ctrl:1
	v_and_b32_e32 v9, 1, v9
	v_cndmask_b32_e32 v7, v7, v2, vcc
	v_and_b32_e32 v10, 1, v8
	v_cmp_eq_u32_e64 s[4:5], 1, v9
	v_cndmask_b32_e64 v1, v1, v6, s[0:1]
	v_cndmask_b32_e64 v2, v2, v7, s[0:1]
	v_cmp_eq_u32_e64 s[10:11], 1, v10
	v_cndmask_b32_e64 v10, v8, 1, s[4:5]
	v_mov_b32_dpp v8, v1 row_bcast:31 row_mask:0xf bank_mask:0xf bound_ctrl:1
	v_mov_b32_dpp v9, v2 row_bcast:31 row_mask:0xf bank_mask:0xf bound_ctrl:1
	v_cmp_lt_i64_e32 vcc, v[1:2], v[8:9]
	ds_bpermute_b32 v7, v4, v10
	s_and_b64 vcc, s[10:11], vcc
	v_cndmask_b32_e32 v6, v8, v1, vcc
	v_cndmask_b32_e32 v8, v9, v2, vcc
	v_cndmask_b32_e64 v1, v1, v6, s[4:5]
	v_cndmask_b32_e64 v2, v2, v8, s[4:5]
	ds_bpermute_b32 v1, v4, v1
	ds_bpermute_b32 v2, v4, v2
	v_cmp_eq_u32_e32 vcc, 0, v3
	s_and_saveexec_b64 s[0:1], vcc
	s_cbranch_execz .LBB1737_224
; %bb.223:
	v_lshrrev_b32_e32 v4, 2, v0
	v_and_b32_e32 v4, 16, v4
	s_waitcnt lgkmcnt(2)
	ds_write_b8 v4, v7 offset:32
	s_waitcnt lgkmcnt(1)
	ds_write_b64 v4, v[1:2] offset:40
.LBB1737_224:
	s_or_b64 exec, exec, s[0:1]
	v_cmp_gt_u32_e32 vcc, 64, v0
	s_waitcnt lgkmcnt(0)
	s_barrier
	s_and_saveexec_b64 s[0:1], vcc
	s_cbranch_execz .LBB1737_230
; %bb.225:
	v_and_b32_e32 v1, 1, v3
	v_lshlrev_b32_e32 v1, 4, v1
	ds_read_u8 v8, v1 offset:32
	ds_read_b64 v[3:4], v1 offset:40
	v_or_b32_e32 v2, 4, v5
	s_waitcnt lgkmcnt(1)
	v_and_b32_e32 v1, 0xff, v8
	ds_bpermute_b32 v9, v2, v1
	s_waitcnt lgkmcnt(1)
	ds_bpermute_b32 v5, v2, v3
	ds_bpermute_b32 v6, v2, v4
	s_waitcnt lgkmcnt(2)
	v_and_b32_e32 v1, v8, v9
	v_and_b32_e32 v1, 1, v1
	v_cmp_eq_u32_e32 vcc, 1, v1
                                        ; implicit-def: $vgpr1_vgpr2
	s_and_saveexec_b64 s[2:3], vcc
	s_xor_b64 s[2:3], exec, s[2:3]
	s_cbranch_execz .LBB1737_227
; %bb.226:
	s_waitcnt lgkmcnt(0)
	v_cmp_lt_i64_e32 vcc, v[5:6], v[3:4]
                                        ; implicit-def: $vgpr8
                                        ; implicit-def: $vgpr9
	v_cndmask_b32_e32 v2, v4, v6, vcc
	v_cndmask_b32_e32 v1, v3, v5, vcc
                                        ; implicit-def: $vgpr5_vgpr6
                                        ; implicit-def: $vgpr3_vgpr4
.LBB1737_227:
	s_or_saveexec_b64 s[2:3], s[2:3]
	v_mov_b32_e32 v7, 1
	s_xor_b64 exec, exec, s[2:3]
	s_cbranch_execz .LBB1737_229
; %bb.228:
	v_and_b32_e32 v1, 1, v8
	v_cmp_eq_u32_e32 vcc, 1, v1
	s_waitcnt lgkmcnt(0)
	v_cndmask_b32_e32 v2, v6, v4, vcc
	v_cndmask_b32_e32 v1, v5, v3, vcc
	v_cndmask_b32_e64 v7, v9, 1, vcc
.LBB1737_229:
	s_or_b64 exec, exec, s[2:3]
.LBB1737_230:
	s_or_b64 exec, exec, s[0:1]
	s_branch .LBB1737_285
.LBB1737_231:
                                        ; implicit-def: $vgpr3_vgpr4
                                        ; implicit-def: $vgpr5
                                        ; implicit-def: $vgpr1_vgpr2
	s_cbranch_execnz .LBB1737_290
	s_branch .LBB1737_306
.LBB1737_232:
                                        ; implicit-def: $vgpr3_vgpr4
                                        ; implicit-def: $vgpr5
                                        ; implicit-def: $vgpr1_vgpr2
	s_branch .LBB1737_306
.LBB1737_233:
                                        ; implicit-def: $vgpr1_vgpr2
                                        ; implicit-def: $vgpr7
	s_cbranch_execz .LBB1737_285
; %bb.234:
	s_sub_i32 s8, s20, s28
	s_waitcnt lgkmcnt(0)
	v_mov_b32_e32 v3, 0
	v_mov_b32_e32 v1, 0
	v_cmp_gt_u32_e32 vcc, s8, v0
	v_mov_b32_e32 v5, 0
	v_mov_b32_e32 v4, 0
	;; [unrolled: 1-line block ×4, first 2 shown]
	s_and_saveexec_b64 s[0:1], vcc
	s_cbranch_execz .LBB1737_236
; %bb.235:
	v_lshlrev_b32_e32 v1, 3, v0
	global_load_dwordx2 v[6:7], v1, s[14:15]
	v_mov_b32_e32 v2, s30
	v_add_co_u32_e32 v1, vcc, s29, v0
	v_addc_co_u32_e32 v2, vcc, 0, v2, vcc
	s_waitcnt vmcnt(0)
	v_cmp_eq_f64_e32 vcc, s[16:17], v[6:7]
	v_cndmask_b32_e64 v6, 0, 1, vcc
.LBB1737_236:
	s_or_b64 exec, exec, s[0:1]
	v_or_b32_e32 v7, 0x80, v0
	v_cmp_gt_u32_e32 vcc, s8, v7
	s_and_saveexec_b64 s[2:3], vcc
	s_cbranch_execz .LBB1737_238
; %bb.237:
	v_lshlrev_b32_e32 v3, 3, v0
	global_load_dwordx2 v[8:9], v3, s[14:15] offset:1024
	v_mov_b32_e32 v4, s30
	v_add_co_u32_e64 v3, s[0:1], s29, v7
	v_addc_co_u32_e64 v4, s[0:1], 0, v4, s[0:1]
	s_waitcnt vmcnt(0)
	v_cmp_eq_f64_e64 s[0:1], s[16:17], v[8:9]
	v_cndmask_b32_e64 v5, 0, 1, s[0:1]
.LBB1737_238:
	s_or_b64 exec, exec, s[2:3]
	v_and_b32_e32 v8, 0xffff, v5
	v_and_b32_e32 v5, 1, v5
	v_cmp_lt_i64_e64 s[2:3], v[3:4], v[1:2]
	v_cmp_eq_u32_e64 s[0:1], 1, v5
	v_and_b32_e32 v5, 1, v6
	v_cmp_eq_u32_e64 s[4:5], 1, v5
	s_and_b64 s[0:1], s[0:1], s[2:3]
	v_cndmask_b32_e64 v5, v8, 1, s[4:5]
	v_cndmask_b32_e64 v8, v1, v3, s[0:1]
	;; [unrolled: 1-line block ×3, first 2 shown]
	v_and_b32_e32 v7, 0xffff, v6
	v_cndmask_b32_e32 v1, v1, v3, vcc
	v_mbcnt_lo_u32_b32 v3, -1, 0
	v_cndmask_b32_e64 v6, v2, v4, s[0:1]
	v_cndmask_b32_e32 v7, v7, v5, vcc
	v_mbcnt_hi_u32_b32 v5, -1, v3
	v_cndmask_b32_e64 v4, v4, v6, s[4:5]
	v_and_b32_e32 v6, 63, v5
	v_cndmask_b32_e32 v2, v2, v4, vcc
	v_cmp_ne_u32_e32 vcc, 63, v6
	v_addc_co_u32_e32 v3, vcc, 0, v5, vcc
	v_lshlrev_b32_e32 v4, 2, v3
	ds_bpermute_b32 v9, v4, v7
	ds_bpermute_b32 v3, v4, v1
	;; [unrolled: 1-line block ×3, first 2 shown]
	s_min_u32 s4, s8, 0x80
	v_and_b32_e32 v8, 64, v0
	v_sub_u32_e64 v8, s4, v8 clamp
	v_add_u32_e32 v10, 1, v6
	v_cmp_lt_u32_e32 vcc, v10, v8
	s_and_saveexec_b64 s[0:1], vcc
	s_cbranch_execz .LBB1737_244
; %bb.239:
	s_waitcnt lgkmcnt(2)
	v_and_b32_e32 v10, v9, v7
	v_cmp_ne_u32_e32 vcc, 0, v10
	s_and_saveexec_b64 s[2:3], vcc
	s_xor_b64 s[2:3], exec, s[2:3]
	s_cbranch_execz .LBB1737_241
; %bb.240:
	s_waitcnt lgkmcnt(0)
	v_cmp_lt_i64_e32 vcc, v[3:4], v[1:2]
                                        ; implicit-def: $vgpr7
                                        ; implicit-def: $vgpr9
	v_cndmask_b32_e32 v2, v2, v4, vcc
	v_cndmask_b32_e32 v1, v1, v3, vcc
                                        ; implicit-def: $vgpr3_vgpr4
.LBB1737_241:
	s_or_saveexec_b64 s[2:3], s[2:3]
	v_mov_b32_e32 v10, 1
	s_xor_b64 exec, exec, s[2:3]
	s_cbranch_execz .LBB1737_243
; %bb.242:
	v_and_b32_e32 v7, 1, v7
	v_cmp_eq_u32_e32 vcc, 1, v7
	s_waitcnt lgkmcnt(1)
	v_cndmask_b32_e32 v1, v3, v1, vcc
	v_and_b32_e32 v3, 0xff, v9
	s_waitcnt lgkmcnt(0)
	v_cndmask_b32_e32 v2, v4, v2, vcc
	v_cndmask_b32_e64 v10, v3, 1, vcc
.LBB1737_243:
	s_or_b64 exec, exec, s[2:3]
	v_mov_b32_e32 v7, v10
.LBB1737_244:
	s_or_b64 exec, exec, s[0:1]
	v_cmp_gt_u32_e32 vcc, 62, v6
	s_waitcnt lgkmcnt(1)
	v_cndmask_b32_e64 v3, 0, 2, vcc
	s_waitcnt lgkmcnt(0)
	v_add_lshl_u32 v4, v3, v5, 2
	ds_bpermute_b32 v9, v4, v7
	ds_bpermute_b32 v3, v4, v1
	ds_bpermute_b32 v4, v4, v2
	v_add_u32_e32 v10, 2, v6
	v_cmp_lt_u32_e32 vcc, v10, v8
	s_and_saveexec_b64 s[0:1], vcc
	s_cbranch_execz .LBB1737_250
; %bb.245:
	s_waitcnt lgkmcnt(2)
	v_and_b32_e32 v10, v7, v9
	v_and_b32_e32 v10, 1, v10
	v_cmp_eq_u32_e32 vcc, 1, v10
	s_and_saveexec_b64 s[2:3], vcc
	s_xor_b64 s[2:3], exec, s[2:3]
	s_cbranch_execz .LBB1737_247
; %bb.246:
	s_waitcnt lgkmcnt(0)
	v_cmp_lt_i64_e32 vcc, v[3:4], v[1:2]
                                        ; implicit-def: $vgpr7
                                        ; implicit-def: $vgpr9
	v_cndmask_b32_e32 v2, v2, v4, vcc
	v_cndmask_b32_e32 v1, v1, v3, vcc
                                        ; implicit-def: $vgpr3_vgpr4
.LBB1737_247:
	s_or_saveexec_b64 s[2:3], s[2:3]
	v_mov_b32_e32 v10, 1
	s_xor_b64 exec, exec, s[2:3]
	s_cbranch_execz .LBB1737_249
; %bb.248:
	v_and_b32_e32 v7, 1, v7
	v_cmp_eq_u32_e32 vcc, 1, v7
	s_waitcnt lgkmcnt(1)
	v_cndmask_b32_e32 v1, v3, v1, vcc
	v_and_b32_e32 v3, 0xff, v9
	s_waitcnt lgkmcnt(0)
	v_cndmask_b32_e32 v2, v4, v2, vcc
	v_cndmask_b32_e64 v10, v3, 1, vcc
.LBB1737_249:
	s_or_b64 exec, exec, s[2:3]
	v_mov_b32_e32 v7, v10
.LBB1737_250:
	s_or_b64 exec, exec, s[0:1]
	v_cmp_gt_u32_e32 vcc, 60, v6
	s_waitcnt lgkmcnt(1)
	v_cndmask_b32_e64 v3, 0, 4, vcc
	s_waitcnt lgkmcnt(0)
	v_add_lshl_u32 v4, v3, v5, 2
	ds_bpermute_b32 v9, v4, v7
	ds_bpermute_b32 v3, v4, v1
	ds_bpermute_b32 v4, v4, v2
	v_add_u32_e32 v10, 4, v6
	v_cmp_lt_u32_e32 vcc, v10, v8
	s_and_saveexec_b64 s[0:1], vcc
	s_cbranch_execz .LBB1737_256
; %bb.251:
	s_waitcnt lgkmcnt(2)
	v_and_b32_e32 v10, v7, v9
	v_and_b32_e32 v10, 1, v10
	v_cmp_eq_u32_e32 vcc, 1, v10
	s_and_saveexec_b64 s[2:3], vcc
	s_xor_b64 s[2:3], exec, s[2:3]
	s_cbranch_execz .LBB1737_253
; %bb.252:
	s_waitcnt lgkmcnt(0)
	v_cmp_lt_i64_e32 vcc, v[3:4], v[1:2]
                                        ; implicit-def: $vgpr7
                                        ; implicit-def: $vgpr9
	v_cndmask_b32_e32 v2, v2, v4, vcc
	v_cndmask_b32_e32 v1, v1, v3, vcc
                                        ; implicit-def: $vgpr3_vgpr4
.LBB1737_253:
	s_or_saveexec_b64 s[2:3], s[2:3]
	v_mov_b32_e32 v10, 1
	s_xor_b64 exec, exec, s[2:3]
	s_cbranch_execz .LBB1737_255
; %bb.254:
	v_and_b32_e32 v7, 1, v7
	v_cmp_eq_u32_e32 vcc, 1, v7
	s_waitcnt lgkmcnt(1)
	v_cndmask_b32_e32 v1, v3, v1, vcc
	v_and_b32_e32 v3, 0xff, v9
	s_waitcnt lgkmcnt(0)
	v_cndmask_b32_e32 v2, v4, v2, vcc
	v_cndmask_b32_e64 v10, v3, 1, vcc
.LBB1737_255:
	s_or_b64 exec, exec, s[2:3]
	v_mov_b32_e32 v7, v10
.LBB1737_256:
	;; [unrolled: 47-line block ×4, first 2 shown]
	s_or_b64 exec, exec, s[0:1]
	s_waitcnt lgkmcnt(2)
	v_lshlrev_b32_e32 v9, 2, v5
	s_waitcnt lgkmcnt(0)
	v_or_b32_e32 v4, 0x80, v9
	ds_bpermute_b32 v10, v4, v7
	ds_bpermute_b32 v3, v4, v1
	;; [unrolled: 1-line block ×3, first 2 shown]
	v_add_u32_e32 v6, 32, v6
	v_cmp_lt_u32_e32 vcc, v6, v8
	v_mov_b32_e32 v6, v7
	s_and_saveexec_b64 s[0:1], vcc
	s_cbranch_execz .LBB1737_274
; %bb.269:
	s_waitcnt lgkmcnt(2)
	v_and_b32_e32 v6, v7, v10
	v_and_b32_e32 v6, 1, v6
	v_cmp_eq_u32_e32 vcc, 1, v6
	s_and_saveexec_b64 s[2:3], vcc
	s_xor_b64 s[2:3], exec, s[2:3]
	s_cbranch_execz .LBB1737_271
; %bb.270:
	s_waitcnt lgkmcnt(0)
	v_cmp_lt_i64_e32 vcc, v[3:4], v[1:2]
                                        ; implicit-def: $vgpr7
                                        ; implicit-def: $vgpr10
	v_cndmask_b32_e32 v2, v2, v4, vcc
	v_cndmask_b32_e32 v1, v1, v3, vcc
                                        ; implicit-def: $vgpr3_vgpr4
.LBB1737_271:
	s_or_saveexec_b64 s[2:3], s[2:3]
	v_mov_b32_e32 v6, 1
	s_xor_b64 exec, exec, s[2:3]
	s_cbranch_execz .LBB1737_273
; %bb.272:
	v_and_b32_e32 v6, 1, v7
	v_cmp_eq_u32_e32 vcc, 1, v6
	v_cndmask_b32_e64 v6, v10, 1, vcc
	s_waitcnt lgkmcnt(0)
	v_cndmask_b32_e32 v2, v4, v2, vcc
	v_cndmask_b32_e32 v1, v3, v1, vcc
.LBB1737_273:
	s_or_b64 exec, exec, s[2:3]
	v_and_b32_e32 v7, 0xff, v6
.LBB1737_274:
	s_or_b64 exec, exec, s[0:1]
	v_cmp_eq_u32_e32 vcc, 0, v5
	s_and_saveexec_b64 s[0:1], vcc
	s_cbranch_execz .LBB1737_276
; %bb.275:
	s_waitcnt lgkmcnt(1)
	v_lshrrev_b32_e32 v3, 2, v0
	v_and_b32_e32 v3, 16, v3
	ds_write_b8 v3, v6 offset:128
	ds_write_b64 v3, v[1:2] offset:136
.LBB1737_276:
	s_or_b64 exec, exec, s[0:1]
	v_cmp_gt_u32_e32 vcc, 2, v0
	s_waitcnt lgkmcnt(0)
	s_barrier
	s_and_saveexec_b64 s[0:1], vcc
	s_cbranch_execz .LBB1737_284
; %bb.277:
	v_lshlrev_b32_e32 v1, 4, v5
	ds_read_u8 v6, v1 offset:128
	ds_read_b64 v[1:2], v1 offset:136
	v_or_b32_e32 v4, 4, v9
	s_add_i32 s4, s4, 63
	v_and_b32_e32 v5, 1, v5
	s_waitcnt lgkmcnt(1)
	v_and_b32_e32 v7, 0xff, v6
	s_waitcnt lgkmcnt(0)
	ds_bpermute_b32 v3, v4, v1
	ds_bpermute_b32 v8, v4, v7
	;; [unrolled: 1-line block ×3, first 2 shown]
	s_lshr_b32 s2, s4, 6
	v_add_u32_e32 v5, 1, v5
	v_cmp_gt_u32_e32 vcc, s2, v5
	s_and_saveexec_b64 s[2:3], vcc
	s_cbranch_execz .LBB1737_283
; %bb.278:
	s_waitcnt lgkmcnt(1)
	v_and_b32_e32 v5, v7, v8
	v_and_b32_e32 v5, 1, v5
	v_cmp_eq_u32_e32 vcc, 1, v5
	s_and_saveexec_b64 s[4:5], vcc
	s_xor_b64 s[4:5], exec, s[4:5]
	s_cbranch_execz .LBB1737_280
; %bb.279:
	s_waitcnt lgkmcnt(0)
	v_cmp_lt_i64_e32 vcc, v[3:4], v[1:2]
                                        ; implicit-def: $vgpr6
                                        ; implicit-def: $vgpr8
	v_cndmask_b32_e32 v2, v2, v4, vcc
	v_cndmask_b32_e32 v1, v1, v3, vcc
                                        ; implicit-def: $vgpr3_vgpr4
.LBB1737_280:
	s_or_saveexec_b64 s[4:5], s[4:5]
	v_mov_b32_e32 v7, 1
	s_xor_b64 exec, exec, s[4:5]
	s_cbranch_execz .LBB1737_282
; %bb.281:
	v_and_b32_e32 v5, 1, v6
	v_cmp_eq_u32_e32 vcc, 1, v5
	s_waitcnt lgkmcnt(0)
	v_cndmask_b32_e32 v2, v4, v2, vcc
	v_cndmask_b32_e32 v1, v3, v1, vcc
	v_cndmask_b32_e64 v7, v8, 1, vcc
.LBB1737_282:
	s_or_b64 exec, exec, s[4:5]
.LBB1737_283:
	s_or_b64 exec, exec, s[2:3]
.LBB1737_284:
	s_or_b64 exec, exec, s[0:1]
.LBB1737_285:
	v_cmp_eq_u32_e32 vcc, 0, v0
                                        ; implicit-def: $vgpr3_vgpr4
                                        ; implicit-def: $vgpr5
	s_and_saveexec_b64 s[0:1], vcc
	s_xor_b64 s[4:5], exec, s[0:1]
	s_cbranch_execz .LBB1737_289
; %bb.286:
	s_waitcnt lgkmcnt(0)
	v_mov_b32_e32 v3, s24
	s_cmp_eq_u64 s[20:21], 0
	v_mov_b32_e32 v4, s25
	v_mov_b32_e32 v5, s33
	s_cbranch_scc1 .LBB1737_288
; %bb.287:
	v_and_b32_e32 v3, 1, v7
	v_cmp_gt_i64_e64 s[0:1], s[24:25], v[1:2]
	s_bitcmp1_b32 s33, 0
	v_cmp_eq_u32_e32 vcc, 1, v3
	s_cselect_b64 s[2:3], -1, 0
	v_mov_b32_e32 v3, s24
	s_and_b64 vcc, vcc, s[0:1]
	v_mov_b32_e32 v4, s25
	v_cndmask_b32_e32 v3, v3, v1, vcc
	v_cndmask_b32_e32 v4, v4, v2, vcc
	v_cndmask_b32_e64 v5, v7, 1, s[2:3]
	v_cndmask_b32_e64 v4, v2, v4, s[2:3]
	;; [unrolled: 1-line block ×3, first 2 shown]
.LBB1737_288:
	s_or_b64 s[12:13], s[12:13], exec
.LBB1737_289:
	s_or_b64 exec, exec, s[4:5]
	v_mov_b32_e32 v1, s6
	v_mov_b32_e32 v2, s7
	s_branch .LBB1737_306
.LBB1737_290:
	s_cmp_eq_u32 s36, 1
	s_cbranch_scc0 .LBB1737_305
; %bb.291:
	s_mov_b32 s5, 0
	s_lshl_b32 s4, s6, 7
	s_mov_b32 s7, s5
	s_lshr_b64 s[0:1], s[20:21], 7
	s_cmp_lg_u64 s[0:1], s[6:7]
	s_cbranch_scc0 .LBB1737_309
; %bb.292:
	s_lshl_b64 s[0:1], s[4:5], 3
	s_add_u32 s0, s26, s0
	s_addc_u32 s1, s27, s1
	v_lshlrev_b32_e32 v1, 3, v0
	global_load_dwordx2 v[1:2], v1, s[0:1]
	s_add_u32 s0, s18, s4
	s_addc_u32 s1, s19, 0
	s_waitcnt lgkmcnt(2)
	v_mov_b32_e32 v3, s1
                                        ; implicit-def: $vgpr7
	s_waitcnt vmcnt(0)
	v_cmp_eq_f64_e32 vcc, s[16:17], v[1:2]
	v_add_co_u32_e64 v1, s[0:1], s0, v0
	v_addc_co_u32_e64 v2, s[0:1], 0, v3, s[0:1]
	s_nop 0
	v_mov_b32_dpp v3, v1 quad_perm:[1,0,3,2] row_mask:0xf bank_mask:0xf bound_ctrl:1
	s_waitcnt lgkmcnt(0)
	v_mov_b32_dpp v4, v2 quad_perm:[1,0,3,2] row_mask:0xf bank_mask:0xf bound_ctrl:1
	v_cmp_lt_i64_e64 s[0:1], v[1:2], v[3:4]
	v_cndmask_b32_e64 v5, 0, 1, vcc
	s_and_b64 s[0:1], vcc, s[0:1]
	v_cndmask_b32_e64 v3, v3, v1, s[0:1]
	v_mov_b32_dpp v5, v5 quad_perm:[1,0,3,2] row_mask:0xf bank_mask:0xf bound_ctrl:1
	v_and_b32_e32 v5, 1, v5
	v_cndmask_b32_e64 v4, v4, v2, s[0:1]
	v_cmp_eq_u32_e64 s[0:1], 1, v5
	v_cndmask_b32_e64 v4, v2, v4, s[0:1]
	v_cndmask_b32_e64 v3, v1, v3, s[0:1]
	s_or_b64 s[0:1], s[0:1], vcc
	v_cndmask_b32_e64 v1, 0, 1, s[0:1]
	v_mov_b32_dpp v5, v3 quad_perm:[2,3,0,1] row_mask:0xf bank_mask:0xf bound_ctrl:1
	v_mov_b32_dpp v6, v4 quad_perm:[2,3,0,1] row_mask:0xf bank_mask:0xf bound_ctrl:1
	;; [unrolled: 1-line block ×3, first 2 shown]
	v_and_b32_e32 v1, 1, v1
	v_cmp_eq_u32_e32 vcc, 1, v1
	s_and_b64 s[2:3], vcc, s[0:1]
	s_xor_b64 s[2:3], s[2:3], -1
                                        ; implicit-def: $vgpr1_vgpr2
	s_and_saveexec_b64 s[8:9], s[2:3]
	s_xor_b64 s[2:3], exec, s[8:9]
; %bb.293:
	s_or_b64 s[0:1], vcc, s[0:1]
	v_cndmask_b32_e32 v2, v4, v6, vcc
	v_cndmask_b32_e32 v1, v3, v5, vcc
	v_cndmask_b32_e64 v7, 0, 1, s[0:1]
                                        ; implicit-def: $vgpr3_vgpr4
                                        ; implicit-def: $vgpr5_vgpr6
; %bb.294:
	s_andn2_saveexec_b64 s[0:1], s[2:3]
; %bb.295:
	v_cmp_lt_i64_e32 vcc, v[3:4], v[5:6]
	v_mov_b32_e32 v7, 1
	v_cndmask_b32_e32 v2, v6, v4, vcc
	v_cndmask_b32_e32 v1, v5, v3, vcc
; %bb.296:
	s_or_b64 exec, exec, s[0:1]
	s_nop 0
	v_mov_b32_dpp v4, v1 row_ror:4 row_mask:0xf bank_mask:0xf bound_ctrl:1
	v_mov_b32_dpp v5, v2 row_ror:4 row_mask:0xf bank_mask:0xf bound_ctrl:1
	v_and_b32_e32 v8, 1, v7
	v_cmp_lt_i64_e64 s[0:1], v[1:2], v[4:5]
	v_mov_b32_dpp v6, v7 row_ror:4 row_mask:0xf bank_mask:0xf bound_ctrl:1
	v_cmp_eq_u32_e32 vcc, 1, v8
	v_and_b32_e32 v6, 1, v6
	s_and_b64 vcc, vcc, s[0:1]
	v_cmp_eq_u32_e64 s[2:3], 1, v6
	v_cndmask_b32_e32 v4, v4, v1, vcc
	v_cndmask_b32_e32 v5, v5, v2, vcc
	v_cndmask_b32_e64 v2, v2, v5, s[2:3]
	v_cndmask_b32_e64 v1, v1, v4, s[2:3]
	;; [unrolled: 1-line block ×3, first 2 shown]
	v_mov_b32_dpp v5, v2 row_ror:8 row_mask:0xf bank_mask:0xf bound_ctrl:1
	v_mov_b32_dpp v4, v1 row_ror:8 row_mask:0xf bank_mask:0xf bound_ctrl:1
	v_and_b32_e32 v8, 1, v6
	v_cmp_lt_i64_e64 s[0:1], v[1:2], v[4:5]
	v_mov_b32_dpp v7, v6 row_ror:8 row_mask:0xf bank_mask:0xf bound_ctrl:1
	v_cmp_eq_u32_e32 vcc, 1, v8
	v_and_b32_e32 v7, 1, v7
	s_and_b64 vcc, vcc, s[0:1]
	v_cmp_eq_u32_e64 s[2:3], 1, v7
	v_cndmask_b32_e32 v4, v4, v1, vcc
	v_cndmask_b32_e32 v5, v5, v2, vcc
	v_cndmask_b32_e64 v2, v2, v5, s[2:3]
	v_cndmask_b32_e64 v1, v1, v4, s[2:3]
	;; [unrolled: 1-line block ×3, first 2 shown]
	v_mov_b32_dpp v5, v2 row_bcast:15 row_mask:0xf bank_mask:0xf bound_ctrl:1
	v_mov_b32_dpp v4, v1 row_bcast:15 row_mask:0xf bank_mask:0xf bound_ctrl:1
	v_and_b32_e32 v8, 1, v6
	v_cmp_lt_i64_e64 s[0:1], v[1:2], v[4:5]
	v_mov_b32_dpp v7, v6 row_bcast:15 row_mask:0xf bank_mask:0xf bound_ctrl:1
	v_cmp_eq_u32_e32 vcc, 1, v8
	v_and_b32_e32 v7, 1, v7
	s_and_b64 vcc, vcc, s[0:1]
	v_cmp_eq_u32_e64 s[2:3], 1, v7
	v_cndmask_b32_e32 v4, v4, v1, vcc
	v_cndmask_b32_e32 v5, v5, v2, vcc
	v_cndmask_b32_e64 v2, v2, v5, s[2:3]
	v_cndmask_b32_e64 v1, v1, v4, s[2:3]
	;; [unrolled: 1-line block ×3, first 2 shown]
	v_mov_b32_dpp v5, v2 row_bcast:31 row_mask:0xf bank_mask:0xf bound_ctrl:1
	v_mov_b32_dpp v4, v1 row_bcast:31 row_mask:0xf bank_mask:0xf bound_ctrl:1
	v_and_b32_e32 v8, 1, v6
	v_cmp_lt_i64_e64 s[0:1], v[1:2], v[4:5]
	v_mov_b32_dpp v7, v6 row_bcast:31 row_mask:0xf bank_mask:0xf bound_ctrl:1
	v_cmp_eq_u32_e32 vcc, 1, v8
	v_mbcnt_lo_u32_b32 v3, -1, 0
	v_and_b32_e32 v7, 1, v7
	s_and_b64 vcc, vcc, s[0:1]
	v_mbcnt_hi_u32_b32 v3, -1, v3
	v_cmp_eq_u32_e64 s[2:3], 1, v7
	v_cndmask_b32_e32 v5, v5, v2, vcc
	v_cndmask_b32_e32 v4, v4, v1, vcc
	v_cndmask_b32_e64 v2, v2, v5, s[2:3]
	v_lshlrev_b32_e32 v5, 2, v3
	v_cndmask_b32_e64 v6, v6, 1, s[2:3]
	v_cndmask_b32_e64 v1, v1, v4, s[2:3]
	v_or_b32_e32 v4, 0xfc, v5
	ds_bpermute_b32 v7, v4, v6
	ds_bpermute_b32 v1, v4, v1
	;; [unrolled: 1-line block ×3, first 2 shown]
	v_cmp_eq_u32_e32 vcc, 0, v3
	s_and_saveexec_b64 s[0:1], vcc
	s_cbranch_execz .LBB1737_298
; %bb.297:
	v_lshrrev_b32_e32 v4, 2, v0
	v_and_b32_e32 v4, 16, v4
	s_waitcnt lgkmcnt(2)
	ds_write_b8 v4, v7
	s_waitcnt lgkmcnt(1)
	ds_write_b64 v4, v[1:2] offset:8
.LBB1737_298:
	s_or_b64 exec, exec, s[0:1]
	v_cmp_gt_u32_e32 vcc, 64, v0
	s_waitcnt lgkmcnt(0)
	s_barrier
	s_and_saveexec_b64 s[0:1], vcc
	s_cbranch_execz .LBB1737_304
; %bb.299:
	v_and_b32_e32 v1, 1, v3
	v_lshlrev_b32_e32 v1, 4, v1
	ds_read_u8 v8, v1
	ds_read_b64 v[3:4], v1 offset:8
	v_or_b32_e32 v2, 4, v5
	s_waitcnt lgkmcnt(1)
	v_and_b32_e32 v1, 0xff, v8
	ds_bpermute_b32 v9, v2, v1
	s_waitcnt lgkmcnt(1)
	ds_bpermute_b32 v5, v2, v3
	ds_bpermute_b32 v6, v2, v4
	s_waitcnt lgkmcnt(2)
	v_and_b32_e32 v1, v8, v9
	v_and_b32_e32 v1, 1, v1
	v_cmp_eq_u32_e32 vcc, 1, v1
                                        ; implicit-def: $vgpr1_vgpr2
	s_and_saveexec_b64 s[2:3], vcc
	s_xor_b64 s[2:3], exec, s[2:3]
	s_cbranch_execz .LBB1737_301
; %bb.300:
	s_waitcnt lgkmcnt(0)
	v_cmp_lt_i64_e32 vcc, v[5:6], v[3:4]
                                        ; implicit-def: $vgpr8
                                        ; implicit-def: $vgpr9
	v_cndmask_b32_e32 v2, v4, v6, vcc
	v_cndmask_b32_e32 v1, v3, v5, vcc
                                        ; implicit-def: $vgpr5_vgpr6
                                        ; implicit-def: $vgpr3_vgpr4
.LBB1737_301:
	s_or_saveexec_b64 s[2:3], s[2:3]
	v_mov_b32_e32 v7, 1
	s_xor_b64 exec, exec, s[2:3]
	s_cbranch_execz .LBB1737_303
; %bb.302:
	v_and_b32_e32 v1, 1, v8
	v_cmp_eq_u32_e32 vcc, 1, v1
	s_waitcnt lgkmcnt(0)
	v_cndmask_b32_e32 v2, v6, v4, vcc
	v_cndmask_b32_e32 v1, v5, v3, vcc
	v_cndmask_b32_e64 v7, v9, 1, vcc
.LBB1737_303:
	s_or_b64 exec, exec, s[2:3]
.LBB1737_304:
	s_or_b64 exec, exec, s[0:1]
	s_branch .LBB1737_359
.LBB1737_305:
                                        ; implicit-def: $vgpr3_vgpr4
                                        ; implicit-def: $vgpr5
                                        ; implicit-def: $vgpr1_vgpr2
.LBB1737_306:
	s_and_saveexec_b64 s[0:1], s[12:13]
	s_cbranch_execz .LBB1737_308
.LBB1737_307:
	v_lshlrev_b64 v[0:1], 4, v[1:2]
	v_mov_b32_e32 v2, s23
	v_add_co_u32_e32 v0, vcc, s22, v0
	v_addc_co_u32_e32 v1, vcc, v2, v1, vcc
	s_waitcnt lgkmcnt(1)
	global_store_byte v[0:1], v5, off
	s_waitcnt lgkmcnt(0)
	global_store_dwordx2 v[0:1], v[3:4], off offset:8
.LBB1737_308:
	s_endpgm
.LBB1737_309:
                                        ; implicit-def: $vgpr1_vgpr2
                                        ; implicit-def: $vgpr7
	s_cbranch_execz .LBB1737_359
; %bb.310:
	s_sub_i32 s2, s20, s4
	v_mov_b32_e32 v1, 0
	v_cmp_gt_u32_e32 vcc, s2, v0
	v_mov_b32_e32 v2, 0
	v_mov_b32_e32 v9, 0
	s_and_saveexec_b64 s[0:1], vcc
	s_cbranch_execz .LBB1737_312
; %bb.311:
	s_lshl_b64 s[8:9], s[4:5], 3
	s_add_u32 s8, s26, s8
	s_addc_u32 s9, s27, s9
	v_lshlrev_b32_e32 v1, 3, v0
	s_waitcnt lgkmcnt(0)
	global_load_dwordx2 v[3:4], v1, s[8:9]
	s_add_u32 s3, s18, s4
	s_addc_u32 s4, s19, 0
	v_mov_b32_e32 v2, s4
	v_add_co_u32_e32 v1, vcc, s3, v0
	v_addc_co_u32_e32 v2, vcc, 0, v2, vcc
	s_waitcnt vmcnt(0)
	v_cmp_eq_f64_e32 vcc, s[16:17], v[3:4]
	v_cndmask_b32_e64 v9, 0, 1, vcc
.LBB1737_312:
	s_or_b64 exec, exec, s[0:1]
	s_waitcnt lgkmcnt(2)
	v_mbcnt_lo_u32_b32 v3, -1, 0
	s_waitcnt lgkmcnt(1)
	v_mbcnt_hi_u32_b32 v5, -1, v3
	s_waitcnt lgkmcnt(0)
	v_and_b32_e32 v6, 63, v5
	v_cmp_ne_u32_e32 vcc, 63, v6
	v_addc_co_u32_e32 v3, vcc, 0, v5, vcc
	v_and_b32_e32 v7, 0xffff, v9
	v_lshlrev_b32_e32 v4, 2, v3
	ds_bpermute_b32 v10, v4, v7
	ds_bpermute_b32 v3, v4, v1
	;; [unrolled: 1-line block ×3, first 2 shown]
	s_min_u32 s4, s2, 0x80
	v_and_b32_e32 v8, 64, v0
	v_sub_u32_e64 v8, s4, v8 clamp
	v_add_u32_e32 v11, 1, v6
	v_cmp_lt_u32_e32 vcc, v11, v8
	s_and_saveexec_b64 s[0:1], vcc
	s_cbranch_execz .LBB1737_318
; %bb.313:
	s_waitcnt lgkmcnt(2)
	v_and_b32_e32 v7, v10, v7
	v_and_b32_e32 v7, 1, v7
	v_cmp_eq_u32_e32 vcc, 1, v7
	s_and_saveexec_b64 s[2:3], vcc
	s_xor_b64 s[2:3], exec, s[2:3]
	s_cbranch_execz .LBB1737_315
; %bb.314:
	s_waitcnt lgkmcnt(0)
	v_cmp_lt_i64_e32 vcc, v[3:4], v[1:2]
                                        ; implicit-def: $vgpr9
                                        ; implicit-def: $vgpr10
	v_cndmask_b32_e32 v2, v2, v4, vcc
	v_cndmask_b32_e32 v1, v1, v3, vcc
                                        ; implicit-def: $vgpr3_vgpr4
.LBB1737_315:
	s_or_saveexec_b64 s[2:3], s[2:3]
	v_mov_b32_e32 v7, 1
	s_xor_b64 exec, exec, s[2:3]
	s_cbranch_execz .LBB1737_317
; %bb.316:
	v_and_b32_e32 v7, 1, v9
	v_cmp_eq_u32_e32 vcc, 1, v7
	s_waitcnt lgkmcnt(1)
	v_cndmask_b32_e32 v1, v3, v1, vcc
	v_and_b32_e32 v3, 0xff, v10
	s_waitcnt lgkmcnt(0)
	v_cndmask_b32_e32 v2, v4, v2, vcc
	v_cndmask_b32_e64 v7, v3, 1, vcc
.LBB1737_317:
	s_or_b64 exec, exec, s[2:3]
.LBB1737_318:
	s_or_b64 exec, exec, s[0:1]
	v_cmp_gt_u32_e32 vcc, 62, v6
	s_waitcnt lgkmcnt(1)
	v_cndmask_b32_e64 v3, 0, 2, vcc
	s_waitcnt lgkmcnt(0)
	v_add_lshl_u32 v4, v3, v5, 2
	ds_bpermute_b32 v9, v4, v7
	ds_bpermute_b32 v3, v4, v1
	ds_bpermute_b32 v4, v4, v2
	v_add_u32_e32 v10, 2, v6
	v_cmp_lt_u32_e32 vcc, v10, v8
	s_and_saveexec_b64 s[0:1], vcc
	s_cbranch_execz .LBB1737_324
; %bb.319:
	s_waitcnt lgkmcnt(2)
	v_and_b32_e32 v10, v7, v9
	v_and_b32_e32 v10, 1, v10
	v_cmp_eq_u32_e32 vcc, 1, v10
	s_and_saveexec_b64 s[2:3], vcc
	s_xor_b64 s[2:3], exec, s[2:3]
	s_cbranch_execz .LBB1737_321
; %bb.320:
	s_waitcnt lgkmcnt(0)
	v_cmp_lt_i64_e32 vcc, v[3:4], v[1:2]
                                        ; implicit-def: $vgpr7
                                        ; implicit-def: $vgpr9
	v_cndmask_b32_e32 v2, v2, v4, vcc
	v_cndmask_b32_e32 v1, v1, v3, vcc
                                        ; implicit-def: $vgpr3_vgpr4
.LBB1737_321:
	s_or_saveexec_b64 s[2:3], s[2:3]
	v_mov_b32_e32 v10, 1
	s_xor_b64 exec, exec, s[2:3]
	s_cbranch_execz .LBB1737_323
; %bb.322:
	v_and_b32_e32 v7, 1, v7
	v_cmp_eq_u32_e32 vcc, 1, v7
	s_waitcnt lgkmcnt(1)
	v_cndmask_b32_e32 v1, v3, v1, vcc
	v_and_b32_e32 v3, 0xff, v9
	s_waitcnt lgkmcnt(0)
	v_cndmask_b32_e32 v2, v4, v2, vcc
	v_cndmask_b32_e64 v10, v3, 1, vcc
.LBB1737_323:
	s_or_b64 exec, exec, s[2:3]
	v_mov_b32_e32 v7, v10
.LBB1737_324:
	s_or_b64 exec, exec, s[0:1]
	v_cmp_gt_u32_e32 vcc, 60, v6
	s_waitcnt lgkmcnt(1)
	v_cndmask_b32_e64 v3, 0, 4, vcc
	s_waitcnt lgkmcnt(0)
	v_add_lshl_u32 v4, v3, v5, 2
	ds_bpermute_b32 v9, v4, v7
	ds_bpermute_b32 v3, v4, v1
	ds_bpermute_b32 v4, v4, v2
	v_add_u32_e32 v10, 4, v6
	v_cmp_lt_u32_e32 vcc, v10, v8
	s_and_saveexec_b64 s[0:1], vcc
	s_cbranch_execz .LBB1737_330
; %bb.325:
	s_waitcnt lgkmcnt(2)
	v_and_b32_e32 v10, v7, v9
	v_and_b32_e32 v10, 1, v10
	v_cmp_eq_u32_e32 vcc, 1, v10
	s_and_saveexec_b64 s[2:3], vcc
	s_xor_b64 s[2:3], exec, s[2:3]
	s_cbranch_execz .LBB1737_327
; %bb.326:
	s_waitcnt lgkmcnt(0)
	v_cmp_lt_i64_e32 vcc, v[3:4], v[1:2]
                                        ; implicit-def: $vgpr7
                                        ; implicit-def: $vgpr9
	v_cndmask_b32_e32 v2, v2, v4, vcc
	v_cndmask_b32_e32 v1, v1, v3, vcc
                                        ; implicit-def: $vgpr3_vgpr4
.LBB1737_327:
	s_or_saveexec_b64 s[2:3], s[2:3]
	v_mov_b32_e32 v10, 1
	s_xor_b64 exec, exec, s[2:3]
	s_cbranch_execz .LBB1737_329
; %bb.328:
	v_and_b32_e32 v7, 1, v7
	v_cmp_eq_u32_e32 vcc, 1, v7
	s_waitcnt lgkmcnt(1)
	v_cndmask_b32_e32 v1, v3, v1, vcc
	v_and_b32_e32 v3, 0xff, v9
	s_waitcnt lgkmcnt(0)
	v_cndmask_b32_e32 v2, v4, v2, vcc
	v_cndmask_b32_e64 v10, v3, 1, vcc
.LBB1737_329:
	s_or_b64 exec, exec, s[2:3]
	v_mov_b32_e32 v7, v10
.LBB1737_330:
	;; [unrolled: 47-line block ×4, first 2 shown]
	s_or_b64 exec, exec, s[0:1]
	s_waitcnt lgkmcnt(2)
	v_lshlrev_b32_e32 v9, 2, v5
	s_waitcnt lgkmcnt(0)
	v_or_b32_e32 v4, 0x80, v9
	ds_bpermute_b32 v10, v4, v7
	ds_bpermute_b32 v3, v4, v1
	;; [unrolled: 1-line block ×3, first 2 shown]
	v_add_u32_e32 v6, 32, v6
	v_cmp_lt_u32_e32 vcc, v6, v8
	v_mov_b32_e32 v6, v7
	s_and_saveexec_b64 s[0:1], vcc
	s_cbranch_execz .LBB1737_348
; %bb.343:
	s_waitcnt lgkmcnt(2)
	v_and_b32_e32 v6, v7, v10
	v_and_b32_e32 v6, 1, v6
	v_cmp_eq_u32_e32 vcc, 1, v6
	s_and_saveexec_b64 s[2:3], vcc
	s_xor_b64 s[2:3], exec, s[2:3]
	s_cbranch_execz .LBB1737_345
; %bb.344:
	s_waitcnt lgkmcnt(0)
	v_cmp_lt_i64_e32 vcc, v[3:4], v[1:2]
                                        ; implicit-def: $vgpr7
                                        ; implicit-def: $vgpr10
	v_cndmask_b32_e32 v2, v2, v4, vcc
	v_cndmask_b32_e32 v1, v1, v3, vcc
                                        ; implicit-def: $vgpr3_vgpr4
.LBB1737_345:
	s_or_saveexec_b64 s[2:3], s[2:3]
	v_mov_b32_e32 v6, 1
	s_xor_b64 exec, exec, s[2:3]
	s_cbranch_execz .LBB1737_347
; %bb.346:
	v_and_b32_e32 v6, 1, v7
	v_cmp_eq_u32_e32 vcc, 1, v6
	v_cndmask_b32_e64 v6, v10, 1, vcc
	s_waitcnt lgkmcnt(0)
	v_cndmask_b32_e32 v2, v4, v2, vcc
	v_cndmask_b32_e32 v1, v3, v1, vcc
.LBB1737_347:
	s_or_b64 exec, exec, s[2:3]
	v_and_b32_e32 v7, 0xff, v6
.LBB1737_348:
	s_or_b64 exec, exec, s[0:1]
	v_cmp_eq_u32_e32 vcc, 0, v5
	s_and_saveexec_b64 s[0:1], vcc
	s_cbranch_execz .LBB1737_350
; %bb.349:
	s_waitcnt lgkmcnt(1)
	v_lshrrev_b32_e32 v3, 2, v0
	v_and_b32_e32 v3, 16, v3
	ds_write_b8 v3, v6 offset:128
	ds_write_b64 v3, v[1:2] offset:136
.LBB1737_350:
	s_or_b64 exec, exec, s[0:1]
	v_cmp_gt_u32_e32 vcc, 2, v0
	s_waitcnt lgkmcnt(0)
	s_barrier
	s_and_saveexec_b64 s[0:1], vcc
	s_cbranch_execz .LBB1737_358
; %bb.351:
	v_lshlrev_b32_e32 v1, 4, v5
	ds_read_u8 v6, v1 offset:128
	ds_read_b64 v[1:2], v1 offset:136
	v_or_b32_e32 v4, 4, v9
	s_add_i32 s4, s4, 63
	v_and_b32_e32 v5, 1, v5
	s_waitcnt lgkmcnt(1)
	v_and_b32_e32 v7, 0xff, v6
	s_waitcnt lgkmcnt(0)
	ds_bpermute_b32 v3, v4, v1
	ds_bpermute_b32 v8, v4, v7
	;; [unrolled: 1-line block ×3, first 2 shown]
	s_lshr_b32 s2, s4, 6
	v_add_u32_e32 v5, 1, v5
	v_cmp_gt_u32_e32 vcc, s2, v5
	s_and_saveexec_b64 s[2:3], vcc
	s_cbranch_execz .LBB1737_357
; %bb.352:
	s_waitcnt lgkmcnt(1)
	v_and_b32_e32 v5, v7, v8
	v_and_b32_e32 v5, 1, v5
	v_cmp_eq_u32_e32 vcc, 1, v5
	s_and_saveexec_b64 s[4:5], vcc
	s_xor_b64 s[4:5], exec, s[4:5]
	s_cbranch_execz .LBB1737_354
; %bb.353:
	s_waitcnt lgkmcnt(0)
	v_cmp_lt_i64_e32 vcc, v[3:4], v[1:2]
                                        ; implicit-def: $vgpr6
                                        ; implicit-def: $vgpr8
	v_cndmask_b32_e32 v2, v2, v4, vcc
	v_cndmask_b32_e32 v1, v1, v3, vcc
                                        ; implicit-def: $vgpr3_vgpr4
.LBB1737_354:
	s_or_saveexec_b64 s[4:5], s[4:5]
	v_mov_b32_e32 v7, 1
	s_xor_b64 exec, exec, s[4:5]
	s_cbranch_execz .LBB1737_356
; %bb.355:
	v_and_b32_e32 v5, 1, v6
	v_cmp_eq_u32_e32 vcc, 1, v5
	s_waitcnt lgkmcnt(0)
	v_cndmask_b32_e32 v2, v4, v2, vcc
	v_cndmask_b32_e32 v1, v3, v1, vcc
	v_cndmask_b32_e64 v7, v8, 1, vcc
.LBB1737_356:
	s_or_b64 exec, exec, s[4:5]
.LBB1737_357:
	s_or_b64 exec, exec, s[2:3]
.LBB1737_358:
	s_or_b64 exec, exec, s[0:1]
.LBB1737_359:
	v_cmp_eq_u32_e32 vcc, 0, v0
                                        ; implicit-def: $vgpr3_vgpr4
                                        ; implicit-def: $vgpr5
	s_and_saveexec_b64 s[4:5], vcc
	s_cbranch_execz .LBB1737_363
; %bb.360:
	s_waitcnt lgkmcnt(0)
	v_mov_b32_e32 v3, s24
	s_cmp_eq_u64 s[20:21], 0
	v_mov_b32_e32 v4, s25
	v_mov_b32_e32 v5, s33
	s_cbranch_scc1 .LBB1737_362
; %bb.361:
	v_and_b32_e32 v0, 1, v7
	v_cmp_gt_i64_e64 s[0:1], s[24:25], v[1:2]
	s_bitcmp1_b32 s33, 0
	v_cmp_eq_u32_e32 vcc, 1, v0
	s_cselect_b64 s[2:3], -1, 0
	v_mov_b32_e32 v0, s24
	s_and_b64 vcc, vcc, s[0:1]
	v_mov_b32_e32 v3, s25
	v_cndmask_b32_e32 v0, v0, v1, vcc
	v_cndmask_b32_e32 v3, v3, v2, vcc
	v_cndmask_b32_e64 v5, v7, 1, s[2:3]
	v_cndmask_b32_e64 v4, v2, v3, s[2:3]
	;; [unrolled: 1-line block ×3, first 2 shown]
.LBB1737_362:
	s_or_b64 s[12:13], s[12:13], exec
.LBB1737_363:
	s_or_b64 exec, exec, s[4:5]
	v_mov_b32_e32 v1, s6
	v_mov_b32_e32 v2, s7
	s_and_saveexec_b64 s[0:1], s[12:13]
	s_cbranch_execnz .LBB1737_307
	s_branch .LBB1737_308
	.section	.rodata,"a",@progbits
	.p2align	6, 0x0
	.amdhsa_kernel _ZN7rocprim17ROCPRIM_400000_NS6detail17trampoline_kernelINS0_14default_configENS1_22reduce_config_selectorIN6thrust23THRUST_200600_302600_NS5tupleIblNS6_9null_typeES8_S8_S8_S8_S8_S8_S8_EEEEZNS1_11reduce_implILb1ES3_NS6_12zip_iteratorINS7_INS6_11hip_rocprim26transform_input_iterator_tIbPdNS6_6detail10functional5actorINSH_9compositeIJNSH_27transparent_binary_operatorINS6_8equal_toIvEEEENSI_INSH_8argumentILj0EEEEENSH_5valueIdEEEEEEEEENSD_19counting_iterator_tIlEES8_S8_S8_S8_S8_S8_S8_S8_EEEEPS9_S9_NSD_9__find_if7functorIS9_EEEE10hipError_tPvRmT1_T2_T3_mT4_P12ihipStream_tbEUlT_E1_NS1_11comp_targetILNS1_3genE2ELNS1_11target_archE906ELNS1_3gpuE6ELNS1_3repE0EEENS1_30default_config_static_selectorELNS0_4arch9wavefront6targetE1EEEvS17_
		.amdhsa_group_segment_fixed_size 160
		.amdhsa_private_segment_fixed_size 0
		.amdhsa_kernarg_size 80
		.amdhsa_user_sgpr_count 6
		.amdhsa_user_sgpr_private_segment_buffer 1
		.amdhsa_user_sgpr_dispatch_ptr 0
		.amdhsa_user_sgpr_queue_ptr 0
		.amdhsa_user_sgpr_kernarg_segment_ptr 1
		.amdhsa_user_sgpr_dispatch_id 0
		.amdhsa_user_sgpr_flat_scratch_init 0
		.amdhsa_user_sgpr_private_segment_size 0
		.amdhsa_uses_dynamic_stack 0
		.amdhsa_system_sgpr_private_segment_wavefront_offset 0
		.amdhsa_system_sgpr_workgroup_id_x 1
		.amdhsa_system_sgpr_workgroup_id_y 0
		.amdhsa_system_sgpr_workgroup_id_z 0
		.amdhsa_system_sgpr_workgroup_info 0
		.amdhsa_system_vgpr_workitem_id 0
		.amdhsa_next_free_vgpr 28
		.amdhsa_next_free_sgpr 40
		.amdhsa_reserve_vcc 1
		.amdhsa_reserve_flat_scratch 0
		.amdhsa_float_round_mode_32 0
		.amdhsa_float_round_mode_16_64 0
		.amdhsa_float_denorm_mode_32 3
		.amdhsa_float_denorm_mode_16_64 3
		.amdhsa_dx10_clamp 1
		.amdhsa_ieee_mode 1
		.amdhsa_fp16_overflow 0
		.amdhsa_exception_fp_ieee_invalid_op 0
		.amdhsa_exception_fp_denorm_src 0
		.amdhsa_exception_fp_ieee_div_zero 0
		.amdhsa_exception_fp_ieee_overflow 0
		.amdhsa_exception_fp_ieee_underflow 0
		.amdhsa_exception_fp_ieee_inexact 0
		.amdhsa_exception_int_div_zero 0
	.end_amdhsa_kernel
	.section	.text._ZN7rocprim17ROCPRIM_400000_NS6detail17trampoline_kernelINS0_14default_configENS1_22reduce_config_selectorIN6thrust23THRUST_200600_302600_NS5tupleIblNS6_9null_typeES8_S8_S8_S8_S8_S8_S8_EEEEZNS1_11reduce_implILb1ES3_NS6_12zip_iteratorINS7_INS6_11hip_rocprim26transform_input_iterator_tIbPdNS6_6detail10functional5actorINSH_9compositeIJNSH_27transparent_binary_operatorINS6_8equal_toIvEEEENSI_INSH_8argumentILj0EEEEENSH_5valueIdEEEEEEEEENSD_19counting_iterator_tIlEES8_S8_S8_S8_S8_S8_S8_S8_EEEEPS9_S9_NSD_9__find_if7functorIS9_EEEE10hipError_tPvRmT1_T2_T3_mT4_P12ihipStream_tbEUlT_E1_NS1_11comp_targetILNS1_3genE2ELNS1_11target_archE906ELNS1_3gpuE6ELNS1_3repE0EEENS1_30default_config_static_selectorELNS0_4arch9wavefront6targetE1EEEvS17_,"axG",@progbits,_ZN7rocprim17ROCPRIM_400000_NS6detail17trampoline_kernelINS0_14default_configENS1_22reduce_config_selectorIN6thrust23THRUST_200600_302600_NS5tupleIblNS6_9null_typeES8_S8_S8_S8_S8_S8_S8_EEEEZNS1_11reduce_implILb1ES3_NS6_12zip_iteratorINS7_INS6_11hip_rocprim26transform_input_iterator_tIbPdNS6_6detail10functional5actorINSH_9compositeIJNSH_27transparent_binary_operatorINS6_8equal_toIvEEEENSI_INSH_8argumentILj0EEEEENSH_5valueIdEEEEEEEEENSD_19counting_iterator_tIlEES8_S8_S8_S8_S8_S8_S8_S8_EEEEPS9_S9_NSD_9__find_if7functorIS9_EEEE10hipError_tPvRmT1_T2_T3_mT4_P12ihipStream_tbEUlT_E1_NS1_11comp_targetILNS1_3genE2ELNS1_11target_archE906ELNS1_3gpuE6ELNS1_3repE0EEENS1_30default_config_static_selectorELNS0_4arch9wavefront6targetE1EEEvS17_,comdat
.Lfunc_end1737:
	.size	_ZN7rocprim17ROCPRIM_400000_NS6detail17trampoline_kernelINS0_14default_configENS1_22reduce_config_selectorIN6thrust23THRUST_200600_302600_NS5tupleIblNS6_9null_typeES8_S8_S8_S8_S8_S8_S8_EEEEZNS1_11reduce_implILb1ES3_NS6_12zip_iteratorINS7_INS6_11hip_rocprim26transform_input_iterator_tIbPdNS6_6detail10functional5actorINSH_9compositeIJNSH_27transparent_binary_operatorINS6_8equal_toIvEEEENSI_INSH_8argumentILj0EEEEENSH_5valueIdEEEEEEEEENSD_19counting_iterator_tIlEES8_S8_S8_S8_S8_S8_S8_S8_EEEEPS9_S9_NSD_9__find_if7functorIS9_EEEE10hipError_tPvRmT1_T2_T3_mT4_P12ihipStream_tbEUlT_E1_NS1_11comp_targetILNS1_3genE2ELNS1_11target_archE906ELNS1_3gpuE6ELNS1_3repE0EEENS1_30default_config_static_selectorELNS0_4arch9wavefront6targetE1EEEvS17_, .Lfunc_end1737-_ZN7rocprim17ROCPRIM_400000_NS6detail17trampoline_kernelINS0_14default_configENS1_22reduce_config_selectorIN6thrust23THRUST_200600_302600_NS5tupleIblNS6_9null_typeES8_S8_S8_S8_S8_S8_S8_EEEEZNS1_11reduce_implILb1ES3_NS6_12zip_iteratorINS7_INS6_11hip_rocprim26transform_input_iterator_tIbPdNS6_6detail10functional5actorINSH_9compositeIJNSH_27transparent_binary_operatorINS6_8equal_toIvEEEENSI_INSH_8argumentILj0EEEEENSH_5valueIdEEEEEEEEENSD_19counting_iterator_tIlEES8_S8_S8_S8_S8_S8_S8_S8_EEEEPS9_S9_NSD_9__find_if7functorIS9_EEEE10hipError_tPvRmT1_T2_T3_mT4_P12ihipStream_tbEUlT_E1_NS1_11comp_targetILNS1_3genE2ELNS1_11target_archE906ELNS1_3gpuE6ELNS1_3repE0EEENS1_30default_config_static_selectorELNS0_4arch9wavefront6targetE1EEEvS17_
                                        ; -- End function
	.set _ZN7rocprim17ROCPRIM_400000_NS6detail17trampoline_kernelINS0_14default_configENS1_22reduce_config_selectorIN6thrust23THRUST_200600_302600_NS5tupleIblNS6_9null_typeES8_S8_S8_S8_S8_S8_S8_EEEEZNS1_11reduce_implILb1ES3_NS6_12zip_iteratorINS7_INS6_11hip_rocprim26transform_input_iterator_tIbPdNS6_6detail10functional5actorINSH_9compositeIJNSH_27transparent_binary_operatorINS6_8equal_toIvEEEENSI_INSH_8argumentILj0EEEEENSH_5valueIdEEEEEEEEENSD_19counting_iterator_tIlEES8_S8_S8_S8_S8_S8_S8_S8_EEEEPS9_S9_NSD_9__find_if7functorIS9_EEEE10hipError_tPvRmT1_T2_T3_mT4_P12ihipStream_tbEUlT_E1_NS1_11comp_targetILNS1_3genE2ELNS1_11target_archE906ELNS1_3gpuE6ELNS1_3repE0EEENS1_30default_config_static_selectorELNS0_4arch9wavefront6targetE1EEEvS17_.num_vgpr, 28
	.set _ZN7rocprim17ROCPRIM_400000_NS6detail17trampoline_kernelINS0_14default_configENS1_22reduce_config_selectorIN6thrust23THRUST_200600_302600_NS5tupleIblNS6_9null_typeES8_S8_S8_S8_S8_S8_S8_EEEEZNS1_11reduce_implILb1ES3_NS6_12zip_iteratorINS7_INS6_11hip_rocprim26transform_input_iterator_tIbPdNS6_6detail10functional5actorINSH_9compositeIJNSH_27transparent_binary_operatorINS6_8equal_toIvEEEENSI_INSH_8argumentILj0EEEEENSH_5valueIdEEEEEEEEENSD_19counting_iterator_tIlEES8_S8_S8_S8_S8_S8_S8_S8_EEEEPS9_S9_NSD_9__find_if7functorIS9_EEEE10hipError_tPvRmT1_T2_T3_mT4_P12ihipStream_tbEUlT_E1_NS1_11comp_targetILNS1_3genE2ELNS1_11target_archE906ELNS1_3gpuE6ELNS1_3repE0EEENS1_30default_config_static_selectorELNS0_4arch9wavefront6targetE1EEEvS17_.num_agpr, 0
	.set _ZN7rocprim17ROCPRIM_400000_NS6detail17trampoline_kernelINS0_14default_configENS1_22reduce_config_selectorIN6thrust23THRUST_200600_302600_NS5tupleIblNS6_9null_typeES8_S8_S8_S8_S8_S8_S8_EEEEZNS1_11reduce_implILb1ES3_NS6_12zip_iteratorINS7_INS6_11hip_rocprim26transform_input_iterator_tIbPdNS6_6detail10functional5actorINSH_9compositeIJNSH_27transparent_binary_operatorINS6_8equal_toIvEEEENSI_INSH_8argumentILj0EEEEENSH_5valueIdEEEEEEEEENSD_19counting_iterator_tIlEES8_S8_S8_S8_S8_S8_S8_S8_EEEEPS9_S9_NSD_9__find_if7functorIS9_EEEE10hipError_tPvRmT1_T2_T3_mT4_P12ihipStream_tbEUlT_E1_NS1_11comp_targetILNS1_3genE2ELNS1_11target_archE906ELNS1_3gpuE6ELNS1_3repE0EEENS1_30default_config_static_selectorELNS0_4arch9wavefront6targetE1EEEvS17_.numbered_sgpr, 40
	.set _ZN7rocprim17ROCPRIM_400000_NS6detail17trampoline_kernelINS0_14default_configENS1_22reduce_config_selectorIN6thrust23THRUST_200600_302600_NS5tupleIblNS6_9null_typeES8_S8_S8_S8_S8_S8_S8_EEEEZNS1_11reduce_implILb1ES3_NS6_12zip_iteratorINS7_INS6_11hip_rocprim26transform_input_iterator_tIbPdNS6_6detail10functional5actorINSH_9compositeIJNSH_27transparent_binary_operatorINS6_8equal_toIvEEEENSI_INSH_8argumentILj0EEEEENSH_5valueIdEEEEEEEEENSD_19counting_iterator_tIlEES8_S8_S8_S8_S8_S8_S8_S8_EEEEPS9_S9_NSD_9__find_if7functorIS9_EEEE10hipError_tPvRmT1_T2_T3_mT4_P12ihipStream_tbEUlT_E1_NS1_11comp_targetILNS1_3genE2ELNS1_11target_archE906ELNS1_3gpuE6ELNS1_3repE0EEENS1_30default_config_static_selectorELNS0_4arch9wavefront6targetE1EEEvS17_.num_named_barrier, 0
	.set _ZN7rocprim17ROCPRIM_400000_NS6detail17trampoline_kernelINS0_14default_configENS1_22reduce_config_selectorIN6thrust23THRUST_200600_302600_NS5tupleIblNS6_9null_typeES8_S8_S8_S8_S8_S8_S8_EEEEZNS1_11reduce_implILb1ES3_NS6_12zip_iteratorINS7_INS6_11hip_rocprim26transform_input_iterator_tIbPdNS6_6detail10functional5actorINSH_9compositeIJNSH_27transparent_binary_operatorINS6_8equal_toIvEEEENSI_INSH_8argumentILj0EEEEENSH_5valueIdEEEEEEEEENSD_19counting_iterator_tIlEES8_S8_S8_S8_S8_S8_S8_S8_EEEEPS9_S9_NSD_9__find_if7functorIS9_EEEE10hipError_tPvRmT1_T2_T3_mT4_P12ihipStream_tbEUlT_E1_NS1_11comp_targetILNS1_3genE2ELNS1_11target_archE906ELNS1_3gpuE6ELNS1_3repE0EEENS1_30default_config_static_selectorELNS0_4arch9wavefront6targetE1EEEvS17_.private_seg_size, 0
	.set _ZN7rocprim17ROCPRIM_400000_NS6detail17trampoline_kernelINS0_14default_configENS1_22reduce_config_selectorIN6thrust23THRUST_200600_302600_NS5tupleIblNS6_9null_typeES8_S8_S8_S8_S8_S8_S8_EEEEZNS1_11reduce_implILb1ES3_NS6_12zip_iteratorINS7_INS6_11hip_rocprim26transform_input_iterator_tIbPdNS6_6detail10functional5actorINSH_9compositeIJNSH_27transparent_binary_operatorINS6_8equal_toIvEEEENSI_INSH_8argumentILj0EEEEENSH_5valueIdEEEEEEEEENSD_19counting_iterator_tIlEES8_S8_S8_S8_S8_S8_S8_S8_EEEEPS9_S9_NSD_9__find_if7functorIS9_EEEE10hipError_tPvRmT1_T2_T3_mT4_P12ihipStream_tbEUlT_E1_NS1_11comp_targetILNS1_3genE2ELNS1_11target_archE906ELNS1_3gpuE6ELNS1_3repE0EEENS1_30default_config_static_selectorELNS0_4arch9wavefront6targetE1EEEvS17_.uses_vcc, 1
	.set _ZN7rocprim17ROCPRIM_400000_NS6detail17trampoline_kernelINS0_14default_configENS1_22reduce_config_selectorIN6thrust23THRUST_200600_302600_NS5tupleIblNS6_9null_typeES8_S8_S8_S8_S8_S8_S8_EEEEZNS1_11reduce_implILb1ES3_NS6_12zip_iteratorINS7_INS6_11hip_rocprim26transform_input_iterator_tIbPdNS6_6detail10functional5actorINSH_9compositeIJNSH_27transparent_binary_operatorINS6_8equal_toIvEEEENSI_INSH_8argumentILj0EEEEENSH_5valueIdEEEEEEEEENSD_19counting_iterator_tIlEES8_S8_S8_S8_S8_S8_S8_S8_EEEEPS9_S9_NSD_9__find_if7functorIS9_EEEE10hipError_tPvRmT1_T2_T3_mT4_P12ihipStream_tbEUlT_E1_NS1_11comp_targetILNS1_3genE2ELNS1_11target_archE906ELNS1_3gpuE6ELNS1_3repE0EEENS1_30default_config_static_selectorELNS0_4arch9wavefront6targetE1EEEvS17_.uses_flat_scratch, 0
	.set _ZN7rocprim17ROCPRIM_400000_NS6detail17trampoline_kernelINS0_14default_configENS1_22reduce_config_selectorIN6thrust23THRUST_200600_302600_NS5tupleIblNS6_9null_typeES8_S8_S8_S8_S8_S8_S8_EEEEZNS1_11reduce_implILb1ES3_NS6_12zip_iteratorINS7_INS6_11hip_rocprim26transform_input_iterator_tIbPdNS6_6detail10functional5actorINSH_9compositeIJNSH_27transparent_binary_operatorINS6_8equal_toIvEEEENSI_INSH_8argumentILj0EEEEENSH_5valueIdEEEEEEEEENSD_19counting_iterator_tIlEES8_S8_S8_S8_S8_S8_S8_S8_EEEEPS9_S9_NSD_9__find_if7functorIS9_EEEE10hipError_tPvRmT1_T2_T3_mT4_P12ihipStream_tbEUlT_E1_NS1_11comp_targetILNS1_3genE2ELNS1_11target_archE906ELNS1_3gpuE6ELNS1_3repE0EEENS1_30default_config_static_selectorELNS0_4arch9wavefront6targetE1EEEvS17_.has_dyn_sized_stack, 0
	.set _ZN7rocprim17ROCPRIM_400000_NS6detail17trampoline_kernelINS0_14default_configENS1_22reduce_config_selectorIN6thrust23THRUST_200600_302600_NS5tupleIblNS6_9null_typeES8_S8_S8_S8_S8_S8_S8_EEEEZNS1_11reduce_implILb1ES3_NS6_12zip_iteratorINS7_INS6_11hip_rocprim26transform_input_iterator_tIbPdNS6_6detail10functional5actorINSH_9compositeIJNSH_27transparent_binary_operatorINS6_8equal_toIvEEEENSI_INSH_8argumentILj0EEEEENSH_5valueIdEEEEEEEEENSD_19counting_iterator_tIlEES8_S8_S8_S8_S8_S8_S8_S8_EEEEPS9_S9_NSD_9__find_if7functorIS9_EEEE10hipError_tPvRmT1_T2_T3_mT4_P12ihipStream_tbEUlT_E1_NS1_11comp_targetILNS1_3genE2ELNS1_11target_archE906ELNS1_3gpuE6ELNS1_3repE0EEENS1_30default_config_static_selectorELNS0_4arch9wavefront6targetE1EEEvS17_.has_recursion, 0
	.set _ZN7rocprim17ROCPRIM_400000_NS6detail17trampoline_kernelINS0_14default_configENS1_22reduce_config_selectorIN6thrust23THRUST_200600_302600_NS5tupleIblNS6_9null_typeES8_S8_S8_S8_S8_S8_S8_EEEEZNS1_11reduce_implILb1ES3_NS6_12zip_iteratorINS7_INS6_11hip_rocprim26transform_input_iterator_tIbPdNS6_6detail10functional5actorINSH_9compositeIJNSH_27transparent_binary_operatorINS6_8equal_toIvEEEENSI_INSH_8argumentILj0EEEEENSH_5valueIdEEEEEEEEENSD_19counting_iterator_tIlEES8_S8_S8_S8_S8_S8_S8_S8_EEEEPS9_S9_NSD_9__find_if7functorIS9_EEEE10hipError_tPvRmT1_T2_T3_mT4_P12ihipStream_tbEUlT_E1_NS1_11comp_targetILNS1_3genE2ELNS1_11target_archE906ELNS1_3gpuE6ELNS1_3repE0EEENS1_30default_config_static_selectorELNS0_4arch9wavefront6targetE1EEEvS17_.has_indirect_call, 0
	.section	.AMDGPU.csdata,"",@progbits
; Kernel info:
; codeLenInByte = 12896
; TotalNumSgprs: 44
; NumVgprs: 28
; ScratchSize: 0
; MemoryBound: 0
; FloatMode: 240
; IeeeMode: 1
; LDSByteSize: 160 bytes/workgroup (compile time only)
; SGPRBlocks: 5
; VGPRBlocks: 6
; NumSGPRsForWavesPerEU: 44
; NumVGPRsForWavesPerEU: 28
; Occupancy: 9
; WaveLimiterHint : 1
; COMPUTE_PGM_RSRC2:SCRATCH_EN: 0
; COMPUTE_PGM_RSRC2:USER_SGPR: 6
; COMPUTE_PGM_RSRC2:TRAP_HANDLER: 0
; COMPUTE_PGM_RSRC2:TGID_X_EN: 1
; COMPUTE_PGM_RSRC2:TGID_Y_EN: 0
; COMPUTE_PGM_RSRC2:TGID_Z_EN: 0
; COMPUTE_PGM_RSRC2:TIDIG_COMP_CNT: 0
	.section	.text._ZN7rocprim17ROCPRIM_400000_NS6detail17trampoline_kernelINS0_14default_configENS1_22reduce_config_selectorIN6thrust23THRUST_200600_302600_NS5tupleIblNS6_9null_typeES8_S8_S8_S8_S8_S8_S8_EEEEZNS1_11reduce_implILb1ES3_NS6_12zip_iteratorINS7_INS6_11hip_rocprim26transform_input_iterator_tIbPdNS6_6detail10functional5actorINSH_9compositeIJNSH_27transparent_binary_operatorINS6_8equal_toIvEEEENSI_INSH_8argumentILj0EEEEENSH_5valueIdEEEEEEEEENSD_19counting_iterator_tIlEES8_S8_S8_S8_S8_S8_S8_S8_EEEEPS9_S9_NSD_9__find_if7functorIS9_EEEE10hipError_tPvRmT1_T2_T3_mT4_P12ihipStream_tbEUlT_E1_NS1_11comp_targetILNS1_3genE10ELNS1_11target_archE1201ELNS1_3gpuE5ELNS1_3repE0EEENS1_30default_config_static_selectorELNS0_4arch9wavefront6targetE1EEEvS17_,"axG",@progbits,_ZN7rocprim17ROCPRIM_400000_NS6detail17trampoline_kernelINS0_14default_configENS1_22reduce_config_selectorIN6thrust23THRUST_200600_302600_NS5tupleIblNS6_9null_typeES8_S8_S8_S8_S8_S8_S8_EEEEZNS1_11reduce_implILb1ES3_NS6_12zip_iteratorINS7_INS6_11hip_rocprim26transform_input_iterator_tIbPdNS6_6detail10functional5actorINSH_9compositeIJNSH_27transparent_binary_operatorINS6_8equal_toIvEEEENSI_INSH_8argumentILj0EEEEENSH_5valueIdEEEEEEEEENSD_19counting_iterator_tIlEES8_S8_S8_S8_S8_S8_S8_S8_EEEEPS9_S9_NSD_9__find_if7functorIS9_EEEE10hipError_tPvRmT1_T2_T3_mT4_P12ihipStream_tbEUlT_E1_NS1_11comp_targetILNS1_3genE10ELNS1_11target_archE1201ELNS1_3gpuE5ELNS1_3repE0EEENS1_30default_config_static_selectorELNS0_4arch9wavefront6targetE1EEEvS17_,comdat
	.protected	_ZN7rocprim17ROCPRIM_400000_NS6detail17trampoline_kernelINS0_14default_configENS1_22reduce_config_selectorIN6thrust23THRUST_200600_302600_NS5tupleIblNS6_9null_typeES8_S8_S8_S8_S8_S8_S8_EEEEZNS1_11reduce_implILb1ES3_NS6_12zip_iteratorINS7_INS6_11hip_rocprim26transform_input_iterator_tIbPdNS6_6detail10functional5actorINSH_9compositeIJNSH_27transparent_binary_operatorINS6_8equal_toIvEEEENSI_INSH_8argumentILj0EEEEENSH_5valueIdEEEEEEEEENSD_19counting_iterator_tIlEES8_S8_S8_S8_S8_S8_S8_S8_EEEEPS9_S9_NSD_9__find_if7functorIS9_EEEE10hipError_tPvRmT1_T2_T3_mT4_P12ihipStream_tbEUlT_E1_NS1_11comp_targetILNS1_3genE10ELNS1_11target_archE1201ELNS1_3gpuE5ELNS1_3repE0EEENS1_30default_config_static_selectorELNS0_4arch9wavefront6targetE1EEEvS17_ ; -- Begin function _ZN7rocprim17ROCPRIM_400000_NS6detail17trampoline_kernelINS0_14default_configENS1_22reduce_config_selectorIN6thrust23THRUST_200600_302600_NS5tupleIblNS6_9null_typeES8_S8_S8_S8_S8_S8_S8_EEEEZNS1_11reduce_implILb1ES3_NS6_12zip_iteratorINS7_INS6_11hip_rocprim26transform_input_iterator_tIbPdNS6_6detail10functional5actorINSH_9compositeIJNSH_27transparent_binary_operatorINS6_8equal_toIvEEEENSI_INSH_8argumentILj0EEEEENSH_5valueIdEEEEEEEEENSD_19counting_iterator_tIlEES8_S8_S8_S8_S8_S8_S8_S8_EEEEPS9_S9_NSD_9__find_if7functorIS9_EEEE10hipError_tPvRmT1_T2_T3_mT4_P12ihipStream_tbEUlT_E1_NS1_11comp_targetILNS1_3genE10ELNS1_11target_archE1201ELNS1_3gpuE5ELNS1_3repE0EEENS1_30default_config_static_selectorELNS0_4arch9wavefront6targetE1EEEvS17_
	.globl	_ZN7rocprim17ROCPRIM_400000_NS6detail17trampoline_kernelINS0_14default_configENS1_22reduce_config_selectorIN6thrust23THRUST_200600_302600_NS5tupleIblNS6_9null_typeES8_S8_S8_S8_S8_S8_S8_EEEEZNS1_11reduce_implILb1ES3_NS6_12zip_iteratorINS7_INS6_11hip_rocprim26transform_input_iterator_tIbPdNS6_6detail10functional5actorINSH_9compositeIJNSH_27transparent_binary_operatorINS6_8equal_toIvEEEENSI_INSH_8argumentILj0EEEEENSH_5valueIdEEEEEEEEENSD_19counting_iterator_tIlEES8_S8_S8_S8_S8_S8_S8_S8_EEEEPS9_S9_NSD_9__find_if7functorIS9_EEEE10hipError_tPvRmT1_T2_T3_mT4_P12ihipStream_tbEUlT_E1_NS1_11comp_targetILNS1_3genE10ELNS1_11target_archE1201ELNS1_3gpuE5ELNS1_3repE0EEENS1_30default_config_static_selectorELNS0_4arch9wavefront6targetE1EEEvS17_
	.p2align	8
	.type	_ZN7rocprim17ROCPRIM_400000_NS6detail17trampoline_kernelINS0_14default_configENS1_22reduce_config_selectorIN6thrust23THRUST_200600_302600_NS5tupleIblNS6_9null_typeES8_S8_S8_S8_S8_S8_S8_EEEEZNS1_11reduce_implILb1ES3_NS6_12zip_iteratorINS7_INS6_11hip_rocprim26transform_input_iterator_tIbPdNS6_6detail10functional5actorINSH_9compositeIJNSH_27transparent_binary_operatorINS6_8equal_toIvEEEENSI_INSH_8argumentILj0EEEEENSH_5valueIdEEEEEEEEENSD_19counting_iterator_tIlEES8_S8_S8_S8_S8_S8_S8_S8_EEEEPS9_S9_NSD_9__find_if7functorIS9_EEEE10hipError_tPvRmT1_T2_T3_mT4_P12ihipStream_tbEUlT_E1_NS1_11comp_targetILNS1_3genE10ELNS1_11target_archE1201ELNS1_3gpuE5ELNS1_3repE0EEENS1_30default_config_static_selectorELNS0_4arch9wavefront6targetE1EEEvS17_,@function
_ZN7rocprim17ROCPRIM_400000_NS6detail17trampoline_kernelINS0_14default_configENS1_22reduce_config_selectorIN6thrust23THRUST_200600_302600_NS5tupleIblNS6_9null_typeES8_S8_S8_S8_S8_S8_S8_EEEEZNS1_11reduce_implILb1ES3_NS6_12zip_iteratorINS7_INS6_11hip_rocprim26transform_input_iterator_tIbPdNS6_6detail10functional5actorINSH_9compositeIJNSH_27transparent_binary_operatorINS6_8equal_toIvEEEENSI_INSH_8argumentILj0EEEEENSH_5valueIdEEEEEEEEENSD_19counting_iterator_tIlEES8_S8_S8_S8_S8_S8_S8_S8_EEEEPS9_S9_NSD_9__find_if7functorIS9_EEEE10hipError_tPvRmT1_T2_T3_mT4_P12ihipStream_tbEUlT_E1_NS1_11comp_targetILNS1_3genE10ELNS1_11target_archE1201ELNS1_3gpuE5ELNS1_3repE0EEENS1_30default_config_static_selectorELNS0_4arch9wavefront6targetE1EEEvS17_: ; @_ZN7rocprim17ROCPRIM_400000_NS6detail17trampoline_kernelINS0_14default_configENS1_22reduce_config_selectorIN6thrust23THRUST_200600_302600_NS5tupleIblNS6_9null_typeES8_S8_S8_S8_S8_S8_S8_EEEEZNS1_11reduce_implILb1ES3_NS6_12zip_iteratorINS7_INS6_11hip_rocprim26transform_input_iterator_tIbPdNS6_6detail10functional5actorINSH_9compositeIJNSH_27transparent_binary_operatorINS6_8equal_toIvEEEENSI_INSH_8argumentILj0EEEEENSH_5valueIdEEEEEEEEENSD_19counting_iterator_tIlEES8_S8_S8_S8_S8_S8_S8_S8_EEEEPS9_S9_NSD_9__find_if7functorIS9_EEEE10hipError_tPvRmT1_T2_T3_mT4_P12ihipStream_tbEUlT_E1_NS1_11comp_targetILNS1_3genE10ELNS1_11target_archE1201ELNS1_3gpuE5ELNS1_3repE0EEENS1_30default_config_static_selectorELNS0_4arch9wavefront6targetE1EEEvS17_
; %bb.0:
	.section	.rodata,"a",@progbits
	.p2align	6, 0x0
	.amdhsa_kernel _ZN7rocprim17ROCPRIM_400000_NS6detail17trampoline_kernelINS0_14default_configENS1_22reduce_config_selectorIN6thrust23THRUST_200600_302600_NS5tupleIblNS6_9null_typeES8_S8_S8_S8_S8_S8_S8_EEEEZNS1_11reduce_implILb1ES3_NS6_12zip_iteratorINS7_INS6_11hip_rocprim26transform_input_iterator_tIbPdNS6_6detail10functional5actorINSH_9compositeIJNSH_27transparent_binary_operatorINS6_8equal_toIvEEEENSI_INSH_8argumentILj0EEEEENSH_5valueIdEEEEEEEEENSD_19counting_iterator_tIlEES8_S8_S8_S8_S8_S8_S8_S8_EEEEPS9_S9_NSD_9__find_if7functorIS9_EEEE10hipError_tPvRmT1_T2_T3_mT4_P12ihipStream_tbEUlT_E1_NS1_11comp_targetILNS1_3genE10ELNS1_11target_archE1201ELNS1_3gpuE5ELNS1_3repE0EEENS1_30default_config_static_selectorELNS0_4arch9wavefront6targetE1EEEvS17_
		.amdhsa_group_segment_fixed_size 0
		.amdhsa_private_segment_fixed_size 0
		.amdhsa_kernarg_size 80
		.amdhsa_user_sgpr_count 6
		.amdhsa_user_sgpr_private_segment_buffer 1
		.amdhsa_user_sgpr_dispatch_ptr 0
		.amdhsa_user_sgpr_queue_ptr 0
		.amdhsa_user_sgpr_kernarg_segment_ptr 1
		.amdhsa_user_sgpr_dispatch_id 0
		.amdhsa_user_sgpr_flat_scratch_init 0
		.amdhsa_user_sgpr_private_segment_size 0
		.amdhsa_uses_dynamic_stack 0
		.amdhsa_system_sgpr_private_segment_wavefront_offset 0
		.amdhsa_system_sgpr_workgroup_id_x 1
		.amdhsa_system_sgpr_workgroup_id_y 0
		.amdhsa_system_sgpr_workgroup_id_z 0
		.amdhsa_system_sgpr_workgroup_info 0
		.amdhsa_system_vgpr_workitem_id 0
		.amdhsa_next_free_vgpr 1
		.amdhsa_next_free_sgpr 0
		.amdhsa_reserve_vcc 0
		.amdhsa_reserve_flat_scratch 0
		.amdhsa_float_round_mode_32 0
		.amdhsa_float_round_mode_16_64 0
		.amdhsa_float_denorm_mode_32 3
		.amdhsa_float_denorm_mode_16_64 3
		.amdhsa_dx10_clamp 1
		.amdhsa_ieee_mode 1
		.amdhsa_fp16_overflow 0
		.amdhsa_exception_fp_ieee_invalid_op 0
		.amdhsa_exception_fp_denorm_src 0
		.amdhsa_exception_fp_ieee_div_zero 0
		.amdhsa_exception_fp_ieee_overflow 0
		.amdhsa_exception_fp_ieee_underflow 0
		.amdhsa_exception_fp_ieee_inexact 0
		.amdhsa_exception_int_div_zero 0
	.end_amdhsa_kernel
	.section	.text._ZN7rocprim17ROCPRIM_400000_NS6detail17trampoline_kernelINS0_14default_configENS1_22reduce_config_selectorIN6thrust23THRUST_200600_302600_NS5tupleIblNS6_9null_typeES8_S8_S8_S8_S8_S8_S8_EEEEZNS1_11reduce_implILb1ES3_NS6_12zip_iteratorINS7_INS6_11hip_rocprim26transform_input_iterator_tIbPdNS6_6detail10functional5actorINSH_9compositeIJNSH_27transparent_binary_operatorINS6_8equal_toIvEEEENSI_INSH_8argumentILj0EEEEENSH_5valueIdEEEEEEEEENSD_19counting_iterator_tIlEES8_S8_S8_S8_S8_S8_S8_S8_EEEEPS9_S9_NSD_9__find_if7functorIS9_EEEE10hipError_tPvRmT1_T2_T3_mT4_P12ihipStream_tbEUlT_E1_NS1_11comp_targetILNS1_3genE10ELNS1_11target_archE1201ELNS1_3gpuE5ELNS1_3repE0EEENS1_30default_config_static_selectorELNS0_4arch9wavefront6targetE1EEEvS17_,"axG",@progbits,_ZN7rocprim17ROCPRIM_400000_NS6detail17trampoline_kernelINS0_14default_configENS1_22reduce_config_selectorIN6thrust23THRUST_200600_302600_NS5tupleIblNS6_9null_typeES8_S8_S8_S8_S8_S8_S8_EEEEZNS1_11reduce_implILb1ES3_NS6_12zip_iteratorINS7_INS6_11hip_rocprim26transform_input_iterator_tIbPdNS6_6detail10functional5actorINSH_9compositeIJNSH_27transparent_binary_operatorINS6_8equal_toIvEEEENSI_INSH_8argumentILj0EEEEENSH_5valueIdEEEEEEEEENSD_19counting_iterator_tIlEES8_S8_S8_S8_S8_S8_S8_S8_EEEEPS9_S9_NSD_9__find_if7functorIS9_EEEE10hipError_tPvRmT1_T2_T3_mT4_P12ihipStream_tbEUlT_E1_NS1_11comp_targetILNS1_3genE10ELNS1_11target_archE1201ELNS1_3gpuE5ELNS1_3repE0EEENS1_30default_config_static_selectorELNS0_4arch9wavefront6targetE1EEEvS17_,comdat
.Lfunc_end1738:
	.size	_ZN7rocprim17ROCPRIM_400000_NS6detail17trampoline_kernelINS0_14default_configENS1_22reduce_config_selectorIN6thrust23THRUST_200600_302600_NS5tupleIblNS6_9null_typeES8_S8_S8_S8_S8_S8_S8_EEEEZNS1_11reduce_implILb1ES3_NS6_12zip_iteratorINS7_INS6_11hip_rocprim26transform_input_iterator_tIbPdNS6_6detail10functional5actorINSH_9compositeIJNSH_27transparent_binary_operatorINS6_8equal_toIvEEEENSI_INSH_8argumentILj0EEEEENSH_5valueIdEEEEEEEEENSD_19counting_iterator_tIlEES8_S8_S8_S8_S8_S8_S8_S8_EEEEPS9_S9_NSD_9__find_if7functorIS9_EEEE10hipError_tPvRmT1_T2_T3_mT4_P12ihipStream_tbEUlT_E1_NS1_11comp_targetILNS1_3genE10ELNS1_11target_archE1201ELNS1_3gpuE5ELNS1_3repE0EEENS1_30default_config_static_selectorELNS0_4arch9wavefront6targetE1EEEvS17_, .Lfunc_end1738-_ZN7rocprim17ROCPRIM_400000_NS6detail17trampoline_kernelINS0_14default_configENS1_22reduce_config_selectorIN6thrust23THRUST_200600_302600_NS5tupleIblNS6_9null_typeES8_S8_S8_S8_S8_S8_S8_EEEEZNS1_11reduce_implILb1ES3_NS6_12zip_iteratorINS7_INS6_11hip_rocprim26transform_input_iterator_tIbPdNS6_6detail10functional5actorINSH_9compositeIJNSH_27transparent_binary_operatorINS6_8equal_toIvEEEENSI_INSH_8argumentILj0EEEEENSH_5valueIdEEEEEEEEENSD_19counting_iterator_tIlEES8_S8_S8_S8_S8_S8_S8_S8_EEEEPS9_S9_NSD_9__find_if7functorIS9_EEEE10hipError_tPvRmT1_T2_T3_mT4_P12ihipStream_tbEUlT_E1_NS1_11comp_targetILNS1_3genE10ELNS1_11target_archE1201ELNS1_3gpuE5ELNS1_3repE0EEENS1_30default_config_static_selectorELNS0_4arch9wavefront6targetE1EEEvS17_
                                        ; -- End function
	.set _ZN7rocprim17ROCPRIM_400000_NS6detail17trampoline_kernelINS0_14default_configENS1_22reduce_config_selectorIN6thrust23THRUST_200600_302600_NS5tupleIblNS6_9null_typeES8_S8_S8_S8_S8_S8_S8_EEEEZNS1_11reduce_implILb1ES3_NS6_12zip_iteratorINS7_INS6_11hip_rocprim26transform_input_iterator_tIbPdNS6_6detail10functional5actorINSH_9compositeIJNSH_27transparent_binary_operatorINS6_8equal_toIvEEEENSI_INSH_8argumentILj0EEEEENSH_5valueIdEEEEEEEEENSD_19counting_iterator_tIlEES8_S8_S8_S8_S8_S8_S8_S8_EEEEPS9_S9_NSD_9__find_if7functorIS9_EEEE10hipError_tPvRmT1_T2_T3_mT4_P12ihipStream_tbEUlT_E1_NS1_11comp_targetILNS1_3genE10ELNS1_11target_archE1201ELNS1_3gpuE5ELNS1_3repE0EEENS1_30default_config_static_selectorELNS0_4arch9wavefront6targetE1EEEvS17_.num_vgpr, 0
	.set _ZN7rocprim17ROCPRIM_400000_NS6detail17trampoline_kernelINS0_14default_configENS1_22reduce_config_selectorIN6thrust23THRUST_200600_302600_NS5tupleIblNS6_9null_typeES8_S8_S8_S8_S8_S8_S8_EEEEZNS1_11reduce_implILb1ES3_NS6_12zip_iteratorINS7_INS6_11hip_rocprim26transform_input_iterator_tIbPdNS6_6detail10functional5actorINSH_9compositeIJNSH_27transparent_binary_operatorINS6_8equal_toIvEEEENSI_INSH_8argumentILj0EEEEENSH_5valueIdEEEEEEEEENSD_19counting_iterator_tIlEES8_S8_S8_S8_S8_S8_S8_S8_EEEEPS9_S9_NSD_9__find_if7functorIS9_EEEE10hipError_tPvRmT1_T2_T3_mT4_P12ihipStream_tbEUlT_E1_NS1_11comp_targetILNS1_3genE10ELNS1_11target_archE1201ELNS1_3gpuE5ELNS1_3repE0EEENS1_30default_config_static_selectorELNS0_4arch9wavefront6targetE1EEEvS17_.num_agpr, 0
	.set _ZN7rocprim17ROCPRIM_400000_NS6detail17trampoline_kernelINS0_14default_configENS1_22reduce_config_selectorIN6thrust23THRUST_200600_302600_NS5tupleIblNS6_9null_typeES8_S8_S8_S8_S8_S8_S8_EEEEZNS1_11reduce_implILb1ES3_NS6_12zip_iteratorINS7_INS6_11hip_rocprim26transform_input_iterator_tIbPdNS6_6detail10functional5actorINSH_9compositeIJNSH_27transparent_binary_operatorINS6_8equal_toIvEEEENSI_INSH_8argumentILj0EEEEENSH_5valueIdEEEEEEEEENSD_19counting_iterator_tIlEES8_S8_S8_S8_S8_S8_S8_S8_EEEEPS9_S9_NSD_9__find_if7functorIS9_EEEE10hipError_tPvRmT1_T2_T3_mT4_P12ihipStream_tbEUlT_E1_NS1_11comp_targetILNS1_3genE10ELNS1_11target_archE1201ELNS1_3gpuE5ELNS1_3repE0EEENS1_30default_config_static_selectorELNS0_4arch9wavefront6targetE1EEEvS17_.numbered_sgpr, 0
	.set _ZN7rocprim17ROCPRIM_400000_NS6detail17trampoline_kernelINS0_14default_configENS1_22reduce_config_selectorIN6thrust23THRUST_200600_302600_NS5tupleIblNS6_9null_typeES8_S8_S8_S8_S8_S8_S8_EEEEZNS1_11reduce_implILb1ES3_NS6_12zip_iteratorINS7_INS6_11hip_rocprim26transform_input_iterator_tIbPdNS6_6detail10functional5actorINSH_9compositeIJNSH_27transparent_binary_operatorINS6_8equal_toIvEEEENSI_INSH_8argumentILj0EEEEENSH_5valueIdEEEEEEEEENSD_19counting_iterator_tIlEES8_S8_S8_S8_S8_S8_S8_S8_EEEEPS9_S9_NSD_9__find_if7functorIS9_EEEE10hipError_tPvRmT1_T2_T3_mT4_P12ihipStream_tbEUlT_E1_NS1_11comp_targetILNS1_3genE10ELNS1_11target_archE1201ELNS1_3gpuE5ELNS1_3repE0EEENS1_30default_config_static_selectorELNS0_4arch9wavefront6targetE1EEEvS17_.num_named_barrier, 0
	.set _ZN7rocprim17ROCPRIM_400000_NS6detail17trampoline_kernelINS0_14default_configENS1_22reduce_config_selectorIN6thrust23THRUST_200600_302600_NS5tupleIblNS6_9null_typeES8_S8_S8_S8_S8_S8_S8_EEEEZNS1_11reduce_implILb1ES3_NS6_12zip_iteratorINS7_INS6_11hip_rocprim26transform_input_iterator_tIbPdNS6_6detail10functional5actorINSH_9compositeIJNSH_27transparent_binary_operatorINS6_8equal_toIvEEEENSI_INSH_8argumentILj0EEEEENSH_5valueIdEEEEEEEEENSD_19counting_iterator_tIlEES8_S8_S8_S8_S8_S8_S8_S8_EEEEPS9_S9_NSD_9__find_if7functorIS9_EEEE10hipError_tPvRmT1_T2_T3_mT4_P12ihipStream_tbEUlT_E1_NS1_11comp_targetILNS1_3genE10ELNS1_11target_archE1201ELNS1_3gpuE5ELNS1_3repE0EEENS1_30default_config_static_selectorELNS0_4arch9wavefront6targetE1EEEvS17_.private_seg_size, 0
	.set _ZN7rocprim17ROCPRIM_400000_NS6detail17trampoline_kernelINS0_14default_configENS1_22reduce_config_selectorIN6thrust23THRUST_200600_302600_NS5tupleIblNS6_9null_typeES8_S8_S8_S8_S8_S8_S8_EEEEZNS1_11reduce_implILb1ES3_NS6_12zip_iteratorINS7_INS6_11hip_rocprim26transform_input_iterator_tIbPdNS6_6detail10functional5actorINSH_9compositeIJNSH_27transparent_binary_operatorINS6_8equal_toIvEEEENSI_INSH_8argumentILj0EEEEENSH_5valueIdEEEEEEEEENSD_19counting_iterator_tIlEES8_S8_S8_S8_S8_S8_S8_S8_EEEEPS9_S9_NSD_9__find_if7functorIS9_EEEE10hipError_tPvRmT1_T2_T3_mT4_P12ihipStream_tbEUlT_E1_NS1_11comp_targetILNS1_3genE10ELNS1_11target_archE1201ELNS1_3gpuE5ELNS1_3repE0EEENS1_30default_config_static_selectorELNS0_4arch9wavefront6targetE1EEEvS17_.uses_vcc, 0
	.set _ZN7rocprim17ROCPRIM_400000_NS6detail17trampoline_kernelINS0_14default_configENS1_22reduce_config_selectorIN6thrust23THRUST_200600_302600_NS5tupleIblNS6_9null_typeES8_S8_S8_S8_S8_S8_S8_EEEEZNS1_11reduce_implILb1ES3_NS6_12zip_iteratorINS7_INS6_11hip_rocprim26transform_input_iterator_tIbPdNS6_6detail10functional5actorINSH_9compositeIJNSH_27transparent_binary_operatorINS6_8equal_toIvEEEENSI_INSH_8argumentILj0EEEEENSH_5valueIdEEEEEEEEENSD_19counting_iterator_tIlEES8_S8_S8_S8_S8_S8_S8_S8_EEEEPS9_S9_NSD_9__find_if7functorIS9_EEEE10hipError_tPvRmT1_T2_T3_mT4_P12ihipStream_tbEUlT_E1_NS1_11comp_targetILNS1_3genE10ELNS1_11target_archE1201ELNS1_3gpuE5ELNS1_3repE0EEENS1_30default_config_static_selectorELNS0_4arch9wavefront6targetE1EEEvS17_.uses_flat_scratch, 0
	.set _ZN7rocprim17ROCPRIM_400000_NS6detail17trampoline_kernelINS0_14default_configENS1_22reduce_config_selectorIN6thrust23THRUST_200600_302600_NS5tupleIblNS6_9null_typeES8_S8_S8_S8_S8_S8_S8_EEEEZNS1_11reduce_implILb1ES3_NS6_12zip_iteratorINS7_INS6_11hip_rocprim26transform_input_iterator_tIbPdNS6_6detail10functional5actorINSH_9compositeIJNSH_27transparent_binary_operatorINS6_8equal_toIvEEEENSI_INSH_8argumentILj0EEEEENSH_5valueIdEEEEEEEEENSD_19counting_iterator_tIlEES8_S8_S8_S8_S8_S8_S8_S8_EEEEPS9_S9_NSD_9__find_if7functorIS9_EEEE10hipError_tPvRmT1_T2_T3_mT4_P12ihipStream_tbEUlT_E1_NS1_11comp_targetILNS1_3genE10ELNS1_11target_archE1201ELNS1_3gpuE5ELNS1_3repE0EEENS1_30default_config_static_selectorELNS0_4arch9wavefront6targetE1EEEvS17_.has_dyn_sized_stack, 0
	.set _ZN7rocprim17ROCPRIM_400000_NS6detail17trampoline_kernelINS0_14default_configENS1_22reduce_config_selectorIN6thrust23THRUST_200600_302600_NS5tupleIblNS6_9null_typeES8_S8_S8_S8_S8_S8_S8_EEEEZNS1_11reduce_implILb1ES3_NS6_12zip_iteratorINS7_INS6_11hip_rocprim26transform_input_iterator_tIbPdNS6_6detail10functional5actorINSH_9compositeIJNSH_27transparent_binary_operatorINS6_8equal_toIvEEEENSI_INSH_8argumentILj0EEEEENSH_5valueIdEEEEEEEEENSD_19counting_iterator_tIlEES8_S8_S8_S8_S8_S8_S8_S8_EEEEPS9_S9_NSD_9__find_if7functorIS9_EEEE10hipError_tPvRmT1_T2_T3_mT4_P12ihipStream_tbEUlT_E1_NS1_11comp_targetILNS1_3genE10ELNS1_11target_archE1201ELNS1_3gpuE5ELNS1_3repE0EEENS1_30default_config_static_selectorELNS0_4arch9wavefront6targetE1EEEvS17_.has_recursion, 0
	.set _ZN7rocprim17ROCPRIM_400000_NS6detail17trampoline_kernelINS0_14default_configENS1_22reduce_config_selectorIN6thrust23THRUST_200600_302600_NS5tupleIblNS6_9null_typeES8_S8_S8_S8_S8_S8_S8_EEEEZNS1_11reduce_implILb1ES3_NS6_12zip_iteratorINS7_INS6_11hip_rocprim26transform_input_iterator_tIbPdNS6_6detail10functional5actorINSH_9compositeIJNSH_27transparent_binary_operatorINS6_8equal_toIvEEEENSI_INSH_8argumentILj0EEEEENSH_5valueIdEEEEEEEEENSD_19counting_iterator_tIlEES8_S8_S8_S8_S8_S8_S8_S8_EEEEPS9_S9_NSD_9__find_if7functorIS9_EEEE10hipError_tPvRmT1_T2_T3_mT4_P12ihipStream_tbEUlT_E1_NS1_11comp_targetILNS1_3genE10ELNS1_11target_archE1201ELNS1_3gpuE5ELNS1_3repE0EEENS1_30default_config_static_selectorELNS0_4arch9wavefront6targetE1EEEvS17_.has_indirect_call, 0
	.section	.AMDGPU.csdata,"",@progbits
; Kernel info:
; codeLenInByte = 0
; TotalNumSgprs: 4
; NumVgprs: 0
; ScratchSize: 0
; MemoryBound: 0
; FloatMode: 240
; IeeeMode: 1
; LDSByteSize: 0 bytes/workgroup (compile time only)
; SGPRBlocks: 0
; VGPRBlocks: 0
; NumSGPRsForWavesPerEU: 4
; NumVGPRsForWavesPerEU: 1
; Occupancy: 10
; WaveLimiterHint : 0
; COMPUTE_PGM_RSRC2:SCRATCH_EN: 0
; COMPUTE_PGM_RSRC2:USER_SGPR: 6
; COMPUTE_PGM_RSRC2:TRAP_HANDLER: 0
; COMPUTE_PGM_RSRC2:TGID_X_EN: 1
; COMPUTE_PGM_RSRC2:TGID_Y_EN: 0
; COMPUTE_PGM_RSRC2:TGID_Z_EN: 0
; COMPUTE_PGM_RSRC2:TIDIG_COMP_CNT: 0
	.section	.text._ZN7rocprim17ROCPRIM_400000_NS6detail17trampoline_kernelINS0_14default_configENS1_22reduce_config_selectorIN6thrust23THRUST_200600_302600_NS5tupleIblNS6_9null_typeES8_S8_S8_S8_S8_S8_S8_EEEEZNS1_11reduce_implILb1ES3_NS6_12zip_iteratorINS7_INS6_11hip_rocprim26transform_input_iterator_tIbPdNS6_6detail10functional5actorINSH_9compositeIJNSH_27transparent_binary_operatorINS6_8equal_toIvEEEENSI_INSH_8argumentILj0EEEEENSH_5valueIdEEEEEEEEENSD_19counting_iterator_tIlEES8_S8_S8_S8_S8_S8_S8_S8_EEEEPS9_S9_NSD_9__find_if7functorIS9_EEEE10hipError_tPvRmT1_T2_T3_mT4_P12ihipStream_tbEUlT_E1_NS1_11comp_targetILNS1_3genE10ELNS1_11target_archE1200ELNS1_3gpuE4ELNS1_3repE0EEENS1_30default_config_static_selectorELNS0_4arch9wavefront6targetE1EEEvS17_,"axG",@progbits,_ZN7rocprim17ROCPRIM_400000_NS6detail17trampoline_kernelINS0_14default_configENS1_22reduce_config_selectorIN6thrust23THRUST_200600_302600_NS5tupleIblNS6_9null_typeES8_S8_S8_S8_S8_S8_S8_EEEEZNS1_11reduce_implILb1ES3_NS6_12zip_iteratorINS7_INS6_11hip_rocprim26transform_input_iterator_tIbPdNS6_6detail10functional5actorINSH_9compositeIJNSH_27transparent_binary_operatorINS6_8equal_toIvEEEENSI_INSH_8argumentILj0EEEEENSH_5valueIdEEEEEEEEENSD_19counting_iterator_tIlEES8_S8_S8_S8_S8_S8_S8_S8_EEEEPS9_S9_NSD_9__find_if7functorIS9_EEEE10hipError_tPvRmT1_T2_T3_mT4_P12ihipStream_tbEUlT_E1_NS1_11comp_targetILNS1_3genE10ELNS1_11target_archE1200ELNS1_3gpuE4ELNS1_3repE0EEENS1_30default_config_static_selectorELNS0_4arch9wavefront6targetE1EEEvS17_,comdat
	.protected	_ZN7rocprim17ROCPRIM_400000_NS6detail17trampoline_kernelINS0_14default_configENS1_22reduce_config_selectorIN6thrust23THRUST_200600_302600_NS5tupleIblNS6_9null_typeES8_S8_S8_S8_S8_S8_S8_EEEEZNS1_11reduce_implILb1ES3_NS6_12zip_iteratorINS7_INS6_11hip_rocprim26transform_input_iterator_tIbPdNS6_6detail10functional5actorINSH_9compositeIJNSH_27transparent_binary_operatorINS6_8equal_toIvEEEENSI_INSH_8argumentILj0EEEEENSH_5valueIdEEEEEEEEENSD_19counting_iterator_tIlEES8_S8_S8_S8_S8_S8_S8_S8_EEEEPS9_S9_NSD_9__find_if7functorIS9_EEEE10hipError_tPvRmT1_T2_T3_mT4_P12ihipStream_tbEUlT_E1_NS1_11comp_targetILNS1_3genE10ELNS1_11target_archE1200ELNS1_3gpuE4ELNS1_3repE0EEENS1_30default_config_static_selectorELNS0_4arch9wavefront6targetE1EEEvS17_ ; -- Begin function _ZN7rocprim17ROCPRIM_400000_NS6detail17trampoline_kernelINS0_14default_configENS1_22reduce_config_selectorIN6thrust23THRUST_200600_302600_NS5tupleIblNS6_9null_typeES8_S8_S8_S8_S8_S8_S8_EEEEZNS1_11reduce_implILb1ES3_NS6_12zip_iteratorINS7_INS6_11hip_rocprim26transform_input_iterator_tIbPdNS6_6detail10functional5actorINSH_9compositeIJNSH_27transparent_binary_operatorINS6_8equal_toIvEEEENSI_INSH_8argumentILj0EEEEENSH_5valueIdEEEEEEEEENSD_19counting_iterator_tIlEES8_S8_S8_S8_S8_S8_S8_S8_EEEEPS9_S9_NSD_9__find_if7functorIS9_EEEE10hipError_tPvRmT1_T2_T3_mT4_P12ihipStream_tbEUlT_E1_NS1_11comp_targetILNS1_3genE10ELNS1_11target_archE1200ELNS1_3gpuE4ELNS1_3repE0EEENS1_30default_config_static_selectorELNS0_4arch9wavefront6targetE1EEEvS17_
	.globl	_ZN7rocprim17ROCPRIM_400000_NS6detail17trampoline_kernelINS0_14default_configENS1_22reduce_config_selectorIN6thrust23THRUST_200600_302600_NS5tupleIblNS6_9null_typeES8_S8_S8_S8_S8_S8_S8_EEEEZNS1_11reduce_implILb1ES3_NS6_12zip_iteratorINS7_INS6_11hip_rocprim26transform_input_iterator_tIbPdNS6_6detail10functional5actorINSH_9compositeIJNSH_27transparent_binary_operatorINS6_8equal_toIvEEEENSI_INSH_8argumentILj0EEEEENSH_5valueIdEEEEEEEEENSD_19counting_iterator_tIlEES8_S8_S8_S8_S8_S8_S8_S8_EEEEPS9_S9_NSD_9__find_if7functorIS9_EEEE10hipError_tPvRmT1_T2_T3_mT4_P12ihipStream_tbEUlT_E1_NS1_11comp_targetILNS1_3genE10ELNS1_11target_archE1200ELNS1_3gpuE4ELNS1_3repE0EEENS1_30default_config_static_selectorELNS0_4arch9wavefront6targetE1EEEvS17_
	.p2align	8
	.type	_ZN7rocprim17ROCPRIM_400000_NS6detail17trampoline_kernelINS0_14default_configENS1_22reduce_config_selectorIN6thrust23THRUST_200600_302600_NS5tupleIblNS6_9null_typeES8_S8_S8_S8_S8_S8_S8_EEEEZNS1_11reduce_implILb1ES3_NS6_12zip_iteratorINS7_INS6_11hip_rocprim26transform_input_iterator_tIbPdNS6_6detail10functional5actorINSH_9compositeIJNSH_27transparent_binary_operatorINS6_8equal_toIvEEEENSI_INSH_8argumentILj0EEEEENSH_5valueIdEEEEEEEEENSD_19counting_iterator_tIlEES8_S8_S8_S8_S8_S8_S8_S8_EEEEPS9_S9_NSD_9__find_if7functorIS9_EEEE10hipError_tPvRmT1_T2_T3_mT4_P12ihipStream_tbEUlT_E1_NS1_11comp_targetILNS1_3genE10ELNS1_11target_archE1200ELNS1_3gpuE4ELNS1_3repE0EEENS1_30default_config_static_selectorELNS0_4arch9wavefront6targetE1EEEvS17_,@function
_ZN7rocprim17ROCPRIM_400000_NS6detail17trampoline_kernelINS0_14default_configENS1_22reduce_config_selectorIN6thrust23THRUST_200600_302600_NS5tupleIblNS6_9null_typeES8_S8_S8_S8_S8_S8_S8_EEEEZNS1_11reduce_implILb1ES3_NS6_12zip_iteratorINS7_INS6_11hip_rocprim26transform_input_iterator_tIbPdNS6_6detail10functional5actorINSH_9compositeIJNSH_27transparent_binary_operatorINS6_8equal_toIvEEEENSI_INSH_8argumentILj0EEEEENSH_5valueIdEEEEEEEEENSD_19counting_iterator_tIlEES8_S8_S8_S8_S8_S8_S8_S8_EEEEPS9_S9_NSD_9__find_if7functorIS9_EEEE10hipError_tPvRmT1_T2_T3_mT4_P12ihipStream_tbEUlT_E1_NS1_11comp_targetILNS1_3genE10ELNS1_11target_archE1200ELNS1_3gpuE4ELNS1_3repE0EEENS1_30default_config_static_selectorELNS0_4arch9wavefront6targetE1EEEvS17_: ; @_ZN7rocprim17ROCPRIM_400000_NS6detail17trampoline_kernelINS0_14default_configENS1_22reduce_config_selectorIN6thrust23THRUST_200600_302600_NS5tupleIblNS6_9null_typeES8_S8_S8_S8_S8_S8_S8_EEEEZNS1_11reduce_implILb1ES3_NS6_12zip_iteratorINS7_INS6_11hip_rocprim26transform_input_iterator_tIbPdNS6_6detail10functional5actorINSH_9compositeIJNSH_27transparent_binary_operatorINS6_8equal_toIvEEEENSI_INSH_8argumentILj0EEEEENSH_5valueIdEEEEEEEEENSD_19counting_iterator_tIlEES8_S8_S8_S8_S8_S8_S8_S8_EEEEPS9_S9_NSD_9__find_if7functorIS9_EEEE10hipError_tPvRmT1_T2_T3_mT4_P12ihipStream_tbEUlT_E1_NS1_11comp_targetILNS1_3genE10ELNS1_11target_archE1200ELNS1_3gpuE4ELNS1_3repE0EEENS1_30default_config_static_selectorELNS0_4arch9wavefront6targetE1EEEvS17_
; %bb.0:
	.section	.rodata,"a",@progbits
	.p2align	6, 0x0
	.amdhsa_kernel _ZN7rocprim17ROCPRIM_400000_NS6detail17trampoline_kernelINS0_14default_configENS1_22reduce_config_selectorIN6thrust23THRUST_200600_302600_NS5tupleIblNS6_9null_typeES8_S8_S8_S8_S8_S8_S8_EEEEZNS1_11reduce_implILb1ES3_NS6_12zip_iteratorINS7_INS6_11hip_rocprim26transform_input_iterator_tIbPdNS6_6detail10functional5actorINSH_9compositeIJNSH_27transparent_binary_operatorINS6_8equal_toIvEEEENSI_INSH_8argumentILj0EEEEENSH_5valueIdEEEEEEEEENSD_19counting_iterator_tIlEES8_S8_S8_S8_S8_S8_S8_S8_EEEEPS9_S9_NSD_9__find_if7functorIS9_EEEE10hipError_tPvRmT1_T2_T3_mT4_P12ihipStream_tbEUlT_E1_NS1_11comp_targetILNS1_3genE10ELNS1_11target_archE1200ELNS1_3gpuE4ELNS1_3repE0EEENS1_30default_config_static_selectorELNS0_4arch9wavefront6targetE1EEEvS17_
		.amdhsa_group_segment_fixed_size 0
		.amdhsa_private_segment_fixed_size 0
		.amdhsa_kernarg_size 80
		.amdhsa_user_sgpr_count 6
		.amdhsa_user_sgpr_private_segment_buffer 1
		.amdhsa_user_sgpr_dispatch_ptr 0
		.amdhsa_user_sgpr_queue_ptr 0
		.amdhsa_user_sgpr_kernarg_segment_ptr 1
		.amdhsa_user_sgpr_dispatch_id 0
		.amdhsa_user_sgpr_flat_scratch_init 0
		.amdhsa_user_sgpr_private_segment_size 0
		.amdhsa_uses_dynamic_stack 0
		.amdhsa_system_sgpr_private_segment_wavefront_offset 0
		.amdhsa_system_sgpr_workgroup_id_x 1
		.amdhsa_system_sgpr_workgroup_id_y 0
		.amdhsa_system_sgpr_workgroup_id_z 0
		.amdhsa_system_sgpr_workgroup_info 0
		.amdhsa_system_vgpr_workitem_id 0
		.amdhsa_next_free_vgpr 1
		.amdhsa_next_free_sgpr 0
		.amdhsa_reserve_vcc 0
		.amdhsa_reserve_flat_scratch 0
		.amdhsa_float_round_mode_32 0
		.amdhsa_float_round_mode_16_64 0
		.amdhsa_float_denorm_mode_32 3
		.amdhsa_float_denorm_mode_16_64 3
		.amdhsa_dx10_clamp 1
		.amdhsa_ieee_mode 1
		.amdhsa_fp16_overflow 0
		.amdhsa_exception_fp_ieee_invalid_op 0
		.amdhsa_exception_fp_denorm_src 0
		.amdhsa_exception_fp_ieee_div_zero 0
		.amdhsa_exception_fp_ieee_overflow 0
		.amdhsa_exception_fp_ieee_underflow 0
		.amdhsa_exception_fp_ieee_inexact 0
		.amdhsa_exception_int_div_zero 0
	.end_amdhsa_kernel
	.section	.text._ZN7rocprim17ROCPRIM_400000_NS6detail17trampoline_kernelINS0_14default_configENS1_22reduce_config_selectorIN6thrust23THRUST_200600_302600_NS5tupleIblNS6_9null_typeES8_S8_S8_S8_S8_S8_S8_EEEEZNS1_11reduce_implILb1ES3_NS6_12zip_iteratorINS7_INS6_11hip_rocprim26transform_input_iterator_tIbPdNS6_6detail10functional5actorINSH_9compositeIJNSH_27transparent_binary_operatorINS6_8equal_toIvEEEENSI_INSH_8argumentILj0EEEEENSH_5valueIdEEEEEEEEENSD_19counting_iterator_tIlEES8_S8_S8_S8_S8_S8_S8_S8_EEEEPS9_S9_NSD_9__find_if7functorIS9_EEEE10hipError_tPvRmT1_T2_T3_mT4_P12ihipStream_tbEUlT_E1_NS1_11comp_targetILNS1_3genE10ELNS1_11target_archE1200ELNS1_3gpuE4ELNS1_3repE0EEENS1_30default_config_static_selectorELNS0_4arch9wavefront6targetE1EEEvS17_,"axG",@progbits,_ZN7rocprim17ROCPRIM_400000_NS6detail17trampoline_kernelINS0_14default_configENS1_22reduce_config_selectorIN6thrust23THRUST_200600_302600_NS5tupleIblNS6_9null_typeES8_S8_S8_S8_S8_S8_S8_EEEEZNS1_11reduce_implILb1ES3_NS6_12zip_iteratorINS7_INS6_11hip_rocprim26transform_input_iterator_tIbPdNS6_6detail10functional5actorINSH_9compositeIJNSH_27transparent_binary_operatorINS6_8equal_toIvEEEENSI_INSH_8argumentILj0EEEEENSH_5valueIdEEEEEEEEENSD_19counting_iterator_tIlEES8_S8_S8_S8_S8_S8_S8_S8_EEEEPS9_S9_NSD_9__find_if7functorIS9_EEEE10hipError_tPvRmT1_T2_T3_mT4_P12ihipStream_tbEUlT_E1_NS1_11comp_targetILNS1_3genE10ELNS1_11target_archE1200ELNS1_3gpuE4ELNS1_3repE0EEENS1_30default_config_static_selectorELNS0_4arch9wavefront6targetE1EEEvS17_,comdat
.Lfunc_end1739:
	.size	_ZN7rocprim17ROCPRIM_400000_NS6detail17trampoline_kernelINS0_14default_configENS1_22reduce_config_selectorIN6thrust23THRUST_200600_302600_NS5tupleIblNS6_9null_typeES8_S8_S8_S8_S8_S8_S8_EEEEZNS1_11reduce_implILb1ES3_NS6_12zip_iteratorINS7_INS6_11hip_rocprim26transform_input_iterator_tIbPdNS6_6detail10functional5actorINSH_9compositeIJNSH_27transparent_binary_operatorINS6_8equal_toIvEEEENSI_INSH_8argumentILj0EEEEENSH_5valueIdEEEEEEEEENSD_19counting_iterator_tIlEES8_S8_S8_S8_S8_S8_S8_S8_EEEEPS9_S9_NSD_9__find_if7functorIS9_EEEE10hipError_tPvRmT1_T2_T3_mT4_P12ihipStream_tbEUlT_E1_NS1_11comp_targetILNS1_3genE10ELNS1_11target_archE1200ELNS1_3gpuE4ELNS1_3repE0EEENS1_30default_config_static_selectorELNS0_4arch9wavefront6targetE1EEEvS17_, .Lfunc_end1739-_ZN7rocprim17ROCPRIM_400000_NS6detail17trampoline_kernelINS0_14default_configENS1_22reduce_config_selectorIN6thrust23THRUST_200600_302600_NS5tupleIblNS6_9null_typeES8_S8_S8_S8_S8_S8_S8_EEEEZNS1_11reduce_implILb1ES3_NS6_12zip_iteratorINS7_INS6_11hip_rocprim26transform_input_iterator_tIbPdNS6_6detail10functional5actorINSH_9compositeIJNSH_27transparent_binary_operatorINS6_8equal_toIvEEEENSI_INSH_8argumentILj0EEEEENSH_5valueIdEEEEEEEEENSD_19counting_iterator_tIlEES8_S8_S8_S8_S8_S8_S8_S8_EEEEPS9_S9_NSD_9__find_if7functorIS9_EEEE10hipError_tPvRmT1_T2_T3_mT4_P12ihipStream_tbEUlT_E1_NS1_11comp_targetILNS1_3genE10ELNS1_11target_archE1200ELNS1_3gpuE4ELNS1_3repE0EEENS1_30default_config_static_selectorELNS0_4arch9wavefront6targetE1EEEvS17_
                                        ; -- End function
	.set _ZN7rocprim17ROCPRIM_400000_NS6detail17trampoline_kernelINS0_14default_configENS1_22reduce_config_selectorIN6thrust23THRUST_200600_302600_NS5tupleIblNS6_9null_typeES8_S8_S8_S8_S8_S8_S8_EEEEZNS1_11reduce_implILb1ES3_NS6_12zip_iteratorINS7_INS6_11hip_rocprim26transform_input_iterator_tIbPdNS6_6detail10functional5actorINSH_9compositeIJNSH_27transparent_binary_operatorINS6_8equal_toIvEEEENSI_INSH_8argumentILj0EEEEENSH_5valueIdEEEEEEEEENSD_19counting_iterator_tIlEES8_S8_S8_S8_S8_S8_S8_S8_EEEEPS9_S9_NSD_9__find_if7functorIS9_EEEE10hipError_tPvRmT1_T2_T3_mT4_P12ihipStream_tbEUlT_E1_NS1_11comp_targetILNS1_3genE10ELNS1_11target_archE1200ELNS1_3gpuE4ELNS1_3repE0EEENS1_30default_config_static_selectorELNS0_4arch9wavefront6targetE1EEEvS17_.num_vgpr, 0
	.set _ZN7rocprim17ROCPRIM_400000_NS6detail17trampoline_kernelINS0_14default_configENS1_22reduce_config_selectorIN6thrust23THRUST_200600_302600_NS5tupleIblNS6_9null_typeES8_S8_S8_S8_S8_S8_S8_EEEEZNS1_11reduce_implILb1ES3_NS6_12zip_iteratorINS7_INS6_11hip_rocprim26transform_input_iterator_tIbPdNS6_6detail10functional5actorINSH_9compositeIJNSH_27transparent_binary_operatorINS6_8equal_toIvEEEENSI_INSH_8argumentILj0EEEEENSH_5valueIdEEEEEEEEENSD_19counting_iterator_tIlEES8_S8_S8_S8_S8_S8_S8_S8_EEEEPS9_S9_NSD_9__find_if7functorIS9_EEEE10hipError_tPvRmT1_T2_T3_mT4_P12ihipStream_tbEUlT_E1_NS1_11comp_targetILNS1_3genE10ELNS1_11target_archE1200ELNS1_3gpuE4ELNS1_3repE0EEENS1_30default_config_static_selectorELNS0_4arch9wavefront6targetE1EEEvS17_.num_agpr, 0
	.set _ZN7rocprim17ROCPRIM_400000_NS6detail17trampoline_kernelINS0_14default_configENS1_22reduce_config_selectorIN6thrust23THRUST_200600_302600_NS5tupleIblNS6_9null_typeES8_S8_S8_S8_S8_S8_S8_EEEEZNS1_11reduce_implILb1ES3_NS6_12zip_iteratorINS7_INS6_11hip_rocprim26transform_input_iterator_tIbPdNS6_6detail10functional5actorINSH_9compositeIJNSH_27transparent_binary_operatorINS6_8equal_toIvEEEENSI_INSH_8argumentILj0EEEEENSH_5valueIdEEEEEEEEENSD_19counting_iterator_tIlEES8_S8_S8_S8_S8_S8_S8_S8_EEEEPS9_S9_NSD_9__find_if7functorIS9_EEEE10hipError_tPvRmT1_T2_T3_mT4_P12ihipStream_tbEUlT_E1_NS1_11comp_targetILNS1_3genE10ELNS1_11target_archE1200ELNS1_3gpuE4ELNS1_3repE0EEENS1_30default_config_static_selectorELNS0_4arch9wavefront6targetE1EEEvS17_.numbered_sgpr, 0
	.set _ZN7rocprim17ROCPRIM_400000_NS6detail17trampoline_kernelINS0_14default_configENS1_22reduce_config_selectorIN6thrust23THRUST_200600_302600_NS5tupleIblNS6_9null_typeES8_S8_S8_S8_S8_S8_S8_EEEEZNS1_11reduce_implILb1ES3_NS6_12zip_iteratorINS7_INS6_11hip_rocprim26transform_input_iterator_tIbPdNS6_6detail10functional5actorINSH_9compositeIJNSH_27transparent_binary_operatorINS6_8equal_toIvEEEENSI_INSH_8argumentILj0EEEEENSH_5valueIdEEEEEEEEENSD_19counting_iterator_tIlEES8_S8_S8_S8_S8_S8_S8_S8_EEEEPS9_S9_NSD_9__find_if7functorIS9_EEEE10hipError_tPvRmT1_T2_T3_mT4_P12ihipStream_tbEUlT_E1_NS1_11comp_targetILNS1_3genE10ELNS1_11target_archE1200ELNS1_3gpuE4ELNS1_3repE0EEENS1_30default_config_static_selectorELNS0_4arch9wavefront6targetE1EEEvS17_.num_named_barrier, 0
	.set _ZN7rocprim17ROCPRIM_400000_NS6detail17trampoline_kernelINS0_14default_configENS1_22reduce_config_selectorIN6thrust23THRUST_200600_302600_NS5tupleIblNS6_9null_typeES8_S8_S8_S8_S8_S8_S8_EEEEZNS1_11reduce_implILb1ES3_NS6_12zip_iteratorINS7_INS6_11hip_rocprim26transform_input_iterator_tIbPdNS6_6detail10functional5actorINSH_9compositeIJNSH_27transparent_binary_operatorINS6_8equal_toIvEEEENSI_INSH_8argumentILj0EEEEENSH_5valueIdEEEEEEEEENSD_19counting_iterator_tIlEES8_S8_S8_S8_S8_S8_S8_S8_EEEEPS9_S9_NSD_9__find_if7functorIS9_EEEE10hipError_tPvRmT1_T2_T3_mT4_P12ihipStream_tbEUlT_E1_NS1_11comp_targetILNS1_3genE10ELNS1_11target_archE1200ELNS1_3gpuE4ELNS1_3repE0EEENS1_30default_config_static_selectorELNS0_4arch9wavefront6targetE1EEEvS17_.private_seg_size, 0
	.set _ZN7rocprim17ROCPRIM_400000_NS6detail17trampoline_kernelINS0_14default_configENS1_22reduce_config_selectorIN6thrust23THRUST_200600_302600_NS5tupleIblNS6_9null_typeES8_S8_S8_S8_S8_S8_S8_EEEEZNS1_11reduce_implILb1ES3_NS6_12zip_iteratorINS7_INS6_11hip_rocprim26transform_input_iterator_tIbPdNS6_6detail10functional5actorINSH_9compositeIJNSH_27transparent_binary_operatorINS6_8equal_toIvEEEENSI_INSH_8argumentILj0EEEEENSH_5valueIdEEEEEEEEENSD_19counting_iterator_tIlEES8_S8_S8_S8_S8_S8_S8_S8_EEEEPS9_S9_NSD_9__find_if7functorIS9_EEEE10hipError_tPvRmT1_T2_T3_mT4_P12ihipStream_tbEUlT_E1_NS1_11comp_targetILNS1_3genE10ELNS1_11target_archE1200ELNS1_3gpuE4ELNS1_3repE0EEENS1_30default_config_static_selectorELNS0_4arch9wavefront6targetE1EEEvS17_.uses_vcc, 0
	.set _ZN7rocprim17ROCPRIM_400000_NS6detail17trampoline_kernelINS0_14default_configENS1_22reduce_config_selectorIN6thrust23THRUST_200600_302600_NS5tupleIblNS6_9null_typeES8_S8_S8_S8_S8_S8_S8_EEEEZNS1_11reduce_implILb1ES3_NS6_12zip_iteratorINS7_INS6_11hip_rocprim26transform_input_iterator_tIbPdNS6_6detail10functional5actorINSH_9compositeIJNSH_27transparent_binary_operatorINS6_8equal_toIvEEEENSI_INSH_8argumentILj0EEEEENSH_5valueIdEEEEEEEEENSD_19counting_iterator_tIlEES8_S8_S8_S8_S8_S8_S8_S8_EEEEPS9_S9_NSD_9__find_if7functorIS9_EEEE10hipError_tPvRmT1_T2_T3_mT4_P12ihipStream_tbEUlT_E1_NS1_11comp_targetILNS1_3genE10ELNS1_11target_archE1200ELNS1_3gpuE4ELNS1_3repE0EEENS1_30default_config_static_selectorELNS0_4arch9wavefront6targetE1EEEvS17_.uses_flat_scratch, 0
	.set _ZN7rocprim17ROCPRIM_400000_NS6detail17trampoline_kernelINS0_14default_configENS1_22reduce_config_selectorIN6thrust23THRUST_200600_302600_NS5tupleIblNS6_9null_typeES8_S8_S8_S8_S8_S8_S8_EEEEZNS1_11reduce_implILb1ES3_NS6_12zip_iteratorINS7_INS6_11hip_rocprim26transform_input_iterator_tIbPdNS6_6detail10functional5actorINSH_9compositeIJNSH_27transparent_binary_operatorINS6_8equal_toIvEEEENSI_INSH_8argumentILj0EEEEENSH_5valueIdEEEEEEEEENSD_19counting_iterator_tIlEES8_S8_S8_S8_S8_S8_S8_S8_EEEEPS9_S9_NSD_9__find_if7functorIS9_EEEE10hipError_tPvRmT1_T2_T3_mT4_P12ihipStream_tbEUlT_E1_NS1_11comp_targetILNS1_3genE10ELNS1_11target_archE1200ELNS1_3gpuE4ELNS1_3repE0EEENS1_30default_config_static_selectorELNS0_4arch9wavefront6targetE1EEEvS17_.has_dyn_sized_stack, 0
	.set _ZN7rocprim17ROCPRIM_400000_NS6detail17trampoline_kernelINS0_14default_configENS1_22reduce_config_selectorIN6thrust23THRUST_200600_302600_NS5tupleIblNS6_9null_typeES8_S8_S8_S8_S8_S8_S8_EEEEZNS1_11reduce_implILb1ES3_NS6_12zip_iteratorINS7_INS6_11hip_rocprim26transform_input_iterator_tIbPdNS6_6detail10functional5actorINSH_9compositeIJNSH_27transparent_binary_operatorINS6_8equal_toIvEEEENSI_INSH_8argumentILj0EEEEENSH_5valueIdEEEEEEEEENSD_19counting_iterator_tIlEES8_S8_S8_S8_S8_S8_S8_S8_EEEEPS9_S9_NSD_9__find_if7functorIS9_EEEE10hipError_tPvRmT1_T2_T3_mT4_P12ihipStream_tbEUlT_E1_NS1_11comp_targetILNS1_3genE10ELNS1_11target_archE1200ELNS1_3gpuE4ELNS1_3repE0EEENS1_30default_config_static_selectorELNS0_4arch9wavefront6targetE1EEEvS17_.has_recursion, 0
	.set _ZN7rocprim17ROCPRIM_400000_NS6detail17trampoline_kernelINS0_14default_configENS1_22reduce_config_selectorIN6thrust23THRUST_200600_302600_NS5tupleIblNS6_9null_typeES8_S8_S8_S8_S8_S8_S8_EEEEZNS1_11reduce_implILb1ES3_NS6_12zip_iteratorINS7_INS6_11hip_rocprim26transform_input_iterator_tIbPdNS6_6detail10functional5actorINSH_9compositeIJNSH_27transparent_binary_operatorINS6_8equal_toIvEEEENSI_INSH_8argumentILj0EEEEENSH_5valueIdEEEEEEEEENSD_19counting_iterator_tIlEES8_S8_S8_S8_S8_S8_S8_S8_EEEEPS9_S9_NSD_9__find_if7functorIS9_EEEE10hipError_tPvRmT1_T2_T3_mT4_P12ihipStream_tbEUlT_E1_NS1_11comp_targetILNS1_3genE10ELNS1_11target_archE1200ELNS1_3gpuE4ELNS1_3repE0EEENS1_30default_config_static_selectorELNS0_4arch9wavefront6targetE1EEEvS17_.has_indirect_call, 0
	.section	.AMDGPU.csdata,"",@progbits
; Kernel info:
; codeLenInByte = 0
; TotalNumSgprs: 4
; NumVgprs: 0
; ScratchSize: 0
; MemoryBound: 0
; FloatMode: 240
; IeeeMode: 1
; LDSByteSize: 0 bytes/workgroup (compile time only)
; SGPRBlocks: 0
; VGPRBlocks: 0
; NumSGPRsForWavesPerEU: 4
; NumVGPRsForWavesPerEU: 1
; Occupancy: 10
; WaveLimiterHint : 0
; COMPUTE_PGM_RSRC2:SCRATCH_EN: 0
; COMPUTE_PGM_RSRC2:USER_SGPR: 6
; COMPUTE_PGM_RSRC2:TRAP_HANDLER: 0
; COMPUTE_PGM_RSRC2:TGID_X_EN: 1
; COMPUTE_PGM_RSRC2:TGID_Y_EN: 0
; COMPUTE_PGM_RSRC2:TGID_Z_EN: 0
; COMPUTE_PGM_RSRC2:TIDIG_COMP_CNT: 0
	.section	.text._ZN7rocprim17ROCPRIM_400000_NS6detail17trampoline_kernelINS0_14default_configENS1_22reduce_config_selectorIN6thrust23THRUST_200600_302600_NS5tupleIblNS6_9null_typeES8_S8_S8_S8_S8_S8_S8_EEEEZNS1_11reduce_implILb1ES3_NS6_12zip_iteratorINS7_INS6_11hip_rocprim26transform_input_iterator_tIbPdNS6_6detail10functional5actorINSH_9compositeIJNSH_27transparent_binary_operatorINS6_8equal_toIvEEEENSI_INSH_8argumentILj0EEEEENSH_5valueIdEEEEEEEEENSD_19counting_iterator_tIlEES8_S8_S8_S8_S8_S8_S8_S8_EEEEPS9_S9_NSD_9__find_if7functorIS9_EEEE10hipError_tPvRmT1_T2_T3_mT4_P12ihipStream_tbEUlT_E1_NS1_11comp_targetILNS1_3genE9ELNS1_11target_archE1100ELNS1_3gpuE3ELNS1_3repE0EEENS1_30default_config_static_selectorELNS0_4arch9wavefront6targetE1EEEvS17_,"axG",@progbits,_ZN7rocprim17ROCPRIM_400000_NS6detail17trampoline_kernelINS0_14default_configENS1_22reduce_config_selectorIN6thrust23THRUST_200600_302600_NS5tupleIblNS6_9null_typeES8_S8_S8_S8_S8_S8_S8_EEEEZNS1_11reduce_implILb1ES3_NS6_12zip_iteratorINS7_INS6_11hip_rocprim26transform_input_iterator_tIbPdNS6_6detail10functional5actorINSH_9compositeIJNSH_27transparent_binary_operatorINS6_8equal_toIvEEEENSI_INSH_8argumentILj0EEEEENSH_5valueIdEEEEEEEEENSD_19counting_iterator_tIlEES8_S8_S8_S8_S8_S8_S8_S8_EEEEPS9_S9_NSD_9__find_if7functorIS9_EEEE10hipError_tPvRmT1_T2_T3_mT4_P12ihipStream_tbEUlT_E1_NS1_11comp_targetILNS1_3genE9ELNS1_11target_archE1100ELNS1_3gpuE3ELNS1_3repE0EEENS1_30default_config_static_selectorELNS0_4arch9wavefront6targetE1EEEvS17_,comdat
	.protected	_ZN7rocprim17ROCPRIM_400000_NS6detail17trampoline_kernelINS0_14default_configENS1_22reduce_config_selectorIN6thrust23THRUST_200600_302600_NS5tupleIblNS6_9null_typeES8_S8_S8_S8_S8_S8_S8_EEEEZNS1_11reduce_implILb1ES3_NS6_12zip_iteratorINS7_INS6_11hip_rocprim26transform_input_iterator_tIbPdNS6_6detail10functional5actorINSH_9compositeIJNSH_27transparent_binary_operatorINS6_8equal_toIvEEEENSI_INSH_8argumentILj0EEEEENSH_5valueIdEEEEEEEEENSD_19counting_iterator_tIlEES8_S8_S8_S8_S8_S8_S8_S8_EEEEPS9_S9_NSD_9__find_if7functorIS9_EEEE10hipError_tPvRmT1_T2_T3_mT4_P12ihipStream_tbEUlT_E1_NS1_11comp_targetILNS1_3genE9ELNS1_11target_archE1100ELNS1_3gpuE3ELNS1_3repE0EEENS1_30default_config_static_selectorELNS0_4arch9wavefront6targetE1EEEvS17_ ; -- Begin function _ZN7rocprim17ROCPRIM_400000_NS6detail17trampoline_kernelINS0_14default_configENS1_22reduce_config_selectorIN6thrust23THRUST_200600_302600_NS5tupleIblNS6_9null_typeES8_S8_S8_S8_S8_S8_S8_EEEEZNS1_11reduce_implILb1ES3_NS6_12zip_iteratorINS7_INS6_11hip_rocprim26transform_input_iterator_tIbPdNS6_6detail10functional5actorINSH_9compositeIJNSH_27transparent_binary_operatorINS6_8equal_toIvEEEENSI_INSH_8argumentILj0EEEEENSH_5valueIdEEEEEEEEENSD_19counting_iterator_tIlEES8_S8_S8_S8_S8_S8_S8_S8_EEEEPS9_S9_NSD_9__find_if7functorIS9_EEEE10hipError_tPvRmT1_T2_T3_mT4_P12ihipStream_tbEUlT_E1_NS1_11comp_targetILNS1_3genE9ELNS1_11target_archE1100ELNS1_3gpuE3ELNS1_3repE0EEENS1_30default_config_static_selectorELNS0_4arch9wavefront6targetE1EEEvS17_
	.globl	_ZN7rocprim17ROCPRIM_400000_NS6detail17trampoline_kernelINS0_14default_configENS1_22reduce_config_selectorIN6thrust23THRUST_200600_302600_NS5tupleIblNS6_9null_typeES8_S8_S8_S8_S8_S8_S8_EEEEZNS1_11reduce_implILb1ES3_NS6_12zip_iteratorINS7_INS6_11hip_rocprim26transform_input_iterator_tIbPdNS6_6detail10functional5actorINSH_9compositeIJNSH_27transparent_binary_operatorINS6_8equal_toIvEEEENSI_INSH_8argumentILj0EEEEENSH_5valueIdEEEEEEEEENSD_19counting_iterator_tIlEES8_S8_S8_S8_S8_S8_S8_S8_EEEEPS9_S9_NSD_9__find_if7functorIS9_EEEE10hipError_tPvRmT1_T2_T3_mT4_P12ihipStream_tbEUlT_E1_NS1_11comp_targetILNS1_3genE9ELNS1_11target_archE1100ELNS1_3gpuE3ELNS1_3repE0EEENS1_30default_config_static_selectorELNS0_4arch9wavefront6targetE1EEEvS17_
	.p2align	8
	.type	_ZN7rocprim17ROCPRIM_400000_NS6detail17trampoline_kernelINS0_14default_configENS1_22reduce_config_selectorIN6thrust23THRUST_200600_302600_NS5tupleIblNS6_9null_typeES8_S8_S8_S8_S8_S8_S8_EEEEZNS1_11reduce_implILb1ES3_NS6_12zip_iteratorINS7_INS6_11hip_rocprim26transform_input_iterator_tIbPdNS6_6detail10functional5actorINSH_9compositeIJNSH_27transparent_binary_operatorINS6_8equal_toIvEEEENSI_INSH_8argumentILj0EEEEENSH_5valueIdEEEEEEEEENSD_19counting_iterator_tIlEES8_S8_S8_S8_S8_S8_S8_S8_EEEEPS9_S9_NSD_9__find_if7functorIS9_EEEE10hipError_tPvRmT1_T2_T3_mT4_P12ihipStream_tbEUlT_E1_NS1_11comp_targetILNS1_3genE9ELNS1_11target_archE1100ELNS1_3gpuE3ELNS1_3repE0EEENS1_30default_config_static_selectorELNS0_4arch9wavefront6targetE1EEEvS17_,@function
_ZN7rocprim17ROCPRIM_400000_NS6detail17trampoline_kernelINS0_14default_configENS1_22reduce_config_selectorIN6thrust23THRUST_200600_302600_NS5tupleIblNS6_9null_typeES8_S8_S8_S8_S8_S8_S8_EEEEZNS1_11reduce_implILb1ES3_NS6_12zip_iteratorINS7_INS6_11hip_rocprim26transform_input_iterator_tIbPdNS6_6detail10functional5actorINSH_9compositeIJNSH_27transparent_binary_operatorINS6_8equal_toIvEEEENSI_INSH_8argumentILj0EEEEENSH_5valueIdEEEEEEEEENSD_19counting_iterator_tIlEES8_S8_S8_S8_S8_S8_S8_S8_EEEEPS9_S9_NSD_9__find_if7functorIS9_EEEE10hipError_tPvRmT1_T2_T3_mT4_P12ihipStream_tbEUlT_E1_NS1_11comp_targetILNS1_3genE9ELNS1_11target_archE1100ELNS1_3gpuE3ELNS1_3repE0EEENS1_30default_config_static_selectorELNS0_4arch9wavefront6targetE1EEEvS17_: ; @_ZN7rocprim17ROCPRIM_400000_NS6detail17trampoline_kernelINS0_14default_configENS1_22reduce_config_selectorIN6thrust23THRUST_200600_302600_NS5tupleIblNS6_9null_typeES8_S8_S8_S8_S8_S8_S8_EEEEZNS1_11reduce_implILb1ES3_NS6_12zip_iteratorINS7_INS6_11hip_rocprim26transform_input_iterator_tIbPdNS6_6detail10functional5actorINSH_9compositeIJNSH_27transparent_binary_operatorINS6_8equal_toIvEEEENSI_INSH_8argumentILj0EEEEENSH_5valueIdEEEEEEEEENSD_19counting_iterator_tIlEES8_S8_S8_S8_S8_S8_S8_S8_EEEEPS9_S9_NSD_9__find_if7functorIS9_EEEE10hipError_tPvRmT1_T2_T3_mT4_P12ihipStream_tbEUlT_E1_NS1_11comp_targetILNS1_3genE9ELNS1_11target_archE1100ELNS1_3gpuE3ELNS1_3repE0EEENS1_30default_config_static_selectorELNS0_4arch9wavefront6targetE1EEEvS17_
; %bb.0:
	.section	.rodata,"a",@progbits
	.p2align	6, 0x0
	.amdhsa_kernel _ZN7rocprim17ROCPRIM_400000_NS6detail17trampoline_kernelINS0_14default_configENS1_22reduce_config_selectorIN6thrust23THRUST_200600_302600_NS5tupleIblNS6_9null_typeES8_S8_S8_S8_S8_S8_S8_EEEEZNS1_11reduce_implILb1ES3_NS6_12zip_iteratorINS7_INS6_11hip_rocprim26transform_input_iterator_tIbPdNS6_6detail10functional5actorINSH_9compositeIJNSH_27transparent_binary_operatorINS6_8equal_toIvEEEENSI_INSH_8argumentILj0EEEEENSH_5valueIdEEEEEEEEENSD_19counting_iterator_tIlEES8_S8_S8_S8_S8_S8_S8_S8_EEEEPS9_S9_NSD_9__find_if7functorIS9_EEEE10hipError_tPvRmT1_T2_T3_mT4_P12ihipStream_tbEUlT_E1_NS1_11comp_targetILNS1_3genE9ELNS1_11target_archE1100ELNS1_3gpuE3ELNS1_3repE0EEENS1_30default_config_static_selectorELNS0_4arch9wavefront6targetE1EEEvS17_
		.amdhsa_group_segment_fixed_size 0
		.amdhsa_private_segment_fixed_size 0
		.amdhsa_kernarg_size 80
		.amdhsa_user_sgpr_count 6
		.amdhsa_user_sgpr_private_segment_buffer 1
		.amdhsa_user_sgpr_dispatch_ptr 0
		.amdhsa_user_sgpr_queue_ptr 0
		.amdhsa_user_sgpr_kernarg_segment_ptr 1
		.amdhsa_user_sgpr_dispatch_id 0
		.amdhsa_user_sgpr_flat_scratch_init 0
		.amdhsa_user_sgpr_private_segment_size 0
		.amdhsa_uses_dynamic_stack 0
		.amdhsa_system_sgpr_private_segment_wavefront_offset 0
		.amdhsa_system_sgpr_workgroup_id_x 1
		.amdhsa_system_sgpr_workgroup_id_y 0
		.amdhsa_system_sgpr_workgroup_id_z 0
		.amdhsa_system_sgpr_workgroup_info 0
		.amdhsa_system_vgpr_workitem_id 0
		.amdhsa_next_free_vgpr 1
		.amdhsa_next_free_sgpr 0
		.amdhsa_reserve_vcc 0
		.amdhsa_reserve_flat_scratch 0
		.amdhsa_float_round_mode_32 0
		.amdhsa_float_round_mode_16_64 0
		.amdhsa_float_denorm_mode_32 3
		.amdhsa_float_denorm_mode_16_64 3
		.amdhsa_dx10_clamp 1
		.amdhsa_ieee_mode 1
		.amdhsa_fp16_overflow 0
		.amdhsa_exception_fp_ieee_invalid_op 0
		.amdhsa_exception_fp_denorm_src 0
		.amdhsa_exception_fp_ieee_div_zero 0
		.amdhsa_exception_fp_ieee_overflow 0
		.amdhsa_exception_fp_ieee_underflow 0
		.amdhsa_exception_fp_ieee_inexact 0
		.amdhsa_exception_int_div_zero 0
	.end_amdhsa_kernel
	.section	.text._ZN7rocprim17ROCPRIM_400000_NS6detail17trampoline_kernelINS0_14default_configENS1_22reduce_config_selectorIN6thrust23THRUST_200600_302600_NS5tupleIblNS6_9null_typeES8_S8_S8_S8_S8_S8_S8_EEEEZNS1_11reduce_implILb1ES3_NS6_12zip_iteratorINS7_INS6_11hip_rocprim26transform_input_iterator_tIbPdNS6_6detail10functional5actorINSH_9compositeIJNSH_27transparent_binary_operatorINS6_8equal_toIvEEEENSI_INSH_8argumentILj0EEEEENSH_5valueIdEEEEEEEEENSD_19counting_iterator_tIlEES8_S8_S8_S8_S8_S8_S8_S8_EEEEPS9_S9_NSD_9__find_if7functorIS9_EEEE10hipError_tPvRmT1_T2_T3_mT4_P12ihipStream_tbEUlT_E1_NS1_11comp_targetILNS1_3genE9ELNS1_11target_archE1100ELNS1_3gpuE3ELNS1_3repE0EEENS1_30default_config_static_selectorELNS0_4arch9wavefront6targetE1EEEvS17_,"axG",@progbits,_ZN7rocprim17ROCPRIM_400000_NS6detail17trampoline_kernelINS0_14default_configENS1_22reduce_config_selectorIN6thrust23THRUST_200600_302600_NS5tupleIblNS6_9null_typeES8_S8_S8_S8_S8_S8_S8_EEEEZNS1_11reduce_implILb1ES3_NS6_12zip_iteratorINS7_INS6_11hip_rocprim26transform_input_iterator_tIbPdNS6_6detail10functional5actorINSH_9compositeIJNSH_27transparent_binary_operatorINS6_8equal_toIvEEEENSI_INSH_8argumentILj0EEEEENSH_5valueIdEEEEEEEEENSD_19counting_iterator_tIlEES8_S8_S8_S8_S8_S8_S8_S8_EEEEPS9_S9_NSD_9__find_if7functorIS9_EEEE10hipError_tPvRmT1_T2_T3_mT4_P12ihipStream_tbEUlT_E1_NS1_11comp_targetILNS1_3genE9ELNS1_11target_archE1100ELNS1_3gpuE3ELNS1_3repE0EEENS1_30default_config_static_selectorELNS0_4arch9wavefront6targetE1EEEvS17_,comdat
.Lfunc_end1740:
	.size	_ZN7rocprim17ROCPRIM_400000_NS6detail17trampoline_kernelINS0_14default_configENS1_22reduce_config_selectorIN6thrust23THRUST_200600_302600_NS5tupleIblNS6_9null_typeES8_S8_S8_S8_S8_S8_S8_EEEEZNS1_11reduce_implILb1ES3_NS6_12zip_iteratorINS7_INS6_11hip_rocprim26transform_input_iterator_tIbPdNS6_6detail10functional5actorINSH_9compositeIJNSH_27transparent_binary_operatorINS6_8equal_toIvEEEENSI_INSH_8argumentILj0EEEEENSH_5valueIdEEEEEEEEENSD_19counting_iterator_tIlEES8_S8_S8_S8_S8_S8_S8_S8_EEEEPS9_S9_NSD_9__find_if7functorIS9_EEEE10hipError_tPvRmT1_T2_T3_mT4_P12ihipStream_tbEUlT_E1_NS1_11comp_targetILNS1_3genE9ELNS1_11target_archE1100ELNS1_3gpuE3ELNS1_3repE0EEENS1_30default_config_static_selectorELNS0_4arch9wavefront6targetE1EEEvS17_, .Lfunc_end1740-_ZN7rocprim17ROCPRIM_400000_NS6detail17trampoline_kernelINS0_14default_configENS1_22reduce_config_selectorIN6thrust23THRUST_200600_302600_NS5tupleIblNS6_9null_typeES8_S8_S8_S8_S8_S8_S8_EEEEZNS1_11reduce_implILb1ES3_NS6_12zip_iteratorINS7_INS6_11hip_rocprim26transform_input_iterator_tIbPdNS6_6detail10functional5actorINSH_9compositeIJNSH_27transparent_binary_operatorINS6_8equal_toIvEEEENSI_INSH_8argumentILj0EEEEENSH_5valueIdEEEEEEEEENSD_19counting_iterator_tIlEES8_S8_S8_S8_S8_S8_S8_S8_EEEEPS9_S9_NSD_9__find_if7functorIS9_EEEE10hipError_tPvRmT1_T2_T3_mT4_P12ihipStream_tbEUlT_E1_NS1_11comp_targetILNS1_3genE9ELNS1_11target_archE1100ELNS1_3gpuE3ELNS1_3repE0EEENS1_30default_config_static_selectorELNS0_4arch9wavefront6targetE1EEEvS17_
                                        ; -- End function
	.set _ZN7rocprim17ROCPRIM_400000_NS6detail17trampoline_kernelINS0_14default_configENS1_22reduce_config_selectorIN6thrust23THRUST_200600_302600_NS5tupleIblNS6_9null_typeES8_S8_S8_S8_S8_S8_S8_EEEEZNS1_11reduce_implILb1ES3_NS6_12zip_iteratorINS7_INS6_11hip_rocprim26transform_input_iterator_tIbPdNS6_6detail10functional5actorINSH_9compositeIJNSH_27transparent_binary_operatorINS6_8equal_toIvEEEENSI_INSH_8argumentILj0EEEEENSH_5valueIdEEEEEEEEENSD_19counting_iterator_tIlEES8_S8_S8_S8_S8_S8_S8_S8_EEEEPS9_S9_NSD_9__find_if7functorIS9_EEEE10hipError_tPvRmT1_T2_T3_mT4_P12ihipStream_tbEUlT_E1_NS1_11comp_targetILNS1_3genE9ELNS1_11target_archE1100ELNS1_3gpuE3ELNS1_3repE0EEENS1_30default_config_static_selectorELNS0_4arch9wavefront6targetE1EEEvS17_.num_vgpr, 0
	.set _ZN7rocprim17ROCPRIM_400000_NS6detail17trampoline_kernelINS0_14default_configENS1_22reduce_config_selectorIN6thrust23THRUST_200600_302600_NS5tupleIblNS6_9null_typeES8_S8_S8_S8_S8_S8_S8_EEEEZNS1_11reduce_implILb1ES3_NS6_12zip_iteratorINS7_INS6_11hip_rocprim26transform_input_iterator_tIbPdNS6_6detail10functional5actorINSH_9compositeIJNSH_27transparent_binary_operatorINS6_8equal_toIvEEEENSI_INSH_8argumentILj0EEEEENSH_5valueIdEEEEEEEEENSD_19counting_iterator_tIlEES8_S8_S8_S8_S8_S8_S8_S8_EEEEPS9_S9_NSD_9__find_if7functorIS9_EEEE10hipError_tPvRmT1_T2_T3_mT4_P12ihipStream_tbEUlT_E1_NS1_11comp_targetILNS1_3genE9ELNS1_11target_archE1100ELNS1_3gpuE3ELNS1_3repE0EEENS1_30default_config_static_selectorELNS0_4arch9wavefront6targetE1EEEvS17_.num_agpr, 0
	.set _ZN7rocprim17ROCPRIM_400000_NS6detail17trampoline_kernelINS0_14default_configENS1_22reduce_config_selectorIN6thrust23THRUST_200600_302600_NS5tupleIblNS6_9null_typeES8_S8_S8_S8_S8_S8_S8_EEEEZNS1_11reduce_implILb1ES3_NS6_12zip_iteratorINS7_INS6_11hip_rocprim26transform_input_iterator_tIbPdNS6_6detail10functional5actorINSH_9compositeIJNSH_27transparent_binary_operatorINS6_8equal_toIvEEEENSI_INSH_8argumentILj0EEEEENSH_5valueIdEEEEEEEEENSD_19counting_iterator_tIlEES8_S8_S8_S8_S8_S8_S8_S8_EEEEPS9_S9_NSD_9__find_if7functorIS9_EEEE10hipError_tPvRmT1_T2_T3_mT4_P12ihipStream_tbEUlT_E1_NS1_11comp_targetILNS1_3genE9ELNS1_11target_archE1100ELNS1_3gpuE3ELNS1_3repE0EEENS1_30default_config_static_selectorELNS0_4arch9wavefront6targetE1EEEvS17_.numbered_sgpr, 0
	.set _ZN7rocprim17ROCPRIM_400000_NS6detail17trampoline_kernelINS0_14default_configENS1_22reduce_config_selectorIN6thrust23THRUST_200600_302600_NS5tupleIblNS6_9null_typeES8_S8_S8_S8_S8_S8_S8_EEEEZNS1_11reduce_implILb1ES3_NS6_12zip_iteratorINS7_INS6_11hip_rocprim26transform_input_iterator_tIbPdNS6_6detail10functional5actorINSH_9compositeIJNSH_27transparent_binary_operatorINS6_8equal_toIvEEEENSI_INSH_8argumentILj0EEEEENSH_5valueIdEEEEEEEEENSD_19counting_iterator_tIlEES8_S8_S8_S8_S8_S8_S8_S8_EEEEPS9_S9_NSD_9__find_if7functorIS9_EEEE10hipError_tPvRmT1_T2_T3_mT4_P12ihipStream_tbEUlT_E1_NS1_11comp_targetILNS1_3genE9ELNS1_11target_archE1100ELNS1_3gpuE3ELNS1_3repE0EEENS1_30default_config_static_selectorELNS0_4arch9wavefront6targetE1EEEvS17_.num_named_barrier, 0
	.set _ZN7rocprim17ROCPRIM_400000_NS6detail17trampoline_kernelINS0_14default_configENS1_22reduce_config_selectorIN6thrust23THRUST_200600_302600_NS5tupleIblNS6_9null_typeES8_S8_S8_S8_S8_S8_S8_EEEEZNS1_11reduce_implILb1ES3_NS6_12zip_iteratorINS7_INS6_11hip_rocprim26transform_input_iterator_tIbPdNS6_6detail10functional5actorINSH_9compositeIJNSH_27transparent_binary_operatorINS6_8equal_toIvEEEENSI_INSH_8argumentILj0EEEEENSH_5valueIdEEEEEEEEENSD_19counting_iterator_tIlEES8_S8_S8_S8_S8_S8_S8_S8_EEEEPS9_S9_NSD_9__find_if7functorIS9_EEEE10hipError_tPvRmT1_T2_T3_mT4_P12ihipStream_tbEUlT_E1_NS1_11comp_targetILNS1_3genE9ELNS1_11target_archE1100ELNS1_3gpuE3ELNS1_3repE0EEENS1_30default_config_static_selectorELNS0_4arch9wavefront6targetE1EEEvS17_.private_seg_size, 0
	.set _ZN7rocprim17ROCPRIM_400000_NS6detail17trampoline_kernelINS0_14default_configENS1_22reduce_config_selectorIN6thrust23THRUST_200600_302600_NS5tupleIblNS6_9null_typeES8_S8_S8_S8_S8_S8_S8_EEEEZNS1_11reduce_implILb1ES3_NS6_12zip_iteratorINS7_INS6_11hip_rocprim26transform_input_iterator_tIbPdNS6_6detail10functional5actorINSH_9compositeIJNSH_27transparent_binary_operatorINS6_8equal_toIvEEEENSI_INSH_8argumentILj0EEEEENSH_5valueIdEEEEEEEEENSD_19counting_iterator_tIlEES8_S8_S8_S8_S8_S8_S8_S8_EEEEPS9_S9_NSD_9__find_if7functorIS9_EEEE10hipError_tPvRmT1_T2_T3_mT4_P12ihipStream_tbEUlT_E1_NS1_11comp_targetILNS1_3genE9ELNS1_11target_archE1100ELNS1_3gpuE3ELNS1_3repE0EEENS1_30default_config_static_selectorELNS0_4arch9wavefront6targetE1EEEvS17_.uses_vcc, 0
	.set _ZN7rocprim17ROCPRIM_400000_NS6detail17trampoline_kernelINS0_14default_configENS1_22reduce_config_selectorIN6thrust23THRUST_200600_302600_NS5tupleIblNS6_9null_typeES8_S8_S8_S8_S8_S8_S8_EEEEZNS1_11reduce_implILb1ES3_NS6_12zip_iteratorINS7_INS6_11hip_rocprim26transform_input_iterator_tIbPdNS6_6detail10functional5actorINSH_9compositeIJNSH_27transparent_binary_operatorINS6_8equal_toIvEEEENSI_INSH_8argumentILj0EEEEENSH_5valueIdEEEEEEEEENSD_19counting_iterator_tIlEES8_S8_S8_S8_S8_S8_S8_S8_EEEEPS9_S9_NSD_9__find_if7functorIS9_EEEE10hipError_tPvRmT1_T2_T3_mT4_P12ihipStream_tbEUlT_E1_NS1_11comp_targetILNS1_3genE9ELNS1_11target_archE1100ELNS1_3gpuE3ELNS1_3repE0EEENS1_30default_config_static_selectorELNS0_4arch9wavefront6targetE1EEEvS17_.uses_flat_scratch, 0
	.set _ZN7rocprim17ROCPRIM_400000_NS6detail17trampoline_kernelINS0_14default_configENS1_22reduce_config_selectorIN6thrust23THRUST_200600_302600_NS5tupleIblNS6_9null_typeES8_S8_S8_S8_S8_S8_S8_EEEEZNS1_11reduce_implILb1ES3_NS6_12zip_iteratorINS7_INS6_11hip_rocprim26transform_input_iterator_tIbPdNS6_6detail10functional5actorINSH_9compositeIJNSH_27transparent_binary_operatorINS6_8equal_toIvEEEENSI_INSH_8argumentILj0EEEEENSH_5valueIdEEEEEEEEENSD_19counting_iterator_tIlEES8_S8_S8_S8_S8_S8_S8_S8_EEEEPS9_S9_NSD_9__find_if7functorIS9_EEEE10hipError_tPvRmT1_T2_T3_mT4_P12ihipStream_tbEUlT_E1_NS1_11comp_targetILNS1_3genE9ELNS1_11target_archE1100ELNS1_3gpuE3ELNS1_3repE0EEENS1_30default_config_static_selectorELNS0_4arch9wavefront6targetE1EEEvS17_.has_dyn_sized_stack, 0
	.set _ZN7rocprim17ROCPRIM_400000_NS6detail17trampoline_kernelINS0_14default_configENS1_22reduce_config_selectorIN6thrust23THRUST_200600_302600_NS5tupleIblNS6_9null_typeES8_S8_S8_S8_S8_S8_S8_EEEEZNS1_11reduce_implILb1ES3_NS6_12zip_iteratorINS7_INS6_11hip_rocprim26transform_input_iterator_tIbPdNS6_6detail10functional5actorINSH_9compositeIJNSH_27transparent_binary_operatorINS6_8equal_toIvEEEENSI_INSH_8argumentILj0EEEEENSH_5valueIdEEEEEEEEENSD_19counting_iterator_tIlEES8_S8_S8_S8_S8_S8_S8_S8_EEEEPS9_S9_NSD_9__find_if7functorIS9_EEEE10hipError_tPvRmT1_T2_T3_mT4_P12ihipStream_tbEUlT_E1_NS1_11comp_targetILNS1_3genE9ELNS1_11target_archE1100ELNS1_3gpuE3ELNS1_3repE0EEENS1_30default_config_static_selectorELNS0_4arch9wavefront6targetE1EEEvS17_.has_recursion, 0
	.set _ZN7rocprim17ROCPRIM_400000_NS6detail17trampoline_kernelINS0_14default_configENS1_22reduce_config_selectorIN6thrust23THRUST_200600_302600_NS5tupleIblNS6_9null_typeES8_S8_S8_S8_S8_S8_S8_EEEEZNS1_11reduce_implILb1ES3_NS6_12zip_iteratorINS7_INS6_11hip_rocprim26transform_input_iterator_tIbPdNS6_6detail10functional5actorINSH_9compositeIJNSH_27transparent_binary_operatorINS6_8equal_toIvEEEENSI_INSH_8argumentILj0EEEEENSH_5valueIdEEEEEEEEENSD_19counting_iterator_tIlEES8_S8_S8_S8_S8_S8_S8_S8_EEEEPS9_S9_NSD_9__find_if7functorIS9_EEEE10hipError_tPvRmT1_T2_T3_mT4_P12ihipStream_tbEUlT_E1_NS1_11comp_targetILNS1_3genE9ELNS1_11target_archE1100ELNS1_3gpuE3ELNS1_3repE0EEENS1_30default_config_static_selectorELNS0_4arch9wavefront6targetE1EEEvS17_.has_indirect_call, 0
	.section	.AMDGPU.csdata,"",@progbits
; Kernel info:
; codeLenInByte = 0
; TotalNumSgprs: 4
; NumVgprs: 0
; ScratchSize: 0
; MemoryBound: 0
; FloatMode: 240
; IeeeMode: 1
; LDSByteSize: 0 bytes/workgroup (compile time only)
; SGPRBlocks: 0
; VGPRBlocks: 0
; NumSGPRsForWavesPerEU: 4
; NumVGPRsForWavesPerEU: 1
; Occupancy: 10
; WaveLimiterHint : 0
; COMPUTE_PGM_RSRC2:SCRATCH_EN: 0
; COMPUTE_PGM_RSRC2:USER_SGPR: 6
; COMPUTE_PGM_RSRC2:TRAP_HANDLER: 0
; COMPUTE_PGM_RSRC2:TGID_X_EN: 1
; COMPUTE_PGM_RSRC2:TGID_Y_EN: 0
; COMPUTE_PGM_RSRC2:TGID_Z_EN: 0
; COMPUTE_PGM_RSRC2:TIDIG_COMP_CNT: 0
	.section	.text._ZN7rocprim17ROCPRIM_400000_NS6detail17trampoline_kernelINS0_14default_configENS1_22reduce_config_selectorIN6thrust23THRUST_200600_302600_NS5tupleIblNS6_9null_typeES8_S8_S8_S8_S8_S8_S8_EEEEZNS1_11reduce_implILb1ES3_NS6_12zip_iteratorINS7_INS6_11hip_rocprim26transform_input_iterator_tIbPdNS6_6detail10functional5actorINSH_9compositeIJNSH_27transparent_binary_operatorINS6_8equal_toIvEEEENSI_INSH_8argumentILj0EEEEENSH_5valueIdEEEEEEEEENSD_19counting_iterator_tIlEES8_S8_S8_S8_S8_S8_S8_S8_EEEEPS9_S9_NSD_9__find_if7functorIS9_EEEE10hipError_tPvRmT1_T2_T3_mT4_P12ihipStream_tbEUlT_E1_NS1_11comp_targetILNS1_3genE8ELNS1_11target_archE1030ELNS1_3gpuE2ELNS1_3repE0EEENS1_30default_config_static_selectorELNS0_4arch9wavefront6targetE1EEEvS17_,"axG",@progbits,_ZN7rocprim17ROCPRIM_400000_NS6detail17trampoline_kernelINS0_14default_configENS1_22reduce_config_selectorIN6thrust23THRUST_200600_302600_NS5tupleIblNS6_9null_typeES8_S8_S8_S8_S8_S8_S8_EEEEZNS1_11reduce_implILb1ES3_NS6_12zip_iteratorINS7_INS6_11hip_rocprim26transform_input_iterator_tIbPdNS6_6detail10functional5actorINSH_9compositeIJNSH_27transparent_binary_operatorINS6_8equal_toIvEEEENSI_INSH_8argumentILj0EEEEENSH_5valueIdEEEEEEEEENSD_19counting_iterator_tIlEES8_S8_S8_S8_S8_S8_S8_S8_EEEEPS9_S9_NSD_9__find_if7functorIS9_EEEE10hipError_tPvRmT1_T2_T3_mT4_P12ihipStream_tbEUlT_E1_NS1_11comp_targetILNS1_3genE8ELNS1_11target_archE1030ELNS1_3gpuE2ELNS1_3repE0EEENS1_30default_config_static_selectorELNS0_4arch9wavefront6targetE1EEEvS17_,comdat
	.protected	_ZN7rocprim17ROCPRIM_400000_NS6detail17trampoline_kernelINS0_14default_configENS1_22reduce_config_selectorIN6thrust23THRUST_200600_302600_NS5tupleIblNS6_9null_typeES8_S8_S8_S8_S8_S8_S8_EEEEZNS1_11reduce_implILb1ES3_NS6_12zip_iteratorINS7_INS6_11hip_rocprim26transform_input_iterator_tIbPdNS6_6detail10functional5actorINSH_9compositeIJNSH_27transparent_binary_operatorINS6_8equal_toIvEEEENSI_INSH_8argumentILj0EEEEENSH_5valueIdEEEEEEEEENSD_19counting_iterator_tIlEES8_S8_S8_S8_S8_S8_S8_S8_EEEEPS9_S9_NSD_9__find_if7functorIS9_EEEE10hipError_tPvRmT1_T2_T3_mT4_P12ihipStream_tbEUlT_E1_NS1_11comp_targetILNS1_3genE8ELNS1_11target_archE1030ELNS1_3gpuE2ELNS1_3repE0EEENS1_30default_config_static_selectorELNS0_4arch9wavefront6targetE1EEEvS17_ ; -- Begin function _ZN7rocprim17ROCPRIM_400000_NS6detail17trampoline_kernelINS0_14default_configENS1_22reduce_config_selectorIN6thrust23THRUST_200600_302600_NS5tupleIblNS6_9null_typeES8_S8_S8_S8_S8_S8_S8_EEEEZNS1_11reduce_implILb1ES3_NS6_12zip_iteratorINS7_INS6_11hip_rocprim26transform_input_iterator_tIbPdNS6_6detail10functional5actorINSH_9compositeIJNSH_27transparent_binary_operatorINS6_8equal_toIvEEEENSI_INSH_8argumentILj0EEEEENSH_5valueIdEEEEEEEEENSD_19counting_iterator_tIlEES8_S8_S8_S8_S8_S8_S8_S8_EEEEPS9_S9_NSD_9__find_if7functorIS9_EEEE10hipError_tPvRmT1_T2_T3_mT4_P12ihipStream_tbEUlT_E1_NS1_11comp_targetILNS1_3genE8ELNS1_11target_archE1030ELNS1_3gpuE2ELNS1_3repE0EEENS1_30default_config_static_selectorELNS0_4arch9wavefront6targetE1EEEvS17_
	.globl	_ZN7rocprim17ROCPRIM_400000_NS6detail17trampoline_kernelINS0_14default_configENS1_22reduce_config_selectorIN6thrust23THRUST_200600_302600_NS5tupleIblNS6_9null_typeES8_S8_S8_S8_S8_S8_S8_EEEEZNS1_11reduce_implILb1ES3_NS6_12zip_iteratorINS7_INS6_11hip_rocprim26transform_input_iterator_tIbPdNS6_6detail10functional5actorINSH_9compositeIJNSH_27transparent_binary_operatorINS6_8equal_toIvEEEENSI_INSH_8argumentILj0EEEEENSH_5valueIdEEEEEEEEENSD_19counting_iterator_tIlEES8_S8_S8_S8_S8_S8_S8_S8_EEEEPS9_S9_NSD_9__find_if7functorIS9_EEEE10hipError_tPvRmT1_T2_T3_mT4_P12ihipStream_tbEUlT_E1_NS1_11comp_targetILNS1_3genE8ELNS1_11target_archE1030ELNS1_3gpuE2ELNS1_3repE0EEENS1_30default_config_static_selectorELNS0_4arch9wavefront6targetE1EEEvS17_
	.p2align	8
	.type	_ZN7rocprim17ROCPRIM_400000_NS6detail17trampoline_kernelINS0_14default_configENS1_22reduce_config_selectorIN6thrust23THRUST_200600_302600_NS5tupleIblNS6_9null_typeES8_S8_S8_S8_S8_S8_S8_EEEEZNS1_11reduce_implILb1ES3_NS6_12zip_iteratorINS7_INS6_11hip_rocprim26transform_input_iterator_tIbPdNS6_6detail10functional5actorINSH_9compositeIJNSH_27transparent_binary_operatorINS6_8equal_toIvEEEENSI_INSH_8argumentILj0EEEEENSH_5valueIdEEEEEEEEENSD_19counting_iterator_tIlEES8_S8_S8_S8_S8_S8_S8_S8_EEEEPS9_S9_NSD_9__find_if7functorIS9_EEEE10hipError_tPvRmT1_T2_T3_mT4_P12ihipStream_tbEUlT_E1_NS1_11comp_targetILNS1_3genE8ELNS1_11target_archE1030ELNS1_3gpuE2ELNS1_3repE0EEENS1_30default_config_static_selectorELNS0_4arch9wavefront6targetE1EEEvS17_,@function
_ZN7rocprim17ROCPRIM_400000_NS6detail17trampoline_kernelINS0_14default_configENS1_22reduce_config_selectorIN6thrust23THRUST_200600_302600_NS5tupleIblNS6_9null_typeES8_S8_S8_S8_S8_S8_S8_EEEEZNS1_11reduce_implILb1ES3_NS6_12zip_iteratorINS7_INS6_11hip_rocprim26transform_input_iterator_tIbPdNS6_6detail10functional5actorINSH_9compositeIJNSH_27transparent_binary_operatorINS6_8equal_toIvEEEENSI_INSH_8argumentILj0EEEEENSH_5valueIdEEEEEEEEENSD_19counting_iterator_tIlEES8_S8_S8_S8_S8_S8_S8_S8_EEEEPS9_S9_NSD_9__find_if7functorIS9_EEEE10hipError_tPvRmT1_T2_T3_mT4_P12ihipStream_tbEUlT_E1_NS1_11comp_targetILNS1_3genE8ELNS1_11target_archE1030ELNS1_3gpuE2ELNS1_3repE0EEENS1_30default_config_static_selectorELNS0_4arch9wavefront6targetE1EEEvS17_: ; @_ZN7rocprim17ROCPRIM_400000_NS6detail17trampoline_kernelINS0_14default_configENS1_22reduce_config_selectorIN6thrust23THRUST_200600_302600_NS5tupleIblNS6_9null_typeES8_S8_S8_S8_S8_S8_S8_EEEEZNS1_11reduce_implILb1ES3_NS6_12zip_iteratorINS7_INS6_11hip_rocprim26transform_input_iterator_tIbPdNS6_6detail10functional5actorINSH_9compositeIJNSH_27transparent_binary_operatorINS6_8equal_toIvEEEENSI_INSH_8argumentILj0EEEEENSH_5valueIdEEEEEEEEENSD_19counting_iterator_tIlEES8_S8_S8_S8_S8_S8_S8_S8_EEEEPS9_S9_NSD_9__find_if7functorIS9_EEEE10hipError_tPvRmT1_T2_T3_mT4_P12ihipStream_tbEUlT_E1_NS1_11comp_targetILNS1_3genE8ELNS1_11target_archE1030ELNS1_3gpuE2ELNS1_3repE0EEENS1_30default_config_static_selectorELNS0_4arch9wavefront6targetE1EEEvS17_
; %bb.0:
	.section	.rodata,"a",@progbits
	.p2align	6, 0x0
	.amdhsa_kernel _ZN7rocprim17ROCPRIM_400000_NS6detail17trampoline_kernelINS0_14default_configENS1_22reduce_config_selectorIN6thrust23THRUST_200600_302600_NS5tupleIblNS6_9null_typeES8_S8_S8_S8_S8_S8_S8_EEEEZNS1_11reduce_implILb1ES3_NS6_12zip_iteratorINS7_INS6_11hip_rocprim26transform_input_iterator_tIbPdNS6_6detail10functional5actorINSH_9compositeIJNSH_27transparent_binary_operatorINS6_8equal_toIvEEEENSI_INSH_8argumentILj0EEEEENSH_5valueIdEEEEEEEEENSD_19counting_iterator_tIlEES8_S8_S8_S8_S8_S8_S8_S8_EEEEPS9_S9_NSD_9__find_if7functorIS9_EEEE10hipError_tPvRmT1_T2_T3_mT4_P12ihipStream_tbEUlT_E1_NS1_11comp_targetILNS1_3genE8ELNS1_11target_archE1030ELNS1_3gpuE2ELNS1_3repE0EEENS1_30default_config_static_selectorELNS0_4arch9wavefront6targetE1EEEvS17_
		.amdhsa_group_segment_fixed_size 0
		.amdhsa_private_segment_fixed_size 0
		.amdhsa_kernarg_size 80
		.amdhsa_user_sgpr_count 6
		.amdhsa_user_sgpr_private_segment_buffer 1
		.amdhsa_user_sgpr_dispatch_ptr 0
		.amdhsa_user_sgpr_queue_ptr 0
		.amdhsa_user_sgpr_kernarg_segment_ptr 1
		.amdhsa_user_sgpr_dispatch_id 0
		.amdhsa_user_sgpr_flat_scratch_init 0
		.amdhsa_user_sgpr_private_segment_size 0
		.amdhsa_uses_dynamic_stack 0
		.amdhsa_system_sgpr_private_segment_wavefront_offset 0
		.amdhsa_system_sgpr_workgroup_id_x 1
		.amdhsa_system_sgpr_workgroup_id_y 0
		.amdhsa_system_sgpr_workgroup_id_z 0
		.amdhsa_system_sgpr_workgroup_info 0
		.amdhsa_system_vgpr_workitem_id 0
		.amdhsa_next_free_vgpr 1
		.amdhsa_next_free_sgpr 0
		.amdhsa_reserve_vcc 0
		.amdhsa_reserve_flat_scratch 0
		.amdhsa_float_round_mode_32 0
		.amdhsa_float_round_mode_16_64 0
		.amdhsa_float_denorm_mode_32 3
		.amdhsa_float_denorm_mode_16_64 3
		.amdhsa_dx10_clamp 1
		.amdhsa_ieee_mode 1
		.amdhsa_fp16_overflow 0
		.amdhsa_exception_fp_ieee_invalid_op 0
		.amdhsa_exception_fp_denorm_src 0
		.amdhsa_exception_fp_ieee_div_zero 0
		.amdhsa_exception_fp_ieee_overflow 0
		.amdhsa_exception_fp_ieee_underflow 0
		.amdhsa_exception_fp_ieee_inexact 0
		.amdhsa_exception_int_div_zero 0
	.end_amdhsa_kernel
	.section	.text._ZN7rocprim17ROCPRIM_400000_NS6detail17trampoline_kernelINS0_14default_configENS1_22reduce_config_selectorIN6thrust23THRUST_200600_302600_NS5tupleIblNS6_9null_typeES8_S8_S8_S8_S8_S8_S8_EEEEZNS1_11reduce_implILb1ES3_NS6_12zip_iteratorINS7_INS6_11hip_rocprim26transform_input_iterator_tIbPdNS6_6detail10functional5actorINSH_9compositeIJNSH_27transparent_binary_operatorINS6_8equal_toIvEEEENSI_INSH_8argumentILj0EEEEENSH_5valueIdEEEEEEEEENSD_19counting_iterator_tIlEES8_S8_S8_S8_S8_S8_S8_S8_EEEEPS9_S9_NSD_9__find_if7functorIS9_EEEE10hipError_tPvRmT1_T2_T3_mT4_P12ihipStream_tbEUlT_E1_NS1_11comp_targetILNS1_3genE8ELNS1_11target_archE1030ELNS1_3gpuE2ELNS1_3repE0EEENS1_30default_config_static_selectorELNS0_4arch9wavefront6targetE1EEEvS17_,"axG",@progbits,_ZN7rocprim17ROCPRIM_400000_NS6detail17trampoline_kernelINS0_14default_configENS1_22reduce_config_selectorIN6thrust23THRUST_200600_302600_NS5tupleIblNS6_9null_typeES8_S8_S8_S8_S8_S8_S8_EEEEZNS1_11reduce_implILb1ES3_NS6_12zip_iteratorINS7_INS6_11hip_rocprim26transform_input_iterator_tIbPdNS6_6detail10functional5actorINSH_9compositeIJNSH_27transparent_binary_operatorINS6_8equal_toIvEEEENSI_INSH_8argumentILj0EEEEENSH_5valueIdEEEEEEEEENSD_19counting_iterator_tIlEES8_S8_S8_S8_S8_S8_S8_S8_EEEEPS9_S9_NSD_9__find_if7functorIS9_EEEE10hipError_tPvRmT1_T2_T3_mT4_P12ihipStream_tbEUlT_E1_NS1_11comp_targetILNS1_3genE8ELNS1_11target_archE1030ELNS1_3gpuE2ELNS1_3repE0EEENS1_30default_config_static_selectorELNS0_4arch9wavefront6targetE1EEEvS17_,comdat
.Lfunc_end1741:
	.size	_ZN7rocprim17ROCPRIM_400000_NS6detail17trampoline_kernelINS0_14default_configENS1_22reduce_config_selectorIN6thrust23THRUST_200600_302600_NS5tupleIblNS6_9null_typeES8_S8_S8_S8_S8_S8_S8_EEEEZNS1_11reduce_implILb1ES3_NS6_12zip_iteratorINS7_INS6_11hip_rocprim26transform_input_iterator_tIbPdNS6_6detail10functional5actorINSH_9compositeIJNSH_27transparent_binary_operatorINS6_8equal_toIvEEEENSI_INSH_8argumentILj0EEEEENSH_5valueIdEEEEEEEEENSD_19counting_iterator_tIlEES8_S8_S8_S8_S8_S8_S8_S8_EEEEPS9_S9_NSD_9__find_if7functorIS9_EEEE10hipError_tPvRmT1_T2_T3_mT4_P12ihipStream_tbEUlT_E1_NS1_11comp_targetILNS1_3genE8ELNS1_11target_archE1030ELNS1_3gpuE2ELNS1_3repE0EEENS1_30default_config_static_selectorELNS0_4arch9wavefront6targetE1EEEvS17_, .Lfunc_end1741-_ZN7rocprim17ROCPRIM_400000_NS6detail17trampoline_kernelINS0_14default_configENS1_22reduce_config_selectorIN6thrust23THRUST_200600_302600_NS5tupleIblNS6_9null_typeES8_S8_S8_S8_S8_S8_S8_EEEEZNS1_11reduce_implILb1ES3_NS6_12zip_iteratorINS7_INS6_11hip_rocprim26transform_input_iterator_tIbPdNS6_6detail10functional5actorINSH_9compositeIJNSH_27transparent_binary_operatorINS6_8equal_toIvEEEENSI_INSH_8argumentILj0EEEEENSH_5valueIdEEEEEEEEENSD_19counting_iterator_tIlEES8_S8_S8_S8_S8_S8_S8_S8_EEEEPS9_S9_NSD_9__find_if7functorIS9_EEEE10hipError_tPvRmT1_T2_T3_mT4_P12ihipStream_tbEUlT_E1_NS1_11comp_targetILNS1_3genE8ELNS1_11target_archE1030ELNS1_3gpuE2ELNS1_3repE0EEENS1_30default_config_static_selectorELNS0_4arch9wavefront6targetE1EEEvS17_
                                        ; -- End function
	.set _ZN7rocprim17ROCPRIM_400000_NS6detail17trampoline_kernelINS0_14default_configENS1_22reduce_config_selectorIN6thrust23THRUST_200600_302600_NS5tupleIblNS6_9null_typeES8_S8_S8_S8_S8_S8_S8_EEEEZNS1_11reduce_implILb1ES3_NS6_12zip_iteratorINS7_INS6_11hip_rocprim26transform_input_iterator_tIbPdNS6_6detail10functional5actorINSH_9compositeIJNSH_27transparent_binary_operatorINS6_8equal_toIvEEEENSI_INSH_8argumentILj0EEEEENSH_5valueIdEEEEEEEEENSD_19counting_iterator_tIlEES8_S8_S8_S8_S8_S8_S8_S8_EEEEPS9_S9_NSD_9__find_if7functorIS9_EEEE10hipError_tPvRmT1_T2_T3_mT4_P12ihipStream_tbEUlT_E1_NS1_11comp_targetILNS1_3genE8ELNS1_11target_archE1030ELNS1_3gpuE2ELNS1_3repE0EEENS1_30default_config_static_selectorELNS0_4arch9wavefront6targetE1EEEvS17_.num_vgpr, 0
	.set _ZN7rocprim17ROCPRIM_400000_NS6detail17trampoline_kernelINS0_14default_configENS1_22reduce_config_selectorIN6thrust23THRUST_200600_302600_NS5tupleIblNS6_9null_typeES8_S8_S8_S8_S8_S8_S8_EEEEZNS1_11reduce_implILb1ES3_NS6_12zip_iteratorINS7_INS6_11hip_rocprim26transform_input_iterator_tIbPdNS6_6detail10functional5actorINSH_9compositeIJNSH_27transparent_binary_operatorINS6_8equal_toIvEEEENSI_INSH_8argumentILj0EEEEENSH_5valueIdEEEEEEEEENSD_19counting_iterator_tIlEES8_S8_S8_S8_S8_S8_S8_S8_EEEEPS9_S9_NSD_9__find_if7functorIS9_EEEE10hipError_tPvRmT1_T2_T3_mT4_P12ihipStream_tbEUlT_E1_NS1_11comp_targetILNS1_3genE8ELNS1_11target_archE1030ELNS1_3gpuE2ELNS1_3repE0EEENS1_30default_config_static_selectorELNS0_4arch9wavefront6targetE1EEEvS17_.num_agpr, 0
	.set _ZN7rocprim17ROCPRIM_400000_NS6detail17trampoline_kernelINS0_14default_configENS1_22reduce_config_selectorIN6thrust23THRUST_200600_302600_NS5tupleIblNS6_9null_typeES8_S8_S8_S8_S8_S8_S8_EEEEZNS1_11reduce_implILb1ES3_NS6_12zip_iteratorINS7_INS6_11hip_rocprim26transform_input_iterator_tIbPdNS6_6detail10functional5actorINSH_9compositeIJNSH_27transparent_binary_operatorINS6_8equal_toIvEEEENSI_INSH_8argumentILj0EEEEENSH_5valueIdEEEEEEEEENSD_19counting_iterator_tIlEES8_S8_S8_S8_S8_S8_S8_S8_EEEEPS9_S9_NSD_9__find_if7functorIS9_EEEE10hipError_tPvRmT1_T2_T3_mT4_P12ihipStream_tbEUlT_E1_NS1_11comp_targetILNS1_3genE8ELNS1_11target_archE1030ELNS1_3gpuE2ELNS1_3repE0EEENS1_30default_config_static_selectorELNS0_4arch9wavefront6targetE1EEEvS17_.numbered_sgpr, 0
	.set _ZN7rocprim17ROCPRIM_400000_NS6detail17trampoline_kernelINS0_14default_configENS1_22reduce_config_selectorIN6thrust23THRUST_200600_302600_NS5tupleIblNS6_9null_typeES8_S8_S8_S8_S8_S8_S8_EEEEZNS1_11reduce_implILb1ES3_NS6_12zip_iteratorINS7_INS6_11hip_rocprim26transform_input_iterator_tIbPdNS6_6detail10functional5actorINSH_9compositeIJNSH_27transparent_binary_operatorINS6_8equal_toIvEEEENSI_INSH_8argumentILj0EEEEENSH_5valueIdEEEEEEEEENSD_19counting_iterator_tIlEES8_S8_S8_S8_S8_S8_S8_S8_EEEEPS9_S9_NSD_9__find_if7functorIS9_EEEE10hipError_tPvRmT1_T2_T3_mT4_P12ihipStream_tbEUlT_E1_NS1_11comp_targetILNS1_3genE8ELNS1_11target_archE1030ELNS1_3gpuE2ELNS1_3repE0EEENS1_30default_config_static_selectorELNS0_4arch9wavefront6targetE1EEEvS17_.num_named_barrier, 0
	.set _ZN7rocprim17ROCPRIM_400000_NS6detail17trampoline_kernelINS0_14default_configENS1_22reduce_config_selectorIN6thrust23THRUST_200600_302600_NS5tupleIblNS6_9null_typeES8_S8_S8_S8_S8_S8_S8_EEEEZNS1_11reduce_implILb1ES3_NS6_12zip_iteratorINS7_INS6_11hip_rocprim26transform_input_iterator_tIbPdNS6_6detail10functional5actorINSH_9compositeIJNSH_27transparent_binary_operatorINS6_8equal_toIvEEEENSI_INSH_8argumentILj0EEEEENSH_5valueIdEEEEEEEEENSD_19counting_iterator_tIlEES8_S8_S8_S8_S8_S8_S8_S8_EEEEPS9_S9_NSD_9__find_if7functorIS9_EEEE10hipError_tPvRmT1_T2_T3_mT4_P12ihipStream_tbEUlT_E1_NS1_11comp_targetILNS1_3genE8ELNS1_11target_archE1030ELNS1_3gpuE2ELNS1_3repE0EEENS1_30default_config_static_selectorELNS0_4arch9wavefront6targetE1EEEvS17_.private_seg_size, 0
	.set _ZN7rocprim17ROCPRIM_400000_NS6detail17trampoline_kernelINS0_14default_configENS1_22reduce_config_selectorIN6thrust23THRUST_200600_302600_NS5tupleIblNS6_9null_typeES8_S8_S8_S8_S8_S8_S8_EEEEZNS1_11reduce_implILb1ES3_NS6_12zip_iteratorINS7_INS6_11hip_rocprim26transform_input_iterator_tIbPdNS6_6detail10functional5actorINSH_9compositeIJNSH_27transparent_binary_operatorINS6_8equal_toIvEEEENSI_INSH_8argumentILj0EEEEENSH_5valueIdEEEEEEEEENSD_19counting_iterator_tIlEES8_S8_S8_S8_S8_S8_S8_S8_EEEEPS9_S9_NSD_9__find_if7functorIS9_EEEE10hipError_tPvRmT1_T2_T3_mT4_P12ihipStream_tbEUlT_E1_NS1_11comp_targetILNS1_3genE8ELNS1_11target_archE1030ELNS1_3gpuE2ELNS1_3repE0EEENS1_30default_config_static_selectorELNS0_4arch9wavefront6targetE1EEEvS17_.uses_vcc, 0
	.set _ZN7rocprim17ROCPRIM_400000_NS6detail17trampoline_kernelINS0_14default_configENS1_22reduce_config_selectorIN6thrust23THRUST_200600_302600_NS5tupleIblNS6_9null_typeES8_S8_S8_S8_S8_S8_S8_EEEEZNS1_11reduce_implILb1ES3_NS6_12zip_iteratorINS7_INS6_11hip_rocprim26transform_input_iterator_tIbPdNS6_6detail10functional5actorINSH_9compositeIJNSH_27transparent_binary_operatorINS6_8equal_toIvEEEENSI_INSH_8argumentILj0EEEEENSH_5valueIdEEEEEEEEENSD_19counting_iterator_tIlEES8_S8_S8_S8_S8_S8_S8_S8_EEEEPS9_S9_NSD_9__find_if7functorIS9_EEEE10hipError_tPvRmT1_T2_T3_mT4_P12ihipStream_tbEUlT_E1_NS1_11comp_targetILNS1_3genE8ELNS1_11target_archE1030ELNS1_3gpuE2ELNS1_3repE0EEENS1_30default_config_static_selectorELNS0_4arch9wavefront6targetE1EEEvS17_.uses_flat_scratch, 0
	.set _ZN7rocprim17ROCPRIM_400000_NS6detail17trampoline_kernelINS0_14default_configENS1_22reduce_config_selectorIN6thrust23THRUST_200600_302600_NS5tupleIblNS6_9null_typeES8_S8_S8_S8_S8_S8_S8_EEEEZNS1_11reduce_implILb1ES3_NS6_12zip_iteratorINS7_INS6_11hip_rocprim26transform_input_iterator_tIbPdNS6_6detail10functional5actorINSH_9compositeIJNSH_27transparent_binary_operatorINS6_8equal_toIvEEEENSI_INSH_8argumentILj0EEEEENSH_5valueIdEEEEEEEEENSD_19counting_iterator_tIlEES8_S8_S8_S8_S8_S8_S8_S8_EEEEPS9_S9_NSD_9__find_if7functorIS9_EEEE10hipError_tPvRmT1_T2_T3_mT4_P12ihipStream_tbEUlT_E1_NS1_11comp_targetILNS1_3genE8ELNS1_11target_archE1030ELNS1_3gpuE2ELNS1_3repE0EEENS1_30default_config_static_selectorELNS0_4arch9wavefront6targetE1EEEvS17_.has_dyn_sized_stack, 0
	.set _ZN7rocprim17ROCPRIM_400000_NS6detail17trampoline_kernelINS0_14default_configENS1_22reduce_config_selectorIN6thrust23THRUST_200600_302600_NS5tupleIblNS6_9null_typeES8_S8_S8_S8_S8_S8_S8_EEEEZNS1_11reduce_implILb1ES3_NS6_12zip_iteratorINS7_INS6_11hip_rocprim26transform_input_iterator_tIbPdNS6_6detail10functional5actorINSH_9compositeIJNSH_27transparent_binary_operatorINS6_8equal_toIvEEEENSI_INSH_8argumentILj0EEEEENSH_5valueIdEEEEEEEEENSD_19counting_iterator_tIlEES8_S8_S8_S8_S8_S8_S8_S8_EEEEPS9_S9_NSD_9__find_if7functorIS9_EEEE10hipError_tPvRmT1_T2_T3_mT4_P12ihipStream_tbEUlT_E1_NS1_11comp_targetILNS1_3genE8ELNS1_11target_archE1030ELNS1_3gpuE2ELNS1_3repE0EEENS1_30default_config_static_selectorELNS0_4arch9wavefront6targetE1EEEvS17_.has_recursion, 0
	.set _ZN7rocprim17ROCPRIM_400000_NS6detail17trampoline_kernelINS0_14default_configENS1_22reduce_config_selectorIN6thrust23THRUST_200600_302600_NS5tupleIblNS6_9null_typeES8_S8_S8_S8_S8_S8_S8_EEEEZNS1_11reduce_implILb1ES3_NS6_12zip_iteratorINS7_INS6_11hip_rocprim26transform_input_iterator_tIbPdNS6_6detail10functional5actorINSH_9compositeIJNSH_27transparent_binary_operatorINS6_8equal_toIvEEEENSI_INSH_8argumentILj0EEEEENSH_5valueIdEEEEEEEEENSD_19counting_iterator_tIlEES8_S8_S8_S8_S8_S8_S8_S8_EEEEPS9_S9_NSD_9__find_if7functorIS9_EEEE10hipError_tPvRmT1_T2_T3_mT4_P12ihipStream_tbEUlT_E1_NS1_11comp_targetILNS1_3genE8ELNS1_11target_archE1030ELNS1_3gpuE2ELNS1_3repE0EEENS1_30default_config_static_selectorELNS0_4arch9wavefront6targetE1EEEvS17_.has_indirect_call, 0
	.section	.AMDGPU.csdata,"",@progbits
; Kernel info:
; codeLenInByte = 0
; TotalNumSgprs: 4
; NumVgprs: 0
; ScratchSize: 0
; MemoryBound: 0
; FloatMode: 240
; IeeeMode: 1
; LDSByteSize: 0 bytes/workgroup (compile time only)
; SGPRBlocks: 0
; VGPRBlocks: 0
; NumSGPRsForWavesPerEU: 4
; NumVGPRsForWavesPerEU: 1
; Occupancy: 10
; WaveLimiterHint : 0
; COMPUTE_PGM_RSRC2:SCRATCH_EN: 0
; COMPUTE_PGM_RSRC2:USER_SGPR: 6
; COMPUTE_PGM_RSRC2:TRAP_HANDLER: 0
; COMPUTE_PGM_RSRC2:TGID_X_EN: 1
; COMPUTE_PGM_RSRC2:TGID_Y_EN: 0
; COMPUTE_PGM_RSRC2:TGID_Z_EN: 0
; COMPUTE_PGM_RSRC2:TIDIG_COMP_CNT: 0
	.section	.text._ZN7rocprim17ROCPRIM_400000_NS6detail17trampoline_kernelINS0_13kernel_configILj256ELj4ELj4294967295EEENS1_37radix_sort_block_sort_config_selectorIflEEZNS1_21radix_sort_block_sortIS4_Lb0EPfS8_N6thrust23THRUST_200600_302600_NS10device_ptrIlEESC_NS0_19identity_decomposerEEE10hipError_tT1_T2_T3_T4_jRjT5_jjP12ihipStream_tbEUlT_E_NS1_11comp_targetILNS1_3genE0ELNS1_11target_archE4294967295ELNS1_3gpuE0ELNS1_3repE0EEENS1_44radix_sort_block_sort_config_static_selectorELNS0_4arch9wavefront6targetE1EEEvSF_,"axG",@progbits,_ZN7rocprim17ROCPRIM_400000_NS6detail17trampoline_kernelINS0_13kernel_configILj256ELj4ELj4294967295EEENS1_37radix_sort_block_sort_config_selectorIflEEZNS1_21radix_sort_block_sortIS4_Lb0EPfS8_N6thrust23THRUST_200600_302600_NS10device_ptrIlEESC_NS0_19identity_decomposerEEE10hipError_tT1_T2_T3_T4_jRjT5_jjP12ihipStream_tbEUlT_E_NS1_11comp_targetILNS1_3genE0ELNS1_11target_archE4294967295ELNS1_3gpuE0ELNS1_3repE0EEENS1_44radix_sort_block_sort_config_static_selectorELNS0_4arch9wavefront6targetE1EEEvSF_,comdat
	.protected	_ZN7rocprim17ROCPRIM_400000_NS6detail17trampoline_kernelINS0_13kernel_configILj256ELj4ELj4294967295EEENS1_37radix_sort_block_sort_config_selectorIflEEZNS1_21radix_sort_block_sortIS4_Lb0EPfS8_N6thrust23THRUST_200600_302600_NS10device_ptrIlEESC_NS0_19identity_decomposerEEE10hipError_tT1_T2_T3_T4_jRjT5_jjP12ihipStream_tbEUlT_E_NS1_11comp_targetILNS1_3genE0ELNS1_11target_archE4294967295ELNS1_3gpuE0ELNS1_3repE0EEENS1_44radix_sort_block_sort_config_static_selectorELNS0_4arch9wavefront6targetE1EEEvSF_ ; -- Begin function _ZN7rocprim17ROCPRIM_400000_NS6detail17trampoline_kernelINS0_13kernel_configILj256ELj4ELj4294967295EEENS1_37radix_sort_block_sort_config_selectorIflEEZNS1_21radix_sort_block_sortIS4_Lb0EPfS8_N6thrust23THRUST_200600_302600_NS10device_ptrIlEESC_NS0_19identity_decomposerEEE10hipError_tT1_T2_T3_T4_jRjT5_jjP12ihipStream_tbEUlT_E_NS1_11comp_targetILNS1_3genE0ELNS1_11target_archE4294967295ELNS1_3gpuE0ELNS1_3repE0EEENS1_44radix_sort_block_sort_config_static_selectorELNS0_4arch9wavefront6targetE1EEEvSF_
	.globl	_ZN7rocprim17ROCPRIM_400000_NS6detail17trampoline_kernelINS0_13kernel_configILj256ELj4ELj4294967295EEENS1_37radix_sort_block_sort_config_selectorIflEEZNS1_21radix_sort_block_sortIS4_Lb0EPfS8_N6thrust23THRUST_200600_302600_NS10device_ptrIlEESC_NS0_19identity_decomposerEEE10hipError_tT1_T2_T3_T4_jRjT5_jjP12ihipStream_tbEUlT_E_NS1_11comp_targetILNS1_3genE0ELNS1_11target_archE4294967295ELNS1_3gpuE0ELNS1_3repE0EEENS1_44radix_sort_block_sort_config_static_selectorELNS0_4arch9wavefront6targetE1EEEvSF_
	.p2align	8
	.type	_ZN7rocprim17ROCPRIM_400000_NS6detail17trampoline_kernelINS0_13kernel_configILj256ELj4ELj4294967295EEENS1_37radix_sort_block_sort_config_selectorIflEEZNS1_21radix_sort_block_sortIS4_Lb0EPfS8_N6thrust23THRUST_200600_302600_NS10device_ptrIlEESC_NS0_19identity_decomposerEEE10hipError_tT1_T2_T3_T4_jRjT5_jjP12ihipStream_tbEUlT_E_NS1_11comp_targetILNS1_3genE0ELNS1_11target_archE4294967295ELNS1_3gpuE0ELNS1_3repE0EEENS1_44radix_sort_block_sort_config_static_selectorELNS0_4arch9wavefront6targetE1EEEvSF_,@function
_ZN7rocprim17ROCPRIM_400000_NS6detail17trampoline_kernelINS0_13kernel_configILj256ELj4ELj4294967295EEENS1_37radix_sort_block_sort_config_selectorIflEEZNS1_21radix_sort_block_sortIS4_Lb0EPfS8_N6thrust23THRUST_200600_302600_NS10device_ptrIlEESC_NS0_19identity_decomposerEEE10hipError_tT1_T2_T3_T4_jRjT5_jjP12ihipStream_tbEUlT_E_NS1_11comp_targetILNS1_3genE0ELNS1_11target_archE4294967295ELNS1_3gpuE0ELNS1_3repE0EEENS1_44radix_sort_block_sort_config_static_selectorELNS0_4arch9wavefront6targetE1EEEvSF_: ; @_ZN7rocprim17ROCPRIM_400000_NS6detail17trampoline_kernelINS0_13kernel_configILj256ELj4ELj4294967295EEENS1_37radix_sort_block_sort_config_selectorIflEEZNS1_21radix_sort_block_sortIS4_Lb0EPfS8_N6thrust23THRUST_200600_302600_NS10device_ptrIlEESC_NS0_19identity_decomposerEEE10hipError_tT1_T2_T3_T4_jRjT5_jjP12ihipStream_tbEUlT_E_NS1_11comp_targetILNS1_3genE0ELNS1_11target_archE4294967295ELNS1_3gpuE0ELNS1_3repE0EEENS1_44radix_sort_block_sort_config_static_selectorELNS0_4arch9wavefront6targetE1EEEvSF_
; %bb.0:
	.section	.rodata,"a",@progbits
	.p2align	6, 0x0
	.amdhsa_kernel _ZN7rocprim17ROCPRIM_400000_NS6detail17trampoline_kernelINS0_13kernel_configILj256ELj4ELj4294967295EEENS1_37radix_sort_block_sort_config_selectorIflEEZNS1_21radix_sort_block_sortIS4_Lb0EPfS8_N6thrust23THRUST_200600_302600_NS10device_ptrIlEESC_NS0_19identity_decomposerEEE10hipError_tT1_T2_T3_T4_jRjT5_jjP12ihipStream_tbEUlT_E_NS1_11comp_targetILNS1_3genE0ELNS1_11target_archE4294967295ELNS1_3gpuE0ELNS1_3repE0EEENS1_44radix_sort_block_sort_config_static_selectorELNS0_4arch9wavefront6targetE1EEEvSF_
		.amdhsa_group_segment_fixed_size 0
		.amdhsa_private_segment_fixed_size 0
		.amdhsa_kernarg_size 48
		.amdhsa_user_sgpr_count 6
		.amdhsa_user_sgpr_private_segment_buffer 1
		.amdhsa_user_sgpr_dispatch_ptr 0
		.amdhsa_user_sgpr_queue_ptr 0
		.amdhsa_user_sgpr_kernarg_segment_ptr 1
		.amdhsa_user_sgpr_dispatch_id 0
		.amdhsa_user_sgpr_flat_scratch_init 0
		.amdhsa_user_sgpr_private_segment_size 0
		.amdhsa_uses_dynamic_stack 0
		.amdhsa_system_sgpr_private_segment_wavefront_offset 0
		.amdhsa_system_sgpr_workgroup_id_x 1
		.amdhsa_system_sgpr_workgroup_id_y 0
		.amdhsa_system_sgpr_workgroup_id_z 0
		.amdhsa_system_sgpr_workgroup_info 0
		.amdhsa_system_vgpr_workitem_id 0
		.amdhsa_next_free_vgpr 1
		.amdhsa_next_free_sgpr 0
		.amdhsa_reserve_vcc 0
		.amdhsa_reserve_flat_scratch 0
		.amdhsa_float_round_mode_32 0
		.amdhsa_float_round_mode_16_64 0
		.amdhsa_float_denorm_mode_32 3
		.amdhsa_float_denorm_mode_16_64 3
		.amdhsa_dx10_clamp 1
		.amdhsa_ieee_mode 1
		.amdhsa_fp16_overflow 0
		.amdhsa_exception_fp_ieee_invalid_op 0
		.amdhsa_exception_fp_denorm_src 0
		.amdhsa_exception_fp_ieee_div_zero 0
		.amdhsa_exception_fp_ieee_overflow 0
		.amdhsa_exception_fp_ieee_underflow 0
		.amdhsa_exception_fp_ieee_inexact 0
		.amdhsa_exception_int_div_zero 0
	.end_amdhsa_kernel
	.section	.text._ZN7rocprim17ROCPRIM_400000_NS6detail17trampoline_kernelINS0_13kernel_configILj256ELj4ELj4294967295EEENS1_37radix_sort_block_sort_config_selectorIflEEZNS1_21radix_sort_block_sortIS4_Lb0EPfS8_N6thrust23THRUST_200600_302600_NS10device_ptrIlEESC_NS0_19identity_decomposerEEE10hipError_tT1_T2_T3_T4_jRjT5_jjP12ihipStream_tbEUlT_E_NS1_11comp_targetILNS1_3genE0ELNS1_11target_archE4294967295ELNS1_3gpuE0ELNS1_3repE0EEENS1_44radix_sort_block_sort_config_static_selectorELNS0_4arch9wavefront6targetE1EEEvSF_,"axG",@progbits,_ZN7rocprim17ROCPRIM_400000_NS6detail17trampoline_kernelINS0_13kernel_configILj256ELj4ELj4294967295EEENS1_37radix_sort_block_sort_config_selectorIflEEZNS1_21radix_sort_block_sortIS4_Lb0EPfS8_N6thrust23THRUST_200600_302600_NS10device_ptrIlEESC_NS0_19identity_decomposerEEE10hipError_tT1_T2_T3_T4_jRjT5_jjP12ihipStream_tbEUlT_E_NS1_11comp_targetILNS1_3genE0ELNS1_11target_archE4294967295ELNS1_3gpuE0ELNS1_3repE0EEENS1_44radix_sort_block_sort_config_static_selectorELNS0_4arch9wavefront6targetE1EEEvSF_,comdat
.Lfunc_end1742:
	.size	_ZN7rocprim17ROCPRIM_400000_NS6detail17trampoline_kernelINS0_13kernel_configILj256ELj4ELj4294967295EEENS1_37radix_sort_block_sort_config_selectorIflEEZNS1_21radix_sort_block_sortIS4_Lb0EPfS8_N6thrust23THRUST_200600_302600_NS10device_ptrIlEESC_NS0_19identity_decomposerEEE10hipError_tT1_T2_T3_T4_jRjT5_jjP12ihipStream_tbEUlT_E_NS1_11comp_targetILNS1_3genE0ELNS1_11target_archE4294967295ELNS1_3gpuE0ELNS1_3repE0EEENS1_44radix_sort_block_sort_config_static_selectorELNS0_4arch9wavefront6targetE1EEEvSF_, .Lfunc_end1742-_ZN7rocprim17ROCPRIM_400000_NS6detail17trampoline_kernelINS0_13kernel_configILj256ELj4ELj4294967295EEENS1_37radix_sort_block_sort_config_selectorIflEEZNS1_21radix_sort_block_sortIS4_Lb0EPfS8_N6thrust23THRUST_200600_302600_NS10device_ptrIlEESC_NS0_19identity_decomposerEEE10hipError_tT1_T2_T3_T4_jRjT5_jjP12ihipStream_tbEUlT_E_NS1_11comp_targetILNS1_3genE0ELNS1_11target_archE4294967295ELNS1_3gpuE0ELNS1_3repE0EEENS1_44radix_sort_block_sort_config_static_selectorELNS0_4arch9wavefront6targetE1EEEvSF_
                                        ; -- End function
	.set _ZN7rocprim17ROCPRIM_400000_NS6detail17trampoline_kernelINS0_13kernel_configILj256ELj4ELj4294967295EEENS1_37radix_sort_block_sort_config_selectorIflEEZNS1_21radix_sort_block_sortIS4_Lb0EPfS8_N6thrust23THRUST_200600_302600_NS10device_ptrIlEESC_NS0_19identity_decomposerEEE10hipError_tT1_T2_T3_T4_jRjT5_jjP12ihipStream_tbEUlT_E_NS1_11comp_targetILNS1_3genE0ELNS1_11target_archE4294967295ELNS1_3gpuE0ELNS1_3repE0EEENS1_44radix_sort_block_sort_config_static_selectorELNS0_4arch9wavefront6targetE1EEEvSF_.num_vgpr, 0
	.set _ZN7rocprim17ROCPRIM_400000_NS6detail17trampoline_kernelINS0_13kernel_configILj256ELj4ELj4294967295EEENS1_37radix_sort_block_sort_config_selectorIflEEZNS1_21radix_sort_block_sortIS4_Lb0EPfS8_N6thrust23THRUST_200600_302600_NS10device_ptrIlEESC_NS0_19identity_decomposerEEE10hipError_tT1_T2_T3_T4_jRjT5_jjP12ihipStream_tbEUlT_E_NS1_11comp_targetILNS1_3genE0ELNS1_11target_archE4294967295ELNS1_3gpuE0ELNS1_3repE0EEENS1_44radix_sort_block_sort_config_static_selectorELNS0_4arch9wavefront6targetE1EEEvSF_.num_agpr, 0
	.set _ZN7rocprim17ROCPRIM_400000_NS6detail17trampoline_kernelINS0_13kernel_configILj256ELj4ELj4294967295EEENS1_37radix_sort_block_sort_config_selectorIflEEZNS1_21radix_sort_block_sortIS4_Lb0EPfS8_N6thrust23THRUST_200600_302600_NS10device_ptrIlEESC_NS0_19identity_decomposerEEE10hipError_tT1_T2_T3_T4_jRjT5_jjP12ihipStream_tbEUlT_E_NS1_11comp_targetILNS1_3genE0ELNS1_11target_archE4294967295ELNS1_3gpuE0ELNS1_3repE0EEENS1_44radix_sort_block_sort_config_static_selectorELNS0_4arch9wavefront6targetE1EEEvSF_.numbered_sgpr, 0
	.set _ZN7rocprim17ROCPRIM_400000_NS6detail17trampoline_kernelINS0_13kernel_configILj256ELj4ELj4294967295EEENS1_37radix_sort_block_sort_config_selectorIflEEZNS1_21radix_sort_block_sortIS4_Lb0EPfS8_N6thrust23THRUST_200600_302600_NS10device_ptrIlEESC_NS0_19identity_decomposerEEE10hipError_tT1_T2_T3_T4_jRjT5_jjP12ihipStream_tbEUlT_E_NS1_11comp_targetILNS1_3genE0ELNS1_11target_archE4294967295ELNS1_3gpuE0ELNS1_3repE0EEENS1_44radix_sort_block_sort_config_static_selectorELNS0_4arch9wavefront6targetE1EEEvSF_.num_named_barrier, 0
	.set _ZN7rocprim17ROCPRIM_400000_NS6detail17trampoline_kernelINS0_13kernel_configILj256ELj4ELj4294967295EEENS1_37radix_sort_block_sort_config_selectorIflEEZNS1_21radix_sort_block_sortIS4_Lb0EPfS8_N6thrust23THRUST_200600_302600_NS10device_ptrIlEESC_NS0_19identity_decomposerEEE10hipError_tT1_T2_T3_T4_jRjT5_jjP12ihipStream_tbEUlT_E_NS1_11comp_targetILNS1_3genE0ELNS1_11target_archE4294967295ELNS1_3gpuE0ELNS1_3repE0EEENS1_44radix_sort_block_sort_config_static_selectorELNS0_4arch9wavefront6targetE1EEEvSF_.private_seg_size, 0
	.set _ZN7rocprim17ROCPRIM_400000_NS6detail17trampoline_kernelINS0_13kernel_configILj256ELj4ELj4294967295EEENS1_37radix_sort_block_sort_config_selectorIflEEZNS1_21radix_sort_block_sortIS4_Lb0EPfS8_N6thrust23THRUST_200600_302600_NS10device_ptrIlEESC_NS0_19identity_decomposerEEE10hipError_tT1_T2_T3_T4_jRjT5_jjP12ihipStream_tbEUlT_E_NS1_11comp_targetILNS1_3genE0ELNS1_11target_archE4294967295ELNS1_3gpuE0ELNS1_3repE0EEENS1_44radix_sort_block_sort_config_static_selectorELNS0_4arch9wavefront6targetE1EEEvSF_.uses_vcc, 0
	.set _ZN7rocprim17ROCPRIM_400000_NS6detail17trampoline_kernelINS0_13kernel_configILj256ELj4ELj4294967295EEENS1_37radix_sort_block_sort_config_selectorIflEEZNS1_21radix_sort_block_sortIS4_Lb0EPfS8_N6thrust23THRUST_200600_302600_NS10device_ptrIlEESC_NS0_19identity_decomposerEEE10hipError_tT1_T2_T3_T4_jRjT5_jjP12ihipStream_tbEUlT_E_NS1_11comp_targetILNS1_3genE0ELNS1_11target_archE4294967295ELNS1_3gpuE0ELNS1_3repE0EEENS1_44radix_sort_block_sort_config_static_selectorELNS0_4arch9wavefront6targetE1EEEvSF_.uses_flat_scratch, 0
	.set _ZN7rocprim17ROCPRIM_400000_NS6detail17trampoline_kernelINS0_13kernel_configILj256ELj4ELj4294967295EEENS1_37radix_sort_block_sort_config_selectorIflEEZNS1_21radix_sort_block_sortIS4_Lb0EPfS8_N6thrust23THRUST_200600_302600_NS10device_ptrIlEESC_NS0_19identity_decomposerEEE10hipError_tT1_T2_T3_T4_jRjT5_jjP12ihipStream_tbEUlT_E_NS1_11comp_targetILNS1_3genE0ELNS1_11target_archE4294967295ELNS1_3gpuE0ELNS1_3repE0EEENS1_44radix_sort_block_sort_config_static_selectorELNS0_4arch9wavefront6targetE1EEEvSF_.has_dyn_sized_stack, 0
	.set _ZN7rocprim17ROCPRIM_400000_NS6detail17trampoline_kernelINS0_13kernel_configILj256ELj4ELj4294967295EEENS1_37radix_sort_block_sort_config_selectorIflEEZNS1_21radix_sort_block_sortIS4_Lb0EPfS8_N6thrust23THRUST_200600_302600_NS10device_ptrIlEESC_NS0_19identity_decomposerEEE10hipError_tT1_T2_T3_T4_jRjT5_jjP12ihipStream_tbEUlT_E_NS1_11comp_targetILNS1_3genE0ELNS1_11target_archE4294967295ELNS1_3gpuE0ELNS1_3repE0EEENS1_44radix_sort_block_sort_config_static_selectorELNS0_4arch9wavefront6targetE1EEEvSF_.has_recursion, 0
	.set _ZN7rocprim17ROCPRIM_400000_NS6detail17trampoline_kernelINS0_13kernel_configILj256ELj4ELj4294967295EEENS1_37radix_sort_block_sort_config_selectorIflEEZNS1_21radix_sort_block_sortIS4_Lb0EPfS8_N6thrust23THRUST_200600_302600_NS10device_ptrIlEESC_NS0_19identity_decomposerEEE10hipError_tT1_T2_T3_T4_jRjT5_jjP12ihipStream_tbEUlT_E_NS1_11comp_targetILNS1_3genE0ELNS1_11target_archE4294967295ELNS1_3gpuE0ELNS1_3repE0EEENS1_44radix_sort_block_sort_config_static_selectorELNS0_4arch9wavefront6targetE1EEEvSF_.has_indirect_call, 0
	.section	.AMDGPU.csdata,"",@progbits
; Kernel info:
; codeLenInByte = 0
; TotalNumSgprs: 4
; NumVgprs: 0
; ScratchSize: 0
; MemoryBound: 0
; FloatMode: 240
; IeeeMode: 1
; LDSByteSize: 0 bytes/workgroup (compile time only)
; SGPRBlocks: 0
; VGPRBlocks: 0
; NumSGPRsForWavesPerEU: 4
; NumVGPRsForWavesPerEU: 1
; Occupancy: 10
; WaveLimiterHint : 0
; COMPUTE_PGM_RSRC2:SCRATCH_EN: 0
; COMPUTE_PGM_RSRC2:USER_SGPR: 6
; COMPUTE_PGM_RSRC2:TRAP_HANDLER: 0
; COMPUTE_PGM_RSRC2:TGID_X_EN: 1
; COMPUTE_PGM_RSRC2:TGID_Y_EN: 0
; COMPUTE_PGM_RSRC2:TGID_Z_EN: 0
; COMPUTE_PGM_RSRC2:TIDIG_COMP_CNT: 0
	.section	.text._ZN7rocprim17ROCPRIM_400000_NS6detail17trampoline_kernelINS0_13kernel_configILj256ELj4ELj4294967295EEENS1_37radix_sort_block_sort_config_selectorIflEEZNS1_21radix_sort_block_sortIS4_Lb0EPfS8_N6thrust23THRUST_200600_302600_NS10device_ptrIlEESC_NS0_19identity_decomposerEEE10hipError_tT1_T2_T3_T4_jRjT5_jjP12ihipStream_tbEUlT_E_NS1_11comp_targetILNS1_3genE5ELNS1_11target_archE942ELNS1_3gpuE9ELNS1_3repE0EEENS1_44radix_sort_block_sort_config_static_selectorELNS0_4arch9wavefront6targetE1EEEvSF_,"axG",@progbits,_ZN7rocprim17ROCPRIM_400000_NS6detail17trampoline_kernelINS0_13kernel_configILj256ELj4ELj4294967295EEENS1_37radix_sort_block_sort_config_selectorIflEEZNS1_21radix_sort_block_sortIS4_Lb0EPfS8_N6thrust23THRUST_200600_302600_NS10device_ptrIlEESC_NS0_19identity_decomposerEEE10hipError_tT1_T2_T3_T4_jRjT5_jjP12ihipStream_tbEUlT_E_NS1_11comp_targetILNS1_3genE5ELNS1_11target_archE942ELNS1_3gpuE9ELNS1_3repE0EEENS1_44radix_sort_block_sort_config_static_selectorELNS0_4arch9wavefront6targetE1EEEvSF_,comdat
	.protected	_ZN7rocprim17ROCPRIM_400000_NS6detail17trampoline_kernelINS0_13kernel_configILj256ELj4ELj4294967295EEENS1_37radix_sort_block_sort_config_selectorIflEEZNS1_21radix_sort_block_sortIS4_Lb0EPfS8_N6thrust23THRUST_200600_302600_NS10device_ptrIlEESC_NS0_19identity_decomposerEEE10hipError_tT1_T2_T3_T4_jRjT5_jjP12ihipStream_tbEUlT_E_NS1_11comp_targetILNS1_3genE5ELNS1_11target_archE942ELNS1_3gpuE9ELNS1_3repE0EEENS1_44radix_sort_block_sort_config_static_selectorELNS0_4arch9wavefront6targetE1EEEvSF_ ; -- Begin function _ZN7rocprim17ROCPRIM_400000_NS6detail17trampoline_kernelINS0_13kernel_configILj256ELj4ELj4294967295EEENS1_37radix_sort_block_sort_config_selectorIflEEZNS1_21radix_sort_block_sortIS4_Lb0EPfS8_N6thrust23THRUST_200600_302600_NS10device_ptrIlEESC_NS0_19identity_decomposerEEE10hipError_tT1_T2_T3_T4_jRjT5_jjP12ihipStream_tbEUlT_E_NS1_11comp_targetILNS1_3genE5ELNS1_11target_archE942ELNS1_3gpuE9ELNS1_3repE0EEENS1_44radix_sort_block_sort_config_static_selectorELNS0_4arch9wavefront6targetE1EEEvSF_
	.globl	_ZN7rocprim17ROCPRIM_400000_NS6detail17trampoline_kernelINS0_13kernel_configILj256ELj4ELj4294967295EEENS1_37radix_sort_block_sort_config_selectorIflEEZNS1_21radix_sort_block_sortIS4_Lb0EPfS8_N6thrust23THRUST_200600_302600_NS10device_ptrIlEESC_NS0_19identity_decomposerEEE10hipError_tT1_T2_T3_T4_jRjT5_jjP12ihipStream_tbEUlT_E_NS1_11comp_targetILNS1_3genE5ELNS1_11target_archE942ELNS1_3gpuE9ELNS1_3repE0EEENS1_44radix_sort_block_sort_config_static_selectorELNS0_4arch9wavefront6targetE1EEEvSF_
	.p2align	8
	.type	_ZN7rocprim17ROCPRIM_400000_NS6detail17trampoline_kernelINS0_13kernel_configILj256ELj4ELj4294967295EEENS1_37radix_sort_block_sort_config_selectorIflEEZNS1_21radix_sort_block_sortIS4_Lb0EPfS8_N6thrust23THRUST_200600_302600_NS10device_ptrIlEESC_NS0_19identity_decomposerEEE10hipError_tT1_T2_T3_T4_jRjT5_jjP12ihipStream_tbEUlT_E_NS1_11comp_targetILNS1_3genE5ELNS1_11target_archE942ELNS1_3gpuE9ELNS1_3repE0EEENS1_44radix_sort_block_sort_config_static_selectorELNS0_4arch9wavefront6targetE1EEEvSF_,@function
_ZN7rocprim17ROCPRIM_400000_NS6detail17trampoline_kernelINS0_13kernel_configILj256ELj4ELj4294967295EEENS1_37radix_sort_block_sort_config_selectorIflEEZNS1_21radix_sort_block_sortIS4_Lb0EPfS8_N6thrust23THRUST_200600_302600_NS10device_ptrIlEESC_NS0_19identity_decomposerEEE10hipError_tT1_T2_T3_T4_jRjT5_jjP12ihipStream_tbEUlT_E_NS1_11comp_targetILNS1_3genE5ELNS1_11target_archE942ELNS1_3gpuE9ELNS1_3repE0EEENS1_44radix_sort_block_sort_config_static_selectorELNS0_4arch9wavefront6targetE1EEEvSF_: ; @_ZN7rocprim17ROCPRIM_400000_NS6detail17trampoline_kernelINS0_13kernel_configILj256ELj4ELj4294967295EEENS1_37radix_sort_block_sort_config_selectorIflEEZNS1_21radix_sort_block_sortIS4_Lb0EPfS8_N6thrust23THRUST_200600_302600_NS10device_ptrIlEESC_NS0_19identity_decomposerEEE10hipError_tT1_T2_T3_T4_jRjT5_jjP12ihipStream_tbEUlT_E_NS1_11comp_targetILNS1_3genE5ELNS1_11target_archE942ELNS1_3gpuE9ELNS1_3repE0EEENS1_44radix_sort_block_sort_config_static_selectorELNS0_4arch9wavefront6targetE1EEEvSF_
; %bb.0:
	.section	.rodata,"a",@progbits
	.p2align	6, 0x0
	.amdhsa_kernel _ZN7rocprim17ROCPRIM_400000_NS6detail17trampoline_kernelINS0_13kernel_configILj256ELj4ELj4294967295EEENS1_37radix_sort_block_sort_config_selectorIflEEZNS1_21radix_sort_block_sortIS4_Lb0EPfS8_N6thrust23THRUST_200600_302600_NS10device_ptrIlEESC_NS0_19identity_decomposerEEE10hipError_tT1_T2_T3_T4_jRjT5_jjP12ihipStream_tbEUlT_E_NS1_11comp_targetILNS1_3genE5ELNS1_11target_archE942ELNS1_3gpuE9ELNS1_3repE0EEENS1_44radix_sort_block_sort_config_static_selectorELNS0_4arch9wavefront6targetE1EEEvSF_
		.amdhsa_group_segment_fixed_size 0
		.amdhsa_private_segment_fixed_size 0
		.amdhsa_kernarg_size 48
		.amdhsa_user_sgpr_count 6
		.amdhsa_user_sgpr_private_segment_buffer 1
		.amdhsa_user_sgpr_dispatch_ptr 0
		.amdhsa_user_sgpr_queue_ptr 0
		.amdhsa_user_sgpr_kernarg_segment_ptr 1
		.amdhsa_user_sgpr_dispatch_id 0
		.amdhsa_user_sgpr_flat_scratch_init 0
		.amdhsa_user_sgpr_private_segment_size 0
		.amdhsa_uses_dynamic_stack 0
		.amdhsa_system_sgpr_private_segment_wavefront_offset 0
		.amdhsa_system_sgpr_workgroup_id_x 1
		.amdhsa_system_sgpr_workgroup_id_y 0
		.amdhsa_system_sgpr_workgroup_id_z 0
		.amdhsa_system_sgpr_workgroup_info 0
		.amdhsa_system_vgpr_workitem_id 0
		.amdhsa_next_free_vgpr 1
		.amdhsa_next_free_sgpr 0
		.amdhsa_reserve_vcc 0
		.amdhsa_reserve_flat_scratch 0
		.amdhsa_float_round_mode_32 0
		.amdhsa_float_round_mode_16_64 0
		.amdhsa_float_denorm_mode_32 3
		.amdhsa_float_denorm_mode_16_64 3
		.amdhsa_dx10_clamp 1
		.amdhsa_ieee_mode 1
		.amdhsa_fp16_overflow 0
		.amdhsa_exception_fp_ieee_invalid_op 0
		.amdhsa_exception_fp_denorm_src 0
		.amdhsa_exception_fp_ieee_div_zero 0
		.amdhsa_exception_fp_ieee_overflow 0
		.amdhsa_exception_fp_ieee_underflow 0
		.amdhsa_exception_fp_ieee_inexact 0
		.amdhsa_exception_int_div_zero 0
	.end_amdhsa_kernel
	.section	.text._ZN7rocprim17ROCPRIM_400000_NS6detail17trampoline_kernelINS0_13kernel_configILj256ELj4ELj4294967295EEENS1_37radix_sort_block_sort_config_selectorIflEEZNS1_21radix_sort_block_sortIS4_Lb0EPfS8_N6thrust23THRUST_200600_302600_NS10device_ptrIlEESC_NS0_19identity_decomposerEEE10hipError_tT1_T2_T3_T4_jRjT5_jjP12ihipStream_tbEUlT_E_NS1_11comp_targetILNS1_3genE5ELNS1_11target_archE942ELNS1_3gpuE9ELNS1_3repE0EEENS1_44radix_sort_block_sort_config_static_selectorELNS0_4arch9wavefront6targetE1EEEvSF_,"axG",@progbits,_ZN7rocprim17ROCPRIM_400000_NS6detail17trampoline_kernelINS0_13kernel_configILj256ELj4ELj4294967295EEENS1_37radix_sort_block_sort_config_selectorIflEEZNS1_21radix_sort_block_sortIS4_Lb0EPfS8_N6thrust23THRUST_200600_302600_NS10device_ptrIlEESC_NS0_19identity_decomposerEEE10hipError_tT1_T2_T3_T4_jRjT5_jjP12ihipStream_tbEUlT_E_NS1_11comp_targetILNS1_3genE5ELNS1_11target_archE942ELNS1_3gpuE9ELNS1_3repE0EEENS1_44radix_sort_block_sort_config_static_selectorELNS0_4arch9wavefront6targetE1EEEvSF_,comdat
.Lfunc_end1743:
	.size	_ZN7rocprim17ROCPRIM_400000_NS6detail17trampoline_kernelINS0_13kernel_configILj256ELj4ELj4294967295EEENS1_37radix_sort_block_sort_config_selectorIflEEZNS1_21radix_sort_block_sortIS4_Lb0EPfS8_N6thrust23THRUST_200600_302600_NS10device_ptrIlEESC_NS0_19identity_decomposerEEE10hipError_tT1_T2_T3_T4_jRjT5_jjP12ihipStream_tbEUlT_E_NS1_11comp_targetILNS1_3genE5ELNS1_11target_archE942ELNS1_3gpuE9ELNS1_3repE0EEENS1_44radix_sort_block_sort_config_static_selectorELNS0_4arch9wavefront6targetE1EEEvSF_, .Lfunc_end1743-_ZN7rocprim17ROCPRIM_400000_NS6detail17trampoline_kernelINS0_13kernel_configILj256ELj4ELj4294967295EEENS1_37radix_sort_block_sort_config_selectorIflEEZNS1_21radix_sort_block_sortIS4_Lb0EPfS8_N6thrust23THRUST_200600_302600_NS10device_ptrIlEESC_NS0_19identity_decomposerEEE10hipError_tT1_T2_T3_T4_jRjT5_jjP12ihipStream_tbEUlT_E_NS1_11comp_targetILNS1_3genE5ELNS1_11target_archE942ELNS1_3gpuE9ELNS1_3repE0EEENS1_44radix_sort_block_sort_config_static_selectorELNS0_4arch9wavefront6targetE1EEEvSF_
                                        ; -- End function
	.set _ZN7rocprim17ROCPRIM_400000_NS6detail17trampoline_kernelINS0_13kernel_configILj256ELj4ELj4294967295EEENS1_37radix_sort_block_sort_config_selectorIflEEZNS1_21radix_sort_block_sortIS4_Lb0EPfS8_N6thrust23THRUST_200600_302600_NS10device_ptrIlEESC_NS0_19identity_decomposerEEE10hipError_tT1_T2_T3_T4_jRjT5_jjP12ihipStream_tbEUlT_E_NS1_11comp_targetILNS1_3genE5ELNS1_11target_archE942ELNS1_3gpuE9ELNS1_3repE0EEENS1_44radix_sort_block_sort_config_static_selectorELNS0_4arch9wavefront6targetE1EEEvSF_.num_vgpr, 0
	.set _ZN7rocprim17ROCPRIM_400000_NS6detail17trampoline_kernelINS0_13kernel_configILj256ELj4ELj4294967295EEENS1_37radix_sort_block_sort_config_selectorIflEEZNS1_21radix_sort_block_sortIS4_Lb0EPfS8_N6thrust23THRUST_200600_302600_NS10device_ptrIlEESC_NS0_19identity_decomposerEEE10hipError_tT1_T2_T3_T4_jRjT5_jjP12ihipStream_tbEUlT_E_NS1_11comp_targetILNS1_3genE5ELNS1_11target_archE942ELNS1_3gpuE9ELNS1_3repE0EEENS1_44radix_sort_block_sort_config_static_selectorELNS0_4arch9wavefront6targetE1EEEvSF_.num_agpr, 0
	.set _ZN7rocprim17ROCPRIM_400000_NS6detail17trampoline_kernelINS0_13kernel_configILj256ELj4ELj4294967295EEENS1_37radix_sort_block_sort_config_selectorIflEEZNS1_21radix_sort_block_sortIS4_Lb0EPfS8_N6thrust23THRUST_200600_302600_NS10device_ptrIlEESC_NS0_19identity_decomposerEEE10hipError_tT1_T2_T3_T4_jRjT5_jjP12ihipStream_tbEUlT_E_NS1_11comp_targetILNS1_3genE5ELNS1_11target_archE942ELNS1_3gpuE9ELNS1_3repE0EEENS1_44radix_sort_block_sort_config_static_selectorELNS0_4arch9wavefront6targetE1EEEvSF_.numbered_sgpr, 0
	.set _ZN7rocprim17ROCPRIM_400000_NS6detail17trampoline_kernelINS0_13kernel_configILj256ELj4ELj4294967295EEENS1_37radix_sort_block_sort_config_selectorIflEEZNS1_21radix_sort_block_sortIS4_Lb0EPfS8_N6thrust23THRUST_200600_302600_NS10device_ptrIlEESC_NS0_19identity_decomposerEEE10hipError_tT1_T2_T3_T4_jRjT5_jjP12ihipStream_tbEUlT_E_NS1_11comp_targetILNS1_3genE5ELNS1_11target_archE942ELNS1_3gpuE9ELNS1_3repE0EEENS1_44radix_sort_block_sort_config_static_selectorELNS0_4arch9wavefront6targetE1EEEvSF_.num_named_barrier, 0
	.set _ZN7rocprim17ROCPRIM_400000_NS6detail17trampoline_kernelINS0_13kernel_configILj256ELj4ELj4294967295EEENS1_37radix_sort_block_sort_config_selectorIflEEZNS1_21radix_sort_block_sortIS4_Lb0EPfS8_N6thrust23THRUST_200600_302600_NS10device_ptrIlEESC_NS0_19identity_decomposerEEE10hipError_tT1_T2_T3_T4_jRjT5_jjP12ihipStream_tbEUlT_E_NS1_11comp_targetILNS1_3genE5ELNS1_11target_archE942ELNS1_3gpuE9ELNS1_3repE0EEENS1_44radix_sort_block_sort_config_static_selectorELNS0_4arch9wavefront6targetE1EEEvSF_.private_seg_size, 0
	.set _ZN7rocprim17ROCPRIM_400000_NS6detail17trampoline_kernelINS0_13kernel_configILj256ELj4ELj4294967295EEENS1_37radix_sort_block_sort_config_selectorIflEEZNS1_21radix_sort_block_sortIS4_Lb0EPfS8_N6thrust23THRUST_200600_302600_NS10device_ptrIlEESC_NS0_19identity_decomposerEEE10hipError_tT1_T2_T3_T4_jRjT5_jjP12ihipStream_tbEUlT_E_NS1_11comp_targetILNS1_3genE5ELNS1_11target_archE942ELNS1_3gpuE9ELNS1_3repE0EEENS1_44radix_sort_block_sort_config_static_selectorELNS0_4arch9wavefront6targetE1EEEvSF_.uses_vcc, 0
	.set _ZN7rocprim17ROCPRIM_400000_NS6detail17trampoline_kernelINS0_13kernel_configILj256ELj4ELj4294967295EEENS1_37radix_sort_block_sort_config_selectorIflEEZNS1_21radix_sort_block_sortIS4_Lb0EPfS8_N6thrust23THRUST_200600_302600_NS10device_ptrIlEESC_NS0_19identity_decomposerEEE10hipError_tT1_T2_T3_T4_jRjT5_jjP12ihipStream_tbEUlT_E_NS1_11comp_targetILNS1_3genE5ELNS1_11target_archE942ELNS1_3gpuE9ELNS1_3repE0EEENS1_44radix_sort_block_sort_config_static_selectorELNS0_4arch9wavefront6targetE1EEEvSF_.uses_flat_scratch, 0
	.set _ZN7rocprim17ROCPRIM_400000_NS6detail17trampoline_kernelINS0_13kernel_configILj256ELj4ELj4294967295EEENS1_37radix_sort_block_sort_config_selectorIflEEZNS1_21radix_sort_block_sortIS4_Lb0EPfS8_N6thrust23THRUST_200600_302600_NS10device_ptrIlEESC_NS0_19identity_decomposerEEE10hipError_tT1_T2_T3_T4_jRjT5_jjP12ihipStream_tbEUlT_E_NS1_11comp_targetILNS1_3genE5ELNS1_11target_archE942ELNS1_3gpuE9ELNS1_3repE0EEENS1_44radix_sort_block_sort_config_static_selectorELNS0_4arch9wavefront6targetE1EEEvSF_.has_dyn_sized_stack, 0
	.set _ZN7rocprim17ROCPRIM_400000_NS6detail17trampoline_kernelINS0_13kernel_configILj256ELj4ELj4294967295EEENS1_37radix_sort_block_sort_config_selectorIflEEZNS1_21radix_sort_block_sortIS4_Lb0EPfS8_N6thrust23THRUST_200600_302600_NS10device_ptrIlEESC_NS0_19identity_decomposerEEE10hipError_tT1_T2_T3_T4_jRjT5_jjP12ihipStream_tbEUlT_E_NS1_11comp_targetILNS1_3genE5ELNS1_11target_archE942ELNS1_3gpuE9ELNS1_3repE0EEENS1_44radix_sort_block_sort_config_static_selectorELNS0_4arch9wavefront6targetE1EEEvSF_.has_recursion, 0
	.set _ZN7rocprim17ROCPRIM_400000_NS6detail17trampoline_kernelINS0_13kernel_configILj256ELj4ELj4294967295EEENS1_37radix_sort_block_sort_config_selectorIflEEZNS1_21radix_sort_block_sortIS4_Lb0EPfS8_N6thrust23THRUST_200600_302600_NS10device_ptrIlEESC_NS0_19identity_decomposerEEE10hipError_tT1_T2_T3_T4_jRjT5_jjP12ihipStream_tbEUlT_E_NS1_11comp_targetILNS1_3genE5ELNS1_11target_archE942ELNS1_3gpuE9ELNS1_3repE0EEENS1_44radix_sort_block_sort_config_static_selectorELNS0_4arch9wavefront6targetE1EEEvSF_.has_indirect_call, 0
	.section	.AMDGPU.csdata,"",@progbits
; Kernel info:
; codeLenInByte = 0
; TotalNumSgprs: 4
; NumVgprs: 0
; ScratchSize: 0
; MemoryBound: 0
; FloatMode: 240
; IeeeMode: 1
; LDSByteSize: 0 bytes/workgroup (compile time only)
; SGPRBlocks: 0
; VGPRBlocks: 0
; NumSGPRsForWavesPerEU: 4
; NumVGPRsForWavesPerEU: 1
; Occupancy: 10
; WaveLimiterHint : 0
; COMPUTE_PGM_RSRC2:SCRATCH_EN: 0
; COMPUTE_PGM_RSRC2:USER_SGPR: 6
; COMPUTE_PGM_RSRC2:TRAP_HANDLER: 0
; COMPUTE_PGM_RSRC2:TGID_X_EN: 1
; COMPUTE_PGM_RSRC2:TGID_Y_EN: 0
; COMPUTE_PGM_RSRC2:TGID_Z_EN: 0
; COMPUTE_PGM_RSRC2:TIDIG_COMP_CNT: 0
	.section	.text._ZN7rocprim17ROCPRIM_400000_NS6detail17trampoline_kernelINS0_13kernel_configILj256ELj4ELj4294967295EEENS1_37radix_sort_block_sort_config_selectorIflEEZNS1_21radix_sort_block_sortIS4_Lb0EPfS8_N6thrust23THRUST_200600_302600_NS10device_ptrIlEESC_NS0_19identity_decomposerEEE10hipError_tT1_T2_T3_T4_jRjT5_jjP12ihipStream_tbEUlT_E_NS1_11comp_targetILNS1_3genE4ELNS1_11target_archE910ELNS1_3gpuE8ELNS1_3repE0EEENS1_44radix_sort_block_sort_config_static_selectorELNS0_4arch9wavefront6targetE1EEEvSF_,"axG",@progbits,_ZN7rocprim17ROCPRIM_400000_NS6detail17trampoline_kernelINS0_13kernel_configILj256ELj4ELj4294967295EEENS1_37radix_sort_block_sort_config_selectorIflEEZNS1_21radix_sort_block_sortIS4_Lb0EPfS8_N6thrust23THRUST_200600_302600_NS10device_ptrIlEESC_NS0_19identity_decomposerEEE10hipError_tT1_T2_T3_T4_jRjT5_jjP12ihipStream_tbEUlT_E_NS1_11comp_targetILNS1_3genE4ELNS1_11target_archE910ELNS1_3gpuE8ELNS1_3repE0EEENS1_44radix_sort_block_sort_config_static_selectorELNS0_4arch9wavefront6targetE1EEEvSF_,comdat
	.protected	_ZN7rocprim17ROCPRIM_400000_NS6detail17trampoline_kernelINS0_13kernel_configILj256ELj4ELj4294967295EEENS1_37radix_sort_block_sort_config_selectorIflEEZNS1_21radix_sort_block_sortIS4_Lb0EPfS8_N6thrust23THRUST_200600_302600_NS10device_ptrIlEESC_NS0_19identity_decomposerEEE10hipError_tT1_T2_T3_T4_jRjT5_jjP12ihipStream_tbEUlT_E_NS1_11comp_targetILNS1_3genE4ELNS1_11target_archE910ELNS1_3gpuE8ELNS1_3repE0EEENS1_44radix_sort_block_sort_config_static_selectorELNS0_4arch9wavefront6targetE1EEEvSF_ ; -- Begin function _ZN7rocprim17ROCPRIM_400000_NS6detail17trampoline_kernelINS0_13kernel_configILj256ELj4ELj4294967295EEENS1_37radix_sort_block_sort_config_selectorIflEEZNS1_21radix_sort_block_sortIS4_Lb0EPfS8_N6thrust23THRUST_200600_302600_NS10device_ptrIlEESC_NS0_19identity_decomposerEEE10hipError_tT1_T2_T3_T4_jRjT5_jjP12ihipStream_tbEUlT_E_NS1_11comp_targetILNS1_3genE4ELNS1_11target_archE910ELNS1_3gpuE8ELNS1_3repE0EEENS1_44radix_sort_block_sort_config_static_selectorELNS0_4arch9wavefront6targetE1EEEvSF_
	.globl	_ZN7rocprim17ROCPRIM_400000_NS6detail17trampoline_kernelINS0_13kernel_configILj256ELj4ELj4294967295EEENS1_37radix_sort_block_sort_config_selectorIflEEZNS1_21radix_sort_block_sortIS4_Lb0EPfS8_N6thrust23THRUST_200600_302600_NS10device_ptrIlEESC_NS0_19identity_decomposerEEE10hipError_tT1_T2_T3_T4_jRjT5_jjP12ihipStream_tbEUlT_E_NS1_11comp_targetILNS1_3genE4ELNS1_11target_archE910ELNS1_3gpuE8ELNS1_3repE0EEENS1_44radix_sort_block_sort_config_static_selectorELNS0_4arch9wavefront6targetE1EEEvSF_
	.p2align	8
	.type	_ZN7rocprim17ROCPRIM_400000_NS6detail17trampoline_kernelINS0_13kernel_configILj256ELj4ELj4294967295EEENS1_37radix_sort_block_sort_config_selectorIflEEZNS1_21radix_sort_block_sortIS4_Lb0EPfS8_N6thrust23THRUST_200600_302600_NS10device_ptrIlEESC_NS0_19identity_decomposerEEE10hipError_tT1_T2_T3_T4_jRjT5_jjP12ihipStream_tbEUlT_E_NS1_11comp_targetILNS1_3genE4ELNS1_11target_archE910ELNS1_3gpuE8ELNS1_3repE0EEENS1_44radix_sort_block_sort_config_static_selectorELNS0_4arch9wavefront6targetE1EEEvSF_,@function
_ZN7rocprim17ROCPRIM_400000_NS6detail17trampoline_kernelINS0_13kernel_configILj256ELj4ELj4294967295EEENS1_37radix_sort_block_sort_config_selectorIflEEZNS1_21radix_sort_block_sortIS4_Lb0EPfS8_N6thrust23THRUST_200600_302600_NS10device_ptrIlEESC_NS0_19identity_decomposerEEE10hipError_tT1_T2_T3_T4_jRjT5_jjP12ihipStream_tbEUlT_E_NS1_11comp_targetILNS1_3genE4ELNS1_11target_archE910ELNS1_3gpuE8ELNS1_3repE0EEENS1_44radix_sort_block_sort_config_static_selectorELNS0_4arch9wavefront6targetE1EEEvSF_: ; @_ZN7rocprim17ROCPRIM_400000_NS6detail17trampoline_kernelINS0_13kernel_configILj256ELj4ELj4294967295EEENS1_37radix_sort_block_sort_config_selectorIflEEZNS1_21radix_sort_block_sortIS4_Lb0EPfS8_N6thrust23THRUST_200600_302600_NS10device_ptrIlEESC_NS0_19identity_decomposerEEE10hipError_tT1_T2_T3_T4_jRjT5_jjP12ihipStream_tbEUlT_E_NS1_11comp_targetILNS1_3genE4ELNS1_11target_archE910ELNS1_3gpuE8ELNS1_3repE0EEENS1_44radix_sort_block_sort_config_static_selectorELNS0_4arch9wavefront6targetE1EEEvSF_
; %bb.0:
	.section	.rodata,"a",@progbits
	.p2align	6, 0x0
	.amdhsa_kernel _ZN7rocprim17ROCPRIM_400000_NS6detail17trampoline_kernelINS0_13kernel_configILj256ELj4ELj4294967295EEENS1_37radix_sort_block_sort_config_selectorIflEEZNS1_21radix_sort_block_sortIS4_Lb0EPfS8_N6thrust23THRUST_200600_302600_NS10device_ptrIlEESC_NS0_19identity_decomposerEEE10hipError_tT1_T2_T3_T4_jRjT5_jjP12ihipStream_tbEUlT_E_NS1_11comp_targetILNS1_3genE4ELNS1_11target_archE910ELNS1_3gpuE8ELNS1_3repE0EEENS1_44radix_sort_block_sort_config_static_selectorELNS0_4arch9wavefront6targetE1EEEvSF_
		.amdhsa_group_segment_fixed_size 0
		.amdhsa_private_segment_fixed_size 0
		.amdhsa_kernarg_size 48
		.amdhsa_user_sgpr_count 6
		.amdhsa_user_sgpr_private_segment_buffer 1
		.amdhsa_user_sgpr_dispatch_ptr 0
		.amdhsa_user_sgpr_queue_ptr 0
		.amdhsa_user_sgpr_kernarg_segment_ptr 1
		.amdhsa_user_sgpr_dispatch_id 0
		.amdhsa_user_sgpr_flat_scratch_init 0
		.amdhsa_user_sgpr_private_segment_size 0
		.amdhsa_uses_dynamic_stack 0
		.amdhsa_system_sgpr_private_segment_wavefront_offset 0
		.amdhsa_system_sgpr_workgroup_id_x 1
		.amdhsa_system_sgpr_workgroup_id_y 0
		.amdhsa_system_sgpr_workgroup_id_z 0
		.amdhsa_system_sgpr_workgroup_info 0
		.amdhsa_system_vgpr_workitem_id 0
		.amdhsa_next_free_vgpr 1
		.amdhsa_next_free_sgpr 0
		.amdhsa_reserve_vcc 0
		.amdhsa_reserve_flat_scratch 0
		.amdhsa_float_round_mode_32 0
		.amdhsa_float_round_mode_16_64 0
		.amdhsa_float_denorm_mode_32 3
		.amdhsa_float_denorm_mode_16_64 3
		.amdhsa_dx10_clamp 1
		.amdhsa_ieee_mode 1
		.amdhsa_fp16_overflow 0
		.amdhsa_exception_fp_ieee_invalid_op 0
		.amdhsa_exception_fp_denorm_src 0
		.amdhsa_exception_fp_ieee_div_zero 0
		.amdhsa_exception_fp_ieee_overflow 0
		.amdhsa_exception_fp_ieee_underflow 0
		.amdhsa_exception_fp_ieee_inexact 0
		.amdhsa_exception_int_div_zero 0
	.end_amdhsa_kernel
	.section	.text._ZN7rocprim17ROCPRIM_400000_NS6detail17trampoline_kernelINS0_13kernel_configILj256ELj4ELj4294967295EEENS1_37radix_sort_block_sort_config_selectorIflEEZNS1_21radix_sort_block_sortIS4_Lb0EPfS8_N6thrust23THRUST_200600_302600_NS10device_ptrIlEESC_NS0_19identity_decomposerEEE10hipError_tT1_T2_T3_T4_jRjT5_jjP12ihipStream_tbEUlT_E_NS1_11comp_targetILNS1_3genE4ELNS1_11target_archE910ELNS1_3gpuE8ELNS1_3repE0EEENS1_44radix_sort_block_sort_config_static_selectorELNS0_4arch9wavefront6targetE1EEEvSF_,"axG",@progbits,_ZN7rocprim17ROCPRIM_400000_NS6detail17trampoline_kernelINS0_13kernel_configILj256ELj4ELj4294967295EEENS1_37radix_sort_block_sort_config_selectorIflEEZNS1_21radix_sort_block_sortIS4_Lb0EPfS8_N6thrust23THRUST_200600_302600_NS10device_ptrIlEESC_NS0_19identity_decomposerEEE10hipError_tT1_T2_T3_T4_jRjT5_jjP12ihipStream_tbEUlT_E_NS1_11comp_targetILNS1_3genE4ELNS1_11target_archE910ELNS1_3gpuE8ELNS1_3repE0EEENS1_44radix_sort_block_sort_config_static_selectorELNS0_4arch9wavefront6targetE1EEEvSF_,comdat
.Lfunc_end1744:
	.size	_ZN7rocprim17ROCPRIM_400000_NS6detail17trampoline_kernelINS0_13kernel_configILj256ELj4ELj4294967295EEENS1_37radix_sort_block_sort_config_selectorIflEEZNS1_21radix_sort_block_sortIS4_Lb0EPfS8_N6thrust23THRUST_200600_302600_NS10device_ptrIlEESC_NS0_19identity_decomposerEEE10hipError_tT1_T2_T3_T4_jRjT5_jjP12ihipStream_tbEUlT_E_NS1_11comp_targetILNS1_3genE4ELNS1_11target_archE910ELNS1_3gpuE8ELNS1_3repE0EEENS1_44radix_sort_block_sort_config_static_selectorELNS0_4arch9wavefront6targetE1EEEvSF_, .Lfunc_end1744-_ZN7rocprim17ROCPRIM_400000_NS6detail17trampoline_kernelINS0_13kernel_configILj256ELj4ELj4294967295EEENS1_37radix_sort_block_sort_config_selectorIflEEZNS1_21radix_sort_block_sortIS4_Lb0EPfS8_N6thrust23THRUST_200600_302600_NS10device_ptrIlEESC_NS0_19identity_decomposerEEE10hipError_tT1_T2_T3_T4_jRjT5_jjP12ihipStream_tbEUlT_E_NS1_11comp_targetILNS1_3genE4ELNS1_11target_archE910ELNS1_3gpuE8ELNS1_3repE0EEENS1_44radix_sort_block_sort_config_static_selectorELNS0_4arch9wavefront6targetE1EEEvSF_
                                        ; -- End function
	.set _ZN7rocprim17ROCPRIM_400000_NS6detail17trampoline_kernelINS0_13kernel_configILj256ELj4ELj4294967295EEENS1_37radix_sort_block_sort_config_selectorIflEEZNS1_21radix_sort_block_sortIS4_Lb0EPfS8_N6thrust23THRUST_200600_302600_NS10device_ptrIlEESC_NS0_19identity_decomposerEEE10hipError_tT1_T2_T3_T4_jRjT5_jjP12ihipStream_tbEUlT_E_NS1_11comp_targetILNS1_3genE4ELNS1_11target_archE910ELNS1_3gpuE8ELNS1_3repE0EEENS1_44radix_sort_block_sort_config_static_selectorELNS0_4arch9wavefront6targetE1EEEvSF_.num_vgpr, 0
	.set _ZN7rocprim17ROCPRIM_400000_NS6detail17trampoline_kernelINS0_13kernel_configILj256ELj4ELj4294967295EEENS1_37radix_sort_block_sort_config_selectorIflEEZNS1_21radix_sort_block_sortIS4_Lb0EPfS8_N6thrust23THRUST_200600_302600_NS10device_ptrIlEESC_NS0_19identity_decomposerEEE10hipError_tT1_T2_T3_T4_jRjT5_jjP12ihipStream_tbEUlT_E_NS1_11comp_targetILNS1_3genE4ELNS1_11target_archE910ELNS1_3gpuE8ELNS1_3repE0EEENS1_44radix_sort_block_sort_config_static_selectorELNS0_4arch9wavefront6targetE1EEEvSF_.num_agpr, 0
	.set _ZN7rocprim17ROCPRIM_400000_NS6detail17trampoline_kernelINS0_13kernel_configILj256ELj4ELj4294967295EEENS1_37radix_sort_block_sort_config_selectorIflEEZNS1_21radix_sort_block_sortIS4_Lb0EPfS8_N6thrust23THRUST_200600_302600_NS10device_ptrIlEESC_NS0_19identity_decomposerEEE10hipError_tT1_T2_T3_T4_jRjT5_jjP12ihipStream_tbEUlT_E_NS1_11comp_targetILNS1_3genE4ELNS1_11target_archE910ELNS1_3gpuE8ELNS1_3repE0EEENS1_44radix_sort_block_sort_config_static_selectorELNS0_4arch9wavefront6targetE1EEEvSF_.numbered_sgpr, 0
	.set _ZN7rocprim17ROCPRIM_400000_NS6detail17trampoline_kernelINS0_13kernel_configILj256ELj4ELj4294967295EEENS1_37radix_sort_block_sort_config_selectorIflEEZNS1_21radix_sort_block_sortIS4_Lb0EPfS8_N6thrust23THRUST_200600_302600_NS10device_ptrIlEESC_NS0_19identity_decomposerEEE10hipError_tT1_T2_T3_T4_jRjT5_jjP12ihipStream_tbEUlT_E_NS1_11comp_targetILNS1_3genE4ELNS1_11target_archE910ELNS1_3gpuE8ELNS1_3repE0EEENS1_44radix_sort_block_sort_config_static_selectorELNS0_4arch9wavefront6targetE1EEEvSF_.num_named_barrier, 0
	.set _ZN7rocprim17ROCPRIM_400000_NS6detail17trampoline_kernelINS0_13kernel_configILj256ELj4ELj4294967295EEENS1_37radix_sort_block_sort_config_selectorIflEEZNS1_21radix_sort_block_sortIS4_Lb0EPfS8_N6thrust23THRUST_200600_302600_NS10device_ptrIlEESC_NS0_19identity_decomposerEEE10hipError_tT1_T2_T3_T4_jRjT5_jjP12ihipStream_tbEUlT_E_NS1_11comp_targetILNS1_3genE4ELNS1_11target_archE910ELNS1_3gpuE8ELNS1_3repE0EEENS1_44radix_sort_block_sort_config_static_selectorELNS0_4arch9wavefront6targetE1EEEvSF_.private_seg_size, 0
	.set _ZN7rocprim17ROCPRIM_400000_NS6detail17trampoline_kernelINS0_13kernel_configILj256ELj4ELj4294967295EEENS1_37radix_sort_block_sort_config_selectorIflEEZNS1_21radix_sort_block_sortIS4_Lb0EPfS8_N6thrust23THRUST_200600_302600_NS10device_ptrIlEESC_NS0_19identity_decomposerEEE10hipError_tT1_T2_T3_T4_jRjT5_jjP12ihipStream_tbEUlT_E_NS1_11comp_targetILNS1_3genE4ELNS1_11target_archE910ELNS1_3gpuE8ELNS1_3repE0EEENS1_44radix_sort_block_sort_config_static_selectorELNS0_4arch9wavefront6targetE1EEEvSF_.uses_vcc, 0
	.set _ZN7rocprim17ROCPRIM_400000_NS6detail17trampoline_kernelINS0_13kernel_configILj256ELj4ELj4294967295EEENS1_37radix_sort_block_sort_config_selectorIflEEZNS1_21radix_sort_block_sortIS4_Lb0EPfS8_N6thrust23THRUST_200600_302600_NS10device_ptrIlEESC_NS0_19identity_decomposerEEE10hipError_tT1_T2_T3_T4_jRjT5_jjP12ihipStream_tbEUlT_E_NS1_11comp_targetILNS1_3genE4ELNS1_11target_archE910ELNS1_3gpuE8ELNS1_3repE0EEENS1_44radix_sort_block_sort_config_static_selectorELNS0_4arch9wavefront6targetE1EEEvSF_.uses_flat_scratch, 0
	.set _ZN7rocprim17ROCPRIM_400000_NS6detail17trampoline_kernelINS0_13kernel_configILj256ELj4ELj4294967295EEENS1_37radix_sort_block_sort_config_selectorIflEEZNS1_21radix_sort_block_sortIS4_Lb0EPfS8_N6thrust23THRUST_200600_302600_NS10device_ptrIlEESC_NS0_19identity_decomposerEEE10hipError_tT1_T2_T3_T4_jRjT5_jjP12ihipStream_tbEUlT_E_NS1_11comp_targetILNS1_3genE4ELNS1_11target_archE910ELNS1_3gpuE8ELNS1_3repE0EEENS1_44radix_sort_block_sort_config_static_selectorELNS0_4arch9wavefront6targetE1EEEvSF_.has_dyn_sized_stack, 0
	.set _ZN7rocprim17ROCPRIM_400000_NS6detail17trampoline_kernelINS0_13kernel_configILj256ELj4ELj4294967295EEENS1_37radix_sort_block_sort_config_selectorIflEEZNS1_21radix_sort_block_sortIS4_Lb0EPfS8_N6thrust23THRUST_200600_302600_NS10device_ptrIlEESC_NS0_19identity_decomposerEEE10hipError_tT1_T2_T3_T4_jRjT5_jjP12ihipStream_tbEUlT_E_NS1_11comp_targetILNS1_3genE4ELNS1_11target_archE910ELNS1_3gpuE8ELNS1_3repE0EEENS1_44radix_sort_block_sort_config_static_selectorELNS0_4arch9wavefront6targetE1EEEvSF_.has_recursion, 0
	.set _ZN7rocprim17ROCPRIM_400000_NS6detail17trampoline_kernelINS0_13kernel_configILj256ELj4ELj4294967295EEENS1_37radix_sort_block_sort_config_selectorIflEEZNS1_21radix_sort_block_sortIS4_Lb0EPfS8_N6thrust23THRUST_200600_302600_NS10device_ptrIlEESC_NS0_19identity_decomposerEEE10hipError_tT1_T2_T3_T4_jRjT5_jjP12ihipStream_tbEUlT_E_NS1_11comp_targetILNS1_3genE4ELNS1_11target_archE910ELNS1_3gpuE8ELNS1_3repE0EEENS1_44radix_sort_block_sort_config_static_selectorELNS0_4arch9wavefront6targetE1EEEvSF_.has_indirect_call, 0
	.section	.AMDGPU.csdata,"",@progbits
; Kernel info:
; codeLenInByte = 0
; TotalNumSgprs: 4
; NumVgprs: 0
; ScratchSize: 0
; MemoryBound: 0
; FloatMode: 240
; IeeeMode: 1
; LDSByteSize: 0 bytes/workgroup (compile time only)
; SGPRBlocks: 0
; VGPRBlocks: 0
; NumSGPRsForWavesPerEU: 4
; NumVGPRsForWavesPerEU: 1
; Occupancy: 10
; WaveLimiterHint : 0
; COMPUTE_PGM_RSRC2:SCRATCH_EN: 0
; COMPUTE_PGM_RSRC2:USER_SGPR: 6
; COMPUTE_PGM_RSRC2:TRAP_HANDLER: 0
; COMPUTE_PGM_RSRC2:TGID_X_EN: 1
; COMPUTE_PGM_RSRC2:TGID_Y_EN: 0
; COMPUTE_PGM_RSRC2:TGID_Z_EN: 0
; COMPUTE_PGM_RSRC2:TIDIG_COMP_CNT: 0
	.section	.text._ZN7rocprim17ROCPRIM_400000_NS6detail17trampoline_kernelINS0_13kernel_configILj256ELj4ELj4294967295EEENS1_37radix_sort_block_sort_config_selectorIflEEZNS1_21radix_sort_block_sortIS4_Lb0EPfS8_N6thrust23THRUST_200600_302600_NS10device_ptrIlEESC_NS0_19identity_decomposerEEE10hipError_tT1_T2_T3_T4_jRjT5_jjP12ihipStream_tbEUlT_E_NS1_11comp_targetILNS1_3genE3ELNS1_11target_archE908ELNS1_3gpuE7ELNS1_3repE0EEENS1_44radix_sort_block_sort_config_static_selectorELNS0_4arch9wavefront6targetE1EEEvSF_,"axG",@progbits,_ZN7rocprim17ROCPRIM_400000_NS6detail17trampoline_kernelINS0_13kernel_configILj256ELj4ELj4294967295EEENS1_37radix_sort_block_sort_config_selectorIflEEZNS1_21radix_sort_block_sortIS4_Lb0EPfS8_N6thrust23THRUST_200600_302600_NS10device_ptrIlEESC_NS0_19identity_decomposerEEE10hipError_tT1_T2_T3_T4_jRjT5_jjP12ihipStream_tbEUlT_E_NS1_11comp_targetILNS1_3genE3ELNS1_11target_archE908ELNS1_3gpuE7ELNS1_3repE0EEENS1_44radix_sort_block_sort_config_static_selectorELNS0_4arch9wavefront6targetE1EEEvSF_,comdat
	.protected	_ZN7rocprim17ROCPRIM_400000_NS6detail17trampoline_kernelINS0_13kernel_configILj256ELj4ELj4294967295EEENS1_37radix_sort_block_sort_config_selectorIflEEZNS1_21radix_sort_block_sortIS4_Lb0EPfS8_N6thrust23THRUST_200600_302600_NS10device_ptrIlEESC_NS0_19identity_decomposerEEE10hipError_tT1_T2_T3_T4_jRjT5_jjP12ihipStream_tbEUlT_E_NS1_11comp_targetILNS1_3genE3ELNS1_11target_archE908ELNS1_3gpuE7ELNS1_3repE0EEENS1_44radix_sort_block_sort_config_static_selectorELNS0_4arch9wavefront6targetE1EEEvSF_ ; -- Begin function _ZN7rocprim17ROCPRIM_400000_NS6detail17trampoline_kernelINS0_13kernel_configILj256ELj4ELj4294967295EEENS1_37radix_sort_block_sort_config_selectorIflEEZNS1_21radix_sort_block_sortIS4_Lb0EPfS8_N6thrust23THRUST_200600_302600_NS10device_ptrIlEESC_NS0_19identity_decomposerEEE10hipError_tT1_T2_T3_T4_jRjT5_jjP12ihipStream_tbEUlT_E_NS1_11comp_targetILNS1_3genE3ELNS1_11target_archE908ELNS1_3gpuE7ELNS1_3repE0EEENS1_44radix_sort_block_sort_config_static_selectorELNS0_4arch9wavefront6targetE1EEEvSF_
	.globl	_ZN7rocprim17ROCPRIM_400000_NS6detail17trampoline_kernelINS0_13kernel_configILj256ELj4ELj4294967295EEENS1_37radix_sort_block_sort_config_selectorIflEEZNS1_21radix_sort_block_sortIS4_Lb0EPfS8_N6thrust23THRUST_200600_302600_NS10device_ptrIlEESC_NS0_19identity_decomposerEEE10hipError_tT1_T2_T3_T4_jRjT5_jjP12ihipStream_tbEUlT_E_NS1_11comp_targetILNS1_3genE3ELNS1_11target_archE908ELNS1_3gpuE7ELNS1_3repE0EEENS1_44radix_sort_block_sort_config_static_selectorELNS0_4arch9wavefront6targetE1EEEvSF_
	.p2align	8
	.type	_ZN7rocprim17ROCPRIM_400000_NS6detail17trampoline_kernelINS0_13kernel_configILj256ELj4ELj4294967295EEENS1_37radix_sort_block_sort_config_selectorIflEEZNS1_21radix_sort_block_sortIS4_Lb0EPfS8_N6thrust23THRUST_200600_302600_NS10device_ptrIlEESC_NS0_19identity_decomposerEEE10hipError_tT1_T2_T3_T4_jRjT5_jjP12ihipStream_tbEUlT_E_NS1_11comp_targetILNS1_3genE3ELNS1_11target_archE908ELNS1_3gpuE7ELNS1_3repE0EEENS1_44radix_sort_block_sort_config_static_selectorELNS0_4arch9wavefront6targetE1EEEvSF_,@function
_ZN7rocprim17ROCPRIM_400000_NS6detail17trampoline_kernelINS0_13kernel_configILj256ELj4ELj4294967295EEENS1_37radix_sort_block_sort_config_selectorIflEEZNS1_21radix_sort_block_sortIS4_Lb0EPfS8_N6thrust23THRUST_200600_302600_NS10device_ptrIlEESC_NS0_19identity_decomposerEEE10hipError_tT1_T2_T3_T4_jRjT5_jjP12ihipStream_tbEUlT_E_NS1_11comp_targetILNS1_3genE3ELNS1_11target_archE908ELNS1_3gpuE7ELNS1_3repE0EEENS1_44radix_sort_block_sort_config_static_selectorELNS0_4arch9wavefront6targetE1EEEvSF_: ; @_ZN7rocprim17ROCPRIM_400000_NS6detail17trampoline_kernelINS0_13kernel_configILj256ELj4ELj4294967295EEENS1_37radix_sort_block_sort_config_selectorIflEEZNS1_21radix_sort_block_sortIS4_Lb0EPfS8_N6thrust23THRUST_200600_302600_NS10device_ptrIlEESC_NS0_19identity_decomposerEEE10hipError_tT1_T2_T3_T4_jRjT5_jjP12ihipStream_tbEUlT_E_NS1_11comp_targetILNS1_3genE3ELNS1_11target_archE908ELNS1_3gpuE7ELNS1_3repE0EEENS1_44radix_sort_block_sort_config_static_selectorELNS0_4arch9wavefront6targetE1EEEvSF_
; %bb.0:
	.section	.rodata,"a",@progbits
	.p2align	6, 0x0
	.amdhsa_kernel _ZN7rocprim17ROCPRIM_400000_NS6detail17trampoline_kernelINS0_13kernel_configILj256ELj4ELj4294967295EEENS1_37radix_sort_block_sort_config_selectorIflEEZNS1_21radix_sort_block_sortIS4_Lb0EPfS8_N6thrust23THRUST_200600_302600_NS10device_ptrIlEESC_NS0_19identity_decomposerEEE10hipError_tT1_T2_T3_T4_jRjT5_jjP12ihipStream_tbEUlT_E_NS1_11comp_targetILNS1_3genE3ELNS1_11target_archE908ELNS1_3gpuE7ELNS1_3repE0EEENS1_44radix_sort_block_sort_config_static_selectorELNS0_4arch9wavefront6targetE1EEEvSF_
		.amdhsa_group_segment_fixed_size 0
		.amdhsa_private_segment_fixed_size 0
		.amdhsa_kernarg_size 48
		.amdhsa_user_sgpr_count 6
		.amdhsa_user_sgpr_private_segment_buffer 1
		.amdhsa_user_sgpr_dispatch_ptr 0
		.amdhsa_user_sgpr_queue_ptr 0
		.amdhsa_user_sgpr_kernarg_segment_ptr 1
		.amdhsa_user_sgpr_dispatch_id 0
		.amdhsa_user_sgpr_flat_scratch_init 0
		.amdhsa_user_sgpr_private_segment_size 0
		.amdhsa_uses_dynamic_stack 0
		.amdhsa_system_sgpr_private_segment_wavefront_offset 0
		.amdhsa_system_sgpr_workgroup_id_x 1
		.amdhsa_system_sgpr_workgroup_id_y 0
		.amdhsa_system_sgpr_workgroup_id_z 0
		.amdhsa_system_sgpr_workgroup_info 0
		.amdhsa_system_vgpr_workitem_id 0
		.amdhsa_next_free_vgpr 1
		.amdhsa_next_free_sgpr 0
		.amdhsa_reserve_vcc 0
		.amdhsa_reserve_flat_scratch 0
		.amdhsa_float_round_mode_32 0
		.amdhsa_float_round_mode_16_64 0
		.amdhsa_float_denorm_mode_32 3
		.amdhsa_float_denorm_mode_16_64 3
		.amdhsa_dx10_clamp 1
		.amdhsa_ieee_mode 1
		.amdhsa_fp16_overflow 0
		.amdhsa_exception_fp_ieee_invalid_op 0
		.amdhsa_exception_fp_denorm_src 0
		.amdhsa_exception_fp_ieee_div_zero 0
		.amdhsa_exception_fp_ieee_overflow 0
		.amdhsa_exception_fp_ieee_underflow 0
		.amdhsa_exception_fp_ieee_inexact 0
		.amdhsa_exception_int_div_zero 0
	.end_amdhsa_kernel
	.section	.text._ZN7rocprim17ROCPRIM_400000_NS6detail17trampoline_kernelINS0_13kernel_configILj256ELj4ELj4294967295EEENS1_37radix_sort_block_sort_config_selectorIflEEZNS1_21radix_sort_block_sortIS4_Lb0EPfS8_N6thrust23THRUST_200600_302600_NS10device_ptrIlEESC_NS0_19identity_decomposerEEE10hipError_tT1_T2_T3_T4_jRjT5_jjP12ihipStream_tbEUlT_E_NS1_11comp_targetILNS1_3genE3ELNS1_11target_archE908ELNS1_3gpuE7ELNS1_3repE0EEENS1_44radix_sort_block_sort_config_static_selectorELNS0_4arch9wavefront6targetE1EEEvSF_,"axG",@progbits,_ZN7rocprim17ROCPRIM_400000_NS6detail17trampoline_kernelINS0_13kernel_configILj256ELj4ELj4294967295EEENS1_37radix_sort_block_sort_config_selectorIflEEZNS1_21radix_sort_block_sortIS4_Lb0EPfS8_N6thrust23THRUST_200600_302600_NS10device_ptrIlEESC_NS0_19identity_decomposerEEE10hipError_tT1_T2_T3_T4_jRjT5_jjP12ihipStream_tbEUlT_E_NS1_11comp_targetILNS1_3genE3ELNS1_11target_archE908ELNS1_3gpuE7ELNS1_3repE0EEENS1_44radix_sort_block_sort_config_static_selectorELNS0_4arch9wavefront6targetE1EEEvSF_,comdat
.Lfunc_end1745:
	.size	_ZN7rocprim17ROCPRIM_400000_NS6detail17trampoline_kernelINS0_13kernel_configILj256ELj4ELj4294967295EEENS1_37radix_sort_block_sort_config_selectorIflEEZNS1_21radix_sort_block_sortIS4_Lb0EPfS8_N6thrust23THRUST_200600_302600_NS10device_ptrIlEESC_NS0_19identity_decomposerEEE10hipError_tT1_T2_T3_T4_jRjT5_jjP12ihipStream_tbEUlT_E_NS1_11comp_targetILNS1_3genE3ELNS1_11target_archE908ELNS1_3gpuE7ELNS1_3repE0EEENS1_44radix_sort_block_sort_config_static_selectorELNS0_4arch9wavefront6targetE1EEEvSF_, .Lfunc_end1745-_ZN7rocprim17ROCPRIM_400000_NS6detail17trampoline_kernelINS0_13kernel_configILj256ELj4ELj4294967295EEENS1_37radix_sort_block_sort_config_selectorIflEEZNS1_21radix_sort_block_sortIS4_Lb0EPfS8_N6thrust23THRUST_200600_302600_NS10device_ptrIlEESC_NS0_19identity_decomposerEEE10hipError_tT1_T2_T3_T4_jRjT5_jjP12ihipStream_tbEUlT_E_NS1_11comp_targetILNS1_3genE3ELNS1_11target_archE908ELNS1_3gpuE7ELNS1_3repE0EEENS1_44radix_sort_block_sort_config_static_selectorELNS0_4arch9wavefront6targetE1EEEvSF_
                                        ; -- End function
	.set _ZN7rocprim17ROCPRIM_400000_NS6detail17trampoline_kernelINS0_13kernel_configILj256ELj4ELj4294967295EEENS1_37radix_sort_block_sort_config_selectorIflEEZNS1_21radix_sort_block_sortIS4_Lb0EPfS8_N6thrust23THRUST_200600_302600_NS10device_ptrIlEESC_NS0_19identity_decomposerEEE10hipError_tT1_T2_T3_T4_jRjT5_jjP12ihipStream_tbEUlT_E_NS1_11comp_targetILNS1_3genE3ELNS1_11target_archE908ELNS1_3gpuE7ELNS1_3repE0EEENS1_44radix_sort_block_sort_config_static_selectorELNS0_4arch9wavefront6targetE1EEEvSF_.num_vgpr, 0
	.set _ZN7rocprim17ROCPRIM_400000_NS6detail17trampoline_kernelINS0_13kernel_configILj256ELj4ELj4294967295EEENS1_37radix_sort_block_sort_config_selectorIflEEZNS1_21radix_sort_block_sortIS4_Lb0EPfS8_N6thrust23THRUST_200600_302600_NS10device_ptrIlEESC_NS0_19identity_decomposerEEE10hipError_tT1_T2_T3_T4_jRjT5_jjP12ihipStream_tbEUlT_E_NS1_11comp_targetILNS1_3genE3ELNS1_11target_archE908ELNS1_3gpuE7ELNS1_3repE0EEENS1_44radix_sort_block_sort_config_static_selectorELNS0_4arch9wavefront6targetE1EEEvSF_.num_agpr, 0
	.set _ZN7rocprim17ROCPRIM_400000_NS6detail17trampoline_kernelINS0_13kernel_configILj256ELj4ELj4294967295EEENS1_37radix_sort_block_sort_config_selectorIflEEZNS1_21radix_sort_block_sortIS4_Lb0EPfS8_N6thrust23THRUST_200600_302600_NS10device_ptrIlEESC_NS0_19identity_decomposerEEE10hipError_tT1_T2_T3_T4_jRjT5_jjP12ihipStream_tbEUlT_E_NS1_11comp_targetILNS1_3genE3ELNS1_11target_archE908ELNS1_3gpuE7ELNS1_3repE0EEENS1_44radix_sort_block_sort_config_static_selectorELNS0_4arch9wavefront6targetE1EEEvSF_.numbered_sgpr, 0
	.set _ZN7rocprim17ROCPRIM_400000_NS6detail17trampoline_kernelINS0_13kernel_configILj256ELj4ELj4294967295EEENS1_37radix_sort_block_sort_config_selectorIflEEZNS1_21radix_sort_block_sortIS4_Lb0EPfS8_N6thrust23THRUST_200600_302600_NS10device_ptrIlEESC_NS0_19identity_decomposerEEE10hipError_tT1_T2_T3_T4_jRjT5_jjP12ihipStream_tbEUlT_E_NS1_11comp_targetILNS1_3genE3ELNS1_11target_archE908ELNS1_3gpuE7ELNS1_3repE0EEENS1_44radix_sort_block_sort_config_static_selectorELNS0_4arch9wavefront6targetE1EEEvSF_.num_named_barrier, 0
	.set _ZN7rocprim17ROCPRIM_400000_NS6detail17trampoline_kernelINS0_13kernel_configILj256ELj4ELj4294967295EEENS1_37radix_sort_block_sort_config_selectorIflEEZNS1_21radix_sort_block_sortIS4_Lb0EPfS8_N6thrust23THRUST_200600_302600_NS10device_ptrIlEESC_NS0_19identity_decomposerEEE10hipError_tT1_T2_T3_T4_jRjT5_jjP12ihipStream_tbEUlT_E_NS1_11comp_targetILNS1_3genE3ELNS1_11target_archE908ELNS1_3gpuE7ELNS1_3repE0EEENS1_44radix_sort_block_sort_config_static_selectorELNS0_4arch9wavefront6targetE1EEEvSF_.private_seg_size, 0
	.set _ZN7rocprim17ROCPRIM_400000_NS6detail17trampoline_kernelINS0_13kernel_configILj256ELj4ELj4294967295EEENS1_37radix_sort_block_sort_config_selectorIflEEZNS1_21radix_sort_block_sortIS4_Lb0EPfS8_N6thrust23THRUST_200600_302600_NS10device_ptrIlEESC_NS0_19identity_decomposerEEE10hipError_tT1_T2_T3_T4_jRjT5_jjP12ihipStream_tbEUlT_E_NS1_11comp_targetILNS1_3genE3ELNS1_11target_archE908ELNS1_3gpuE7ELNS1_3repE0EEENS1_44radix_sort_block_sort_config_static_selectorELNS0_4arch9wavefront6targetE1EEEvSF_.uses_vcc, 0
	.set _ZN7rocprim17ROCPRIM_400000_NS6detail17trampoline_kernelINS0_13kernel_configILj256ELj4ELj4294967295EEENS1_37radix_sort_block_sort_config_selectorIflEEZNS1_21radix_sort_block_sortIS4_Lb0EPfS8_N6thrust23THRUST_200600_302600_NS10device_ptrIlEESC_NS0_19identity_decomposerEEE10hipError_tT1_T2_T3_T4_jRjT5_jjP12ihipStream_tbEUlT_E_NS1_11comp_targetILNS1_3genE3ELNS1_11target_archE908ELNS1_3gpuE7ELNS1_3repE0EEENS1_44radix_sort_block_sort_config_static_selectorELNS0_4arch9wavefront6targetE1EEEvSF_.uses_flat_scratch, 0
	.set _ZN7rocprim17ROCPRIM_400000_NS6detail17trampoline_kernelINS0_13kernel_configILj256ELj4ELj4294967295EEENS1_37radix_sort_block_sort_config_selectorIflEEZNS1_21radix_sort_block_sortIS4_Lb0EPfS8_N6thrust23THRUST_200600_302600_NS10device_ptrIlEESC_NS0_19identity_decomposerEEE10hipError_tT1_T2_T3_T4_jRjT5_jjP12ihipStream_tbEUlT_E_NS1_11comp_targetILNS1_3genE3ELNS1_11target_archE908ELNS1_3gpuE7ELNS1_3repE0EEENS1_44radix_sort_block_sort_config_static_selectorELNS0_4arch9wavefront6targetE1EEEvSF_.has_dyn_sized_stack, 0
	.set _ZN7rocprim17ROCPRIM_400000_NS6detail17trampoline_kernelINS0_13kernel_configILj256ELj4ELj4294967295EEENS1_37radix_sort_block_sort_config_selectorIflEEZNS1_21radix_sort_block_sortIS4_Lb0EPfS8_N6thrust23THRUST_200600_302600_NS10device_ptrIlEESC_NS0_19identity_decomposerEEE10hipError_tT1_T2_T3_T4_jRjT5_jjP12ihipStream_tbEUlT_E_NS1_11comp_targetILNS1_3genE3ELNS1_11target_archE908ELNS1_3gpuE7ELNS1_3repE0EEENS1_44radix_sort_block_sort_config_static_selectorELNS0_4arch9wavefront6targetE1EEEvSF_.has_recursion, 0
	.set _ZN7rocprim17ROCPRIM_400000_NS6detail17trampoline_kernelINS0_13kernel_configILj256ELj4ELj4294967295EEENS1_37radix_sort_block_sort_config_selectorIflEEZNS1_21radix_sort_block_sortIS4_Lb0EPfS8_N6thrust23THRUST_200600_302600_NS10device_ptrIlEESC_NS0_19identity_decomposerEEE10hipError_tT1_T2_T3_T4_jRjT5_jjP12ihipStream_tbEUlT_E_NS1_11comp_targetILNS1_3genE3ELNS1_11target_archE908ELNS1_3gpuE7ELNS1_3repE0EEENS1_44radix_sort_block_sort_config_static_selectorELNS0_4arch9wavefront6targetE1EEEvSF_.has_indirect_call, 0
	.section	.AMDGPU.csdata,"",@progbits
; Kernel info:
; codeLenInByte = 0
; TotalNumSgprs: 4
; NumVgprs: 0
; ScratchSize: 0
; MemoryBound: 0
; FloatMode: 240
; IeeeMode: 1
; LDSByteSize: 0 bytes/workgroup (compile time only)
; SGPRBlocks: 0
; VGPRBlocks: 0
; NumSGPRsForWavesPerEU: 4
; NumVGPRsForWavesPerEU: 1
; Occupancy: 10
; WaveLimiterHint : 0
; COMPUTE_PGM_RSRC2:SCRATCH_EN: 0
; COMPUTE_PGM_RSRC2:USER_SGPR: 6
; COMPUTE_PGM_RSRC2:TRAP_HANDLER: 0
; COMPUTE_PGM_RSRC2:TGID_X_EN: 1
; COMPUTE_PGM_RSRC2:TGID_Y_EN: 0
; COMPUTE_PGM_RSRC2:TGID_Z_EN: 0
; COMPUTE_PGM_RSRC2:TIDIG_COMP_CNT: 0
	.section	.text._ZN7rocprim17ROCPRIM_400000_NS6detail17trampoline_kernelINS0_13kernel_configILj256ELj4ELj4294967295EEENS1_37radix_sort_block_sort_config_selectorIflEEZNS1_21radix_sort_block_sortIS4_Lb0EPfS8_N6thrust23THRUST_200600_302600_NS10device_ptrIlEESC_NS0_19identity_decomposerEEE10hipError_tT1_T2_T3_T4_jRjT5_jjP12ihipStream_tbEUlT_E_NS1_11comp_targetILNS1_3genE2ELNS1_11target_archE906ELNS1_3gpuE6ELNS1_3repE0EEENS1_44radix_sort_block_sort_config_static_selectorELNS0_4arch9wavefront6targetE1EEEvSF_,"axG",@progbits,_ZN7rocprim17ROCPRIM_400000_NS6detail17trampoline_kernelINS0_13kernel_configILj256ELj4ELj4294967295EEENS1_37radix_sort_block_sort_config_selectorIflEEZNS1_21radix_sort_block_sortIS4_Lb0EPfS8_N6thrust23THRUST_200600_302600_NS10device_ptrIlEESC_NS0_19identity_decomposerEEE10hipError_tT1_T2_T3_T4_jRjT5_jjP12ihipStream_tbEUlT_E_NS1_11comp_targetILNS1_3genE2ELNS1_11target_archE906ELNS1_3gpuE6ELNS1_3repE0EEENS1_44radix_sort_block_sort_config_static_selectorELNS0_4arch9wavefront6targetE1EEEvSF_,comdat
	.protected	_ZN7rocprim17ROCPRIM_400000_NS6detail17trampoline_kernelINS0_13kernel_configILj256ELj4ELj4294967295EEENS1_37radix_sort_block_sort_config_selectorIflEEZNS1_21radix_sort_block_sortIS4_Lb0EPfS8_N6thrust23THRUST_200600_302600_NS10device_ptrIlEESC_NS0_19identity_decomposerEEE10hipError_tT1_T2_T3_T4_jRjT5_jjP12ihipStream_tbEUlT_E_NS1_11comp_targetILNS1_3genE2ELNS1_11target_archE906ELNS1_3gpuE6ELNS1_3repE0EEENS1_44radix_sort_block_sort_config_static_selectorELNS0_4arch9wavefront6targetE1EEEvSF_ ; -- Begin function _ZN7rocprim17ROCPRIM_400000_NS6detail17trampoline_kernelINS0_13kernel_configILj256ELj4ELj4294967295EEENS1_37radix_sort_block_sort_config_selectorIflEEZNS1_21radix_sort_block_sortIS4_Lb0EPfS8_N6thrust23THRUST_200600_302600_NS10device_ptrIlEESC_NS0_19identity_decomposerEEE10hipError_tT1_T2_T3_T4_jRjT5_jjP12ihipStream_tbEUlT_E_NS1_11comp_targetILNS1_3genE2ELNS1_11target_archE906ELNS1_3gpuE6ELNS1_3repE0EEENS1_44radix_sort_block_sort_config_static_selectorELNS0_4arch9wavefront6targetE1EEEvSF_
	.globl	_ZN7rocprim17ROCPRIM_400000_NS6detail17trampoline_kernelINS0_13kernel_configILj256ELj4ELj4294967295EEENS1_37radix_sort_block_sort_config_selectorIflEEZNS1_21radix_sort_block_sortIS4_Lb0EPfS8_N6thrust23THRUST_200600_302600_NS10device_ptrIlEESC_NS0_19identity_decomposerEEE10hipError_tT1_T2_T3_T4_jRjT5_jjP12ihipStream_tbEUlT_E_NS1_11comp_targetILNS1_3genE2ELNS1_11target_archE906ELNS1_3gpuE6ELNS1_3repE0EEENS1_44radix_sort_block_sort_config_static_selectorELNS0_4arch9wavefront6targetE1EEEvSF_
	.p2align	8
	.type	_ZN7rocprim17ROCPRIM_400000_NS6detail17trampoline_kernelINS0_13kernel_configILj256ELj4ELj4294967295EEENS1_37radix_sort_block_sort_config_selectorIflEEZNS1_21radix_sort_block_sortIS4_Lb0EPfS8_N6thrust23THRUST_200600_302600_NS10device_ptrIlEESC_NS0_19identity_decomposerEEE10hipError_tT1_T2_T3_T4_jRjT5_jjP12ihipStream_tbEUlT_E_NS1_11comp_targetILNS1_3genE2ELNS1_11target_archE906ELNS1_3gpuE6ELNS1_3repE0EEENS1_44radix_sort_block_sort_config_static_selectorELNS0_4arch9wavefront6targetE1EEEvSF_,@function
_ZN7rocprim17ROCPRIM_400000_NS6detail17trampoline_kernelINS0_13kernel_configILj256ELj4ELj4294967295EEENS1_37radix_sort_block_sort_config_selectorIflEEZNS1_21radix_sort_block_sortIS4_Lb0EPfS8_N6thrust23THRUST_200600_302600_NS10device_ptrIlEESC_NS0_19identity_decomposerEEE10hipError_tT1_T2_T3_T4_jRjT5_jjP12ihipStream_tbEUlT_E_NS1_11comp_targetILNS1_3genE2ELNS1_11target_archE906ELNS1_3gpuE6ELNS1_3repE0EEENS1_44radix_sort_block_sort_config_static_selectorELNS0_4arch9wavefront6targetE1EEEvSF_: ; @_ZN7rocprim17ROCPRIM_400000_NS6detail17trampoline_kernelINS0_13kernel_configILj256ELj4ELj4294967295EEENS1_37radix_sort_block_sort_config_selectorIflEEZNS1_21radix_sort_block_sortIS4_Lb0EPfS8_N6thrust23THRUST_200600_302600_NS10device_ptrIlEESC_NS0_19identity_decomposerEEE10hipError_tT1_T2_T3_T4_jRjT5_jjP12ihipStream_tbEUlT_E_NS1_11comp_targetILNS1_3genE2ELNS1_11target_archE906ELNS1_3gpuE6ELNS1_3repE0EEENS1_44radix_sort_block_sort_config_static_selectorELNS0_4arch9wavefront6targetE1EEEvSF_
; %bb.0:
	s_load_dword s2, s[4:5], 0x20
	s_load_dwordx8 s[36:43], s[4:5], 0x0
	s_lshl_b32 s28, s6, 10
	s_mov_b32 s29, 0
	v_mbcnt_lo_u32_b32 v3, -1, 0
	s_waitcnt lgkmcnt(0)
	s_lshr_b32 s0, s2, 10
	s_cmp_lg_u32 s6, s0
	s_cselect_b64 s[30:31], -1, 0
	s_lshl_b64 s[34:35], s[28:29], 2
	v_mbcnt_hi_u32_b32 v17, -1, v3
	s_add_u32 s1, s36, s34
	v_and_b32_e32 v15, 63, v17
	s_addc_u32 s3, s37, s35
	v_lshlrev_b32_e32 v28, 2, v0
	v_lshlrev_b32_e32 v3, 2, v15
	v_and_b32_e32 v16, 0x300, v28
	v_mov_b32_e32 v4, s3
	v_add_co_u32_e32 v3, vcc, s1, v3
	v_addc_co_u32_e32 v4, vcc, 0, v4, vcc
	v_lshlrev_b32_e32 v18, 2, v16
	v_add_co_u32_e32 v13, vcc, v3, v18
	s_cmp_eq_u32 s6, s0
	v_addc_co_u32_e32 v14, vcc, 0, v4, vcc
	v_lshlrev_b32_e32 v19, 3, v15
	v_lshlrev_b32_e32 v20, 3, v16
	s_cbranch_scc1 .LBB1746_2
; %bb.1:
	s_lshl_b64 s[0:1], s[28:29], 3
	s_add_u32 s0, s40, s0
	s_addc_u32 s1, s41, s1
	v_mov_b32_e32 v3, s1
	v_add_co_u32_e32 v4, vcc, s0, v19
	v_addc_co_u32_e32 v3, vcc, 0, v3, vcc
	v_add_co_u32_e32 v21, vcc, v4, v20
	global_load_dword v7, v[13:14], off
	global_load_dword v8, v[13:14], off offset:256
	global_load_dword v9, v[13:14], off offset:512
	;; [unrolled: 1-line block ×3, first 2 shown]
	v_addc_co_u32_e32 v22, vcc, 0, v3, vcc
	global_load_dwordx2 v[3:4], v[21:22], off
	global_load_dwordx2 v[5:6], v[21:22], off offset:512
	global_load_dwordx2 v[11:12], v[21:22], off offset:1024
	s_mov_b64 s[8:9], -1
	s_load_dwordx2 s[36:37], s[4:5], 0x28
	s_sub_i32 s33, s2, s28
	s_cbranch_execz .LBB1746_3
	s_branch .LBB1746_16
.LBB1746_2:
	s_mov_b64 s[8:9], 0
                                        ; implicit-def: $vgpr7_vgpr8_vgpr9_vgpr10
                                        ; implicit-def: $vgpr3_vgpr4
                                        ; implicit-def: $vgpr11_vgpr12
	s_load_dwordx2 s[36:37], s[4:5], 0x28
	s_sub_i32 s33, s2, s28
.LBB1746_3:
	s_waitcnt vmcnt(2)
	v_or_b32_e32 v3, v15, v16
	v_bfrev_b32_e32 v7, -2
	v_cmp_gt_u32_e32 vcc, s33, v3
	v_mov_b32_e32 v8, v7
	v_mov_b32_e32 v9, v7
	;; [unrolled: 1-line block ×3, first 2 shown]
	s_and_saveexec_b64 s[0:1], vcc
	s_cbranch_execz .LBB1746_5
; %bb.4:
	global_load_dword v4, v[13:14], off
	s_waitcnt vmcnt(2)
	v_mov_b32_e32 v5, v7
	v_mov_b32_e32 v6, v7
	s_waitcnt vmcnt(0)
	v_mov_b32_e32 v10, v7
	v_mov_b32_e32 v9, v6
	;; [unrolled: 1-line block ×4, first 2 shown]
.LBB1746_5:
	s_or_b64 exec, exec, s[0:1]
	v_or_b32_e32 v4, 64, v3
	v_cmp_gt_u32_e64 s[0:1], s33, v4
	s_and_saveexec_b64 s[2:3], s[0:1]
	s_cbranch_execz .LBB1746_7
; %bb.6:
	global_load_dword v8, v[13:14], off offset:256
.LBB1746_7:
	s_or_b64 exec, exec, s[2:3]
	v_or_b32_e32 v4, 0x80, v3
	v_cmp_gt_u32_e64 s[2:3], s33, v4
	s_and_saveexec_b64 s[6:7], s[2:3]
	s_cbranch_execz .LBB1746_9
; %bb.8:
	global_load_dword v9, v[13:14], off offset:512
.LBB1746_9:
	;; [unrolled: 8-line block ×3, first 2 shown]
	s_or_b64 exec, exec, s[6:7]
	s_lshl_b64 s[6:7], s[28:29], 3
	s_add_u32 s6, s40, s6
	s_addc_u32 s7, s41, s7
	v_mov_b32_e32 v3, s7
	v_add_co_u32_e64 v4, s[6:7], s6, v19
	v_addc_co_u32_e64 v3, s[6:7], 0, v3, s[6:7]
	v_add_co_u32_e64 v13, s[6:7], v4, v20
	v_addc_co_u32_e64 v14, s[6:7], 0, v3, s[6:7]
                                        ; implicit-def: $vgpr3_vgpr4
	s_and_saveexec_b64 s[6:7], vcc
	s_cbranch_execnz .LBB1746_55
; %bb.12:
	s_or_b64 exec, exec, s[6:7]
	s_and_saveexec_b64 s[6:7], s[0:1]
	s_cbranch_execnz .LBB1746_56
.LBB1746_13:
	s_or_b64 exec, exec, s[6:7]
                                        ; implicit-def: $vgpr11_vgpr12
	s_and_saveexec_b64 s[0:1], s[2:3]
	s_cbranch_execz .LBB1746_15
.LBB1746_14:
	global_load_dwordx2 v[11:12], v[13:14], off offset:1024
.LBB1746_15:
	s_or_b64 exec, exec, s[0:1]
.LBB1746_16:
	s_and_saveexec_b64 s[0:1], s[8:9]
	s_cbranch_execz .LBB1746_18
; %bb.17:
	s_lshl_b64 s[2:3], s[28:29], 3
	s_add_u32 s2, s40, s2
	s_addc_u32 s3, s41, s3
	v_mov_b32_e32 v13, s3
	v_add_co_u32_e32 v14, vcc, s2, v19
	v_addc_co_u32_e32 v21, vcc, 0, v13, vcc
	v_add_co_u32_e32 v13, vcc, v14, v20
	v_addc_co_u32_e32 v14, vcc, 0, v21, vcc
	global_load_dwordx2 v[13:14], v[13:14], off offset:1536
.LBB1746_18:
	s_or_b64 exec, exec, s[0:1]
	s_load_dword s0, s[4:5], 0x3c
	s_waitcnt lgkmcnt(0)
	s_add_i32 s40, s37, s36
	v_bfrev_b32_e32 v29, 1
	s_waitcnt vmcnt(6)
	v_cmp_lt_i32_e32 vcc, -1, v7
	v_cndmask_b32_e32 v20, -1, v29, vcc
	s_lshr_b32 s1, s0, 16
	s_and_b32 s0, s0, 0xffff
	v_mad_u32_u24 v1, v2, s1, v1
	v_mad_u64_u32 v[1:2], s[0:1], v1, s0, v[0:1]
	s_getpc_b64 s[0:1]
	s_add_u32 s0, s0, _ZN7rocprim17ROCPRIM_400000_NS16block_radix_sortIfLj256ELj4ElLj1ELj1ELj0ELNS0_26block_radix_rank_algorithmE1ELNS0_18block_padding_hintE2ELNS0_4arch9wavefront6targetE1EE19radix_bits_per_passE@rel32@lo+4
	s_addc_u32 s1, s1, _ZN7rocprim17ROCPRIM_400000_NS16block_radix_sortIfLj256ELj4ElLj1ELj1ELj0ELNS0_26block_radix_rank_algorithmE1ELNS0_18block_padding_hintE2ELNS0_4arch9wavefront6targetE1EE19radix_bits_per_passE@rel32@hi+12
	s_waitcnt vmcnt(0)
	v_cmp_lt_i32_e32 vcc, -1, v8
	v_lshrrev_b32_e32 v1, 4, v1
	v_and_b32_e32 v31, 0xffffffc, v1
	v_and_b32_e32 v1, 15, v17
	s_load_dword s41, s[0:1], 0x0
	v_cmp_eq_u32_e64 s[0:1], 0, v1
	v_cmp_lt_u32_e64 s[2:3], 1, v1
	v_cmp_lt_u32_e64 s[4:5], 3, v1
	;; [unrolled: 1-line block ×3, first 2 shown]
	v_and_b32_e32 v1, 16, v17
	v_xor_b32_e32 v24, v20, v7
	v_cndmask_b32_e32 v7, -1, v29, vcc
	v_cmp_lt_i32_e32 vcc, -1, v9
	v_cmp_eq_u32_e64 s[8:9], 0, v1
	v_or_b32_e32 v1, 63, v0
	v_xor_b32_e32 v25, v7, v8
	v_cndmask_b32_e32 v7, -1, v29, vcc
	v_cmp_lt_i32_e32 vcc, -1, v10
	v_cmp_eq_u32_e64 s[12:13], v0, v1
	v_subrev_co_u32_e64 v1, s[18:19], 1, v17
	v_and_b32_e32 v2, 64, v17
	v_xor_b32_e32 v26, v7, v9
	v_cndmask_b32_e32 v7, -1, v29, vcc
	v_cmp_lt_i32_e32 vcc, v1, v2
	s_mov_b32 s26, 0
	v_cndmask_b32_e32 v1, v1, v17, vcc
	v_lshlrev_b32_e32 v33, 2, v1
	v_lshrrev_b32_e32 v1, 4, v0
	s_mov_b32 s44, s26
	v_xor_b32_e32 v27, v7, v10
	v_cmp_lt_u32_e64 s[10:11], 31, v17
	v_and_b32_e32 v34, 12, v1
	v_and_b32_e32 v1, 3, v17
	v_lshl_add_u32 v35, v15, 2, v18
	s_mov_b32 s27, s26
	s_mov_b32 s45, s26
	v_mov_b32_e32 v9, s26
	v_mov_b32_e32 v17, s44
	v_lshlrev_b32_e32 v30, 4, v0
	v_cmp_gt_u32_e64 s[14:15], 4, v0
	v_cmp_lt_u32_e64 s[16:17], 63, v0
	v_cmp_eq_u32_e64 s[20:21], 0, v0
	v_mul_i32_i24_e32 v32, -12, v0
	v_cmp_eq_u32_e64 s[22:23], 0, v1
	v_cmp_lt_u32_e64 s[24:25], 1, v1
	v_lshl_add_u32 v36, v16, 3, v19
	v_mov_b32_e32 v10, s27
	v_mov_b32_e32 v18, s45
	s_brev_b32 s44, -2
	v_mov_b32_e32 v23, 0
	s_branch .LBB1746_20
.LBB1746_19:                            ;   in Loop: Header=BB1746_20 Depth=1
	s_andn2_b64 vcc, exec, s[26:27]
	s_cbranch_vccz .LBB1746_36
.LBB1746_20:                            ; =>This Inner Loop Header: Depth=1
	v_mov_b32_e32 v40, v24
	s_waitcnt lgkmcnt(0)
	s_min_u32 s26, s41, s37
	v_cmp_ne_u32_e32 vcc, s44, v40
	s_lshl_b32 s26, -1, s26
	v_cndmask_b32_e32 v1, v29, v40, vcc
	s_not_b32 s45, s26
	v_lshrrev_b32_e32 v1, s36, v1
	v_and_b32_e32 v1, s45, v1
	v_mov_b32_e32 v22, v4
	v_and_b32_e32 v2, 1, v1
	v_mov_b32_e32 v21, v3
	v_mov_b32_e32 v20, v6
	v_add_co_u32_e32 v4, vcc, -1, v2
	v_mov_b32_e32 v19, v5
	v_addc_co_u32_e64 v5, s[26:27], 0, -1, vcc
	v_cmp_ne_u32_e32 vcc, 0, v2
	v_lshlrev_b32_e32 v24, 30, v1
	v_xor_b32_e32 v2, vcc_hi, v5
	v_xor_b32_e32 v4, vcc_lo, v4
	v_cmp_gt_i64_e32 vcc, 0, v[23:24]
	v_not_b32_e32 v5, v24
	v_ashrrev_i32_e32 v5, 31, v5
	v_and_b32_e32 v4, exec_lo, v4
	v_xor_b32_e32 v6, vcc_hi, v5
	v_xor_b32_e32 v5, vcc_lo, v5
	v_lshlrev_b32_e32 v24, 29, v1
	v_and_b32_e32 v4, v4, v5
	v_cmp_gt_i64_e32 vcc, 0, v[23:24]
	v_not_b32_e32 v5, v24
	v_and_b32_e32 v2, exec_hi, v2
	v_ashrrev_i32_e32 v5, 31, v5
	v_and_b32_e32 v2, v2, v6
	v_xor_b32_e32 v6, vcc_hi, v5
	v_xor_b32_e32 v5, vcc_lo, v5
	v_lshlrev_b32_e32 v24, 28, v1
	v_and_b32_e32 v4, v4, v5
	v_cmp_gt_i64_e32 vcc, 0, v[23:24]
	v_not_b32_e32 v5, v24
	v_ashrrev_i32_e32 v5, 31, v5
	v_and_b32_e32 v2, v2, v6
	v_xor_b32_e32 v6, vcc_hi, v5
	v_xor_b32_e32 v5, vcc_lo, v5
	v_lshlrev_b32_e32 v24, 27, v1
	v_and_b32_e32 v4, v4, v5
	v_cmp_gt_i64_e32 vcc, 0, v[23:24]
	v_not_b32_e32 v5, v24
	;; [unrolled: 8-line block ×4, first 2 shown]
	v_ashrrev_i32_e32 v5, 31, v5
	v_lshlrev_b32_e32 v24, 24, v1
	v_lshlrev_b32_e32 v3, 4, v1
	v_and_b32_e32 v2, v2, v6
	v_xor_b32_e32 v6, vcc_hi, v5
	v_xor_b32_e32 v5, vcc_lo, v5
	v_cmp_gt_i64_e32 vcc, 0, v[23:24]
	v_not_b32_e32 v1, v24
	v_ashrrev_i32_e32 v1, 31, v1
	v_and_b32_e32 v4, v4, v5
	v_xor_b32_e32 v5, vcc_hi, v1
	v_xor_b32_e32 v1, vcc_lo, v1
	v_and_b32_e32 v2, v2, v6
	v_and_b32_e32 v1, v4, v1
	;; [unrolled: 1-line block ×3, first 2 shown]
	v_mbcnt_lo_u32_b32 v4, v1, 0
	v_mbcnt_hi_u32_b32 v5, v2, v4
	v_cmp_ne_u64_e32 vcc, 0, v[1:2]
	v_mov_b32_e32 v16, v12
	v_mov_b32_e32 v7, v13
	v_cmp_eq_u32_e64 s[26:27], 0, v5
	v_mov_b32_e32 v37, v27
	v_mov_b32_e32 v38, v26
	;; [unrolled: 1-line block ×5, first 2 shown]
	s_and_b64 s[46:47], vcc, s[26:27]
	v_add_u32_e32 v6, v31, v3
	ds_write2_b64 v30, v[9:10], v[17:18] offset0:2 offset1:3
	s_waitcnt lgkmcnt(0)
	s_barrier
	; wave barrier
	s_and_saveexec_b64 s[26:27], s[46:47]
; %bb.21:                               ;   in Loop: Header=BB1746_20 Depth=1
	v_bcnt_u32_b32 v1, v1, 0
	v_bcnt_u32_b32 v1, v2, v1
	ds_write_b32 v6, v1 offset:16
; %bb.22:                               ;   in Loop: Header=BB1746_20 Depth=1
	s_or_b64 exec, exec, s[26:27]
	v_cmp_ne_u32_e32 vcc, s44, v39
	v_cndmask_b32_e32 v1, v29, v39, vcc
	v_lshrrev_b32_e32 v1, s36, v1
	v_and_b32_e32 v1, s45, v1
	v_lshlrev_b32_e32 v2, 4, v1
	v_add_u32_e32 v12, v31, v2
	v_and_b32_e32 v2, 1, v1
	v_add_co_u32_e32 v3, vcc, -1, v2
	v_addc_co_u32_e64 v4, s[26:27], 0, -1, vcc
	v_cmp_ne_u32_e32 vcc, 0, v2
	v_lshlrev_b32_e32 v24, 30, v1
	v_xor_b32_e32 v2, vcc_hi, v4
	v_xor_b32_e32 v3, vcc_lo, v3
	v_cmp_gt_i64_e32 vcc, 0, v[23:24]
	v_not_b32_e32 v4, v24
	v_ashrrev_i32_e32 v4, 31, v4
	v_and_b32_e32 v3, exec_lo, v3
	v_xor_b32_e32 v13, vcc_hi, v4
	v_xor_b32_e32 v4, vcc_lo, v4
	v_lshlrev_b32_e32 v24, 29, v1
	v_and_b32_e32 v3, v3, v4
	v_cmp_gt_i64_e32 vcc, 0, v[23:24]
	v_not_b32_e32 v4, v24
	v_and_b32_e32 v2, exec_hi, v2
	v_ashrrev_i32_e32 v4, 31, v4
	v_and_b32_e32 v2, v2, v13
	v_xor_b32_e32 v13, vcc_hi, v4
	v_xor_b32_e32 v4, vcc_lo, v4
	v_lshlrev_b32_e32 v24, 28, v1
	v_and_b32_e32 v3, v3, v4
	v_cmp_gt_i64_e32 vcc, 0, v[23:24]
	v_not_b32_e32 v4, v24
	v_ashrrev_i32_e32 v4, 31, v4
	v_and_b32_e32 v2, v2, v13
	v_xor_b32_e32 v13, vcc_hi, v4
	v_xor_b32_e32 v4, vcc_lo, v4
	v_lshlrev_b32_e32 v24, 27, v1
	v_and_b32_e32 v3, v3, v4
	v_cmp_gt_i64_e32 vcc, 0, v[23:24]
	v_not_b32_e32 v4, v24
	;; [unrolled: 8-line block ×4, first 2 shown]
	v_ashrrev_i32_e32 v4, 31, v4
	v_lshlrev_b32_e32 v24, 24, v1
	v_and_b32_e32 v2, v2, v13
	v_xor_b32_e32 v13, vcc_hi, v4
	v_xor_b32_e32 v4, vcc_lo, v4
	v_cmp_gt_i64_e32 vcc, 0, v[23:24]
	v_not_b32_e32 v1, v24
	v_ashrrev_i32_e32 v1, 31, v1
	v_and_b32_e32 v3, v3, v4
	v_xor_b32_e32 v4, vcc_hi, v1
	v_xor_b32_e32 v1, vcc_lo, v1
	; wave barrier
	ds_read_b32 v11, v12 offset:16
	v_and_b32_e32 v2, v2, v13
	v_and_b32_e32 v1, v3, v1
	;; [unrolled: 1-line block ×3, first 2 shown]
	v_mbcnt_lo_u32_b32 v3, v1, 0
	v_mbcnt_hi_u32_b32 v13, v2, v3
	v_cmp_ne_u64_e32 vcc, 0, v[1:2]
	v_cmp_eq_u32_e64 s[26:27], 0, v13
	s_and_b64 s[46:47], vcc, s[26:27]
	; wave barrier
	s_and_saveexec_b64 s[26:27], s[46:47]
	s_cbranch_execz .LBB1746_24
; %bb.23:                               ;   in Loop: Header=BB1746_20 Depth=1
	v_bcnt_u32_b32 v1, v1, 0
	v_bcnt_u32_b32 v1, v2, v1
	s_waitcnt lgkmcnt(0)
	v_add_u32_e32 v1, v11, v1
	ds_write_b32 v12, v1 offset:16
.LBB1746_24:                            ;   in Loop: Header=BB1746_20 Depth=1
	s_or_b64 exec, exec, s[26:27]
	v_cmp_ne_u32_e32 vcc, s44, v38
	v_cndmask_b32_e32 v1, v29, v38, vcc
	v_lshrrev_b32_e32 v1, s36, v1
	v_and_b32_e32 v1, s45, v1
	v_lshlrev_b32_e32 v2, 4, v1
	v_add_u32_e32 v25, v31, v2
	v_and_b32_e32 v2, 1, v1
	v_add_co_u32_e32 v3, vcc, -1, v2
	v_addc_co_u32_e64 v4, s[26:27], 0, -1, vcc
	v_cmp_ne_u32_e32 vcc, 0, v2
	v_lshlrev_b32_e32 v24, 30, v1
	v_xor_b32_e32 v2, vcc_hi, v4
	v_xor_b32_e32 v3, vcc_lo, v3
	v_cmp_gt_i64_e32 vcc, 0, v[23:24]
	v_not_b32_e32 v4, v24
	v_ashrrev_i32_e32 v4, 31, v4
	v_and_b32_e32 v2, exec_hi, v2
	v_xor_b32_e32 v24, vcc_hi, v4
	v_and_b32_e32 v3, exec_lo, v3
	v_xor_b32_e32 v4, vcc_lo, v4
	v_and_b32_e32 v2, v2, v24
	v_lshlrev_b32_e32 v24, 29, v1
	v_and_b32_e32 v3, v3, v4
	v_cmp_gt_i64_e32 vcc, 0, v[23:24]
	v_not_b32_e32 v4, v24
	v_ashrrev_i32_e32 v4, 31, v4
	v_xor_b32_e32 v24, vcc_hi, v4
	v_xor_b32_e32 v4, vcc_lo, v4
	v_and_b32_e32 v2, v2, v24
	v_lshlrev_b32_e32 v24, 28, v1
	v_and_b32_e32 v3, v3, v4
	v_cmp_gt_i64_e32 vcc, 0, v[23:24]
	v_not_b32_e32 v4, v24
	v_ashrrev_i32_e32 v4, 31, v4
	v_xor_b32_e32 v24, vcc_hi, v4
	;; [unrolled: 8-line block ×5, first 2 shown]
	v_and_b32_e32 v2, v2, v24
	v_lshlrev_b32_e32 v24, 24, v1
	v_xor_b32_e32 v4, vcc_lo, v4
	v_cmp_gt_i64_e32 vcc, 0, v[23:24]
	v_not_b32_e32 v1, v24
	v_ashrrev_i32_e32 v1, 31, v1
	v_and_b32_e32 v3, v3, v4
	v_xor_b32_e32 v4, vcc_hi, v1
	v_xor_b32_e32 v1, vcc_lo, v1
	; wave barrier
	ds_read_b32 v14, v25 offset:16
	v_and_b32_e32 v1, v3, v1
	v_and_b32_e32 v2, v2, v4
	v_mbcnt_lo_u32_b32 v3, v1, 0
	v_mbcnt_hi_u32_b32 v26, v2, v3
	v_cmp_ne_u64_e32 vcc, 0, v[1:2]
	v_cmp_eq_u32_e64 s[26:27], 0, v26
	s_and_b64 s[46:47], vcc, s[26:27]
	; wave barrier
	s_and_saveexec_b64 s[26:27], s[46:47]
	s_cbranch_execz .LBB1746_26
; %bb.25:                               ;   in Loop: Header=BB1746_20 Depth=1
	v_bcnt_u32_b32 v1, v1, 0
	v_bcnt_u32_b32 v1, v2, v1
	s_waitcnt lgkmcnt(0)
	v_add_u32_e32 v1, v14, v1
	ds_write_b32 v25, v1 offset:16
.LBB1746_26:                            ;   in Loop: Header=BB1746_20 Depth=1
	s_or_b64 exec, exec, s[26:27]
	v_cmp_ne_u32_e32 vcc, s44, v37
	v_cndmask_b32_e32 v1, v29, v37, vcc
	v_lshrrev_b32_e32 v1, s36, v1
	v_and_b32_e32 v1, s45, v1
	v_lshlrev_b32_e32 v2, 4, v1
	v_add_u32_e32 v41, v31, v2
	v_and_b32_e32 v2, 1, v1
	v_add_co_u32_e32 v3, vcc, -1, v2
	v_addc_co_u32_e64 v4, s[26:27], 0, -1, vcc
	v_cmp_ne_u32_e32 vcc, 0, v2
	v_lshlrev_b32_e32 v24, 30, v1
	v_xor_b32_e32 v2, vcc_hi, v4
	v_xor_b32_e32 v3, vcc_lo, v3
	v_cmp_gt_i64_e32 vcc, 0, v[23:24]
	v_not_b32_e32 v4, v24
	v_ashrrev_i32_e32 v4, 31, v4
	v_and_b32_e32 v2, exec_hi, v2
	v_xor_b32_e32 v24, vcc_hi, v4
	v_and_b32_e32 v3, exec_lo, v3
	v_xor_b32_e32 v4, vcc_lo, v4
	v_and_b32_e32 v2, v2, v24
	v_lshlrev_b32_e32 v24, 29, v1
	v_and_b32_e32 v3, v3, v4
	v_cmp_gt_i64_e32 vcc, 0, v[23:24]
	v_not_b32_e32 v4, v24
	v_ashrrev_i32_e32 v4, 31, v4
	v_xor_b32_e32 v24, vcc_hi, v4
	v_xor_b32_e32 v4, vcc_lo, v4
	v_and_b32_e32 v2, v2, v24
	v_lshlrev_b32_e32 v24, 28, v1
	v_and_b32_e32 v3, v3, v4
	v_cmp_gt_i64_e32 vcc, 0, v[23:24]
	v_not_b32_e32 v4, v24
	v_ashrrev_i32_e32 v4, 31, v4
	v_xor_b32_e32 v24, vcc_hi, v4
	;; [unrolled: 8-line block ×5, first 2 shown]
	v_and_b32_e32 v2, v2, v24
	v_lshlrev_b32_e32 v24, 24, v1
	v_xor_b32_e32 v4, vcc_lo, v4
	v_cmp_gt_i64_e32 vcc, 0, v[23:24]
	v_not_b32_e32 v1, v24
	v_ashrrev_i32_e32 v1, 31, v1
	v_and_b32_e32 v3, v3, v4
	v_xor_b32_e32 v4, vcc_hi, v1
	v_xor_b32_e32 v1, vcc_lo, v1
	; wave barrier
	ds_read_b32 v27, v41 offset:16
	v_and_b32_e32 v1, v3, v1
	v_and_b32_e32 v2, v2, v4
	v_mbcnt_lo_u32_b32 v3, v1, 0
	v_mbcnt_hi_u32_b32 v24, v2, v3
	v_cmp_ne_u64_e32 vcc, 0, v[1:2]
	v_cmp_eq_u32_e64 s[26:27], 0, v24
	s_and_b64 s[46:47], vcc, s[26:27]
	; wave barrier
	s_and_saveexec_b64 s[26:27], s[46:47]
	s_cbranch_execz .LBB1746_28
; %bb.27:                               ;   in Loop: Header=BB1746_20 Depth=1
	v_bcnt_u32_b32 v1, v1, 0
	v_bcnt_u32_b32 v1, v2, v1
	s_waitcnt lgkmcnt(0)
	v_add_u32_e32 v1, v27, v1
	ds_write_b32 v41, v1 offset:16
.LBB1746_28:                            ;   in Loop: Header=BB1746_20 Depth=1
	s_or_b64 exec, exec, s[26:27]
	; wave barrier
	s_waitcnt lgkmcnt(0)
	s_barrier
	ds_read2_b64 v[1:4], v30 offset0:2 offset1:3
	s_waitcnt lgkmcnt(0)
	v_add_u32_e32 v42, v2, v1
	v_add3_u32 v4, v42, v3, v4
	s_nop 1
	v_mov_b32_dpp v42, v4 row_shr:1 row_mask:0xf bank_mask:0xf
	v_cndmask_b32_e64 v42, v42, 0, s[0:1]
	v_add_u32_e32 v4, v42, v4
	s_nop 1
	v_mov_b32_dpp v42, v4 row_shr:2 row_mask:0xf bank_mask:0xf
	v_cndmask_b32_e64 v42, 0, v42, s[2:3]
	v_add_u32_e32 v4, v4, v42
	;; [unrolled: 4-line block ×4, first 2 shown]
	s_nop 1
	v_mov_b32_dpp v42, v4 row_bcast:15 row_mask:0xf bank_mask:0xf
	v_cndmask_b32_e64 v42, v42, 0, s[8:9]
	v_add_u32_e32 v4, v4, v42
	s_nop 1
	v_mov_b32_dpp v42, v4 row_bcast:31 row_mask:0xf bank_mask:0xf
	v_cndmask_b32_e64 v42, 0, v42, s[10:11]
	v_add_u32_e32 v4, v4, v42
	s_and_saveexec_b64 s[26:27], s[12:13]
; %bb.29:                               ;   in Loop: Header=BB1746_20 Depth=1
	ds_write_b32 v34, v4
; %bb.30:                               ;   in Loop: Header=BB1746_20 Depth=1
	s_or_b64 exec, exec, s[26:27]
	s_waitcnt lgkmcnt(0)
	s_barrier
	s_and_saveexec_b64 s[26:27], s[14:15]
	s_cbranch_execz .LBB1746_32
; %bb.31:                               ;   in Loop: Header=BB1746_20 Depth=1
	v_add_u32_e32 v42, v30, v32
	ds_read_b32 v43, v42
	s_waitcnt lgkmcnt(0)
	s_nop 0
	v_mov_b32_dpp v44, v43 row_shr:1 row_mask:0xf bank_mask:0xf
	v_cndmask_b32_e64 v44, v44, 0, s[22:23]
	v_add_u32_e32 v43, v44, v43
	s_nop 1
	v_mov_b32_dpp v44, v43 row_shr:2 row_mask:0xf bank_mask:0xf
	v_cndmask_b32_e64 v44, 0, v44, s[24:25]
	v_add_u32_e32 v43, v43, v44
	ds_write_b32 v42, v43
.LBB1746_32:                            ;   in Loop: Header=BB1746_20 Depth=1
	s_or_b64 exec, exec, s[26:27]
	v_mov_b32_e32 v42, 0
	s_waitcnt lgkmcnt(0)
	s_barrier
	s_and_saveexec_b64 s[26:27], s[16:17]
; %bb.33:                               ;   in Loop: Header=BB1746_20 Depth=1
	v_add_u32_e32 v42, -4, v34
	ds_read_b32 v42, v42
; %bb.34:                               ;   in Loop: Header=BB1746_20 Depth=1
	s_or_b64 exec, exec, s[26:27]
	s_waitcnt lgkmcnt(0)
	v_add_u32_e32 v4, v42, v4
	ds_bpermute_b32 v4, v33, v4
	s_add_i32 s36, s36, 8
	s_cmp_ge_u32 s36, s40
	s_mov_b64 s[26:27], -1
	s_waitcnt lgkmcnt(0)
	v_cndmask_b32_e64 v4, v4, v42, s[18:19]
	v_cndmask_b32_e64 v42, v4, 0, s[20:21]
	v_add_u32_e32 v43, v42, v1
	v_add_u32_e32 v1, v43, v2
	;; [unrolled: 1-line block ×3, first 2 shown]
	ds_write2_b64 v30, v[42:43], v[1:2] offset0:2 offset1:3
	s_waitcnt lgkmcnt(0)
	s_barrier
	ds_read_b32 v1, v6 offset:16
	ds_read_b32 v2, v12 offset:16
	;; [unrolled: 1-line block ×4, first 2 shown]
	s_waitcnt lgkmcnt(0)
	v_add_u32_e32 v42, v1, v5
	v_add3_u32 v41, v13, v11, v2
	v_add3_u32 v2, v26, v14, v3
	;; [unrolled: 1-line block ×3, first 2 shown]
	v_lshlrev_b32_e32 v46, 2, v42
	v_lshlrev_b32_e32 v45, 2, v41
	;; [unrolled: 1-line block ×4, first 2 shown]
                                        ; implicit-def: $vgpr27
                                        ; implicit-def: $vgpr25
                                        ; implicit-def: $vgpr3_vgpr4
                                        ; implicit-def: $vgpr11_vgpr12
	s_cbranch_scc1 .LBB1746_19
; %bb.35:                               ;   in Loop: Header=BB1746_20 Depth=1
	v_lshl_add_u32 v3, v42, 2, v46
	s_barrier
	ds_write_b32 v46, v40
	ds_write_b32 v45, v39
	;; [unrolled: 1-line block ×4, first 2 shown]
	s_waitcnt lgkmcnt(0)
	s_barrier
	ds_read2st64_b32 v[24:25], v35 offset1:1
	ds_read2st64_b32 v[26:27], v35 offset0:2 offset1:3
	s_waitcnt lgkmcnt(0)
	s_barrier
	ds_write_b64 v3, v[21:22]
	v_lshl_add_u32 v3, v41, 2, v45
	ds_write_b64 v3, v[19:20]
	v_lshl_add_u32 v3, v2, 2, v44
	;; [unrolled: 2-line block ×3, first 2 shown]
	ds_write_b64 v3, v[7:8]
	s_waitcnt lgkmcnt(0)
	s_barrier
	ds_read2st64_b64 v[3:6], v36 offset1:1
	ds_read2st64_b64 v[11:14], v36 offset0:2 offset1:3
	s_add_i32 s37, s37, -8
	s_mov_b64 s[26:27], 0
	s_waitcnt lgkmcnt(0)
	s_barrier
	s_branch .LBB1746_19
.LBB1746_36:
	v_add_u32_e32 v3, v30, v32
	s_barrier
	ds_write_b32 v46, v40
	ds_write_b32 v45, v39
	;; [unrolled: 1-line block ×4, first 2 shown]
	s_waitcnt lgkmcnt(0)
	s_barrier
	ds_read2st64_b32 v[9:10], v3 offset1:4
	ds_read2st64_b32 v[17:18], v3 offset0:8 offset1:12
	v_lshl_add_u32 v3, v42, 2, v46
	v_bfrev_b32_e32 v12, 1
	s_waitcnt lgkmcnt(0)
	v_cmp_lt_i32_e32 vcc, -1, v9
	s_barrier
	ds_write_b64 v3, v[21:22]
	v_lshl_add_u32 v3, v41, 2, v45
	v_lshl_add_u32 v2, v2, 2, v44
	;; [unrolled: 1-line block ×3, first 2 shown]
	v_lshlrev_b32_e32 v11, 3, v0
	v_cndmask_b32_e64 v13, v12, -1, vcc
	v_cmp_lt_i32_e32 vcc, -1, v10
	ds_write_b64 v3, v[19:20]
	ds_write_b64 v2, v[15:16]
	;; [unrolled: 1-line block ×3, first 2 shown]
	s_waitcnt lgkmcnt(0)
	s_barrier
	ds_read2st64_b64 v[5:8], v11 offset1:4
	ds_read2st64_b64 v[1:4], v11 offset0:8 offset1:12
	v_xor_b32_e32 v15, v13, v9
	v_cndmask_b32_e64 v9, v12, -1, vcc
	v_cmp_lt_i32_e32 vcc, -1, v17
	v_xor_b32_e32 v14, v9, v10
	v_cndmask_b32_e64 v9, v12, -1, vcc
	v_cmp_lt_i32_e32 vcc, -1, v18
	s_add_u32 s0, s38, s34
	v_xor_b32_e32 v13, v9, v17
	v_cndmask_b32_e64 v9, v12, -1, vcc
	s_addc_u32 s1, s39, s35
	v_xor_b32_e32 v12, v9, v18
	v_mov_b32_e32 v10, s1
	v_add_co_u32_e64 v9, s[0:1], s0, v28
	s_andn2_b64 vcc, exec, s[30:31]
	v_addc_co_u32_e64 v10, s[0:1], 0, v10, s[0:1]
	s_cbranch_vccnz .LBB1746_38
; %bb.37:
	s_lshl_b64 s[0:1], s[28:29], 3
	s_add_u32 s0, s42, s0
	s_addc_u32 s1, s43, s1
	v_mov_b32_e32 v16, s1
	v_add_co_u32_e32 v17, vcc, s0, v11
	v_addc_co_u32_e32 v18, vcc, 0, v16, vcc
	v_add_co_u32_e32 v16, vcc, 0x1000, v17
	global_store_dword v[9:10], v15, off
	global_store_dword v[9:10], v14, off offset:1024
	global_store_dword v[9:10], v13, off offset:2048
	;; [unrolled: 1-line block ×3, first 2 shown]
	s_waitcnt lgkmcnt(1)
	global_store_dwordx2 v11, v[5:6], s[0:1]
	global_store_dwordx2 v11, v[7:8], s[0:1] offset:2048
	v_addc_co_u32_e32 v17, vcc, 0, v18, vcc
	s_mov_b64 s[6:7], -1
	s_waitcnt lgkmcnt(0)
	global_store_dwordx2 v[16:17], v[1:2], off
	s_cbranch_execz .LBB1746_39
	s_branch .LBB1746_52
.LBB1746_38:
	s_mov_b64 s[6:7], 0
.LBB1746_39:
	v_cmp_gt_u32_e32 vcc, s33, v0
	s_and_saveexec_b64 s[0:1], vcc
	s_cbranch_execz .LBB1746_41
; %bb.40:
	global_store_dword v[9:10], v15, off
.LBB1746_41:
	s_or_b64 exec, exec, s[0:1]
	v_or_b32_e32 v15, 0x100, v0
	v_cmp_gt_u32_e64 s[0:1], s33, v15
	s_and_saveexec_b64 s[2:3], s[0:1]
	s_cbranch_execz .LBB1746_43
; %bb.42:
	global_store_dword v[9:10], v14, off offset:1024
.LBB1746_43:
	s_or_b64 exec, exec, s[2:3]
	v_or_b32_e32 v14, 0x200, v0
	v_cmp_gt_u32_e64 s[2:3], s33, v14
	s_and_saveexec_b64 s[4:5], s[2:3]
	s_cbranch_execz .LBB1746_45
; %bb.44:
	global_store_dword v[9:10], v13, off offset:2048
.LBB1746_45:
	;; [unrolled: 8-line block ×3, first 2 shown]
	s_or_b64 exec, exec, s[4:5]
	s_lshl_b64 s[4:5], s[28:29], 3
	s_add_u32 s4, s42, s4
	s_addc_u32 s5, s43, s5
	v_mov_b32_e32 v0, s5
	v_add_co_u32_e64 v9, s[4:5], s4, v11
	v_addc_co_u32_e64 v10, s[4:5], 0, v0, s[4:5]
	s_and_saveexec_b64 s[4:5], vcc
	s_cbranch_execnz .LBB1746_57
; %bb.48:
	s_or_b64 exec, exec, s[4:5]
	s_and_saveexec_b64 s[4:5], s[0:1]
	s_cbranch_execnz .LBB1746_58
.LBB1746_49:
	s_or_b64 exec, exec, s[4:5]
	s_and_saveexec_b64 s[0:1], s[2:3]
	s_cbranch_execz .LBB1746_51
.LBB1746_50:
	s_waitcnt lgkmcnt(1)
	v_add_co_u32_e32 v5, vcc, 0x1000, v9
	v_addc_co_u32_e32 v6, vcc, 0, v10, vcc
	s_waitcnt lgkmcnt(0)
	global_store_dwordx2 v[5:6], v[1:2], off
.LBB1746_51:
	s_or_b64 exec, exec, s[0:1]
.LBB1746_52:
	s_and_saveexec_b64 s[0:1], s[6:7]
	s_cbranch_execnz .LBB1746_54
; %bb.53:
	s_endpgm
.LBB1746_54:
	s_lshl_b64 s[0:1], s[28:29], 3
	s_add_u32 s0, s42, s0
	s_addc_u32 s1, s43, s1
	v_mov_b32_e32 v0, s1
	s_waitcnt lgkmcnt(0)
	v_add_co_u32_e32 v1, vcc, s0, v11
	v_addc_co_u32_e32 v2, vcc, 0, v0, vcc
	v_add_co_u32_e32 v0, vcc, 0x1000, v1
	v_addc_co_u32_e32 v1, vcc, 0, v2, vcc
	global_store_dwordx2 v[0:1], v[3:4], off offset:2048
	s_endpgm
.LBB1746_55:
	global_load_dwordx2 v[3:4], v[13:14], off
	s_or_b64 exec, exec, s[6:7]
	s_and_saveexec_b64 s[6:7], s[0:1]
	s_cbranch_execz .LBB1746_13
.LBB1746_56:
	global_load_dwordx2 v[5:6], v[13:14], off offset:512
	s_or_b64 exec, exec, s[6:7]
                                        ; implicit-def: $vgpr11_vgpr12
	s_and_saveexec_b64 s[0:1], s[2:3]
	s_cbranch_execnz .LBB1746_14
	s_branch .LBB1746_15
.LBB1746_57:
	s_waitcnt lgkmcnt(1)
	global_store_dwordx2 v[9:10], v[5:6], off
	s_or_b64 exec, exec, s[4:5]
	s_and_saveexec_b64 s[4:5], s[0:1]
	s_cbranch_execz .LBB1746_49
.LBB1746_58:
	s_waitcnt lgkmcnt(1)
	global_store_dwordx2 v[9:10], v[7:8], off offset:2048
	s_or_b64 exec, exec, s[4:5]
	s_and_saveexec_b64 s[0:1], s[2:3]
	s_cbranch_execnz .LBB1746_50
	s_branch .LBB1746_51
	.section	.rodata,"a",@progbits
	.p2align	6, 0x0
	.amdhsa_kernel _ZN7rocprim17ROCPRIM_400000_NS6detail17trampoline_kernelINS0_13kernel_configILj256ELj4ELj4294967295EEENS1_37radix_sort_block_sort_config_selectorIflEEZNS1_21radix_sort_block_sortIS4_Lb0EPfS8_N6thrust23THRUST_200600_302600_NS10device_ptrIlEESC_NS0_19identity_decomposerEEE10hipError_tT1_T2_T3_T4_jRjT5_jjP12ihipStream_tbEUlT_E_NS1_11comp_targetILNS1_3genE2ELNS1_11target_archE906ELNS1_3gpuE6ELNS1_3repE0EEENS1_44radix_sort_block_sort_config_static_selectorELNS0_4arch9wavefront6targetE1EEEvSF_
		.amdhsa_group_segment_fixed_size 8192
		.amdhsa_private_segment_fixed_size 0
		.amdhsa_kernarg_size 304
		.amdhsa_user_sgpr_count 6
		.amdhsa_user_sgpr_private_segment_buffer 1
		.amdhsa_user_sgpr_dispatch_ptr 0
		.amdhsa_user_sgpr_queue_ptr 0
		.amdhsa_user_sgpr_kernarg_segment_ptr 1
		.amdhsa_user_sgpr_dispatch_id 0
		.amdhsa_user_sgpr_flat_scratch_init 0
		.amdhsa_user_sgpr_private_segment_size 0
		.amdhsa_uses_dynamic_stack 0
		.amdhsa_system_sgpr_private_segment_wavefront_offset 0
		.amdhsa_system_sgpr_workgroup_id_x 1
		.amdhsa_system_sgpr_workgroup_id_y 0
		.amdhsa_system_sgpr_workgroup_id_z 0
		.amdhsa_system_sgpr_workgroup_info 0
		.amdhsa_system_vgpr_workitem_id 2
		.amdhsa_next_free_vgpr 47
		.amdhsa_next_free_sgpr 61
		.amdhsa_reserve_vcc 1
		.amdhsa_reserve_flat_scratch 0
		.amdhsa_float_round_mode_32 0
		.amdhsa_float_round_mode_16_64 0
		.amdhsa_float_denorm_mode_32 3
		.amdhsa_float_denorm_mode_16_64 3
		.amdhsa_dx10_clamp 1
		.amdhsa_ieee_mode 1
		.amdhsa_fp16_overflow 0
		.amdhsa_exception_fp_ieee_invalid_op 0
		.amdhsa_exception_fp_denorm_src 0
		.amdhsa_exception_fp_ieee_div_zero 0
		.amdhsa_exception_fp_ieee_overflow 0
		.amdhsa_exception_fp_ieee_underflow 0
		.amdhsa_exception_fp_ieee_inexact 0
		.amdhsa_exception_int_div_zero 0
	.end_amdhsa_kernel
	.section	.text._ZN7rocprim17ROCPRIM_400000_NS6detail17trampoline_kernelINS0_13kernel_configILj256ELj4ELj4294967295EEENS1_37radix_sort_block_sort_config_selectorIflEEZNS1_21radix_sort_block_sortIS4_Lb0EPfS8_N6thrust23THRUST_200600_302600_NS10device_ptrIlEESC_NS0_19identity_decomposerEEE10hipError_tT1_T2_T3_T4_jRjT5_jjP12ihipStream_tbEUlT_E_NS1_11comp_targetILNS1_3genE2ELNS1_11target_archE906ELNS1_3gpuE6ELNS1_3repE0EEENS1_44radix_sort_block_sort_config_static_selectorELNS0_4arch9wavefront6targetE1EEEvSF_,"axG",@progbits,_ZN7rocprim17ROCPRIM_400000_NS6detail17trampoline_kernelINS0_13kernel_configILj256ELj4ELj4294967295EEENS1_37radix_sort_block_sort_config_selectorIflEEZNS1_21radix_sort_block_sortIS4_Lb0EPfS8_N6thrust23THRUST_200600_302600_NS10device_ptrIlEESC_NS0_19identity_decomposerEEE10hipError_tT1_T2_T3_T4_jRjT5_jjP12ihipStream_tbEUlT_E_NS1_11comp_targetILNS1_3genE2ELNS1_11target_archE906ELNS1_3gpuE6ELNS1_3repE0EEENS1_44radix_sort_block_sort_config_static_selectorELNS0_4arch9wavefront6targetE1EEEvSF_,comdat
.Lfunc_end1746:
	.size	_ZN7rocprim17ROCPRIM_400000_NS6detail17trampoline_kernelINS0_13kernel_configILj256ELj4ELj4294967295EEENS1_37radix_sort_block_sort_config_selectorIflEEZNS1_21radix_sort_block_sortIS4_Lb0EPfS8_N6thrust23THRUST_200600_302600_NS10device_ptrIlEESC_NS0_19identity_decomposerEEE10hipError_tT1_T2_T3_T4_jRjT5_jjP12ihipStream_tbEUlT_E_NS1_11comp_targetILNS1_3genE2ELNS1_11target_archE906ELNS1_3gpuE6ELNS1_3repE0EEENS1_44radix_sort_block_sort_config_static_selectorELNS0_4arch9wavefront6targetE1EEEvSF_, .Lfunc_end1746-_ZN7rocprim17ROCPRIM_400000_NS6detail17trampoline_kernelINS0_13kernel_configILj256ELj4ELj4294967295EEENS1_37radix_sort_block_sort_config_selectorIflEEZNS1_21radix_sort_block_sortIS4_Lb0EPfS8_N6thrust23THRUST_200600_302600_NS10device_ptrIlEESC_NS0_19identity_decomposerEEE10hipError_tT1_T2_T3_T4_jRjT5_jjP12ihipStream_tbEUlT_E_NS1_11comp_targetILNS1_3genE2ELNS1_11target_archE906ELNS1_3gpuE6ELNS1_3repE0EEENS1_44radix_sort_block_sort_config_static_selectorELNS0_4arch9wavefront6targetE1EEEvSF_
                                        ; -- End function
	.set _ZN7rocprim17ROCPRIM_400000_NS6detail17trampoline_kernelINS0_13kernel_configILj256ELj4ELj4294967295EEENS1_37radix_sort_block_sort_config_selectorIflEEZNS1_21radix_sort_block_sortIS4_Lb0EPfS8_N6thrust23THRUST_200600_302600_NS10device_ptrIlEESC_NS0_19identity_decomposerEEE10hipError_tT1_T2_T3_T4_jRjT5_jjP12ihipStream_tbEUlT_E_NS1_11comp_targetILNS1_3genE2ELNS1_11target_archE906ELNS1_3gpuE6ELNS1_3repE0EEENS1_44radix_sort_block_sort_config_static_selectorELNS0_4arch9wavefront6targetE1EEEvSF_.num_vgpr, 47
	.set _ZN7rocprim17ROCPRIM_400000_NS6detail17trampoline_kernelINS0_13kernel_configILj256ELj4ELj4294967295EEENS1_37radix_sort_block_sort_config_selectorIflEEZNS1_21radix_sort_block_sortIS4_Lb0EPfS8_N6thrust23THRUST_200600_302600_NS10device_ptrIlEESC_NS0_19identity_decomposerEEE10hipError_tT1_T2_T3_T4_jRjT5_jjP12ihipStream_tbEUlT_E_NS1_11comp_targetILNS1_3genE2ELNS1_11target_archE906ELNS1_3gpuE6ELNS1_3repE0EEENS1_44radix_sort_block_sort_config_static_selectorELNS0_4arch9wavefront6targetE1EEEvSF_.num_agpr, 0
	.set _ZN7rocprim17ROCPRIM_400000_NS6detail17trampoline_kernelINS0_13kernel_configILj256ELj4ELj4294967295EEENS1_37radix_sort_block_sort_config_selectorIflEEZNS1_21radix_sort_block_sortIS4_Lb0EPfS8_N6thrust23THRUST_200600_302600_NS10device_ptrIlEESC_NS0_19identity_decomposerEEE10hipError_tT1_T2_T3_T4_jRjT5_jjP12ihipStream_tbEUlT_E_NS1_11comp_targetILNS1_3genE2ELNS1_11target_archE906ELNS1_3gpuE6ELNS1_3repE0EEENS1_44radix_sort_block_sort_config_static_selectorELNS0_4arch9wavefront6targetE1EEEvSF_.numbered_sgpr, 48
	.set _ZN7rocprim17ROCPRIM_400000_NS6detail17trampoline_kernelINS0_13kernel_configILj256ELj4ELj4294967295EEENS1_37radix_sort_block_sort_config_selectorIflEEZNS1_21radix_sort_block_sortIS4_Lb0EPfS8_N6thrust23THRUST_200600_302600_NS10device_ptrIlEESC_NS0_19identity_decomposerEEE10hipError_tT1_T2_T3_T4_jRjT5_jjP12ihipStream_tbEUlT_E_NS1_11comp_targetILNS1_3genE2ELNS1_11target_archE906ELNS1_3gpuE6ELNS1_3repE0EEENS1_44radix_sort_block_sort_config_static_selectorELNS0_4arch9wavefront6targetE1EEEvSF_.num_named_barrier, 0
	.set _ZN7rocprim17ROCPRIM_400000_NS6detail17trampoline_kernelINS0_13kernel_configILj256ELj4ELj4294967295EEENS1_37radix_sort_block_sort_config_selectorIflEEZNS1_21radix_sort_block_sortIS4_Lb0EPfS8_N6thrust23THRUST_200600_302600_NS10device_ptrIlEESC_NS0_19identity_decomposerEEE10hipError_tT1_T2_T3_T4_jRjT5_jjP12ihipStream_tbEUlT_E_NS1_11comp_targetILNS1_3genE2ELNS1_11target_archE906ELNS1_3gpuE6ELNS1_3repE0EEENS1_44radix_sort_block_sort_config_static_selectorELNS0_4arch9wavefront6targetE1EEEvSF_.private_seg_size, 0
	.set _ZN7rocprim17ROCPRIM_400000_NS6detail17trampoline_kernelINS0_13kernel_configILj256ELj4ELj4294967295EEENS1_37radix_sort_block_sort_config_selectorIflEEZNS1_21radix_sort_block_sortIS4_Lb0EPfS8_N6thrust23THRUST_200600_302600_NS10device_ptrIlEESC_NS0_19identity_decomposerEEE10hipError_tT1_T2_T3_T4_jRjT5_jjP12ihipStream_tbEUlT_E_NS1_11comp_targetILNS1_3genE2ELNS1_11target_archE906ELNS1_3gpuE6ELNS1_3repE0EEENS1_44radix_sort_block_sort_config_static_selectorELNS0_4arch9wavefront6targetE1EEEvSF_.uses_vcc, 1
	.set _ZN7rocprim17ROCPRIM_400000_NS6detail17trampoline_kernelINS0_13kernel_configILj256ELj4ELj4294967295EEENS1_37radix_sort_block_sort_config_selectorIflEEZNS1_21radix_sort_block_sortIS4_Lb0EPfS8_N6thrust23THRUST_200600_302600_NS10device_ptrIlEESC_NS0_19identity_decomposerEEE10hipError_tT1_T2_T3_T4_jRjT5_jjP12ihipStream_tbEUlT_E_NS1_11comp_targetILNS1_3genE2ELNS1_11target_archE906ELNS1_3gpuE6ELNS1_3repE0EEENS1_44radix_sort_block_sort_config_static_selectorELNS0_4arch9wavefront6targetE1EEEvSF_.uses_flat_scratch, 0
	.set _ZN7rocprim17ROCPRIM_400000_NS6detail17trampoline_kernelINS0_13kernel_configILj256ELj4ELj4294967295EEENS1_37radix_sort_block_sort_config_selectorIflEEZNS1_21radix_sort_block_sortIS4_Lb0EPfS8_N6thrust23THRUST_200600_302600_NS10device_ptrIlEESC_NS0_19identity_decomposerEEE10hipError_tT1_T2_T3_T4_jRjT5_jjP12ihipStream_tbEUlT_E_NS1_11comp_targetILNS1_3genE2ELNS1_11target_archE906ELNS1_3gpuE6ELNS1_3repE0EEENS1_44radix_sort_block_sort_config_static_selectorELNS0_4arch9wavefront6targetE1EEEvSF_.has_dyn_sized_stack, 0
	.set _ZN7rocprim17ROCPRIM_400000_NS6detail17trampoline_kernelINS0_13kernel_configILj256ELj4ELj4294967295EEENS1_37radix_sort_block_sort_config_selectorIflEEZNS1_21radix_sort_block_sortIS4_Lb0EPfS8_N6thrust23THRUST_200600_302600_NS10device_ptrIlEESC_NS0_19identity_decomposerEEE10hipError_tT1_T2_T3_T4_jRjT5_jjP12ihipStream_tbEUlT_E_NS1_11comp_targetILNS1_3genE2ELNS1_11target_archE906ELNS1_3gpuE6ELNS1_3repE0EEENS1_44radix_sort_block_sort_config_static_selectorELNS0_4arch9wavefront6targetE1EEEvSF_.has_recursion, 0
	.set _ZN7rocprim17ROCPRIM_400000_NS6detail17trampoline_kernelINS0_13kernel_configILj256ELj4ELj4294967295EEENS1_37radix_sort_block_sort_config_selectorIflEEZNS1_21radix_sort_block_sortIS4_Lb0EPfS8_N6thrust23THRUST_200600_302600_NS10device_ptrIlEESC_NS0_19identity_decomposerEEE10hipError_tT1_T2_T3_T4_jRjT5_jjP12ihipStream_tbEUlT_E_NS1_11comp_targetILNS1_3genE2ELNS1_11target_archE906ELNS1_3gpuE6ELNS1_3repE0EEENS1_44radix_sort_block_sort_config_static_selectorELNS0_4arch9wavefront6targetE1EEEvSF_.has_indirect_call, 0
	.section	.AMDGPU.csdata,"",@progbits
; Kernel info:
; codeLenInByte = 3904
; TotalNumSgprs: 52
; NumVgprs: 47
; ScratchSize: 0
; MemoryBound: 0
; FloatMode: 240
; IeeeMode: 1
; LDSByteSize: 8192 bytes/workgroup (compile time only)
; SGPRBlocks: 8
; VGPRBlocks: 11
; NumSGPRsForWavesPerEU: 65
; NumVGPRsForWavesPerEU: 47
; Occupancy: 5
; WaveLimiterHint : 1
; COMPUTE_PGM_RSRC2:SCRATCH_EN: 0
; COMPUTE_PGM_RSRC2:USER_SGPR: 6
; COMPUTE_PGM_RSRC2:TRAP_HANDLER: 0
; COMPUTE_PGM_RSRC2:TGID_X_EN: 1
; COMPUTE_PGM_RSRC2:TGID_Y_EN: 0
; COMPUTE_PGM_RSRC2:TGID_Z_EN: 0
; COMPUTE_PGM_RSRC2:TIDIG_COMP_CNT: 2
	.section	.text._ZN7rocprim17ROCPRIM_400000_NS6detail17trampoline_kernelINS0_13kernel_configILj256ELj4ELj4294967295EEENS1_37radix_sort_block_sort_config_selectorIflEEZNS1_21radix_sort_block_sortIS4_Lb0EPfS8_N6thrust23THRUST_200600_302600_NS10device_ptrIlEESC_NS0_19identity_decomposerEEE10hipError_tT1_T2_T3_T4_jRjT5_jjP12ihipStream_tbEUlT_E_NS1_11comp_targetILNS1_3genE10ELNS1_11target_archE1201ELNS1_3gpuE5ELNS1_3repE0EEENS1_44radix_sort_block_sort_config_static_selectorELNS0_4arch9wavefront6targetE1EEEvSF_,"axG",@progbits,_ZN7rocprim17ROCPRIM_400000_NS6detail17trampoline_kernelINS0_13kernel_configILj256ELj4ELj4294967295EEENS1_37radix_sort_block_sort_config_selectorIflEEZNS1_21radix_sort_block_sortIS4_Lb0EPfS8_N6thrust23THRUST_200600_302600_NS10device_ptrIlEESC_NS0_19identity_decomposerEEE10hipError_tT1_T2_T3_T4_jRjT5_jjP12ihipStream_tbEUlT_E_NS1_11comp_targetILNS1_3genE10ELNS1_11target_archE1201ELNS1_3gpuE5ELNS1_3repE0EEENS1_44radix_sort_block_sort_config_static_selectorELNS0_4arch9wavefront6targetE1EEEvSF_,comdat
	.protected	_ZN7rocprim17ROCPRIM_400000_NS6detail17trampoline_kernelINS0_13kernel_configILj256ELj4ELj4294967295EEENS1_37radix_sort_block_sort_config_selectorIflEEZNS1_21radix_sort_block_sortIS4_Lb0EPfS8_N6thrust23THRUST_200600_302600_NS10device_ptrIlEESC_NS0_19identity_decomposerEEE10hipError_tT1_T2_T3_T4_jRjT5_jjP12ihipStream_tbEUlT_E_NS1_11comp_targetILNS1_3genE10ELNS1_11target_archE1201ELNS1_3gpuE5ELNS1_3repE0EEENS1_44radix_sort_block_sort_config_static_selectorELNS0_4arch9wavefront6targetE1EEEvSF_ ; -- Begin function _ZN7rocprim17ROCPRIM_400000_NS6detail17trampoline_kernelINS0_13kernel_configILj256ELj4ELj4294967295EEENS1_37radix_sort_block_sort_config_selectorIflEEZNS1_21radix_sort_block_sortIS4_Lb0EPfS8_N6thrust23THRUST_200600_302600_NS10device_ptrIlEESC_NS0_19identity_decomposerEEE10hipError_tT1_T2_T3_T4_jRjT5_jjP12ihipStream_tbEUlT_E_NS1_11comp_targetILNS1_3genE10ELNS1_11target_archE1201ELNS1_3gpuE5ELNS1_3repE0EEENS1_44radix_sort_block_sort_config_static_selectorELNS0_4arch9wavefront6targetE1EEEvSF_
	.globl	_ZN7rocprim17ROCPRIM_400000_NS6detail17trampoline_kernelINS0_13kernel_configILj256ELj4ELj4294967295EEENS1_37radix_sort_block_sort_config_selectorIflEEZNS1_21radix_sort_block_sortIS4_Lb0EPfS8_N6thrust23THRUST_200600_302600_NS10device_ptrIlEESC_NS0_19identity_decomposerEEE10hipError_tT1_T2_T3_T4_jRjT5_jjP12ihipStream_tbEUlT_E_NS1_11comp_targetILNS1_3genE10ELNS1_11target_archE1201ELNS1_3gpuE5ELNS1_3repE0EEENS1_44radix_sort_block_sort_config_static_selectorELNS0_4arch9wavefront6targetE1EEEvSF_
	.p2align	8
	.type	_ZN7rocprim17ROCPRIM_400000_NS6detail17trampoline_kernelINS0_13kernel_configILj256ELj4ELj4294967295EEENS1_37radix_sort_block_sort_config_selectorIflEEZNS1_21radix_sort_block_sortIS4_Lb0EPfS8_N6thrust23THRUST_200600_302600_NS10device_ptrIlEESC_NS0_19identity_decomposerEEE10hipError_tT1_T2_T3_T4_jRjT5_jjP12ihipStream_tbEUlT_E_NS1_11comp_targetILNS1_3genE10ELNS1_11target_archE1201ELNS1_3gpuE5ELNS1_3repE0EEENS1_44radix_sort_block_sort_config_static_selectorELNS0_4arch9wavefront6targetE1EEEvSF_,@function
_ZN7rocprim17ROCPRIM_400000_NS6detail17trampoline_kernelINS0_13kernel_configILj256ELj4ELj4294967295EEENS1_37radix_sort_block_sort_config_selectorIflEEZNS1_21radix_sort_block_sortIS4_Lb0EPfS8_N6thrust23THRUST_200600_302600_NS10device_ptrIlEESC_NS0_19identity_decomposerEEE10hipError_tT1_T2_T3_T4_jRjT5_jjP12ihipStream_tbEUlT_E_NS1_11comp_targetILNS1_3genE10ELNS1_11target_archE1201ELNS1_3gpuE5ELNS1_3repE0EEENS1_44radix_sort_block_sort_config_static_selectorELNS0_4arch9wavefront6targetE1EEEvSF_: ; @_ZN7rocprim17ROCPRIM_400000_NS6detail17trampoline_kernelINS0_13kernel_configILj256ELj4ELj4294967295EEENS1_37radix_sort_block_sort_config_selectorIflEEZNS1_21radix_sort_block_sortIS4_Lb0EPfS8_N6thrust23THRUST_200600_302600_NS10device_ptrIlEESC_NS0_19identity_decomposerEEE10hipError_tT1_T2_T3_T4_jRjT5_jjP12ihipStream_tbEUlT_E_NS1_11comp_targetILNS1_3genE10ELNS1_11target_archE1201ELNS1_3gpuE5ELNS1_3repE0EEENS1_44radix_sort_block_sort_config_static_selectorELNS0_4arch9wavefront6targetE1EEEvSF_
; %bb.0:
	.section	.rodata,"a",@progbits
	.p2align	6, 0x0
	.amdhsa_kernel _ZN7rocprim17ROCPRIM_400000_NS6detail17trampoline_kernelINS0_13kernel_configILj256ELj4ELj4294967295EEENS1_37radix_sort_block_sort_config_selectorIflEEZNS1_21radix_sort_block_sortIS4_Lb0EPfS8_N6thrust23THRUST_200600_302600_NS10device_ptrIlEESC_NS0_19identity_decomposerEEE10hipError_tT1_T2_T3_T4_jRjT5_jjP12ihipStream_tbEUlT_E_NS1_11comp_targetILNS1_3genE10ELNS1_11target_archE1201ELNS1_3gpuE5ELNS1_3repE0EEENS1_44radix_sort_block_sort_config_static_selectorELNS0_4arch9wavefront6targetE1EEEvSF_
		.amdhsa_group_segment_fixed_size 0
		.amdhsa_private_segment_fixed_size 0
		.amdhsa_kernarg_size 48
		.amdhsa_user_sgpr_count 6
		.amdhsa_user_sgpr_private_segment_buffer 1
		.amdhsa_user_sgpr_dispatch_ptr 0
		.amdhsa_user_sgpr_queue_ptr 0
		.amdhsa_user_sgpr_kernarg_segment_ptr 1
		.amdhsa_user_sgpr_dispatch_id 0
		.amdhsa_user_sgpr_flat_scratch_init 0
		.amdhsa_user_sgpr_private_segment_size 0
		.amdhsa_uses_dynamic_stack 0
		.amdhsa_system_sgpr_private_segment_wavefront_offset 0
		.amdhsa_system_sgpr_workgroup_id_x 1
		.amdhsa_system_sgpr_workgroup_id_y 0
		.amdhsa_system_sgpr_workgroup_id_z 0
		.amdhsa_system_sgpr_workgroup_info 0
		.amdhsa_system_vgpr_workitem_id 0
		.amdhsa_next_free_vgpr 1
		.amdhsa_next_free_sgpr 0
		.amdhsa_reserve_vcc 0
		.amdhsa_reserve_flat_scratch 0
		.amdhsa_float_round_mode_32 0
		.amdhsa_float_round_mode_16_64 0
		.amdhsa_float_denorm_mode_32 3
		.amdhsa_float_denorm_mode_16_64 3
		.amdhsa_dx10_clamp 1
		.amdhsa_ieee_mode 1
		.amdhsa_fp16_overflow 0
		.amdhsa_exception_fp_ieee_invalid_op 0
		.amdhsa_exception_fp_denorm_src 0
		.amdhsa_exception_fp_ieee_div_zero 0
		.amdhsa_exception_fp_ieee_overflow 0
		.amdhsa_exception_fp_ieee_underflow 0
		.amdhsa_exception_fp_ieee_inexact 0
		.amdhsa_exception_int_div_zero 0
	.end_amdhsa_kernel
	.section	.text._ZN7rocprim17ROCPRIM_400000_NS6detail17trampoline_kernelINS0_13kernel_configILj256ELj4ELj4294967295EEENS1_37radix_sort_block_sort_config_selectorIflEEZNS1_21radix_sort_block_sortIS4_Lb0EPfS8_N6thrust23THRUST_200600_302600_NS10device_ptrIlEESC_NS0_19identity_decomposerEEE10hipError_tT1_T2_T3_T4_jRjT5_jjP12ihipStream_tbEUlT_E_NS1_11comp_targetILNS1_3genE10ELNS1_11target_archE1201ELNS1_3gpuE5ELNS1_3repE0EEENS1_44radix_sort_block_sort_config_static_selectorELNS0_4arch9wavefront6targetE1EEEvSF_,"axG",@progbits,_ZN7rocprim17ROCPRIM_400000_NS6detail17trampoline_kernelINS0_13kernel_configILj256ELj4ELj4294967295EEENS1_37radix_sort_block_sort_config_selectorIflEEZNS1_21radix_sort_block_sortIS4_Lb0EPfS8_N6thrust23THRUST_200600_302600_NS10device_ptrIlEESC_NS0_19identity_decomposerEEE10hipError_tT1_T2_T3_T4_jRjT5_jjP12ihipStream_tbEUlT_E_NS1_11comp_targetILNS1_3genE10ELNS1_11target_archE1201ELNS1_3gpuE5ELNS1_3repE0EEENS1_44radix_sort_block_sort_config_static_selectorELNS0_4arch9wavefront6targetE1EEEvSF_,comdat
.Lfunc_end1747:
	.size	_ZN7rocprim17ROCPRIM_400000_NS6detail17trampoline_kernelINS0_13kernel_configILj256ELj4ELj4294967295EEENS1_37radix_sort_block_sort_config_selectorIflEEZNS1_21radix_sort_block_sortIS4_Lb0EPfS8_N6thrust23THRUST_200600_302600_NS10device_ptrIlEESC_NS0_19identity_decomposerEEE10hipError_tT1_T2_T3_T4_jRjT5_jjP12ihipStream_tbEUlT_E_NS1_11comp_targetILNS1_3genE10ELNS1_11target_archE1201ELNS1_3gpuE5ELNS1_3repE0EEENS1_44radix_sort_block_sort_config_static_selectorELNS0_4arch9wavefront6targetE1EEEvSF_, .Lfunc_end1747-_ZN7rocprim17ROCPRIM_400000_NS6detail17trampoline_kernelINS0_13kernel_configILj256ELj4ELj4294967295EEENS1_37radix_sort_block_sort_config_selectorIflEEZNS1_21radix_sort_block_sortIS4_Lb0EPfS8_N6thrust23THRUST_200600_302600_NS10device_ptrIlEESC_NS0_19identity_decomposerEEE10hipError_tT1_T2_T3_T4_jRjT5_jjP12ihipStream_tbEUlT_E_NS1_11comp_targetILNS1_3genE10ELNS1_11target_archE1201ELNS1_3gpuE5ELNS1_3repE0EEENS1_44radix_sort_block_sort_config_static_selectorELNS0_4arch9wavefront6targetE1EEEvSF_
                                        ; -- End function
	.set _ZN7rocprim17ROCPRIM_400000_NS6detail17trampoline_kernelINS0_13kernel_configILj256ELj4ELj4294967295EEENS1_37radix_sort_block_sort_config_selectorIflEEZNS1_21radix_sort_block_sortIS4_Lb0EPfS8_N6thrust23THRUST_200600_302600_NS10device_ptrIlEESC_NS0_19identity_decomposerEEE10hipError_tT1_T2_T3_T4_jRjT5_jjP12ihipStream_tbEUlT_E_NS1_11comp_targetILNS1_3genE10ELNS1_11target_archE1201ELNS1_3gpuE5ELNS1_3repE0EEENS1_44radix_sort_block_sort_config_static_selectorELNS0_4arch9wavefront6targetE1EEEvSF_.num_vgpr, 0
	.set _ZN7rocprim17ROCPRIM_400000_NS6detail17trampoline_kernelINS0_13kernel_configILj256ELj4ELj4294967295EEENS1_37radix_sort_block_sort_config_selectorIflEEZNS1_21radix_sort_block_sortIS4_Lb0EPfS8_N6thrust23THRUST_200600_302600_NS10device_ptrIlEESC_NS0_19identity_decomposerEEE10hipError_tT1_T2_T3_T4_jRjT5_jjP12ihipStream_tbEUlT_E_NS1_11comp_targetILNS1_3genE10ELNS1_11target_archE1201ELNS1_3gpuE5ELNS1_3repE0EEENS1_44radix_sort_block_sort_config_static_selectorELNS0_4arch9wavefront6targetE1EEEvSF_.num_agpr, 0
	.set _ZN7rocprim17ROCPRIM_400000_NS6detail17trampoline_kernelINS0_13kernel_configILj256ELj4ELj4294967295EEENS1_37radix_sort_block_sort_config_selectorIflEEZNS1_21radix_sort_block_sortIS4_Lb0EPfS8_N6thrust23THRUST_200600_302600_NS10device_ptrIlEESC_NS0_19identity_decomposerEEE10hipError_tT1_T2_T3_T4_jRjT5_jjP12ihipStream_tbEUlT_E_NS1_11comp_targetILNS1_3genE10ELNS1_11target_archE1201ELNS1_3gpuE5ELNS1_3repE0EEENS1_44radix_sort_block_sort_config_static_selectorELNS0_4arch9wavefront6targetE1EEEvSF_.numbered_sgpr, 0
	.set _ZN7rocprim17ROCPRIM_400000_NS6detail17trampoline_kernelINS0_13kernel_configILj256ELj4ELj4294967295EEENS1_37radix_sort_block_sort_config_selectorIflEEZNS1_21radix_sort_block_sortIS4_Lb0EPfS8_N6thrust23THRUST_200600_302600_NS10device_ptrIlEESC_NS0_19identity_decomposerEEE10hipError_tT1_T2_T3_T4_jRjT5_jjP12ihipStream_tbEUlT_E_NS1_11comp_targetILNS1_3genE10ELNS1_11target_archE1201ELNS1_3gpuE5ELNS1_3repE0EEENS1_44radix_sort_block_sort_config_static_selectorELNS0_4arch9wavefront6targetE1EEEvSF_.num_named_barrier, 0
	.set _ZN7rocprim17ROCPRIM_400000_NS6detail17trampoline_kernelINS0_13kernel_configILj256ELj4ELj4294967295EEENS1_37radix_sort_block_sort_config_selectorIflEEZNS1_21radix_sort_block_sortIS4_Lb0EPfS8_N6thrust23THRUST_200600_302600_NS10device_ptrIlEESC_NS0_19identity_decomposerEEE10hipError_tT1_T2_T3_T4_jRjT5_jjP12ihipStream_tbEUlT_E_NS1_11comp_targetILNS1_3genE10ELNS1_11target_archE1201ELNS1_3gpuE5ELNS1_3repE0EEENS1_44radix_sort_block_sort_config_static_selectorELNS0_4arch9wavefront6targetE1EEEvSF_.private_seg_size, 0
	.set _ZN7rocprim17ROCPRIM_400000_NS6detail17trampoline_kernelINS0_13kernel_configILj256ELj4ELj4294967295EEENS1_37radix_sort_block_sort_config_selectorIflEEZNS1_21radix_sort_block_sortIS4_Lb0EPfS8_N6thrust23THRUST_200600_302600_NS10device_ptrIlEESC_NS0_19identity_decomposerEEE10hipError_tT1_T2_T3_T4_jRjT5_jjP12ihipStream_tbEUlT_E_NS1_11comp_targetILNS1_3genE10ELNS1_11target_archE1201ELNS1_3gpuE5ELNS1_3repE0EEENS1_44radix_sort_block_sort_config_static_selectorELNS0_4arch9wavefront6targetE1EEEvSF_.uses_vcc, 0
	.set _ZN7rocprim17ROCPRIM_400000_NS6detail17trampoline_kernelINS0_13kernel_configILj256ELj4ELj4294967295EEENS1_37radix_sort_block_sort_config_selectorIflEEZNS1_21radix_sort_block_sortIS4_Lb0EPfS8_N6thrust23THRUST_200600_302600_NS10device_ptrIlEESC_NS0_19identity_decomposerEEE10hipError_tT1_T2_T3_T4_jRjT5_jjP12ihipStream_tbEUlT_E_NS1_11comp_targetILNS1_3genE10ELNS1_11target_archE1201ELNS1_3gpuE5ELNS1_3repE0EEENS1_44radix_sort_block_sort_config_static_selectorELNS0_4arch9wavefront6targetE1EEEvSF_.uses_flat_scratch, 0
	.set _ZN7rocprim17ROCPRIM_400000_NS6detail17trampoline_kernelINS0_13kernel_configILj256ELj4ELj4294967295EEENS1_37radix_sort_block_sort_config_selectorIflEEZNS1_21radix_sort_block_sortIS4_Lb0EPfS8_N6thrust23THRUST_200600_302600_NS10device_ptrIlEESC_NS0_19identity_decomposerEEE10hipError_tT1_T2_T3_T4_jRjT5_jjP12ihipStream_tbEUlT_E_NS1_11comp_targetILNS1_3genE10ELNS1_11target_archE1201ELNS1_3gpuE5ELNS1_3repE0EEENS1_44radix_sort_block_sort_config_static_selectorELNS0_4arch9wavefront6targetE1EEEvSF_.has_dyn_sized_stack, 0
	.set _ZN7rocprim17ROCPRIM_400000_NS6detail17trampoline_kernelINS0_13kernel_configILj256ELj4ELj4294967295EEENS1_37radix_sort_block_sort_config_selectorIflEEZNS1_21radix_sort_block_sortIS4_Lb0EPfS8_N6thrust23THRUST_200600_302600_NS10device_ptrIlEESC_NS0_19identity_decomposerEEE10hipError_tT1_T2_T3_T4_jRjT5_jjP12ihipStream_tbEUlT_E_NS1_11comp_targetILNS1_3genE10ELNS1_11target_archE1201ELNS1_3gpuE5ELNS1_3repE0EEENS1_44radix_sort_block_sort_config_static_selectorELNS0_4arch9wavefront6targetE1EEEvSF_.has_recursion, 0
	.set _ZN7rocprim17ROCPRIM_400000_NS6detail17trampoline_kernelINS0_13kernel_configILj256ELj4ELj4294967295EEENS1_37radix_sort_block_sort_config_selectorIflEEZNS1_21radix_sort_block_sortIS4_Lb0EPfS8_N6thrust23THRUST_200600_302600_NS10device_ptrIlEESC_NS0_19identity_decomposerEEE10hipError_tT1_T2_T3_T4_jRjT5_jjP12ihipStream_tbEUlT_E_NS1_11comp_targetILNS1_3genE10ELNS1_11target_archE1201ELNS1_3gpuE5ELNS1_3repE0EEENS1_44radix_sort_block_sort_config_static_selectorELNS0_4arch9wavefront6targetE1EEEvSF_.has_indirect_call, 0
	.section	.AMDGPU.csdata,"",@progbits
; Kernel info:
; codeLenInByte = 0
; TotalNumSgprs: 4
; NumVgprs: 0
; ScratchSize: 0
; MemoryBound: 0
; FloatMode: 240
; IeeeMode: 1
; LDSByteSize: 0 bytes/workgroup (compile time only)
; SGPRBlocks: 0
; VGPRBlocks: 0
; NumSGPRsForWavesPerEU: 4
; NumVGPRsForWavesPerEU: 1
; Occupancy: 10
; WaveLimiterHint : 0
; COMPUTE_PGM_RSRC2:SCRATCH_EN: 0
; COMPUTE_PGM_RSRC2:USER_SGPR: 6
; COMPUTE_PGM_RSRC2:TRAP_HANDLER: 0
; COMPUTE_PGM_RSRC2:TGID_X_EN: 1
; COMPUTE_PGM_RSRC2:TGID_Y_EN: 0
; COMPUTE_PGM_RSRC2:TGID_Z_EN: 0
; COMPUTE_PGM_RSRC2:TIDIG_COMP_CNT: 0
	.section	.text._ZN7rocprim17ROCPRIM_400000_NS6detail17trampoline_kernelINS0_13kernel_configILj256ELj4ELj4294967295EEENS1_37radix_sort_block_sort_config_selectorIflEEZNS1_21radix_sort_block_sortIS4_Lb0EPfS8_N6thrust23THRUST_200600_302600_NS10device_ptrIlEESC_NS0_19identity_decomposerEEE10hipError_tT1_T2_T3_T4_jRjT5_jjP12ihipStream_tbEUlT_E_NS1_11comp_targetILNS1_3genE10ELNS1_11target_archE1200ELNS1_3gpuE4ELNS1_3repE0EEENS1_44radix_sort_block_sort_config_static_selectorELNS0_4arch9wavefront6targetE1EEEvSF_,"axG",@progbits,_ZN7rocprim17ROCPRIM_400000_NS6detail17trampoline_kernelINS0_13kernel_configILj256ELj4ELj4294967295EEENS1_37radix_sort_block_sort_config_selectorIflEEZNS1_21radix_sort_block_sortIS4_Lb0EPfS8_N6thrust23THRUST_200600_302600_NS10device_ptrIlEESC_NS0_19identity_decomposerEEE10hipError_tT1_T2_T3_T4_jRjT5_jjP12ihipStream_tbEUlT_E_NS1_11comp_targetILNS1_3genE10ELNS1_11target_archE1200ELNS1_3gpuE4ELNS1_3repE0EEENS1_44radix_sort_block_sort_config_static_selectorELNS0_4arch9wavefront6targetE1EEEvSF_,comdat
	.protected	_ZN7rocprim17ROCPRIM_400000_NS6detail17trampoline_kernelINS0_13kernel_configILj256ELj4ELj4294967295EEENS1_37radix_sort_block_sort_config_selectorIflEEZNS1_21radix_sort_block_sortIS4_Lb0EPfS8_N6thrust23THRUST_200600_302600_NS10device_ptrIlEESC_NS0_19identity_decomposerEEE10hipError_tT1_T2_T3_T4_jRjT5_jjP12ihipStream_tbEUlT_E_NS1_11comp_targetILNS1_3genE10ELNS1_11target_archE1200ELNS1_3gpuE4ELNS1_3repE0EEENS1_44radix_sort_block_sort_config_static_selectorELNS0_4arch9wavefront6targetE1EEEvSF_ ; -- Begin function _ZN7rocprim17ROCPRIM_400000_NS6detail17trampoline_kernelINS0_13kernel_configILj256ELj4ELj4294967295EEENS1_37radix_sort_block_sort_config_selectorIflEEZNS1_21radix_sort_block_sortIS4_Lb0EPfS8_N6thrust23THRUST_200600_302600_NS10device_ptrIlEESC_NS0_19identity_decomposerEEE10hipError_tT1_T2_T3_T4_jRjT5_jjP12ihipStream_tbEUlT_E_NS1_11comp_targetILNS1_3genE10ELNS1_11target_archE1200ELNS1_3gpuE4ELNS1_3repE0EEENS1_44radix_sort_block_sort_config_static_selectorELNS0_4arch9wavefront6targetE1EEEvSF_
	.globl	_ZN7rocprim17ROCPRIM_400000_NS6detail17trampoline_kernelINS0_13kernel_configILj256ELj4ELj4294967295EEENS1_37radix_sort_block_sort_config_selectorIflEEZNS1_21radix_sort_block_sortIS4_Lb0EPfS8_N6thrust23THRUST_200600_302600_NS10device_ptrIlEESC_NS0_19identity_decomposerEEE10hipError_tT1_T2_T3_T4_jRjT5_jjP12ihipStream_tbEUlT_E_NS1_11comp_targetILNS1_3genE10ELNS1_11target_archE1200ELNS1_3gpuE4ELNS1_3repE0EEENS1_44radix_sort_block_sort_config_static_selectorELNS0_4arch9wavefront6targetE1EEEvSF_
	.p2align	8
	.type	_ZN7rocprim17ROCPRIM_400000_NS6detail17trampoline_kernelINS0_13kernel_configILj256ELj4ELj4294967295EEENS1_37radix_sort_block_sort_config_selectorIflEEZNS1_21radix_sort_block_sortIS4_Lb0EPfS8_N6thrust23THRUST_200600_302600_NS10device_ptrIlEESC_NS0_19identity_decomposerEEE10hipError_tT1_T2_T3_T4_jRjT5_jjP12ihipStream_tbEUlT_E_NS1_11comp_targetILNS1_3genE10ELNS1_11target_archE1200ELNS1_3gpuE4ELNS1_3repE0EEENS1_44radix_sort_block_sort_config_static_selectorELNS0_4arch9wavefront6targetE1EEEvSF_,@function
_ZN7rocprim17ROCPRIM_400000_NS6detail17trampoline_kernelINS0_13kernel_configILj256ELj4ELj4294967295EEENS1_37radix_sort_block_sort_config_selectorIflEEZNS1_21radix_sort_block_sortIS4_Lb0EPfS8_N6thrust23THRUST_200600_302600_NS10device_ptrIlEESC_NS0_19identity_decomposerEEE10hipError_tT1_T2_T3_T4_jRjT5_jjP12ihipStream_tbEUlT_E_NS1_11comp_targetILNS1_3genE10ELNS1_11target_archE1200ELNS1_3gpuE4ELNS1_3repE0EEENS1_44radix_sort_block_sort_config_static_selectorELNS0_4arch9wavefront6targetE1EEEvSF_: ; @_ZN7rocprim17ROCPRIM_400000_NS6detail17trampoline_kernelINS0_13kernel_configILj256ELj4ELj4294967295EEENS1_37radix_sort_block_sort_config_selectorIflEEZNS1_21radix_sort_block_sortIS4_Lb0EPfS8_N6thrust23THRUST_200600_302600_NS10device_ptrIlEESC_NS0_19identity_decomposerEEE10hipError_tT1_T2_T3_T4_jRjT5_jjP12ihipStream_tbEUlT_E_NS1_11comp_targetILNS1_3genE10ELNS1_11target_archE1200ELNS1_3gpuE4ELNS1_3repE0EEENS1_44radix_sort_block_sort_config_static_selectorELNS0_4arch9wavefront6targetE1EEEvSF_
; %bb.0:
	.section	.rodata,"a",@progbits
	.p2align	6, 0x0
	.amdhsa_kernel _ZN7rocprim17ROCPRIM_400000_NS6detail17trampoline_kernelINS0_13kernel_configILj256ELj4ELj4294967295EEENS1_37radix_sort_block_sort_config_selectorIflEEZNS1_21radix_sort_block_sortIS4_Lb0EPfS8_N6thrust23THRUST_200600_302600_NS10device_ptrIlEESC_NS0_19identity_decomposerEEE10hipError_tT1_T2_T3_T4_jRjT5_jjP12ihipStream_tbEUlT_E_NS1_11comp_targetILNS1_3genE10ELNS1_11target_archE1200ELNS1_3gpuE4ELNS1_3repE0EEENS1_44radix_sort_block_sort_config_static_selectorELNS0_4arch9wavefront6targetE1EEEvSF_
		.amdhsa_group_segment_fixed_size 0
		.amdhsa_private_segment_fixed_size 0
		.amdhsa_kernarg_size 48
		.amdhsa_user_sgpr_count 6
		.amdhsa_user_sgpr_private_segment_buffer 1
		.amdhsa_user_sgpr_dispatch_ptr 0
		.amdhsa_user_sgpr_queue_ptr 0
		.amdhsa_user_sgpr_kernarg_segment_ptr 1
		.amdhsa_user_sgpr_dispatch_id 0
		.amdhsa_user_sgpr_flat_scratch_init 0
		.amdhsa_user_sgpr_private_segment_size 0
		.amdhsa_uses_dynamic_stack 0
		.amdhsa_system_sgpr_private_segment_wavefront_offset 0
		.amdhsa_system_sgpr_workgroup_id_x 1
		.amdhsa_system_sgpr_workgroup_id_y 0
		.amdhsa_system_sgpr_workgroup_id_z 0
		.amdhsa_system_sgpr_workgroup_info 0
		.amdhsa_system_vgpr_workitem_id 0
		.amdhsa_next_free_vgpr 1
		.amdhsa_next_free_sgpr 0
		.amdhsa_reserve_vcc 0
		.amdhsa_reserve_flat_scratch 0
		.amdhsa_float_round_mode_32 0
		.amdhsa_float_round_mode_16_64 0
		.amdhsa_float_denorm_mode_32 3
		.amdhsa_float_denorm_mode_16_64 3
		.amdhsa_dx10_clamp 1
		.amdhsa_ieee_mode 1
		.amdhsa_fp16_overflow 0
		.amdhsa_exception_fp_ieee_invalid_op 0
		.amdhsa_exception_fp_denorm_src 0
		.amdhsa_exception_fp_ieee_div_zero 0
		.amdhsa_exception_fp_ieee_overflow 0
		.amdhsa_exception_fp_ieee_underflow 0
		.amdhsa_exception_fp_ieee_inexact 0
		.amdhsa_exception_int_div_zero 0
	.end_amdhsa_kernel
	.section	.text._ZN7rocprim17ROCPRIM_400000_NS6detail17trampoline_kernelINS0_13kernel_configILj256ELj4ELj4294967295EEENS1_37radix_sort_block_sort_config_selectorIflEEZNS1_21radix_sort_block_sortIS4_Lb0EPfS8_N6thrust23THRUST_200600_302600_NS10device_ptrIlEESC_NS0_19identity_decomposerEEE10hipError_tT1_T2_T3_T4_jRjT5_jjP12ihipStream_tbEUlT_E_NS1_11comp_targetILNS1_3genE10ELNS1_11target_archE1200ELNS1_3gpuE4ELNS1_3repE0EEENS1_44radix_sort_block_sort_config_static_selectorELNS0_4arch9wavefront6targetE1EEEvSF_,"axG",@progbits,_ZN7rocprim17ROCPRIM_400000_NS6detail17trampoline_kernelINS0_13kernel_configILj256ELj4ELj4294967295EEENS1_37radix_sort_block_sort_config_selectorIflEEZNS1_21radix_sort_block_sortIS4_Lb0EPfS8_N6thrust23THRUST_200600_302600_NS10device_ptrIlEESC_NS0_19identity_decomposerEEE10hipError_tT1_T2_T3_T4_jRjT5_jjP12ihipStream_tbEUlT_E_NS1_11comp_targetILNS1_3genE10ELNS1_11target_archE1200ELNS1_3gpuE4ELNS1_3repE0EEENS1_44radix_sort_block_sort_config_static_selectorELNS0_4arch9wavefront6targetE1EEEvSF_,comdat
.Lfunc_end1748:
	.size	_ZN7rocprim17ROCPRIM_400000_NS6detail17trampoline_kernelINS0_13kernel_configILj256ELj4ELj4294967295EEENS1_37radix_sort_block_sort_config_selectorIflEEZNS1_21radix_sort_block_sortIS4_Lb0EPfS8_N6thrust23THRUST_200600_302600_NS10device_ptrIlEESC_NS0_19identity_decomposerEEE10hipError_tT1_T2_T3_T4_jRjT5_jjP12ihipStream_tbEUlT_E_NS1_11comp_targetILNS1_3genE10ELNS1_11target_archE1200ELNS1_3gpuE4ELNS1_3repE0EEENS1_44radix_sort_block_sort_config_static_selectorELNS0_4arch9wavefront6targetE1EEEvSF_, .Lfunc_end1748-_ZN7rocprim17ROCPRIM_400000_NS6detail17trampoline_kernelINS0_13kernel_configILj256ELj4ELj4294967295EEENS1_37radix_sort_block_sort_config_selectorIflEEZNS1_21radix_sort_block_sortIS4_Lb0EPfS8_N6thrust23THRUST_200600_302600_NS10device_ptrIlEESC_NS0_19identity_decomposerEEE10hipError_tT1_T2_T3_T4_jRjT5_jjP12ihipStream_tbEUlT_E_NS1_11comp_targetILNS1_3genE10ELNS1_11target_archE1200ELNS1_3gpuE4ELNS1_3repE0EEENS1_44radix_sort_block_sort_config_static_selectorELNS0_4arch9wavefront6targetE1EEEvSF_
                                        ; -- End function
	.set _ZN7rocprim17ROCPRIM_400000_NS6detail17trampoline_kernelINS0_13kernel_configILj256ELj4ELj4294967295EEENS1_37radix_sort_block_sort_config_selectorIflEEZNS1_21radix_sort_block_sortIS4_Lb0EPfS8_N6thrust23THRUST_200600_302600_NS10device_ptrIlEESC_NS0_19identity_decomposerEEE10hipError_tT1_T2_T3_T4_jRjT5_jjP12ihipStream_tbEUlT_E_NS1_11comp_targetILNS1_3genE10ELNS1_11target_archE1200ELNS1_3gpuE4ELNS1_3repE0EEENS1_44radix_sort_block_sort_config_static_selectorELNS0_4arch9wavefront6targetE1EEEvSF_.num_vgpr, 0
	.set _ZN7rocprim17ROCPRIM_400000_NS6detail17trampoline_kernelINS0_13kernel_configILj256ELj4ELj4294967295EEENS1_37radix_sort_block_sort_config_selectorIflEEZNS1_21radix_sort_block_sortIS4_Lb0EPfS8_N6thrust23THRUST_200600_302600_NS10device_ptrIlEESC_NS0_19identity_decomposerEEE10hipError_tT1_T2_T3_T4_jRjT5_jjP12ihipStream_tbEUlT_E_NS1_11comp_targetILNS1_3genE10ELNS1_11target_archE1200ELNS1_3gpuE4ELNS1_3repE0EEENS1_44radix_sort_block_sort_config_static_selectorELNS0_4arch9wavefront6targetE1EEEvSF_.num_agpr, 0
	.set _ZN7rocprim17ROCPRIM_400000_NS6detail17trampoline_kernelINS0_13kernel_configILj256ELj4ELj4294967295EEENS1_37radix_sort_block_sort_config_selectorIflEEZNS1_21radix_sort_block_sortIS4_Lb0EPfS8_N6thrust23THRUST_200600_302600_NS10device_ptrIlEESC_NS0_19identity_decomposerEEE10hipError_tT1_T2_T3_T4_jRjT5_jjP12ihipStream_tbEUlT_E_NS1_11comp_targetILNS1_3genE10ELNS1_11target_archE1200ELNS1_3gpuE4ELNS1_3repE0EEENS1_44radix_sort_block_sort_config_static_selectorELNS0_4arch9wavefront6targetE1EEEvSF_.numbered_sgpr, 0
	.set _ZN7rocprim17ROCPRIM_400000_NS6detail17trampoline_kernelINS0_13kernel_configILj256ELj4ELj4294967295EEENS1_37radix_sort_block_sort_config_selectorIflEEZNS1_21radix_sort_block_sortIS4_Lb0EPfS8_N6thrust23THRUST_200600_302600_NS10device_ptrIlEESC_NS0_19identity_decomposerEEE10hipError_tT1_T2_T3_T4_jRjT5_jjP12ihipStream_tbEUlT_E_NS1_11comp_targetILNS1_3genE10ELNS1_11target_archE1200ELNS1_3gpuE4ELNS1_3repE0EEENS1_44radix_sort_block_sort_config_static_selectorELNS0_4arch9wavefront6targetE1EEEvSF_.num_named_barrier, 0
	.set _ZN7rocprim17ROCPRIM_400000_NS6detail17trampoline_kernelINS0_13kernel_configILj256ELj4ELj4294967295EEENS1_37radix_sort_block_sort_config_selectorIflEEZNS1_21radix_sort_block_sortIS4_Lb0EPfS8_N6thrust23THRUST_200600_302600_NS10device_ptrIlEESC_NS0_19identity_decomposerEEE10hipError_tT1_T2_T3_T4_jRjT5_jjP12ihipStream_tbEUlT_E_NS1_11comp_targetILNS1_3genE10ELNS1_11target_archE1200ELNS1_3gpuE4ELNS1_3repE0EEENS1_44radix_sort_block_sort_config_static_selectorELNS0_4arch9wavefront6targetE1EEEvSF_.private_seg_size, 0
	.set _ZN7rocprim17ROCPRIM_400000_NS6detail17trampoline_kernelINS0_13kernel_configILj256ELj4ELj4294967295EEENS1_37radix_sort_block_sort_config_selectorIflEEZNS1_21radix_sort_block_sortIS4_Lb0EPfS8_N6thrust23THRUST_200600_302600_NS10device_ptrIlEESC_NS0_19identity_decomposerEEE10hipError_tT1_T2_T3_T4_jRjT5_jjP12ihipStream_tbEUlT_E_NS1_11comp_targetILNS1_3genE10ELNS1_11target_archE1200ELNS1_3gpuE4ELNS1_3repE0EEENS1_44radix_sort_block_sort_config_static_selectorELNS0_4arch9wavefront6targetE1EEEvSF_.uses_vcc, 0
	.set _ZN7rocprim17ROCPRIM_400000_NS6detail17trampoline_kernelINS0_13kernel_configILj256ELj4ELj4294967295EEENS1_37radix_sort_block_sort_config_selectorIflEEZNS1_21radix_sort_block_sortIS4_Lb0EPfS8_N6thrust23THRUST_200600_302600_NS10device_ptrIlEESC_NS0_19identity_decomposerEEE10hipError_tT1_T2_T3_T4_jRjT5_jjP12ihipStream_tbEUlT_E_NS1_11comp_targetILNS1_3genE10ELNS1_11target_archE1200ELNS1_3gpuE4ELNS1_3repE0EEENS1_44radix_sort_block_sort_config_static_selectorELNS0_4arch9wavefront6targetE1EEEvSF_.uses_flat_scratch, 0
	.set _ZN7rocprim17ROCPRIM_400000_NS6detail17trampoline_kernelINS0_13kernel_configILj256ELj4ELj4294967295EEENS1_37radix_sort_block_sort_config_selectorIflEEZNS1_21radix_sort_block_sortIS4_Lb0EPfS8_N6thrust23THRUST_200600_302600_NS10device_ptrIlEESC_NS0_19identity_decomposerEEE10hipError_tT1_T2_T3_T4_jRjT5_jjP12ihipStream_tbEUlT_E_NS1_11comp_targetILNS1_3genE10ELNS1_11target_archE1200ELNS1_3gpuE4ELNS1_3repE0EEENS1_44radix_sort_block_sort_config_static_selectorELNS0_4arch9wavefront6targetE1EEEvSF_.has_dyn_sized_stack, 0
	.set _ZN7rocprim17ROCPRIM_400000_NS6detail17trampoline_kernelINS0_13kernel_configILj256ELj4ELj4294967295EEENS1_37radix_sort_block_sort_config_selectorIflEEZNS1_21radix_sort_block_sortIS4_Lb0EPfS8_N6thrust23THRUST_200600_302600_NS10device_ptrIlEESC_NS0_19identity_decomposerEEE10hipError_tT1_T2_T3_T4_jRjT5_jjP12ihipStream_tbEUlT_E_NS1_11comp_targetILNS1_3genE10ELNS1_11target_archE1200ELNS1_3gpuE4ELNS1_3repE0EEENS1_44radix_sort_block_sort_config_static_selectorELNS0_4arch9wavefront6targetE1EEEvSF_.has_recursion, 0
	.set _ZN7rocprim17ROCPRIM_400000_NS6detail17trampoline_kernelINS0_13kernel_configILj256ELj4ELj4294967295EEENS1_37radix_sort_block_sort_config_selectorIflEEZNS1_21radix_sort_block_sortIS4_Lb0EPfS8_N6thrust23THRUST_200600_302600_NS10device_ptrIlEESC_NS0_19identity_decomposerEEE10hipError_tT1_T2_T3_T4_jRjT5_jjP12ihipStream_tbEUlT_E_NS1_11comp_targetILNS1_3genE10ELNS1_11target_archE1200ELNS1_3gpuE4ELNS1_3repE0EEENS1_44radix_sort_block_sort_config_static_selectorELNS0_4arch9wavefront6targetE1EEEvSF_.has_indirect_call, 0
	.section	.AMDGPU.csdata,"",@progbits
; Kernel info:
; codeLenInByte = 0
; TotalNumSgprs: 4
; NumVgprs: 0
; ScratchSize: 0
; MemoryBound: 0
; FloatMode: 240
; IeeeMode: 1
; LDSByteSize: 0 bytes/workgroup (compile time only)
; SGPRBlocks: 0
; VGPRBlocks: 0
; NumSGPRsForWavesPerEU: 4
; NumVGPRsForWavesPerEU: 1
; Occupancy: 10
; WaveLimiterHint : 0
; COMPUTE_PGM_RSRC2:SCRATCH_EN: 0
; COMPUTE_PGM_RSRC2:USER_SGPR: 6
; COMPUTE_PGM_RSRC2:TRAP_HANDLER: 0
; COMPUTE_PGM_RSRC2:TGID_X_EN: 1
; COMPUTE_PGM_RSRC2:TGID_Y_EN: 0
; COMPUTE_PGM_RSRC2:TGID_Z_EN: 0
; COMPUTE_PGM_RSRC2:TIDIG_COMP_CNT: 0
	.section	.text._ZN7rocprim17ROCPRIM_400000_NS6detail17trampoline_kernelINS0_13kernel_configILj256ELj4ELj4294967295EEENS1_37radix_sort_block_sort_config_selectorIflEEZNS1_21radix_sort_block_sortIS4_Lb0EPfS8_N6thrust23THRUST_200600_302600_NS10device_ptrIlEESC_NS0_19identity_decomposerEEE10hipError_tT1_T2_T3_T4_jRjT5_jjP12ihipStream_tbEUlT_E_NS1_11comp_targetILNS1_3genE9ELNS1_11target_archE1100ELNS1_3gpuE3ELNS1_3repE0EEENS1_44radix_sort_block_sort_config_static_selectorELNS0_4arch9wavefront6targetE1EEEvSF_,"axG",@progbits,_ZN7rocprim17ROCPRIM_400000_NS6detail17trampoline_kernelINS0_13kernel_configILj256ELj4ELj4294967295EEENS1_37radix_sort_block_sort_config_selectorIflEEZNS1_21radix_sort_block_sortIS4_Lb0EPfS8_N6thrust23THRUST_200600_302600_NS10device_ptrIlEESC_NS0_19identity_decomposerEEE10hipError_tT1_T2_T3_T4_jRjT5_jjP12ihipStream_tbEUlT_E_NS1_11comp_targetILNS1_3genE9ELNS1_11target_archE1100ELNS1_3gpuE3ELNS1_3repE0EEENS1_44radix_sort_block_sort_config_static_selectorELNS0_4arch9wavefront6targetE1EEEvSF_,comdat
	.protected	_ZN7rocprim17ROCPRIM_400000_NS6detail17trampoline_kernelINS0_13kernel_configILj256ELj4ELj4294967295EEENS1_37radix_sort_block_sort_config_selectorIflEEZNS1_21radix_sort_block_sortIS4_Lb0EPfS8_N6thrust23THRUST_200600_302600_NS10device_ptrIlEESC_NS0_19identity_decomposerEEE10hipError_tT1_T2_T3_T4_jRjT5_jjP12ihipStream_tbEUlT_E_NS1_11comp_targetILNS1_3genE9ELNS1_11target_archE1100ELNS1_3gpuE3ELNS1_3repE0EEENS1_44radix_sort_block_sort_config_static_selectorELNS0_4arch9wavefront6targetE1EEEvSF_ ; -- Begin function _ZN7rocprim17ROCPRIM_400000_NS6detail17trampoline_kernelINS0_13kernel_configILj256ELj4ELj4294967295EEENS1_37radix_sort_block_sort_config_selectorIflEEZNS1_21radix_sort_block_sortIS4_Lb0EPfS8_N6thrust23THRUST_200600_302600_NS10device_ptrIlEESC_NS0_19identity_decomposerEEE10hipError_tT1_T2_T3_T4_jRjT5_jjP12ihipStream_tbEUlT_E_NS1_11comp_targetILNS1_3genE9ELNS1_11target_archE1100ELNS1_3gpuE3ELNS1_3repE0EEENS1_44radix_sort_block_sort_config_static_selectorELNS0_4arch9wavefront6targetE1EEEvSF_
	.globl	_ZN7rocprim17ROCPRIM_400000_NS6detail17trampoline_kernelINS0_13kernel_configILj256ELj4ELj4294967295EEENS1_37radix_sort_block_sort_config_selectorIflEEZNS1_21radix_sort_block_sortIS4_Lb0EPfS8_N6thrust23THRUST_200600_302600_NS10device_ptrIlEESC_NS0_19identity_decomposerEEE10hipError_tT1_T2_T3_T4_jRjT5_jjP12ihipStream_tbEUlT_E_NS1_11comp_targetILNS1_3genE9ELNS1_11target_archE1100ELNS1_3gpuE3ELNS1_3repE0EEENS1_44radix_sort_block_sort_config_static_selectorELNS0_4arch9wavefront6targetE1EEEvSF_
	.p2align	8
	.type	_ZN7rocprim17ROCPRIM_400000_NS6detail17trampoline_kernelINS0_13kernel_configILj256ELj4ELj4294967295EEENS1_37radix_sort_block_sort_config_selectorIflEEZNS1_21radix_sort_block_sortIS4_Lb0EPfS8_N6thrust23THRUST_200600_302600_NS10device_ptrIlEESC_NS0_19identity_decomposerEEE10hipError_tT1_T2_T3_T4_jRjT5_jjP12ihipStream_tbEUlT_E_NS1_11comp_targetILNS1_3genE9ELNS1_11target_archE1100ELNS1_3gpuE3ELNS1_3repE0EEENS1_44radix_sort_block_sort_config_static_selectorELNS0_4arch9wavefront6targetE1EEEvSF_,@function
_ZN7rocprim17ROCPRIM_400000_NS6detail17trampoline_kernelINS0_13kernel_configILj256ELj4ELj4294967295EEENS1_37radix_sort_block_sort_config_selectorIflEEZNS1_21radix_sort_block_sortIS4_Lb0EPfS8_N6thrust23THRUST_200600_302600_NS10device_ptrIlEESC_NS0_19identity_decomposerEEE10hipError_tT1_T2_T3_T4_jRjT5_jjP12ihipStream_tbEUlT_E_NS1_11comp_targetILNS1_3genE9ELNS1_11target_archE1100ELNS1_3gpuE3ELNS1_3repE0EEENS1_44radix_sort_block_sort_config_static_selectorELNS0_4arch9wavefront6targetE1EEEvSF_: ; @_ZN7rocprim17ROCPRIM_400000_NS6detail17trampoline_kernelINS0_13kernel_configILj256ELj4ELj4294967295EEENS1_37radix_sort_block_sort_config_selectorIflEEZNS1_21radix_sort_block_sortIS4_Lb0EPfS8_N6thrust23THRUST_200600_302600_NS10device_ptrIlEESC_NS0_19identity_decomposerEEE10hipError_tT1_T2_T3_T4_jRjT5_jjP12ihipStream_tbEUlT_E_NS1_11comp_targetILNS1_3genE9ELNS1_11target_archE1100ELNS1_3gpuE3ELNS1_3repE0EEENS1_44radix_sort_block_sort_config_static_selectorELNS0_4arch9wavefront6targetE1EEEvSF_
; %bb.0:
	.section	.rodata,"a",@progbits
	.p2align	6, 0x0
	.amdhsa_kernel _ZN7rocprim17ROCPRIM_400000_NS6detail17trampoline_kernelINS0_13kernel_configILj256ELj4ELj4294967295EEENS1_37radix_sort_block_sort_config_selectorIflEEZNS1_21radix_sort_block_sortIS4_Lb0EPfS8_N6thrust23THRUST_200600_302600_NS10device_ptrIlEESC_NS0_19identity_decomposerEEE10hipError_tT1_T2_T3_T4_jRjT5_jjP12ihipStream_tbEUlT_E_NS1_11comp_targetILNS1_3genE9ELNS1_11target_archE1100ELNS1_3gpuE3ELNS1_3repE0EEENS1_44radix_sort_block_sort_config_static_selectorELNS0_4arch9wavefront6targetE1EEEvSF_
		.amdhsa_group_segment_fixed_size 0
		.amdhsa_private_segment_fixed_size 0
		.amdhsa_kernarg_size 48
		.amdhsa_user_sgpr_count 6
		.amdhsa_user_sgpr_private_segment_buffer 1
		.amdhsa_user_sgpr_dispatch_ptr 0
		.amdhsa_user_sgpr_queue_ptr 0
		.amdhsa_user_sgpr_kernarg_segment_ptr 1
		.amdhsa_user_sgpr_dispatch_id 0
		.amdhsa_user_sgpr_flat_scratch_init 0
		.amdhsa_user_sgpr_private_segment_size 0
		.amdhsa_uses_dynamic_stack 0
		.amdhsa_system_sgpr_private_segment_wavefront_offset 0
		.amdhsa_system_sgpr_workgroup_id_x 1
		.amdhsa_system_sgpr_workgroup_id_y 0
		.amdhsa_system_sgpr_workgroup_id_z 0
		.amdhsa_system_sgpr_workgroup_info 0
		.amdhsa_system_vgpr_workitem_id 0
		.amdhsa_next_free_vgpr 1
		.amdhsa_next_free_sgpr 0
		.amdhsa_reserve_vcc 0
		.amdhsa_reserve_flat_scratch 0
		.amdhsa_float_round_mode_32 0
		.amdhsa_float_round_mode_16_64 0
		.amdhsa_float_denorm_mode_32 3
		.amdhsa_float_denorm_mode_16_64 3
		.amdhsa_dx10_clamp 1
		.amdhsa_ieee_mode 1
		.amdhsa_fp16_overflow 0
		.amdhsa_exception_fp_ieee_invalid_op 0
		.amdhsa_exception_fp_denorm_src 0
		.amdhsa_exception_fp_ieee_div_zero 0
		.amdhsa_exception_fp_ieee_overflow 0
		.amdhsa_exception_fp_ieee_underflow 0
		.amdhsa_exception_fp_ieee_inexact 0
		.amdhsa_exception_int_div_zero 0
	.end_amdhsa_kernel
	.section	.text._ZN7rocprim17ROCPRIM_400000_NS6detail17trampoline_kernelINS0_13kernel_configILj256ELj4ELj4294967295EEENS1_37radix_sort_block_sort_config_selectorIflEEZNS1_21radix_sort_block_sortIS4_Lb0EPfS8_N6thrust23THRUST_200600_302600_NS10device_ptrIlEESC_NS0_19identity_decomposerEEE10hipError_tT1_T2_T3_T4_jRjT5_jjP12ihipStream_tbEUlT_E_NS1_11comp_targetILNS1_3genE9ELNS1_11target_archE1100ELNS1_3gpuE3ELNS1_3repE0EEENS1_44radix_sort_block_sort_config_static_selectorELNS0_4arch9wavefront6targetE1EEEvSF_,"axG",@progbits,_ZN7rocprim17ROCPRIM_400000_NS6detail17trampoline_kernelINS0_13kernel_configILj256ELj4ELj4294967295EEENS1_37radix_sort_block_sort_config_selectorIflEEZNS1_21radix_sort_block_sortIS4_Lb0EPfS8_N6thrust23THRUST_200600_302600_NS10device_ptrIlEESC_NS0_19identity_decomposerEEE10hipError_tT1_T2_T3_T4_jRjT5_jjP12ihipStream_tbEUlT_E_NS1_11comp_targetILNS1_3genE9ELNS1_11target_archE1100ELNS1_3gpuE3ELNS1_3repE0EEENS1_44radix_sort_block_sort_config_static_selectorELNS0_4arch9wavefront6targetE1EEEvSF_,comdat
.Lfunc_end1749:
	.size	_ZN7rocprim17ROCPRIM_400000_NS6detail17trampoline_kernelINS0_13kernel_configILj256ELj4ELj4294967295EEENS1_37radix_sort_block_sort_config_selectorIflEEZNS1_21radix_sort_block_sortIS4_Lb0EPfS8_N6thrust23THRUST_200600_302600_NS10device_ptrIlEESC_NS0_19identity_decomposerEEE10hipError_tT1_T2_T3_T4_jRjT5_jjP12ihipStream_tbEUlT_E_NS1_11comp_targetILNS1_3genE9ELNS1_11target_archE1100ELNS1_3gpuE3ELNS1_3repE0EEENS1_44radix_sort_block_sort_config_static_selectorELNS0_4arch9wavefront6targetE1EEEvSF_, .Lfunc_end1749-_ZN7rocprim17ROCPRIM_400000_NS6detail17trampoline_kernelINS0_13kernel_configILj256ELj4ELj4294967295EEENS1_37radix_sort_block_sort_config_selectorIflEEZNS1_21radix_sort_block_sortIS4_Lb0EPfS8_N6thrust23THRUST_200600_302600_NS10device_ptrIlEESC_NS0_19identity_decomposerEEE10hipError_tT1_T2_T3_T4_jRjT5_jjP12ihipStream_tbEUlT_E_NS1_11comp_targetILNS1_3genE9ELNS1_11target_archE1100ELNS1_3gpuE3ELNS1_3repE0EEENS1_44radix_sort_block_sort_config_static_selectorELNS0_4arch9wavefront6targetE1EEEvSF_
                                        ; -- End function
	.set _ZN7rocprim17ROCPRIM_400000_NS6detail17trampoline_kernelINS0_13kernel_configILj256ELj4ELj4294967295EEENS1_37radix_sort_block_sort_config_selectorIflEEZNS1_21radix_sort_block_sortIS4_Lb0EPfS8_N6thrust23THRUST_200600_302600_NS10device_ptrIlEESC_NS0_19identity_decomposerEEE10hipError_tT1_T2_T3_T4_jRjT5_jjP12ihipStream_tbEUlT_E_NS1_11comp_targetILNS1_3genE9ELNS1_11target_archE1100ELNS1_3gpuE3ELNS1_3repE0EEENS1_44radix_sort_block_sort_config_static_selectorELNS0_4arch9wavefront6targetE1EEEvSF_.num_vgpr, 0
	.set _ZN7rocprim17ROCPRIM_400000_NS6detail17trampoline_kernelINS0_13kernel_configILj256ELj4ELj4294967295EEENS1_37radix_sort_block_sort_config_selectorIflEEZNS1_21radix_sort_block_sortIS4_Lb0EPfS8_N6thrust23THRUST_200600_302600_NS10device_ptrIlEESC_NS0_19identity_decomposerEEE10hipError_tT1_T2_T3_T4_jRjT5_jjP12ihipStream_tbEUlT_E_NS1_11comp_targetILNS1_3genE9ELNS1_11target_archE1100ELNS1_3gpuE3ELNS1_3repE0EEENS1_44radix_sort_block_sort_config_static_selectorELNS0_4arch9wavefront6targetE1EEEvSF_.num_agpr, 0
	.set _ZN7rocprim17ROCPRIM_400000_NS6detail17trampoline_kernelINS0_13kernel_configILj256ELj4ELj4294967295EEENS1_37radix_sort_block_sort_config_selectorIflEEZNS1_21radix_sort_block_sortIS4_Lb0EPfS8_N6thrust23THRUST_200600_302600_NS10device_ptrIlEESC_NS0_19identity_decomposerEEE10hipError_tT1_T2_T3_T4_jRjT5_jjP12ihipStream_tbEUlT_E_NS1_11comp_targetILNS1_3genE9ELNS1_11target_archE1100ELNS1_3gpuE3ELNS1_3repE0EEENS1_44radix_sort_block_sort_config_static_selectorELNS0_4arch9wavefront6targetE1EEEvSF_.numbered_sgpr, 0
	.set _ZN7rocprim17ROCPRIM_400000_NS6detail17trampoline_kernelINS0_13kernel_configILj256ELj4ELj4294967295EEENS1_37radix_sort_block_sort_config_selectorIflEEZNS1_21radix_sort_block_sortIS4_Lb0EPfS8_N6thrust23THRUST_200600_302600_NS10device_ptrIlEESC_NS0_19identity_decomposerEEE10hipError_tT1_T2_T3_T4_jRjT5_jjP12ihipStream_tbEUlT_E_NS1_11comp_targetILNS1_3genE9ELNS1_11target_archE1100ELNS1_3gpuE3ELNS1_3repE0EEENS1_44radix_sort_block_sort_config_static_selectorELNS0_4arch9wavefront6targetE1EEEvSF_.num_named_barrier, 0
	.set _ZN7rocprim17ROCPRIM_400000_NS6detail17trampoline_kernelINS0_13kernel_configILj256ELj4ELj4294967295EEENS1_37radix_sort_block_sort_config_selectorIflEEZNS1_21radix_sort_block_sortIS4_Lb0EPfS8_N6thrust23THRUST_200600_302600_NS10device_ptrIlEESC_NS0_19identity_decomposerEEE10hipError_tT1_T2_T3_T4_jRjT5_jjP12ihipStream_tbEUlT_E_NS1_11comp_targetILNS1_3genE9ELNS1_11target_archE1100ELNS1_3gpuE3ELNS1_3repE0EEENS1_44radix_sort_block_sort_config_static_selectorELNS0_4arch9wavefront6targetE1EEEvSF_.private_seg_size, 0
	.set _ZN7rocprim17ROCPRIM_400000_NS6detail17trampoline_kernelINS0_13kernel_configILj256ELj4ELj4294967295EEENS1_37radix_sort_block_sort_config_selectorIflEEZNS1_21radix_sort_block_sortIS4_Lb0EPfS8_N6thrust23THRUST_200600_302600_NS10device_ptrIlEESC_NS0_19identity_decomposerEEE10hipError_tT1_T2_T3_T4_jRjT5_jjP12ihipStream_tbEUlT_E_NS1_11comp_targetILNS1_3genE9ELNS1_11target_archE1100ELNS1_3gpuE3ELNS1_3repE0EEENS1_44radix_sort_block_sort_config_static_selectorELNS0_4arch9wavefront6targetE1EEEvSF_.uses_vcc, 0
	.set _ZN7rocprim17ROCPRIM_400000_NS6detail17trampoline_kernelINS0_13kernel_configILj256ELj4ELj4294967295EEENS1_37radix_sort_block_sort_config_selectorIflEEZNS1_21radix_sort_block_sortIS4_Lb0EPfS8_N6thrust23THRUST_200600_302600_NS10device_ptrIlEESC_NS0_19identity_decomposerEEE10hipError_tT1_T2_T3_T4_jRjT5_jjP12ihipStream_tbEUlT_E_NS1_11comp_targetILNS1_3genE9ELNS1_11target_archE1100ELNS1_3gpuE3ELNS1_3repE0EEENS1_44radix_sort_block_sort_config_static_selectorELNS0_4arch9wavefront6targetE1EEEvSF_.uses_flat_scratch, 0
	.set _ZN7rocprim17ROCPRIM_400000_NS6detail17trampoline_kernelINS0_13kernel_configILj256ELj4ELj4294967295EEENS1_37radix_sort_block_sort_config_selectorIflEEZNS1_21radix_sort_block_sortIS4_Lb0EPfS8_N6thrust23THRUST_200600_302600_NS10device_ptrIlEESC_NS0_19identity_decomposerEEE10hipError_tT1_T2_T3_T4_jRjT5_jjP12ihipStream_tbEUlT_E_NS1_11comp_targetILNS1_3genE9ELNS1_11target_archE1100ELNS1_3gpuE3ELNS1_3repE0EEENS1_44radix_sort_block_sort_config_static_selectorELNS0_4arch9wavefront6targetE1EEEvSF_.has_dyn_sized_stack, 0
	.set _ZN7rocprim17ROCPRIM_400000_NS6detail17trampoline_kernelINS0_13kernel_configILj256ELj4ELj4294967295EEENS1_37radix_sort_block_sort_config_selectorIflEEZNS1_21radix_sort_block_sortIS4_Lb0EPfS8_N6thrust23THRUST_200600_302600_NS10device_ptrIlEESC_NS0_19identity_decomposerEEE10hipError_tT1_T2_T3_T4_jRjT5_jjP12ihipStream_tbEUlT_E_NS1_11comp_targetILNS1_3genE9ELNS1_11target_archE1100ELNS1_3gpuE3ELNS1_3repE0EEENS1_44radix_sort_block_sort_config_static_selectorELNS0_4arch9wavefront6targetE1EEEvSF_.has_recursion, 0
	.set _ZN7rocprim17ROCPRIM_400000_NS6detail17trampoline_kernelINS0_13kernel_configILj256ELj4ELj4294967295EEENS1_37radix_sort_block_sort_config_selectorIflEEZNS1_21radix_sort_block_sortIS4_Lb0EPfS8_N6thrust23THRUST_200600_302600_NS10device_ptrIlEESC_NS0_19identity_decomposerEEE10hipError_tT1_T2_T3_T4_jRjT5_jjP12ihipStream_tbEUlT_E_NS1_11comp_targetILNS1_3genE9ELNS1_11target_archE1100ELNS1_3gpuE3ELNS1_3repE0EEENS1_44radix_sort_block_sort_config_static_selectorELNS0_4arch9wavefront6targetE1EEEvSF_.has_indirect_call, 0
	.section	.AMDGPU.csdata,"",@progbits
; Kernel info:
; codeLenInByte = 0
; TotalNumSgprs: 4
; NumVgprs: 0
; ScratchSize: 0
; MemoryBound: 0
; FloatMode: 240
; IeeeMode: 1
; LDSByteSize: 0 bytes/workgroup (compile time only)
; SGPRBlocks: 0
; VGPRBlocks: 0
; NumSGPRsForWavesPerEU: 4
; NumVGPRsForWavesPerEU: 1
; Occupancy: 10
; WaveLimiterHint : 0
; COMPUTE_PGM_RSRC2:SCRATCH_EN: 0
; COMPUTE_PGM_RSRC2:USER_SGPR: 6
; COMPUTE_PGM_RSRC2:TRAP_HANDLER: 0
; COMPUTE_PGM_RSRC2:TGID_X_EN: 1
; COMPUTE_PGM_RSRC2:TGID_Y_EN: 0
; COMPUTE_PGM_RSRC2:TGID_Z_EN: 0
; COMPUTE_PGM_RSRC2:TIDIG_COMP_CNT: 0
	.section	.text._ZN7rocprim17ROCPRIM_400000_NS6detail17trampoline_kernelINS0_13kernel_configILj256ELj4ELj4294967295EEENS1_37radix_sort_block_sort_config_selectorIflEEZNS1_21radix_sort_block_sortIS4_Lb0EPfS8_N6thrust23THRUST_200600_302600_NS10device_ptrIlEESC_NS0_19identity_decomposerEEE10hipError_tT1_T2_T3_T4_jRjT5_jjP12ihipStream_tbEUlT_E_NS1_11comp_targetILNS1_3genE8ELNS1_11target_archE1030ELNS1_3gpuE2ELNS1_3repE0EEENS1_44radix_sort_block_sort_config_static_selectorELNS0_4arch9wavefront6targetE1EEEvSF_,"axG",@progbits,_ZN7rocprim17ROCPRIM_400000_NS6detail17trampoline_kernelINS0_13kernel_configILj256ELj4ELj4294967295EEENS1_37radix_sort_block_sort_config_selectorIflEEZNS1_21radix_sort_block_sortIS4_Lb0EPfS8_N6thrust23THRUST_200600_302600_NS10device_ptrIlEESC_NS0_19identity_decomposerEEE10hipError_tT1_T2_T3_T4_jRjT5_jjP12ihipStream_tbEUlT_E_NS1_11comp_targetILNS1_3genE8ELNS1_11target_archE1030ELNS1_3gpuE2ELNS1_3repE0EEENS1_44radix_sort_block_sort_config_static_selectorELNS0_4arch9wavefront6targetE1EEEvSF_,comdat
	.protected	_ZN7rocprim17ROCPRIM_400000_NS6detail17trampoline_kernelINS0_13kernel_configILj256ELj4ELj4294967295EEENS1_37radix_sort_block_sort_config_selectorIflEEZNS1_21radix_sort_block_sortIS4_Lb0EPfS8_N6thrust23THRUST_200600_302600_NS10device_ptrIlEESC_NS0_19identity_decomposerEEE10hipError_tT1_T2_T3_T4_jRjT5_jjP12ihipStream_tbEUlT_E_NS1_11comp_targetILNS1_3genE8ELNS1_11target_archE1030ELNS1_3gpuE2ELNS1_3repE0EEENS1_44radix_sort_block_sort_config_static_selectorELNS0_4arch9wavefront6targetE1EEEvSF_ ; -- Begin function _ZN7rocprim17ROCPRIM_400000_NS6detail17trampoline_kernelINS0_13kernel_configILj256ELj4ELj4294967295EEENS1_37radix_sort_block_sort_config_selectorIflEEZNS1_21radix_sort_block_sortIS4_Lb0EPfS8_N6thrust23THRUST_200600_302600_NS10device_ptrIlEESC_NS0_19identity_decomposerEEE10hipError_tT1_T2_T3_T4_jRjT5_jjP12ihipStream_tbEUlT_E_NS1_11comp_targetILNS1_3genE8ELNS1_11target_archE1030ELNS1_3gpuE2ELNS1_3repE0EEENS1_44radix_sort_block_sort_config_static_selectorELNS0_4arch9wavefront6targetE1EEEvSF_
	.globl	_ZN7rocprim17ROCPRIM_400000_NS6detail17trampoline_kernelINS0_13kernel_configILj256ELj4ELj4294967295EEENS1_37radix_sort_block_sort_config_selectorIflEEZNS1_21radix_sort_block_sortIS4_Lb0EPfS8_N6thrust23THRUST_200600_302600_NS10device_ptrIlEESC_NS0_19identity_decomposerEEE10hipError_tT1_T2_T3_T4_jRjT5_jjP12ihipStream_tbEUlT_E_NS1_11comp_targetILNS1_3genE8ELNS1_11target_archE1030ELNS1_3gpuE2ELNS1_3repE0EEENS1_44radix_sort_block_sort_config_static_selectorELNS0_4arch9wavefront6targetE1EEEvSF_
	.p2align	8
	.type	_ZN7rocprim17ROCPRIM_400000_NS6detail17trampoline_kernelINS0_13kernel_configILj256ELj4ELj4294967295EEENS1_37radix_sort_block_sort_config_selectorIflEEZNS1_21radix_sort_block_sortIS4_Lb0EPfS8_N6thrust23THRUST_200600_302600_NS10device_ptrIlEESC_NS0_19identity_decomposerEEE10hipError_tT1_T2_T3_T4_jRjT5_jjP12ihipStream_tbEUlT_E_NS1_11comp_targetILNS1_3genE8ELNS1_11target_archE1030ELNS1_3gpuE2ELNS1_3repE0EEENS1_44radix_sort_block_sort_config_static_selectorELNS0_4arch9wavefront6targetE1EEEvSF_,@function
_ZN7rocprim17ROCPRIM_400000_NS6detail17trampoline_kernelINS0_13kernel_configILj256ELj4ELj4294967295EEENS1_37radix_sort_block_sort_config_selectorIflEEZNS1_21radix_sort_block_sortIS4_Lb0EPfS8_N6thrust23THRUST_200600_302600_NS10device_ptrIlEESC_NS0_19identity_decomposerEEE10hipError_tT1_T2_T3_T4_jRjT5_jjP12ihipStream_tbEUlT_E_NS1_11comp_targetILNS1_3genE8ELNS1_11target_archE1030ELNS1_3gpuE2ELNS1_3repE0EEENS1_44radix_sort_block_sort_config_static_selectorELNS0_4arch9wavefront6targetE1EEEvSF_: ; @_ZN7rocprim17ROCPRIM_400000_NS6detail17trampoline_kernelINS0_13kernel_configILj256ELj4ELj4294967295EEENS1_37radix_sort_block_sort_config_selectorIflEEZNS1_21radix_sort_block_sortIS4_Lb0EPfS8_N6thrust23THRUST_200600_302600_NS10device_ptrIlEESC_NS0_19identity_decomposerEEE10hipError_tT1_T2_T3_T4_jRjT5_jjP12ihipStream_tbEUlT_E_NS1_11comp_targetILNS1_3genE8ELNS1_11target_archE1030ELNS1_3gpuE2ELNS1_3repE0EEENS1_44radix_sort_block_sort_config_static_selectorELNS0_4arch9wavefront6targetE1EEEvSF_
; %bb.0:
	.section	.rodata,"a",@progbits
	.p2align	6, 0x0
	.amdhsa_kernel _ZN7rocprim17ROCPRIM_400000_NS6detail17trampoline_kernelINS0_13kernel_configILj256ELj4ELj4294967295EEENS1_37radix_sort_block_sort_config_selectorIflEEZNS1_21radix_sort_block_sortIS4_Lb0EPfS8_N6thrust23THRUST_200600_302600_NS10device_ptrIlEESC_NS0_19identity_decomposerEEE10hipError_tT1_T2_T3_T4_jRjT5_jjP12ihipStream_tbEUlT_E_NS1_11comp_targetILNS1_3genE8ELNS1_11target_archE1030ELNS1_3gpuE2ELNS1_3repE0EEENS1_44radix_sort_block_sort_config_static_selectorELNS0_4arch9wavefront6targetE1EEEvSF_
		.amdhsa_group_segment_fixed_size 0
		.amdhsa_private_segment_fixed_size 0
		.amdhsa_kernarg_size 48
		.amdhsa_user_sgpr_count 6
		.amdhsa_user_sgpr_private_segment_buffer 1
		.amdhsa_user_sgpr_dispatch_ptr 0
		.amdhsa_user_sgpr_queue_ptr 0
		.amdhsa_user_sgpr_kernarg_segment_ptr 1
		.amdhsa_user_sgpr_dispatch_id 0
		.amdhsa_user_sgpr_flat_scratch_init 0
		.amdhsa_user_sgpr_private_segment_size 0
		.amdhsa_uses_dynamic_stack 0
		.amdhsa_system_sgpr_private_segment_wavefront_offset 0
		.amdhsa_system_sgpr_workgroup_id_x 1
		.amdhsa_system_sgpr_workgroup_id_y 0
		.amdhsa_system_sgpr_workgroup_id_z 0
		.amdhsa_system_sgpr_workgroup_info 0
		.amdhsa_system_vgpr_workitem_id 0
		.amdhsa_next_free_vgpr 1
		.amdhsa_next_free_sgpr 0
		.amdhsa_reserve_vcc 0
		.amdhsa_reserve_flat_scratch 0
		.amdhsa_float_round_mode_32 0
		.amdhsa_float_round_mode_16_64 0
		.amdhsa_float_denorm_mode_32 3
		.amdhsa_float_denorm_mode_16_64 3
		.amdhsa_dx10_clamp 1
		.amdhsa_ieee_mode 1
		.amdhsa_fp16_overflow 0
		.amdhsa_exception_fp_ieee_invalid_op 0
		.amdhsa_exception_fp_denorm_src 0
		.amdhsa_exception_fp_ieee_div_zero 0
		.amdhsa_exception_fp_ieee_overflow 0
		.amdhsa_exception_fp_ieee_underflow 0
		.amdhsa_exception_fp_ieee_inexact 0
		.amdhsa_exception_int_div_zero 0
	.end_amdhsa_kernel
	.section	.text._ZN7rocprim17ROCPRIM_400000_NS6detail17trampoline_kernelINS0_13kernel_configILj256ELj4ELj4294967295EEENS1_37radix_sort_block_sort_config_selectorIflEEZNS1_21radix_sort_block_sortIS4_Lb0EPfS8_N6thrust23THRUST_200600_302600_NS10device_ptrIlEESC_NS0_19identity_decomposerEEE10hipError_tT1_T2_T3_T4_jRjT5_jjP12ihipStream_tbEUlT_E_NS1_11comp_targetILNS1_3genE8ELNS1_11target_archE1030ELNS1_3gpuE2ELNS1_3repE0EEENS1_44radix_sort_block_sort_config_static_selectorELNS0_4arch9wavefront6targetE1EEEvSF_,"axG",@progbits,_ZN7rocprim17ROCPRIM_400000_NS6detail17trampoline_kernelINS0_13kernel_configILj256ELj4ELj4294967295EEENS1_37radix_sort_block_sort_config_selectorIflEEZNS1_21radix_sort_block_sortIS4_Lb0EPfS8_N6thrust23THRUST_200600_302600_NS10device_ptrIlEESC_NS0_19identity_decomposerEEE10hipError_tT1_T2_T3_T4_jRjT5_jjP12ihipStream_tbEUlT_E_NS1_11comp_targetILNS1_3genE8ELNS1_11target_archE1030ELNS1_3gpuE2ELNS1_3repE0EEENS1_44radix_sort_block_sort_config_static_selectorELNS0_4arch9wavefront6targetE1EEEvSF_,comdat
.Lfunc_end1750:
	.size	_ZN7rocprim17ROCPRIM_400000_NS6detail17trampoline_kernelINS0_13kernel_configILj256ELj4ELj4294967295EEENS1_37radix_sort_block_sort_config_selectorIflEEZNS1_21radix_sort_block_sortIS4_Lb0EPfS8_N6thrust23THRUST_200600_302600_NS10device_ptrIlEESC_NS0_19identity_decomposerEEE10hipError_tT1_T2_T3_T4_jRjT5_jjP12ihipStream_tbEUlT_E_NS1_11comp_targetILNS1_3genE8ELNS1_11target_archE1030ELNS1_3gpuE2ELNS1_3repE0EEENS1_44radix_sort_block_sort_config_static_selectorELNS0_4arch9wavefront6targetE1EEEvSF_, .Lfunc_end1750-_ZN7rocprim17ROCPRIM_400000_NS6detail17trampoline_kernelINS0_13kernel_configILj256ELj4ELj4294967295EEENS1_37radix_sort_block_sort_config_selectorIflEEZNS1_21radix_sort_block_sortIS4_Lb0EPfS8_N6thrust23THRUST_200600_302600_NS10device_ptrIlEESC_NS0_19identity_decomposerEEE10hipError_tT1_T2_T3_T4_jRjT5_jjP12ihipStream_tbEUlT_E_NS1_11comp_targetILNS1_3genE8ELNS1_11target_archE1030ELNS1_3gpuE2ELNS1_3repE0EEENS1_44radix_sort_block_sort_config_static_selectorELNS0_4arch9wavefront6targetE1EEEvSF_
                                        ; -- End function
	.set _ZN7rocprim17ROCPRIM_400000_NS6detail17trampoline_kernelINS0_13kernel_configILj256ELj4ELj4294967295EEENS1_37radix_sort_block_sort_config_selectorIflEEZNS1_21radix_sort_block_sortIS4_Lb0EPfS8_N6thrust23THRUST_200600_302600_NS10device_ptrIlEESC_NS0_19identity_decomposerEEE10hipError_tT1_T2_T3_T4_jRjT5_jjP12ihipStream_tbEUlT_E_NS1_11comp_targetILNS1_3genE8ELNS1_11target_archE1030ELNS1_3gpuE2ELNS1_3repE0EEENS1_44radix_sort_block_sort_config_static_selectorELNS0_4arch9wavefront6targetE1EEEvSF_.num_vgpr, 0
	.set _ZN7rocprim17ROCPRIM_400000_NS6detail17trampoline_kernelINS0_13kernel_configILj256ELj4ELj4294967295EEENS1_37radix_sort_block_sort_config_selectorIflEEZNS1_21radix_sort_block_sortIS4_Lb0EPfS8_N6thrust23THRUST_200600_302600_NS10device_ptrIlEESC_NS0_19identity_decomposerEEE10hipError_tT1_T2_T3_T4_jRjT5_jjP12ihipStream_tbEUlT_E_NS1_11comp_targetILNS1_3genE8ELNS1_11target_archE1030ELNS1_3gpuE2ELNS1_3repE0EEENS1_44radix_sort_block_sort_config_static_selectorELNS0_4arch9wavefront6targetE1EEEvSF_.num_agpr, 0
	.set _ZN7rocprim17ROCPRIM_400000_NS6detail17trampoline_kernelINS0_13kernel_configILj256ELj4ELj4294967295EEENS1_37radix_sort_block_sort_config_selectorIflEEZNS1_21radix_sort_block_sortIS4_Lb0EPfS8_N6thrust23THRUST_200600_302600_NS10device_ptrIlEESC_NS0_19identity_decomposerEEE10hipError_tT1_T2_T3_T4_jRjT5_jjP12ihipStream_tbEUlT_E_NS1_11comp_targetILNS1_3genE8ELNS1_11target_archE1030ELNS1_3gpuE2ELNS1_3repE0EEENS1_44radix_sort_block_sort_config_static_selectorELNS0_4arch9wavefront6targetE1EEEvSF_.numbered_sgpr, 0
	.set _ZN7rocprim17ROCPRIM_400000_NS6detail17trampoline_kernelINS0_13kernel_configILj256ELj4ELj4294967295EEENS1_37radix_sort_block_sort_config_selectorIflEEZNS1_21radix_sort_block_sortIS4_Lb0EPfS8_N6thrust23THRUST_200600_302600_NS10device_ptrIlEESC_NS0_19identity_decomposerEEE10hipError_tT1_T2_T3_T4_jRjT5_jjP12ihipStream_tbEUlT_E_NS1_11comp_targetILNS1_3genE8ELNS1_11target_archE1030ELNS1_3gpuE2ELNS1_3repE0EEENS1_44radix_sort_block_sort_config_static_selectorELNS0_4arch9wavefront6targetE1EEEvSF_.num_named_barrier, 0
	.set _ZN7rocprim17ROCPRIM_400000_NS6detail17trampoline_kernelINS0_13kernel_configILj256ELj4ELj4294967295EEENS1_37radix_sort_block_sort_config_selectorIflEEZNS1_21radix_sort_block_sortIS4_Lb0EPfS8_N6thrust23THRUST_200600_302600_NS10device_ptrIlEESC_NS0_19identity_decomposerEEE10hipError_tT1_T2_T3_T4_jRjT5_jjP12ihipStream_tbEUlT_E_NS1_11comp_targetILNS1_3genE8ELNS1_11target_archE1030ELNS1_3gpuE2ELNS1_3repE0EEENS1_44radix_sort_block_sort_config_static_selectorELNS0_4arch9wavefront6targetE1EEEvSF_.private_seg_size, 0
	.set _ZN7rocprim17ROCPRIM_400000_NS6detail17trampoline_kernelINS0_13kernel_configILj256ELj4ELj4294967295EEENS1_37radix_sort_block_sort_config_selectorIflEEZNS1_21radix_sort_block_sortIS4_Lb0EPfS8_N6thrust23THRUST_200600_302600_NS10device_ptrIlEESC_NS0_19identity_decomposerEEE10hipError_tT1_T2_T3_T4_jRjT5_jjP12ihipStream_tbEUlT_E_NS1_11comp_targetILNS1_3genE8ELNS1_11target_archE1030ELNS1_3gpuE2ELNS1_3repE0EEENS1_44radix_sort_block_sort_config_static_selectorELNS0_4arch9wavefront6targetE1EEEvSF_.uses_vcc, 0
	.set _ZN7rocprim17ROCPRIM_400000_NS6detail17trampoline_kernelINS0_13kernel_configILj256ELj4ELj4294967295EEENS1_37radix_sort_block_sort_config_selectorIflEEZNS1_21radix_sort_block_sortIS4_Lb0EPfS8_N6thrust23THRUST_200600_302600_NS10device_ptrIlEESC_NS0_19identity_decomposerEEE10hipError_tT1_T2_T3_T4_jRjT5_jjP12ihipStream_tbEUlT_E_NS1_11comp_targetILNS1_3genE8ELNS1_11target_archE1030ELNS1_3gpuE2ELNS1_3repE0EEENS1_44radix_sort_block_sort_config_static_selectorELNS0_4arch9wavefront6targetE1EEEvSF_.uses_flat_scratch, 0
	.set _ZN7rocprim17ROCPRIM_400000_NS6detail17trampoline_kernelINS0_13kernel_configILj256ELj4ELj4294967295EEENS1_37radix_sort_block_sort_config_selectorIflEEZNS1_21radix_sort_block_sortIS4_Lb0EPfS8_N6thrust23THRUST_200600_302600_NS10device_ptrIlEESC_NS0_19identity_decomposerEEE10hipError_tT1_T2_T3_T4_jRjT5_jjP12ihipStream_tbEUlT_E_NS1_11comp_targetILNS1_3genE8ELNS1_11target_archE1030ELNS1_3gpuE2ELNS1_3repE0EEENS1_44radix_sort_block_sort_config_static_selectorELNS0_4arch9wavefront6targetE1EEEvSF_.has_dyn_sized_stack, 0
	.set _ZN7rocprim17ROCPRIM_400000_NS6detail17trampoline_kernelINS0_13kernel_configILj256ELj4ELj4294967295EEENS1_37radix_sort_block_sort_config_selectorIflEEZNS1_21radix_sort_block_sortIS4_Lb0EPfS8_N6thrust23THRUST_200600_302600_NS10device_ptrIlEESC_NS0_19identity_decomposerEEE10hipError_tT1_T2_T3_T4_jRjT5_jjP12ihipStream_tbEUlT_E_NS1_11comp_targetILNS1_3genE8ELNS1_11target_archE1030ELNS1_3gpuE2ELNS1_3repE0EEENS1_44radix_sort_block_sort_config_static_selectorELNS0_4arch9wavefront6targetE1EEEvSF_.has_recursion, 0
	.set _ZN7rocprim17ROCPRIM_400000_NS6detail17trampoline_kernelINS0_13kernel_configILj256ELj4ELj4294967295EEENS1_37radix_sort_block_sort_config_selectorIflEEZNS1_21radix_sort_block_sortIS4_Lb0EPfS8_N6thrust23THRUST_200600_302600_NS10device_ptrIlEESC_NS0_19identity_decomposerEEE10hipError_tT1_T2_T3_T4_jRjT5_jjP12ihipStream_tbEUlT_E_NS1_11comp_targetILNS1_3genE8ELNS1_11target_archE1030ELNS1_3gpuE2ELNS1_3repE0EEENS1_44radix_sort_block_sort_config_static_selectorELNS0_4arch9wavefront6targetE1EEEvSF_.has_indirect_call, 0
	.section	.AMDGPU.csdata,"",@progbits
; Kernel info:
; codeLenInByte = 0
; TotalNumSgprs: 4
; NumVgprs: 0
; ScratchSize: 0
; MemoryBound: 0
; FloatMode: 240
; IeeeMode: 1
; LDSByteSize: 0 bytes/workgroup (compile time only)
; SGPRBlocks: 0
; VGPRBlocks: 0
; NumSGPRsForWavesPerEU: 4
; NumVGPRsForWavesPerEU: 1
; Occupancy: 10
; WaveLimiterHint : 0
; COMPUTE_PGM_RSRC2:SCRATCH_EN: 0
; COMPUTE_PGM_RSRC2:USER_SGPR: 6
; COMPUTE_PGM_RSRC2:TRAP_HANDLER: 0
; COMPUTE_PGM_RSRC2:TGID_X_EN: 1
; COMPUTE_PGM_RSRC2:TGID_Y_EN: 0
; COMPUTE_PGM_RSRC2:TGID_Z_EN: 0
; COMPUTE_PGM_RSRC2:TIDIG_COMP_CNT: 0
	.section	.text._ZN7rocprim17ROCPRIM_400000_NS6detail44device_merge_sort_compile_time_verifier_archINS1_11comp_targetILNS1_3genE0ELNS1_11target_archE4294967295ELNS1_3gpuE0ELNS1_3repE0EEES8_NS1_28merge_sort_block_sort_configILj256ELj4ELNS0_20block_sort_algorithmE0EEENS0_14default_configENS1_37merge_sort_block_sort_config_selectorIflEENS1_38merge_sort_block_merge_config_selectorIflEEEEvv,"axG",@progbits,_ZN7rocprim17ROCPRIM_400000_NS6detail44device_merge_sort_compile_time_verifier_archINS1_11comp_targetILNS1_3genE0ELNS1_11target_archE4294967295ELNS1_3gpuE0ELNS1_3repE0EEES8_NS1_28merge_sort_block_sort_configILj256ELj4ELNS0_20block_sort_algorithmE0EEENS0_14default_configENS1_37merge_sort_block_sort_config_selectorIflEENS1_38merge_sort_block_merge_config_selectorIflEEEEvv,comdat
	.protected	_ZN7rocprim17ROCPRIM_400000_NS6detail44device_merge_sort_compile_time_verifier_archINS1_11comp_targetILNS1_3genE0ELNS1_11target_archE4294967295ELNS1_3gpuE0ELNS1_3repE0EEES8_NS1_28merge_sort_block_sort_configILj256ELj4ELNS0_20block_sort_algorithmE0EEENS0_14default_configENS1_37merge_sort_block_sort_config_selectorIflEENS1_38merge_sort_block_merge_config_selectorIflEEEEvv ; -- Begin function _ZN7rocprim17ROCPRIM_400000_NS6detail44device_merge_sort_compile_time_verifier_archINS1_11comp_targetILNS1_3genE0ELNS1_11target_archE4294967295ELNS1_3gpuE0ELNS1_3repE0EEES8_NS1_28merge_sort_block_sort_configILj256ELj4ELNS0_20block_sort_algorithmE0EEENS0_14default_configENS1_37merge_sort_block_sort_config_selectorIflEENS1_38merge_sort_block_merge_config_selectorIflEEEEvv
	.globl	_ZN7rocprim17ROCPRIM_400000_NS6detail44device_merge_sort_compile_time_verifier_archINS1_11comp_targetILNS1_3genE0ELNS1_11target_archE4294967295ELNS1_3gpuE0ELNS1_3repE0EEES8_NS1_28merge_sort_block_sort_configILj256ELj4ELNS0_20block_sort_algorithmE0EEENS0_14default_configENS1_37merge_sort_block_sort_config_selectorIflEENS1_38merge_sort_block_merge_config_selectorIflEEEEvv
	.p2align	8
	.type	_ZN7rocprim17ROCPRIM_400000_NS6detail44device_merge_sort_compile_time_verifier_archINS1_11comp_targetILNS1_3genE0ELNS1_11target_archE4294967295ELNS1_3gpuE0ELNS1_3repE0EEES8_NS1_28merge_sort_block_sort_configILj256ELj4ELNS0_20block_sort_algorithmE0EEENS0_14default_configENS1_37merge_sort_block_sort_config_selectorIflEENS1_38merge_sort_block_merge_config_selectorIflEEEEvv,@function
_ZN7rocprim17ROCPRIM_400000_NS6detail44device_merge_sort_compile_time_verifier_archINS1_11comp_targetILNS1_3genE0ELNS1_11target_archE4294967295ELNS1_3gpuE0ELNS1_3repE0EEES8_NS1_28merge_sort_block_sort_configILj256ELj4ELNS0_20block_sort_algorithmE0EEENS0_14default_configENS1_37merge_sort_block_sort_config_selectorIflEENS1_38merge_sort_block_merge_config_selectorIflEEEEvv: ; @_ZN7rocprim17ROCPRIM_400000_NS6detail44device_merge_sort_compile_time_verifier_archINS1_11comp_targetILNS1_3genE0ELNS1_11target_archE4294967295ELNS1_3gpuE0ELNS1_3repE0EEES8_NS1_28merge_sort_block_sort_configILj256ELj4ELNS0_20block_sort_algorithmE0EEENS0_14default_configENS1_37merge_sort_block_sort_config_selectorIflEENS1_38merge_sort_block_merge_config_selectorIflEEEEvv
; %bb.0:
	s_endpgm
	.section	.rodata,"a",@progbits
	.p2align	6, 0x0
	.amdhsa_kernel _ZN7rocprim17ROCPRIM_400000_NS6detail44device_merge_sort_compile_time_verifier_archINS1_11comp_targetILNS1_3genE0ELNS1_11target_archE4294967295ELNS1_3gpuE0ELNS1_3repE0EEES8_NS1_28merge_sort_block_sort_configILj256ELj4ELNS0_20block_sort_algorithmE0EEENS0_14default_configENS1_37merge_sort_block_sort_config_selectorIflEENS1_38merge_sort_block_merge_config_selectorIflEEEEvv
		.amdhsa_group_segment_fixed_size 0
		.amdhsa_private_segment_fixed_size 0
		.amdhsa_kernarg_size 0
		.amdhsa_user_sgpr_count 4
		.amdhsa_user_sgpr_private_segment_buffer 1
		.amdhsa_user_sgpr_dispatch_ptr 0
		.amdhsa_user_sgpr_queue_ptr 0
		.amdhsa_user_sgpr_kernarg_segment_ptr 0
		.amdhsa_user_sgpr_dispatch_id 0
		.amdhsa_user_sgpr_flat_scratch_init 0
		.amdhsa_user_sgpr_private_segment_size 0
		.amdhsa_uses_dynamic_stack 0
		.amdhsa_system_sgpr_private_segment_wavefront_offset 0
		.amdhsa_system_sgpr_workgroup_id_x 1
		.amdhsa_system_sgpr_workgroup_id_y 0
		.amdhsa_system_sgpr_workgroup_id_z 0
		.amdhsa_system_sgpr_workgroup_info 0
		.amdhsa_system_vgpr_workitem_id 0
		.amdhsa_next_free_vgpr 1
		.amdhsa_next_free_sgpr 0
		.amdhsa_reserve_vcc 0
		.amdhsa_reserve_flat_scratch 0
		.amdhsa_float_round_mode_32 0
		.amdhsa_float_round_mode_16_64 0
		.amdhsa_float_denorm_mode_32 3
		.amdhsa_float_denorm_mode_16_64 3
		.amdhsa_dx10_clamp 1
		.amdhsa_ieee_mode 1
		.amdhsa_fp16_overflow 0
		.amdhsa_exception_fp_ieee_invalid_op 0
		.amdhsa_exception_fp_denorm_src 0
		.amdhsa_exception_fp_ieee_div_zero 0
		.amdhsa_exception_fp_ieee_overflow 0
		.amdhsa_exception_fp_ieee_underflow 0
		.amdhsa_exception_fp_ieee_inexact 0
		.amdhsa_exception_int_div_zero 0
	.end_amdhsa_kernel
	.section	.text._ZN7rocprim17ROCPRIM_400000_NS6detail44device_merge_sort_compile_time_verifier_archINS1_11comp_targetILNS1_3genE0ELNS1_11target_archE4294967295ELNS1_3gpuE0ELNS1_3repE0EEES8_NS1_28merge_sort_block_sort_configILj256ELj4ELNS0_20block_sort_algorithmE0EEENS0_14default_configENS1_37merge_sort_block_sort_config_selectorIflEENS1_38merge_sort_block_merge_config_selectorIflEEEEvv,"axG",@progbits,_ZN7rocprim17ROCPRIM_400000_NS6detail44device_merge_sort_compile_time_verifier_archINS1_11comp_targetILNS1_3genE0ELNS1_11target_archE4294967295ELNS1_3gpuE0ELNS1_3repE0EEES8_NS1_28merge_sort_block_sort_configILj256ELj4ELNS0_20block_sort_algorithmE0EEENS0_14default_configENS1_37merge_sort_block_sort_config_selectorIflEENS1_38merge_sort_block_merge_config_selectorIflEEEEvv,comdat
.Lfunc_end1751:
	.size	_ZN7rocprim17ROCPRIM_400000_NS6detail44device_merge_sort_compile_time_verifier_archINS1_11comp_targetILNS1_3genE0ELNS1_11target_archE4294967295ELNS1_3gpuE0ELNS1_3repE0EEES8_NS1_28merge_sort_block_sort_configILj256ELj4ELNS0_20block_sort_algorithmE0EEENS0_14default_configENS1_37merge_sort_block_sort_config_selectorIflEENS1_38merge_sort_block_merge_config_selectorIflEEEEvv, .Lfunc_end1751-_ZN7rocprim17ROCPRIM_400000_NS6detail44device_merge_sort_compile_time_verifier_archINS1_11comp_targetILNS1_3genE0ELNS1_11target_archE4294967295ELNS1_3gpuE0ELNS1_3repE0EEES8_NS1_28merge_sort_block_sort_configILj256ELj4ELNS0_20block_sort_algorithmE0EEENS0_14default_configENS1_37merge_sort_block_sort_config_selectorIflEENS1_38merge_sort_block_merge_config_selectorIflEEEEvv
                                        ; -- End function
	.set _ZN7rocprim17ROCPRIM_400000_NS6detail44device_merge_sort_compile_time_verifier_archINS1_11comp_targetILNS1_3genE0ELNS1_11target_archE4294967295ELNS1_3gpuE0ELNS1_3repE0EEES8_NS1_28merge_sort_block_sort_configILj256ELj4ELNS0_20block_sort_algorithmE0EEENS0_14default_configENS1_37merge_sort_block_sort_config_selectorIflEENS1_38merge_sort_block_merge_config_selectorIflEEEEvv.num_vgpr, 0
	.set _ZN7rocprim17ROCPRIM_400000_NS6detail44device_merge_sort_compile_time_verifier_archINS1_11comp_targetILNS1_3genE0ELNS1_11target_archE4294967295ELNS1_3gpuE0ELNS1_3repE0EEES8_NS1_28merge_sort_block_sort_configILj256ELj4ELNS0_20block_sort_algorithmE0EEENS0_14default_configENS1_37merge_sort_block_sort_config_selectorIflEENS1_38merge_sort_block_merge_config_selectorIflEEEEvv.num_agpr, 0
	.set _ZN7rocprim17ROCPRIM_400000_NS6detail44device_merge_sort_compile_time_verifier_archINS1_11comp_targetILNS1_3genE0ELNS1_11target_archE4294967295ELNS1_3gpuE0ELNS1_3repE0EEES8_NS1_28merge_sort_block_sort_configILj256ELj4ELNS0_20block_sort_algorithmE0EEENS0_14default_configENS1_37merge_sort_block_sort_config_selectorIflEENS1_38merge_sort_block_merge_config_selectorIflEEEEvv.numbered_sgpr, 0
	.set _ZN7rocprim17ROCPRIM_400000_NS6detail44device_merge_sort_compile_time_verifier_archINS1_11comp_targetILNS1_3genE0ELNS1_11target_archE4294967295ELNS1_3gpuE0ELNS1_3repE0EEES8_NS1_28merge_sort_block_sort_configILj256ELj4ELNS0_20block_sort_algorithmE0EEENS0_14default_configENS1_37merge_sort_block_sort_config_selectorIflEENS1_38merge_sort_block_merge_config_selectorIflEEEEvv.num_named_barrier, 0
	.set _ZN7rocprim17ROCPRIM_400000_NS6detail44device_merge_sort_compile_time_verifier_archINS1_11comp_targetILNS1_3genE0ELNS1_11target_archE4294967295ELNS1_3gpuE0ELNS1_3repE0EEES8_NS1_28merge_sort_block_sort_configILj256ELj4ELNS0_20block_sort_algorithmE0EEENS0_14default_configENS1_37merge_sort_block_sort_config_selectorIflEENS1_38merge_sort_block_merge_config_selectorIflEEEEvv.private_seg_size, 0
	.set _ZN7rocprim17ROCPRIM_400000_NS6detail44device_merge_sort_compile_time_verifier_archINS1_11comp_targetILNS1_3genE0ELNS1_11target_archE4294967295ELNS1_3gpuE0ELNS1_3repE0EEES8_NS1_28merge_sort_block_sort_configILj256ELj4ELNS0_20block_sort_algorithmE0EEENS0_14default_configENS1_37merge_sort_block_sort_config_selectorIflEENS1_38merge_sort_block_merge_config_selectorIflEEEEvv.uses_vcc, 0
	.set _ZN7rocprim17ROCPRIM_400000_NS6detail44device_merge_sort_compile_time_verifier_archINS1_11comp_targetILNS1_3genE0ELNS1_11target_archE4294967295ELNS1_3gpuE0ELNS1_3repE0EEES8_NS1_28merge_sort_block_sort_configILj256ELj4ELNS0_20block_sort_algorithmE0EEENS0_14default_configENS1_37merge_sort_block_sort_config_selectorIflEENS1_38merge_sort_block_merge_config_selectorIflEEEEvv.uses_flat_scratch, 0
	.set _ZN7rocprim17ROCPRIM_400000_NS6detail44device_merge_sort_compile_time_verifier_archINS1_11comp_targetILNS1_3genE0ELNS1_11target_archE4294967295ELNS1_3gpuE0ELNS1_3repE0EEES8_NS1_28merge_sort_block_sort_configILj256ELj4ELNS0_20block_sort_algorithmE0EEENS0_14default_configENS1_37merge_sort_block_sort_config_selectorIflEENS1_38merge_sort_block_merge_config_selectorIflEEEEvv.has_dyn_sized_stack, 0
	.set _ZN7rocprim17ROCPRIM_400000_NS6detail44device_merge_sort_compile_time_verifier_archINS1_11comp_targetILNS1_3genE0ELNS1_11target_archE4294967295ELNS1_3gpuE0ELNS1_3repE0EEES8_NS1_28merge_sort_block_sort_configILj256ELj4ELNS0_20block_sort_algorithmE0EEENS0_14default_configENS1_37merge_sort_block_sort_config_selectorIflEENS1_38merge_sort_block_merge_config_selectorIflEEEEvv.has_recursion, 0
	.set _ZN7rocprim17ROCPRIM_400000_NS6detail44device_merge_sort_compile_time_verifier_archINS1_11comp_targetILNS1_3genE0ELNS1_11target_archE4294967295ELNS1_3gpuE0ELNS1_3repE0EEES8_NS1_28merge_sort_block_sort_configILj256ELj4ELNS0_20block_sort_algorithmE0EEENS0_14default_configENS1_37merge_sort_block_sort_config_selectorIflEENS1_38merge_sort_block_merge_config_selectorIflEEEEvv.has_indirect_call, 0
	.section	.AMDGPU.csdata,"",@progbits
; Kernel info:
; codeLenInByte = 4
; TotalNumSgprs: 4
; NumVgprs: 0
; ScratchSize: 0
; MemoryBound: 0
; FloatMode: 240
; IeeeMode: 1
; LDSByteSize: 0 bytes/workgroup (compile time only)
; SGPRBlocks: 0
; VGPRBlocks: 0
; NumSGPRsForWavesPerEU: 4
; NumVGPRsForWavesPerEU: 1
; Occupancy: 10
; WaveLimiterHint : 0
; COMPUTE_PGM_RSRC2:SCRATCH_EN: 0
; COMPUTE_PGM_RSRC2:USER_SGPR: 4
; COMPUTE_PGM_RSRC2:TRAP_HANDLER: 0
; COMPUTE_PGM_RSRC2:TGID_X_EN: 1
; COMPUTE_PGM_RSRC2:TGID_Y_EN: 0
; COMPUTE_PGM_RSRC2:TGID_Z_EN: 0
; COMPUTE_PGM_RSRC2:TIDIG_COMP_CNT: 0
	.section	.text._ZN7rocprim17ROCPRIM_400000_NS6detail44device_merge_sort_compile_time_verifier_archINS1_11comp_targetILNS1_3genE5ELNS1_11target_archE942ELNS1_3gpuE9ELNS1_3repE0EEES8_NS1_28merge_sort_block_sort_configILj256ELj4ELNS0_20block_sort_algorithmE0EEENS0_14default_configENS1_37merge_sort_block_sort_config_selectorIflEENS1_38merge_sort_block_merge_config_selectorIflEEEEvv,"axG",@progbits,_ZN7rocprim17ROCPRIM_400000_NS6detail44device_merge_sort_compile_time_verifier_archINS1_11comp_targetILNS1_3genE5ELNS1_11target_archE942ELNS1_3gpuE9ELNS1_3repE0EEES8_NS1_28merge_sort_block_sort_configILj256ELj4ELNS0_20block_sort_algorithmE0EEENS0_14default_configENS1_37merge_sort_block_sort_config_selectorIflEENS1_38merge_sort_block_merge_config_selectorIflEEEEvv,comdat
	.protected	_ZN7rocprim17ROCPRIM_400000_NS6detail44device_merge_sort_compile_time_verifier_archINS1_11comp_targetILNS1_3genE5ELNS1_11target_archE942ELNS1_3gpuE9ELNS1_3repE0EEES8_NS1_28merge_sort_block_sort_configILj256ELj4ELNS0_20block_sort_algorithmE0EEENS0_14default_configENS1_37merge_sort_block_sort_config_selectorIflEENS1_38merge_sort_block_merge_config_selectorIflEEEEvv ; -- Begin function _ZN7rocprim17ROCPRIM_400000_NS6detail44device_merge_sort_compile_time_verifier_archINS1_11comp_targetILNS1_3genE5ELNS1_11target_archE942ELNS1_3gpuE9ELNS1_3repE0EEES8_NS1_28merge_sort_block_sort_configILj256ELj4ELNS0_20block_sort_algorithmE0EEENS0_14default_configENS1_37merge_sort_block_sort_config_selectorIflEENS1_38merge_sort_block_merge_config_selectorIflEEEEvv
	.globl	_ZN7rocprim17ROCPRIM_400000_NS6detail44device_merge_sort_compile_time_verifier_archINS1_11comp_targetILNS1_3genE5ELNS1_11target_archE942ELNS1_3gpuE9ELNS1_3repE0EEES8_NS1_28merge_sort_block_sort_configILj256ELj4ELNS0_20block_sort_algorithmE0EEENS0_14default_configENS1_37merge_sort_block_sort_config_selectorIflEENS1_38merge_sort_block_merge_config_selectorIflEEEEvv
	.p2align	8
	.type	_ZN7rocprim17ROCPRIM_400000_NS6detail44device_merge_sort_compile_time_verifier_archINS1_11comp_targetILNS1_3genE5ELNS1_11target_archE942ELNS1_3gpuE9ELNS1_3repE0EEES8_NS1_28merge_sort_block_sort_configILj256ELj4ELNS0_20block_sort_algorithmE0EEENS0_14default_configENS1_37merge_sort_block_sort_config_selectorIflEENS1_38merge_sort_block_merge_config_selectorIflEEEEvv,@function
_ZN7rocprim17ROCPRIM_400000_NS6detail44device_merge_sort_compile_time_verifier_archINS1_11comp_targetILNS1_3genE5ELNS1_11target_archE942ELNS1_3gpuE9ELNS1_3repE0EEES8_NS1_28merge_sort_block_sort_configILj256ELj4ELNS0_20block_sort_algorithmE0EEENS0_14default_configENS1_37merge_sort_block_sort_config_selectorIflEENS1_38merge_sort_block_merge_config_selectorIflEEEEvv: ; @_ZN7rocprim17ROCPRIM_400000_NS6detail44device_merge_sort_compile_time_verifier_archINS1_11comp_targetILNS1_3genE5ELNS1_11target_archE942ELNS1_3gpuE9ELNS1_3repE0EEES8_NS1_28merge_sort_block_sort_configILj256ELj4ELNS0_20block_sort_algorithmE0EEENS0_14default_configENS1_37merge_sort_block_sort_config_selectorIflEENS1_38merge_sort_block_merge_config_selectorIflEEEEvv
; %bb.0:
	s_endpgm
	.section	.rodata,"a",@progbits
	.p2align	6, 0x0
	.amdhsa_kernel _ZN7rocprim17ROCPRIM_400000_NS6detail44device_merge_sort_compile_time_verifier_archINS1_11comp_targetILNS1_3genE5ELNS1_11target_archE942ELNS1_3gpuE9ELNS1_3repE0EEES8_NS1_28merge_sort_block_sort_configILj256ELj4ELNS0_20block_sort_algorithmE0EEENS0_14default_configENS1_37merge_sort_block_sort_config_selectorIflEENS1_38merge_sort_block_merge_config_selectorIflEEEEvv
		.amdhsa_group_segment_fixed_size 0
		.amdhsa_private_segment_fixed_size 0
		.amdhsa_kernarg_size 0
		.amdhsa_user_sgpr_count 4
		.amdhsa_user_sgpr_private_segment_buffer 1
		.amdhsa_user_sgpr_dispatch_ptr 0
		.amdhsa_user_sgpr_queue_ptr 0
		.amdhsa_user_sgpr_kernarg_segment_ptr 0
		.amdhsa_user_sgpr_dispatch_id 0
		.amdhsa_user_sgpr_flat_scratch_init 0
		.amdhsa_user_sgpr_private_segment_size 0
		.amdhsa_uses_dynamic_stack 0
		.amdhsa_system_sgpr_private_segment_wavefront_offset 0
		.amdhsa_system_sgpr_workgroup_id_x 1
		.amdhsa_system_sgpr_workgroup_id_y 0
		.amdhsa_system_sgpr_workgroup_id_z 0
		.amdhsa_system_sgpr_workgroup_info 0
		.amdhsa_system_vgpr_workitem_id 0
		.amdhsa_next_free_vgpr 1
		.amdhsa_next_free_sgpr 0
		.amdhsa_reserve_vcc 0
		.amdhsa_reserve_flat_scratch 0
		.amdhsa_float_round_mode_32 0
		.amdhsa_float_round_mode_16_64 0
		.amdhsa_float_denorm_mode_32 3
		.amdhsa_float_denorm_mode_16_64 3
		.amdhsa_dx10_clamp 1
		.amdhsa_ieee_mode 1
		.amdhsa_fp16_overflow 0
		.amdhsa_exception_fp_ieee_invalid_op 0
		.amdhsa_exception_fp_denorm_src 0
		.amdhsa_exception_fp_ieee_div_zero 0
		.amdhsa_exception_fp_ieee_overflow 0
		.amdhsa_exception_fp_ieee_underflow 0
		.amdhsa_exception_fp_ieee_inexact 0
		.amdhsa_exception_int_div_zero 0
	.end_amdhsa_kernel
	.section	.text._ZN7rocprim17ROCPRIM_400000_NS6detail44device_merge_sort_compile_time_verifier_archINS1_11comp_targetILNS1_3genE5ELNS1_11target_archE942ELNS1_3gpuE9ELNS1_3repE0EEES8_NS1_28merge_sort_block_sort_configILj256ELj4ELNS0_20block_sort_algorithmE0EEENS0_14default_configENS1_37merge_sort_block_sort_config_selectorIflEENS1_38merge_sort_block_merge_config_selectorIflEEEEvv,"axG",@progbits,_ZN7rocprim17ROCPRIM_400000_NS6detail44device_merge_sort_compile_time_verifier_archINS1_11comp_targetILNS1_3genE5ELNS1_11target_archE942ELNS1_3gpuE9ELNS1_3repE0EEES8_NS1_28merge_sort_block_sort_configILj256ELj4ELNS0_20block_sort_algorithmE0EEENS0_14default_configENS1_37merge_sort_block_sort_config_selectorIflEENS1_38merge_sort_block_merge_config_selectorIflEEEEvv,comdat
.Lfunc_end1752:
	.size	_ZN7rocprim17ROCPRIM_400000_NS6detail44device_merge_sort_compile_time_verifier_archINS1_11comp_targetILNS1_3genE5ELNS1_11target_archE942ELNS1_3gpuE9ELNS1_3repE0EEES8_NS1_28merge_sort_block_sort_configILj256ELj4ELNS0_20block_sort_algorithmE0EEENS0_14default_configENS1_37merge_sort_block_sort_config_selectorIflEENS1_38merge_sort_block_merge_config_selectorIflEEEEvv, .Lfunc_end1752-_ZN7rocprim17ROCPRIM_400000_NS6detail44device_merge_sort_compile_time_verifier_archINS1_11comp_targetILNS1_3genE5ELNS1_11target_archE942ELNS1_3gpuE9ELNS1_3repE0EEES8_NS1_28merge_sort_block_sort_configILj256ELj4ELNS0_20block_sort_algorithmE0EEENS0_14default_configENS1_37merge_sort_block_sort_config_selectorIflEENS1_38merge_sort_block_merge_config_selectorIflEEEEvv
                                        ; -- End function
	.set _ZN7rocprim17ROCPRIM_400000_NS6detail44device_merge_sort_compile_time_verifier_archINS1_11comp_targetILNS1_3genE5ELNS1_11target_archE942ELNS1_3gpuE9ELNS1_3repE0EEES8_NS1_28merge_sort_block_sort_configILj256ELj4ELNS0_20block_sort_algorithmE0EEENS0_14default_configENS1_37merge_sort_block_sort_config_selectorIflEENS1_38merge_sort_block_merge_config_selectorIflEEEEvv.num_vgpr, 0
	.set _ZN7rocprim17ROCPRIM_400000_NS6detail44device_merge_sort_compile_time_verifier_archINS1_11comp_targetILNS1_3genE5ELNS1_11target_archE942ELNS1_3gpuE9ELNS1_3repE0EEES8_NS1_28merge_sort_block_sort_configILj256ELj4ELNS0_20block_sort_algorithmE0EEENS0_14default_configENS1_37merge_sort_block_sort_config_selectorIflEENS1_38merge_sort_block_merge_config_selectorIflEEEEvv.num_agpr, 0
	.set _ZN7rocprim17ROCPRIM_400000_NS6detail44device_merge_sort_compile_time_verifier_archINS1_11comp_targetILNS1_3genE5ELNS1_11target_archE942ELNS1_3gpuE9ELNS1_3repE0EEES8_NS1_28merge_sort_block_sort_configILj256ELj4ELNS0_20block_sort_algorithmE0EEENS0_14default_configENS1_37merge_sort_block_sort_config_selectorIflEENS1_38merge_sort_block_merge_config_selectorIflEEEEvv.numbered_sgpr, 0
	.set _ZN7rocprim17ROCPRIM_400000_NS6detail44device_merge_sort_compile_time_verifier_archINS1_11comp_targetILNS1_3genE5ELNS1_11target_archE942ELNS1_3gpuE9ELNS1_3repE0EEES8_NS1_28merge_sort_block_sort_configILj256ELj4ELNS0_20block_sort_algorithmE0EEENS0_14default_configENS1_37merge_sort_block_sort_config_selectorIflEENS1_38merge_sort_block_merge_config_selectorIflEEEEvv.num_named_barrier, 0
	.set _ZN7rocprim17ROCPRIM_400000_NS6detail44device_merge_sort_compile_time_verifier_archINS1_11comp_targetILNS1_3genE5ELNS1_11target_archE942ELNS1_3gpuE9ELNS1_3repE0EEES8_NS1_28merge_sort_block_sort_configILj256ELj4ELNS0_20block_sort_algorithmE0EEENS0_14default_configENS1_37merge_sort_block_sort_config_selectorIflEENS1_38merge_sort_block_merge_config_selectorIflEEEEvv.private_seg_size, 0
	.set _ZN7rocprim17ROCPRIM_400000_NS6detail44device_merge_sort_compile_time_verifier_archINS1_11comp_targetILNS1_3genE5ELNS1_11target_archE942ELNS1_3gpuE9ELNS1_3repE0EEES8_NS1_28merge_sort_block_sort_configILj256ELj4ELNS0_20block_sort_algorithmE0EEENS0_14default_configENS1_37merge_sort_block_sort_config_selectorIflEENS1_38merge_sort_block_merge_config_selectorIflEEEEvv.uses_vcc, 0
	.set _ZN7rocprim17ROCPRIM_400000_NS6detail44device_merge_sort_compile_time_verifier_archINS1_11comp_targetILNS1_3genE5ELNS1_11target_archE942ELNS1_3gpuE9ELNS1_3repE0EEES8_NS1_28merge_sort_block_sort_configILj256ELj4ELNS0_20block_sort_algorithmE0EEENS0_14default_configENS1_37merge_sort_block_sort_config_selectorIflEENS1_38merge_sort_block_merge_config_selectorIflEEEEvv.uses_flat_scratch, 0
	.set _ZN7rocprim17ROCPRIM_400000_NS6detail44device_merge_sort_compile_time_verifier_archINS1_11comp_targetILNS1_3genE5ELNS1_11target_archE942ELNS1_3gpuE9ELNS1_3repE0EEES8_NS1_28merge_sort_block_sort_configILj256ELj4ELNS0_20block_sort_algorithmE0EEENS0_14default_configENS1_37merge_sort_block_sort_config_selectorIflEENS1_38merge_sort_block_merge_config_selectorIflEEEEvv.has_dyn_sized_stack, 0
	.set _ZN7rocprim17ROCPRIM_400000_NS6detail44device_merge_sort_compile_time_verifier_archINS1_11comp_targetILNS1_3genE5ELNS1_11target_archE942ELNS1_3gpuE9ELNS1_3repE0EEES8_NS1_28merge_sort_block_sort_configILj256ELj4ELNS0_20block_sort_algorithmE0EEENS0_14default_configENS1_37merge_sort_block_sort_config_selectorIflEENS1_38merge_sort_block_merge_config_selectorIflEEEEvv.has_recursion, 0
	.set _ZN7rocprim17ROCPRIM_400000_NS6detail44device_merge_sort_compile_time_verifier_archINS1_11comp_targetILNS1_3genE5ELNS1_11target_archE942ELNS1_3gpuE9ELNS1_3repE0EEES8_NS1_28merge_sort_block_sort_configILj256ELj4ELNS0_20block_sort_algorithmE0EEENS0_14default_configENS1_37merge_sort_block_sort_config_selectorIflEENS1_38merge_sort_block_merge_config_selectorIflEEEEvv.has_indirect_call, 0
	.section	.AMDGPU.csdata,"",@progbits
; Kernel info:
; codeLenInByte = 4
; TotalNumSgprs: 4
; NumVgprs: 0
; ScratchSize: 0
; MemoryBound: 0
; FloatMode: 240
; IeeeMode: 1
; LDSByteSize: 0 bytes/workgroup (compile time only)
; SGPRBlocks: 0
; VGPRBlocks: 0
; NumSGPRsForWavesPerEU: 4
; NumVGPRsForWavesPerEU: 1
; Occupancy: 10
; WaveLimiterHint : 0
; COMPUTE_PGM_RSRC2:SCRATCH_EN: 0
; COMPUTE_PGM_RSRC2:USER_SGPR: 4
; COMPUTE_PGM_RSRC2:TRAP_HANDLER: 0
; COMPUTE_PGM_RSRC2:TGID_X_EN: 1
; COMPUTE_PGM_RSRC2:TGID_Y_EN: 0
; COMPUTE_PGM_RSRC2:TGID_Z_EN: 0
; COMPUTE_PGM_RSRC2:TIDIG_COMP_CNT: 0
	.section	.text._ZN7rocprim17ROCPRIM_400000_NS6detail44device_merge_sort_compile_time_verifier_archINS1_11comp_targetILNS1_3genE4ELNS1_11target_archE910ELNS1_3gpuE8ELNS1_3repE0EEES8_NS1_28merge_sort_block_sort_configILj256ELj4ELNS0_20block_sort_algorithmE0EEENS0_14default_configENS1_37merge_sort_block_sort_config_selectorIflEENS1_38merge_sort_block_merge_config_selectorIflEEEEvv,"axG",@progbits,_ZN7rocprim17ROCPRIM_400000_NS6detail44device_merge_sort_compile_time_verifier_archINS1_11comp_targetILNS1_3genE4ELNS1_11target_archE910ELNS1_3gpuE8ELNS1_3repE0EEES8_NS1_28merge_sort_block_sort_configILj256ELj4ELNS0_20block_sort_algorithmE0EEENS0_14default_configENS1_37merge_sort_block_sort_config_selectorIflEENS1_38merge_sort_block_merge_config_selectorIflEEEEvv,comdat
	.protected	_ZN7rocprim17ROCPRIM_400000_NS6detail44device_merge_sort_compile_time_verifier_archINS1_11comp_targetILNS1_3genE4ELNS1_11target_archE910ELNS1_3gpuE8ELNS1_3repE0EEES8_NS1_28merge_sort_block_sort_configILj256ELj4ELNS0_20block_sort_algorithmE0EEENS0_14default_configENS1_37merge_sort_block_sort_config_selectorIflEENS1_38merge_sort_block_merge_config_selectorIflEEEEvv ; -- Begin function _ZN7rocprim17ROCPRIM_400000_NS6detail44device_merge_sort_compile_time_verifier_archINS1_11comp_targetILNS1_3genE4ELNS1_11target_archE910ELNS1_3gpuE8ELNS1_3repE0EEES8_NS1_28merge_sort_block_sort_configILj256ELj4ELNS0_20block_sort_algorithmE0EEENS0_14default_configENS1_37merge_sort_block_sort_config_selectorIflEENS1_38merge_sort_block_merge_config_selectorIflEEEEvv
	.globl	_ZN7rocprim17ROCPRIM_400000_NS6detail44device_merge_sort_compile_time_verifier_archINS1_11comp_targetILNS1_3genE4ELNS1_11target_archE910ELNS1_3gpuE8ELNS1_3repE0EEES8_NS1_28merge_sort_block_sort_configILj256ELj4ELNS0_20block_sort_algorithmE0EEENS0_14default_configENS1_37merge_sort_block_sort_config_selectorIflEENS1_38merge_sort_block_merge_config_selectorIflEEEEvv
	.p2align	8
	.type	_ZN7rocprim17ROCPRIM_400000_NS6detail44device_merge_sort_compile_time_verifier_archINS1_11comp_targetILNS1_3genE4ELNS1_11target_archE910ELNS1_3gpuE8ELNS1_3repE0EEES8_NS1_28merge_sort_block_sort_configILj256ELj4ELNS0_20block_sort_algorithmE0EEENS0_14default_configENS1_37merge_sort_block_sort_config_selectorIflEENS1_38merge_sort_block_merge_config_selectorIflEEEEvv,@function
_ZN7rocprim17ROCPRIM_400000_NS6detail44device_merge_sort_compile_time_verifier_archINS1_11comp_targetILNS1_3genE4ELNS1_11target_archE910ELNS1_3gpuE8ELNS1_3repE0EEES8_NS1_28merge_sort_block_sort_configILj256ELj4ELNS0_20block_sort_algorithmE0EEENS0_14default_configENS1_37merge_sort_block_sort_config_selectorIflEENS1_38merge_sort_block_merge_config_selectorIflEEEEvv: ; @_ZN7rocprim17ROCPRIM_400000_NS6detail44device_merge_sort_compile_time_verifier_archINS1_11comp_targetILNS1_3genE4ELNS1_11target_archE910ELNS1_3gpuE8ELNS1_3repE0EEES8_NS1_28merge_sort_block_sort_configILj256ELj4ELNS0_20block_sort_algorithmE0EEENS0_14default_configENS1_37merge_sort_block_sort_config_selectorIflEENS1_38merge_sort_block_merge_config_selectorIflEEEEvv
; %bb.0:
	s_endpgm
	.section	.rodata,"a",@progbits
	.p2align	6, 0x0
	.amdhsa_kernel _ZN7rocprim17ROCPRIM_400000_NS6detail44device_merge_sort_compile_time_verifier_archINS1_11comp_targetILNS1_3genE4ELNS1_11target_archE910ELNS1_3gpuE8ELNS1_3repE0EEES8_NS1_28merge_sort_block_sort_configILj256ELj4ELNS0_20block_sort_algorithmE0EEENS0_14default_configENS1_37merge_sort_block_sort_config_selectorIflEENS1_38merge_sort_block_merge_config_selectorIflEEEEvv
		.amdhsa_group_segment_fixed_size 0
		.amdhsa_private_segment_fixed_size 0
		.amdhsa_kernarg_size 0
		.amdhsa_user_sgpr_count 4
		.amdhsa_user_sgpr_private_segment_buffer 1
		.amdhsa_user_sgpr_dispatch_ptr 0
		.amdhsa_user_sgpr_queue_ptr 0
		.amdhsa_user_sgpr_kernarg_segment_ptr 0
		.amdhsa_user_sgpr_dispatch_id 0
		.amdhsa_user_sgpr_flat_scratch_init 0
		.amdhsa_user_sgpr_private_segment_size 0
		.amdhsa_uses_dynamic_stack 0
		.amdhsa_system_sgpr_private_segment_wavefront_offset 0
		.amdhsa_system_sgpr_workgroup_id_x 1
		.amdhsa_system_sgpr_workgroup_id_y 0
		.amdhsa_system_sgpr_workgroup_id_z 0
		.amdhsa_system_sgpr_workgroup_info 0
		.amdhsa_system_vgpr_workitem_id 0
		.amdhsa_next_free_vgpr 1
		.amdhsa_next_free_sgpr 0
		.amdhsa_reserve_vcc 0
		.amdhsa_reserve_flat_scratch 0
		.amdhsa_float_round_mode_32 0
		.amdhsa_float_round_mode_16_64 0
		.amdhsa_float_denorm_mode_32 3
		.amdhsa_float_denorm_mode_16_64 3
		.amdhsa_dx10_clamp 1
		.amdhsa_ieee_mode 1
		.amdhsa_fp16_overflow 0
		.amdhsa_exception_fp_ieee_invalid_op 0
		.amdhsa_exception_fp_denorm_src 0
		.amdhsa_exception_fp_ieee_div_zero 0
		.amdhsa_exception_fp_ieee_overflow 0
		.amdhsa_exception_fp_ieee_underflow 0
		.amdhsa_exception_fp_ieee_inexact 0
		.amdhsa_exception_int_div_zero 0
	.end_amdhsa_kernel
	.section	.text._ZN7rocprim17ROCPRIM_400000_NS6detail44device_merge_sort_compile_time_verifier_archINS1_11comp_targetILNS1_3genE4ELNS1_11target_archE910ELNS1_3gpuE8ELNS1_3repE0EEES8_NS1_28merge_sort_block_sort_configILj256ELj4ELNS0_20block_sort_algorithmE0EEENS0_14default_configENS1_37merge_sort_block_sort_config_selectorIflEENS1_38merge_sort_block_merge_config_selectorIflEEEEvv,"axG",@progbits,_ZN7rocprim17ROCPRIM_400000_NS6detail44device_merge_sort_compile_time_verifier_archINS1_11comp_targetILNS1_3genE4ELNS1_11target_archE910ELNS1_3gpuE8ELNS1_3repE0EEES8_NS1_28merge_sort_block_sort_configILj256ELj4ELNS0_20block_sort_algorithmE0EEENS0_14default_configENS1_37merge_sort_block_sort_config_selectorIflEENS1_38merge_sort_block_merge_config_selectorIflEEEEvv,comdat
.Lfunc_end1753:
	.size	_ZN7rocprim17ROCPRIM_400000_NS6detail44device_merge_sort_compile_time_verifier_archINS1_11comp_targetILNS1_3genE4ELNS1_11target_archE910ELNS1_3gpuE8ELNS1_3repE0EEES8_NS1_28merge_sort_block_sort_configILj256ELj4ELNS0_20block_sort_algorithmE0EEENS0_14default_configENS1_37merge_sort_block_sort_config_selectorIflEENS1_38merge_sort_block_merge_config_selectorIflEEEEvv, .Lfunc_end1753-_ZN7rocprim17ROCPRIM_400000_NS6detail44device_merge_sort_compile_time_verifier_archINS1_11comp_targetILNS1_3genE4ELNS1_11target_archE910ELNS1_3gpuE8ELNS1_3repE0EEES8_NS1_28merge_sort_block_sort_configILj256ELj4ELNS0_20block_sort_algorithmE0EEENS0_14default_configENS1_37merge_sort_block_sort_config_selectorIflEENS1_38merge_sort_block_merge_config_selectorIflEEEEvv
                                        ; -- End function
	.set _ZN7rocprim17ROCPRIM_400000_NS6detail44device_merge_sort_compile_time_verifier_archINS1_11comp_targetILNS1_3genE4ELNS1_11target_archE910ELNS1_3gpuE8ELNS1_3repE0EEES8_NS1_28merge_sort_block_sort_configILj256ELj4ELNS0_20block_sort_algorithmE0EEENS0_14default_configENS1_37merge_sort_block_sort_config_selectorIflEENS1_38merge_sort_block_merge_config_selectorIflEEEEvv.num_vgpr, 0
	.set _ZN7rocprim17ROCPRIM_400000_NS6detail44device_merge_sort_compile_time_verifier_archINS1_11comp_targetILNS1_3genE4ELNS1_11target_archE910ELNS1_3gpuE8ELNS1_3repE0EEES8_NS1_28merge_sort_block_sort_configILj256ELj4ELNS0_20block_sort_algorithmE0EEENS0_14default_configENS1_37merge_sort_block_sort_config_selectorIflEENS1_38merge_sort_block_merge_config_selectorIflEEEEvv.num_agpr, 0
	.set _ZN7rocprim17ROCPRIM_400000_NS6detail44device_merge_sort_compile_time_verifier_archINS1_11comp_targetILNS1_3genE4ELNS1_11target_archE910ELNS1_3gpuE8ELNS1_3repE0EEES8_NS1_28merge_sort_block_sort_configILj256ELj4ELNS0_20block_sort_algorithmE0EEENS0_14default_configENS1_37merge_sort_block_sort_config_selectorIflEENS1_38merge_sort_block_merge_config_selectorIflEEEEvv.numbered_sgpr, 0
	.set _ZN7rocprim17ROCPRIM_400000_NS6detail44device_merge_sort_compile_time_verifier_archINS1_11comp_targetILNS1_3genE4ELNS1_11target_archE910ELNS1_3gpuE8ELNS1_3repE0EEES8_NS1_28merge_sort_block_sort_configILj256ELj4ELNS0_20block_sort_algorithmE0EEENS0_14default_configENS1_37merge_sort_block_sort_config_selectorIflEENS1_38merge_sort_block_merge_config_selectorIflEEEEvv.num_named_barrier, 0
	.set _ZN7rocprim17ROCPRIM_400000_NS6detail44device_merge_sort_compile_time_verifier_archINS1_11comp_targetILNS1_3genE4ELNS1_11target_archE910ELNS1_3gpuE8ELNS1_3repE0EEES8_NS1_28merge_sort_block_sort_configILj256ELj4ELNS0_20block_sort_algorithmE0EEENS0_14default_configENS1_37merge_sort_block_sort_config_selectorIflEENS1_38merge_sort_block_merge_config_selectorIflEEEEvv.private_seg_size, 0
	.set _ZN7rocprim17ROCPRIM_400000_NS6detail44device_merge_sort_compile_time_verifier_archINS1_11comp_targetILNS1_3genE4ELNS1_11target_archE910ELNS1_3gpuE8ELNS1_3repE0EEES8_NS1_28merge_sort_block_sort_configILj256ELj4ELNS0_20block_sort_algorithmE0EEENS0_14default_configENS1_37merge_sort_block_sort_config_selectorIflEENS1_38merge_sort_block_merge_config_selectorIflEEEEvv.uses_vcc, 0
	.set _ZN7rocprim17ROCPRIM_400000_NS6detail44device_merge_sort_compile_time_verifier_archINS1_11comp_targetILNS1_3genE4ELNS1_11target_archE910ELNS1_3gpuE8ELNS1_3repE0EEES8_NS1_28merge_sort_block_sort_configILj256ELj4ELNS0_20block_sort_algorithmE0EEENS0_14default_configENS1_37merge_sort_block_sort_config_selectorIflEENS1_38merge_sort_block_merge_config_selectorIflEEEEvv.uses_flat_scratch, 0
	.set _ZN7rocprim17ROCPRIM_400000_NS6detail44device_merge_sort_compile_time_verifier_archINS1_11comp_targetILNS1_3genE4ELNS1_11target_archE910ELNS1_3gpuE8ELNS1_3repE0EEES8_NS1_28merge_sort_block_sort_configILj256ELj4ELNS0_20block_sort_algorithmE0EEENS0_14default_configENS1_37merge_sort_block_sort_config_selectorIflEENS1_38merge_sort_block_merge_config_selectorIflEEEEvv.has_dyn_sized_stack, 0
	.set _ZN7rocprim17ROCPRIM_400000_NS6detail44device_merge_sort_compile_time_verifier_archINS1_11comp_targetILNS1_3genE4ELNS1_11target_archE910ELNS1_3gpuE8ELNS1_3repE0EEES8_NS1_28merge_sort_block_sort_configILj256ELj4ELNS0_20block_sort_algorithmE0EEENS0_14default_configENS1_37merge_sort_block_sort_config_selectorIflEENS1_38merge_sort_block_merge_config_selectorIflEEEEvv.has_recursion, 0
	.set _ZN7rocprim17ROCPRIM_400000_NS6detail44device_merge_sort_compile_time_verifier_archINS1_11comp_targetILNS1_3genE4ELNS1_11target_archE910ELNS1_3gpuE8ELNS1_3repE0EEES8_NS1_28merge_sort_block_sort_configILj256ELj4ELNS0_20block_sort_algorithmE0EEENS0_14default_configENS1_37merge_sort_block_sort_config_selectorIflEENS1_38merge_sort_block_merge_config_selectorIflEEEEvv.has_indirect_call, 0
	.section	.AMDGPU.csdata,"",@progbits
; Kernel info:
; codeLenInByte = 4
; TotalNumSgprs: 4
; NumVgprs: 0
; ScratchSize: 0
; MemoryBound: 0
; FloatMode: 240
; IeeeMode: 1
; LDSByteSize: 0 bytes/workgroup (compile time only)
; SGPRBlocks: 0
; VGPRBlocks: 0
; NumSGPRsForWavesPerEU: 4
; NumVGPRsForWavesPerEU: 1
; Occupancy: 10
; WaveLimiterHint : 0
; COMPUTE_PGM_RSRC2:SCRATCH_EN: 0
; COMPUTE_PGM_RSRC2:USER_SGPR: 4
; COMPUTE_PGM_RSRC2:TRAP_HANDLER: 0
; COMPUTE_PGM_RSRC2:TGID_X_EN: 1
; COMPUTE_PGM_RSRC2:TGID_Y_EN: 0
; COMPUTE_PGM_RSRC2:TGID_Z_EN: 0
; COMPUTE_PGM_RSRC2:TIDIG_COMP_CNT: 0
	.section	.text._ZN7rocprim17ROCPRIM_400000_NS6detail44device_merge_sort_compile_time_verifier_archINS1_11comp_targetILNS1_3genE3ELNS1_11target_archE908ELNS1_3gpuE7ELNS1_3repE0EEES8_NS1_28merge_sort_block_sort_configILj256ELj4ELNS0_20block_sort_algorithmE0EEENS0_14default_configENS1_37merge_sort_block_sort_config_selectorIflEENS1_38merge_sort_block_merge_config_selectorIflEEEEvv,"axG",@progbits,_ZN7rocprim17ROCPRIM_400000_NS6detail44device_merge_sort_compile_time_verifier_archINS1_11comp_targetILNS1_3genE3ELNS1_11target_archE908ELNS1_3gpuE7ELNS1_3repE0EEES8_NS1_28merge_sort_block_sort_configILj256ELj4ELNS0_20block_sort_algorithmE0EEENS0_14default_configENS1_37merge_sort_block_sort_config_selectorIflEENS1_38merge_sort_block_merge_config_selectorIflEEEEvv,comdat
	.protected	_ZN7rocprim17ROCPRIM_400000_NS6detail44device_merge_sort_compile_time_verifier_archINS1_11comp_targetILNS1_3genE3ELNS1_11target_archE908ELNS1_3gpuE7ELNS1_3repE0EEES8_NS1_28merge_sort_block_sort_configILj256ELj4ELNS0_20block_sort_algorithmE0EEENS0_14default_configENS1_37merge_sort_block_sort_config_selectorIflEENS1_38merge_sort_block_merge_config_selectorIflEEEEvv ; -- Begin function _ZN7rocprim17ROCPRIM_400000_NS6detail44device_merge_sort_compile_time_verifier_archINS1_11comp_targetILNS1_3genE3ELNS1_11target_archE908ELNS1_3gpuE7ELNS1_3repE0EEES8_NS1_28merge_sort_block_sort_configILj256ELj4ELNS0_20block_sort_algorithmE0EEENS0_14default_configENS1_37merge_sort_block_sort_config_selectorIflEENS1_38merge_sort_block_merge_config_selectorIflEEEEvv
	.globl	_ZN7rocprim17ROCPRIM_400000_NS6detail44device_merge_sort_compile_time_verifier_archINS1_11comp_targetILNS1_3genE3ELNS1_11target_archE908ELNS1_3gpuE7ELNS1_3repE0EEES8_NS1_28merge_sort_block_sort_configILj256ELj4ELNS0_20block_sort_algorithmE0EEENS0_14default_configENS1_37merge_sort_block_sort_config_selectorIflEENS1_38merge_sort_block_merge_config_selectorIflEEEEvv
	.p2align	8
	.type	_ZN7rocprim17ROCPRIM_400000_NS6detail44device_merge_sort_compile_time_verifier_archINS1_11comp_targetILNS1_3genE3ELNS1_11target_archE908ELNS1_3gpuE7ELNS1_3repE0EEES8_NS1_28merge_sort_block_sort_configILj256ELj4ELNS0_20block_sort_algorithmE0EEENS0_14default_configENS1_37merge_sort_block_sort_config_selectorIflEENS1_38merge_sort_block_merge_config_selectorIflEEEEvv,@function
_ZN7rocprim17ROCPRIM_400000_NS6detail44device_merge_sort_compile_time_verifier_archINS1_11comp_targetILNS1_3genE3ELNS1_11target_archE908ELNS1_3gpuE7ELNS1_3repE0EEES8_NS1_28merge_sort_block_sort_configILj256ELj4ELNS0_20block_sort_algorithmE0EEENS0_14default_configENS1_37merge_sort_block_sort_config_selectorIflEENS1_38merge_sort_block_merge_config_selectorIflEEEEvv: ; @_ZN7rocprim17ROCPRIM_400000_NS6detail44device_merge_sort_compile_time_verifier_archINS1_11comp_targetILNS1_3genE3ELNS1_11target_archE908ELNS1_3gpuE7ELNS1_3repE0EEES8_NS1_28merge_sort_block_sort_configILj256ELj4ELNS0_20block_sort_algorithmE0EEENS0_14default_configENS1_37merge_sort_block_sort_config_selectorIflEENS1_38merge_sort_block_merge_config_selectorIflEEEEvv
; %bb.0:
	s_endpgm
	.section	.rodata,"a",@progbits
	.p2align	6, 0x0
	.amdhsa_kernel _ZN7rocprim17ROCPRIM_400000_NS6detail44device_merge_sort_compile_time_verifier_archINS1_11comp_targetILNS1_3genE3ELNS1_11target_archE908ELNS1_3gpuE7ELNS1_3repE0EEES8_NS1_28merge_sort_block_sort_configILj256ELj4ELNS0_20block_sort_algorithmE0EEENS0_14default_configENS1_37merge_sort_block_sort_config_selectorIflEENS1_38merge_sort_block_merge_config_selectorIflEEEEvv
		.amdhsa_group_segment_fixed_size 0
		.amdhsa_private_segment_fixed_size 0
		.amdhsa_kernarg_size 0
		.amdhsa_user_sgpr_count 4
		.amdhsa_user_sgpr_private_segment_buffer 1
		.amdhsa_user_sgpr_dispatch_ptr 0
		.amdhsa_user_sgpr_queue_ptr 0
		.amdhsa_user_sgpr_kernarg_segment_ptr 0
		.amdhsa_user_sgpr_dispatch_id 0
		.amdhsa_user_sgpr_flat_scratch_init 0
		.amdhsa_user_sgpr_private_segment_size 0
		.amdhsa_uses_dynamic_stack 0
		.amdhsa_system_sgpr_private_segment_wavefront_offset 0
		.amdhsa_system_sgpr_workgroup_id_x 1
		.amdhsa_system_sgpr_workgroup_id_y 0
		.amdhsa_system_sgpr_workgroup_id_z 0
		.amdhsa_system_sgpr_workgroup_info 0
		.amdhsa_system_vgpr_workitem_id 0
		.amdhsa_next_free_vgpr 1
		.amdhsa_next_free_sgpr 0
		.amdhsa_reserve_vcc 0
		.amdhsa_reserve_flat_scratch 0
		.amdhsa_float_round_mode_32 0
		.amdhsa_float_round_mode_16_64 0
		.amdhsa_float_denorm_mode_32 3
		.amdhsa_float_denorm_mode_16_64 3
		.amdhsa_dx10_clamp 1
		.amdhsa_ieee_mode 1
		.amdhsa_fp16_overflow 0
		.amdhsa_exception_fp_ieee_invalid_op 0
		.amdhsa_exception_fp_denorm_src 0
		.amdhsa_exception_fp_ieee_div_zero 0
		.amdhsa_exception_fp_ieee_overflow 0
		.amdhsa_exception_fp_ieee_underflow 0
		.amdhsa_exception_fp_ieee_inexact 0
		.amdhsa_exception_int_div_zero 0
	.end_amdhsa_kernel
	.section	.text._ZN7rocprim17ROCPRIM_400000_NS6detail44device_merge_sort_compile_time_verifier_archINS1_11comp_targetILNS1_3genE3ELNS1_11target_archE908ELNS1_3gpuE7ELNS1_3repE0EEES8_NS1_28merge_sort_block_sort_configILj256ELj4ELNS0_20block_sort_algorithmE0EEENS0_14default_configENS1_37merge_sort_block_sort_config_selectorIflEENS1_38merge_sort_block_merge_config_selectorIflEEEEvv,"axG",@progbits,_ZN7rocprim17ROCPRIM_400000_NS6detail44device_merge_sort_compile_time_verifier_archINS1_11comp_targetILNS1_3genE3ELNS1_11target_archE908ELNS1_3gpuE7ELNS1_3repE0EEES8_NS1_28merge_sort_block_sort_configILj256ELj4ELNS0_20block_sort_algorithmE0EEENS0_14default_configENS1_37merge_sort_block_sort_config_selectorIflEENS1_38merge_sort_block_merge_config_selectorIflEEEEvv,comdat
.Lfunc_end1754:
	.size	_ZN7rocprim17ROCPRIM_400000_NS6detail44device_merge_sort_compile_time_verifier_archINS1_11comp_targetILNS1_3genE3ELNS1_11target_archE908ELNS1_3gpuE7ELNS1_3repE0EEES8_NS1_28merge_sort_block_sort_configILj256ELj4ELNS0_20block_sort_algorithmE0EEENS0_14default_configENS1_37merge_sort_block_sort_config_selectorIflEENS1_38merge_sort_block_merge_config_selectorIflEEEEvv, .Lfunc_end1754-_ZN7rocprim17ROCPRIM_400000_NS6detail44device_merge_sort_compile_time_verifier_archINS1_11comp_targetILNS1_3genE3ELNS1_11target_archE908ELNS1_3gpuE7ELNS1_3repE0EEES8_NS1_28merge_sort_block_sort_configILj256ELj4ELNS0_20block_sort_algorithmE0EEENS0_14default_configENS1_37merge_sort_block_sort_config_selectorIflEENS1_38merge_sort_block_merge_config_selectorIflEEEEvv
                                        ; -- End function
	.set _ZN7rocprim17ROCPRIM_400000_NS6detail44device_merge_sort_compile_time_verifier_archINS1_11comp_targetILNS1_3genE3ELNS1_11target_archE908ELNS1_3gpuE7ELNS1_3repE0EEES8_NS1_28merge_sort_block_sort_configILj256ELj4ELNS0_20block_sort_algorithmE0EEENS0_14default_configENS1_37merge_sort_block_sort_config_selectorIflEENS1_38merge_sort_block_merge_config_selectorIflEEEEvv.num_vgpr, 0
	.set _ZN7rocprim17ROCPRIM_400000_NS6detail44device_merge_sort_compile_time_verifier_archINS1_11comp_targetILNS1_3genE3ELNS1_11target_archE908ELNS1_3gpuE7ELNS1_3repE0EEES8_NS1_28merge_sort_block_sort_configILj256ELj4ELNS0_20block_sort_algorithmE0EEENS0_14default_configENS1_37merge_sort_block_sort_config_selectorIflEENS1_38merge_sort_block_merge_config_selectorIflEEEEvv.num_agpr, 0
	.set _ZN7rocprim17ROCPRIM_400000_NS6detail44device_merge_sort_compile_time_verifier_archINS1_11comp_targetILNS1_3genE3ELNS1_11target_archE908ELNS1_3gpuE7ELNS1_3repE0EEES8_NS1_28merge_sort_block_sort_configILj256ELj4ELNS0_20block_sort_algorithmE0EEENS0_14default_configENS1_37merge_sort_block_sort_config_selectorIflEENS1_38merge_sort_block_merge_config_selectorIflEEEEvv.numbered_sgpr, 0
	.set _ZN7rocprim17ROCPRIM_400000_NS6detail44device_merge_sort_compile_time_verifier_archINS1_11comp_targetILNS1_3genE3ELNS1_11target_archE908ELNS1_3gpuE7ELNS1_3repE0EEES8_NS1_28merge_sort_block_sort_configILj256ELj4ELNS0_20block_sort_algorithmE0EEENS0_14default_configENS1_37merge_sort_block_sort_config_selectorIflEENS1_38merge_sort_block_merge_config_selectorIflEEEEvv.num_named_barrier, 0
	.set _ZN7rocprim17ROCPRIM_400000_NS6detail44device_merge_sort_compile_time_verifier_archINS1_11comp_targetILNS1_3genE3ELNS1_11target_archE908ELNS1_3gpuE7ELNS1_3repE0EEES8_NS1_28merge_sort_block_sort_configILj256ELj4ELNS0_20block_sort_algorithmE0EEENS0_14default_configENS1_37merge_sort_block_sort_config_selectorIflEENS1_38merge_sort_block_merge_config_selectorIflEEEEvv.private_seg_size, 0
	.set _ZN7rocprim17ROCPRIM_400000_NS6detail44device_merge_sort_compile_time_verifier_archINS1_11comp_targetILNS1_3genE3ELNS1_11target_archE908ELNS1_3gpuE7ELNS1_3repE0EEES8_NS1_28merge_sort_block_sort_configILj256ELj4ELNS0_20block_sort_algorithmE0EEENS0_14default_configENS1_37merge_sort_block_sort_config_selectorIflEENS1_38merge_sort_block_merge_config_selectorIflEEEEvv.uses_vcc, 0
	.set _ZN7rocprim17ROCPRIM_400000_NS6detail44device_merge_sort_compile_time_verifier_archINS1_11comp_targetILNS1_3genE3ELNS1_11target_archE908ELNS1_3gpuE7ELNS1_3repE0EEES8_NS1_28merge_sort_block_sort_configILj256ELj4ELNS0_20block_sort_algorithmE0EEENS0_14default_configENS1_37merge_sort_block_sort_config_selectorIflEENS1_38merge_sort_block_merge_config_selectorIflEEEEvv.uses_flat_scratch, 0
	.set _ZN7rocprim17ROCPRIM_400000_NS6detail44device_merge_sort_compile_time_verifier_archINS1_11comp_targetILNS1_3genE3ELNS1_11target_archE908ELNS1_3gpuE7ELNS1_3repE0EEES8_NS1_28merge_sort_block_sort_configILj256ELj4ELNS0_20block_sort_algorithmE0EEENS0_14default_configENS1_37merge_sort_block_sort_config_selectorIflEENS1_38merge_sort_block_merge_config_selectorIflEEEEvv.has_dyn_sized_stack, 0
	.set _ZN7rocprim17ROCPRIM_400000_NS6detail44device_merge_sort_compile_time_verifier_archINS1_11comp_targetILNS1_3genE3ELNS1_11target_archE908ELNS1_3gpuE7ELNS1_3repE0EEES8_NS1_28merge_sort_block_sort_configILj256ELj4ELNS0_20block_sort_algorithmE0EEENS0_14default_configENS1_37merge_sort_block_sort_config_selectorIflEENS1_38merge_sort_block_merge_config_selectorIflEEEEvv.has_recursion, 0
	.set _ZN7rocprim17ROCPRIM_400000_NS6detail44device_merge_sort_compile_time_verifier_archINS1_11comp_targetILNS1_3genE3ELNS1_11target_archE908ELNS1_3gpuE7ELNS1_3repE0EEES8_NS1_28merge_sort_block_sort_configILj256ELj4ELNS0_20block_sort_algorithmE0EEENS0_14default_configENS1_37merge_sort_block_sort_config_selectorIflEENS1_38merge_sort_block_merge_config_selectorIflEEEEvv.has_indirect_call, 0
	.section	.AMDGPU.csdata,"",@progbits
; Kernel info:
; codeLenInByte = 4
; TotalNumSgprs: 4
; NumVgprs: 0
; ScratchSize: 0
; MemoryBound: 0
; FloatMode: 240
; IeeeMode: 1
; LDSByteSize: 0 bytes/workgroup (compile time only)
; SGPRBlocks: 0
; VGPRBlocks: 0
; NumSGPRsForWavesPerEU: 4
; NumVGPRsForWavesPerEU: 1
; Occupancy: 10
; WaveLimiterHint : 0
; COMPUTE_PGM_RSRC2:SCRATCH_EN: 0
; COMPUTE_PGM_RSRC2:USER_SGPR: 4
; COMPUTE_PGM_RSRC2:TRAP_HANDLER: 0
; COMPUTE_PGM_RSRC2:TGID_X_EN: 1
; COMPUTE_PGM_RSRC2:TGID_Y_EN: 0
; COMPUTE_PGM_RSRC2:TGID_Z_EN: 0
; COMPUTE_PGM_RSRC2:TIDIG_COMP_CNT: 0
	.section	.text._ZN7rocprim17ROCPRIM_400000_NS6detail44device_merge_sort_compile_time_verifier_archINS1_11comp_targetILNS1_3genE2ELNS1_11target_archE906ELNS1_3gpuE6ELNS1_3repE0EEES8_NS1_28merge_sort_block_sort_configILj256ELj4ELNS0_20block_sort_algorithmE0EEENS0_14default_configENS1_37merge_sort_block_sort_config_selectorIflEENS1_38merge_sort_block_merge_config_selectorIflEEEEvv,"axG",@progbits,_ZN7rocprim17ROCPRIM_400000_NS6detail44device_merge_sort_compile_time_verifier_archINS1_11comp_targetILNS1_3genE2ELNS1_11target_archE906ELNS1_3gpuE6ELNS1_3repE0EEES8_NS1_28merge_sort_block_sort_configILj256ELj4ELNS0_20block_sort_algorithmE0EEENS0_14default_configENS1_37merge_sort_block_sort_config_selectorIflEENS1_38merge_sort_block_merge_config_selectorIflEEEEvv,comdat
	.protected	_ZN7rocprim17ROCPRIM_400000_NS6detail44device_merge_sort_compile_time_verifier_archINS1_11comp_targetILNS1_3genE2ELNS1_11target_archE906ELNS1_3gpuE6ELNS1_3repE0EEES8_NS1_28merge_sort_block_sort_configILj256ELj4ELNS0_20block_sort_algorithmE0EEENS0_14default_configENS1_37merge_sort_block_sort_config_selectorIflEENS1_38merge_sort_block_merge_config_selectorIflEEEEvv ; -- Begin function _ZN7rocprim17ROCPRIM_400000_NS6detail44device_merge_sort_compile_time_verifier_archINS1_11comp_targetILNS1_3genE2ELNS1_11target_archE906ELNS1_3gpuE6ELNS1_3repE0EEES8_NS1_28merge_sort_block_sort_configILj256ELj4ELNS0_20block_sort_algorithmE0EEENS0_14default_configENS1_37merge_sort_block_sort_config_selectorIflEENS1_38merge_sort_block_merge_config_selectorIflEEEEvv
	.globl	_ZN7rocprim17ROCPRIM_400000_NS6detail44device_merge_sort_compile_time_verifier_archINS1_11comp_targetILNS1_3genE2ELNS1_11target_archE906ELNS1_3gpuE6ELNS1_3repE0EEES8_NS1_28merge_sort_block_sort_configILj256ELj4ELNS0_20block_sort_algorithmE0EEENS0_14default_configENS1_37merge_sort_block_sort_config_selectorIflEENS1_38merge_sort_block_merge_config_selectorIflEEEEvv
	.p2align	8
	.type	_ZN7rocprim17ROCPRIM_400000_NS6detail44device_merge_sort_compile_time_verifier_archINS1_11comp_targetILNS1_3genE2ELNS1_11target_archE906ELNS1_3gpuE6ELNS1_3repE0EEES8_NS1_28merge_sort_block_sort_configILj256ELj4ELNS0_20block_sort_algorithmE0EEENS0_14default_configENS1_37merge_sort_block_sort_config_selectorIflEENS1_38merge_sort_block_merge_config_selectorIflEEEEvv,@function
_ZN7rocprim17ROCPRIM_400000_NS6detail44device_merge_sort_compile_time_verifier_archINS1_11comp_targetILNS1_3genE2ELNS1_11target_archE906ELNS1_3gpuE6ELNS1_3repE0EEES8_NS1_28merge_sort_block_sort_configILj256ELj4ELNS0_20block_sort_algorithmE0EEENS0_14default_configENS1_37merge_sort_block_sort_config_selectorIflEENS1_38merge_sort_block_merge_config_selectorIflEEEEvv: ; @_ZN7rocprim17ROCPRIM_400000_NS6detail44device_merge_sort_compile_time_verifier_archINS1_11comp_targetILNS1_3genE2ELNS1_11target_archE906ELNS1_3gpuE6ELNS1_3repE0EEES8_NS1_28merge_sort_block_sort_configILj256ELj4ELNS0_20block_sort_algorithmE0EEENS0_14default_configENS1_37merge_sort_block_sort_config_selectorIflEENS1_38merge_sort_block_merge_config_selectorIflEEEEvv
; %bb.0:
	s_endpgm
	.section	.rodata,"a",@progbits
	.p2align	6, 0x0
	.amdhsa_kernel _ZN7rocprim17ROCPRIM_400000_NS6detail44device_merge_sort_compile_time_verifier_archINS1_11comp_targetILNS1_3genE2ELNS1_11target_archE906ELNS1_3gpuE6ELNS1_3repE0EEES8_NS1_28merge_sort_block_sort_configILj256ELj4ELNS0_20block_sort_algorithmE0EEENS0_14default_configENS1_37merge_sort_block_sort_config_selectorIflEENS1_38merge_sort_block_merge_config_selectorIflEEEEvv
		.amdhsa_group_segment_fixed_size 0
		.amdhsa_private_segment_fixed_size 0
		.amdhsa_kernarg_size 0
		.amdhsa_user_sgpr_count 4
		.amdhsa_user_sgpr_private_segment_buffer 1
		.amdhsa_user_sgpr_dispatch_ptr 0
		.amdhsa_user_sgpr_queue_ptr 0
		.amdhsa_user_sgpr_kernarg_segment_ptr 0
		.amdhsa_user_sgpr_dispatch_id 0
		.amdhsa_user_sgpr_flat_scratch_init 0
		.amdhsa_user_sgpr_private_segment_size 0
		.amdhsa_uses_dynamic_stack 0
		.amdhsa_system_sgpr_private_segment_wavefront_offset 0
		.amdhsa_system_sgpr_workgroup_id_x 1
		.amdhsa_system_sgpr_workgroup_id_y 0
		.amdhsa_system_sgpr_workgroup_id_z 0
		.amdhsa_system_sgpr_workgroup_info 0
		.amdhsa_system_vgpr_workitem_id 0
		.amdhsa_next_free_vgpr 1
		.amdhsa_next_free_sgpr 0
		.amdhsa_reserve_vcc 0
		.amdhsa_reserve_flat_scratch 0
		.amdhsa_float_round_mode_32 0
		.amdhsa_float_round_mode_16_64 0
		.amdhsa_float_denorm_mode_32 3
		.amdhsa_float_denorm_mode_16_64 3
		.amdhsa_dx10_clamp 1
		.amdhsa_ieee_mode 1
		.amdhsa_fp16_overflow 0
		.amdhsa_exception_fp_ieee_invalid_op 0
		.amdhsa_exception_fp_denorm_src 0
		.amdhsa_exception_fp_ieee_div_zero 0
		.amdhsa_exception_fp_ieee_overflow 0
		.amdhsa_exception_fp_ieee_underflow 0
		.amdhsa_exception_fp_ieee_inexact 0
		.amdhsa_exception_int_div_zero 0
	.end_amdhsa_kernel
	.section	.text._ZN7rocprim17ROCPRIM_400000_NS6detail44device_merge_sort_compile_time_verifier_archINS1_11comp_targetILNS1_3genE2ELNS1_11target_archE906ELNS1_3gpuE6ELNS1_3repE0EEES8_NS1_28merge_sort_block_sort_configILj256ELj4ELNS0_20block_sort_algorithmE0EEENS0_14default_configENS1_37merge_sort_block_sort_config_selectorIflEENS1_38merge_sort_block_merge_config_selectorIflEEEEvv,"axG",@progbits,_ZN7rocprim17ROCPRIM_400000_NS6detail44device_merge_sort_compile_time_verifier_archINS1_11comp_targetILNS1_3genE2ELNS1_11target_archE906ELNS1_3gpuE6ELNS1_3repE0EEES8_NS1_28merge_sort_block_sort_configILj256ELj4ELNS0_20block_sort_algorithmE0EEENS0_14default_configENS1_37merge_sort_block_sort_config_selectorIflEENS1_38merge_sort_block_merge_config_selectorIflEEEEvv,comdat
.Lfunc_end1755:
	.size	_ZN7rocprim17ROCPRIM_400000_NS6detail44device_merge_sort_compile_time_verifier_archINS1_11comp_targetILNS1_3genE2ELNS1_11target_archE906ELNS1_3gpuE6ELNS1_3repE0EEES8_NS1_28merge_sort_block_sort_configILj256ELj4ELNS0_20block_sort_algorithmE0EEENS0_14default_configENS1_37merge_sort_block_sort_config_selectorIflEENS1_38merge_sort_block_merge_config_selectorIflEEEEvv, .Lfunc_end1755-_ZN7rocprim17ROCPRIM_400000_NS6detail44device_merge_sort_compile_time_verifier_archINS1_11comp_targetILNS1_3genE2ELNS1_11target_archE906ELNS1_3gpuE6ELNS1_3repE0EEES8_NS1_28merge_sort_block_sort_configILj256ELj4ELNS0_20block_sort_algorithmE0EEENS0_14default_configENS1_37merge_sort_block_sort_config_selectorIflEENS1_38merge_sort_block_merge_config_selectorIflEEEEvv
                                        ; -- End function
	.set _ZN7rocprim17ROCPRIM_400000_NS6detail44device_merge_sort_compile_time_verifier_archINS1_11comp_targetILNS1_3genE2ELNS1_11target_archE906ELNS1_3gpuE6ELNS1_3repE0EEES8_NS1_28merge_sort_block_sort_configILj256ELj4ELNS0_20block_sort_algorithmE0EEENS0_14default_configENS1_37merge_sort_block_sort_config_selectorIflEENS1_38merge_sort_block_merge_config_selectorIflEEEEvv.num_vgpr, 0
	.set _ZN7rocprim17ROCPRIM_400000_NS6detail44device_merge_sort_compile_time_verifier_archINS1_11comp_targetILNS1_3genE2ELNS1_11target_archE906ELNS1_3gpuE6ELNS1_3repE0EEES8_NS1_28merge_sort_block_sort_configILj256ELj4ELNS0_20block_sort_algorithmE0EEENS0_14default_configENS1_37merge_sort_block_sort_config_selectorIflEENS1_38merge_sort_block_merge_config_selectorIflEEEEvv.num_agpr, 0
	.set _ZN7rocprim17ROCPRIM_400000_NS6detail44device_merge_sort_compile_time_verifier_archINS1_11comp_targetILNS1_3genE2ELNS1_11target_archE906ELNS1_3gpuE6ELNS1_3repE0EEES8_NS1_28merge_sort_block_sort_configILj256ELj4ELNS0_20block_sort_algorithmE0EEENS0_14default_configENS1_37merge_sort_block_sort_config_selectorIflEENS1_38merge_sort_block_merge_config_selectorIflEEEEvv.numbered_sgpr, 0
	.set _ZN7rocprim17ROCPRIM_400000_NS6detail44device_merge_sort_compile_time_verifier_archINS1_11comp_targetILNS1_3genE2ELNS1_11target_archE906ELNS1_3gpuE6ELNS1_3repE0EEES8_NS1_28merge_sort_block_sort_configILj256ELj4ELNS0_20block_sort_algorithmE0EEENS0_14default_configENS1_37merge_sort_block_sort_config_selectorIflEENS1_38merge_sort_block_merge_config_selectorIflEEEEvv.num_named_barrier, 0
	.set _ZN7rocprim17ROCPRIM_400000_NS6detail44device_merge_sort_compile_time_verifier_archINS1_11comp_targetILNS1_3genE2ELNS1_11target_archE906ELNS1_3gpuE6ELNS1_3repE0EEES8_NS1_28merge_sort_block_sort_configILj256ELj4ELNS0_20block_sort_algorithmE0EEENS0_14default_configENS1_37merge_sort_block_sort_config_selectorIflEENS1_38merge_sort_block_merge_config_selectorIflEEEEvv.private_seg_size, 0
	.set _ZN7rocprim17ROCPRIM_400000_NS6detail44device_merge_sort_compile_time_verifier_archINS1_11comp_targetILNS1_3genE2ELNS1_11target_archE906ELNS1_3gpuE6ELNS1_3repE0EEES8_NS1_28merge_sort_block_sort_configILj256ELj4ELNS0_20block_sort_algorithmE0EEENS0_14default_configENS1_37merge_sort_block_sort_config_selectorIflEENS1_38merge_sort_block_merge_config_selectorIflEEEEvv.uses_vcc, 0
	.set _ZN7rocprim17ROCPRIM_400000_NS6detail44device_merge_sort_compile_time_verifier_archINS1_11comp_targetILNS1_3genE2ELNS1_11target_archE906ELNS1_3gpuE6ELNS1_3repE0EEES8_NS1_28merge_sort_block_sort_configILj256ELj4ELNS0_20block_sort_algorithmE0EEENS0_14default_configENS1_37merge_sort_block_sort_config_selectorIflEENS1_38merge_sort_block_merge_config_selectorIflEEEEvv.uses_flat_scratch, 0
	.set _ZN7rocprim17ROCPRIM_400000_NS6detail44device_merge_sort_compile_time_verifier_archINS1_11comp_targetILNS1_3genE2ELNS1_11target_archE906ELNS1_3gpuE6ELNS1_3repE0EEES8_NS1_28merge_sort_block_sort_configILj256ELj4ELNS0_20block_sort_algorithmE0EEENS0_14default_configENS1_37merge_sort_block_sort_config_selectorIflEENS1_38merge_sort_block_merge_config_selectorIflEEEEvv.has_dyn_sized_stack, 0
	.set _ZN7rocprim17ROCPRIM_400000_NS6detail44device_merge_sort_compile_time_verifier_archINS1_11comp_targetILNS1_3genE2ELNS1_11target_archE906ELNS1_3gpuE6ELNS1_3repE0EEES8_NS1_28merge_sort_block_sort_configILj256ELj4ELNS0_20block_sort_algorithmE0EEENS0_14default_configENS1_37merge_sort_block_sort_config_selectorIflEENS1_38merge_sort_block_merge_config_selectorIflEEEEvv.has_recursion, 0
	.set _ZN7rocprim17ROCPRIM_400000_NS6detail44device_merge_sort_compile_time_verifier_archINS1_11comp_targetILNS1_3genE2ELNS1_11target_archE906ELNS1_3gpuE6ELNS1_3repE0EEES8_NS1_28merge_sort_block_sort_configILj256ELj4ELNS0_20block_sort_algorithmE0EEENS0_14default_configENS1_37merge_sort_block_sort_config_selectorIflEENS1_38merge_sort_block_merge_config_selectorIflEEEEvv.has_indirect_call, 0
	.section	.AMDGPU.csdata,"",@progbits
; Kernel info:
; codeLenInByte = 4
; TotalNumSgprs: 4
; NumVgprs: 0
; ScratchSize: 0
; MemoryBound: 0
; FloatMode: 240
; IeeeMode: 1
; LDSByteSize: 0 bytes/workgroup (compile time only)
; SGPRBlocks: 0
; VGPRBlocks: 0
; NumSGPRsForWavesPerEU: 4
; NumVGPRsForWavesPerEU: 1
; Occupancy: 10
; WaveLimiterHint : 0
; COMPUTE_PGM_RSRC2:SCRATCH_EN: 0
; COMPUTE_PGM_RSRC2:USER_SGPR: 4
; COMPUTE_PGM_RSRC2:TRAP_HANDLER: 0
; COMPUTE_PGM_RSRC2:TGID_X_EN: 1
; COMPUTE_PGM_RSRC2:TGID_Y_EN: 0
; COMPUTE_PGM_RSRC2:TGID_Z_EN: 0
; COMPUTE_PGM_RSRC2:TIDIG_COMP_CNT: 0
	.section	.text._ZN7rocprim17ROCPRIM_400000_NS6detail44device_merge_sort_compile_time_verifier_archINS1_11comp_targetILNS1_3genE10ELNS1_11target_archE1201ELNS1_3gpuE5ELNS1_3repE0EEES8_NS1_28merge_sort_block_sort_configILj256ELj4ELNS0_20block_sort_algorithmE0EEENS0_14default_configENS1_37merge_sort_block_sort_config_selectorIflEENS1_38merge_sort_block_merge_config_selectorIflEEEEvv,"axG",@progbits,_ZN7rocprim17ROCPRIM_400000_NS6detail44device_merge_sort_compile_time_verifier_archINS1_11comp_targetILNS1_3genE10ELNS1_11target_archE1201ELNS1_3gpuE5ELNS1_3repE0EEES8_NS1_28merge_sort_block_sort_configILj256ELj4ELNS0_20block_sort_algorithmE0EEENS0_14default_configENS1_37merge_sort_block_sort_config_selectorIflEENS1_38merge_sort_block_merge_config_selectorIflEEEEvv,comdat
	.protected	_ZN7rocprim17ROCPRIM_400000_NS6detail44device_merge_sort_compile_time_verifier_archINS1_11comp_targetILNS1_3genE10ELNS1_11target_archE1201ELNS1_3gpuE5ELNS1_3repE0EEES8_NS1_28merge_sort_block_sort_configILj256ELj4ELNS0_20block_sort_algorithmE0EEENS0_14default_configENS1_37merge_sort_block_sort_config_selectorIflEENS1_38merge_sort_block_merge_config_selectorIflEEEEvv ; -- Begin function _ZN7rocprim17ROCPRIM_400000_NS6detail44device_merge_sort_compile_time_verifier_archINS1_11comp_targetILNS1_3genE10ELNS1_11target_archE1201ELNS1_3gpuE5ELNS1_3repE0EEES8_NS1_28merge_sort_block_sort_configILj256ELj4ELNS0_20block_sort_algorithmE0EEENS0_14default_configENS1_37merge_sort_block_sort_config_selectorIflEENS1_38merge_sort_block_merge_config_selectorIflEEEEvv
	.globl	_ZN7rocprim17ROCPRIM_400000_NS6detail44device_merge_sort_compile_time_verifier_archINS1_11comp_targetILNS1_3genE10ELNS1_11target_archE1201ELNS1_3gpuE5ELNS1_3repE0EEES8_NS1_28merge_sort_block_sort_configILj256ELj4ELNS0_20block_sort_algorithmE0EEENS0_14default_configENS1_37merge_sort_block_sort_config_selectorIflEENS1_38merge_sort_block_merge_config_selectorIflEEEEvv
	.p2align	8
	.type	_ZN7rocprim17ROCPRIM_400000_NS6detail44device_merge_sort_compile_time_verifier_archINS1_11comp_targetILNS1_3genE10ELNS1_11target_archE1201ELNS1_3gpuE5ELNS1_3repE0EEES8_NS1_28merge_sort_block_sort_configILj256ELj4ELNS0_20block_sort_algorithmE0EEENS0_14default_configENS1_37merge_sort_block_sort_config_selectorIflEENS1_38merge_sort_block_merge_config_selectorIflEEEEvv,@function
_ZN7rocprim17ROCPRIM_400000_NS6detail44device_merge_sort_compile_time_verifier_archINS1_11comp_targetILNS1_3genE10ELNS1_11target_archE1201ELNS1_3gpuE5ELNS1_3repE0EEES8_NS1_28merge_sort_block_sort_configILj256ELj4ELNS0_20block_sort_algorithmE0EEENS0_14default_configENS1_37merge_sort_block_sort_config_selectorIflEENS1_38merge_sort_block_merge_config_selectorIflEEEEvv: ; @_ZN7rocprim17ROCPRIM_400000_NS6detail44device_merge_sort_compile_time_verifier_archINS1_11comp_targetILNS1_3genE10ELNS1_11target_archE1201ELNS1_3gpuE5ELNS1_3repE0EEES8_NS1_28merge_sort_block_sort_configILj256ELj4ELNS0_20block_sort_algorithmE0EEENS0_14default_configENS1_37merge_sort_block_sort_config_selectorIflEENS1_38merge_sort_block_merge_config_selectorIflEEEEvv
; %bb.0:
	s_endpgm
	.section	.rodata,"a",@progbits
	.p2align	6, 0x0
	.amdhsa_kernel _ZN7rocprim17ROCPRIM_400000_NS6detail44device_merge_sort_compile_time_verifier_archINS1_11comp_targetILNS1_3genE10ELNS1_11target_archE1201ELNS1_3gpuE5ELNS1_3repE0EEES8_NS1_28merge_sort_block_sort_configILj256ELj4ELNS0_20block_sort_algorithmE0EEENS0_14default_configENS1_37merge_sort_block_sort_config_selectorIflEENS1_38merge_sort_block_merge_config_selectorIflEEEEvv
		.amdhsa_group_segment_fixed_size 0
		.amdhsa_private_segment_fixed_size 0
		.amdhsa_kernarg_size 0
		.amdhsa_user_sgpr_count 4
		.amdhsa_user_sgpr_private_segment_buffer 1
		.amdhsa_user_sgpr_dispatch_ptr 0
		.amdhsa_user_sgpr_queue_ptr 0
		.amdhsa_user_sgpr_kernarg_segment_ptr 0
		.amdhsa_user_sgpr_dispatch_id 0
		.amdhsa_user_sgpr_flat_scratch_init 0
		.amdhsa_user_sgpr_private_segment_size 0
		.amdhsa_uses_dynamic_stack 0
		.amdhsa_system_sgpr_private_segment_wavefront_offset 0
		.amdhsa_system_sgpr_workgroup_id_x 1
		.amdhsa_system_sgpr_workgroup_id_y 0
		.amdhsa_system_sgpr_workgroup_id_z 0
		.amdhsa_system_sgpr_workgroup_info 0
		.amdhsa_system_vgpr_workitem_id 0
		.amdhsa_next_free_vgpr 1
		.amdhsa_next_free_sgpr 0
		.amdhsa_reserve_vcc 0
		.amdhsa_reserve_flat_scratch 0
		.amdhsa_float_round_mode_32 0
		.amdhsa_float_round_mode_16_64 0
		.amdhsa_float_denorm_mode_32 3
		.amdhsa_float_denorm_mode_16_64 3
		.amdhsa_dx10_clamp 1
		.amdhsa_ieee_mode 1
		.amdhsa_fp16_overflow 0
		.amdhsa_exception_fp_ieee_invalid_op 0
		.amdhsa_exception_fp_denorm_src 0
		.amdhsa_exception_fp_ieee_div_zero 0
		.amdhsa_exception_fp_ieee_overflow 0
		.amdhsa_exception_fp_ieee_underflow 0
		.amdhsa_exception_fp_ieee_inexact 0
		.amdhsa_exception_int_div_zero 0
	.end_amdhsa_kernel
	.section	.text._ZN7rocprim17ROCPRIM_400000_NS6detail44device_merge_sort_compile_time_verifier_archINS1_11comp_targetILNS1_3genE10ELNS1_11target_archE1201ELNS1_3gpuE5ELNS1_3repE0EEES8_NS1_28merge_sort_block_sort_configILj256ELj4ELNS0_20block_sort_algorithmE0EEENS0_14default_configENS1_37merge_sort_block_sort_config_selectorIflEENS1_38merge_sort_block_merge_config_selectorIflEEEEvv,"axG",@progbits,_ZN7rocprim17ROCPRIM_400000_NS6detail44device_merge_sort_compile_time_verifier_archINS1_11comp_targetILNS1_3genE10ELNS1_11target_archE1201ELNS1_3gpuE5ELNS1_3repE0EEES8_NS1_28merge_sort_block_sort_configILj256ELj4ELNS0_20block_sort_algorithmE0EEENS0_14default_configENS1_37merge_sort_block_sort_config_selectorIflEENS1_38merge_sort_block_merge_config_selectorIflEEEEvv,comdat
.Lfunc_end1756:
	.size	_ZN7rocprim17ROCPRIM_400000_NS6detail44device_merge_sort_compile_time_verifier_archINS1_11comp_targetILNS1_3genE10ELNS1_11target_archE1201ELNS1_3gpuE5ELNS1_3repE0EEES8_NS1_28merge_sort_block_sort_configILj256ELj4ELNS0_20block_sort_algorithmE0EEENS0_14default_configENS1_37merge_sort_block_sort_config_selectorIflEENS1_38merge_sort_block_merge_config_selectorIflEEEEvv, .Lfunc_end1756-_ZN7rocprim17ROCPRIM_400000_NS6detail44device_merge_sort_compile_time_verifier_archINS1_11comp_targetILNS1_3genE10ELNS1_11target_archE1201ELNS1_3gpuE5ELNS1_3repE0EEES8_NS1_28merge_sort_block_sort_configILj256ELj4ELNS0_20block_sort_algorithmE0EEENS0_14default_configENS1_37merge_sort_block_sort_config_selectorIflEENS1_38merge_sort_block_merge_config_selectorIflEEEEvv
                                        ; -- End function
	.set _ZN7rocprim17ROCPRIM_400000_NS6detail44device_merge_sort_compile_time_verifier_archINS1_11comp_targetILNS1_3genE10ELNS1_11target_archE1201ELNS1_3gpuE5ELNS1_3repE0EEES8_NS1_28merge_sort_block_sort_configILj256ELj4ELNS0_20block_sort_algorithmE0EEENS0_14default_configENS1_37merge_sort_block_sort_config_selectorIflEENS1_38merge_sort_block_merge_config_selectorIflEEEEvv.num_vgpr, 0
	.set _ZN7rocprim17ROCPRIM_400000_NS6detail44device_merge_sort_compile_time_verifier_archINS1_11comp_targetILNS1_3genE10ELNS1_11target_archE1201ELNS1_3gpuE5ELNS1_3repE0EEES8_NS1_28merge_sort_block_sort_configILj256ELj4ELNS0_20block_sort_algorithmE0EEENS0_14default_configENS1_37merge_sort_block_sort_config_selectorIflEENS1_38merge_sort_block_merge_config_selectorIflEEEEvv.num_agpr, 0
	.set _ZN7rocprim17ROCPRIM_400000_NS6detail44device_merge_sort_compile_time_verifier_archINS1_11comp_targetILNS1_3genE10ELNS1_11target_archE1201ELNS1_3gpuE5ELNS1_3repE0EEES8_NS1_28merge_sort_block_sort_configILj256ELj4ELNS0_20block_sort_algorithmE0EEENS0_14default_configENS1_37merge_sort_block_sort_config_selectorIflEENS1_38merge_sort_block_merge_config_selectorIflEEEEvv.numbered_sgpr, 0
	.set _ZN7rocprim17ROCPRIM_400000_NS6detail44device_merge_sort_compile_time_verifier_archINS1_11comp_targetILNS1_3genE10ELNS1_11target_archE1201ELNS1_3gpuE5ELNS1_3repE0EEES8_NS1_28merge_sort_block_sort_configILj256ELj4ELNS0_20block_sort_algorithmE0EEENS0_14default_configENS1_37merge_sort_block_sort_config_selectorIflEENS1_38merge_sort_block_merge_config_selectorIflEEEEvv.num_named_barrier, 0
	.set _ZN7rocprim17ROCPRIM_400000_NS6detail44device_merge_sort_compile_time_verifier_archINS1_11comp_targetILNS1_3genE10ELNS1_11target_archE1201ELNS1_3gpuE5ELNS1_3repE0EEES8_NS1_28merge_sort_block_sort_configILj256ELj4ELNS0_20block_sort_algorithmE0EEENS0_14default_configENS1_37merge_sort_block_sort_config_selectorIflEENS1_38merge_sort_block_merge_config_selectorIflEEEEvv.private_seg_size, 0
	.set _ZN7rocprim17ROCPRIM_400000_NS6detail44device_merge_sort_compile_time_verifier_archINS1_11comp_targetILNS1_3genE10ELNS1_11target_archE1201ELNS1_3gpuE5ELNS1_3repE0EEES8_NS1_28merge_sort_block_sort_configILj256ELj4ELNS0_20block_sort_algorithmE0EEENS0_14default_configENS1_37merge_sort_block_sort_config_selectorIflEENS1_38merge_sort_block_merge_config_selectorIflEEEEvv.uses_vcc, 0
	.set _ZN7rocprim17ROCPRIM_400000_NS6detail44device_merge_sort_compile_time_verifier_archINS1_11comp_targetILNS1_3genE10ELNS1_11target_archE1201ELNS1_3gpuE5ELNS1_3repE0EEES8_NS1_28merge_sort_block_sort_configILj256ELj4ELNS0_20block_sort_algorithmE0EEENS0_14default_configENS1_37merge_sort_block_sort_config_selectorIflEENS1_38merge_sort_block_merge_config_selectorIflEEEEvv.uses_flat_scratch, 0
	.set _ZN7rocprim17ROCPRIM_400000_NS6detail44device_merge_sort_compile_time_verifier_archINS1_11comp_targetILNS1_3genE10ELNS1_11target_archE1201ELNS1_3gpuE5ELNS1_3repE0EEES8_NS1_28merge_sort_block_sort_configILj256ELj4ELNS0_20block_sort_algorithmE0EEENS0_14default_configENS1_37merge_sort_block_sort_config_selectorIflEENS1_38merge_sort_block_merge_config_selectorIflEEEEvv.has_dyn_sized_stack, 0
	.set _ZN7rocprim17ROCPRIM_400000_NS6detail44device_merge_sort_compile_time_verifier_archINS1_11comp_targetILNS1_3genE10ELNS1_11target_archE1201ELNS1_3gpuE5ELNS1_3repE0EEES8_NS1_28merge_sort_block_sort_configILj256ELj4ELNS0_20block_sort_algorithmE0EEENS0_14default_configENS1_37merge_sort_block_sort_config_selectorIflEENS1_38merge_sort_block_merge_config_selectorIflEEEEvv.has_recursion, 0
	.set _ZN7rocprim17ROCPRIM_400000_NS6detail44device_merge_sort_compile_time_verifier_archINS1_11comp_targetILNS1_3genE10ELNS1_11target_archE1201ELNS1_3gpuE5ELNS1_3repE0EEES8_NS1_28merge_sort_block_sort_configILj256ELj4ELNS0_20block_sort_algorithmE0EEENS0_14default_configENS1_37merge_sort_block_sort_config_selectorIflEENS1_38merge_sort_block_merge_config_selectorIflEEEEvv.has_indirect_call, 0
	.section	.AMDGPU.csdata,"",@progbits
; Kernel info:
; codeLenInByte = 4
; TotalNumSgprs: 4
; NumVgprs: 0
; ScratchSize: 0
; MemoryBound: 0
; FloatMode: 240
; IeeeMode: 1
; LDSByteSize: 0 bytes/workgroup (compile time only)
; SGPRBlocks: 0
; VGPRBlocks: 0
; NumSGPRsForWavesPerEU: 4
; NumVGPRsForWavesPerEU: 1
; Occupancy: 10
; WaveLimiterHint : 0
; COMPUTE_PGM_RSRC2:SCRATCH_EN: 0
; COMPUTE_PGM_RSRC2:USER_SGPR: 4
; COMPUTE_PGM_RSRC2:TRAP_HANDLER: 0
; COMPUTE_PGM_RSRC2:TGID_X_EN: 1
; COMPUTE_PGM_RSRC2:TGID_Y_EN: 0
; COMPUTE_PGM_RSRC2:TGID_Z_EN: 0
; COMPUTE_PGM_RSRC2:TIDIG_COMP_CNT: 0
	.section	.text._ZN7rocprim17ROCPRIM_400000_NS6detail44device_merge_sort_compile_time_verifier_archINS1_11comp_targetILNS1_3genE10ELNS1_11target_archE1200ELNS1_3gpuE4ELNS1_3repE0EEENS3_ILS4_10ELS5_1201ELS6_5ELS7_0EEENS1_28merge_sort_block_sort_configILj256ELj4ELNS0_20block_sort_algorithmE0EEENS0_14default_configENS1_37merge_sort_block_sort_config_selectorIflEENS1_38merge_sort_block_merge_config_selectorIflEEEEvv,"axG",@progbits,_ZN7rocprim17ROCPRIM_400000_NS6detail44device_merge_sort_compile_time_verifier_archINS1_11comp_targetILNS1_3genE10ELNS1_11target_archE1200ELNS1_3gpuE4ELNS1_3repE0EEENS3_ILS4_10ELS5_1201ELS6_5ELS7_0EEENS1_28merge_sort_block_sort_configILj256ELj4ELNS0_20block_sort_algorithmE0EEENS0_14default_configENS1_37merge_sort_block_sort_config_selectorIflEENS1_38merge_sort_block_merge_config_selectorIflEEEEvv,comdat
	.protected	_ZN7rocprim17ROCPRIM_400000_NS6detail44device_merge_sort_compile_time_verifier_archINS1_11comp_targetILNS1_3genE10ELNS1_11target_archE1200ELNS1_3gpuE4ELNS1_3repE0EEENS3_ILS4_10ELS5_1201ELS6_5ELS7_0EEENS1_28merge_sort_block_sort_configILj256ELj4ELNS0_20block_sort_algorithmE0EEENS0_14default_configENS1_37merge_sort_block_sort_config_selectorIflEENS1_38merge_sort_block_merge_config_selectorIflEEEEvv ; -- Begin function _ZN7rocprim17ROCPRIM_400000_NS6detail44device_merge_sort_compile_time_verifier_archINS1_11comp_targetILNS1_3genE10ELNS1_11target_archE1200ELNS1_3gpuE4ELNS1_3repE0EEENS3_ILS4_10ELS5_1201ELS6_5ELS7_0EEENS1_28merge_sort_block_sort_configILj256ELj4ELNS0_20block_sort_algorithmE0EEENS0_14default_configENS1_37merge_sort_block_sort_config_selectorIflEENS1_38merge_sort_block_merge_config_selectorIflEEEEvv
	.globl	_ZN7rocprim17ROCPRIM_400000_NS6detail44device_merge_sort_compile_time_verifier_archINS1_11comp_targetILNS1_3genE10ELNS1_11target_archE1200ELNS1_3gpuE4ELNS1_3repE0EEENS3_ILS4_10ELS5_1201ELS6_5ELS7_0EEENS1_28merge_sort_block_sort_configILj256ELj4ELNS0_20block_sort_algorithmE0EEENS0_14default_configENS1_37merge_sort_block_sort_config_selectorIflEENS1_38merge_sort_block_merge_config_selectorIflEEEEvv
	.p2align	8
	.type	_ZN7rocprim17ROCPRIM_400000_NS6detail44device_merge_sort_compile_time_verifier_archINS1_11comp_targetILNS1_3genE10ELNS1_11target_archE1200ELNS1_3gpuE4ELNS1_3repE0EEENS3_ILS4_10ELS5_1201ELS6_5ELS7_0EEENS1_28merge_sort_block_sort_configILj256ELj4ELNS0_20block_sort_algorithmE0EEENS0_14default_configENS1_37merge_sort_block_sort_config_selectorIflEENS1_38merge_sort_block_merge_config_selectorIflEEEEvv,@function
_ZN7rocprim17ROCPRIM_400000_NS6detail44device_merge_sort_compile_time_verifier_archINS1_11comp_targetILNS1_3genE10ELNS1_11target_archE1200ELNS1_3gpuE4ELNS1_3repE0EEENS3_ILS4_10ELS5_1201ELS6_5ELS7_0EEENS1_28merge_sort_block_sort_configILj256ELj4ELNS0_20block_sort_algorithmE0EEENS0_14default_configENS1_37merge_sort_block_sort_config_selectorIflEENS1_38merge_sort_block_merge_config_selectorIflEEEEvv: ; @_ZN7rocprim17ROCPRIM_400000_NS6detail44device_merge_sort_compile_time_verifier_archINS1_11comp_targetILNS1_3genE10ELNS1_11target_archE1200ELNS1_3gpuE4ELNS1_3repE0EEENS3_ILS4_10ELS5_1201ELS6_5ELS7_0EEENS1_28merge_sort_block_sort_configILj256ELj4ELNS0_20block_sort_algorithmE0EEENS0_14default_configENS1_37merge_sort_block_sort_config_selectorIflEENS1_38merge_sort_block_merge_config_selectorIflEEEEvv
; %bb.0:
	s_endpgm
	.section	.rodata,"a",@progbits
	.p2align	6, 0x0
	.amdhsa_kernel _ZN7rocprim17ROCPRIM_400000_NS6detail44device_merge_sort_compile_time_verifier_archINS1_11comp_targetILNS1_3genE10ELNS1_11target_archE1200ELNS1_3gpuE4ELNS1_3repE0EEENS3_ILS4_10ELS5_1201ELS6_5ELS7_0EEENS1_28merge_sort_block_sort_configILj256ELj4ELNS0_20block_sort_algorithmE0EEENS0_14default_configENS1_37merge_sort_block_sort_config_selectorIflEENS1_38merge_sort_block_merge_config_selectorIflEEEEvv
		.amdhsa_group_segment_fixed_size 0
		.amdhsa_private_segment_fixed_size 0
		.amdhsa_kernarg_size 0
		.amdhsa_user_sgpr_count 4
		.amdhsa_user_sgpr_private_segment_buffer 1
		.amdhsa_user_sgpr_dispatch_ptr 0
		.amdhsa_user_sgpr_queue_ptr 0
		.amdhsa_user_sgpr_kernarg_segment_ptr 0
		.amdhsa_user_sgpr_dispatch_id 0
		.amdhsa_user_sgpr_flat_scratch_init 0
		.amdhsa_user_sgpr_private_segment_size 0
		.amdhsa_uses_dynamic_stack 0
		.amdhsa_system_sgpr_private_segment_wavefront_offset 0
		.amdhsa_system_sgpr_workgroup_id_x 1
		.amdhsa_system_sgpr_workgroup_id_y 0
		.amdhsa_system_sgpr_workgroup_id_z 0
		.amdhsa_system_sgpr_workgroup_info 0
		.amdhsa_system_vgpr_workitem_id 0
		.amdhsa_next_free_vgpr 1
		.amdhsa_next_free_sgpr 0
		.amdhsa_reserve_vcc 0
		.amdhsa_reserve_flat_scratch 0
		.amdhsa_float_round_mode_32 0
		.amdhsa_float_round_mode_16_64 0
		.amdhsa_float_denorm_mode_32 3
		.amdhsa_float_denorm_mode_16_64 3
		.amdhsa_dx10_clamp 1
		.amdhsa_ieee_mode 1
		.amdhsa_fp16_overflow 0
		.amdhsa_exception_fp_ieee_invalid_op 0
		.amdhsa_exception_fp_denorm_src 0
		.amdhsa_exception_fp_ieee_div_zero 0
		.amdhsa_exception_fp_ieee_overflow 0
		.amdhsa_exception_fp_ieee_underflow 0
		.amdhsa_exception_fp_ieee_inexact 0
		.amdhsa_exception_int_div_zero 0
	.end_amdhsa_kernel
	.section	.text._ZN7rocprim17ROCPRIM_400000_NS6detail44device_merge_sort_compile_time_verifier_archINS1_11comp_targetILNS1_3genE10ELNS1_11target_archE1200ELNS1_3gpuE4ELNS1_3repE0EEENS3_ILS4_10ELS5_1201ELS6_5ELS7_0EEENS1_28merge_sort_block_sort_configILj256ELj4ELNS0_20block_sort_algorithmE0EEENS0_14default_configENS1_37merge_sort_block_sort_config_selectorIflEENS1_38merge_sort_block_merge_config_selectorIflEEEEvv,"axG",@progbits,_ZN7rocprim17ROCPRIM_400000_NS6detail44device_merge_sort_compile_time_verifier_archINS1_11comp_targetILNS1_3genE10ELNS1_11target_archE1200ELNS1_3gpuE4ELNS1_3repE0EEENS3_ILS4_10ELS5_1201ELS6_5ELS7_0EEENS1_28merge_sort_block_sort_configILj256ELj4ELNS0_20block_sort_algorithmE0EEENS0_14default_configENS1_37merge_sort_block_sort_config_selectorIflEENS1_38merge_sort_block_merge_config_selectorIflEEEEvv,comdat
.Lfunc_end1757:
	.size	_ZN7rocprim17ROCPRIM_400000_NS6detail44device_merge_sort_compile_time_verifier_archINS1_11comp_targetILNS1_3genE10ELNS1_11target_archE1200ELNS1_3gpuE4ELNS1_3repE0EEENS3_ILS4_10ELS5_1201ELS6_5ELS7_0EEENS1_28merge_sort_block_sort_configILj256ELj4ELNS0_20block_sort_algorithmE0EEENS0_14default_configENS1_37merge_sort_block_sort_config_selectorIflEENS1_38merge_sort_block_merge_config_selectorIflEEEEvv, .Lfunc_end1757-_ZN7rocprim17ROCPRIM_400000_NS6detail44device_merge_sort_compile_time_verifier_archINS1_11comp_targetILNS1_3genE10ELNS1_11target_archE1200ELNS1_3gpuE4ELNS1_3repE0EEENS3_ILS4_10ELS5_1201ELS6_5ELS7_0EEENS1_28merge_sort_block_sort_configILj256ELj4ELNS0_20block_sort_algorithmE0EEENS0_14default_configENS1_37merge_sort_block_sort_config_selectorIflEENS1_38merge_sort_block_merge_config_selectorIflEEEEvv
                                        ; -- End function
	.set _ZN7rocprim17ROCPRIM_400000_NS6detail44device_merge_sort_compile_time_verifier_archINS1_11comp_targetILNS1_3genE10ELNS1_11target_archE1200ELNS1_3gpuE4ELNS1_3repE0EEENS3_ILS4_10ELS5_1201ELS6_5ELS7_0EEENS1_28merge_sort_block_sort_configILj256ELj4ELNS0_20block_sort_algorithmE0EEENS0_14default_configENS1_37merge_sort_block_sort_config_selectorIflEENS1_38merge_sort_block_merge_config_selectorIflEEEEvv.num_vgpr, 0
	.set _ZN7rocprim17ROCPRIM_400000_NS6detail44device_merge_sort_compile_time_verifier_archINS1_11comp_targetILNS1_3genE10ELNS1_11target_archE1200ELNS1_3gpuE4ELNS1_3repE0EEENS3_ILS4_10ELS5_1201ELS6_5ELS7_0EEENS1_28merge_sort_block_sort_configILj256ELj4ELNS0_20block_sort_algorithmE0EEENS0_14default_configENS1_37merge_sort_block_sort_config_selectorIflEENS1_38merge_sort_block_merge_config_selectorIflEEEEvv.num_agpr, 0
	.set _ZN7rocprim17ROCPRIM_400000_NS6detail44device_merge_sort_compile_time_verifier_archINS1_11comp_targetILNS1_3genE10ELNS1_11target_archE1200ELNS1_3gpuE4ELNS1_3repE0EEENS3_ILS4_10ELS5_1201ELS6_5ELS7_0EEENS1_28merge_sort_block_sort_configILj256ELj4ELNS0_20block_sort_algorithmE0EEENS0_14default_configENS1_37merge_sort_block_sort_config_selectorIflEENS1_38merge_sort_block_merge_config_selectorIflEEEEvv.numbered_sgpr, 0
	.set _ZN7rocprim17ROCPRIM_400000_NS6detail44device_merge_sort_compile_time_verifier_archINS1_11comp_targetILNS1_3genE10ELNS1_11target_archE1200ELNS1_3gpuE4ELNS1_3repE0EEENS3_ILS4_10ELS5_1201ELS6_5ELS7_0EEENS1_28merge_sort_block_sort_configILj256ELj4ELNS0_20block_sort_algorithmE0EEENS0_14default_configENS1_37merge_sort_block_sort_config_selectorIflEENS1_38merge_sort_block_merge_config_selectorIflEEEEvv.num_named_barrier, 0
	.set _ZN7rocprim17ROCPRIM_400000_NS6detail44device_merge_sort_compile_time_verifier_archINS1_11comp_targetILNS1_3genE10ELNS1_11target_archE1200ELNS1_3gpuE4ELNS1_3repE0EEENS3_ILS4_10ELS5_1201ELS6_5ELS7_0EEENS1_28merge_sort_block_sort_configILj256ELj4ELNS0_20block_sort_algorithmE0EEENS0_14default_configENS1_37merge_sort_block_sort_config_selectorIflEENS1_38merge_sort_block_merge_config_selectorIflEEEEvv.private_seg_size, 0
	.set _ZN7rocprim17ROCPRIM_400000_NS6detail44device_merge_sort_compile_time_verifier_archINS1_11comp_targetILNS1_3genE10ELNS1_11target_archE1200ELNS1_3gpuE4ELNS1_3repE0EEENS3_ILS4_10ELS5_1201ELS6_5ELS7_0EEENS1_28merge_sort_block_sort_configILj256ELj4ELNS0_20block_sort_algorithmE0EEENS0_14default_configENS1_37merge_sort_block_sort_config_selectorIflEENS1_38merge_sort_block_merge_config_selectorIflEEEEvv.uses_vcc, 0
	.set _ZN7rocprim17ROCPRIM_400000_NS6detail44device_merge_sort_compile_time_verifier_archINS1_11comp_targetILNS1_3genE10ELNS1_11target_archE1200ELNS1_3gpuE4ELNS1_3repE0EEENS3_ILS4_10ELS5_1201ELS6_5ELS7_0EEENS1_28merge_sort_block_sort_configILj256ELj4ELNS0_20block_sort_algorithmE0EEENS0_14default_configENS1_37merge_sort_block_sort_config_selectorIflEENS1_38merge_sort_block_merge_config_selectorIflEEEEvv.uses_flat_scratch, 0
	.set _ZN7rocprim17ROCPRIM_400000_NS6detail44device_merge_sort_compile_time_verifier_archINS1_11comp_targetILNS1_3genE10ELNS1_11target_archE1200ELNS1_3gpuE4ELNS1_3repE0EEENS3_ILS4_10ELS5_1201ELS6_5ELS7_0EEENS1_28merge_sort_block_sort_configILj256ELj4ELNS0_20block_sort_algorithmE0EEENS0_14default_configENS1_37merge_sort_block_sort_config_selectorIflEENS1_38merge_sort_block_merge_config_selectorIflEEEEvv.has_dyn_sized_stack, 0
	.set _ZN7rocprim17ROCPRIM_400000_NS6detail44device_merge_sort_compile_time_verifier_archINS1_11comp_targetILNS1_3genE10ELNS1_11target_archE1200ELNS1_3gpuE4ELNS1_3repE0EEENS3_ILS4_10ELS5_1201ELS6_5ELS7_0EEENS1_28merge_sort_block_sort_configILj256ELj4ELNS0_20block_sort_algorithmE0EEENS0_14default_configENS1_37merge_sort_block_sort_config_selectorIflEENS1_38merge_sort_block_merge_config_selectorIflEEEEvv.has_recursion, 0
	.set _ZN7rocprim17ROCPRIM_400000_NS6detail44device_merge_sort_compile_time_verifier_archINS1_11comp_targetILNS1_3genE10ELNS1_11target_archE1200ELNS1_3gpuE4ELNS1_3repE0EEENS3_ILS4_10ELS5_1201ELS6_5ELS7_0EEENS1_28merge_sort_block_sort_configILj256ELj4ELNS0_20block_sort_algorithmE0EEENS0_14default_configENS1_37merge_sort_block_sort_config_selectorIflEENS1_38merge_sort_block_merge_config_selectorIflEEEEvv.has_indirect_call, 0
	.section	.AMDGPU.csdata,"",@progbits
; Kernel info:
; codeLenInByte = 4
; TotalNumSgprs: 4
; NumVgprs: 0
; ScratchSize: 0
; MemoryBound: 0
; FloatMode: 240
; IeeeMode: 1
; LDSByteSize: 0 bytes/workgroup (compile time only)
; SGPRBlocks: 0
; VGPRBlocks: 0
; NumSGPRsForWavesPerEU: 4
; NumVGPRsForWavesPerEU: 1
; Occupancy: 10
; WaveLimiterHint : 0
; COMPUTE_PGM_RSRC2:SCRATCH_EN: 0
; COMPUTE_PGM_RSRC2:USER_SGPR: 4
; COMPUTE_PGM_RSRC2:TRAP_HANDLER: 0
; COMPUTE_PGM_RSRC2:TGID_X_EN: 1
; COMPUTE_PGM_RSRC2:TGID_Y_EN: 0
; COMPUTE_PGM_RSRC2:TGID_Z_EN: 0
; COMPUTE_PGM_RSRC2:TIDIG_COMP_CNT: 0
	.section	.text._ZN7rocprim17ROCPRIM_400000_NS6detail44device_merge_sort_compile_time_verifier_archINS1_11comp_targetILNS1_3genE9ELNS1_11target_archE1100ELNS1_3gpuE3ELNS1_3repE0EEES8_NS1_28merge_sort_block_sort_configILj256ELj4ELNS0_20block_sort_algorithmE0EEENS0_14default_configENS1_37merge_sort_block_sort_config_selectorIflEENS1_38merge_sort_block_merge_config_selectorIflEEEEvv,"axG",@progbits,_ZN7rocprim17ROCPRIM_400000_NS6detail44device_merge_sort_compile_time_verifier_archINS1_11comp_targetILNS1_3genE9ELNS1_11target_archE1100ELNS1_3gpuE3ELNS1_3repE0EEES8_NS1_28merge_sort_block_sort_configILj256ELj4ELNS0_20block_sort_algorithmE0EEENS0_14default_configENS1_37merge_sort_block_sort_config_selectorIflEENS1_38merge_sort_block_merge_config_selectorIflEEEEvv,comdat
	.protected	_ZN7rocprim17ROCPRIM_400000_NS6detail44device_merge_sort_compile_time_verifier_archINS1_11comp_targetILNS1_3genE9ELNS1_11target_archE1100ELNS1_3gpuE3ELNS1_3repE0EEES8_NS1_28merge_sort_block_sort_configILj256ELj4ELNS0_20block_sort_algorithmE0EEENS0_14default_configENS1_37merge_sort_block_sort_config_selectorIflEENS1_38merge_sort_block_merge_config_selectorIflEEEEvv ; -- Begin function _ZN7rocprim17ROCPRIM_400000_NS6detail44device_merge_sort_compile_time_verifier_archINS1_11comp_targetILNS1_3genE9ELNS1_11target_archE1100ELNS1_3gpuE3ELNS1_3repE0EEES8_NS1_28merge_sort_block_sort_configILj256ELj4ELNS0_20block_sort_algorithmE0EEENS0_14default_configENS1_37merge_sort_block_sort_config_selectorIflEENS1_38merge_sort_block_merge_config_selectorIflEEEEvv
	.globl	_ZN7rocprim17ROCPRIM_400000_NS6detail44device_merge_sort_compile_time_verifier_archINS1_11comp_targetILNS1_3genE9ELNS1_11target_archE1100ELNS1_3gpuE3ELNS1_3repE0EEES8_NS1_28merge_sort_block_sort_configILj256ELj4ELNS0_20block_sort_algorithmE0EEENS0_14default_configENS1_37merge_sort_block_sort_config_selectorIflEENS1_38merge_sort_block_merge_config_selectorIflEEEEvv
	.p2align	8
	.type	_ZN7rocprim17ROCPRIM_400000_NS6detail44device_merge_sort_compile_time_verifier_archINS1_11comp_targetILNS1_3genE9ELNS1_11target_archE1100ELNS1_3gpuE3ELNS1_3repE0EEES8_NS1_28merge_sort_block_sort_configILj256ELj4ELNS0_20block_sort_algorithmE0EEENS0_14default_configENS1_37merge_sort_block_sort_config_selectorIflEENS1_38merge_sort_block_merge_config_selectorIflEEEEvv,@function
_ZN7rocprim17ROCPRIM_400000_NS6detail44device_merge_sort_compile_time_verifier_archINS1_11comp_targetILNS1_3genE9ELNS1_11target_archE1100ELNS1_3gpuE3ELNS1_3repE0EEES8_NS1_28merge_sort_block_sort_configILj256ELj4ELNS0_20block_sort_algorithmE0EEENS0_14default_configENS1_37merge_sort_block_sort_config_selectorIflEENS1_38merge_sort_block_merge_config_selectorIflEEEEvv: ; @_ZN7rocprim17ROCPRIM_400000_NS6detail44device_merge_sort_compile_time_verifier_archINS1_11comp_targetILNS1_3genE9ELNS1_11target_archE1100ELNS1_3gpuE3ELNS1_3repE0EEES8_NS1_28merge_sort_block_sort_configILj256ELj4ELNS0_20block_sort_algorithmE0EEENS0_14default_configENS1_37merge_sort_block_sort_config_selectorIflEENS1_38merge_sort_block_merge_config_selectorIflEEEEvv
; %bb.0:
	s_endpgm
	.section	.rodata,"a",@progbits
	.p2align	6, 0x0
	.amdhsa_kernel _ZN7rocprim17ROCPRIM_400000_NS6detail44device_merge_sort_compile_time_verifier_archINS1_11comp_targetILNS1_3genE9ELNS1_11target_archE1100ELNS1_3gpuE3ELNS1_3repE0EEES8_NS1_28merge_sort_block_sort_configILj256ELj4ELNS0_20block_sort_algorithmE0EEENS0_14default_configENS1_37merge_sort_block_sort_config_selectorIflEENS1_38merge_sort_block_merge_config_selectorIflEEEEvv
		.amdhsa_group_segment_fixed_size 0
		.amdhsa_private_segment_fixed_size 0
		.amdhsa_kernarg_size 0
		.amdhsa_user_sgpr_count 4
		.amdhsa_user_sgpr_private_segment_buffer 1
		.amdhsa_user_sgpr_dispatch_ptr 0
		.amdhsa_user_sgpr_queue_ptr 0
		.amdhsa_user_sgpr_kernarg_segment_ptr 0
		.amdhsa_user_sgpr_dispatch_id 0
		.amdhsa_user_sgpr_flat_scratch_init 0
		.amdhsa_user_sgpr_private_segment_size 0
		.amdhsa_uses_dynamic_stack 0
		.amdhsa_system_sgpr_private_segment_wavefront_offset 0
		.amdhsa_system_sgpr_workgroup_id_x 1
		.amdhsa_system_sgpr_workgroup_id_y 0
		.amdhsa_system_sgpr_workgroup_id_z 0
		.amdhsa_system_sgpr_workgroup_info 0
		.amdhsa_system_vgpr_workitem_id 0
		.amdhsa_next_free_vgpr 1
		.amdhsa_next_free_sgpr 0
		.amdhsa_reserve_vcc 0
		.amdhsa_reserve_flat_scratch 0
		.amdhsa_float_round_mode_32 0
		.amdhsa_float_round_mode_16_64 0
		.amdhsa_float_denorm_mode_32 3
		.amdhsa_float_denorm_mode_16_64 3
		.amdhsa_dx10_clamp 1
		.amdhsa_ieee_mode 1
		.amdhsa_fp16_overflow 0
		.amdhsa_exception_fp_ieee_invalid_op 0
		.amdhsa_exception_fp_denorm_src 0
		.amdhsa_exception_fp_ieee_div_zero 0
		.amdhsa_exception_fp_ieee_overflow 0
		.amdhsa_exception_fp_ieee_underflow 0
		.amdhsa_exception_fp_ieee_inexact 0
		.amdhsa_exception_int_div_zero 0
	.end_amdhsa_kernel
	.section	.text._ZN7rocprim17ROCPRIM_400000_NS6detail44device_merge_sort_compile_time_verifier_archINS1_11comp_targetILNS1_3genE9ELNS1_11target_archE1100ELNS1_3gpuE3ELNS1_3repE0EEES8_NS1_28merge_sort_block_sort_configILj256ELj4ELNS0_20block_sort_algorithmE0EEENS0_14default_configENS1_37merge_sort_block_sort_config_selectorIflEENS1_38merge_sort_block_merge_config_selectorIflEEEEvv,"axG",@progbits,_ZN7rocprim17ROCPRIM_400000_NS6detail44device_merge_sort_compile_time_verifier_archINS1_11comp_targetILNS1_3genE9ELNS1_11target_archE1100ELNS1_3gpuE3ELNS1_3repE0EEES8_NS1_28merge_sort_block_sort_configILj256ELj4ELNS0_20block_sort_algorithmE0EEENS0_14default_configENS1_37merge_sort_block_sort_config_selectorIflEENS1_38merge_sort_block_merge_config_selectorIflEEEEvv,comdat
.Lfunc_end1758:
	.size	_ZN7rocprim17ROCPRIM_400000_NS6detail44device_merge_sort_compile_time_verifier_archINS1_11comp_targetILNS1_3genE9ELNS1_11target_archE1100ELNS1_3gpuE3ELNS1_3repE0EEES8_NS1_28merge_sort_block_sort_configILj256ELj4ELNS0_20block_sort_algorithmE0EEENS0_14default_configENS1_37merge_sort_block_sort_config_selectorIflEENS1_38merge_sort_block_merge_config_selectorIflEEEEvv, .Lfunc_end1758-_ZN7rocprim17ROCPRIM_400000_NS6detail44device_merge_sort_compile_time_verifier_archINS1_11comp_targetILNS1_3genE9ELNS1_11target_archE1100ELNS1_3gpuE3ELNS1_3repE0EEES8_NS1_28merge_sort_block_sort_configILj256ELj4ELNS0_20block_sort_algorithmE0EEENS0_14default_configENS1_37merge_sort_block_sort_config_selectorIflEENS1_38merge_sort_block_merge_config_selectorIflEEEEvv
                                        ; -- End function
	.set _ZN7rocprim17ROCPRIM_400000_NS6detail44device_merge_sort_compile_time_verifier_archINS1_11comp_targetILNS1_3genE9ELNS1_11target_archE1100ELNS1_3gpuE3ELNS1_3repE0EEES8_NS1_28merge_sort_block_sort_configILj256ELj4ELNS0_20block_sort_algorithmE0EEENS0_14default_configENS1_37merge_sort_block_sort_config_selectorIflEENS1_38merge_sort_block_merge_config_selectorIflEEEEvv.num_vgpr, 0
	.set _ZN7rocprim17ROCPRIM_400000_NS6detail44device_merge_sort_compile_time_verifier_archINS1_11comp_targetILNS1_3genE9ELNS1_11target_archE1100ELNS1_3gpuE3ELNS1_3repE0EEES8_NS1_28merge_sort_block_sort_configILj256ELj4ELNS0_20block_sort_algorithmE0EEENS0_14default_configENS1_37merge_sort_block_sort_config_selectorIflEENS1_38merge_sort_block_merge_config_selectorIflEEEEvv.num_agpr, 0
	.set _ZN7rocprim17ROCPRIM_400000_NS6detail44device_merge_sort_compile_time_verifier_archINS1_11comp_targetILNS1_3genE9ELNS1_11target_archE1100ELNS1_3gpuE3ELNS1_3repE0EEES8_NS1_28merge_sort_block_sort_configILj256ELj4ELNS0_20block_sort_algorithmE0EEENS0_14default_configENS1_37merge_sort_block_sort_config_selectorIflEENS1_38merge_sort_block_merge_config_selectorIflEEEEvv.numbered_sgpr, 0
	.set _ZN7rocprim17ROCPRIM_400000_NS6detail44device_merge_sort_compile_time_verifier_archINS1_11comp_targetILNS1_3genE9ELNS1_11target_archE1100ELNS1_3gpuE3ELNS1_3repE0EEES8_NS1_28merge_sort_block_sort_configILj256ELj4ELNS0_20block_sort_algorithmE0EEENS0_14default_configENS1_37merge_sort_block_sort_config_selectorIflEENS1_38merge_sort_block_merge_config_selectorIflEEEEvv.num_named_barrier, 0
	.set _ZN7rocprim17ROCPRIM_400000_NS6detail44device_merge_sort_compile_time_verifier_archINS1_11comp_targetILNS1_3genE9ELNS1_11target_archE1100ELNS1_3gpuE3ELNS1_3repE0EEES8_NS1_28merge_sort_block_sort_configILj256ELj4ELNS0_20block_sort_algorithmE0EEENS0_14default_configENS1_37merge_sort_block_sort_config_selectorIflEENS1_38merge_sort_block_merge_config_selectorIflEEEEvv.private_seg_size, 0
	.set _ZN7rocprim17ROCPRIM_400000_NS6detail44device_merge_sort_compile_time_verifier_archINS1_11comp_targetILNS1_3genE9ELNS1_11target_archE1100ELNS1_3gpuE3ELNS1_3repE0EEES8_NS1_28merge_sort_block_sort_configILj256ELj4ELNS0_20block_sort_algorithmE0EEENS0_14default_configENS1_37merge_sort_block_sort_config_selectorIflEENS1_38merge_sort_block_merge_config_selectorIflEEEEvv.uses_vcc, 0
	.set _ZN7rocprim17ROCPRIM_400000_NS6detail44device_merge_sort_compile_time_verifier_archINS1_11comp_targetILNS1_3genE9ELNS1_11target_archE1100ELNS1_3gpuE3ELNS1_3repE0EEES8_NS1_28merge_sort_block_sort_configILj256ELj4ELNS0_20block_sort_algorithmE0EEENS0_14default_configENS1_37merge_sort_block_sort_config_selectorIflEENS1_38merge_sort_block_merge_config_selectorIflEEEEvv.uses_flat_scratch, 0
	.set _ZN7rocprim17ROCPRIM_400000_NS6detail44device_merge_sort_compile_time_verifier_archINS1_11comp_targetILNS1_3genE9ELNS1_11target_archE1100ELNS1_3gpuE3ELNS1_3repE0EEES8_NS1_28merge_sort_block_sort_configILj256ELj4ELNS0_20block_sort_algorithmE0EEENS0_14default_configENS1_37merge_sort_block_sort_config_selectorIflEENS1_38merge_sort_block_merge_config_selectorIflEEEEvv.has_dyn_sized_stack, 0
	.set _ZN7rocprim17ROCPRIM_400000_NS6detail44device_merge_sort_compile_time_verifier_archINS1_11comp_targetILNS1_3genE9ELNS1_11target_archE1100ELNS1_3gpuE3ELNS1_3repE0EEES8_NS1_28merge_sort_block_sort_configILj256ELj4ELNS0_20block_sort_algorithmE0EEENS0_14default_configENS1_37merge_sort_block_sort_config_selectorIflEENS1_38merge_sort_block_merge_config_selectorIflEEEEvv.has_recursion, 0
	.set _ZN7rocprim17ROCPRIM_400000_NS6detail44device_merge_sort_compile_time_verifier_archINS1_11comp_targetILNS1_3genE9ELNS1_11target_archE1100ELNS1_3gpuE3ELNS1_3repE0EEES8_NS1_28merge_sort_block_sort_configILj256ELj4ELNS0_20block_sort_algorithmE0EEENS0_14default_configENS1_37merge_sort_block_sort_config_selectorIflEENS1_38merge_sort_block_merge_config_selectorIflEEEEvv.has_indirect_call, 0
	.section	.AMDGPU.csdata,"",@progbits
; Kernel info:
; codeLenInByte = 4
; TotalNumSgprs: 4
; NumVgprs: 0
; ScratchSize: 0
; MemoryBound: 0
; FloatMode: 240
; IeeeMode: 1
; LDSByteSize: 0 bytes/workgroup (compile time only)
; SGPRBlocks: 0
; VGPRBlocks: 0
; NumSGPRsForWavesPerEU: 4
; NumVGPRsForWavesPerEU: 1
; Occupancy: 10
; WaveLimiterHint : 0
; COMPUTE_PGM_RSRC2:SCRATCH_EN: 0
; COMPUTE_PGM_RSRC2:USER_SGPR: 4
; COMPUTE_PGM_RSRC2:TRAP_HANDLER: 0
; COMPUTE_PGM_RSRC2:TGID_X_EN: 1
; COMPUTE_PGM_RSRC2:TGID_Y_EN: 0
; COMPUTE_PGM_RSRC2:TGID_Z_EN: 0
; COMPUTE_PGM_RSRC2:TIDIG_COMP_CNT: 0
	.section	.text._ZN7rocprim17ROCPRIM_400000_NS6detail44device_merge_sort_compile_time_verifier_archINS1_11comp_targetILNS1_3genE8ELNS1_11target_archE1030ELNS1_3gpuE2ELNS1_3repE0EEES8_NS1_28merge_sort_block_sort_configILj256ELj4ELNS0_20block_sort_algorithmE0EEENS0_14default_configENS1_37merge_sort_block_sort_config_selectorIflEENS1_38merge_sort_block_merge_config_selectorIflEEEEvv,"axG",@progbits,_ZN7rocprim17ROCPRIM_400000_NS6detail44device_merge_sort_compile_time_verifier_archINS1_11comp_targetILNS1_3genE8ELNS1_11target_archE1030ELNS1_3gpuE2ELNS1_3repE0EEES8_NS1_28merge_sort_block_sort_configILj256ELj4ELNS0_20block_sort_algorithmE0EEENS0_14default_configENS1_37merge_sort_block_sort_config_selectorIflEENS1_38merge_sort_block_merge_config_selectorIflEEEEvv,comdat
	.protected	_ZN7rocprim17ROCPRIM_400000_NS6detail44device_merge_sort_compile_time_verifier_archINS1_11comp_targetILNS1_3genE8ELNS1_11target_archE1030ELNS1_3gpuE2ELNS1_3repE0EEES8_NS1_28merge_sort_block_sort_configILj256ELj4ELNS0_20block_sort_algorithmE0EEENS0_14default_configENS1_37merge_sort_block_sort_config_selectorIflEENS1_38merge_sort_block_merge_config_selectorIflEEEEvv ; -- Begin function _ZN7rocprim17ROCPRIM_400000_NS6detail44device_merge_sort_compile_time_verifier_archINS1_11comp_targetILNS1_3genE8ELNS1_11target_archE1030ELNS1_3gpuE2ELNS1_3repE0EEES8_NS1_28merge_sort_block_sort_configILj256ELj4ELNS0_20block_sort_algorithmE0EEENS0_14default_configENS1_37merge_sort_block_sort_config_selectorIflEENS1_38merge_sort_block_merge_config_selectorIflEEEEvv
	.globl	_ZN7rocprim17ROCPRIM_400000_NS6detail44device_merge_sort_compile_time_verifier_archINS1_11comp_targetILNS1_3genE8ELNS1_11target_archE1030ELNS1_3gpuE2ELNS1_3repE0EEES8_NS1_28merge_sort_block_sort_configILj256ELj4ELNS0_20block_sort_algorithmE0EEENS0_14default_configENS1_37merge_sort_block_sort_config_selectorIflEENS1_38merge_sort_block_merge_config_selectorIflEEEEvv
	.p2align	8
	.type	_ZN7rocprim17ROCPRIM_400000_NS6detail44device_merge_sort_compile_time_verifier_archINS1_11comp_targetILNS1_3genE8ELNS1_11target_archE1030ELNS1_3gpuE2ELNS1_3repE0EEES8_NS1_28merge_sort_block_sort_configILj256ELj4ELNS0_20block_sort_algorithmE0EEENS0_14default_configENS1_37merge_sort_block_sort_config_selectorIflEENS1_38merge_sort_block_merge_config_selectorIflEEEEvv,@function
_ZN7rocprim17ROCPRIM_400000_NS6detail44device_merge_sort_compile_time_verifier_archINS1_11comp_targetILNS1_3genE8ELNS1_11target_archE1030ELNS1_3gpuE2ELNS1_3repE0EEES8_NS1_28merge_sort_block_sort_configILj256ELj4ELNS0_20block_sort_algorithmE0EEENS0_14default_configENS1_37merge_sort_block_sort_config_selectorIflEENS1_38merge_sort_block_merge_config_selectorIflEEEEvv: ; @_ZN7rocprim17ROCPRIM_400000_NS6detail44device_merge_sort_compile_time_verifier_archINS1_11comp_targetILNS1_3genE8ELNS1_11target_archE1030ELNS1_3gpuE2ELNS1_3repE0EEES8_NS1_28merge_sort_block_sort_configILj256ELj4ELNS0_20block_sort_algorithmE0EEENS0_14default_configENS1_37merge_sort_block_sort_config_selectorIflEENS1_38merge_sort_block_merge_config_selectorIflEEEEvv
; %bb.0:
	s_endpgm
	.section	.rodata,"a",@progbits
	.p2align	6, 0x0
	.amdhsa_kernel _ZN7rocprim17ROCPRIM_400000_NS6detail44device_merge_sort_compile_time_verifier_archINS1_11comp_targetILNS1_3genE8ELNS1_11target_archE1030ELNS1_3gpuE2ELNS1_3repE0EEES8_NS1_28merge_sort_block_sort_configILj256ELj4ELNS0_20block_sort_algorithmE0EEENS0_14default_configENS1_37merge_sort_block_sort_config_selectorIflEENS1_38merge_sort_block_merge_config_selectorIflEEEEvv
		.amdhsa_group_segment_fixed_size 0
		.amdhsa_private_segment_fixed_size 0
		.amdhsa_kernarg_size 0
		.amdhsa_user_sgpr_count 4
		.amdhsa_user_sgpr_private_segment_buffer 1
		.amdhsa_user_sgpr_dispatch_ptr 0
		.amdhsa_user_sgpr_queue_ptr 0
		.amdhsa_user_sgpr_kernarg_segment_ptr 0
		.amdhsa_user_sgpr_dispatch_id 0
		.amdhsa_user_sgpr_flat_scratch_init 0
		.amdhsa_user_sgpr_private_segment_size 0
		.amdhsa_uses_dynamic_stack 0
		.amdhsa_system_sgpr_private_segment_wavefront_offset 0
		.amdhsa_system_sgpr_workgroup_id_x 1
		.amdhsa_system_sgpr_workgroup_id_y 0
		.amdhsa_system_sgpr_workgroup_id_z 0
		.amdhsa_system_sgpr_workgroup_info 0
		.amdhsa_system_vgpr_workitem_id 0
		.amdhsa_next_free_vgpr 1
		.amdhsa_next_free_sgpr 0
		.amdhsa_reserve_vcc 0
		.amdhsa_reserve_flat_scratch 0
		.amdhsa_float_round_mode_32 0
		.amdhsa_float_round_mode_16_64 0
		.amdhsa_float_denorm_mode_32 3
		.amdhsa_float_denorm_mode_16_64 3
		.amdhsa_dx10_clamp 1
		.amdhsa_ieee_mode 1
		.amdhsa_fp16_overflow 0
		.amdhsa_exception_fp_ieee_invalid_op 0
		.amdhsa_exception_fp_denorm_src 0
		.amdhsa_exception_fp_ieee_div_zero 0
		.amdhsa_exception_fp_ieee_overflow 0
		.amdhsa_exception_fp_ieee_underflow 0
		.amdhsa_exception_fp_ieee_inexact 0
		.amdhsa_exception_int_div_zero 0
	.end_amdhsa_kernel
	.section	.text._ZN7rocprim17ROCPRIM_400000_NS6detail44device_merge_sort_compile_time_verifier_archINS1_11comp_targetILNS1_3genE8ELNS1_11target_archE1030ELNS1_3gpuE2ELNS1_3repE0EEES8_NS1_28merge_sort_block_sort_configILj256ELj4ELNS0_20block_sort_algorithmE0EEENS0_14default_configENS1_37merge_sort_block_sort_config_selectorIflEENS1_38merge_sort_block_merge_config_selectorIflEEEEvv,"axG",@progbits,_ZN7rocprim17ROCPRIM_400000_NS6detail44device_merge_sort_compile_time_verifier_archINS1_11comp_targetILNS1_3genE8ELNS1_11target_archE1030ELNS1_3gpuE2ELNS1_3repE0EEES8_NS1_28merge_sort_block_sort_configILj256ELj4ELNS0_20block_sort_algorithmE0EEENS0_14default_configENS1_37merge_sort_block_sort_config_selectorIflEENS1_38merge_sort_block_merge_config_selectorIflEEEEvv,comdat
.Lfunc_end1759:
	.size	_ZN7rocprim17ROCPRIM_400000_NS6detail44device_merge_sort_compile_time_verifier_archINS1_11comp_targetILNS1_3genE8ELNS1_11target_archE1030ELNS1_3gpuE2ELNS1_3repE0EEES8_NS1_28merge_sort_block_sort_configILj256ELj4ELNS0_20block_sort_algorithmE0EEENS0_14default_configENS1_37merge_sort_block_sort_config_selectorIflEENS1_38merge_sort_block_merge_config_selectorIflEEEEvv, .Lfunc_end1759-_ZN7rocprim17ROCPRIM_400000_NS6detail44device_merge_sort_compile_time_verifier_archINS1_11comp_targetILNS1_3genE8ELNS1_11target_archE1030ELNS1_3gpuE2ELNS1_3repE0EEES8_NS1_28merge_sort_block_sort_configILj256ELj4ELNS0_20block_sort_algorithmE0EEENS0_14default_configENS1_37merge_sort_block_sort_config_selectorIflEENS1_38merge_sort_block_merge_config_selectorIflEEEEvv
                                        ; -- End function
	.set _ZN7rocprim17ROCPRIM_400000_NS6detail44device_merge_sort_compile_time_verifier_archINS1_11comp_targetILNS1_3genE8ELNS1_11target_archE1030ELNS1_3gpuE2ELNS1_3repE0EEES8_NS1_28merge_sort_block_sort_configILj256ELj4ELNS0_20block_sort_algorithmE0EEENS0_14default_configENS1_37merge_sort_block_sort_config_selectorIflEENS1_38merge_sort_block_merge_config_selectorIflEEEEvv.num_vgpr, 0
	.set _ZN7rocprim17ROCPRIM_400000_NS6detail44device_merge_sort_compile_time_verifier_archINS1_11comp_targetILNS1_3genE8ELNS1_11target_archE1030ELNS1_3gpuE2ELNS1_3repE0EEES8_NS1_28merge_sort_block_sort_configILj256ELj4ELNS0_20block_sort_algorithmE0EEENS0_14default_configENS1_37merge_sort_block_sort_config_selectorIflEENS1_38merge_sort_block_merge_config_selectorIflEEEEvv.num_agpr, 0
	.set _ZN7rocprim17ROCPRIM_400000_NS6detail44device_merge_sort_compile_time_verifier_archINS1_11comp_targetILNS1_3genE8ELNS1_11target_archE1030ELNS1_3gpuE2ELNS1_3repE0EEES8_NS1_28merge_sort_block_sort_configILj256ELj4ELNS0_20block_sort_algorithmE0EEENS0_14default_configENS1_37merge_sort_block_sort_config_selectorIflEENS1_38merge_sort_block_merge_config_selectorIflEEEEvv.numbered_sgpr, 0
	.set _ZN7rocprim17ROCPRIM_400000_NS6detail44device_merge_sort_compile_time_verifier_archINS1_11comp_targetILNS1_3genE8ELNS1_11target_archE1030ELNS1_3gpuE2ELNS1_3repE0EEES8_NS1_28merge_sort_block_sort_configILj256ELj4ELNS0_20block_sort_algorithmE0EEENS0_14default_configENS1_37merge_sort_block_sort_config_selectorIflEENS1_38merge_sort_block_merge_config_selectorIflEEEEvv.num_named_barrier, 0
	.set _ZN7rocprim17ROCPRIM_400000_NS6detail44device_merge_sort_compile_time_verifier_archINS1_11comp_targetILNS1_3genE8ELNS1_11target_archE1030ELNS1_3gpuE2ELNS1_3repE0EEES8_NS1_28merge_sort_block_sort_configILj256ELj4ELNS0_20block_sort_algorithmE0EEENS0_14default_configENS1_37merge_sort_block_sort_config_selectorIflEENS1_38merge_sort_block_merge_config_selectorIflEEEEvv.private_seg_size, 0
	.set _ZN7rocprim17ROCPRIM_400000_NS6detail44device_merge_sort_compile_time_verifier_archINS1_11comp_targetILNS1_3genE8ELNS1_11target_archE1030ELNS1_3gpuE2ELNS1_3repE0EEES8_NS1_28merge_sort_block_sort_configILj256ELj4ELNS0_20block_sort_algorithmE0EEENS0_14default_configENS1_37merge_sort_block_sort_config_selectorIflEENS1_38merge_sort_block_merge_config_selectorIflEEEEvv.uses_vcc, 0
	.set _ZN7rocprim17ROCPRIM_400000_NS6detail44device_merge_sort_compile_time_verifier_archINS1_11comp_targetILNS1_3genE8ELNS1_11target_archE1030ELNS1_3gpuE2ELNS1_3repE0EEES8_NS1_28merge_sort_block_sort_configILj256ELj4ELNS0_20block_sort_algorithmE0EEENS0_14default_configENS1_37merge_sort_block_sort_config_selectorIflEENS1_38merge_sort_block_merge_config_selectorIflEEEEvv.uses_flat_scratch, 0
	.set _ZN7rocprim17ROCPRIM_400000_NS6detail44device_merge_sort_compile_time_verifier_archINS1_11comp_targetILNS1_3genE8ELNS1_11target_archE1030ELNS1_3gpuE2ELNS1_3repE0EEES8_NS1_28merge_sort_block_sort_configILj256ELj4ELNS0_20block_sort_algorithmE0EEENS0_14default_configENS1_37merge_sort_block_sort_config_selectorIflEENS1_38merge_sort_block_merge_config_selectorIflEEEEvv.has_dyn_sized_stack, 0
	.set _ZN7rocprim17ROCPRIM_400000_NS6detail44device_merge_sort_compile_time_verifier_archINS1_11comp_targetILNS1_3genE8ELNS1_11target_archE1030ELNS1_3gpuE2ELNS1_3repE0EEES8_NS1_28merge_sort_block_sort_configILj256ELj4ELNS0_20block_sort_algorithmE0EEENS0_14default_configENS1_37merge_sort_block_sort_config_selectorIflEENS1_38merge_sort_block_merge_config_selectorIflEEEEvv.has_recursion, 0
	.set _ZN7rocprim17ROCPRIM_400000_NS6detail44device_merge_sort_compile_time_verifier_archINS1_11comp_targetILNS1_3genE8ELNS1_11target_archE1030ELNS1_3gpuE2ELNS1_3repE0EEES8_NS1_28merge_sort_block_sort_configILj256ELj4ELNS0_20block_sort_algorithmE0EEENS0_14default_configENS1_37merge_sort_block_sort_config_selectorIflEENS1_38merge_sort_block_merge_config_selectorIflEEEEvv.has_indirect_call, 0
	.section	.AMDGPU.csdata,"",@progbits
; Kernel info:
; codeLenInByte = 4
; TotalNumSgprs: 4
; NumVgprs: 0
; ScratchSize: 0
; MemoryBound: 0
; FloatMode: 240
; IeeeMode: 1
; LDSByteSize: 0 bytes/workgroup (compile time only)
; SGPRBlocks: 0
; VGPRBlocks: 0
; NumSGPRsForWavesPerEU: 4
; NumVGPRsForWavesPerEU: 1
; Occupancy: 10
; WaveLimiterHint : 0
; COMPUTE_PGM_RSRC2:SCRATCH_EN: 0
; COMPUTE_PGM_RSRC2:USER_SGPR: 4
; COMPUTE_PGM_RSRC2:TRAP_HANDLER: 0
; COMPUTE_PGM_RSRC2:TGID_X_EN: 1
; COMPUTE_PGM_RSRC2:TGID_Y_EN: 0
; COMPUTE_PGM_RSRC2:TGID_Z_EN: 0
; COMPUTE_PGM_RSRC2:TIDIG_COMP_CNT: 0
	.section	.text._ZN7rocprim17ROCPRIM_400000_NS6detail17trampoline_kernelINS0_14default_configENS1_38merge_sort_block_merge_config_selectorIflEEZZNS1_27merge_sort_block_merge_implIS3_PfN6thrust23THRUST_200600_302600_NS10device_ptrIlEEjNS1_19radix_merge_compareILb0ELb0EfNS0_19identity_decomposerEEEEE10hipError_tT0_T1_T2_jT3_P12ihipStream_tbPNSt15iterator_traitsISG_E10value_typeEPNSM_ISH_E10value_typeEPSI_NS1_7vsmem_tEENKUlT_SG_SH_SI_E_clIS7_S7_PlSB_EESF_SV_SG_SH_SI_EUlSV_E_NS1_11comp_targetILNS1_3genE0ELNS1_11target_archE4294967295ELNS1_3gpuE0ELNS1_3repE0EEENS1_48merge_mergepath_partition_config_static_selectorELNS0_4arch9wavefront6targetE1EEEvSH_,"axG",@progbits,_ZN7rocprim17ROCPRIM_400000_NS6detail17trampoline_kernelINS0_14default_configENS1_38merge_sort_block_merge_config_selectorIflEEZZNS1_27merge_sort_block_merge_implIS3_PfN6thrust23THRUST_200600_302600_NS10device_ptrIlEEjNS1_19radix_merge_compareILb0ELb0EfNS0_19identity_decomposerEEEEE10hipError_tT0_T1_T2_jT3_P12ihipStream_tbPNSt15iterator_traitsISG_E10value_typeEPNSM_ISH_E10value_typeEPSI_NS1_7vsmem_tEENKUlT_SG_SH_SI_E_clIS7_S7_PlSB_EESF_SV_SG_SH_SI_EUlSV_E_NS1_11comp_targetILNS1_3genE0ELNS1_11target_archE4294967295ELNS1_3gpuE0ELNS1_3repE0EEENS1_48merge_mergepath_partition_config_static_selectorELNS0_4arch9wavefront6targetE1EEEvSH_,comdat
	.protected	_ZN7rocprim17ROCPRIM_400000_NS6detail17trampoline_kernelINS0_14default_configENS1_38merge_sort_block_merge_config_selectorIflEEZZNS1_27merge_sort_block_merge_implIS3_PfN6thrust23THRUST_200600_302600_NS10device_ptrIlEEjNS1_19radix_merge_compareILb0ELb0EfNS0_19identity_decomposerEEEEE10hipError_tT0_T1_T2_jT3_P12ihipStream_tbPNSt15iterator_traitsISG_E10value_typeEPNSM_ISH_E10value_typeEPSI_NS1_7vsmem_tEENKUlT_SG_SH_SI_E_clIS7_S7_PlSB_EESF_SV_SG_SH_SI_EUlSV_E_NS1_11comp_targetILNS1_3genE0ELNS1_11target_archE4294967295ELNS1_3gpuE0ELNS1_3repE0EEENS1_48merge_mergepath_partition_config_static_selectorELNS0_4arch9wavefront6targetE1EEEvSH_ ; -- Begin function _ZN7rocprim17ROCPRIM_400000_NS6detail17trampoline_kernelINS0_14default_configENS1_38merge_sort_block_merge_config_selectorIflEEZZNS1_27merge_sort_block_merge_implIS3_PfN6thrust23THRUST_200600_302600_NS10device_ptrIlEEjNS1_19radix_merge_compareILb0ELb0EfNS0_19identity_decomposerEEEEE10hipError_tT0_T1_T2_jT3_P12ihipStream_tbPNSt15iterator_traitsISG_E10value_typeEPNSM_ISH_E10value_typeEPSI_NS1_7vsmem_tEENKUlT_SG_SH_SI_E_clIS7_S7_PlSB_EESF_SV_SG_SH_SI_EUlSV_E_NS1_11comp_targetILNS1_3genE0ELNS1_11target_archE4294967295ELNS1_3gpuE0ELNS1_3repE0EEENS1_48merge_mergepath_partition_config_static_selectorELNS0_4arch9wavefront6targetE1EEEvSH_
	.globl	_ZN7rocprim17ROCPRIM_400000_NS6detail17trampoline_kernelINS0_14default_configENS1_38merge_sort_block_merge_config_selectorIflEEZZNS1_27merge_sort_block_merge_implIS3_PfN6thrust23THRUST_200600_302600_NS10device_ptrIlEEjNS1_19radix_merge_compareILb0ELb0EfNS0_19identity_decomposerEEEEE10hipError_tT0_T1_T2_jT3_P12ihipStream_tbPNSt15iterator_traitsISG_E10value_typeEPNSM_ISH_E10value_typeEPSI_NS1_7vsmem_tEENKUlT_SG_SH_SI_E_clIS7_S7_PlSB_EESF_SV_SG_SH_SI_EUlSV_E_NS1_11comp_targetILNS1_3genE0ELNS1_11target_archE4294967295ELNS1_3gpuE0ELNS1_3repE0EEENS1_48merge_mergepath_partition_config_static_selectorELNS0_4arch9wavefront6targetE1EEEvSH_
	.p2align	8
	.type	_ZN7rocprim17ROCPRIM_400000_NS6detail17trampoline_kernelINS0_14default_configENS1_38merge_sort_block_merge_config_selectorIflEEZZNS1_27merge_sort_block_merge_implIS3_PfN6thrust23THRUST_200600_302600_NS10device_ptrIlEEjNS1_19radix_merge_compareILb0ELb0EfNS0_19identity_decomposerEEEEE10hipError_tT0_T1_T2_jT3_P12ihipStream_tbPNSt15iterator_traitsISG_E10value_typeEPNSM_ISH_E10value_typeEPSI_NS1_7vsmem_tEENKUlT_SG_SH_SI_E_clIS7_S7_PlSB_EESF_SV_SG_SH_SI_EUlSV_E_NS1_11comp_targetILNS1_3genE0ELNS1_11target_archE4294967295ELNS1_3gpuE0ELNS1_3repE0EEENS1_48merge_mergepath_partition_config_static_selectorELNS0_4arch9wavefront6targetE1EEEvSH_,@function
_ZN7rocprim17ROCPRIM_400000_NS6detail17trampoline_kernelINS0_14default_configENS1_38merge_sort_block_merge_config_selectorIflEEZZNS1_27merge_sort_block_merge_implIS3_PfN6thrust23THRUST_200600_302600_NS10device_ptrIlEEjNS1_19radix_merge_compareILb0ELb0EfNS0_19identity_decomposerEEEEE10hipError_tT0_T1_T2_jT3_P12ihipStream_tbPNSt15iterator_traitsISG_E10value_typeEPNSM_ISH_E10value_typeEPSI_NS1_7vsmem_tEENKUlT_SG_SH_SI_E_clIS7_S7_PlSB_EESF_SV_SG_SH_SI_EUlSV_E_NS1_11comp_targetILNS1_3genE0ELNS1_11target_archE4294967295ELNS1_3gpuE0ELNS1_3repE0EEENS1_48merge_mergepath_partition_config_static_selectorELNS0_4arch9wavefront6targetE1EEEvSH_: ; @_ZN7rocprim17ROCPRIM_400000_NS6detail17trampoline_kernelINS0_14default_configENS1_38merge_sort_block_merge_config_selectorIflEEZZNS1_27merge_sort_block_merge_implIS3_PfN6thrust23THRUST_200600_302600_NS10device_ptrIlEEjNS1_19radix_merge_compareILb0ELb0EfNS0_19identity_decomposerEEEEE10hipError_tT0_T1_T2_jT3_P12ihipStream_tbPNSt15iterator_traitsISG_E10value_typeEPNSM_ISH_E10value_typeEPSI_NS1_7vsmem_tEENKUlT_SG_SH_SI_E_clIS7_S7_PlSB_EESF_SV_SG_SH_SI_EUlSV_E_NS1_11comp_targetILNS1_3genE0ELNS1_11target_archE4294967295ELNS1_3gpuE0ELNS1_3repE0EEENS1_48merge_mergepath_partition_config_static_selectorELNS0_4arch9wavefront6targetE1EEEvSH_
; %bb.0:
	.section	.rodata,"a",@progbits
	.p2align	6, 0x0
	.amdhsa_kernel _ZN7rocprim17ROCPRIM_400000_NS6detail17trampoline_kernelINS0_14default_configENS1_38merge_sort_block_merge_config_selectorIflEEZZNS1_27merge_sort_block_merge_implIS3_PfN6thrust23THRUST_200600_302600_NS10device_ptrIlEEjNS1_19radix_merge_compareILb0ELb0EfNS0_19identity_decomposerEEEEE10hipError_tT0_T1_T2_jT3_P12ihipStream_tbPNSt15iterator_traitsISG_E10value_typeEPNSM_ISH_E10value_typeEPSI_NS1_7vsmem_tEENKUlT_SG_SH_SI_E_clIS7_S7_PlSB_EESF_SV_SG_SH_SI_EUlSV_E_NS1_11comp_targetILNS1_3genE0ELNS1_11target_archE4294967295ELNS1_3gpuE0ELNS1_3repE0EEENS1_48merge_mergepath_partition_config_static_selectorELNS0_4arch9wavefront6targetE1EEEvSH_
		.amdhsa_group_segment_fixed_size 0
		.amdhsa_private_segment_fixed_size 0
		.amdhsa_kernarg_size 40
		.amdhsa_user_sgpr_count 6
		.amdhsa_user_sgpr_private_segment_buffer 1
		.amdhsa_user_sgpr_dispatch_ptr 0
		.amdhsa_user_sgpr_queue_ptr 0
		.amdhsa_user_sgpr_kernarg_segment_ptr 1
		.amdhsa_user_sgpr_dispatch_id 0
		.amdhsa_user_sgpr_flat_scratch_init 0
		.amdhsa_user_sgpr_private_segment_size 0
		.amdhsa_uses_dynamic_stack 0
		.amdhsa_system_sgpr_private_segment_wavefront_offset 0
		.amdhsa_system_sgpr_workgroup_id_x 1
		.amdhsa_system_sgpr_workgroup_id_y 0
		.amdhsa_system_sgpr_workgroup_id_z 0
		.amdhsa_system_sgpr_workgroup_info 0
		.amdhsa_system_vgpr_workitem_id 0
		.amdhsa_next_free_vgpr 1
		.amdhsa_next_free_sgpr 0
		.amdhsa_reserve_vcc 0
		.amdhsa_reserve_flat_scratch 0
		.amdhsa_float_round_mode_32 0
		.amdhsa_float_round_mode_16_64 0
		.amdhsa_float_denorm_mode_32 3
		.amdhsa_float_denorm_mode_16_64 3
		.amdhsa_dx10_clamp 1
		.amdhsa_ieee_mode 1
		.amdhsa_fp16_overflow 0
		.amdhsa_exception_fp_ieee_invalid_op 0
		.amdhsa_exception_fp_denorm_src 0
		.amdhsa_exception_fp_ieee_div_zero 0
		.amdhsa_exception_fp_ieee_overflow 0
		.amdhsa_exception_fp_ieee_underflow 0
		.amdhsa_exception_fp_ieee_inexact 0
		.amdhsa_exception_int_div_zero 0
	.end_amdhsa_kernel
	.section	.text._ZN7rocprim17ROCPRIM_400000_NS6detail17trampoline_kernelINS0_14default_configENS1_38merge_sort_block_merge_config_selectorIflEEZZNS1_27merge_sort_block_merge_implIS3_PfN6thrust23THRUST_200600_302600_NS10device_ptrIlEEjNS1_19radix_merge_compareILb0ELb0EfNS0_19identity_decomposerEEEEE10hipError_tT0_T1_T2_jT3_P12ihipStream_tbPNSt15iterator_traitsISG_E10value_typeEPNSM_ISH_E10value_typeEPSI_NS1_7vsmem_tEENKUlT_SG_SH_SI_E_clIS7_S7_PlSB_EESF_SV_SG_SH_SI_EUlSV_E_NS1_11comp_targetILNS1_3genE0ELNS1_11target_archE4294967295ELNS1_3gpuE0ELNS1_3repE0EEENS1_48merge_mergepath_partition_config_static_selectorELNS0_4arch9wavefront6targetE1EEEvSH_,"axG",@progbits,_ZN7rocprim17ROCPRIM_400000_NS6detail17trampoline_kernelINS0_14default_configENS1_38merge_sort_block_merge_config_selectorIflEEZZNS1_27merge_sort_block_merge_implIS3_PfN6thrust23THRUST_200600_302600_NS10device_ptrIlEEjNS1_19radix_merge_compareILb0ELb0EfNS0_19identity_decomposerEEEEE10hipError_tT0_T1_T2_jT3_P12ihipStream_tbPNSt15iterator_traitsISG_E10value_typeEPNSM_ISH_E10value_typeEPSI_NS1_7vsmem_tEENKUlT_SG_SH_SI_E_clIS7_S7_PlSB_EESF_SV_SG_SH_SI_EUlSV_E_NS1_11comp_targetILNS1_3genE0ELNS1_11target_archE4294967295ELNS1_3gpuE0ELNS1_3repE0EEENS1_48merge_mergepath_partition_config_static_selectorELNS0_4arch9wavefront6targetE1EEEvSH_,comdat
.Lfunc_end1760:
	.size	_ZN7rocprim17ROCPRIM_400000_NS6detail17trampoline_kernelINS0_14default_configENS1_38merge_sort_block_merge_config_selectorIflEEZZNS1_27merge_sort_block_merge_implIS3_PfN6thrust23THRUST_200600_302600_NS10device_ptrIlEEjNS1_19radix_merge_compareILb0ELb0EfNS0_19identity_decomposerEEEEE10hipError_tT0_T1_T2_jT3_P12ihipStream_tbPNSt15iterator_traitsISG_E10value_typeEPNSM_ISH_E10value_typeEPSI_NS1_7vsmem_tEENKUlT_SG_SH_SI_E_clIS7_S7_PlSB_EESF_SV_SG_SH_SI_EUlSV_E_NS1_11comp_targetILNS1_3genE0ELNS1_11target_archE4294967295ELNS1_3gpuE0ELNS1_3repE0EEENS1_48merge_mergepath_partition_config_static_selectorELNS0_4arch9wavefront6targetE1EEEvSH_, .Lfunc_end1760-_ZN7rocprim17ROCPRIM_400000_NS6detail17trampoline_kernelINS0_14default_configENS1_38merge_sort_block_merge_config_selectorIflEEZZNS1_27merge_sort_block_merge_implIS3_PfN6thrust23THRUST_200600_302600_NS10device_ptrIlEEjNS1_19radix_merge_compareILb0ELb0EfNS0_19identity_decomposerEEEEE10hipError_tT0_T1_T2_jT3_P12ihipStream_tbPNSt15iterator_traitsISG_E10value_typeEPNSM_ISH_E10value_typeEPSI_NS1_7vsmem_tEENKUlT_SG_SH_SI_E_clIS7_S7_PlSB_EESF_SV_SG_SH_SI_EUlSV_E_NS1_11comp_targetILNS1_3genE0ELNS1_11target_archE4294967295ELNS1_3gpuE0ELNS1_3repE0EEENS1_48merge_mergepath_partition_config_static_selectorELNS0_4arch9wavefront6targetE1EEEvSH_
                                        ; -- End function
	.set _ZN7rocprim17ROCPRIM_400000_NS6detail17trampoline_kernelINS0_14default_configENS1_38merge_sort_block_merge_config_selectorIflEEZZNS1_27merge_sort_block_merge_implIS3_PfN6thrust23THRUST_200600_302600_NS10device_ptrIlEEjNS1_19radix_merge_compareILb0ELb0EfNS0_19identity_decomposerEEEEE10hipError_tT0_T1_T2_jT3_P12ihipStream_tbPNSt15iterator_traitsISG_E10value_typeEPNSM_ISH_E10value_typeEPSI_NS1_7vsmem_tEENKUlT_SG_SH_SI_E_clIS7_S7_PlSB_EESF_SV_SG_SH_SI_EUlSV_E_NS1_11comp_targetILNS1_3genE0ELNS1_11target_archE4294967295ELNS1_3gpuE0ELNS1_3repE0EEENS1_48merge_mergepath_partition_config_static_selectorELNS0_4arch9wavefront6targetE1EEEvSH_.num_vgpr, 0
	.set _ZN7rocprim17ROCPRIM_400000_NS6detail17trampoline_kernelINS0_14default_configENS1_38merge_sort_block_merge_config_selectorIflEEZZNS1_27merge_sort_block_merge_implIS3_PfN6thrust23THRUST_200600_302600_NS10device_ptrIlEEjNS1_19radix_merge_compareILb0ELb0EfNS0_19identity_decomposerEEEEE10hipError_tT0_T1_T2_jT3_P12ihipStream_tbPNSt15iterator_traitsISG_E10value_typeEPNSM_ISH_E10value_typeEPSI_NS1_7vsmem_tEENKUlT_SG_SH_SI_E_clIS7_S7_PlSB_EESF_SV_SG_SH_SI_EUlSV_E_NS1_11comp_targetILNS1_3genE0ELNS1_11target_archE4294967295ELNS1_3gpuE0ELNS1_3repE0EEENS1_48merge_mergepath_partition_config_static_selectorELNS0_4arch9wavefront6targetE1EEEvSH_.num_agpr, 0
	.set _ZN7rocprim17ROCPRIM_400000_NS6detail17trampoline_kernelINS0_14default_configENS1_38merge_sort_block_merge_config_selectorIflEEZZNS1_27merge_sort_block_merge_implIS3_PfN6thrust23THRUST_200600_302600_NS10device_ptrIlEEjNS1_19radix_merge_compareILb0ELb0EfNS0_19identity_decomposerEEEEE10hipError_tT0_T1_T2_jT3_P12ihipStream_tbPNSt15iterator_traitsISG_E10value_typeEPNSM_ISH_E10value_typeEPSI_NS1_7vsmem_tEENKUlT_SG_SH_SI_E_clIS7_S7_PlSB_EESF_SV_SG_SH_SI_EUlSV_E_NS1_11comp_targetILNS1_3genE0ELNS1_11target_archE4294967295ELNS1_3gpuE0ELNS1_3repE0EEENS1_48merge_mergepath_partition_config_static_selectorELNS0_4arch9wavefront6targetE1EEEvSH_.numbered_sgpr, 0
	.set _ZN7rocprim17ROCPRIM_400000_NS6detail17trampoline_kernelINS0_14default_configENS1_38merge_sort_block_merge_config_selectorIflEEZZNS1_27merge_sort_block_merge_implIS3_PfN6thrust23THRUST_200600_302600_NS10device_ptrIlEEjNS1_19radix_merge_compareILb0ELb0EfNS0_19identity_decomposerEEEEE10hipError_tT0_T1_T2_jT3_P12ihipStream_tbPNSt15iterator_traitsISG_E10value_typeEPNSM_ISH_E10value_typeEPSI_NS1_7vsmem_tEENKUlT_SG_SH_SI_E_clIS7_S7_PlSB_EESF_SV_SG_SH_SI_EUlSV_E_NS1_11comp_targetILNS1_3genE0ELNS1_11target_archE4294967295ELNS1_3gpuE0ELNS1_3repE0EEENS1_48merge_mergepath_partition_config_static_selectorELNS0_4arch9wavefront6targetE1EEEvSH_.num_named_barrier, 0
	.set _ZN7rocprim17ROCPRIM_400000_NS6detail17trampoline_kernelINS0_14default_configENS1_38merge_sort_block_merge_config_selectorIflEEZZNS1_27merge_sort_block_merge_implIS3_PfN6thrust23THRUST_200600_302600_NS10device_ptrIlEEjNS1_19radix_merge_compareILb0ELb0EfNS0_19identity_decomposerEEEEE10hipError_tT0_T1_T2_jT3_P12ihipStream_tbPNSt15iterator_traitsISG_E10value_typeEPNSM_ISH_E10value_typeEPSI_NS1_7vsmem_tEENKUlT_SG_SH_SI_E_clIS7_S7_PlSB_EESF_SV_SG_SH_SI_EUlSV_E_NS1_11comp_targetILNS1_3genE0ELNS1_11target_archE4294967295ELNS1_3gpuE0ELNS1_3repE0EEENS1_48merge_mergepath_partition_config_static_selectorELNS0_4arch9wavefront6targetE1EEEvSH_.private_seg_size, 0
	.set _ZN7rocprim17ROCPRIM_400000_NS6detail17trampoline_kernelINS0_14default_configENS1_38merge_sort_block_merge_config_selectorIflEEZZNS1_27merge_sort_block_merge_implIS3_PfN6thrust23THRUST_200600_302600_NS10device_ptrIlEEjNS1_19radix_merge_compareILb0ELb0EfNS0_19identity_decomposerEEEEE10hipError_tT0_T1_T2_jT3_P12ihipStream_tbPNSt15iterator_traitsISG_E10value_typeEPNSM_ISH_E10value_typeEPSI_NS1_7vsmem_tEENKUlT_SG_SH_SI_E_clIS7_S7_PlSB_EESF_SV_SG_SH_SI_EUlSV_E_NS1_11comp_targetILNS1_3genE0ELNS1_11target_archE4294967295ELNS1_3gpuE0ELNS1_3repE0EEENS1_48merge_mergepath_partition_config_static_selectorELNS0_4arch9wavefront6targetE1EEEvSH_.uses_vcc, 0
	.set _ZN7rocprim17ROCPRIM_400000_NS6detail17trampoline_kernelINS0_14default_configENS1_38merge_sort_block_merge_config_selectorIflEEZZNS1_27merge_sort_block_merge_implIS3_PfN6thrust23THRUST_200600_302600_NS10device_ptrIlEEjNS1_19radix_merge_compareILb0ELb0EfNS0_19identity_decomposerEEEEE10hipError_tT0_T1_T2_jT3_P12ihipStream_tbPNSt15iterator_traitsISG_E10value_typeEPNSM_ISH_E10value_typeEPSI_NS1_7vsmem_tEENKUlT_SG_SH_SI_E_clIS7_S7_PlSB_EESF_SV_SG_SH_SI_EUlSV_E_NS1_11comp_targetILNS1_3genE0ELNS1_11target_archE4294967295ELNS1_3gpuE0ELNS1_3repE0EEENS1_48merge_mergepath_partition_config_static_selectorELNS0_4arch9wavefront6targetE1EEEvSH_.uses_flat_scratch, 0
	.set _ZN7rocprim17ROCPRIM_400000_NS6detail17trampoline_kernelINS0_14default_configENS1_38merge_sort_block_merge_config_selectorIflEEZZNS1_27merge_sort_block_merge_implIS3_PfN6thrust23THRUST_200600_302600_NS10device_ptrIlEEjNS1_19radix_merge_compareILb0ELb0EfNS0_19identity_decomposerEEEEE10hipError_tT0_T1_T2_jT3_P12ihipStream_tbPNSt15iterator_traitsISG_E10value_typeEPNSM_ISH_E10value_typeEPSI_NS1_7vsmem_tEENKUlT_SG_SH_SI_E_clIS7_S7_PlSB_EESF_SV_SG_SH_SI_EUlSV_E_NS1_11comp_targetILNS1_3genE0ELNS1_11target_archE4294967295ELNS1_3gpuE0ELNS1_3repE0EEENS1_48merge_mergepath_partition_config_static_selectorELNS0_4arch9wavefront6targetE1EEEvSH_.has_dyn_sized_stack, 0
	.set _ZN7rocprim17ROCPRIM_400000_NS6detail17trampoline_kernelINS0_14default_configENS1_38merge_sort_block_merge_config_selectorIflEEZZNS1_27merge_sort_block_merge_implIS3_PfN6thrust23THRUST_200600_302600_NS10device_ptrIlEEjNS1_19radix_merge_compareILb0ELb0EfNS0_19identity_decomposerEEEEE10hipError_tT0_T1_T2_jT3_P12ihipStream_tbPNSt15iterator_traitsISG_E10value_typeEPNSM_ISH_E10value_typeEPSI_NS1_7vsmem_tEENKUlT_SG_SH_SI_E_clIS7_S7_PlSB_EESF_SV_SG_SH_SI_EUlSV_E_NS1_11comp_targetILNS1_3genE0ELNS1_11target_archE4294967295ELNS1_3gpuE0ELNS1_3repE0EEENS1_48merge_mergepath_partition_config_static_selectorELNS0_4arch9wavefront6targetE1EEEvSH_.has_recursion, 0
	.set _ZN7rocprim17ROCPRIM_400000_NS6detail17trampoline_kernelINS0_14default_configENS1_38merge_sort_block_merge_config_selectorIflEEZZNS1_27merge_sort_block_merge_implIS3_PfN6thrust23THRUST_200600_302600_NS10device_ptrIlEEjNS1_19radix_merge_compareILb0ELb0EfNS0_19identity_decomposerEEEEE10hipError_tT0_T1_T2_jT3_P12ihipStream_tbPNSt15iterator_traitsISG_E10value_typeEPNSM_ISH_E10value_typeEPSI_NS1_7vsmem_tEENKUlT_SG_SH_SI_E_clIS7_S7_PlSB_EESF_SV_SG_SH_SI_EUlSV_E_NS1_11comp_targetILNS1_3genE0ELNS1_11target_archE4294967295ELNS1_3gpuE0ELNS1_3repE0EEENS1_48merge_mergepath_partition_config_static_selectorELNS0_4arch9wavefront6targetE1EEEvSH_.has_indirect_call, 0
	.section	.AMDGPU.csdata,"",@progbits
; Kernel info:
; codeLenInByte = 0
; TotalNumSgprs: 4
; NumVgprs: 0
; ScratchSize: 0
; MemoryBound: 0
; FloatMode: 240
; IeeeMode: 1
; LDSByteSize: 0 bytes/workgroup (compile time only)
; SGPRBlocks: 0
; VGPRBlocks: 0
; NumSGPRsForWavesPerEU: 4
; NumVGPRsForWavesPerEU: 1
; Occupancy: 10
; WaveLimiterHint : 0
; COMPUTE_PGM_RSRC2:SCRATCH_EN: 0
; COMPUTE_PGM_RSRC2:USER_SGPR: 6
; COMPUTE_PGM_RSRC2:TRAP_HANDLER: 0
; COMPUTE_PGM_RSRC2:TGID_X_EN: 1
; COMPUTE_PGM_RSRC2:TGID_Y_EN: 0
; COMPUTE_PGM_RSRC2:TGID_Z_EN: 0
; COMPUTE_PGM_RSRC2:TIDIG_COMP_CNT: 0
	.section	.text._ZN7rocprim17ROCPRIM_400000_NS6detail17trampoline_kernelINS0_14default_configENS1_38merge_sort_block_merge_config_selectorIflEEZZNS1_27merge_sort_block_merge_implIS3_PfN6thrust23THRUST_200600_302600_NS10device_ptrIlEEjNS1_19radix_merge_compareILb0ELb0EfNS0_19identity_decomposerEEEEE10hipError_tT0_T1_T2_jT3_P12ihipStream_tbPNSt15iterator_traitsISG_E10value_typeEPNSM_ISH_E10value_typeEPSI_NS1_7vsmem_tEENKUlT_SG_SH_SI_E_clIS7_S7_PlSB_EESF_SV_SG_SH_SI_EUlSV_E_NS1_11comp_targetILNS1_3genE10ELNS1_11target_archE1201ELNS1_3gpuE5ELNS1_3repE0EEENS1_48merge_mergepath_partition_config_static_selectorELNS0_4arch9wavefront6targetE1EEEvSH_,"axG",@progbits,_ZN7rocprim17ROCPRIM_400000_NS6detail17trampoline_kernelINS0_14default_configENS1_38merge_sort_block_merge_config_selectorIflEEZZNS1_27merge_sort_block_merge_implIS3_PfN6thrust23THRUST_200600_302600_NS10device_ptrIlEEjNS1_19radix_merge_compareILb0ELb0EfNS0_19identity_decomposerEEEEE10hipError_tT0_T1_T2_jT3_P12ihipStream_tbPNSt15iterator_traitsISG_E10value_typeEPNSM_ISH_E10value_typeEPSI_NS1_7vsmem_tEENKUlT_SG_SH_SI_E_clIS7_S7_PlSB_EESF_SV_SG_SH_SI_EUlSV_E_NS1_11comp_targetILNS1_3genE10ELNS1_11target_archE1201ELNS1_3gpuE5ELNS1_3repE0EEENS1_48merge_mergepath_partition_config_static_selectorELNS0_4arch9wavefront6targetE1EEEvSH_,comdat
	.protected	_ZN7rocprim17ROCPRIM_400000_NS6detail17trampoline_kernelINS0_14default_configENS1_38merge_sort_block_merge_config_selectorIflEEZZNS1_27merge_sort_block_merge_implIS3_PfN6thrust23THRUST_200600_302600_NS10device_ptrIlEEjNS1_19radix_merge_compareILb0ELb0EfNS0_19identity_decomposerEEEEE10hipError_tT0_T1_T2_jT3_P12ihipStream_tbPNSt15iterator_traitsISG_E10value_typeEPNSM_ISH_E10value_typeEPSI_NS1_7vsmem_tEENKUlT_SG_SH_SI_E_clIS7_S7_PlSB_EESF_SV_SG_SH_SI_EUlSV_E_NS1_11comp_targetILNS1_3genE10ELNS1_11target_archE1201ELNS1_3gpuE5ELNS1_3repE0EEENS1_48merge_mergepath_partition_config_static_selectorELNS0_4arch9wavefront6targetE1EEEvSH_ ; -- Begin function _ZN7rocprim17ROCPRIM_400000_NS6detail17trampoline_kernelINS0_14default_configENS1_38merge_sort_block_merge_config_selectorIflEEZZNS1_27merge_sort_block_merge_implIS3_PfN6thrust23THRUST_200600_302600_NS10device_ptrIlEEjNS1_19radix_merge_compareILb0ELb0EfNS0_19identity_decomposerEEEEE10hipError_tT0_T1_T2_jT3_P12ihipStream_tbPNSt15iterator_traitsISG_E10value_typeEPNSM_ISH_E10value_typeEPSI_NS1_7vsmem_tEENKUlT_SG_SH_SI_E_clIS7_S7_PlSB_EESF_SV_SG_SH_SI_EUlSV_E_NS1_11comp_targetILNS1_3genE10ELNS1_11target_archE1201ELNS1_3gpuE5ELNS1_3repE0EEENS1_48merge_mergepath_partition_config_static_selectorELNS0_4arch9wavefront6targetE1EEEvSH_
	.globl	_ZN7rocprim17ROCPRIM_400000_NS6detail17trampoline_kernelINS0_14default_configENS1_38merge_sort_block_merge_config_selectorIflEEZZNS1_27merge_sort_block_merge_implIS3_PfN6thrust23THRUST_200600_302600_NS10device_ptrIlEEjNS1_19radix_merge_compareILb0ELb0EfNS0_19identity_decomposerEEEEE10hipError_tT0_T1_T2_jT3_P12ihipStream_tbPNSt15iterator_traitsISG_E10value_typeEPNSM_ISH_E10value_typeEPSI_NS1_7vsmem_tEENKUlT_SG_SH_SI_E_clIS7_S7_PlSB_EESF_SV_SG_SH_SI_EUlSV_E_NS1_11comp_targetILNS1_3genE10ELNS1_11target_archE1201ELNS1_3gpuE5ELNS1_3repE0EEENS1_48merge_mergepath_partition_config_static_selectorELNS0_4arch9wavefront6targetE1EEEvSH_
	.p2align	8
	.type	_ZN7rocprim17ROCPRIM_400000_NS6detail17trampoline_kernelINS0_14default_configENS1_38merge_sort_block_merge_config_selectorIflEEZZNS1_27merge_sort_block_merge_implIS3_PfN6thrust23THRUST_200600_302600_NS10device_ptrIlEEjNS1_19radix_merge_compareILb0ELb0EfNS0_19identity_decomposerEEEEE10hipError_tT0_T1_T2_jT3_P12ihipStream_tbPNSt15iterator_traitsISG_E10value_typeEPNSM_ISH_E10value_typeEPSI_NS1_7vsmem_tEENKUlT_SG_SH_SI_E_clIS7_S7_PlSB_EESF_SV_SG_SH_SI_EUlSV_E_NS1_11comp_targetILNS1_3genE10ELNS1_11target_archE1201ELNS1_3gpuE5ELNS1_3repE0EEENS1_48merge_mergepath_partition_config_static_selectorELNS0_4arch9wavefront6targetE1EEEvSH_,@function
_ZN7rocprim17ROCPRIM_400000_NS6detail17trampoline_kernelINS0_14default_configENS1_38merge_sort_block_merge_config_selectorIflEEZZNS1_27merge_sort_block_merge_implIS3_PfN6thrust23THRUST_200600_302600_NS10device_ptrIlEEjNS1_19radix_merge_compareILb0ELb0EfNS0_19identity_decomposerEEEEE10hipError_tT0_T1_T2_jT3_P12ihipStream_tbPNSt15iterator_traitsISG_E10value_typeEPNSM_ISH_E10value_typeEPSI_NS1_7vsmem_tEENKUlT_SG_SH_SI_E_clIS7_S7_PlSB_EESF_SV_SG_SH_SI_EUlSV_E_NS1_11comp_targetILNS1_3genE10ELNS1_11target_archE1201ELNS1_3gpuE5ELNS1_3repE0EEENS1_48merge_mergepath_partition_config_static_selectorELNS0_4arch9wavefront6targetE1EEEvSH_: ; @_ZN7rocprim17ROCPRIM_400000_NS6detail17trampoline_kernelINS0_14default_configENS1_38merge_sort_block_merge_config_selectorIflEEZZNS1_27merge_sort_block_merge_implIS3_PfN6thrust23THRUST_200600_302600_NS10device_ptrIlEEjNS1_19radix_merge_compareILb0ELb0EfNS0_19identity_decomposerEEEEE10hipError_tT0_T1_T2_jT3_P12ihipStream_tbPNSt15iterator_traitsISG_E10value_typeEPNSM_ISH_E10value_typeEPSI_NS1_7vsmem_tEENKUlT_SG_SH_SI_E_clIS7_S7_PlSB_EESF_SV_SG_SH_SI_EUlSV_E_NS1_11comp_targetILNS1_3genE10ELNS1_11target_archE1201ELNS1_3gpuE5ELNS1_3repE0EEENS1_48merge_mergepath_partition_config_static_selectorELNS0_4arch9wavefront6targetE1EEEvSH_
; %bb.0:
	.section	.rodata,"a",@progbits
	.p2align	6, 0x0
	.amdhsa_kernel _ZN7rocprim17ROCPRIM_400000_NS6detail17trampoline_kernelINS0_14default_configENS1_38merge_sort_block_merge_config_selectorIflEEZZNS1_27merge_sort_block_merge_implIS3_PfN6thrust23THRUST_200600_302600_NS10device_ptrIlEEjNS1_19radix_merge_compareILb0ELb0EfNS0_19identity_decomposerEEEEE10hipError_tT0_T1_T2_jT3_P12ihipStream_tbPNSt15iterator_traitsISG_E10value_typeEPNSM_ISH_E10value_typeEPSI_NS1_7vsmem_tEENKUlT_SG_SH_SI_E_clIS7_S7_PlSB_EESF_SV_SG_SH_SI_EUlSV_E_NS1_11comp_targetILNS1_3genE10ELNS1_11target_archE1201ELNS1_3gpuE5ELNS1_3repE0EEENS1_48merge_mergepath_partition_config_static_selectorELNS0_4arch9wavefront6targetE1EEEvSH_
		.amdhsa_group_segment_fixed_size 0
		.amdhsa_private_segment_fixed_size 0
		.amdhsa_kernarg_size 40
		.amdhsa_user_sgpr_count 6
		.amdhsa_user_sgpr_private_segment_buffer 1
		.amdhsa_user_sgpr_dispatch_ptr 0
		.amdhsa_user_sgpr_queue_ptr 0
		.amdhsa_user_sgpr_kernarg_segment_ptr 1
		.amdhsa_user_sgpr_dispatch_id 0
		.amdhsa_user_sgpr_flat_scratch_init 0
		.amdhsa_user_sgpr_private_segment_size 0
		.amdhsa_uses_dynamic_stack 0
		.amdhsa_system_sgpr_private_segment_wavefront_offset 0
		.amdhsa_system_sgpr_workgroup_id_x 1
		.amdhsa_system_sgpr_workgroup_id_y 0
		.amdhsa_system_sgpr_workgroup_id_z 0
		.amdhsa_system_sgpr_workgroup_info 0
		.amdhsa_system_vgpr_workitem_id 0
		.amdhsa_next_free_vgpr 1
		.amdhsa_next_free_sgpr 0
		.amdhsa_reserve_vcc 0
		.amdhsa_reserve_flat_scratch 0
		.amdhsa_float_round_mode_32 0
		.amdhsa_float_round_mode_16_64 0
		.amdhsa_float_denorm_mode_32 3
		.amdhsa_float_denorm_mode_16_64 3
		.amdhsa_dx10_clamp 1
		.amdhsa_ieee_mode 1
		.amdhsa_fp16_overflow 0
		.amdhsa_exception_fp_ieee_invalid_op 0
		.amdhsa_exception_fp_denorm_src 0
		.amdhsa_exception_fp_ieee_div_zero 0
		.amdhsa_exception_fp_ieee_overflow 0
		.amdhsa_exception_fp_ieee_underflow 0
		.amdhsa_exception_fp_ieee_inexact 0
		.amdhsa_exception_int_div_zero 0
	.end_amdhsa_kernel
	.section	.text._ZN7rocprim17ROCPRIM_400000_NS6detail17trampoline_kernelINS0_14default_configENS1_38merge_sort_block_merge_config_selectorIflEEZZNS1_27merge_sort_block_merge_implIS3_PfN6thrust23THRUST_200600_302600_NS10device_ptrIlEEjNS1_19radix_merge_compareILb0ELb0EfNS0_19identity_decomposerEEEEE10hipError_tT0_T1_T2_jT3_P12ihipStream_tbPNSt15iterator_traitsISG_E10value_typeEPNSM_ISH_E10value_typeEPSI_NS1_7vsmem_tEENKUlT_SG_SH_SI_E_clIS7_S7_PlSB_EESF_SV_SG_SH_SI_EUlSV_E_NS1_11comp_targetILNS1_3genE10ELNS1_11target_archE1201ELNS1_3gpuE5ELNS1_3repE0EEENS1_48merge_mergepath_partition_config_static_selectorELNS0_4arch9wavefront6targetE1EEEvSH_,"axG",@progbits,_ZN7rocprim17ROCPRIM_400000_NS6detail17trampoline_kernelINS0_14default_configENS1_38merge_sort_block_merge_config_selectorIflEEZZNS1_27merge_sort_block_merge_implIS3_PfN6thrust23THRUST_200600_302600_NS10device_ptrIlEEjNS1_19radix_merge_compareILb0ELb0EfNS0_19identity_decomposerEEEEE10hipError_tT0_T1_T2_jT3_P12ihipStream_tbPNSt15iterator_traitsISG_E10value_typeEPNSM_ISH_E10value_typeEPSI_NS1_7vsmem_tEENKUlT_SG_SH_SI_E_clIS7_S7_PlSB_EESF_SV_SG_SH_SI_EUlSV_E_NS1_11comp_targetILNS1_3genE10ELNS1_11target_archE1201ELNS1_3gpuE5ELNS1_3repE0EEENS1_48merge_mergepath_partition_config_static_selectorELNS0_4arch9wavefront6targetE1EEEvSH_,comdat
.Lfunc_end1761:
	.size	_ZN7rocprim17ROCPRIM_400000_NS6detail17trampoline_kernelINS0_14default_configENS1_38merge_sort_block_merge_config_selectorIflEEZZNS1_27merge_sort_block_merge_implIS3_PfN6thrust23THRUST_200600_302600_NS10device_ptrIlEEjNS1_19radix_merge_compareILb0ELb0EfNS0_19identity_decomposerEEEEE10hipError_tT0_T1_T2_jT3_P12ihipStream_tbPNSt15iterator_traitsISG_E10value_typeEPNSM_ISH_E10value_typeEPSI_NS1_7vsmem_tEENKUlT_SG_SH_SI_E_clIS7_S7_PlSB_EESF_SV_SG_SH_SI_EUlSV_E_NS1_11comp_targetILNS1_3genE10ELNS1_11target_archE1201ELNS1_3gpuE5ELNS1_3repE0EEENS1_48merge_mergepath_partition_config_static_selectorELNS0_4arch9wavefront6targetE1EEEvSH_, .Lfunc_end1761-_ZN7rocprim17ROCPRIM_400000_NS6detail17trampoline_kernelINS0_14default_configENS1_38merge_sort_block_merge_config_selectorIflEEZZNS1_27merge_sort_block_merge_implIS3_PfN6thrust23THRUST_200600_302600_NS10device_ptrIlEEjNS1_19radix_merge_compareILb0ELb0EfNS0_19identity_decomposerEEEEE10hipError_tT0_T1_T2_jT3_P12ihipStream_tbPNSt15iterator_traitsISG_E10value_typeEPNSM_ISH_E10value_typeEPSI_NS1_7vsmem_tEENKUlT_SG_SH_SI_E_clIS7_S7_PlSB_EESF_SV_SG_SH_SI_EUlSV_E_NS1_11comp_targetILNS1_3genE10ELNS1_11target_archE1201ELNS1_3gpuE5ELNS1_3repE0EEENS1_48merge_mergepath_partition_config_static_selectorELNS0_4arch9wavefront6targetE1EEEvSH_
                                        ; -- End function
	.set _ZN7rocprim17ROCPRIM_400000_NS6detail17trampoline_kernelINS0_14default_configENS1_38merge_sort_block_merge_config_selectorIflEEZZNS1_27merge_sort_block_merge_implIS3_PfN6thrust23THRUST_200600_302600_NS10device_ptrIlEEjNS1_19radix_merge_compareILb0ELb0EfNS0_19identity_decomposerEEEEE10hipError_tT0_T1_T2_jT3_P12ihipStream_tbPNSt15iterator_traitsISG_E10value_typeEPNSM_ISH_E10value_typeEPSI_NS1_7vsmem_tEENKUlT_SG_SH_SI_E_clIS7_S7_PlSB_EESF_SV_SG_SH_SI_EUlSV_E_NS1_11comp_targetILNS1_3genE10ELNS1_11target_archE1201ELNS1_3gpuE5ELNS1_3repE0EEENS1_48merge_mergepath_partition_config_static_selectorELNS0_4arch9wavefront6targetE1EEEvSH_.num_vgpr, 0
	.set _ZN7rocprim17ROCPRIM_400000_NS6detail17trampoline_kernelINS0_14default_configENS1_38merge_sort_block_merge_config_selectorIflEEZZNS1_27merge_sort_block_merge_implIS3_PfN6thrust23THRUST_200600_302600_NS10device_ptrIlEEjNS1_19radix_merge_compareILb0ELb0EfNS0_19identity_decomposerEEEEE10hipError_tT0_T1_T2_jT3_P12ihipStream_tbPNSt15iterator_traitsISG_E10value_typeEPNSM_ISH_E10value_typeEPSI_NS1_7vsmem_tEENKUlT_SG_SH_SI_E_clIS7_S7_PlSB_EESF_SV_SG_SH_SI_EUlSV_E_NS1_11comp_targetILNS1_3genE10ELNS1_11target_archE1201ELNS1_3gpuE5ELNS1_3repE0EEENS1_48merge_mergepath_partition_config_static_selectorELNS0_4arch9wavefront6targetE1EEEvSH_.num_agpr, 0
	.set _ZN7rocprim17ROCPRIM_400000_NS6detail17trampoline_kernelINS0_14default_configENS1_38merge_sort_block_merge_config_selectorIflEEZZNS1_27merge_sort_block_merge_implIS3_PfN6thrust23THRUST_200600_302600_NS10device_ptrIlEEjNS1_19radix_merge_compareILb0ELb0EfNS0_19identity_decomposerEEEEE10hipError_tT0_T1_T2_jT3_P12ihipStream_tbPNSt15iterator_traitsISG_E10value_typeEPNSM_ISH_E10value_typeEPSI_NS1_7vsmem_tEENKUlT_SG_SH_SI_E_clIS7_S7_PlSB_EESF_SV_SG_SH_SI_EUlSV_E_NS1_11comp_targetILNS1_3genE10ELNS1_11target_archE1201ELNS1_3gpuE5ELNS1_3repE0EEENS1_48merge_mergepath_partition_config_static_selectorELNS0_4arch9wavefront6targetE1EEEvSH_.numbered_sgpr, 0
	.set _ZN7rocprim17ROCPRIM_400000_NS6detail17trampoline_kernelINS0_14default_configENS1_38merge_sort_block_merge_config_selectorIflEEZZNS1_27merge_sort_block_merge_implIS3_PfN6thrust23THRUST_200600_302600_NS10device_ptrIlEEjNS1_19radix_merge_compareILb0ELb0EfNS0_19identity_decomposerEEEEE10hipError_tT0_T1_T2_jT3_P12ihipStream_tbPNSt15iterator_traitsISG_E10value_typeEPNSM_ISH_E10value_typeEPSI_NS1_7vsmem_tEENKUlT_SG_SH_SI_E_clIS7_S7_PlSB_EESF_SV_SG_SH_SI_EUlSV_E_NS1_11comp_targetILNS1_3genE10ELNS1_11target_archE1201ELNS1_3gpuE5ELNS1_3repE0EEENS1_48merge_mergepath_partition_config_static_selectorELNS0_4arch9wavefront6targetE1EEEvSH_.num_named_barrier, 0
	.set _ZN7rocprim17ROCPRIM_400000_NS6detail17trampoline_kernelINS0_14default_configENS1_38merge_sort_block_merge_config_selectorIflEEZZNS1_27merge_sort_block_merge_implIS3_PfN6thrust23THRUST_200600_302600_NS10device_ptrIlEEjNS1_19radix_merge_compareILb0ELb0EfNS0_19identity_decomposerEEEEE10hipError_tT0_T1_T2_jT3_P12ihipStream_tbPNSt15iterator_traitsISG_E10value_typeEPNSM_ISH_E10value_typeEPSI_NS1_7vsmem_tEENKUlT_SG_SH_SI_E_clIS7_S7_PlSB_EESF_SV_SG_SH_SI_EUlSV_E_NS1_11comp_targetILNS1_3genE10ELNS1_11target_archE1201ELNS1_3gpuE5ELNS1_3repE0EEENS1_48merge_mergepath_partition_config_static_selectorELNS0_4arch9wavefront6targetE1EEEvSH_.private_seg_size, 0
	.set _ZN7rocprim17ROCPRIM_400000_NS6detail17trampoline_kernelINS0_14default_configENS1_38merge_sort_block_merge_config_selectorIflEEZZNS1_27merge_sort_block_merge_implIS3_PfN6thrust23THRUST_200600_302600_NS10device_ptrIlEEjNS1_19radix_merge_compareILb0ELb0EfNS0_19identity_decomposerEEEEE10hipError_tT0_T1_T2_jT3_P12ihipStream_tbPNSt15iterator_traitsISG_E10value_typeEPNSM_ISH_E10value_typeEPSI_NS1_7vsmem_tEENKUlT_SG_SH_SI_E_clIS7_S7_PlSB_EESF_SV_SG_SH_SI_EUlSV_E_NS1_11comp_targetILNS1_3genE10ELNS1_11target_archE1201ELNS1_3gpuE5ELNS1_3repE0EEENS1_48merge_mergepath_partition_config_static_selectorELNS0_4arch9wavefront6targetE1EEEvSH_.uses_vcc, 0
	.set _ZN7rocprim17ROCPRIM_400000_NS6detail17trampoline_kernelINS0_14default_configENS1_38merge_sort_block_merge_config_selectorIflEEZZNS1_27merge_sort_block_merge_implIS3_PfN6thrust23THRUST_200600_302600_NS10device_ptrIlEEjNS1_19radix_merge_compareILb0ELb0EfNS0_19identity_decomposerEEEEE10hipError_tT0_T1_T2_jT3_P12ihipStream_tbPNSt15iterator_traitsISG_E10value_typeEPNSM_ISH_E10value_typeEPSI_NS1_7vsmem_tEENKUlT_SG_SH_SI_E_clIS7_S7_PlSB_EESF_SV_SG_SH_SI_EUlSV_E_NS1_11comp_targetILNS1_3genE10ELNS1_11target_archE1201ELNS1_3gpuE5ELNS1_3repE0EEENS1_48merge_mergepath_partition_config_static_selectorELNS0_4arch9wavefront6targetE1EEEvSH_.uses_flat_scratch, 0
	.set _ZN7rocprim17ROCPRIM_400000_NS6detail17trampoline_kernelINS0_14default_configENS1_38merge_sort_block_merge_config_selectorIflEEZZNS1_27merge_sort_block_merge_implIS3_PfN6thrust23THRUST_200600_302600_NS10device_ptrIlEEjNS1_19radix_merge_compareILb0ELb0EfNS0_19identity_decomposerEEEEE10hipError_tT0_T1_T2_jT3_P12ihipStream_tbPNSt15iterator_traitsISG_E10value_typeEPNSM_ISH_E10value_typeEPSI_NS1_7vsmem_tEENKUlT_SG_SH_SI_E_clIS7_S7_PlSB_EESF_SV_SG_SH_SI_EUlSV_E_NS1_11comp_targetILNS1_3genE10ELNS1_11target_archE1201ELNS1_3gpuE5ELNS1_3repE0EEENS1_48merge_mergepath_partition_config_static_selectorELNS0_4arch9wavefront6targetE1EEEvSH_.has_dyn_sized_stack, 0
	.set _ZN7rocprim17ROCPRIM_400000_NS6detail17trampoline_kernelINS0_14default_configENS1_38merge_sort_block_merge_config_selectorIflEEZZNS1_27merge_sort_block_merge_implIS3_PfN6thrust23THRUST_200600_302600_NS10device_ptrIlEEjNS1_19radix_merge_compareILb0ELb0EfNS0_19identity_decomposerEEEEE10hipError_tT0_T1_T2_jT3_P12ihipStream_tbPNSt15iterator_traitsISG_E10value_typeEPNSM_ISH_E10value_typeEPSI_NS1_7vsmem_tEENKUlT_SG_SH_SI_E_clIS7_S7_PlSB_EESF_SV_SG_SH_SI_EUlSV_E_NS1_11comp_targetILNS1_3genE10ELNS1_11target_archE1201ELNS1_3gpuE5ELNS1_3repE0EEENS1_48merge_mergepath_partition_config_static_selectorELNS0_4arch9wavefront6targetE1EEEvSH_.has_recursion, 0
	.set _ZN7rocprim17ROCPRIM_400000_NS6detail17trampoline_kernelINS0_14default_configENS1_38merge_sort_block_merge_config_selectorIflEEZZNS1_27merge_sort_block_merge_implIS3_PfN6thrust23THRUST_200600_302600_NS10device_ptrIlEEjNS1_19radix_merge_compareILb0ELb0EfNS0_19identity_decomposerEEEEE10hipError_tT0_T1_T2_jT3_P12ihipStream_tbPNSt15iterator_traitsISG_E10value_typeEPNSM_ISH_E10value_typeEPSI_NS1_7vsmem_tEENKUlT_SG_SH_SI_E_clIS7_S7_PlSB_EESF_SV_SG_SH_SI_EUlSV_E_NS1_11comp_targetILNS1_3genE10ELNS1_11target_archE1201ELNS1_3gpuE5ELNS1_3repE0EEENS1_48merge_mergepath_partition_config_static_selectorELNS0_4arch9wavefront6targetE1EEEvSH_.has_indirect_call, 0
	.section	.AMDGPU.csdata,"",@progbits
; Kernel info:
; codeLenInByte = 0
; TotalNumSgprs: 4
; NumVgprs: 0
; ScratchSize: 0
; MemoryBound: 0
; FloatMode: 240
; IeeeMode: 1
; LDSByteSize: 0 bytes/workgroup (compile time only)
; SGPRBlocks: 0
; VGPRBlocks: 0
; NumSGPRsForWavesPerEU: 4
; NumVGPRsForWavesPerEU: 1
; Occupancy: 10
; WaveLimiterHint : 0
; COMPUTE_PGM_RSRC2:SCRATCH_EN: 0
; COMPUTE_PGM_RSRC2:USER_SGPR: 6
; COMPUTE_PGM_RSRC2:TRAP_HANDLER: 0
; COMPUTE_PGM_RSRC2:TGID_X_EN: 1
; COMPUTE_PGM_RSRC2:TGID_Y_EN: 0
; COMPUTE_PGM_RSRC2:TGID_Z_EN: 0
; COMPUTE_PGM_RSRC2:TIDIG_COMP_CNT: 0
	.section	.text._ZN7rocprim17ROCPRIM_400000_NS6detail17trampoline_kernelINS0_14default_configENS1_38merge_sort_block_merge_config_selectorIflEEZZNS1_27merge_sort_block_merge_implIS3_PfN6thrust23THRUST_200600_302600_NS10device_ptrIlEEjNS1_19radix_merge_compareILb0ELb0EfNS0_19identity_decomposerEEEEE10hipError_tT0_T1_T2_jT3_P12ihipStream_tbPNSt15iterator_traitsISG_E10value_typeEPNSM_ISH_E10value_typeEPSI_NS1_7vsmem_tEENKUlT_SG_SH_SI_E_clIS7_S7_PlSB_EESF_SV_SG_SH_SI_EUlSV_E_NS1_11comp_targetILNS1_3genE5ELNS1_11target_archE942ELNS1_3gpuE9ELNS1_3repE0EEENS1_48merge_mergepath_partition_config_static_selectorELNS0_4arch9wavefront6targetE1EEEvSH_,"axG",@progbits,_ZN7rocprim17ROCPRIM_400000_NS6detail17trampoline_kernelINS0_14default_configENS1_38merge_sort_block_merge_config_selectorIflEEZZNS1_27merge_sort_block_merge_implIS3_PfN6thrust23THRUST_200600_302600_NS10device_ptrIlEEjNS1_19radix_merge_compareILb0ELb0EfNS0_19identity_decomposerEEEEE10hipError_tT0_T1_T2_jT3_P12ihipStream_tbPNSt15iterator_traitsISG_E10value_typeEPNSM_ISH_E10value_typeEPSI_NS1_7vsmem_tEENKUlT_SG_SH_SI_E_clIS7_S7_PlSB_EESF_SV_SG_SH_SI_EUlSV_E_NS1_11comp_targetILNS1_3genE5ELNS1_11target_archE942ELNS1_3gpuE9ELNS1_3repE0EEENS1_48merge_mergepath_partition_config_static_selectorELNS0_4arch9wavefront6targetE1EEEvSH_,comdat
	.protected	_ZN7rocprim17ROCPRIM_400000_NS6detail17trampoline_kernelINS0_14default_configENS1_38merge_sort_block_merge_config_selectorIflEEZZNS1_27merge_sort_block_merge_implIS3_PfN6thrust23THRUST_200600_302600_NS10device_ptrIlEEjNS1_19radix_merge_compareILb0ELb0EfNS0_19identity_decomposerEEEEE10hipError_tT0_T1_T2_jT3_P12ihipStream_tbPNSt15iterator_traitsISG_E10value_typeEPNSM_ISH_E10value_typeEPSI_NS1_7vsmem_tEENKUlT_SG_SH_SI_E_clIS7_S7_PlSB_EESF_SV_SG_SH_SI_EUlSV_E_NS1_11comp_targetILNS1_3genE5ELNS1_11target_archE942ELNS1_3gpuE9ELNS1_3repE0EEENS1_48merge_mergepath_partition_config_static_selectorELNS0_4arch9wavefront6targetE1EEEvSH_ ; -- Begin function _ZN7rocprim17ROCPRIM_400000_NS6detail17trampoline_kernelINS0_14default_configENS1_38merge_sort_block_merge_config_selectorIflEEZZNS1_27merge_sort_block_merge_implIS3_PfN6thrust23THRUST_200600_302600_NS10device_ptrIlEEjNS1_19radix_merge_compareILb0ELb0EfNS0_19identity_decomposerEEEEE10hipError_tT0_T1_T2_jT3_P12ihipStream_tbPNSt15iterator_traitsISG_E10value_typeEPNSM_ISH_E10value_typeEPSI_NS1_7vsmem_tEENKUlT_SG_SH_SI_E_clIS7_S7_PlSB_EESF_SV_SG_SH_SI_EUlSV_E_NS1_11comp_targetILNS1_3genE5ELNS1_11target_archE942ELNS1_3gpuE9ELNS1_3repE0EEENS1_48merge_mergepath_partition_config_static_selectorELNS0_4arch9wavefront6targetE1EEEvSH_
	.globl	_ZN7rocprim17ROCPRIM_400000_NS6detail17trampoline_kernelINS0_14default_configENS1_38merge_sort_block_merge_config_selectorIflEEZZNS1_27merge_sort_block_merge_implIS3_PfN6thrust23THRUST_200600_302600_NS10device_ptrIlEEjNS1_19radix_merge_compareILb0ELb0EfNS0_19identity_decomposerEEEEE10hipError_tT0_T1_T2_jT3_P12ihipStream_tbPNSt15iterator_traitsISG_E10value_typeEPNSM_ISH_E10value_typeEPSI_NS1_7vsmem_tEENKUlT_SG_SH_SI_E_clIS7_S7_PlSB_EESF_SV_SG_SH_SI_EUlSV_E_NS1_11comp_targetILNS1_3genE5ELNS1_11target_archE942ELNS1_3gpuE9ELNS1_3repE0EEENS1_48merge_mergepath_partition_config_static_selectorELNS0_4arch9wavefront6targetE1EEEvSH_
	.p2align	8
	.type	_ZN7rocprim17ROCPRIM_400000_NS6detail17trampoline_kernelINS0_14default_configENS1_38merge_sort_block_merge_config_selectorIflEEZZNS1_27merge_sort_block_merge_implIS3_PfN6thrust23THRUST_200600_302600_NS10device_ptrIlEEjNS1_19radix_merge_compareILb0ELb0EfNS0_19identity_decomposerEEEEE10hipError_tT0_T1_T2_jT3_P12ihipStream_tbPNSt15iterator_traitsISG_E10value_typeEPNSM_ISH_E10value_typeEPSI_NS1_7vsmem_tEENKUlT_SG_SH_SI_E_clIS7_S7_PlSB_EESF_SV_SG_SH_SI_EUlSV_E_NS1_11comp_targetILNS1_3genE5ELNS1_11target_archE942ELNS1_3gpuE9ELNS1_3repE0EEENS1_48merge_mergepath_partition_config_static_selectorELNS0_4arch9wavefront6targetE1EEEvSH_,@function
_ZN7rocprim17ROCPRIM_400000_NS6detail17trampoline_kernelINS0_14default_configENS1_38merge_sort_block_merge_config_selectorIflEEZZNS1_27merge_sort_block_merge_implIS3_PfN6thrust23THRUST_200600_302600_NS10device_ptrIlEEjNS1_19radix_merge_compareILb0ELb0EfNS0_19identity_decomposerEEEEE10hipError_tT0_T1_T2_jT3_P12ihipStream_tbPNSt15iterator_traitsISG_E10value_typeEPNSM_ISH_E10value_typeEPSI_NS1_7vsmem_tEENKUlT_SG_SH_SI_E_clIS7_S7_PlSB_EESF_SV_SG_SH_SI_EUlSV_E_NS1_11comp_targetILNS1_3genE5ELNS1_11target_archE942ELNS1_3gpuE9ELNS1_3repE0EEENS1_48merge_mergepath_partition_config_static_selectorELNS0_4arch9wavefront6targetE1EEEvSH_: ; @_ZN7rocprim17ROCPRIM_400000_NS6detail17trampoline_kernelINS0_14default_configENS1_38merge_sort_block_merge_config_selectorIflEEZZNS1_27merge_sort_block_merge_implIS3_PfN6thrust23THRUST_200600_302600_NS10device_ptrIlEEjNS1_19radix_merge_compareILb0ELb0EfNS0_19identity_decomposerEEEEE10hipError_tT0_T1_T2_jT3_P12ihipStream_tbPNSt15iterator_traitsISG_E10value_typeEPNSM_ISH_E10value_typeEPSI_NS1_7vsmem_tEENKUlT_SG_SH_SI_E_clIS7_S7_PlSB_EESF_SV_SG_SH_SI_EUlSV_E_NS1_11comp_targetILNS1_3genE5ELNS1_11target_archE942ELNS1_3gpuE9ELNS1_3repE0EEENS1_48merge_mergepath_partition_config_static_selectorELNS0_4arch9wavefront6targetE1EEEvSH_
; %bb.0:
	.section	.rodata,"a",@progbits
	.p2align	6, 0x0
	.amdhsa_kernel _ZN7rocprim17ROCPRIM_400000_NS6detail17trampoline_kernelINS0_14default_configENS1_38merge_sort_block_merge_config_selectorIflEEZZNS1_27merge_sort_block_merge_implIS3_PfN6thrust23THRUST_200600_302600_NS10device_ptrIlEEjNS1_19radix_merge_compareILb0ELb0EfNS0_19identity_decomposerEEEEE10hipError_tT0_T1_T2_jT3_P12ihipStream_tbPNSt15iterator_traitsISG_E10value_typeEPNSM_ISH_E10value_typeEPSI_NS1_7vsmem_tEENKUlT_SG_SH_SI_E_clIS7_S7_PlSB_EESF_SV_SG_SH_SI_EUlSV_E_NS1_11comp_targetILNS1_3genE5ELNS1_11target_archE942ELNS1_3gpuE9ELNS1_3repE0EEENS1_48merge_mergepath_partition_config_static_selectorELNS0_4arch9wavefront6targetE1EEEvSH_
		.amdhsa_group_segment_fixed_size 0
		.amdhsa_private_segment_fixed_size 0
		.amdhsa_kernarg_size 40
		.amdhsa_user_sgpr_count 6
		.amdhsa_user_sgpr_private_segment_buffer 1
		.amdhsa_user_sgpr_dispatch_ptr 0
		.amdhsa_user_sgpr_queue_ptr 0
		.amdhsa_user_sgpr_kernarg_segment_ptr 1
		.amdhsa_user_sgpr_dispatch_id 0
		.amdhsa_user_sgpr_flat_scratch_init 0
		.amdhsa_user_sgpr_private_segment_size 0
		.amdhsa_uses_dynamic_stack 0
		.amdhsa_system_sgpr_private_segment_wavefront_offset 0
		.amdhsa_system_sgpr_workgroup_id_x 1
		.amdhsa_system_sgpr_workgroup_id_y 0
		.amdhsa_system_sgpr_workgroup_id_z 0
		.amdhsa_system_sgpr_workgroup_info 0
		.amdhsa_system_vgpr_workitem_id 0
		.amdhsa_next_free_vgpr 1
		.amdhsa_next_free_sgpr 0
		.amdhsa_reserve_vcc 0
		.amdhsa_reserve_flat_scratch 0
		.amdhsa_float_round_mode_32 0
		.amdhsa_float_round_mode_16_64 0
		.amdhsa_float_denorm_mode_32 3
		.amdhsa_float_denorm_mode_16_64 3
		.amdhsa_dx10_clamp 1
		.amdhsa_ieee_mode 1
		.amdhsa_fp16_overflow 0
		.amdhsa_exception_fp_ieee_invalid_op 0
		.amdhsa_exception_fp_denorm_src 0
		.amdhsa_exception_fp_ieee_div_zero 0
		.amdhsa_exception_fp_ieee_overflow 0
		.amdhsa_exception_fp_ieee_underflow 0
		.amdhsa_exception_fp_ieee_inexact 0
		.amdhsa_exception_int_div_zero 0
	.end_amdhsa_kernel
	.section	.text._ZN7rocprim17ROCPRIM_400000_NS6detail17trampoline_kernelINS0_14default_configENS1_38merge_sort_block_merge_config_selectorIflEEZZNS1_27merge_sort_block_merge_implIS3_PfN6thrust23THRUST_200600_302600_NS10device_ptrIlEEjNS1_19radix_merge_compareILb0ELb0EfNS0_19identity_decomposerEEEEE10hipError_tT0_T1_T2_jT3_P12ihipStream_tbPNSt15iterator_traitsISG_E10value_typeEPNSM_ISH_E10value_typeEPSI_NS1_7vsmem_tEENKUlT_SG_SH_SI_E_clIS7_S7_PlSB_EESF_SV_SG_SH_SI_EUlSV_E_NS1_11comp_targetILNS1_3genE5ELNS1_11target_archE942ELNS1_3gpuE9ELNS1_3repE0EEENS1_48merge_mergepath_partition_config_static_selectorELNS0_4arch9wavefront6targetE1EEEvSH_,"axG",@progbits,_ZN7rocprim17ROCPRIM_400000_NS6detail17trampoline_kernelINS0_14default_configENS1_38merge_sort_block_merge_config_selectorIflEEZZNS1_27merge_sort_block_merge_implIS3_PfN6thrust23THRUST_200600_302600_NS10device_ptrIlEEjNS1_19radix_merge_compareILb0ELb0EfNS0_19identity_decomposerEEEEE10hipError_tT0_T1_T2_jT3_P12ihipStream_tbPNSt15iterator_traitsISG_E10value_typeEPNSM_ISH_E10value_typeEPSI_NS1_7vsmem_tEENKUlT_SG_SH_SI_E_clIS7_S7_PlSB_EESF_SV_SG_SH_SI_EUlSV_E_NS1_11comp_targetILNS1_3genE5ELNS1_11target_archE942ELNS1_3gpuE9ELNS1_3repE0EEENS1_48merge_mergepath_partition_config_static_selectorELNS0_4arch9wavefront6targetE1EEEvSH_,comdat
.Lfunc_end1762:
	.size	_ZN7rocprim17ROCPRIM_400000_NS6detail17trampoline_kernelINS0_14default_configENS1_38merge_sort_block_merge_config_selectorIflEEZZNS1_27merge_sort_block_merge_implIS3_PfN6thrust23THRUST_200600_302600_NS10device_ptrIlEEjNS1_19radix_merge_compareILb0ELb0EfNS0_19identity_decomposerEEEEE10hipError_tT0_T1_T2_jT3_P12ihipStream_tbPNSt15iterator_traitsISG_E10value_typeEPNSM_ISH_E10value_typeEPSI_NS1_7vsmem_tEENKUlT_SG_SH_SI_E_clIS7_S7_PlSB_EESF_SV_SG_SH_SI_EUlSV_E_NS1_11comp_targetILNS1_3genE5ELNS1_11target_archE942ELNS1_3gpuE9ELNS1_3repE0EEENS1_48merge_mergepath_partition_config_static_selectorELNS0_4arch9wavefront6targetE1EEEvSH_, .Lfunc_end1762-_ZN7rocprim17ROCPRIM_400000_NS6detail17trampoline_kernelINS0_14default_configENS1_38merge_sort_block_merge_config_selectorIflEEZZNS1_27merge_sort_block_merge_implIS3_PfN6thrust23THRUST_200600_302600_NS10device_ptrIlEEjNS1_19radix_merge_compareILb0ELb0EfNS0_19identity_decomposerEEEEE10hipError_tT0_T1_T2_jT3_P12ihipStream_tbPNSt15iterator_traitsISG_E10value_typeEPNSM_ISH_E10value_typeEPSI_NS1_7vsmem_tEENKUlT_SG_SH_SI_E_clIS7_S7_PlSB_EESF_SV_SG_SH_SI_EUlSV_E_NS1_11comp_targetILNS1_3genE5ELNS1_11target_archE942ELNS1_3gpuE9ELNS1_3repE0EEENS1_48merge_mergepath_partition_config_static_selectorELNS0_4arch9wavefront6targetE1EEEvSH_
                                        ; -- End function
	.set _ZN7rocprim17ROCPRIM_400000_NS6detail17trampoline_kernelINS0_14default_configENS1_38merge_sort_block_merge_config_selectorIflEEZZNS1_27merge_sort_block_merge_implIS3_PfN6thrust23THRUST_200600_302600_NS10device_ptrIlEEjNS1_19radix_merge_compareILb0ELb0EfNS0_19identity_decomposerEEEEE10hipError_tT0_T1_T2_jT3_P12ihipStream_tbPNSt15iterator_traitsISG_E10value_typeEPNSM_ISH_E10value_typeEPSI_NS1_7vsmem_tEENKUlT_SG_SH_SI_E_clIS7_S7_PlSB_EESF_SV_SG_SH_SI_EUlSV_E_NS1_11comp_targetILNS1_3genE5ELNS1_11target_archE942ELNS1_3gpuE9ELNS1_3repE0EEENS1_48merge_mergepath_partition_config_static_selectorELNS0_4arch9wavefront6targetE1EEEvSH_.num_vgpr, 0
	.set _ZN7rocprim17ROCPRIM_400000_NS6detail17trampoline_kernelINS0_14default_configENS1_38merge_sort_block_merge_config_selectorIflEEZZNS1_27merge_sort_block_merge_implIS3_PfN6thrust23THRUST_200600_302600_NS10device_ptrIlEEjNS1_19radix_merge_compareILb0ELb0EfNS0_19identity_decomposerEEEEE10hipError_tT0_T1_T2_jT3_P12ihipStream_tbPNSt15iterator_traitsISG_E10value_typeEPNSM_ISH_E10value_typeEPSI_NS1_7vsmem_tEENKUlT_SG_SH_SI_E_clIS7_S7_PlSB_EESF_SV_SG_SH_SI_EUlSV_E_NS1_11comp_targetILNS1_3genE5ELNS1_11target_archE942ELNS1_3gpuE9ELNS1_3repE0EEENS1_48merge_mergepath_partition_config_static_selectorELNS0_4arch9wavefront6targetE1EEEvSH_.num_agpr, 0
	.set _ZN7rocprim17ROCPRIM_400000_NS6detail17trampoline_kernelINS0_14default_configENS1_38merge_sort_block_merge_config_selectorIflEEZZNS1_27merge_sort_block_merge_implIS3_PfN6thrust23THRUST_200600_302600_NS10device_ptrIlEEjNS1_19radix_merge_compareILb0ELb0EfNS0_19identity_decomposerEEEEE10hipError_tT0_T1_T2_jT3_P12ihipStream_tbPNSt15iterator_traitsISG_E10value_typeEPNSM_ISH_E10value_typeEPSI_NS1_7vsmem_tEENKUlT_SG_SH_SI_E_clIS7_S7_PlSB_EESF_SV_SG_SH_SI_EUlSV_E_NS1_11comp_targetILNS1_3genE5ELNS1_11target_archE942ELNS1_3gpuE9ELNS1_3repE0EEENS1_48merge_mergepath_partition_config_static_selectorELNS0_4arch9wavefront6targetE1EEEvSH_.numbered_sgpr, 0
	.set _ZN7rocprim17ROCPRIM_400000_NS6detail17trampoline_kernelINS0_14default_configENS1_38merge_sort_block_merge_config_selectorIflEEZZNS1_27merge_sort_block_merge_implIS3_PfN6thrust23THRUST_200600_302600_NS10device_ptrIlEEjNS1_19radix_merge_compareILb0ELb0EfNS0_19identity_decomposerEEEEE10hipError_tT0_T1_T2_jT3_P12ihipStream_tbPNSt15iterator_traitsISG_E10value_typeEPNSM_ISH_E10value_typeEPSI_NS1_7vsmem_tEENKUlT_SG_SH_SI_E_clIS7_S7_PlSB_EESF_SV_SG_SH_SI_EUlSV_E_NS1_11comp_targetILNS1_3genE5ELNS1_11target_archE942ELNS1_3gpuE9ELNS1_3repE0EEENS1_48merge_mergepath_partition_config_static_selectorELNS0_4arch9wavefront6targetE1EEEvSH_.num_named_barrier, 0
	.set _ZN7rocprim17ROCPRIM_400000_NS6detail17trampoline_kernelINS0_14default_configENS1_38merge_sort_block_merge_config_selectorIflEEZZNS1_27merge_sort_block_merge_implIS3_PfN6thrust23THRUST_200600_302600_NS10device_ptrIlEEjNS1_19radix_merge_compareILb0ELb0EfNS0_19identity_decomposerEEEEE10hipError_tT0_T1_T2_jT3_P12ihipStream_tbPNSt15iterator_traitsISG_E10value_typeEPNSM_ISH_E10value_typeEPSI_NS1_7vsmem_tEENKUlT_SG_SH_SI_E_clIS7_S7_PlSB_EESF_SV_SG_SH_SI_EUlSV_E_NS1_11comp_targetILNS1_3genE5ELNS1_11target_archE942ELNS1_3gpuE9ELNS1_3repE0EEENS1_48merge_mergepath_partition_config_static_selectorELNS0_4arch9wavefront6targetE1EEEvSH_.private_seg_size, 0
	.set _ZN7rocprim17ROCPRIM_400000_NS6detail17trampoline_kernelINS0_14default_configENS1_38merge_sort_block_merge_config_selectorIflEEZZNS1_27merge_sort_block_merge_implIS3_PfN6thrust23THRUST_200600_302600_NS10device_ptrIlEEjNS1_19radix_merge_compareILb0ELb0EfNS0_19identity_decomposerEEEEE10hipError_tT0_T1_T2_jT3_P12ihipStream_tbPNSt15iterator_traitsISG_E10value_typeEPNSM_ISH_E10value_typeEPSI_NS1_7vsmem_tEENKUlT_SG_SH_SI_E_clIS7_S7_PlSB_EESF_SV_SG_SH_SI_EUlSV_E_NS1_11comp_targetILNS1_3genE5ELNS1_11target_archE942ELNS1_3gpuE9ELNS1_3repE0EEENS1_48merge_mergepath_partition_config_static_selectorELNS0_4arch9wavefront6targetE1EEEvSH_.uses_vcc, 0
	.set _ZN7rocprim17ROCPRIM_400000_NS6detail17trampoline_kernelINS0_14default_configENS1_38merge_sort_block_merge_config_selectorIflEEZZNS1_27merge_sort_block_merge_implIS3_PfN6thrust23THRUST_200600_302600_NS10device_ptrIlEEjNS1_19radix_merge_compareILb0ELb0EfNS0_19identity_decomposerEEEEE10hipError_tT0_T1_T2_jT3_P12ihipStream_tbPNSt15iterator_traitsISG_E10value_typeEPNSM_ISH_E10value_typeEPSI_NS1_7vsmem_tEENKUlT_SG_SH_SI_E_clIS7_S7_PlSB_EESF_SV_SG_SH_SI_EUlSV_E_NS1_11comp_targetILNS1_3genE5ELNS1_11target_archE942ELNS1_3gpuE9ELNS1_3repE0EEENS1_48merge_mergepath_partition_config_static_selectorELNS0_4arch9wavefront6targetE1EEEvSH_.uses_flat_scratch, 0
	.set _ZN7rocprim17ROCPRIM_400000_NS6detail17trampoline_kernelINS0_14default_configENS1_38merge_sort_block_merge_config_selectorIflEEZZNS1_27merge_sort_block_merge_implIS3_PfN6thrust23THRUST_200600_302600_NS10device_ptrIlEEjNS1_19radix_merge_compareILb0ELb0EfNS0_19identity_decomposerEEEEE10hipError_tT0_T1_T2_jT3_P12ihipStream_tbPNSt15iterator_traitsISG_E10value_typeEPNSM_ISH_E10value_typeEPSI_NS1_7vsmem_tEENKUlT_SG_SH_SI_E_clIS7_S7_PlSB_EESF_SV_SG_SH_SI_EUlSV_E_NS1_11comp_targetILNS1_3genE5ELNS1_11target_archE942ELNS1_3gpuE9ELNS1_3repE0EEENS1_48merge_mergepath_partition_config_static_selectorELNS0_4arch9wavefront6targetE1EEEvSH_.has_dyn_sized_stack, 0
	.set _ZN7rocprim17ROCPRIM_400000_NS6detail17trampoline_kernelINS0_14default_configENS1_38merge_sort_block_merge_config_selectorIflEEZZNS1_27merge_sort_block_merge_implIS3_PfN6thrust23THRUST_200600_302600_NS10device_ptrIlEEjNS1_19radix_merge_compareILb0ELb0EfNS0_19identity_decomposerEEEEE10hipError_tT0_T1_T2_jT3_P12ihipStream_tbPNSt15iterator_traitsISG_E10value_typeEPNSM_ISH_E10value_typeEPSI_NS1_7vsmem_tEENKUlT_SG_SH_SI_E_clIS7_S7_PlSB_EESF_SV_SG_SH_SI_EUlSV_E_NS1_11comp_targetILNS1_3genE5ELNS1_11target_archE942ELNS1_3gpuE9ELNS1_3repE0EEENS1_48merge_mergepath_partition_config_static_selectorELNS0_4arch9wavefront6targetE1EEEvSH_.has_recursion, 0
	.set _ZN7rocprim17ROCPRIM_400000_NS6detail17trampoline_kernelINS0_14default_configENS1_38merge_sort_block_merge_config_selectorIflEEZZNS1_27merge_sort_block_merge_implIS3_PfN6thrust23THRUST_200600_302600_NS10device_ptrIlEEjNS1_19radix_merge_compareILb0ELb0EfNS0_19identity_decomposerEEEEE10hipError_tT0_T1_T2_jT3_P12ihipStream_tbPNSt15iterator_traitsISG_E10value_typeEPNSM_ISH_E10value_typeEPSI_NS1_7vsmem_tEENKUlT_SG_SH_SI_E_clIS7_S7_PlSB_EESF_SV_SG_SH_SI_EUlSV_E_NS1_11comp_targetILNS1_3genE5ELNS1_11target_archE942ELNS1_3gpuE9ELNS1_3repE0EEENS1_48merge_mergepath_partition_config_static_selectorELNS0_4arch9wavefront6targetE1EEEvSH_.has_indirect_call, 0
	.section	.AMDGPU.csdata,"",@progbits
; Kernel info:
; codeLenInByte = 0
; TotalNumSgprs: 4
; NumVgprs: 0
; ScratchSize: 0
; MemoryBound: 0
; FloatMode: 240
; IeeeMode: 1
; LDSByteSize: 0 bytes/workgroup (compile time only)
; SGPRBlocks: 0
; VGPRBlocks: 0
; NumSGPRsForWavesPerEU: 4
; NumVGPRsForWavesPerEU: 1
; Occupancy: 10
; WaveLimiterHint : 0
; COMPUTE_PGM_RSRC2:SCRATCH_EN: 0
; COMPUTE_PGM_RSRC2:USER_SGPR: 6
; COMPUTE_PGM_RSRC2:TRAP_HANDLER: 0
; COMPUTE_PGM_RSRC2:TGID_X_EN: 1
; COMPUTE_PGM_RSRC2:TGID_Y_EN: 0
; COMPUTE_PGM_RSRC2:TGID_Z_EN: 0
; COMPUTE_PGM_RSRC2:TIDIG_COMP_CNT: 0
	.section	.text._ZN7rocprim17ROCPRIM_400000_NS6detail17trampoline_kernelINS0_14default_configENS1_38merge_sort_block_merge_config_selectorIflEEZZNS1_27merge_sort_block_merge_implIS3_PfN6thrust23THRUST_200600_302600_NS10device_ptrIlEEjNS1_19radix_merge_compareILb0ELb0EfNS0_19identity_decomposerEEEEE10hipError_tT0_T1_T2_jT3_P12ihipStream_tbPNSt15iterator_traitsISG_E10value_typeEPNSM_ISH_E10value_typeEPSI_NS1_7vsmem_tEENKUlT_SG_SH_SI_E_clIS7_S7_PlSB_EESF_SV_SG_SH_SI_EUlSV_E_NS1_11comp_targetILNS1_3genE4ELNS1_11target_archE910ELNS1_3gpuE8ELNS1_3repE0EEENS1_48merge_mergepath_partition_config_static_selectorELNS0_4arch9wavefront6targetE1EEEvSH_,"axG",@progbits,_ZN7rocprim17ROCPRIM_400000_NS6detail17trampoline_kernelINS0_14default_configENS1_38merge_sort_block_merge_config_selectorIflEEZZNS1_27merge_sort_block_merge_implIS3_PfN6thrust23THRUST_200600_302600_NS10device_ptrIlEEjNS1_19radix_merge_compareILb0ELb0EfNS0_19identity_decomposerEEEEE10hipError_tT0_T1_T2_jT3_P12ihipStream_tbPNSt15iterator_traitsISG_E10value_typeEPNSM_ISH_E10value_typeEPSI_NS1_7vsmem_tEENKUlT_SG_SH_SI_E_clIS7_S7_PlSB_EESF_SV_SG_SH_SI_EUlSV_E_NS1_11comp_targetILNS1_3genE4ELNS1_11target_archE910ELNS1_3gpuE8ELNS1_3repE0EEENS1_48merge_mergepath_partition_config_static_selectorELNS0_4arch9wavefront6targetE1EEEvSH_,comdat
	.protected	_ZN7rocprim17ROCPRIM_400000_NS6detail17trampoline_kernelINS0_14default_configENS1_38merge_sort_block_merge_config_selectorIflEEZZNS1_27merge_sort_block_merge_implIS3_PfN6thrust23THRUST_200600_302600_NS10device_ptrIlEEjNS1_19radix_merge_compareILb0ELb0EfNS0_19identity_decomposerEEEEE10hipError_tT0_T1_T2_jT3_P12ihipStream_tbPNSt15iterator_traitsISG_E10value_typeEPNSM_ISH_E10value_typeEPSI_NS1_7vsmem_tEENKUlT_SG_SH_SI_E_clIS7_S7_PlSB_EESF_SV_SG_SH_SI_EUlSV_E_NS1_11comp_targetILNS1_3genE4ELNS1_11target_archE910ELNS1_3gpuE8ELNS1_3repE0EEENS1_48merge_mergepath_partition_config_static_selectorELNS0_4arch9wavefront6targetE1EEEvSH_ ; -- Begin function _ZN7rocprim17ROCPRIM_400000_NS6detail17trampoline_kernelINS0_14default_configENS1_38merge_sort_block_merge_config_selectorIflEEZZNS1_27merge_sort_block_merge_implIS3_PfN6thrust23THRUST_200600_302600_NS10device_ptrIlEEjNS1_19radix_merge_compareILb0ELb0EfNS0_19identity_decomposerEEEEE10hipError_tT0_T1_T2_jT3_P12ihipStream_tbPNSt15iterator_traitsISG_E10value_typeEPNSM_ISH_E10value_typeEPSI_NS1_7vsmem_tEENKUlT_SG_SH_SI_E_clIS7_S7_PlSB_EESF_SV_SG_SH_SI_EUlSV_E_NS1_11comp_targetILNS1_3genE4ELNS1_11target_archE910ELNS1_3gpuE8ELNS1_3repE0EEENS1_48merge_mergepath_partition_config_static_selectorELNS0_4arch9wavefront6targetE1EEEvSH_
	.globl	_ZN7rocprim17ROCPRIM_400000_NS6detail17trampoline_kernelINS0_14default_configENS1_38merge_sort_block_merge_config_selectorIflEEZZNS1_27merge_sort_block_merge_implIS3_PfN6thrust23THRUST_200600_302600_NS10device_ptrIlEEjNS1_19radix_merge_compareILb0ELb0EfNS0_19identity_decomposerEEEEE10hipError_tT0_T1_T2_jT3_P12ihipStream_tbPNSt15iterator_traitsISG_E10value_typeEPNSM_ISH_E10value_typeEPSI_NS1_7vsmem_tEENKUlT_SG_SH_SI_E_clIS7_S7_PlSB_EESF_SV_SG_SH_SI_EUlSV_E_NS1_11comp_targetILNS1_3genE4ELNS1_11target_archE910ELNS1_3gpuE8ELNS1_3repE0EEENS1_48merge_mergepath_partition_config_static_selectorELNS0_4arch9wavefront6targetE1EEEvSH_
	.p2align	8
	.type	_ZN7rocprim17ROCPRIM_400000_NS6detail17trampoline_kernelINS0_14default_configENS1_38merge_sort_block_merge_config_selectorIflEEZZNS1_27merge_sort_block_merge_implIS3_PfN6thrust23THRUST_200600_302600_NS10device_ptrIlEEjNS1_19radix_merge_compareILb0ELb0EfNS0_19identity_decomposerEEEEE10hipError_tT0_T1_T2_jT3_P12ihipStream_tbPNSt15iterator_traitsISG_E10value_typeEPNSM_ISH_E10value_typeEPSI_NS1_7vsmem_tEENKUlT_SG_SH_SI_E_clIS7_S7_PlSB_EESF_SV_SG_SH_SI_EUlSV_E_NS1_11comp_targetILNS1_3genE4ELNS1_11target_archE910ELNS1_3gpuE8ELNS1_3repE0EEENS1_48merge_mergepath_partition_config_static_selectorELNS0_4arch9wavefront6targetE1EEEvSH_,@function
_ZN7rocprim17ROCPRIM_400000_NS6detail17trampoline_kernelINS0_14default_configENS1_38merge_sort_block_merge_config_selectorIflEEZZNS1_27merge_sort_block_merge_implIS3_PfN6thrust23THRUST_200600_302600_NS10device_ptrIlEEjNS1_19radix_merge_compareILb0ELb0EfNS0_19identity_decomposerEEEEE10hipError_tT0_T1_T2_jT3_P12ihipStream_tbPNSt15iterator_traitsISG_E10value_typeEPNSM_ISH_E10value_typeEPSI_NS1_7vsmem_tEENKUlT_SG_SH_SI_E_clIS7_S7_PlSB_EESF_SV_SG_SH_SI_EUlSV_E_NS1_11comp_targetILNS1_3genE4ELNS1_11target_archE910ELNS1_3gpuE8ELNS1_3repE0EEENS1_48merge_mergepath_partition_config_static_selectorELNS0_4arch9wavefront6targetE1EEEvSH_: ; @_ZN7rocprim17ROCPRIM_400000_NS6detail17trampoline_kernelINS0_14default_configENS1_38merge_sort_block_merge_config_selectorIflEEZZNS1_27merge_sort_block_merge_implIS3_PfN6thrust23THRUST_200600_302600_NS10device_ptrIlEEjNS1_19radix_merge_compareILb0ELb0EfNS0_19identity_decomposerEEEEE10hipError_tT0_T1_T2_jT3_P12ihipStream_tbPNSt15iterator_traitsISG_E10value_typeEPNSM_ISH_E10value_typeEPSI_NS1_7vsmem_tEENKUlT_SG_SH_SI_E_clIS7_S7_PlSB_EESF_SV_SG_SH_SI_EUlSV_E_NS1_11comp_targetILNS1_3genE4ELNS1_11target_archE910ELNS1_3gpuE8ELNS1_3repE0EEENS1_48merge_mergepath_partition_config_static_selectorELNS0_4arch9wavefront6targetE1EEEvSH_
; %bb.0:
	.section	.rodata,"a",@progbits
	.p2align	6, 0x0
	.amdhsa_kernel _ZN7rocprim17ROCPRIM_400000_NS6detail17trampoline_kernelINS0_14default_configENS1_38merge_sort_block_merge_config_selectorIflEEZZNS1_27merge_sort_block_merge_implIS3_PfN6thrust23THRUST_200600_302600_NS10device_ptrIlEEjNS1_19radix_merge_compareILb0ELb0EfNS0_19identity_decomposerEEEEE10hipError_tT0_T1_T2_jT3_P12ihipStream_tbPNSt15iterator_traitsISG_E10value_typeEPNSM_ISH_E10value_typeEPSI_NS1_7vsmem_tEENKUlT_SG_SH_SI_E_clIS7_S7_PlSB_EESF_SV_SG_SH_SI_EUlSV_E_NS1_11comp_targetILNS1_3genE4ELNS1_11target_archE910ELNS1_3gpuE8ELNS1_3repE0EEENS1_48merge_mergepath_partition_config_static_selectorELNS0_4arch9wavefront6targetE1EEEvSH_
		.amdhsa_group_segment_fixed_size 0
		.amdhsa_private_segment_fixed_size 0
		.amdhsa_kernarg_size 40
		.amdhsa_user_sgpr_count 6
		.amdhsa_user_sgpr_private_segment_buffer 1
		.amdhsa_user_sgpr_dispatch_ptr 0
		.amdhsa_user_sgpr_queue_ptr 0
		.amdhsa_user_sgpr_kernarg_segment_ptr 1
		.amdhsa_user_sgpr_dispatch_id 0
		.amdhsa_user_sgpr_flat_scratch_init 0
		.amdhsa_user_sgpr_private_segment_size 0
		.amdhsa_uses_dynamic_stack 0
		.amdhsa_system_sgpr_private_segment_wavefront_offset 0
		.amdhsa_system_sgpr_workgroup_id_x 1
		.amdhsa_system_sgpr_workgroup_id_y 0
		.amdhsa_system_sgpr_workgroup_id_z 0
		.amdhsa_system_sgpr_workgroup_info 0
		.amdhsa_system_vgpr_workitem_id 0
		.amdhsa_next_free_vgpr 1
		.amdhsa_next_free_sgpr 0
		.amdhsa_reserve_vcc 0
		.amdhsa_reserve_flat_scratch 0
		.amdhsa_float_round_mode_32 0
		.amdhsa_float_round_mode_16_64 0
		.amdhsa_float_denorm_mode_32 3
		.amdhsa_float_denorm_mode_16_64 3
		.amdhsa_dx10_clamp 1
		.amdhsa_ieee_mode 1
		.amdhsa_fp16_overflow 0
		.amdhsa_exception_fp_ieee_invalid_op 0
		.amdhsa_exception_fp_denorm_src 0
		.amdhsa_exception_fp_ieee_div_zero 0
		.amdhsa_exception_fp_ieee_overflow 0
		.amdhsa_exception_fp_ieee_underflow 0
		.amdhsa_exception_fp_ieee_inexact 0
		.amdhsa_exception_int_div_zero 0
	.end_amdhsa_kernel
	.section	.text._ZN7rocprim17ROCPRIM_400000_NS6detail17trampoline_kernelINS0_14default_configENS1_38merge_sort_block_merge_config_selectorIflEEZZNS1_27merge_sort_block_merge_implIS3_PfN6thrust23THRUST_200600_302600_NS10device_ptrIlEEjNS1_19radix_merge_compareILb0ELb0EfNS0_19identity_decomposerEEEEE10hipError_tT0_T1_T2_jT3_P12ihipStream_tbPNSt15iterator_traitsISG_E10value_typeEPNSM_ISH_E10value_typeEPSI_NS1_7vsmem_tEENKUlT_SG_SH_SI_E_clIS7_S7_PlSB_EESF_SV_SG_SH_SI_EUlSV_E_NS1_11comp_targetILNS1_3genE4ELNS1_11target_archE910ELNS1_3gpuE8ELNS1_3repE0EEENS1_48merge_mergepath_partition_config_static_selectorELNS0_4arch9wavefront6targetE1EEEvSH_,"axG",@progbits,_ZN7rocprim17ROCPRIM_400000_NS6detail17trampoline_kernelINS0_14default_configENS1_38merge_sort_block_merge_config_selectorIflEEZZNS1_27merge_sort_block_merge_implIS3_PfN6thrust23THRUST_200600_302600_NS10device_ptrIlEEjNS1_19radix_merge_compareILb0ELb0EfNS0_19identity_decomposerEEEEE10hipError_tT0_T1_T2_jT3_P12ihipStream_tbPNSt15iterator_traitsISG_E10value_typeEPNSM_ISH_E10value_typeEPSI_NS1_7vsmem_tEENKUlT_SG_SH_SI_E_clIS7_S7_PlSB_EESF_SV_SG_SH_SI_EUlSV_E_NS1_11comp_targetILNS1_3genE4ELNS1_11target_archE910ELNS1_3gpuE8ELNS1_3repE0EEENS1_48merge_mergepath_partition_config_static_selectorELNS0_4arch9wavefront6targetE1EEEvSH_,comdat
.Lfunc_end1763:
	.size	_ZN7rocprim17ROCPRIM_400000_NS6detail17trampoline_kernelINS0_14default_configENS1_38merge_sort_block_merge_config_selectorIflEEZZNS1_27merge_sort_block_merge_implIS3_PfN6thrust23THRUST_200600_302600_NS10device_ptrIlEEjNS1_19radix_merge_compareILb0ELb0EfNS0_19identity_decomposerEEEEE10hipError_tT0_T1_T2_jT3_P12ihipStream_tbPNSt15iterator_traitsISG_E10value_typeEPNSM_ISH_E10value_typeEPSI_NS1_7vsmem_tEENKUlT_SG_SH_SI_E_clIS7_S7_PlSB_EESF_SV_SG_SH_SI_EUlSV_E_NS1_11comp_targetILNS1_3genE4ELNS1_11target_archE910ELNS1_3gpuE8ELNS1_3repE0EEENS1_48merge_mergepath_partition_config_static_selectorELNS0_4arch9wavefront6targetE1EEEvSH_, .Lfunc_end1763-_ZN7rocprim17ROCPRIM_400000_NS6detail17trampoline_kernelINS0_14default_configENS1_38merge_sort_block_merge_config_selectorIflEEZZNS1_27merge_sort_block_merge_implIS3_PfN6thrust23THRUST_200600_302600_NS10device_ptrIlEEjNS1_19radix_merge_compareILb0ELb0EfNS0_19identity_decomposerEEEEE10hipError_tT0_T1_T2_jT3_P12ihipStream_tbPNSt15iterator_traitsISG_E10value_typeEPNSM_ISH_E10value_typeEPSI_NS1_7vsmem_tEENKUlT_SG_SH_SI_E_clIS7_S7_PlSB_EESF_SV_SG_SH_SI_EUlSV_E_NS1_11comp_targetILNS1_3genE4ELNS1_11target_archE910ELNS1_3gpuE8ELNS1_3repE0EEENS1_48merge_mergepath_partition_config_static_selectorELNS0_4arch9wavefront6targetE1EEEvSH_
                                        ; -- End function
	.set _ZN7rocprim17ROCPRIM_400000_NS6detail17trampoline_kernelINS0_14default_configENS1_38merge_sort_block_merge_config_selectorIflEEZZNS1_27merge_sort_block_merge_implIS3_PfN6thrust23THRUST_200600_302600_NS10device_ptrIlEEjNS1_19radix_merge_compareILb0ELb0EfNS0_19identity_decomposerEEEEE10hipError_tT0_T1_T2_jT3_P12ihipStream_tbPNSt15iterator_traitsISG_E10value_typeEPNSM_ISH_E10value_typeEPSI_NS1_7vsmem_tEENKUlT_SG_SH_SI_E_clIS7_S7_PlSB_EESF_SV_SG_SH_SI_EUlSV_E_NS1_11comp_targetILNS1_3genE4ELNS1_11target_archE910ELNS1_3gpuE8ELNS1_3repE0EEENS1_48merge_mergepath_partition_config_static_selectorELNS0_4arch9wavefront6targetE1EEEvSH_.num_vgpr, 0
	.set _ZN7rocprim17ROCPRIM_400000_NS6detail17trampoline_kernelINS0_14default_configENS1_38merge_sort_block_merge_config_selectorIflEEZZNS1_27merge_sort_block_merge_implIS3_PfN6thrust23THRUST_200600_302600_NS10device_ptrIlEEjNS1_19radix_merge_compareILb0ELb0EfNS0_19identity_decomposerEEEEE10hipError_tT0_T1_T2_jT3_P12ihipStream_tbPNSt15iterator_traitsISG_E10value_typeEPNSM_ISH_E10value_typeEPSI_NS1_7vsmem_tEENKUlT_SG_SH_SI_E_clIS7_S7_PlSB_EESF_SV_SG_SH_SI_EUlSV_E_NS1_11comp_targetILNS1_3genE4ELNS1_11target_archE910ELNS1_3gpuE8ELNS1_3repE0EEENS1_48merge_mergepath_partition_config_static_selectorELNS0_4arch9wavefront6targetE1EEEvSH_.num_agpr, 0
	.set _ZN7rocprim17ROCPRIM_400000_NS6detail17trampoline_kernelINS0_14default_configENS1_38merge_sort_block_merge_config_selectorIflEEZZNS1_27merge_sort_block_merge_implIS3_PfN6thrust23THRUST_200600_302600_NS10device_ptrIlEEjNS1_19radix_merge_compareILb0ELb0EfNS0_19identity_decomposerEEEEE10hipError_tT0_T1_T2_jT3_P12ihipStream_tbPNSt15iterator_traitsISG_E10value_typeEPNSM_ISH_E10value_typeEPSI_NS1_7vsmem_tEENKUlT_SG_SH_SI_E_clIS7_S7_PlSB_EESF_SV_SG_SH_SI_EUlSV_E_NS1_11comp_targetILNS1_3genE4ELNS1_11target_archE910ELNS1_3gpuE8ELNS1_3repE0EEENS1_48merge_mergepath_partition_config_static_selectorELNS0_4arch9wavefront6targetE1EEEvSH_.numbered_sgpr, 0
	.set _ZN7rocprim17ROCPRIM_400000_NS6detail17trampoline_kernelINS0_14default_configENS1_38merge_sort_block_merge_config_selectorIflEEZZNS1_27merge_sort_block_merge_implIS3_PfN6thrust23THRUST_200600_302600_NS10device_ptrIlEEjNS1_19radix_merge_compareILb0ELb0EfNS0_19identity_decomposerEEEEE10hipError_tT0_T1_T2_jT3_P12ihipStream_tbPNSt15iterator_traitsISG_E10value_typeEPNSM_ISH_E10value_typeEPSI_NS1_7vsmem_tEENKUlT_SG_SH_SI_E_clIS7_S7_PlSB_EESF_SV_SG_SH_SI_EUlSV_E_NS1_11comp_targetILNS1_3genE4ELNS1_11target_archE910ELNS1_3gpuE8ELNS1_3repE0EEENS1_48merge_mergepath_partition_config_static_selectorELNS0_4arch9wavefront6targetE1EEEvSH_.num_named_barrier, 0
	.set _ZN7rocprim17ROCPRIM_400000_NS6detail17trampoline_kernelINS0_14default_configENS1_38merge_sort_block_merge_config_selectorIflEEZZNS1_27merge_sort_block_merge_implIS3_PfN6thrust23THRUST_200600_302600_NS10device_ptrIlEEjNS1_19radix_merge_compareILb0ELb0EfNS0_19identity_decomposerEEEEE10hipError_tT0_T1_T2_jT3_P12ihipStream_tbPNSt15iterator_traitsISG_E10value_typeEPNSM_ISH_E10value_typeEPSI_NS1_7vsmem_tEENKUlT_SG_SH_SI_E_clIS7_S7_PlSB_EESF_SV_SG_SH_SI_EUlSV_E_NS1_11comp_targetILNS1_3genE4ELNS1_11target_archE910ELNS1_3gpuE8ELNS1_3repE0EEENS1_48merge_mergepath_partition_config_static_selectorELNS0_4arch9wavefront6targetE1EEEvSH_.private_seg_size, 0
	.set _ZN7rocprim17ROCPRIM_400000_NS6detail17trampoline_kernelINS0_14default_configENS1_38merge_sort_block_merge_config_selectorIflEEZZNS1_27merge_sort_block_merge_implIS3_PfN6thrust23THRUST_200600_302600_NS10device_ptrIlEEjNS1_19radix_merge_compareILb0ELb0EfNS0_19identity_decomposerEEEEE10hipError_tT0_T1_T2_jT3_P12ihipStream_tbPNSt15iterator_traitsISG_E10value_typeEPNSM_ISH_E10value_typeEPSI_NS1_7vsmem_tEENKUlT_SG_SH_SI_E_clIS7_S7_PlSB_EESF_SV_SG_SH_SI_EUlSV_E_NS1_11comp_targetILNS1_3genE4ELNS1_11target_archE910ELNS1_3gpuE8ELNS1_3repE0EEENS1_48merge_mergepath_partition_config_static_selectorELNS0_4arch9wavefront6targetE1EEEvSH_.uses_vcc, 0
	.set _ZN7rocprim17ROCPRIM_400000_NS6detail17trampoline_kernelINS0_14default_configENS1_38merge_sort_block_merge_config_selectorIflEEZZNS1_27merge_sort_block_merge_implIS3_PfN6thrust23THRUST_200600_302600_NS10device_ptrIlEEjNS1_19radix_merge_compareILb0ELb0EfNS0_19identity_decomposerEEEEE10hipError_tT0_T1_T2_jT3_P12ihipStream_tbPNSt15iterator_traitsISG_E10value_typeEPNSM_ISH_E10value_typeEPSI_NS1_7vsmem_tEENKUlT_SG_SH_SI_E_clIS7_S7_PlSB_EESF_SV_SG_SH_SI_EUlSV_E_NS1_11comp_targetILNS1_3genE4ELNS1_11target_archE910ELNS1_3gpuE8ELNS1_3repE0EEENS1_48merge_mergepath_partition_config_static_selectorELNS0_4arch9wavefront6targetE1EEEvSH_.uses_flat_scratch, 0
	.set _ZN7rocprim17ROCPRIM_400000_NS6detail17trampoline_kernelINS0_14default_configENS1_38merge_sort_block_merge_config_selectorIflEEZZNS1_27merge_sort_block_merge_implIS3_PfN6thrust23THRUST_200600_302600_NS10device_ptrIlEEjNS1_19radix_merge_compareILb0ELb0EfNS0_19identity_decomposerEEEEE10hipError_tT0_T1_T2_jT3_P12ihipStream_tbPNSt15iterator_traitsISG_E10value_typeEPNSM_ISH_E10value_typeEPSI_NS1_7vsmem_tEENKUlT_SG_SH_SI_E_clIS7_S7_PlSB_EESF_SV_SG_SH_SI_EUlSV_E_NS1_11comp_targetILNS1_3genE4ELNS1_11target_archE910ELNS1_3gpuE8ELNS1_3repE0EEENS1_48merge_mergepath_partition_config_static_selectorELNS0_4arch9wavefront6targetE1EEEvSH_.has_dyn_sized_stack, 0
	.set _ZN7rocprim17ROCPRIM_400000_NS6detail17trampoline_kernelINS0_14default_configENS1_38merge_sort_block_merge_config_selectorIflEEZZNS1_27merge_sort_block_merge_implIS3_PfN6thrust23THRUST_200600_302600_NS10device_ptrIlEEjNS1_19radix_merge_compareILb0ELb0EfNS0_19identity_decomposerEEEEE10hipError_tT0_T1_T2_jT3_P12ihipStream_tbPNSt15iterator_traitsISG_E10value_typeEPNSM_ISH_E10value_typeEPSI_NS1_7vsmem_tEENKUlT_SG_SH_SI_E_clIS7_S7_PlSB_EESF_SV_SG_SH_SI_EUlSV_E_NS1_11comp_targetILNS1_3genE4ELNS1_11target_archE910ELNS1_3gpuE8ELNS1_3repE0EEENS1_48merge_mergepath_partition_config_static_selectorELNS0_4arch9wavefront6targetE1EEEvSH_.has_recursion, 0
	.set _ZN7rocprim17ROCPRIM_400000_NS6detail17trampoline_kernelINS0_14default_configENS1_38merge_sort_block_merge_config_selectorIflEEZZNS1_27merge_sort_block_merge_implIS3_PfN6thrust23THRUST_200600_302600_NS10device_ptrIlEEjNS1_19radix_merge_compareILb0ELb0EfNS0_19identity_decomposerEEEEE10hipError_tT0_T1_T2_jT3_P12ihipStream_tbPNSt15iterator_traitsISG_E10value_typeEPNSM_ISH_E10value_typeEPSI_NS1_7vsmem_tEENKUlT_SG_SH_SI_E_clIS7_S7_PlSB_EESF_SV_SG_SH_SI_EUlSV_E_NS1_11comp_targetILNS1_3genE4ELNS1_11target_archE910ELNS1_3gpuE8ELNS1_3repE0EEENS1_48merge_mergepath_partition_config_static_selectorELNS0_4arch9wavefront6targetE1EEEvSH_.has_indirect_call, 0
	.section	.AMDGPU.csdata,"",@progbits
; Kernel info:
; codeLenInByte = 0
; TotalNumSgprs: 4
; NumVgprs: 0
; ScratchSize: 0
; MemoryBound: 0
; FloatMode: 240
; IeeeMode: 1
; LDSByteSize: 0 bytes/workgroup (compile time only)
; SGPRBlocks: 0
; VGPRBlocks: 0
; NumSGPRsForWavesPerEU: 4
; NumVGPRsForWavesPerEU: 1
; Occupancy: 10
; WaveLimiterHint : 0
; COMPUTE_PGM_RSRC2:SCRATCH_EN: 0
; COMPUTE_PGM_RSRC2:USER_SGPR: 6
; COMPUTE_PGM_RSRC2:TRAP_HANDLER: 0
; COMPUTE_PGM_RSRC2:TGID_X_EN: 1
; COMPUTE_PGM_RSRC2:TGID_Y_EN: 0
; COMPUTE_PGM_RSRC2:TGID_Z_EN: 0
; COMPUTE_PGM_RSRC2:TIDIG_COMP_CNT: 0
	.section	.text._ZN7rocprim17ROCPRIM_400000_NS6detail17trampoline_kernelINS0_14default_configENS1_38merge_sort_block_merge_config_selectorIflEEZZNS1_27merge_sort_block_merge_implIS3_PfN6thrust23THRUST_200600_302600_NS10device_ptrIlEEjNS1_19radix_merge_compareILb0ELb0EfNS0_19identity_decomposerEEEEE10hipError_tT0_T1_T2_jT3_P12ihipStream_tbPNSt15iterator_traitsISG_E10value_typeEPNSM_ISH_E10value_typeEPSI_NS1_7vsmem_tEENKUlT_SG_SH_SI_E_clIS7_S7_PlSB_EESF_SV_SG_SH_SI_EUlSV_E_NS1_11comp_targetILNS1_3genE3ELNS1_11target_archE908ELNS1_3gpuE7ELNS1_3repE0EEENS1_48merge_mergepath_partition_config_static_selectorELNS0_4arch9wavefront6targetE1EEEvSH_,"axG",@progbits,_ZN7rocprim17ROCPRIM_400000_NS6detail17trampoline_kernelINS0_14default_configENS1_38merge_sort_block_merge_config_selectorIflEEZZNS1_27merge_sort_block_merge_implIS3_PfN6thrust23THRUST_200600_302600_NS10device_ptrIlEEjNS1_19radix_merge_compareILb0ELb0EfNS0_19identity_decomposerEEEEE10hipError_tT0_T1_T2_jT3_P12ihipStream_tbPNSt15iterator_traitsISG_E10value_typeEPNSM_ISH_E10value_typeEPSI_NS1_7vsmem_tEENKUlT_SG_SH_SI_E_clIS7_S7_PlSB_EESF_SV_SG_SH_SI_EUlSV_E_NS1_11comp_targetILNS1_3genE3ELNS1_11target_archE908ELNS1_3gpuE7ELNS1_3repE0EEENS1_48merge_mergepath_partition_config_static_selectorELNS0_4arch9wavefront6targetE1EEEvSH_,comdat
	.protected	_ZN7rocprim17ROCPRIM_400000_NS6detail17trampoline_kernelINS0_14default_configENS1_38merge_sort_block_merge_config_selectorIflEEZZNS1_27merge_sort_block_merge_implIS3_PfN6thrust23THRUST_200600_302600_NS10device_ptrIlEEjNS1_19radix_merge_compareILb0ELb0EfNS0_19identity_decomposerEEEEE10hipError_tT0_T1_T2_jT3_P12ihipStream_tbPNSt15iterator_traitsISG_E10value_typeEPNSM_ISH_E10value_typeEPSI_NS1_7vsmem_tEENKUlT_SG_SH_SI_E_clIS7_S7_PlSB_EESF_SV_SG_SH_SI_EUlSV_E_NS1_11comp_targetILNS1_3genE3ELNS1_11target_archE908ELNS1_3gpuE7ELNS1_3repE0EEENS1_48merge_mergepath_partition_config_static_selectorELNS0_4arch9wavefront6targetE1EEEvSH_ ; -- Begin function _ZN7rocprim17ROCPRIM_400000_NS6detail17trampoline_kernelINS0_14default_configENS1_38merge_sort_block_merge_config_selectorIflEEZZNS1_27merge_sort_block_merge_implIS3_PfN6thrust23THRUST_200600_302600_NS10device_ptrIlEEjNS1_19radix_merge_compareILb0ELb0EfNS0_19identity_decomposerEEEEE10hipError_tT0_T1_T2_jT3_P12ihipStream_tbPNSt15iterator_traitsISG_E10value_typeEPNSM_ISH_E10value_typeEPSI_NS1_7vsmem_tEENKUlT_SG_SH_SI_E_clIS7_S7_PlSB_EESF_SV_SG_SH_SI_EUlSV_E_NS1_11comp_targetILNS1_3genE3ELNS1_11target_archE908ELNS1_3gpuE7ELNS1_3repE0EEENS1_48merge_mergepath_partition_config_static_selectorELNS0_4arch9wavefront6targetE1EEEvSH_
	.globl	_ZN7rocprim17ROCPRIM_400000_NS6detail17trampoline_kernelINS0_14default_configENS1_38merge_sort_block_merge_config_selectorIflEEZZNS1_27merge_sort_block_merge_implIS3_PfN6thrust23THRUST_200600_302600_NS10device_ptrIlEEjNS1_19radix_merge_compareILb0ELb0EfNS0_19identity_decomposerEEEEE10hipError_tT0_T1_T2_jT3_P12ihipStream_tbPNSt15iterator_traitsISG_E10value_typeEPNSM_ISH_E10value_typeEPSI_NS1_7vsmem_tEENKUlT_SG_SH_SI_E_clIS7_S7_PlSB_EESF_SV_SG_SH_SI_EUlSV_E_NS1_11comp_targetILNS1_3genE3ELNS1_11target_archE908ELNS1_3gpuE7ELNS1_3repE0EEENS1_48merge_mergepath_partition_config_static_selectorELNS0_4arch9wavefront6targetE1EEEvSH_
	.p2align	8
	.type	_ZN7rocprim17ROCPRIM_400000_NS6detail17trampoline_kernelINS0_14default_configENS1_38merge_sort_block_merge_config_selectorIflEEZZNS1_27merge_sort_block_merge_implIS3_PfN6thrust23THRUST_200600_302600_NS10device_ptrIlEEjNS1_19radix_merge_compareILb0ELb0EfNS0_19identity_decomposerEEEEE10hipError_tT0_T1_T2_jT3_P12ihipStream_tbPNSt15iterator_traitsISG_E10value_typeEPNSM_ISH_E10value_typeEPSI_NS1_7vsmem_tEENKUlT_SG_SH_SI_E_clIS7_S7_PlSB_EESF_SV_SG_SH_SI_EUlSV_E_NS1_11comp_targetILNS1_3genE3ELNS1_11target_archE908ELNS1_3gpuE7ELNS1_3repE0EEENS1_48merge_mergepath_partition_config_static_selectorELNS0_4arch9wavefront6targetE1EEEvSH_,@function
_ZN7rocprim17ROCPRIM_400000_NS6detail17trampoline_kernelINS0_14default_configENS1_38merge_sort_block_merge_config_selectorIflEEZZNS1_27merge_sort_block_merge_implIS3_PfN6thrust23THRUST_200600_302600_NS10device_ptrIlEEjNS1_19radix_merge_compareILb0ELb0EfNS0_19identity_decomposerEEEEE10hipError_tT0_T1_T2_jT3_P12ihipStream_tbPNSt15iterator_traitsISG_E10value_typeEPNSM_ISH_E10value_typeEPSI_NS1_7vsmem_tEENKUlT_SG_SH_SI_E_clIS7_S7_PlSB_EESF_SV_SG_SH_SI_EUlSV_E_NS1_11comp_targetILNS1_3genE3ELNS1_11target_archE908ELNS1_3gpuE7ELNS1_3repE0EEENS1_48merge_mergepath_partition_config_static_selectorELNS0_4arch9wavefront6targetE1EEEvSH_: ; @_ZN7rocprim17ROCPRIM_400000_NS6detail17trampoline_kernelINS0_14default_configENS1_38merge_sort_block_merge_config_selectorIflEEZZNS1_27merge_sort_block_merge_implIS3_PfN6thrust23THRUST_200600_302600_NS10device_ptrIlEEjNS1_19radix_merge_compareILb0ELb0EfNS0_19identity_decomposerEEEEE10hipError_tT0_T1_T2_jT3_P12ihipStream_tbPNSt15iterator_traitsISG_E10value_typeEPNSM_ISH_E10value_typeEPSI_NS1_7vsmem_tEENKUlT_SG_SH_SI_E_clIS7_S7_PlSB_EESF_SV_SG_SH_SI_EUlSV_E_NS1_11comp_targetILNS1_3genE3ELNS1_11target_archE908ELNS1_3gpuE7ELNS1_3repE0EEENS1_48merge_mergepath_partition_config_static_selectorELNS0_4arch9wavefront6targetE1EEEvSH_
; %bb.0:
	.section	.rodata,"a",@progbits
	.p2align	6, 0x0
	.amdhsa_kernel _ZN7rocprim17ROCPRIM_400000_NS6detail17trampoline_kernelINS0_14default_configENS1_38merge_sort_block_merge_config_selectorIflEEZZNS1_27merge_sort_block_merge_implIS3_PfN6thrust23THRUST_200600_302600_NS10device_ptrIlEEjNS1_19radix_merge_compareILb0ELb0EfNS0_19identity_decomposerEEEEE10hipError_tT0_T1_T2_jT3_P12ihipStream_tbPNSt15iterator_traitsISG_E10value_typeEPNSM_ISH_E10value_typeEPSI_NS1_7vsmem_tEENKUlT_SG_SH_SI_E_clIS7_S7_PlSB_EESF_SV_SG_SH_SI_EUlSV_E_NS1_11comp_targetILNS1_3genE3ELNS1_11target_archE908ELNS1_3gpuE7ELNS1_3repE0EEENS1_48merge_mergepath_partition_config_static_selectorELNS0_4arch9wavefront6targetE1EEEvSH_
		.amdhsa_group_segment_fixed_size 0
		.amdhsa_private_segment_fixed_size 0
		.amdhsa_kernarg_size 40
		.amdhsa_user_sgpr_count 6
		.amdhsa_user_sgpr_private_segment_buffer 1
		.amdhsa_user_sgpr_dispatch_ptr 0
		.amdhsa_user_sgpr_queue_ptr 0
		.amdhsa_user_sgpr_kernarg_segment_ptr 1
		.amdhsa_user_sgpr_dispatch_id 0
		.amdhsa_user_sgpr_flat_scratch_init 0
		.amdhsa_user_sgpr_private_segment_size 0
		.amdhsa_uses_dynamic_stack 0
		.amdhsa_system_sgpr_private_segment_wavefront_offset 0
		.amdhsa_system_sgpr_workgroup_id_x 1
		.amdhsa_system_sgpr_workgroup_id_y 0
		.amdhsa_system_sgpr_workgroup_id_z 0
		.amdhsa_system_sgpr_workgroup_info 0
		.amdhsa_system_vgpr_workitem_id 0
		.amdhsa_next_free_vgpr 1
		.amdhsa_next_free_sgpr 0
		.amdhsa_reserve_vcc 0
		.amdhsa_reserve_flat_scratch 0
		.amdhsa_float_round_mode_32 0
		.amdhsa_float_round_mode_16_64 0
		.amdhsa_float_denorm_mode_32 3
		.amdhsa_float_denorm_mode_16_64 3
		.amdhsa_dx10_clamp 1
		.amdhsa_ieee_mode 1
		.amdhsa_fp16_overflow 0
		.amdhsa_exception_fp_ieee_invalid_op 0
		.amdhsa_exception_fp_denorm_src 0
		.amdhsa_exception_fp_ieee_div_zero 0
		.amdhsa_exception_fp_ieee_overflow 0
		.amdhsa_exception_fp_ieee_underflow 0
		.amdhsa_exception_fp_ieee_inexact 0
		.amdhsa_exception_int_div_zero 0
	.end_amdhsa_kernel
	.section	.text._ZN7rocprim17ROCPRIM_400000_NS6detail17trampoline_kernelINS0_14default_configENS1_38merge_sort_block_merge_config_selectorIflEEZZNS1_27merge_sort_block_merge_implIS3_PfN6thrust23THRUST_200600_302600_NS10device_ptrIlEEjNS1_19radix_merge_compareILb0ELb0EfNS0_19identity_decomposerEEEEE10hipError_tT0_T1_T2_jT3_P12ihipStream_tbPNSt15iterator_traitsISG_E10value_typeEPNSM_ISH_E10value_typeEPSI_NS1_7vsmem_tEENKUlT_SG_SH_SI_E_clIS7_S7_PlSB_EESF_SV_SG_SH_SI_EUlSV_E_NS1_11comp_targetILNS1_3genE3ELNS1_11target_archE908ELNS1_3gpuE7ELNS1_3repE0EEENS1_48merge_mergepath_partition_config_static_selectorELNS0_4arch9wavefront6targetE1EEEvSH_,"axG",@progbits,_ZN7rocprim17ROCPRIM_400000_NS6detail17trampoline_kernelINS0_14default_configENS1_38merge_sort_block_merge_config_selectorIflEEZZNS1_27merge_sort_block_merge_implIS3_PfN6thrust23THRUST_200600_302600_NS10device_ptrIlEEjNS1_19radix_merge_compareILb0ELb0EfNS0_19identity_decomposerEEEEE10hipError_tT0_T1_T2_jT3_P12ihipStream_tbPNSt15iterator_traitsISG_E10value_typeEPNSM_ISH_E10value_typeEPSI_NS1_7vsmem_tEENKUlT_SG_SH_SI_E_clIS7_S7_PlSB_EESF_SV_SG_SH_SI_EUlSV_E_NS1_11comp_targetILNS1_3genE3ELNS1_11target_archE908ELNS1_3gpuE7ELNS1_3repE0EEENS1_48merge_mergepath_partition_config_static_selectorELNS0_4arch9wavefront6targetE1EEEvSH_,comdat
.Lfunc_end1764:
	.size	_ZN7rocprim17ROCPRIM_400000_NS6detail17trampoline_kernelINS0_14default_configENS1_38merge_sort_block_merge_config_selectorIflEEZZNS1_27merge_sort_block_merge_implIS3_PfN6thrust23THRUST_200600_302600_NS10device_ptrIlEEjNS1_19radix_merge_compareILb0ELb0EfNS0_19identity_decomposerEEEEE10hipError_tT0_T1_T2_jT3_P12ihipStream_tbPNSt15iterator_traitsISG_E10value_typeEPNSM_ISH_E10value_typeEPSI_NS1_7vsmem_tEENKUlT_SG_SH_SI_E_clIS7_S7_PlSB_EESF_SV_SG_SH_SI_EUlSV_E_NS1_11comp_targetILNS1_3genE3ELNS1_11target_archE908ELNS1_3gpuE7ELNS1_3repE0EEENS1_48merge_mergepath_partition_config_static_selectorELNS0_4arch9wavefront6targetE1EEEvSH_, .Lfunc_end1764-_ZN7rocprim17ROCPRIM_400000_NS6detail17trampoline_kernelINS0_14default_configENS1_38merge_sort_block_merge_config_selectorIflEEZZNS1_27merge_sort_block_merge_implIS3_PfN6thrust23THRUST_200600_302600_NS10device_ptrIlEEjNS1_19radix_merge_compareILb0ELb0EfNS0_19identity_decomposerEEEEE10hipError_tT0_T1_T2_jT3_P12ihipStream_tbPNSt15iterator_traitsISG_E10value_typeEPNSM_ISH_E10value_typeEPSI_NS1_7vsmem_tEENKUlT_SG_SH_SI_E_clIS7_S7_PlSB_EESF_SV_SG_SH_SI_EUlSV_E_NS1_11comp_targetILNS1_3genE3ELNS1_11target_archE908ELNS1_3gpuE7ELNS1_3repE0EEENS1_48merge_mergepath_partition_config_static_selectorELNS0_4arch9wavefront6targetE1EEEvSH_
                                        ; -- End function
	.set _ZN7rocprim17ROCPRIM_400000_NS6detail17trampoline_kernelINS0_14default_configENS1_38merge_sort_block_merge_config_selectorIflEEZZNS1_27merge_sort_block_merge_implIS3_PfN6thrust23THRUST_200600_302600_NS10device_ptrIlEEjNS1_19radix_merge_compareILb0ELb0EfNS0_19identity_decomposerEEEEE10hipError_tT0_T1_T2_jT3_P12ihipStream_tbPNSt15iterator_traitsISG_E10value_typeEPNSM_ISH_E10value_typeEPSI_NS1_7vsmem_tEENKUlT_SG_SH_SI_E_clIS7_S7_PlSB_EESF_SV_SG_SH_SI_EUlSV_E_NS1_11comp_targetILNS1_3genE3ELNS1_11target_archE908ELNS1_3gpuE7ELNS1_3repE0EEENS1_48merge_mergepath_partition_config_static_selectorELNS0_4arch9wavefront6targetE1EEEvSH_.num_vgpr, 0
	.set _ZN7rocprim17ROCPRIM_400000_NS6detail17trampoline_kernelINS0_14default_configENS1_38merge_sort_block_merge_config_selectorIflEEZZNS1_27merge_sort_block_merge_implIS3_PfN6thrust23THRUST_200600_302600_NS10device_ptrIlEEjNS1_19radix_merge_compareILb0ELb0EfNS0_19identity_decomposerEEEEE10hipError_tT0_T1_T2_jT3_P12ihipStream_tbPNSt15iterator_traitsISG_E10value_typeEPNSM_ISH_E10value_typeEPSI_NS1_7vsmem_tEENKUlT_SG_SH_SI_E_clIS7_S7_PlSB_EESF_SV_SG_SH_SI_EUlSV_E_NS1_11comp_targetILNS1_3genE3ELNS1_11target_archE908ELNS1_3gpuE7ELNS1_3repE0EEENS1_48merge_mergepath_partition_config_static_selectorELNS0_4arch9wavefront6targetE1EEEvSH_.num_agpr, 0
	.set _ZN7rocprim17ROCPRIM_400000_NS6detail17trampoline_kernelINS0_14default_configENS1_38merge_sort_block_merge_config_selectorIflEEZZNS1_27merge_sort_block_merge_implIS3_PfN6thrust23THRUST_200600_302600_NS10device_ptrIlEEjNS1_19radix_merge_compareILb0ELb0EfNS0_19identity_decomposerEEEEE10hipError_tT0_T1_T2_jT3_P12ihipStream_tbPNSt15iterator_traitsISG_E10value_typeEPNSM_ISH_E10value_typeEPSI_NS1_7vsmem_tEENKUlT_SG_SH_SI_E_clIS7_S7_PlSB_EESF_SV_SG_SH_SI_EUlSV_E_NS1_11comp_targetILNS1_3genE3ELNS1_11target_archE908ELNS1_3gpuE7ELNS1_3repE0EEENS1_48merge_mergepath_partition_config_static_selectorELNS0_4arch9wavefront6targetE1EEEvSH_.numbered_sgpr, 0
	.set _ZN7rocprim17ROCPRIM_400000_NS6detail17trampoline_kernelINS0_14default_configENS1_38merge_sort_block_merge_config_selectorIflEEZZNS1_27merge_sort_block_merge_implIS3_PfN6thrust23THRUST_200600_302600_NS10device_ptrIlEEjNS1_19radix_merge_compareILb0ELb0EfNS0_19identity_decomposerEEEEE10hipError_tT0_T1_T2_jT3_P12ihipStream_tbPNSt15iterator_traitsISG_E10value_typeEPNSM_ISH_E10value_typeEPSI_NS1_7vsmem_tEENKUlT_SG_SH_SI_E_clIS7_S7_PlSB_EESF_SV_SG_SH_SI_EUlSV_E_NS1_11comp_targetILNS1_3genE3ELNS1_11target_archE908ELNS1_3gpuE7ELNS1_3repE0EEENS1_48merge_mergepath_partition_config_static_selectorELNS0_4arch9wavefront6targetE1EEEvSH_.num_named_barrier, 0
	.set _ZN7rocprim17ROCPRIM_400000_NS6detail17trampoline_kernelINS0_14default_configENS1_38merge_sort_block_merge_config_selectorIflEEZZNS1_27merge_sort_block_merge_implIS3_PfN6thrust23THRUST_200600_302600_NS10device_ptrIlEEjNS1_19radix_merge_compareILb0ELb0EfNS0_19identity_decomposerEEEEE10hipError_tT0_T1_T2_jT3_P12ihipStream_tbPNSt15iterator_traitsISG_E10value_typeEPNSM_ISH_E10value_typeEPSI_NS1_7vsmem_tEENKUlT_SG_SH_SI_E_clIS7_S7_PlSB_EESF_SV_SG_SH_SI_EUlSV_E_NS1_11comp_targetILNS1_3genE3ELNS1_11target_archE908ELNS1_3gpuE7ELNS1_3repE0EEENS1_48merge_mergepath_partition_config_static_selectorELNS0_4arch9wavefront6targetE1EEEvSH_.private_seg_size, 0
	.set _ZN7rocprim17ROCPRIM_400000_NS6detail17trampoline_kernelINS0_14default_configENS1_38merge_sort_block_merge_config_selectorIflEEZZNS1_27merge_sort_block_merge_implIS3_PfN6thrust23THRUST_200600_302600_NS10device_ptrIlEEjNS1_19radix_merge_compareILb0ELb0EfNS0_19identity_decomposerEEEEE10hipError_tT0_T1_T2_jT3_P12ihipStream_tbPNSt15iterator_traitsISG_E10value_typeEPNSM_ISH_E10value_typeEPSI_NS1_7vsmem_tEENKUlT_SG_SH_SI_E_clIS7_S7_PlSB_EESF_SV_SG_SH_SI_EUlSV_E_NS1_11comp_targetILNS1_3genE3ELNS1_11target_archE908ELNS1_3gpuE7ELNS1_3repE0EEENS1_48merge_mergepath_partition_config_static_selectorELNS0_4arch9wavefront6targetE1EEEvSH_.uses_vcc, 0
	.set _ZN7rocprim17ROCPRIM_400000_NS6detail17trampoline_kernelINS0_14default_configENS1_38merge_sort_block_merge_config_selectorIflEEZZNS1_27merge_sort_block_merge_implIS3_PfN6thrust23THRUST_200600_302600_NS10device_ptrIlEEjNS1_19radix_merge_compareILb0ELb0EfNS0_19identity_decomposerEEEEE10hipError_tT0_T1_T2_jT3_P12ihipStream_tbPNSt15iterator_traitsISG_E10value_typeEPNSM_ISH_E10value_typeEPSI_NS1_7vsmem_tEENKUlT_SG_SH_SI_E_clIS7_S7_PlSB_EESF_SV_SG_SH_SI_EUlSV_E_NS1_11comp_targetILNS1_3genE3ELNS1_11target_archE908ELNS1_3gpuE7ELNS1_3repE0EEENS1_48merge_mergepath_partition_config_static_selectorELNS0_4arch9wavefront6targetE1EEEvSH_.uses_flat_scratch, 0
	.set _ZN7rocprim17ROCPRIM_400000_NS6detail17trampoline_kernelINS0_14default_configENS1_38merge_sort_block_merge_config_selectorIflEEZZNS1_27merge_sort_block_merge_implIS3_PfN6thrust23THRUST_200600_302600_NS10device_ptrIlEEjNS1_19radix_merge_compareILb0ELb0EfNS0_19identity_decomposerEEEEE10hipError_tT0_T1_T2_jT3_P12ihipStream_tbPNSt15iterator_traitsISG_E10value_typeEPNSM_ISH_E10value_typeEPSI_NS1_7vsmem_tEENKUlT_SG_SH_SI_E_clIS7_S7_PlSB_EESF_SV_SG_SH_SI_EUlSV_E_NS1_11comp_targetILNS1_3genE3ELNS1_11target_archE908ELNS1_3gpuE7ELNS1_3repE0EEENS1_48merge_mergepath_partition_config_static_selectorELNS0_4arch9wavefront6targetE1EEEvSH_.has_dyn_sized_stack, 0
	.set _ZN7rocprim17ROCPRIM_400000_NS6detail17trampoline_kernelINS0_14default_configENS1_38merge_sort_block_merge_config_selectorIflEEZZNS1_27merge_sort_block_merge_implIS3_PfN6thrust23THRUST_200600_302600_NS10device_ptrIlEEjNS1_19radix_merge_compareILb0ELb0EfNS0_19identity_decomposerEEEEE10hipError_tT0_T1_T2_jT3_P12ihipStream_tbPNSt15iterator_traitsISG_E10value_typeEPNSM_ISH_E10value_typeEPSI_NS1_7vsmem_tEENKUlT_SG_SH_SI_E_clIS7_S7_PlSB_EESF_SV_SG_SH_SI_EUlSV_E_NS1_11comp_targetILNS1_3genE3ELNS1_11target_archE908ELNS1_3gpuE7ELNS1_3repE0EEENS1_48merge_mergepath_partition_config_static_selectorELNS0_4arch9wavefront6targetE1EEEvSH_.has_recursion, 0
	.set _ZN7rocprim17ROCPRIM_400000_NS6detail17trampoline_kernelINS0_14default_configENS1_38merge_sort_block_merge_config_selectorIflEEZZNS1_27merge_sort_block_merge_implIS3_PfN6thrust23THRUST_200600_302600_NS10device_ptrIlEEjNS1_19radix_merge_compareILb0ELb0EfNS0_19identity_decomposerEEEEE10hipError_tT0_T1_T2_jT3_P12ihipStream_tbPNSt15iterator_traitsISG_E10value_typeEPNSM_ISH_E10value_typeEPSI_NS1_7vsmem_tEENKUlT_SG_SH_SI_E_clIS7_S7_PlSB_EESF_SV_SG_SH_SI_EUlSV_E_NS1_11comp_targetILNS1_3genE3ELNS1_11target_archE908ELNS1_3gpuE7ELNS1_3repE0EEENS1_48merge_mergepath_partition_config_static_selectorELNS0_4arch9wavefront6targetE1EEEvSH_.has_indirect_call, 0
	.section	.AMDGPU.csdata,"",@progbits
; Kernel info:
; codeLenInByte = 0
; TotalNumSgprs: 4
; NumVgprs: 0
; ScratchSize: 0
; MemoryBound: 0
; FloatMode: 240
; IeeeMode: 1
; LDSByteSize: 0 bytes/workgroup (compile time only)
; SGPRBlocks: 0
; VGPRBlocks: 0
; NumSGPRsForWavesPerEU: 4
; NumVGPRsForWavesPerEU: 1
; Occupancy: 10
; WaveLimiterHint : 0
; COMPUTE_PGM_RSRC2:SCRATCH_EN: 0
; COMPUTE_PGM_RSRC2:USER_SGPR: 6
; COMPUTE_PGM_RSRC2:TRAP_HANDLER: 0
; COMPUTE_PGM_RSRC2:TGID_X_EN: 1
; COMPUTE_PGM_RSRC2:TGID_Y_EN: 0
; COMPUTE_PGM_RSRC2:TGID_Z_EN: 0
; COMPUTE_PGM_RSRC2:TIDIG_COMP_CNT: 0
	.section	.text._ZN7rocprim17ROCPRIM_400000_NS6detail17trampoline_kernelINS0_14default_configENS1_38merge_sort_block_merge_config_selectorIflEEZZNS1_27merge_sort_block_merge_implIS3_PfN6thrust23THRUST_200600_302600_NS10device_ptrIlEEjNS1_19radix_merge_compareILb0ELb0EfNS0_19identity_decomposerEEEEE10hipError_tT0_T1_T2_jT3_P12ihipStream_tbPNSt15iterator_traitsISG_E10value_typeEPNSM_ISH_E10value_typeEPSI_NS1_7vsmem_tEENKUlT_SG_SH_SI_E_clIS7_S7_PlSB_EESF_SV_SG_SH_SI_EUlSV_E_NS1_11comp_targetILNS1_3genE2ELNS1_11target_archE906ELNS1_3gpuE6ELNS1_3repE0EEENS1_48merge_mergepath_partition_config_static_selectorELNS0_4arch9wavefront6targetE1EEEvSH_,"axG",@progbits,_ZN7rocprim17ROCPRIM_400000_NS6detail17trampoline_kernelINS0_14default_configENS1_38merge_sort_block_merge_config_selectorIflEEZZNS1_27merge_sort_block_merge_implIS3_PfN6thrust23THRUST_200600_302600_NS10device_ptrIlEEjNS1_19radix_merge_compareILb0ELb0EfNS0_19identity_decomposerEEEEE10hipError_tT0_T1_T2_jT3_P12ihipStream_tbPNSt15iterator_traitsISG_E10value_typeEPNSM_ISH_E10value_typeEPSI_NS1_7vsmem_tEENKUlT_SG_SH_SI_E_clIS7_S7_PlSB_EESF_SV_SG_SH_SI_EUlSV_E_NS1_11comp_targetILNS1_3genE2ELNS1_11target_archE906ELNS1_3gpuE6ELNS1_3repE0EEENS1_48merge_mergepath_partition_config_static_selectorELNS0_4arch9wavefront6targetE1EEEvSH_,comdat
	.protected	_ZN7rocprim17ROCPRIM_400000_NS6detail17trampoline_kernelINS0_14default_configENS1_38merge_sort_block_merge_config_selectorIflEEZZNS1_27merge_sort_block_merge_implIS3_PfN6thrust23THRUST_200600_302600_NS10device_ptrIlEEjNS1_19radix_merge_compareILb0ELb0EfNS0_19identity_decomposerEEEEE10hipError_tT0_T1_T2_jT3_P12ihipStream_tbPNSt15iterator_traitsISG_E10value_typeEPNSM_ISH_E10value_typeEPSI_NS1_7vsmem_tEENKUlT_SG_SH_SI_E_clIS7_S7_PlSB_EESF_SV_SG_SH_SI_EUlSV_E_NS1_11comp_targetILNS1_3genE2ELNS1_11target_archE906ELNS1_3gpuE6ELNS1_3repE0EEENS1_48merge_mergepath_partition_config_static_selectorELNS0_4arch9wavefront6targetE1EEEvSH_ ; -- Begin function _ZN7rocprim17ROCPRIM_400000_NS6detail17trampoline_kernelINS0_14default_configENS1_38merge_sort_block_merge_config_selectorIflEEZZNS1_27merge_sort_block_merge_implIS3_PfN6thrust23THRUST_200600_302600_NS10device_ptrIlEEjNS1_19radix_merge_compareILb0ELb0EfNS0_19identity_decomposerEEEEE10hipError_tT0_T1_T2_jT3_P12ihipStream_tbPNSt15iterator_traitsISG_E10value_typeEPNSM_ISH_E10value_typeEPSI_NS1_7vsmem_tEENKUlT_SG_SH_SI_E_clIS7_S7_PlSB_EESF_SV_SG_SH_SI_EUlSV_E_NS1_11comp_targetILNS1_3genE2ELNS1_11target_archE906ELNS1_3gpuE6ELNS1_3repE0EEENS1_48merge_mergepath_partition_config_static_selectorELNS0_4arch9wavefront6targetE1EEEvSH_
	.globl	_ZN7rocprim17ROCPRIM_400000_NS6detail17trampoline_kernelINS0_14default_configENS1_38merge_sort_block_merge_config_selectorIflEEZZNS1_27merge_sort_block_merge_implIS3_PfN6thrust23THRUST_200600_302600_NS10device_ptrIlEEjNS1_19radix_merge_compareILb0ELb0EfNS0_19identity_decomposerEEEEE10hipError_tT0_T1_T2_jT3_P12ihipStream_tbPNSt15iterator_traitsISG_E10value_typeEPNSM_ISH_E10value_typeEPSI_NS1_7vsmem_tEENKUlT_SG_SH_SI_E_clIS7_S7_PlSB_EESF_SV_SG_SH_SI_EUlSV_E_NS1_11comp_targetILNS1_3genE2ELNS1_11target_archE906ELNS1_3gpuE6ELNS1_3repE0EEENS1_48merge_mergepath_partition_config_static_selectorELNS0_4arch9wavefront6targetE1EEEvSH_
	.p2align	8
	.type	_ZN7rocprim17ROCPRIM_400000_NS6detail17trampoline_kernelINS0_14default_configENS1_38merge_sort_block_merge_config_selectorIflEEZZNS1_27merge_sort_block_merge_implIS3_PfN6thrust23THRUST_200600_302600_NS10device_ptrIlEEjNS1_19radix_merge_compareILb0ELb0EfNS0_19identity_decomposerEEEEE10hipError_tT0_T1_T2_jT3_P12ihipStream_tbPNSt15iterator_traitsISG_E10value_typeEPNSM_ISH_E10value_typeEPSI_NS1_7vsmem_tEENKUlT_SG_SH_SI_E_clIS7_S7_PlSB_EESF_SV_SG_SH_SI_EUlSV_E_NS1_11comp_targetILNS1_3genE2ELNS1_11target_archE906ELNS1_3gpuE6ELNS1_3repE0EEENS1_48merge_mergepath_partition_config_static_selectorELNS0_4arch9wavefront6targetE1EEEvSH_,@function
_ZN7rocprim17ROCPRIM_400000_NS6detail17trampoline_kernelINS0_14default_configENS1_38merge_sort_block_merge_config_selectorIflEEZZNS1_27merge_sort_block_merge_implIS3_PfN6thrust23THRUST_200600_302600_NS10device_ptrIlEEjNS1_19radix_merge_compareILb0ELb0EfNS0_19identity_decomposerEEEEE10hipError_tT0_T1_T2_jT3_P12ihipStream_tbPNSt15iterator_traitsISG_E10value_typeEPNSM_ISH_E10value_typeEPSI_NS1_7vsmem_tEENKUlT_SG_SH_SI_E_clIS7_S7_PlSB_EESF_SV_SG_SH_SI_EUlSV_E_NS1_11comp_targetILNS1_3genE2ELNS1_11target_archE906ELNS1_3gpuE6ELNS1_3repE0EEENS1_48merge_mergepath_partition_config_static_selectorELNS0_4arch9wavefront6targetE1EEEvSH_: ; @_ZN7rocprim17ROCPRIM_400000_NS6detail17trampoline_kernelINS0_14default_configENS1_38merge_sort_block_merge_config_selectorIflEEZZNS1_27merge_sort_block_merge_implIS3_PfN6thrust23THRUST_200600_302600_NS10device_ptrIlEEjNS1_19radix_merge_compareILb0ELb0EfNS0_19identity_decomposerEEEEE10hipError_tT0_T1_T2_jT3_P12ihipStream_tbPNSt15iterator_traitsISG_E10value_typeEPNSM_ISH_E10value_typeEPSI_NS1_7vsmem_tEENKUlT_SG_SH_SI_E_clIS7_S7_PlSB_EESF_SV_SG_SH_SI_EUlSV_E_NS1_11comp_targetILNS1_3genE2ELNS1_11target_archE906ELNS1_3gpuE6ELNS1_3repE0EEENS1_48merge_mergepath_partition_config_static_selectorELNS0_4arch9wavefront6targetE1EEEvSH_
; %bb.0:
	s_load_dword s0, s[4:5], 0x0
	v_lshl_or_b32 v0, s6, 7, v0
	s_waitcnt lgkmcnt(0)
	v_cmp_gt_u32_e32 vcc, s0, v0
	s_and_saveexec_b64 s[0:1], vcc
	s_cbranch_execz .LBB1765_6
; %bb.1:
	s_load_dwordx2 s[2:3], s[4:5], 0x4
	s_load_dwordx2 s[0:1], s[4:5], 0x20
	s_waitcnt lgkmcnt(0)
	s_lshr_b32 s6, s2, 9
	s_and_b32 s6, s6, 0x7ffffe
	s_add_i32 s7, s6, -1
	s_sub_i32 s6, 0, s6
	v_and_b32_e32 v1, s6, v0
	v_lshlrev_b32_e32 v3, 10, v1
	v_min_u32_e32 v1, s3, v3
	v_add_u32_e32 v3, s2, v3
	v_min_u32_e32 v3, s3, v3
	v_add_u32_e32 v4, s2, v3
	v_and_b32_e32 v2, s7, v0
	v_min_u32_e32 v4, s3, v4
	v_sub_u32_e32 v5, v4, v1
	v_lshlrev_b32_e32 v2, 10, v2
	v_min_u32_e32 v6, v5, v2
	v_sub_u32_e32 v2, v3, v1
	v_sub_u32_e32 v4, v4, v3
	v_sub_u32_e64 v5, v6, v4 clamp
	v_min_u32_e32 v7, v6, v2
	v_cmp_lt_u32_e32 vcc, v5, v7
	s_and_saveexec_b64 s[2:3], vcc
	s_cbranch_execz .LBB1765_5
; %bb.2:
	s_load_dwordx2 s[4:5], s[4:5], 0x10
	v_mov_b32_e32 v4, 0
	v_mov_b32_e32 v2, v4
	v_lshlrev_b64 v[8:9], 2, v[1:2]
	s_waitcnt lgkmcnt(0)
	v_mov_b32_e32 v11, s5
	v_add_co_u32_e32 v2, vcc, s4, v8
	v_addc_co_u32_e32 v8, vcc, v11, v9, vcc
	v_lshlrev_b64 v[9:10], 2, v[3:4]
	v_add_co_u32_e32 v9, vcc, s4, v9
	v_addc_co_u32_e32 v10, vcc, v11, v10, vcc
	s_mov_b64 s[4:5], 0
.LBB1765_3:                             ; =>This Inner Loop Header: Depth=1
	v_add_u32_e32 v3, v7, v5
	v_lshrrev_b32_e32 v3, 1, v3
	v_lshlrev_b64 v[13:14], 2, v[3:4]
	v_mov_b32_e32 v12, v4
	v_xad_u32 v11, v3, -1, v6
	v_lshlrev_b64 v[11:12], 2, v[11:12]
	v_add_co_u32_e32 v13, vcc, v2, v13
	v_addc_co_u32_e32 v14, vcc, v8, v14, vcc
	v_add_co_u32_e32 v11, vcc, v9, v11
	v_addc_co_u32_e32 v12, vcc, v10, v12, vcc
	global_load_dword v15, v[13:14], off
	global_load_dword v16, v[11:12], off
	v_add_u32_e32 v11, 1, v3
	s_waitcnt vmcnt(1)
	v_add_f32_e32 v12, 0, v15
	s_waitcnt vmcnt(0)
	v_add_f32_e32 v13, 0, v16
	v_ashrrev_i32_e32 v14, 31, v12
	v_or_b32_e32 v14, 0x80000000, v14
	v_ashrrev_i32_e32 v15, 31, v13
	v_xor_b32_e32 v12, v14, v12
	v_or_b32_e32 v14, 0x80000000, v15
	v_xor_b32_e32 v13, v14, v13
	v_cmp_gt_u32_e32 vcc, v12, v13
	v_cndmask_b32_e32 v7, v7, v3, vcc
	v_cndmask_b32_e32 v5, v11, v5, vcc
	v_cmp_ge_u32_e32 vcc, v5, v7
	s_or_b64 s[4:5], vcc, s[4:5]
	s_andn2_b64 exec, exec, s[4:5]
	s_cbranch_execnz .LBB1765_3
; %bb.4:
	s_or_b64 exec, exec, s[4:5]
.LBB1765_5:
	s_or_b64 exec, exec, s[2:3]
	v_add_u32_e32 v2, v5, v1
	v_mov_b32_e32 v1, 0
	v_lshlrev_b64 v[0:1], 2, v[0:1]
	v_mov_b32_e32 v3, s1
	v_add_co_u32_e32 v0, vcc, s0, v0
	v_addc_co_u32_e32 v1, vcc, v3, v1, vcc
	global_store_dword v[0:1], v2, off
.LBB1765_6:
	s_endpgm
	.section	.rodata,"a",@progbits
	.p2align	6, 0x0
	.amdhsa_kernel _ZN7rocprim17ROCPRIM_400000_NS6detail17trampoline_kernelINS0_14default_configENS1_38merge_sort_block_merge_config_selectorIflEEZZNS1_27merge_sort_block_merge_implIS3_PfN6thrust23THRUST_200600_302600_NS10device_ptrIlEEjNS1_19radix_merge_compareILb0ELb0EfNS0_19identity_decomposerEEEEE10hipError_tT0_T1_T2_jT3_P12ihipStream_tbPNSt15iterator_traitsISG_E10value_typeEPNSM_ISH_E10value_typeEPSI_NS1_7vsmem_tEENKUlT_SG_SH_SI_E_clIS7_S7_PlSB_EESF_SV_SG_SH_SI_EUlSV_E_NS1_11comp_targetILNS1_3genE2ELNS1_11target_archE906ELNS1_3gpuE6ELNS1_3repE0EEENS1_48merge_mergepath_partition_config_static_selectorELNS0_4arch9wavefront6targetE1EEEvSH_
		.amdhsa_group_segment_fixed_size 0
		.amdhsa_private_segment_fixed_size 0
		.amdhsa_kernarg_size 40
		.amdhsa_user_sgpr_count 6
		.amdhsa_user_sgpr_private_segment_buffer 1
		.amdhsa_user_sgpr_dispatch_ptr 0
		.amdhsa_user_sgpr_queue_ptr 0
		.amdhsa_user_sgpr_kernarg_segment_ptr 1
		.amdhsa_user_sgpr_dispatch_id 0
		.amdhsa_user_sgpr_flat_scratch_init 0
		.amdhsa_user_sgpr_private_segment_size 0
		.amdhsa_uses_dynamic_stack 0
		.amdhsa_system_sgpr_private_segment_wavefront_offset 0
		.amdhsa_system_sgpr_workgroup_id_x 1
		.amdhsa_system_sgpr_workgroup_id_y 0
		.amdhsa_system_sgpr_workgroup_id_z 0
		.amdhsa_system_sgpr_workgroup_info 0
		.amdhsa_system_vgpr_workitem_id 0
		.amdhsa_next_free_vgpr 17
		.amdhsa_next_free_sgpr 8
		.amdhsa_reserve_vcc 1
		.amdhsa_reserve_flat_scratch 0
		.amdhsa_float_round_mode_32 0
		.amdhsa_float_round_mode_16_64 0
		.amdhsa_float_denorm_mode_32 3
		.amdhsa_float_denorm_mode_16_64 3
		.amdhsa_dx10_clamp 1
		.amdhsa_ieee_mode 1
		.amdhsa_fp16_overflow 0
		.amdhsa_exception_fp_ieee_invalid_op 0
		.amdhsa_exception_fp_denorm_src 0
		.amdhsa_exception_fp_ieee_div_zero 0
		.amdhsa_exception_fp_ieee_overflow 0
		.amdhsa_exception_fp_ieee_underflow 0
		.amdhsa_exception_fp_ieee_inexact 0
		.amdhsa_exception_int_div_zero 0
	.end_amdhsa_kernel
	.section	.text._ZN7rocprim17ROCPRIM_400000_NS6detail17trampoline_kernelINS0_14default_configENS1_38merge_sort_block_merge_config_selectorIflEEZZNS1_27merge_sort_block_merge_implIS3_PfN6thrust23THRUST_200600_302600_NS10device_ptrIlEEjNS1_19radix_merge_compareILb0ELb0EfNS0_19identity_decomposerEEEEE10hipError_tT0_T1_T2_jT3_P12ihipStream_tbPNSt15iterator_traitsISG_E10value_typeEPNSM_ISH_E10value_typeEPSI_NS1_7vsmem_tEENKUlT_SG_SH_SI_E_clIS7_S7_PlSB_EESF_SV_SG_SH_SI_EUlSV_E_NS1_11comp_targetILNS1_3genE2ELNS1_11target_archE906ELNS1_3gpuE6ELNS1_3repE0EEENS1_48merge_mergepath_partition_config_static_selectorELNS0_4arch9wavefront6targetE1EEEvSH_,"axG",@progbits,_ZN7rocprim17ROCPRIM_400000_NS6detail17trampoline_kernelINS0_14default_configENS1_38merge_sort_block_merge_config_selectorIflEEZZNS1_27merge_sort_block_merge_implIS3_PfN6thrust23THRUST_200600_302600_NS10device_ptrIlEEjNS1_19radix_merge_compareILb0ELb0EfNS0_19identity_decomposerEEEEE10hipError_tT0_T1_T2_jT3_P12ihipStream_tbPNSt15iterator_traitsISG_E10value_typeEPNSM_ISH_E10value_typeEPSI_NS1_7vsmem_tEENKUlT_SG_SH_SI_E_clIS7_S7_PlSB_EESF_SV_SG_SH_SI_EUlSV_E_NS1_11comp_targetILNS1_3genE2ELNS1_11target_archE906ELNS1_3gpuE6ELNS1_3repE0EEENS1_48merge_mergepath_partition_config_static_selectorELNS0_4arch9wavefront6targetE1EEEvSH_,comdat
.Lfunc_end1765:
	.size	_ZN7rocprim17ROCPRIM_400000_NS6detail17trampoline_kernelINS0_14default_configENS1_38merge_sort_block_merge_config_selectorIflEEZZNS1_27merge_sort_block_merge_implIS3_PfN6thrust23THRUST_200600_302600_NS10device_ptrIlEEjNS1_19radix_merge_compareILb0ELb0EfNS0_19identity_decomposerEEEEE10hipError_tT0_T1_T2_jT3_P12ihipStream_tbPNSt15iterator_traitsISG_E10value_typeEPNSM_ISH_E10value_typeEPSI_NS1_7vsmem_tEENKUlT_SG_SH_SI_E_clIS7_S7_PlSB_EESF_SV_SG_SH_SI_EUlSV_E_NS1_11comp_targetILNS1_3genE2ELNS1_11target_archE906ELNS1_3gpuE6ELNS1_3repE0EEENS1_48merge_mergepath_partition_config_static_selectorELNS0_4arch9wavefront6targetE1EEEvSH_, .Lfunc_end1765-_ZN7rocprim17ROCPRIM_400000_NS6detail17trampoline_kernelINS0_14default_configENS1_38merge_sort_block_merge_config_selectorIflEEZZNS1_27merge_sort_block_merge_implIS3_PfN6thrust23THRUST_200600_302600_NS10device_ptrIlEEjNS1_19radix_merge_compareILb0ELb0EfNS0_19identity_decomposerEEEEE10hipError_tT0_T1_T2_jT3_P12ihipStream_tbPNSt15iterator_traitsISG_E10value_typeEPNSM_ISH_E10value_typeEPSI_NS1_7vsmem_tEENKUlT_SG_SH_SI_E_clIS7_S7_PlSB_EESF_SV_SG_SH_SI_EUlSV_E_NS1_11comp_targetILNS1_3genE2ELNS1_11target_archE906ELNS1_3gpuE6ELNS1_3repE0EEENS1_48merge_mergepath_partition_config_static_selectorELNS0_4arch9wavefront6targetE1EEEvSH_
                                        ; -- End function
	.set _ZN7rocprim17ROCPRIM_400000_NS6detail17trampoline_kernelINS0_14default_configENS1_38merge_sort_block_merge_config_selectorIflEEZZNS1_27merge_sort_block_merge_implIS3_PfN6thrust23THRUST_200600_302600_NS10device_ptrIlEEjNS1_19radix_merge_compareILb0ELb0EfNS0_19identity_decomposerEEEEE10hipError_tT0_T1_T2_jT3_P12ihipStream_tbPNSt15iterator_traitsISG_E10value_typeEPNSM_ISH_E10value_typeEPSI_NS1_7vsmem_tEENKUlT_SG_SH_SI_E_clIS7_S7_PlSB_EESF_SV_SG_SH_SI_EUlSV_E_NS1_11comp_targetILNS1_3genE2ELNS1_11target_archE906ELNS1_3gpuE6ELNS1_3repE0EEENS1_48merge_mergepath_partition_config_static_selectorELNS0_4arch9wavefront6targetE1EEEvSH_.num_vgpr, 17
	.set _ZN7rocprim17ROCPRIM_400000_NS6detail17trampoline_kernelINS0_14default_configENS1_38merge_sort_block_merge_config_selectorIflEEZZNS1_27merge_sort_block_merge_implIS3_PfN6thrust23THRUST_200600_302600_NS10device_ptrIlEEjNS1_19radix_merge_compareILb0ELb0EfNS0_19identity_decomposerEEEEE10hipError_tT0_T1_T2_jT3_P12ihipStream_tbPNSt15iterator_traitsISG_E10value_typeEPNSM_ISH_E10value_typeEPSI_NS1_7vsmem_tEENKUlT_SG_SH_SI_E_clIS7_S7_PlSB_EESF_SV_SG_SH_SI_EUlSV_E_NS1_11comp_targetILNS1_3genE2ELNS1_11target_archE906ELNS1_3gpuE6ELNS1_3repE0EEENS1_48merge_mergepath_partition_config_static_selectorELNS0_4arch9wavefront6targetE1EEEvSH_.num_agpr, 0
	.set _ZN7rocprim17ROCPRIM_400000_NS6detail17trampoline_kernelINS0_14default_configENS1_38merge_sort_block_merge_config_selectorIflEEZZNS1_27merge_sort_block_merge_implIS3_PfN6thrust23THRUST_200600_302600_NS10device_ptrIlEEjNS1_19radix_merge_compareILb0ELb0EfNS0_19identity_decomposerEEEEE10hipError_tT0_T1_T2_jT3_P12ihipStream_tbPNSt15iterator_traitsISG_E10value_typeEPNSM_ISH_E10value_typeEPSI_NS1_7vsmem_tEENKUlT_SG_SH_SI_E_clIS7_S7_PlSB_EESF_SV_SG_SH_SI_EUlSV_E_NS1_11comp_targetILNS1_3genE2ELNS1_11target_archE906ELNS1_3gpuE6ELNS1_3repE0EEENS1_48merge_mergepath_partition_config_static_selectorELNS0_4arch9wavefront6targetE1EEEvSH_.numbered_sgpr, 8
	.set _ZN7rocprim17ROCPRIM_400000_NS6detail17trampoline_kernelINS0_14default_configENS1_38merge_sort_block_merge_config_selectorIflEEZZNS1_27merge_sort_block_merge_implIS3_PfN6thrust23THRUST_200600_302600_NS10device_ptrIlEEjNS1_19radix_merge_compareILb0ELb0EfNS0_19identity_decomposerEEEEE10hipError_tT0_T1_T2_jT3_P12ihipStream_tbPNSt15iterator_traitsISG_E10value_typeEPNSM_ISH_E10value_typeEPSI_NS1_7vsmem_tEENKUlT_SG_SH_SI_E_clIS7_S7_PlSB_EESF_SV_SG_SH_SI_EUlSV_E_NS1_11comp_targetILNS1_3genE2ELNS1_11target_archE906ELNS1_3gpuE6ELNS1_3repE0EEENS1_48merge_mergepath_partition_config_static_selectorELNS0_4arch9wavefront6targetE1EEEvSH_.num_named_barrier, 0
	.set _ZN7rocprim17ROCPRIM_400000_NS6detail17trampoline_kernelINS0_14default_configENS1_38merge_sort_block_merge_config_selectorIflEEZZNS1_27merge_sort_block_merge_implIS3_PfN6thrust23THRUST_200600_302600_NS10device_ptrIlEEjNS1_19radix_merge_compareILb0ELb0EfNS0_19identity_decomposerEEEEE10hipError_tT0_T1_T2_jT3_P12ihipStream_tbPNSt15iterator_traitsISG_E10value_typeEPNSM_ISH_E10value_typeEPSI_NS1_7vsmem_tEENKUlT_SG_SH_SI_E_clIS7_S7_PlSB_EESF_SV_SG_SH_SI_EUlSV_E_NS1_11comp_targetILNS1_3genE2ELNS1_11target_archE906ELNS1_3gpuE6ELNS1_3repE0EEENS1_48merge_mergepath_partition_config_static_selectorELNS0_4arch9wavefront6targetE1EEEvSH_.private_seg_size, 0
	.set _ZN7rocprim17ROCPRIM_400000_NS6detail17trampoline_kernelINS0_14default_configENS1_38merge_sort_block_merge_config_selectorIflEEZZNS1_27merge_sort_block_merge_implIS3_PfN6thrust23THRUST_200600_302600_NS10device_ptrIlEEjNS1_19radix_merge_compareILb0ELb0EfNS0_19identity_decomposerEEEEE10hipError_tT0_T1_T2_jT3_P12ihipStream_tbPNSt15iterator_traitsISG_E10value_typeEPNSM_ISH_E10value_typeEPSI_NS1_7vsmem_tEENKUlT_SG_SH_SI_E_clIS7_S7_PlSB_EESF_SV_SG_SH_SI_EUlSV_E_NS1_11comp_targetILNS1_3genE2ELNS1_11target_archE906ELNS1_3gpuE6ELNS1_3repE0EEENS1_48merge_mergepath_partition_config_static_selectorELNS0_4arch9wavefront6targetE1EEEvSH_.uses_vcc, 1
	.set _ZN7rocprim17ROCPRIM_400000_NS6detail17trampoline_kernelINS0_14default_configENS1_38merge_sort_block_merge_config_selectorIflEEZZNS1_27merge_sort_block_merge_implIS3_PfN6thrust23THRUST_200600_302600_NS10device_ptrIlEEjNS1_19radix_merge_compareILb0ELb0EfNS0_19identity_decomposerEEEEE10hipError_tT0_T1_T2_jT3_P12ihipStream_tbPNSt15iterator_traitsISG_E10value_typeEPNSM_ISH_E10value_typeEPSI_NS1_7vsmem_tEENKUlT_SG_SH_SI_E_clIS7_S7_PlSB_EESF_SV_SG_SH_SI_EUlSV_E_NS1_11comp_targetILNS1_3genE2ELNS1_11target_archE906ELNS1_3gpuE6ELNS1_3repE0EEENS1_48merge_mergepath_partition_config_static_selectorELNS0_4arch9wavefront6targetE1EEEvSH_.uses_flat_scratch, 0
	.set _ZN7rocprim17ROCPRIM_400000_NS6detail17trampoline_kernelINS0_14default_configENS1_38merge_sort_block_merge_config_selectorIflEEZZNS1_27merge_sort_block_merge_implIS3_PfN6thrust23THRUST_200600_302600_NS10device_ptrIlEEjNS1_19radix_merge_compareILb0ELb0EfNS0_19identity_decomposerEEEEE10hipError_tT0_T1_T2_jT3_P12ihipStream_tbPNSt15iterator_traitsISG_E10value_typeEPNSM_ISH_E10value_typeEPSI_NS1_7vsmem_tEENKUlT_SG_SH_SI_E_clIS7_S7_PlSB_EESF_SV_SG_SH_SI_EUlSV_E_NS1_11comp_targetILNS1_3genE2ELNS1_11target_archE906ELNS1_3gpuE6ELNS1_3repE0EEENS1_48merge_mergepath_partition_config_static_selectorELNS0_4arch9wavefront6targetE1EEEvSH_.has_dyn_sized_stack, 0
	.set _ZN7rocprim17ROCPRIM_400000_NS6detail17trampoline_kernelINS0_14default_configENS1_38merge_sort_block_merge_config_selectorIflEEZZNS1_27merge_sort_block_merge_implIS3_PfN6thrust23THRUST_200600_302600_NS10device_ptrIlEEjNS1_19radix_merge_compareILb0ELb0EfNS0_19identity_decomposerEEEEE10hipError_tT0_T1_T2_jT3_P12ihipStream_tbPNSt15iterator_traitsISG_E10value_typeEPNSM_ISH_E10value_typeEPSI_NS1_7vsmem_tEENKUlT_SG_SH_SI_E_clIS7_S7_PlSB_EESF_SV_SG_SH_SI_EUlSV_E_NS1_11comp_targetILNS1_3genE2ELNS1_11target_archE906ELNS1_3gpuE6ELNS1_3repE0EEENS1_48merge_mergepath_partition_config_static_selectorELNS0_4arch9wavefront6targetE1EEEvSH_.has_recursion, 0
	.set _ZN7rocprim17ROCPRIM_400000_NS6detail17trampoline_kernelINS0_14default_configENS1_38merge_sort_block_merge_config_selectorIflEEZZNS1_27merge_sort_block_merge_implIS3_PfN6thrust23THRUST_200600_302600_NS10device_ptrIlEEjNS1_19radix_merge_compareILb0ELb0EfNS0_19identity_decomposerEEEEE10hipError_tT0_T1_T2_jT3_P12ihipStream_tbPNSt15iterator_traitsISG_E10value_typeEPNSM_ISH_E10value_typeEPSI_NS1_7vsmem_tEENKUlT_SG_SH_SI_E_clIS7_S7_PlSB_EESF_SV_SG_SH_SI_EUlSV_E_NS1_11comp_targetILNS1_3genE2ELNS1_11target_archE906ELNS1_3gpuE6ELNS1_3repE0EEENS1_48merge_mergepath_partition_config_static_selectorELNS0_4arch9wavefront6targetE1EEEvSH_.has_indirect_call, 0
	.section	.AMDGPU.csdata,"",@progbits
; Kernel info:
; codeLenInByte = 404
; TotalNumSgprs: 12
; NumVgprs: 17
; ScratchSize: 0
; MemoryBound: 0
; FloatMode: 240
; IeeeMode: 1
; LDSByteSize: 0 bytes/workgroup (compile time only)
; SGPRBlocks: 1
; VGPRBlocks: 4
; NumSGPRsForWavesPerEU: 12
; NumVGPRsForWavesPerEU: 17
; Occupancy: 10
; WaveLimiterHint : 0
; COMPUTE_PGM_RSRC2:SCRATCH_EN: 0
; COMPUTE_PGM_RSRC2:USER_SGPR: 6
; COMPUTE_PGM_RSRC2:TRAP_HANDLER: 0
; COMPUTE_PGM_RSRC2:TGID_X_EN: 1
; COMPUTE_PGM_RSRC2:TGID_Y_EN: 0
; COMPUTE_PGM_RSRC2:TGID_Z_EN: 0
; COMPUTE_PGM_RSRC2:TIDIG_COMP_CNT: 0
	.section	.text._ZN7rocprim17ROCPRIM_400000_NS6detail17trampoline_kernelINS0_14default_configENS1_38merge_sort_block_merge_config_selectorIflEEZZNS1_27merge_sort_block_merge_implIS3_PfN6thrust23THRUST_200600_302600_NS10device_ptrIlEEjNS1_19radix_merge_compareILb0ELb0EfNS0_19identity_decomposerEEEEE10hipError_tT0_T1_T2_jT3_P12ihipStream_tbPNSt15iterator_traitsISG_E10value_typeEPNSM_ISH_E10value_typeEPSI_NS1_7vsmem_tEENKUlT_SG_SH_SI_E_clIS7_S7_PlSB_EESF_SV_SG_SH_SI_EUlSV_E_NS1_11comp_targetILNS1_3genE9ELNS1_11target_archE1100ELNS1_3gpuE3ELNS1_3repE0EEENS1_48merge_mergepath_partition_config_static_selectorELNS0_4arch9wavefront6targetE1EEEvSH_,"axG",@progbits,_ZN7rocprim17ROCPRIM_400000_NS6detail17trampoline_kernelINS0_14default_configENS1_38merge_sort_block_merge_config_selectorIflEEZZNS1_27merge_sort_block_merge_implIS3_PfN6thrust23THRUST_200600_302600_NS10device_ptrIlEEjNS1_19radix_merge_compareILb0ELb0EfNS0_19identity_decomposerEEEEE10hipError_tT0_T1_T2_jT3_P12ihipStream_tbPNSt15iterator_traitsISG_E10value_typeEPNSM_ISH_E10value_typeEPSI_NS1_7vsmem_tEENKUlT_SG_SH_SI_E_clIS7_S7_PlSB_EESF_SV_SG_SH_SI_EUlSV_E_NS1_11comp_targetILNS1_3genE9ELNS1_11target_archE1100ELNS1_3gpuE3ELNS1_3repE0EEENS1_48merge_mergepath_partition_config_static_selectorELNS0_4arch9wavefront6targetE1EEEvSH_,comdat
	.protected	_ZN7rocprim17ROCPRIM_400000_NS6detail17trampoline_kernelINS0_14default_configENS1_38merge_sort_block_merge_config_selectorIflEEZZNS1_27merge_sort_block_merge_implIS3_PfN6thrust23THRUST_200600_302600_NS10device_ptrIlEEjNS1_19radix_merge_compareILb0ELb0EfNS0_19identity_decomposerEEEEE10hipError_tT0_T1_T2_jT3_P12ihipStream_tbPNSt15iterator_traitsISG_E10value_typeEPNSM_ISH_E10value_typeEPSI_NS1_7vsmem_tEENKUlT_SG_SH_SI_E_clIS7_S7_PlSB_EESF_SV_SG_SH_SI_EUlSV_E_NS1_11comp_targetILNS1_3genE9ELNS1_11target_archE1100ELNS1_3gpuE3ELNS1_3repE0EEENS1_48merge_mergepath_partition_config_static_selectorELNS0_4arch9wavefront6targetE1EEEvSH_ ; -- Begin function _ZN7rocprim17ROCPRIM_400000_NS6detail17trampoline_kernelINS0_14default_configENS1_38merge_sort_block_merge_config_selectorIflEEZZNS1_27merge_sort_block_merge_implIS3_PfN6thrust23THRUST_200600_302600_NS10device_ptrIlEEjNS1_19radix_merge_compareILb0ELb0EfNS0_19identity_decomposerEEEEE10hipError_tT0_T1_T2_jT3_P12ihipStream_tbPNSt15iterator_traitsISG_E10value_typeEPNSM_ISH_E10value_typeEPSI_NS1_7vsmem_tEENKUlT_SG_SH_SI_E_clIS7_S7_PlSB_EESF_SV_SG_SH_SI_EUlSV_E_NS1_11comp_targetILNS1_3genE9ELNS1_11target_archE1100ELNS1_3gpuE3ELNS1_3repE0EEENS1_48merge_mergepath_partition_config_static_selectorELNS0_4arch9wavefront6targetE1EEEvSH_
	.globl	_ZN7rocprim17ROCPRIM_400000_NS6detail17trampoline_kernelINS0_14default_configENS1_38merge_sort_block_merge_config_selectorIflEEZZNS1_27merge_sort_block_merge_implIS3_PfN6thrust23THRUST_200600_302600_NS10device_ptrIlEEjNS1_19radix_merge_compareILb0ELb0EfNS0_19identity_decomposerEEEEE10hipError_tT0_T1_T2_jT3_P12ihipStream_tbPNSt15iterator_traitsISG_E10value_typeEPNSM_ISH_E10value_typeEPSI_NS1_7vsmem_tEENKUlT_SG_SH_SI_E_clIS7_S7_PlSB_EESF_SV_SG_SH_SI_EUlSV_E_NS1_11comp_targetILNS1_3genE9ELNS1_11target_archE1100ELNS1_3gpuE3ELNS1_3repE0EEENS1_48merge_mergepath_partition_config_static_selectorELNS0_4arch9wavefront6targetE1EEEvSH_
	.p2align	8
	.type	_ZN7rocprim17ROCPRIM_400000_NS6detail17trampoline_kernelINS0_14default_configENS1_38merge_sort_block_merge_config_selectorIflEEZZNS1_27merge_sort_block_merge_implIS3_PfN6thrust23THRUST_200600_302600_NS10device_ptrIlEEjNS1_19radix_merge_compareILb0ELb0EfNS0_19identity_decomposerEEEEE10hipError_tT0_T1_T2_jT3_P12ihipStream_tbPNSt15iterator_traitsISG_E10value_typeEPNSM_ISH_E10value_typeEPSI_NS1_7vsmem_tEENKUlT_SG_SH_SI_E_clIS7_S7_PlSB_EESF_SV_SG_SH_SI_EUlSV_E_NS1_11comp_targetILNS1_3genE9ELNS1_11target_archE1100ELNS1_3gpuE3ELNS1_3repE0EEENS1_48merge_mergepath_partition_config_static_selectorELNS0_4arch9wavefront6targetE1EEEvSH_,@function
_ZN7rocprim17ROCPRIM_400000_NS6detail17trampoline_kernelINS0_14default_configENS1_38merge_sort_block_merge_config_selectorIflEEZZNS1_27merge_sort_block_merge_implIS3_PfN6thrust23THRUST_200600_302600_NS10device_ptrIlEEjNS1_19radix_merge_compareILb0ELb0EfNS0_19identity_decomposerEEEEE10hipError_tT0_T1_T2_jT3_P12ihipStream_tbPNSt15iterator_traitsISG_E10value_typeEPNSM_ISH_E10value_typeEPSI_NS1_7vsmem_tEENKUlT_SG_SH_SI_E_clIS7_S7_PlSB_EESF_SV_SG_SH_SI_EUlSV_E_NS1_11comp_targetILNS1_3genE9ELNS1_11target_archE1100ELNS1_3gpuE3ELNS1_3repE0EEENS1_48merge_mergepath_partition_config_static_selectorELNS0_4arch9wavefront6targetE1EEEvSH_: ; @_ZN7rocprim17ROCPRIM_400000_NS6detail17trampoline_kernelINS0_14default_configENS1_38merge_sort_block_merge_config_selectorIflEEZZNS1_27merge_sort_block_merge_implIS3_PfN6thrust23THRUST_200600_302600_NS10device_ptrIlEEjNS1_19radix_merge_compareILb0ELb0EfNS0_19identity_decomposerEEEEE10hipError_tT0_T1_T2_jT3_P12ihipStream_tbPNSt15iterator_traitsISG_E10value_typeEPNSM_ISH_E10value_typeEPSI_NS1_7vsmem_tEENKUlT_SG_SH_SI_E_clIS7_S7_PlSB_EESF_SV_SG_SH_SI_EUlSV_E_NS1_11comp_targetILNS1_3genE9ELNS1_11target_archE1100ELNS1_3gpuE3ELNS1_3repE0EEENS1_48merge_mergepath_partition_config_static_selectorELNS0_4arch9wavefront6targetE1EEEvSH_
; %bb.0:
	.section	.rodata,"a",@progbits
	.p2align	6, 0x0
	.amdhsa_kernel _ZN7rocprim17ROCPRIM_400000_NS6detail17trampoline_kernelINS0_14default_configENS1_38merge_sort_block_merge_config_selectorIflEEZZNS1_27merge_sort_block_merge_implIS3_PfN6thrust23THRUST_200600_302600_NS10device_ptrIlEEjNS1_19radix_merge_compareILb0ELb0EfNS0_19identity_decomposerEEEEE10hipError_tT0_T1_T2_jT3_P12ihipStream_tbPNSt15iterator_traitsISG_E10value_typeEPNSM_ISH_E10value_typeEPSI_NS1_7vsmem_tEENKUlT_SG_SH_SI_E_clIS7_S7_PlSB_EESF_SV_SG_SH_SI_EUlSV_E_NS1_11comp_targetILNS1_3genE9ELNS1_11target_archE1100ELNS1_3gpuE3ELNS1_3repE0EEENS1_48merge_mergepath_partition_config_static_selectorELNS0_4arch9wavefront6targetE1EEEvSH_
		.amdhsa_group_segment_fixed_size 0
		.amdhsa_private_segment_fixed_size 0
		.amdhsa_kernarg_size 40
		.amdhsa_user_sgpr_count 6
		.amdhsa_user_sgpr_private_segment_buffer 1
		.amdhsa_user_sgpr_dispatch_ptr 0
		.amdhsa_user_sgpr_queue_ptr 0
		.amdhsa_user_sgpr_kernarg_segment_ptr 1
		.amdhsa_user_sgpr_dispatch_id 0
		.amdhsa_user_sgpr_flat_scratch_init 0
		.amdhsa_user_sgpr_private_segment_size 0
		.amdhsa_uses_dynamic_stack 0
		.amdhsa_system_sgpr_private_segment_wavefront_offset 0
		.amdhsa_system_sgpr_workgroup_id_x 1
		.amdhsa_system_sgpr_workgroup_id_y 0
		.amdhsa_system_sgpr_workgroup_id_z 0
		.amdhsa_system_sgpr_workgroup_info 0
		.amdhsa_system_vgpr_workitem_id 0
		.amdhsa_next_free_vgpr 1
		.amdhsa_next_free_sgpr 0
		.amdhsa_reserve_vcc 0
		.amdhsa_reserve_flat_scratch 0
		.amdhsa_float_round_mode_32 0
		.amdhsa_float_round_mode_16_64 0
		.amdhsa_float_denorm_mode_32 3
		.amdhsa_float_denorm_mode_16_64 3
		.amdhsa_dx10_clamp 1
		.amdhsa_ieee_mode 1
		.amdhsa_fp16_overflow 0
		.amdhsa_exception_fp_ieee_invalid_op 0
		.amdhsa_exception_fp_denorm_src 0
		.amdhsa_exception_fp_ieee_div_zero 0
		.amdhsa_exception_fp_ieee_overflow 0
		.amdhsa_exception_fp_ieee_underflow 0
		.amdhsa_exception_fp_ieee_inexact 0
		.amdhsa_exception_int_div_zero 0
	.end_amdhsa_kernel
	.section	.text._ZN7rocprim17ROCPRIM_400000_NS6detail17trampoline_kernelINS0_14default_configENS1_38merge_sort_block_merge_config_selectorIflEEZZNS1_27merge_sort_block_merge_implIS3_PfN6thrust23THRUST_200600_302600_NS10device_ptrIlEEjNS1_19radix_merge_compareILb0ELb0EfNS0_19identity_decomposerEEEEE10hipError_tT0_T1_T2_jT3_P12ihipStream_tbPNSt15iterator_traitsISG_E10value_typeEPNSM_ISH_E10value_typeEPSI_NS1_7vsmem_tEENKUlT_SG_SH_SI_E_clIS7_S7_PlSB_EESF_SV_SG_SH_SI_EUlSV_E_NS1_11comp_targetILNS1_3genE9ELNS1_11target_archE1100ELNS1_3gpuE3ELNS1_3repE0EEENS1_48merge_mergepath_partition_config_static_selectorELNS0_4arch9wavefront6targetE1EEEvSH_,"axG",@progbits,_ZN7rocprim17ROCPRIM_400000_NS6detail17trampoline_kernelINS0_14default_configENS1_38merge_sort_block_merge_config_selectorIflEEZZNS1_27merge_sort_block_merge_implIS3_PfN6thrust23THRUST_200600_302600_NS10device_ptrIlEEjNS1_19radix_merge_compareILb0ELb0EfNS0_19identity_decomposerEEEEE10hipError_tT0_T1_T2_jT3_P12ihipStream_tbPNSt15iterator_traitsISG_E10value_typeEPNSM_ISH_E10value_typeEPSI_NS1_7vsmem_tEENKUlT_SG_SH_SI_E_clIS7_S7_PlSB_EESF_SV_SG_SH_SI_EUlSV_E_NS1_11comp_targetILNS1_3genE9ELNS1_11target_archE1100ELNS1_3gpuE3ELNS1_3repE0EEENS1_48merge_mergepath_partition_config_static_selectorELNS0_4arch9wavefront6targetE1EEEvSH_,comdat
.Lfunc_end1766:
	.size	_ZN7rocprim17ROCPRIM_400000_NS6detail17trampoline_kernelINS0_14default_configENS1_38merge_sort_block_merge_config_selectorIflEEZZNS1_27merge_sort_block_merge_implIS3_PfN6thrust23THRUST_200600_302600_NS10device_ptrIlEEjNS1_19radix_merge_compareILb0ELb0EfNS0_19identity_decomposerEEEEE10hipError_tT0_T1_T2_jT3_P12ihipStream_tbPNSt15iterator_traitsISG_E10value_typeEPNSM_ISH_E10value_typeEPSI_NS1_7vsmem_tEENKUlT_SG_SH_SI_E_clIS7_S7_PlSB_EESF_SV_SG_SH_SI_EUlSV_E_NS1_11comp_targetILNS1_3genE9ELNS1_11target_archE1100ELNS1_3gpuE3ELNS1_3repE0EEENS1_48merge_mergepath_partition_config_static_selectorELNS0_4arch9wavefront6targetE1EEEvSH_, .Lfunc_end1766-_ZN7rocprim17ROCPRIM_400000_NS6detail17trampoline_kernelINS0_14default_configENS1_38merge_sort_block_merge_config_selectorIflEEZZNS1_27merge_sort_block_merge_implIS3_PfN6thrust23THRUST_200600_302600_NS10device_ptrIlEEjNS1_19radix_merge_compareILb0ELb0EfNS0_19identity_decomposerEEEEE10hipError_tT0_T1_T2_jT3_P12ihipStream_tbPNSt15iterator_traitsISG_E10value_typeEPNSM_ISH_E10value_typeEPSI_NS1_7vsmem_tEENKUlT_SG_SH_SI_E_clIS7_S7_PlSB_EESF_SV_SG_SH_SI_EUlSV_E_NS1_11comp_targetILNS1_3genE9ELNS1_11target_archE1100ELNS1_3gpuE3ELNS1_3repE0EEENS1_48merge_mergepath_partition_config_static_selectorELNS0_4arch9wavefront6targetE1EEEvSH_
                                        ; -- End function
	.set _ZN7rocprim17ROCPRIM_400000_NS6detail17trampoline_kernelINS0_14default_configENS1_38merge_sort_block_merge_config_selectorIflEEZZNS1_27merge_sort_block_merge_implIS3_PfN6thrust23THRUST_200600_302600_NS10device_ptrIlEEjNS1_19radix_merge_compareILb0ELb0EfNS0_19identity_decomposerEEEEE10hipError_tT0_T1_T2_jT3_P12ihipStream_tbPNSt15iterator_traitsISG_E10value_typeEPNSM_ISH_E10value_typeEPSI_NS1_7vsmem_tEENKUlT_SG_SH_SI_E_clIS7_S7_PlSB_EESF_SV_SG_SH_SI_EUlSV_E_NS1_11comp_targetILNS1_3genE9ELNS1_11target_archE1100ELNS1_3gpuE3ELNS1_3repE0EEENS1_48merge_mergepath_partition_config_static_selectorELNS0_4arch9wavefront6targetE1EEEvSH_.num_vgpr, 0
	.set _ZN7rocprim17ROCPRIM_400000_NS6detail17trampoline_kernelINS0_14default_configENS1_38merge_sort_block_merge_config_selectorIflEEZZNS1_27merge_sort_block_merge_implIS3_PfN6thrust23THRUST_200600_302600_NS10device_ptrIlEEjNS1_19radix_merge_compareILb0ELb0EfNS0_19identity_decomposerEEEEE10hipError_tT0_T1_T2_jT3_P12ihipStream_tbPNSt15iterator_traitsISG_E10value_typeEPNSM_ISH_E10value_typeEPSI_NS1_7vsmem_tEENKUlT_SG_SH_SI_E_clIS7_S7_PlSB_EESF_SV_SG_SH_SI_EUlSV_E_NS1_11comp_targetILNS1_3genE9ELNS1_11target_archE1100ELNS1_3gpuE3ELNS1_3repE0EEENS1_48merge_mergepath_partition_config_static_selectorELNS0_4arch9wavefront6targetE1EEEvSH_.num_agpr, 0
	.set _ZN7rocprim17ROCPRIM_400000_NS6detail17trampoline_kernelINS0_14default_configENS1_38merge_sort_block_merge_config_selectorIflEEZZNS1_27merge_sort_block_merge_implIS3_PfN6thrust23THRUST_200600_302600_NS10device_ptrIlEEjNS1_19radix_merge_compareILb0ELb0EfNS0_19identity_decomposerEEEEE10hipError_tT0_T1_T2_jT3_P12ihipStream_tbPNSt15iterator_traitsISG_E10value_typeEPNSM_ISH_E10value_typeEPSI_NS1_7vsmem_tEENKUlT_SG_SH_SI_E_clIS7_S7_PlSB_EESF_SV_SG_SH_SI_EUlSV_E_NS1_11comp_targetILNS1_3genE9ELNS1_11target_archE1100ELNS1_3gpuE3ELNS1_3repE0EEENS1_48merge_mergepath_partition_config_static_selectorELNS0_4arch9wavefront6targetE1EEEvSH_.numbered_sgpr, 0
	.set _ZN7rocprim17ROCPRIM_400000_NS6detail17trampoline_kernelINS0_14default_configENS1_38merge_sort_block_merge_config_selectorIflEEZZNS1_27merge_sort_block_merge_implIS3_PfN6thrust23THRUST_200600_302600_NS10device_ptrIlEEjNS1_19radix_merge_compareILb0ELb0EfNS0_19identity_decomposerEEEEE10hipError_tT0_T1_T2_jT3_P12ihipStream_tbPNSt15iterator_traitsISG_E10value_typeEPNSM_ISH_E10value_typeEPSI_NS1_7vsmem_tEENKUlT_SG_SH_SI_E_clIS7_S7_PlSB_EESF_SV_SG_SH_SI_EUlSV_E_NS1_11comp_targetILNS1_3genE9ELNS1_11target_archE1100ELNS1_3gpuE3ELNS1_3repE0EEENS1_48merge_mergepath_partition_config_static_selectorELNS0_4arch9wavefront6targetE1EEEvSH_.num_named_barrier, 0
	.set _ZN7rocprim17ROCPRIM_400000_NS6detail17trampoline_kernelINS0_14default_configENS1_38merge_sort_block_merge_config_selectorIflEEZZNS1_27merge_sort_block_merge_implIS3_PfN6thrust23THRUST_200600_302600_NS10device_ptrIlEEjNS1_19radix_merge_compareILb0ELb0EfNS0_19identity_decomposerEEEEE10hipError_tT0_T1_T2_jT3_P12ihipStream_tbPNSt15iterator_traitsISG_E10value_typeEPNSM_ISH_E10value_typeEPSI_NS1_7vsmem_tEENKUlT_SG_SH_SI_E_clIS7_S7_PlSB_EESF_SV_SG_SH_SI_EUlSV_E_NS1_11comp_targetILNS1_3genE9ELNS1_11target_archE1100ELNS1_3gpuE3ELNS1_3repE0EEENS1_48merge_mergepath_partition_config_static_selectorELNS0_4arch9wavefront6targetE1EEEvSH_.private_seg_size, 0
	.set _ZN7rocprim17ROCPRIM_400000_NS6detail17trampoline_kernelINS0_14default_configENS1_38merge_sort_block_merge_config_selectorIflEEZZNS1_27merge_sort_block_merge_implIS3_PfN6thrust23THRUST_200600_302600_NS10device_ptrIlEEjNS1_19radix_merge_compareILb0ELb0EfNS0_19identity_decomposerEEEEE10hipError_tT0_T1_T2_jT3_P12ihipStream_tbPNSt15iterator_traitsISG_E10value_typeEPNSM_ISH_E10value_typeEPSI_NS1_7vsmem_tEENKUlT_SG_SH_SI_E_clIS7_S7_PlSB_EESF_SV_SG_SH_SI_EUlSV_E_NS1_11comp_targetILNS1_3genE9ELNS1_11target_archE1100ELNS1_3gpuE3ELNS1_3repE0EEENS1_48merge_mergepath_partition_config_static_selectorELNS0_4arch9wavefront6targetE1EEEvSH_.uses_vcc, 0
	.set _ZN7rocprim17ROCPRIM_400000_NS6detail17trampoline_kernelINS0_14default_configENS1_38merge_sort_block_merge_config_selectorIflEEZZNS1_27merge_sort_block_merge_implIS3_PfN6thrust23THRUST_200600_302600_NS10device_ptrIlEEjNS1_19radix_merge_compareILb0ELb0EfNS0_19identity_decomposerEEEEE10hipError_tT0_T1_T2_jT3_P12ihipStream_tbPNSt15iterator_traitsISG_E10value_typeEPNSM_ISH_E10value_typeEPSI_NS1_7vsmem_tEENKUlT_SG_SH_SI_E_clIS7_S7_PlSB_EESF_SV_SG_SH_SI_EUlSV_E_NS1_11comp_targetILNS1_3genE9ELNS1_11target_archE1100ELNS1_3gpuE3ELNS1_3repE0EEENS1_48merge_mergepath_partition_config_static_selectorELNS0_4arch9wavefront6targetE1EEEvSH_.uses_flat_scratch, 0
	.set _ZN7rocprim17ROCPRIM_400000_NS6detail17trampoline_kernelINS0_14default_configENS1_38merge_sort_block_merge_config_selectorIflEEZZNS1_27merge_sort_block_merge_implIS3_PfN6thrust23THRUST_200600_302600_NS10device_ptrIlEEjNS1_19radix_merge_compareILb0ELb0EfNS0_19identity_decomposerEEEEE10hipError_tT0_T1_T2_jT3_P12ihipStream_tbPNSt15iterator_traitsISG_E10value_typeEPNSM_ISH_E10value_typeEPSI_NS1_7vsmem_tEENKUlT_SG_SH_SI_E_clIS7_S7_PlSB_EESF_SV_SG_SH_SI_EUlSV_E_NS1_11comp_targetILNS1_3genE9ELNS1_11target_archE1100ELNS1_3gpuE3ELNS1_3repE0EEENS1_48merge_mergepath_partition_config_static_selectorELNS0_4arch9wavefront6targetE1EEEvSH_.has_dyn_sized_stack, 0
	.set _ZN7rocprim17ROCPRIM_400000_NS6detail17trampoline_kernelINS0_14default_configENS1_38merge_sort_block_merge_config_selectorIflEEZZNS1_27merge_sort_block_merge_implIS3_PfN6thrust23THRUST_200600_302600_NS10device_ptrIlEEjNS1_19radix_merge_compareILb0ELb0EfNS0_19identity_decomposerEEEEE10hipError_tT0_T1_T2_jT3_P12ihipStream_tbPNSt15iterator_traitsISG_E10value_typeEPNSM_ISH_E10value_typeEPSI_NS1_7vsmem_tEENKUlT_SG_SH_SI_E_clIS7_S7_PlSB_EESF_SV_SG_SH_SI_EUlSV_E_NS1_11comp_targetILNS1_3genE9ELNS1_11target_archE1100ELNS1_3gpuE3ELNS1_3repE0EEENS1_48merge_mergepath_partition_config_static_selectorELNS0_4arch9wavefront6targetE1EEEvSH_.has_recursion, 0
	.set _ZN7rocprim17ROCPRIM_400000_NS6detail17trampoline_kernelINS0_14default_configENS1_38merge_sort_block_merge_config_selectorIflEEZZNS1_27merge_sort_block_merge_implIS3_PfN6thrust23THRUST_200600_302600_NS10device_ptrIlEEjNS1_19radix_merge_compareILb0ELb0EfNS0_19identity_decomposerEEEEE10hipError_tT0_T1_T2_jT3_P12ihipStream_tbPNSt15iterator_traitsISG_E10value_typeEPNSM_ISH_E10value_typeEPSI_NS1_7vsmem_tEENKUlT_SG_SH_SI_E_clIS7_S7_PlSB_EESF_SV_SG_SH_SI_EUlSV_E_NS1_11comp_targetILNS1_3genE9ELNS1_11target_archE1100ELNS1_3gpuE3ELNS1_3repE0EEENS1_48merge_mergepath_partition_config_static_selectorELNS0_4arch9wavefront6targetE1EEEvSH_.has_indirect_call, 0
	.section	.AMDGPU.csdata,"",@progbits
; Kernel info:
; codeLenInByte = 0
; TotalNumSgprs: 4
; NumVgprs: 0
; ScratchSize: 0
; MemoryBound: 0
; FloatMode: 240
; IeeeMode: 1
; LDSByteSize: 0 bytes/workgroup (compile time only)
; SGPRBlocks: 0
; VGPRBlocks: 0
; NumSGPRsForWavesPerEU: 4
; NumVGPRsForWavesPerEU: 1
; Occupancy: 10
; WaveLimiterHint : 0
; COMPUTE_PGM_RSRC2:SCRATCH_EN: 0
; COMPUTE_PGM_RSRC2:USER_SGPR: 6
; COMPUTE_PGM_RSRC2:TRAP_HANDLER: 0
; COMPUTE_PGM_RSRC2:TGID_X_EN: 1
; COMPUTE_PGM_RSRC2:TGID_Y_EN: 0
; COMPUTE_PGM_RSRC2:TGID_Z_EN: 0
; COMPUTE_PGM_RSRC2:TIDIG_COMP_CNT: 0
	.section	.text._ZN7rocprim17ROCPRIM_400000_NS6detail17trampoline_kernelINS0_14default_configENS1_38merge_sort_block_merge_config_selectorIflEEZZNS1_27merge_sort_block_merge_implIS3_PfN6thrust23THRUST_200600_302600_NS10device_ptrIlEEjNS1_19radix_merge_compareILb0ELb0EfNS0_19identity_decomposerEEEEE10hipError_tT0_T1_T2_jT3_P12ihipStream_tbPNSt15iterator_traitsISG_E10value_typeEPNSM_ISH_E10value_typeEPSI_NS1_7vsmem_tEENKUlT_SG_SH_SI_E_clIS7_S7_PlSB_EESF_SV_SG_SH_SI_EUlSV_E_NS1_11comp_targetILNS1_3genE8ELNS1_11target_archE1030ELNS1_3gpuE2ELNS1_3repE0EEENS1_48merge_mergepath_partition_config_static_selectorELNS0_4arch9wavefront6targetE1EEEvSH_,"axG",@progbits,_ZN7rocprim17ROCPRIM_400000_NS6detail17trampoline_kernelINS0_14default_configENS1_38merge_sort_block_merge_config_selectorIflEEZZNS1_27merge_sort_block_merge_implIS3_PfN6thrust23THRUST_200600_302600_NS10device_ptrIlEEjNS1_19radix_merge_compareILb0ELb0EfNS0_19identity_decomposerEEEEE10hipError_tT0_T1_T2_jT3_P12ihipStream_tbPNSt15iterator_traitsISG_E10value_typeEPNSM_ISH_E10value_typeEPSI_NS1_7vsmem_tEENKUlT_SG_SH_SI_E_clIS7_S7_PlSB_EESF_SV_SG_SH_SI_EUlSV_E_NS1_11comp_targetILNS1_3genE8ELNS1_11target_archE1030ELNS1_3gpuE2ELNS1_3repE0EEENS1_48merge_mergepath_partition_config_static_selectorELNS0_4arch9wavefront6targetE1EEEvSH_,comdat
	.protected	_ZN7rocprim17ROCPRIM_400000_NS6detail17trampoline_kernelINS0_14default_configENS1_38merge_sort_block_merge_config_selectorIflEEZZNS1_27merge_sort_block_merge_implIS3_PfN6thrust23THRUST_200600_302600_NS10device_ptrIlEEjNS1_19radix_merge_compareILb0ELb0EfNS0_19identity_decomposerEEEEE10hipError_tT0_T1_T2_jT3_P12ihipStream_tbPNSt15iterator_traitsISG_E10value_typeEPNSM_ISH_E10value_typeEPSI_NS1_7vsmem_tEENKUlT_SG_SH_SI_E_clIS7_S7_PlSB_EESF_SV_SG_SH_SI_EUlSV_E_NS1_11comp_targetILNS1_3genE8ELNS1_11target_archE1030ELNS1_3gpuE2ELNS1_3repE0EEENS1_48merge_mergepath_partition_config_static_selectorELNS0_4arch9wavefront6targetE1EEEvSH_ ; -- Begin function _ZN7rocprim17ROCPRIM_400000_NS6detail17trampoline_kernelINS0_14default_configENS1_38merge_sort_block_merge_config_selectorIflEEZZNS1_27merge_sort_block_merge_implIS3_PfN6thrust23THRUST_200600_302600_NS10device_ptrIlEEjNS1_19radix_merge_compareILb0ELb0EfNS0_19identity_decomposerEEEEE10hipError_tT0_T1_T2_jT3_P12ihipStream_tbPNSt15iterator_traitsISG_E10value_typeEPNSM_ISH_E10value_typeEPSI_NS1_7vsmem_tEENKUlT_SG_SH_SI_E_clIS7_S7_PlSB_EESF_SV_SG_SH_SI_EUlSV_E_NS1_11comp_targetILNS1_3genE8ELNS1_11target_archE1030ELNS1_3gpuE2ELNS1_3repE0EEENS1_48merge_mergepath_partition_config_static_selectorELNS0_4arch9wavefront6targetE1EEEvSH_
	.globl	_ZN7rocprim17ROCPRIM_400000_NS6detail17trampoline_kernelINS0_14default_configENS1_38merge_sort_block_merge_config_selectorIflEEZZNS1_27merge_sort_block_merge_implIS3_PfN6thrust23THRUST_200600_302600_NS10device_ptrIlEEjNS1_19radix_merge_compareILb0ELb0EfNS0_19identity_decomposerEEEEE10hipError_tT0_T1_T2_jT3_P12ihipStream_tbPNSt15iterator_traitsISG_E10value_typeEPNSM_ISH_E10value_typeEPSI_NS1_7vsmem_tEENKUlT_SG_SH_SI_E_clIS7_S7_PlSB_EESF_SV_SG_SH_SI_EUlSV_E_NS1_11comp_targetILNS1_3genE8ELNS1_11target_archE1030ELNS1_3gpuE2ELNS1_3repE0EEENS1_48merge_mergepath_partition_config_static_selectorELNS0_4arch9wavefront6targetE1EEEvSH_
	.p2align	8
	.type	_ZN7rocprim17ROCPRIM_400000_NS6detail17trampoline_kernelINS0_14default_configENS1_38merge_sort_block_merge_config_selectorIflEEZZNS1_27merge_sort_block_merge_implIS3_PfN6thrust23THRUST_200600_302600_NS10device_ptrIlEEjNS1_19radix_merge_compareILb0ELb0EfNS0_19identity_decomposerEEEEE10hipError_tT0_T1_T2_jT3_P12ihipStream_tbPNSt15iterator_traitsISG_E10value_typeEPNSM_ISH_E10value_typeEPSI_NS1_7vsmem_tEENKUlT_SG_SH_SI_E_clIS7_S7_PlSB_EESF_SV_SG_SH_SI_EUlSV_E_NS1_11comp_targetILNS1_3genE8ELNS1_11target_archE1030ELNS1_3gpuE2ELNS1_3repE0EEENS1_48merge_mergepath_partition_config_static_selectorELNS0_4arch9wavefront6targetE1EEEvSH_,@function
_ZN7rocprim17ROCPRIM_400000_NS6detail17trampoline_kernelINS0_14default_configENS1_38merge_sort_block_merge_config_selectorIflEEZZNS1_27merge_sort_block_merge_implIS3_PfN6thrust23THRUST_200600_302600_NS10device_ptrIlEEjNS1_19radix_merge_compareILb0ELb0EfNS0_19identity_decomposerEEEEE10hipError_tT0_T1_T2_jT3_P12ihipStream_tbPNSt15iterator_traitsISG_E10value_typeEPNSM_ISH_E10value_typeEPSI_NS1_7vsmem_tEENKUlT_SG_SH_SI_E_clIS7_S7_PlSB_EESF_SV_SG_SH_SI_EUlSV_E_NS1_11comp_targetILNS1_3genE8ELNS1_11target_archE1030ELNS1_3gpuE2ELNS1_3repE0EEENS1_48merge_mergepath_partition_config_static_selectorELNS0_4arch9wavefront6targetE1EEEvSH_: ; @_ZN7rocprim17ROCPRIM_400000_NS6detail17trampoline_kernelINS0_14default_configENS1_38merge_sort_block_merge_config_selectorIflEEZZNS1_27merge_sort_block_merge_implIS3_PfN6thrust23THRUST_200600_302600_NS10device_ptrIlEEjNS1_19radix_merge_compareILb0ELb0EfNS0_19identity_decomposerEEEEE10hipError_tT0_T1_T2_jT3_P12ihipStream_tbPNSt15iterator_traitsISG_E10value_typeEPNSM_ISH_E10value_typeEPSI_NS1_7vsmem_tEENKUlT_SG_SH_SI_E_clIS7_S7_PlSB_EESF_SV_SG_SH_SI_EUlSV_E_NS1_11comp_targetILNS1_3genE8ELNS1_11target_archE1030ELNS1_3gpuE2ELNS1_3repE0EEENS1_48merge_mergepath_partition_config_static_selectorELNS0_4arch9wavefront6targetE1EEEvSH_
; %bb.0:
	.section	.rodata,"a",@progbits
	.p2align	6, 0x0
	.amdhsa_kernel _ZN7rocprim17ROCPRIM_400000_NS6detail17trampoline_kernelINS0_14default_configENS1_38merge_sort_block_merge_config_selectorIflEEZZNS1_27merge_sort_block_merge_implIS3_PfN6thrust23THRUST_200600_302600_NS10device_ptrIlEEjNS1_19radix_merge_compareILb0ELb0EfNS0_19identity_decomposerEEEEE10hipError_tT0_T1_T2_jT3_P12ihipStream_tbPNSt15iterator_traitsISG_E10value_typeEPNSM_ISH_E10value_typeEPSI_NS1_7vsmem_tEENKUlT_SG_SH_SI_E_clIS7_S7_PlSB_EESF_SV_SG_SH_SI_EUlSV_E_NS1_11comp_targetILNS1_3genE8ELNS1_11target_archE1030ELNS1_3gpuE2ELNS1_3repE0EEENS1_48merge_mergepath_partition_config_static_selectorELNS0_4arch9wavefront6targetE1EEEvSH_
		.amdhsa_group_segment_fixed_size 0
		.amdhsa_private_segment_fixed_size 0
		.amdhsa_kernarg_size 40
		.amdhsa_user_sgpr_count 6
		.amdhsa_user_sgpr_private_segment_buffer 1
		.amdhsa_user_sgpr_dispatch_ptr 0
		.amdhsa_user_sgpr_queue_ptr 0
		.amdhsa_user_sgpr_kernarg_segment_ptr 1
		.amdhsa_user_sgpr_dispatch_id 0
		.amdhsa_user_sgpr_flat_scratch_init 0
		.amdhsa_user_sgpr_private_segment_size 0
		.amdhsa_uses_dynamic_stack 0
		.amdhsa_system_sgpr_private_segment_wavefront_offset 0
		.amdhsa_system_sgpr_workgroup_id_x 1
		.amdhsa_system_sgpr_workgroup_id_y 0
		.amdhsa_system_sgpr_workgroup_id_z 0
		.amdhsa_system_sgpr_workgroup_info 0
		.amdhsa_system_vgpr_workitem_id 0
		.amdhsa_next_free_vgpr 1
		.amdhsa_next_free_sgpr 0
		.amdhsa_reserve_vcc 0
		.amdhsa_reserve_flat_scratch 0
		.amdhsa_float_round_mode_32 0
		.amdhsa_float_round_mode_16_64 0
		.amdhsa_float_denorm_mode_32 3
		.amdhsa_float_denorm_mode_16_64 3
		.amdhsa_dx10_clamp 1
		.amdhsa_ieee_mode 1
		.amdhsa_fp16_overflow 0
		.amdhsa_exception_fp_ieee_invalid_op 0
		.amdhsa_exception_fp_denorm_src 0
		.amdhsa_exception_fp_ieee_div_zero 0
		.amdhsa_exception_fp_ieee_overflow 0
		.amdhsa_exception_fp_ieee_underflow 0
		.amdhsa_exception_fp_ieee_inexact 0
		.amdhsa_exception_int_div_zero 0
	.end_amdhsa_kernel
	.section	.text._ZN7rocprim17ROCPRIM_400000_NS6detail17trampoline_kernelINS0_14default_configENS1_38merge_sort_block_merge_config_selectorIflEEZZNS1_27merge_sort_block_merge_implIS3_PfN6thrust23THRUST_200600_302600_NS10device_ptrIlEEjNS1_19radix_merge_compareILb0ELb0EfNS0_19identity_decomposerEEEEE10hipError_tT0_T1_T2_jT3_P12ihipStream_tbPNSt15iterator_traitsISG_E10value_typeEPNSM_ISH_E10value_typeEPSI_NS1_7vsmem_tEENKUlT_SG_SH_SI_E_clIS7_S7_PlSB_EESF_SV_SG_SH_SI_EUlSV_E_NS1_11comp_targetILNS1_3genE8ELNS1_11target_archE1030ELNS1_3gpuE2ELNS1_3repE0EEENS1_48merge_mergepath_partition_config_static_selectorELNS0_4arch9wavefront6targetE1EEEvSH_,"axG",@progbits,_ZN7rocprim17ROCPRIM_400000_NS6detail17trampoline_kernelINS0_14default_configENS1_38merge_sort_block_merge_config_selectorIflEEZZNS1_27merge_sort_block_merge_implIS3_PfN6thrust23THRUST_200600_302600_NS10device_ptrIlEEjNS1_19radix_merge_compareILb0ELb0EfNS0_19identity_decomposerEEEEE10hipError_tT0_T1_T2_jT3_P12ihipStream_tbPNSt15iterator_traitsISG_E10value_typeEPNSM_ISH_E10value_typeEPSI_NS1_7vsmem_tEENKUlT_SG_SH_SI_E_clIS7_S7_PlSB_EESF_SV_SG_SH_SI_EUlSV_E_NS1_11comp_targetILNS1_3genE8ELNS1_11target_archE1030ELNS1_3gpuE2ELNS1_3repE0EEENS1_48merge_mergepath_partition_config_static_selectorELNS0_4arch9wavefront6targetE1EEEvSH_,comdat
.Lfunc_end1767:
	.size	_ZN7rocprim17ROCPRIM_400000_NS6detail17trampoline_kernelINS0_14default_configENS1_38merge_sort_block_merge_config_selectorIflEEZZNS1_27merge_sort_block_merge_implIS3_PfN6thrust23THRUST_200600_302600_NS10device_ptrIlEEjNS1_19radix_merge_compareILb0ELb0EfNS0_19identity_decomposerEEEEE10hipError_tT0_T1_T2_jT3_P12ihipStream_tbPNSt15iterator_traitsISG_E10value_typeEPNSM_ISH_E10value_typeEPSI_NS1_7vsmem_tEENKUlT_SG_SH_SI_E_clIS7_S7_PlSB_EESF_SV_SG_SH_SI_EUlSV_E_NS1_11comp_targetILNS1_3genE8ELNS1_11target_archE1030ELNS1_3gpuE2ELNS1_3repE0EEENS1_48merge_mergepath_partition_config_static_selectorELNS0_4arch9wavefront6targetE1EEEvSH_, .Lfunc_end1767-_ZN7rocprim17ROCPRIM_400000_NS6detail17trampoline_kernelINS0_14default_configENS1_38merge_sort_block_merge_config_selectorIflEEZZNS1_27merge_sort_block_merge_implIS3_PfN6thrust23THRUST_200600_302600_NS10device_ptrIlEEjNS1_19radix_merge_compareILb0ELb0EfNS0_19identity_decomposerEEEEE10hipError_tT0_T1_T2_jT3_P12ihipStream_tbPNSt15iterator_traitsISG_E10value_typeEPNSM_ISH_E10value_typeEPSI_NS1_7vsmem_tEENKUlT_SG_SH_SI_E_clIS7_S7_PlSB_EESF_SV_SG_SH_SI_EUlSV_E_NS1_11comp_targetILNS1_3genE8ELNS1_11target_archE1030ELNS1_3gpuE2ELNS1_3repE0EEENS1_48merge_mergepath_partition_config_static_selectorELNS0_4arch9wavefront6targetE1EEEvSH_
                                        ; -- End function
	.set _ZN7rocprim17ROCPRIM_400000_NS6detail17trampoline_kernelINS0_14default_configENS1_38merge_sort_block_merge_config_selectorIflEEZZNS1_27merge_sort_block_merge_implIS3_PfN6thrust23THRUST_200600_302600_NS10device_ptrIlEEjNS1_19radix_merge_compareILb0ELb0EfNS0_19identity_decomposerEEEEE10hipError_tT0_T1_T2_jT3_P12ihipStream_tbPNSt15iterator_traitsISG_E10value_typeEPNSM_ISH_E10value_typeEPSI_NS1_7vsmem_tEENKUlT_SG_SH_SI_E_clIS7_S7_PlSB_EESF_SV_SG_SH_SI_EUlSV_E_NS1_11comp_targetILNS1_3genE8ELNS1_11target_archE1030ELNS1_3gpuE2ELNS1_3repE0EEENS1_48merge_mergepath_partition_config_static_selectorELNS0_4arch9wavefront6targetE1EEEvSH_.num_vgpr, 0
	.set _ZN7rocprim17ROCPRIM_400000_NS6detail17trampoline_kernelINS0_14default_configENS1_38merge_sort_block_merge_config_selectorIflEEZZNS1_27merge_sort_block_merge_implIS3_PfN6thrust23THRUST_200600_302600_NS10device_ptrIlEEjNS1_19radix_merge_compareILb0ELb0EfNS0_19identity_decomposerEEEEE10hipError_tT0_T1_T2_jT3_P12ihipStream_tbPNSt15iterator_traitsISG_E10value_typeEPNSM_ISH_E10value_typeEPSI_NS1_7vsmem_tEENKUlT_SG_SH_SI_E_clIS7_S7_PlSB_EESF_SV_SG_SH_SI_EUlSV_E_NS1_11comp_targetILNS1_3genE8ELNS1_11target_archE1030ELNS1_3gpuE2ELNS1_3repE0EEENS1_48merge_mergepath_partition_config_static_selectorELNS0_4arch9wavefront6targetE1EEEvSH_.num_agpr, 0
	.set _ZN7rocprim17ROCPRIM_400000_NS6detail17trampoline_kernelINS0_14default_configENS1_38merge_sort_block_merge_config_selectorIflEEZZNS1_27merge_sort_block_merge_implIS3_PfN6thrust23THRUST_200600_302600_NS10device_ptrIlEEjNS1_19radix_merge_compareILb0ELb0EfNS0_19identity_decomposerEEEEE10hipError_tT0_T1_T2_jT3_P12ihipStream_tbPNSt15iterator_traitsISG_E10value_typeEPNSM_ISH_E10value_typeEPSI_NS1_7vsmem_tEENKUlT_SG_SH_SI_E_clIS7_S7_PlSB_EESF_SV_SG_SH_SI_EUlSV_E_NS1_11comp_targetILNS1_3genE8ELNS1_11target_archE1030ELNS1_3gpuE2ELNS1_3repE0EEENS1_48merge_mergepath_partition_config_static_selectorELNS0_4arch9wavefront6targetE1EEEvSH_.numbered_sgpr, 0
	.set _ZN7rocprim17ROCPRIM_400000_NS6detail17trampoline_kernelINS0_14default_configENS1_38merge_sort_block_merge_config_selectorIflEEZZNS1_27merge_sort_block_merge_implIS3_PfN6thrust23THRUST_200600_302600_NS10device_ptrIlEEjNS1_19radix_merge_compareILb0ELb0EfNS0_19identity_decomposerEEEEE10hipError_tT0_T1_T2_jT3_P12ihipStream_tbPNSt15iterator_traitsISG_E10value_typeEPNSM_ISH_E10value_typeEPSI_NS1_7vsmem_tEENKUlT_SG_SH_SI_E_clIS7_S7_PlSB_EESF_SV_SG_SH_SI_EUlSV_E_NS1_11comp_targetILNS1_3genE8ELNS1_11target_archE1030ELNS1_3gpuE2ELNS1_3repE0EEENS1_48merge_mergepath_partition_config_static_selectorELNS0_4arch9wavefront6targetE1EEEvSH_.num_named_barrier, 0
	.set _ZN7rocprim17ROCPRIM_400000_NS6detail17trampoline_kernelINS0_14default_configENS1_38merge_sort_block_merge_config_selectorIflEEZZNS1_27merge_sort_block_merge_implIS3_PfN6thrust23THRUST_200600_302600_NS10device_ptrIlEEjNS1_19radix_merge_compareILb0ELb0EfNS0_19identity_decomposerEEEEE10hipError_tT0_T1_T2_jT3_P12ihipStream_tbPNSt15iterator_traitsISG_E10value_typeEPNSM_ISH_E10value_typeEPSI_NS1_7vsmem_tEENKUlT_SG_SH_SI_E_clIS7_S7_PlSB_EESF_SV_SG_SH_SI_EUlSV_E_NS1_11comp_targetILNS1_3genE8ELNS1_11target_archE1030ELNS1_3gpuE2ELNS1_3repE0EEENS1_48merge_mergepath_partition_config_static_selectorELNS0_4arch9wavefront6targetE1EEEvSH_.private_seg_size, 0
	.set _ZN7rocprim17ROCPRIM_400000_NS6detail17trampoline_kernelINS0_14default_configENS1_38merge_sort_block_merge_config_selectorIflEEZZNS1_27merge_sort_block_merge_implIS3_PfN6thrust23THRUST_200600_302600_NS10device_ptrIlEEjNS1_19radix_merge_compareILb0ELb0EfNS0_19identity_decomposerEEEEE10hipError_tT0_T1_T2_jT3_P12ihipStream_tbPNSt15iterator_traitsISG_E10value_typeEPNSM_ISH_E10value_typeEPSI_NS1_7vsmem_tEENKUlT_SG_SH_SI_E_clIS7_S7_PlSB_EESF_SV_SG_SH_SI_EUlSV_E_NS1_11comp_targetILNS1_3genE8ELNS1_11target_archE1030ELNS1_3gpuE2ELNS1_3repE0EEENS1_48merge_mergepath_partition_config_static_selectorELNS0_4arch9wavefront6targetE1EEEvSH_.uses_vcc, 0
	.set _ZN7rocprim17ROCPRIM_400000_NS6detail17trampoline_kernelINS0_14default_configENS1_38merge_sort_block_merge_config_selectorIflEEZZNS1_27merge_sort_block_merge_implIS3_PfN6thrust23THRUST_200600_302600_NS10device_ptrIlEEjNS1_19radix_merge_compareILb0ELb0EfNS0_19identity_decomposerEEEEE10hipError_tT0_T1_T2_jT3_P12ihipStream_tbPNSt15iterator_traitsISG_E10value_typeEPNSM_ISH_E10value_typeEPSI_NS1_7vsmem_tEENKUlT_SG_SH_SI_E_clIS7_S7_PlSB_EESF_SV_SG_SH_SI_EUlSV_E_NS1_11comp_targetILNS1_3genE8ELNS1_11target_archE1030ELNS1_3gpuE2ELNS1_3repE0EEENS1_48merge_mergepath_partition_config_static_selectorELNS0_4arch9wavefront6targetE1EEEvSH_.uses_flat_scratch, 0
	.set _ZN7rocprim17ROCPRIM_400000_NS6detail17trampoline_kernelINS0_14default_configENS1_38merge_sort_block_merge_config_selectorIflEEZZNS1_27merge_sort_block_merge_implIS3_PfN6thrust23THRUST_200600_302600_NS10device_ptrIlEEjNS1_19radix_merge_compareILb0ELb0EfNS0_19identity_decomposerEEEEE10hipError_tT0_T1_T2_jT3_P12ihipStream_tbPNSt15iterator_traitsISG_E10value_typeEPNSM_ISH_E10value_typeEPSI_NS1_7vsmem_tEENKUlT_SG_SH_SI_E_clIS7_S7_PlSB_EESF_SV_SG_SH_SI_EUlSV_E_NS1_11comp_targetILNS1_3genE8ELNS1_11target_archE1030ELNS1_3gpuE2ELNS1_3repE0EEENS1_48merge_mergepath_partition_config_static_selectorELNS0_4arch9wavefront6targetE1EEEvSH_.has_dyn_sized_stack, 0
	.set _ZN7rocprim17ROCPRIM_400000_NS6detail17trampoline_kernelINS0_14default_configENS1_38merge_sort_block_merge_config_selectorIflEEZZNS1_27merge_sort_block_merge_implIS3_PfN6thrust23THRUST_200600_302600_NS10device_ptrIlEEjNS1_19radix_merge_compareILb0ELb0EfNS0_19identity_decomposerEEEEE10hipError_tT0_T1_T2_jT3_P12ihipStream_tbPNSt15iterator_traitsISG_E10value_typeEPNSM_ISH_E10value_typeEPSI_NS1_7vsmem_tEENKUlT_SG_SH_SI_E_clIS7_S7_PlSB_EESF_SV_SG_SH_SI_EUlSV_E_NS1_11comp_targetILNS1_3genE8ELNS1_11target_archE1030ELNS1_3gpuE2ELNS1_3repE0EEENS1_48merge_mergepath_partition_config_static_selectorELNS0_4arch9wavefront6targetE1EEEvSH_.has_recursion, 0
	.set _ZN7rocprim17ROCPRIM_400000_NS6detail17trampoline_kernelINS0_14default_configENS1_38merge_sort_block_merge_config_selectorIflEEZZNS1_27merge_sort_block_merge_implIS3_PfN6thrust23THRUST_200600_302600_NS10device_ptrIlEEjNS1_19radix_merge_compareILb0ELb0EfNS0_19identity_decomposerEEEEE10hipError_tT0_T1_T2_jT3_P12ihipStream_tbPNSt15iterator_traitsISG_E10value_typeEPNSM_ISH_E10value_typeEPSI_NS1_7vsmem_tEENKUlT_SG_SH_SI_E_clIS7_S7_PlSB_EESF_SV_SG_SH_SI_EUlSV_E_NS1_11comp_targetILNS1_3genE8ELNS1_11target_archE1030ELNS1_3gpuE2ELNS1_3repE0EEENS1_48merge_mergepath_partition_config_static_selectorELNS0_4arch9wavefront6targetE1EEEvSH_.has_indirect_call, 0
	.section	.AMDGPU.csdata,"",@progbits
; Kernel info:
; codeLenInByte = 0
; TotalNumSgprs: 4
; NumVgprs: 0
; ScratchSize: 0
; MemoryBound: 0
; FloatMode: 240
; IeeeMode: 1
; LDSByteSize: 0 bytes/workgroup (compile time only)
; SGPRBlocks: 0
; VGPRBlocks: 0
; NumSGPRsForWavesPerEU: 4
; NumVGPRsForWavesPerEU: 1
; Occupancy: 10
; WaveLimiterHint : 0
; COMPUTE_PGM_RSRC2:SCRATCH_EN: 0
; COMPUTE_PGM_RSRC2:USER_SGPR: 6
; COMPUTE_PGM_RSRC2:TRAP_HANDLER: 0
; COMPUTE_PGM_RSRC2:TGID_X_EN: 1
; COMPUTE_PGM_RSRC2:TGID_Y_EN: 0
; COMPUTE_PGM_RSRC2:TGID_Z_EN: 0
; COMPUTE_PGM_RSRC2:TIDIG_COMP_CNT: 0
	.section	.text._ZN7rocprim17ROCPRIM_400000_NS6detail17trampoline_kernelINS0_14default_configENS1_38merge_sort_block_merge_config_selectorIflEEZZNS1_27merge_sort_block_merge_implIS3_PfN6thrust23THRUST_200600_302600_NS10device_ptrIlEEjNS1_19radix_merge_compareILb0ELb0EfNS0_19identity_decomposerEEEEE10hipError_tT0_T1_T2_jT3_P12ihipStream_tbPNSt15iterator_traitsISG_E10value_typeEPNSM_ISH_E10value_typeEPSI_NS1_7vsmem_tEENKUlT_SG_SH_SI_E_clIS7_S7_PlSB_EESF_SV_SG_SH_SI_EUlSV_E0_NS1_11comp_targetILNS1_3genE0ELNS1_11target_archE4294967295ELNS1_3gpuE0ELNS1_3repE0EEENS1_38merge_mergepath_config_static_selectorELNS0_4arch9wavefront6targetE1EEEvSH_,"axG",@progbits,_ZN7rocprim17ROCPRIM_400000_NS6detail17trampoline_kernelINS0_14default_configENS1_38merge_sort_block_merge_config_selectorIflEEZZNS1_27merge_sort_block_merge_implIS3_PfN6thrust23THRUST_200600_302600_NS10device_ptrIlEEjNS1_19radix_merge_compareILb0ELb0EfNS0_19identity_decomposerEEEEE10hipError_tT0_T1_T2_jT3_P12ihipStream_tbPNSt15iterator_traitsISG_E10value_typeEPNSM_ISH_E10value_typeEPSI_NS1_7vsmem_tEENKUlT_SG_SH_SI_E_clIS7_S7_PlSB_EESF_SV_SG_SH_SI_EUlSV_E0_NS1_11comp_targetILNS1_3genE0ELNS1_11target_archE4294967295ELNS1_3gpuE0ELNS1_3repE0EEENS1_38merge_mergepath_config_static_selectorELNS0_4arch9wavefront6targetE1EEEvSH_,comdat
	.protected	_ZN7rocprim17ROCPRIM_400000_NS6detail17trampoline_kernelINS0_14default_configENS1_38merge_sort_block_merge_config_selectorIflEEZZNS1_27merge_sort_block_merge_implIS3_PfN6thrust23THRUST_200600_302600_NS10device_ptrIlEEjNS1_19radix_merge_compareILb0ELb0EfNS0_19identity_decomposerEEEEE10hipError_tT0_T1_T2_jT3_P12ihipStream_tbPNSt15iterator_traitsISG_E10value_typeEPNSM_ISH_E10value_typeEPSI_NS1_7vsmem_tEENKUlT_SG_SH_SI_E_clIS7_S7_PlSB_EESF_SV_SG_SH_SI_EUlSV_E0_NS1_11comp_targetILNS1_3genE0ELNS1_11target_archE4294967295ELNS1_3gpuE0ELNS1_3repE0EEENS1_38merge_mergepath_config_static_selectorELNS0_4arch9wavefront6targetE1EEEvSH_ ; -- Begin function _ZN7rocprim17ROCPRIM_400000_NS6detail17trampoline_kernelINS0_14default_configENS1_38merge_sort_block_merge_config_selectorIflEEZZNS1_27merge_sort_block_merge_implIS3_PfN6thrust23THRUST_200600_302600_NS10device_ptrIlEEjNS1_19radix_merge_compareILb0ELb0EfNS0_19identity_decomposerEEEEE10hipError_tT0_T1_T2_jT3_P12ihipStream_tbPNSt15iterator_traitsISG_E10value_typeEPNSM_ISH_E10value_typeEPSI_NS1_7vsmem_tEENKUlT_SG_SH_SI_E_clIS7_S7_PlSB_EESF_SV_SG_SH_SI_EUlSV_E0_NS1_11comp_targetILNS1_3genE0ELNS1_11target_archE4294967295ELNS1_3gpuE0ELNS1_3repE0EEENS1_38merge_mergepath_config_static_selectorELNS0_4arch9wavefront6targetE1EEEvSH_
	.globl	_ZN7rocprim17ROCPRIM_400000_NS6detail17trampoline_kernelINS0_14default_configENS1_38merge_sort_block_merge_config_selectorIflEEZZNS1_27merge_sort_block_merge_implIS3_PfN6thrust23THRUST_200600_302600_NS10device_ptrIlEEjNS1_19radix_merge_compareILb0ELb0EfNS0_19identity_decomposerEEEEE10hipError_tT0_T1_T2_jT3_P12ihipStream_tbPNSt15iterator_traitsISG_E10value_typeEPNSM_ISH_E10value_typeEPSI_NS1_7vsmem_tEENKUlT_SG_SH_SI_E_clIS7_S7_PlSB_EESF_SV_SG_SH_SI_EUlSV_E0_NS1_11comp_targetILNS1_3genE0ELNS1_11target_archE4294967295ELNS1_3gpuE0ELNS1_3repE0EEENS1_38merge_mergepath_config_static_selectorELNS0_4arch9wavefront6targetE1EEEvSH_
	.p2align	8
	.type	_ZN7rocprim17ROCPRIM_400000_NS6detail17trampoline_kernelINS0_14default_configENS1_38merge_sort_block_merge_config_selectorIflEEZZNS1_27merge_sort_block_merge_implIS3_PfN6thrust23THRUST_200600_302600_NS10device_ptrIlEEjNS1_19radix_merge_compareILb0ELb0EfNS0_19identity_decomposerEEEEE10hipError_tT0_T1_T2_jT3_P12ihipStream_tbPNSt15iterator_traitsISG_E10value_typeEPNSM_ISH_E10value_typeEPSI_NS1_7vsmem_tEENKUlT_SG_SH_SI_E_clIS7_S7_PlSB_EESF_SV_SG_SH_SI_EUlSV_E0_NS1_11comp_targetILNS1_3genE0ELNS1_11target_archE4294967295ELNS1_3gpuE0ELNS1_3repE0EEENS1_38merge_mergepath_config_static_selectorELNS0_4arch9wavefront6targetE1EEEvSH_,@function
_ZN7rocprim17ROCPRIM_400000_NS6detail17trampoline_kernelINS0_14default_configENS1_38merge_sort_block_merge_config_selectorIflEEZZNS1_27merge_sort_block_merge_implIS3_PfN6thrust23THRUST_200600_302600_NS10device_ptrIlEEjNS1_19radix_merge_compareILb0ELb0EfNS0_19identity_decomposerEEEEE10hipError_tT0_T1_T2_jT3_P12ihipStream_tbPNSt15iterator_traitsISG_E10value_typeEPNSM_ISH_E10value_typeEPSI_NS1_7vsmem_tEENKUlT_SG_SH_SI_E_clIS7_S7_PlSB_EESF_SV_SG_SH_SI_EUlSV_E0_NS1_11comp_targetILNS1_3genE0ELNS1_11target_archE4294967295ELNS1_3gpuE0ELNS1_3repE0EEENS1_38merge_mergepath_config_static_selectorELNS0_4arch9wavefront6targetE1EEEvSH_: ; @_ZN7rocprim17ROCPRIM_400000_NS6detail17trampoline_kernelINS0_14default_configENS1_38merge_sort_block_merge_config_selectorIflEEZZNS1_27merge_sort_block_merge_implIS3_PfN6thrust23THRUST_200600_302600_NS10device_ptrIlEEjNS1_19radix_merge_compareILb0ELb0EfNS0_19identity_decomposerEEEEE10hipError_tT0_T1_T2_jT3_P12ihipStream_tbPNSt15iterator_traitsISG_E10value_typeEPNSM_ISH_E10value_typeEPSI_NS1_7vsmem_tEENKUlT_SG_SH_SI_E_clIS7_S7_PlSB_EESF_SV_SG_SH_SI_EUlSV_E0_NS1_11comp_targetILNS1_3genE0ELNS1_11target_archE4294967295ELNS1_3gpuE0ELNS1_3repE0EEENS1_38merge_mergepath_config_static_selectorELNS0_4arch9wavefront6targetE1EEEvSH_
; %bb.0:
	.section	.rodata,"a",@progbits
	.p2align	6, 0x0
	.amdhsa_kernel _ZN7rocprim17ROCPRIM_400000_NS6detail17trampoline_kernelINS0_14default_configENS1_38merge_sort_block_merge_config_selectorIflEEZZNS1_27merge_sort_block_merge_implIS3_PfN6thrust23THRUST_200600_302600_NS10device_ptrIlEEjNS1_19radix_merge_compareILb0ELb0EfNS0_19identity_decomposerEEEEE10hipError_tT0_T1_T2_jT3_P12ihipStream_tbPNSt15iterator_traitsISG_E10value_typeEPNSM_ISH_E10value_typeEPSI_NS1_7vsmem_tEENKUlT_SG_SH_SI_E_clIS7_S7_PlSB_EESF_SV_SG_SH_SI_EUlSV_E0_NS1_11comp_targetILNS1_3genE0ELNS1_11target_archE4294967295ELNS1_3gpuE0ELNS1_3repE0EEENS1_38merge_mergepath_config_static_selectorELNS0_4arch9wavefront6targetE1EEEvSH_
		.amdhsa_group_segment_fixed_size 0
		.amdhsa_private_segment_fixed_size 0
		.amdhsa_kernarg_size 64
		.amdhsa_user_sgpr_count 6
		.amdhsa_user_sgpr_private_segment_buffer 1
		.amdhsa_user_sgpr_dispatch_ptr 0
		.amdhsa_user_sgpr_queue_ptr 0
		.amdhsa_user_sgpr_kernarg_segment_ptr 1
		.amdhsa_user_sgpr_dispatch_id 0
		.amdhsa_user_sgpr_flat_scratch_init 0
		.amdhsa_user_sgpr_private_segment_size 0
		.amdhsa_uses_dynamic_stack 0
		.amdhsa_system_sgpr_private_segment_wavefront_offset 0
		.amdhsa_system_sgpr_workgroup_id_x 1
		.amdhsa_system_sgpr_workgroup_id_y 0
		.amdhsa_system_sgpr_workgroup_id_z 0
		.amdhsa_system_sgpr_workgroup_info 0
		.amdhsa_system_vgpr_workitem_id 0
		.amdhsa_next_free_vgpr 1
		.amdhsa_next_free_sgpr 0
		.amdhsa_reserve_vcc 0
		.amdhsa_reserve_flat_scratch 0
		.amdhsa_float_round_mode_32 0
		.amdhsa_float_round_mode_16_64 0
		.amdhsa_float_denorm_mode_32 3
		.amdhsa_float_denorm_mode_16_64 3
		.amdhsa_dx10_clamp 1
		.amdhsa_ieee_mode 1
		.amdhsa_fp16_overflow 0
		.amdhsa_exception_fp_ieee_invalid_op 0
		.amdhsa_exception_fp_denorm_src 0
		.amdhsa_exception_fp_ieee_div_zero 0
		.amdhsa_exception_fp_ieee_overflow 0
		.amdhsa_exception_fp_ieee_underflow 0
		.amdhsa_exception_fp_ieee_inexact 0
		.amdhsa_exception_int_div_zero 0
	.end_amdhsa_kernel
	.section	.text._ZN7rocprim17ROCPRIM_400000_NS6detail17trampoline_kernelINS0_14default_configENS1_38merge_sort_block_merge_config_selectorIflEEZZNS1_27merge_sort_block_merge_implIS3_PfN6thrust23THRUST_200600_302600_NS10device_ptrIlEEjNS1_19radix_merge_compareILb0ELb0EfNS0_19identity_decomposerEEEEE10hipError_tT0_T1_T2_jT3_P12ihipStream_tbPNSt15iterator_traitsISG_E10value_typeEPNSM_ISH_E10value_typeEPSI_NS1_7vsmem_tEENKUlT_SG_SH_SI_E_clIS7_S7_PlSB_EESF_SV_SG_SH_SI_EUlSV_E0_NS1_11comp_targetILNS1_3genE0ELNS1_11target_archE4294967295ELNS1_3gpuE0ELNS1_3repE0EEENS1_38merge_mergepath_config_static_selectorELNS0_4arch9wavefront6targetE1EEEvSH_,"axG",@progbits,_ZN7rocprim17ROCPRIM_400000_NS6detail17trampoline_kernelINS0_14default_configENS1_38merge_sort_block_merge_config_selectorIflEEZZNS1_27merge_sort_block_merge_implIS3_PfN6thrust23THRUST_200600_302600_NS10device_ptrIlEEjNS1_19radix_merge_compareILb0ELb0EfNS0_19identity_decomposerEEEEE10hipError_tT0_T1_T2_jT3_P12ihipStream_tbPNSt15iterator_traitsISG_E10value_typeEPNSM_ISH_E10value_typeEPSI_NS1_7vsmem_tEENKUlT_SG_SH_SI_E_clIS7_S7_PlSB_EESF_SV_SG_SH_SI_EUlSV_E0_NS1_11comp_targetILNS1_3genE0ELNS1_11target_archE4294967295ELNS1_3gpuE0ELNS1_3repE0EEENS1_38merge_mergepath_config_static_selectorELNS0_4arch9wavefront6targetE1EEEvSH_,comdat
.Lfunc_end1768:
	.size	_ZN7rocprim17ROCPRIM_400000_NS6detail17trampoline_kernelINS0_14default_configENS1_38merge_sort_block_merge_config_selectorIflEEZZNS1_27merge_sort_block_merge_implIS3_PfN6thrust23THRUST_200600_302600_NS10device_ptrIlEEjNS1_19radix_merge_compareILb0ELb0EfNS0_19identity_decomposerEEEEE10hipError_tT0_T1_T2_jT3_P12ihipStream_tbPNSt15iterator_traitsISG_E10value_typeEPNSM_ISH_E10value_typeEPSI_NS1_7vsmem_tEENKUlT_SG_SH_SI_E_clIS7_S7_PlSB_EESF_SV_SG_SH_SI_EUlSV_E0_NS1_11comp_targetILNS1_3genE0ELNS1_11target_archE4294967295ELNS1_3gpuE0ELNS1_3repE0EEENS1_38merge_mergepath_config_static_selectorELNS0_4arch9wavefront6targetE1EEEvSH_, .Lfunc_end1768-_ZN7rocprim17ROCPRIM_400000_NS6detail17trampoline_kernelINS0_14default_configENS1_38merge_sort_block_merge_config_selectorIflEEZZNS1_27merge_sort_block_merge_implIS3_PfN6thrust23THRUST_200600_302600_NS10device_ptrIlEEjNS1_19radix_merge_compareILb0ELb0EfNS0_19identity_decomposerEEEEE10hipError_tT0_T1_T2_jT3_P12ihipStream_tbPNSt15iterator_traitsISG_E10value_typeEPNSM_ISH_E10value_typeEPSI_NS1_7vsmem_tEENKUlT_SG_SH_SI_E_clIS7_S7_PlSB_EESF_SV_SG_SH_SI_EUlSV_E0_NS1_11comp_targetILNS1_3genE0ELNS1_11target_archE4294967295ELNS1_3gpuE0ELNS1_3repE0EEENS1_38merge_mergepath_config_static_selectorELNS0_4arch9wavefront6targetE1EEEvSH_
                                        ; -- End function
	.set _ZN7rocprim17ROCPRIM_400000_NS6detail17trampoline_kernelINS0_14default_configENS1_38merge_sort_block_merge_config_selectorIflEEZZNS1_27merge_sort_block_merge_implIS3_PfN6thrust23THRUST_200600_302600_NS10device_ptrIlEEjNS1_19radix_merge_compareILb0ELb0EfNS0_19identity_decomposerEEEEE10hipError_tT0_T1_T2_jT3_P12ihipStream_tbPNSt15iterator_traitsISG_E10value_typeEPNSM_ISH_E10value_typeEPSI_NS1_7vsmem_tEENKUlT_SG_SH_SI_E_clIS7_S7_PlSB_EESF_SV_SG_SH_SI_EUlSV_E0_NS1_11comp_targetILNS1_3genE0ELNS1_11target_archE4294967295ELNS1_3gpuE0ELNS1_3repE0EEENS1_38merge_mergepath_config_static_selectorELNS0_4arch9wavefront6targetE1EEEvSH_.num_vgpr, 0
	.set _ZN7rocprim17ROCPRIM_400000_NS6detail17trampoline_kernelINS0_14default_configENS1_38merge_sort_block_merge_config_selectorIflEEZZNS1_27merge_sort_block_merge_implIS3_PfN6thrust23THRUST_200600_302600_NS10device_ptrIlEEjNS1_19radix_merge_compareILb0ELb0EfNS0_19identity_decomposerEEEEE10hipError_tT0_T1_T2_jT3_P12ihipStream_tbPNSt15iterator_traitsISG_E10value_typeEPNSM_ISH_E10value_typeEPSI_NS1_7vsmem_tEENKUlT_SG_SH_SI_E_clIS7_S7_PlSB_EESF_SV_SG_SH_SI_EUlSV_E0_NS1_11comp_targetILNS1_3genE0ELNS1_11target_archE4294967295ELNS1_3gpuE0ELNS1_3repE0EEENS1_38merge_mergepath_config_static_selectorELNS0_4arch9wavefront6targetE1EEEvSH_.num_agpr, 0
	.set _ZN7rocprim17ROCPRIM_400000_NS6detail17trampoline_kernelINS0_14default_configENS1_38merge_sort_block_merge_config_selectorIflEEZZNS1_27merge_sort_block_merge_implIS3_PfN6thrust23THRUST_200600_302600_NS10device_ptrIlEEjNS1_19radix_merge_compareILb0ELb0EfNS0_19identity_decomposerEEEEE10hipError_tT0_T1_T2_jT3_P12ihipStream_tbPNSt15iterator_traitsISG_E10value_typeEPNSM_ISH_E10value_typeEPSI_NS1_7vsmem_tEENKUlT_SG_SH_SI_E_clIS7_S7_PlSB_EESF_SV_SG_SH_SI_EUlSV_E0_NS1_11comp_targetILNS1_3genE0ELNS1_11target_archE4294967295ELNS1_3gpuE0ELNS1_3repE0EEENS1_38merge_mergepath_config_static_selectorELNS0_4arch9wavefront6targetE1EEEvSH_.numbered_sgpr, 0
	.set _ZN7rocprim17ROCPRIM_400000_NS6detail17trampoline_kernelINS0_14default_configENS1_38merge_sort_block_merge_config_selectorIflEEZZNS1_27merge_sort_block_merge_implIS3_PfN6thrust23THRUST_200600_302600_NS10device_ptrIlEEjNS1_19radix_merge_compareILb0ELb0EfNS0_19identity_decomposerEEEEE10hipError_tT0_T1_T2_jT3_P12ihipStream_tbPNSt15iterator_traitsISG_E10value_typeEPNSM_ISH_E10value_typeEPSI_NS1_7vsmem_tEENKUlT_SG_SH_SI_E_clIS7_S7_PlSB_EESF_SV_SG_SH_SI_EUlSV_E0_NS1_11comp_targetILNS1_3genE0ELNS1_11target_archE4294967295ELNS1_3gpuE0ELNS1_3repE0EEENS1_38merge_mergepath_config_static_selectorELNS0_4arch9wavefront6targetE1EEEvSH_.num_named_barrier, 0
	.set _ZN7rocprim17ROCPRIM_400000_NS6detail17trampoline_kernelINS0_14default_configENS1_38merge_sort_block_merge_config_selectorIflEEZZNS1_27merge_sort_block_merge_implIS3_PfN6thrust23THRUST_200600_302600_NS10device_ptrIlEEjNS1_19radix_merge_compareILb0ELb0EfNS0_19identity_decomposerEEEEE10hipError_tT0_T1_T2_jT3_P12ihipStream_tbPNSt15iterator_traitsISG_E10value_typeEPNSM_ISH_E10value_typeEPSI_NS1_7vsmem_tEENKUlT_SG_SH_SI_E_clIS7_S7_PlSB_EESF_SV_SG_SH_SI_EUlSV_E0_NS1_11comp_targetILNS1_3genE0ELNS1_11target_archE4294967295ELNS1_3gpuE0ELNS1_3repE0EEENS1_38merge_mergepath_config_static_selectorELNS0_4arch9wavefront6targetE1EEEvSH_.private_seg_size, 0
	.set _ZN7rocprim17ROCPRIM_400000_NS6detail17trampoline_kernelINS0_14default_configENS1_38merge_sort_block_merge_config_selectorIflEEZZNS1_27merge_sort_block_merge_implIS3_PfN6thrust23THRUST_200600_302600_NS10device_ptrIlEEjNS1_19radix_merge_compareILb0ELb0EfNS0_19identity_decomposerEEEEE10hipError_tT0_T1_T2_jT3_P12ihipStream_tbPNSt15iterator_traitsISG_E10value_typeEPNSM_ISH_E10value_typeEPSI_NS1_7vsmem_tEENKUlT_SG_SH_SI_E_clIS7_S7_PlSB_EESF_SV_SG_SH_SI_EUlSV_E0_NS1_11comp_targetILNS1_3genE0ELNS1_11target_archE4294967295ELNS1_3gpuE0ELNS1_3repE0EEENS1_38merge_mergepath_config_static_selectorELNS0_4arch9wavefront6targetE1EEEvSH_.uses_vcc, 0
	.set _ZN7rocprim17ROCPRIM_400000_NS6detail17trampoline_kernelINS0_14default_configENS1_38merge_sort_block_merge_config_selectorIflEEZZNS1_27merge_sort_block_merge_implIS3_PfN6thrust23THRUST_200600_302600_NS10device_ptrIlEEjNS1_19radix_merge_compareILb0ELb0EfNS0_19identity_decomposerEEEEE10hipError_tT0_T1_T2_jT3_P12ihipStream_tbPNSt15iterator_traitsISG_E10value_typeEPNSM_ISH_E10value_typeEPSI_NS1_7vsmem_tEENKUlT_SG_SH_SI_E_clIS7_S7_PlSB_EESF_SV_SG_SH_SI_EUlSV_E0_NS1_11comp_targetILNS1_3genE0ELNS1_11target_archE4294967295ELNS1_3gpuE0ELNS1_3repE0EEENS1_38merge_mergepath_config_static_selectorELNS0_4arch9wavefront6targetE1EEEvSH_.uses_flat_scratch, 0
	.set _ZN7rocprim17ROCPRIM_400000_NS6detail17trampoline_kernelINS0_14default_configENS1_38merge_sort_block_merge_config_selectorIflEEZZNS1_27merge_sort_block_merge_implIS3_PfN6thrust23THRUST_200600_302600_NS10device_ptrIlEEjNS1_19radix_merge_compareILb0ELb0EfNS0_19identity_decomposerEEEEE10hipError_tT0_T1_T2_jT3_P12ihipStream_tbPNSt15iterator_traitsISG_E10value_typeEPNSM_ISH_E10value_typeEPSI_NS1_7vsmem_tEENKUlT_SG_SH_SI_E_clIS7_S7_PlSB_EESF_SV_SG_SH_SI_EUlSV_E0_NS1_11comp_targetILNS1_3genE0ELNS1_11target_archE4294967295ELNS1_3gpuE0ELNS1_3repE0EEENS1_38merge_mergepath_config_static_selectorELNS0_4arch9wavefront6targetE1EEEvSH_.has_dyn_sized_stack, 0
	.set _ZN7rocprim17ROCPRIM_400000_NS6detail17trampoline_kernelINS0_14default_configENS1_38merge_sort_block_merge_config_selectorIflEEZZNS1_27merge_sort_block_merge_implIS3_PfN6thrust23THRUST_200600_302600_NS10device_ptrIlEEjNS1_19radix_merge_compareILb0ELb0EfNS0_19identity_decomposerEEEEE10hipError_tT0_T1_T2_jT3_P12ihipStream_tbPNSt15iterator_traitsISG_E10value_typeEPNSM_ISH_E10value_typeEPSI_NS1_7vsmem_tEENKUlT_SG_SH_SI_E_clIS7_S7_PlSB_EESF_SV_SG_SH_SI_EUlSV_E0_NS1_11comp_targetILNS1_3genE0ELNS1_11target_archE4294967295ELNS1_3gpuE0ELNS1_3repE0EEENS1_38merge_mergepath_config_static_selectorELNS0_4arch9wavefront6targetE1EEEvSH_.has_recursion, 0
	.set _ZN7rocprim17ROCPRIM_400000_NS6detail17trampoline_kernelINS0_14default_configENS1_38merge_sort_block_merge_config_selectorIflEEZZNS1_27merge_sort_block_merge_implIS3_PfN6thrust23THRUST_200600_302600_NS10device_ptrIlEEjNS1_19radix_merge_compareILb0ELb0EfNS0_19identity_decomposerEEEEE10hipError_tT0_T1_T2_jT3_P12ihipStream_tbPNSt15iterator_traitsISG_E10value_typeEPNSM_ISH_E10value_typeEPSI_NS1_7vsmem_tEENKUlT_SG_SH_SI_E_clIS7_S7_PlSB_EESF_SV_SG_SH_SI_EUlSV_E0_NS1_11comp_targetILNS1_3genE0ELNS1_11target_archE4294967295ELNS1_3gpuE0ELNS1_3repE0EEENS1_38merge_mergepath_config_static_selectorELNS0_4arch9wavefront6targetE1EEEvSH_.has_indirect_call, 0
	.section	.AMDGPU.csdata,"",@progbits
; Kernel info:
; codeLenInByte = 0
; TotalNumSgprs: 4
; NumVgprs: 0
; ScratchSize: 0
; MemoryBound: 0
; FloatMode: 240
; IeeeMode: 1
; LDSByteSize: 0 bytes/workgroup (compile time only)
; SGPRBlocks: 0
; VGPRBlocks: 0
; NumSGPRsForWavesPerEU: 4
; NumVGPRsForWavesPerEU: 1
; Occupancy: 10
; WaveLimiterHint : 0
; COMPUTE_PGM_RSRC2:SCRATCH_EN: 0
; COMPUTE_PGM_RSRC2:USER_SGPR: 6
; COMPUTE_PGM_RSRC2:TRAP_HANDLER: 0
; COMPUTE_PGM_RSRC2:TGID_X_EN: 1
; COMPUTE_PGM_RSRC2:TGID_Y_EN: 0
; COMPUTE_PGM_RSRC2:TGID_Z_EN: 0
; COMPUTE_PGM_RSRC2:TIDIG_COMP_CNT: 0
	.section	.text._ZN7rocprim17ROCPRIM_400000_NS6detail17trampoline_kernelINS0_14default_configENS1_38merge_sort_block_merge_config_selectorIflEEZZNS1_27merge_sort_block_merge_implIS3_PfN6thrust23THRUST_200600_302600_NS10device_ptrIlEEjNS1_19radix_merge_compareILb0ELb0EfNS0_19identity_decomposerEEEEE10hipError_tT0_T1_T2_jT3_P12ihipStream_tbPNSt15iterator_traitsISG_E10value_typeEPNSM_ISH_E10value_typeEPSI_NS1_7vsmem_tEENKUlT_SG_SH_SI_E_clIS7_S7_PlSB_EESF_SV_SG_SH_SI_EUlSV_E0_NS1_11comp_targetILNS1_3genE10ELNS1_11target_archE1201ELNS1_3gpuE5ELNS1_3repE0EEENS1_38merge_mergepath_config_static_selectorELNS0_4arch9wavefront6targetE1EEEvSH_,"axG",@progbits,_ZN7rocprim17ROCPRIM_400000_NS6detail17trampoline_kernelINS0_14default_configENS1_38merge_sort_block_merge_config_selectorIflEEZZNS1_27merge_sort_block_merge_implIS3_PfN6thrust23THRUST_200600_302600_NS10device_ptrIlEEjNS1_19radix_merge_compareILb0ELb0EfNS0_19identity_decomposerEEEEE10hipError_tT0_T1_T2_jT3_P12ihipStream_tbPNSt15iterator_traitsISG_E10value_typeEPNSM_ISH_E10value_typeEPSI_NS1_7vsmem_tEENKUlT_SG_SH_SI_E_clIS7_S7_PlSB_EESF_SV_SG_SH_SI_EUlSV_E0_NS1_11comp_targetILNS1_3genE10ELNS1_11target_archE1201ELNS1_3gpuE5ELNS1_3repE0EEENS1_38merge_mergepath_config_static_selectorELNS0_4arch9wavefront6targetE1EEEvSH_,comdat
	.protected	_ZN7rocprim17ROCPRIM_400000_NS6detail17trampoline_kernelINS0_14default_configENS1_38merge_sort_block_merge_config_selectorIflEEZZNS1_27merge_sort_block_merge_implIS3_PfN6thrust23THRUST_200600_302600_NS10device_ptrIlEEjNS1_19radix_merge_compareILb0ELb0EfNS0_19identity_decomposerEEEEE10hipError_tT0_T1_T2_jT3_P12ihipStream_tbPNSt15iterator_traitsISG_E10value_typeEPNSM_ISH_E10value_typeEPSI_NS1_7vsmem_tEENKUlT_SG_SH_SI_E_clIS7_S7_PlSB_EESF_SV_SG_SH_SI_EUlSV_E0_NS1_11comp_targetILNS1_3genE10ELNS1_11target_archE1201ELNS1_3gpuE5ELNS1_3repE0EEENS1_38merge_mergepath_config_static_selectorELNS0_4arch9wavefront6targetE1EEEvSH_ ; -- Begin function _ZN7rocprim17ROCPRIM_400000_NS6detail17trampoline_kernelINS0_14default_configENS1_38merge_sort_block_merge_config_selectorIflEEZZNS1_27merge_sort_block_merge_implIS3_PfN6thrust23THRUST_200600_302600_NS10device_ptrIlEEjNS1_19radix_merge_compareILb0ELb0EfNS0_19identity_decomposerEEEEE10hipError_tT0_T1_T2_jT3_P12ihipStream_tbPNSt15iterator_traitsISG_E10value_typeEPNSM_ISH_E10value_typeEPSI_NS1_7vsmem_tEENKUlT_SG_SH_SI_E_clIS7_S7_PlSB_EESF_SV_SG_SH_SI_EUlSV_E0_NS1_11comp_targetILNS1_3genE10ELNS1_11target_archE1201ELNS1_3gpuE5ELNS1_3repE0EEENS1_38merge_mergepath_config_static_selectorELNS0_4arch9wavefront6targetE1EEEvSH_
	.globl	_ZN7rocprim17ROCPRIM_400000_NS6detail17trampoline_kernelINS0_14default_configENS1_38merge_sort_block_merge_config_selectorIflEEZZNS1_27merge_sort_block_merge_implIS3_PfN6thrust23THRUST_200600_302600_NS10device_ptrIlEEjNS1_19radix_merge_compareILb0ELb0EfNS0_19identity_decomposerEEEEE10hipError_tT0_T1_T2_jT3_P12ihipStream_tbPNSt15iterator_traitsISG_E10value_typeEPNSM_ISH_E10value_typeEPSI_NS1_7vsmem_tEENKUlT_SG_SH_SI_E_clIS7_S7_PlSB_EESF_SV_SG_SH_SI_EUlSV_E0_NS1_11comp_targetILNS1_3genE10ELNS1_11target_archE1201ELNS1_3gpuE5ELNS1_3repE0EEENS1_38merge_mergepath_config_static_selectorELNS0_4arch9wavefront6targetE1EEEvSH_
	.p2align	8
	.type	_ZN7rocprim17ROCPRIM_400000_NS6detail17trampoline_kernelINS0_14default_configENS1_38merge_sort_block_merge_config_selectorIflEEZZNS1_27merge_sort_block_merge_implIS3_PfN6thrust23THRUST_200600_302600_NS10device_ptrIlEEjNS1_19radix_merge_compareILb0ELb0EfNS0_19identity_decomposerEEEEE10hipError_tT0_T1_T2_jT3_P12ihipStream_tbPNSt15iterator_traitsISG_E10value_typeEPNSM_ISH_E10value_typeEPSI_NS1_7vsmem_tEENKUlT_SG_SH_SI_E_clIS7_S7_PlSB_EESF_SV_SG_SH_SI_EUlSV_E0_NS1_11comp_targetILNS1_3genE10ELNS1_11target_archE1201ELNS1_3gpuE5ELNS1_3repE0EEENS1_38merge_mergepath_config_static_selectorELNS0_4arch9wavefront6targetE1EEEvSH_,@function
_ZN7rocprim17ROCPRIM_400000_NS6detail17trampoline_kernelINS0_14default_configENS1_38merge_sort_block_merge_config_selectorIflEEZZNS1_27merge_sort_block_merge_implIS3_PfN6thrust23THRUST_200600_302600_NS10device_ptrIlEEjNS1_19radix_merge_compareILb0ELb0EfNS0_19identity_decomposerEEEEE10hipError_tT0_T1_T2_jT3_P12ihipStream_tbPNSt15iterator_traitsISG_E10value_typeEPNSM_ISH_E10value_typeEPSI_NS1_7vsmem_tEENKUlT_SG_SH_SI_E_clIS7_S7_PlSB_EESF_SV_SG_SH_SI_EUlSV_E0_NS1_11comp_targetILNS1_3genE10ELNS1_11target_archE1201ELNS1_3gpuE5ELNS1_3repE0EEENS1_38merge_mergepath_config_static_selectorELNS0_4arch9wavefront6targetE1EEEvSH_: ; @_ZN7rocprim17ROCPRIM_400000_NS6detail17trampoline_kernelINS0_14default_configENS1_38merge_sort_block_merge_config_selectorIflEEZZNS1_27merge_sort_block_merge_implIS3_PfN6thrust23THRUST_200600_302600_NS10device_ptrIlEEjNS1_19radix_merge_compareILb0ELb0EfNS0_19identity_decomposerEEEEE10hipError_tT0_T1_T2_jT3_P12ihipStream_tbPNSt15iterator_traitsISG_E10value_typeEPNSM_ISH_E10value_typeEPSI_NS1_7vsmem_tEENKUlT_SG_SH_SI_E_clIS7_S7_PlSB_EESF_SV_SG_SH_SI_EUlSV_E0_NS1_11comp_targetILNS1_3genE10ELNS1_11target_archE1201ELNS1_3gpuE5ELNS1_3repE0EEENS1_38merge_mergepath_config_static_selectorELNS0_4arch9wavefront6targetE1EEEvSH_
; %bb.0:
	.section	.rodata,"a",@progbits
	.p2align	6, 0x0
	.amdhsa_kernel _ZN7rocprim17ROCPRIM_400000_NS6detail17trampoline_kernelINS0_14default_configENS1_38merge_sort_block_merge_config_selectorIflEEZZNS1_27merge_sort_block_merge_implIS3_PfN6thrust23THRUST_200600_302600_NS10device_ptrIlEEjNS1_19radix_merge_compareILb0ELb0EfNS0_19identity_decomposerEEEEE10hipError_tT0_T1_T2_jT3_P12ihipStream_tbPNSt15iterator_traitsISG_E10value_typeEPNSM_ISH_E10value_typeEPSI_NS1_7vsmem_tEENKUlT_SG_SH_SI_E_clIS7_S7_PlSB_EESF_SV_SG_SH_SI_EUlSV_E0_NS1_11comp_targetILNS1_3genE10ELNS1_11target_archE1201ELNS1_3gpuE5ELNS1_3repE0EEENS1_38merge_mergepath_config_static_selectorELNS0_4arch9wavefront6targetE1EEEvSH_
		.amdhsa_group_segment_fixed_size 0
		.amdhsa_private_segment_fixed_size 0
		.amdhsa_kernarg_size 64
		.amdhsa_user_sgpr_count 6
		.amdhsa_user_sgpr_private_segment_buffer 1
		.amdhsa_user_sgpr_dispatch_ptr 0
		.amdhsa_user_sgpr_queue_ptr 0
		.amdhsa_user_sgpr_kernarg_segment_ptr 1
		.amdhsa_user_sgpr_dispatch_id 0
		.amdhsa_user_sgpr_flat_scratch_init 0
		.amdhsa_user_sgpr_private_segment_size 0
		.amdhsa_uses_dynamic_stack 0
		.amdhsa_system_sgpr_private_segment_wavefront_offset 0
		.amdhsa_system_sgpr_workgroup_id_x 1
		.amdhsa_system_sgpr_workgroup_id_y 0
		.amdhsa_system_sgpr_workgroup_id_z 0
		.amdhsa_system_sgpr_workgroup_info 0
		.amdhsa_system_vgpr_workitem_id 0
		.amdhsa_next_free_vgpr 1
		.amdhsa_next_free_sgpr 0
		.amdhsa_reserve_vcc 0
		.amdhsa_reserve_flat_scratch 0
		.amdhsa_float_round_mode_32 0
		.amdhsa_float_round_mode_16_64 0
		.amdhsa_float_denorm_mode_32 3
		.amdhsa_float_denorm_mode_16_64 3
		.amdhsa_dx10_clamp 1
		.amdhsa_ieee_mode 1
		.amdhsa_fp16_overflow 0
		.amdhsa_exception_fp_ieee_invalid_op 0
		.amdhsa_exception_fp_denorm_src 0
		.amdhsa_exception_fp_ieee_div_zero 0
		.amdhsa_exception_fp_ieee_overflow 0
		.amdhsa_exception_fp_ieee_underflow 0
		.amdhsa_exception_fp_ieee_inexact 0
		.amdhsa_exception_int_div_zero 0
	.end_amdhsa_kernel
	.section	.text._ZN7rocprim17ROCPRIM_400000_NS6detail17trampoline_kernelINS0_14default_configENS1_38merge_sort_block_merge_config_selectorIflEEZZNS1_27merge_sort_block_merge_implIS3_PfN6thrust23THRUST_200600_302600_NS10device_ptrIlEEjNS1_19radix_merge_compareILb0ELb0EfNS0_19identity_decomposerEEEEE10hipError_tT0_T1_T2_jT3_P12ihipStream_tbPNSt15iterator_traitsISG_E10value_typeEPNSM_ISH_E10value_typeEPSI_NS1_7vsmem_tEENKUlT_SG_SH_SI_E_clIS7_S7_PlSB_EESF_SV_SG_SH_SI_EUlSV_E0_NS1_11comp_targetILNS1_3genE10ELNS1_11target_archE1201ELNS1_3gpuE5ELNS1_3repE0EEENS1_38merge_mergepath_config_static_selectorELNS0_4arch9wavefront6targetE1EEEvSH_,"axG",@progbits,_ZN7rocprim17ROCPRIM_400000_NS6detail17trampoline_kernelINS0_14default_configENS1_38merge_sort_block_merge_config_selectorIflEEZZNS1_27merge_sort_block_merge_implIS3_PfN6thrust23THRUST_200600_302600_NS10device_ptrIlEEjNS1_19radix_merge_compareILb0ELb0EfNS0_19identity_decomposerEEEEE10hipError_tT0_T1_T2_jT3_P12ihipStream_tbPNSt15iterator_traitsISG_E10value_typeEPNSM_ISH_E10value_typeEPSI_NS1_7vsmem_tEENKUlT_SG_SH_SI_E_clIS7_S7_PlSB_EESF_SV_SG_SH_SI_EUlSV_E0_NS1_11comp_targetILNS1_3genE10ELNS1_11target_archE1201ELNS1_3gpuE5ELNS1_3repE0EEENS1_38merge_mergepath_config_static_selectorELNS0_4arch9wavefront6targetE1EEEvSH_,comdat
.Lfunc_end1769:
	.size	_ZN7rocprim17ROCPRIM_400000_NS6detail17trampoline_kernelINS0_14default_configENS1_38merge_sort_block_merge_config_selectorIflEEZZNS1_27merge_sort_block_merge_implIS3_PfN6thrust23THRUST_200600_302600_NS10device_ptrIlEEjNS1_19radix_merge_compareILb0ELb0EfNS0_19identity_decomposerEEEEE10hipError_tT0_T1_T2_jT3_P12ihipStream_tbPNSt15iterator_traitsISG_E10value_typeEPNSM_ISH_E10value_typeEPSI_NS1_7vsmem_tEENKUlT_SG_SH_SI_E_clIS7_S7_PlSB_EESF_SV_SG_SH_SI_EUlSV_E0_NS1_11comp_targetILNS1_3genE10ELNS1_11target_archE1201ELNS1_3gpuE5ELNS1_3repE0EEENS1_38merge_mergepath_config_static_selectorELNS0_4arch9wavefront6targetE1EEEvSH_, .Lfunc_end1769-_ZN7rocprim17ROCPRIM_400000_NS6detail17trampoline_kernelINS0_14default_configENS1_38merge_sort_block_merge_config_selectorIflEEZZNS1_27merge_sort_block_merge_implIS3_PfN6thrust23THRUST_200600_302600_NS10device_ptrIlEEjNS1_19radix_merge_compareILb0ELb0EfNS0_19identity_decomposerEEEEE10hipError_tT0_T1_T2_jT3_P12ihipStream_tbPNSt15iterator_traitsISG_E10value_typeEPNSM_ISH_E10value_typeEPSI_NS1_7vsmem_tEENKUlT_SG_SH_SI_E_clIS7_S7_PlSB_EESF_SV_SG_SH_SI_EUlSV_E0_NS1_11comp_targetILNS1_3genE10ELNS1_11target_archE1201ELNS1_3gpuE5ELNS1_3repE0EEENS1_38merge_mergepath_config_static_selectorELNS0_4arch9wavefront6targetE1EEEvSH_
                                        ; -- End function
	.set _ZN7rocprim17ROCPRIM_400000_NS6detail17trampoline_kernelINS0_14default_configENS1_38merge_sort_block_merge_config_selectorIflEEZZNS1_27merge_sort_block_merge_implIS3_PfN6thrust23THRUST_200600_302600_NS10device_ptrIlEEjNS1_19radix_merge_compareILb0ELb0EfNS0_19identity_decomposerEEEEE10hipError_tT0_T1_T2_jT3_P12ihipStream_tbPNSt15iterator_traitsISG_E10value_typeEPNSM_ISH_E10value_typeEPSI_NS1_7vsmem_tEENKUlT_SG_SH_SI_E_clIS7_S7_PlSB_EESF_SV_SG_SH_SI_EUlSV_E0_NS1_11comp_targetILNS1_3genE10ELNS1_11target_archE1201ELNS1_3gpuE5ELNS1_3repE0EEENS1_38merge_mergepath_config_static_selectorELNS0_4arch9wavefront6targetE1EEEvSH_.num_vgpr, 0
	.set _ZN7rocprim17ROCPRIM_400000_NS6detail17trampoline_kernelINS0_14default_configENS1_38merge_sort_block_merge_config_selectorIflEEZZNS1_27merge_sort_block_merge_implIS3_PfN6thrust23THRUST_200600_302600_NS10device_ptrIlEEjNS1_19radix_merge_compareILb0ELb0EfNS0_19identity_decomposerEEEEE10hipError_tT0_T1_T2_jT3_P12ihipStream_tbPNSt15iterator_traitsISG_E10value_typeEPNSM_ISH_E10value_typeEPSI_NS1_7vsmem_tEENKUlT_SG_SH_SI_E_clIS7_S7_PlSB_EESF_SV_SG_SH_SI_EUlSV_E0_NS1_11comp_targetILNS1_3genE10ELNS1_11target_archE1201ELNS1_3gpuE5ELNS1_3repE0EEENS1_38merge_mergepath_config_static_selectorELNS0_4arch9wavefront6targetE1EEEvSH_.num_agpr, 0
	.set _ZN7rocprim17ROCPRIM_400000_NS6detail17trampoline_kernelINS0_14default_configENS1_38merge_sort_block_merge_config_selectorIflEEZZNS1_27merge_sort_block_merge_implIS3_PfN6thrust23THRUST_200600_302600_NS10device_ptrIlEEjNS1_19radix_merge_compareILb0ELb0EfNS0_19identity_decomposerEEEEE10hipError_tT0_T1_T2_jT3_P12ihipStream_tbPNSt15iterator_traitsISG_E10value_typeEPNSM_ISH_E10value_typeEPSI_NS1_7vsmem_tEENKUlT_SG_SH_SI_E_clIS7_S7_PlSB_EESF_SV_SG_SH_SI_EUlSV_E0_NS1_11comp_targetILNS1_3genE10ELNS1_11target_archE1201ELNS1_3gpuE5ELNS1_3repE0EEENS1_38merge_mergepath_config_static_selectorELNS0_4arch9wavefront6targetE1EEEvSH_.numbered_sgpr, 0
	.set _ZN7rocprim17ROCPRIM_400000_NS6detail17trampoline_kernelINS0_14default_configENS1_38merge_sort_block_merge_config_selectorIflEEZZNS1_27merge_sort_block_merge_implIS3_PfN6thrust23THRUST_200600_302600_NS10device_ptrIlEEjNS1_19radix_merge_compareILb0ELb0EfNS0_19identity_decomposerEEEEE10hipError_tT0_T1_T2_jT3_P12ihipStream_tbPNSt15iterator_traitsISG_E10value_typeEPNSM_ISH_E10value_typeEPSI_NS1_7vsmem_tEENKUlT_SG_SH_SI_E_clIS7_S7_PlSB_EESF_SV_SG_SH_SI_EUlSV_E0_NS1_11comp_targetILNS1_3genE10ELNS1_11target_archE1201ELNS1_3gpuE5ELNS1_3repE0EEENS1_38merge_mergepath_config_static_selectorELNS0_4arch9wavefront6targetE1EEEvSH_.num_named_barrier, 0
	.set _ZN7rocprim17ROCPRIM_400000_NS6detail17trampoline_kernelINS0_14default_configENS1_38merge_sort_block_merge_config_selectorIflEEZZNS1_27merge_sort_block_merge_implIS3_PfN6thrust23THRUST_200600_302600_NS10device_ptrIlEEjNS1_19radix_merge_compareILb0ELb0EfNS0_19identity_decomposerEEEEE10hipError_tT0_T1_T2_jT3_P12ihipStream_tbPNSt15iterator_traitsISG_E10value_typeEPNSM_ISH_E10value_typeEPSI_NS1_7vsmem_tEENKUlT_SG_SH_SI_E_clIS7_S7_PlSB_EESF_SV_SG_SH_SI_EUlSV_E0_NS1_11comp_targetILNS1_3genE10ELNS1_11target_archE1201ELNS1_3gpuE5ELNS1_3repE0EEENS1_38merge_mergepath_config_static_selectorELNS0_4arch9wavefront6targetE1EEEvSH_.private_seg_size, 0
	.set _ZN7rocprim17ROCPRIM_400000_NS6detail17trampoline_kernelINS0_14default_configENS1_38merge_sort_block_merge_config_selectorIflEEZZNS1_27merge_sort_block_merge_implIS3_PfN6thrust23THRUST_200600_302600_NS10device_ptrIlEEjNS1_19radix_merge_compareILb0ELb0EfNS0_19identity_decomposerEEEEE10hipError_tT0_T1_T2_jT3_P12ihipStream_tbPNSt15iterator_traitsISG_E10value_typeEPNSM_ISH_E10value_typeEPSI_NS1_7vsmem_tEENKUlT_SG_SH_SI_E_clIS7_S7_PlSB_EESF_SV_SG_SH_SI_EUlSV_E0_NS1_11comp_targetILNS1_3genE10ELNS1_11target_archE1201ELNS1_3gpuE5ELNS1_3repE0EEENS1_38merge_mergepath_config_static_selectorELNS0_4arch9wavefront6targetE1EEEvSH_.uses_vcc, 0
	.set _ZN7rocprim17ROCPRIM_400000_NS6detail17trampoline_kernelINS0_14default_configENS1_38merge_sort_block_merge_config_selectorIflEEZZNS1_27merge_sort_block_merge_implIS3_PfN6thrust23THRUST_200600_302600_NS10device_ptrIlEEjNS1_19radix_merge_compareILb0ELb0EfNS0_19identity_decomposerEEEEE10hipError_tT0_T1_T2_jT3_P12ihipStream_tbPNSt15iterator_traitsISG_E10value_typeEPNSM_ISH_E10value_typeEPSI_NS1_7vsmem_tEENKUlT_SG_SH_SI_E_clIS7_S7_PlSB_EESF_SV_SG_SH_SI_EUlSV_E0_NS1_11comp_targetILNS1_3genE10ELNS1_11target_archE1201ELNS1_3gpuE5ELNS1_3repE0EEENS1_38merge_mergepath_config_static_selectorELNS0_4arch9wavefront6targetE1EEEvSH_.uses_flat_scratch, 0
	.set _ZN7rocprim17ROCPRIM_400000_NS6detail17trampoline_kernelINS0_14default_configENS1_38merge_sort_block_merge_config_selectorIflEEZZNS1_27merge_sort_block_merge_implIS3_PfN6thrust23THRUST_200600_302600_NS10device_ptrIlEEjNS1_19radix_merge_compareILb0ELb0EfNS0_19identity_decomposerEEEEE10hipError_tT0_T1_T2_jT3_P12ihipStream_tbPNSt15iterator_traitsISG_E10value_typeEPNSM_ISH_E10value_typeEPSI_NS1_7vsmem_tEENKUlT_SG_SH_SI_E_clIS7_S7_PlSB_EESF_SV_SG_SH_SI_EUlSV_E0_NS1_11comp_targetILNS1_3genE10ELNS1_11target_archE1201ELNS1_3gpuE5ELNS1_3repE0EEENS1_38merge_mergepath_config_static_selectorELNS0_4arch9wavefront6targetE1EEEvSH_.has_dyn_sized_stack, 0
	.set _ZN7rocprim17ROCPRIM_400000_NS6detail17trampoline_kernelINS0_14default_configENS1_38merge_sort_block_merge_config_selectorIflEEZZNS1_27merge_sort_block_merge_implIS3_PfN6thrust23THRUST_200600_302600_NS10device_ptrIlEEjNS1_19radix_merge_compareILb0ELb0EfNS0_19identity_decomposerEEEEE10hipError_tT0_T1_T2_jT3_P12ihipStream_tbPNSt15iterator_traitsISG_E10value_typeEPNSM_ISH_E10value_typeEPSI_NS1_7vsmem_tEENKUlT_SG_SH_SI_E_clIS7_S7_PlSB_EESF_SV_SG_SH_SI_EUlSV_E0_NS1_11comp_targetILNS1_3genE10ELNS1_11target_archE1201ELNS1_3gpuE5ELNS1_3repE0EEENS1_38merge_mergepath_config_static_selectorELNS0_4arch9wavefront6targetE1EEEvSH_.has_recursion, 0
	.set _ZN7rocprim17ROCPRIM_400000_NS6detail17trampoline_kernelINS0_14default_configENS1_38merge_sort_block_merge_config_selectorIflEEZZNS1_27merge_sort_block_merge_implIS3_PfN6thrust23THRUST_200600_302600_NS10device_ptrIlEEjNS1_19radix_merge_compareILb0ELb0EfNS0_19identity_decomposerEEEEE10hipError_tT0_T1_T2_jT3_P12ihipStream_tbPNSt15iterator_traitsISG_E10value_typeEPNSM_ISH_E10value_typeEPSI_NS1_7vsmem_tEENKUlT_SG_SH_SI_E_clIS7_S7_PlSB_EESF_SV_SG_SH_SI_EUlSV_E0_NS1_11comp_targetILNS1_3genE10ELNS1_11target_archE1201ELNS1_3gpuE5ELNS1_3repE0EEENS1_38merge_mergepath_config_static_selectorELNS0_4arch9wavefront6targetE1EEEvSH_.has_indirect_call, 0
	.section	.AMDGPU.csdata,"",@progbits
; Kernel info:
; codeLenInByte = 0
; TotalNumSgprs: 4
; NumVgprs: 0
; ScratchSize: 0
; MemoryBound: 0
; FloatMode: 240
; IeeeMode: 1
; LDSByteSize: 0 bytes/workgroup (compile time only)
; SGPRBlocks: 0
; VGPRBlocks: 0
; NumSGPRsForWavesPerEU: 4
; NumVGPRsForWavesPerEU: 1
; Occupancy: 10
; WaveLimiterHint : 0
; COMPUTE_PGM_RSRC2:SCRATCH_EN: 0
; COMPUTE_PGM_RSRC2:USER_SGPR: 6
; COMPUTE_PGM_RSRC2:TRAP_HANDLER: 0
; COMPUTE_PGM_RSRC2:TGID_X_EN: 1
; COMPUTE_PGM_RSRC2:TGID_Y_EN: 0
; COMPUTE_PGM_RSRC2:TGID_Z_EN: 0
; COMPUTE_PGM_RSRC2:TIDIG_COMP_CNT: 0
	.section	.text._ZN7rocprim17ROCPRIM_400000_NS6detail17trampoline_kernelINS0_14default_configENS1_38merge_sort_block_merge_config_selectorIflEEZZNS1_27merge_sort_block_merge_implIS3_PfN6thrust23THRUST_200600_302600_NS10device_ptrIlEEjNS1_19radix_merge_compareILb0ELb0EfNS0_19identity_decomposerEEEEE10hipError_tT0_T1_T2_jT3_P12ihipStream_tbPNSt15iterator_traitsISG_E10value_typeEPNSM_ISH_E10value_typeEPSI_NS1_7vsmem_tEENKUlT_SG_SH_SI_E_clIS7_S7_PlSB_EESF_SV_SG_SH_SI_EUlSV_E0_NS1_11comp_targetILNS1_3genE5ELNS1_11target_archE942ELNS1_3gpuE9ELNS1_3repE0EEENS1_38merge_mergepath_config_static_selectorELNS0_4arch9wavefront6targetE1EEEvSH_,"axG",@progbits,_ZN7rocprim17ROCPRIM_400000_NS6detail17trampoline_kernelINS0_14default_configENS1_38merge_sort_block_merge_config_selectorIflEEZZNS1_27merge_sort_block_merge_implIS3_PfN6thrust23THRUST_200600_302600_NS10device_ptrIlEEjNS1_19radix_merge_compareILb0ELb0EfNS0_19identity_decomposerEEEEE10hipError_tT0_T1_T2_jT3_P12ihipStream_tbPNSt15iterator_traitsISG_E10value_typeEPNSM_ISH_E10value_typeEPSI_NS1_7vsmem_tEENKUlT_SG_SH_SI_E_clIS7_S7_PlSB_EESF_SV_SG_SH_SI_EUlSV_E0_NS1_11comp_targetILNS1_3genE5ELNS1_11target_archE942ELNS1_3gpuE9ELNS1_3repE0EEENS1_38merge_mergepath_config_static_selectorELNS0_4arch9wavefront6targetE1EEEvSH_,comdat
	.protected	_ZN7rocprim17ROCPRIM_400000_NS6detail17trampoline_kernelINS0_14default_configENS1_38merge_sort_block_merge_config_selectorIflEEZZNS1_27merge_sort_block_merge_implIS3_PfN6thrust23THRUST_200600_302600_NS10device_ptrIlEEjNS1_19radix_merge_compareILb0ELb0EfNS0_19identity_decomposerEEEEE10hipError_tT0_T1_T2_jT3_P12ihipStream_tbPNSt15iterator_traitsISG_E10value_typeEPNSM_ISH_E10value_typeEPSI_NS1_7vsmem_tEENKUlT_SG_SH_SI_E_clIS7_S7_PlSB_EESF_SV_SG_SH_SI_EUlSV_E0_NS1_11comp_targetILNS1_3genE5ELNS1_11target_archE942ELNS1_3gpuE9ELNS1_3repE0EEENS1_38merge_mergepath_config_static_selectorELNS0_4arch9wavefront6targetE1EEEvSH_ ; -- Begin function _ZN7rocprim17ROCPRIM_400000_NS6detail17trampoline_kernelINS0_14default_configENS1_38merge_sort_block_merge_config_selectorIflEEZZNS1_27merge_sort_block_merge_implIS3_PfN6thrust23THRUST_200600_302600_NS10device_ptrIlEEjNS1_19radix_merge_compareILb0ELb0EfNS0_19identity_decomposerEEEEE10hipError_tT0_T1_T2_jT3_P12ihipStream_tbPNSt15iterator_traitsISG_E10value_typeEPNSM_ISH_E10value_typeEPSI_NS1_7vsmem_tEENKUlT_SG_SH_SI_E_clIS7_S7_PlSB_EESF_SV_SG_SH_SI_EUlSV_E0_NS1_11comp_targetILNS1_3genE5ELNS1_11target_archE942ELNS1_3gpuE9ELNS1_3repE0EEENS1_38merge_mergepath_config_static_selectorELNS0_4arch9wavefront6targetE1EEEvSH_
	.globl	_ZN7rocprim17ROCPRIM_400000_NS6detail17trampoline_kernelINS0_14default_configENS1_38merge_sort_block_merge_config_selectorIflEEZZNS1_27merge_sort_block_merge_implIS3_PfN6thrust23THRUST_200600_302600_NS10device_ptrIlEEjNS1_19radix_merge_compareILb0ELb0EfNS0_19identity_decomposerEEEEE10hipError_tT0_T1_T2_jT3_P12ihipStream_tbPNSt15iterator_traitsISG_E10value_typeEPNSM_ISH_E10value_typeEPSI_NS1_7vsmem_tEENKUlT_SG_SH_SI_E_clIS7_S7_PlSB_EESF_SV_SG_SH_SI_EUlSV_E0_NS1_11comp_targetILNS1_3genE5ELNS1_11target_archE942ELNS1_3gpuE9ELNS1_3repE0EEENS1_38merge_mergepath_config_static_selectorELNS0_4arch9wavefront6targetE1EEEvSH_
	.p2align	8
	.type	_ZN7rocprim17ROCPRIM_400000_NS6detail17trampoline_kernelINS0_14default_configENS1_38merge_sort_block_merge_config_selectorIflEEZZNS1_27merge_sort_block_merge_implIS3_PfN6thrust23THRUST_200600_302600_NS10device_ptrIlEEjNS1_19radix_merge_compareILb0ELb0EfNS0_19identity_decomposerEEEEE10hipError_tT0_T1_T2_jT3_P12ihipStream_tbPNSt15iterator_traitsISG_E10value_typeEPNSM_ISH_E10value_typeEPSI_NS1_7vsmem_tEENKUlT_SG_SH_SI_E_clIS7_S7_PlSB_EESF_SV_SG_SH_SI_EUlSV_E0_NS1_11comp_targetILNS1_3genE5ELNS1_11target_archE942ELNS1_3gpuE9ELNS1_3repE0EEENS1_38merge_mergepath_config_static_selectorELNS0_4arch9wavefront6targetE1EEEvSH_,@function
_ZN7rocprim17ROCPRIM_400000_NS6detail17trampoline_kernelINS0_14default_configENS1_38merge_sort_block_merge_config_selectorIflEEZZNS1_27merge_sort_block_merge_implIS3_PfN6thrust23THRUST_200600_302600_NS10device_ptrIlEEjNS1_19radix_merge_compareILb0ELb0EfNS0_19identity_decomposerEEEEE10hipError_tT0_T1_T2_jT3_P12ihipStream_tbPNSt15iterator_traitsISG_E10value_typeEPNSM_ISH_E10value_typeEPSI_NS1_7vsmem_tEENKUlT_SG_SH_SI_E_clIS7_S7_PlSB_EESF_SV_SG_SH_SI_EUlSV_E0_NS1_11comp_targetILNS1_3genE5ELNS1_11target_archE942ELNS1_3gpuE9ELNS1_3repE0EEENS1_38merge_mergepath_config_static_selectorELNS0_4arch9wavefront6targetE1EEEvSH_: ; @_ZN7rocprim17ROCPRIM_400000_NS6detail17trampoline_kernelINS0_14default_configENS1_38merge_sort_block_merge_config_selectorIflEEZZNS1_27merge_sort_block_merge_implIS3_PfN6thrust23THRUST_200600_302600_NS10device_ptrIlEEjNS1_19radix_merge_compareILb0ELb0EfNS0_19identity_decomposerEEEEE10hipError_tT0_T1_T2_jT3_P12ihipStream_tbPNSt15iterator_traitsISG_E10value_typeEPNSM_ISH_E10value_typeEPSI_NS1_7vsmem_tEENKUlT_SG_SH_SI_E_clIS7_S7_PlSB_EESF_SV_SG_SH_SI_EUlSV_E0_NS1_11comp_targetILNS1_3genE5ELNS1_11target_archE942ELNS1_3gpuE9ELNS1_3repE0EEENS1_38merge_mergepath_config_static_selectorELNS0_4arch9wavefront6targetE1EEEvSH_
; %bb.0:
	.section	.rodata,"a",@progbits
	.p2align	6, 0x0
	.amdhsa_kernel _ZN7rocprim17ROCPRIM_400000_NS6detail17trampoline_kernelINS0_14default_configENS1_38merge_sort_block_merge_config_selectorIflEEZZNS1_27merge_sort_block_merge_implIS3_PfN6thrust23THRUST_200600_302600_NS10device_ptrIlEEjNS1_19radix_merge_compareILb0ELb0EfNS0_19identity_decomposerEEEEE10hipError_tT0_T1_T2_jT3_P12ihipStream_tbPNSt15iterator_traitsISG_E10value_typeEPNSM_ISH_E10value_typeEPSI_NS1_7vsmem_tEENKUlT_SG_SH_SI_E_clIS7_S7_PlSB_EESF_SV_SG_SH_SI_EUlSV_E0_NS1_11comp_targetILNS1_3genE5ELNS1_11target_archE942ELNS1_3gpuE9ELNS1_3repE0EEENS1_38merge_mergepath_config_static_selectorELNS0_4arch9wavefront6targetE1EEEvSH_
		.amdhsa_group_segment_fixed_size 0
		.amdhsa_private_segment_fixed_size 0
		.amdhsa_kernarg_size 64
		.amdhsa_user_sgpr_count 6
		.amdhsa_user_sgpr_private_segment_buffer 1
		.amdhsa_user_sgpr_dispatch_ptr 0
		.amdhsa_user_sgpr_queue_ptr 0
		.amdhsa_user_sgpr_kernarg_segment_ptr 1
		.amdhsa_user_sgpr_dispatch_id 0
		.amdhsa_user_sgpr_flat_scratch_init 0
		.amdhsa_user_sgpr_private_segment_size 0
		.amdhsa_uses_dynamic_stack 0
		.amdhsa_system_sgpr_private_segment_wavefront_offset 0
		.amdhsa_system_sgpr_workgroup_id_x 1
		.amdhsa_system_sgpr_workgroup_id_y 0
		.amdhsa_system_sgpr_workgroup_id_z 0
		.amdhsa_system_sgpr_workgroup_info 0
		.amdhsa_system_vgpr_workitem_id 0
		.amdhsa_next_free_vgpr 1
		.amdhsa_next_free_sgpr 0
		.amdhsa_reserve_vcc 0
		.amdhsa_reserve_flat_scratch 0
		.amdhsa_float_round_mode_32 0
		.amdhsa_float_round_mode_16_64 0
		.amdhsa_float_denorm_mode_32 3
		.amdhsa_float_denorm_mode_16_64 3
		.amdhsa_dx10_clamp 1
		.amdhsa_ieee_mode 1
		.amdhsa_fp16_overflow 0
		.amdhsa_exception_fp_ieee_invalid_op 0
		.amdhsa_exception_fp_denorm_src 0
		.amdhsa_exception_fp_ieee_div_zero 0
		.amdhsa_exception_fp_ieee_overflow 0
		.amdhsa_exception_fp_ieee_underflow 0
		.amdhsa_exception_fp_ieee_inexact 0
		.amdhsa_exception_int_div_zero 0
	.end_amdhsa_kernel
	.section	.text._ZN7rocprim17ROCPRIM_400000_NS6detail17trampoline_kernelINS0_14default_configENS1_38merge_sort_block_merge_config_selectorIflEEZZNS1_27merge_sort_block_merge_implIS3_PfN6thrust23THRUST_200600_302600_NS10device_ptrIlEEjNS1_19radix_merge_compareILb0ELb0EfNS0_19identity_decomposerEEEEE10hipError_tT0_T1_T2_jT3_P12ihipStream_tbPNSt15iterator_traitsISG_E10value_typeEPNSM_ISH_E10value_typeEPSI_NS1_7vsmem_tEENKUlT_SG_SH_SI_E_clIS7_S7_PlSB_EESF_SV_SG_SH_SI_EUlSV_E0_NS1_11comp_targetILNS1_3genE5ELNS1_11target_archE942ELNS1_3gpuE9ELNS1_3repE0EEENS1_38merge_mergepath_config_static_selectorELNS0_4arch9wavefront6targetE1EEEvSH_,"axG",@progbits,_ZN7rocprim17ROCPRIM_400000_NS6detail17trampoline_kernelINS0_14default_configENS1_38merge_sort_block_merge_config_selectorIflEEZZNS1_27merge_sort_block_merge_implIS3_PfN6thrust23THRUST_200600_302600_NS10device_ptrIlEEjNS1_19radix_merge_compareILb0ELb0EfNS0_19identity_decomposerEEEEE10hipError_tT0_T1_T2_jT3_P12ihipStream_tbPNSt15iterator_traitsISG_E10value_typeEPNSM_ISH_E10value_typeEPSI_NS1_7vsmem_tEENKUlT_SG_SH_SI_E_clIS7_S7_PlSB_EESF_SV_SG_SH_SI_EUlSV_E0_NS1_11comp_targetILNS1_3genE5ELNS1_11target_archE942ELNS1_3gpuE9ELNS1_3repE0EEENS1_38merge_mergepath_config_static_selectorELNS0_4arch9wavefront6targetE1EEEvSH_,comdat
.Lfunc_end1770:
	.size	_ZN7rocprim17ROCPRIM_400000_NS6detail17trampoline_kernelINS0_14default_configENS1_38merge_sort_block_merge_config_selectorIflEEZZNS1_27merge_sort_block_merge_implIS3_PfN6thrust23THRUST_200600_302600_NS10device_ptrIlEEjNS1_19radix_merge_compareILb0ELb0EfNS0_19identity_decomposerEEEEE10hipError_tT0_T1_T2_jT3_P12ihipStream_tbPNSt15iterator_traitsISG_E10value_typeEPNSM_ISH_E10value_typeEPSI_NS1_7vsmem_tEENKUlT_SG_SH_SI_E_clIS7_S7_PlSB_EESF_SV_SG_SH_SI_EUlSV_E0_NS1_11comp_targetILNS1_3genE5ELNS1_11target_archE942ELNS1_3gpuE9ELNS1_3repE0EEENS1_38merge_mergepath_config_static_selectorELNS0_4arch9wavefront6targetE1EEEvSH_, .Lfunc_end1770-_ZN7rocprim17ROCPRIM_400000_NS6detail17trampoline_kernelINS0_14default_configENS1_38merge_sort_block_merge_config_selectorIflEEZZNS1_27merge_sort_block_merge_implIS3_PfN6thrust23THRUST_200600_302600_NS10device_ptrIlEEjNS1_19radix_merge_compareILb0ELb0EfNS0_19identity_decomposerEEEEE10hipError_tT0_T1_T2_jT3_P12ihipStream_tbPNSt15iterator_traitsISG_E10value_typeEPNSM_ISH_E10value_typeEPSI_NS1_7vsmem_tEENKUlT_SG_SH_SI_E_clIS7_S7_PlSB_EESF_SV_SG_SH_SI_EUlSV_E0_NS1_11comp_targetILNS1_3genE5ELNS1_11target_archE942ELNS1_3gpuE9ELNS1_3repE0EEENS1_38merge_mergepath_config_static_selectorELNS0_4arch9wavefront6targetE1EEEvSH_
                                        ; -- End function
	.set _ZN7rocprim17ROCPRIM_400000_NS6detail17trampoline_kernelINS0_14default_configENS1_38merge_sort_block_merge_config_selectorIflEEZZNS1_27merge_sort_block_merge_implIS3_PfN6thrust23THRUST_200600_302600_NS10device_ptrIlEEjNS1_19radix_merge_compareILb0ELb0EfNS0_19identity_decomposerEEEEE10hipError_tT0_T1_T2_jT3_P12ihipStream_tbPNSt15iterator_traitsISG_E10value_typeEPNSM_ISH_E10value_typeEPSI_NS1_7vsmem_tEENKUlT_SG_SH_SI_E_clIS7_S7_PlSB_EESF_SV_SG_SH_SI_EUlSV_E0_NS1_11comp_targetILNS1_3genE5ELNS1_11target_archE942ELNS1_3gpuE9ELNS1_3repE0EEENS1_38merge_mergepath_config_static_selectorELNS0_4arch9wavefront6targetE1EEEvSH_.num_vgpr, 0
	.set _ZN7rocprim17ROCPRIM_400000_NS6detail17trampoline_kernelINS0_14default_configENS1_38merge_sort_block_merge_config_selectorIflEEZZNS1_27merge_sort_block_merge_implIS3_PfN6thrust23THRUST_200600_302600_NS10device_ptrIlEEjNS1_19radix_merge_compareILb0ELb0EfNS0_19identity_decomposerEEEEE10hipError_tT0_T1_T2_jT3_P12ihipStream_tbPNSt15iterator_traitsISG_E10value_typeEPNSM_ISH_E10value_typeEPSI_NS1_7vsmem_tEENKUlT_SG_SH_SI_E_clIS7_S7_PlSB_EESF_SV_SG_SH_SI_EUlSV_E0_NS1_11comp_targetILNS1_3genE5ELNS1_11target_archE942ELNS1_3gpuE9ELNS1_3repE0EEENS1_38merge_mergepath_config_static_selectorELNS0_4arch9wavefront6targetE1EEEvSH_.num_agpr, 0
	.set _ZN7rocprim17ROCPRIM_400000_NS6detail17trampoline_kernelINS0_14default_configENS1_38merge_sort_block_merge_config_selectorIflEEZZNS1_27merge_sort_block_merge_implIS3_PfN6thrust23THRUST_200600_302600_NS10device_ptrIlEEjNS1_19radix_merge_compareILb0ELb0EfNS0_19identity_decomposerEEEEE10hipError_tT0_T1_T2_jT3_P12ihipStream_tbPNSt15iterator_traitsISG_E10value_typeEPNSM_ISH_E10value_typeEPSI_NS1_7vsmem_tEENKUlT_SG_SH_SI_E_clIS7_S7_PlSB_EESF_SV_SG_SH_SI_EUlSV_E0_NS1_11comp_targetILNS1_3genE5ELNS1_11target_archE942ELNS1_3gpuE9ELNS1_3repE0EEENS1_38merge_mergepath_config_static_selectorELNS0_4arch9wavefront6targetE1EEEvSH_.numbered_sgpr, 0
	.set _ZN7rocprim17ROCPRIM_400000_NS6detail17trampoline_kernelINS0_14default_configENS1_38merge_sort_block_merge_config_selectorIflEEZZNS1_27merge_sort_block_merge_implIS3_PfN6thrust23THRUST_200600_302600_NS10device_ptrIlEEjNS1_19radix_merge_compareILb0ELb0EfNS0_19identity_decomposerEEEEE10hipError_tT0_T1_T2_jT3_P12ihipStream_tbPNSt15iterator_traitsISG_E10value_typeEPNSM_ISH_E10value_typeEPSI_NS1_7vsmem_tEENKUlT_SG_SH_SI_E_clIS7_S7_PlSB_EESF_SV_SG_SH_SI_EUlSV_E0_NS1_11comp_targetILNS1_3genE5ELNS1_11target_archE942ELNS1_3gpuE9ELNS1_3repE0EEENS1_38merge_mergepath_config_static_selectorELNS0_4arch9wavefront6targetE1EEEvSH_.num_named_barrier, 0
	.set _ZN7rocprim17ROCPRIM_400000_NS6detail17trampoline_kernelINS0_14default_configENS1_38merge_sort_block_merge_config_selectorIflEEZZNS1_27merge_sort_block_merge_implIS3_PfN6thrust23THRUST_200600_302600_NS10device_ptrIlEEjNS1_19radix_merge_compareILb0ELb0EfNS0_19identity_decomposerEEEEE10hipError_tT0_T1_T2_jT3_P12ihipStream_tbPNSt15iterator_traitsISG_E10value_typeEPNSM_ISH_E10value_typeEPSI_NS1_7vsmem_tEENKUlT_SG_SH_SI_E_clIS7_S7_PlSB_EESF_SV_SG_SH_SI_EUlSV_E0_NS1_11comp_targetILNS1_3genE5ELNS1_11target_archE942ELNS1_3gpuE9ELNS1_3repE0EEENS1_38merge_mergepath_config_static_selectorELNS0_4arch9wavefront6targetE1EEEvSH_.private_seg_size, 0
	.set _ZN7rocprim17ROCPRIM_400000_NS6detail17trampoline_kernelINS0_14default_configENS1_38merge_sort_block_merge_config_selectorIflEEZZNS1_27merge_sort_block_merge_implIS3_PfN6thrust23THRUST_200600_302600_NS10device_ptrIlEEjNS1_19radix_merge_compareILb0ELb0EfNS0_19identity_decomposerEEEEE10hipError_tT0_T1_T2_jT3_P12ihipStream_tbPNSt15iterator_traitsISG_E10value_typeEPNSM_ISH_E10value_typeEPSI_NS1_7vsmem_tEENKUlT_SG_SH_SI_E_clIS7_S7_PlSB_EESF_SV_SG_SH_SI_EUlSV_E0_NS1_11comp_targetILNS1_3genE5ELNS1_11target_archE942ELNS1_3gpuE9ELNS1_3repE0EEENS1_38merge_mergepath_config_static_selectorELNS0_4arch9wavefront6targetE1EEEvSH_.uses_vcc, 0
	.set _ZN7rocprim17ROCPRIM_400000_NS6detail17trampoline_kernelINS0_14default_configENS1_38merge_sort_block_merge_config_selectorIflEEZZNS1_27merge_sort_block_merge_implIS3_PfN6thrust23THRUST_200600_302600_NS10device_ptrIlEEjNS1_19radix_merge_compareILb0ELb0EfNS0_19identity_decomposerEEEEE10hipError_tT0_T1_T2_jT3_P12ihipStream_tbPNSt15iterator_traitsISG_E10value_typeEPNSM_ISH_E10value_typeEPSI_NS1_7vsmem_tEENKUlT_SG_SH_SI_E_clIS7_S7_PlSB_EESF_SV_SG_SH_SI_EUlSV_E0_NS1_11comp_targetILNS1_3genE5ELNS1_11target_archE942ELNS1_3gpuE9ELNS1_3repE0EEENS1_38merge_mergepath_config_static_selectorELNS0_4arch9wavefront6targetE1EEEvSH_.uses_flat_scratch, 0
	.set _ZN7rocprim17ROCPRIM_400000_NS6detail17trampoline_kernelINS0_14default_configENS1_38merge_sort_block_merge_config_selectorIflEEZZNS1_27merge_sort_block_merge_implIS3_PfN6thrust23THRUST_200600_302600_NS10device_ptrIlEEjNS1_19radix_merge_compareILb0ELb0EfNS0_19identity_decomposerEEEEE10hipError_tT0_T1_T2_jT3_P12ihipStream_tbPNSt15iterator_traitsISG_E10value_typeEPNSM_ISH_E10value_typeEPSI_NS1_7vsmem_tEENKUlT_SG_SH_SI_E_clIS7_S7_PlSB_EESF_SV_SG_SH_SI_EUlSV_E0_NS1_11comp_targetILNS1_3genE5ELNS1_11target_archE942ELNS1_3gpuE9ELNS1_3repE0EEENS1_38merge_mergepath_config_static_selectorELNS0_4arch9wavefront6targetE1EEEvSH_.has_dyn_sized_stack, 0
	.set _ZN7rocprim17ROCPRIM_400000_NS6detail17trampoline_kernelINS0_14default_configENS1_38merge_sort_block_merge_config_selectorIflEEZZNS1_27merge_sort_block_merge_implIS3_PfN6thrust23THRUST_200600_302600_NS10device_ptrIlEEjNS1_19radix_merge_compareILb0ELb0EfNS0_19identity_decomposerEEEEE10hipError_tT0_T1_T2_jT3_P12ihipStream_tbPNSt15iterator_traitsISG_E10value_typeEPNSM_ISH_E10value_typeEPSI_NS1_7vsmem_tEENKUlT_SG_SH_SI_E_clIS7_S7_PlSB_EESF_SV_SG_SH_SI_EUlSV_E0_NS1_11comp_targetILNS1_3genE5ELNS1_11target_archE942ELNS1_3gpuE9ELNS1_3repE0EEENS1_38merge_mergepath_config_static_selectorELNS0_4arch9wavefront6targetE1EEEvSH_.has_recursion, 0
	.set _ZN7rocprim17ROCPRIM_400000_NS6detail17trampoline_kernelINS0_14default_configENS1_38merge_sort_block_merge_config_selectorIflEEZZNS1_27merge_sort_block_merge_implIS3_PfN6thrust23THRUST_200600_302600_NS10device_ptrIlEEjNS1_19radix_merge_compareILb0ELb0EfNS0_19identity_decomposerEEEEE10hipError_tT0_T1_T2_jT3_P12ihipStream_tbPNSt15iterator_traitsISG_E10value_typeEPNSM_ISH_E10value_typeEPSI_NS1_7vsmem_tEENKUlT_SG_SH_SI_E_clIS7_S7_PlSB_EESF_SV_SG_SH_SI_EUlSV_E0_NS1_11comp_targetILNS1_3genE5ELNS1_11target_archE942ELNS1_3gpuE9ELNS1_3repE0EEENS1_38merge_mergepath_config_static_selectorELNS0_4arch9wavefront6targetE1EEEvSH_.has_indirect_call, 0
	.section	.AMDGPU.csdata,"",@progbits
; Kernel info:
; codeLenInByte = 0
; TotalNumSgprs: 4
; NumVgprs: 0
; ScratchSize: 0
; MemoryBound: 0
; FloatMode: 240
; IeeeMode: 1
; LDSByteSize: 0 bytes/workgroup (compile time only)
; SGPRBlocks: 0
; VGPRBlocks: 0
; NumSGPRsForWavesPerEU: 4
; NumVGPRsForWavesPerEU: 1
; Occupancy: 10
; WaveLimiterHint : 0
; COMPUTE_PGM_RSRC2:SCRATCH_EN: 0
; COMPUTE_PGM_RSRC2:USER_SGPR: 6
; COMPUTE_PGM_RSRC2:TRAP_HANDLER: 0
; COMPUTE_PGM_RSRC2:TGID_X_EN: 1
; COMPUTE_PGM_RSRC2:TGID_Y_EN: 0
; COMPUTE_PGM_RSRC2:TGID_Z_EN: 0
; COMPUTE_PGM_RSRC2:TIDIG_COMP_CNT: 0
	.section	.text._ZN7rocprim17ROCPRIM_400000_NS6detail17trampoline_kernelINS0_14default_configENS1_38merge_sort_block_merge_config_selectorIflEEZZNS1_27merge_sort_block_merge_implIS3_PfN6thrust23THRUST_200600_302600_NS10device_ptrIlEEjNS1_19radix_merge_compareILb0ELb0EfNS0_19identity_decomposerEEEEE10hipError_tT0_T1_T2_jT3_P12ihipStream_tbPNSt15iterator_traitsISG_E10value_typeEPNSM_ISH_E10value_typeEPSI_NS1_7vsmem_tEENKUlT_SG_SH_SI_E_clIS7_S7_PlSB_EESF_SV_SG_SH_SI_EUlSV_E0_NS1_11comp_targetILNS1_3genE4ELNS1_11target_archE910ELNS1_3gpuE8ELNS1_3repE0EEENS1_38merge_mergepath_config_static_selectorELNS0_4arch9wavefront6targetE1EEEvSH_,"axG",@progbits,_ZN7rocprim17ROCPRIM_400000_NS6detail17trampoline_kernelINS0_14default_configENS1_38merge_sort_block_merge_config_selectorIflEEZZNS1_27merge_sort_block_merge_implIS3_PfN6thrust23THRUST_200600_302600_NS10device_ptrIlEEjNS1_19radix_merge_compareILb0ELb0EfNS0_19identity_decomposerEEEEE10hipError_tT0_T1_T2_jT3_P12ihipStream_tbPNSt15iterator_traitsISG_E10value_typeEPNSM_ISH_E10value_typeEPSI_NS1_7vsmem_tEENKUlT_SG_SH_SI_E_clIS7_S7_PlSB_EESF_SV_SG_SH_SI_EUlSV_E0_NS1_11comp_targetILNS1_3genE4ELNS1_11target_archE910ELNS1_3gpuE8ELNS1_3repE0EEENS1_38merge_mergepath_config_static_selectorELNS0_4arch9wavefront6targetE1EEEvSH_,comdat
	.protected	_ZN7rocprim17ROCPRIM_400000_NS6detail17trampoline_kernelINS0_14default_configENS1_38merge_sort_block_merge_config_selectorIflEEZZNS1_27merge_sort_block_merge_implIS3_PfN6thrust23THRUST_200600_302600_NS10device_ptrIlEEjNS1_19radix_merge_compareILb0ELb0EfNS0_19identity_decomposerEEEEE10hipError_tT0_T1_T2_jT3_P12ihipStream_tbPNSt15iterator_traitsISG_E10value_typeEPNSM_ISH_E10value_typeEPSI_NS1_7vsmem_tEENKUlT_SG_SH_SI_E_clIS7_S7_PlSB_EESF_SV_SG_SH_SI_EUlSV_E0_NS1_11comp_targetILNS1_3genE4ELNS1_11target_archE910ELNS1_3gpuE8ELNS1_3repE0EEENS1_38merge_mergepath_config_static_selectorELNS0_4arch9wavefront6targetE1EEEvSH_ ; -- Begin function _ZN7rocprim17ROCPRIM_400000_NS6detail17trampoline_kernelINS0_14default_configENS1_38merge_sort_block_merge_config_selectorIflEEZZNS1_27merge_sort_block_merge_implIS3_PfN6thrust23THRUST_200600_302600_NS10device_ptrIlEEjNS1_19radix_merge_compareILb0ELb0EfNS0_19identity_decomposerEEEEE10hipError_tT0_T1_T2_jT3_P12ihipStream_tbPNSt15iterator_traitsISG_E10value_typeEPNSM_ISH_E10value_typeEPSI_NS1_7vsmem_tEENKUlT_SG_SH_SI_E_clIS7_S7_PlSB_EESF_SV_SG_SH_SI_EUlSV_E0_NS1_11comp_targetILNS1_3genE4ELNS1_11target_archE910ELNS1_3gpuE8ELNS1_3repE0EEENS1_38merge_mergepath_config_static_selectorELNS0_4arch9wavefront6targetE1EEEvSH_
	.globl	_ZN7rocprim17ROCPRIM_400000_NS6detail17trampoline_kernelINS0_14default_configENS1_38merge_sort_block_merge_config_selectorIflEEZZNS1_27merge_sort_block_merge_implIS3_PfN6thrust23THRUST_200600_302600_NS10device_ptrIlEEjNS1_19radix_merge_compareILb0ELb0EfNS0_19identity_decomposerEEEEE10hipError_tT0_T1_T2_jT3_P12ihipStream_tbPNSt15iterator_traitsISG_E10value_typeEPNSM_ISH_E10value_typeEPSI_NS1_7vsmem_tEENKUlT_SG_SH_SI_E_clIS7_S7_PlSB_EESF_SV_SG_SH_SI_EUlSV_E0_NS1_11comp_targetILNS1_3genE4ELNS1_11target_archE910ELNS1_3gpuE8ELNS1_3repE0EEENS1_38merge_mergepath_config_static_selectorELNS0_4arch9wavefront6targetE1EEEvSH_
	.p2align	8
	.type	_ZN7rocprim17ROCPRIM_400000_NS6detail17trampoline_kernelINS0_14default_configENS1_38merge_sort_block_merge_config_selectorIflEEZZNS1_27merge_sort_block_merge_implIS3_PfN6thrust23THRUST_200600_302600_NS10device_ptrIlEEjNS1_19radix_merge_compareILb0ELb0EfNS0_19identity_decomposerEEEEE10hipError_tT0_T1_T2_jT3_P12ihipStream_tbPNSt15iterator_traitsISG_E10value_typeEPNSM_ISH_E10value_typeEPSI_NS1_7vsmem_tEENKUlT_SG_SH_SI_E_clIS7_S7_PlSB_EESF_SV_SG_SH_SI_EUlSV_E0_NS1_11comp_targetILNS1_3genE4ELNS1_11target_archE910ELNS1_3gpuE8ELNS1_3repE0EEENS1_38merge_mergepath_config_static_selectorELNS0_4arch9wavefront6targetE1EEEvSH_,@function
_ZN7rocprim17ROCPRIM_400000_NS6detail17trampoline_kernelINS0_14default_configENS1_38merge_sort_block_merge_config_selectorIflEEZZNS1_27merge_sort_block_merge_implIS3_PfN6thrust23THRUST_200600_302600_NS10device_ptrIlEEjNS1_19radix_merge_compareILb0ELb0EfNS0_19identity_decomposerEEEEE10hipError_tT0_T1_T2_jT3_P12ihipStream_tbPNSt15iterator_traitsISG_E10value_typeEPNSM_ISH_E10value_typeEPSI_NS1_7vsmem_tEENKUlT_SG_SH_SI_E_clIS7_S7_PlSB_EESF_SV_SG_SH_SI_EUlSV_E0_NS1_11comp_targetILNS1_3genE4ELNS1_11target_archE910ELNS1_3gpuE8ELNS1_3repE0EEENS1_38merge_mergepath_config_static_selectorELNS0_4arch9wavefront6targetE1EEEvSH_: ; @_ZN7rocprim17ROCPRIM_400000_NS6detail17trampoline_kernelINS0_14default_configENS1_38merge_sort_block_merge_config_selectorIflEEZZNS1_27merge_sort_block_merge_implIS3_PfN6thrust23THRUST_200600_302600_NS10device_ptrIlEEjNS1_19radix_merge_compareILb0ELb0EfNS0_19identity_decomposerEEEEE10hipError_tT0_T1_T2_jT3_P12ihipStream_tbPNSt15iterator_traitsISG_E10value_typeEPNSM_ISH_E10value_typeEPSI_NS1_7vsmem_tEENKUlT_SG_SH_SI_E_clIS7_S7_PlSB_EESF_SV_SG_SH_SI_EUlSV_E0_NS1_11comp_targetILNS1_3genE4ELNS1_11target_archE910ELNS1_3gpuE8ELNS1_3repE0EEENS1_38merge_mergepath_config_static_selectorELNS0_4arch9wavefront6targetE1EEEvSH_
; %bb.0:
	.section	.rodata,"a",@progbits
	.p2align	6, 0x0
	.amdhsa_kernel _ZN7rocprim17ROCPRIM_400000_NS6detail17trampoline_kernelINS0_14default_configENS1_38merge_sort_block_merge_config_selectorIflEEZZNS1_27merge_sort_block_merge_implIS3_PfN6thrust23THRUST_200600_302600_NS10device_ptrIlEEjNS1_19radix_merge_compareILb0ELb0EfNS0_19identity_decomposerEEEEE10hipError_tT0_T1_T2_jT3_P12ihipStream_tbPNSt15iterator_traitsISG_E10value_typeEPNSM_ISH_E10value_typeEPSI_NS1_7vsmem_tEENKUlT_SG_SH_SI_E_clIS7_S7_PlSB_EESF_SV_SG_SH_SI_EUlSV_E0_NS1_11comp_targetILNS1_3genE4ELNS1_11target_archE910ELNS1_3gpuE8ELNS1_3repE0EEENS1_38merge_mergepath_config_static_selectorELNS0_4arch9wavefront6targetE1EEEvSH_
		.amdhsa_group_segment_fixed_size 0
		.amdhsa_private_segment_fixed_size 0
		.amdhsa_kernarg_size 64
		.amdhsa_user_sgpr_count 6
		.amdhsa_user_sgpr_private_segment_buffer 1
		.amdhsa_user_sgpr_dispatch_ptr 0
		.amdhsa_user_sgpr_queue_ptr 0
		.amdhsa_user_sgpr_kernarg_segment_ptr 1
		.amdhsa_user_sgpr_dispatch_id 0
		.amdhsa_user_sgpr_flat_scratch_init 0
		.amdhsa_user_sgpr_private_segment_size 0
		.amdhsa_uses_dynamic_stack 0
		.amdhsa_system_sgpr_private_segment_wavefront_offset 0
		.amdhsa_system_sgpr_workgroup_id_x 1
		.amdhsa_system_sgpr_workgroup_id_y 0
		.amdhsa_system_sgpr_workgroup_id_z 0
		.amdhsa_system_sgpr_workgroup_info 0
		.amdhsa_system_vgpr_workitem_id 0
		.amdhsa_next_free_vgpr 1
		.amdhsa_next_free_sgpr 0
		.amdhsa_reserve_vcc 0
		.amdhsa_reserve_flat_scratch 0
		.amdhsa_float_round_mode_32 0
		.amdhsa_float_round_mode_16_64 0
		.amdhsa_float_denorm_mode_32 3
		.amdhsa_float_denorm_mode_16_64 3
		.amdhsa_dx10_clamp 1
		.amdhsa_ieee_mode 1
		.amdhsa_fp16_overflow 0
		.amdhsa_exception_fp_ieee_invalid_op 0
		.amdhsa_exception_fp_denorm_src 0
		.amdhsa_exception_fp_ieee_div_zero 0
		.amdhsa_exception_fp_ieee_overflow 0
		.amdhsa_exception_fp_ieee_underflow 0
		.amdhsa_exception_fp_ieee_inexact 0
		.amdhsa_exception_int_div_zero 0
	.end_amdhsa_kernel
	.section	.text._ZN7rocprim17ROCPRIM_400000_NS6detail17trampoline_kernelINS0_14default_configENS1_38merge_sort_block_merge_config_selectorIflEEZZNS1_27merge_sort_block_merge_implIS3_PfN6thrust23THRUST_200600_302600_NS10device_ptrIlEEjNS1_19radix_merge_compareILb0ELb0EfNS0_19identity_decomposerEEEEE10hipError_tT0_T1_T2_jT3_P12ihipStream_tbPNSt15iterator_traitsISG_E10value_typeEPNSM_ISH_E10value_typeEPSI_NS1_7vsmem_tEENKUlT_SG_SH_SI_E_clIS7_S7_PlSB_EESF_SV_SG_SH_SI_EUlSV_E0_NS1_11comp_targetILNS1_3genE4ELNS1_11target_archE910ELNS1_3gpuE8ELNS1_3repE0EEENS1_38merge_mergepath_config_static_selectorELNS0_4arch9wavefront6targetE1EEEvSH_,"axG",@progbits,_ZN7rocprim17ROCPRIM_400000_NS6detail17trampoline_kernelINS0_14default_configENS1_38merge_sort_block_merge_config_selectorIflEEZZNS1_27merge_sort_block_merge_implIS3_PfN6thrust23THRUST_200600_302600_NS10device_ptrIlEEjNS1_19radix_merge_compareILb0ELb0EfNS0_19identity_decomposerEEEEE10hipError_tT0_T1_T2_jT3_P12ihipStream_tbPNSt15iterator_traitsISG_E10value_typeEPNSM_ISH_E10value_typeEPSI_NS1_7vsmem_tEENKUlT_SG_SH_SI_E_clIS7_S7_PlSB_EESF_SV_SG_SH_SI_EUlSV_E0_NS1_11comp_targetILNS1_3genE4ELNS1_11target_archE910ELNS1_3gpuE8ELNS1_3repE0EEENS1_38merge_mergepath_config_static_selectorELNS0_4arch9wavefront6targetE1EEEvSH_,comdat
.Lfunc_end1771:
	.size	_ZN7rocprim17ROCPRIM_400000_NS6detail17trampoline_kernelINS0_14default_configENS1_38merge_sort_block_merge_config_selectorIflEEZZNS1_27merge_sort_block_merge_implIS3_PfN6thrust23THRUST_200600_302600_NS10device_ptrIlEEjNS1_19radix_merge_compareILb0ELb0EfNS0_19identity_decomposerEEEEE10hipError_tT0_T1_T2_jT3_P12ihipStream_tbPNSt15iterator_traitsISG_E10value_typeEPNSM_ISH_E10value_typeEPSI_NS1_7vsmem_tEENKUlT_SG_SH_SI_E_clIS7_S7_PlSB_EESF_SV_SG_SH_SI_EUlSV_E0_NS1_11comp_targetILNS1_3genE4ELNS1_11target_archE910ELNS1_3gpuE8ELNS1_3repE0EEENS1_38merge_mergepath_config_static_selectorELNS0_4arch9wavefront6targetE1EEEvSH_, .Lfunc_end1771-_ZN7rocprim17ROCPRIM_400000_NS6detail17trampoline_kernelINS0_14default_configENS1_38merge_sort_block_merge_config_selectorIflEEZZNS1_27merge_sort_block_merge_implIS3_PfN6thrust23THRUST_200600_302600_NS10device_ptrIlEEjNS1_19radix_merge_compareILb0ELb0EfNS0_19identity_decomposerEEEEE10hipError_tT0_T1_T2_jT3_P12ihipStream_tbPNSt15iterator_traitsISG_E10value_typeEPNSM_ISH_E10value_typeEPSI_NS1_7vsmem_tEENKUlT_SG_SH_SI_E_clIS7_S7_PlSB_EESF_SV_SG_SH_SI_EUlSV_E0_NS1_11comp_targetILNS1_3genE4ELNS1_11target_archE910ELNS1_3gpuE8ELNS1_3repE0EEENS1_38merge_mergepath_config_static_selectorELNS0_4arch9wavefront6targetE1EEEvSH_
                                        ; -- End function
	.set _ZN7rocprim17ROCPRIM_400000_NS6detail17trampoline_kernelINS0_14default_configENS1_38merge_sort_block_merge_config_selectorIflEEZZNS1_27merge_sort_block_merge_implIS3_PfN6thrust23THRUST_200600_302600_NS10device_ptrIlEEjNS1_19radix_merge_compareILb0ELb0EfNS0_19identity_decomposerEEEEE10hipError_tT0_T1_T2_jT3_P12ihipStream_tbPNSt15iterator_traitsISG_E10value_typeEPNSM_ISH_E10value_typeEPSI_NS1_7vsmem_tEENKUlT_SG_SH_SI_E_clIS7_S7_PlSB_EESF_SV_SG_SH_SI_EUlSV_E0_NS1_11comp_targetILNS1_3genE4ELNS1_11target_archE910ELNS1_3gpuE8ELNS1_3repE0EEENS1_38merge_mergepath_config_static_selectorELNS0_4arch9wavefront6targetE1EEEvSH_.num_vgpr, 0
	.set _ZN7rocprim17ROCPRIM_400000_NS6detail17trampoline_kernelINS0_14default_configENS1_38merge_sort_block_merge_config_selectorIflEEZZNS1_27merge_sort_block_merge_implIS3_PfN6thrust23THRUST_200600_302600_NS10device_ptrIlEEjNS1_19radix_merge_compareILb0ELb0EfNS0_19identity_decomposerEEEEE10hipError_tT0_T1_T2_jT3_P12ihipStream_tbPNSt15iterator_traitsISG_E10value_typeEPNSM_ISH_E10value_typeEPSI_NS1_7vsmem_tEENKUlT_SG_SH_SI_E_clIS7_S7_PlSB_EESF_SV_SG_SH_SI_EUlSV_E0_NS1_11comp_targetILNS1_3genE4ELNS1_11target_archE910ELNS1_3gpuE8ELNS1_3repE0EEENS1_38merge_mergepath_config_static_selectorELNS0_4arch9wavefront6targetE1EEEvSH_.num_agpr, 0
	.set _ZN7rocprim17ROCPRIM_400000_NS6detail17trampoline_kernelINS0_14default_configENS1_38merge_sort_block_merge_config_selectorIflEEZZNS1_27merge_sort_block_merge_implIS3_PfN6thrust23THRUST_200600_302600_NS10device_ptrIlEEjNS1_19radix_merge_compareILb0ELb0EfNS0_19identity_decomposerEEEEE10hipError_tT0_T1_T2_jT3_P12ihipStream_tbPNSt15iterator_traitsISG_E10value_typeEPNSM_ISH_E10value_typeEPSI_NS1_7vsmem_tEENKUlT_SG_SH_SI_E_clIS7_S7_PlSB_EESF_SV_SG_SH_SI_EUlSV_E0_NS1_11comp_targetILNS1_3genE4ELNS1_11target_archE910ELNS1_3gpuE8ELNS1_3repE0EEENS1_38merge_mergepath_config_static_selectorELNS0_4arch9wavefront6targetE1EEEvSH_.numbered_sgpr, 0
	.set _ZN7rocprim17ROCPRIM_400000_NS6detail17trampoline_kernelINS0_14default_configENS1_38merge_sort_block_merge_config_selectorIflEEZZNS1_27merge_sort_block_merge_implIS3_PfN6thrust23THRUST_200600_302600_NS10device_ptrIlEEjNS1_19radix_merge_compareILb0ELb0EfNS0_19identity_decomposerEEEEE10hipError_tT0_T1_T2_jT3_P12ihipStream_tbPNSt15iterator_traitsISG_E10value_typeEPNSM_ISH_E10value_typeEPSI_NS1_7vsmem_tEENKUlT_SG_SH_SI_E_clIS7_S7_PlSB_EESF_SV_SG_SH_SI_EUlSV_E0_NS1_11comp_targetILNS1_3genE4ELNS1_11target_archE910ELNS1_3gpuE8ELNS1_3repE0EEENS1_38merge_mergepath_config_static_selectorELNS0_4arch9wavefront6targetE1EEEvSH_.num_named_barrier, 0
	.set _ZN7rocprim17ROCPRIM_400000_NS6detail17trampoline_kernelINS0_14default_configENS1_38merge_sort_block_merge_config_selectorIflEEZZNS1_27merge_sort_block_merge_implIS3_PfN6thrust23THRUST_200600_302600_NS10device_ptrIlEEjNS1_19radix_merge_compareILb0ELb0EfNS0_19identity_decomposerEEEEE10hipError_tT0_T1_T2_jT3_P12ihipStream_tbPNSt15iterator_traitsISG_E10value_typeEPNSM_ISH_E10value_typeEPSI_NS1_7vsmem_tEENKUlT_SG_SH_SI_E_clIS7_S7_PlSB_EESF_SV_SG_SH_SI_EUlSV_E0_NS1_11comp_targetILNS1_3genE4ELNS1_11target_archE910ELNS1_3gpuE8ELNS1_3repE0EEENS1_38merge_mergepath_config_static_selectorELNS0_4arch9wavefront6targetE1EEEvSH_.private_seg_size, 0
	.set _ZN7rocprim17ROCPRIM_400000_NS6detail17trampoline_kernelINS0_14default_configENS1_38merge_sort_block_merge_config_selectorIflEEZZNS1_27merge_sort_block_merge_implIS3_PfN6thrust23THRUST_200600_302600_NS10device_ptrIlEEjNS1_19radix_merge_compareILb0ELb0EfNS0_19identity_decomposerEEEEE10hipError_tT0_T1_T2_jT3_P12ihipStream_tbPNSt15iterator_traitsISG_E10value_typeEPNSM_ISH_E10value_typeEPSI_NS1_7vsmem_tEENKUlT_SG_SH_SI_E_clIS7_S7_PlSB_EESF_SV_SG_SH_SI_EUlSV_E0_NS1_11comp_targetILNS1_3genE4ELNS1_11target_archE910ELNS1_3gpuE8ELNS1_3repE0EEENS1_38merge_mergepath_config_static_selectorELNS0_4arch9wavefront6targetE1EEEvSH_.uses_vcc, 0
	.set _ZN7rocprim17ROCPRIM_400000_NS6detail17trampoline_kernelINS0_14default_configENS1_38merge_sort_block_merge_config_selectorIflEEZZNS1_27merge_sort_block_merge_implIS3_PfN6thrust23THRUST_200600_302600_NS10device_ptrIlEEjNS1_19radix_merge_compareILb0ELb0EfNS0_19identity_decomposerEEEEE10hipError_tT0_T1_T2_jT3_P12ihipStream_tbPNSt15iterator_traitsISG_E10value_typeEPNSM_ISH_E10value_typeEPSI_NS1_7vsmem_tEENKUlT_SG_SH_SI_E_clIS7_S7_PlSB_EESF_SV_SG_SH_SI_EUlSV_E0_NS1_11comp_targetILNS1_3genE4ELNS1_11target_archE910ELNS1_3gpuE8ELNS1_3repE0EEENS1_38merge_mergepath_config_static_selectorELNS0_4arch9wavefront6targetE1EEEvSH_.uses_flat_scratch, 0
	.set _ZN7rocprim17ROCPRIM_400000_NS6detail17trampoline_kernelINS0_14default_configENS1_38merge_sort_block_merge_config_selectorIflEEZZNS1_27merge_sort_block_merge_implIS3_PfN6thrust23THRUST_200600_302600_NS10device_ptrIlEEjNS1_19radix_merge_compareILb0ELb0EfNS0_19identity_decomposerEEEEE10hipError_tT0_T1_T2_jT3_P12ihipStream_tbPNSt15iterator_traitsISG_E10value_typeEPNSM_ISH_E10value_typeEPSI_NS1_7vsmem_tEENKUlT_SG_SH_SI_E_clIS7_S7_PlSB_EESF_SV_SG_SH_SI_EUlSV_E0_NS1_11comp_targetILNS1_3genE4ELNS1_11target_archE910ELNS1_3gpuE8ELNS1_3repE0EEENS1_38merge_mergepath_config_static_selectorELNS0_4arch9wavefront6targetE1EEEvSH_.has_dyn_sized_stack, 0
	.set _ZN7rocprim17ROCPRIM_400000_NS6detail17trampoline_kernelINS0_14default_configENS1_38merge_sort_block_merge_config_selectorIflEEZZNS1_27merge_sort_block_merge_implIS3_PfN6thrust23THRUST_200600_302600_NS10device_ptrIlEEjNS1_19radix_merge_compareILb0ELb0EfNS0_19identity_decomposerEEEEE10hipError_tT0_T1_T2_jT3_P12ihipStream_tbPNSt15iterator_traitsISG_E10value_typeEPNSM_ISH_E10value_typeEPSI_NS1_7vsmem_tEENKUlT_SG_SH_SI_E_clIS7_S7_PlSB_EESF_SV_SG_SH_SI_EUlSV_E0_NS1_11comp_targetILNS1_3genE4ELNS1_11target_archE910ELNS1_3gpuE8ELNS1_3repE0EEENS1_38merge_mergepath_config_static_selectorELNS0_4arch9wavefront6targetE1EEEvSH_.has_recursion, 0
	.set _ZN7rocprim17ROCPRIM_400000_NS6detail17trampoline_kernelINS0_14default_configENS1_38merge_sort_block_merge_config_selectorIflEEZZNS1_27merge_sort_block_merge_implIS3_PfN6thrust23THRUST_200600_302600_NS10device_ptrIlEEjNS1_19radix_merge_compareILb0ELb0EfNS0_19identity_decomposerEEEEE10hipError_tT0_T1_T2_jT3_P12ihipStream_tbPNSt15iterator_traitsISG_E10value_typeEPNSM_ISH_E10value_typeEPSI_NS1_7vsmem_tEENKUlT_SG_SH_SI_E_clIS7_S7_PlSB_EESF_SV_SG_SH_SI_EUlSV_E0_NS1_11comp_targetILNS1_3genE4ELNS1_11target_archE910ELNS1_3gpuE8ELNS1_3repE0EEENS1_38merge_mergepath_config_static_selectorELNS0_4arch9wavefront6targetE1EEEvSH_.has_indirect_call, 0
	.section	.AMDGPU.csdata,"",@progbits
; Kernel info:
; codeLenInByte = 0
; TotalNumSgprs: 4
; NumVgprs: 0
; ScratchSize: 0
; MemoryBound: 0
; FloatMode: 240
; IeeeMode: 1
; LDSByteSize: 0 bytes/workgroup (compile time only)
; SGPRBlocks: 0
; VGPRBlocks: 0
; NumSGPRsForWavesPerEU: 4
; NumVGPRsForWavesPerEU: 1
; Occupancy: 10
; WaveLimiterHint : 0
; COMPUTE_PGM_RSRC2:SCRATCH_EN: 0
; COMPUTE_PGM_RSRC2:USER_SGPR: 6
; COMPUTE_PGM_RSRC2:TRAP_HANDLER: 0
; COMPUTE_PGM_RSRC2:TGID_X_EN: 1
; COMPUTE_PGM_RSRC2:TGID_Y_EN: 0
; COMPUTE_PGM_RSRC2:TGID_Z_EN: 0
; COMPUTE_PGM_RSRC2:TIDIG_COMP_CNT: 0
	.section	.text._ZN7rocprim17ROCPRIM_400000_NS6detail17trampoline_kernelINS0_14default_configENS1_38merge_sort_block_merge_config_selectorIflEEZZNS1_27merge_sort_block_merge_implIS3_PfN6thrust23THRUST_200600_302600_NS10device_ptrIlEEjNS1_19radix_merge_compareILb0ELb0EfNS0_19identity_decomposerEEEEE10hipError_tT0_T1_T2_jT3_P12ihipStream_tbPNSt15iterator_traitsISG_E10value_typeEPNSM_ISH_E10value_typeEPSI_NS1_7vsmem_tEENKUlT_SG_SH_SI_E_clIS7_S7_PlSB_EESF_SV_SG_SH_SI_EUlSV_E0_NS1_11comp_targetILNS1_3genE3ELNS1_11target_archE908ELNS1_3gpuE7ELNS1_3repE0EEENS1_38merge_mergepath_config_static_selectorELNS0_4arch9wavefront6targetE1EEEvSH_,"axG",@progbits,_ZN7rocprim17ROCPRIM_400000_NS6detail17trampoline_kernelINS0_14default_configENS1_38merge_sort_block_merge_config_selectorIflEEZZNS1_27merge_sort_block_merge_implIS3_PfN6thrust23THRUST_200600_302600_NS10device_ptrIlEEjNS1_19radix_merge_compareILb0ELb0EfNS0_19identity_decomposerEEEEE10hipError_tT0_T1_T2_jT3_P12ihipStream_tbPNSt15iterator_traitsISG_E10value_typeEPNSM_ISH_E10value_typeEPSI_NS1_7vsmem_tEENKUlT_SG_SH_SI_E_clIS7_S7_PlSB_EESF_SV_SG_SH_SI_EUlSV_E0_NS1_11comp_targetILNS1_3genE3ELNS1_11target_archE908ELNS1_3gpuE7ELNS1_3repE0EEENS1_38merge_mergepath_config_static_selectorELNS0_4arch9wavefront6targetE1EEEvSH_,comdat
	.protected	_ZN7rocprim17ROCPRIM_400000_NS6detail17trampoline_kernelINS0_14default_configENS1_38merge_sort_block_merge_config_selectorIflEEZZNS1_27merge_sort_block_merge_implIS3_PfN6thrust23THRUST_200600_302600_NS10device_ptrIlEEjNS1_19radix_merge_compareILb0ELb0EfNS0_19identity_decomposerEEEEE10hipError_tT0_T1_T2_jT3_P12ihipStream_tbPNSt15iterator_traitsISG_E10value_typeEPNSM_ISH_E10value_typeEPSI_NS1_7vsmem_tEENKUlT_SG_SH_SI_E_clIS7_S7_PlSB_EESF_SV_SG_SH_SI_EUlSV_E0_NS1_11comp_targetILNS1_3genE3ELNS1_11target_archE908ELNS1_3gpuE7ELNS1_3repE0EEENS1_38merge_mergepath_config_static_selectorELNS0_4arch9wavefront6targetE1EEEvSH_ ; -- Begin function _ZN7rocprim17ROCPRIM_400000_NS6detail17trampoline_kernelINS0_14default_configENS1_38merge_sort_block_merge_config_selectorIflEEZZNS1_27merge_sort_block_merge_implIS3_PfN6thrust23THRUST_200600_302600_NS10device_ptrIlEEjNS1_19radix_merge_compareILb0ELb0EfNS0_19identity_decomposerEEEEE10hipError_tT0_T1_T2_jT3_P12ihipStream_tbPNSt15iterator_traitsISG_E10value_typeEPNSM_ISH_E10value_typeEPSI_NS1_7vsmem_tEENKUlT_SG_SH_SI_E_clIS7_S7_PlSB_EESF_SV_SG_SH_SI_EUlSV_E0_NS1_11comp_targetILNS1_3genE3ELNS1_11target_archE908ELNS1_3gpuE7ELNS1_3repE0EEENS1_38merge_mergepath_config_static_selectorELNS0_4arch9wavefront6targetE1EEEvSH_
	.globl	_ZN7rocprim17ROCPRIM_400000_NS6detail17trampoline_kernelINS0_14default_configENS1_38merge_sort_block_merge_config_selectorIflEEZZNS1_27merge_sort_block_merge_implIS3_PfN6thrust23THRUST_200600_302600_NS10device_ptrIlEEjNS1_19radix_merge_compareILb0ELb0EfNS0_19identity_decomposerEEEEE10hipError_tT0_T1_T2_jT3_P12ihipStream_tbPNSt15iterator_traitsISG_E10value_typeEPNSM_ISH_E10value_typeEPSI_NS1_7vsmem_tEENKUlT_SG_SH_SI_E_clIS7_S7_PlSB_EESF_SV_SG_SH_SI_EUlSV_E0_NS1_11comp_targetILNS1_3genE3ELNS1_11target_archE908ELNS1_3gpuE7ELNS1_3repE0EEENS1_38merge_mergepath_config_static_selectorELNS0_4arch9wavefront6targetE1EEEvSH_
	.p2align	8
	.type	_ZN7rocprim17ROCPRIM_400000_NS6detail17trampoline_kernelINS0_14default_configENS1_38merge_sort_block_merge_config_selectorIflEEZZNS1_27merge_sort_block_merge_implIS3_PfN6thrust23THRUST_200600_302600_NS10device_ptrIlEEjNS1_19radix_merge_compareILb0ELb0EfNS0_19identity_decomposerEEEEE10hipError_tT0_T1_T2_jT3_P12ihipStream_tbPNSt15iterator_traitsISG_E10value_typeEPNSM_ISH_E10value_typeEPSI_NS1_7vsmem_tEENKUlT_SG_SH_SI_E_clIS7_S7_PlSB_EESF_SV_SG_SH_SI_EUlSV_E0_NS1_11comp_targetILNS1_3genE3ELNS1_11target_archE908ELNS1_3gpuE7ELNS1_3repE0EEENS1_38merge_mergepath_config_static_selectorELNS0_4arch9wavefront6targetE1EEEvSH_,@function
_ZN7rocprim17ROCPRIM_400000_NS6detail17trampoline_kernelINS0_14default_configENS1_38merge_sort_block_merge_config_selectorIflEEZZNS1_27merge_sort_block_merge_implIS3_PfN6thrust23THRUST_200600_302600_NS10device_ptrIlEEjNS1_19radix_merge_compareILb0ELb0EfNS0_19identity_decomposerEEEEE10hipError_tT0_T1_T2_jT3_P12ihipStream_tbPNSt15iterator_traitsISG_E10value_typeEPNSM_ISH_E10value_typeEPSI_NS1_7vsmem_tEENKUlT_SG_SH_SI_E_clIS7_S7_PlSB_EESF_SV_SG_SH_SI_EUlSV_E0_NS1_11comp_targetILNS1_3genE3ELNS1_11target_archE908ELNS1_3gpuE7ELNS1_3repE0EEENS1_38merge_mergepath_config_static_selectorELNS0_4arch9wavefront6targetE1EEEvSH_: ; @_ZN7rocprim17ROCPRIM_400000_NS6detail17trampoline_kernelINS0_14default_configENS1_38merge_sort_block_merge_config_selectorIflEEZZNS1_27merge_sort_block_merge_implIS3_PfN6thrust23THRUST_200600_302600_NS10device_ptrIlEEjNS1_19radix_merge_compareILb0ELb0EfNS0_19identity_decomposerEEEEE10hipError_tT0_T1_T2_jT3_P12ihipStream_tbPNSt15iterator_traitsISG_E10value_typeEPNSM_ISH_E10value_typeEPSI_NS1_7vsmem_tEENKUlT_SG_SH_SI_E_clIS7_S7_PlSB_EESF_SV_SG_SH_SI_EUlSV_E0_NS1_11comp_targetILNS1_3genE3ELNS1_11target_archE908ELNS1_3gpuE7ELNS1_3repE0EEENS1_38merge_mergepath_config_static_selectorELNS0_4arch9wavefront6targetE1EEEvSH_
; %bb.0:
	.section	.rodata,"a",@progbits
	.p2align	6, 0x0
	.amdhsa_kernel _ZN7rocprim17ROCPRIM_400000_NS6detail17trampoline_kernelINS0_14default_configENS1_38merge_sort_block_merge_config_selectorIflEEZZNS1_27merge_sort_block_merge_implIS3_PfN6thrust23THRUST_200600_302600_NS10device_ptrIlEEjNS1_19radix_merge_compareILb0ELb0EfNS0_19identity_decomposerEEEEE10hipError_tT0_T1_T2_jT3_P12ihipStream_tbPNSt15iterator_traitsISG_E10value_typeEPNSM_ISH_E10value_typeEPSI_NS1_7vsmem_tEENKUlT_SG_SH_SI_E_clIS7_S7_PlSB_EESF_SV_SG_SH_SI_EUlSV_E0_NS1_11comp_targetILNS1_3genE3ELNS1_11target_archE908ELNS1_3gpuE7ELNS1_3repE0EEENS1_38merge_mergepath_config_static_selectorELNS0_4arch9wavefront6targetE1EEEvSH_
		.amdhsa_group_segment_fixed_size 0
		.amdhsa_private_segment_fixed_size 0
		.amdhsa_kernarg_size 64
		.amdhsa_user_sgpr_count 6
		.amdhsa_user_sgpr_private_segment_buffer 1
		.amdhsa_user_sgpr_dispatch_ptr 0
		.amdhsa_user_sgpr_queue_ptr 0
		.amdhsa_user_sgpr_kernarg_segment_ptr 1
		.amdhsa_user_sgpr_dispatch_id 0
		.amdhsa_user_sgpr_flat_scratch_init 0
		.amdhsa_user_sgpr_private_segment_size 0
		.amdhsa_uses_dynamic_stack 0
		.amdhsa_system_sgpr_private_segment_wavefront_offset 0
		.amdhsa_system_sgpr_workgroup_id_x 1
		.amdhsa_system_sgpr_workgroup_id_y 0
		.amdhsa_system_sgpr_workgroup_id_z 0
		.amdhsa_system_sgpr_workgroup_info 0
		.amdhsa_system_vgpr_workitem_id 0
		.amdhsa_next_free_vgpr 1
		.amdhsa_next_free_sgpr 0
		.amdhsa_reserve_vcc 0
		.amdhsa_reserve_flat_scratch 0
		.amdhsa_float_round_mode_32 0
		.amdhsa_float_round_mode_16_64 0
		.amdhsa_float_denorm_mode_32 3
		.amdhsa_float_denorm_mode_16_64 3
		.amdhsa_dx10_clamp 1
		.amdhsa_ieee_mode 1
		.amdhsa_fp16_overflow 0
		.amdhsa_exception_fp_ieee_invalid_op 0
		.amdhsa_exception_fp_denorm_src 0
		.amdhsa_exception_fp_ieee_div_zero 0
		.amdhsa_exception_fp_ieee_overflow 0
		.amdhsa_exception_fp_ieee_underflow 0
		.amdhsa_exception_fp_ieee_inexact 0
		.amdhsa_exception_int_div_zero 0
	.end_amdhsa_kernel
	.section	.text._ZN7rocprim17ROCPRIM_400000_NS6detail17trampoline_kernelINS0_14default_configENS1_38merge_sort_block_merge_config_selectorIflEEZZNS1_27merge_sort_block_merge_implIS3_PfN6thrust23THRUST_200600_302600_NS10device_ptrIlEEjNS1_19radix_merge_compareILb0ELb0EfNS0_19identity_decomposerEEEEE10hipError_tT0_T1_T2_jT3_P12ihipStream_tbPNSt15iterator_traitsISG_E10value_typeEPNSM_ISH_E10value_typeEPSI_NS1_7vsmem_tEENKUlT_SG_SH_SI_E_clIS7_S7_PlSB_EESF_SV_SG_SH_SI_EUlSV_E0_NS1_11comp_targetILNS1_3genE3ELNS1_11target_archE908ELNS1_3gpuE7ELNS1_3repE0EEENS1_38merge_mergepath_config_static_selectorELNS0_4arch9wavefront6targetE1EEEvSH_,"axG",@progbits,_ZN7rocprim17ROCPRIM_400000_NS6detail17trampoline_kernelINS0_14default_configENS1_38merge_sort_block_merge_config_selectorIflEEZZNS1_27merge_sort_block_merge_implIS3_PfN6thrust23THRUST_200600_302600_NS10device_ptrIlEEjNS1_19radix_merge_compareILb0ELb0EfNS0_19identity_decomposerEEEEE10hipError_tT0_T1_T2_jT3_P12ihipStream_tbPNSt15iterator_traitsISG_E10value_typeEPNSM_ISH_E10value_typeEPSI_NS1_7vsmem_tEENKUlT_SG_SH_SI_E_clIS7_S7_PlSB_EESF_SV_SG_SH_SI_EUlSV_E0_NS1_11comp_targetILNS1_3genE3ELNS1_11target_archE908ELNS1_3gpuE7ELNS1_3repE0EEENS1_38merge_mergepath_config_static_selectorELNS0_4arch9wavefront6targetE1EEEvSH_,comdat
.Lfunc_end1772:
	.size	_ZN7rocprim17ROCPRIM_400000_NS6detail17trampoline_kernelINS0_14default_configENS1_38merge_sort_block_merge_config_selectorIflEEZZNS1_27merge_sort_block_merge_implIS3_PfN6thrust23THRUST_200600_302600_NS10device_ptrIlEEjNS1_19radix_merge_compareILb0ELb0EfNS0_19identity_decomposerEEEEE10hipError_tT0_T1_T2_jT3_P12ihipStream_tbPNSt15iterator_traitsISG_E10value_typeEPNSM_ISH_E10value_typeEPSI_NS1_7vsmem_tEENKUlT_SG_SH_SI_E_clIS7_S7_PlSB_EESF_SV_SG_SH_SI_EUlSV_E0_NS1_11comp_targetILNS1_3genE3ELNS1_11target_archE908ELNS1_3gpuE7ELNS1_3repE0EEENS1_38merge_mergepath_config_static_selectorELNS0_4arch9wavefront6targetE1EEEvSH_, .Lfunc_end1772-_ZN7rocprim17ROCPRIM_400000_NS6detail17trampoline_kernelINS0_14default_configENS1_38merge_sort_block_merge_config_selectorIflEEZZNS1_27merge_sort_block_merge_implIS3_PfN6thrust23THRUST_200600_302600_NS10device_ptrIlEEjNS1_19radix_merge_compareILb0ELb0EfNS0_19identity_decomposerEEEEE10hipError_tT0_T1_T2_jT3_P12ihipStream_tbPNSt15iterator_traitsISG_E10value_typeEPNSM_ISH_E10value_typeEPSI_NS1_7vsmem_tEENKUlT_SG_SH_SI_E_clIS7_S7_PlSB_EESF_SV_SG_SH_SI_EUlSV_E0_NS1_11comp_targetILNS1_3genE3ELNS1_11target_archE908ELNS1_3gpuE7ELNS1_3repE0EEENS1_38merge_mergepath_config_static_selectorELNS0_4arch9wavefront6targetE1EEEvSH_
                                        ; -- End function
	.set _ZN7rocprim17ROCPRIM_400000_NS6detail17trampoline_kernelINS0_14default_configENS1_38merge_sort_block_merge_config_selectorIflEEZZNS1_27merge_sort_block_merge_implIS3_PfN6thrust23THRUST_200600_302600_NS10device_ptrIlEEjNS1_19radix_merge_compareILb0ELb0EfNS0_19identity_decomposerEEEEE10hipError_tT0_T1_T2_jT3_P12ihipStream_tbPNSt15iterator_traitsISG_E10value_typeEPNSM_ISH_E10value_typeEPSI_NS1_7vsmem_tEENKUlT_SG_SH_SI_E_clIS7_S7_PlSB_EESF_SV_SG_SH_SI_EUlSV_E0_NS1_11comp_targetILNS1_3genE3ELNS1_11target_archE908ELNS1_3gpuE7ELNS1_3repE0EEENS1_38merge_mergepath_config_static_selectorELNS0_4arch9wavefront6targetE1EEEvSH_.num_vgpr, 0
	.set _ZN7rocprim17ROCPRIM_400000_NS6detail17trampoline_kernelINS0_14default_configENS1_38merge_sort_block_merge_config_selectorIflEEZZNS1_27merge_sort_block_merge_implIS3_PfN6thrust23THRUST_200600_302600_NS10device_ptrIlEEjNS1_19radix_merge_compareILb0ELb0EfNS0_19identity_decomposerEEEEE10hipError_tT0_T1_T2_jT3_P12ihipStream_tbPNSt15iterator_traitsISG_E10value_typeEPNSM_ISH_E10value_typeEPSI_NS1_7vsmem_tEENKUlT_SG_SH_SI_E_clIS7_S7_PlSB_EESF_SV_SG_SH_SI_EUlSV_E0_NS1_11comp_targetILNS1_3genE3ELNS1_11target_archE908ELNS1_3gpuE7ELNS1_3repE0EEENS1_38merge_mergepath_config_static_selectorELNS0_4arch9wavefront6targetE1EEEvSH_.num_agpr, 0
	.set _ZN7rocprim17ROCPRIM_400000_NS6detail17trampoline_kernelINS0_14default_configENS1_38merge_sort_block_merge_config_selectorIflEEZZNS1_27merge_sort_block_merge_implIS3_PfN6thrust23THRUST_200600_302600_NS10device_ptrIlEEjNS1_19radix_merge_compareILb0ELb0EfNS0_19identity_decomposerEEEEE10hipError_tT0_T1_T2_jT3_P12ihipStream_tbPNSt15iterator_traitsISG_E10value_typeEPNSM_ISH_E10value_typeEPSI_NS1_7vsmem_tEENKUlT_SG_SH_SI_E_clIS7_S7_PlSB_EESF_SV_SG_SH_SI_EUlSV_E0_NS1_11comp_targetILNS1_3genE3ELNS1_11target_archE908ELNS1_3gpuE7ELNS1_3repE0EEENS1_38merge_mergepath_config_static_selectorELNS0_4arch9wavefront6targetE1EEEvSH_.numbered_sgpr, 0
	.set _ZN7rocprim17ROCPRIM_400000_NS6detail17trampoline_kernelINS0_14default_configENS1_38merge_sort_block_merge_config_selectorIflEEZZNS1_27merge_sort_block_merge_implIS3_PfN6thrust23THRUST_200600_302600_NS10device_ptrIlEEjNS1_19radix_merge_compareILb0ELb0EfNS0_19identity_decomposerEEEEE10hipError_tT0_T1_T2_jT3_P12ihipStream_tbPNSt15iterator_traitsISG_E10value_typeEPNSM_ISH_E10value_typeEPSI_NS1_7vsmem_tEENKUlT_SG_SH_SI_E_clIS7_S7_PlSB_EESF_SV_SG_SH_SI_EUlSV_E0_NS1_11comp_targetILNS1_3genE3ELNS1_11target_archE908ELNS1_3gpuE7ELNS1_3repE0EEENS1_38merge_mergepath_config_static_selectorELNS0_4arch9wavefront6targetE1EEEvSH_.num_named_barrier, 0
	.set _ZN7rocprim17ROCPRIM_400000_NS6detail17trampoline_kernelINS0_14default_configENS1_38merge_sort_block_merge_config_selectorIflEEZZNS1_27merge_sort_block_merge_implIS3_PfN6thrust23THRUST_200600_302600_NS10device_ptrIlEEjNS1_19radix_merge_compareILb0ELb0EfNS0_19identity_decomposerEEEEE10hipError_tT0_T1_T2_jT3_P12ihipStream_tbPNSt15iterator_traitsISG_E10value_typeEPNSM_ISH_E10value_typeEPSI_NS1_7vsmem_tEENKUlT_SG_SH_SI_E_clIS7_S7_PlSB_EESF_SV_SG_SH_SI_EUlSV_E0_NS1_11comp_targetILNS1_3genE3ELNS1_11target_archE908ELNS1_3gpuE7ELNS1_3repE0EEENS1_38merge_mergepath_config_static_selectorELNS0_4arch9wavefront6targetE1EEEvSH_.private_seg_size, 0
	.set _ZN7rocprim17ROCPRIM_400000_NS6detail17trampoline_kernelINS0_14default_configENS1_38merge_sort_block_merge_config_selectorIflEEZZNS1_27merge_sort_block_merge_implIS3_PfN6thrust23THRUST_200600_302600_NS10device_ptrIlEEjNS1_19radix_merge_compareILb0ELb0EfNS0_19identity_decomposerEEEEE10hipError_tT0_T1_T2_jT3_P12ihipStream_tbPNSt15iterator_traitsISG_E10value_typeEPNSM_ISH_E10value_typeEPSI_NS1_7vsmem_tEENKUlT_SG_SH_SI_E_clIS7_S7_PlSB_EESF_SV_SG_SH_SI_EUlSV_E0_NS1_11comp_targetILNS1_3genE3ELNS1_11target_archE908ELNS1_3gpuE7ELNS1_3repE0EEENS1_38merge_mergepath_config_static_selectorELNS0_4arch9wavefront6targetE1EEEvSH_.uses_vcc, 0
	.set _ZN7rocprim17ROCPRIM_400000_NS6detail17trampoline_kernelINS0_14default_configENS1_38merge_sort_block_merge_config_selectorIflEEZZNS1_27merge_sort_block_merge_implIS3_PfN6thrust23THRUST_200600_302600_NS10device_ptrIlEEjNS1_19radix_merge_compareILb0ELb0EfNS0_19identity_decomposerEEEEE10hipError_tT0_T1_T2_jT3_P12ihipStream_tbPNSt15iterator_traitsISG_E10value_typeEPNSM_ISH_E10value_typeEPSI_NS1_7vsmem_tEENKUlT_SG_SH_SI_E_clIS7_S7_PlSB_EESF_SV_SG_SH_SI_EUlSV_E0_NS1_11comp_targetILNS1_3genE3ELNS1_11target_archE908ELNS1_3gpuE7ELNS1_3repE0EEENS1_38merge_mergepath_config_static_selectorELNS0_4arch9wavefront6targetE1EEEvSH_.uses_flat_scratch, 0
	.set _ZN7rocprim17ROCPRIM_400000_NS6detail17trampoline_kernelINS0_14default_configENS1_38merge_sort_block_merge_config_selectorIflEEZZNS1_27merge_sort_block_merge_implIS3_PfN6thrust23THRUST_200600_302600_NS10device_ptrIlEEjNS1_19radix_merge_compareILb0ELb0EfNS0_19identity_decomposerEEEEE10hipError_tT0_T1_T2_jT3_P12ihipStream_tbPNSt15iterator_traitsISG_E10value_typeEPNSM_ISH_E10value_typeEPSI_NS1_7vsmem_tEENKUlT_SG_SH_SI_E_clIS7_S7_PlSB_EESF_SV_SG_SH_SI_EUlSV_E0_NS1_11comp_targetILNS1_3genE3ELNS1_11target_archE908ELNS1_3gpuE7ELNS1_3repE0EEENS1_38merge_mergepath_config_static_selectorELNS0_4arch9wavefront6targetE1EEEvSH_.has_dyn_sized_stack, 0
	.set _ZN7rocprim17ROCPRIM_400000_NS6detail17trampoline_kernelINS0_14default_configENS1_38merge_sort_block_merge_config_selectorIflEEZZNS1_27merge_sort_block_merge_implIS3_PfN6thrust23THRUST_200600_302600_NS10device_ptrIlEEjNS1_19radix_merge_compareILb0ELb0EfNS0_19identity_decomposerEEEEE10hipError_tT0_T1_T2_jT3_P12ihipStream_tbPNSt15iterator_traitsISG_E10value_typeEPNSM_ISH_E10value_typeEPSI_NS1_7vsmem_tEENKUlT_SG_SH_SI_E_clIS7_S7_PlSB_EESF_SV_SG_SH_SI_EUlSV_E0_NS1_11comp_targetILNS1_3genE3ELNS1_11target_archE908ELNS1_3gpuE7ELNS1_3repE0EEENS1_38merge_mergepath_config_static_selectorELNS0_4arch9wavefront6targetE1EEEvSH_.has_recursion, 0
	.set _ZN7rocprim17ROCPRIM_400000_NS6detail17trampoline_kernelINS0_14default_configENS1_38merge_sort_block_merge_config_selectorIflEEZZNS1_27merge_sort_block_merge_implIS3_PfN6thrust23THRUST_200600_302600_NS10device_ptrIlEEjNS1_19radix_merge_compareILb0ELb0EfNS0_19identity_decomposerEEEEE10hipError_tT0_T1_T2_jT3_P12ihipStream_tbPNSt15iterator_traitsISG_E10value_typeEPNSM_ISH_E10value_typeEPSI_NS1_7vsmem_tEENKUlT_SG_SH_SI_E_clIS7_S7_PlSB_EESF_SV_SG_SH_SI_EUlSV_E0_NS1_11comp_targetILNS1_3genE3ELNS1_11target_archE908ELNS1_3gpuE7ELNS1_3repE0EEENS1_38merge_mergepath_config_static_selectorELNS0_4arch9wavefront6targetE1EEEvSH_.has_indirect_call, 0
	.section	.AMDGPU.csdata,"",@progbits
; Kernel info:
; codeLenInByte = 0
; TotalNumSgprs: 4
; NumVgprs: 0
; ScratchSize: 0
; MemoryBound: 0
; FloatMode: 240
; IeeeMode: 1
; LDSByteSize: 0 bytes/workgroup (compile time only)
; SGPRBlocks: 0
; VGPRBlocks: 0
; NumSGPRsForWavesPerEU: 4
; NumVGPRsForWavesPerEU: 1
; Occupancy: 10
; WaveLimiterHint : 0
; COMPUTE_PGM_RSRC2:SCRATCH_EN: 0
; COMPUTE_PGM_RSRC2:USER_SGPR: 6
; COMPUTE_PGM_RSRC2:TRAP_HANDLER: 0
; COMPUTE_PGM_RSRC2:TGID_X_EN: 1
; COMPUTE_PGM_RSRC2:TGID_Y_EN: 0
; COMPUTE_PGM_RSRC2:TGID_Z_EN: 0
; COMPUTE_PGM_RSRC2:TIDIG_COMP_CNT: 0
	.section	.text._ZN7rocprim17ROCPRIM_400000_NS6detail17trampoline_kernelINS0_14default_configENS1_38merge_sort_block_merge_config_selectorIflEEZZNS1_27merge_sort_block_merge_implIS3_PfN6thrust23THRUST_200600_302600_NS10device_ptrIlEEjNS1_19radix_merge_compareILb0ELb0EfNS0_19identity_decomposerEEEEE10hipError_tT0_T1_T2_jT3_P12ihipStream_tbPNSt15iterator_traitsISG_E10value_typeEPNSM_ISH_E10value_typeEPSI_NS1_7vsmem_tEENKUlT_SG_SH_SI_E_clIS7_S7_PlSB_EESF_SV_SG_SH_SI_EUlSV_E0_NS1_11comp_targetILNS1_3genE2ELNS1_11target_archE906ELNS1_3gpuE6ELNS1_3repE0EEENS1_38merge_mergepath_config_static_selectorELNS0_4arch9wavefront6targetE1EEEvSH_,"axG",@progbits,_ZN7rocprim17ROCPRIM_400000_NS6detail17trampoline_kernelINS0_14default_configENS1_38merge_sort_block_merge_config_selectorIflEEZZNS1_27merge_sort_block_merge_implIS3_PfN6thrust23THRUST_200600_302600_NS10device_ptrIlEEjNS1_19radix_merge_compareILb0ELb0EfNS0_19identity_decomposerEEEEE10hipError_tT0_T1_T2_jT3_P12ihipStream_tbPNSt15iterator_traitsISG_E10value_typeEPNSM_ISH_E10value_typeEPSI_NS1_7vsmem_tEENKUlT_SG_SH_SI_E_clIS7_S7_PlSB_EESF_SV_SG_SH_SI_EUlSV_E0_NS1_11comp_targetILNS1_3genE2ELNS1_11target_archE906ELNS1_3gpuE6ELNS1_3repE0EEENS1_38merge_mergepath_config_static_selectorELNS0_4arch9wavefront6targetE1EEEvSH_,comdat
	.protected	_ZN7rocprim17ROCPRIM_400000_NS6detail17trampoline_kernelINS0_14default_configENS1_38merge_sort_block_merge_config_selectorIflEEZZNS1_27merge_sort_block_merge_implIS3_PfN6thrust23THRUST_200600_302600_NS10device_ptrIlEEjNS1_19radix_merge_compareILb0ELb0EfNS0_19identity_decomposerEEEEE10hipError_tT0_T1_T2_jT3_P12ihipStream_tbPNSt15iterator_traitsISG_E10value_typeEPNSM_ISH_E10value_typeEPSI_NS1_7vsmem_tEENKUlT_SG_SH_SI_E_clIS7_S7_PlSB_EESF_SV_SG_SH_SI_EUlSV_E0_NS1_11comp_targetILNS1_3genE2ELNS1_11target_archE906ELNS1_3gpuE6ELNS1_3repE0EEENS1_38merge_mergepath_config_static_selectorELNS0_4arch9wavefront6targetE1EEEvSH_ ; -- Begin function _ZN7rocprim17ROCPRIM_400000_NS6detail17trampoline_kernelINS0_14default_configENS1_38merge_sort_block_merge_config_selectorIflEEZZNS1_27merge_sort_block_merge_implIS3_PfN6thrust23THRUST_200600_302600_NS10device_ptrIlEEjNS1_19radix_merge_compareILb0ELb0EfNS0_19identity_decomposerEEEEE10hipError_tT0_T1_T2_jT3_P12ihipStream_tbPNSt15iterator_traitsISG_E10value_typeEPNSM_ISH_E10value_typeEPSI_NS1_7vsmem_tEENKUlT_SG_SH_SI_E_clIS7_S7_PlSB_EESF_SV_SG_SH_SI_EUlSV_E0_NS1_11comp_targetILNS1_3genE2ELNS1_11target_archE906ELNS1_3gpuE6ELNS1_3repE0EEENS1_38merge_mergepath_config_static_selectorELNS0_4arch9wavefront6targetE1EEEvSH_
	.globl	_ZN7rocprim17ROCPRIM_400000_NS6detail17trampoline_kernelINS0_14default_configENS1_38merge_sort_block_merge_config_selectorIflEEZZNS1_27merge_sort_block_merge_implIS3_PfN6thrust23THRUST_200600_302600_NS10device_ptrIlEEjNS1_19radix_merge_compareILb0ELb0EfNS0_19identity_decomposerEEEEE10hipError_tT0_T1_T2_jT3_P12ihipStream_tbPNSt15iterator_traitsISG_E10value_typeEPNSM_ISH_E10value_typeEPSI_NS1_7vsmem_tEENKUlT_SG_SH_SI_E_clIS7_S7_PlSB_EESF_SV_SG_SH_SI_EUlSV_E0_NS1_11comp_targetILNS1_3genE2ELNS1_11target_archE906ELNS1_3gpuE6ELNS1_3repE0EEENS1_38merge_mergepath_config_static_selectorELNS0_4arch9wavefront6targetE1EEEvSH_
	.p2align	8
	.type	_ZN7rocprim17ROCPRIM_400000_NS6detail17trampoline_kernelINS0_14default_configENS1_38merge_sort_block_merge_config_selectorIflEEZZNS1_27merge_sort_block_merge_implIS3_PfN6thrust23THRUST_200600_302600_NS10device_ptrIlEEjNS1_19radix_merge_compareILb0ELb0EfNS0_19identity_decomposerEEEEE10hipError_tT0_T1_T2_jT3_P12ihipStream_tbPNSt15iterator_traitsISG_E10value_typeEPNSM_ISH_E10value_typeEPSI_NS1_7vsmem_tEENKUlT_SG_SH_SI_E_clIS7_S7_PlSB_EESF_SV_SG_SH_SI_EUlSV_E0_NS1_11comp_targetILNS1_3genE2ELNS1_11target_archE906ELNS1_3gpuE6ELNS1_3repE0EEENS1_38merge_mergepath_config_static_selectorELNS0_4arch9wavefront6targetE1EEEvSH_,@function
_ZN7rocprim17ROCPRIM_400000_NS6detail17trampoline_kernelINS0_14default_configENS1_38merge_sort_block_merge_config_selectorIflEEZZNS1_27merge_sort_block_merge_implIS3_PfN6thrust23THRUST_200600_302600_NS10device_ptrIlEEjNS1_19radix_merge_compareILb0ELb0EfNS0_19identity_decomposerEEEEE10hipError_tT0_T1_T2_jT3_P12ihipStream_tbPNSt15iterator_traitsISG_E10value_typeEPNSM_ISH_E10value_typeEPSI_NS1_7vsmem_tEENKUlT_SG_SH_SI_E_clIS7_S7_PlSB_EESF_SV_SG_SH_SI_EUlSV_E0_NS1_11comp_targetILNS1_3genE2ELNS1_11target_archE906ELNS1_3gpuE6ELNS1_3repE0EEENS1_38merge_mergepath_config_static_selectorELNS0_4arch9wavefront6targetE1EEEvSH_: ; @_ZN7rocprim17ROCPRIM_400000_NS6detail17trampoline_kernelINS0_14default_configENS1_38merge_sort_block_merge_config_selectorIflEEZZNS1_27merge_sort_block_merge_implIS3_PfN6thrust23THRUST_200600_302600_NS10device_ptrIlEEjNS1_19radix_merge_compareILb0ELb0EfNS0_19identity_decomposerEEEEE10hipError_tT0_T1_T2_jT3_P12ihipStream_tbPNSt15iterator_traitsISG_E10value_typeEPNSM_ISH_E10value_typeEPSI_NS1_7vsmem_tEENKUlT_SG_SH_SI_E_clIS7_S7_PlSB_EESF_SV_SG_SH_SI_EUlSV_E0_NS1_11comp_targetILNS1_3genE2ELNS1_11target_archE906ELNS1_3gpuE6ELNS1_3repE0EEENS1_38merge_mergepath_config_static_selectorELNS0_4arch9wavefront6targetE1EEEvSH_
; %bb.0:
	s_load_dwordx2 s[22:23], s[4:5], 0x40
	s_load_dword s1, s[4:5], 0x30
	s_add_u32 s20, s4, 64
	s_addc_u32 s21, s5, 0
	s_waitcnt lgkmcnt(0)
	s_mul_i32 s0, s23, s8
	s_add_i32 s0, s0, s7
	s_mul_i32 s0, s0, s22
	s_add_i32 s0, s0, s6
	s_cmp_ge_u32 s0, s1
	s_cbranch_scc1 .LBB1773_60
; %bb.1:
	s_load_dwordx8 s[8:15], s[4:5], 0x10
	s_load_dwordx2 s[26:27], s[4:5], 0x8
	s_load_dwordx2 s[16:17], s[4:5], 0x38
	s_mov_b32 s1, 0
	v_mov_b32_e32 v2, 0
	s_waitcnt lgkmcnt(0)
	s_lshr_b32 s30, s14, 10
	s_cmp_lg_u32 s0, s30
	s_cselect_b64 s[2:3], -1, 0
	s_lshl_b64 s[4:5], s[0:1], 2
	s_add_u32 s16, s16, s4
	s_addc_u32 s17, s17, s5
	s_lshr_b32 s7, s15, 9
	s_and_b32 s7, s7, 0x7ffffe
	s_load_dwordx2 s[4:5], s[16:17], 0x0
	s_sub_i32 s7, 0, s7
	s_and_b32 s17, s0, s7
	s_lshl_b32 s19, s17, 10
	s_lshl_b32 s16, s0, 10
	s_lshl_b32 s17, s17, 11
	s_sub_i32 s18, s16, s19
	s_add_i32 s17, s17, s15
	s_add_i32 s23, s17, s18
	s_waitcnt lgkmcnt(0)
	s_sub_i32 s18, s23, s4
	s_sub_i32 s23, s23, s5
	;; [unrolled: 1-line block ×3, first 2 shown]
	s_min_u32 s18, s14, s18
	s_addk_i32 s23, 0x400
	s_or_b32 s7, s0, s7
	s_min_u32 s19, s14, s17
	s_add_i32 s17, s17, s15
	s_cmp_eq_u32 s7, -1
	s_cselect_b32 s5, s19, s5
	s_cselect_b32 s7, s17, s23
	s_sub_i32 s15, s5, s4
	s_mov_b32 s5, s1
	s_min_u32 s17, s7, s14
	s_lshl_b64 s[24:25], s[4:5], 2
	s_add_u32 s24, s26, s24
	s_mov_b32 s19, s1
	s_addc_u32 s25, s27, s25
	s_lshl_b64 s[28:29], s[18:19], 2
	s_add_u32 s23, s26, s28
	global_load_dword v1, v2, s[20:21] offset:14
	s_addc_u32 s26, s27, s29
	s_cmp_lt_u32 s6, s22
	s_cselect_b32 s1, 12, 18
	s_add_u32 s6, s20, s1
	s_addc_u32 s7, s21, 0
	global_load_ushort v3, v2, s[6:7]
	s_cmp_eq_u32 s0, s30
	v_lshlrev_b32_e32 v17, 2, v0
	s_waitcnt vmcnt(1)
	v_lshrrev_b32_e32 v4, 16, v1
	v_and_b32_e32 v1, 0xffff, v1
	v_mul_lo_u32 v1, v1, v4
	s_waitcnt vmcnt(0)
	v_mul_lo_u32 v19, v1, v3
	v_add_u32_e32 v15, v19, v0
	v_add_u32_e32 v13, v15, v19
	s_cbranch_scc1 .LBB1773_3
; %bb.2:
	v_mov_b32_e32 v1, s25
	v_add_co_u32_e32 v5, vcc, s24, v17
	v_addc_co_u32_e32 v6, vcc, 0, v1, vcc
	v_subrev_co_u32_e32 v1, vcc, s15, v0
	v_lshlrev_b64 v[3:4], 2, v[1:2]
	v_mov_b32_e32 v1, s26
	v_add_co_u32_e64 v3, s[0:1], s23, v3
	v_addc_co_u32_e64 v1, s[0:1], v1, v4, s[0:1]
	v_cndmask_b32_e32 v4, v1, v6, vcc
	v_cndmask_b32_e32 v3, v3, v5, vcc
	v_mov_b32_e32 v16, v2
	global_load_dword v9, v[3:4], off
	v_lshlrev_b64 v[3:4], 2, v[15:16]
	v_mov_b32_e32 v1, s25
	v_add_co_u32_e32 v5, vcc, s24, v3
	v_addc_co_u32_e32 v6, vcc, v1, v4, vcc
	v_subrev_co_u32_e32 v1, vcc, s15, v15
	v_lshlrev_b64 v[3:4], 2, v[1:2]
	v_mov_b32_e32 v1, s26
	v_add_co_u32_e64 v3, s[0:1], s23, v3
	v_addc_co_u32_e64 v1, s[0:1], v1, v4, s[0:1]
	v_cndmask_b32_e32 v4, v1, v6, vcc
	v_cndmask_b32_e32 v3, v3, v5, vcc
	v_mov_b32_e32 v14, v2
	global_load_dword v10, v[3:4], off
	v_lshlrev_b64 v[3:4], 2, v[13:14]
	v_mov_b32_e32 v1, s25
	v_add_co_u32_e32 v3, vcc, s24, v3
	v_addc_co_u32_e32 v4, vcc, v1, v4, vcc
	v_subrev_co_u32_e32 v1, vcc, s15, v13
	v_lshlrev_b64 v[1:2], 2, v[1:2]
	v_mov_b32_e32 v5, s26
	v_add_co_u32_e64 v1, s[0:1], s23, v1
	v_addc_co_u32_e64 v2, s[0:1], v5, v2, s[0:1]
	v_cndmask_b32_e32 v2, v2, v4, vcc
	v_cndmask_b32_e32 v1, v1, v3, vcc
	global_load_dword v11, v[1:2], off
	v_add_u32_e32 v1, v13, v19
	s_mov_b64 s[0:1], -1
	s_sub_i32 s17, s17, s18
	s_cbranch_execz .LBB1773_4
	s_branch .LBB1773_9
.LBB1773_3:
	s_mov_b64 s[0:1], 0
                                        ; implicit-def: $vgpr1
                                        ; implicit-def: $vgpr9_vgpr10_vgpr11_vgpr12
	s_sub_i32 s17, s17, s18
.LBB1773_4:
	s_add_i32 s20, s17, s15
	s_waitcnt vmcnt(2)
	v_mov_b32_e32 v9, 0
	v_cmp_gt_u32_e32 vcc, s20, v0
	s_waitcnt vmcnt(1)
	v_mov_b32_e32 v10, v9
	s_waitcnt vmcnt(0)
	v_mov_b32_e32 v11, v9
	v_mov_b32_e32 v12, v9
	s_and_saveexec_b64 s[6:7], vcc
	s_cbranch_execnz .LBB1773_61
; %bb.5:
	s_or_b64 exec, exec, s[6:7]
	v_cmp_gt_u32_e32 vcc, s20, v15
	s_and_saveexec_b64 s[6:7], vcc
	s_cbranch_execnz .LBB1773_62
.LBB1773_6:
	s_or_b64 exec, exec, s[6:7]
	v_cmp_gt_u32_e32 vcc, s20, v13
	s_and_saveexec_b64 s[6:7], vcc
	s_cbranch_execz .LBB1773_8
.LBB1773_7:
	v_mov_b32_e32 v14, 0
	v_lshlrev_b64 v[1:2], 2, v[13:14]
	v_mov_b32_e32 v3, s25
	v_add_co_u32_e32 v4, vcc, s24, v1
	v_addc_co_u32_e32 v3, vcc, v3, v2, vcc
	v_subrev_co_u32_e32 v1, vcc, s15, v13
	v_mov_b32_e32 v2, v14
	v_lshlrev_b64 v[1:2], 2, v[1:2]
	v_mov_b32_e32 v5, s26
	v_add_co_u32_e64 v1, s[0:1], s23, v1
	v_addc_co_u32_e64 v2, s[0:1], v5, v2, s[0:1]
	v_cndmask_b32_e32 v2, v2, v3, vcc
	v_cndmask_b32_e32 v1, v1, v4, vcc
	global_load_dword v11, v[1:2], off
.LBB1773_8:
	s_or_b64 exec, exec, s[6:7]
	v_add_u32_e32 v1, v13, v19
	v_cmp_gt_u32_e64 s[0:1], s20, v1
.LBB1773_9:
	s_and_saveexec_b64 s[6:7], s[0:1]
	s_cbranch_execz .LBB1773_11
; %bb.10:
	v_mov_b32_e32 v2, 0
	v_lshlrev_b64 v[3:4], 2, v[1:2]
	v_mov_b32_e32 v5, s25
	v_add_co_u32_e32 v3, vcc, s24, v3
	v_addc_co_u32_e32 v4, vcc, v5, v4, vcc
	v_subrev_co_u32_e32 v1, vcc, s15, v1
	v_lshlrev_b64 v[1:2], 2, v[1:2]
	v_mov_b32_e32 v5, s26
	v_add_co_u32_e64 v1, s[0:1], s23, v1
	v_addc_co_u32_e64 v2, s[0:1], v5, v2, s[0:1]
	v_cndmask_b32_e32 v2, v2, v4, vcc
	v_cndmask_b32_e32 v1, v1, v3, vcc
	global_load_dword v12, v[1:2], off
.LBB1773_11:
	s_or_b64 exec, exec, s[6:7]
	s_lshl_b64 s[0:1], s[4:5], 3
	s_add_u32 s20, s10, s0
	s_addc_u32 s21, s11, s1
	s_lshl_b64 s[0:1], s[18:19], 3
	s_add_u32 s6, s10, s0
	v_mov_b32_e32 v8, 0
	s_addc_u32 s7, s11, s1
	s_andn2_b64 vcc, exec, s[2:3]
	v_lshlrev_b32_e32 v18, 3, v0
	s_waitcnt vmcnt(0)
	ds_write2st64_b32 v17, v9, v10 offset1:4
	ds_write2st64_b32 v17, v11, v12 offset0:8 offset1:12
	s_cbranch_vccnz .LBB1773_13
; %bb.12:
	v_mov_b32_e32 v1, s21
	v_add_co_u32_e32 v3, vcc, s20, v18
	v_addc_co_u32_e32 v4, vcc, 0, v1, vcc
	v_subrev_co_u32_e32 v7, vcc, s15, v0
	v_lshlrev_b64 v[1:2], 3, v[7:8]
	v_mov_b32_e32 v5, s7
	v_add_co_u32_e64 v1, s[0:1], s6, v1
	v_addc_co_u32_e64 v2, s[0:1], v5, v2, s[0:1]
	v_mov_b32_e32 v16, v8
	v_cndmask_b32_e32 v2, v2, v4, vcc
	v_cndmask_b32_e32 v1, v1, v3, vcc
	v_lshlrev_b64 v[3:4], 3, v[15:16]
	v_mov_b32_e32 v5, s21
	v_add_co_u32_e32 v6, vcc, s20, v3
	v_addc_co_u32_e32 v5, vcc, v5, v4, vcc
	v_subrev_co_u32_e32 v7, vcc, s15, v15
	v_lshlrev_b64 v[3:4], 3, v[7:8]
	v_mov_b32_e32 v7, s7
	v_add_co_u32_e64 v3, s[0:1], s6, v3
	v_addc_co_u32_e64 v4, s[0:1], v7, v4, s[0:1]
	v_mov_b32_e32 v14, v8
	v_cndmask_b32_e32 v4, v4, v5, vcc
	v_cndmask_b32_e32 v3, v3, v6, vcc
	v_lshlrev_b64 v[5:6], 3, v[13:14]
	v_mov_b32_e32 v7, s21
	v_add_co_u32_e32 v14, vcc, s20, v5
	v_addc_co_u32_e32 v16, vcc, v7, v6, vcc
	v_subrev_co_u32_e32 v7, vcc, s15, v13
	v_lshlrev_b64 v[5:6], 3, v[7:8]
	v_mov_b32_e32 v7, s7
	v_add_co_u32_e64 v5, s[0:1], s6, v5
	v_addc_co_u32_e64 v6, s[0:1], v7, v6, s[0:1]
	v_add_u32_e32 v7, v13, v19
	v_lshlrev_b64 v[20:21], 3, v[7:8]
	v_cndmask_b32_e32 v6, v6, v16, vcc
	v_cndmask_b32_e32 v5, v5, v14, vcc
	v_mov_b32_e32 v14, s21
	v_add_co_u32_e32 v16, vcc, s20, v20
	v_addc_co_u32_e32 v14, vcc, v14, v21, vcc
	v_subrev_co_u32_e32 v7, vcc, s15, v7
	v_lshlrev_b64 v[7:8], 3, v[7:8]
	v_mov_b32_e32 v20, s7
	v_add_co_u32_e64 v7, s[0:1], s6, v7
	v_addc_co_u32_e64 v8, s[0:1], v20, v8, s[0:1]
	v_cndmask_b32_e32 v8, v8, v14, vcc
	v_cndmask_b32_e32 v7, v7, v16, vcc
	global_load_dwordx2 v[1:2], v[1:2], off
	s_add_i32 s22, s17, s15
	global_load_dwordx2 v[3:4], v[3:4], off
	s_nop 0
	global_load_dwordx2 v[5:6], v[5:6], off
	s_nop 0
	global_load_dwordx2 v[7:8], v[7:8], off
	s_cbranch_execz .LBB1773_14
	s_branch .LBB1773_21
.LBB1773_13:
                                        ; implicit-def: $vgpr1_vgpr2_vgpr3_vgpr4_vgpr5_vgpr6_vgpr7_vgpr8
                                        ; implicit-def: $sgpr22
.LBB1773_14:
	s_add_i32 s22, s17, s15
	s_waitcnt vmcnt(3)
	v_mov_b32_e32 v1, 0
	v_cmp_gt_u32_e32 vcc, s22, v0
	v_mov_b32_e32 v2, v1
	s_waitcnt vmcnt(2)
	v_mov_b32_e32 v3, v1
	v_mov_b32_e32 v4, v1
	s_waitcnt vmcnt(1)
	v_mov_b32_e32 v5, v1
	;; [unrolled: 3-line block ×3, first 2 shown]
	v_mov_b32_e32 v8, v1
	s_and_saveexec_b64 s[4:5], vcc
	s_cbranch_execnz .LBB1773_63
; %bb.15:
	s_or_b64 exec, exec, s[4:5]
	v_cmp_gt_u32_e32 vcc, s22, v15
	s_and_saveexec_b64 s[4:5], vcc
	s_cbranch_execnz .LBB1773_64
.LBB1773_16:
	s_or_b64 exec, exec, s[4:5]
	v_cmp_gt_u32_e32 vcc, s22, v13
	s_and_saveexec_b64 s[4:5], vcc
	s_cbranch_execz .LBB1773_18
.LBB1773_17:
	v_mov_b32_e32 v14, 0
	v_lshlrev_b64 v[5:6], 3, v[13:14]
	v_mov_b32_e32 v15, s21
	v_add_co_u32_e32 v16, vcc, s20, v5
	v_addc_co_u32_e32 v15, vcc, v15, v6, vcc
	v_subrev_co_u32_e32 v5, vcc, s15, v13
	v_mov_b32_e32 v6, v14
	v_lshlrev_b64 v[5:6], 3, v[5:6]
	v_mov_b32_e32 v14, s7
	v_add_co_u32_e64 v5, s[0:1], s6, v5
	v_addc_co_u32_e64 v6, s[0:1], v14, v6, s[0:1]
	v_cndmask_b32_e32 v6, v6, v15, vcc
	v_cndmask_b32_e32 v5, v5, v16, vcc
	global_load_dwordx2 v[5:6], v[5:6], off
.LBB1773_18:
	s_or_b64 exec, exec, s[4:5]
	v_add_u32_e32 v13, v13, v19
	v_cmp_gt_u32_e32 vcc, s22, v13
	s_and_saveexec_b64 s[4:5], vcc
	s_cbranch_execz .LBB1773_20
; %bb.19:
	v_mov_b32_e32 v14, 0
	v_lshlrev_b64 v[7:8], 3, v[13:14]
	v_mov_b32_e32 v15, s21
	v_add_co_u32_e32 v16, vcc, s20, v7
	v_addc_co_u32_e32 v15, vcc, v15, v8, vcc
	v_subrev_co_u32_e32 v13, vcc, s15, v13
	v_lshlrev_b64 v[7:8], 3, v[13:14]
	v_mov_b32_e32 v13, s7
	v_add_co_u32_e64 v7, s[0:1], s6, v7
	v_addc_co_u32_e64 v8, s[0:1], v13, v8, s[0:1]
	v_cndmask_b32_e32 v8, v8, v15, vcc
	v_cndmask_b32_e32 v7, v7, v16, vcc
	global_load_dwordx2 v[7:8], v[7:8], off
.LBB1773_20:
	s_or_b64 exec, exec, s[4:5]
.LBB1773_21:
	v_min_u32_e32 v13, s22, v17
	v_sub_u32_e64 v15, v13, s17 clamp
	v_min_u32_e32 v14, s15, v13
	v_cmp_lt_u32_e32 vcc, v15, v14
	s_waitcnt vmcnt(0) lgkmcnt(0)
	s_barrier
	s_and_saveexec_b64 s[0:1], vcc
	s_cbranch_execz .LBB1773_25
; %bb.22:
	v_lshlrev_b32_e32 v16, 2, v13
	v_lshl_add_u32 v16, s15, 2, v16
	s_mov_b64 s[4:5], 0
.LBB1773_23:                            ; =>This Inner Loop Header: Depth=1
	v_add_u32_e32 v19, v14, v15
	v_lshrrev_b32_e32 v19, 1, v19
	v_not_b32_e32 v20, v19
	v_lshlrev_b32_e32 v21, 2, v19
	v_lshl_add_u32 v20, v20, 2, v16
	ds_read_b32 v21, v21
	ds_read_b32 v20, v20
	v_add_u32_e32 v22, 1, v19
	s_waitcnt lgkmcnt(1)
	v_add_f32_e32 v21, 0, v21
	s_waitcnt lgkmcnt(0)
	v_add_f32_e32 v20, 0, v20
	v_ashrrev_i32_e32 v23, 31, v21
	v_or_b32_e32 v23, 0x80000000, v23
	v_ashrrev_i32_e32 v24, 31, v20
	v_xor_b32_e32 v21, v23, v21
	v_or_b32_e32 v23, 0x80000000, v24
	v_xor_b32_e32 v20, v23, v20
	v_cmp_gt_u32_e32 vcc, v21, v20
	v_cndmask_b32_e32 v14, v14, v19, vcc
	v_cndmask_b32_e32 v15, v22, v15, vcc
	v_cmp_ge_u32_e32 vcc, v15, v14
	s_or_b64 s[4:5], vcc, s[4:5]
	s_andn2_b64 exec, exec, s[4:5]
	s_cbranch_execnz .LBB1773_23
; %bb.24:
	s_or_b64 exec, exec, s[4:5]
.LBB1773_25:
	s_or_b64 exec, exec, s[0:1]
	v_sub_u32_e32 v13, v13, v15
	v_add_u32_e32 v20, s15, v13
	v_cmp_ge_u32_e32 vcc, s15, v15
	v_cmp_ge_u32_e64 s[0:1], s22, v20
	s_or_b64 s[0:1], vcc, s[0:1]
	v_mov_b32_e32 v16, 0
	v_mov_b32_e32 v19, 0
	;; [unrolled: 1-line block ×4, first 2 shown]
	s_and_saveexec_b64 s[4:5], s[0:1]
	s_cbranch_execz .LBB1773_45
; %bb.26:
	v_cmp_le_u32_e32 vcc, s15, v15
	v_cmp_gt_u32_e64 s[0:1], s15, v15
                                        ; implicit-def: $vgpr9
	s_and_saveexec_b64 s[6:7], s[0:1]
; %bb.27:
	v_lshlrev_b32_e32 v9, 2, v15
	ds_read_b32 v9, v9
; %bb.28:
	s_or_b64 exec, exec, s[6:7]
	v_cmp_le_u32_e64 s[6:7], s22, v20
	v_cmp_gt_u32_e64 s[0:1], s22, v20
                                        ; implicit-def: $vgpr12
	s_and_saveexec_b64 s[10:11], s[0:1]
; %bb.29:
	v_lshlrev_b32_e32 v10, 2, v20
	ds_read_b32 v12, v10
; %bb.30:
	s_or_b64 exec, exec, s[10:11]
	s_nor_b64 s[10:11], vcc, s[6:7]
	s_and_saveexec_b64 s[0:1], s[10:11]
	s_cbranch_execz .LBB1773_32
; %bb.31:
	s_waitcnt lgkmcnt(0)
	v_add_f32_e32 v10, 0, v9
	v_ashrrev_i32_e32 v13, 31, v10
	v_add_f32_e32 v11, 0, v12
	v_or_b32_e32 v13, 0x80000000, v13
	v_xor_b32_e32 v10, v13, v10
	v_ashrrev_i32_e32 v13, 31, v11
	v_or_b32_e32 v13, 0x80000000, v13
	v_xor_b32_e32 v11, v13, v11
	v_cmp_le_u32_e32 vcc, v10, v11
	s_andn2_b64 s[6:7], s[6:7], exec
	s_and_b64 s[10:11], vcc, exec
	s_or_b64 s[6:7], s[6:7], s[10:11]
.LBB1773_32:
	s_or_b64 exec, exec, s[0:1]
	v_mov_b32_e32 v10, s22
	v_mov_b32_e32 v11, s15
	v_cndmask_b32_e64 v13, v20, v15, s[6:7]
	v_cndmask_b32_e64 v10, v10, v11, s[6:7]
	v_add_u32_e32 v11, 1, v13
	v_add_u32_e32 v10, -1, v10
	v_min_u32_e32 v10, v11, v10
	v_lshlrev_b32_e32 v10, 2, v10
	ds_read_b32 v14, v10
	v_cndmask_b32_e64 v19, v11, v20, s[6:7]
	v_cndmask_b32_e64 v20, v15, v11, s[6:7]
	v_cmp_gt_u32_e32 vcc, s22, v19
	s_mov_b64 s[10:11], -1
	s_waitcnt lgkmcnt(0)
	v_cndmask_b32_e64 v10, v14, v12, s[6:7]
	v_cndmask_b32_e64 v16, v9, v14, s[6:7]
	s_mov_b64 s[0:1], -1
	s_and_saveexec_b64 s[18:19], vcc
	s_cbranch_execz .LBB1773_36
; %bb.33:
	v_cmp_gt_u32_e32 vcc, s15, v20
	s_mov_b64 s[20:21], 0
	s_and_saveexec_b64 s[0:1], vcc
	s_cbranch_execz .LBB1773_35
; %bb.34:
	v_add_f32_e32 v11, 0, v16
	v_ashrrev_i32_e32 v15, 31, v11
	v_add_f32_e32 v14, 0, v10
	v_or_b32_e32 v15, 0x80000000, v15
	v_xor_b32_e32 v11, v15, v11
	v_ashrrev_i32_e32 v15, 31, v14
	v_or_b32_e32 v15, 0x80000000, v15
	v_xor_b32_e32 v14, v15, v14
	v_cmp_le_u32_e32 vcc, v11, v14
	s_and_b64 s[20:21], vcc, exec
.LBB1773_35:
	s_or_b64 exec, exec, s[0:1]
	s_orn2_b64 s[0:1], s[20:21], exec
.LBB1773_36:
	s_or_b64 exec, exec, s[18:19]
	v_mov_b32_e32 v11, s22
	v_mov_b32_e32 v15, s15
	v_cndmask_b32_e64 v14, v19, v20, s[0:1]
	v_cndmask_b32_e64 v11, v11, v15, s[0:1]
	v_add_u32_e32 v22, 1, v14
	v_add_u32_e32 v11, -1, v11
	v_min_u32_e32 v11, v22, v11
	v_lshlrev_b32_e32 v11, 2, v11
	ds_read_b32 v15, v11
	v_cndmask_b32_e64 v21, v22, v19, s[0:1]
	v_cndmask_b32_e64 v20, v20, v22, s[0:1]
	v_cmp_gt_u32_e32 vcc, s22, v21
	s_waitcnt lgkmcnt(0)
	v_cndmask_b32_e64 v11, v15, v10, s[0:1]
	v_cndmask_b32_e64 v15, v16, v15, s[0:1]
	s_and_saveexec_b64 s[18:19], vcc
	s_cbranch_execz .LBB1773_40
; %bb.37:
	v_cmp_gt_u32_e32 vcc, s15, v20
	s_mov_b64 s[20:21], 0
	s_and_saveexec_b64 s[10:11], vcc
	s_cbranch_execz .LBB1773_39
; %bb.38:
	v_add_f32_e32 v19, 0, v15
	v_ashrrev_i32_e32 v23, 31, v19
	v_add_f32_e32 v22, 0, v11
	v_or_b32_e32 v23, 0x80000000, v23
	v_xor_b32_e32 v19, v23, v19
	v_ashrrev_i32_e32 v23, 31, v22
	v_or_b32_e32 v23, 0x80000000, v23
	v_xor_b32_e32 v22, v23, v22
	v_cmp_le_u32_e32 vcc, v19, v22
	s_and_b64 s[20:21], vcc, exec
.LBB1773_39:
	s_or_b64 exec, exec, s[10:11]
	s_orn2_b64 s[10:11], s[20:21], exec
.LBB1773_40:
	s_or_b64 exec, exec, s[18:19]
	v_mov_b32_e32 v22, s22
	v_mov_b32_e32 v23, s15
	v_cndmask_b32_e64 v19, v21, v20, s[10:11]
	v_cndmask_b32_e64 v22, v22, v23, s[10:11]
	v_add_u32_e32 v24, 1, v19
	v_add_u32_e32 v22, -1, v22
	v_min_u32_e32 v22, v24, v22
	v_lshlrev_b32_e32 v22, 2, v22
	ds_read_b32 v23, v22
	v_cndmask_b32_e64 v21, v24, v21, s[10:11]
	v_cndmask_b32_e64 v20, v20, v24, s[10:11]
	v_cmp_gt_u32_e32 vcc, s22, v21
	s_mov_b64 s[20:21], -1
	s_waitcnt lgkmcnt(0)
	v_cndmask_b32_e64 v22, v23, v11, s[10:11]
	v_cndmask_b32_e64 v23, v15, v23, s[10:11]
	s_and_saveexec_b64 s[18:19], vcc
	s_cbranch_execz .LBB1773_44
; %bb.41:
	v_cmp_gt_u32_e32 vcc, s15, v20
	s_mov_b64 s[22:23], 0
	s_and_saveexec_b64 s[20:21], vcc
	s_cbranch_execz .LBB1773_43
; %bb.42:
	v_add_f32_e32 v24, 0, v23
	v_ashrrev_i32_e32 v26, 31, v24
	v_add_f32_e32 v25, 0, v22
	v_or_b32_e32 v26, 0x80000000, v26
	v_xor_b32_e32 v24, v26, v24
	v_ashrrev_i32_e32 v26, 31, v25
	v_or_b32_e32 v26, 0x80000000, v26
	v_xor_b32_e32 v25, v26, v25
	v_cmp_le_u32_e32 vcc, v24, v25
	s_and_b64 s[22:23], vcc, exec
.LBB1773_43:
	s_or_b64 exec, exec, s[20:21]
	s_orn2_b64 s[20:21], s[22:23], exec
.LBB1773_44:
	s_or_b64 exec, exec, s[18:19]
	v_cndmask_b32_e64 v11, v11, v15, s[10:11]
	v_cndmask_b32_e64 v10, v10, v16, s[0:1]
	v_cndmask_b32_e64 v9, v12, v9, s[6:7]
	v_cndmask_b32_e64 v16, v21, v20, s[20:21]
	v_cndmask_b32_e64 v12, v22, v23, s[20:21]
.LBB1773_45:
	s_or_b64 exec, exec, s[4:5]
	v_add_u32_e32 v24, v17, v17
	s_barrier
	ds_write2st64_b64 v24, v[1:2], v[3:4] offset1:4
	ds_write2st64_b64 v24, v[5:6], v[7:8] offset0:8 offset1:12
	v_lshlrev_b32_e32 v1, 3, v13
	v_lshlrev_b32_e32 v2, 3, v14
	;; [unrolled: 1-line block ×4, first 2 shown]
	s_waitcnt lgkmcnt(0)
	s_barrier
	ds_read_b64 v[5:6], v1
	ds_read_b64 v[7:8], v2
	;; [unrolled: 1-line block ×4, first 2 shown]
	s_mov_b32 s17, 0
	s_lshl_b64 s[0:1], s[16:17], 2
	v_lshrrev_b32_e32 v13, 3, v0
	s_add_u32 s0, s8, s0
	v_add_u32_e32 v15, v13, v17
	s_addc_u32 s1, s9, s1
	v_lshlrev_b32_e32 v16, 2, v15
	s_waitcnt lgkmcnt(0)
	s_barrier
	s_barrier
	ds_write2_b32 v16, v9, v10 offset1:1
	ds_write2_b32 v16, v11, v12 offset0:2 offset1:3
	v_or_b32_e32 v23, 0x100, v0
	v_or_b32_e32 v22, 0x200, v0
	;; [unrolled: 1-line block ×3, first 2 shown]
	v_mov_b32_e32 v10, s1
	v_add_co_u32_e32 v9, vcc, s0, v17
	v_lshrrev_b32_e32 v13, 5, v0
	v_lshrrev_b32_e32 v11, 5, v23
	;; [unrolled: 1-line block ×4, first 2 shown]
	v_addc_co_u32_e32 v10, vcc, 0, v10, vcc
	v_lshl_add_u32 v14, v13, 2, v17
	v_lshl_add_u32 v25, v11, 2, v17
	;; [unrolled: 1-line block ×4, first 2 shown]
	s_and_b64 vcc, exec, s[2:3]
	v_lshl_add_u32 v17, v11, 3, v24
	v_lshl_add_u32 v19, v12, 3, v24
	;; [unrolled: 1-line block ×3, first 2 shown]
	s_waitcnt lgkmcnt(0)
	s_cbranch_vccz .LBB1773_47
; %bb.46:
	s_barrier
	ds_read_b32 v11, v14
	ds_read_b32 v12, v25 offset:1024
	ds_read_b32 v28, v26 offset:2048
	;; [unrolled: 1-line block ×3, first 2 shown]
	s_lshl_b64 s[0:1], s[16:17], 3
	s_add_u32 s0, s12, s0
	s_waitcnt lgkmcnt(3)
	global_store_dword v[9:10], v11, off
	s_waitcnt lgkmcnt(2)
	global_store_dword v[9:10], v12, off offset:1024
	s_waitcnt lgkmcnt(1)
	global_store_dword v[9:10], v28, off offset:2048
	;; [unrolled: 2-line block ×3, first 2 shown]
	v_lshlrev_b32_e32 v11, 3, v15
	s_waitcnt vmcnt(0)
	s_barrier
	ds_write2_b64 v11, v[5:6], v[7:8] offset1:1
	ds_write2_b64 v11, v[1:2], v[3:4] offset0:2 offset1:3
	v_lshl_add_u32 v11, v13, 3, v24
	s_addc_u32 s1, s13, s1
	s_waitcnt lgkmcnt(0)
	s_barrier
	ds_read_b64 v[28:29], v11
	ds_read_b64 v[30:31], v17 offset:2048
	ds_read_b64 v[32:33], v19 offset:4096
	;; [unrolled: 1-line block ×3, first 2 shown]
	v_mov_b32_e32 v24, s1
	v_add_co_u32_e32 v34, vcc, s0, v18
	v_addc_co_u32_e32 v24, vcc, 0, v24, vcc
	s_waitcnt lgkmcnt(3)
	global_store_dwordx2 v18, v[28:29], s[0:1]
	s_waitcnt lgkmcnt(2)
	global_store_dwordx2 v18, v[30:31], s[0:1] offset:2048
	v_add_co_u32_e32 v28, vcc, 0x1000, v34
	v_addc_co_u32_e32 v29, vcc, 0, v24, vcc
	s_waitcnt lgkmcnt(1)
	global_store_dwordx2 v[28:29], v[32:33], off
	s_mov_b64 s[6:7], -1
	s_cbranch_execz .LBB1773_48
	s_branch .LBB1773_58
.LBB1773_47:
	s_mov_b64 s[6:7], 0
                                        ; implicit-def: $vgpr11_vgpr12
.LBB1773_48:
	s_waitcnt vmcnt(0) lgkmcnt(0)
	s_barrier
	ds_read_b32 v24, v25 offset:1024
	ds_read_b32 v12, v26 offset:2048
	ds_read_b32 v11, v27 offset:3072
	s_sub_i32 s6, s14, s16
	v_cmp_gt_u32_e32 vcc, s6, v0
	s_and_saveexec_b64 s[0:1], vcc
	s_cbranch_execnz .LBB1773_65
; %bb.49:
	s_or_b64 exec, exec, s[0:1]
	v_cmp_gt_u32_e64 s[0:1], s6, v23
	s_and_saveexec_b64 s[2:3], s[0:1]
	s_cbranch_execnz .LBB1773_66
.LBB1773_50:
	s_or_b64 exec, exec, s[2:3]
	v_cmp_gt_u32_e64 s[2:3], s6, v22
	s_and_saveexec_b64 s[4:5], s[2:3]
	s_cbranch_execnz .LBB1773_67
.LBB1773_51:
	s_or_b64 exec, exec, s[4:5]
	v_cmp_gt_u32_e64 s[6:7], s6, v21
	s_and_saveexec_b64 s[4:5], s[6:7]
	s_cbranch_execz .LBB1773_53
.LBB1773_52:
	s_waitcnt lgkmcnt(0)
	global_store_dword v[9:10], v11, off offset:3072
.LBB1773_53:
	s_or_b64 exec, exec, s[4:5]
	v_lshl_add_u32 v9, v15, 2, v16
	s_waitcnt vmcnt(0) lgkmcnt(0)
	s_barrier
	ds_write2_b64 v9, v[5:6], v[7:8] offset1:1
	ds_write2_b64 v9, v[1:2], v[3:4] offset0:2 offset1:3
	s_waitcnt lgkmcnt(0)
	s_barrier
	ds_read_b64 v[5:6], v17 offset:2048
	ds_read_b64 v[1:2], v19 offset:4096
	;; [unrolled: 1-line block ×3, first 2 shown]
	s_lshl_b64 s[4:5], s[16:17], 3
	s_add_u32 s4, s12, s4
	s_addc_u32 s5, s13, s5
	v_mov_b32_e32 v4, s5
	v_add_co_u32_e64 v3, s[4:5], s4, v18
	v_addc_co_u32_e64 v4, s[4:5], 0, v4, s[4:5]
	s_and_saveexec_b64 s[4:5], vcc
	s_cbranch_execnz .LBB1773_68
; %bb.54:
	s_or_b64 exec, exec, s[4:5]
	s_and_saveexec_b64 s[4:5], s[0:1]
	s_cbranch_execnz .LBB1773_69
.LBB1773_55:
	s_or_b64 exec, exec, s[4:5]
	s_and_saveexec_b64 s[0:1], s[2:3]
	s_cbranch_execz .LBB1773_57
.LBB1773_56:
	v_add_co_u32_e32 v3, vcc, 0x1000, v3
	v_addc_co_u32_e32 v4, vcc, 0, v4, vcc
	s_waitcnt lgkmcnt(1)
	global_store_dwordx2 v[3:4], v[1:2], off
.LBB1773_57:
	s_or_b64 exec, exec, s[0:1]
.LBB1773_58:
	s_and_saveexec_b64 s[0:1], s[6:7]
	s_cbranch_execz .LBB1773_60
; %bb.59:
	s_lshl_b64 s[0:1], s[16:17], 3
	s_add_u32 s0, s12, s0
	s_addc_u32 s1, s13, s1
	v_mov_b32_e32 v0, s1
	s_waitcnt lgkmcnt(1)
	v_add_co_u32_e32 v1, vcc, s0, v18
	v_addc_co_u32_e32 v2, vcc, 0, v0, vcc
	v_add_co_u32_e32 v0, vcc, 0x1000, v1
	v_addc_co_u32_e32 v1, vcc, 0, v2, vcc
	s_waitcnt lgkmcnt(0)
	global_store_dwordx2 v[0:1], v[11:12], off offset:2048
.LBB1773_60:
	s_endpgm
.LBB1773_61:
	v_mov_b32_e32 v1, s25
	v_add_co_u32_e32 v3, vcc, s24, v17
	v_addc_co_u32_e32 v4, vcc, 0, v1, vcc
	v_subrev_co_u32_e32 v1, vcc, s15, v0
	v_mov_b32_e32 v2, v9
	v_lshlrev_b64 v[1:2], 2, v[1:2]
	v_mov_b32_e32 v5, s26
	v_add_co_u32_e64 v1, s[0:1], s23, v1
	v_addc_co_u32_e64 v2, s[0:1], v5, v2, s[0:1]
	v_cndmask_b32_e32 v2, v2, v4, vcc
	v_cndmask_b32_e32 v1, v1, v3, vcc
	global_load_dword v1, v[1:2], off
	v_mov_b32_e32 v4, v9
	v_mov_b32_e32 v2, v9
	v_mov_b32_e32 v3, v9
	s_waitcnt vmcnt(0)
	v_mov_b32_e32 v12, v4
	v_mov_b32_e32 v11, v3
	;; [unrolled: 1-line block ×4, first 2 shown]
	s_or_b64 exec, exec, s[6:7]
	v_cmp_gt_u32_e32 vcc, s20, v15
	s_and_saveexec_b64 s[6:7], vcc
	s_cbranch_execz .LBB1773_6
.LBB1773_62:
	v_mov_b32_e32 v16, 0
	v_lshlrev_b64 v[1:2], 2, v[15:16]
	v_mov_b32_e32 v3, s25
	v_add_co_u32_e32 v4, vcc, s24, v1
	v_addc_co_u32_e32 v3, vcc, v3, v2, vcc
	v_subrev_co_u32_e32 v1, vcc, s15, v15
	v_mov_b32_e32 v2, v16
	v_lshlrev_b64 v[1:2], 2, v[1:2]
	v_mov_b32_e32 v5, s26
	v_add_co_u32_e64 v1, s[0:1], s23, v1
	v_addc_co_u32_e64 v2, s[0:1], v5, v2, s[0:1]
	v_cndmask_b32_e32 v2, v2, v3, vcc
	v_cndmask_b32_e32 v1, v1, v4, vcc
	global_load_dword v10, v[1:2], off
	s_or_b64 exec, exec, s[6:7]
	v_cmp_gt_u32_e32 vcc, s20, v13
	s_and_saveexec_b64 s[6:7], vcc
	s_cbranch_execnz .LBB1773_7
	s_branch .LBB1773_8
.LBB1773_63:
	v_mov_b32_e32 v2, s21
	v_add_co_u32_e32 v4, vcc, s20, v18
	v_addc_co_u32_e32 v5, vcc, 0, v2, vcc
	v_subrev_co_u32_e32 v2, vcc, s15, v0
	v_mov_b32_e32 v3, v1
	v_lshlrev_b64 v[2:3], 3, v[2:3]
	v_mov_b32_e32 v6, s7
	v_add_co_u32_e64 v2, s[0:1], s6, v2
	v_addc_co_u32_e64 v3, s[0:1], v6, v3, s[0:1]
	v_cndmask_b32_e32 v3, v3, v5, vcc
	v_cndmask_b32_e32 v2, v2, v4, vcc
	global_load_dwordx2 v[20:21], v[2:3], off
	v_mov_b32_e32 v22, v1
	v_mov_b32_e32 v23, v1
	;; [unrolled: 1-line block ×6, first 2 shown]
	s_waitcnt vmcnt(0)
	v_mov_b32_e32 v1, v20
	v_mov_b32_e32 v2, v21
	;; [unrolled: 1-line block ×8, first 2 shown]
	s_or_b64 exec, exec, s[4:5]
	v_cmp_gt_u32_e32 vcc, s22, v15
	s_and_saveexec_b64 s[4:5], vcc
	s_cbranch_execz .LBB1773_16
.LBB1773_64:
	v_mov_b32_e32 v16, 0
	v_lshlrev_b64 v[3:4], 3, v[15:16]
	v_mov_b32_e32 v14, s21
	v_add_co_u32_e32 v20, vcc, s20, v3
	v_addc_co_u32_e32 v14, vcc, v14, v4, vcc
	v_subrev_co_u32_e32 v15, vcc, s15, v15
	v_lshlrev_b64 v[3:4], 3, v[15:16]
	v_mov_b32_e32 v15, s7
	v_add_co_u32_e64 v3, s[0:1], s6, v3
	v_addc_co_u32_e64 v4, s[0:1], v15, v4, s[0:1]
	v_cndmask_b32_e32 v4, v4, v14, vcc
	v_cndmask_b32_e32 v3, v3, v20, vcc
	global_load_dwordx2 v[3:4], v[3:4], off
	s_or_b64 exec, exec, s[4:5]
	v_cmp_gt_u32_e32 vcc, s22, v13
	s_and_saveexec_b64 s[4:5], vcc
	s_cbranch_execnz .LBB1773_17
	s_branch .LBB1773_18
.LBB1773_65:
	ds_read_b32 v25, v14
	s_waitcnt lgkmcnt(0)
	global_store_dword v[9:10], v25, off
	s_or_b64 exec, exec, s[0:1]
	v_cmp_gt_u32_e64 s[0:1], s6, v23
	s_and_saveexec_b64 s[2:3], s[0:1]
	s_cbranch_execz .LBB1773_50
.LBB1773_66:
	s_waitcnt lgkmcnt(2)
	global_store_dword v[9:10], v24, off offset:1024
	s_or_b64 exec, exec, s[2:3]
	v_cmp_gt_u32_e64 s[2:3], s6, v22
	s_and_saveexec_b64 s[4:5], s[2:3]
	s_cbranch_execz .LBB1773_51
.LBB1773_67:
	s_waitcnt lgkmcnt(1)
	global_store_dword v[9:10], v12, off offset:2048
	s_or_b64 exec, exec, s[4:5]
	v_cmp_gt_u32_e64 s[6:7], s6, v21
	s_and_saveexec_b64 s[4:5], s[6:7]
	s_cbranch_execnz .LBB1773_52
	s_branch .LBB1773_53
.LBB1773_68:
	v_add_u32_e32 v0, v13, v0
	v_lshl_add_u32 v0, v0, 2, v14
	ds_read_b64 v[7:8], v0
	s_waitcnt lgkmcnt(0)
	global_store_dwordx2 v[3:4], v[7:8], off
	s_or_b64 exec, exec, s[4:5]
	s_and_saveexec_b64 s[4:5], s[0:1]
	s_cbranch_execz .LBB1773_55
.LBB1773_69:
	s_waitcnt lgkmcnt(2)
	global_store_dwordx2 v[3:4], v[5:6], off offset:2048
	s_or_b64 exec, exec, s[4:5]
	s_and_saveexec_b64 s[0:1], s[2:3]
	s_cbranch_execnz .LBB1773_56
	s_branch .LBB1773_57
	.section	.rodata,"a",@progbits
	.p2align	6, 0x0
	.amdhsa_kernel _ZN7rocprim17ROCPRIM_400000_NS6detail17trampoline_kernelINS0_14default_configENS1_38merge_sort_block_merge_config_selectorIflEEZZNS1_27merge_sort_block_merge_implIS3_PfN6thrust23THRUST_200600_302600_NS10device_ptrIlEEjNS1_19radix_merge_compareILb0ELb0EfNS0_19identity_decomposerEEEEE10hipError_tT0_T1_T2_jT3_P12ihipStream_tbPNSt15iterator_traitsISG_E10value_typeEPNSM_ISH_E10value_typeEPSI_NS1_7vsmem_tEENKUlT_SG_SH_SI_E_clIS7_S7_PlSB_EESF_SV_SG_SH_SI_EUlSV_E0_NS1_11comp_targetILNS1_3genE2ELNS1_11target_archE906ELNS1_3gpuE6ELNS1_3repE0EEENS1_38merge_mergepath_config_static_selectorELNS0_4arch9wavefront6targetE1EEEvSH_
		.amdhsa_group_segment_fixed_size 8448
		.amdhsa_private_segment_fixed_size 0
		.amdhsa_kernarg_size 320
		.amdhsa_user_sgpr_count 6
		.amdhsa_user_sgpr_private_segment_buffer 1
		.amdhsa_user_sgpr_dispatch_ptr 0
		.amdhsa_user_sgpr_queue_ptr 0
		.amdhsa_user_sgpr_kernarg_segment_ptr 1
		.amdhsa_user_sgpr_dispatch_id 0
		.amdhsa_user_sgpr_flat_scratch_init 0
		.amdhsa_user_sgpr_private_segment_size 0
		.amdhsa_uses_dynamic_stack 0
		.amdhsa_system_sgpr_private_segment_wavefront_offset 0
		.amdhsa_system_sgpr_workgroup_id_x 1
		.amdhsa_system_sgpr_workgroup_id_y 1
		.amdhsa_system_sgpr_workgroup_id_z 1
		.amdhsa_system_sgpr_workgroup_info 0
		.amdhsa_system_vgpr_workitem_id 0
		.amdhsa_next_free_vgpr 35
		.amdhsa_next_free_sgpr 77
		.amdhsa_reserve_vcc 1
		.amdhsa_reserve_flat_scratch 0
		.amdhsa_float_round_mode_32 0
		.amdhsa_float_round_mode_16_64 0
		.amdhsa_float_denorm_mode_32 3
		.amdhsa_float_denorm_mode_16_64 3
		.amdhsa_dx10_clamp 1
		.amdhsa_ieee_mode 1
		.amdhsa_fp16_overflow 0
		.amdhsa_exception_fp_ieee_invalid_op 0
		.amdhsa_exception_fp_denorm_src 0
		.amdhsa_exception_fp_ieee_div_zero 0
		.amdhsa_exception_fp_ieee_overflow 0
		.amdhsa_exception_fp_ieee_underflow 0
		.amdhsa_exception_fp_ieee_inexact 0
		.amdhsa_exception_int_div_zero 0
	.end_amdhsa_kernel
	.section	.text._ZN7rocprim17ROCPRIM_400000_NS6detail17trampoline_kernelINS0_14default_configENS1_38merge_sort_block_merge_config_selectorIflEEZZNS1_27merge_sort_block_merge_implIS3_PfN6thrust23THRUST_200600_302600_NS10device_ptrIlEEjNS1_19radix_merge_compareILb0ELb0EfNS0_19identity_decomposerEEEEE10hipError_tT0_T1_T2_jT3_P12ihipStream_tbPNSt15iterator_traitsISG_E10value_typeEPNSM_ISH_E10value_typeEPSI_NS1_7vsmem_tEENKUlT_SG_SH_SI_E_clIS7_S7_PlSB_EESF_SV_SG_SH_SI_EUlSV_E0_NS1_11comp_targetILNS1_3genE2ELNS1_11target_archE906ELNS1_3gpuE6ELNS1_3repE0EEENS1_38merge_mergepath_config_static_selectorELNS0_4arch9wavefront6targetE1EEEvSH_,"axG",@progbits,_ZN7rocprim17ROCPRIM_400000_NS6detail17trampoline_kernelINS0_14default_configENS1_38merge_sort_block_merge_config_selectorIflEEZZNS1_27merge_sort_block_merge_implIS3_PfN6thrust23THRUST_200600_302600_NS10device_ptrIlEEjNS1_19radix_merge_compareILb0ELb0EfNS0_19identity_decomposerEEEEE10hipError_tT0_T1_T2_jT3_P12ihipStream_tbPNSt15iterator_traitsISG_E10value_typeEPNSM_ISH_E10value_typeEPSI_NS1_7vsmem_tEENKUlT_SG_SH_SI_E_clIS7_S7_PlSB_EESF_SV_SG_SH_SI_EUlSV_E0_NS1_11comp_targetILNS1_3genE2ELNS1_11target_archE906ELNS1_3gpuE6ELNS1_3repE0EEENS1_38merge_mergepath_config_static_selectorELNS0_4arch9wavefront6targetE1EEEvSH_,comdat
.Lfunc_end1773:
	.size	_ZN7rocprim17ROCPRIM_400000_NS6detail17trampoline_kernelINS0_14default_configENS1_38merge_sort_block_merge_config_selectorIflEEZZNS1_27merge_sort_block_merge_implIS3_PfN6thrust23THRUST_200600_302600_NS10device_ptrIlEEjNS1_19radix_merge_compareILb0ELb0EfNS0_19identity_decomposerEEEEE10hipError_tT0_T1_T2_jT3_P12ihipStream_tbPNSt15iterator_traitsISG_E10value_typeEPNSM_ISH_E10value_typeEPSI_NS1_7vsmem_tEENKUlT_SG_SH_SI_E_clIS7_S7_PlSB_EESF_SV_SG_SH_SI_EUlSV_E0_NS1_11comp_targetILNS1_3genE2ELNS1_11target_archE906ELNS1_3gpuE6ELNS1_3repE0EEENS1_38merge_mergepath_config_static_selectorELNS0_4arch9wavefront6targetE1EEEvSH_, .Lfunc_end1773-_ZN7rocprim17ROCPRIM_400000_NS6detail17trampoline_kernelINS0_14default_configENS1_38merge_sort_block_merge_config_selectorIflEEZZNS1_27merge_sort_block_merge_implIS3_PfN6thrust23THRUST_200600_302600_NS10device_ptrIlEEjNS1_19radix_merge_compareILb0ELb0EfNS0_19identity_decomposerEEEEE10hipError_tT0_T1_T2_jT3_P12ihipStream_tbPNSt15iterator_traitsISG_E10value_typeEPNSM_ISH_E10value_typeEPSI_NS1_7vsmem_tEENKUlT_SG_SH_SI_E_clIS7_S7_PlSB_EESF_SV_SG_SH_SI_EUlSV_E0_NS1_11comp_targetILNS1_3genE2ELNS1_11target_archE906ELNS1_3gpuE6ELNS1_3repE0EEENS1_38merge_mergepath_config_static_selectorELNS0_4arch9wavefront6targetE1EEEvSH_
                                        ; -- End function
	.set _ZN7rocprim17ROCPRIM_400000_NS6detail17trampoline_kernelINS0_14default_configENS1_38merge_sort_block_merge_config_selectorIflEEZZNS1_27merge_sort_block_merge_implIS3_PfN6thrust23THRUST_200600_302600_NS10device_ptrIlEEjNS1_19radix_merge_compareILb0ELb0EfNS0_19identity_decomposerEEEEE10hipError_tT0_T1_T2_jT3_P12ihipStream_tbPNSt15iterator_traitsISG_E10value_typeEPNSM_ISH_E10value_typeEPSI_NS1_7vsmem_tEENKUlT_SG_SH_SI_E_clIS7_S7_PlSB_EESF_SV_SG_SH_SI_EUlSV_E0_NS1_11comp_targetILNS1_3genE2ELNS1_11target_archE906ELNS1_3gpuE6ELNS1_3repE0EEENS1_38merge_mergepath_config_static_selectorELNS0_4arch9wavefront6targetE1EEEvSH_.num_vgpr, 35
	.set _ZN7rocprim17ROCPRIM_400000_NS6detail17trampoline_kernelINS0_14default_configENS1_38merge_sort_block_merge_config_selectorIflEEZZNS1_27merge_sort_block_merge_implIS3_PfN6thrust23THRUST_200600_302600_NS10device_ptrIlEEjNS1_19radix_merge_compareILb0ELb0EfNS0_19identity_decomposerEEEEE10hipError_tT0_T1_T2_jT3_P12ihipStream_tbPNSt15iterator_traitsISG_E10value_typeEPNSM_ISH_E10value_typeEPSI_NS1_7vsmem_tEENKUlT_SG_SH_SI_E_clIS7_S7_PlSB_EESF_SV_SG_SH_SI_EUlSV_E0_NS1_11comp_targetILNS1_3genE2ELNS1_11target_archE906ELNS1_3gpuE6ELNS1_3repE0EEENS1_38merge_mergepath_config_static_selectorELNS0_4arch9wavefront6targetE1EEEvSH_.num_agpr, 0
	.set _ZN7rocprim17ROCPRIM_400000_NS6detail17trampoline_kernelINS0_14default_configENS1_38merge_sort_block_merge_config_selectorIflEEZZNS1_27merge_sort_block_merge_implIS3_PfN6thrust23THRUST_200600_302600_NS10device_ptrIlEEjNS1_19radix_merge_compareILb0ELb0EfNS0_19identity_decomposerEEEEE10hipError_tT0_T1_T2_jT3_P12ihipStream_tbPNSt15iterator_traitsISG_E10value_typeEPNSM_ISH_E10value_typeEPSI_NS1_7vsmem_tEENKUlT_SG_SH_SI_E_clIS7_S7_PlSB_EESF_SV_SG_SH_SI_EUlSV_E0_NS1_11comp_targetILNS1_3genE2ELNS1_11target_archE906ELNS1_3gpuE6ELNS1_3repE0EEENS1_38merge_mergepath_config_static_selectorELNS0_4arch9wavefront6targetE1EEEvSH_.numbered_sgpr, 31
	.set _ZN7rocprim17ROCPRIM_400000_NS6detail17trampoline_kernelINS0_14default_configENS1_38merge_sort_block_merge_config_selectorIflEEZZNS1_27merge_sort_block_merge_implIS3_PfN6thrust23THRUST_200600_302600_NS10device_ptrIlEEjNS1_19radix_merge_compareILb0ELb0EfNS0_19identity_decomposerEEEEE10hipError_tT0_T1_T2_jT3_P12ihipStream_tbPNSt15iterator_traitsISG_E10value_typeEPNSM_ISH_E10value_typeEPSI_NS1_7vsmem_tEENKUlT_SG_SH_SI_E_clIS7_S7_PlSB_EESF_SV_SG_SH_SI_EUlSV_E0_NS1_11comp_targetILNS1_3genE2ELNS1_11target_archE906ELNS1_3gpuE6ELNS1_3repE0EEENS1_38merge_mergepath_config_static_selectorELNS0_4arch9wavefront6targetE1EEEvSH_.num_named_barrier, 0
	.set _ZN7rocprim17ROCPRIM_400000_NS6detail17trampoline_kernelINS0_14default_configENS1_38merge_sort_block_merge_config_selectorIflEEZZNS1_27merge_sort_block_merge_implIS3_PfN6thrust23THRUST_200600_302600_NS10device_ptrIlEEjNS1_19radix_merge_compareILb0ELb0EfNS0_19identity_decomposerEEEEE10hipError_tT0_T1_T2_jT3_P12ihipStream_tbPNSt15iterator_traitsISG_E10value_typeEPNSM_ISH_E10value_typeEPSI_NS1_7vsmem_tEENKUlT_SG_SH_SI_E_clIS7_S7_PlSB_EESF_SV_SG_SH_SI_EUlSV_E0_NS1_11comp_targetILNS1_3genE2ELNS1_11target_archE906ELNS1_3gpuE6ELNS1_3repE0EEENS1_38merge_mergepath_config_static_selectorELNS0_4arch9wavefront6targetE1EEEvSH_.private_seg_size, 0
	.set _ZN7rocprim17ROCPRIM_400000_NS6detail17trampoline_kernelINS0_14default_configENS1_38merge_sort_block_merge_config_selectorIflEEZZNS1_27merge_sort_block_merge_implIS3_PfN6thrust23THRUST_200600_302600_NS10device_ptrIlEEjNS1_19radix_merge_compareILb0ELb0EfNS0_19identity_decomposerEEEEE10hipError_tT0_T1_T2_jT3_P12ihipStream_tbPNSt15iterator_traitsISG_E10value_typeEPNSM_ISH_E10value_typeEPSI_NS1_7vsmem_tEENKUlT_SG_SH_SI_E_clIS7_S7_PlSB_EESF_SV_SG_SH_SI_EUlSV_E0_NS1_11comp_targetILNS1_3genE2ELNS1_11target_archE906ELNS1_3gpuE6ELNS1_3repE0EEENS1_38merge_mergepath_config_static_selectorELNS0_4arch9wavefront6targetE1EEEvSH_.uses_vcc, 1
	.set _ZN7rocprim17ROCPRIM_400000_NS6detail17trampoline_kernelINS0_14default_configENS1_38merge_sort_block_merge_config_selectorIflEEZZNS1_27merge_sort_block_merge_implIS3_PfN6thrust23THRUST_200600_302600_NS10device_ptrIlEEjNS1_19radix_merge_compareILb0ELb0EfNS0_19identity_decomposerEEEEE10hipError_tT0_T1_T2_jT3_P12ihipStream_tbPNSt15iterator_traitsISG_E10value_typeEPNSM_ISH_E10value_typeEPSI_NS1_7vsmem_tEENKUlT_SG_SH_SI_E_clIS7_S7_PlSB_EESF_SV_SG_SH_SI_EUlSV_E0_NS1_11comp_targetILNS1_3genE2ELNS1_11target_archE906ELNS1_3gpuE6ELNS1_3repE0EEENS1_38merge_mergepath_config_static_selectorELNS0_4arch9wavefront6targetE1EEEvSH_.uses_flat_scratch, 0
	.set _ZN7rocprim17ROCPRIM_400000_NS6detail17trampoline_kernelINS0_14default_configENS1_38merge_sort_block_merge_config_selectorIflEEZZNS1_27merge_sort_block_merge_implIS3_PfN6thrust23THRUST_200600_302600_NS10device_ptrIlEEjNS1_19radix_merge_compareILb0ELb0EfNS0_19identity_decomposerEEEEE10hipError_tT0_T1_T2_jT3_P12ihipStream_tbPNSt15iterator_traitsISG_E10value_typeEPNSM_ISH_E10value_typeEPSI_NS1_7vsmem_tEENKUlT_SG_SH_SI_E_clIS7_S7_PlSB_EESF_SV_SG_SH_SI_EUlSV_E0_NS1_11comp_targetILNS1_3genE2ELNS1_11target_archE906ELNS1_3gpuE6ELNS1_3repE0EEENS1_38merge_mergepath_config_static_selectorELNS0_4arch9wavefront6targetE1EEEvSH_.has_dyn_sized_stack, 0
	.set _ZN7rocprim17ROCPRIM_400000_NS6detail17trampoline_kernelINS0_14default_configENS1_38merge_sort_block_merge_config_selectorIflEEZZNS1_27merge_sort_block_merge_implIS3_PfN6thrust23THRUST_200600_302600_NS10device_ptrIlEEjNS1_19radix_merge_compareILb0ELb0EfNS0_19identity_decomposerEEEEE10hipError_tT0_T1_T2_jT3_P12ihipStream_tbPNSt15iterator_traitsISG_E10value_typeEPNSM_ISH_E10value_typeEPSI_NS1_7vsmem_tEENKUlT_SG_SH_SI_E_clIS7_S7_PlSB_EESF_SV_SG_SH_SI_EUlSV_E0_NS1_11comp_targetILNS1_3genE2ELNS1_11target_archE906ELNS1_3gpuE6ELNS1_3repE0EEENS1_38merge_mergepath_config_static_selectorELNS0_4arch9wavefront6targetE1EEEvSH_.has_recursion, 0
	.set _ZN7rocprim17ROCPRIM_400000_NS6detail17trampoline_kernelINS0_14default_configENS1_38merge_sort_block_merge_config_selectorIflEEZZNS1_27merge_sort_block_merge_implIS3_PfN6thrust23THRUST_200600_302600_NS10device_ptrIlEEjNS1_19radix_merge_compareILb0ELb0EfNS0_19identity_decomposerEEEEE10hipError_tT0_T1_T2_jT3_P12ihipStream_tbPNSt15iterator_traitsISG_E10value_typeEPNSM_ISH_E10value_typeEPSI_NS1_7vsmem_tEENKUlT_SG_SH_SI_E_clIS7_S7_PlSB_EESF_SV_SG_SH_SI_EUlSV_E0_NS1_11comp_targetILNS1_3genE2ELNS1_11target_archE906ELNS1_3gpuE6ELNS1_3repE0EEENS1_38merge_mergepath_config_static_selectorELNS0_4arch9wavefront6targetE1EEEvSH_.has_indirect_call, 0
	.section	.AMDGPU.csdata,"",@progbits
; Kernel info:
; codeLenInByte = 3860
; TotalNumSgprs: 35
; NumVgprs: 35
; ScratchSize: 0
; MemoryBound: 0
; FloatMode: 240
; IeeeMode: 1
; LDSByteSize: 8448 bytes/workgroup (compile time only)
; SGPRBlocks: 10
; VGPRBlocks: 8
; NumSGPRsForWavesPerEU: 81
; NumVGPRsForWavesPerEU: 35
; Occupancy: 7
; WaveLimiterHint : 1
; COMPUTE_PGM_RSRC2:SCRATCH_EN: 0
; COMPUTE_PGM_RSRC2:USER_SGPR: 6
; COMPUTE_PGM_RSRC2:TRAP_HANDLER: 0
; COMPUTE_PGM_RSRC2:TGID_X_EN: 1
; COMPUTE_PGM_RSRC2:TGID_Y_EN: 1
; COMPUTE_PGM_RSRC2:TGID_Z_EN: 1
; COMPUTE_PGM_RSRC2:TIDIG_COMP_CNT: 0
	.section	.text._ZN7rocprim17ROCPRIM_400000_NS6detail17trampoline_kernelINS0_14default_configENS1_38merge_sort_block_merge_config_selectorIflEEZZNS1_27merge_sort_block_merge_implIS3_PfN6thrust23THRUST_200600_302600_NS10device_ptrIlEEjNS1_19radix_merge_compareILb0ELb0EfNS0_19identity_decomposerEEEEE10hipError_tT0_T1_T2_jT3_P12ihipStream_tbPNSt15iterator_traitsISG_E10value_typeEPNSM_ISH_E10value_typeEPSI_NS1_7vsmem_tEENKUlT_SG_SH_SI_E_clIS7_S7_PlSB_EESF_SV_SG_SH_SI_EUlSV_E0_NS1_11comp_targetILNS1_3genE9ELNS1_11target_archE1100ELNS1_3gpuE3ELNS1_3repE0EEENS1_38merge_mergepath_config_static_selectorELNS0_4arch9wavefront6targetE1EEEvSH_,"axG",@progbits,_ZN7rocprim17ROCPRIM_400000_NS6detail17trampoline_kernelINS0_14default_configENS1_38merge_sort_block_merge_config_selectorIflEEZZNS1_27merge_sort_block_merge_implIS3_PfN6thrust23THRUST_200600_302600_NS10device_ptrIlEEjNS1_19radix_merge_compareILb0ELb0EfNS0_19identity_decomposerEEEEE10hipError_tT0_T1_T2_jT3_P12ihipStream_tbPNSt15iterator_traitsISG_E10value_typeEPNSM_ISH_E10value_typeEPSI_NS1_7vsmem_tEENKUlT_SG_SH_SI_E_clIS7_S7_PlSB_EESF_SV_SG_SH_SI_EUlSV_E0_NS1_11comp_targetILNS1_3genE9ELNS1_11target_archE1100ELNS1_3gpuE3ELNS1_3repE0EEENS1_38merge_mergepath_config_static_selectorELNS0_4arch9wavefront6targetE1EEEvSH_,comdat
	.protected	_ZN7rocprim17ROCPRIM_400000_NS6detail17trampoline_kernelINS0_14default_configENS1_38merge_sort_block_merge_config_selectorIflEEZZNS1_27merge_sort_block_merge_implIS3_PfN6thrust23THRUST_200600_302600_NS10device_ptrIlEEjNS1_19radix_merge_compareILb0ELb0EfNS0_19identity_decomposerEEEEE10hipError_tT0_T1_T2_jT3_P12ihipStream_tbPNSt15iterator_traitsISG_E10value_typeEPNSM_ISH_E10value_typeEPSI_NS1_7vsmem_tEENKUlT_SG_SH_SI_E_clIS7_S7_PlSB_EESF_SV_SG_SH_SI_EUlSV_E0_NS1_11comp_targetILNS1_3genE9ELNS1_11target_archE1100ELNS1_3gpuE3ELNS1_3repE0EEENS1_38merge_mergepath_config_static_selectorELNS0_4arch9wavefront6targetE1EEEvSH_ ; -- Begin function _ZN7rocprim17ROCPRIM_400000_NS6detail17trampoline_kernelINS0_14default_configENS1_38merge_sort_block_merge_config_selectorIflEEZZNS1_27merge_sort_block_merge_implIS3_PfN6thrust23THRUST_200600_302600_NS10device_ptrIlEEjNS1_19radix_merge_compareILb0ELb0EfNS0_19identity_decomposerEEEEE10hipError_tT0_T1_T2_jT3_P12ihipStream_tbPNSt15iterator_traitsISG_E10value_typeEPNSM_ISH_E10value_typeEPSI_NS1_7vsmem_tEENKUlT_SG_SH_SI_E_clIS7_S7_PlSB_EESF_SV_SG_SH_SI_EUlSV_E0_NS1_11comp_targetILNS1_3genE9ELNS1_11target_archE1100ELNS1_3gpuE3ELNS1_3repE0EEENS1_38merge_mergepath_config_static_selectorELNS0_4arch9wavefront6targetE1EEEvSH_
	.globl	_ZN7rocprim17ROCPRIM_400000_NS6detail17trampoline_kernelINS0_14default_configENS1_38merge_sort_block_merge_config_selectorIflEEZZNS1_27merge_sort_block_merge_implIS3_PfN6thrust23THRUST_200600_302600_NS10device_ptrIlEEjNS1_19radix_merge_compareILb0ELb0EfNS0_19identity_decomposerEEEEE10hipError_tT0_T1_T2_jT3_P12ihipStream_tbPNSt15iterator_traitsISG_E10value_typeEPNSM_ISH_E10value_typeEPSI_NS1_7vsmem_tEENKUlT_SG_SH_SI_E_clIS7_S7_PlSB_EESF_SV_SG_SH_SI_EUlSV_E0_NS1_11comp_targetILNS1_3genE9ELNS1_11target_archE1100ELNS1_3gpuE3ELNS1_3repE0EEENS1_38merge_mergepath_config_static_selectorELNS0_4arch9wavefront6targetE1EEEvSH_
	.p2align	8
	.type	_ZN7rocprim17ROCPRIM_400000_NS6detail17trampoline_kernelINS0_14default_configENS1_38merge_sort_block_merge_config_selectorIflEEZZNS1_27merge_sort_block_merge_implIS3_PfN6thrust23THRUST_200600_302600_NS10device_ptrIlEEjNS1_19radix_merge_compareILb0ELb0EfNS0_19identity_decomposerEEEEE10hipError_tT0_T1_T2_jT3_P12ihipStream_tbPNSt15iterator_traitsISG_E10value_typeEPNSM_ISH_E10value_typeEPSI_NS1_7vsmem_tEENKUlT_SG_SH_SI_E_clIS7_S7_PlSB_EESF_SV_SG_SH_SI_EUlSV_E0_NS1_11comp_targetILNS1_3genE9ELNS1_11target_archE1100ELNS1_3gpuE3ELNS1_3repE0EEENS1_38merge_mergepath_config_static_selectorELNS0_4arch9wavefront6targetE1EEEvSH_,@function
_ZN7rocprim17ROCPRIM_400000_NS6detail17trampoline_kernelINS0_14default_configENS1_38merge_sort_block_merge_config_selectorIflEEZZNS1_27merge_sort_block_merge_implIS3_PfN6thrust23THRUST_200600_302600_NS10device_ptrIlEEjNS1_19radix_merge_compareILb0ELb0EfNS0_19identity_decomposerEEEEE10hipError_tT0_T1_T2_jT3_P12ihipStream_tbPNSt15iterator_traitsISG_E10value_typeEPNSM_ISH_E10value_typeEPSI_NS1_7vsmem_tEENKUlT_SG_SH_SI_E_clIS7_S7_PlSB_EESF_SV_SG_SH_SI_EUlSV_E0_NS1_11comp_targetILNS1_3genE9ELNS1_11target_archE1100ELNS1_3gpuE3ELNS1_3repE0EEENS1_38merge_mergepath_config_static_selectorELNS0_4arch9wavefront6targetE1EEEvSH_: ; @_ZN7rocprim17ROCPRIM_400000_NS6detail17trampoline_kernelINS0_14default_configENS1_38merge_sort_block_merge_config_selectorIflEEZZNS1_27merge_sort_block_merge_implIS3_PfN6thrust23THRUST_200600_302600_NS10device_ptrIlEEjNS1_19radix_merge_compareILb0ELb0EfNS0_19identity_decomposerEEEEE10hipError_tT0_T1_T2_jT3_P12ihipStream_tbPNSt15iterator_traitsISG_E10value_typeEPNSM_ISH_E10value_typeEPSI_NS1_7vsmem_tEENKUlT_SG_SH_SI_E_clIS7_S7_PlSB_EESF_SV_SG_SH_SI_EUlSV_E0_NS1_11comp_targetILNS1_3genE9ELNS1_11target_archE1100ELNS1_3gpuE3ELNS1_3repE0EEENS1_38merge_mergepath_config_static_selectorELNS0_4arch9wavefront6targetE1EEEvSH_
; %bb.0:
	.section	.rodata,"a",@progbits
	.p2align	6, 0x0
	.amdhsa_kernel _ZN7rocprim17ROCPRIM_400000_NS6detail17trampoline_kernelINS0_14default_configENS1_38merge_sort_block_merge_config_selectorIflEEZZNS1_27merge_sort_block_merge_implIS3_PfN6thrust23THRUST_200600_302600_NS10device_ptrIlEEjNS1_19radix_merge_compareILb0ELb0EfNS0_19identity_decomposerEEEEE10hipError_tT0_T1_T2_jT3_P12ihipStream_tbPNSt15iterator_traitsISG_E10value_typeEPNSM_ISH_E10value_typeEPSI_NS1_7vsmem_tEENKUlT_SG_SH_SI_E_clIS7_S7_PlSB_EESF_SV_SG_SH_SI_EUlSV_E0_NS1_11comp_targetILNS1_3genE9ELNS1_11target_archE1100ELNS1_3gpuE3ELNS1_3repE0EEENS1_38merge_mergepath_config_static_selectorELNS0_4arch9wavefront6targetE1EEEvSH_
		.amdhsa_group_segment_fixed_size 0
		.amdhsa_private_segment_fixed_size 0
		.amdhsa_kernarg_size 64
		.amdhsa_user_sgpr_count 6
		.amdhsa_user_sgpr_private_segment_buffer 1
		.amdhsa_user_sgpr_dispatch_ptr 0
		.amdhsa_user_sgpr_queue_ptr 0
		.amdhsa_user_sgpr_kernarg_segment_ptr 1
		.amdhsa_user_sgpr_dispatch_id 0
		.amdhsa_user_sgpr_flat_scratch_init 0
		.amdhsa_user_sgpr_private_segment_size 0
		.amdhsa_uses_dynamic_stack 0
		.amdhsa_system_sgpr_private_segment_wavefront_offset 0
		.amdhsa_system_sgpr_workgroup_id_x 1
		.amdhsa_system_sgpr_workgroup_id_y 0
		.amdhsa_system_sgpr_workgroup_id_z 0
		.amdhsa_system_sgpr_workgroup_info 0
		.amdhsa_system_vgpr_workitem_id 0
		.amdhsa_next_free_vgpr 1
		.amdhsa_next_free_sgpr 0
		.amdhsa_reserve_vcc 0
		.amdhsa_reserve_flat_scratch 0
		.amdhsa_float_round_mode_32 0
		.amdhsa_float_round_mode_16_64 0
		.amdhsa_float_denorm_mode_32 3
		.amdhsa_float_denorm_mode_16_64 3
		.amdhsa_dx10_clamp 1
		.amdhsa_ieee_mode 1
		.amdhsa_fp16_overflow 0
		.amdhsa_exception_fp_ieee_invalid_op 0
		.amdhsa_exception_fp_denorm_src 0
		.amdhsa_exception_fp_ieee_div_zero 0
		.amdhsa_exception_fp_ieee_overflow 0
		.amdhsa_exception_fp_ieee_underflow 0
		.amdhsa_exception_fp_ieee_inexact 0
		.amdhsa_exception_int_div_zero 0
	.end_amdhsa_kernel
	.section	.text._ZN7rocprim17ROCPRIM_400000_NS6detail17trampoline_kernelINS0_14default_configENS1_38merge_sort_block_merge_config_selectorIflEEZZNS1_27merge_sort_block_merge_implIS3_PfN6thrust23THRUST_200600_302600_NS10device_ptrIlEEjNS1_19radix_merge_compareILb0ELb0EfNS0_19identity_decomposerEEEEE10hipError_tT0_T1_T2_jT3_P12ihipStream_tbPNSt15iterator_traitsISG_E10value_typeEPNSM_ISH_E10value_typeEPSI_NS1_7vsmem_tEENKUlT_SG_SH_SI_E_clIS7_S7_PlSB_EESF_SV_SG_SH_SI_EUlSV_E0_NS1_11comp_targetILNS1_3genE9ELNS1_11target_archE1100ELNS1_3gpuE3ELNS1_3repE0EEENS1_38merge_mergepath_config_static_selectorELNS0_4arch9wavefront6targetE1EEEvSH_,"axG",@progbits,_ZN7rocprim17ROCPRIM_400000_NS6detail17trampoline_kernelINS0_14default_configENS1_38merge_sort_block_merge_config_selectorIflEEZZNS1_27merge_sort_block_merge_implIS3_PfN6thrust23THRUST_200600_302600_NS10device_ptrIlEEjNS1_19radix_merge_compareILb0ELb0EfNS0_19identity_decomposerEEEEE10hipError_tT0_T1_T2_jT3_P12ihipStream_tbPNSt15iterator_traitsISG_E10value_typeEPNSM_ISH_E10value_typeEPSI_NS1_7vsmem_tEENKUlT_SG_SH_SI_E_clIS7_S7_PlSB_EESF_SV_SG_SH_SI_EUlSV_E0_NS1_11comp_targetILNS1_3genE9ELNS1_11target_archE1100ELNS1_3gpuE3ELNS1_3repE0EEENS1_38merge_mergepath_config_static_selectorELNS0_4arch9wavefront6targetE1EEEvSH_,comdat
.Lfunc_end1774:
	.size	_ZN7rocprim17ROCPRIM_400000_NS6detail17trampoline_kernelINS0_14default_configENS1_38merge_sort_block_merge_config_selectorIflEEZZNS1_27merge_sort_block_merge_implIS3_PfN6thrust23THRUST_200600_302600_NS10device_ptrIlEEjNS1_19radix_merge_compareILb0ELb0EfNS0_19identity_decomposerEEEEE10hipError_tT0_T1_T2_jT3_P12ihipStream_tbPNSt15iterator_traitsISG_E10value_typeEPNSM_ISH_E10value_typeEPSI_NS1_7vsmem_tEENKUlT_SG_SH_SI_E_clIS7_S7_PlSB_EESF_SV_SG_SH_SI_EUlSV_E0_NS1_11comp_targetILNS1_3genE9ELNS1_11target_archE1100ELNS1_3gpuE3ELNS1_3repE0EEENS1_38merge_mergepath_config_static_selectorELNS0_4arch9wavefront6targetE1EEEvSH_, .Lfunc_end1774-_ZN7rocprim17ROCPRIM_400000_NS6detail17trampoline_kernelINS0_14default_configENS1_38merge_sort_block_merge_config_selectorIflEEZZNS1_27merge_sort_block_merge_implIS3_PfN6thrust23THRUST_200600_302600_NS10device_ptrIlEEjNS1_19radix_merge_compareILb0ELb0EfNS0_19identity_decomposerEEEEE10hipError_tT0_T1_T2_jT3_P12ihipStream_tbPNSt15iterator_traitsISG_E10value_typeEPNSM_ISH_E10value_typeEPSI_NS1_7vsmem_tEENKUlT_SG_SH_SI_E_clIS7_S7_PlSB_EESF_SV_SG_SH_SI_EUlSV_E0_NS1_11comp_targetILNS1_3genE9ELNS1_11target_archE1100ELNS1_3gpuE3ELNS1_3repE0EEENS1_38merge_mergepath_config_static_selectorELNS0_4arch9wavefront6targetE1EEEvSH_
                                        ; -- End function
	.set _ZN7rocprim17ROCPRIM_400000_NS6detail17trampoline_kernelINS0_14default_configENS1_38merge_sort_block_merge_config_selectorIflEEZZNS1_27merge_sort_block_merge_implIS3_PfN6thrust23THRUST_200600_302600_NS10device_ptrIlEEjNS1_19radix_merge_compareILb0ELb0EfNS0_19identity_decomposerEEEEE10hipError_tT0_T1_T2_jT3_P12ihipStream_tbPNSt15iterator_traitsISG_E10value_typeEPNSM_ISH_E10value_typeEPSI_NS1_7vsmem_tEENKUlT_SG_SH_SI_E_clIS7_S7_PlSB_EESF_SV_SG_SH_SI_EUlSV_E0_NS1_11comp_targetILNS1_3genE9ELNS1_11target_archE1100ELNS1_3gpuE3ELNS1_3repE0EEENS1_38merge_mergepath_config_static_selectorELNS0_4arch9wavefront6targetE1EEEvSH_.num_vgpr, 0
	.set _ZN7rocprim17ROCPRIM_400000_NS6detail17trampoline_kernelINS0_14default_configENS1_38merge_sort_block_merge_config_selectorIflEEZZNS1_27merge_sort_block_merge_implIS3_PfN6thrust23THRUST_200600_302600_NS10device_ptrIlEEjNS1_19radix_merge_compareILb0ELb0EfNS0_19identity_decomposerEEEEE10hipError_tT0_T1_T2_jT3_P12ihipStream_tbPNSt15iterator_traitsISG_E10value_typeEPNSM_ISH_E10value_typeEPSI_NS1_7vsmem_tEENKUlT_SG_SH_SI_E_clIS7_S7_PlSB_EESF_SV_SG_SH_SI_EUlSV_E0_NS1_11comp_targetILNS1_3genE9ELNS1_11target_archE1100ELNS1_3gpuE3ELNS1_3repE0EEENS1_38merge_mergepath_config_static_selectorELNS0_4arch9wavefront6targetE1EEEvSH_.num_agpr, 0
	.set _ZN7rocprim17ROCPRIM_400000_NS6detail17trampoline_kernelINS0_14default_configENS1_38merge_sort_block_merge_config_selectorIflEEZZNS1_27merge_sort_block_merge_implIS3_PfN6thrust23THRUST_200600_302600_NS10device_ptrIlEEjNS1_19radix_merge_compareILb0ELb0EfNS0_19identity_decomposerEEEEE10hipError_tT0_T1_T2_jT3_P12ihipStream_tbPNSt15iterator_traitsISG_E10value_typeEPNSM_ISH_E10value_typeEPSI_NS1_7vsmem_tEENKUlT_SG_SH_SI_E_clIS7_S7_PlSB_EESF_SV_SG_SH_SI_EUlSV_E0_NS1_11comp_targetILNS1_3genE9ELNS1_11target_archE1100ELNS1_3gpuE3ELNS1_3repE0EEENS1_38merge_mergepath_config_static_selectorELNS0_4arch9wavefront6targetE1EEEvSH_.numbered_sgpr, 0
	.set _ZN7rocprim17ROCPRIM_400000_NS6detail17trampoline_kernelINS0_14default_configENS1_38merge_sort_block_merge_config_selectorIflEEZZNS1_27merge_sort_block_merge_implIS3_PfN6thrust23THRUST_200600_302600_NS10device_ptrIlEEjNS1_19radix_merge_compareILb0ELb0EfNS0_19identity_decomposerEEEEE10hipError_tT0_T1_T2_jT3_P12ihipStream_tbPNSt15iterator_traitsISG_E10value_typeEPNSM_ISH_E10value_typeEPSI_NS1_7vsmem_tEENKUlT_SG_SH_SI_E_clIS7_S7_PlSB_EESF_SV_SG_SH_SI_EUlSV_E0_NS1_11comp_targetILNS1_3genE9ELNS1_11target_archE1100ELNS1_3gpuE3ELNS1_3repE0EEENS1_38merge_mergepath_config_static_selectorELNS0_4arch9wavefront6targetE1EEEvSH_.num_named_barrier, 0
	.set _ZN7rocprim17ROCPRIM_400000_NS6detail17trampoline_kernelINS0_14default_configENS1_38merge_sort_block_merge_config_selectorIflEEZZNS1_27merge_sort_block_merge_implIS3_PfN6thrust23THRUST_200600_302600_NS10device_ptrIlEEjNS1_19radix_merge_compareILb0ELb0EfNS0_19identity_decomposerEEEEE10hipError_tT0_T1_T2_jT3_P12ihipStream_tbPNSt15iterator_traitsISG_E10value_typeEPNSM_ISH_E10value_typeEPSI_NS1_7vsmem_tEENKUlT_SG_SH_SI_E_clIS7_S7_PlSB_EESF_SV_SG_SH_SI_EUlSV_E0_NS1_11comp_targetILNS1_3genE9ELNS1_11target_archE1100ELNS1_3gpuE3ELNS1_3repE0EEENS1_38merge_mergepath_config_static_selectorELNS0_4arch9wavefront6targetE1EEEvSH_.private_seg_size, 0
	.set _ZN7rocprim17ROCPRIM_400000_NS6detail17trampoline_kernelINS0_14default_configENS1_38merge_sort_block_merge_config_selectorIflEEZZNS1_27merge_sort_block_merge_implIS3_PfN6thrust23THRUST_200600_302600_NS10device_ptrIlEEjNS1_19radix_merge_compareILb0ELb0EfNS0_19identity_decomposerEEEEE10hipError_tT0_T1_T2_jT3_P12ihipStream_tbPNSt15iterator_traitsISG_E10value_typeEPNSM_ISH_E10value_typeEPSI_NS1_7vsmem_tEENKUlT_SG_SH_SI_E_clIS7_S7_PlSB_EESF_SV_SG_SH_SI_EUlSV_E0_NS1_11comp_targetILNS1_3genE9ELNS1_11target_archE1100ELNS1_3gpuE3ELNS1_3repE0EEENS1_38merge_mergepath_config_static_selectorELNS0_4arch9wavefront6targetE1EEEvSH_.uses_vcc, 0
	.set _ZN7rocprim17ROCPRIM_400000_NS6detail17trampoline_kernelINS0_14default_configENS1_38merge_sort_block_merge_config_selectorIflEEZZNS1_27merge_sort_block_merge_implIS3_PfN6thrust23THRUST_200600_302600_NS10device_ptrIlEEjNS1_19radix_merge_compareILb0ELb0EfNS0_19identity_decomposerEEEEE10hipError_tT0_T1_T2_jT3_P12ihipStream_tbPNSt15iterator_traitsISG_E10value_typeEPNSM_ISH_E10value_typeEPSI_NS1_7vsmem_tEENKUlT_SG_SH_SI_E_clIS7_S7_PlSB_EESF_SV_SG_SH_SI_EUlSV_E0_NS1_11comp_targetILNS1_3genE9ELNS1_11target_archE1100ELNS1_3gpuE3ELNS1_3repE0EEENS1_38merge_mergepath_config_static_selectorELNS0_4arch9wavefront6targetE1EEEvSH_.uses_flat_scratch, 0
	.set _ZN7rocprim17ROCPRIM_400000_NS6detail17trampoline_kernelINS0_14default_configENS1_38merge_sort_block_merge_config_selectorIflEEZZNS1_27merge_sort_block_merge_implIS3_PfN6thrust23THRUST_200600_302600_NS10device_ptrIlEEjNS1_19radix_merge_compareILb0ELb0EfNS0_19identity_decomposerEEEEE10hipError_tT0_T1_T2_jT3_P12ihipStream_tbPNSt15iterator_traitsISG_E10value_typeEPNSM_ISH_E10value_typeEPSI_NS1_7vsmem_tEENKUlT_SG_SH_SI_E_clIS7_S7_PlSB_EESF_SV_SG_SH_SI_EUlSV_E0_NS1_11comp_targetILNS1_3genE9ELNS1_11target_archE1100ELNS1_3gpuE3ELNS1_3repE0EEENS1_38merge_mergepath_config_static_selectorELNS0_4arch9wavefront6targetE1EEEvSH_.has_dyn_sized_stack, 0
	.set _ZN7rocprim17ROCPRIM_400000_NS6detail17trampoline_kernelINS0_14default_configENS1_38merge_sort_block_merge_config_selectorIflEEZZNS1_27merge_sort_block_merge_implIS3_PfN6thrust23THRUST_200600_302600_NS10device_ptrIlEEjNS1_19radix_merge_compareILb0ELb0EfNS0_19identity_decomposerEEEEE10hipError_tT0_T1_T2_jT3_P12ihipStream_tbPNSt15iterator_traitsISG_E10value_typeEPNSM_ISH_E10value_typeEPSI_NS1_7vsmem_tEENKUlT_SG_SH_SI_E_clIS7_S7_PlSB_EESF_SV_SG_SH_SI_EUlSV_E0_NS1_11comp_targetILNS1_3genE9ELNS1_11target_archE1100ELNS1_3gpuE3ELNS1_3repE0EEENS1_38merge_mergepath_config_static_selectorELNS0_4arch9wavefront6targetE1EEEvSH_.has_recursion, 0
	.set _ZN7rocprim17ROCPRIM_400000_NS6detail17trampoline_kernelINS0_14default_configENS1_38merge_sort_block_merge_config_selectorIflEEZZNS1_27merge_sort_block_merge_implIS3_PfN6thrust23THRUST_200600_302600_NS10device_ptrIlEEjNS1_19radix_merge_compareILb0ELb0EfNS0_19identity_decomposerEEEEE10hipError_tT0_T1_T2_jT3_P12ihipStream_tbPNSt15iterator_traitsISG_E10value_typeEPNSM_ISH_E10value_typeEPSI_NS1_7vsmem_tEENKUlT_SG_SH_SI_E_clIS7_S7_PlSB_EESF_SV_SG_SH_SI_EUlSV_E0_NS1_11comp_targetILNS1_3genE9ELNS1_11target_archE1100ELNS1_3gpuE3ELNS1_3repE0EEENS1_38merge_mergepath_config_static_selectorELNS0_4arch9wavefront6targetE1EEEvSH_.has_indirect_call, 0
	.section	.AMDGPU.csdata,"",@progbits
; Kernel info:
; codeLenInByte = 0
; TotalNumSgprs: 4
; NumVgprs: 0
; ScratchSize: 0
; MemoryBound: 0
; FloatMode: 240
; IeeeMode: 1
; LDSByteSize: 0 bytes/workgroup (compile time only)
; SGPRBlocks: 0
; VGPRBlocks: 0
; NumSGPRsForWavesPerEU: 4
; NumVGPRsForWavesPerEU: 1
; Occupancy: 10
; WaveLimiterHint : 0
; COMPUTE_PGM_RSRC2:SCRATCH_EN: 0
; COMPUTE_PGM_RSRC2:USER_SGPR: 6
; COMPUTE_PGM_RSRC2:TRAP_HANDLER: 0
; COMPUTE_PGM_RSRC2:TGID_X_EN: 1
; COMPUTE_PGM_RSRC2:TGID_Y_EN: 0
; COMPUTE_PGM_RSRC2:TGID_Z_EN: 0
; COMPUTE_PGM_RSRC2:TIDIG_COMP_CNT: 0
	.section	.text._ZN7rocprim17ROCPRIM_400000_NS6detail17trampoline_kernelINS0_14default_configENS1_38merge_sort_block_merge_config_selectorIflEEZZNS1_27merge_sort_block_merge_implIS3_PfN6thrust23THRUST_200600_302600_NS10device_ptrIlEEjNS1_19radix_merge_compareILb0ELb0EfNS0_19identity_decomposerEEEEE10hipError_tT0_T1_T2_jT3_P12ihipStream_tbPNSt15iterator_traitsISG_E10value_typeEPNSM_ISH_E10value_typeEPSI_NS1_7vsmem_tEENKUlT_SG_SH_SI_E_clIS7_S7_PlSB_EESF_SV_SG_SH_SI_EUlSV_E0_NS1_11comp_targetILNS1_3genE8ELNS1_11target_archE1030ELNS1_3gpuE2ELNS1_3repE0EEENS1_38merge_mergepath_config_static_selectorELNS0_4arch9wavefront6targetE1EEEvSH_,"axG",@progbits,_ZN7rocprim17ROCPRIM_400000_NS6detail17trampoline_kernelINS0_14default_configENS1_38merge_sort_block_merge_config_selectorIflEEZZNS1_27merge_sort_block_merge_implIS3_PfN6thrust23THRUST_200600_302600_NS10device_ptrIlEEjNS1_19radix_merge_compareILb0ELb0EfNS0_19identity_decomposerEEEEE10hipError_tT0_T1_T2_jT3_P12ihipStream_tbPNSt15iterator_traitsISG_E10value_typeEPNSM_ISH_E10value_typeEPSI_NS1_7vsmem_tEENKUlT_SG_SH_SI_E_clIS7_S7_PlSB_EESF_SV_SG_SH_SI_EUlSV_E0_NS1_11comp_targetILNS1_3genE8ELNS1_11target_archE1030ELNS1_3gpuE2ELNS1_3repE0EEENS1_38merge_mergepath_config_static_selectorELNS0_4arch9wavefront6targetE1EEEvSH_,comdat
	.protected	_ZN7rocprim17ROCPRIM_400000_NS6detail17trampoline_kernelINS0_14default_configENS1_38merge_sort_block_merge_config_selectorIflEEZZNS1_27merge_sort_block_merge_implIS3_PfN6thrust23THRUST_200600_302600_NS10device_ptrIlEEjNS1_19radix_merge_compareILb0ELb0EfNS0_19identity_decomposerEEEEE10hipError_tT0_T1_T2_jT3_P12ihipStream_tbPNSt15iterator_traitsISG_E10value_typeEPNSM_ISH_E10value_typeEPSI_NS1_7vsmem_tEENKUlT_SG_SH_SI_E_clIS7_S7_PlSB_EESF_SV_SG_SH_SI_EUlSV_E0_NS1_11comp_targetILNS1_3genE8ELNS1_11target_archE1030ELNS1_3gpuE2ELNS1_3repE0EEENS1_38merge_mergepath_config_static_selectorELNS0_4arch9wavefront6targetE1EEEvSH_ ; -- Begin function _ZN7rocprim17ROCPRIM_400000_NS6detail17trampoline_kernelINS0_14default_configENS1_38merge_sort_block_merge_config_selectorIflEEZZNS1_27merge_sort_block_merge_implIS3_PfN6thrust23THRUST_200600_302600_NS10device_ptrIlEEjNS1_19radix_merge_compareILb0ELb0EfNS0_19identity_decomposerEEEEE10hipError_tT0_T1_T2_jT3_P12ihipStream_tbPNSt15iterator_traitsISG_E10value_typeEPNSM_ISH_E10value_typeEPSI_NS1_7vsmem_tEENKUlT_SG_SH_SI_E_clIS7_S7_PlSB_EESF_SV_SG_SH_SI_EUlSV_E0_NS1_11comp_targetILNS1_3genE8ELNS1_11target_archE1030ELNS1_3gpuE2ELNS1_3repE0EEENS1_38merge_mergepath_config_static_selectorELNS0_4arch9wavefront6targetE1EEEvSH_
	.globl	_ZN7rocprim17ROCPRIM_400000_NS6detail17trampoline_kernelINS0_14default_configENS1_38merge_sort_block_merge_config_selectorIflEEZZNS1_27merge_sort_block_merge_implIS3_PfN6thrust23THRUST_200600_302600_NS10device_ptrIlEEjNS1_19radix_merge_compareILb0ELb0EfNS0_19identity_decomposerEEEEE10hipError_tT0_T1_T2_jT3_P12ihipStream_tbPNSt15iterator_traitsISG_E10value_typeEPNSM_ISH_E10value_typeEPSI_NS1_7vsmem_tEENKUlT_SG_SH_SI_E_clIS7_S7_PlSB_EESF_SV_SG_SH_SI_EUlSV_E0_NS1_11comp_targetILNS1_3genE8ELNS1_11target_archE1030ELNS1_3gpuE2ELNS1_3repE0EEENS1_38merge_mergepath_config_static_selectorELNS0_4arch9wavefront6targetE1EEEvSH_
	.p2align	8
	.type	_ZN7rocprim17ROCPRIM_400000_NS6detail17trampoline_kernelINS0_14default_configENS1_38merge_sort_block_merge_config_selectorIflEEZZNS1_27merge_sort_block_merge_implIS3_PfN6thrust23THRUST_200600_302600_NS10device_ptrIlEEjNS1_19radix_merge_compareILb0ELb0EfNS0_19identity_decomposerEEEEE10hipError_tT0_T1_T2_jT3_P12ihipStream_tbPNSt15iterator_traitsISG_E10value_typeEPNSM_ISH_E10value_typeEPSI_NS1_7vsmem_tEENKUlT_SG_SH_SI_E_clIS7_S7_PlSB_EESF_SV_SG_SH_SI_EUlSV_E0_NS1_11comp_targetILNS1_3genE8ELNS1_11target_archE1030ELNS1_3gpuE2ELNS1_3repE0EEENS1_38merge_mergepath_config_static_selectorELNS0_4arch9wavefront6targetE1EEEvSH_,@function
_ZN7rocprim17ROCPRIM_400000_NS6detail17trampoline_kernelINS0_14default_configENS1_38merge_sort_block_merge_config_selectorIflEEZZNS1_27merge_sort_block_merge_implIS3_PfN6thrust23THRUST_200600_302600_NS10device_ptrIlEEjNS1_19radix_merge_compareILb0ELb0EfNS0_19identity_decomposerEEEEE10hipError_tT0_T1_T2_jT3_P12ihipStream_tbPNSt15iterator_traitsISG_E10value_typeEPNSM_ISH_E10value_typeEPSI_NS1_7vsmem_tEENKUlT_SG_SH_SI_E_clIS7_S7_PlSB_EESF_SV_SG_SH_SI_EUlSV_E0_NS1_11comp_targetILNS1_3genE8ELNS1_11target_archE1030ELNS1_3gpuE2ELNS1_3repE0EEENS1_38merge_mergepath_config_static_selectorELNS0_4arch9wavefront6targetE1EEEvSH_: ; @_ZN7rocprim17ROCPRIM_400000_NS6detail17trampoline_kernelINS0_14default_configENS1_38merge_sort_block_merge_config_selectorIflEEZZNS1_27merge_sort_block_merge_implIS3_PfN6thrust23THRUST_200600_302600_NS10device_ptrIlEEjNS1_19radix_merge_compareILb0ELb0EfNS0_19identity_decomposerEEEEE10hipError_tT0_T1_T2_jT3_P12ihipStream_tbPNSt15iterator_traitsISG_E10value_typeEPNSM_ISH_E10value_typeEPSI_NS1_7vsmem_tEENKUlT_SG_SH_SI_E_clIS7_S7_PlSB_EESF_SV_SG_SH_SI_EUlSV_E0_NS1_11comp_targetILNS1_3genE8ELNS1_11target_archE1030ELNS1_3gpuE2ELNS1_3repE0EEENS1_38merge_mergepath_config_static_selectorELNS0_4arch9wavefront6targetE1EEEvSH_
; %bb.0:
	.section	.rodata,"a",@progbits
	.p2align	6, 0x0
	.amdhsa_kernel _ZN7rocprim17ROCPRIM_400000_NS6detail17trampoline_kernelINS0_14default_configENS1_38merge_sort_block_merge_config_selectorIflEEZZNS1_27merge_sort_block_merge_implIS3_PfN6thrust23THRUST_200600_302600_NS10device_ptrIlEEjNS1_19radix_merge_compareILb0ELb0EfNS0_19identity_decomposerEEEEE10hipError_tT0_T1_T2_jT3_P12ihipStream_tbPNSt15iterator_traitsISG_E10value_typeEPNSM_ISH_E10value_typeEPSI_NS1_7vsmem_tEENKUlT_SG_SH_SI_E_clIS7_S7_PlSB_EESF_SV_SG_SH_SI_EUlSV_E0_NS1_11comp_targetILNS1_3genE8ELNS1_11target_archE1030ELNS1_3gpuE2ELNS1_3repE0EEENS1_38merge_mergepath_config_static_selectorELNS0_4arch9wavefront6targetE1EEEvSH_
		.amdhsa_group_segment_fixed_size 0
		.amdhsa_private_segment_fixed_size 0
		.amdhsa_kernarg_size 64
		.amdhsa_user_sgpr_count 6
		.amdhsa_user_sgpr_private_segment_buffer 1
		.amdhsa_user_sgpr_dispatch_ptr 0
		.amdhsa_user_sgpr_queue_ptr 0
		.amdhsa_user_sgpr_kernarg_segment_ptr 1
		.amdhsa_user_sgpr_dispatch_id 0
		.amdhsa_user_sgpr_flat_scratch_init 0
		.amdhsa_user_sgpr_private_segment_size 0
		.amdhsa_uses_dynamic_stack 0
		.amdhsa_system_sgpr_private_segment_wavefront_offset 0
		.amdhsa_system_sgpr_workgroup_id_x 1
		.amdhsa_system_sgpr_workgroup_id_y 0
		.amdhsa_system_sgpr_workgroup_id_z 0
		.amdhsa_system_sgpr_workgroup_info 0
		.amdhsa_system_vgpr_workitem_id 0
		.amdhsa_next_free_vgpr 1
		.amdhsa_next_free_sgpr 0
		.amdhsa_reserve_vcc 0
		.amdhsa_reserve_flat_scratch 0
		.amdhsa_float_round_mode_32 0
		.amdhsa_float_round_mode_16_64 0
		.amdhsa_float_denorm_mode_32 3
		.amdhsa_float_denorm_mode_16_64 3
		.amdhsa_dx10_clamp 1
		.amdhsa_ieee_mode 1
		.amdhsa_fp16_overflow 0
		.amdhsa_exception_fp_ieee_invalid_op 0
		.amdhsa_exception_fp_denorm_src 0
		.amdhsa_exception_fp_ieee_div_zero 0
		.amdhsa_exception_fp_ieee_overflow 0
		.amdhsa_exception_fp_ieee_underflow 0
		.amdhsa_exception_fp_ieee_inexact 0
		.amdhsa_exception_int_div_zero 0
	.end_amdhsa_kernel
	.section	.text._ZN7rocprim17ROCPRIM_400000_NS6detail17trampoline_kernelINS0_14default_configENS1_38merge_sort_block_merge_config_selectorIflEEZZNS1_27merge_sort_block_merge_implIS3_PfN6thrust23THRUST_200600_302600_NS10device_ptrIlEEjNS1_19radix_merge_compareILb0ELb0EfNS0_19identity_decomposerEEEEE10hipError_tT0_T1_T2_jT3_P12ihipStream_tbPNSt15iterator_traitsISG_E10value_typeEPNSM_ISH_E10value_typeEPSI_NS1_7vsmem_tEENKUlT_SG_SH_SI_E_clIS7_S7_PlSB_EESF_SV_SG_SH_SI_EUlSV_E0_NS1_11comp_targetILNS1_3genE8ELNS1_11target_archE1030ELNS1_3gpuE2ELNS1_3repE0EEENS1_38merge_mergepath_config_static_selectorELNS0_4arch9wavefront6targetE1EEEvSH_,"axG",@progbits,_ZN7rocprim17ROCPRIM_400000_NS6detail17trampoline_kernelINS0_14default_configENS1_38merge_sort_block_merge_config_selectorIflEEZZNS1_27merge_sort_block_merge_implIS3_PfN6thrust23THRUST_200600_302600_NS10device_ptrIlEEjNS1_19radix_merge_compareILb0ELb0EfNS0_19identity_decomposerEEEEE10hipError_tT0_T1_T2_jT3_P12ihipStream_tbPNSt15iterator_traitsISG_E10value_typeEPNSM_ISH_E10value_typeEPSI_NS1_7vsmem_tEENKUlT_SG_SH_SI_E_clIS7_S7_PlSB_EESF_SV_SG_SH_SI_EUlSV_E0_NS1_11comp_targetILNS1_3genE8ELNS1_11target_archE1030ELNS1_3gpuE2ELNS1_3repE0EEENS1_38merge_mergepath_config_static_selectorELNS0_4arch9wavefront6targetE1EEEvSH_,comdat
.Lfunc_end1775:
	.size	_ZN7rocprim17ROCPRIM_400000_NS6detail17trampoline_kernelINS0_14default_configENS1_38merge_sort_block_merge_config_selectorIflEEZZNS1_27merge_sort_block_merge_implIS3_PfN6thrust23THRUST_200600_302600_NS10device_ptrIlEEjNS1_19radix_merge_compareILb0ELb0EfNS0_19identity_decomposerEEEEE10hipError_tT0_T1_T2_jT3_P12ihipStream_tbPNSt15iterator_traitsISG_E10value_typeEPNSM_ISH_E10value_typeEPSI_NS1_7vsmem_tEENKUlT_SG_SH_SI_E_clIS7_S7_PlSB_EESF_SV_SG_SH_SI_EUlSV_E0_NS1_11comp_targetILNS1_3genE8ELNS1_11target_archE1030ELNS1_3gpuE2ELNS1_3repE0EEENS1_38merge_mergepath_config_static_selectorELNS0_4arch9wavefront6targetE1EEEvSH_, .Lfunc_end1775-_ZN7rocprim17ROCPRIM_400000_NS6detail17trampoline_kernelINS0_14default_configENS1_38merge_sort_block_merge_config_selectorIflEEZZNS1_27merge_sort_block_merge_implIS3_PfN6thrust23THRUST_200600_302600_NS10device_ptrIlEEjNS1_19radix_merge_compareILb0ELb0EfNS0_19identity_decomposerEEEEE10hipError_tT0_T1_T2_jT3_P12ihipStream_tbPNSt15iterator_traitsISG_E10value_typeEPNSM_ISH_E10value_typeEPSI_NS1_7vsmem_tEENKUlT_SG_SH_SI_E_clIS7_S7_PlSB_EESF_SV_SG_SH_SI_EUlSV_E0_NS1_11comp_targetILNS1_3genE8ELNS1_11target_archE1030ELNS1_3gpuE2ELNS1_3repE0EEENS1_38merge_mergepath_config_static_selectorELNS0_4arch9wavefront6targetE1EEEvSH_
                                        ; -- End function
	.set _ZN7rocprim17ROCPRIM_400000_NS6detail17trampoline_kernelINS0_14default_configENS1_38merge_sort_block_merge_config_selectorIflEEZZNS1_27merge_sort_block_merge_implIS3_PfN6thrust23THRUST_200600_302600_NS10device_ptrIlEEjNS1_19radix_merge_compareILb0ELb0EfNS0_19identity_decomposerEEEEE10hipError_tT0_T1_T2_jT3_P12ihipStream_tbPNSt15iterator_traitsISG_E10value_typeEPNSM_ISH_E10value_typeEPSI_NS1_7vsmem_tEENKUlT_SG_SH_SI_E_clIS7_S7_PlSB_EESF_SV_SG_SH_SI_EUlSV_E0_NS1_11comp_targetILNS1_3genE8ELNS1_11target_archE1030ELNS1_3gpuE2ELNS1_3repE0EEENS1_38merge_mergepath_config_static_selectorELNS0_4arch9wavefront6targetE1EEEvSH_.num_vgpr, 0
	.set _ZN7rocprim17ROCPRIM_400000_NS6detail17trampoline_kernelINS0_14default_configENS1_38merge_sort_block_merge_config_selectorIflEEZZNS1_27merge_sort_block_merge_implIS3_PfN6thrust23THRUST_200600_302600_NS10device_ptrIlEEjNS1_19radix_merge_compareILb0ELb0EfNS0_19identity_decomposerEEEEE10hipError_tT0_T1_T2_jT3_P12ihipStream_tbPNSt15iterator_traitsISG_E10value_typeEPNSM_ISH_E10value_typeEPSI_NS1_7vsmem_tEENKUlT_SG_SH_SI_E_clIS7_S7_PlSB_EESF_SV_SG_SH_SI_EUlSV_E0_NS1_11comp_targetILNS1_3genE8ELNS1_11target_archE1030ELNS1_3gpuE2ELNS1_3repE0EEENS1_38merge_mergepath_config_static_selectorELNS0_4arch9wavefront6targetE1EEEvSH_.num_agpr, 0
	.set _ZN7rocprim17ROCPRIM_400000_NS6detail17trampoline_kernelINS0_14default_configENS1_38merge_sort_block_merge_config_selectorIflEEZZNS1_27merge_sort_block_merge_implIS3_PfN6thrust23THRUST_200600_302600_NS10device_ptrIlEEjNS1_19radix_merge_compareILb0ELb0EfNS0_19identity_decomposerEEEEE10hipError_tT0_T1_T2_jT3_P12ihipStream_tbPNSt15iterator_traitsISG_E10value_typeEPNSM_ISH_E10value_typeEPSI_NS1_7vsmem_tEENKUlT_SG_SH_SI_E_clIS7_S7_PlSB_EESF_SV_SG_SH_SI_EUlSV_E0_NS1_11comp_targetILNS1_3genE8ELNS1_11target_archE1030ELNS1_3gpuE2ELNS1_3repE0EEENS1_38merge_mergepath_config_static_selectorELNS0_4arch9wavefront6targetE1EEEvSH_.numbered_sgpr, 0
	.set _ZN7rocprim17ROCPRIM_400000_NS6detail17trampoline_kernelINS0_14default_configENS1_38merge_sort_block_merge_config_selectorIflEEZZNS1_27merge_sort_block_merge_implIS3_PfN6thrust23THRUST_200600_302600_NS10device_ptrIlEEjNS1_19radix_merge_compareILb0ELb0EfNS0_19identity_decomposerEEEEE10hipError_tT0_T1_T2_jT3_P12ihipStream_tbPNSt15iterator_traitsISG_E10value_typeEPNSM_ISH_E10value_typeEPSI_NS1_7vsmem_tEENKUlT_SG_SH_SI_E_clIS7_S7_PlSB_EESF_SV_SG_SH_SI_EUlSV_E0_NS1_11comp_targetILNS1_3genE8ELNS1_11target_archE1030ELNS1_3gpuE2ELNS1_3repE0EEENS1_38merge_mergepath_config_static_selectorELNS0_4arch9wavefront6targetE1EEEvSH_.num_named_barrier, 0
	.set _ZN7rocprim17ROCPRIM_400000_NS6detail17trampoline_kernelINS0_14default_configENS1_38merge_sort_block_merge_config_selectorIflEEZZNS1_27merge_sort_block_merge_implIS3_PfN6thrust23THRUST_200600_302600_NS10device_ptrIlEEjNS1_19radix_merge_compareILb0ELb0EfNS0_19identity_decomposerEEEEE10hipError_tT0_T1_T2_jT3_P12ihipStream_tbPNSt15iterator_traitsISG_E10value_typeEPNSM_ISH_E10value_typeEPSI_NS1_7vsmem_tEENKUlT_SG_SH_SI_E_clIS7_S7_PlSB_EESF_SV_SG_SH_SI_EUlSV_E0_NS1_11comp_targetILNS1_3genE8ELNS1_11target_archE1030ELNS1_3gpuE2ELNS1_3repE0EEENS1_38merge_mergepath_config_static_selectorELNS0_4arch9wavefront6targetE1EEEvSH_.private_seg_size, 0
	.set _ZN7rocprim17ROCPRIM_400000_NS6detail17trampoline_kernelINS0_14default_configENS1_38merge_sort_block_merge_config_selectorIflEEZZNS1_27merge_sort_block_merge_implIS3_PfN6thrust23THRUST_200600_302600_NS10device_ptrIlEEjNS1_19radix_merge_compareILb0ELb0EfNS0_19identity_decomposerEEEEE10hipError_tT0_T1_T2_jT3_P12ihipStream_tbPNSt15iterator_traitsISG_E10value_typeEPNSM_ISH_E10value_typeEPSI_NS1_7vsmem_tEENKUlT_SG_SH_SI_E_clIS7_S7_PlSB_EESF_SV_SG_SH_SI_EUlSV_E0_NS1_11comp_targetILNS1_3genE8ELNS1_11target_archE1030ELNS1_3gpuE2ELNS1_3repE0EEENS1_38merge_mergepath_config_static_selectorELNS0_4arch9wavefront6targetE1EEEvSH_.uses_vcc, 0
	.set _ZN7rocprim17ROCPRIM_400000_NS6detail17trampoline_kernelINS0_14default_configENS1_38merge_sort_block_merge_config_selectorIflEEZZNS1_27merge_sort_block_merge_implIS3_PfN6thrust23THRUST_200600_302600_NS10device_ptrIlEEjNS1_19radix_merge_compareILb0ELb0EfNS0_19identity_decomposerEEEEE10hipError_tT0_T1_T2_jT3_P12ihipStream_tbPNSt15iterator_traitsISG_E10value_typeEPNSM_ISH_E10value_typeEPSI_NS1_7vsmem_tEENKUlT_SG_SH_SI_E_clIS7_S7_PlSB_EESF_SV_SG_SH_SI_EUlSV_E0_NS1_11comp_targetILNS1_3genE8ELNS1_11target_archE1030ELNS1_3gpuE2ELNS1_3repE0EEENS1_38merge_mergepath_config_static_selectorELNS0_4arch9wavefront6targetE1EEEvSH_.uses_flat_scratch, 0
	.set _ZN7rocprim17ROCPRIM_400000_NS6detail17trampoline_kernelINS0_14default_configENS1_38merge_sort_block_merge_config_selectorIflEEZZNS1_27merge_sort_block_merge_implIS3_PfN6thrust23THRUST_200600_302600_NS10device_ptrIlEEjNS1_19radix_merge_compareILb0ELb0EfNS0_19identity_decomposerEEEEE10hipError_tT0_T1_T2_jT3_P12ihipStream_tbPNSt15iterator_traitsISG_E10value_typeEPNSM_ISH_E10value_typeEPSI_NS1_7vsmem_tEENKUlT_SG_SH_SI_E_clIS7_S7_PlSB_EESF_SV_SG_SH_SI_EUlSV_E0_NS1_11comp_targetILNS1_3genE8ELNS1_11target_archE1030ELNS1_3gpuE2ELNS1_3repE0EEENS1_38merge_mergepath_config_static_selectorELNS0_4arch9wavefront6targetE1EEEvSH_.has_dyn_sized_stack, 0
	.set _ZN7rocprim17ROCPRIM_400000_NS6detail17trampoline_kernelINS0_14default_configENS1_38merge_sort_block_merge_config_selectorIflEEZZNS1_27merge_sort_block_merge_implIS3_PfN6thrust23THRUST_200600_302600_NS10device_ptrIlEEjNS1_19radix_merge_compareILb0ELb0EfNS0_19identity_decomposerEEEEE10hipError_tT0_T1_T2_jT3_P12ihipStream_tbPNSt15iterator_traitsISG_E10value_typeEPNSM_ISH_E10value_typeEPSI_NS1_7vsmem_tEENKUlT_SG_SH_SI_E_clIS7_S7_PlSB_EESF_SV_SG_SH_SI_EUlSV_E0_NS1_11comp_targetILNS1_3genE8ELNS1_11target_archE1030ELNS1_3gpuE2ELNS1_3repE0EEENS1_38merge_mergepath_config_static_selectorELNS0_4arch9wavefront6targetE1EEEvSH_.has_recursion, 0
	.set _ZN7rocprim17ROCPRIM_400000_NS6detail17trampoline_kernelINS0_14default_configENS1_38merge_sort_block_merge_config_selectorIflEEZZNS1_27merge_sort_block_merge_implIS3_PfN6thrust23THRUST_200600_302600_NS10device_ptrIlEEjNS1_19radix_merge_compareILb0ELb0EfNS0_19identity_decomposerEEEEE10hipError_tT0_T1_T2_jT3_P12ihipStream_tbPNSt15iterator_traitsISG_E10value_typeEPNSM_ISH_E10value_typeEPSI_NS1_7vsmem_tEENKUlT_SG_SH_SI_E_clIS7_S7_PlSB_EESF_SV_SG_SH_SI_EUlSV_E0_NS1_11comp_targetILNS1_3genE8ELNS1_11target_archE1030ELNS1_3gpuE2ELNS1_3repE0EEENS1_38merge_mergepath_config_static_selectorELNS0_4arch9wavefront6targetE1EEEvSH_.has_indirect_call, 0
	.section	.AMDGPU.csdata,"",@progbits
; Kernel info:
; codeLenInByte = 0
; TotalNumSgprs: 4
; NumVgprs: 0
; ScratchSize: 0
; MemoryBound: 0
; FloatMode: 240
; IeeeMode: 1
; LDSByteSize: 0 bytes/workgroup (compile time only)
; SGPRBlocks: 0
; VGPRBlocks: 0
; NumSGPRsForWavesPerEU: 4
; NumVGPRsForWavesPerEU: 1
; Occupancy: 10
; WaveLimiterHint : 0
; COMPUTE_PGM_RSRC2:SCRATCH_EN: 0
; COMPUTE_PGM_RSRC2:USER_SGPR: 6
; COMPUTE_PGM_RSRC2:TRAP_HANDLER: 0
; COMPUTE_PGM_RSRC2:TGID_X_EN: 1
; COMPUTE_PGM_RSRC2:TGID_Y_EN: 0
; COMPUTE_PGM_RSRC2:TGID_Z_EN: 0
; COMPUTE_PGM_RSRC2:TIDIG_COMP_CNT: 0
	.section	.text._ZN7rocprim17ROCPRIM_400000_NS6detail17trampoline_kernelINS0_14default_configENS1_38merge_sort_block_merge_config_selectorIflEEZZNS1_27merge_sort_block_merge_implIS3_PfN6thrust23THRUST_200600_302600_NS10device_ptrIlEEjNS1_19radix_merge_compareILb0ELb0EfNS0_19identity_decomposerEEEEE10hipError_tT0_T1_T2_jT3_P12ihipStream_tbPNSt15iterator_traitsISG_E10value_typeEPNSM_ISH_E10value_typeEPSI_NS1_7vsmem_tEENKUlT_SG_SH_SI_E_clIS7_S7_PlSB_EESF_SV_SG_SH_SI_EUlSV_E1_NS1_11comp_targetILNS1_3genE0ELNS1_11target_archE4294967295ELNS1_3gpuE0ELNS1_3repE0EEENS1_36merge_oddeven_config_static_selectorELNS0_4arch9wavefront6targetE1EEEvSH_,"axG",@progbits,_ZN7rocprim17ROCPRIM_400000_NS6detail17trampoline_kernelINS0_14default_configENS1_38merge_sort_block_merge_config_selectorIflEEZZNS1_27merge_sort_block_merge_implIS3_PfN6thrust23THRUST_200600_302600_NS10device_ptrIlEEjNS1_19radix_merge_compareILb0ELb0EfNS0_19identity_decomposerEEEEE10hipError_tT0_T1_T2_jT3_P12ihipStream_tbPNSt15iterator_traitsISG_E10value_typeEPNSM_ISH_E10value_typeEPSI_NS1_7vsmem_tEENKUlT_SG_SH_SI_E_clIS7_S7_PlSB_EESF_SV_SG_SH_SI_EUlSV_E1_NS1_11comp_targetILNS1_3genE0ELNS1_11target_archE4294967295ELNS1_3gpuE0ELNS1_3repE0EEENS1_36merge_oddeven_config_static_selectorELNS0_4arch9wavefront6targetE1EEEvSH_,comdat
	.protected	_ZN7rocprim17ROCPRIM_400000_NS6detail17trampoline_kernelINS0_14default_configENS1_38merge_sort_block_merge_config_selectorIflEEZZNS1_27merge_sort_block_merge_implIS3_PfN6thrust23THRUST_200600_302600_NS10device_ptrIlEEjNS1_19radix_merge_compareILb0ELb0EfNS0_19identity_decomposerEEEEE10hipError_tT0_T1_T2_jT3_P12ihipStream_tbPNSt15iterator_traitsISG_E10value_typeEPNSM_ISH_E10value_typeEPSI_NS1_7vsmem_tEENKUlT_SG_SH_SI_E_clIS7_S7_PlSB_EESF_SV_SG_SH_SI_EUlSV_E1_NS1_11comp_targetILNS1_3genE0ELNS1_11target_archE4294967295ELNS1_3gpuE0ELNS1_3repE0EEENS1_36merge_oddeven_config_static_selectorELNS0_4arch9wavefront6targetE1EEEvSH_ ; -- Begin function _ZN7rocprim17ROCPRIM_400000_NS6detail17trampoline_kernelINS0_14default_configENS1_38merge_sort_block_merge_config_selectorIflEEZZNS1_27merge_sort_block_merge_implIS3_PfN6thrust23THRUST_200600_302600_NS10device_ptrIlEEjNS1_19radix_merge_compareILb0ELb0EfNS0_19identity_decomposerEEEEE10hipError_tT0_T1_T2_jT3_P12ihipStream_tbPNSt15iterator_traitsISG_E10value_typeEPNSM_ISH_E10value_typeEPSI_NS1_7vsmem_tEENKUlT_SG_SH_SI_E_clIS7_S7_PlSB_EESF_SV_SG_SH_SI_EUlSV_E1_NS1_11comp_targetILNS1_3genE0ELNS1_11target_archE4294967295ELNS1_3gpuE0ELNS1_3repE0EEENS1_36merge_oddeven_config_static_selectorELNS0_4arch9wavefront6targetE1EEEvSH_
	.globl	_ZN7rocprim17ROCPRIM_400000_NS6detail17trampoline_kernelINS0_14default_configENS1_38merge_sort_block_merge_config_selectorIflEEZZNS1_27merge_sort_block_merge_implIS3_PfN6thrust23THRUST_200600_302600_NS10device_ptrIlEEjNS1_19radix_merge_compareILb0ELb0EfNS0_19identity_decomposerEEEEE10hipError_tT0_T1_T2_jT3_P12ihipStream_tbPNSt15iterator_traitsISG_E10value_typeEPNSM_ISH_E10value_typeEPSI_NS1_7vsmem_tEENKUlT_SG_SH_SI_E_clIS7_S7_PlSB_EESF_SV_SG_SH_SI_EUlSV_E1_NS1_11comp_targetILNS1_3genE0ELNS1_11target_archE4294967295ELNS1_3gpuE0ELNS1_3repE0EEENS1_36merge_oddeven_config_static_selectorELNS0_4arch9wavefront6targetE1EEEvSH_
	.p2align	8
	.type	_ZN7rocprim17ROCPRIM_400000_NS6detail17trampoline_kernelINS0_14default_configENS1_38merge_sort_block_merge_config_selectorIflEEZZNS1_27merge_sort_block_merge_implIS3_PfN6thrust23THRUST_200600_302600_NS10device_ptrIlEEjNS1_19radix_merge_compareILb0ELb0EfNS0_19identity_decomposerEEEEE10hipError_tT0_T1_T2_jT3_P12ihipStream_tbPNSt15iterator_traitsISG_E10value_typeEPNSM_ISH_E10value_typeEPSI_NS1_7vsmem_tEENKUlT_SG_SH_SI_E_clIS7_S7_PlSB_EESF_SV_SG_SH_SI_EUlSV_E1_NS1_11comp_targetILNS1_3genE0ELNS1_11target_archE4294967295ELNS1_3gpuE0ELNS1_3repE0EEENS1_36merge_oddeven_config_static_selectorELNS0_4arch9wavefront6targetE1EEEvSH_,@function
_ZN7rocprim17ROCPRIM_400000_NS6detail17trampoline_kernelINS0_14default_configENS1_38merge_sort_block_merge_config_selectorIflEEZZNS1_27merge_sort_block_merge_implIS3_PfN6thrust23THRUST_200600_302600_NS10device_ptrIlEEjNS1_19radix_merge_compareILb0ELb0EfNS0_19identity_decomposerEEEEE10hipError_tT0_T1_T2_jT3_P12ihipStream_tbPNSt15iterator_traitsISG_E10value_typeEPNSM_ISH_E10value_typeEPSI_NS1_7vsmem_tEENKUlT_SG_SH_SI_E_clIS7_S7_PlSB_EESF_SV_SG_SH_SI_EUlSV_E1_NS1_11comp_targetILNS1_3genE0ELNS1_11target_archE4294967295ELNS1_3gpuE0ELNS1_3repE0EEENS1_36merge_oddeven_config_static_selectorELNS0_4arch9wavefront6targetE1EEEvSH_: ; @_ZN7rocprim17ROCPRIM_400000_NS6detail17trampoline_kernelINS0_14default_configENS1_38merge_sort_block_merge_config_selectorIflEEZZNS1_27merge_sort_block_merge_implIS3_PfN6thrust23THRUST_200600_302600_NS10device_ptrIlEEjNS1_19radix_merge_compareILb0ELb0EfNS0_19identity_decomposerEEEEE10hipError_tT0_T1_T2_jT3_P12ihipStream_tbPNSt15iterator_traitsISG_E10value_typeEPNSM_ISH_E10value_typeEPSI_NS1_7vsmem_tEENKUlT_SG_SH_SI_E_clIS7_S7_PlSB_EESF_SV_SG_SH_SI_EUlSV_E1_NS1_11comp_targetILNS1_3genE0ELNS1_11target_archE4294967295ELNS1_3gpuE0ELNS1_3repE0EEENS1_36merge_oddeven_config_static_selectorELNS0_4arch9wavefront6targetE1EEEvSH_
; %bb.0:
	.section	.rodata,"a",@progbits
	.p2align	6, 0x0
	.amdhsa_kernel _ZN7rocprim17ROCPRIM_400000_NS6detail17trampoline_kernelINS0_14default_configENS1_38merge_sort_block_merge_config_selectorIflEEZZNS1_27merge_sort_block_merge_implIS3_PfN6thrust23THRUST_200600_302600_NS10device_ptrIlEEjNS1_19radix_merge_compareILb0ELb0EfNS0_19identity_decomposerEEEEE10hipError_tT0_T1_T2_jT3_P12ihipStream_tbPNSt15iterator_traitsISG_E10value_typeEPNSM_ISH_E10value_typeEPSI_NS1_7vsmem_tEENKUlT_SG_SH_SI_E_clIS7_S7_PlSB_EESF_SV_SG_SH_SI_EUlSV_E1_NS1_11comp_targetILNS1_3genE0ELNS1_11target_archE4294967295ELNS1_3gpuE0ELNS1_3repE0EEENS1_36merge_oddeven_config_static_selectorELNS0_4arch9wavefront6targetE1EEEvSH_
		.amdhsa_group_segment_fixed_size 0
		.amdhsa_private_segment_fixed_size 0
		.amdhsa_kernarg_size 48
		.amdhsa_user_sgpr_count 6
		.amdhsa_user_sgpr_private_segment_buffer 1
		.amdhsa_user_sgpr_dispatch_ptr 0
		.amdhsa_user_sgpr_queue_ptr 0
		.amdhsa_user_sgpr_kernarg_segment_ptr 1
		.amdhsa_user_sgpr_dispatch_id 0
		.amdhsa_user_sgpr_flat_scratch_init 0
		.amdhsa_user_sgpr_private_segment_size 0
		.amdhsa_uses_dynamic_stack 0
		.amdhsa_system_sgpr_private_segment_wavefront_offset 0
		.amdhsa_system_sgpr_workgroup_id_x 1
		.amdhsa_system_sgpr_workgroup_id_y 0
		.amdhsa_system_sgpr_workgroup_id_z 0
		.amdhsa_system_sgpr_workgroup_info 0
		.amdhsa_system_vgpr_workitem_id 0
		.amdhsa_next_free_vgpr 1
		.amdhsa_next_free_sgpr 0
		.amdhsa_reserve_vcc 0
		.amdhsa_reserve_flat_scratch 0
		.amdhsa_float_round_mode_32 0
		.amdhsa_float_round_mode_16_64 0
		.amdhsa_float_denorm_mode_32 3
		.amdhsa_float_denorm_mode_16_64 3
		.amdhsa_dx10_clamp 1
		.amdhsa_ieee_mode 1
		.amdhsa_fp16_overflow 0
		.amdhsa_exception_fp_ieee_invalid_op 0
		.amdhsa_exception_fp_denorm_src 0
		.amdhsa_exception_fp_ieee_div_zero 0
		.amdhsa_exception_fp_ieee_overflow 0
		.amdhsa_exception_fp_ieee_underflow 0
		.amdhsa_exception_fp_ieee_inexact 0
		.amdhsa_exception_int_div_zero 0
	.end_amdhsa_kernel
	.section	.text._ZN7rocprim17ROCPRIM_400000_NS6detail17trampoline_kernelINS0_14default_configENS1_38merge_sort_block_merge_config_selectorIflEEZZNS1_27merge_sort_block_merge_implIS3_PfN6thrust23THRUST_200600_302600_NS10device_ptrIlEEjNS1_19radix_merge_compareILb0ELb0EfNS0_19identity_decomposerEEEEE10hipError_tT0_T1_T2_jT3_P12ihipStream_tbPNSt15iterator_traitsISG_E10value_typeEPNSM_ISH_E10value_typeEPSI_NS1_7vsmem_tEENKUlT_SG_SH_SI_E_clIS7_S7_PlSB_EESF_SV_SG_SH_SI_EUlSV_E1_NS1_11comp_targetILNS1_3genE0ELNS1_11target_archE4294967295ELNS1_3gpuE0ELNS1_3repE0EEENS1_36merge_oddeven_config_static_selectorELNS0_4arch9wavefront6targetE1EEEvSH_,"axG",@progbits,_ZN7rocprim17ROCPRIM_400000_NS6detail17trampoline_kernelINS0_14default_configENS1_38merge_sort_block_merge_config_selectorIflEEZZNS1_27merge_sort_block_merge_implIS3_PfN6thrust23THRUST_200600_302600_NS10device_ptrIlEEjNS1_19radix_merge_compareILb0ELb0EfNS0_19identity_decomposerEEEEE10hipError_tT0_T1_T2_jT3_P12ihipStream_tbPNSt15iterator_traitsISG_E10value_typeEPNSM_ISH_E10value_typeEPSI_NS1_7vsmem_tEENKUlT_SG_SH_SI_E_clIS7_S7_PlSB_EESF_SV_SG_SH_SI_EUlSV_E1_NS1_11comp_targetILNS1_3genE0ELNS1_11target_archE4294967295ELNS1_3gpuE0ELNS1_3repE0EEENS1_36merge_oddeven_config_static_selectorELNS0_4arch9wavefront6targetE1EEEvSH_,comdat
.Lfunc_end1776:
	.size	_ZN7rocprim17ROCPRIM_400000_NS6detail17trampoline_kernelINS0_14default_configENS1_38merge_sort_block_merge_config_selectorIflEEZZNS1_27merge_sort_block_merge_implIS3_PfN6thrust23THRUST_200600_302600_NS10device_ptrIlEEjNS1_19radix_merge_compareILb0ELb0EfNS0_19identity_decomposerEEEEE10hipError_tT0_T1_T2_jT3_P12ihipStream_tbPNSt15iterator_traitsISG_E10value_typeEPNSM_ISH_E10value_typeEPSI_NS1_7vsmem_tEENKUlT_SG_SH_SI_E_clIS7_S7_PlSB_EESF_SV_SG_SH_SI_EUlSV_E1_NS1_11comp_targetILNS1_3genE0ELNS1_11target_archE4294967295ELNS1_3gpuE0ELNS1_3repE0EEENS1_36merge_oddeven_config_static_selectorELNS0_4arch9wavefront6targetE1EEEvSH_, .Lfunc_end1776-_ZN7rocprim17ROCPRIM_400000_NS6detail17trampoline_kernelINS0_14default_configENS1_38merge_sort_block_merge_config_selectorIflEEZZNS1_27merge_sort_block_merge_implIS3_PfN6thrust23THRUST_200600_302600_NS10device_ptrIlEEjNS1_19radix_merge_compareILb0ELb0EfNS0_19identity_decomposerEEEEE10hipError_tT0_T1_T2_jT3_P12ihipStream_tbPNSt15iterator_traitsISG_E10value_typeEPNSM_ISH_E10value_typeEPSI_NS1_7vsmem_tEENKUlT_SG_SH_SI_E_clIS7_S7_PlSB_EESF_SV_SG_SH_SI_EUlSV_E1_NS1_11comp_targetILNS1_3genE0ELNS1_11target_archE4294967295ELNS1_3gpuE0ELNS1_3repE0EEENS1_36merge_oddeven_config_static_selectorELNS0_4arch9wavefront6targetE1EEEvSH_
                                        ; -- End function
	.set _ZN7rocprim17ROCPRIM_400000_NS6detail17trampoline_kernelINS0_14default_configENS1_38merge_sort_block_merge_config_selectorIflEEZZNS1_27merge_sort_block_merge_implIS3_PfN6thrust23THRUST_200600_302600_NS10device_ptrIlEEjNS1_19radix_merge_compareILb0ELb0EfNS0_19identity_decomposerEEEEE10hipError_tT0_T1_T2_jT3_P12ihipStream_tbPNSt15iterator_traitsISG_E10value_typeEPNSM_ISH_E10value_typeEPSI_NS1_7vsmem_tEENKUlT_SG_SH_SI_E_clIS7_S7_PlSB_EESF_SV_SG_SH_SI_EUlSV_E1_NS1_11comp_targetILNS1_3genE0ELNS1_11target_archE4294967295ELNS1_3gpuE0ELNS1_3repE0EEENS1_36merge_oddeven_config_static_selectorELNS0_4arch9wavefront6targetE1EEEvSH_.num_vgpr, 0
	.set _ZN7rocprim17ROCPRIM_400000_NS6detail17trampoline_kernelINS0_14default_configENS1_38merge_sort_block_merge_config_selectorIflEEZZNS1_27merge_sort_block_merge_implIS3_PfN6thrust23THRUST_200600_302600_NS10device_ptrIlEEjNS1_19radix_merge_compareILb0ELb0EfNS0_19identity_decomposerEEEEE10hipError_tT0_T1_T2_jT3_P12ihipStream_tbPNSt15iterator_traitsISG_E10value_typeEPNSM_ISH_E10value_typeEPSI_NS1_7vsmem_tEENKUlT_SG_SH_SI_E_clIS7_S7_PlSB_EESF_SV_SG_SH_SI_EUlSV_E1_NS1_11comp_targetILNS1_3genE0ELNS1_11target_archE4294967295ELNS1_3gpuE0ELNS1_3repE0EEENS1_36merge_oddeven_config_static_selectorELNS0_4arch9wavefront6targetE1EEEvSH_.num_agpr, 0
	.set _ZN7rocprim17ROCPRIM_400000_NS6detail17trampoline_kernelINS0_14default_configENS1_38merge_sort_block_merge_config_selectorIflEEZZNS1_27merge_sort_block_merge_implIS3_PfN6thrust23THRUST_200600_302600_NS10device_ptrIlEEjNS1_19radix_merge_compareILb0ELb0EfNS0_19identity_decomposerEEEEE10hipError_tT0_T1_T2_jT3_P12ihipStream_tbPNSt15iterator_traitsISG_E10value_typeEPNSM_ISH_E10value_typeEPSI_NS1_7vsmem_tEENKUlT_SG_SH_SI_E_clIS7_S7_PlSB_EESF_SV_SG_SH_SI_EUlSV_E1_NS1_11comp_targetILNS1_3genE0ELNS1_11target_archE4294967295ELNS1_3gpuE0ELNS1_3repE0EEENS1_36merge_oddeven_config_static_selectorELNS0_4arch9wavefront6targetE1EEEvSH_.numbered_sgpr, 0
	.set _ZN7rocprim17ROCPRIM_400000_NS6detail17trampoline_kernelINS0_14default_configENS1_38merge_sort_block_merge_config_selectorIflEEZZNS1_27merge_sort_block_merge_implIS3_PfN6thrust23THRUST_200600_302600_NS10device_ptrIlEEjNS1_19radix_merge_compareILb0ELb0EfNS0_19identity_decomposerEEEEE10hipError_tT0_T1_T2_jT3_P12ihipStream_tbPNSt15iterator_traitsISG_E10value_typeEPNSM_ISH_E10value_typeEPSI_NS1_7vsmem_tEENKUlT_SG_SH_SI_E_clIS7_S7_PlSB_EESF_SV_SG_SH_SI_EUlSV_E1_NS1_11comp_targetILNS1_3genE0ELNS1_11target_archE4294967295ELNS1_3gpuE0ELNS1_3repE0EEENS1_36merge_oddeven_config_static_selectorELNS0_4arch9wavefront6targetE1EEEvSH_.num_named_barrier, 0
	.set _ZN7rocprim17ROCPRIM_400000_NS6detail17trampoline_kernelINS0_14default_configENS1_38merge_sort_block_merge_config_selectorIflEEZZNS1_27merge_sort_block_merge_implIS3_PfN6thrust23THRUST_200600_302600_NS10device_ptrIlEEjNS1_19radix_merge_compareILb0ELb0EfNS0_19identity_decomposerEEEEE10hipError_tT0_T1_T2_jT3_P12ihipStream_tbPNSt15iterator_traitsISG_E10value_typeEPNSM_ISH_E10value_typeEPSI_NS1_7vsmem_tEENKUlT_SG_SH_SI_E_clIS7_S7_PlSB_EESF_SV_SG_SH_SI_EUlSV_E1_NS1_11comp_targetILNS1_3genE0ELNS1_11target_archE4294967295ELNS1_3gpuE0ELNS1_3repE0EEENS1_36merge_oddeven_config_static_selectorELNS0_4arch9wavefront6targetE1EEEvSH_.private_seg_size, 0
	.set _ZN7rocprim17ROCPRIM_400000_NS6detail17trampoline_kernelINS0_14default_configENS1_38merge_sort_block_merge_config_selectorIflEEZZNS1_27merge_sort_block_merge_implIS3_PfN6thrust23THRUST_200600_302600_NS10device_ptrIlEEjNS1_19radix_merge_compareILb0ELb0EfNS0_19identity_decomposerEEEEE10hipError_tT0_T1_T2_jT3_P12ihipStream_tbPNSt15iterator_traitsISG_E10value_typeEPNSM_ISH_E10value_typeEPSI_NS1_7vsmem_tEENKUlT_SG_SH_SI_E_clIS7_S7_PlSB_EESF_SV_SG_SH_SI_EUlSV_E1_NS1_11comp_targetILNS1_3genE0ELNS1_11target_archE4294967295ELNS1_3gpuE0ELNS1_3repE0EEENS1_36merge_oddeven_config_static_selectorELNS0_4arch9wavefront6targetE1EEEvSH_.uses_vcc, 0
	.set _ZN7rocprim17ROCPRIM_400000_NS6detail17trampoline_kernelINS0_14default_configENS1_38merge_sort_block_merge_config_selectorIflEEZZNS1_27merge_sort_block_merge_implIS3_PfN6thrust23THRUST_200600_302600_NS10device_ptrIlEEjNS1_19radix_merge_compareILb0ELb0EfNS0_19identity_decomposerEEEEE10hipError_tT0_T1_T2_jT3_P12ihipStream_tbPNSt15iterator_traitsISG_E10value_typeEPNSM_ISH_E10value_typeEPSI_NS1_7vsmem_tEENKUlT_SG_SH_SI_E_clIS7_S7_PlSB_EESF_SV_SG_SH_SI_EUlSV_E1_NS1_11comp_targetILNS1_3genE0ELNS1_11target_archE4294967295ELNS1_3gpuE0ELNS1_3repE0EEENS1_36merge_oddeven_config_static_selectorELNS0_4arch9wavefront6targetE1EEEvSH_.uses_flat_scratch, 0
	.set _ZN7rocprim17ROCPRIM_400000_NS6detail17trampoline_kernelINS0_14default_configENS1_38merge_sort_block_merge_config_selectorIflEEZZNS1_27merge_sort_block_merge_implIS3_PfN6thrust23THRUST_200600_302600_NS10device_ptrIlEEjNS1_19radix_merge_compareILb0ELb0EfNS0_19identity_decomposerEEEEE10hipError_tT0_T1_T2_jT3_P12ihipStream_tbPNSt15iterator_traitsISG_E10value_typeEPNSM_ISH_E10value_typeEPSI_NS1_7vsmem_tEENKUlT_SG_SH_SI_E_clIS7_S7_PlSB_EESF_SV_SG_SH_SI_EUlSV_E1_NS1_11comp_targetILNS1_3genE0ELNS1_11target_archE4294967295ELNS1_3gpuE0ELNS1_3repE0EEENS1_36merge_oddeven_config_static_selectorELNS0_4arch9wavefront6targetE1EEEvSH_.has_dyn_sized_stack, 0
	.set _ZN7rocprim17ROCPRIM_400000_NS6detail17trampoline_kernelINS0_14default_configENS1_38merge_sort_block_merge_config_selectorIflEEZZNS1_27merge_sort_block_merge_implIS3_PfN6thrust23THRUST_200600_302600_NS10device_ptrIlEEjNS1_19radix_merge_compareILb0ELb0EfNS0_19identity_decomposerEEEEE10hipError_tT0_T1_T2_jT3_P12ihipStream_tbPNSt15iterator_traitsISG_E10value_typeEPNSM_ISH_E10value_typeEPSI_NS1_7vsmem_tEENKUlT_SG_SH_SI_E_clIS7_S7_PlSB_EESF_SV_SG_SH_SI_EUlSV_E1_NS1_11comp_targetILNS1_3genE0ELNS1_11target_archE4294967295ELNS1_3gpuE0ELNS1_3repE0EEENS1_36merge_oddeven_config_static_selectorELNS0_4arch9wavefront6targetE1EEEvSH_.has_recursion, 0
	.set _ZN7rocprim17ROCPRIM_400000_NS6detail17trampoline_kernelINS0_14default_configENS1_38merge_sort_block_merge_config_selectorIflEEZZNS1_27merge_sort_block_merge_implIS3_PfN6thrust23THRUST_200600_302600_NS10device_ptrIlEEjNS1_19radix_merge_compareILb0ELb0EfNS0_19identity_decomposerEEEEE10hipError_tT0_T1_T2_jT3_P12ihipStream_tbPNSt15iterator_traitsISG_E10value_typeEPNSM_ISH_E10value_typeEPSI_NS1_7vsmem_tEENKUlT_SG_SH_SI_E_clIS7_S7_PlSB_EESF_SV_SG_SH_SI_EUlSV_E1_NS1_11comp_targetILNS1_3genE0ELNS1_11target_archE4294967295ELNS1_3gpuE0ELNS1_3repE0EEENS1_36merge_oddeven_config_static_selectorELNS0_4arch9wavefront6targetE1EEEvSH_.has_indirect_call, 0
	.section	.AMDGPU.csdata,"",@progbits
; Kernel info:
; codeLenInByte = 0
; TotalNumSgprs: 4
; NumVgprs: 0
; ScratchSize: 0
; MemoryBound: 0
; FloatMode: 240
; IeeeMode: 1
; LDSByteSize: 0 bytes/workgroup (compile time only)
; SGPRBlocks: 0
; VGPRBlocks: 0
; NumSGPRsForWavesPerEU: 4
; NumVGPRsForWavesPerEU: 1
; Occupancy: 10
; WaveLimiterHint : 0
; COMPUTE_PGM_RSRC2:SCRATCH_EN: 0
; COMPUTE_PGM_RSRC2:USER_SGPR: 6
; COMPUTE_PGM_RSRC2:TRAP_HANDLER: 0
; COMPUTE_PGM_RSRC2:TGID_X_EN: 1
; COMPUTE_PGM_RSRC2:TGID_Y_EN: 0
; COMPUTE_PGM_RSRC2:TGID_Z_EN: 0
; COMPUTE_PGM_RSRC2:TIDIG_COMP_CNT: 0
	.section	.text._ZN7rocprim17ROCPRIM_400000_NS6detail17trampoline_kernelINS0_14default_configENS1_38merge_sort_block_merge_config_selectorIflEEZZNS1_27merge_sort_block_merge_implIS3_PfN6thrust23THRUST_200600_302600_NS10device_ptrIlEEjNS1_19radix_merge_compareILb0ELb0EfNS0_19identity_decomposerEEEEE10hipError_tT0_T1_T2_jT3_P12ihipStream_tbPNSt15iterator_traitsISG_E10value_typeEPNSM_ISH_E10value_typeEPSI_NS1_7vsmem_tEENKUlT_SG_SH_SI_E_clIS7_S7_PlSB_EESF_SV_SG_SH_SI_EUlSV_E1_NS1_11comp_targetILNS1_3genE10ELNS1_11target_archE1201ELNS1_3gpuE5ELNS1_3repE0EEENS1_36merge_oddeven_config_static_selectorELNS0_4arch9wavefront6targetE1EEEvSH_,"axG",@progbits,_ZN7rocprim17ROCPRIM_400000_NS6detail17trampoline_kernelINS0_14default_configENS1_38merge_sort_block_merge_config_selectorIflEEZZNS1_27merge_sort_block_merge_implIS3_PfN6thrust23THRUST_200600_302600_NS10device_ptrIlEEjNS1_19radix_merge_compareILb0ELb0EfNS0_19identity_decomposerEEEEE10hipError_tT0_T1_T2_jT3_P12ihipStream_tbPNSt15iterator_traitsISG_E10value_typeEPNSM_ISH_E10value_typeEPSI_NS1_7vsmem_tEENKUlT_SG_SH_SI_E_clIS7_S7_PlSB_EESF_SV_SG_SH_SI_EUlSV_E1_NS1_11comp_targetILNS1_3genE10ELNS1_11target_archE1201ELNS1_3gpuE5ELNS1_3repE0EEENS1_36merge_oddeven_config_static_selectorELNS0_4arch9wavefront6targetE1EEEvSH_,comdat
	.protected	_ZN7rocprim17ROCPRIM_400000_NS6detail17trampoline_kernelINS0_14default_configENS1_38merge_sort_block_merge_config_selectorIflEEZZNS1_27merge_sort_block_merge_implIS3_PfN6thrust23THRUST_200600_302600_NS10device_ptrIlEEjNS1_19radix_merge_compareILb0ELb0EfNS0_19identity_decomposerEEEEE10hipError_tT0_T1_T2_jT3_P12ihipStream_tbPNSt15iterator_traitsISG_E10value_typeEPNSM_ISH_E10value_typeEPSI_NS1_7vsmem_tEENKUlT_SG_SH_SI_E_clIS7_S7_PlSB_EESF_SV_SG_SH_SI_EUlSV_E1_NS1_11comp_targetILNS1_3genE10ELNS1_11target_archE1201ELNS1_3gpuE5ELNS1_3repE0EEENS1_36merge_oddeven_config_static_selectorELNS0_4arch9wavefront6targetE1EEEvSH_ ; -- Begin function _ZN7rocprim17ROCPRIM_400000_NS6detail17trampoline_kernelINS0_14default_configENS1_38merge_sort_block_merge_config_selectorIflEEZZNS1_27merge_sort_block_merge_implIS3_PfN6thrust23THRUST_200600_302600_NS10device_ptrIlEEjNS1_19radix_merge_compareILb0ELb0EfNS0_19identity_decomposerEEEEE10hipError_tT0_T1_T2_jT3_P12ihipStream_tbPNSt15iterator_traitsISG_E10value_typeEPNSM_ISH_E10value_typeEPSI_NS1_7vsmem_tEENKUlT_SG_SH_SI_E_clIS7_S7_PlSB_EESF_SV_SG_SH_SI_EUlSV_E1_NS1_11comp_targetILNS1_3genE10ELNS1_11target_archE1201ELNS1_3gpuE5ELNS1_3repE0EEENS1_36merge_oddeven_config_static_selectorELNS0_4arch9wavefront6targetE1EEEvSH_
	.globl	_ZN7rocprim17ROCPRIM_400000_NS6detail17trampoline_kernelINS0_14default_configENS1_38merge_sort_block_merge_config_selectorIflEEZZNS1_27merge_sort_block_merge_implIS3_PfN6thrust23THRUST_200600_302600_NS10device_ptrIlEEjNS1_19radix_merge_compareILb0ELb0EfNS0_19identity_decomposerEEEEE10hipError_tT0_T1_T2_jT3_P12ihipStream_tbPNSt15iterator_traitsISG_E10value_typeEPNSM_ISH_E10value_typeEPSI_NS1_7vsmem_tEENKUlT_SG_SH_SI_E_clIS7_S7_PlSB_EESF_SV_SG_SH_SI_EUlSV_E1_NS1_11comp_targetILNS1_3genE10ELNS1_11target_archE1201ELNS1_3gpuE5ELNS1_3repE0EEENS1_36merge_oddeven_config_static_selectorELNS0_4arch9wavefront6targetE1EEEvSH_
	.p2align	8
	.type	_ZN7rocprim17ROCPRIM_400000_NS6detail17trampoline_kernelINS0_14default_configENS1_38merge_sort_block_merge_config_selectorIflEEZZNS1_27merge_sort_block_merge_implIS3_PfN6thrust23THRUST_200600_302600_NS10device_ptrIlEEjNS1_19radix_merge_compareILb0ELb0EfNS0_19identity_decomposerEEEEE10hipError_tT0_T1_T2_jT3_P12ihipStream_tbPNSt15iterator_traitsISG_E10value_typeEPNSM_ISH_E10value_typeEPSI_NS1_7vsmem_tEENKUlT_SG_SH_SI_E_clIS7_S7_PlSB_EESF_SV_SG_SH_SI_EUlSV_E1_NS1_11comp_targetILNS1_3genE10ELNS1_11target_archE1201ELNS1_3gpuE5ELNS1_3repE0EEENS1_36merge_oddeven_config_static_selectorELNS0_4arch9wavefront6targetE1EEEvSH_,@function
_ZN7rocprim17ROCPRIM_400000_NS6detail17trampoline_kernelINS0_14default_configENS1_38merge_sort_block_merge_config_selectorIflEEZZNS1_27merge_sort_block_merge_implIS3_PfN6thrust23THRUST_200600_302600_NS10device_ptrIlEEjNS1_19radix_merge_compareILb0ELb0EfNS0_19identity_decomposerEEEEE10hipError_tT0_T1_T2_jT3_P12ihipStream_tbPNSt15iterator_traitsISG_E10value_typeEPNSM_ISH_E10value_typeEPSI_NS1_7vsmem_tEENKUlT_SG_SH_SI_E_clIS7_S7_PlSB_EESF_SV_SG_SH_SI_EUlSV_E1_NS1_11comp_targetILNS1_3genE10ELNS1_11target_archE1201ELNS1_3gpuE5ELNS1_3repE0EEENS1_36merge_oddeven_config_static_selectorELNS0_4arch9wavefront6targetE1EEEvSH_: ; @_ZN7rocprim17ROCPRIM_400000_NS6detail17trampoline_kernelINS0_14default_configENS1_38merge_sort_block_merge_config_selectorIflEEZZNS1_27merge_sort_block_merge_implIS3_PfN6thrust23THRUST_200600_302600_NS10device_ptrIlEEjNS1_19radix_merge_compareILb0ELb0EfNS0_19identity_decomposerEEEEE10hipError_tT0_T1_T2_jT3_P12ihipStream_tbPNSt15iterator_traitsISG_E10value_typeEPNSM_ISH_E10value_typeEPSI_NS1_7vsmem_tEENKUlT_SG_SH_SI_E_clIS7_S7_PlSB_EESF_SV_SG_SH_SI_EUlSV_E1_NS1_11comp_targetILNS1_3genE10ELNS1_11target_archE1201ELNS1_3gpuE5ELNS1_3repE0EEENS1_36merge_oddeven_config_static_selectorELNS0_4arch9wavefront6targetE1EEEvSH_
; %bb.0:
	.section	.rodata,"a",@progbits
	.p2align	6, 0x0
	.amdhsa_kernel _ZN7rocprim17ROCPRIM_400000_NS6detail17trampoline_kernelINS0_14default_configENS1_38merge_sort_block_merge_config_selectorIflEEZZNS1_27merge_sort_block_merge_implIS3_PfN6thrust23THRUST_200600_302600_NS10device_ptrIlEEjNS1_19radix_merge_compareILb0ELb0EfNS0_19identity_decomposerEEEEE10hipError_tT0_T1_T2_jT3_P12ihipStream_tbPNSt15iterator_traitsISG_E10value_typeEPNSM_ISH_E10value_typeEPSI_NS1_7vsmem_tEENKUlT_SG_SH_SI_E_clIS7_S7_PlSB_EESF_SV_SG_SH_SI_EUlSV_E1_NS1_11comp_targetILNS1_3genE10ELNS1_11target_archE1201ELNS1_3gpuE5ELNS1_3repE0EEENS1_36merge_oddeven_config_static_selectorELNS0_4arch9wavefront6targetE1EEEvSH_
		.amdhsa_group_segment_fixed_size 0
		.amdhsa_private_segment_fixed_size 0
		.amdhsa_kernarg_size 48
		.amdhsa_user_sgpr_count 6
		.amdhsa_user_sgpr_private_segment_buffer 1
		.amdhsa_user_sgpr_dispatch_ptr 0
		.amdhsa_user_sgpr_queue_ptr 0
		.amdhsa_user_sgpr_kernarg_segment_ptr 1
		.amdhsa_user_sgpr_dispatch_id 0
		.amdhsa_user_sgpr_flat_scratch_init 0
		.amdhsa_user_sgpr_private_segment_size 0
		.amdhsa_uses_dynamic_stack 0
		.amdhsa_system_sgpr_private_segment_wavefront_offset 0
		.amdhsa_system_sgpr_workgroup_id_x 1
		.amdhsa_system_sgpr_workgroup_id_y 0
		.amdhsa_system_sgpr_workgroup_id_z 0
		.amdhsa_system_sgpr_workgroup_info 0
		.amdhsa_system_vgpr_workitem_id 0
		.amdhsa_next_free_vgpr 1
		.amdhsa_next_free_sgpr 0
		.amdhsa_reserve_vcc 0
		.amdhsa_reserve_flat_scratch 0
		.amdhsa_float_round_mode_32 0
		.amdhsa_float_round_mode_16_64 0
		.amdhsa_float_denorm_mode_32 3
		.amdhsa_float_denorm_mode_16_64 3
		.amdhsa_dx10_clamp 1
		.amdhsa_ieee_mode 1
		.amdhsa_fp16_overflow 0
		.amdhsa_exception_fp_ieee_invalid_op 0
		.amdhsa_exception_fp_denorm_src 0
		.amdhsa_exception_fp_ieee_div_zero 0
		.amdhsa_exception_fp_ieee_overflow 0
		.amdhsa_exception_fp_ieee_underflow 0
		.amdhsa_exception_fp_ieee_inexact 0
		.amdhsa_exception_int_div_zero 0
	.end_amdhsa_kernel
	.section	.text._ZN7rocprim17ROCPRIM_400000_NS6detail17trampoline_kernelINS0_14default_configENS1_38merge_sort_block_merge_config_selectorIflEEZZNS1_27merge_sort_block_merge_implIS3_PfN6thrust23THRUST_200600_302600_NS10device_ptrIlEEjNS1_19radix_merge_compareILb0ELb0EfNS0_19identity_decomposerEEEEE10hipError_tT0_T1_T2_jT3_P12ihipStream_tbPNSt15iterator_traitsISG_E10value_typeEPNSM_ISH_E10value_typeEPSI_NS1_7vsmem_tEENKUlT_SG_SH_SI_E_clIS7_S7_PlSB_EESF_SV_SG_SH_SI_EUlSV_E1_NS1_11comp_targetILNS1_3genE10ELNS1_11target_archE1201ELNS1_3gpuE5ELNS1_3repE0EEENS1_36merge_oddeven_config_static_selectorELNS0_4arch9wavefront6targetE1EEEvSH_,"axG",@progbits,_ZN7rocprim17ROCPRIM_400000_NS6detail17trampoline_kernelINS0_14default_configENS1_38merge_sort_block_merge_config_selectorIflEEZZNS1_27merge_sort_block_merge_implIS3_PfN6thrust23THRUST_200600_302600_NS10device_ptrIlEEjNS1_19radix_merge_compareILb0ELb0EfNS0_19identity_decomposerEEEEE10hipError_tT0_T1_T2_jT3_P12ihipStream_tbPNSt15iterator_traitsISG_E10value_typeEPNSM_ISH_E10value_typeEPSI_NS1_7vsmem_tEENKUlT_SG_SH_SI_E_clIS7_S7_PlSB_EESF_SV_SG_SH_SI_EUlSV_E1_NS1_11comp_targetILNS1_3genE10ELNS1_11target_archE1201ELNS1_3gpuE5ELNS1_3repE0EEENS1_36merge_oddeven_config_static_selectorELNS0_4arch9wavefront6targetE1EEEvSH_,comdat
.Lfunc_end1777:
	.size	_ZN7rocprim17ROCPRIM_400000_NS6detail17trampoline_kernelINS0_14default_configENS1_38merge_sort_block_merge_config_selectorIflEEZZNS1_27merge_sort_block_merge_implIS3_PfN6thrust23THRUST_200600_302600_NS10device_ptrIlEEjNS1_19radix_merge_compareILb0ELb0EfNS0_19identity_decomposerEEEEE10hipError_tT0_T1_T2_jT3_P12ihipStream_tbPNSt15iterator_traitsISG_E10value_typeEPNSM_ISH_E10value_typeEPSI_NS1_7vsmem_tEENKUlT_SG_SH_SI_E_clIS7_S7_PlSB_EESF_SV_SG_SH_SI_EUlSV_E1_NS1_11comp_targetILNS1_3genE10ELNS1_11target_archE1201ELNS1_3gpuE5ELNS1_3repE0EEENS1_36merge_oddeven_config_static_selectorELNS0_4arch9wavefront6targetE1EEEvSH_, .Lfunc_end1777-_ZN7rocprim17ROCPRIM_400000_NS6detail17trampoline_kernelINS0_14default_configENS1_38merge_sort_block_merge_config_selectorIflEEZZNS1_27merge_sort_block_merge_implIS3_PfN6thrust23THRUST_200600_302600_NS10device_ptrIlEEjNS1_19radix_merge_compareILb0ELb0EfNS0_19identity_decomposerEEEEE10hipError_tT0_T1_T2_jT3_P12ihipStream_tbPNSt15iterator_traitsISG_E10value_typeEPNSM_ISH_E10value_typeEPSI_NS1_7vsmem_tEENKUlT_SG_SH_SI_E_clIS7_S7_PlSB_EESF_SV_SG_SH_SI_EUlSV_E1_NS1_11comp_targetILNS1_3genE10ELNS1_11target_archE1201ELNS1_3gpuE5ELNS1_3repE0EEENS1_36merge_oddeven_config_static_selectorELNS0_4arch9wavefront6targetE1EEEvSH_
                                        ; -- End function
	.set _ZN7rocprim17ROCPRIM_400000_NS6detail17trampoline_kernelINS0_14default_configENS1_38merge_sort_block_merge_config_selectorIflEEZZNS1_27merge_sort_block_merge_implIS3_PfN6thrust23THRUST_200600_302600_NS10device_ptrIlEEjNS1_19radix_merge_compareILb0ELb0EfNS0_19identity_decomposerEEEEE10hipError_tT0_T1_T2_jT3_P12ihipStream_tbPNSt15iterator_traitsISG_E10value_typeEPNSM_ISH_E10value_typeEPSI_NS1_7vsmem_tEENKUlT_SG_SH_SI_E_clIS7_S7_PlSB_EESF_SV_SG_SH_SI_EUlSV_E1_NS1_11comp_targetILNS1_3genE10ELNS1_11target_archE1201ELNS1_3gpuE5ELNS1_3repE0EEENS1_36merge_oddeven_config_static_selectorELNS0_4arch9wavefront6targetE1EEEvSH_.num_vgpr, 0
	.set _ZN7rocprim17ROCPRIM_400000_NS6detail17trampoline_kernelINS0_14default_configENS1_38merge_sort_block_merge_config_selectorIflEEZZNS1_27merge_sort_block_merge_implIS3_PfN6thrust23THRUST_200600_302600_NS10device_ptrIlEEjNS1_19radix_merge_compareILb0ELb0EfNS0_19identity_decomposerEEEEE10hipError_tT0_T1_T2_jT3_P12ihipStream_tbPNSt15iterator_traitsISG_E10value_typeEPNSM_ISH_E10value_typeEPSI_NS1_7vsmem_tEENKUlT_SG_SH_SI_E_clIS7_S7_PlSB_EESF_SV_SG_SH_SI_EUlSV_E1_NS1_11comp_targetILNS1_3genE10ELNS1_11target_archE1201ELNS1_3gpuE5ELNS1_3repE0EEENS1_36merge_oddeven_config_static_selectorELNS0_4arch9wavefront6targetE1EEEvSH_.num_agpr, 0
	.set _ZN7rocprim17ROCPRIM_400000_NS6detail17trampoline_kernelINS0_14default_configENS1_38merge_sort_block_merge_config_selectorIflEEZZNS1_27merge_sort_block_merge_implIS3_PfN6thrust23THRUST_200600_302600_NS10device_ptrIlEEjNS1_19radix_merge_compareILb0ELb0EfNS0_19identity_decomposerEEEEE10hipError_tT0_T1_T2_jT3_P12ihipStream_tbPNSt15iterator_traitsISG_E10value_typeEPNSM_ISH_E10value_typeEPSI_NS1_7vsmem_tEENKUlT_SG_SH_SI_E_clIS7_S7_PlSB_EESF_SV_SG_SH_SI_EUlSV_E1_NS1_11comp_targetILNS1_3genE10ELNS1_11target_archE1201ELNS1_3gpuE5ELNS1_3repE0EEENS1_36merge_oddeven_config_static_selectorELNS0_4arch9wavefront6targetE1EEEvSH_.numbered_sgpr, 0
	.set _ZN7rocprim17ROCPRIM_400000_NS6detail17trampoline_kernelINS0_14default_configENS1_38merge_sort_block_merge_config_selectorIflEEZZNS1_27merge_sort_block_merge_implIS3_PfN6thrust23THRUST_200600_302600_NS10device_ptrIlEEjNS1_19radix_merge_compareILb0ELb0EfNS0_19identity_decomposerEEEEE10hipError_tT0_T1_T2_jT3_P12ihipStream_tbPNSt15iterator_traitsISG_E10value_typeEPNSM_ISH_E10value_typeEPSI_NS1_7vsmem_tEENKUlT_SG_SH_SI_E_clIS7_S7_PlSB_EESF_SV_SG_SH_SI_EUlSV_E1_NS1_11comp_targetILNS1_3genE10ELNS1_11target_archE1201ELNS1_3gpuE5ELNS1_3repE0EEENS1_36merge_oddeven_config_static_selectorELNS0_4arch9wavefront6targetE1EEEvSH_.num_named_barrier, 0
	.set _ZN7rocprim17ROCPRIM_400000_NS6detail17trampoline_kernelINS0_14default_configENS1_38merge_sort_block_merge_config_selectorIflEEZZNS1_27merge_sort_block_merge_implIS3_PfN6thrust23THRUST_200600_302600_NS10device_ptrIlEEjNS1_19radix_merge_compareILb0ELb0EfNS0_19identity_decomposerEEEEE10hipError_tT0_T1_T2_jT3_P12ihipStream_tbPNSt15iterator_traitsISG_E10value_typeEPNSM_ISH_E10value_typeEPSI_NS1_7vsmem_tEENKUlT_SG_SH_SI_E_clIS7_S7_PlSB_EESF_SV_SG_SH_SI_EUlSV_E1_NS1_11comp_targetILNS1_3genE10ELNS1_11target_archE1201ELNS1_3gpuE5ELNS1_3repE0EEENS1_36merge_oddeven_config_static_selectorELNS0_4arch9wavefront6targetE1EEEvSH_.private_seg_size, 0
	.set _ZN7rocprim17ROCPRIM_400000_NS6detail17trampoline_kernelINS0_14default_configENS1_38merge_sort_block_merge_config_selectorIflEEZZNS1_27merge_sort_block_merge_implIS3_PfN6thrust23THRUST_200600_302600_NS10device_ptrIlEEjNS1_19radix_merge_compareILb0ELb0EfNS0_19identity_decomposerEEEEE10hipError_tT0_T1_T2_jT3_P12ihipStream_tbPNSt15iterator_traitsISG_E10value_typeEPNSM_ISH_E10value_typeEPSI_NS1_7vsmem_tEENKUlT_SG_SH_SI_E_clIS7_S7_PlSB_EESF_SV_SG_SH_SI_EUlSV_E1_NS1_11comp_targetILNS1_3genE10ELNS1_11target_archE1201ELNS1_3gpuE5ELNS1_3repE0EEENS1_36merge_oddeven_config_static_selectorELNS0_4arch9wavefront6targetE1EEEvSH_.uses_vcc, 0
	.set _ZN7rocprim17ROCPRIM_400000_NS6detail17trampoline_kernelINS0_14default_configENS1_38merge_sort_block_merge_config_selectorIflEEZZNS1_27merge_sort_block_merge_implIS3_PfN6thrust23THRUST_200600_302600_NS10device_ptrIlEEjNS1_19radix_merge_compareILb0ELb0EfNS0_19identity_decomposerEEEEE10hipError_tT0_T1_T2_jT3_P12ihipStream_tbPNSt15iterator_traitsISG_E10value_typeEPNSM_ISH_E10value_typeEPSI_NS1_7vsmem_tEENKUlT_SG_SH_SI_E_clIS7_S7_PlSB_EESF_SV_SG_SH_SI_EUlSV_E1_NS1_11comp_targetILNS1_3genE10ELNS1_11target_archE1201ELNS1_3gpuE5ELNS1_3repE0EEENS1_36merge_oddeven_config_static_selectorELNS0_4arch9wavefront6targetE1EEEvSH_.uses_flat_scratch, 0
	.set _ZN7rocprim17ROCPRIM_400000_NS6detail17trampoline_kernelINS0_14default_configENS1_38merge_sort_block_merge_config_selectorIflEEZZNS1_27merge_sort_block_merge_implIS3_PfN6thrust23THRUST_200600_302600_NS10device_ptrIlEEjNS1_19radix_merge_compareILb0ELb0EfNS0_19identity_decomposerEEEEE10hipError_tT0_T1_T2_jT3_P12ihipStream_tbPNSt15iterator_traitsISG_E10value_typeEPNSM_ISH_E10value_typeEPSI_NS1_7vsmem_tEENKUlT_SG_SH_SI_E_clIS7_S7_PlSB_EESF_SV_SG_SH_SI_EUlSV_E1_NS1_11comp_targetILNS1_3genE10ELNS1_11target_archE1201ELNS1_3gpuE5ELNS1_3repE0EEENS1_36merge_oddeven_config_static_selectorELNS0_4arch9wavefront6targetE1EEEvSH_.has_dyn_sized_stack, 0
	.set _ZN7rocprim17ROCPRIM_400000_NS6detail17trampoline_kernelINS0_14default_configENS1_38merge_sort_block_merge_config_selectorIflEEZZNS1_27merge_sort_block_merge_implIS3_PfN6thrust23THRUST_200600_302600_NS10device_ptrIlEEjNS1_19radix_merge_compareILb0ELb0EfNS0_19identity_decomposerEEEEE10hipError_tT0_T1_T2_jT3_P12ihipStream_tbPNSt15iterator_traitsISG_E10value_typeEPNSM_ISH_E10value_typeEPSI_NS1_7vsmem_tEENKUlT_SG_SH_SI_E_clIS7_S7_PlSB_EESF_SV_SG_SH_SI_EUlSV_E1_NS1_11comp_targetILNS1_3genE10ELNS1_11target_archE1201ELNS1_3gpuE5ELNS1_3repE0EEENS1_36merge_oddeven_config_static_selectorELNS0_4arch9wavefront6targetE1EEEvSH_.has_recursion, 0
	.set _ZN7rocprim17ROCPRIM_400000_NS6detail17trampoline_kernelINS0_14default_configENS1_38merge_sort_block_merge_config_selectorIflEEZZNS1_27merge_sort_block_merge_implIS3_PfN6thrust23THRUST_200600_302600_NS10device_ptrIlEEjNS1_19radix_merge_compareILb0ELb0EfNS0_19identity_decomposerEEEEE10hipError_tT0_T1_T2_jT3_P12ihipStream_tbPNSt15iterator_traitsISG_E10value_typeEPNSM_ISH_E10value_typeEPSI_NS1_7vsmem_tEENKUlT_SG_SH_SI_E_clIS7_S7_PlSB_EESF_SV_SG_SH_SI_EUlSV_E1_NS1_11comp_targetILNS1_3genE10ELNS1_11target_archE1201ELNS1_3gpuE5ELNS1_3repE0EEENS1_36merge_oddeven_config_static_selectorELNS0_4arch9wavefront6targetE1EEEvSH_.has_indirect_call, 0
	.section	.AMDGPU.csdata,"",@progbits
; Kernel info:
; codeLenInByte = 0
; TotalNumSgprs: 4
; NumVgprs: 0
; ScratchSize: 0
; MemoryBound: 0
; FloatMode: 240
; IeeeMode: 1
; LDSByteSize: 0 bytes/workgroup (compile time only)
; SGPRBlocks: 0
; VGPRBlocks: 0
; NumSGPRsForWavesPerEU: 4
; NumVGPRsForWavesPerEU: 1
; Occupancy: 10
; WaveLimiterHint : 0
; COMPUTE_PGM_RSRC2:SCRATCH_EN: 0
; COMPUTE_PGM_RSRC2:USER_SGPR: 6
; COMPUTE_PGM_RSRC2:TRAP_HANDLER: 0
; COMPUTE_PGM_RSRC2:TGID_X_EN: 1
; COMPUTE_PGM_RSRC2:TGID_Y_EN: 0
; COMPUTE_PGM_RSRC2:TGID_Z_EN: 0
; COMPUTE_PGM_RSRC2:TIDIG_COMP_CNT: 0
	.section	.text._ZN7rocprim17ROCPRIM_400000_NS6detail17trampoline_kernelINS0_14default_configENS1_38merge_sort_block_merge_config_selectorIflEEZZNS1_27merge_sort_block_merge_implIS3_PfN6thrust23THRUST_200600_302600_NS10device_ptrIlEEjNS1_19radix_merge_compareILb0ELb0EfNS0_19identity_decomposerEEEEE10hipError_tT0_T1_T2_jT3_P12ihipStream_tbPNSt15iterator_traitsISG_E10value_typeEPNSM_ISH_E10value_typeEPSI_NS1_7vsmem_tEENKUlT_SG_SH_SI_E_clIS7_S7_PlSB_EESF_SV_SG_SH_SI_EUlSV_E1_NS1_11comp_targetILNS1_3genE5ELNS1_11target_archE942ELNS1_3gpuE9ELNS1_3repE0EEENS1_36merge_oddeven_config_static_selectorELNS0_4arch9wavefront6targetE1EEEvSH_,"axG",@progbits,_ZN7rocprim17ROCPRIM_400000_NS6detail17trampoline_kernelINS0_14default_configENS1_38merge_sort_block_merge_config_selectorIflEEZZNS1_27merge_sort_block_merge_implIS3_PfN6thrust23THRUST_200600_302600_NS10device_ptrIlEEjNS1_19radix_merge_compareILb0ELb0EfNS0_19identity_decomposerEEEEE10hipError_tT0_T1_T2_jT3_P12ihipStream_tbPNSt15iterator_traitsISG_E10value_typeEPNSM_ISH_E10value_typeEPSI_NS1_7vsmem_tEENKUlT_SG_SH_SI_E_clIS7_S7_PlSB_EESF_SV_SG_SH_SI_EUlSV_E1_NS1_11comp_targetILNS1_3genE5ELNS1_11target_archE942ELNS1_3gpuE9ELNS1_3repE0EEENS1_36merge_oddeven_config_static_selectorELNS0_4arch9wavefront6targetE1EEEvSH_,comdat
	.protected	_ZN7rocprim17ROCPRIM_400000_NS6detail17trampoline_kernelINS0_14default_configENS1_38merge_sort_block_merge_config_selectorIflEEZZNS1_27merge_sort_block_merge_implIS3_PfN6thrust23THRUST_200600_302600_NS10device_ptrIlEEjNS1_19radix_merge_compareILb0ELb0EfNS0_19identity_decomposerEEEEE10hipError_tT0_T1_T2_jT3_P12ihipStream_tbPNSt15iterator_traitsISG_E10value_typeEPNSM_ISH_E10value_typeEPSI_NS1_7vsmem_tEENKUlT_SG_SH_SI_E_clIS7_S7_PlSB_EESF_SV_SG_SH_SI_EUlSV_E1_NS1_11comp_targetILNS1_3genE5ELNS1_11target_archE942ELNS1_3gpuE9ELNS1_3repE0EEENS1_36merge_oddeven_config_static_selectorELNS0_4arch9wavefront6targetE1EEEvSH_ ; -- Begin function _ZN7rocprim17ROCPRIM_400000_NS6detail17trampoline_kernelINS0_14default_configENS1_38merge_sort_block_merge_config_selectorIflEEZZNS1_27merge_sort_block_merge_implIS3_PfN6thrust23THRUST_200600_302600_NS10device_ptrIlEEjNS1_19radix_merge_compareILb0ELb0EfNS0_19identity_decomposerEEEEE10hipError_tT0_T1_T2_jT3_P12ihipStream_tbPNSt15iterator_traitsISG_E10value_typeEPNSM_ISH_E10value_typeEPSI_NS1_7vsmem_tEENKUlT_SG_SH_SI_E_clIS7_S7_PlSB_EESF_SV_SG_SH_SI_EUlSV_E1_NS1_11comp_targetILNS1_3genE5ELNS1_11target_archE942ELNS1_3gpuE9ELNS1_3repE0EEENS1_36merge_oddeven_config_static_selectorELNS0_4arch9wavefront6targetE1EEEvSH_
	.globl	_ZN7rocprim17ROCPRIM_400000_NS6detail17trampoline_kernelINS0_14default_configENS1_38merge_sort_block_merge_config_selectorIflEEZZNS1_27merge_sort_block_merge_implIS3_PfN6thrust23THRUST_200600_302600_NS10device_ptrIlEEjNS1_19radix_merge_compareILb0ELb0EfNS0_19identity_decomposerEEEEE10hipError_tT0_T1_T2_jT3_P12ihipStream_tbPNSt15iterator_traitsISG_E10value_typeEPNSM_ISH_E10value_typeEPSI_NS1_7vsmem_tEENKUlT_SG_SH_SI_E_clIS7_S7_PlSB_EESF_SV_SG_SH_SI_EUlSV_E1_NS1_11comp_targetILNS1_3genE5ELNS1_11target_archE942ELNS1_3gpuE9ELNS1_3repE0EEENS1_36merge_oddeven_config_static_selectorELNS0_4arch9wavefront6targetE1EEEvSH_
	.p2align	8
	.type	_ZN7rocprim17ROCPRIM_400000_NS6detail17trampoline_kernelINS0_14default_configENS1_38merge_sort_block_merge_config_selectorIflEEZZNS1_27merge_sort_block_merge_implIS3_PfN6thrust23THRUST_200600_302600_NS10device_ptrIlEEjNS1_19radix_merge_compareILb0ELb0EfNS0_19identity_decomposerEEEEE10hipError_tT0_T1_T2_jT3_P12ihipStream_tbPNSt15iterator_traitsISG_E10value_typeEPNSM_ISH_E10value_typeEPSI_NS1_7vsmem_tEENKUlT_SG_SH_SI_E_clIS7_S7_PlSB_EESF_SV_SG_SH_SI_EUlSV_E1_NS1_11comp_targetILNS1_3genE5ELNS1_11target_archE942ELNS1_3gpuE9ELNS1_3repE0EEENS1_36merge_oddeven_config_static_selectorELNS0_4arch9wavefront6targetE1EEEvSH_,@function
_ZN7rocprim17ROCPRIM_400000_NS6detail17trampoline_kernelINS0_14default_configENS1_38merge_sort_block_merge_config_selectorIflEEZZNS1_27merge_sort_block_merge_implIS3_PfN6thrust23THRUST_200600_302600_NS10device_ptrIlEEjNS1_19radix_merge_compareILb0ELb0EfNS0_19identity_decomposerEEEEE10hipError_tT0_T1_T2_jT3_P12ihipStream_tbPNSt15iterator_traitsISG_E10value_typeEPNSM_ISH_E10value_typeEPSI_NS1_7vsmem_tEENKUlT_SG_SH_SI_E_clIS7_S7_PlSB_EESF_SV_SG_SH_SI_EUlSV_E1_NS1_11comp_targetILNS1_3genE5ELNS1_11target_archE942ELNS1_3gpuE9ELNS1_3repE0EEENS1_36merge_oddeven_config_static_selectorELNS0_4arch9wavefront6targetE1EEEvSH_: ; @_ZN7rocprim17ROCPRIM_400000_NS6detail17trampoline_kernelINS0_14default_configENS1_38merge_sort_block_merge_config_selectorIflEEZZNS1_27merge_sort_block_merge_implIS3_PfN6thrust23THRUST_200600_302600_NS10device_ptrIlEEjNS1_19radix_merge_compareILb0ELb0EfNS0_19identity_decomposerEEEEE10hipError_tT0_T1_T2_jT3_P12ihipStream_tbPNSt15iterator_traitsISG_E10value_typeEPNSM_ISH_E10value_typeEPSI_NS1_7vsmem_tEENKUlT_SG_SH_SI_E_clIS7_S7_PlSB_EESF_SV_SG_SH_SI_EUlSV_E1_NS1_11comp_targetILNS1_3genE5ELNS1_11target_archE942ELNS1_3gpuE9ELNS1_3repE0EEENS1_36merge_oddeven_config_static_selectorELNS0_4arch9wavefront6targetE1EEEvSH_
; %bb.0:
	.section	.rodata,"a",@progbits
	.p2align	6, 0x0
	.amdhsa_kernel _ZN7rocprim17ROCPRIM_400000_NS6detail17trampoline_kernelINS0_14default_configENS1_38merge_sort_block_merge_config_selectorIflEEZZNS1_27merge_sort_block_merge_implIS3_PfN6thrust23THRUST_200600_302600_NS10device_ptrIlEEjNS1_19radix_merge_compareILb0ELb0EfNS0_19identity_decomposerEEEEE10hipError_tT0_T1_T2_jT3_P12ihipStream_tbPNSt15iterator_traitsISG_E10value_typeEPNSM_ISH_E10value_typeEPSI_NS1_7vsmem_tEENKUlT_SG_SH_SI_E_clIS7_S7_PlSB_EESF_SV_SG_SH_SI_EUlSV_E1_NS1_11comp_targetILNS1_3genE5ELNS1_11target_archE942ELNS1_3gpuE9ELNS1_3repE0EEENS1_36merge_oddeven_config_static_selectorELNS0_4arch9wavefront6targetE1EEEvSH_
		.amdhsa_group_segment_fixed_size 0
		.amdhsa_private_segment_fixed_size 0
		.amdhsa_kernarg_size 48
		.amdhsa_user_sgpr_count 6
		.amdhsa_user_sgpr_private_segment_buffer 1
		.amdhsa_user_sgpr_dispatch_ptr 0
		.amdhsa_user_sgpr_queue_ptr 0
		.amdhsa_user_sgpr_kernarg_segment_ptr 1
		.amdhsa_user_sgpr_dispatch_id 0
		.amdhsa_user_sgpr_flat_scratch_init 0
		.amdhsa_user_sgpr_private_segment_size 0
		.amdhsa_uses_dynamic_stack 0
		.amdhsa_system_sgpr_private_segment_wavefront_offset 0
		.amdhsa_system_sgpr_workgroup_id_x 1
		.amdhsa_system_sgpr_workgroup_id_y 0
		.amdhsa_system_sgpr_workgroup_id_z 0
		.amdhsa_system_sgpr_workgroup_info 0
		.amdhsa_system_vgpr_workitem_id 0
		.amdhsa_next_free_vgpr 1
		.amdhsa_next_free_sgpr 0
		.amdhsa_reserve_vcc 0
		.amdhsa_reserve_flat_scratch 0
		.amdhsa_float_round_mode_32 0
		.amdhsa_float_round_mode_16_64 0
		.amdhsa_float_denorm_mode_32 3
		.amdhsa_float_denorm_mode_16_64 3
		.amdhsa_dx10_clamp 1
		.amdhsa_ieee_mode 1
		.amdhsa_fp16_overflow 0
		.amdhsa_exception_fp_ieee_invalid_op 0
		.amdhsa_exception_fp_denorm_src 0
		.amdhsa_exception_fp_ieee_div_zero 0
		.amdhsa_exception_fp_ieee_overflow 0
		.amdhsa_exception_fp_ieee_underflow 0
		.amdhsa_exception_fp_ieee_inexact 0
		.amdhsa_exception_int_div_zero 0
	.end_amdhsa_kernel
	.section	.text._ZN7rocprim17ROCPRIM_400000_NS6detail17trampoline_kernelINS0_14default_configENS1_38merge_sort_block_merge_config_selectorIflEEZZNS1_27merge_sort_block_merge_implIS3_PfN6thrust23THRUST_200600_302600_NS10device_ptrIlEEjNS1_19radix_merge_compareILb0ELb0EfNS0_19identity_decomposerEEEEE10hipError_tT0_T1_T2_jT3_P12ihipStream_tbPNSt15iterator_traitsISG_E10value_typeEPNSM_ISH_E10value_typeEPSI_NS1_7vsmem_tEENKUlT_SG_SH_SI_E_clIS7_S7_PlSB_EESF_SV_SG_SH_SI_EUlSV_E1_NS1_11comp_targetILNS1_3genE5ELNS1_11target_archE942ELNS1_3gpuE9ELNS1_3repE0EEENS1_36merge_oddeven_config_static_selectorELNS0_4arch9wavefront6targetE1EEEvSH_,"axG",@progbits,_ZN7rocprim17ROCPRIM_400000_NS6detail17trampoline_kernelINS0_14default_configENS1_38merge_sort_block_merge_config_selectorIflEEZZNS1_27merge_sort_block_merge_implIS3_PfN6thrust23THRUST_200600_302600_NS10device_ptrIlEEjNS1_19radix_merge_compareILb0ELb0EfNS0_19identity_decomposerEEEEE10hipError_tT0_T1_T2_jT3_P12ihipStream_tbPNSt15iterator_traitsISG_E10value_typeEPNSM_ISH_E10value_typeEPSI_NS1_7vsmem_tEENKUlT_SG_SH_SI_E_clIS7_S7_PlSB_EESF_SV_SG_SH_SI_EUlSV_E1_NS1_11comp_targetILNS1_3genE5ELNS1_11target_archE942ELNS1_3gpuE9ELNS1_3repE0EEENS1_36merge_oddeven_config_static_selectorELNS0_4arch9wavefront6targetE1EEEvSH_,comdat
.Lfunc_end1778:
	.size	_ZN7rocprim17ROCPRIM_400000_NS6detail17trampoline_kernelINS0_14default_configENS1_38merge_sort_block_merge_config_selectorIflEEZZNS1_27merge_sort_block_merge_implIS3_PfN6thrust23THRUST_200600_302600_NS10device_ptrIlEEjNS1_19radix_merge_compareILb0ELb0EfNS0_19identity_decomposerEEEEE10hipError_tT0_T1_T2_jT3_P12ihipStream_tbPNSt15iterator_traitsISG_E10value_typeEPNSM_ISH_E10value_typeEPSI_NS1_7vsmem_tEENKUlT_SG_SH_SI_E_clIS7_S7_PlSB_EESF_SV_SG_SH_SI_EUlSV_E1_NS1_11comp_targetILNS1_3genE5ELNS1_11target_archE942ELNS1_3gpuE9ELNS1_3repE0EEENS1_36merge_oddeven_config_static_selectorELNS0_4arch9wavefront6targetE1EEEvSH_, .Lfunc_end1778-_ZN7rocprim17ROCPRIM_400000_NS6detail17trampoline_kernelINS0_14default_configENS1_38merge_sort_block_merge_config_selectorIflEEZZNS1_27merge_sort_block_merge_implIS3_PfN6thrust23THRUST_200600_302600_NS10device_ptrIlEEjNS1_19radix_merge_compareILb0ELb0EfNS0_19identity_decomposerEEEEE10hipError_tT0_T1_T2_jT3_P12ihipStream_tbPNSt15iterator_traitsISG_E10value_typeEPNSM_ISH_E10value_typeEPSI_NS1_7vsmem_tEENKUlT_SG_SH_SI_E_clIS7_S7_PlSB_EESF_SV_SG_SH_SI_EUlSV_E1_NS1_11comp_targetILNS1_3genE5ELNS1_11target_archE942ELNS1_3gpuE9ELNS1_3repE0EEENS1_36merge_oddeven_config_static_selectorELNS0_4arch9wavefront6targetE1EEEvSH_
                                        ; -- End function
	.set _ZN7rocprim17ROCPRIM_400000_NS6detail17trampoline_kernelINS0_14default_configENS1_38merge_sort_block_merge_config_selectorIflEEZZNS1_27merge_sort_block_merge_implIS3_PfN6thrust23THRUST_200600_302600_NS10device_ptrIlEEjNS1_19radix_merge_compareILb0ELb0EfNS0_19identity_decomposerEEEEE10hipError_tT0_T1_T2_jT3_P12ihipStream_tbPNSt15iterator_traitsISG_E10value_typeEPNSM_ISH_E10value_typeEPSI_NS1_7vsmem_tEENKUlT_SG_SH_SI_E_clIS7_S7_PlSB_EESF_SV_SG_SH_SI_EUlSV_E1_NS1_11comp_targetILNS1_3genE5ELNS1_11target_archE942ELNS1_3gpuE9ELNS1_3repE0EEENS1_36merge_oddeven_config_static_selectorELNS0_4arch9wavefront6targetE1EEEvSH_.num_vgpr, 0
	.set _ZN7rocprim17ROCPRIM_400000_NS6detail17trampoline_kernelINS0_14default_configENS1_38merge_sort_block_merge_config_selectorIflEEZZNS1_27merge_sort_block_merge_implIS3_PfN6thrust23THRUST_200600_302600_NS10device_ptrIlEEjNS1_19radix_merge_compareILb0ELb0EfNS0_19identity_decomposerEEEEE10hipError_tT0_T1_T2_jT3_P12ihipStream_tbPNSt15iterator_traitsISG_E10value_typeEPNSM_ISH_E10value_typeEPSI_NS1_7vsmem_tEENKUlT_SG_SH_SI_E_clIS7_S7_PlSB_EESF_SV_SG_SH_SI_EUlSV_E1_NS1_11comp_targetILNS1_3genE5ELNS1_11target_archE942ELNS1_3gpuE9ELNS1_3repE0EEENS1_36merge_oddeven_config_static_selectorELNS0_4arch9wavefront6targetE1EEEvSH_.num_agpr, 0
	.set _ZN7rocprim17ROCPRIM_400000_NS6detail17trampoline_kernelINS0_14default_configENS1_38merge_sort_block_merge_config_selectorIflEEZZNS1_27merge_sort_block_merge_implIS3_PfN6thrust23THRUST_200600_302600_NS10device_ptrIlEEjNS1_19radix_merge_compareILb0ELb0EfNS0_19identity_decomposerEEEEE10hipError_tT0_T1_T2_jT3_P12ihipStream_tbPNSt15iterator_traitsISG_E10value_typeEPNSM_ISH_E10value_typeEPSI_NS1_7vsmem_tEENKUlT_SG_SH_SI_E_clIS7_S7_PlSB_EESF_SV_SG_SH_SI_EUlSV_E1_NS1_11comp_targetILNS1_3genE5ELNS1_11target_archE942ELNS1_3gpuE9ELNS1_3repE0EEENS1_36merge_oddeven_config_static_selectorELNS0_4arch9wavefront6targetE1EEEvSH_.numbered_sgpr, 0
	.set _ZN7rocprim17ROCPRIM_400000_NS6detail17trampoline_kernelINS0_14default_configENS1_38merge_sort_block_merge_config_selectorIflEEZZNS1_27merge_sort_block_merge_implIS3_PfN6thrust23THRUST_200600_302600_NS10device_ptrIlEEjNS1_19radix_merge_compareILb0ELb0EfNS0_19identity_decomposerEEEEE10hipError_tT0_T1_T2_jT3_P12ihipStream_tbPNSt15iterator_traitsISG_E10value_typeEPNSM_ISH_E10value_typeEPSI_NS1_7vsmem_tEENKUlT_SG_SH_SI_E_clIS7_S7_PlSB_EESF_SV_SG_SH_SI_EUlSV_E1_NS1_11comp_targetILNS1_3genE5ELNS1_11target_archE942ELNS1_3gpuE9ELNS1_3repE0EEENS1_36merge_oddeven_config_static_selectorELNS0_4arch9wavefront6targetE1EEEvSH_.num_named_barrier, 0
	.set _ZN7rocprim17ROCPRIM_400000_NS6detail17trampoline_kernelINS0_14default_configENS1_38merge_sort_block_merge_config_selectorIflEEZZNS1_27merge_sort_block_merge_implIS3_PfN6thrust23THRUST_200600_302600_NS10device_ptrIlEEjNS1_19radix_merge_compareILb0ELb0EfNS0_19identity_decomposerEEEEE10hipError_tT0_T1_T2_jT3_P12ihipStream_tbPNSt15iterator_traitsISG_E10value_typeEPNSM_ISH_E10value_typeEPSI_NS1_7vsmem_tEENKUlT_SG_SH_SI_E_clIS7_S7_PlSB_EESF_SV_SG_SH_SI_EUlSV_E1_NS1_11comp_targetILNS1_3genE5ELNS1_11target_archE942ELNS1_3gpuE9ELNS1_3repE0EEENS1_36merge_oddeven_config_static_selectorELNS0_4arch9wavefront6targetE1EEEvSH_.private_seg_size, 0
	.set _ZN7rocprim17ROCPRIM_400000_NS6detail17trampoline_kernelINS0_14default_configENS1_38merge_sort_block_merge_config_selectorIflEEZZNS1_27merge_sort_block_merge_implIS3_PfN6thrust23THRUST_200600_302600_NS10device_ptrIlEEjNS1_19radix_merge_compareILb0ELb0EfNS0_19identity_decomposerEEEEE10hipError_tT0_T1_T2_jT3_P12ihipStream_tbPNSt15iterator_traitsISG_E10value_typeEPNSM_ISH_E10value_typeEPSI_NS1_7vsmem_tEENKUlT_SG_SH_SI_E_clIS7_S7_PlSB_EESF_SV_SG_SH_SI_EUlSV_E1_NS1_11comp_targetILNS1_3genE5ELNS1_11target_archE942ELNS1_3gpuE9ELNS1_3repE0EEENS1_36merge_oddeven_config_static_selectorELNS0_4arch9wavefront6targetE1EEEvSH_.uses_vcc, 0
	.set _ZN7rocprim17ROCPRIM_400000_NS6detail17trampoline_kernelINS0_14default_configENS1_38merge_sort_block_merge_config_selectorIflEEZZNS1_27merge_sort_block_merge_implIS3_PfN6thrust23THRUST_200600_302600_NS10device_ptrIlEEjNS1_19radix_merge_compareILb0ELb0EfNS0_19identity_decomposerEEEEE10hipError_tT0_T1_T2_jT3_P12ihipStream_tbPNSt15iterator_traitsISG_E10value_typeEPNSM_ISH_E10value_typeEPSI_NS1_7vsmem_tEENKUlT_SG_SH_SI_E_clIS7_S7_PlSB_EESF_SV_SG_SH_SI_EUlSV_E1_NS1_11comp_targetILNS1_3genE5ELNS1_11target_archE942ELNS1_3gpuE9ELNS1_3repE0EEENS1_36merge_oddeven_config_static_selectorELNS0_4arch9wavefront6targetE1EEEvSH_.uses_flat_scratch, 0
	.set _ZN7rocprim17ROCPRIM_400000_NS6detail17trampoline_kernelINS0_14default_configENS1_38merge_sort_block_merge_config_selectorIflEEZZNS1_27merge_sort_block_merge_implIS3_PfN6thrust23THRUST_200600_302600_NS10device_ptrIlEEjNS1_19radix_merge_compareILb0ELb0EfNS0_19identity_decomposerEEEEE10hipError_tT0_T1_T2_jT3_P12ihipStream_tbPNSt15iterator_traitsISG_E10value_typeEPNSM_ISH_E10value_typeEPSI_NS1_7vsmem_tEENKUlT_SG_SH_SI_E_clIS7_S7_PlSB_EESF_SV_SG_SH_SI_EUlSV_E1_NS1_11comp_targetILNS1_3genE5ELNS1_11target_archE942ELNS1_3gpuE9ELNS1_3repE0EEENS1_36merge_oddeven_config_static_selectorELNS0_4arch9wavefront6targetE1EEEvSH_.has_dyn_sized_stack, 0
	.set _ZN7rocprim17ROCPRIM_400000_NS6detail17trampoline_kernelINS0_14default_configENS1_38merge_sort_block_merge_config_selectorIflEEZZNS1_27merge_sort_block_merge_implIS3_PfN6thrust23THRUST_200600_302600_NS10device_ptrIlEEjNS1_19radix_merge_compareILb0ELb0EfNS0_19identity_decomposerEEEEE10hipError_tT0_T1_T2_jT3_P12ihipStream_tbPNSt15iterator_traitsISG_E10value_typeEPNSM_ISH_E10value_typeEPSI_NS1_7vsmem_tEENKUlT_SG_SH_SI_E_clIS7_S7_PlSB_EESF_SV_SG_SH_SI_EUlSV_E1_NS1_11comp_targetILNS1_3genE5ELNS1_11target_archE942ELNS1_3gpuE9ELNS1_3repE0EEENS1_36merge_oddeven_config_static_selectorELNS0_4arch9wavefront6targetE1EEEvSH_.has_recursion, 0
	.set _ZN7rocprim17ROCPRIM_400000_NS6detail17trampoline_kernelINS0_14default_configENS1_38merge_sort_block_merge_config_selectorIflEEZZNS1_27merge_sort_block_merge_implIS3_PfN6thrust23THRUST_200600_302600_NS10device_ptrIlEEjNS1_19radix_merge_compareILb0ELb0EfNS0_19identity_decomposerEEEEE10hipError_tT0_T1_T2_jT3_P12ihipStream_tbPNSt15iterator_traitsISG_E10value_typeEPNSM_ISH_E10value_typeEPSI_NS1_7vsmem_tEENKUlT_SG_SH_SI_E_clIS7_S7_PlSB_EESF_SV_SG_SH_SI_EUlSV_E1_NS1_11comp_targetILNS1_3genE5ELNS1_11target_archE942ELNS1_3gpuE9ELNS1_3repE0EEENS1_36merge_oddeven_config_static_selectorELNS0_4arch9wavefront6targetE1EEEvSH_.has_indirect_call, 0
	.section	.AMDGPU.csdata,"",@progbits
; Kernel info:
; codeLenInByte = 0
; TotalNumSgprs: 4
; NumVgprs: 0
; ScratchSize: 0
; MemoryBound: 0
; FloatMode: 240
; IeeeMode: 1
; LDSByteSize: 0 bytes/workgroup (compile time only)
; SGPRBlocks: 0
; VGPRBlocks: 0
; NumSGPRsForWavesPerEU: 4
; NumVGPRsForWavesPerEU: 1
; Occupancy: 10
; WaveLimiterHint : 0
; COMPUTE_PGM_RSRC2:SCRATCH_EN: 0
; COMPUTE_PGM_RSRC2:USER_SGPR: 6
; COMPUTE_PGM_RSRC2:TRAP_HANDLER: 0
; COMPUTE_PGM_RSRC2:TGID_X_EN: 1
; COMPUTE_PGM_RSRC2:TGID_Y_EN: 0
; COMPUTE_PGM_RSRC2:TGID_Z_EN: 0
; COMPUTE_PGM_RSRC2:TIDIG_COMP_CNT: 0
	.section	.text._ZN7rocprim17ROCPRIM_400000_NS6detail17trampoline_kernelINS0_14default_configENS1_38merge_sort_block_merge_config_selectorIflEEZZNS1_27merge_sort_block_merge_implIS3_PfN6thrust23THRUST_200600_302600_NS10device_ptrIlEEjNS1_19radix_merge_compareILb0ELb0EfNS0_19identity_decomposerEEEEE10hipError_tT0_T1_T2_jT3_P12ihipStream_tbPNSt15iterator_traitsISG_E10value_typeEPNSM_ISH_E10value_typeEPSI_NS1_7vsmem_tEENKUlT_SG_SH_SI_E_clIS7_S7_PlSB_EESF_SV_SG_SH_SI_EUlSV_E1_NS1_11comp_targetILNS1_3genE4ELNS1_11target_archE910ELNS1_3gpuE8ELNS1_3repE0EEENS1_36merge_oddeven_config_static_selectorELNS0_4arch9wavefront6targetE1EEEvSH_,"axG",@progbits,_ZN7rocprim17ROCPRIM_400000_NS6detail17trampoline_kernelINS0_14default_configENS1_38merge_sort_block_merge_config_selectorIflEEZZNS1_27merge_sort_block_merge_implIS3_PfN6thrust23THRUST_200600_302600_NS10device_ptrIlEEjNS1_19radix_merge_compareILb0ELb0EfNS0_19identity_decomposerEEEEE10hipError_tT0_T1_T2_jT3_P12ihipStream_tbPNSt15iterator_traitsISG_E10value_typeEPNSM_ISH_E10value_typeEPSI_NS1_7vsmem_tEENKUlT_SG_SH_SI_E_clIS7_S7_PlSB_EESF_SV_SG_SH_SI_EUlSV_E1_NS1_11comp_targetILNS1_3genE4ELNS1_11target_archE910ELNS1_3gpuE8ELNS1_3repE0EEENS1_36merge_oddeven_config_static_selectorELNS0_4arch9wavefront6targetE1EEEvSH_,comdat
	.protected	_ZN7rocprim17ROCPRIM_400000_NS6detail17trampoline_kernelINS0_14default_configENS1_38merge_sort_block_merge_config_selectorIflEEZZNS1_27merge_sort_block_merge_implIS3_PfN6thrust23THRUST_200600_302600_NS10device_ptrIlEEjNS1_19radix_merge_compareILb0ELb0EfNS0_19identity_decomposerEEEEE10hipError_tT0_T1_T2_jT3_P12ihipStream_tbPNSt15iterator_traitsISG_E10value_typeEPNSM_ISH_E10value_typeEPSI_NS1_7vsmem_tEENKUlT_SG_SH_SI_E_clIS7_S7_PlSB_EESF_SV_SG_SH_SI_EUlSV_E1_NS1_11comp_targetILNS1_3genE4ELNS1_11target_archE910ELNS1_3gpuE8ELNS1_3repE0EEENS1_36merge_oddeven_config_static_selectorELNS0_4arch9wavefront6targetE1EEEvSH_ ; -- Begin function _ZN7rocprim17ROCPRIM_400000_NS6detail17trampoline_kernelINS0_14default_configENS1_38merge_sort_block_merge_config_selectorIflEEZZNS1_27merge_sort_block_merge_implIS3_PfN6thrust23THRUST_200600_302600_NS10device_ptrIlEEjNS1_19radix_merge_compareILb0ELb0EfNS0_19identity_decomposerEEEEE10hipError_tT0_T1_T2_jT3_P12ihipStream_tbPNSt15iterator_traitsISG_E10value_typeEPNSM_ISH_E10value_typeEPSI_NS1_7vsmem_tEENKUlT_SG_SH_SI_E_clIS7_S7_PlSB_EESF_SV_SG_SH_SI_EUlSV_E1_NS1_11comp_targetILNS1_3genE4ELNS1_11target_archE910ELNS1_3gpuE8ELNS1_3repE0EEENS1_36merge_oddeven_config_static_selectorELNS0_4arch9wavefront6targetE1EEEvSH_
	.globl	_ZN7rocprim17ROCPRIM_400000_NS6detail17trampoline_kernelINS0_14default_configENS1_38merge_sort_block_merge_config_selectorIflEEZZNS1_27merge_sort_block_merge_implIS3_PfN6thrust23THRUST_200600_302600_NS10device_ptrIlEEjNS1_19radix_merge_compareILb0ELb0EfNS0_19identity_decomposerEEEEE10hipError_tT0_T1_T2_jT3_P12ihipStream_tbPNSt15iterator_traitsISG_E10value_typeEPNSM_ISH_E10value_typeEPSI_NS1_7vsmem_tEENKUlT_SG_SH_SI_E_clIS7_S7_PlSB_EESF_SV_SG_SH_SI_EUlSV_E1_NS1_11comp_targetILNS1_3genE4ELNS1_11target_archE910ELNS1_3gpuE8ELNS1_3repE0EEENS1_36merge_oddeven_config_static_selectorELNS0_4arch9wavefront6targetE1EEEvSH_
	.p2align	8
	.type	_ZN7rocprim17ROCPRIM_400000_NS6detail17trampoline_kernelINS0_14default_configENS1_38merge_sort_block_merge_config_selectorIflEEZZNS1_27merge_sort_block_merge_implIS3_PfN6thrust23THRUST_200600_302600_NS10device_ptrIlEEjNS1_19radix_merge_compareILb0ELb0EfNS0_19identity_decomposerEEEEE10hipError_tT0_T1_T2_jT3_P12ihipStream_tbPNSt15iterator_traitsISG_E10value_typeEPNSM_ISH_E10value_typeEPSI_NS1_7vsmem_tEENKUlT_SG_SH_SI_E_clIS7_S7_PlSB_EESF_SV_SG_SH_SI_EUlSV_E1_NS1_11comp_targetILNS1_3genE4ELNS1_11target_archE910ELNS1_3gpuE8ELNS1_3repE0EEENS1_36merge_oddeven_config_static_selectorELNS0_4arch9wavefront6targetE1EEEvSH_,@function
_ZN7rocprim17ROCPRIM_400000_NS6detail17trampoline_kernelINS0_14default_configENS1_38merge_sort_block_merge_config_selectorIflEEZZNS1_27merge_sort_block_merge_implIS3_PfN6thrust23THRUST_200600_302600_NS10device_ptrIlEEjNS1_19radix_merge_compareILb0ELb0EfNS0_19identity_decomposerEEEEE10hipError_tT0_T1_T2_jT3_P12ihipStream_tbPNSt15iterator_traitsISG_E10value_typeEPNSM_ISH_E10value_typeEPSI_NS1_7vsmem_tEENKUlT_SG_SH_SI_E_clIS7_S7_PlSB_EESF_SV_SG_SH_SI_EUlSV_E1_NS1_11comp_targetILNS1_3genE4ELNS1_11target_archE910ELNS1_3gpuE8ELNS1_3repE0EEENS1_36merge_oddeven_config_static_selectorELNS0_4arch9wavefront6targetE1EEEvSH_: ; @_ZN7rocprim17ROCPRIM_400000_NS6detail17trampoline_kernelINS0_14default_configENS1_38merge_sort_block_merge_config_selectorIflEEZZNS1_27merge_sort_block_merge_implIS3_PfN6thrust23THRUST_200600_302600_NS10device_ptrIlEEjNS1_19radix_merge_compareILb0ELb0EfNS0_19identity_decomposerEEEEE10hipError_tT0_T1_T2_jT3_P12ihipStream_tbPNSt15iterator_traitsISG_E10value_typeEPNSM_ISH_E10value_typeEPSI_NS1_7vsmem_tEENKUlT_SG_SH_SI_E_clIS7_S7_PlSB_EESF_SV_SG_SH_SI_EUlSV_E1_NS1_11comp_targetILNS1_3genE4ELNS1_11target_archE910ELNS1_3gpuE8ELNS1_3repE0EEENS1_36merge_oddeven_config_static_selectorELNS0_4arch9wavefront6targetE1EEEvSH_
; %bb.0:
	.section	.rodata,"a",@progbits
	.p2align	6, 0x0
	.amdhsa_kernel _ZN7rocprim17ROCPRIM_400000_NS6detail17trampoline_kernelINS0_14default_configENS1_38merge_sort_block_merge_config_selectorIflEEZZNS1_27merge_sort_block_merge_implIS3_PfN6thrust23THRUST_200600_302600_NS10device_ptrIlEEjNS1_19radix_merge_compareILb0ELb0EfNS0_19identity_decomposerEEEEE10hipError_tT0_T1_T2_jT3_P12ihipStream_tbPNSt15iterator_traitsISG_E10value_typeEPNSM_ISH_E10value_typeEPSI_NS1_7vsmem_tEENKUlT_SG_SH_SI_E_clIS7_S7_PlSB_EESF_SV_SG_SH_SI_EUlSV_E1_NS1_11comp_targetILNS1_3genE4ELNS1_11target_archE910ELNS1_3gpuE8ELNS1_3repE0EEENS1_36merge_oddeven_config_static_selectorELNS0_4arch9wavefront6targetE1EEEvSH_
		.amdhsa_group_segment_fixed_size 0
		.amdhsa_private_segment_fixed_size 0
		.amdhsa_kernarg_size 48
		.amdhsa_user_sgpr_count 6
		.amdhsa_user_sgpr_private_segment_buffer 1
		.amdhsa_user_sgpr_dispatch_ptr 0
		.amdhsa_user_sgpr_queue_ptr 0
		.amdhsa_user_sgpr_kernarg_segment_ptr 1
		.amdhsa_user_sgpr_dispatch_id 0
		.amdhsa_user_sgpr_flat_scratch_init 0
		.amdhsa_user_sgpr_private_segment_size 0
		.amdhsa_uses_dynamic_stack 0
		.amdhsa_system_sgpr_private_segment_wavefront_offset 0
		.amdhsa_system_sgpr_workgroup_id_x 1
		.amdhsa_system_sgpr_workgroup_id_y 0
		.amdhsa_system_sgpr_workgroup_id_z 0
		.amdhsa_system_sgpr_workgroup_info 0
		.amdhsa_system_vgpr_workitem_id 0
		.amdhsa_next_free_vgpr 1
		.amdhsa_next_free_sgpr 0
		.amdhsa_reserve_vcc 0
		.amdhsa_reserve_flat_scratch 0
		.amdhsa_float_round_mode_32 0
		.amdhsa_float_round_mode_16_64 0
		.amdhsa_float_denorm_mode_32 3
		.amdhsa_float_denorm_mode_16_64 3
		.amdhsa_dx10_clamp 1
		.amdhsa_ieee_mode 1
		.amdhsa_fp16_overflow 0
		.amdhsa_exception_fp_ieee_invalid_op 0
		.amdhsa_exception_fp_denorm_src 0
		.amdhsa_exception_fp_ieee_div_zero 0
		.amdhsa_exception_fp_ieee_overflow 0
		.amdhsa_exception_fp_ieee_underflow 0
		.amdhsa_exception_fp_ieee_inexact 0
		.amdhsa_exception_int_div_zero 0
	.end_amdhsa_kernel
	.section	.text._ZN7rocprim17ROCPRIM_400000_NS6detail17trampoline_kernelINS0_14default_configENS1_38merge_sort_block_merge_config_selectorIflEEZZNS1_27merge_sort_block_merge_implIS3_PfN6thrust23THRUST_200600_302600_NS10device_ptrIlEEjNS1_19radix_merge_compareILb0ELb0EfNS0_19identity_decomposerEEEEE10hipError_tT0_T1_T2_jT3_P12ihipStream_tbPNSt15iterator_traitsISG_E10value_typeEPNSM_ISH_E10value_typeEPSI_NS1_7vsmem_tEENKUlT_SG_SH_SI_E_clIS7_S7_PlSB_EESF_SV_SG_SH_SI_EUlSV_E1_NS1_11comp_targetILNS1_3genE4ELNS1_11target_archE910ELNS1_3gpuE8ELNS1_3repE0EEENS1_36merge_oddeven_config_static_selectorELNS0_4arch9wavefront6targetE1EEEvSH_,"axG",@progbits,_ZN7rocprim17ROCPRIM_400000_NS6detail17trampoline_kernelINS0_14default_configENS1_38merge_sort_block_merge_config_selectorIflEEZZNS1_27merge_sort_block_merge_implIS3_PfN6thrust23THRUST_200600_302600_NS10device_ptrIlEEjNS1_19radix_merge_compareILb0ELb0EfNS0_19identity_decomposerEEEEE10hipError_tT0_T1_T2_jT3_P12ihipStream_tbPNSt15iterator_traitsISG_E10value_typeEPNSM_ISH_E10value_typeEPSI_NS1_7vsmem_tEENKUlT_SG_SH_SI_E_clIS7_S7_PlSB_EESF_SV_SG_SH_SI_EUlSV_E1_NS1_11comp_targetILNS1_3genE4ELNS1_11target_archE910ELNS1_3gpuE8ELNS1_3repE0EEENS1_36merge_oddeven_config_static_selectorELNS0_4arch9wavefront6targetE1EEEvSH_,comdat
.Lfunc_end1779:
	.size	_ZN7rocprim17ROCPRIM_400000_NS6detail17trampoline_kernelINS0_14default_configENS1_38merge_sort_block_merge_config_selectorIflEEZZNS1_27merge_sort_block_merge_implIS3_PfN6thrust23THRUST_200600_302600_NS10device_ptrIlEEjNS1_19radix_merge_compareILb0ELb0EfNS0_19identity_decomposerEEEEE10hipError_tT0_T1_T2_jT3_P12ihipStream_tbPNSt15iterator_traitsISG_E10value_typeEPNSM_ISH_E10value_typeEPSI_NS1_7vsmem_tEENKUlT_SG_SH_SI_E_clIS7_S7_PlSB_EESF_SV_SG_SH_SI_EUlSV_E1_NS1_11comp_targetILNS1_3genE4ELNS1_11target_archE910ELNS1_3gpuE8ELNS1_3repE0EEENS1_36merge_oddeven_config_static_selectorELNS0_4arch9wavefront6targetE1EEEvSH_, .Lfunc_end1779-_ZN7rocprim17ROCPRIM_400000_NS6detail17trampoline_kernelINS0_14default_configENS1_38merge_sort_block_merge_config_selectorIflEEZZNS1_27merge_sort_block_merge_implIS3_PfN6thrust23THRUST_200600_302600_NS10device_ptrIlEEjNS1_19radix_merge_compareILb0ELb0EfNS0_19identity_decomposerEEEEE10hipError_tT0_T1_T2_jT3_P12ihipStream_tbPNSt15iterator_traitsISG_E10value_typeEPNSM_ISH_E10value_typeEPSI_NS1_7vsmem_tEENKUlT_SG_SH_SI_E_clIS7_S7_PlSB_EESF_SV_SG_SH_SI_EUlSV_E1_NS1_11comp_targetILNS1_3genE4ELNS1_11target_archE910ELNS1_3gpuE8ELNS1_3repE0EEENS1_36merge_oddeven_config_static_selectorELNS0_4arch9wavefront6targetE1EEEvSH_
                                        ; -- End function
	.set _ZN7rocprim17ROCPRIM_400000_NS6detail17trampoline_kernelINS0_14default_configENS1_38merge_sort_block_merge_config_selectorIflEEZZNS1_27merge_sort_block_merge_implIS3_PfN6thrust23THRUST_200600_302600_NS10device_ptrIlEEjNS1_19radix_merge_compareILb0ELb0EfNS0_19identity_decomposerEEEEE10hipError_tT0_T1_T2_jT3_P12ihipStream_tbPNSt15iterator_traitsISG_E10value_typeEPNSM_ISH_E10value_typeEPSI_NS1_7vsmem_tEENKUlT_SG_SH_SI_E_clIS7_S7_PlSB_EESF_SV_SG_SH_SI_EUlSV_E1_NS1_11comp_targetILNS1_3genE4ELNS1_11target_archE910ELNS1_3gpuE8ELNS1_3repE0EEENS1_36merge_oddeven_config_static_selectorELNS0_4arch9wavefront6targetE1EEEvSH_.num_vgpr, 0
	.set _ZN7rocprim17ROCPRIM_400000_NS6detail17trampoline_kernelINS0_14default_configENS1_38merge_sort_block_merge_config_selectorIflEEZZNS1_27merge_sort_block_merge_implIS3_PfN6thrust23THRUST_200600_302600_NS10device_ptrIlEEjNS1_19radix_merge_compareILb0ELb0EfNS0_19identity_decomposerEEEEE10hipError_tT0_T1_T2_jT3_P12ihipStream_tbPNSt15iterator_traitsISG_E10value_typeEPNSM_ISH_E10value_typeEPSI_NS1_7vsmem_tEENKUlT_SG_SH_SI_E_clIS7_S7_PlSB_EESF_SV_SG_SH_SI_EUlSV_E1_NS1_11comp_targetILNS1_3genE4ELNS1_11target_archE910ELNS1_3gpuE8ELNS1_3repE0EEENS1_36merge_oddeven_config_static_selectorELNS0_4arch9wavefront6targetE1EEEvSH_.num_agpr, 0
	.set _ZN7rocprim17ROCPRIM_400000_NS6detail17trampoline_kernelINS0_14default_configENS1_38merge_sort_block_merge_config_selectorIflEEZZNS1_27merge_sort_block_merge_implIS3_PfN6thrust23THRUST_200600_302600_NS10device_ptrIlEEjNS1_19radix_merge_compareILb0ELb0EfNS0_19identity_decomposerEEEEE10hipError_tT0_T1_T2_jT3_P12ihipStream_tbPNSt15iterator_traitsISG_E10value_typeEPNSM_ISH_E10value_typeEPSI_NS1_7vsmem_tEENKUlT_SG_SH_SI_E_clIS7_S7_PlSB_EESF_SV_SG_SH_SI_EUlSV_E1_NS1_11comp_targetILNS1_3genE4ELNS1_11target_archE910ELNS1_3gpuE8ELNS1_3repE0EEENS1_36merge_oddeven_config_static_selectorELNS0_4arch9wavefront6targetE1EEEvSH_.numbered_sgpr, 0
	.set _ZN7rocprim17ROCPRIM_400000_NS6detail17trampoline_kernelINS0_14default_configENS1_38merge_sort_block_merge_config_selectorIflEEZZNS1_27merge_sort_block_merge_implIS3_PfN6thrust23THRUST_200600_302600_NS10device_ptrIlEEjNS1_19radix_merge_compareILb0ELb0EfNS0_19identity_decomposerEEEEE10hipError_tT0_T1_T2_jT3_P12ihipStream_tbPNSt15iterator_traitsISG_E10value_typeEPNSM_ISH_E10value_typeEPSI_NS1_7vsmem_tEENKUlT_SG_SH_SI_E_clIS7_S7_PlSB_EESF_SV_SG_SH_SI_EUlSV_E1_NS1_11comp_targetILNS1_3genE4ELNS1_11target_archE910ELNS1_3gpuE8ELNS1_3repE0EEENS1_36merge_oddeven_config_static_selectorELNS0_4arch9wavefront6targetE1EEEvSH_.num_named_barrier, 0
	.set _ZN7rocprim17ROCPRIM_400000_NS6detail17trampoline_kernelINS0_14default_configENS1_38merge_sort_block_merge_config_selectorIflEEZZNS1_27merge_sort_block_merge_implIS3_PfN6thrust23THRUST_200600_302600_NS10device_ptrIlEEjNS1_19radix_merge_compareILb0ELb0EfNS0_19identity_decomposerEEEEE10hipError_tT0_T1_T2_jT3_P12ihipStream_tbPNSt15iterator_traitsISG_E10value_typeEPNSM_ISH_E10value_typeEPSI_NS1_7vsmem_tEENKUlT_SG_SH_SI_E_clIS7_S7_PlSB_EESF_SV_SG_SH_SI_EUlSV_E1_NS1_11comp_targetILNS1_3genE4ELNS1_11target_archE910ELNS1_3gpuE8ELNS1_3repE0EEENS1_36merge_oddeven_config_static_selectorELNS0_4arch9wavefront6targetE1EEEvSH_.private_seg_size, 0
	.set _ZN7rocprim17ROCPRIM_400000_NS6detail17trampoline_kernelINS0_14default_configENS1_38merge_sort_block_merge_config_selectorIflEEZZNS1_27merge_sort_block_merge_implIS3_PfN6thrust23THRUST_200600_302600_NS10device_ptrIlEEjNS1_19radix_merge_compareILb0ELb0EfNS0_19identity_decomposerEEEEE10hipError_tT0_T1_T2_jT3_P12ihipStream_tbPNSt15iterator_traitsISG_E10value_typeEPNSM_ISH_E10value_typeEPSI_NS1_7vsmem_tEENKUlT_SG_SH_SI_E_clIS7_S7_PlSB_EESF_SV_SG_SH_SI_EUlSV_E1_NS1_11comp_targetILNS1_3genE4ELNS1_11target_archE910ELNS1_3gpuE8ELNS1_3repE0EEENS1_36merge_oddeven_config_static_selectorELNS0_4arch9wavefront6targetE1EEEvSH_.uses_vcc, 0
	.set _ZN7rocprim17ROCPRIM_400000_NS6detail17trampoline_kernelINS0_14default_configENS1_38merge_sort_block_merge_config_selectorIflEEZZNS1_27merge_sort_block_merge_implIS3_PfN6thrust23THRUST_200600_302600_NS10device_ptrIlEEjNS1_19radix_merge_compareILb0ELb0EfNS0_19identity_decomposerEEEEE10hipError_tT0_T1_T2_jT3_P12ihipStream_tbPNSt15iterator_traitsISG_E10value_typeEPNSM_ISH_E10value_typeEPSI_NS1_7vsmem_tEENKUlT_SG_SH_SI_E_clIS7_S7_PlSB_EESF_SV_SG_SH_SI_EUlSV_E1_NS1_11comp_targetILNS1_3genE4ELNS1_11target_archE910ELNS1_3gpuE8ELNS1_3repE0EEENS1_36merge_oddeven_config_static_selectorELNS0_4arch9wavefront6targetE1EEEvSH_.uses_flat_scratch, 0
	.set _ZN7rocprim17ROCPRIM_400000_NS6detail17trampoline_kernelINS0_14default_configENS1_38merge_sort_block_merge_config_selectorIflEEZZNS1_27merge_sort_block_merge_implIS3_PfN6thrust23THRUST_200600_302600_NS10device_ptrIlEEjNS1_19radix_merge_compareILb0ELb0EfNS0_19identity_decomposerEEEEE10hipError_tT0_T1_T2_jT3_P12ihipStream_tbPNSt15iterator_traitsISG_E10value_typeEPNSM_ISH_E10value_typeEPSI_NS1_7vsmem_tEENKUlT_SG_SH_SI_E_clIS7_S7_PlSB_EESF_SV_SG_SH_SI_EUlSV_E1_NS1_11comp_targetILNS1_3genE4ELNS1_11target_archE910ELNS1_3gpuE8ELNS1_3repE0EEENS1_36merge_oddeven_config_static_selectorELNS0_4arch9wavefront6targetE1EEEvSH_.has_dyn_sized_stack, 0
	.set _ZN7rocprim17ROCPRIM_400000_NS6detail17trampoline_kernelINS0_14default_configENS1_38merge_sort_block_merge_config_selectorIflEEZZNS1_27merge_sort_block_merge_implIS3_PfN6thrust23THRUST_200600_302600_NS10device_ptrIlEEjNS1_19radix_merge_compareILb0ELb0EfNS0_19identity_decomposerEEEEE10hipError_tT0_T1_T2_jT3_P12ihipStream_tbPNSt15iterator_traitsISG_E10value_typeEPNSM_ISH_E10value_typeEPSI_NS1_7vsmem_tEENKUlT_SG_SH_SI_E_clIS7_S7_PlSB_EESF_SV_SG_SH_SI_EUlSV_E1_NS1_11comp_targetILNS1_3genE4ELNS1_11target_archE910ELNS1_3gpuE8ELNS1_3repE0EEENS1_36merge_oddeven_config_static_selectorELNS0_4arch9wavefront6targetE1EEEvSH_.has_recursion, 0
	.set _ZN7rocprim17ROCPRIM_400000_NS6detail17trampoline_kernelINS0_14default_configENS1_38merge_sort_block_merge_config_selectorIflEEZZNS1_27merge_sort_block_merge_implIS3_PfN6thrust23THRUST_200600_302600_NS10device_ptrIlEEjNS1_19radix_merge_compareILb0ELb0EfNS0_19identity_decomposerEEEEE10hipError_tT0_T1_T2_jT3_P12ihipStream_tbPNSt15iterator_traitsISG_E10value_typeEPNSM_ISH_E10value_typeEPSI_NS1_7vsmem_tEENKUlT_SG_SH_SI_E_clIS7_S7_PlSB_EESF_SV_SG_SH_SI_EUlSV_E1_NS1_11comp_targetILNS1_3genE4ELNS1_11target_archE910ELNS1_3gpuE8ELNS1_3repE0EEENS1_36merge_oddeven_config_static_selectorELNS0_4arch9wavefront6targetE1EEEvSH_.has_indirect_call, 0
	.section	.AMDGPU.csdata,"",@progbits
; Kernel info:
; codeLenInByte = 0
; TotalNumSgprs: 4
; NumVgprs: 0
; ScratchSize: 0
; MemoryBound: 0
; FloatMode: 240
; IeeeMode: 1
; LDSByteSize: 0 bytes/workgroup (compile time only)
; SGPRBlocks: 0
; VGPRBlocks: 0
; NumSGPRsForWavesPerEU: 4
; NumVGPRsForWavesPerEU: 1
; Occupancy: 10
; WaveLimiterHint : 0
; COMPUTE_PGM_RSRC2:SCRATCH_EN: 0
; COMPUTE_PGM_RSRC2:USER_SGPR: 6
; COMPUTE_PGM_RSRC2:TRAP_HANDLER: 0
; COMPUTE_PGM_RSRC2:TGID_X_EN: 1
; COMPUTE_PGM_RSRC2:TGID_Y_EN: 0
; COMPUTE_PGM_RSRC2:TGID_Z_EN: 0
; COMPUTE_PGM_RSRC2:TIDIG_COMP_CNT: 0
	.section	.text._ZN7rocprim17ROCPRIM_400000_NS6detail17trampoline_kernelINS0_14default_configENS1_38merge_sort_block_merge_config_selectorIflEEZZNS1_27merge_sort_block_merge_implIS3_PfN6thrust23THRUST_200600_302600_NS10device_ptrIlEEjNS1_19radix_merge_compareILb0ELb0EfNS0_19identity_decomposerEEEEE10hipError_tT0_T1_T2_jT3_P12ihipStream_tbPNSt15iterator_traitsISG_E10value_typeEPNSM_ISH_E10value_typeEPSI_NS1_7vsmem_tEENKUlT_SG_SH_SI_E_clIS7_S7_PlSB_EESF_SV_SG_SH_SI_EUlSV_E1_NS1_11comp_targetILNS1_3genE3ELNS1_11target_archE908ELNS1_3gpuE7ELNS1_3repE0EEENS1_36merge_oddeven_config_static_selectorELNS0_4arch9wavefront6targetE1EEEvSH_,"axG",@progbits,_ZN7rocprim17ROCPRIM_400000_NS6detail17trampoline_kernelINS0_14default_configENS1_38merge_sort_block_merge_config_selectorIflEEZZNS1_27merge_sort_block_merge_implIS3_PfN6thrust23THRUST_200600_302600_NS10device_ptrIlEEjNS1_19radix_merge_compareILb0ELb0EfNS0_19identity_decomposerEEEEE10hipError_tT0_T1_T2_jT3_P12ihipStream_tbPNSt15iterator_traitsISG_E10value_typeEPNSM_ISH_E10value_typeEPSI_NS1_7vsmem_tEENKUlT_SG_SH_SI_E_clIS7_S7_PlSB_EESF_SV_SG_SH_SI_EUlSV_E1_NS1_11comp_targetILNS1_3genE3ELNS1_11target_archE908ELNS1_3gpuE7ELNS1_3repE0EEENS1_36merge_oddeven_config_static_selectorELNS0_4arch9wavefront6targetE1EEEvSH_,comdat
	.protected	_ZN7rocprim17ROCPRIM_400000_NS6detail17trampoline_kernelINS0_14default_configENS1_38merge_sort_block_merge_config_selectorIflEEZZNS1_27merge_sort_block_merge_implIS3_PfN6thrust23THRUST_200600_302600_NS10device_ptrIlEEjNS1_19radix_merge_compareILb0ELb0EfNS0_19identity_decomposerEEEEE10hipError_tT0_T1_T2_jT3_P12ihipStream_tbPNSt15iterator_traitsISG_E10value_typeEPNSM_ISH_E10value_typeEPSI_NS1_7vsmem_tEENKUlT_SG_SH_SI_E_clIS7_S7_PlSB_EESF_SV_SG_SH_SI_EUlSV_E1_NS1_11comp_targetILNS1_3genE3ELNS1_11target_archE908ELNS1_3gpuE7ELNS1_3repE0EEENS1_36merge_oddeven_config_static_selectorELNS0_4arch9wavefront6targetE1EEEvSH_ ; -- Begin function _ZN7rocprim17ROCPRIM_400000_NS6detail17trampoline_kernelINS0_14default_configENS1_38merge_sort_block_merge_config_selectorIflEEZZNS1_27merge_sort_block_merge_implIS3_PfN6thrust23THRUST_200600_302600_NS10device_ptrIlEEjNS1_19radix_merge_compareILb0ELb0EfNS0_19identity_decomposerEEEEE10hipError_tT0_T1_T2_jT3_P12ihipStream_tbPNSt15iterator_traitsISG_E10value_typeEPNSM_ISH_E10value_typeEPSI_NS1_7vsmem_tEENKUlT_SG_SH_SI_E_clIS7_S7_PlSB_EESF_SV_SG_SH_SI_EUlSV_E1_NS1_11comp_targetILNS1_3genE3ELNS1_11target_archE908ELNS1_3gpuE7ELNS1_3repE0EEENS1_36merge_oddeven_config_static_selectorELNS0_4arch9wavefront6targetE1EEEvSH_
	.globl	_ZN7rocprim17ROCPRIM_400000_NS6detail17trampoline_kernelINS0_14default_configENS1_38merge_sort_block_merge_config_selectorIflEEZZNS1_27merge_sort_block_merge_implIS3_PfN6thrust23THRUST_200600_302600_NS10device_ptrIlEEjNS1_19radix_merge_compareILb0ELb0EfNS0_19identity_decomposerEEEEE10hipError_tT0_T1_T2_jT3_P12ihipStream_tbPNSt15iterator_traitsISG_E10value_typeEPNSM_ISH_E10value_typeEPSI_NS1_7vsmem_tEENKUlT_SG_SH_SI_E_clIS7_S7_PlSB_EESF_SV_SG_SH_SI_EUlSV_E1_NS1_11comp_targetILNS1_3genE3ELNS1_11target_archE908ELNS1_3gpuE7ELNS1_3repE0EEENS1_36merge_oddeven_config_static_selectorELNS0_4arch9wavefront6targetE1EEEvSH_
	.p2align	8
	.type	_ZN7rocprim17ROCPRIM_400000_NS6detail17trampoline_kernelINS0_14default_configENS1_38merge_sort_block_merge_config_selectorIflEEZZNS1_27merge_sort_block_merge_implIS3_PfN6thrust23THRUST_200600_302600_NS10device_ptrIlEEjNS1_19radix_merge_compareILb0ELb0EfNS0_19identity_decomposerEEEEE10hipError_tT0_T1_T2_jT3_P12ihipStream_tbPNSt15iterator_traitsISG_E10value_typeEPNSM_ISH_E10value_typeEPSI_NS1_7vsmem_tEENKUlT_SG_SH_SI_E_clIS7_S7_PlSB_EESF_SV_SG_SH_SI_EUlSV_E1_NS1_11comp_targetILNS1_3genE3ELNS1_11target_archE908ELNS1_3gpuE7ELNS1_3repE0EEENS1_36merge_oddeven_config_static_selectorELNS0_4arch9wavefront6targetE1EEEvSH_,@function
_ZN7rocprim17ROCPRIM_400000_NS6detail17trampoline_kernelINS0_14default_configENS1_38merge_sort_block_merge_config_selectorIflEEZZNS1_27merge_sort_block_merge_implIS3_PfN6thrust23THRUST_200600_302600_NS10device_ptrIlEEjNS1_19radix_merge_compareILb0ELb0EfNS0_19identity_decomposerEEEEE10hipError_tT0_T1_T2_jT3_P12ihipStream_tbPNSt15iterator_traitsISG_E10value_typeEPNSM_ISH_E10value_typeEPSI_NS1_7vsmem_tEENKUlT_SG_SH_SI_E_clIS7_S7_PlSB_EESF_SV_SG_SH_SI_EUlSV_E1_NS1_11comp_targetILNS1_3genE3ELNS1_11target_archE908ELNS1_3gpuE7ELNS1_3repE0EEENS1_36merge_oddeven_config_static_selectorELNS0_4arch9wavefront6targetE1EEEvSH_: ; @_ZN7rocprim17ROCPRIM_400000_NS6detail17trampoline_kernelINS0_14default_configENS1_38merge_sort_block_merge_config_selectorIflEEZZNS1_27merge_sort_block_merge_implIS3_PfN6thrust23THRUST_200600_302600_NS10device_ptrIlEEjNS1_19radix_merge_compareILb0ELb0EfNS0_19identity_decomposerEEEEE10hipError_tT0_T1_T2_jT3_P12ihipStream_tbPNSt15iterator_traitsISG_E10value_typeEPNSM_ISH_E10value_typeEPSI_NS1_7vsmem_tEENKUlT_SG_SH_SI_E_clIS7_S7_PlSB_EESF_SV_SG_SH_SI_EUlSV_E1_NS1_11comp_targetILNS1_3genE3ELNS1_11target_archE908ELNS1_3gpuE7ELNS1_3repE0EEENS1_36merge_oddeven_config_static_selectorELNS0_4arch9wavefront6targetE1EEEvSH_
; %bb.0:
	.section	.rodata,"a",@progbits
	.p2align	6, 0x0
	.amdhsa_kernel _ZN7rocprim17ROCPRIM_400000_NS6detail17trampoline_kernelINS0_14default_configENS1_38merge_sort_block_merge_config_selectorIflEEZZNS1_27merge_sort_block_merge_implIS3_PfN6thrust23THRUST_200600_302600_NS10device_ptrIlEEjNS1_19radix_merge_compareILb0ELb0EfNS0_19identity_decomposerEEEEE10hipError_tT0_T1_T2_jT3_P12ihipStream_tbPNSt15iterator_traitsISG_E10value_typeEPNSM_ISH_E10value_typeEPSI_NS1_7vsmem_tEENKUlT_SG_SH_SI_E_clIS7_S7_PlSB_EESF_SV_SG_SH_SI_EUlSV_E1_NS1_11comp_targetILNS1_3genE3ELNS1_11target_archE908ELNS1_3gpuE7ELNS1_3repE0EEENS1_36merge_oddeven_config_static_selectorELNS0_4arch9wavefront6targetE1EEEvSH_
		.amdhsa_group_segment_fixed_size 0
		.amdhsa_private_segment_fixed_size 0
		.amdhsa_kernarg_size 48
		.amdhsa_user_sgpr_count 6
		.amdhsa_user_sgpr_private_segment_buffer 1
		.amdhsa_user_sgpr_dispatch_ptr 0
		.amdhsa_user_sgpr_queue_ptr 0
		.amdhsa_user_sgpr_kernarg_segment_ptr 1
		.amdhsa_user_sgpr_dispatch_id 0
		.amdhsa_user_sgpr_flat_scratch_init 0
		.amdhsa_user_sgpr_private_segment_size 0
		.amdhsa_uses_dynamic_stack 0
		.amdhsa_system_sgpr_private_segment_wavefront_offset 0
		.amdhsa_system_sgpr_workgroup_id_x 1
		.amdhsa_system_sgpr_workgroup_id_y 0
		.amdhsa_system_sgpr_workgroup_id_z 0
		.amdhsa_system_sgpr_workgroup_info 0
		.amdhsa_system_vgpr_workitem_id 0
		.amdhsa_next_free_vgpr 1
		.amdhsa_next_free_sgpr 0
		.amdhsa_reserve_vcc 0
		.amdhsa_reserve_flat_scratch 0
		.amdhsa_float_round_mode_32 0
		.amdhsa_float_round_mode_16_64 0
		.amdhsa_float_denorm_mode_32 3
		.amdhsa_float_denorm_mode_16_64 3
		.amdhsa_dx10_clamp 1
		.amdhsa_ieee_mode 1
		.amdhsa_fp16_overflow 0
		.amdhsa_exception_fp_ieee_invalid_op 0
		.amdhsa_exception_fp_denorm_src 0
		.amdhsa_exception_fp_ieee_div_zero 0
		.amdhsa_exception_fp_ieee_overflow 0
		.amdhsa_exception_fp_ieee_underflow 0
		.amdhsa_exception_fp_ieee_inexact 0
		.amdhsa_exception_int_div_zero 0
	.end_amdhsa_kernel
	.section	.text._ZN7rocprim17ROCPRIM_400000_NS6detail17trampoline_kernelINS0_14default_configENS1_38merge_sort_block_merge_config_selectorIflEEZZNS1_27merge_sort_block_merge_implIS3_PfN6thrust23THRUST_200600_302600_NS10device_ptrIlEEjNS1_19radix_merge_compareILb0ELb0EfNS0_19identity_decomposerEEEEE10hipError_tT0_T1_T2_jT3_P12ihipStream_tbPNSt15iterator_traitsISG_E10value_typeEPNSM_ISH_E10value_typeEPSI_NS1_7vsmem_tEENKUlT_SG_SH_SI_E_clIS7_S7_PlSB_EESF_SV_SG_SH_SI_EUlSV_E1_NS1_11comp_targetILNS1_3genE3ELNS1_11target_archE908ELNS1_3gpuE7ELNS1_3repE0EEENS1_36merge_oddeven_config_static_selectorELNS0_4arch9wavefront6targetE1EEEvSH_,"axG",@progbits,_ZN7rocprim17ROCPRIM_400000_NS6detail17trampoline_kernelINS0_14default_configENS1_38merge_sort_block_merge_config_selectorIflEEZZNS1_27merge_sort_block_merge_implIS3_PfN6thrust23THRUST_200600_302600_NS10device_ptrIlEEjNS1_19radix_merge_compareILb0ELb0EfNS0_19identity_decomposerEEEEE10hipError_tT0_T1_T2_jT3_P12ihipStream_tbPNSt15iterator_traitsISG_E10value_typeEPNSM_ISH_E10value_typeEPSI_NS1_7vsmem_tEENKUlT_SG_SH_SI_E_clIS7_S7_PlSB_EESF_SV_SG_SH_SI_EUlSV_E1_NS1_11comp_targetILNS1_3genE3ELNS1_11target_archE908ELNS1_3gpuE7ELNS1_3repE0EEENS1_36merge_oddeven_config_static_selectorELNS0_4arch9wavefront6targetE1EEEvSH_,comdat
.Lfunc_end1780:
	.size	_ZN7rocprim17ROCPRIM_400000_NS6detail17trampoline_kernelINS0_14default_configENS1_38merge_sort_block_merge_config_selectorIflEEZZNS1_27merge_sort_block_merge_implIS3_PfN6thrust23THRUST_200600_302600_NS10device_ptrIlEEjNS1_19radix_merge_compareILb0ELb0EfNS0_19identity_decomposerEEEEE10hipError_tT0_T1_T2_jT3_P12ihipStream_tbPNSt15iterator_traitsISG_E10value_typeEPNSM_ISH_E10value_typeEPSI_NS1_7vsmem_tEENKUlT_SG_SH_SI_E_clIS7_S7_PlSB_EESF_SV_SG_SH_SI_EUlSV_E1_NS1_11comp_targetILNS1_3genE3ELNS1_11target_archE908ELNS1_3gpuE7ELNS1_3repE0EEENS1_36merge_oddeven_config_static_selectorELNS0_4arch9wavefront6targetE1EEEvSH_, .Lfunc_end1780-_ZN7rocprim17ROCPRIM_400000_NS6detail17trampoline_kernelINS0_14default_configENS1_38merge_sort_block_merge_config_selectorIflEEZZNS1_27merge_sort_block_merge_implIS3_PfN6thrust23THRUST_200600_302600_NS10device_ptrIlEEjNS1_19radix_merge_compareILb0ELb0EfNS0_19identity_decomposerEEEEE10hipError_tT0_T1_T2_jT3_P12ihipStream_tbPNSt15iterator_traitsISG_E10value_typeEPNSM_ISH_E10value_typeEPSI_NS1_7vsmem_tEENKUlT_SG_SH_SI_E_clIS7_S7_PlSB_EESF_SV_SG_SH_SI_EUlSV_E1_NS1_11comp_targetILNS1_3genE3ELNS1_11target_archE908ELNS1_3gpuE7ELNS1_3repE0EEENS1_36merge_oddeven_config_static_selectorELNS0_4arch9wavefront6targetE1EEEvSH_
                                        ; -- End function
	.set _ZN7rocprim17ROCPRIM_400000_NS6detail17trampoline_kernelINS0_14default_configENS1_38merge_sort_block_merge_config_selectorIflEEZZNS1_27merge_sort_block_merge_implIS3_PfN6thrust23THRUST_200600_302600_NS10device_ptrIlEEjNS1_19radix_merge_compareILb0ELb0EfNS0_19identity_decomposerEEEEE10hipError_tT0_T1_T2_jT3_P12ihipStream_tbPNSt15iterator_traitsISG_E10value_typeEPNSM_ISH_E10value_typeEPSI_NS1_7vsmem_tEENKUlT_SG_SH_SI_E_clIS7_S7_PlSB_EESF_SV_SG_SH_SI_EUlSV_E1_NS1_11comp_targetILNS1_3genE3ELNS1_11target_archE908ELNS1_3gpuE7ELNS1_3repE0EEENS1_36merge_oddeven_config_static_selectorELNS0_4arch9wavefront6targetE1EEEvSH_.num_vgpr, 0
	.set _ZN7rocprim17ROCPRIM_400000_NS6detail17trampoline_kernelINS0_14default_configENS1_38merge_sort_block_merge_config_selectorIflEEZZNS1_27merge_sort_block_merge_implIS3_PfN6thrust23THRUST_200600_302600_NS10device_ptrIlEEjNS1_19radix_merge_compareILb0ELb0EfNS0_19identity_decomposerEEEEE10hipError_tT0_T1_T2_jT3_P12ihipStream_tbPNSt15iterator_traitsISG_E10value_typeEPNSM_ISH_E10value_typeEPSI_NS1_7vsmem_tEENKUlT_SG_SH_SI_E_clIS7_S7_PlSB_EESF_SV_SG_SH_SI_EUlSV_E1_NS1_11comp_targetILNS1_3genE3ELNS1_11target_archE908ELNS1_3gpuE7ELNS1_3repE0EEENS1_36merge_oddeven_config_static_selectorELNS0_4arch9wavefront6targetE1EEEvSH_.num_agpr, 0
	.set _ZN7rocprim17ROCPRIM_400000_NS6detail17trampoline_kernelINS0_14default_configENS1_38merge_sort_block_merge_config_selectorIflEEZZNS1_27merge_sort_block_merge_implIS3_PfN6thrust23THRUST_200600_302600_NS10device_ptrIlEEjNS1_19radix_merge_compareILb0ELb0EfNS0_19identity_decomposerEEEEE10hipError_tT0_T1_T2_jT3_P12ihipStream_tbPNSt15iterator_traitsISG_E10value_typeEPNSM_ISH_E10value_typeEPSI_NS1_7vsmem_tEENKUlT_SG_SH_SI_E_clIS7_S7_PlSB_EESF_SV_SG_SH_SI_EUlSV_E1_NS1_11comp_targetILNS1_3genE3ELNS1_11target_archE908ELNS1_3gpuE7ELNS1_3repE0EEENS1_36merge_oddeven_config_static_selectorELNS0_4arch9wavefront6targetE1EEEvSH_.numbered_sgpr, 0
	.set _ZN7rocprim17ROCPRIM_400000_NS6detail17trampoline_kernelINS0_14default_configENS1_38merge_sort_block_merge_config_selectorIflEEZZNS1_27merge_sort_block_merge_implIS3_PfN6thrust23THRUST_200600_302600_NS10device_ptrIlEEjNS1_19radix_merge_compareILb0ELb0EfNS0_19identity_decomposerEEEEE10hipError_tT0_T1_T2_jT3_P12ihipStream_tbPNSt15iterator_traitsISG_E10value_typeEPNSM_ISH_E10value_typeEPSI_NS1_7vsmem_tEENKUlT_SG_SH_SI_E_clIS7_S7_PlSB_EESF_SV_SG_SH_SI_EUlSV_E1_NS1_11comp_targetILNS1_3genE3ELNS1_11target_archE908ELNS1_3gpuE7ELNS1_3repE0EEENS1_36merge_oddeven_config_static_selectorELNS0_4arch9wavefront6targetE1EEEvSH_.num_named_barrier, 0
	.set _ZN7rocprim17ROCPRIM_400000_NS6detail17trampoline_kernelINS0_14default_configENS1_38merge_sort_block_merge_config_selectorIflEEZZNS1_27merge_sort_block_merge_implIS3_PfN6thrust23THRUST_200600_302600_NS10device_ptrIlEEjNS1_19radix_merge_compareILb0ELb0EfNS0_19identity_decomposerEEEEE10hipError_tT0_T1_T2_jT3_P12ihipStream_tbPNSt15iterator_traitsISG_E10value_typeEPNSM_ISH_E10value_typeEPSI_NS1_7vsmem_tEENKUlT_SG_SH_SI_E_clIS7_S7_PlSB_EESF_SV_SG_SH_SI_EUlSV_E1_NS1_11comp_targetILNS1_3genE3ELNS1_11target_archE908ELNS1_3gpuE7ELNS1_3repE0EEENS1_36merge_oddeven_config_static_selectorELNS0_4arch9wavefront6targetE1EEEvSH_.private_seg_size, 0
	.set _ZN7rocprim17ROCPRIM_400000_NS6detail17trampoline_kernelINS0_14default_configENS1_38merge_sort_block_merge_config_selectorIflEEZZNS1_27merge_sort_block_merge_implIS3_PfN6thrust23THRUST_200600_302600_NS10device_ptrIlEEjNS1_19radix_merge_compareILb0ELb0EfNS0_19identity_decomposerEEEEE10hipError_tT0_T1_T2_jT3_P12ihipStream_tbPNSt15iterator_traitsISG_E10value_typeEPNSM_ISH_E10value_typeEPSI_NS1_7vsmem_tEENKUlT_SG_SH_SI_E_clIS7_S7_PlSB_EESF_SV_SG_SH_SI_EUlSV_E1_NS1_11comp_targetILNS1_3genE3ELNS1_11target_archE908ELNS1_3gpuE7ELNS1_3repE0EEENS1_36merge_oddeven_config_static_selectorELNS0_4arch9wavefront6targetE1EEEvSH_.uses_vcc, 0
	.set _ZN7rocprim17ROCPRIM_400000_NS6detail17trampoline_kernelINS0_14default_configENS1_38merge_sort_block_merge_config_selectorIflEEZZNS1_27merge_sort_block_merge_implIS3_PfN6thrust23THRUST_200600_302600_NS10device_ptrIlEEjNS1_19radix_merge_compareILb0ELb0EfNS0_19identity_decomposerEEEEE10hipError_tT0_T1_T2_jT3_P12ihipStream_tbPNSt15iterator_traitsISG_E10value_typeEPNSM_ISH_E10value_typeEPSI_NS1_7vsmem_tEENKUlT_SG_SH_SI_E_clIS7_S7_PlSB_EESF_SV_SG_SH_SI_EUlSV_E1_NS1_11comp_targetILNS1_3genE3ELNS1_11target_archE908ELNS1_3gpuE7ELNS1_3repE0EEENS1_36merge_oddeven_config_static_selectorELNS0_4arch9wavefront6targetE1EEEvSH_.uses_flat_scratch, 0
	.set _ZN7rocprim17ROCPRIM_400000_NS6detail17trampoline_kernelINS0_14default_configENS1_38merge_sort_block_merge_config_selectorIflEEZZNS1_27merge_sort_block_merge_implIS3_PfN6thrust23THRUST_200600_302600_NS10device_ptrIlEEjNS1_19radix_merge_compareILb0ELb0EfNS0_19identity_decomposerEEEEE10hipError_tT0_T1_T2_jT3_P12ihipStream_tbPNSt15iterator_traitsISG_E10value_typeEPNSM_ISH_E10value_typeEPSI_NS1_7vsmem_tEENKUlT_SG_SH_SI_E_clIS7_S7_PlSB_EESF_SV_SG_SH_SI_EUlSV_E1_NS1_11comp_targetILNS1_3genE3ELNS1_11target_archE908ELNS1_3gpuE7ELNS1_3repE0EEENS1_36merge_oddeven_config_static_selectorELNS0_4arch9wavefront6targetE1EEEvSH_.has_dyn_sized_stack, 0
	.set _ZN7rocprim17ROCPRIM_400000_NS6detail17trampoline_kernelINS0_14default_configENS1_38merge_sort_block_merge_config_selectorIflEEZZNS1_27merge_sort_block_merge_implIS3_PfN6thrust23THRUST_200600_302600_NS10device_ptrIlEEjNS1_19radix_merge_compareILb0ELb0EfNS0_19identity_decomposerEEEEE10hipError_tT0_T1_T2_jT3_P12ihipStream_tbPNSt15iterator_traitsISG_E10value_typeEPNSM_ISH_E10value_typeEPSI_NS1_7vsmem_tEENKUlT_SG_SH_SI_E_clIS7_S7_PlSB_EESF_SV_SG_SH_SI_EUlSV_E1_NS1_11comp_targetILNS1_3genE3ELNS1_11target_archE908ELNS1_3gpuE7ELNS1_3repE0EEENS1_36merge_oddeven_config_static_selectorELNS0_4arch9wavefront6targetE1EEEvSH_.has_recursion, 0
	.set _ZN7rocprim17ROCPRIM_400000_NS6detail17trampoline_kernelINS0_14default_configENS1_38merge_sort_block_merge_config_selectorIflEEZZNS1_27merge_sort_block_merge_implIS3_PfN6thrust23THRUST_200600_302600_NS10device_ptrIlEEjNS1_19radix_merge_compareILb0ELb0EfNS0_19identity_decomposerEEEEE10hipError_tT0_T1_T2_jT3_P12ihipStream_tbPNSt15iterator_traitsISG_E10value_typeEPNSM_ISH_E10value_typeEPSI_NS1_7vsmem_tEENKUlT_SG_SH_SI_E_clIS7_S7_PlSB_EESF_SV_SG_SH_SI_EUlSV_E1_NS1_11comp_targetILNS1_3genE3ELNS1_11target_archE908ELNS1_3gpuE7ELNS1_3repE0EEENS1_36merge_oddeven_config_static_selectorELNS0_4arch9wavefront6targetE1EEEvSH_.has_indirect_call, 0
	.section	.AMDGPU.csdata,"",@progbits
; Kernel info:
; codeLenInByte = 0
; TotalNumSgprs: 4
; NumVgprs: 0
; ScratchSize: 0
; MemoryBound: 0
; FloatMode: 240
; IeeeMode: 1
; LDSByteSize: 0 bytes/workgroup (compile time only)
; SGPRBlocks: 0
; VGPRBlocks: 0
; NumSGPRsForWavesPerEU: 4
; NumVGPRsForWavesPerEU: 1
; Occupancy: 10
; WaveLimiterHint : 0
; COMPUTE_PGM_RSRC2:SCRATCH_EN: 0
; COMPUTE_PGM_RSRC2:USER_SGPR: 6
; COMPUTE_PGM_RSRC2:TRAP_HANDLER: 0
; COMPUTE_PGM_RSRC2:TGID_X_EN: 1
; COMPUTE_PGM_RSRC2:TGID_Y_EN: 0
; COMPUTE_PGM_RSRC2:TGID_Z_EN: 0
; COMPUTE_PGM_RSRC2:TIDIG_COMP_CNT: 0
	.section	.text._ZN7rocprim17ROCPRIM_400000_NS6detail17trampoline_kernelINS0_14default_configENS1_38merge_sort_block_merge_config_selectorIflEEZZNS1_27merge_sort_block_merge_implIS3_PfN6thrust23THRUST_200600_302600_NS10device_ptrIlEEjNS1_19radix_merge_compareILb0ELb0EfNS0_19identity_decomposerEEEEE10hipError_tT0_T1_T2_jT3_P12ihipStream_tbPNSt15iterator_traitsISG_E10value_typeEPNSM_ISH_E10value_typeEPSI_NS1_7vsmem_tEENKUlT_SG_SH_SI_E_clIS7_S7_PlSB_EESF_SV_SG_SH_SI_EUlSV_E1_NS1_11comp_targetILNS1_3genE2ELNS1_11target_archE906ELNS1_3gpuE6ELNS1_3repE0EEENS1_36merge_oddeven_config_static_selectorELNS0_4arch9wavefront6targetE1EEEvSH_,"axG",@progbits,_ZN7rocprim17ROCPRIM_400000_NS6detail17trampoline_kernelINS0_14default_configENS1_38merge_sort_block_merge_config_selectorIflEEZZNS1_27merge_sort_block_merge_implIS3_PfN6thrust23THRUST_200600_302600_NS10device_ptrIlEEjNS1_19radix_merge_compareILb0ELb0EfNS0_19identity_decomposerEEEEE10hipError_tT0_T1_T2_jT3_P12ihipStream_tbPNSt15iterator_traitsISG_E10value_typeEPNSM_ISH_E10value_typeEPSI_NS1_7vsmem_tEENKUlT_SG_SH_SI_E_clIS7_S7_PlSB_EESF_SV_SG_SH_SI_EUlSV_E1_NS1_11comp_targetILNS1_3genE2ELNS1_11target_archE906ELNS1_3gpuE6ELNS1_3repE0EEENS1_36merge_oddeven_config_static_selectorELNS0_4arch9wavefront6targetE1EEEvSH_,comdat
	.protected	_ZN7rocprim17ROCPRIM_400000_NS6detail17trampoline_kernelINS0_14default_configENS1_38merge_sort_block_merge_config_selectorIflEEZZNS1_27merge_sort_block_merge_implIS3_PfN6thrust23THRUST_200600_302600_NS10device_ptrIlEEjNS1_19radix_merge_compareILb0ELb0EfNS0_19identity_decomposerEEEEE10hipError_tT0_T1_T2_jT3_P12ihipStream_tbPNSt15iterator_traitsISG_E10value_typeEPNSM_ISH_E10value_typeEPSI_NS1_7vsmem_tEENKUlT_SG_SH_SI_E_clIS7_S7_PlSB_EESF_SV_SG_SH_SI_EUlSV_E1_NS1_11comp_targetILNS1_3genE2ELNS1_11target_archE906ELNS1_3gpuE6ELNS1_3repE0EEENS1_36merge_oddeven_config_static_selectorELNS0_4arch9wavefront6targetE1EEEvSH_ ; -- Begin function _ZN7rocprim17ROCPRIM_400000_NS6detail17trampoline_kernelINS0_14default_configENS1_38merge_sort_block_merge_config_selectorIflEEZZNS1_27merge_sort_block_merge_implIS3_PfN6thrust23THRUST_200600_302600_NS10device_ptrIlEEjNS1_19radix_merge_compareILb0ELb0EfNS0_19identity_decomposerEEEEE10hipError_tT0_T1_T2_jT3_P12ihipStream_tbPNSt15iterator_traitsISG_E10value_typeEPNSM_ISH_E10value_typeEPSI_NS1_7vsmem_tEENKUlT_SG_SH_SI_E_clIS7_S7_PlSB_EESF_SV_SG_SH_SI_EUlSV_E1_NS1_11comp_targetILNS1_3genE2ELNS1_11target_archE906ELNS1_3gpuE6ELNS1_3repE0EEENS1_36merge_oddeven_config_static_selectorELNS0_4arch9wavefront6targetE1EEEvSH_
	.globl	_ZN7rocprim17ROCPRIM_400000_NS6detail17trampoline_kernelINS0_14default_configENS1_38merge_sort_block_merge_config_selectorIflEEZZNS1_27merge_sort_block_merge_implIS3_PfN6thrust23THRUST_200600_302600_NS10device_ptrIlEEjNS1_19radix_merge_compareILb0ELb0EfNS0_19identity_decomposerEEEEE10hipError_tT0_T1_T2_jT3_P12ihipStream_tbPNSt15iterator_traitsISG_E10value_typeEPNSM_ISH_E10value_typeEPSI_NS1_7vsmem_tEENKUlT_SG_SH_SI_E_clIS7_S7_PlSB_EESF_SV_SG_SH_SI_EUlSV_E1_NS1_11comp_targetILNS1_3genE2ELNS1_11target_archE906ELNS1_3gpuE6ELNS1_3repE0EEENS1_36merge_oddeven_config_static_selectorELNS0_4arch9wavefront6targetE1EEEvSH_
	.p2align	8
	.type	_ZN7rocprim17ROCPRIM_400000_NS6detail17trampoline_kernelINS0_14default_configENS1_38merge_sort_block_merge_config_selectorIflEEZZNS1_27merge_sort_block_merge_implIS3_PfN6thrust23THRUST_200600_302600_NS10device_ptrIlEEjNS1_19radix_merge_compareILb0ELb0EfNS0_19identity_decomposerEEEEE10hipError_tT0_T1_T2_jT3_P12ihipStream_tbPNSt15iterator_traitsISG_E10value_typeEPNSM_ISH_E10value_typeEPSI_NS1_7vsmem_tEENKUlT_SG_SH_SI_E_clIS7_S7_PlSB_EESF_SV_SG_SH_SI_EUlSV_E1_NS1_11comp_targetILNS1_3genE2ELNS1_11target_archE906ELNS1_3gpuE6ELNS1_3repE0EEENS1_36merge_oddeven_config_static_selectorELNS0_4arch9wavefront6targetE1EEEvSH_,@function
_ZN7rocprim17ROCPRIM_400000_NS6detail17trampoline_kernelINS0_14default_configENS1_38merge_sort_block_merge_config_selectorIflEEZZNS1_27merge_sort_block_merge_implIS3_PfN6thrust23THRUST_200600_302600_NS10device_ptrIlEEjNS1_19radix_merge_compareILb0ELb0EfNS0_19identity_decomposerEEEEE10hipError_tT0_T1_T2_jT3_P12ihipStream_tbPNSt15iterator_traitsISG_E10value_typeEPNSM_ISH_E10value_typeEPSI_NS1_7vsmem_tEENKUlT_SG_SH_SI_E_clIS7_S7_PlSB_EESF_SV_SG_SH_SI_EUlSV_E1_NS1_11comp_targetILNS1_3genE2ELNS1_11target_archE906ELNS1_3gpuE6ELNS1_3repE0EEENS1_36merge_oddeven_config_static_selectorELNS0_4arch9wavefront6targetE1EEEvSH_: ; @_ZN7rocprim17ROCPRIM_400000_NS6detail17trampoline_kernelINS0_14default_configENS1_38merge_sort_block_merge_config_selectorIflEEZZNS1_27merge_sort_block_merge_implIS3_PfN6thrust23THRUST_200600_302600_NS10device_ptrIlEEjNS1_19radix_merge_compareILb0ELb0EfNS0_19identity_decomposerEEEEE10hipError_tT0_T1_T2_jT3_P12ihipStream_tbPNSt15iterator_traitsISG_E10value_typeEPNSM_ISH_E10value_typeEPSI_NS1_7vsmem_tEENKUlT_SG_SH_SI_E_clIS7_S7_PlSB_EESF_SV_SG_SH_SI_EUlSV_E1_NS1_11comp_targetILNS1_3genE2ELNS1_11target_archE906ELNS1_3gpuE6ELNS1_3repE0EEENS1_36merge_oddeven_config_static_selectorELNS0_4arch9wavefront6targetE1EEEvSH_
; %bb.0:
	s_load_dword s7, s[4:5], 0x20
	s_waitcnt lgkmcnt(0)
	s_lshr_b32 s0, s7, 8
	s_cmp_eq_u32 s6, s0
	s_cselect_b64 s[16:17], -1, 0
	s_cmp_lg_u32 s6, s0
	s_cselect_b64 s[0:1], -1, 0
	s_lshl_b32 s18, s6, 8
	s_sub_i32 s2, s7, s18
	v_cmp_gt_u32_e64 s[2:3], s2, v0
	s_or_b64 s[0:1], s[0:1], s[2:3]
	s_and_saveexec_b64 s[8:9], s[0:1]
	s_cbranch_execz .LBB1781_24
; %bb.1:
	s_load_dwordx8 s[8:15], s[4:5], 0x0
	s_mov_b32 s19, 0
	s_lshl_b64 s[0:1], s[18:19], 2
	v_lshlrev_b32_e32 v4, 3, v0
	v_lshlrev_b32_e32 v3, 2, v0
	s_waitcnt lgkmcnt(0)
	s_add_u32 s0, s8, s0
	s_addc_u32 s1, s9, s1
	s_lshl_b64 s[20:21], s[18:19], 3
	s_add_u32 s12, s12, s20
	s_addc_u32 s13, s13, s21
	global_load_dwordx2 v[1:2], v4, s[12:13]
	global_load_dword v5, v3, s[0:1]
	s_load_dword s13, s[4:5], 0x24
	v_add_u32_e32 v3, s18, v0
	s_waitcnt lgkmcnt(0)
	s_lshr_b32 s0, s13, 8
	s_sub_i32 s1, 0, s0
	s_and_b32 s1, s6, s1
	s_and_b32 s0, s1, s0
	s_lshl_b32 s19, s1, 8
	s_sub_i32 s6, 0, s13
	s_cmp_eq_u32 s0, 0
	s_cselect_b64 s[0:1], -1, 0
	s_and_b64 s[4:5], s[0:1], exec
	s_cselect_b32 s6, s13, s6
	s_add_i32 s6, s6, s19
	s_mov_b64 s[4:5], -1
	s_cmp_gt_u32 s7, s6
	s_cbranch_scc1 .LBB1781_9
; %bb.2:
	s_and_b64 vcc, exec, s[16:17]
	s_cbranch_vccz .LBB1781_6
; %bb.3:
	v_cmp_gt_u32_e32 vcc, s7, v3
	s_and_saveexec_b64 s[4:5], vcc
	s_cbranch_execz .LBB1781_5
; %bb.4:
	v_mov_b32_e32 v4, 0
	v_lshlrev_b64 v[6:7], 2, v[3:4]
	v_mov_b32_e32 v0, s11
	v_add_co_u32_e32 v6, vcc, s10, v6
	v_lshlrev_b64 v[8:9], 3, v[3:4]
	v_addc_co_u32_e32 v7, vcc, v0, v7, vcc
	v_mov_b32_e32 v0, s15
	v_add_co_u32_e32 v8, vcc, s14, v8
	v_addc_co_u32_e32 v9, vcc, v0, v9, vcc
	s_waitcnt vmcnt(0)
	global_store_dword v[6:7], v5, off
	global_store_dwordx2 v[8:9], v[1:2], off
.LBB1781_5:
	s_or_b64 exec, exec, s[4:5]
	s_mov_b64 s[4:5], 0
.LBB1781_6:
	s_andn2_b64 vcc, exec, s[4:5]
	s_cbranch_vccnz .LBB1781_8
; %bb.7:
	v_mov_b32_e32 v4, 0
	v_lshlrev_b64 v[6:7], 2, v[3:4]
	v_mov_b32_e32 v0, s11
	v_add_co_u32_e32 v6, vcc, s10, v6
	v_lshlrev_b64 v[8:9], 3, v[3:4]
	v_addc_co_u32_e32 v7, vcc, v0, v7, vcc
	v_mov_b32_e32 v0, s15
	v_add_co_u32_e32 v8, vcc, s14, v8
	v_addc_co_u32_e32 v9, vcc, v0, v9, vcc
	s_waitcnt vmcnt(0)
	global_store_dword v[6:7], v5, off
	global_store_dwordx2 v[8:9], v[1:2], off
.LBB1781_8:
	s_mov_b64 s[4:5], 0
.LBB1781_9:
	s_andn2_b64 vcc, exec, s[4:5]
	s_cbranch_vccnz .LBB1781_24
; %bb.10:
	s_min_u32 s12, s6, s7
	s_add_i32 s4, s12, s13
	s_min_u32 s7, s4, s7
	s_min_u32 s4, s19, s12
	s_add_i32 s19, s19, s12
	v_subrev_u32_e32 v0, s19, v3
	s_waitcnt vmcnt(0)
	v_add_f32_e32 v3, 0, v5
	v_ashrrev_i32_e32 v4, 31, v3
	v_or_b32_e32 v4, 0x80000000, v4
	v_add_u32_e32 v0, s4, v0
	v_xor_b32_e32 v6, v4, v3
	s_mov_b64 s[4:5], -1
	s_and_b64 vcc, exec, s[16:17]
	s_cbranch_vccz .LBB1781_18
; %bb.11:
	s_and_saveexec_b64 s[4:5], s[2:3]
	s_cbranch_execz .LBB1781_17
; %bb.12:
	s_cmp_ge_u32 s6, s7
	v_mov_b32_e32 v7, s12
	s_cbranch_scc1 .LBB1781_16
; %bb.13:
	s_mov_b64 s[2:3], 0
	v_mov_b32_e32 v8, s7
	v_mov_b32_e32 v7, s12
	;; [unrolled: 1-line block ×4, first 2 shown]
.LBB1781_14:                            ; =>This Inner Loop Header: Depth=1
	v_add_u32_e32 v3, v7, v8
	v_lshrrev_b32_e32 v3, 1, v3
	v_lshlrev_b64 v[10:11], 2, v[3:4]
	v_add_co_u32_e32 v10, vcc, s8, v10
	v_addc_co_u32_e32 v11, vcc, v9, v11, vcc
	global_load_dword v10, v[10:11], off
	v_add_u32_e32 v11, 1, v3
	s_waitcnt vmcnt(0)
	v_add_f32_e32 v10, 0, v10
	v_ashrrev_i32_e32 v12, 31, v10
	v_or_b32_e32 v12, 0x80000000, v12
	v_xor_b32_e32 v10, v12, v10
	v_cmp_gt_u32_e32 vcc, v6, v10
	v_cndmask_b32_e64 v12, 0, 1, vcc
	v_cmp_le_u32_e32 vcc, v10, v6
	v_cndmask_b32_e64 v10, 0, 1, vcc
	v_cndmask_b32_e64 v10, v10, v12, s[0:1]
	v_and_b32_e32 v10, 1, v10
	v_cmp_eq_u32_e32 vcc, 1, v10
	v_cndmask_b32_e32 v8, v3, v8, vcc
	v_cndmask_b32_e32 v7, v7, v11, vcc
	v_cmp_ge_u32_e32 vcc, v7, v8
	s_or_b64 s[2:3], vcc, s[2:3]
	s_andn2_b64 exec, exec, s[2:3]
	s_cbranch_execnz .LBB1781_14
; %bb.15:
	s_or_b64 exec, exec, s[2:3]
.LBB1781_16:
	v_add_u32_e32 v3, v7, v0
	v_mov_b32_e32 v4, 0
	v_lshlrev_b64 v[7:8], 2, v[3:4]
	v_mov_b32_e32 v9, s11
	v_add_co_u32_e32 v7, vcc, s10, v7
	v_lshlrev_b64 v[3:4], 3, v[3:4]
	v_addc_co_u32_e32 v8, vcc, v9, v8, vcc
	global_store_dword v[7:8], v5, off
	v_mov_b32_e32 v7, s15
	v_add_co_u32_e32 v3, vcc, s14, v3
	v_addc_co_u32_e32 v4, vcc, v7, v4, vcc
	global_store_dwordx2 v[3:4], v[1:2], off
.LBB1781_17:
	s_or_b64 exec, exec, s[4:5]
	s_mov_b64 s[4:5], 0
.LBB1781_18:
	s_andn2_b64 vcc, exec, s[4:5]
	s_cbranch_vccnz .LBB1781_24
; %bb.19:
	s_cmp_ge_u32 s6, s7
	v_mov_b32_e32 v7, s12
	s_cbranch_scc1 .LBB1781_23
; %bb.20:
	s_mov_b64 s[2:3], 0
	v_mov_b32_e32 v8, s7
	v_mov_b32_e32 v7, s12
	;; [unrolled: 1-line block ×4, first 2 shown]
.LBB1781_21:                            ; =>This Inner Loop Header: Depth=1
	v_add_u32_e32 v3, v7, v8
	v_lshrrev_b32_e32 v3, 1, v3
	v_lshlrev_b64 v[10:11], 2, v[3:4]
	v_add_co_u32_e32 v10, vcc, s8, v10
	v_addc_co_u32_e32 v11, vcc, v9, v11, vcc
	global_load_dword v10, v[10:11], off
	v_add_u32_e32 v11, 1, v3
	s_waitcnt vmcnt(0)
	v_add_f32_e32 v10, 0, v10
	v_ashrrev_i32_e32 v12, 31, v10
	v_or_b32_e32 v12, 0x80000000, v12
	v_xor_b32_e32 v10, v12, v10
	v_cmp_gt_u32_e32 vcc, v6, v10
	v_cndmask_b32_e64 v12, 0, 1, vcc
	v_cmp_le_u32_e32 vcc, v10, v6
	v_cndmask_b32_e64 v10, 0, 1, vcc
	v_cndmask_b32_e64 v10, v10, v12, s[0:1]
	v_and_b32_e32 v10, 1, v10
	v_cmp_eq_u32_e32 vcc, 1, v10
	v_cndmask_b32_e32 v8, v3, v8, vcc
	v_cndmask_b32_e32 v7, v7, v11, vcc
	v_cmp_ge_u32_e32 vcc, v7, v8
	s_or_b64 s[2:3], vcc, s[2:3]
	s_andn2_b64 exec, exec, s[2:3]
	s_cbranch_execnz .LBB1781_21
; %bb.22:
	s_or_b64 exec, exec, s[2:3]
.LBB1781_23:
	v_add_u32_e32 v3, v7, v0
	v_mov_b32_e32 v4, 0
	v_lshlrev_b64 v[6:7], 2, v[3:4]
	v_mov_b32_e32 v0, s11
	v_add_co_u32_e32 v6, vcc, s10, v6
	v_lshlrev_b64 v[3:4], 3, v[3:4]
	v_addc_co_u32_e32 v7, vcc, v0, v7, vcc
	v_mov_b32_e32 v0, s15
	v_add_co_u32_e32 v3, vcc, s14, v3
	v_addc_co_u32_e32 v4, vcc, v0, v4, vcc
	global_store_dword v[6:7], v5, off
	global_store_dwordx2 v[3:4], v[1:2], off
.LBB1781_24:
	s_endpgm
	.section	.rodata,"a",@progbits
	.p2align	6, 0x0
	.amdhsa_kernel _ZN7rocprim17ROCPRIM_400000_NS6detail17trampoline_kernelINS0_14default_configENS1_38merge_sort_block_merge_config_selectorIflEEZZNS1_27merge_sort_block_merge_implIS3_PfN6thrust23THRUST_200600_302600_NS10device_ptrIlEEjNS1_19radix_merge_compareILb0ELb0EfNS0_19identity_decomposerEEEEE10hipError_tT0_T1_T2_jT3_P12ihipStream_tbPNSt15iterator_traitsISG_E10value_typeEPNSM_ISH_E10value_typeEPSI_NS1_7vsmem_tEENKUlT_SG_SH_SI_E_clIS7_S7_PlSB_EESF_SV_SG_SH_SI_EUlSV_E1_NS1_11comp_targetILNS1_3genE2ELNS1_11target_archE906ELNS1_3gpuE6ELNS1_3repE0EEENS1_36merge_oddeven_config_static_selectorELNS0_4arch9wavefront6targetE1EEEvSH_
		.amdhsa_group_segment_fixed_size 0
		.amdhsa_private_segment_fixed_size 0
		.amdhsa_kernarg_size 48
		.amdhsa_user_sgpr_count 6
		.amdhsa_user_sgpr_private_segment_buffer 1
		.amdhsa_user_sgpr_dispatch_ptr 0
		.amdhsa_user_sgpr_queue_ptr 0
		.amdhsa_user_sgpr_kernarg_segment_ptr 1
		.amdhsa_user_sgpr_dispatch_id 0
		.amdhsa_user_sgpr_flat_scratch_init 0
		.amdhsa_user_sgpr_private_segment_size 0
		.amdhsa_uses_dynamic_stack 0
		.amdhsa_system_sgpr_private_segment_wavefront_offset 0
		.amdhsa_system_sgpr_workgroup_id_x 1
		.amdhsa_system_sgpr_workgroup_id_y 0
		.amdhsa_system_sgpr_workgroup_id_z 0
		.amdhsa_system_sgpr_workgroup_info 0
		.amdhsa_system_vgpr_workitem_id 0
		.amdhsa_next_free_vgpr 13
		.amdhsa_next_free_sgpr 22
		.amdhsa_reserve_vcc 1
		.amdhsa_reserve_flat_scratch 0
		.amdhsa_float_round_mode_32 0
		.amdhsa_float_round_mode_16_64 0
		.amdhsa_float_denorm_mode_32 3
		.amdhsa_float_denorm_mode_16_64 3
		.amdhsa_dx10_clamp 1
		.amdhsa_ieee_mode 1
		.amdhsa_fp16_overflow 0
		.amdhsa_exception_fp_ieee_invalid_op 0
		.amdhsa_exception_fp_denorm_src 0
		.amdhsa_exception_fp_ieee_div_zero 0
		.amdhsa_exception_fp_ieee_overflow 0
		.amdhsa_exception_fp_ieee_underflow 0
		.amdhsa_exception_fp_ieee_inexact 0
		.amdhsa_exception_int_div_zero 0
	.end_amdhsa_kernel
	.section	.text._ZN7rocprim17ROCPRIM_400000_NS6detail17trampoline_kernelINS0_14default_configENS1_38merge_sort_block_merge_config_selectorIflEEZZNS1_27merge_sort_block_merge_implIS3_PfN6thrust23THRUST_200600_302600_NS10device_ptrIlEEjNS1_19radix_merge_compareILb0ELb0EfNS0_19identity_decomposerEEEEE10hipError_tT0_T1_T2_jT3_P12ihipStream_tbPNSt15iterator_traitsISG_E10value_typeEPNSM_ISH_E10value_typeEPSI_NS1_7vsmem_tEENKUlT_SG_SH_SI_E_clIS7_S7_PlSB_EESF_SV_SG_SH_SI_EUlSV_E1_NS1_11comp_targetILNS1_3genE2ELNS1_11target_archE906ELNS1_3gpuE6ELNS1_3repE0EEENS1_36merge_oddeven_config_static_selectorELNS0_4arch9wavefront6targetE1EEEvSH_,"axG",@progbits,_ZN7rocprim17ROCPRIM_400000_NS6detail17trampoline_kernelINS0_14default_configENS1_38merge_sort_block_merge_config_selectorIflEEZZNS1_27merge_sort_block_merge_implIS3_PfN6thrust23THRUST_200600_302600_NS10device_ptrIlEEjNS1_19radix_merge_compareILb0ELb0EfNS0_19identity_decomposerEEEEE10hipError_tT0_T1_T2_jT3_P12ihipStream_tbPNSt15iterator_traitsISG_E10value_typeEPNSM_ISH_E10value_typeEPSI_NS1_7vsmem_tEENKUlT_SG_SH_SI_E_clIS7_S7_PlSB_EESF_SV_SG_SH_SI_EUlSV_E1_NS1_11comp_targetILNS1_3genE2ELNS1_11target_archE906ELNS1_3gpuE6ELNS1_3repE0EEENS1_36merge_oddeven_config_static_selectorELNS0_4arch9wavefront6targetE1EEEvSH_,comdat
.Lfunc_end1781:
	.size	_ZN7rocprim17ROCPRIM_400000_NS6detail17trampoline_kernelINS0_14default_configENS1_38merge_sort_block_merge_config_selectorIflEEZZNS1_27merge_sort_block_merge_implIS3_PfN6thrust23THRUST_200600_302600_NS10device_ptrIlEEjNS1_19radix_merge_compareILb0ELb0EfNS0_19identity_decomposerEEEEE10hipError_tT0_T1_T2_jT3_P12ihipStream_tbPNSt15iterator_traitsISG_E10value_typeEPNSM_ISH_E10value_typeEPSI_NS1_7vsmem_tEENKUlT_SG_SH_SI_E_clIS7_S7_PlSB_EESF_SV_SG_SH_SI_EUlSV_E1_NS1_11comp_targetILNS1_3genE2ELNS1_11target_archE906ELNS1_3gpuE6ELNS1_3repE0EEENS1_36merge_oddeven_config_static_selectorELNS0_4arch9wavefront6targetE1EEEvSH_, .Lfunc_end1781-_ZN7rocprim17ROCPRIM_400000_NS6detail17trampoline_kernelINS0_14default_configENS1_38merge_sort_block_merge_config_selectorIflEEZZNS1_27merge_sort_block_merge_implIS3_PfN6thrust23THRUST_200600_302600_NS10device_ptrIlEEjNS1_19radix_merge_compareILb0ELb0EfNS0_19identity_decomposerEEEEE10hipError_tT0_T1_T2_jT3_P12ihipStream_tbPNSt15iterator_traitsISG_E10value_typeEPNSM_ISH_E10value_typeEPSI_NS1_7vsmem_tEENKUlT_SG_SH_SI_E_clIS7_S7_PlSB_EESF_SV_SG_SH_SI_EUlSV_E1_NS1_11comp_targetILNS1_3genE2ELNS1_11target_archE906ELNS1_3gpuE6ELNS1_3repE0EEENS1_36merge_oddeven_config_static_selectorELNS0_4arch9wavefront6targetE1EEEvSH_
                                        ; -- End function
	.set _ZN7rocprim17ROCPRIM_400000_NS6detail17trampoline_kernelINS0_14default_configENS1_38merge_sort_block_merge_config_selectorIflEEZZNS1_27merge_sort_block_merge_implIS3_PfN6thrust23THRUST_200600_302600_NS10device_ptrIlEEjNS1_19radix_merge_compareILb0ELb0EfNS0_19identity_decomposerEEEEE10hipError_tT0_T1_T2_jT3_P12ihipStream_tbPNSt15iterator_traitsISG_E10value_typeEPNSM_ISH_E10value_typeEPSI_NS1_7vsmem_tEENKUlT_SG_SH_SI_E_clIS7_S7_PlSB_EESF_SV_SG_SH_SI_EUlSV_E1_NS1_11comp_targetILNS1_3genE2ELNS1_11target_archE906ELNS1_3gpuE6ELNS1_3repE0EEENS1_36merge_oddeven_config_static_selectorELNS0_4arch9wavefront6targetE1EEEvSH_.num_vgpr, 13
	.set _ZN7rocprim17ROCPRIM_400000_NS6detail17trampoline_kernelINS0_14default_configENS1_38merge_sort_block_merge_config_selectorIflEEZZNS1_27merge_sort_block_merge_implIS3_PfN6thrust23THRUST_200600_302600_NS10device_ptrIlEEjNS1_19radix_merge_compareILb0ELb0EfNS0_19identity_decomposerEEEEE10hipError_tT0_T1_T2_jT3_P12ihipStream_tbPNSt15iterator_traitsISG_E10value_typeEPNSM_ISH_E10value_typeEPSI_NS1_7vsmem_tEENKUlT_SG_SH_SI_E_clIS7_S7_PlSB_EESF_SV_SG_SH_SI_EUlSV_E1_NS1_11comp_targetILNS1_3genE2ELNS1_11target_archE906ELNS1_3gpuE6ELNS1_3repE0EEENS1_36merge_oddeven_config_static_selectorELNS0_4arch9wavefront6targetE1EEEvSH_.num_agpr, 0
	.set _ZN7rocprim17ROCPRIM_400000_NS6detail17trampoline_kernelINS0_14default_configENS1_38merge_sort_block_merge_config_selectorIflEEZZNS1_27merge_sort_block_merge_implIS3_PfN6thrust23THRUST_200600_302600_NS10device_ptrIlEEjNS1_19radix_merge_compareILb0ELb0EfNS0_19identity_decomposerEEEEE10hipError_tT0_T1_T2_jT3_P12ihipStream_tbPNSt15iterator_traitsISG_E10value_typeEPNSM_ISH_E10value_typeEPSI_NS1_7vsmem_tEENKUlT_SG_SH_SI_E_clIS7_S7_PlSB_EESF_SV_SG_SH_SI_EUlSV_E1_NS1_11comp_targetILNS1_3genE2ELNS1_11target_archE906ELNS1_3gpuE6ELNS1_3repE0EEENS1_36merge_oddeven_config_static_selectorELNS0_4arch9wavefront6targetE1EEEvSH_.numbered_sgpr, 22
	.set _ZN7rocprim17ROCPRIM_400000_NS6detail17trampoline_kernelINS0_14default_configENS1_38merge_sort_block_merge_config_selectorIflEEZZNS1_27merge_sort_block_merge_implIS3_PfN6thrust23THRUST_200600_302600_NS10device_ptrIlEEjNS1_19radix_merge_compareILb0ELb0EfNS0_19identity_decomposerEEEEE10hipError_tT0_T1_T2_jT3_P12ihipStream_tbPNSt15iterator_traitsISG_E10value_typeEPNSM_ISH_E10value_typeEPSI_NS1_7vsmem_tEENKUlT_SG_SH_SI_E_clIS7_S7_PlSB_EESF_SV_SG_SH_SI_EUlSV_E1_NS1_11comp_targetILNS1_3genE2ELNS1_11target_archE906ELNS1_3gpuE6ELNS1_3repE0EEENS1_36merge_oddeven_config_static_selectorELNS0_4arch9wavefront6targetE1EEEvSH_.num_named_barrier, 0
	.set _ZN7rocprim17ROCPRIM_400000_NS6detail17trampoline_kernelINS0_14default_configENS1_38merge_sort_block_merge_config_selectorIflEEZZNS1_27merge_sort_block_merge_implIS3_PfN6thrust23THRUST_200600_302600_NS10device_ptrIlEEjNS1_19radix_merge_compareILb0ELb0EfNS0_19identity_decomposerEEEEE10hipError_tT0_T1_T2_jT3_P12ihipStream_tbPNSt15iterator_traitsISG_E10value_typeEPNSM_ISH_E10value_typeEPSI_NS1_7vsmem_tEENKUlT_SG_SH_SI_E_clIS7_S7_PlSB_EESF_SV_SG_SH_SI_EUlSV_E1_NS1_11comp_targetILNS1_3genE2ELNS1_11target_archE906ELNS1_3gpuE6ELNS1_3repE0EEENS1_36merge_oddeven_config_static_selectorELNS0_4arch9wavefront6targetE1EEEvSH_.private_seg_size, 0
	.set _ZN7rocprim17ROCPRIM_400000_NS6detail17trampoline_kernelINS0_14default_configENS1_38merge_sort_block_merge_config_selectorIflEEZZNS1_27merge_sort_block_merge_implIS3_PfN6thrust23THRUST_200600_302600_NS10device_ptrIlEEjNS1_19radix_merge_compareILb0ELb0EfNS0_19identity_decomposerEEEEE10hipError_tT0_T1_T2_jT3_P12ihipStream_tbPNSt15iterator_traitsISG_E10value_typeEPNSM_ISH_E10value_typeEPSI_NS1_7vsmem_tEENKUlT_SG_SH_SI_E_clIS7_S7_PlSB_EESF_SV_SG_SH_SI_EUlSV_E1_NS1_11comp_targetILNS1_3genE2ELNS1_11target_archE906ELNS1_3gpuE6ELNS1_3repE0EEENS1_36merge_oddeven_config_static_selectorELNS0_4arch9wavefront6targetE1EEEvSH_.uses_vcc, 1
	.set _ZN7rocprim17ROCPRIM_400000_NS6detail17trampoline_kernelINS0_14default_configENS1_38merge_sort_block_merge_config_selectorIflEEZZNS1_27merge_sort_block_merge_implIS3_PfN6thrust23THRUST_200600_302600_NS10device_ptrIlEEjNS1_19radix_merge_compareILb0ELb0EfNS0_19identity_decomposerEEEEE10hipError_tT0_T1_T2_jT3_P12ihipStream_tbPNSt15iterator_traitsISG_E10value_typeEPNSM_ISH_E10value_typeEPSI_NS1_7vsmem_tEENKUlT_SG_SH_SI_E_clIS7_S7_PlSB_EESF_SV_SG_SH_SI_EUlSV_E1_NS1_11comp_targetILNS1_3genE2ELNS1_11target_archE906ELNS1_3gpuE6ELNS1_3repE0EEENS1_36merge_oddeven_config_static_selectorELNS0_4arch9wavefront6targetE1EEEvSH_.uses_flat_scratch, 0
	.set _ZN7rocprim17ROCPRIM_400000_NS6detail17trampoline_kernelINS0_14default_configENS1_38merge_sort_block_merge_config_selectorIflEEZZNS1_27merge_sort_block_merge_implIS3_PfN6thrust23THRUST_200600_302600_NS10device_ptrIlEEjNS1_19radix_merge_compareILb0ELb0EfNS0_19identity_decomposerEEEEE10hipError_tT0_T1_T2_jT3_P12ihipStream_tbPNSt15iterator_traitsISG_E10value_typeEPNSM_ISH_E10value_typeEPSI_NS1_7vsmem_tEENKUlT_SG_SH_SI_E_clIS7_S7_PlSB_EESF_SV_SG_SH_SI_EUlSV_E1_NS1_11comp_targetILNS1_3genE2ELNS1_11target_archE906ELNS1_3gpuE6ELNS1_3repE0EEENS1_36merge_oddeven_config_static_selectorELNS0_4arch9wavefront6targetE1EEEvSH_.has_dyn_sized_stack, 0
	.set _ZN7rocprim17ROCPRIM_400000_NS6detail17trampoline_kernelINS0_14default_configENS1_38merge_sort_block_merge_config_selectorIflEEZZNS1_27merge_sort_block_merge_implIS3_PfN6thrust23THRUST_200600_302600_NS10device_ptrIlEEjNS1_19radix_merge_compareILb0ELb0EfNS0_19identity_decomposerEEEEE10hipError_tT0_T1_T2_jT3_P12ihipStream_tbPNSt15iterator_traitsISG_E10value_typeEPNSM_ISH_E10value_typeEPSI_NS1_7vsmem_tEENKUlT_SG_SH_SI_E_clIS7_S7_PlSB_EESF_SV_SG_SH_SI_EUlSV_E1_NS1_11comp_targetILNS1_3genE2ELNS1_11target_archE906ELNS1_3gpuE6ELNS1_3repE0EEENS1_36merge_oddeven_config_static_selectorELNS0_4arch9wavefront6targetE1EEEvSH_.has_recursion, 0
	.set _ZN7rocprim17ROCPRIM_400000_NS6detail17trampoline_kernelINS0_14default_configENS1_38merge_sort_block_merge_config_selectorIflEEZZNS1_27merge_sort_block_merge_implIS3_PfN6thrust23THRUST_200600_302600_NS10device_ptrIlEEjNS1_19radix_merge_compareILb0ELb0EfNS0_19identity_decomposerEEEEE10hipError_tT0_T1_T2_jT3_P12ihipStream_tbPNSt15iterator_traitsISG_E10value_typeEPNSM_ISH_E10value_typeEPSI_NS1_7vsmem_tEENKUlT_SG_SH_SI_E_clIS7_S7_PlSB_EESF_SV_SG_SH_SI_EUlSV_E1_NS1_11comp_targetILNS1_3genE2ELNS1_11target_archE906ELNS1_3gpuE6ELNS1_3repE0EEENS1_36merge_oddeven_config_static_selectorELNS0_4arch9wavefront6targetE1EEEvSH_.has_indirect_call, 0
	.section	.AMDGPU.csdata,"",@progbits
; Kernel info:
; codeLenInByte = 912
; TotalNumSgprs: 26
; NumVgprs: 13
; ScratchSize: 0
; MemoryBound: 0
; FloatMode: 240
; IeeeMode: 1
; LDSByteSize: 0 bytes/workgroup (compile time only)
; SGPRBlocks: 3
; VGPRBlocks: 3
; NumSGPRsForWavesPerEU: 26
; NumVGPRsForWavesPerEU: 13
; Occupancy: 10
; WaveLimiterHint : 0
; COMPUTE_PGM_RSRC2:SCRATCH_EN: 0
; COMPUTE_PGM_RSRC2:USER_SGPR: 6
; COMPUTE_PGM_RSRC2:TRAP_HANDLER: 0
; COMPUTE_PGM_RSRC2:TGID_X_EN: 1
; COMPUTE_PGM_RSRC2:TGID_Y_EN: 0
; COMPUTE_PGM_RSRC2:TGID_Z_EN: 0
; COMPUTE_PGM_RSRC2:TIDIG_COMP_CNT: 0
	.section	.text._ZN7rocprim17ROCPRIM_400000_NS6detail17trampoline_kernelINS0_14default_configENS1_38merge_sort_block_merge_config_selectorIflEEZZNS1_27merge_sort_block_merge_implIS3_PfN6thrust23THRUST_200600_302600_NS10device_ptrIlEEjNS1_19radix_merge_compareILb0ELb0EfNS0_19identity_decomposerEEEEE10hipError_tT0_T1_T2_jT3_P12ihipStream_tbPNSt15iterator_traitsISG_E10value_typeEPNSM_ISH_E10value_typeEPSI_NS1_7vsmem_tEENKUlT_SG_SH_SI_E_clIS7_S7_PlSB_EESF_SV_SG_SH_SI_EUlSV_E1_NS1_11comp_targetILNS1_3genE9ELNS1_11target_archE1100ELNS1_3gpuE3ELNS1_3repE0EEENS1_36merge_oddeven_config_static_selectorELNS0_4arch9wavefront6targetE1EEEvSH_,"axG",@progbits,_ZN7rocprim17ROCPRIM_400000_NS6detail17trampoline_kernelINS0_14default_configENS1_38merge_sort_block_merge_config_selectorIflEEZZNS1_27merge_sort_block_merge_implIS3_PfN6thrust23THRUST_200600_302600_NS10device_ptrIlEEjNS1_19radix_merge_compareILb0ELb0EfNS0_19identity_decomposerEEEEE10hipError_tT0_T1_T2_jT3_P12ihipStream_tbPNSt15iterator_traitsISG_E10value_typeEPNSM_ISH_E10value_typeEPSI_NS1_7vsmem_tEENKUlT_SG_SH_SI_E_clIS7_S7_PlSB_EESF_SV_SG_SH_SI_EUlSV_E1_NS1_11comp_targetILNS1_3genE9ELNS1_11target_archE1100ELNS1_3gpuE3ELNS1_3repE0EEENS1_36merge_oddeven_config_static_selectorELNS0_4arch9wavefront6targetE1EEEvSH_,comdat
	.protected	_ZN7rocprim17ROCPRIM_400000_NS6detail17trampoline_kernelINS0_14default_configENS1_38merge_sort_block_merge_config_selectorIflEEZZNS1_27merge_sort_block_merge_implIS3_PfN6thrust23THRUST_200600_302600_NS10device_ptrIlEEjNS1_19radix_merge_compareILb0ELb0EfNS0_19identity_decomposerEEEEE10hipError_tT0_T1_T2_jT3_P12ihipStream_tbPNSt15iterator_traitsISG_E10value_typeEPNSM_ISH_E10value_typeEPSI_NS1_7vsmem_tEENKUlT_SG_SH_SI_E_clIS7_S7_PlSB_EESF_SV_SG_SH_SI_EUlSV_E1_NS1_11comp_targetILNS1_3genE9ELNS1_11target_archE1100ELNS1_3gpuE3ELNS1_3repE0EEENS1_36merge_oddeven_config_static_selectorELNS0_4arch9wavefront6targetE1EEEvSH_ ; -- Begin function _ZN7rocprim17ROCPRIM_400000_NS6detail17trampoline_kernelINS0_14default_configENS1_38merge_sort_block_merge_config_selectorIflEEZZNS1_27merge_sort_block_merge_implIS3_PfN6thrust23THRUST_200600_302600_NS10device_ptrIlEEjNS1_19radix_merge_compareILb0ELb0EfNS0_19identity_decomposerEEEEE10hipError_tT0_T1_T2_jT3_P12ihipStream_tbPNSt15iterator_traitsISG_E10value_typeEPNSM_ISH_E10value_typeEPSI_NS1_7vsmem_tEENKUlT_SG_SH_SI_E_clIS7_S7_PlSB_EESF_SV_SG_SH_SI_EUlSV_E1_NS1_11comp_targetILNS1_3genE9ELNS1_11target_archE1100ELNS1_3gpuE3ELNS1_3repE0EEENS1_36merge_oddeven_config_static_selectorELNS0_4arch9wavefront6targetE1EEEvSH_
	.globl	_ZN7rocprim17ROCPRIM_400000_NS6detail17trampoline_kernelINS0_14default_configENS1_38merge_sort_block_merge_config_selectorIflEEZZNS1_27merge_sort_block_merge_implIS3_PfN6thrust23THRUST_200600_302600_NS10device_ptrIlEEjNS1_19radix_merge_compareILb0ELb0EfNS0_19identity_decomposerEEEEE10hipError_tT0_T1_T2_jT3_P12ihipStream_tbPNSt15iterator_traitsISG_E10value_typeEPNSM_ISH_E10value_typeEPSI_NS1_7vsmem_tEENKUlT_SG_SH_SI_E_clIS7_S7_PlSB_EESF_SV_SG_SH_SI_EUlSV_E1_NS1_11comp_targetILNS1_3genE9ELNS1_11target_archE1100ELNS1_3gpuE3ELNS1_3repE0EEENS1_36merge_oddeven_config_static_selectorELNS0_4arch9wavefront6targetE1EEEvSH_
	.p2align	8
	.type	_ZN7rocprim17ROCPRIM_400000_NS6detail17trampoline_kernelINS0_14default_configENS1_38merge_sort_block_merge_config_selectorIflEEZZNS1_27merge_sort_block_merge_implIS3_PfN6thrust23THRUST_200600_302600_NS10device_ptrIlEEjNS1_19radix_merge_compareILb0ELb0EfNS0_19identity_decomposerEEEEE10hipError_tT0_T1_T2_jT3_P12ihipStream_tbPNSt15iterator_traitsISG_E10value_typeEPNSM_ISH_E10value_typeEPSI_NS1_7vsmem_tEENKUlT_SG_SH_SI_E_clIS7_S7_PlSB_EESF_SV_SG_SH_SI_EUlSV_E1_NS1_11comp_targetILNS1_3genE9ELNS1_11target_archE1100ELNS1_3gpuE3ELNS1_3repE0EEENS1_36merge_oddeven_config_static_selectorELNS0_4arch9wavefront6targetE1EEEvSH_,@function
_ZN7rocprim17ROCPRIM_400000_NS6detail17trampoline_kernelINS0_14default_configENS1_38merge_sort_block_merge_config_selectorIflEEZZNS1_27merge_sort_block_merge_implIS3_PfN6thrust23THRUST_200600_302600_NS10device_ptrIlEEjNS1_19radix_merge_compareILb0ELb0EfNS0_19identity_decomposerEEEEE10hipError_tT0_T1_T2_jT3_P12ihipStream_tbPNSt15iterator_traitsISG_E10value_typeEPNSM_ISH_E10value_typeEPSI_NS1_7vsmem_tEENKUlT_SG_SH_SI_E_clIS7_S7_PlSB_EESF_SV_SG_SH_SI_EUlSV_E1_NS1_11comp_targetILNS1_3genE9ELNS1_11target_archE1100ELNS1_3gpuE3ELNS1_3repE0EEENS1_36merge_oddeven_config_static_selectorELNS0_4arch9wavefront6targetE1EEEvSH_: ; @_ZN7rocprim17ROCPRIM_400000_NS6detail17trampoline_kernelINS0_14default_configENS1_38merge_sort_block_merge_config_selectorIflEEZZNS1_27merge_sort_block_merge_implIS3_PfN6thrust23THRUST_200600_302600_NS10device_ptrIlEEjNS1_19radix_merge_compareILb0ELb0EfNS0_19identity_decomposerEEEEE10hipError_tT0_T1_T2_jT3_P12ihipStream_tbPNSt15iterator_traitsISG_E10value_typeEPNSM_ISH_E10value_typeEPSI_NS1_7vsmem_tEENKUlT_SG_SH_SI_E_clIS7_S7_PlSB_EESF_SV_SG_SH_SI_EUlSV_E1_NS1_11comp_targetILNS1_3genE9ELNS1_11target_archE1100ELNS1_3gpuE3ELNS1_3repE0EEENS1_36merge_oddeven_config_static_selectorELNS0_4arch9wavefront6targetE1EEEvSH_
; %bb.0:
	.section	.rodata,"a",@progbits
	.p2align	6, 0x0
	.amdhsa_kernel _ZN7rocprim17ROCPRIM_400000_NS6detail17trampoline_kernelINS0_14default_configENS1_38merge_sort_block_merge_config_selectorIflEEZZNS1_27merge_sort_block_merge_implIS3_PfN6thrust23THRUST_200600_302600_NS10device_ptrIlEEjNS1_19radix_merge_compareILb0ELb0EfNS0_19identity_decomposerEEEEE10hipError_tT0_T1_T2_jT3_P12ihipStream_tbPNSt15iterator_traitsISG_E10value_typeEPNSM_ISH_E10value_typeEPSI_NS1_7vsmem_tEENKUlT_SG_SH_SI_E_clIS7_S7_PlSB_EESF_SV_SG_SH_SI_EUlSV_E1_NS1_11comp_targetILNS1_3genE9ELNS1_11target_archE1100ELNS1_3gpuE3ELNS1_3repE0EEENS1_36merge_oddeven_config_static_selectorELNS0_4arch9wavefront6targetE1EEEvSH_
		.amdhsa_group_segment_fixed_size 0
		.amdhsa_private_segment_fixed_size 0
		.amdhsa_kernarg_size 48
		.amdhsa_user_sgpr_count 6
		.amdhsa_user_sgpr_private_segment_buffer 1
		.amdhsa_user_sgpr_dispatch_ptr 0
		.amdhsa_user_sgpr_queue_ptr 0
		.amdhsa_user_sgpr_kernarg_segment_ptr 1
		.amdhsa_user_sgpr_dispatch_id 0
		.amdhsa_user_sgpr_flat_scratch_init 0
		.amdhsa_user_sgpr_private_segment_size 0
		.amdhsa_uses_dynamic_stack 0
		.amdhsa_system_sgpr_private_segment_wavefront_offset 0
		.amdhsa_system_sgpr_workgroup_id_x 1
		.amdhsa_system_sgpr_workgroup_id_y 0
		.amdhsa_system_sgpr_workgroup_id_z 0
		.amdhsa_system_sgpr_workgroup_info 0
		.amdhsa_system_vgpr_workitem_id 0
		.amdhsa_next_free_vgpr 1
		.amdhsa_next_free_sgpr 0
		.amdhsa_reserve_vcc 0
		.amdhsa_reserve_flat_scratch 0
		.amdhsa_float_round_mode_32 0
		.amdhsa_float_round_mode_16_64 0
		.amdhsa_float_denorm_mode_32 3
		.amdhsa_float_denorm_mode_16_64 3
		.amdhsa_dx10_clamp 1
		.amdhsa_ieee_mode 1
		.amdhsa_fp16_overflow 0
		.amdhsa_exception_fp_ieee_invalid_op 0
		.amdhsa_exception_fp_denorm_src 0
		.amdhsa_exception_fp_ieee_div_zero 0
		.amdhsa_exception_fp_ieee_overflow 0
		.amdhsa_exception_fp_ieee_underflow 0
		.amdhsa_exception_fp_ieee_inexact 0
		.amdhsa_exception_int_div_zero 0
	.end_amdhsa_kernel
	.section	.text._ZN7rocprim17ROCPRIM_400000_NS6detail17trampoline_kernelINS0_14default_configENS1_38merge_sort_block_merge_config_selectorIflEEZZNS1_27merge_sort_block_merge_implIS3_PfN6thrust23THRUST_200600_302600_NS10device_ptrIlEEjNS1_19radix_merge_compareILb0ELb0EfNS0_19identity_decomposerEEEEE10hipError_tT0_T1_T2_jT3_P12ihipStream_tbPNSt15iterator_traitsISG_E10value_typeEPNSM_ISH_E10value_typeEPSI_NS1_7vsmem_tEENKUlT_SG_SH_SI_E_clIS7_S7_PlSB_EESF_SV_SG_SH_SI_EUlSV_E1_NS1_11comp_targetILNS1_3genE9ELNS1_11target_archE1100ELNS1_3gpuE3ELNS1_3repE0EEENS1_36merge_oddeven_config_static_selectorELNS0_4arch9wavefront6targetE1EEEvSH_,"axG",@progbits,_ZN7rocprim17ROCPRIM_400000_NS6detail17trampoline_kernelINS0_14default_configENS1_38merge_sort_block_merge_config_selectorIflEEZZNS1_27merge_sort_block_merge_implIS3_PfN6thrust23THRUST_200600_302600_NS10device_ptrIlEEjNS1_19radix_merge_compareILb0ELb0EfNS0_19identity_decomposerEEEEE10hipError_tT0_T1_T2_jT3_P12ihipStream_tbPNSt15iterator_traitsISG_E10value_typeEPNSM_ISH_E10value_typeEPSI_NS1_7vsmem_tEENKUlT_SG_SH_SI_E_clIS7_S7_PlSB_EESF_SV_SG_SH_SI_EUlSV_E1_NS1_11comp_targetILNS1_3genE9ELNS1_11target_archE1100ELNS1_3gpuE3ELNS1_3repE0EEENS1_36merge_oddeven_config_static_selectorELNS0_4arch9wavefront6targetE1EEEvSH_,comdat
.Lfunc_end1782:
	.size	_ZN7rocprim17ROCPRIM_400000_NS6detail17trampoline_kernelINS0_14default_configENS1_38merge_sort_block_merge_config_selectorIflEEZZNS1_27merge_sort_block_merge_implIS3_PfN6thrust23THRUST_200600_302600_NS10device_ptrIlEEjNS1_19radix_merge_compareILb0ELb0EfNS0_19identity_decomposerEEEEE10hipError_tT0_T1_T2_jT3_P12ihipStream_tbPNSt15iterator_traitsISG_E10value_typeEPNSM_ISH_E10value_typeEPSI_NS1_7vsmem_tEENKUlT_SG_SH_SI_E_clIS7_S7_PlSB_EESF_SV_SG_SH_SI_EUlSV_E1_NS1_11comp_targetILNS1_3genE9ELNS1_11target_archE1100ELNS1_3gpuE3ELNS1_3repE0EEENS1_36merge_oddeven_config_static_selectorELNS0_4arch9wavefront6targetE1EEEvSH_, .Lfunc_end1782-_ZN7rocprim17ROCPRIM_400000_NS6detail17trampoline_kernelINS0_14default_configENS1_38merge_sort_block_merge_config_selectorIflEEZZNS1_27merge_sort_block_merge_implIS3_PfN6thrust23THRUST_200600_302600_NS10device_ptrIlEEjNS1_19radix_merge_compareILb0ELb0EfNS0_19identity_decomposerEEEEE10hipError_tT0_T1_T2_jT3_P12ihipStream_tbPNSt15iterator_traitsISG_E10value_typeEPNSM_ISH_E10value_typeEPSI_NS1_7vsmem_tEENKUlT_SG_SH_SI_E_clIS7_S7_PlSB_EESF_SV_SG_SH_SI_EUlSV_E1_NS1_11comp_targetILNS1_3genE9ELNS1_11target_archE1100ELNS1_3gpuE3ELNS1_3repE0EEENS1_36merge_oddeven_config_static_selectorELNS0_4arch9wavefront6targetE1EEEvSH_
                                        ; -- End function
	.set _ZN7rocprim17ROCPRIM_400000_NS6detail17trampoline_kernelINS0_14default_configENS1_38merge_sort_block_merge_config_selectorIflEEZZNS1_27merge_sort_block_merge_implIS3_PfN6thrust23THRUST_200600_302600_NS10device_ptrIlEEjNS1_19radix_merge_compareILb0ELb0EfNS0_19identity_decomposerEEEEE10hipError_tT0_T1_T2_jT3_P12ihipStream_tbPNSt15iterator_traitsISG_E10value_typeEPNSM_ISH_E10value_typeEPSI_NS1_7vsmem_tEENKUlT_SG_SH_SI_E_clIS7_S7_PlSB_EESF_SV_SG_SH_SI_EUlSV_E1_NS1_11comp_targetILNS1_3genE9ELNS1_11target_archE1100ELNS1_3gpuE3ELNS1_3repE0EEENS1_36merge_oddeven_config_static_selectorELNS0_4arch9wavefront6targetE1EEEvSH_.num_vgpr, 0
	.set _ZN7rocprim17ROCPRIM_400000_NS6detail17trampoline_kernelINS0_14default_configENS1_38merge_sort_block_merge_config_selectorIflEEZZNS1_27merge_sort_block_merge_implIS3_PfN6thrust23THRUST_200600_302600_NS10device_ptrIlEEjNS1_19radix_merge_compareILb0ELb0EfNS0_19identity_decomposerEEEEE10hipError_tT0_T1_T2_jT3_P12ihipStream_tbPNSt15iterator_traitsISG_E10value_typeEPNSM_ISH_E10value_typeEPSI_NS1_7vsmem_tEENKUlT_SG_SH_SI_E_clIS7_S7_PlSB_EESF_SV_SG_SH_SI_EUlSV_E1_NS1_11comp_targetILNS1_3genE9ELNS1_11target_archE1100ELNS1_3gpuE3ELNS1_3repE0EEENS1_36merge_oddeven_config_static_selectorELNS0_4arch9wavefront6targetE1EEEvSH_.num_agpr, 0
	.set _ZN7rocprim17ROCPRIM_400000_NS6detail17trampoline_kernelINS0_14default_configENS1_38merge_sort_block_merge_config_selectorIflEEZZNS1_27merge_sort_block_merge_implIS3_PfN6thrust23THRUST_200600_302600_NS10device_ptrIlEEjNS1_19radix_merge_compareILb0ELb0EfNS0_19identity_decomposerEEEEE10hipError_tT0_T1_T2_jT3_P12ihipStream_tbPNSt15iterator_traitsISG_E10value_typeEPNSM_ISH_E10value_typeEPSI_NS1_7vsmem_tEENKUlT_SG_SH_SI_E_clIS7_S7_PlSB_EESF_SV_SG_SH_SI_EUlSV_E1_NS1_11comp_targetILNS1_3genE9ELNS1_11target_archE1100ELNS1_3gpuE3ELNS1_3repE0EEENS1_36merge_oddeven_config_static_selectorELNS0_4arch9wavefront6targetE1EEEvSH_.numbered_sgpr, 0
	.set _ZN7rocprim17ROCPRIM_400000_NS6detail17trampoline_kernelINS0_14default_configENS1_38merge_sort_block_merge_config_selectorIflEEZZNS1_27merge_sort_block_merge_implIS3_PfN6thrust23THRUST_200600_302600_NS10device_ptrIlEEjNS1_19radix_merge_compareILb0ELb0EfNS0_19identity_decomposerEEEEE10hipError_tT0_T1_T2_jT3_P12ihipStream_tbPNSt15iterator_traitsISG_E10value_typeEPNSM_ISH_E10value_typeEPSI_NS1_7vsmem_tEENKUlT_SG_SH_SI_E_clIS7_S7_PlSB_EESF_SV_SG_SH_SI_EUlSV_E1_NS1_11comp_targetILNS1_3genE9ELNS1_11target_archE1100ELNS1_3gpuE3ELNS1_3repE0EEENS1_36merge_oddeven_config_static_selectorELNS0_4arch9wavefront6targetE1EEEvSH_.num_named_barrier, 0
	.set _ZN7rocprim17ROCPRIM_400000_NS6detail17trampoline_kernelINS0_14default_configENS1_38merge_sort_block_merge_config_selectorIflEEZZNS1_27merge_sort_block_merge_implIS3_PfN6thrust23THRUST_200600_302600_NS10device_ptrIlEEjNS1_19radix_merge_compareILb0ELb0EfNS0_19identity_decomposerEEEEE10hipError_tT0_T1_T2_jT3_P12ihipStream_tbPNSt15iterator_traitsISG_E10value_typeEPNSM_ISH_E10value_typeEPSI_NS1_7vsmem_tEENKUlT_SG_SH_SI_E_clIS7_S7_PlSB_EESF_SV_SG_SH_SI_EUlSV_E1_NS1_11comp_targetILNS1_3genE9ELNS1_11target_archE1100ELNS1_3gpuE3ELNS1_3repE0EEENS1_36merge_oddeven_config_static_selectorELNS0_4arch9wavefront6targetE1EEEvSH_.private_seg_size, 0
	.set _ZN7rocprim17ROCPRIM_400000_NS6detail17trampoline_kernelINS0_14default_configENS1_38merge_sort_block_merge_config_selectorIflEEZZNS1_27merge_sort_block_merge_implIS3_PfN6thrust23THRUST_200600_302600_NS10device_ptrIlEEjNS1_19radix_merge_compareILb0ELb0EfNS0_19identity_decomposerEEEEE10hipError_tT0_T1_T2_jT3_P12ihipStream_tbPNSt15iterator_traitsISG_E10value_typeEPNSM_ISH_E10value_typeEPSI_NS1_7vsmem_tEENKUlT_SG_SH_SI_E_clIS7_S7_PlSB_EESF_SV_SG_SH_SI_EUlSV_E1_NS1_11comp_targetILNS1_3genE9ELNS1_11target_archE1100ELNS1_3gpuE3ELNS1_3repE0EEENS1_36merge_oddeven_config_static_selectorELNS0_4arch9wavefront6targetE1EEEvSH_.uses_vcc, 0
	.set _ZN7rocprim17ROCPRIM_400000_NS6detail17trampoline_kernelINS0_14default_configENS1_38merge_sort_block_merge_config_selectorIflEEZZNS1_27merge_sort_block_merge_implIS3_PfN6thrust23THRUST_200600_302600_NS10device_ptrIlEEjNS1_19radix_merge_compareILb0ELb0EfNS0_19identity_decomposerEEEEE10hipError_tT0_T1_T2_jT3_P12ihipStream_tbPNSt15iterator_traitsISG_E10value_typeEPNSM_ISH_E10value_typeEPSI_NS1_7vsmem_tEENKUlT_SG_SH_SI_E_clIS7_S7_PlSB_EESF_SV_SG_SH_SI_EUlSV_E1_NS1_11comp_targetILNS1_3genE9ELNS1_11target_archE1100ELNS1_3gpuE3ELNS1_3repE0EEENS1_36merge_oddeven_config_static_selectorELNS0_4arch9wavefront6targetE1EEEvSH_.uses_flat_scratch, 0
	.set _ZN7rocprim17ROCPRIM_400000_NS6detail17trampoline_kernelINS0_14default_configENS1_38merge_sort_block_merge_config_selectorIflEEZZNS1_27merge_sort_block_merge_implIS3_PfN6thrust23THRUST_200600_302600_NS10device_ptrIlEEjNS1_19radix_merge_compareILb0ELb0EfNS0_19identity_decomposerEEEEE10hipError_tT0_T1_T2_jT3_P12ihipStream_tbPNSt15iterator_traitsISG_E10value_typeEPNSM_ISH_E10value_typeEPSI_NS1_7vsmem_tEENKUlT_SG_SH_SI_E_clIS7_S7_PlSB_EESF_SV_SG_SH_SI_EUlSV_E1_NS1_11comp_targetILNS1_3genE9ELNS1_11target_archE1100ELNS1_3gpuE3ELNS1_3repE0EEENS1_36merge_oddeven_config_static_selectorELNS0_4arch9wavefront6targetE1EEEvSH_.has_dyn_sized_stack, 0
	.set _ZN7rocprim17ROCPRIM_400000_NS6detail17trampoline_kernelINS0_14default_configENS1_38merge_sort_block_merge_config_selectorIflEEZZNS1_27merge_sort_block_merge_implIS3_PfN6thrust23THRUST_200600_302600_NS10device_ptrIlEEjNS1_19radix_merge_compareILb0ELb0EfNS0_19identity_decomposerEEEEE10hipError_tT0_T1_T2_jT3_P12ihipStream_tbPNSt15iterator_traitsISG_E10value_typeEPNSM_ISH_E10value_typeEPSI_NS1_7vsmem_tEENKUlT_SG_SH_SI_E_clIS7_S7_PlSB_EESF_SV_SG_SH_SI_EUlSV_E1_NS1_11comp_targetILNS1_3genE9ELNS1_11target_archE1100ELNS1_3gpuE3ELNS1_3repE0EEENS1_36merge_oddeven_config_static_selectorELNS0_4arch9wavefront6targetE1EEEvSH_.has_recursion, 0
	.set _ZN7rocprim17ROCPRIM_400000_NS6detail17trampoline_kernelINS0_14default_configENS1_38merge_sort_block_merge_config_selectorIflEEZZNS1_27merge_sort_block_merge_implIS3_PfN6thrust23THRUST_200600_302600_NS10device_ptrIlEEjNS1_19radix_merge_compareILb0ELb0EfNS0_19identity_decomposerEEEEE10hipError_tT0_T1_T2_jT3_P12ihipStream_tbPNSt15iterator_traitsISG_E10value_typeEPNSM_ISH_E10value_typeEPSI_NS1_7vsmem_tEENKUlT_SG_SH_SI_E_clIS7_S7_PlSB_EESF_SV_SG_SH_SI_EUlSV_E1_NS1_11comp_targetILNS1_3genE9ELNS1_11target_archE1100ELNS1_3gpuE3ELNS1_3repE0EEENS1_36merge_oddeven_config_static_selectorELNS0_4arch9wavefront6targetE1EEEvSH_.has_indirect_call, 0
	.section	.AMDGPU.csdata,"",@progbits
; Kernel info:
; codeLenInByte = 0
; TotalNumSgprs: 4
; NumVgprs: 0
; ScratchSize: 0
; MemoryBound: 0
; FloatMode: 240
; IeeeMode: 1
; LDSByteSize: 0 bytes/workgroup (compile time only)
; SGPRBlocks: 0
; VGPRBlocks: 0
; NumSGPRsForWavesPerEU: 4
; NumVGPRsForWavesPerEU: 1
; Occupancy: 10
; WaveLimiterHint : 0
; COMPUTE_PGM_RSRC2:SCRATCH_EN: 0
; COMPUTE_PGM_RSRC2:USER_SGPR: 6
; COMPUTE_PGM_RSRC2:TRAP_HANDLER: 0
; COMPUTE_PGM_RSRC2:TGID_X_EN: 1
; COMPUTE_PGM_RSRC2:TGID_Y_EN: 0
; COMPUTE_PGM_RSRC2:TGID_Z_EN: 0
; COMPUTE_PGM_RSRC2:TIDIG_COMP_CNT: 0
	.section	.text._ZN7rocprim17ROCPRIM_400000_NS6detail17trampoline_kernelINS0_14default_configENS1_38merge_sort_block_merge_config_selectorIflEEZZNS1_27merge_sort_block_merge_implIS3_PfN6thrust23THRUST_200600_302600_NS10device_ptrIlEEjNS1_19radix_merge_compareILb0ELb0EfNS0_19identity_decomposerEEEEE10hipError_tT0_T1_T2_jT3_P12ihipStream_tbPNSt15iterator_traitsISG_E10value_typeEPNSM_ISH_E10value_typeEPSI_NS1_7vsmem_tEENKUlT_SG_SH_SI_E_clIS7_S7_PlSB_EESF_SV_SG_SH_SI_EUlSV_E1_NS1_11comp_targetILNS1_3genE8ELNS1_11target_archE1030ELNS1_3gpuE2ELNS1_3repE0EEENS1_36merge_oddeven_config_static_selectorELNS0_4arch9wavefront6targetE1EEEvSH_,"axG",@progbits,_ZN7rocprim17ROCPRIM_400000_NS6detail17trampoline_kernelINS0_14default_configENS1_38merge_sort_block_merge_config_selectorIflEEZZNS1_27merge_sort_block_merge_implIS3_PfN6thrust23THRUST_200600_302600_NS10device_ptrIlEEjNS1_19radix_merge_compareILb0ELb0EfNS0_19identity_decomposerEEEEE10hipError_tT0_T1_T2_jT3_P12ihipStream_tbPNSt15iterator_traitsISG_E10value_typeEPNSM_ISH_E10value_typeEPSI_NS1_7vsmem_tEENKUlT_SG_SH_SI_E_clIS7_S7_PlSB_EESF_SV_SG_SH_SI_EUlSV_E1_NS1_11comp_targetILNS1_3genE8ELNS1_11target_archE1030ELNS1_3gpuE2ELNS1_3repE0EEENS1_36merge_oddeven_config_static_selectorELNS0_4arch9wavefront6targetE1EEEvSH_,comdat
	.protected	_ZN7rocprim17ROCPRIM_400000_NS6detail17trampoline_kernelINS0_14default_configENS1_38merge_sort_block_merge_config_selectorIflEEZZNS1_27merge_sort_block_merge_implIS3_PfN6thrust23THRUST_200600_302600_NS10device_ptrIlEEjNS1_19radix_merge_compareILb0ELb0EfNS0_19identity_decomposerEEEEE10hipError_tT0_T1_T2_jT3_P12ihipStream_tbPNSt15iterator_traitsISG_E10value_typeEPNSM_ISH_E10value_typeEPSI_NS1_7vsmem_tEENKUlT_SG_SH_SI_E_clIS7_S7_PlSB_EESF_SV_SG_SH_SI_EUlSV_E1_NS1_11comp_targetILNS1_3genE8ELNS1_11target_archE1030ELNS1_3gpuE2ELNS1_3repE0EEENS1_36merge_oddeven_config_static_selectorELNS0_4arch9wavefront6targetE1EEEvSH_ ; -- Begin function _ZN7rocprim17ROCPRIM_400000_NS6detail17trampoline_kernelINS0_14default_configENS1_38merge_sort_block_merge_config_selectorIflEEZZNS1_27merge_sort_block_merge_implIS3_PfN6thrust23THRUST_200600_302600_NS10device_ptrIlEEjNS1_19radix_merge_compareILb0ELb0EfNS0_19identity_decomposerEEEEE10hipError_tT0_T1_T2_jT3_P12ihipStream_tbPNSt15iterator_traitsISG_E10value_typeEPNSM_ISH_E10value_typeEPSI_NS1_7vsmem_tEENKUlT_SG_SH_SI_E_clIS7_S7_PlSB_EESF_SV_SG_SH_SI_EUlSV_E1_NS1_11comp_targetILNS1_3genE8ELNS1_11target_archE1030ELNS1_3gpuE2ELNS1_3repE0EEENS1_36merge_oddeven_config_static_selectorELNS0_4arch9wavefront6targetE1EEEvSH_
	.globl	_ZN7rocprim17ROCPRIM_400000_NS6detail17trampoline_kernelINS0_14default_configENS1_38merge_sort_block_merge_config_selectorIflEEZZNS1_27merge_sort_block_merge_implIS3_PfN6thrust23THRUST_200600_302600_NS10device_ptrIlEEjNS1_19radix_merge_compareILb0ELb0EfNS0_19identity_decomposerEEEEE10hipError_tT0_T1_T2_jT3_P12ihipStream_tbPNSt15iterator_traitsISG_E10value_typeEPNSM_ISH_E10value_typeEPSI_NS1_7vsmem_tEENKUlT_SG_SH_SI_E_clIS7_S7_PlSB_EESF_SV_SG_SH_SI_EUlSV_E1_NS1_11comp_targetILNS1_3genE8ELNS1_11target_archE1030ELNS1_3gpuE2ELNS1_3repE0EEENS1_36merge_oddeven_config_static_selectorELNS0_4arch9wavefront6targetE1EEEvSH_
	.p2align	8
	.type	_ZN7rocprim17ROCPRIM_400000_NS6detail17trampoline_kernelINS0_14default_configENS1_38merge_sort_block_merge_config_selectorIflEEZZNS1_27merge_sort_block_merge_implIS3_PfN6thrust23THRUST_200600_302600_NS10device_ptrIlEEjNS1_19radix_merge_compareILb0ELb0EfNS0_19identity_decomposerEEEEE10hipError_tT0_T1_T2_jT3_P12ihipStream_tbPNSt15iterator_traitsISG_E10value_typeEPNSM_ISH_E10value_typeEPSI_NS1_7vsmem_tEENKUlT_SG_SH_SI_E_clIS7_S7_PlSB_EESF_SV_SG_SH_SI_EUlSV_E1_NS1_11comp_targetILNS1_3genE8ELNS1_11target_archE1030ELNS1_3gpuE2ELNS1_3repE0EEENS1_36merge_oddeven_config_static_selectorELNS0_4arch9wavefront6targetE1EEEvSH_,@function
_ZN7rocprim17ROCPRIM_400000_NS6detail17trampoline_kernelINS0_14default_configENS1_38merge_sort_block_merge_config_selectorIflEEZZNS1_27merge_sort_block_merge_implIS3_PfN6thrust23THRUST_200600_302600_NS10device_ptrIlEEjNS1_19radix_merge_compareILb0ELb0EfNS0_19identity_decomposerEEEEE10hipError_tT0_T1_T2_jT3_P12ihipStream_tbPNSt15iterator_traitsISG_E10value_typeEPNSM_ISH_E10value_typeEPSI_NS1_7vsmem_tEENKUlT_SG_SH_SI_E_clIS7_S7_PlSB_EESF_SV_SG_SH_SI_EUlSV_E1_NS1_11comp_targetILNS1_3genE8ELNS1_11target_archE1030ELNS1_3gpuE2ELNS1_3repE0EEENS1_36merge_oddeven_config_static_selectorELNS0_4arch9wavefront6targetE1EEEvSH_: ; @_ZN7rocprim17ROCPRIM_400000_NS6detail17trampoline_kernelINS0_14default_configENS1_38merge_sort_block_merge_config_selectorIflEEZZNS1_27merge_sort_block_merge_implIS3_PfN6thrust23THRUST_200600_302600_NS10device_ptrIlEEjNS1_19radix_merge_compareILb0ELb0EfNS0_19identity_decomposerEEEEE10hipError_tT0_T1_T2_jT3_P12ihipStream_tbPNSt15iterator_traitsISG_E10value_typeEPNSM_ISH_E10value_typeEPSI_NS1_7vsmem_tEENKUlT_SG_SH_SI_E_clIS7_S7_PlSB_EESF_SV_SG_SH_SI_EUlSV_E1_NS1_11comp_targetILNS1_3genE8ELNS1_11target_archE1030ELNS1_3gpuE2ELNS1_3repE0EEENS1_36merge_oddeven_config_static_selectorELNS0_4arch9wavefront6targetE1EEEvSH_
; %bb.0:
	.section	.rodata,"a",@progbits
	.p2align	6, 0x0
	.amdhsa_kernel _ZN7rocprim17ROCPRIM_400000_NS6detail17trampoline_kernelINS0_14default_configENS1_38merge_sort_block_merge_config_selectorIflEEZZNS1_27merge_sort_block_merge_implIS3_PfN6thrust23THRUST_200600_302600_NS10device_ptrIlEEjNS1_19radix_merge_compareILb0ELb0EfNS0_19identity_decomposerEEEEE10hipError_tT0_T1_T2_jT3_P12ihipStream_tbPNSt15iterator_traitsISG_E10value_typeEPNSM_ISH_E10value_typeEPSI_NS1_7vsmem_tEENKUlT_SG_SH_SI_E_clIS7_S7_PlSB_EESF_SV_SG_SH_SI_EUlSV_E1_NS1_11comp_targetILNS1_3genE8ELNS1_11target_archE1030ELNS1_3gpuE2ELNS1_3repE0EEENS1_36merge_oddeven_config_static_selectorELNS0_4arch9wavefront6targetE1EEEvSH_
		.amdhsa_group_segment_fixed_size 0
		.amdhsa_private_segment_fixed_size 0
		.amdhsa_kernarg_size 48
		.amdhsa_user_sgpr_count 6
		.amdhsa_user_sgpr_private_segment_buffer 1
		.amdhsa_user_sgpr_dispatch_ptr 0
		.amdhsa_user_sgpr_queue_ptr 0
		.amdhsa_user_sgpr_kernarg_segment_ptr 1
		.amdhsa_user_sgpr_dispatch_id 0
		.amdhsa_user_sgpr_flat_scratch_init 0
		.amdhsa_user_sgpr_private_segment_size 0
		.amdhsa_uses_dynamic_stack 0
		.amdhsa_system_sgpr_private_segment_wavefront_offset 0
		.amdhsa_system_sgpr_workgroup_id_x 1
		.amdhsa_system_sgpr_workgroup_id_y 0
		.amdhsa_system_sgpr_workgroup_id_z 0
		.amdhsa_system_sgpr_workgroup_info 0
		.amdhsa_system_vgpr_workitem_id 0
		.amdhsa_next_free_vgpr 1
		.amdhsa_next_free_sgpr 0
		.amdhsa_reserve_vcc 0
		.amdhsa_reserve_flat_scratch 0
		.amdhsa_float_round_mode_32 0
		.amdhsa_float_round_mode_16_64 0
		.amdhsa_float_denorm_mode_32 3
		.amdhsa_float_denorm_mode_16_64 3
		.amdhsa_dx10_clamp 1
		.amdhsa_ieee_mode 1
		.amdhsa_fp16_overflow 0
		.amdhsa_exception_fp_ieee_invalid_op 0
		.amdhsa_exception_fp_denorm_src 0
		.amdhsa_exception_fp_ieee_div_zero 0
		.amdhsa_exception_fp_ieee_overflow 0
		.amdhsa_exception_fp_ieee_underflow 0
		.amdhsa_exception_fp_ieee_inexact 0
		.amdhsa_exception_int_div_zero 0
	.end_amdhsa_kernel
	.section	.text._ZN7rocprim17ROCPRIM_400000_NS6detail17trampoline_kernelINS0_14default_configENS1_38merge_sort_block_merge_config_selectorIflEEZZNS1_27merge_sort_block_merge_implIS3_PfN6thrust23THRUST_200600_302600_NS10device_ptrIlEEjNS1_19radix_merge_compareILb0ELb0EfNS0_19identity_decomposerEEEEE10hipError_tT0_T1_T2_jT3_P12ihipStream_tbPNSt15iterator_traitsISG_E10value_typeEPNSM_ISH_E10value_typeEPSI_NS1_7vsmem_tEENKUlT_SG_SH_SI_E_clIS7_S7_PlSB_EESF_SV_SG_SH_SI_EUlSV_E1_NS1_11comp_targetILNS1_3genE8ELNS1_11target_archE1030ELNS1_3gpuE2ELNS1_3repE0EEENS1_36merge_oddeven_config_static_selectorELNS0_4arch9wavefront6targetE1EEEvSH_,"axG",@progbits,_ZN7rocprim17ROCPRIM_400000_NS6detail17trampoline_kernelINS0_14default_configENS1_38merge_sort_block_merge_config_selectorIflEEZZNS1_27merge_sort_block_merge_implIS3_PfN6thrust23THRUST_200600_302600_NS10device_ptrIlEEjNS1_19radix_merge_compareILb0ELb0EfNS0_19identity_decomposerEEEEE10hipError_tT0_T1_T2_jT3_P12ihipStream_tbPNSt15iterator_traitsISG_E10value_typeEPNSM_ISH_E10value_typeEPSI_NS1_7vsmem_tEENKUlT_SG_SH_SI_E_clIS7_S7_PlSB_EESF_SV_SG_SH_SI_EUlSV_E1_NS1_11comp_targetILNS1_3genE8ELNS1_11target_archE1030ELNS1_3gpuE2ELNS1_3repE0EEENS1_36merge_oddeven_config_static_selectorELNS0_4arch9wavefront6targetE1EEEvSH_,comdat
.Lfunc_end1783:
	.size	_ZN7rocprim17ROCPRIM_400000_NS6detail17trampoline_kernelINS0_14default_configENS1_38merge_sort_block_merge_config_selectorIflEEZZNS1_27merge_sort_block_merge_implIS3_PfN6thrust23THRUST_200600_302600_NS10device_ptrIlEEjNS1_19radix_merge_compareILb0ELb0EfNS0_19identity_decomposerEEEEE10hipError_tT0_T1_T2_jT3_P12ihipStream_tbPNSt15iterator_traitsISG_E10value_typeEPNSM_ISH_E10value_typeEPSI_NS1_7vsmem_tEENKUlT_SG_SH_SI_E_clIS7_S7_PlSB_EESF_SV_SG_SH_SI_EUlSV_E1_NS1_11comp_targetILNS1_3genE8ELNS1_11target_archE1030ELNS1_3gpuE2ELNS1_3repE0EEENS1_36merge_oddeven_config_static_selectorELNS0_4arch9wavefront6targetE1EEEvSH_, .Lfunc_end1783-_ZN7rocprim17ROCPRIM_400000_NS6detail17trampoline_kernelINS0_14default_configENS1_38merge_sort_block_merge_config_selectorIflEEZZNS1_27merge_sort_block_merge_implIS3_PfN6thrust23THRUST_200600_302600_NS10device_ptrIlEEjNS1_19radix_merge_compareILb0ELb0EfNS0_19identity_decomposerEEEEE10hipError_tT0_T1_T2_jT3_P12ihipStream_tbPNSt15iterator_traitsISG_E10value_typeEPNSM_ISH_E10value_typeEPSI_NS1_7vsmem_tEENKUlT_SG_SH_SI_E_clIS7_S7_PlSB_EESF_SV_SG_SH_SI_EUlSV_E1_NS1_11comp_targetILNS1_3genE8ELNS1_11target_archE1030ELNS1_3gpuE2ELNS1_3repE0EEENS1_36merge_oddeven_config_static_selectorELNS0_4arch9wavefront6targetE1EEEvSH_
                                        ; -- End function
	.set _ZN7rocprim17ROCPRIM_400000_NS6detail17trampoline_kernelINS0_14default_configENS1_38merge_sort_block_merge_config_selectorIflEEZZNS1_27merge_sort_block_merge_implIS3_PfN6thrust23THRUST_200600_302600_NS10device_ptrIlEEjNS1_19radix_merge_compareILb0ELb0EfNS0_19identity_decomposerEEEEE10hipError_tT0_T1_T2_jT3_P12ihipStream_tbPNSt15iterator_traitsISG_E10value_typeEPNSM_ISH_E10value_typeEPSI_NS1_7vsmem_tEENKUlT_SG_SH_SI_E_clIS7_S7_PlSB_EESF_SV_SG_SH_SI_EUlSV_E1_NS1_11comp_targetILNS1_3genE8ELNS1_11target_archE1030ELNS1_3gpuE2ELNS1_3repE0EEENS1_36merge_oddeven_config_static_selectorELNS0_4arch9wavefront6targetE1EEEvSH_.num_vgpr, 0
	.set _ZN7rocprim17ROCPRIM_400000_NS6detail17trampoline_kernelINS0_14default_configENS1_38merge_sort_block_merge_config_selectorIflEEZZNS1_27merge_sort_block_merge_implIS3_PfN6thrust23THRUST_200600_302600_NS10device_ptrIlEEjNS1_19radix_merge_compareILb0ELb0EfNS0_19identity_decomposerEEEEE10hipError_tT0_T1_T2_jT3_P12ihipStream_tbPNSt15iterator_traitsISG_E10value_typeEPNSM_ISH_E10value_typeEPSI_NS1_7vsmem_tEENKUlT_SG_SH_SI_E_clIS7_S7_PlSB_EESF_SV_SG_SH_SI_EUlSV_E1_NS1_11comp_targetILNS1_3genE8ELNS1_11target_archE1030ELNS1_3gpuE2ELNS1_3repE0EEENS1_36merge_oddeven_config_static_selectorELNS0_4arch9wavefront6targetE1EEEvSH_.num_agpr, 0
	.set _ZN7rocprim17ROCPRIM_400000_NS6detail17trampoline_kernelINS0_14default_configENS1_38merge_sort_block_merge_config_selectorIflEEZZNS1_27merge_sort_block_merge_implIS3_PfN6thrust23THRUST_200600_302600_NS10device_ptrIlEEjNS1_19radix_merge_compareILb0ELb0EfNS0_19identity_decomposerEEEEE10hipError_tT0_T1_T2_jT3_P12ihipStream_tbPNSt15iterator_traitsISG_E10value_typeEPNSM_ISH_E10value_typeEPSI_NS1_7vsmem_tEENKUlT_SG_SH_SI_E_clIS7_S7_PlSB_EESF_SV_SG_SH_SI_EUlSV_E1_NS1_11comp_targetILNS1_3genE8ELNS1_11target_archE1030ELNS1_3gpuE2ELNS1_3repE0EEENS1_36merge_oddeven_config_static_selectorELNS0_4arch9wavefront6targetE1EEEvSH_.numbered_sgpr, 0
	.set _ZN7rocprim17ROCPRIM_400000_NS6detail17trampoline_kernelINS0_14default_configENS1_38merge_sort_block_merge_config_selectorIflEEZZNS1_27merge_sort_block_merge_implIS3_PfN6thrust23THRUST_200600_302600_NS10device_ptrIlEEjNS1_19radix_merge_compareILb0ELb0EfNS0_19identity_decomposerEEEEE10hipError_tT0_T1_T2_jT3_P12ihipStream_tbPNSt15iterator_traitsISG_E10value_typeEPNSM_ISH_E10value_typeEPSI_NS1_7vsmem_tEENKUlT_SG_SH_SI_E_clIS7_S7_PlSB_EESF_SV_SG_SH_SI_EUlSV_E1_NS1_11comp_targetILNS1_3genE8ELNS1_11target_archE1030ELNS1_3gpuE2ELNS1_3repE0EEENS1_36merge_oddeven_config_static_selectorELNS0_4arch9wavefront6targetE1EEEvSH_.num_named_barrier, 0
	.set _ZN7rocprim17ROCPRIM_400000_NS6detail17trampoline_kernelINS0_14default_configENS1_38merge_sort_block_merge_config_selectorIflEEZZNS1_27merge_sort_block_merge_implIS3_PfN6thrust23THRUST_200600_302600_NS10device_ptrIlEEjNS1_19radix_merge_compareILb0ELb0EfNS0_19identity_decomposerEEEEE10hipError_tT0_T1_T2_jT3_P12ihipStream_tbPNSt15iterator_traitsISG_E10value_typeEPNSM_ISH_E10value_typeEPSI_NS1_7vsmem_tEENKUlT_SG_SH_SI_E_clIS7_S7_PlSB_EESF_SV_SG_SH_SI_EUlSV_E1_NS1_11comp_targetILNS1_3genE8ELNS1_11target_archE1030ELNS1_3gpuE2ELNS1_3repE0EEENS1_36merge_oddeven_config_static_selectorELNS0_4arch9wavefront6targetE1EEEvSH_.private_seg_size, 0
	.set _ZN7rocprim17ROCPRIM_400000_NS6detail17trampoline_kernelINS0_14default_configENS1_38merge_sort_block_merge_config_selectorIflEEZZNS1_27merge_sort_block_merge_implIS3_PfN6thrust23THRUST_200600_302600_NS10device_ptrIlEEjNS1_19radix_merge_compareILb0ELb0EfNS0_19identity_decomposerEEEEE10hipError_tT0_T1_T2_jT3_P12ihipStream_tbPNSt15iterator_traitsISG_E10value_typeEPNSM_ISH_E10value_typeEPSI_NS1_7vsmem_tEENKUlT_SG_SH_SI_E_clIS7_S7_PlSB_EESF_SV_SG_SH_SI_EUlSV_E1_NS1_11comp_targetILNS1_3genE8ELNS1_11target_archE1030ELNS1_3gpuE2ELNS1_3repE0EEENS1_36merge_oddeven_config_static_selectorELNS0_4arch9wavefront6targetE1EEEvSH_.uses_vcc, 0
	.set _ZN7rocprim17ROCPRIM_400000_NS6detail17trampoline_kernelINS0_14default_configENS1_38merge_sort_block_merge_config_selectorIflEEZZNS1_27merge_sort_block_merge_implIS3_PfN6thrust23THRUST_200600_302600_NS10device_ptrIlEEjNS1_19radix_merge_compareILb0ELb0EfNS0_19identity_decomposerEEEEE10hipError_tT0_T1_T2_jT3_P12ihipStream_tbPNSt15iterator_traitsISG_E10value_typeEPNSM_ISH_E10value_typeEPSI_NS1_7vsmem_tEENKUlT_SG_SH_SI_E_clIS7_S7_PlSB_EESF_SV_SG_SH_SI_EUlSV_E1_NS1_11comp_targetILNS1_3genE8ELNS1_11target_archE1030ELNS1_3gpuE2ELNS1_3repE0EEENS1_36merge_oddeven_config_static_selectorELNS0_4arch9wavefront6targetE1EEEvSH_.uses_flat_scratch, 0
	.set _ZN7rocprim17ROCPRIM_400000_NS6detail17trampoline_kernelINS0_14default_configENS1_38merge_sort_block_merge_config_selectorIflEEZZNS1_27merge_sort_block_merge_implIS3_PfN6thrust23THRUST_200600_302600_NS10device_ptrIlEEjNS1_19radix_merge_compareILb0ELb0EfNS0_19identity_decomposerEEEEE10hipError_tT0_T1_T2_jT3_P12ihipStream_tbPNSt15iterator_traitsISG_E10value_typeEPNSM_ISH_E10value_typeEPSI_NS1_7vsmem_tEENKUlT_SG_SH_SI_E_clIS7_S7_PlSB_EESF_SV_SG_SH_SI_EUlSV_E1_NS1_11comp_targetILNS1_3genE8ELNS1_11target_archE1030ELNS1_3gpuE2ELNS1_3repE0EEENS1_36merge_oddeven_config_static_selectorELNS0_4arch9wavefront6targetE1EEEvSH_.has_dyn_sized_stack, 0
	.set _ZN7rocprim17ROCPRIM_400000_NS6detail17trampoline_kernelINS0_14default_configENS1_38merge_sort_block_merge_config_selectorIflEEZZNS1_27merge_sort_block_merge_implIS3_PfN6thrust23THRUST_200600_302600_NS10device_ptrIlEEjNS1_19radix_merge_compareILb0ELb0EfNS0_19identity_decomposerEEEEE10hipError_tT0_T1_T2_jT3_P12ihipStream_tbPNSt15iterator_traitsISG_E10value_typeEPNSM_ISH_E10value_typeEPSI_NS1_7vsmem_tEENKUlT_SG_SH_SI_E_clIS7_S7_PlSB_EESF_SV_SG_SH_SI_EUlSV_E1_NS1_11comp_targetILNS1_3genE8ELNS1_11target_archE1030ELNS1_3gpuE2ELNS1_3repE0EEENS1_36merge_oddeven_config_static_selectorELNS0_4arch9wavefront6targetE1EEEvSH_.has_recursion, 0
	.set _ZN7rocprim17ROCPRIM_400000_NS6detail17trampoline_kernelINS0_14default_configENS1_38merge_sort_block_merge_config_selectorIflEEZZNS1_27merge_sort_block_merge_implIS3_PfN6thrust23THRUST_200600_302600_NS10device_ptrIlEEjNS1_19radix_merge_compareILb0ELb0EfNS0_19identity_decomposerEEEEE10hipError_tT0_T1_T2_jT3_P12ihipStream_tbPNSt15iterator_traitsISG_E10value_typeEPNSM_ISH_E10value_typeEPSI_NS1_7vsmem_tEENKUlT_SG_SH_SI_E_clIS7_S7_PlSB_EESF_SV_SG_SH_SI_EUlSV_E1_NS1_11comp_targetILNS1_3genE8ELNS1_11target_archE1030ELNS1_3gpuE2ELNS1_3repE0EEENS1_36merge_oddeven_config_static_selectorELNS0_4arch9wavefront6targetE1EEEvSH_.has_indirect_call, 0
	.section	.AMDGPU.csdata,"",@progbits
; Kernel info:
; codeLenInByte = 0
; TotalNumSgprs: 4
; NumVgprs: 0
; ScratchSize: 0
; MemoryBound: 0
; FloatMode: 240
; IeeeMode: 1
; LDSByteSize: 0 bytes/workgroup (compile time only)
; SGPRBlocks: 0
; VGPRBlocks: 0
; NumSGPRsForWavesPerEU: 4
; NumVGPRsForWavesPerEU: 1
; Occupancy: 10
; WaveLimiterHint : 0
; COMPUTE_PGM_RSRC2:SCRATCH_EN: 0
; COMPUTE_PGM_RSRC2:USER_SGPR: 6
; COMPUTE_PGM_RSRC2:TRAP_HANDLER: 0
; COMPUTE_PGM_RSRC2:TGID_X_EN: 1
; COMPUTE_PGM_RSRC2:TGID_Y_EN: 0
; COMPUTE_PGM_RSRC2:TGID_Z_EN: 0
; COMPUTE_PGM_RSRC2:TIDIG_COMP_CNT: 0
	.section	.text._ZN7rocprim17ROCPRIM_400000_NS6detail17trampoline_kernelINS0_14default_configENS1_38merge_sort_block_merge_config_selectorIflEEZZNS1_27merge_sort_block_merge_implIS3_PfN6thrust23THRUST_200600_302600_NS10device_ptrIlEEjNS1_19radix_merge_compareILb0ELb0EfNS0_19identity_decomposerEEEEE10hipError_tT0_T1_T2_jT3_P12ihipStream_tbPNSt15iterator_traitsISG_E10value_typeEPNSM_ISH_E10value_typeEPSI_NS1_7vsmem_tEENKUlT_SG_SH_SI_E_clIS7_S7_SB_PlEESF_SV_SG_SH_SI_EUlSV_E_NS1_11comp_targetILNS1_3genE0ELNS1_11target_archE4294967295ELNS1_3gpuE0ELNS1_3repE0EEENS1_48merge_mergepath_partition_config_static_selectorELNS0_4arch9wavefront6targetE1EEEvSH_,"axG",@progbits,_ZN7rocprim17ROCPRIM_400000_NS6detail17trampoline_kernelINS0_14default_configENS1_38merge_sort_block_merge_config_selectorIflEEZZNS1_27merge_sort_block_merge_implIS3_PfN6thrust23THRUST_200600_302600_NS10device_ptrIlEEjNS1_19radix_merge_compareILb0ELb0EfNS0_19identity_decomposerEEEEE10hipError_tT0_T1_T2_jT3_P12ihipStream_tbPNSt15iterator_traitsISG_E10value_typeEPNSM_ISH_E10value_typeEPSI_NS1_7vsmem_tEENKUlT_SG_SH_SI_E_clIS7_S7_SB_PlEESF_SV_SG_SH_SI_EUlSV_E_NS1_11comp_targetILNS1_3genE0ELNS1_11target_archE4294967295ELNS1_3gpuE0ELNS1_3repE0EEENS1_48merge_mergepath_partition_config_static_selectorELNS0_4arch9wavefront6targetE1EEEvSH_,comdat
	.protected	_ZN7rocprim17ROCPRIM_400000_NS6detail17trampoline_kernelINS0_14default_configENS1_38merge_sort_block_merge_config_selectorIflEEZZNS1_27merge_sort_block_merge_implIS3_PfN6thrust23THRUST_200600_302600_NS10device_ptrIlEEjNS1_19radix_merge_compareILb0ELb0EfNS0_19identity_decomposerEEEEE10hipError_tT0_T1_T2_jT3_P12ihipStream_tbPNSt15iterator_traitsISG_E10value_typeEPNSM_ISH_E10value_typeEPSI_NS1_7vsmem_tEENKUlT_SG_SH_SI_E_clIS7_S7_SB_PlEESF_SV_SG_SH_SI_EUlSV_E_NS1_11comp_targetILNS1_3genE0ELNS1_11target_archE4294967295ELNS1_3gpuE0ELNS1_3repE0EEENS1_48merge_mergepath_partition_config_static_selectorELNS0_4arch9wavefront6targetE1EEEvSH_ ; -- Begin function _ZN7rocprim17ROCPRIM_400000_NS6detail17trampoline_kernelINS0_14default_configENS1_38merge_sort_block_merge_config_selectorIflEEZZNS1_27merge_sort_block_merge_implIS3_PfN6thrust23THRUST_200600_302600_NS10device_ptrIlEEjNS1_19radix_merge_compareILb0ELb0EfNS0_19identity_decomposerEEEEE10hipError_tT0_T1_T2_jT3_P12ihipStream_tbPNSt15iterator_traitsISG_E10value_typeEPNSM_ISH_E10value_typeEPSI_NS1_7vsmem_tEENKUlT_SG_SH_SI_E_clIS7_S7_SB_PlEESF_SV_SG_SH_SI_EUlSV_E_NS1_11comp_targetILNS1_3genE0ELNS1_11target_archE4294967295ELNS1_3gpuE0ELNS1_3repE0EEENS1_48merge_mergepath_partition_config_static_selectorELNS0_4arch9wavefront6targetE1EEEvSH_
	.globl	_ZN7rocprim17ROCPRIM_400000_NS6detail17trampoline_kernelINS0_14default_configENS1_38merge_sort_block_merge_config_selectorIflEEZZNS1_27merge_sort_block_merge_implIS3_PfN6thrust23THRUST_200600_302600_NS10device_ptrIlEEjNS1_19radix_merge_compareILb0ELb0EfNS0_19identity_decomposerEEEEE10hipError_tT0_T1_T2_jT3_P12ihipStream_tbPNSt15iterator_traitsISG_E10value_typeEPNSM_ISH_E10value_typeEPSI_NS1_7vsmem_tEENKUlT_SG_SH_SI_E_clIS7_S7_SB_PlEESF_SV_SG_SH_SI_EUlSV_E_NS1_11comp_targetILNS1_3genE0ELNS1_11target_archE4294967295ELNS1_3gpuE0ELNS1_3repE0EEENS1_48merge_mergepath_partition_config_static_selectorELNS0_4arch9wavefront6targetE1EEEvSH_
	.p2align	8
	.type	_ZN7rocprim17ROCPRIM_400000_NS6detail17trampoline_kernelINS0_14default_configENS1_38merge_sort_block_merge_config_selectorIflEEZZNS1_27merge_sort_block_merge_implIS3_PfN6thrust23THRUST_200600_302600_NS10device_ptrIlEEjNS1_19radix_merge_compareILb0ELb0EfNS0_19identity_decomposerEEEEE10hipError_tT0_T1_T2_jT3_P12ihipStream_tbPNSt15iterator_traitsISG_E10value_typeEPNSM_ISH_E10value_typeEPSI_NS1_7vsmem_tEENKUlT_SG_SH_SI_E_clIS7_S7_SB_PlEESF_SV_SG_SH_SI_EUlSV_E_NS1_11comp_targetILNS1_3genE0ELNS1_11target_archE4294967295ELNS1_3gpuE0ELNS1_3repE0EEENS1_48merge_mergepath_partition_config_static_selectorELNS0_4arch9wavefront6targetE1EEEvSH_,@function
_ZN7rocprim17ROCPRIM_400000_NS6detail17trampoline_kernelINS0_14default_configENS1_38merge_sort_block_merge_config_selectorIflEEZZNS1_27merge_sort_block_merge_implIS3_PfN6thrust23THRUST_200600_302600_NS10device_ptrIlEEjNS1_19radix_merge_compareILb0ELb0EfNS0_19identity_decomposerEEEEE10hipError_tT0_T1_T2_jT3_P12ihipStream_tbPNSt15iterator_traitsISG_E10value_typeEPNSM_ISH_E10value_typeEPSI_NS1_7vsmem_tEENKUlT_SG_SH_SI_E_clIS7_S7_SB_PlEESF_SV_SG_SH_SI_EUlSV_E_NS1_11comp_targetILNS1_3genE0ELNS1_11target_archE4294967295ELNS1_3gpuE0ELNS1_3repE0EEENS1_48merge_mergepath_partition_config_static_selectorELNS0_4arch9wavefront6targetE1EEEvSH_: ; @_ZN7rocprim17ROCPRIM_400000_NS6detail17trampoline_kernelINS0_14default_configENS1_38merge_sort_block_merge_config_selectorIflEEZZNS1_27merge_sort_block_merge_implIS3_PfN6thrust23THRUST_200600_302600_NS10device_ptrIlEEjNS1_19radix_merge_compareILb0ELb0EfNS0_19identity_decomposerEEEEE10hipError_tT0_T1_T2_jT3_P12ihipStream_tbPNSt15iterator_traitsISG_E10value_typeEPNSM_ISH_E10value_typeEPSI_NS1_7vsmem_tEENKUlT_SG_SH_SI_E_clIS7_S7_SB_PlEESF_SV_SG_SH_SI_EUlSV_E_NS1_11comp_targetILNS1_3genE0ELNS1_11target_archE4294967295ELNS1_3gpuE0ELNS1_3repE0EEENS1_48merge_mergepath_partition_config_static_selectorELNS0_4arch9wavefront6targetE1EEEvSH_
; %bb.0:
	.section	.rodata,"a",@progbits
	.p2align	6, 0x0
	.amdhsa_kernel _ZN7rocprim17ROCPRIM_400000_NS6detail17trampoline_kernelINS0_14default_configENS1_38merge_sort_block_merge_config_selectorIflEEZZNS1_27merge_sort_block_merge_implIS3_PfN6thrust23THRUST_200600_302600_NS10device_ptrIlEEjNS1_19radix_merge_compareILb0ELb0EfNS0_19identity_decomposerEEEEE10hipError_tT0_T1_T2_jT3_P12ihipStream_tbPNSt15iterator_traitsISG_E10value_typeEPNSM_ISH_E10value_typeEPSI_NS1_7vsmem_tEENKUlT_SG_SH_SI_E_clIS7_S7_SB_PlEESF_SV_SG_SH_SI_EUlSV_E_NS1_11comp_targetILNS1_3genE0ELNS1_11target_archE4294967295ELNS1_3gpuE0ELNS1_3repE0EEENS1_48merge_mergepath_partition_config_static_selectorELNS0_4arch9wavefront6targetE1EEEvSH_
		.amdhsa_group_segment_fixed_size 0
		.amdhsa_private_segment_fixed_size 0
		.amdhsa_kernarg_size 40
		.amdhsa_user_sgpr_count 6
		.amdhsa_user_sgpr_private_segment_buffer 1
		.amdhsa_user_sgpr_dispatch_ptr 0
		.amdhsa_user_sgpr_queue_ptr 0
		.amdhsa_user_sgpr_kernarg_segment_ptr 1
		.amdhsa_user_sgpr_dispatch_id 0
		.amdhsa_user_sgpr_flat_scratch_init 0
		.amdhsa_user_sgpr_private_segment_size 0
		.amdhsa_uses_dynamic_stack 0
		.amdhsa_system_sgpr_private_segment_wavefront_offset 0
		.amdhsa_system_sgpr_workgroup_id_x 1
		.amdhsa_system_sgpr_workgroup_id_y 0
		.amdhsa_system_sgpr_workgroup_id_z 0
		.amdhsa_system_sgpr_workgroup_info 0
		.amdhsa_system_vgpr_workitem_id 0
		.amdhsa_next_free_vgpr 1
		.amdhsa_next_free_sgpr 0
		.amdhsa_reserve_vcc 0
		.amdhsa_reserve_flat_scratch 0
		.amdhsa_float_round_mode_32 0
		.amdhsa_float_round_mode_16_64 0
		.amdhsa_float_denorm_mode_32 3
		.amdhsa_float_denorm_mode_16_64 3
		.amdhsa_dx10_clamp 1
		.amdhsa_ieee_mode 1
		.amdhsa_fp16_overflow 0
		.amdhsa_exception_fp_ieee_invalid_op 0
		.amdhsa_exception_fp_denorm_src 0
		.amdhsa_exception_fp_ieee_div_zero 0
		.amdhsa_exception_fp_ieee_overflow 0
		.amdhsa_exception_fp_ieee_underflow 0
		.amdhsa_exception_fp_ieee_inexact 0
		.amdhsa_exception_int_div_zero 0
	.end_amdhsa_kernel
	.section	.text._ZN7rocprim17ROCPRIM_400000_NS6detail17trampoline_kernelINS0_14default_configENS1_38merge_sort_block_merge_config_selectorIflEEZZNS1_27merge_sort_block_merge_implIS3_PfN6thrust23THRUST_200600_302600_NS10device_ptrIlEEjNS1_19radix_merge_compareILb0ELb0EfNS0_19identity_decomposerEEEEE10hipError_tT0_T1_T2_jT3_P12ihipStream_tbPNSt15iterator_traitsISG_E10value_typeEPNSM_ISH_E10value_typeEPSI_NS1_7vsmem_tEENKUlT_SG_SH_SI_E_clIS7_S7_SB_PlEESF_SV_SG_SH_SI_EUlSV_E_NS1_11comp_targetILNS1_3genE0ELNS1_11target_archE4294967295ELNS1_3gpuE0ELNS1_3repE0EEENS1_48merge_mergepath_partition_config_static_selectorELNS0_4arch9wavefront6targetE1EEEvSH_,"axG",@progbits,_ZN7rocprim17ROCPRIM_400000_NS6detail17trampoline_kernelINS0_14default_configENS1_38merge_sort_block_merge_config_selectorIflEEZZNS1_27merge_sort_block_merge_implIS3_PfN6thrust23THRUST_200600_302600_NS10device_ptrIlEEjNS1_19radix_merge_compareILb0ELb0EfNS0_19identity_decomposerEEEEE10hipError_tT0_T1_T2_jT3_P12ihipStream_tbPNSt15iterator_traitsISG_E10value_typeEPNSM_ISH_E10value_typeEPSI_NS1_7vsmem_tEENKUlT_SG_SH_SI_E_clIS7_S7_SB_PlEESF_SV_SG_SH_SI_EUlSV_E_NS1_11comp_targetILNS1_3genE0ELNS1_11target_archE4294967295ELNS1_3gpuE0ELNS1_3repE0EEENS1_48merge_mergepath_partition_config_static_selectorELNS0_4arch9wavefront6targetE1EEEvSH_,comdat
.Lfunc_end1784:
	.size	_ZN7rocprim17ROCPRIM_400000_NS6detail17trampoline_kernelINS0_14default_configENS1_38merge_sort_block_merge_config_selectorIflEEZZNS1_27merge_sort_block_merge_implIS3_PfN6thrust23THRUST_200600_302600_NS10device_ptrIlEEjNS1_19radix_merge_compareILb0ELb0EfNS0_19identity_decomposerEEEEE10hipError_tT0_T1_T2_jT3_P12ihipStream_tbPNSt15iterator_traitsISG_E10value_typeEPNSM_ISH_E10value_typeEPSI_NS1_7vsmem_tEENKUlT_SG_SH_SI_E_clIS7_S7_SB_PlEESF_SV_SG_SH_SI_EUlSV_E_NS1_11comp_targetILNS1_3genE0ELNS1_11target_archE4294967295ELNS1_3gpuE0ELNS1_3repE0EEENS1_48merge_mergepath_partition_config_static_selectorELNS0_4arch9wavefront6targetE1EEEvSH_, .Lfunc_end1784-_ZN7rocprim17ROCPRIM_400000_NS6detail17trampoline_kernelINS0_14default_configENS1_38merge_sort_block_merge_config_selectorIflEEZZNS1_27merge_sort_block_merge_implIS3_PfN6thrust23THRUST_200600_302600_NS10device_ptrIlEEjNS1_19radix_merge_compareILb0ELb0EfNS0_19identity_decomposerEEEEE10hipError_tT0_T1_T2_jT3_P12ihipStream_tbPNSt15iterator_traitsISG_E10value_typeEPNSM_ISH_E10value_typeEPSI_NS1_7vsmem_tEENKUlT_SG_SH_SI_E_clIS7_S7_SB_PlEESF_SV_SG_SH_SI_EUlSV_E_NS1_11comp_targetILNS1_3genE0ELNS1_11target_archE4294967295ELNS1_3gpuE0ELNS1_3repE0EEENS1_48merge_mergepath_partition_config_static_selectorELNS0_4arch9wavefront6targetE1EEEvSH_
                                        ; -- End function
	.set _ZN7rocprim17ROCPRIM_400000_NS6detail17trampoline_kernelINS0_14default_configENS1_38merge_sort_block_merge_config_selectorIflEEZZNS1_27merge_sort_block_merge_implIS3_PfN6thrust23THRUST_200600_302600_NS10device_ptrIlEEjNS1_19radix_merge_compareILb0ELb0EfNS0_19identity_decomposerEEEEE10hipError_tT0_T1_T2_jT3_P12ihipStream_tbPNSt15iterator_traitsISG_E10value_typeEPNSM_ISH_E10value_typeEPSI_NS1_7vsmem_tEENKUlT_SG_SH_SI_E_clIS7_S7_SB_PlEESF_SV_SG_SH_SI_EUlSV_E_NS1_11comp_targetILNS1_3genE0ELNS1_11target_archE4294967295ELNS1_3gpuE0ELNS1_3repE0EEENS1_48merge_mergepath_partition_config_static_selectorELNS0_4arch9wavefront6targetE1EEEvSH_.num_vgpr, 0
	.set _ZN7rocprim17ROCPRIM_400000_NS6detail17trampoline_kernelINS0_14default_configENS1_38merge_sort_block_merge_config_selectorIflEEZZNS1_27merge_sort_block_merge_implIS3_PfN6thrust23THRUST_200600_302600_NS10device_ptrIlEEjNS1_19radix_merge_compareILb0ELb0EfNS0_19identity_decomposerEEEEE10hipError_tT0_T1_T2_jT3_P12ihipStream_tbPNSt15iterator_traitsISG_E10value_typeEPNSM_ISH_E10value_typeEPSI_NS1_7vsmem_tEENKUlT_SG_SH_SI_E_clIS7_S7_SB_PlEESF_SV_SG_SH_SI_EUlSV_E_NS1_11comp_targetILNS1_3genE0ELNS1_11target_archE4294967295ELNS1_3gpuE0ELNS1_3repE0EEENS1_48merge_mergepath_partition_config_static_selectorELNS0_4arch9wavefront6targetE1EEEvSH_.num_agpr, 0
	.set _ZN7rocprim17ROCPRIM_400000_NS6detail17trampoline_kernelINS0_14default_configENS1_38merge_sort_block_merge_config_selectorIflEEZZNS1_27merge_sort_block_merge_implIS3_PfN6thrust23THRUST_200600_302600_NS10device_ptrIlEEjNS1_19radix_merge_compareILb0ELb0EfNS0_19identity_decomposerEEEEE10hipError_tT0_T1_T2_jT3_P12ihipStream_tbPNSt15iterator_traitsISG_E10value_typeEPNSM_ISH_E10value_typeEPSI_NS1_7vsmem_tEENKUlT_SG_SH_SI_E_clIS7_S7_SB_PlEESF_SV_SG_SH_SI_EUlSV_E_NS1_11comp_targetILNS1_3genE0ELNS1_11target_archE4294967295ELNS1_3gpuE0ELNS1_3repE0EEENS1_48merge_mergepath_partition_config_static_selectorELNS0_4arch9wavefront6targetE1EEEvSH_.numbered_sgpr, 0
	.set _ZN7rocprim17ROCPRIM_400000_NS6detail17trampoline_kernelINS0_14default_configENS1_38merge_sort_block_merge_config_selectorIflEEZZNS1_27merge_sort_block_merge_implIS3_PfN6thrust23THRUST_200600_302600_NS10device_ptrIlEEjNS1_19radix_merge_compareILb0ELb0EfNS0_19identity_decomposerEEEEE10hipError_tT0_T1_T2_jT3_P12ihipStream_tbPNSt15iterator_traitsISG_E10value_typeEPNSM_ISH_E10value_typeEPSI_NS1_7vsmem_tEENKUlT_SG_SH_SI_E_clIS7_S7_SB_PlEESF_SV_SG_SH_SI_EUlSV_E_NS1_11comp_targetILNS1_3genE0ELNS1_11target_archE4294967295ELNS1_3gpuE0ELNS1_3repE0EEENS1_48merge_mergepath_partition_config_static_selectorELNS0_4arch9wavefront6targetE1EEEvSH_.num_named_barrier, 0
	.set _ZN7rocprim17ROCPRIM_400000_NS6detail17trampoline_kernelINS0_14default_configENS1_38merge_sort_block_merge_config_selectorIflEEZZNS1_27merge_sort_block_merge_implIS3_PfN6thrust23THRUST_200600_302600_NS10device_ptrIlEEjNS1_19radix_merge_compareILb0ELb0EfNS0_19identity_decomposerEEEEE10hipError_tT0_T1_T2_jT3_P12ihipStream_tbPNSt15iterator_traitsISG_E10value_typeEPNSM_ISH_E10value_typeEPSI_NS1_7vsmem_tEENKUlT_SG_SH_SI_E_clIS7_S7_SB_PlEESF_SV_SG_SH_SI_EUlSV_E_NS1_11comp_targetILNS1_3genE0ELNS1_11target_archE4294967295ELNS1_3gpuE0ELNS1_3repE0EEENS1_48merge_mergepath_partition_config_static_selectorELNS0_4arch9wavefront6targetE1EEEvSH_.private_seg_size, 0
	.set _ZN7rocprim17ROCPRIM_400000_NS6detail17trampoline_kernelINS0_14default_configENS1_38merge_sort_block_merge_config_selectorIflEEZZNS1_27merge_sort_block_merge_implIS3_PfN6thrust23THRUST_200600_302600_NS10device_ptrIlEEjNS1_19radix_merge_compareILb0ELb0EfNS0_19identity_decomposerEEEEE10hipError_tT0_T1_T2_jT3_P12ihipStream_tbPNSt15iterator_traitsISG_E10value_typeEPNSM_ISH_E10value_typeEPSI_NS1_7vsmem_tEENKUlT_SG_SH_SI_E_clIS7_S7_SB_PlEESF_SV_SG_SH_SI_EUlSV_E_NS1_11comp_targetILNS1_3genE0ELNS1_11target_archE4294967295ELNS1_3gpuE0ELNS1_3repE0EEENS1_48merge_mergepath_partition_config_static_selectorELNS0_4arch9wavefront6targetE1EEEvSH_.uses_vcc, 0
	.set _ZN7rocprim17ROCPRIM_400000_NS6detail17trampoline_kernelINS0_14default_configENS1_38merge_sort_block_merge_config_selectorIflEEZZNS1_27merge_sort_block_merge_implIS3_PfN6thrust23THRUST_200600_302600_NS10device_ptrIlEEjNS1_19radix_merge_compareILb0ELb0EfNS0_19identity_decomposerEEEEE10hipError_tT0_T1_T2_jT3_P12ihipStream_tbPNSt15iterator_traitsISG_E10value_typeEPNSM_ISH_E10value_typeEPSI_NS1_7vsmem_tEENKUlT_SG_SH_SI_E_clIS7_S7_SB_PlEESF_SV_SG_SH_SI_EUlSV_E_NS1_11comp_targetILNS1_3genE0ELNS1_11target_archE4294967295ELNS1_3gpuE0ELNS1_3repE0EEENS1_48merge_mergepath_partition_config_static_selectorELNS0_4arch9wavefront6targetE1EEEvSH_.uses_flat_scratch, 0
	.set _ZN7rocprim17ROCPRIM_400000_NS6detail17trampoline_kernelINS0_14default_configENS1_38merge_sort_block_merge_config_selectorIflEEZZNS1_27merge_sort_block_merge_implIS3_PfN6thrust23THRUST_200600_302600_NS10device_ptrIlEEjNS1_19radix_merge_compareILb0ELb0EfNS0_19identity_decomposerEEEEE10hipError_tT0_T1_T2_jT3_P12ihipStream_tbPNSt15iterator_traitsISG_E10value_typeEPNSM_ISH_E10value_typeEPSI_NS1_7vsmem_tEENKUlT_SG_SH_SI_E_clIS7_S7_SB_PlEESF_SV_SG_SH_SI_EUlSV_E_NS1_11comp_targetILNS1_3genE0ELNS1_11target_archE4294967295ELNS1_3gpuE0ELNS1_3repE0EEENS1_48merge_mergepath_partition_config_static_selectorELNS0_4arch9wavefront6targetE1EEEvSH_.has_dyn_sized_stack, 0
	.set _ZN7rocprim17ROCPRIM_400000_NS6detail17trampoline_kernelINS0_14default_configENS1_38merge_sort_block_merge_config_selectorIflEEZZNS1_27merge_sort_block_merge_implIS3_PfN6thrust23THRUST_200600_302600_NS10device_ptrIlEEjNS1_19radix_merge_compareILb0ELb0EfNS0_19identity_decomposerEEEEE10hipError_tT0_T1_T2_jT3_P12ihipStream_tbPNSt15iterator_traitsISG_E10value_typeEPNSM_ISH_E10value_typeEPSI_NS1_7vsmem_tEENKUlT_SG_SH_SI_E_clIS7_S7_SB_PlEESF_SV_SG_SH_SI_EUlSV_E_NS1_11comp_targetILNS1_3genE0ELNS1_11target_archE4294967295ELNS1_3gpuE0ELNS1_3repE0EEENS1_48merge_mergepath_partition_config_static_selectorELNS0_4arch9wavefront6targetE1EEEvSH_.has_recursion, 0
	.set _ZN7rocprim17ROCPRIM_400000_NS6detail17trampoline_kernelINS0_14default_configENS1_38merge_sort_block_merge_config_selectorIflEEZZNS1_27merge_sort_block_merge_implIS3_PfN6thrust23THRUST_200600_302600_NS10device_ptrIlEEjNS1_19radix_merge_compareILb0ELb0EfNS0_19identity_decomposerEEEEE10hipError_tT0_T1_T2_jT3_P12ihipStream_tbPNSt15iterator_traitsISG_E10value_typeEPNSM_ISH_E10value_typeEPSI_NS1_7vsmem_tEENKUlT_SG_SH_SI_E_clIS7_S7_SB_PlEESF_SV_SG_SH_SI_EUlSV_E_NS1_11comp_targetILNS1_3genE0ELNS1_11target_archE4294967295ELNS1_3gpuE0ELNS1_3repE0EEENS1_48merge_mergepath_partition_config_static_selectorELNS0_4arch9wavefront6targetE1EEEvSH_.has_indirect_call, 0
	.section	.AMDGPU.csdata,"",@progbits
; Kernel info:
; codeLenInByte = 0
; TotalNumSgprs: 4
; NumVgprs: 0
; ScratchSize: 0
; MemoryBound: 0
; FloatMode: 240
; IeeeMode: 1
; LDSByteSize: 0 bytes/workgroup (compile time only)
; SGPRBlocks: 0
; VGPRBlocks: 0
; NumSGPRsForWavesPerEU: 4
; NumVGPRsForWavesPerEU: 1
; Occupancy: 10
; WaveLimiterHint : 0
; COMPUTE_PGM_RSRC2:SCRATCH_EN: 0
; COMPUTE_PGM_RSRC2:USER_SGPR: 6
; COMPUTE_PGM_RSRC2:TRAP_HANDLER: 0
; COMPUTE_PGM_RSRC2:TGID_X_EN: 1
; COMPUTE_PGM_RSRC2:TGID_Y_EN: 0
; COMPUTE_PGM_RSRC2:TGID_Z_EN: 0
; COMPUTE_PGM_RSRC2:TIDIG_COMP_CNT: 0
	.section	.text._ZN7rocprim17ROCPRIM_400000_NS6detail17trampoline_kernelINS0_14default_configENS1_38merge_sort_block_merge_config_selectorIflEEZZNS1_27merge_sort_block_merge_implIS3_PfN6thrust23THRUST_200600_302600_NS10device_ptrIlEEjNS1_19radix_merge_compareILb0ELb0EfNS0_19identity_decomposerEEEEE10hipError_tT0_T1_T2_jT3_P12ihipStream_tbPNSt15iterator_traitsISG_E10value_typeEPNSM_ISH_E10value_typeEPSI_NS1_7vsmem_tEENKUlT_SG_SH_SI_E_clIS7_S7_SB_PlEESF_SV_SG_SH_SI_EUlSV_E_NS1_11comp_targetILNS1_3genE10ELNS1_11target_archE1201ELNS1_3gpuE5ELNS1_3repE0EEENS1_48merge_mergepath_partition_config_static_selectorELNS0_4arch9wavefront6targetE1EEEvSH_,"axG",@progbits,_ZN7rocprim17ROCPRIM_400000_NS6detail17trampoline_kernelINS0_14default_configENS1_38merge_sort_block_merge_config_selectorIflEEZZNS1_27merge_sort_block_merge_implIS3_PfN6thrust23THRUST_200600_302600_NS10device_ptrIlEEjNS1_19radix_merge_compareILb0ELb0EfNS0_19identity_decomposerEEEEE10hipError_tT0_T1_T2_jT3_P12ihipStream_tbPNSt15iterator_traitsISG_E10value_typeEPNSM_ISH_E10value_typeEPSI_NS1_7vsmem_tEENKUlT_SG_SH_SI_E_clIS7_S7_SB_PlEESF_SV_SG_SH_SI_EUlSV_E_NS1_11comp_targetILNS1_3genE10ELNS1_11target_archE1201ELNS1_3gpuE5ELNS1_3repE0EEENS1_48merge_mergepath_partition_config_static_selectorELNS0_4arch9wavefront6targetE1EEEvSH_,comdat
	.protected	_ZN7rocprim17ROCPRIM_400000_NS6detail17trampoline_kernelINS0_14default_configENS1_38merge_sort_block_merge_config_selectorIflEEZZNS1_27merge_sort_block_merge_implIS3_PfN6thrust23THRUST_200600_302600_NS10device_ptrIlEEjNS1_19radix_merge_compareILb0ELb0EfNS0_19identity_decomposerEEEEE10hipError_tT0_T1_T2_jT3_P12ihipStream_tbPNSt15iterator_traitsISG_E10value_typeEPNSM_ISH_E10value_typeEPSI_NS1_7vsmem_tEENKUlT_SG_SH_SI_E_clIS7_S7_SB_PlEESF_SV_SG_SH_SI_EUlSV_E_NS1_11comp_targetILNS1_3genE10ELNS1_11target_archE1201ELNS1_3gpuE5ELNS1_3repE0EEENS1_48merge_mergepath_partition_config_static_selectorELNS0_4arch9wavefront6targetE1EEEvSH_ ; -- Begin function _ZN7rocprim17ROCPRIM_400000_NS6detail17trampoline_kernelINS0_14default_configENS1_38merge_sort_block_merge_config_selectorIflEEZZNS1_27merge_sort_block_merge_implIS3_PfN6thrust23THRUST_200600_302600_NS10device_ptrIlEEjNS1_19radix_merge_compareILb0ELb0EfNS0_19identity_decomposerEEEEE10hipError_tT0_T1_T2_jT3_P12ihipStream_tbPNSt15iterator_traitsISG_E10value_typeEPNSM_ISH_E10value_typeEPSI_NS1_7vsmem_tEENKUlT_SG_SH_SI_E_clIS7_S7_SB_PlEESF_SV_SG_SH_SI_EUlSV_E_NS1_11comp_targetILNS1_3genE10ELNS1_11target_archE1201ELNS1_3gpuE5ELNS1_3repE0EEENS1_48merge_mergepath_partition_config_static_selectorELNS0_4arch9wavefront6targetE1EEEvSH_
	.globl	_ZN7rocprim17ROCPRIM_400000_NS6detail17trampoline_kernelINS0_14default_configENS1_38merge_sort_block_merge_config_selectorIflEEZZNS1_27merge_sort_block_merge_implIS3_PfN6thrust23THRUST_200600_302600_NS10device_ptrIlEEjNS1_19radix_merge_compareILb0ELb0EfNS0_19identity_decomposerEEEEE10hipError_tT0_T1_T2_jT3_P12ihipStream_tbPNSt15iterator_traitsISG_E10value_typeEPNSM_ISH_E10value_typeEPSI_NS1_7vsmem_tEENKUlT_SG_SH_SI_E_clIS7_S7_SB_PlEESF_SV_SG_SH_SI_EUlSV_E_NS1_11comp_targetILNS1_3genE10ELNS1_11target_archE1201ELNS1_3gpuE5ELNS1_3repE0EEENS1_48merge_mergepath_partition_config_static_selectorELNS0_4arch9wavefront6targetE1EEEvSH_
	.p2align	8
	.type	_ZN7rocprim17ROCPRIM_400000_NS6detail17trampoline_kernelINS0_14default_configENS1_38merge_sort_block_merge_config_selectorIflEEZZNS1_27merge_sort_block_merge_implIS3_PfN6thrust23THRUST_200600_302600_NS10device_ptrIlEEjNS1_19radix_merge_compareILb0ELb0EfNS0_19identity_decomposerEEEEE10hipError_tT0_T1_T2_jT3_P12ihipStream_tbPNSt15iterator_traitsISG_E10value_typeEPNSM_ISH_E10value_typeEPSI_NS1_7vsmem_tEENKUlT_SG_SH_SI_E_clIS7_S7_SB_PlEESF_SV_SG_SH_SI_EUlSV_E_NS1_11comp_targetILNS1_3genE10ELNS1_11target_archE1201ELNS1_3gpuE5ELNS1_3repE0EEENS1_48merge_mergepath_partition_config_static_selectorELNS0_4arch9wavefront6targetE1EEEvSH_,@function
_ZN7rocprim17ROCPRIM_400000_NS6detail17trampoline_kernelINS0_14default_configENS1_38merge_sort_block_merge_config_selectorIflEEZZNS1_27merge_sort_block_merge_implIS3_PfN6thrust23THRUST_200600_302600_NS10device_ptrIlEEjNS1_19radix_merge_compareILb0ELb0EfNS0_19identity_decomposerEEEEE10hipError_tT0_T1_T2_jT3_P12ihipStream_tbPNSt15iterator_traitsISG_E10value_typeEPNSM_ISH_E10value_typeEPSI_NS1_7vsmem_tEENKUlT_SG_SH_SI_E_clIS7_S7_SB_PlEESF_SV_SG_SH_SI_EUlSV_E_NS1_11comp_targetILNS1_3genE10ELNS1_11target_archE1201ELNS1_3gpuE5ELNS1_3repE0EEENS1_48merge_mergepath_partition_config_static_selectorELNS0_4arch9wavefront6targetE1EEEvSH_: ; @_ZN7rocprim17ROCPRIM_400000_NS6detail17trampoline_kernelINS0_14default_configENS1_38merge_sort_block_merge_config_selectorIflEEZZNS1_27merge_sort_block_merge_implIS3_PfN6thrust23THRUST_200600_302600_NS10device_ptrIlEEjNS1_19radix_merge_compareILb0ELb0EfNS0_19identity_decomposerEEEEE10hipError_tT0_T1_T2_jT3_P12ihipStream_tbPNSt15iterator_traitsISG_E10value_typeEPNSM_ISH_E10value_typeEPSI_NS1_7vsmem_tEENKUlT_SG_SH_SI_E_clIS7_S7_SB_PlEESF_SV_SG_SH_SI_EUlSV_E_NS1_11comp_targetILNS1_3genE10ELNS1_11target_archE1201ELNS1_3gpuE5ELNS1_3repE0EEENS1_48merge_mergepath_partition_config_static_selectorELNS0_4arch9wavefront6targetE1EEEvSH_
; %bb.0:
	.section	.rodata,"a",@progbits
	.p2align	6, 0x0
	.amdhsa_kernel _ZN7rocprim17ROCPRIM_400000_NS6detail17trampoline_kernelINS0_14default_configENS1_38merge_sort_block_merge_config_selectorIflEEZZNS1_27merge_sort_block_merge_implIS3_PfN6thrust23THRUST_200600_302600_NS10device_ptrIlEEjNS1_19radix_merge_compareILb0ELb0EfNS0_19identity_decomposerEEEEE10hipError_tT0_T1_T2_jT3_P12ihipStream_tbPNSt15iterator_traitsISG_E10value_typeEPNSM_ISH_E10value_typeEPSI_NS1_7vsmem_tEENKUlT_SG_SH_SI_E_clIS7_S7_SB_PlEESF_SV_SG_SH_SI_EUlSV_E_NS1_11comp_targetILNS1_3genE10ELNS1_11target_archE1201ELNS1_3gpuE5ELNS1_3repE0EEENS1_48merge_mergepath_partition_config_static_selectorELNS0_4arch9wavefront6targetE1EEEvSH_
		.amdhsa_group_segment_fixed_size 0
		.amdhsa_private_segment_fixed_size 0
		.amdhsa_kernarg_size 40
		.amdhsa_user_sgpr_count 6
		.amdhsa_user_sgpr_private_segment_buffer 1
		.amdhsa_user_sgpr_dispatch_ptr 0
		.amdhsa_user_sgpr_queue_ptr 0
		.amdhsa_user_sgpr_kernarg_segment_ptr 1
		.amdhsa_user_sgpr_dispatch_id 0
		.amdhsa_user_sgpr_flat_scratch_init 0
		.amdhsa_user_sgpr_private_segment_size 0
		.amdhsa_uses_dynamic_stack 0
		.amdhsa_system_sgpr_private_segment_wavefront_offset 0
		.amdhsa_system_sgpr_workgroup_id_x 1
		.amdhsa_system_sgpr_workgroup_id_y 0
		.amdhsa_system_sgpr_workgroup_id_z 0
		.amdhsa_system_sgpr_workgroup_info 0
		.amdhsa_system_vgpr_workitem_id 0
		.amdhsa_next_free_vgpr 1
		.amdhsa_next_free_sgpr 0
		.amdhsa_reserve_vcc 0
		.amdhsa_reserve_flat_scratch 0
		.amdhsa_float_round_mode_32 0
		.amdhsa_float_round_mode_16_64 0
		.amdhsa_float_denorm_mode_32 3
		.amdhsa_float_denorm_mode_16_64 3
		.amdhsa_dx10_clamp 1
		.amdhsa_ieee_mode 1
		.amdhsa_fp16_overflow 0
		.amdhsa_exception_fp_ieee_invalid_op 0
		.amdhsa_exception_fp_denorm_src 0
		.amdhsa_exception_fp_ieee_div_zero 0
		.amdhsa_exception_fp_ieee_overflow 0
		.amdhsa_exception_fp_ieee_underflow 0
		.amdhsa_exception_fp_ieee_inexact 0
		.amdhsa_exception_int_div_zero 0
	.end_amdhsa_kernel
	.section	.text._ZN7rocprim17ROCPRIM_400000_NS6detail17trampoline_kernelINS0_14default_configENS1_38merge_sort_block_merge_config_selectorIflEEZZNS1_27merge_sort_block_merge_implIS3_PfN6thrust23THRUST_200600_302600_NS10device_ptrIlEEjNS1_19radix_merge_compareILb0ELb0EfNS0_19identity_decomposerEEEEE10hipError_tT0_T1_T2_jT3_P12ihipStream_tbPNSt15iterator_traitsISG_E10value_typeEPNSM_ISH_E10value_typeEPSI_NS1_7vsmem_tEENKUlT_SG_SH_SI_E_clIS7_S7_SB_PlEESF_SV_SG_SH_SI_EUlSV_E_NS1_11comp_targetILNS1_3genE10ELNS1_11target_archE1201ELNS1_3gpuE5ELNS1_3repE0EEENS1_48merge_mergepath_partition_config_static_selectorELNS0_4arch9wavefront6targetE1EEEvSH_,"axG",@progbits,_ZN7rocprim17ROCPRIM_400000_NS6detail17trampoline_kernelINS0_14default_configENS1_38merge_sort_block_merge_config_selectorIflEEZZNS1_27merge_sort_block_merge_implIS3_PfN6thrust23THRUST_200600_302600_NS10device_ptrIlEEjNS1_19radix_merge_compareILb0ELb0EfNS0_19identity_decomposerEEEEE10hipError_tT0_T1_T2_jT3_P12ihipStream_tbPNSt15iterator_traitsISG_E10value_typeEPNSM_ISH_E10value_typeEPSI_NS1_7vsmem_tEENKUlT_SG_SH_SI_E_clIS7_S7_SB_PlEESF_SV_SG_SH_SI_EUlSV_E_NS1_11comp_targetILNS1_3genE10ELNS1_11target_archE1201ELNS1_3gpuE5ELNS1_3repE0EEENS1_48merge_mergepath_partition_config_static_selectorELNS0_4arch9wavefront6targetE1EEEvSH_,comdat
.Lfunc_end1785:
	.size	_ZN7rocprim17ROCPRIM_400000_NS6detail17trampoline_kernelINS0_14default_configENS1_38merge_sort_block_merge_config_selectorIflEEZZNS1_27merge_sort_block_merge_implIS3_PfN6thrust23THRUST_200600_302600_NS10device_ptrIlEEjNS1_19radix_merge_compareILb0ELb0EfNS0_19identity_decomposerEEEEE10hipError_tT0_T1_T2_jT3_P12ihipStream_tbPNSt15iterator_traitsISG_E10value_typeEPNSM_ISH_E10value_typeEPSI_NS1_7vsmem_tEENKUlT_SG_SH_SI_E_clIS7_S7_SB_PlEESF_SV_SG_SH_SI_EUlSV_E_NS1_11comp_targetILNS1_3genE10ELNS1_11target_archE1201ELNS1_3gpuE5ELNS1_3repE0EEENS1_48merge_mergepath_partition_config_static_selectorELNS0_4arch9wavefront6targetE1EEEvSH_, .Lfunc_end1785-_ZN7rocprim17ROCPRIM_400000_NS6detail17trampoline_kernelINS0_14default_configENS1_38merge_sort_block_merge_config_selectorIflEEZZNS1_27merge_sort_block_merge_implIS3_PfN6thrust23THRUST_200600_302600_NS10device_ptrIlEEjNS1_19radix_merge_compareILb0ELb0EfNS0_19identity_decomposerEEEEE10hipError_tT0_T1_T2_jT3_P12ihipStream_tbPNSt15iterator_traitsISG_E10value_typeEPNSM_ISH_E10value_typeEPSI_NS1_7vsmem_tEENKUlT_SG_SH_SI_E_clIS7_S7_SB_PlEESF_SV_SG_SH_SI_EUlSV_E_NS1_11comp_targetILNS1_3genE10ELNS1_11target_archE1201ELNS1_3gpuE5ELNS1_3repE0EEENS1_48merge_mergepath_partition_config_static_selectorELNS0_4arch9wavefront6targetE1EEEvSH_
                                        ; -- End function
	.set _ZN7rocprim17ROCPRIM_400000_NS6detail17trampoline_kernelINS0_14default_configENS1_38merge_sort_block_merge_config_selectorIflEEZZNS1_27merge_sort_block_merge_implIS3_PfN6thrust23THRUST_200600_302600_NS10device_ptrIlEEjNS1_19radix_merge_compareILb0ELb0EfNS0_19identity_decomposerEEEEE10hipError_tT0_T1_T2_jT3_P12ihipStream_tbPNSt15iterator_traitsISG_E10value_typeEPNSM_ISH_E10value_typeEPSI_NS1_7vsmem_tEENKUlT_SG_SH_SI_E_clIS7_S7_SB_PlEESF_SV_SG_SH_SI_EUlSV_E_NS1_11comp_targetILNS1_3genE10ELNS1_11target_archE1201ELNS1_3gpuE5ELNS1_3repE0EEENS1_48merge_mergepath_partition_config_static_selectorELNS0_4arch9wavefront6targetE1EEEvSH_.num_vgpr, 0
	.set _ZN7rocprim17ROCPRIM_400000_NS6detail17trampoline_kernelINS0_14default_configENS1_38merge_sort_block_merge_config_selectorIflEEZZNS1_27merge_sort_block_merge_implIS3_PfN6thrust23THRUST_200600_302600_NS10device_ptrIlEEjNS1_19radix_merge_compareILb0ELb0EfNS0_19identity_decomposerEEEEE10hipError_tT0_T1_T2_jT3_P12ihipStream_tbPNSt15iterator_traitsISG_E10value_typeEPNSM_ISH_E10value_typeEPSI_NS1_7vsmem_tEENKUlT_SG_SH_SI_E_clIS7_S7_SB_PlEESF_SV_SG_SH_SI_EUlSV_E_NS1_11comp_targetILNS1_3genE10ELNS1_11target_archE1201ELNS1_3gpuE5ELNS1_3repE0EEENS1_48merge_mergepath_partition_config_static_selectorELNS0_4arch9wavefront6targetE1EEEvSH_.num_agpr, 0
	.set _ZN7rocprim17ROCPRIM_400000_NS6detail17trampoline_kernelINS0_14default_configENS1_38merge_sort_block_merge_config_selectorIflEEZZNS1_27merge_sort_block_merge_implIS3_PfN6thrust23THRUST_200600_302600_NS10device_ptrIlEEjNS1_19radix_merge_compareILb0ELb0EfNS0_19identity_decomposerEEEEE10hipError_tT0_T1_T2_jT3_P12ihipStream_tbPNSt15iterator_traitsISG_E10value_typeEPNSM_ISH_E10value_typeEPSI_NS1_7vsmem_tEENKUlT_SG_SH_SI_E_clIS7_S7_SB_PlEESF_SV_SG_SH_SI_EUlSV_E_NS1_11comp_targetILNS1_3genE10ELNS1_11target_archE1201ELNS1_3gpuE5ELNS1_3repE0EEENS1_48merge_mergepath_partition_config_static_selectorELNS0_4arch9wavefront6targetE1EEEvSH_.numbered_sgpr, 0
	.set _ZN7rocprim17ROCPRIM_400000_NS6detail17trampoline_kernelINS0_14default_configENS1_38merge_sort_block_merge_config_selectorIflEEZZNS1_27merge_sort_block_merge_implIS3_PfN6thrust23THRUST_200600_302600_NS10device_ptrIlEEjNS1_19radix_merge_compareILb0ELb0EfNS0_19identity_decomposerEEEEE10hipError_tT0_T1_T2_jT3_P12ihipStream_tbPNSt15iterator_traitsISG_E10value_typeEPNSM_ISH_E10value_typeEPSI_NS1_7vsmem_tEENKUlT_SG_SH_SI_E_clIS7_S7_SB_PlEESF_SV_SG_SH_SI_EUlSV_E_NS1_11comp_targetILNS1_3genE10ELNS1_11target_archE1201ELNS1_3gpuE5ELNS1_3repE0EEENS1_48merge_mergepath_partition_config_static_selectorELNS0_4arch9wavefront6targetE1EEEvSH_.num_named_barrier, 0
	.set _ZN7rocprim17ROCPRIM_400000_NS6detail17trampoline_kernelINS0_14default_configENS1_38merge_sort_block_merge_config_selectorIflEEZZNS1_27merge_sort_block_merge_implIS3_PfN6thrust23THRUST_200600_302600_NS10device_ptrIlEEjNS1_19radix_merge_compareILb0ELb0EfNS0_19identity_decomposerEEEEE10hipError_tT0_T1_T2_jT3_P12ihipStream_tbPNSt15iterator_traitsISG_E10value_typeEPNSM_ISH_E10value_typeEPSI_NS1_7vsmem_tEENKUlT_SG_SH_SI_E_clIS7_S7_SB_PlEESF_SV_SG_SH_SI_EUlSV_E_NS1_11comp_targetILNS1_3genE10ELNS1_11target_archE1201ELNS1_3gpuE5ELNS1_3repE0EEENS1_48merge_mergepath_partition_config_static_selectorELNS0_4arch9wavefront6targetE1EEEvSH_.private_seg_size, 0
	.set _ZN7rocprim17ROCPRIM_400000_NS6detail17trampoline_kernelINS0_14default_configENS1_38merge_sort_block_merge_config_selectorIflEEZZNS1_27merge_sort_block_merge_implIS3_PfN6thrust23THRUST_200600_302600_NS10device_ptrIlEEjNS1_19radix_merge_compareILb0ELb0EfNS0_19identity_decomposerEEEEE10hipError_tT0_T1_T2_jT3_P12ihipStream_tbPNSt15iterator_traitsISG_E10value_typeEPNSM_ISH_E10value_typeEPSI_NS1_7vsmem_tEENKUlT_SG_SH_SI_E_clIS7_S7_SB_PlEESF_SV_SG_SH_SI_EUlSV_E_NS1_11comp_targetILNS1_3genE10ELNS1_11target_archE1201ELNS1_3gpuE5ELNS1_3repE0EEENS1_48merge_mergepath_partition_config_static_selectorELNS0_4arch9wavefront6targetE1EEEvSH_.uses_vcc, 0
	.set _ZN7rocprim17ROCPRIM_400000_NS6detail17trampoline_kernelINS0_14default_configENS1_38merge_sort_block_merge_config_selectorIflEEZZNS1_27merge_sort_block_merge_implIS3_PfN6thrust23THRUST_200600_302600_NS10device_ptrIlEEjNS1_19radix_merge_compareILb0ELb0EfNS0_19identity_decomposerEEEEE10hipError_tT0_T1_T2_jT3_P12ihipStream_tbPNSt15iterator_traitsISG_E10value_typeEPNSM_ISH_E10value_typeEPSI_NS1_7vsmem_tEENKUlT_SG_SH_SI_E_clIS7_S7_SB_PlEESF_SV_SG_SH_SI_EUlSV_E_NS1_11comp_targetILNS1_3genE10ELNS1_11target_archE1201ELNS1_3gpuE5ELNS1_3repE0EEENS1_48merge_mergepath_partition_config_static_selectorELNS0_4arch9wavefront6targetE1EEEvSH_.uses_flat_scratch, 0
	.set _ZN7rocprim17ROCPRIM_400000_NS6detail17trampoline_kernelINS0_14default_configENS1_38merge_sort_block_merge_config_selectorIflEEZZNS1_27merge_sort_block_merge_implIS3_PfN6thrust23THRUST_200600_302600_NS10device_ptrIlEEjNS1_19radix_merge_compareILb0ELb0EfNS0_19identity_decomposerEEEEE10hipError_tT0_T1_T2_jT3_P12ihipStream_tbPNSt15iterator_traitsISG_E10value_typeEPNSM_ISH_E10value_typeEPSI_NS1_7vsmem_tEENKUlT_SG_SH_SI_E_clIS7_S7_SB_PlEESF_SV_SG_SH_SI_EUlSV_E_NS1_11comp_targetILNS1_3genE10ELNS1_11target_archE1201ELNS1_3gpuE5ELNS1_3repE0EEENS1_48merge_mergepath_partition_config_static_selectorELNS0_4arch9wavefront6targetE1EEEvSH_.has_dyn_sized_stack, 0
	.set _ZN7rocprim17ROCPRIM_400000_NS6detail17trampoline_kernelINS0_14default_configENS1_38merge_sort_block_merge_config_selectorIflEEZZNS1_27merge_sort_block_merge_implIS3_PfN6thrust23THRUST_200600_302600_NS10device_ptrIlEEjNS1_19radix_merge_compareILb0ELb0EfNS0_19identity_decomposerEEEEE10hipError_tT0_T1_T2_jT3_P12ihipStream_tbPNSt15iterator_traitsISG_E10value_typeEPNSM_ISH_E10value_typeEPSI_NS1_7vsmem_tEENKUlT_SG_SH_SI_E_clIS7_S7_SB_PlEESF_SV_SG_SH_SI_EUlSV_E_NS1_11comp_targetILNS1_3genE10ELNS1_11target_archE1201ELNS1_3gpuE5ELNS1_3repE0EEENS1_48merge_mergepath_partition_config_static_selectorELNS0_4arch9wavefront6targetE1EEEvSH_.has_recursion, 0
	.set _ZN7rocprim17ROCPRIM_400000_NS6detail17trampoline_kernelINS0_14default_configENS1_38merge_sort_block_merge_config_selectorIflEEZZNS1_27merge_sort_block_merge_implIS3_PfN6thrust23THRUST_200600_302600_NS10device_ptrIlEEjNS1_19radix_merge_compareILb0ELb0EfNS0_19identity_decomposerEEEEE10hipError_tT0_T1_T2_jT3_P12ihipStream_tbPNSt15iterator_traitsISG_E10value_typeEPNSM_ISH_E10value_typeEPSI_NS1_7vsmem_tEENKUlT_SG_SH_SI_E_clIS7_S7_SB_PlEESF_SV_SG_SH_SI_EUlSV_E_NS1_11comp_targetILNS1_3genE10ELNS1_11target_archE1201ELNS1_3gpuE5ELNS1_3repE0EEENS1_48merge_mergepath_partition_config_static_selectorELNS0_4arch9wavefront6targetE1EEEvSH_.has_indirect_call, 0
	.section	.AMDGPU.csdata,"",@progbits
; Kernel info:
; codeLenInByte = 0
; TotalNumSgprs: 4
; NumVgprs: 0
; ScratchSize: 0
; MemoryBound: 0
; FloatMode: 240
; IeeeMode: 1
; LDSByteSize: 0 bytes/workgroup (compile time only)
; SGPRBlocks: 0
; VGPRBlocks: 0
; NumSGPRsForWavesPerEU: 4
; NumVGPRsForWavesPerEU: 1
; Occupancy: 10
; WaveLimiterHint : 0
; COMPUTE_PGM_RSRC2:SCRATCH_EN: 0
; COMPUTE_PGM_RSRC2:USER_SGPR: 6
; COMPUTE_PGM_RSRC2:TRAP_HANDLER: 0
; COMPUTE_PGM_RSRC2:TGID_X_EN: 1
; COMPUTE_PGM_RSRC2:TGID_Y_EN: 0
; COMPUTE_PGM_RSRC2:TGID_Z_EN: 0
; COMPUTE_PGM_RSRC2:TIDIG_COMP_CNT: 0
	.section	.text._ZN7rocprim17ROCPRIM_400000_NS6detail17trampoline_kernelINS0_14default_configENS1_38merge_sort_block_merge_config_selectorIflEEZZNS1_27merge_sort_block_merge_implIS3_PfN6thrust23THRUST_200600_302600_NS10device_ptrIlEEjNS1_19radix_merge_compareILb0ELb0EfNS0_19identity_decomposerEEEEE10hipError_tT0_T1_T2_jT3_P12ihipStream_tbPNSt15iterator_traitsISG_E10value_typeEPNSM_ISH_E10value_typeEPSI_NS1_7vsmem_tEENKUlT_SG_SH_SI_E_clIS7_S7_SB_PlEESF_SV_SG_SH_SI_EUlSV_E_NS1_11comp_targetILNS1_3genE5ELNS1_11target_archE942ELNS1_3gpuE9ELNS1_3repE0EEENS1_48merge_mergepath_partition_config_static_selectorELNS0_4arch9wavefront6targetE1EEEvSH_,"axG",@progbits,_ZN7rocprim17ROCPRIM_400000_NS6detail17trampoline_kernelINS0_14default_configENS1_38merge_sort_block_merge_config_selectorIflEEZZNS1_27merge_sort_block_merge_implIS3_PfN6thrust23THRUST_200600_302600_NS10device_ptrIlEEjNS1_19radix_merge_compareILb0ELb0EfNS0_19identity_decomposerEEEEE10hipError_tT0_T1_T2_jT3_P12ihipStream_tbPNSt15iterator_traitsISG_E10value_typeEPNSM_ISH_E10value_typeEPSI_NS1_7vsmem_tEENKUlT_SG_SH_SI_E_clIS7_S7_SB_PlEESF_SV_SG_SH_SI_EUlSV_E_NS1_11comp_targetILNS1_3genE5ELNS1_11target_archE942ELNS1_3gpuE9ELNS1_3repE0EEENS1_48merge_mergepath_partition_config_static_selectorELNS0_4arch9wavefront6targetE1EEEvSH_,comdat
	.protected	_ZN7rocprim17ROCPRIM_400000_NS6detail17trampoline_kernelINS0_14default_configENS1_38merge_sort_block_merge_config_selectorIflEEZZNS1_27merge_sort_block_merge_implIS3_PfN6thrust23THRUST_200600_302600_NS10device_ptrIlEEjNS1_19radix_merge_compareILb0ELb0EfNS0_19identity_decomposerEEEEE10hipError_tT0_T1_T2_jT3_P12ihipStream_tbPNSt15iterator_traitsISG_E10value_typeEPNSM_ISH_E10value_typeEPSI_NS1_7vsmem_tEENKUlT_SG_SH_SI_E_clIS7_S7_SB_PlEESF_SV_SG_SH_SI_EUlSV_E_NS1_11comp_targetILNS1_3genE5ELNS1_11target_archE942ELNS1_3gpuE9ELNS1_3repE0EEENS1_48merge_mergepath_partition_config_static_selectorELNS0_4arch9wavefront6targetE1EEEvSH_ ; -- Begin function _ZN7rocprim17ROCPRIM_400000_NS6detail17trampoline_kernelINS0_14default_configENS1_38merge_sort_block_merge_config_selectorIflEEZZNS1_27merge_sort_block_merge_implIS3_PfN6thrust23THRUST_200600_302600_NS10device_ptrIlEEjNS1_19radix_merge_compareILb0ELb0EfNS0_19identity_decomposerEEEEE10hipError_tT0_T1_T2_jT3_P12ihipStream_tbPNSt15iterator_traitsISG_E10value_typeEPNSM_ISH_E10value_typeEPSI_NS1_7vsmem_tEENKUlT_SG_SH_SI_E_clIS7_S7_SB_PlEESF_SV_SG_SH_SI_EUlSV_E_NS1_11comp_targetILNS1_3genE5ELNS1_11target_archE942ELNS1_3gpuE9ELNS1_3repE0EEENS1_48merge_mergepath_partition_config_static_selectorELNS0_4arch9wavefront6targetE1EEEvSH_
	.globl	_ZN7rocprim17ROCPRIM_400000_NS6detail17trampoline_kernelINS0_14default_configENS1_38merge_sort_block_merge_config_selectorIflEEZZNS1_27merge_sort_block_merge_implIS3_PfN6thrust23THRUST_200600_302600_NS10device_ptrIlEEjNS1_19radix_merge_compareILb0ELb0EfNS0_19identity_decomposerEEEEE10hipError_tT0_T1_T2_jT3_P12ihipStream_tbPNSt15iterator_traitsISG_E10value_typeEPNSM_ISH_E10value_typeEPSI_NS1_7vsmem_tEENKUlT_SG_SH_SI_E_clIS7_S7_SB_PlEESF_SV_SG_SH_SI_EUlSV_E_NS1_11comp_targetILNS1_3genE5ELNS1_11target_archE942ELNS1_3gpuE9ELNS1_3repE0EEENS1_48merge_mergepath_partition_config_static_selectorELNS0_4arch9wavefront6targetE1EEEvSH_
	.p2align	8
	.type	_ZN7rocprim17ROCPRIM_400000_NS6detail17trampoline_kernelINS0_14default_configENS1_38merge_sort_block_merge_config_selectorIflEEZZNS1_27merge_sort_block_merge_implIS3_PfN6thrust23THRUST_200600_302600_NS10device_ptrIlEEjNS1_19radix_merge_compareILb0ELb0EfNS0_19identity_decomposerEEEEE10hipError_tT0_T1_T2_jT3_P12ihipStream_tbPNSt15iterator_traitsISG_E10value_typeEPNSM_ISH_E10value_typeEPSI_NS1_7vsmem_tEENKUlT_SG_SH_SI_E_clIS7_S7_SB_PlEESF_SV_SG_SH_SI_EUlSV_E_NS1_11comp_targetILNS1_3genE5ELNS1_11target_archE942ELNS1_3gpuE9ELNS1_3repE0EEENS1_48merge_mergepath_partition_config_static_selectorELNS0_4arch9wavefront6targetE1EEEvSH_,@function
_ZN7rocprim17ROCPRIM_400000_NS6detail17trampoline_kernelINS0_14default_configENS1_38merge_sort_block_merge_config_selectorIflEEZZNS1_27merge_sort_block_merge_implIS3_PfN6thrust23THRUST_200600_302600_NS10device_ptrIlEEjNS1_19radix_merge_compareILb0ELb0EfNS0_19identity_decomposerEEEEE10hipError_tT0_T1_T2_jT3_P12ihipStream_tbPNSt15iterator_traitsISG_E10value_typeEPNSM_ISH_E10value_typeEPSI_NS1_7vsmem_tEENKUlT_SG_SH_SI_E_clIS7_S7_SB_PlEESF_SV_SG_SH_SI_EUlSV_E_NS1_11comp_targetILNS1_3genE5ELNS1_11target_archE942ELNS1_3gpuE9ELNS1_3repE0EEENS1_48merge_mergepath_partition_config_static_selectorELNS0_4arch9wavefront6targetE1EEEvSH_: ; @_ZN7rocprim17ROCPRIM_400000_NS6detail17trampoline_kernelINS0_14default_configENS1_38merge_sort_block_merge_config_selectorIflEEZZNS1_27merge_sort_block_merge_implIS3_PfN6thrust23THRUST_200600_302600_NS10device_ptrIlEEjNS1_19radix_merge_compareILb0ELb0EfNS0_19identity_decomposerEEEEE10hipError_tT0_T1_T2_jT3_P12ihipStream_tbPNSt15iterator_traitsISG_E10value_typeEPNSM_ISH_E10value_typeEPSI_NS1_7vsmem_tEENKUlT_SG_SH_SI_E_clIS7_S7_SB_PlEESF_SV_SG_SH_SI_EUlSV_E_NS1_11comp_targetILNS1_3genE5ELNS1_11target_archE942ELNS1_3gpuE9ELNS1_3repE0EEENS1_48merge_mergepath_partition_config_static_selectorELNS0_4arch9wavefront6targetE1EEEvSH_
; %bb.0:
	.section	.rodata,"a",@progbits
	.p2align	6, 0x0
	.amdhsa_kernel _ZN7rocprim17ROCPRIM_400000_NS6detail17trampoline_kernelINS0_14default_configENS1_38merge_sort_block_merge_config_selectorIflEEZZNS1_27merge_sort_block_merge_implIS3_PfN6thrust23THRUST_200600_302600_NS10device_ptrIlEEjNS1_19radix_merge_compareILb0ELb0EfNS0_19identity_decomposerEEEEE10hipError_tT0_T1_T2_jT3_P12ihipStream_tbPNSt15iterator_traitsISG_E10value_typeEPNSM_ISH_E10value_typeEPSI_NS1_7vsmem_tEENKUlT_SG_SH_SI_E_clIS7_S7_SB_PlEESF_SV_SG_SH_SI_EUlSV_E_NS1_11comp_targetILNS1_3genE5ELNS1_11target_archE942ELNS1_3gpuE9ELNS1_3repE0EEENS1_48merge_mergepath_partition_config_static_selectorELNS0_4arch9wavefront6targetE1EEEvSH_
		.amdhsa_group_segment_fixed_size 0
		.amdhsa_private_segment_fixed_size 0
		.amdhsa_kernarg_size 40
		.amdhsa_user_sgpr_count 6
		.amdhsa_user_sgpr_private_segment_buffer 1
		.amdhsa_user_sgpr_dispatch_ptr 0
		.amdhsa_user_sgpr_queue_ptr 0
		.amdhsa_user_sgpr_kernarg_segment_ptr 1
		.amdhsa_user_sgpr_dispatch_id 0
		.amdhsa_user_sgpr_flat_scratch_init 0
		.amdhsa_user_sgpr_private_segment_size 0
		.amdhsa_uses_dynamic_stack 0
		.amdhsa_system_sgpr_private_segment_wavefront_offset 0
		.amdhsa_system_sgpr_workgroup_id_x 1
		.amdhsa_system_sgpr_workgroup_id_y 0
		.amdhsa_system_sgpr_workgroup_id_z 0
		.amdhsa_system_sgpr_workgroup_info 0
		.amdhsa_system_vgpr_workitem_id 0
		.amdhsa_next_free_vgpr 1
		.amdhsa_next_free_sgpr 0
		.amdhsa_reserve_vcc 0
		.amdhsa_reserve_flat_scratch 0
		.amdhsa_float_round_mode_32 0
		.amdhsa_float_round_mode_16_64 0
		.amdhsa_float_denorm_mode_32 3
		.amdhsa_float_denorm_mode_16_64 3
		.amdhsa_dx10_clamp 1
		.amdhsa_ieee_mode 1
		.amdhsa_fp16_overflow 0
		.amdhsa_exception_fp_ieee_invalid_op 0
		.amdhsa_exception_fp_denorm_src 0
		.amdhsa_exception_fp_ieee_div_zero 0
		.amdhsa_exception_fp_ieee_overflow 0
		.amdhsa_exception_fp_ieee_underflow 0
		.amdhsa_exception_fp_ieee_inexact 0
		.amdhsa_exception_int_div_zero 0
	.end_amdhsa_kernel
	.section	.text._ZN7rocprim17ROCPRIM_400000_NS6detail17trampoline_kernelINS0_14default_configENS1_38merge_sort_block_merge_config_selectorIflEEZZNS1_27merge_sort_block_merge_implIS3_PfN6thrust23THRUST_200600_302600_NS10device_ptrIlEEjNS1_19radix_merge_compareILb0ELb0EfNS0_19identity_decomposerEEEEE10hipError_tT0_T1_T2_jT3_P12ihipStream_tbPNSt15iterator_traitsISG_E10value_typeEPNSM_ISH_E10value_typeEPSI_NS1_7vsmem_tEENKUlT_SG_SH_SI_E_clIS7_S7_SB_PlEESF_SV_SG_SH_SI_EUlSV_E_NS1_11comp_targetILNS1_3genE5ELNS1_11target_archE942ELNS1_3gpuE9ELNS1_3repE0EEENS1_48merge_mergepath_partition_config_static_selectorELNS0_4arch9wavefront6targetE1EEEvSH_,"axG",@progbits,_ZN7rocprim17ROCPRIM_400000_NS6detail17trampoline_kernelINS0_14default_configENS1_38merge_sort_block_merge_config_selectorIflEEZZNS1_27merge_sort_block_merge_implIS3_PfN6thrust23THRUST_200600_302600_NS10device_ptrIlEEjNS1_19radix_merge_compareILb0ELb0EfNS0_19identity_decomposerEEEEE10hipError_tT0_T1_T2_jT3_P12ihipStream_tbPNSt15iterator_traitsISG_E10value_typeEPNSM_ISH_E10value_typeEPSI_NS1_7vsmem_tEENKUlT_SG_SH_SI_E_clIS7_S7_SB_PlEESF_SV_SG_SH_SI_EUlSV_E_NS1_11comp_targetILNS1_3genE5ELNS1_11target_archE942ELNS1_3gpuE9ELNS1_3repE0EEENS1_48merge_mergepath_partition_config_static_selectorELNS0_4arch9wavefront6targetE1EEEvSH_,comdat
.Lfunc_end1786:
	.size	_ZN7rocprim17ROCPRIM_400000_NS6detail17trampoline_kernelINS0_14default_configENS1_38merge_sort_block_merge_config_selectorIflEEZZNS1_27merge_sort_block_merge_implIS3_PfN6thrust23THRUST_200600_302600_NS10device_ptrIlEEjNS1_19radix_merge_compareILb0ELb0EfNS0_19identity_decomposerEEEEE10hipError_tT0_T1_T2_jT3_P12ihipStream_tbPNSt15iterator_traitsISG_E10value_typeEPNSM_ISH_E10value_typeEPSI_NS1_7vsmem_tEENKUlT_SG_SH_SI_E_clIS7_S7_SB_PlEESF_SV_SG_SH_SI_EUlSV_E_NS1_11comp_targetILNS1_3genE5ELNS1_11target_archE942ELNS1_3gpuE9ELNS1_3repE0EEENS1_48merge_mergepath_partition_config_static_selectorELNS0_4arch9wavefront6targetE1EEEvSH_, .Lfunc_end1786-_ZN7rocprim17ROCPRIM_400000_NS6detail17trampoline_kernelINS0_14default_configENS1_38merge_sort_block_merge_config_selectorIflEEZZNS1_27merge_sort_block_merge_implIS3_PfN6thrust23THRUST_200600_302600_NS10device_ptrIlEEjNS1_19radix_merge_compareILb0ELb0EfNS0_19identity_decomposerEEEEE10hipError_tT0_T1_T2_jT3_P12ihipStream_tbPNSt15iterator_traitsISG_E10value_typeEPNSM_ISH_E10value_typeEPSI_NS1_7vsmem_tEENKUlT_SG_SH_SI_E_clIS7_S7_SB_PlEESF_SV_SG_SH_SI_EUlSV_E_NS1_11comp_targetILNS1_3genE5ELNS1_11target_archE942ELNS1_3gpuE9ELNS1_3repE0EEENS1_48merge_mergepath_partition_config_static_selectorELNS0_4arch9wavefront6targetE1EEEvSH_
                                        ; -- End function
	.set _ZN7rocprim17ROCPRIM_400000_NS6detail17trampoline_kernelINS0_14default_configENS1_38merge_sort_block_merge_config_selectorIflEEZZNS1_27merge_sort_block_merge_implIS3_PfN6thrust23THRUST_200600_302600_NS10device_ptrIlEEjNS1_19radix_merge_compareILb0ELb0EfNS0_19identity_decomposerEEEEE10hipError_tT0_T1_T2_jT3_P12ihipStream_tbPNSt15iterator_traitsISG_E10value_typeEPNSM_ISH_E10value_typeEPSI_NS1_7vsmem_tEENKUlT_SG_SH_SI_E_clIS7_S7_SB_PlEESF_SV_SG_SH_SI_EUlSV_E_NS1_11comp_targetILNS1_3genE5ELNS1_11target_archE942ELNS1_3gpuE9ELNS1_3repE0EEENS1_48merge_mergepath_partition_config_static_selectorELNS0_4arch9wavefront6targetE1EEEvSH_.num_vgpr, 0
	.set _ZN7rocprim17ROCPRIM_400000_NS6detail17trampoline_kernelINS0_14default_configENS1_38merge_sort_block_merge_config_selectorIflEEZZNS1_27merge_sort_block_merge_implIS3_PfN6thrust23THRUST_200600_302600_NS10device_ptrIlEEjNS1_19radix_merge_compareILb0ELb0EfNS0_19identity_decomposerEEEEE10hipError_tT0_T1_T2_jT3_P12ihipStream_tbPNSt15iterator_traitsISG_E10value_typeEPNSM_ISH_E10value_typeEPSI_NS1_7vsmem_tEENKUlT_SG_SH_SI_E_clIS7_S7_SB_PlEESF_SV_SG_SH_SI_EUlSV_E_NS1_11comp_targetILNS1_3genE5ELNS1_11target_archE942ELNS1_3gpuE9ELNS1_3repE0EEENS1_48merge_mergepath_partition_config_static_selectorELNS0_4arch9wavefront6targetE1EEEvSH_.num_agpr, 0
	.set _ZN7rocprim17ROCPRIM_400000_NS6detail17trampoline_kernelINS0_14default_configENS1_38merge_sort_block_merge_config_selectorIflEEZZNS1_27merge_sort_block_merge_implIS3_PfN6thrust23THRUST_200600_302600_NS10device_ptrIlEEjNS1_19radix_merge_compareILb0ELb0EfNS0_19identity_decomposerEEEEE10hipError_tT0_T1_T2_jT3_P12ihipStream_tbPNSt15iterator_traitsISG_E10value_typeEPNSM_ISH_E10value_typeEPSI_NS1_7vsmem_tEENKUlT_SG_SH_SI_E_clIS7_S7_SB_PlEESF_SV_SG_SH_SI_EUlSV_E_NS1_11comp_targetILNS1_3genE5ELNS1_11target_archE942ELNS1_3gpuE9ELNS1_3repE0EEENS1_48merge_mergepath_partition_config_static_selectorELNS0_4arch9wavefront6targetE1EEEvSH_.numbered_sgpr, 0
	.set _ZN7rocprim17ROCPRIM_400000_NS6detail17trampoline_kernelINS0_14default_configENS1_38merge_sort_block_merge_config_selectorIflEEZZNS1_27merge_sort_block_merge_implIS3_PfN6thrust23THRUST_200600_302600_NS10device_ptrIlEEjNS1_19radix_merge_compareILb0ELb0EfNS0_19identity_decomposerEEEEE10hipError_tT0_T1_T2_jT3_P12ihipStream_tbPNSt15iterator_traitsISG_E10value_typeEPNSM_ISH_E10value_typeEPSI_NS1_7vsmem_tEENKUlT_SG_SH_SI_E_clIS7_S7_SB_PlEESF_SV_SG_SH_SI_EUlSV_E_NS1_11comp_targetILNS1_3genE5ELNS1_11target_archE942ELNS1_3gpuE9ELNS1_3repE0EEENS1_48merge_mergepath_partition_config_static_selectorELNS0_4arch9wavefront6targetE1EEEvSH_.num_named_barrier, 0
	.set _ZN7rocprim17ROCPRIM_400000_NS6detail17trampoline_kernelINS0_14default_configENS1_38merge_sort_block_merge_config_selectorIflEEZZNS1_27merge_sort_block_merge_implIS3_PfN6thrust23THRUST_200600_302600_NS10device_ptrIlEEjNS1_19radix_merge_compareILb0ELb0EfNS0_19identity_decomposerEEEEE10hipError_tT0_T1_T2_jT3_P12ihipStream_tbPNSt15iterator_traitsISG_E10value_typeEPNSM_ISH_E10value_typeEPSI_NS1_7vsmem_tEENKUlT_SG_SH_SI_E_clIS7_S7_SB_PlEESF_SV_SG_SH_SI_EUlSV_E_NS1_11comp_targetILNS1_3genE5ELNS1_11target_archE942ELNS1_3gpuE9ELNS1_3repE0EEENS1_48merge_mergepath_partition_config_static_selectorELNS0_4arch9wavefront6targetE1EEEvSH_.private_seg_size, 0
	.set _ZN7rocprim17ROCPRIM_400000_NS6detail17trampoline_kernelINS0_14default_configENS1_38merge_sort_block_merge_config_selectorIflEEZZNS1_27merge_sort_block_merge_implIS3_PfN6thrust23THRUST_200600_302600_NS10device_ptrIlEEjNS1_19radix_merge_compareILb0ELb0EfNS0_19identity_decomposerEEEEE10hipError_tT0_T1_T2_jT3_P12ihipStream_tbPNSt15iterator_traitsISG_E10value_typeEPNSM_ISH_E10value_typeEPSI_NS1_7vsmem_tEENKUlT_SG_SH_SI_E_clIS7_S7_SB_PlEESF_SV_SG_SH_SI_EUlSV_E_NS1_11comp_targetILNS1_3genE5ELNS1_11target_archE942ELNS1_3gpuE9ELNS1_3repE0EEENS1_48merge_mergepath_partition_config_static_selectorELNS0_4arch9wavefront6targetE1EEEvSH_.uses_vcc, 0
	.set _ZN7rocprim17ROCPRIM_400000_NS6detail17trampoline_kernelINS0_14default_configENS1_38merge_sort_block_merge_config_selectorIflEEZZNS1_27merge_sort_block_merge_implIS3_PfN6thrust23THRUST_200600_302600_NS10device_ptrIlEEjNS1_19radix_merge_compareILb0ELb0EfNS0_19identity_decomposerEEEEE10hipError_tT0_T1_T2_jT3_P12ihipStream_tbPNSt15iterator_traitsISG_E10value_typeEPNSM_ISH_E10value_typeEPSI_NS1_7vsmem_tEENKUlT_SG_SH_SI_E_clIS7_S7_SB_PlEESF_SV_SG_SH_SI_EUlSV_E_NS1_11comp_targetILNS1_3genE5ELNS1_11target_archE942ELNS1_3gpuE9ELNS1_3repE0EEENS1_48merge_mergepath_partition_config_static_selectorELNS0_4arch9wavefront6targetE1EEEvSH_.uses_flat_scratch, 0
	.set _ZN7rocprim17ROCPRIM_400000_NS6detail17trampoline_kernelINS0_14default_configENS1_38merge_sort_block_merge_config_selectorIflEEZZNS1_27merge_sort_block_merge_implIS3_PfN6thrust23THRUST_200600_302600_NS10device_ptrIlEEjNS1_19radix_merge_compareILb0ELb0EfNS0_19identity_decomposerEEEEE10hipError_tT0_T1_T2_jT3_P12ihipStream_tbPNSt15iterator_traitsISG_E10value_typeEPNSM_ISH_E10value_typeEPSI_NS1_7vsmem_tEENKUlT_SG_SH_SI_E_clIS7_S7_SB_PlEESF_SV_SG_SH_SI_EUlSV_E_NS1_11comp_targetILNS1_3genE5ELNS1_11target_archE942ELNS1_3gpuE9ELNS1_3repE0EEENS1_48merge_mergepath_partition_config_static_selectorELNS0_4arch9wavefront6targetE1EEEvSH_.has_dyn_sized_stack, 0
	.set _ZN7rocprim17ROCPRIM_400000_NS6detail17trampoline_kernelINS0_14default_configENS1_38merge_sort_block_merge_config_selectorIflEEZZNS1_27merge_sort_block_merge_implIS3_PfN6thrust23THRUST_200600_302600_NS10device_ptrIlEEjNS1_19radix_merge_compareILb0ELb0EfNS0_19identity_decomposerEEEEE10hipError_tT0_T1_T2_jT3_P12ihipStream_tbPNSt15iterator_traitsISG_E10value_typeEPNSM_ISH_E10value_typeEPSI_NS1_7vsmem_tEENKUlT_SG_SH_SI_E_clIS7_S7_SB_PlEESF_SV_SG_SH_SI_EUlSV_E_NS1_11comp_targetILNS1_3genE5ELNS1_11target_archE942ELNS1_3gpuE9ELNS1_3repE0EEENS1_48merge_mergepath_partition_config_static_selectorELNS0_4arch9wavefront6targetE1EEEvSH_.has_recursion, 0
	.set _ZN7rocprim17ROCPRIM_400000_NS6detail17trampoline_kernelINS0_14default_configENS1_38merge_sort_block_merge_config_selectorIflEEZZNS1_27merge_sort_block_merge_implIS3_PfN6thrust23THRUST_200600_302600_NS10device_ptrIlEEjNS1_19radix_merge_compareILb0ELb0EfNS0_19identity_decomposerEEEEE10hipError_tT0_T1_T2_jT3_P12ihipStream_tbPNSt15iterator_traitsISG_E10value_typeEPNSM_ISH_E10value_typeEPSI_NS1_7vsmem_tEENKUlT_SG_SH_SI_E_clIS7_S7_SB_PlEESF_SV_SG_SH_SI_EUlSV_E_NS1_11comp_targetILNS1_3genE5ELNS1_11target_archE942ELNS1_3gpuE9ELNS1_3repE0EEENS1_48merge_mergepath_partition_config_static_selectorELNS0_4arch9wavefront6targetE1EEEvSH_.has_indirect_call, 0
	.section	.AMDGPU.csdata,"",@progbits
; Kernel info:
; codeLenInByte = 0
; TotalNumSgprs: 4
; NumVgprs: 0
; ScratchSize: 0
; MemoryBound: 0
; FloatMode: 240
; IeeeMode: 1
; LDSByteSize: 0 bytes/workgroup (compile time only)
; SGPRBlocks: 0
; VGPRBlocks: 0
; NumSGPRsForWavesPerEU: 4
; NumVGPRsForWavesPerEU: 1
; Occupancy: 10
; WaveLimiterHint : 0
; COMPUTE_PGM_RSRC2:SCRATCH_EN: 0
; COMPUTE_PGM_RSRC2:USER_SGPR: 6
; COMPUTE_PGM_RSRC2:TRAP_HANDLER: 0
; COMPUTE_PGM_RSRC2:TGID_X_EN: 1
; COMPUTE_PGM_RSRC2:TGID_Y_EN: 0
; COMPUTE_PGM_RSRC2:TGID_Z_EN: 0
; COMPUTE_PGM_RSRC2:TIDIG_COMP_CNT: 0
	.section	.text._ZN7rocprim17ROCPRIM_400000_NS6detail17trampoline_kernelINS0_14default_configENS1_38merge_sort_block_merge_config_selectorIflEEZZNS1_27merge_sort_block_merge_implIS3_PfN6thrust23THRUST_200600_302600_NS10device_ptrIlEEjNS1_19radix_merge_compareILb0ELb0EfNS0_19identity_decomposerEEEEE10hipError_tT0_T1_T2_jT3_P12ihipStream_tbPNSt15iterator_traitsISG_E10value_typeEPNSM_ISH_E10value_typeEPSI_NS1_7vsmem_tEENKUlT_SG_SH_SI_E_clIS7_S7_SB_PlEESF_SV_SG_SH_SI_EUlSV_E_NS1_11comp_targetILNS1_3genE4ELNS1_11target_archE910ELNS1_3gpuE8ELNS1_3repE0EEENS1_48merge_mergepath_partition_config_static_selectorELNS0_4arch9wavefront6targetE1EEEvSH_,"axG",@progbits,_ZN7rocprim17ROCPRIM_400000_NS6detail17trampoline_kernelINS0_14default_configENS1_38merge_sort_block_merge_config_selectorIflEEZZNS1_27merge_sort_block_merge_implIS3_PfN6thrust23THRUST_200600_302600_NS10device_ptrIlEEjNS1_19radix_merge_compareILb0ELb0EfNS0_19identity_decomposerEEEEE10hipError_tT0_T1_T2_jT3_P12ihipStream_tbPNSt15iterator_traitsISG_E10value_typeEPNSM_ISH_E10value_typeEPSI_NS1_7vsmem_tEENKUlT_SG_SH_SI_E_clIS7_S7_SB_PlEESF_SV_SG_SH_SI_EUlSV_E_NS1_11comp_targetILNS1_3genE4ELNS1_11target_archE910ELNS1_3gpuE8ELNS1_3repE0EEENS1_48merge_mergepath_partition_config_static_selectorELNS0_4arch9wavefront6targetE1EEEvSH_,comdat
	.protected	_ZN7rocprim17ROCPRIM_400000_NS6detail17trampoline_kernelINS0_14default_configENS1_38merge_sort_block_merge_config_selectorIflEEZZNS1_27merge_sort_block_merge_implIS3_PfN6thrust23THRUST_200600_302600_NS10device_ptrIlEEjNS1_19radix_merge_compareILb0ELb0EfNS0_19identity_decomposerEEEEE10hipError_tT0_T1_T2_jT3_P12ihipStream_tbPNSt15iterator_traitsISG_E10value_typeEPNSM_ISH_E10value_typeEPSI_NS1_7vsmem_tEENKUlT_SG_SH_SI_E_clIS7_S7_SB_PlEESF_SV_SG_SH_SI_EUlSV_E_NS1_11comp_targetILNS1_3genE4ELNS1_11target_archE910ELNS1_3gpuE8ELNS1_3repE0EEENS1_48merge_mergepath_partition_config_static_selectorELNS0_4arch9wavefront6targetE1EEEvSH_ ; -- Begin function _ZN7rocprim17ROCPRIM_400000_NS6detail17trampoline_kernelINS0_14default_configENS1_38merge_sort_block_merge_config_selectorIflEEZZNS1_27merge_sort_block_merge_implIS3_PfN6thrust23THRUST_200600_302600_NS10device_ptrIlEEjNS1_19radix_merge_compareILb0ELb0EfNS0_19identity_decomposerEEEEE10hipError_tT0_T1_T2_jT3_P12ihipStream_tbPNSt15iterator_traitsISG_E10value_typeEPNSM_ISH_E10value_typeEPSI_NS1_7vsmem_tEENKUlT_SG_SH_SI_E_clIS7_S7_SB_PlEESF_SV_SG_SH_SI_EUlSV_E_NS1_11comp_targetILNS1_3genE4ELNS1_11target_archE910ELNS1_3gpuE8ELNS1_3repE0EEENS1_48merge_mergepath_partition_config_static_selectorELNS0_4arch9wavefront6targetE1EEEvSH_
	.globl	_ZN7rocprim17ROCPRIM_400000_NS6detail17trampoline_kernelINS0_14default_configENS1_38merge_sort_block_merge_config_selectorIflEEZZNS1_27merge_sort_block_merge_implIS3_PfN6thrust23THRUST_200600_302600_NS10device_ptrIlEEjNS1_19radix_merge_compareILb0ELb0EfNS0_19identity_decomposerEEEEE10hipError_tT0_T1_T2_jT3_P12ihipStream_tbPNSt15iterator_traitsISG_E10value_typeEPNSM_ISH_E10value_typeEPSI_NS1_7vsmem_tEENKUlT_SG_SH_SI_E_clIS7_S7_SB_PlEESF_SV_SG_SH_SI_EUlSV_E_NS1_11comp_targetILNS1_3genE4ELNS1_11target_archE910ELNS1_3gpuE8ELNS1_3repE0EEENS1_48merge_mergepath_partition_config_static_selectorELNS0_4arch9wavefront6targetE1EEEvSH_
	.p2align	8
	.type	_ZN7rocprim17ROCPRIM_400000_NS6detail17trampoline_kernelINS0_14default_configENS1_38merge_sort_block_merge_config_selectorIflEEZZNS1_27merge_sort_block_merge_implIS3_PfN6thrust23THRUST_200600_302600_NS10device_ptrIlEEjNS1_19radix_merge_compareILb0ELb0EfNS0_19identity_decomposerEEEEE10hipError_tT0_T1_T2_jT3_P12ihipStream_tbPNSt15iterator_traitsISG_E10value_typeEPNSM_ISH_E10value_typeEPSI_NS1_7vsmem_tEENKUlT_SG_SH_SI_E_clIS7_S7_SB_PlEESF_SV_SG_SH_SI_EUlSV_E_NS1_11comp_targetILNS1_3genE4ELNS1_11target_archE910ELNS1_3gpuE8ELNS1_3repE0EEENS1_48merge_mergepath_partition_config_static_selectorELNS0_4arch9wavefront6targetE1EEEvSH_,@function
_ZN7rocprim17ROCPRIM_400000_NS6detail17trampoline_kernelINS0_14default_configENS1_38merge_sort_block_merge_config_selectorIflEEZZNS1_27merge_sort_block_merge_implIS3_PfN6thrust23THRUST_200600_302600_NS10device_ptrIlEEjNS1_19radix_merge_compareILb0ELb0EfNS0_19identity_decomposerEEEEE10hipError_tT0_T1_T2_jT3_P12ihipStream_tbPNSt15iterator_traitsISG_E10value_typeEPNSM_ISH_E10value_typeEPSI_NS1_7vsmem_tEENKUlT_SG_SH_SI_E_clIS7_S7_SB_PlEESF_SV_SG_SH_SI_EUlSV_E_NS1_11comp_targetILNS1_3genE4ELNS1_11target_archE910ELNS1_3gpuE8ELNS1_3repE0EEENS1_48merge_mergepath_partition_config_static_selectorELNS0_4arch9wavefront6targetE1EEEvSH_: ; @_ZN7rocprim17ROCPRIM_400000_NS6detail17trampoline_kernelINS0_14default_configENS1_38merge_sort_block_merge_config_selectorIflEEZZNS1_27merge_sort_block_merge_implIS3_PfN6thrust23THRUST_200600_302600_NS10device_ptrIlEEjNS1_19radix_merge_compareILb0ELb0EfNS0_19identity_decomposerEEEEE10hipError_tT0_T1_T2_jT3_P12ihipStream_tbPNSt15iterator_traitsISG_E10value_typeEPNSM_ISH_E10value_typeEPSI_NS1_7vsmem_tEENKUlT_SG_SH_SI_E_clIS7_S7_SB_PlEESF_SV_SG_SH_SI_EUlSV_E_NS1_11comp_targetILNS1_3genE4ELNS1_11target_archE910ELNS1_3gpuE8ELNS1_3repE0EEENS1_48merge_mergepath_partition_config_static_selectorELNS0_4arch9wavefront6targetE1EEEvSH_
; %bb.0:
	.section	.rodata,"a",@progbits
	.p2align	6, 0x0
	.amdhsa_kernel _ZN7rocprim17ROCPRIM_400000_NS6detail17trampoline_kernelINS0_14default_configENS1_38merge_sort_block_merge_config_selectorIflEEZZNS1_27merge_sort_block_merge_implIS3_PfN6thrust23THRUST_200600_302600_NS10device_ptrIlEEjNS1_19radix_merge_compareILb0ELb0EfNS0_19identity_decomposerEEEEE10hipError_tT0_T1_T2_jT3_P12ihipStream_tbPNSt15iterator_traitsISG_E10value_typeEPNSM_ISH_E10value_typeEPSI_NS1_7vsmem_tEENKUlT_SG_SH_SI_E_clIS7_S7_SB_PlEESF_SV_SG_SH_SI_EUlSV_E_NS1_11comp_targetILNS1_3genE4ELNS1_11target_archE910ELNS1_3gpuE8ELNS1_3repE0EEENS1_48merge_mergepath_partition_config_static_selectorELNS0_4arch9wavefront6targetE1EEEvSH_
		.amdhsa_group_segment_fixed_size 0
		.amdhsa_private_segment_fixed_size 0
		.amdhsa_kernarg_size 40
		.amdhsa_user_sgpr_count 6
		.amdhsa_user_sgpr_private_segment_buffer 1
		.amdhsa_user_sgpr_dispatch_ptr 0
		.amdhsa_user_sgpr_queue_ptr 0
		.amdhsa_user_sgpr_kernarg_segment_ptr 1
		.amdhsa_user_sgpr_dispatch_id 0
		.amdhsa_user_sgpr_flat_scratch_init 0
		.amdhsa_user_sgpr_private_segment_size 0
		.amdhsa_uses_dynamic_stack 0
		.amdhsa_system_sgpr_private_segment_wavefront_offset 0
		.amdhsa_system_sgpr_workgroup_id_x 1
		.amdhsa_system_sgpr_workgroup_id_y 0
		.amdhsa_system_sgpr_workgroup_id_z 0
		.amdhsa_system_sgpr_workgroup_info 0
		.amdhsa_system_vgpr_workitem_id 0
		.amdhsa_next_free_vgpr 1
		.amdhsa_next_free_sgpr 0
		.amdhsa_reserve_vcc 0
		.amdhsa_reserve_flat_scratch 0
		.amdhsa_float_round_mode_32 0
		.amdhsa_float_round_mode_16_64 0
		.amdhsa_float_denorm_mode_32 3
		.amdhsa_float_denorm_mode_16_64 3
		.amdhsa_dx10_clamp 1
		.amdhsa_ieee_mode 1
		.amdhsa_fp16_overflow 0
		.amdhsa_exception_fp_ieee_invalid_op 0
		.amdhsa_exception_fp_denorm_src 0
		.amdhsa_exception_fp_ieee_div_zero 0
		.amdhsa_exception_fp_ieee_overflow 0
		.amdhsa_exception_fp_ieee_underflow 0
		.amdhsa_exception_fp_ieee_inexact 0
		.amdhsa_exception_int_div_zero 0
	.end_amdhsa_kernel
	.section	.text._ZN7rocprim17ROCPRIM_400000_NS6detail17trampoline_kernelINS0_14default_configENS1_38merge_sort_block_merge_config_selectorIflEEZZNS1_27merge_sort_block_merge_implIS3_PfN6thrust23THRUST_200600_302600_NS10device_ptrIlEEjNS1_19radix_merge_compareILb0ELb0EfNS0_19identity_decomposerEEEEE10hipError_tT0_T1_T2_jT3_P12ihipStream_tbPNSt15iterator_traitsISG_E10value_typeEPNSM_ISH_E10value_typeEPSI_NS1_7vsmem_tEENKUlT_SG_SH_SI_E_clIS7_S7_SB_PlEESF_SV_SG_SH_SI_EUlSV_E_NS1_11comp_targetILNS1_3genE4ELNS1_11target_archE910ELNS1_3gpuE8ELNS1_3repE0EEENS1_48merge_mergepath_partition_config_static_selectorELNS0_4arch9wavefront6targetE1EEEvSH_,"axG",@progbits,_ZN7rocprim17ROCPRIM_400000_NS6detail17trampoline_kernelINS0_14default_configENS1_38merge_sort_block_merge_config_selectorIflEEZZNS1_27merge_sort_block_merge_implIS3_PfN6thrust23THRUST_200600_302600_NS10device_ptrIlEEjNS1_19radix_merge_compareILb0ELb0EfNS0_19identity_decomposerEEEEE10hipError_tT0_T1_T2_jT3_P12ihipStream_tbPNSt15iterator_traitsISG_E10value_typeEPNSM_ISH_E10value_typeEPSI_NS1_7vsmem_tEENKUlT_SG_SH_SI_E_clIS7_S7_SB_PlEESF_SV_SG_SH_SI_EUlSV_E_NS1_11comp_targetILNS1_3genE4ELNS1_11target_archE910ELNS1_3gpuE8ELNS1_3repE0EEENS1_48merge_mergepath_partition_config_static_selectorELNS0_4arch9wavefront6targetE1EEEvSH_,comdat
.Lfunc_end1787:
	.size	_ZN7rocprim17ROCPRIM_400000_NS6detail17trampoline_kernelINS0_14default_configENS1_38merge_sort_block_merge_config_selectorIflEEZZNS1_27merge_sort_block_merge_implIS3_PfN6thrust23THRUST_200600_302600_NS10device_ptrIlEEjNS1_19radix_merge_compareILb0ELb0EfNS0_19identity_decomposerEEEEE10hipError_tT0_T1_T2_jT3_P12ihipStream_tbPNSt15iterator_traitsISG_E10value_typeEPNSM_ISH_E10value_typeEPSI_NS1_7vsmem_tEENKUlT_SG_SH_SI_E_clIS7_S7_SB_PlEESF_SV_SG_SH_SI_EUlSV_E_NS1_11comp_targetILNS1_3genE4ELNS1_11target_archE910ELNS1_3gpuE8ELNS1_3repE0EEENS1_48merge_mergepath_partition_config_static_selectorELNS0_4arch9wavefront6targetE1EEEvSH_, .Lfunc_end1787-_ZN7rocprim17ROCPRIM_400000_NS6detail17trampoline_kernelINS0_14default_configENS1_38merge_sort_block_merge_config_selectorIflEEZZNS1_27merge_sort_block_merge_implIS3_PfN6thrust23THRUST_200600_302600_NS10device_ptrIlEEjNS1_19radix_merge_compareILb0ELb0EfNS0_19identity_decomposerEEEEE10hipError_tT0_T1_T2_jT3_P12ihipStream_tbPNSt15iterator_traitsISG_E10value_typeEPNSM_ISH_E10value_typeEPSI_NS1_7vsmem_tEENKUlT_SG_SH_SI_E_clIS7_S7_SB_PlEESF_SV_SG_SH_SI_EUlSV_E_NS1_11comp_targetILNS1_3genE4ELNS1_11target_archE910ELNS1_3gpuE8ELNS1_3repE0EEENS1_48merge_mergepath_partition_config_static_selectorELNS0_4arch9wavefront6targetE1EEEvSH_
                                        ; -- End function
	.set _ZN7rocprim17ROCPRIM_400000_NS6detail17trampoline_kernelINS0_14default_configENS1_38merge_sort_block_merge_config_selectorIflEEZZNS1_27merge_sort_block_merge_implIS3_PfN6thrust23THRUST_200600_302600_NS10device_ptrIlEEjNS1_19radix_merge_compareILb0ELb0EfNS0_19identity_decomposerEEEEE10hipError_tT0_T1_T2_jT3_P12ihipStream_tbPNSt15iterator_traitsISG_E10value_typeEPNSM_ISH_E10value_typeEPSI_NS1_7vsmem_tEENKUlT_SG_SH_SI_E_clIS7_S7_SB_PlEESF_SV_SG_SH_SI_EUlSV_E_NS1_11comp_targetILNS1_3genE4ELNS1_11target_archE910ELNS1_3gpuE8ELNS1_3repE0EEENS1_48merge_mergepath_partition_config_static_selectorELNS0_4arch9wavefront6targetE1EEEvSH_.num_vgpr, 0
	.set _ZN7rocprim17ROCPRIM_400000_NS6detail17trampoline_kernelINS0_14default_configENS1_38merge_sort_block_merge_config_selectorIflEEZZNS1_27merge_sort_block_merge_implIS3_PfN6thrust23THRUST_200600_302600_NS10device_ptrIlEEjNS1_19radix_merge_compareILb0ELb0EfNS0_19identity_decomposerEEEEE10hipError_tT0_T1_T2_jT3_P12ihipStream_tbPNSt15iterator_traitsISG_E10value_typeEPNSM_ISH_E10value_typeEPSI_NS1_7vsmem_tEENKUlT_SG_SH_SI_E_clIS7_S7_SB_PlEESF_SV_SG_SH_SI_EUlSV_E_NS1_11comp_targetILNS1_3genE4ELNS1_11target_archE910ELNS1_3gpuE8ELNS1_3repE0EEENS1_48merge_mergepath_partition_config_static_selectorELNS0_4arch9wavefront6targetE1EEEvSH_.num_agpr, 0
	.set _ZN7rocprim17ROCPRIM_400000_NS6detail17trampoline_kernelINS0_14default_configENS1_38merge_sort_block_merge_config_selectorIflEEZZNS1_27merge_sort_block_merge_implIS3_PfN6thrust23THRUST_200600_302600_NS10device_ptrIlEEjNS1_19radix_merge_compareILb0ELb0EfNS0_19identity_decomposerEEEEE10hipError_tT0_T1_T2_jT3_P12ihipStream_tbPNSt15iterator_traitsISG_E10value_typeEPNSM_ISH_E10value_typeEPSI_NS1_7vsmem_tEENKUlT_SG_SH_SI_E_clIS7_S7_SB_PlEESF_SV_SG_SH_SI_EUlSV_E_NS1_11comp_targetILNS1_3genE4ELNS1_11target_archE910ELNS1_3gpuE8ELNS1_3repE0EEENS1_48merge_mergepath_partition_config_static_selectorELNS0_4arch9wavefront6targetE1EEEvSH_.numbered_sgpr, 0
	.set _ZN7rocprim17ROCPRIM_400000_NS6detail17trampoline_kernelINS0_14default_configENS1_38merge_sort_block_merge_config_selectorIflEEZZNS1_27merge_sort_block_merge_implIS3_PfN6thrust23THRUST_200600_302600_NS10device_ptrIlEEjNS1_19radix_merge_compareILb0ELb0EfNS0_19identity_decomposerEEEEE10hipError_tT0_T1_T2_jT3_P12ihipStream_tbPNSt15iterator_traitsISG_E10value_typeEPNSM_ISH_E10value_typeEPSI_NS1_7vsmem_tEENKUlT_SG_SH_SI_E_clIS7_S7_SB_PlEESF_SV_SG_SH_SI_EUlSV_E_NS1_11comp_targetILNS1_3genE4ELNS1_11target_archE910ELNS1_3gpuE8ELNS1_3repE0EEENS1_48merge_mergepath_partition_config_static_selectorELNS0_4arch9wavefront6targetE1EEEvSH_.num_named_barrier, 0
	.set _ZN7rocprim17ROCPRIM_400000_NS6detail17trampoline_kernelINS0_14default_configENS1_38merge_sort_block_merge_config_selectorIflEEZZNS1_27merge_sort_block_merge_implIS3_PfN6thrust23THRUST_200600_302600_NS10device_ptrIlEEjNS1_19radix_merge_compareILb0ELb0EfNS0_19identity_decomposerEEEEE10hipError_tT0_T1_T2_jT3_P12ihipStream_tbPNSt15iterator_traitsISG_E10value_typeEPNSM_ISH_E10value_typeEPSI_NS1_7vsmem_tEENKUlT_SG_SH_SI_E_clIS7_S7_SB_PlEESF_SV_SG_SH_SI_EUlSV_E_NS1_11comp_targetILNS1_3genE4ELNS1_11target_archE910ELNS1_3gpuE8ELNS1_3repE0EEENS1_48merge_mergepath_partition_config_static_selectorELNS0_4arch9wavefront6targetE1EEEvSH_.private_seg_size, 0
	.set _ZN7rocprim17ROCPRIM_400000_NS6detail17trampoline_kernelINS0_14default_configENS1_38merge_sort_block_merge_config_selectorIflEEZZNS1_27merge_sort_block_merge_implIS3_PfN6thrust23THRUST_200600_302600_NS10device_ptrIlEEjNS1_19radix_merge_compareILb0ELb0EfNS0_19identity_decomposerEEEEE10hipError_tT0_T1_T2_jT3_P12ihipStream_tbPNSt15iterator_traitsISG_E10value_typeEPNSM_ISH_E10value_typeEPSI_NS1_7vsmem_tEENKUlT_SG_SH_SI_E_clIS7_S7_SB_PlEESF_SV_SG_SH_SI_EUlSV_E_NS1_11comp_targetILNS1_3genE4ELNS1_11target_archE910ELNS1_3gpuE8ELNS1_3repE0EEENS1_48merge_mergepath_partition_config_static_selectorELNS0_4arch9wavefront6targetE1EEEvSH_.uses_vcc, 0
	.set _ZN7rocprim17ROCPRIM_400000_NS6detail17trampoline_kernelINS0_14default_configENS1_38merge_sort_block_merge_config_selectorIflEEZZNS1_27merge_sort_block_merge_implIS3_PfN6thrust23THRUST_200600_302600_NS10device_ptrIlEEjNS1_19radix_merge_compareILb0ELb0EfNS0_19identity_decomposerEEEEE10hipError_tT0_T1_T2_jT3_P12ihipStream_tbPNSt15iterator_traitsISG_E10value_typeEPNSM_ISH_E10value_typeEPSI_NS1_7vsmem_tEENKUlT_SG_SH_SI_E_clIS7_S7_SB_PlEESF_SV_SG_SH_SI_EUlSV_E_NS1_11comp_targetILNS1_3genE4ELNS1_11target_archE910ELNS1_3gpuE8ELNS1_3repE0EEENS1_48merge_mergepath_partition_config_static_selectorELNS0_4arch9wavefront6targetE1EEEvSH_.uses_flat_scratch, 0
	.set _ZN7rocprim17ROCPRIM_400000_NS6detail17trampoline_kernelINS0_14default_configENS1_38merge_sort_block_merge_config_selectorIflEEZZNS1_27merge_sort_block_merge_implIS3_PfN6thrust23THRUST_200600_302600_NS10device_ptrIlEEjNS1_19radix_merge_compareILb0ELb0EfNS0_19identity_decomposerEEEEE10hipError_tT0_T1_T2_jT3_P12ihipStream_tbPNSt15iterator_traitsISG_E10value_typeEPNSM_ISH_E10value_typeEPSI_NS1_7vsmem_tEENKUlT_SG_SH_SI_E_clIS7_S7_SB_PlEESF_SV_SG_SH_SI_EUlSV_E_NS1_11comp_targetILNS1_3genE4ELNS1_11target_archE910ELNS1_3gpuE8ELNS1_3repE0EEENS1_48merge_mergepath_partition_config_static_selectorELNS0_4arch9wavefront6targetE1EEEvSH_.has_dyn_sized_stack, 0
	.set _ZN7rocprim17ROCPRIM_400000_NS6detail17trampoline_kernelINS0_14default_configENS1_38merge_sort_block_merge_config_selectorIflEEZZNS1_27merge_sort_block_merge_implIS3_PfN6thrust23THRUST_200600_302600_NS10device_ptrIlEEjNS1_19radix_merge_compareILb0ELb0EfNS0_19identity_decomposerEEEEE10hipError_tT0_T1_T2_jT3_P12ihipStream_tbPNSt15iterator_traitsISG_E10value_typeEPNSM_ISH_E10value_typeEPSI_NS1_7vsmem_tEENKUlT_SG_SH_SI_E_clIS7_S7_SB_PlEESF_SV_SG_SH_SI_EUlSV_E_NS1_11comp_targetILNS1_3genE4ELNS1_11target_archE910ELNS1_3gpuE8ELNS1_3repE0EEENS1_48merge_mergepath_partition_config_static_selectorELNS0_4arch9wavefront6targetE1EEEvSH_.has_recursion, 0
	.set _ZN7rocprim17ROCPRIM_400000_NS6detail17trampoline_kernelINS0_14default_configENS1_38merge_sort_block_merge_config_selectorIflEEZZNS1_27merge_sort_block_merge_implIS3_PfN6thrust23THRUST_200600_302600_NS10device_ptrIlEEjNS1_19radix_merge_compareILb0ELb0EfNS0_19identity_decomposerEEEEE10hipError_tT0_T1_T2_jT3_P12ihipStream_tbPNSt15iterator_traitsISG_E10value_typeEPNSM_ISH_E10value_typeEPSI_NS1_7vsmem_tEENKUlT_SG_SH_SI_E_clIS7_S7_SB_PlEESF_SV_SG_SH_SI_EUlSV_E_NS1_11comp_targetILNS1_3genE4ELNS1_11target_archE910ELNS1_3gpuE8ELNS1_3repE0EEENS1_48merge_mergepath_partition_config_static_selectorELNS0_4arch9wavefront6targetE1EEEvSH_.has_indirect_call, 0
	.section	.AMDGPU.csdata,"",@progbits
; Kernel info:
; codeLenInByte = 0
; TotalNumSgprs: 4
; NumVgprs: 0
; ScratchSize: 0
; MemoryBound: 0
; FloatMode: 240
; IeeeMode: 1
; LDSByteSize: 0 bytes/workgroup (compile time only)
; SGPRBlocks: 0
; VGPRBlocks: 0
; NumSGPRsForWavesPerEU: 4
; NumVGPRsForWavesPerEU: 1
; Occupancy: 10
; WaveLimiterHint : 0
; COMPUTE_PGM_RSRC2:SCRATCH_EN: 0
; COMPUTE_PGM_RSRC2:USER_SGPR: 6
; COMPUTE_PGM_RSRC2:TRAP_HANDLER: 0
; COMPUTE_PGM_RSRC2:TGID_X_EN: 1
; COMPUTE_PGM_RSRC2:TGID_Y_EN: 0
; COMPUTE_PGM_RSRC2:TGID_Z_EN: 0
; COMPUTE_PGM_RSRC2:TIDIG_COMP_CNT: 0
	.section	.text._ZN7rocprim17ROCPRIM_400000_NS6detail17trampoline_kernelINS0_14default_configENS1_38merge_sort_block_merge_config_selectorIflEEZZNS1_27merge_sort_block_merge_implIS3_PfN6thrust23THRUST_200600_302600_NS10device_ptrIlEEjNS1_19radix_merge_compareILb0ELb0EfNS0_19identity_decomposerEEEEE10hipError_tT0_T1_T2_jT3_P12ihipStream_tbPNSt15iterator_traitsISG_E10value_typeEPNSM_ISH_E10value_typeEPSI_NS1_7vsmem_tEENKUlT_SG_SH_SI_E_clIS7_S7_SB_PlEESF_SV_SG_SH_SI_EUlSV_E_NS1_11comp_targetILNS1_3genE3ELNS1_11target_archE908ELNS1_3gpuE7ELNS1_3repE0EEENS1_48merge_mergepath_partition_config_static_selectorELNS0_4arch9wavefront6targetE1EEEvSH_,"axG",@progbits,_ZN7rocprim17ROCPRIM_400000_NS6detail17trampoline_kernelINS0_14default_configENS1_38merge_sort_block_merge_config_selectorIflEEZZNS1_27merge_sort_block_merge_implIS3_PfN6thrust23THRUST_200600_302600_NS10device_ptrIlEEjNS1_19radix_merge_compareILb0ELb0EfNS0_19identity_decomposerEEEEE10hipError_tT0_T1_T2_jT3_P12ihipStream_tbPNSt15iterator_traitsISG_E10value_typeEPNSM_ISH_E10value_typeEPSI_NS1_7vsmem_tEENKUlT_SG_SH_SI_E_clIS7_S7_SB_PlEESF_SV_SG_SH_SI_EUlSV_E_NS1_11comp_targetILNS1_3genE3ELNS1_11target_archE908ELNS1_3gpuE7ELNS1_3repE0EEENS1_48merge_mergepath_partition_config_static_selectorELNS0_4arch9wavefront6targetE1EEEvSH_,comdat
	.protected	_ZN7rocprim17ROCPRIM_400000_NS6detail17trampoline_kernelINS0_14default_configENS1_38merge_sort_block_merge_config_selectorIflEEZZNS1_27merge_sort_block_merge_implIS3_PfN6thrust23THRUST_200600_302600_NS10device_ptrIlEEjNS1_19radix_merge_compareILb0ELb0EfNS0_19identity_decomposerEEEEE10hipError_tT0_T1_T2_jT3_P12ihipStream_tbPNSt15iterator_traitsISG_E10value_typeEPNSM_ISH_E10value_typeEPSI_NS1_7vsmem_tEENKUlT_SG_SH_SI_E_clIS7_S7_SB_PlEESF_SV_SG_SH_SI_EUlSV_E_NS1_11comp_targetILNS1_3genE3ELNS1_11target_archE908ELNS1_3gpuE7ELNS1_3repE0EEENS1_48merge_mergepath_partition_config_static_selectorELNS0_4arch9wavefront6targetE1EEEvSH_ ; -- Begin function _ZN7rocprim17ROCPRIM_400000_NS6detail17trampoline_kernelINS0_14default_configENS1_38merge_sort_block_merge_config_selectorIflEEZZNS1_27merge_sort_block_merge_implIS3_PfN6thrust23THRUST_200600_302600_NS10device_ptrIlEEjNS1_19radix_merge_compareILb0ELb0EfNS0_19identity_decomposerEEEEE10hipError_tT0_T1_T2_jT3_P12ihipStream_tbPNSt15iterator_traitsISG_E10value_typeEPNSM_ISH_E10value_typeEPSI_NS1_7vsmem_tEENKUlT_SG_SH_SI_E_clIS7_S7_SB_PlEESF_SV_SG_SH_SI_EUlSV_E_NS1_11comp_targetILNS1_3genE3ELNS1_11target_archE908ELNS1_3gpuE7ELNS1_3repE0EEENS1_48merge_mergepath_partition_config_static_selectorELNS0_4arch9wavefront6targetE1EEEvSH_
	.globl	_ZN7rocprim17ROCPRIM_400000_NS6detail17trampoline_kernelINS0_14default_configENS1_38merge_sort_block_merge_config_selectorIflEEZZNS1_27merge_sort_block_merge_implIS3_PfN6thrust23THRUST_200600_302600_NS10device_ptrIlEEjNS1_19radix_merge_compareILb0ELb0EfNS0_19identity_decomposerEEEEE10hipError_tT0_T1_T2_jT3_P12ihipStream_tbPNSt15iterator_traitsISG_E10value_typeEPNSM_ISH_E10value_typeEPSI_NS1_7vsmem_tEENKUlT_SG_SH_SI_E_clIS7_S7_SB_PlEESF_SV_SG_SH_SI_EUlSV_E_NS1_11comp_targetILNS1_3genE3ELNS1_11target_archE908ELNS1_3gpuE7ELNS1_3repE0EEENS1_48merge_mergepath_partition_config_static_selectorELNS0_4arch9wavefront6targetE1EEEvSH_
	.p2align	8
	.type	_ZN7rocprim17ROCPRIM_400000_NS6detail17trampoline_kernelINS0_14default_configENS1_38merge_sort_block_merge_config_selectorIflEEZZNS1_27merge_sort_block_merge_implIS3_PfN6thrust23THRUST_200600_302600_NS10device_ptrIlEEjNS1_19radix_merge_compareILb0ELb0EfNS0_19identity_decomposerEEEEE10hipError_tT0_T1_T2_jT3_P12ihipStream_tbPNSt15iterator_traitsISG_E10value_typeEPNSM_ISH_E10value_typeEPSI_NS1_7vsmem_tEENKUlT_SG_SH_SI_E_clIS7_S7_SB_PlEESF_SV_SG_SH_SI_EUlSV_E_NS1_11comp_targetILNS1_3genE3ELNS1_11target_archE908ELNS1_3gpuE7ELNS1_3repE0EEENS1_48merge_mergepath_partition_config_static_selectorELNS0_4arch9wavefront6targetE1EEEvSH_,@function
_ZN7rocprim17ROCPRIM_400000_NS6detail17trampoline_kernelINS0_14default_configENS1_38merge_sort_block_merge_config_selectorIflEEZZNS1_27merge_sort_block_merge_implIS3_PfN6thrust23THRUST_200600_302600_NS10device_ptrIlEEjNS1_19radix_merge_compareILb0ELb0EfNS0_19identity_decomposerEEEEE10hipError_tT0_T1_T2_jT3_P12ihipStream_tbPNSt15iterator_traitsISG_E10value_typeEPNSM_ISH_E10value_typeEPSI_NS1_7vsmem_tEENKUlT_SG_SH_SI_E_clIS7_S7_SB_PlEESF_SV_SG_SH_SI_EUlSV_E_NS1_11comp_targetILNS1_3genE3ELNS1_11target_archE908ELNS1_3gpuE7ELNS1_3repE0EEENS1_48merge_mergepath_partition_config_static_selectorELNS0_4arch9wavefront6targetE1EEEvSH_: ; @_ZN7rocprim17ROCPRIM_400000_NS6detail17trampoline_kernelINS0_14default_configENS1_38merge_sort_block_merge_config_selectorIflEEZZNS1_27merge_sort_block_merge_implIS3_PfN6thrust23THRUST_200600_302600_NS10device_ptrIlEEjNS1_19radix_merge_compareILb0ELb0EfNS0_19identity_decomposerEEEEE10hipError_tT0_T1_T2_jT3_P12ihipStream_tbPNSt15iterator_traitsISG_E10value_typeEPNSM_ISH_E10value_typeEPSI_NS1_7vsmem_tEENKUlT_SG_SH_SI_E_clIS7_S7_SB_PlEESF_SV_SG_SH_SI_EUlSV_E_NS1_11comp_targetILNS1_3genE3ELNS1_11target_archE908ELNS1_3gpuE7ELNS1_3repE0EEENS1_48merge_mergepath_partition_config_static_selectorELNS0_4arch9wavefront6targetE1EEEvSH_
; %bb.0:
	.section	.rodata,"a",@progbits
	.p2align	6, 0x0
	.amdhsa_kernel _ZN7rocprim17ROCPRIM_400000_NS6detail17trampoline_kernelINS0_14default_configENS1_38merge_sort_block_merge_config_selectorIflEEZZNS1_27merge_sort_block_merge_implIS3_PfN6thrust23THRUST_200600_302600_NS10device_ptrIlEEjNS1_19radix_merge_compareILb0ELb0EfNS0_19identity_decomposerEEEEE10hipError_tT0_T1_T2_jT3_P12ihipStream_tbPNSt15iterator_traitsISG_E10value_typeEPNSM_ISH_E10value_typeEPSI_NS1_7vsmem_tEENKUlT_SG_SH_SI_E_clIS7_S7_SB_PlEESF_SV_SG_SH_SI_EUlSV_E_NS1_11comp_targetILNS1_3genE3ELNS1_11target_archE908ELNS1_3gpuE7ELNS1_3repE0EEENS1_48merge_mergepath_partition_config_static_selectorELNS0_4arch9wavefront6targetE1EEEvSH_
		.amdhsa_group_segment_fixed_size 0
		.amdhsa_private_segment_fixed_size 0
		.amdhsa_kernarg_size 40
		.amdhsa_user_sgpr_count 6
		.amdhsa_user_sgpr_private_segment_buffer 1
		.amdhsa_user_sgpr_dispatch_ptr 0
		.amdhsa_user_sgpr_queue_ptr 0
		.amdhsa_user_sgpr_kernarg_segment_ptr 1
		.amdhsa_user_sgpr_dispatch_id 0
		.amdhsa_user_sgpr_flat_scratch_init 0
		.amdhsa_user_sgpr_private_segment_size 0
		.amdhsa_uses_dynamic_stack 0
		.amdhsa_system_sgpr_private_segment_wavefront_offset 0
		.amdhsa_system_sgpr_workgroup_id_x 1
		.amdhsa_system_sgpr_workgroup_id_y 0
		.amdhsa_system_sgpr_workgroup_id_z 0
		.amdhsa_system_sgpr_workgroup_info 0
		.amdhsa_system_vgpr_workitem_id 0
		.amdhsa_next_free_vgpr 1
		.amdhsa_next_free_sgpr 0
		.amdhsa_reserve_vcc 0
		.amdhsa_reserve_flat_scratch 0
		.amdhsa_float_round_mode_32 0
		.amdhsa_float_round_mode_16_64 0
		.amdhsa_float_denorm_mode_32 3
		.amdhsa_float_denorm_mode_16_64 3
		.amdhsa_dx10_clamp 1
		.amdhsa_ieee_mode 1
		.amdhsa_fp16_overflow 0
		.amdhsa_exception_fp_ieee_invalid_op 0
		.amdhsa_exception_fp_denorm_src 0
		.amdhsa_exception_fp_ieee_div_zero 0
		.amdhsa_exception_fp_ieee_overflow 0
		.amdhsa_exception_fp_ieee_underflow 0
		.amdhsa_exception_fp_ieee_inexact 0
		.amdhsa_exception_int_div_zero 0
	.end_amdhsa_kernel
	.section	.text._ZN7rocprim17ROCPRIM_400000_NS6detail17trampoline_kernelINS0_14default_configENS1_38merge_sort_block_merge_config_selectorIflEEZZNS1_27merge_sort_block_merge_implIS3_PfN6thrust23THRUST_200600_302600_NS10device_ptrIlEEjNS1_19radix_merge_compareILb0ELb0EfNS0_19identity_decomposerEEEEE10hipError_tT0_T1_T2_jT3_P12ihipStream_tbPNSt15iterator_traitsISG_E10value_typeEPNSM_ISH_E10value_typeEPSI_NS1_7vsmem_tEENKUlT_SG_SH_SI_E_clIS7_S7_SB_PlEESF_SV_SG_SH_SI_EUlSV_E_NS1_11comp_targetILNS1_3genE3ELNS1_11target_archE908ELNS1_3gpuE7ELNS1_3repE0EEENS1_48merge_mergepath_partition_config_static_selectorELNS0_4arch9wavefront6targetE1EEEvSH_,"axG",@progbits,_ZN7rocprim17ROCPRIM_400000_NS6detail17trampoline_kernelINS0_14default_configENS1_38merge_sort_block_merge_config_selectorIflEEZZNS1_27merge_sort_block_merge_implIS3_PfN6thrust23THRUST_200600_302600_NS10device_ptrIlEEjNS1_19radix_merge_compareILb0ELb0EfNS0_19identity_decomposerEEEEE10hipError_tT0_T1_T2_jT3_P12ihipStream_tbPNSt15iterator_traitsISG_E10value_typeEPNSM_ISH_E10value_typeEPSI_NS1_7vsmem_tEENKUlT_SG_SH_SI_E_clIS7_S7_SB_PlEESF_SV_SG_SH_SI_EUlSV_E_NS1_11comp_targetILNS1_3genE3ELNS1_11target_archE908ELNS1_3gpuE7ELNS1_3repE0EEENS1_48merge_mergepath_partition_config_static_selectorELNS0_4arch9wavefront6targetE1EEEvSH_,comdat
.Lfunc_end1788:
	.size	_ZN7rocprim17ROCPRIM_400000_NS6detail17trampoline_kernelINS0_14default_configENS1_38merge_sort_block_merge_config_selectorIflEEZZNS1_27merge_sort_block_merge_implIS3_PfN6thrust23THRUST_200600_302600_NS10device_ptrIlEEjNS1_19radix_merge_compareILb0ELb0EfNS0_19identity_decomposerEEEEE10hipError_tT0_T1_T2_jT3_P12ihipStream_tbPNSt15iterator_traitsISG_E10value_typeEPNSM_ISH_E10value_typeEPSI_NS1_7vsmem_tEENKUlT_SG_SH_SI_E_clIS7_S7_SB_PlEESF_SV_SG_SH_SI_EUlSV_E_NS1_11comp_targetILNS1_3genE3ELNS1_11target_archE908ELNS1_3gpuE7ELNS1_3repE0EEENS1_48merge_mergepath_partition_config_static_selectorELNS0_4arch9wavefront6targetE1EEEvSH_, .Lfunc_end1788-_ZN7rocprim17ROCPRIM_400000_NS6detail17trampoline_kernelINS0_14default_configENS1_38merge_sort_block_merge_config_selectorIflEEZZNS1_27merge_sort_block_merge_implIS3_PfN6thrust23THRUST_200600_302600_NS10device_ptrIlEEjNS1_19radix_merge_compareILb0ELb0EfNS0_19identity_decomposerEEEEE10hipError_tT0_T1_T2_jT3_P12ihipStream_tbPNSt15iterator_traitsISG_E10value_typeEPNSM_ISH_E10value_typeEPSI_NS1_7vsmem_tEENKUlT_SG_SH_SI_E_clIS7_S7_SB_PlEESF_SV_SG_SH_SI_EUlSV_E_NS1_11comp_targetILNS1_3genE3ELNS1_11target_archE908ELNS1_3gpuE7ELNS1_3repE0EEENS1_48merge_mergepath_partition_config_static_selectorELNS0_4arch9wavefront6targetE1EEEvSH_
                                        ; -- End function
	.set _ZN7rocprim17ROCPRIM_400000_NS6detail17trampoline_kernelINS0_14default_configENS1_38merge_sort_block_merge_config_selectorIflEEZZNS1_27merge_sort_block_merge_implIS3_PfN6thrust23THRUST_200600_302600_NS10device_ptrIlEEjNS1_19radix_merge_compareILb0ELb0EfNS0_19identity_decomposerEEEEE10hipError_tT0_T1_T2_jT3_P12ihipStream_tbPNSt15iterator_traitsISG_E10value_typeEPNSM_ISH_E10value_typeEPSI_NS1_7vsmem_tEENKUlT_SG_SH_SI_E_clIS7_S7_SB_PlEESF_SV_SG_SH_SI_EUlSV_E_NS1_11comp_targetILNS1_3genE3ELNS1_11target_archE908ELNS1_3gpuE7ELNS1_3repE0EEENS1_48merge_mergepath_partition_config_static_selectorELNS0_4arch9wavefront6targetE1EEEvSH_.num_vgpr, 0
	.set _ZN7rocprim17ROCPRIM_400000_NS6detail17trampoline_kernelINS0_14default_configENS1_38merge_sort_block_merge_config_selectorIflEEZZNS1_27merge_sort_block_merge_implIS3_PfN6thrust23THRUST_200600_302600_NS10device_ptrIlEEjNS1_19radix_merge_compareILb0ELb0EfNS0_19identity_decomposerEEEEE10hipError_tT0_T1_T2_jT3_P12ihipStream_tbPNSt15iterator_traitsISG_E10value_typeEPNSM_ISH_E10value_typeEPSI_NS1_7vsmem_tEENKUlT_SG_SH_SI_E_clIS7_S7_SB_PlEESF_SV_SG_SH_SI_EUlSV_E_NS1_11comp_targetILNS1_3genE3ELNS1_11target_archE908ELNS1_3gpuE7ELNS1_3repE0EEENS1_48merge_mergepath_partition_config_static_selectorELNS0_4arch9wavefront6targetE1EEEvSH_.num_agpr, 0
	.set _ZN7rocprim17ROCPRIM_400000_NS6detail17trampoline_kernelINS0_14default_configENS1_38merge_sort_block_merge_config_selectorIflEEZZNS1_27merge_sort_block_merge_implIS3_PfN6thrust23THRUST_200600_302600_NS10device_ptrIlEEjNS1_19radix_merge_compareILb0ELb0EfNS0_19identity_decomposerEEEEE10hipError_tT0_T1_T2_jT3_P12ihipStream_tbPNSt15iterator_traitsISG_E10value_typeEPNSM_ISH_E10value_typeEPSI_NS1_7vsmem_tEENKUlT_SG_SH_SI_E_clIS7_S7_SB_PlEESF_SV_SG_SH_SI_EUlSV_E_NS1_11comp_targetILNS1_3genE3ELNS1_11target_archE908ELNS1_3gpuE7ELNS1_3repE0EEENS1_48merge_mergepath_partition_config_static_selectorELNS0_4arch9wavefront6targetE1EEEvSH_.numbered_sgpr, 0
	.set _ZN7rocprim17ROCPRIM_400000_NS6detail17trampoline_kernelINS0_14default_configENS1_38merge_sort_block_merge_config_selectorIflEEZZNS1_27merge_sort_block_merge_implIS3_PfN6thrust23THRUST_200600_302600_NS10device_ptrIlEEjNS1_19radix_merge_compareILb0ELb0EfNS0_19identity_decomposerEEEEE10hipError_tT0_T1_T2_jT3_P12ihipStream_tbPNSt15iterator_traitsISG_E10value_typeEPNSM_ISH_E10value_typeEPSI_NS1_7vsmem_tEENKUlT_SG_SH_SI_E_clIS7_S7_SB_PlEESF_SV_SG_SH_SI_EUlSV_E_NS1_11comp_targetILNS1_3genE3ELNS1_11target_archE908ELNS1_3gpuE7ELNS1_3repE0EEENS1_48merge_mergepath_partition_config_static_selectorELNS0_4arch9wavefront6targetE1EEEvSH_.num_named_barrier, 0
	.set _ZN7rocprim17ROCPRIM_400000_NS6detail17trampoline_kernelINS0_14default_configENS1_38merge_sort_block_merge_config_selectorIflEEZZNS1_27merge_sort_block_merge_implIS3_PfN6thrust23THRUST_200600_302600_NS10device_ptrIlEEjNS1_19radix_merge_compareILb0ELb0EfNS0_19identity_decomposerEEEEE10hipError_tT0_T1_T2_jT3_P12ihipStream_tbPNSt15iterator_traitsISG_E10value_typeEPNSM_ISH_E10value_typeEPSI_NS1_7vsmem_tEENKUlT_SG_SH_SI_E_clIS7_S7_SB_PlEESF_SV_SG_SH_SI_EUlSV_E_NS1_11comp_targetILNS1_3genE3ELNS1_11target_archE908ELNS1_3gpuE7ELNS1_3repE0EEENS1_48merge_mergepath_partition_config_static_selectorELNS0_4arch9wavefront6targetE1EEEvSH_.private_seg_size, 0
	.set _ZN7rocprim17ROCPRIM_400000_NS6detail17trampoline_kernelINS0_14default_configENS1_38merge_sort_block_merge_config_selectorIflEEZZNS1_27merge_sort_block_merge_implIS3_PfN6thrust23THRUST_200600_302600_NS10device_ptrIlEEjNS1_19radix_merge_compareILb0ELb0EfNS0_19identity_decomposerEEEEE10hipError_tT0_T1_T2_jT3_P12ihipStream_tbPNSt15iterator_traitsISG_E10value_typeEPNSM_ISH_E10value_typeEPSI_NS1_7vsmem_tEENKUlT_SG_SH_SI_E_clIS7_S7_SB_PlEESF_SV_SG_SH_SI_EUlSV_E_NS1_11comp_targetILNS1_3genE3ELNS1_11target_archE908ELNS1_3gpuE7ELNS1_3repE0EEENS1_48merge_mergepath_partition_config_static_selectorELNS0_4arch9wavefront6targetE1EEEvSH_.uses_vcc, 0
	.set _ZN7rocprim17ROCPRIM_400000_NS6detail17trampoline_kernelINS0_14default_configENS1_38merge_sort_block_merge_config_selectorIflEEZZNS1_27merge_sort_block_merge_implIS3_PfN6thrust23THRUST_200600_302600_NS10device_ptrIlEEjNS1_19radix_merge_compareILb0ELb0EfNS0_19identity_decomposerEEEEE10hipError_tT0_T1_T2_jT3_P12ihipStream_tbPNSt15iterator_traitsISG_E10value_typeEPNSM_ISH_E10value_typeEPSI_NS1_7vsmem_tEENKUlT_SG_SH_SI_E_clIS7_S7_SB_PlEESF_SV_SG_SH_SI_EUlSV_E_NS1_11comp_targetILNS1_3genE3ELNS1_11target_archE908ELNS1_3gpuE7ELNS1_3repE0EEENS1_48merge_mergepath_partition_config_static_selectorELNS0_4arch9wavefront6targetE1EEEvSH_.uses_flat_scratch, 0
	.set _ZN7rocprim17ROCPRIM_400000_NS6detail17trampoline_kernelINS0_14default_configENS1_38merge_sort_block_merge_config_selectorIflEEZZNS1_27merge_sort_block_merge_implIS3_PfN6thrust23THRUST_200600_302600_NS10device_ptrIlEEjNS1_19radix_merge_compareILb0ELb0EfNS0_19identity_decomposerEEEEE10hipError_tT0_T1_T2_jT3_P12ihipStream_tbPNSt15iterator_traitsISG_E10value_typeEPNSM_ISH_E10value_typeEPSI_NS1_7vsmem_tEENKUlT_SG_SH_SI_E_clIS7_S7_SB_PlEESF_SV_SG_SH_SI_EUlSV_E_NS1_11comp_targetILNS1_3genE3ELNS1_11target_archE908ELNS1_3gpuE7ELNS1_3repE0EEENS1_48merge_mergepath_partition_config_static_selectorELNS0_4arch9wavefront6targetE1EEEvSH_.has_dyn_sized_stack, 0
	.set _ZN7rocprim17ROCPRIM_400000_NS6detail17trampoline_kernelINS0_14default_configENS1_38merge_sort_block_merge_config_selectorIflEEZZNS1_27merge_sort_block_merge_implIS3_PfN6thrust23THRUST_200600_302600_NS10device_ptrIlEEjNS1_19radix_merge_compareILb0ELb0EfNS0_19identity_decomposerEEEEE10hipError_tT0_T1_T2_jT3_P12ihipStream_tbPNSt15iterator_traitsISG_E10value_typeEPNSM_ISH_E10value_typeEPSI_NS1_7vsmem_tEENKUlT_SG_SH_SI_E_clIS7_S7_SB_PlEESF_SV_SG_SH_SI_EUlSV_E_NS1_11comp_targetILNS1_3genE3ELNS1_11target_archE908ELNS1_3gpuE7ELNS1_3repE0EEENS1_48merge_mergepath_partition_config_static_selectorELNS0_4arch9wavefront6targetE1EEEvSH_.has_recursion, 0
	.set _ZN7rocprim17ROCPRIM_400000_NS6detail17trampoline_kernelINS0_14default_configENS1_38merge_sort_block_merge_config_selectorIflEEZZNS1_27merge_sort_block_merge_implIS3_PfN6thrust23THRUST_200600_302600_NS10device_ptrIlEEjNS1_19radix_merge_compareILb0ELb0EfNS0_19identity_decomposerEEEEE10hipError_tT0_T1_T2_jT3_P12ihipStream_tbPNSt15iterator_traitsISG_E10value_typeEPNSM_ISH_E10value_typeEPSI_NS1_7vsmem_tEENKUlT_SG_SH_SI_E_clIS7_S7_SB_PlEESF_SV_SG_SH_SI_EUlSV_E_NS1_11comp_targetILNS1_3genE3ELNS1_11target_archE908ELNS1_3gpuE7ELNS1_3repE0EEENS1_48merge_mergepath_partition_config_static_selectorELNS0_4arch9wavefront6targetE1EEEvSH_.has_indirect_call, 0
	.section	.AMDGPU.csdata,"",@progbits
; Kernel info:
; codeLenInByte = 0
; TotalNumSgprs: 4
; NumVgprs: 0
; ScratchSize: 0
; MemoryBound: 0
; FloatMode: 240
; IeeeMode: 1
; LDSByteSize: 0 bytes/workgroup (compile time only)
; SGPRBlocks: 0
; VGPRBlocks: 0
; NumSGPRsForWavesPerEU: 4
; NumVGPRsForWavesPerEU: 1
; Occupancy: 10
; WaveLimiterHint : 0
; COMPUTE_PGM_RSRC2:SCRATCH_EN: 0
; COMPUTE_PGM_RSRC2:USER_SGPR: 6
; COMPUTE_PGM_RSRC2:TRAP_HANDLER: 0
; COMPUTE_PGM_RSRC2:TGID_X_EN: 1
; COMPUTE_PGM_RSRC2:TGID_Y_EN: 0
; COMPUTE_PGM_RSRC2:TGID_Z_EN: 0
; COMPUTE_PGM_RSRC2:TIDIG_COMP_CNT: 0
	.section	.text._ZN7rocprim17ROCPRIM_400000_NS6detail17trampoline_kernelINS0_14default_configENS1_38merge_sort_block_merge_config_selectorIflEEZZNS1_27merge_sort_block_merge_implIS3_PfN6thrust23THRUST_200600_302600_NS10device_ptrIlEEjNS1_19radix_merge_compareILb0ELb0EfNS0_19identity_decomposerEEEEE10hipError_tT0_T1_T2_jT3_P12ihipStream_tbPNSt15iterator_traitsISG_E10value_typeEPNSM_ISH_E10value_typeEPSI_NS1_7vsmem_tEENKUlT_SG_SH_SI_E_clIS7_S7_SB_PlEESF_SV_SG_SH_SI_EUlSV_E_NS1_11comp_targetILNS1_3genE2ELNS1_11target_archE906ELNS1_3gpuE6ELNS1_3repE0EEENS1_48merge_mergepath_partition_config_static_selectorELNS0_4arch9wavefront6targetE1EEEvSH_,"axG",@progbits,_ZN7rocprim17ROCPRIM_400000_NS6detail17trampoline_kernelINS0_14default_configENS1_38merge_sort_block_merge_config_selectorIflEEZZNS1_27merge_sort_block_merge_implIS3_PfN6thrust23THRUST_200600_302600_NS10device_ptrIlEEjNS1_19radix_merge_compareILb0ELb0EfNS0_19identity_decomposerEEEEE10hipError_tT0_T1_T2_jT3_P12ihipStream_tbPNSt15iterator_traitsISG_E10value_typeEPNSM_ISH_E10value_typeEPSI_NS1_7vsmem_tEENKUlT_SG_SH_SI_E_clIS7_S7_SB_PlEESF_SV_SG_SH_SI_EUlSV_E_NS1_11comp_targetILNS1_3genE2ELNS1_11target_archE906ELNS1_3gpuE6ELNS1_3repE0EEENS1_48merge_mergepath_partition_config_static_selectorELNS0_4arch9wavefront6targetE1EEEvSH_,comdat
	.protected	_ZN7rocprim17ROCPRIM_400000_NS6detail17trampoline_kernelINS0_14default_configENS1_38merge_sort_block_merge_config_selectorIflEEZZNS1_27merge_sort_block_merge_implIS3_PfN6thrust23THRUST_200600_302600_NS10device_ptrIlEEjNS1_19radix_merge_compareILb0ELb0EfNS0_19identity_decomposerEEEEE10hipError_tT0_T1_T2_jT3_P12ihipStream_tbPNSt15iterator_traitsISG_E10value_typeEPNSM_ISH_E10value_typeEPSI_NS1_7vsmem_tEENKUlT_SG_SH_SI_E_clIS7_S7_SB_PlEESF_SV_SG_SH_SI_EUlSV_E_NS1_11comp_targetILNS1_3genE2ELNS1_11target_archE906ELNS1_3gpuE6ELNS1_3repE0EEENS1_48merge_mergepath_partition_config_static_selectorELNS0_4arch9wavefront6targetE1EEEvSH_ ; -- Begin function _ZN7rocprim17ROCPRIM_400000_NS6detail17trampoline_kernelINS0_14default_configENS1_38merge_sort_block_merge_config_selectorIflEEZZNS1_27merge_sort_block_merge_implIS3_PfN6thrust23THRUST_200600_302600_NS10device_ptrIlEEjNS1_19radix_merge_compareILb0ELb0EfNS0_19identity_decomposerEEEEE10hipError_tT0_T1_T2_jT3_P12ihipStream_tbPNSt15iterator_traitsISG_E10value_typeEPNSM_ISH_E10value_typeEPSI_NS1_7vsmem_tEENKUlT_SG_SH_SI_E_clIS7_S7_SB_PlEESF_SV_SG_SH_SI_EUlSV_E_NS1_11comp_targetILNS1_3genE2ELNS1_11target_archE906ELNS1_3gpuE6ELNS1_3repE0EEENS1_48merge_mergepath_partition_config_static_selectorELNS0_4arch9wavefront6targetE1EEEvSH_
	.globl	_ZN7rocprim17ROCPRIM_400000_NS6detail17trampoline_kernelINS0_14default_configENS1_38merge_sort_block_merge_config_selectorIflEEZZNS1_27merge_sort_block_merge_implIS3_PfN6thrust23THRUST_200600_302600_NS10device_ptrIlEEjNS1_19radix_merge_compareILb0ELb0EfNS0_19identity_decomposerEEEEE10hipError_tT0_T1_T2_jT3_P12ihipStream_tbPNSt15iterator_traitsISG_E10value_typeEPNSM_ISH_E10value_typeEPSI_NS1_7vsmem_tEENKUlT_SG_SH_SI_E_clIS7_S7_SB_PlEESF_SV_SG_SH_SI_EUlSV_E_NS1_11comp_targetILNS1_3genE2ELNS1_11target_archE906ELNS1_3gpuE6ELNS1_3repE0EEENS1_48merge_mergepath_partition_config_static_selectorELNS0_4arch9wavefront6targetE1EEEvSH_
	.p2align	8
	.type	_ZN7rocprim17ROCPRIM_400000_NS6detail17trampoline_kernelINS0_14default_configENS1_38merge_sort_block_merge_config_selectorIflEEZZNS1_27merge_sort_block_merge_implIS3_PfN6thrust23THRUST_200600_302600_NS10device_ptrIlEEjNS1_19radix_merge_compareILb0ELb0EfNS0_19identity_decomposerEEEEE10hipError_tT0_T1_T2_jT3_P12ihipStream_tbPNSt15iterator_traitsISG_E10value_typeEPNSM_ISH_E10value_typeEPSI_NS1_7vsmem_tEENKUlT_SG_SH_SI_E_clIS7_S7_SB_PlEESF_SV_SG_SH_SI_EUlSV_E_NS1_11comp_targetILNS1_3genE2ELNS1_11target_archE906ELNS1_3gpuE6ELNS1_3repE0EEENS1_48merge_mergepath_partition_config_static_selectorELNS0_4arch9wavefront6targetE1EEEvSH_,@function
_ZN7rocprim17ROCPRIM_400000_NS6detail17trampoline_kernelINS0_14default_configENS1_38merge_sort_block_merge_config_selectorIflEEZZNS1_27merge_sort_block_merge_implIS3_PfN6thrust23THRUST_200600_302600_NS10device_ptrIlEEjNS1_19radix_merge_compareILb0ELb0EfNS0_19identity_decomposerEEEEE10hipError_tT0_T1_T2_jT3_P12ihipStream_tbPNSt15iterator_traitsISG_E10value_typeEPNSM_ISH_E10value_typeEPSI_NS1_7vsmem_tEENKUlT_SG_SH_SI_E_clIS7_S7_SB_PlEESF_SV_SG_SH_SI_EUlSV_E_NS1_11comp_targetILNS1_3genE2ELNS1_11target_archE906ELNS1_3gpuE6ELNS1_3repE0EEENS1_48merge_mergepath_partition_config_static_selectorELNS0_4arch9wavefront6targetE1EEEvSH_: ; @_ZN7rocprim17ROCPRIM_400000_NS6detail17trampoline_kernelINS0_14default_configENS1_38merge_sort_block_merge_config_selectorIflEEZZNS1_27merge_sort_block_merge_implIS3_PfN6thrust23THRUST_200600_302600_NS10device_ptrIlEEjNS1_19radix_merge_compareILb0ELb0EfNS0_19identity_decomposerEEEEE10hipError_tT0_T1_T2_jT3_P12ihipStream_tbPNSt15iterator_traitsISG_E10value_typeEPNSM_ISH_E10value_typeEPSI_NS1_7vsmem_tEENKUlT_SG_SH_SI_E_clIS7_S7_SB_PlEESF_SV_SG_SH_SI_EUlSV_E_NS1_11comp_targetILNS1_3genE2ELNS1_11target_archE906ELNS1_3gpuE6ELNS1_3repE0EEENS1_48merge_mergepath_partition_config_static_selectorELNS0_4arch9wavefront6targetE1EEEvSH_
; %bb.0:
	s_load_dword s0, s[4:5], 0x0
	v_lshl_or_b32 v0, s6, 7, v0
	s_waitcnt lgkmcnt(0)
	v_cmp_gt_u32_e32 vcc, s0, v0
	s_and_saveexec_b64 s[0:1], vcc
	s_cbranch_execz .LBB1789_6
; %bb.1:
	s_load_dwordx2 s[2:3], s[4:5], 0x4
	s_load_dwordx2 s[0:1], s[4:5], 0x20
	s_waitcnt lgkmcnt(0)
	s_lshr_b32 s6, s2, 9
	s_and_b32 s6, s6, 0x7ffffe
	s_add_i32 s7, s6, -1
	s_sub_i32 s6, 0, s6
	v_and_b32_e32 v1, s6, v0
	v_lshlrev_b32_e32 v3, 10, v1
	v_min_u32_e32 v1, s3, v3
	v_add_u32_e32 v3, s2, v3
	v_min_u32_e32 v3, s3, v3
	v_add_u32_e32 v4, s2, v3
	v_and_b32_e32 v2, s7, v0
	v_min_u32_e32 v4, s3, v4
	v_sub_u32_e32 v5, v4, v1
	v_lshlrev_b32_e32 v2, 10, v2
	v_min_u32_e32 v6, v5, v2
	v_sub_u32_e32 v2, v3, v1
	v_sub_u32_e32 v4, v4, v3
	v_sub_u32_e64 v5, v6, v4 clamp
	v_min_u32_e32 v7, v6, v2
	v_cmp_lt_u32_e32 vcc, v5, v7
	s_and_saveexec_b64 s[2:3], vcc
	s_cbranch_execz .LBB1789_5
; %bb.2:
	s_load_dwordx2 s[4:5], s[4:5], 0x10
	v_mov_b32_e32 v4, 0
	v_mov_b32_e32 v2, v4
	v_lshlrev_b64 v[8:9], 2, v[1:2]
	s_waitcnt lgkmcnt(0)
	v_mov_b32_e32 v11, s5
	v_add_co_u32_e32 v2, vcc, s4, v8
	v_addc_co_u32_e32 v8, vcc, v11, v9, vcc
	v_lshlrev_b64 v[9:10], 2, v[3:4]
	v_add_co_u32_e32 v9, vcc, s4, v9
	v_addc_co_u32_e32 v10, vcc, v11, v10, vcc
	s_mov_b64 s[4:5], 0
.LBB1789_3:                             ; =>This Inner Loop Header: Depth=1
	v_add_u32_e32 v3, v7, v5
	v_lshrrev_b32_e32 v3, 1, v3
	v_lshlrev_b64 v[13:14], 2, v[3:4]
	v_mov_b32_e32 v12, v4
	v_xad_u32 v11, v3, -1, v6
	v_lshlrev_b64 v[11:12], 2, v[11:12]
	v_add_co_u32_e32 v13, vcc, v2, v13
	v_addc_co_u32_e32 v14, vcc, v8, v14, vcc
	v_add_co_u32_e32 v11, vcc, v9, v11
	v_addc_co_u32_e32 v12, vcc, v10, v12, vcc
	global_load_dword v15, v[13:14], off
	global_load_dword v16, v[11:12], off
	v_add_u32_e32 v11, 1, v3
	s_waitcnt vmcnt(1)
	v_add_f32_e32 v12, 0, v15
	s_waitcnt vmcnt(0)
	v_add_f32_e32 v13, 0, v16
	v_ashrrev_i32_e32 v14, 31, v12
	v_or_b32_e32 v14, 0x80000000, v14
	v_ashrrev_i32_e32 v15, 31, v13
	v_xor_b32_e32 v12, v14, v12
	v_or_b32_e32 v14, 0x80000000, v15
	v_xor_b32_e32 v13, v14, v13
	v_cmp_gt_u32_e32 vcc, v12, v13
	v_cndmask_b32_e32 v7, v7, v3, vcc
	v_cndmask_b32_e32 v5, v11, v5, vcc
	v_cmp_ge_u32_e32 vcc, v5, v7
	s_or_b64 s[4:5], vcc, s[4:5]
	s_andn2_b64 exec, exec, s[4:5]
	s_cbranch_execnz .LBB1789_3
; %bb.4:
	s_or_b64 exec, exec, s[4:5]
.LBB1789_5:
	s_or_b64 exec, exec, s[2:3]
	v_add_u32_e32 v2, v5, v1
	v_mov_b32_e32 v1, 0
	v_lshlrev_b64 v[0:1], 2, v[0:1]
	v_mov_b32_e32 v3, s1
	v_add_co_u32_e32 v0, vcc, s0, v0
	v_addc_co_u32_e32 v1, vcc, v3, v1, vcc
	global_store_dword v[0:1], v2, off
.LBB1789_6:
	s_endpgm
	.section	.rodata,"a",@progbits
	.p2align	6, 0x0
	.amdhsa_kernel _ZN7rocprim17ROCPRIM_400000_NS6detail17trampoline_kernelINS0_14default_configENS1_38merge_sort_block_merge_config_selectorIflEEZZNS1_27merge_sort_block_merge_implIS3_PfN6thrust23THRUST_200600_302600_NS10device_ptrIlEEjNS1_19radix_merge_compareILb0ELb0EfNS0_19identity_decomposerEEEEE10hipError_tT0_T1_T2_jT3_P12ihipStream_tbPNSt15iterator_traitsISG_E10value_typeEPNSM_ISH_E10value_typeEPSI_NS1_7vsmem_tEENKUlT_SG_SH_SI_E_clIS7_S7_SB_PlEESF_SV_SG_SH_SI_EUlSV_E_NS1_11comp_targetILNS1_3genE2ELNS1_11target_archE906ELNS1_3gpuE6ELNS1_3repE0EEENS1_48merge_mergepath_partition_config_static_selectorELNS0_4arch9wavefront6targetE1EEEvSH_
		.amdhsa_group_segment_fixed_size 0
		.amdhsa_private_segment_fixed_size 0
		.amdhsa_kernarg_size 40
		.amdhsa_user_sgpr_count 6
		.amdhsa_user_sgpr_private_segment_buffer 1
		.amdhsa_user_sgpr_dispatch_ptr 0
		.amdhsa_user_sgpr_queue_ptr 0
		.amdhsa_user_sgpr_kernarg_segment_ptr 1
		.amdhsa_user_sgpr_dispatch_id 0
		.amdhsa_user_sgpr_flat_scratch_init 0
		.amdhsa_user_sgpr_private_segment_size 0
		.amdhsa_uses_dynamic_stack 0
		.amdhsa_system_sgpr_private_segment_wavefront_offset 0
		.amdhsa_system_sgpr_workgroup_id_x 1
		.amdhsa_system_sgpr_workgroup_id_y 0
		.amdhsa_system_sgpr_workgroup_id_z 0
		.amdhsa_system_sgpr_workgroup_info 0
		.amdhsa_system_vgpr_workitem_id 0
		.amdhsa_next_free_vgpr 17
		.amdhsa_next_free_sgpr 8
		.amdhsa_reserve_vcc 1
		.amdhsa_reserve_flat_scratch 0
		.amdhsa_float_round_mode_32 0
		.amdhsa_float_round_mode_16_64 0
		.amdhsa_float_denorm_mode_32 3
		.amdhsa_float_denorm_mode_16_64 3
		.amdhsa_dx10_clamp 1
		.amdhsa_ieee_mode 1
		.amdhsa_fp16_overflow 0
		.amdhsa_exception_fp_ieee_invalid_op 0
		.amdhsa_exception_fp_denorm_src 0
		.amdhsa_exception_fp_ieee_div_zero 0
		.amdhsa_exception_fp_ieee_overflow 0
		.amdhsa_exception_fp_ieee_underflow 0
		.amdhsa_exception_fp_ieee_inexact 0
		.amdhsa_exception_int_div_zero 0
	.end_amdhsa_kernel
	.section	.text._ZN7rocprim17ROCPRIM_400000_NS6detail17trampoline_kernelINS0_14default_configENS1_38merge_sort_block_merge_config_selectorIflEEZZNS1_27merge_sort_block_merge_implIS3_PfN6thrust23THRUST_200600_302600_NS10device_ptrIlEEjNS1_19radix_merge_compareILb0ELb0EfNS0_19identity_decomposerEEEEE10hipError_tT0_T1_T2_jT3_P12ihipStream_tbPNSt15iterator_traitsISG_E10value_typeEPNSM_ISH_E10value_typeEPSI_NS1_7vsmem_tEENKUlT_SG_SH_SI_E_clIS7_S7_SB_PlEESF_SV_SG_SH_SI_EUlSV_E_NS1_11comp_targetILNS1_3genE2ELNS1_11target_archE906ELNS1_3gpuE6ELNS1_3repE0EEENS1_48merge_mergepath_partition_config_static_selectorELNS0_4arch9wavefront6targetE1EEEvSH_,"axG",@progbits,_ZN7rocprim17ROCPRIM_400000_NS6detail17trampoline_kernelINS0_14default_configENS1_38merge_sort_block_merge_config_selectorIflEEZZNS1_27merge_sort_block_merge_implIS3_PfN6thrust23THRUST_200600_302600_NS10device_ptrIlEEjNS1_19radix_merge_compareILb0ELb0EfNS0_19identity_decomposerEEEEE10hipError_tT0_T1_T2_jT3_P12ihipStream_tbPNSt15iterator_traitsISG_E10value_typeEPNSM_ISH_E10value_typeEPSI_NS1_7vsmem_tEENKUlT_SG_SH_SI_E_clIS7_S7_SB_PlEESF_SV_SG_SH_SI_EUlSV_E_NS1_11comp_targetILNS1_3genE2ELNS1_11target_archE906ELNS1_3gpuE6ELNS1_3repE0EEENS1_48merge_mergepath_partition_config_static_selectorELNS0_4arch9wavefront6targetE1EEEvSH_,comdat
.Lfunc_end1789:
	.size	_ZN7rocprim17ROCPRIM_400000_NS6detail17trampoline_kernelINS0_14default_configENS1_38merge_sort_block_merge_config_selectorIflEEZZNS1_27merge_sort_block_merge_implIS3_PfN6thrust23THRUST_200600_302600_NS10device_ptrIlEEjNS1_19radix_merge_compareILb0ELb0EfNS0_19identity_decomposerEEEEE10hipError_tT0_T1_T2_jT3_P12ihipStream_tbPNSt15iterator_traitsISG_E10value_typeEPNSM_ISH_E10value_typeEPSI_NS1_7vsmem_tEENKUlT_SG_SH_SI_E_clIS7_S7_SB_PlEESF_SV_SG_SH_SI_EUlSV_E_NS1_11comp_targetILNS1_3genE2ELNS1_11target_archE906ELNS1_3gpuE6ELNS1_3repE0EEENS1_48merge_mergepath_partition_config_static_selectorELNS0_4arch9wavefront6targetE1EEEvSH_, .Lfunc_end1789-_ZN7rocprim17ROCPRIM_400000_NS6detail17trampoline_kernelINS0_14default_configENS1_38merge_sort_block_merge_config_selectorIflEEZZNS1_27merge_sort_block_merge_implIS3_PfN6thrust23THRUST_200600_302600_NS10device_ptrIlEEjNS1_19radix_merge_compareILb0ELb0EfNS0_19identity_decomposerEEEEE10hipError_tT0_T1_T2_jT3_P12ihipStream_tbPNSt15iterator_traitsISG_E10value_typeEPNSM_ISH_E10value_typeEPSI_NS1_7vsmem_tEENKUlT_SG_SH_SI_E_clIS7_S7_SB_PlEESF_SV_SG_SH_SI_EUlSV_E_NS1_11comp_targetILNS1_3genE2ELNS1_11target_archE906ELNS1_3gpuE6ELNS1_3repE0EEENS1_48merge_mergepath_partition_config_static_selectorELNS0_4arch9wavefront6targetE1EEEvSH_
                                        ; -- End function
	.set _ZN7rocprim17ROCPRIM_400000_NS6detail17trampoline_kernelINS0_14default_configENS1_38merge_sort_block_merge_config_selectorIflEEZZNS1_27merge_sort_block_merge_implIS3_PfN6thrust23THRUST_200600_302600_NS10device_ptrIlEEjNS1_19radix_merge_compareILb0ELb0EfNS0_19identity_decomposerEEEEE10hipError_tT0_T1_T2_jT3_P12ihipStream_tbPNSt15iterator_traitsISG_E10value_typeEPNSM_ISH_E10value_typeEPSI_NS1_7vsmem_tEENKUlT_SG_SH_SI_E_clIS7_S7_SB_PlEESF_SV_SG_SH_SI_EUlSV_E_NS1_11comp_targetILNS1_3genE2ELNS1_11target_archE906ELNS1_3gpuE6ELNS1_3repE0EEENS1_48merge_mergepath_partition_config_static_selectorELNS0_4arch9wavefront6targetE1EEEvSH_.num_vgpr, 17
	.set _ZN7rocprim17ROCPRIM_400000_NS6detail17trampoline_kernelINS0_14default_configENS1_38merge_sort_block_merge_config_selectorIflEEZZNS1_27merge_sort_block_merge_implIS3_PfN6thrust23THRUST_200600_302600_NS10device_ptrIlEEjNS1_19radix_merge_compareILb0ELb0EfNS0_19identity_decomposerEEEEE10hipError_tT0_T1_T2_jT3_P12ihipStream_tbPNSt15iterator_traitsISG_E10value_typeEPNSM_ISH_E10value_typeEPSI_NS1_7vsmem_tEENKUlT_SG_SH_SI_E_clIS7_S7_SB_PlEESF_SV_SG_SH_SI_EUlSV_E_NS1_11comp_targetILNS1_3genE2ELNS1_11target_archE906ELNS1_3gpuE6ELNS1_3repE0EEENS1_48merge_mergepath_partition_config_static_selectorELNS0_4arch9wavefront6targetE1EEEvSH_.num_agpr, 0
	.set _ZN7rocprim17ROCPRIM_400000_NS6detail17trampoline_kernelINS0_14default_configENS1_38merge_sort_block_merge_config_selectorIflEEZZNS1_27merge_sort_block_merge_implIS3_PfN6thrust23THRUST_200600_302600_NS10device_ptrIlEEjNS1_19radix_merge_compareILb0ELb0EfNS0_19identity_decomposerEEEEE10hipError_tT0_T1_T2_jT3_P12ihipStream_tbPNSt15iterator_traitsISG_E10value_typeEPNSM_ISH_E10value_typeEPSI_NS1_7vsmem_tEENKUlT_SG_SH_SI_E_clIS7_S7_SB_PlEESF_SV_SG_SH_SI_EUlSV_E_NS1_11comp_targetILNS1_3genE2ELNS1_11target_archE906ELNS1_3gpuE6ELNS1_3repE0EEENS1_48merge_mergepath_partition_config_static_selectorELNS0_4arch9wavefront6targetE1EEEvSH_.numbered_sgpr, 8
	.set _ZN7rocprim17ROCPRIM_400000_NS6detail17trampoline_kernelINS0_14default_configENS1_38merge_sort_block_merge_config_selectorIflEEZZNS1_27merge_sort_block_merge_implIS3_PfN6thrust23THRUST_200600_302600_NS10device_ptrIlEEjNS1_19radix_merge_compareILb0ELb0EfNS0_19identity_decomposerEEEEE10hipError_tT0_T1_T2_jT3_P12ihipStream_tbPNSt15iterator_traitsISG_E10value_typeEPNSM_ISH_E10value_typeEPSI_NS1_7vsmem_tEENKUlT_SG_SH_SI_E_clIS7_S7_SB_PlEESF_SV_SG_SH_SI_EUlSV_E_NS1_11comp_targetILNS1_3genE2ELNS1_11target_archE906ELNS1_3gpuE6ELNS1_3repE0EEENS1_48merge_mergepath_partition_config_static_selectorELNS0_4arch9wavefront6targetE1EEEvSH_.num_named_barrier, 0
	.set _ZN7rocprim17ROCPRIM_400000_NS6detail17trampoline_kernelINS0_14default_configENS1_38merge_sort_block_merge_config_selectorIflEEZZNS1_27merge_sort_block_merge_implIS3_PfN6thrust23THRUST_200600_302600_NS10device_ptrIlEEjNS1_19radix_merge_compareILb0ELb0EfNS0_19identity_decomposerEEEEE10hipError_tT0_T1_T2_jT3_P12ihipStream_tbPNSt15iterator_traitsISG_E10value_typeEPNSM_ISH_E10value_typeEPSI_NS1_7vsmem_tEENKUlT_SG_SH_SI_E_clIS7_S7_SB_PlEESF_SV_SG_SH_SI_EUlSV_E_NS1_11comp_targetILNS1_3genE2ELNS1_11target_archE906ELNS1_3gpuE6ELNS1_3repE0EEENS1_48merge_mergepath_partition_config_static_selectorELNS0_4arch9wavefront6targetE1EEEvSH_.private_seg_size, 0
	.set _ZN7rocprim17ROCPRIM_400000_NS6detail17trampoline_kernelINS0_14default_configENS1_38merge_sort_block_merge_config_selectorIflEEZZNS1_27merge_sort_block_merge_implIS3_PfN6thrust23THRUST_200600_302600_NS10device_ptrIlEEjNS1_19radix_merge_compareILb0ELb0EfNS0_19identity_decomposerEEEEE10hipError_tT0_T1_T2_jT3_P12ihipStream_tbPNSt15iterator_traitsISG_E10value_typeEPNSM_ISH_E10value_typeEPSI_NS1_7vsmem_tEENKUlT_SG_SH_SI_E_clIS7_S7_SB_PlEESF_SV_SG_SH_SI_EUlSV_E_NS1_11comp_targetILNS1_3genE2ELNS1_11target_archE906ELNS1_3gpuE6ELNS1_3repE0EEENS1_48merge_mergepath_partition_config_static_selectorELNS0_4arch9wavefront6targetE1EEEvSH_.uses_vcc, 1
	.set _ZN7rocprim17ROCPRIM_400000_NS6detail17trampoline_kernelINS0_14default_configENS1_38merge_sort_block_merge_config_selectorIflEEZZNS1_27merge_sort_block_merge_implIS3_PfN6thrust23THRUST_200600_302600_NS10device_ptrIlEEjNS1_19radix_merge_compareILb0ELb0EfNS0_19identity_decomposerEEEEE10hipError_tT0_T1_T2_jT3_P12ihipStream_tbPNSt15iterator_traitsISG_E10value_typeEPNSM_ISH_E10value_typeEPSI_NS1_7vsmem_tEENKUlT_SG_SH_SI_E_clIS7_S7_SB_PlEESF_SV_SG_SH_SI_EUlSV_E_NS1_11comp_targetILNS1_3genE2ELNS1_11target_archE906ELNS1_3gpuE6ELNS1_3repE0EEENS1_48merge_mergepath_partition_config_static_selectorELNS0_4arch9wavefront6targetE1EEEvSH_.uses_flat_scratch, 0
	.set _ZN7rocprim17ROCPRIM_400000_NS6detail17trampoline_kernelINS0_14default_configENS1_38merge_sort_block_merge_config_selectorIflEEZZNS1_27merge_sort_block_merge_implIS3_PfN6thrust23THRUST_200600_302600_NS10device_ptrIlEEjNS1_19radix_merge_compareILb0ELb0EfNS0_19identity_decomposerEEEEE10hipError_tT0_T1_T2_jT3_P12ihipStream_tbPNSt15iterator_traitsISG_E10value_typeEPNSM_ISH_E10value_typeEPSI_NS1_7vsmem_tEENKUlT_SG_SH_SI_E_clIS7_S7_SB_PlEESF_SV_SG_SH_SI_EUlSV_E_NS1_11comp_targetILNS1_3genE2ELNS1_11target_archE906ELNS1_3gpuE6ELNS1_3repE0EEENS1_48merge_mergepath_partition_config_static_selectorELNS0_4arch9wavefront6targetE1EEEvSH_.has_dyn_sized_stack, 0
	.set _ZN7rocprim17ROCPRIM_400000_NS6detail17trampoline_kernelINS0_14default_configENS1_38merge_sort_block_merge_config_selectorIflEEZZNS1_27merge_sort_block_merge_implIS3_PfN6thrust23THRUST_200600_302600_NS10device_ptrIlEEjNS1_19radix_merge_compareILb0ELb0EfNS0_19identity_decomposerEEEEE10hipError_tT0_T1_T2_jT3_P12ihipStream_tbPNSt15iterator_traitsISG_E10value_typeEPNSM_ISH_E10value_typeEPSI_NS1_7vsmem_tEENKUlT_SG_SH_SI_E_clIS7_S7_SB_PlEESF_SV_SG_SH_SI_EUlSV_E_NS1_11comp_targetILNS1_3genE2ELNS1_11target_archE906ELNS1_3gpuE6ELNS1_3repE0EEENS1_48merge_mergepath_partition_config_static_selectorELNS0_4arch9wavefront6targetE1EEEvSH_.has_recursion, 0
	.set _ZN7rocprim17ROCPRIM_400000_NS6detail17trampoline_kernelINS0_14default_configENS1_38merge_sort_block_merge_config_selectorIflEEZZNS1_27merge_sort_block_merge_implIS3_PfN6thrust23THRUST_200600_302600_NS10device_ptrIlEEjNS1_19radix_merge_compareILb0ELb0EfNS0_19identity_decomposerEEEEE10hipError_tT0_T1_T2_jT3_P12ihipStream_tbPNSt15iterator_traitsISG_E10value_typeEPNSM_ISH_E10value_typeEPSI_NS1_7vsmem_tEENKUlT_SG_SH_SI_E_clIS7_S7_SB_PlEESF_SV_SG_SH_SI_EUlSV_E_NS1_11comp_targetILNS1_3genE2ELNS1_11target_archE906ELNS1_3gpuE6ELNS1_3repE0EEENS1_48merge_mergepath_partition_config_static_selectorELNS0_4arch9wavefront6targetE1EEEvSH_.has_indirect_call, 0
	.section	.AMDGPU.csdata,"",@progbits
; Kernel info:
; codeLenInByte = 404
; TotalNumSgprs: 12
; NumVgprs: 17
; ScratchSize: 0
; MemoryBound: 0
; FloatMode: 240
; IeeeMode: 1
; LDSByteSize: 0 bytes/workgroup (compile time only)
; SGPRBlocks: 1
; VGPRBlocks: 4
; NumSGPRsForWavesPerEU: 12
; NumVGPRsForWavesPerEU: 17
; Occupancy: 10
; WaveLimiterHint : 0
; COMPUTE_PGM_RSRC2:SCRATCH_EN: 0
; COMPUTE_PGM_RSRC2:USER_SGPR: 6
; COMPUTE_PGM_RSRC2:TRAP_HANDLER: 0
; COMPUTE_PGM_RSRC2:TGID_X_EN: 1
; COMPUTE_PGM_RSRC2:TGID_Y_EN: 0
; COMPUTE_PGM_RSRC2:TGID_Z_EN: 0
; COMPUTE_PGM_RSRC2:TIDIG_COMP_CNT: 0
	.section	.text._ZN7rocprim17ROCPRIM_400000_NS6detail17trampoline_kernelINS0_14default_configENS1_38merge_sort_block_merge_config_selectorIflEEZZNS1_27merge_sort_block_merge_implIS3_PfN6thrust23THRUST_200600_302600_NS10device_ptrIlEEjNS1_19radix_merge_compareILb0ELb0EfNS0_19identity_decomposerEEEEE10hipError_tT0_T1_T2_jT3_P12ihipStream_tbPNSt15iterator_traitsISG_E10value_typeEPNSM_ISH_E10value_typeEPSI_NS1_7vsmem_tEENKUlT_SG_SH_SI_E_clIS7_S7_SB_PlEESF_SV_SG_SH_SI_EUlSV_E_NS1_11comp_targetILNS1_3genE9ELNS1_11target_archE1100ELNS1_3gpuE3ELNS1_3repE0EEENS1_48merge_mergepath_partition_config_static_selectorELNS0_4arch9wavefront6targetE1EEEvSH_,"axG",@progbits,_ZN7rocprim17ROCPRIM_400000_NS6detail17trampoline_kernelINS0_14default_configENS1_38merge_sort_block_merge_config_selectorIflEEZZNS1_27merge_sort_block_merge_implIS3_PfN6thrust23THRUST_200600_302600_NS10device_ptrIlEEjNS1_19radix_merge_compareILb0ELb0EfNS0_19identity_decomposerEEEEE10hipError_tT0_T1_T2_jT3_P12ihipStream_tbPNSt15iterator_traitsISG_E10value_typeEPNSM_ISH_E10value_typeEPSI_NS1_7vsmem_tEENKUlT_SG_SH_SI_E_clIS7_S7_SB_PlEESF_SV_SG_SH_SI_EUlSV_E_NS1_11comp_targetILNS1_3genE9ELNS1_11target_archE1100ELNS1_3gpuE3ELNS1_3repE0EEENS1_48merge_mergepath_partition_config_static_selectorELNS0_4arch9wavefront6targetE1EEEvSH_,comdat
	.protected	_ZN7rocprim17ROCPRIM_400000_NS6detail17trampoline_kernelINS0_14default_configENS1_38merge_sort_block_merge_config_selectorIflEEZZNS1_27merge_sort_block_merge_implIS3_PfN6thrust23THRUST_200600_302600_NS10device_ptrIlEEjNS1_19radix_merge_compareILb0ELb0EfNS0_19identity_decomposerEEEEE10hipError_tT0_T1_T2_jT3_P12ihipStream_tbPNSt15iterator_traitsISG_E10value_typeEPNSM_ISH_E10value_typeEPSI_NS1_7vsmem_tEENKUlT_SG_SH_SI_E_clIS7_S7_SB_PlEESF_SV_SG_SH_SI_EUlSV_E_NS1_11comp_targetILNS1_3genE9ELNS1_11target_archE1100ELNS1_3gpuE3ELNS1_3repE0EEENS1_48merge_mergepath_partition_config_static_selectorELNS0_4arch9wavefront6targetE1EEEvSH_ ; -- Begin function _ZN7rocprim17ROCPRIM_400000_NS6detail17trampoline_kernelINS0_14default_configENS1_38merge_sort_block_merge_config_selectorIflEEZZNS1_27merge_sort_block_merge_implIS3_PfN6thrust23THRUST_200600_302600_NS10device_ptrIlEEjNS1_19radix_merge_compareILb0ELb0EfNS0_19identity_decomposerEEEEE10hipError_tT0_T1_T2_jT3_P12ihipStream_tbPNSt15iterator_traitsISG_E10value_typeEPNSM_ISH_E10value_typeEPSI_NS1_7vsmem_tEENKUlT_SG_SH_SI_E_clIS7_S7_SB_PlEESF_SV_SG_SH_SI_EUlSV_E_NS1_11comp_targetILNS1_3genE9ELNS1_11target_archE1100ELNS1_3gpuE3ELNS1_3repE0EEENS1_48merge_mergepath_partition_config_static_selectorELNS0_4arch9wavefront6targetE1EEEvSH_
	.globl	_ZN7rocprim17ROCPRIM_400000_NS6detail17trampoline_kernelINS0_14default_configENS1_38merge_sort_block_merge_config_selectorIflEEZZNS1_27merge_sort_block_merge_implIS3_PfN6thrust23THRUST_200600_302600_NS10device_ptrIlEEjNS1_19radix_merge_compareILb0ELb0EfNS0_19identity_decomposerEEEEE10hipError_tT0_T1_T2_jT3_P12ihipStream_tbPNSt15iterator_traitsISG_E10value_typeEPNSM_ISH_E10value_typeEPSI_NS1_7vsmem_tEENKUlT_SG_SH_SI_E_clIS7_S7_SB_PlEESF_SV_SG_SH_SI_EUlSV_E_NS1_11comp_targetILNS1_3genE9ELNS1_11target_archE1100ELNS1_3gpuE3ELNS1_3repE0EEENS1_48merge_mergepath_partition_config_static_selectorELNS0_4arch9wavefront6targetE1EEEvSH_
	.p2align	8
	.type	_ZN7rocprim17ROCPRIM_400000_NS6detail17trampoline_kernelINS0_14default_configENS1_38merge_sort_block_merge_config_selectorIflEEZZNS1_27merge_sort_block_merge_implIS3_PfN6thrust23THRUST_200600_302600_NS10device_ptrIlEEjNS1_19radix_merge_compareILb0ELb0EfNS0_19identity_decomposerEEEEE10hipError_tT0_T1_T2_jT3_P12ihipStream_tbPNSt15iterator_traitsISG_E10value_typeEPNSM_ISH_E10value_typeEPSI_NS1_7vsmem_tEENKUlT_SG_SH_SI_E_clIS7_S7_SB_PlEESF_SV_SG_SH_SI_EUlSV_E_NS1_11comp_targetILNS1_3genE9ELNS1_11target_archE1100ELNS1_3gpuE3ELNS1_3repE0EEENS1_48merge_mergepath_partition_config_static_selectorELNS0_4arch9wavefront6targetE1EEEvSH_,@function
_ZN7rocprim17ROCPRIM_400000_NS6detail17trampoline_kernelINS0_14default_configENS1_38merge_sort_block_merge_config_selectorIflEEZZNS1_27merge_sort_block_merge_implIS3_PfN6thrust23THRUST_200600_302600_NS10device_ptrIlEEjNS1_19radix_merge_compareILb0ELb0EfNS0_19identity_decomposerEEEEE10hipError_tT0_T1_T2_jT3_P12ihipStream_tbPNSt15iterator_traitsISG_E10value_typeEPNSM_ISH_E10value_typeEPSI_NS1_7vsmem_tEENKUlT_SG_SH_SI_E_clIS7_S7_SB_PlEESF_SV_SG_SH_SI_EUlSV_E_NS1_11comp_targetILNS1_3genE9ELNS1_11target_archE1100ELNS1_3gpuE3ELNS1_3repE0EEENS1_48merge_mergepath_partition_config_static_selectorELNS0_4arch9wavefront6targetE1EEEvSH_: ; @_ZN7rocprim17ROCPRIM_400000_NS6detail17trampoline_kernelINS0_14default_configENS1_38merge_sort_block_merge_config_selectorIflEEZZNS1_27merge_sort_block_merge_implIS3_PfN6thrust23THRUST_200600_302600_NS10device_ptrIlEEjNS1_19radix_merge_compareILb0ELb0EfNS0_19identity_decomposerEEEEE10hipError_tT0_T1_T2_jT3_P12ihipStream_tbPNSt15iterator_traitsISG_E10value_typeEPNSM_ISH_E10value_typeEPSI_NS1_7vsmem_tEENKUlT_SG_SH_SI_E_clIS7_S7_SB_PlEESF_SV_SG_SH_SI_EUlSV_E_NS1_11comp_targetILNS1_3genE9ELNS1_11target_archE1100ELNS1_3gpuE3ELNS1_3repE0EEENS1_48merge_mergepath_partition_config_static_selectorELNS0_4arch9wavefront6targetE1EEEvSH_
; %bb.0:
	.section	.rodata,"a",@progbits
	.p2align	6, 0x0
	.amdhsa_kernel _ZN7rocprim17ROCPRIM_400000_NS6detail17trampoline_kernelINS0_14default_configENS1_38merge_sort_block_merge_config_selectorIflEEZZNS1_27merge_sort_block_merge_implIS3_PfN6thrust23THRUST_200600_302600_NS10device_ptrIlEEjNS1_19radix_merge_compareILb0ELb0EfNS0_19identity_decomposerEEEEE10hipError_tT0_T1_T2_jT3_P12ihipStream_tbPNSt15iterator_traitsISG_E10value_typeEPNSM_ISH_E10value_typeEPSI_NS1_7vsmem_tEENKUlT_SG_SH_SI_E_clIS7_S7_SB_PlEESF_SV_SG_SH_SI_EUlSV_E_NS1_11comp_targetILNS1_3genE9ELNS1_11target_archE1100ELNS1_3gpuE3ELNS1_3repE0EEENS1_48merge_mergepath_partition_config_static_selectorELNS0_4arch9wavefront6targetE1EEEvSH_
		.amdhsa_group_segment_fixed_size 0
		.amdhsa_private_segment_fixed_size 0
		.amdhsa_kernarg_size 40
		.amdhsa_user_sgpr_count 6
		.amdhsa_user_sgpr_private_segment_buffer 1
		.amdhsa_user_sgpr_dispatch_ptr 0
		.amdhsa_user_sgpr_queue_ptr 0
		.amdhsa_user_sgpr_kernarg_segment_ptr 1
		.amdhsa_user_sgpr_dispatch_id 0
		.amdhsa_user_sgpr_flat_scratch_init 0
		.amdhsa_user_sgpr_private_segment_size 0
		.amdhsa_uses_dynamic_stack 0
		.amdhsa_system_sgpr_private_segment_wavefront_offset 0
		.amdhsa_system_sgpr_workgroup_id_x 1
		.amdhsa_system_sgpr_workgroup_id_y 0
		.amdhsa_system_sgpr_workgroup_id_z 0
		.amdhsa_system_sgpr_workgroup_info 0
		.amdhsa_system_vgpr_workitem_id 0
		.amdhsa_next_free_vgpr 1
		.amdhsa_next_free_sgpr 0
		.amdhsa_reserve_vcc 0
		.amdhsa_reserve_flat_scratch 0
		.amdhsa_float_round_mode_32 0
		.amdhsa_float_round_mode_16_64 0
		.amdhsa_float_denorm_mode_32 3
		.amdhsa_float_denorm_mode_16_64 3
		.amdhsa_dx10_clamp 1
		.amdhsa_ieee_mode 1
		.amdhsa_fp16_overflow 0
		.amdhsa_exception_fp_ieee_invalid_op 0
		.amdhsa_exception_fp_denorm_src 0
		.amdhsa_exception_fp_ieee_div_zero 0
		.amdhsa_exception_fp_ieee_overflow 0
		.amdhsa_exception_fp_ieee_underflow 0
		.amdhsa_exception_fp_ieee_inexact 0
		.amdhsa_exception_int_div_zero 0
	.end_amdhsa_kernel
	.section	.text._ZN7rocprim17ROCPRIM_400000_NS6detail17trampoline_kernelINS0_14default_configENS1_38merge_sort_block_merge_config_selectorIflEEZZNS1_27merge_sort_block_merge_implIS3_PfN6thrust23THRUST_200600_302600_NS10device_ptrIlEEjNS1_19radix_merge_compareILb0ELb0EfNS0_19identity_decomposerEEEEE10hipError_tT0_T1_T2_jT3_P12ihipStream_tbPNSt15iterator_traitsISG_E10value_typeEPNSM_ISH_E10value_typeEPSI_NS1_7vsmem_tEENKUlT_SG_SH_SI_E_clIS7_S7_SB_PlEESF_SV_SG_SH_SI_EUlSV_E_NS1_11comp_targetILNS1_3genE9ELNS1_11target_archE1100ELNS1_3gpuE3ELNS1_3repE0EEENS1_48merge_mergepath_partition_config_static_selectorELNS0_4arch9wavefront6targetE1EEEvSH_,"axG",@progbits,_ZN7rocprim17ROCPRIM_400000_NS6detail17trampoline_kernelINS0_14default_configENS1_38merge_sort_block_merge_config_selectorIflEEZZNS1_27merge_sort_block_merge_implIS3_PfN6thrust23THRUST_200600_302600_NS10device_ptrIlEEjNS1_19radix_merge_compareILb0ELb0EfNS0_19identity_decomposerEEEEE10hipError_tT0_T1_T2_jT3_P12ihipStream_tbPNSt15iterator_traitsISG_E10value_typeEPNSM_ISH_E10value_typeEPSI_NS1_7vsmem_tEENKUlT_SG_SH_SI_E_clIS7_S7_SB_PlEESF_SV_SG_SH_SI_EUlSV_E_NS1_11comp_targetILNS1_3genE9ELNS1_11target_archE1100ELNS1_3gpuE3ELNS1_3repE0EEENS1_48merge_mergepath_partition_config_static_selectorELNS0_4arch9wavefront6targetE1EEEvSH_,comdat
.Lfunc_end1790:
	.size	_ZN7rocprim17ROCPRIM_400000_NS6detail17trampoline_kernelINS0_14default_configENS1_38merge_sort_block_merge_config_selectorIflEEZZNS1_27merge_sort_block_merge_implIS3_PfN6thrust23THRUST_200600_302600_NS10device_ptrIlEEjNS1_19radix_merge_compareILb0ELb0EfNS0_19identity_decomposerEEEEE10hipError_tT0_T1_T2_jT3_P12ihipStream_tbPNSt15iterator_traitsISG_E10value_typeEPNSM_ISH_E10value_typeEPSI_NS1_7vsmem_tEENKUlT_SG_SH_SI_E_clIS7_S7_SB_PlEESF_SV_SG_SH_SI_EUlSV_E_NS1_11comp_targetILNS1_3genE9ELNS1_11target_archE1100ELNS1_3gpuE3ELNS1_3repE0EEENS1_48merge_mergepath_partition_config_static_selectorELNS0_4arch9wavefront6targetE1EEEvSH_, .Lfunc_end1790-_ZN7rocprim17ROCPRIM_400000_NS6detail17trampoline_kernelINS0_14default_configENS1_38merge_sort_block_merge_config_selectorIflEEZZNS1_27merge_sort_block_merge_implIS3_PfN6thrust23THRUST_200600_302600_NS10device_ptrIlEEjNS1_19radix_merge_compareILb0ELb0EfNS0_19identity_decomposerEEEEE10hipError_tT0_T1_T2_jT3_P12ihipStream_tbPNSt15iterator_traitsISG_E10value_typeEPNSM_ISH_E10value_typeEPSI_NS1_7vsmem_tEENKUlT_SG_SH_SI_E_clIS7_S7_SB_PlEESF_SV_SG_SH_SI_EUlSV_E_NS1_11comp_targetILNS1_3genE9ELNS1_11target_archE1100ELNS1_3gpuE3ELNS1_3repE0EEENS1_48merge_mergepath_partition_config_static_selectorELNS0_4arch9wavefront6targetE1EEEvSH_
                                        ; -- End function
	.set _ZN7rocprim17ROCPRIM_400000_NS6detail17trampoline_kernelINS0_14default_configENS1_38merge_sort_block_merge_config_selectorIflEEZZNS1_27merge_sort_block_merge_implIS3_PfN6thrust23THRUST_200600_302600_NS10device_ptrIlEEjNS1_19radix_merge_compareILb0ELb0EfNS0_19identity_decomposerEEEEE10hipError_tT0_T1_T2_jT3_P12ihipStream_tbPNSt15iterator_traitsISG_E10value_typeEPNSM_ISH_E10value_typeEPSI_NS1_7vsmem_tEENKUlT_SG_SH_SI_E_clIS7_S7_SB_PlEESF_SV_SG_SH_SI_EUlSV_E_NS1_11comp_targetILNS1_3genE9ELNS1_11target_archE1100ELNS1_3gpuE3ELNS1_3repE0EEENS1_48merge_mergepath_partition_config_static_selectorELNS0_4arch9wavefront6targetE1EEEvSH_.num_vgpr, 0
	.set _ZN7rocprim17ROCPRIM_400000_NS6detail17trampoline_kernelINS0_14default_configENS1_38merge_sort_block_merge_config_selectorIflEEZZNS1_27merge_sort_block_merge_implIS3_PfN6thrust23THRUST_200600_302600_NS10device_ptrIlEEjNS1_19radix_merge_compareILb0ELb0EfNS0_19identity_decomposerEEEEE10hipError_tT0_T1_T2_jT3_P12ihipStream_tbPNSt15iterator_traitsISG_E10value_typeEPNSM_ISH_E10value_typeEPSI_NS1_7vsmem_tEENKUlT_SG_SH_SI_E_clIS7_S7_SB_PlEESF_SV_SG_SH_SI_EUlSV_E_NS1_11comp_targetILNS1_3genE9ELNS1_11target_archE1100ELNS1_3gpuE3ELNS1_3repE0EEENS1_48merge_mergepath_partition_config_static_selectorELNS0_4arch9wavefront6targetE1EEEvSH_.num_agpr, 0
	.set _ZN7rocprim17ROCPRIM_400000_NS6detail17trampoline_kernelINS0_14default_configENS1_38merge_sort_block_merge_config_selectorIflEEZZNS1_27merge_sort_block_merge_implIS3_PfN6thrust23THRUST_200600_302600_NS10device_ptrIlEEjNS1_19radix_merge_compareILb0ELb0EfNS0_19identity_decomposerEEEEE10hipError_tT0_T1_T2_jT3_P12ihipStream_tbPNSt15iterator_traitsISG_E10value_typeEPNSM_ISH_E10value_typeEPSI_NS1_7vsmem_tEENKUlT_SG_SH_SI_E_clIS7_S7_SB_PlEESF_SV_SG_SH_SI_EUlSV_E_NS1_11comp_targetILNS1_3genE9ELNS1_11target_archE1100ELNS1_3gpuE3ELNS1_3repE0EEENS1_48merge_mergepath_partition_config_static_selectorELNS0_4arch9wavefront6targetE1EEEvSH_.numbered_sgpr, 0
	.set _ZN7rocprim17ROCPRIM_400000_NS6detail17trampoline_kernelINS0_14default_configENS1_38merge_sort_block_merge_config_selectorIflEEZZNS1_27merge_sort_block_merge_implIS3_PfN6thrust23THRUST_200600_302600_NS10device_ptrIlEEjNS1_19radix_merge_compareILb0ELb0EfNS0_19identity_decomposerEEEEE10hipError_tT0_T1_T2_jT3_P12ihipStream_tbPNSt15iterator_traitsISG_E10value_typeEPNSM_ISH_E10value_typeEPSI_NS1_7vsmem_tEENKUlT_SG_SH_SI_E_clIS7_S7_SB_PlEESF_SV_SG_SH_SI_EUlSV_E_NS1_11comp_targetILNS1_3genE9ELNS1_11target_archE1100ELNS1_3gpuE3ELNS1_3repE0EEENS1_48merge_mergepath_partition_config_static_selectorELNS0_4arch9wavefront6targetE1EEEvSH_.num_named_barrier, 0
	.set _ZN7rocprim17ROCPRIM_400000_NS6detail17trampoline_kernelINS0_14default_configENS1_38merge_sort_block_merge_config_selectorIflEEZZNS1_27merge_sort_block_merge_implIS3_PfN6thrust23THRUST_200600_302600_NS10device_ptrIlEEjNS1_19radix_merge_compareILb0ELb0EfNS0_19identity_decomposerEEEEE10hipError_tT0_T1_T2_jT3_P12ihipStream_tbPNSt15iterator_traitsISG_E10value_typeEPNSM_ISH_E10value_typeEPSI_NS1_7vsmem_tEENKUlT_SG_SH_SI_E_clIS7_S7_SB_PlEESF_SV_SG_SH_SI_EUlSV_E_NS1_11comp_targetILNS1_3genE9ELNS1_11target_archE1100ELNS1_3gpuE3ELNS1_3repE0EEENS1_48merge_mergepath_partition_config_static_selectorELNS0_4arch9wavefront6targetE1EEEvSH_.private_seg_size, 0
	.set _ZN7rocprim17ROCPRIM_400000_NS6detail17trampoline_kernelINS0_14default_configENS1_38merge_sort_block_merge_config_selectorIflEEZZNS1_27merge_sort_block_merge_implIS3_PfN6thrust23THRUST_200600_302600_NS10device_ptrIlEEjNS1_19radix_merge_compareILb0ELb0EfNS0_19identity_decomposerEEEEE10hipError_tT0_T1_T2_jT3_P12ihipStream_tbPNSt15iterator_traitsISG_E10value_typeEPNSM_ISH_E10value_typeEPSI_NS1_7vsmem_tEENKUlT_SG_SH_SI_E_clIS7_S7_SB_PlEESF_SV_SG_SH_SI_EUlSV_E_NS1_11comp_targetILNS1_3genE9ELNS1_11target_archE1100ELNS1_3gpuE3ELNS1_3repE0EEENS1_48merge_mergepath_partition_config_static_selectorELNS0_4arch9wavefront6targetE1EEEvSH_.uses_vcc, 0
	.set _ZN7rocprim17ROCPRIM_400000_NS6detail17trampoline_kernelINS0_14default_configENS1_38merge_sort_block_merge_config_selectorIflEEZZNS1_27merge_sort_block_merge_implIS3_PfN6thrust23THRUST_200600_302600_NS10device_ptrIlEEjNS1_19radix_merge_compareILb0ELb0EfNS0_19identity_decomposerEEEEE10hipError_tT0_T1_T2_jT3_P12ihipStream_tbPNSt15iterator_traitsISG_E10value_typeEPNSM_ISH_E10value_typeEPSI_NS1_7vsmem_tEENKUlT_SG_SH_SI_E_clIS7_S7_SB_PlEESF_SV_SG_SH_SI_EUlSV_E_NS1_11comp_targetILNS1_3genE9ELNS1_11target_archE1100ELNS1_3gpuE3ELNS1_3repE0EEENS1_48merge_mergepath_partition_config_static_selectorELNS0_4arch9wavefront6targetE1EEEvSH_.uses_flat_scratch, 0
	.set _ZN7rocprim17ROCPRIM_400000_NS6detail17trampoline_kernelINS0_14default_configENS1_38merge_sort_block_merge_config_selectorIflEEZZNS1_27merge_sort_block_merge_implIS3_PfN6thrust23THRUST_200600_302600_NS10device_ptrIlEEjNS1_19radix_merge_compareILb0ELb0EfNS0_19identity_decomposerEEEEE10hipError_tT0_T1_T2_jT3_P12ihipStream_tbPNSt15iterator_traitsISG_E10value_typeEPNSM_ISH_E10value_typeEPSI_NS1_7vsmem_tEENKUlT_SG_SH_SI_E_clIS7_S7_SB_PlEESF_SV_SG_SH_SI_EUlSV_E_NS1_11comp_targetILNS1_3genE9ELNS1_11target_archE1100ELNS1_3gpuE3ELNS1_3repE0EEENS1_48merge_mergepath_partition_config_static_selectorELNS0_4arch9wavefront6targetE1EEEvSH_.has_dyn_sized_stack, 0
	.set _ZN7rocprim17ROCPRIM_400000_NS6detail17trampoline_kernelINS0_14default_configENS1_38merge_sort_block_merge_config_selectorIflEEZZNS1_27merge_sort_block_merge_implIS3_PfN6thrust23THRUST_200600_302600_NS10device_ptrIlEEjNS1_19radix_merge_compareILb0ELb0EfNS0_19identity_decomposerEEEEE10hipError_tT0_T1_T2_jT3_P12ihipStream_tbPNSt15iterator_traitsISG_E10value_typeEPNSM_ISH_E10value_typeEPSI_NS1_7vsmem_tEENKUlT_SG_SH_SI_E_clIS7_S7_SB_PlEESF_SV_SG_SH_SI_EUlSV_E_NS1_11comp_targetILNS1_3genE9ELNS1_11target_archE1100ELNS1_3gpuE3ELNS1_3repE0EEENS1_48merge_mergepath_partition_config_static_selectorELNS0_4arch9wavefront6targetE1EEEvSH_.has_recursion, 0
	.set _ZN7rocprim17ROCPRIM_400000_NS6detail17trampoline_kernelINS0_14default_configENS1_38merge_sort_block_merge_config_selectorIflEEZZNS1_27merge_sort_block_merge_implIS3_PfN6thrust23THRUST_200600_302600_NS10device_ptrIlEEjNS1_19radix_merge_compareILb0ELb0EfNS0_19identity_decomposerEEEEE10hipError_tT0_T1_T2_jT3_P12ihipStream_tbPNSt15iterator_traitsISG_E10value_typeEPNSM_ISH_E10value_typeEPSI_NS1_7vsmem_tEENKUlT_SG_SH_SI_E_clIS7_S7_SB_PlEESF_SV_SG_SH_SI_EUlSV_E_NS1_11comp_targetILNS1_3genE9ELNS1_11target_archE1100ELNS1_3gpuE3ELNS1_3repE0EEENS1_48merge_mergepath_partition_config_static_selectorELNS0_4arch9wavefront6targetE1EEEvSH_.has_indirect_call, 0
	.section	.AMDGPU.csdata,"",@progbits
; Kernel info:
; codeLenInByte = 0
; TotalNumSgprs: 4
; NumVgprs: 0
; ScratchSize: 0
; MemoryBound: 0
; FloatMode: 240
; IeeeMode: 1
; LDSByteSize: 0 bytes/workgroup (compile time only)
; SGPRBlocks: 0
; VGPRBlocks: 0
; NumSGPRsForWavesPerEU: 4
; NumVGPRsForWavesPerEU: 1
; Occupancy: 10
; WaveLimiterHint : 0
; COMPUTE_PGM_RSRC2:SCRATCH_EN: 0
; COMPUTE_PGM_RSRC2:USER_SGPR: 6
; COMPUTE_PGM_RSRC2:TRAP_HANDLER: 0
; COMPUTE_PGM_RSRC2:TGID_X_EN: 1
; COMPUTE_PGM_RSRC2:TGID_Y_EN: 0
; COMPUTE_PGM_RSRC2:TGID_Z_EN: 0
; COMPUTE_PGM_RSRC2:TIDIG_COMP_CNT: 0
	.section	.text._ZN7rocprim17ROCPRIM_400000_NS6detail17trampoline_kernelINS0_14default_configENS1_38merge_sort_block_merge_config_selectorIflEEZZNS1_27merge_sort_block_merge_implIS3_PfN6thrust23THRUST_200600_302600_NS10device_ptrIlEEjNS1_19radix_merge_compareILb0ELb0EfNS0_19identity_decomposerEEEEE10hipError_tT0_T1_T2_jT3_P12ihipStream_tbPNSt15iterator_traitsISG_E10value_typeEPNSM_ISH_E10value_typeEPSI_NS1_7vsmem_tEENKUlT_SG_SH_SI_E_clIS7_S7_SB_PlEESF_SV_SG_SH_SI_EUlSV_E_NS1_11comp_targetILNS1_3genE8ELNS1_11target_archE1030ELNS1_3gpuE2ELNS1_3repE0EEENS1_48merge_mergepath_partition_config_static_selectorELNS0_4arch9wavefront6targetE1EEEvSH_,"axG",@progbits,_ZN7rocprim17ROCPRIM_400000_NS6detail17trampoline_kernelINS0_14default_configENS1_38merge_sort_block_merge_config_selectorIflEEZZNS1_27merge_sort_block_merge_implIS3_PfN6thrust23THRUST_200600_302600_NS10device_ptrIlEEjNS1_19radix_merge_compareILb0ELb0EfNS0_19identity_decomposerEEEEE10hipError_tT0_T1_T2_jT3_P12ihipStream_tbPNSt15iterator_traitsISG_E10value_typeEPNSM_ISH_E10value_typeEPSI_NS1_7vsmem_tEENKUlT_SG_SH_SI_E_clIS7_S7_SB_PlEESF_SV_SG_SH_SI_EUlSV_E_NS1_11comp_targetILNS1_3genE8ELNS1_11target_archE1030ELNS1_3gpuE2ELNS1_3repE0EEENS1_48merge_mergepath_partition_config_static_selectorELNS0_4arch9wavefront6targetE1EEEvSH_,comdat
	.protected	_ZN7rocprim17ROCPRIM_400000_NS6detail17trampoline_kernelINS0_14default_configENS1_38merge_sort_block_merge_config_selectorIflEEZZNS1_27merge_sort_block_merge_implIS3_PfN6thrust23THRUST_200600_302600_NS10device_ptrIlEEjNS1_19radix_merge_compareILb0ELb0EfNS0_19identity_decomposerEEEEE10hipError_tT0_T1_T2_jT3_P12ihipStream_tbPNSt15iterator_traitsISG_E10value_typeEPNSM_ISH_E10value_typeEPSI_NS1_7vsmem_tEENKUlT_SG_SH_SI_E_clIS7_S7_SB_PlEESF_SV_SG_SH_SI_EUlSV_E_NS1_11comp_targetILNS1_3genE8ELNS1_11target_archE1030ELNS1_3gpuE2ELNS1_3repE0EEENS1_48merge_mergepath_partition_config_static_selectorELNS0_4arch9wavefront6targetE1EEEvSH_ ; -- Begin function _ZN7rocprim17ROCPRIM_400000_NS6detail17trampoline_kernelINS0_14default_configENS1_38merge_sort_block_merge_config_selectorIflEEZZNS1_27merge_sort_block_merge_implIS3_PfN6thrust23THRUST_200600_302600_NS10device_ptrIlEEjNS1_19radix_merge_compareILb0ELb0EfNS0_19identity_decomposerEEEEE10hipError_tT0_T1_T2_jT3_P12ihipStream_tbPNSt15iterator_traitsISG_E10value_typeEPNSM_ISH_E10value_typeEPSI_NS1_7vsmem_tEENKUlT_SG_SH_SI_E_clIS7_S7_SB_PlEESF_SV_SG_SH_SI_EUlSV_E_NS1_11comp_targetILNS1_3genE8ELNS1_11target_archE1030ELNS1_3gpuE2ELNS1_3repE0EEENS1_48merge_mergepath_partition_config_static_selectorELNS0_4arch9wavefront6targetE1EEEvSH_
	.globl	_ZN7rocprim17ROCPRIM_400000_NS6detail17trampoline_kernelINS0_14default_configENS1_38merge_sort_block_merge_config_selectorIflEEZZNS1_27merge_sort_block_merge_implIS3_PfN6thrust23THRUST_200600_302600_NS10device_ptrIlEEjNS1_19radix_merge_compareILb0ELb0EfNS0_19identity_decomposerEEEEE10hipError_tT0_T1_T2_jT3_P12ihipStream_tbPNSt15iterator_traitsISG_E10value_typeEPNSM_ISH_E10value_typeEPSI_NS1_7vsmem_tEENKUlT_SG_SH_SI_E_clIS7_S7_SB_PlEESF_SV_SG_SH_SI_EUlSV_E_NS1_11comp_targetILNS1_3genE8ELNS1_11target_archE1030ELNS1_3gpuE2ELNS1_3repE0EEENS1_48merge_mergepath_partition_config_static_selectorELNS0_4arch9wavefront6targetE1EEEvSH_
	.p2align	8
	.type	_ZN7rocprim17ROCPRIM_400000_NS6detail17trampoline_kernelINS0_14default_configENS1_38merge_sort_block_merge_config_selectorIflEEZZNS1_27merge_sort_block_merge_implIS3_PfN6thrust23THRUST_200600_302600_NS10device_ptrIlEEjNS1_19radix_merge_compareILb0ELb0EfNS0_19identity_decomposerEEEEE10hipError_tT0_T1_T2_jT3_P12ihipStream_tbPNSt15iterator_traitsISG_E10value_typeEPNSM_ISH_E10value_typeEPSI_NS1_7vsmem_tEENKUlT_SG_SH_SI_E_clIS7_S7_SB_PlEESF_SV_SG_SH_SI_EUlSV_E_NS1_11comp_targetILNS1_3genE8ELNS1_11target_archE1030ELNS1_3gpuE2ELNS1_3repE0EEENS1_48merge_mergepath_partition_config_static_selectorELNS0_4arch9wavefront6targetE1EEEvSH_,@function
_ZN7rocprim17ROCPRIM_400000_NS6detail17trampoline_kernelINS0_14default_configENS1_38merge_sort_block_merge_config_selectorIflEEZZNS1_27merge_sort_block_merge_implIS3_PfN6thrust23THRUST_200600_302600_NS10device_ptrIlEEjNS1_19radix_merge_compareILb0ELb0EfNS0_19identity_decomposerEEEEE10hipError_tT0_T1_T2_jT3_P12ihipStream_tbPNSt15iterator_traitsISG_E10value_typeEPNSM_ISH_E10value_typeEPSI_NS1_7vsmem_tEENKUlT_SG_SH_SI_E_clIS7_S7_SB_PlEESF_SV_SG_SH_SI_EUlSV_E_NS1_11comp_targetILNS1_3genE8ELNS1_11target_archE1030ELNS1_3gpuE2ELNS1_3repE0EEENS1_48merge_mergepath_partition_config_static_selectorELNS0_4arch9wavefront6targetE1EEEvSH_: ; @_ZN7rocprim17ROCPRIM_400000_NS6detail17trampoline_kernelINS0_14default_configENS1_38merge_sort_block_merge_config_selectorIflEEZZNS1_27merge_sort_block_merge_implIS3_PfN6thrust23THRUST_200600_302600_NS10device_ptrIlEEjNS1_19radix_merge_compareILb0ELb0EfNS0_19identity_decomposerEEEEE10hipError_tT0_T1_T2_jT3_P12ihipStream_tbPNSt15iterator_traitsISG_E10value_typeEPNSM_ISH_E10value_typeEPSI_NS1_7vsmem_tEENKUlT_SG_SH_SI_E_clIS7_S7_SB_PlEESF_SV_SG_SH_SI_EUlSV_E_NS1_11comp_targetILNS1_3genE8ELNS1_11target_archE1030ELNS1_3gpuE2ELNS1_3repE0EEENS1_48merge_mergepath_partition_config_static_selectorELNS0_4arch9wavefront6targetE1EEEvSH_
; %bb.0:
	.section	.rodata,"a",@progbits
	.p2align	6, 0x0
	.amdhsa_kernel _ZN7rocprim17ROCPRIM_400000_NS6detail17trampoline_kernelINS0_14default_configENS1_38merge_sort_block_merge_config_selectorIflEEZZNS1_27merge_sort_block_merge_implIS3_PfN6thrust23THRUST_200600_302600_NS10device_ptrIlEEjNS1_19radix_merge_compareILb0ELb0EfNS0_19identity_decomposerEEEEE10hipError_tT0_T1_T2_jT3_P12ihipStream_tbPNSt15iterator_traitsISG_E10value_typeEPNSM_ISH_E10value_typeEPSI_NS1_7vsmem_tEENKUlT_SG_SH_SI_E_clIS7_S7_SB_PlEESF_SV_SG_SH_SI_EUlSV_E_NS1_11comp_targetILNS1_3genE8ELNS1_11target_archE1030ELNS1_3gpuE2ELNS1_3repE0EEENS1_48merge_mergepath_partition_config_static_selectorELNS0_4arch9wavefront6targetE1EEEvSH_
		.amdhsa_group_segment_fixed_size 0
		.amdhsa_private_segment_fixed_size 0
		.amdhsa_kernarg_size 40
		.amdhsa_user_sgpr_count 6
		.amdhsa_user_sgpr_private_segment_buffer 1
		.amdhsa_user_sgpr_dispatch_ptr 0
		.amdhsa_user_sgpr_queue_ptr 0
		.amdhsa_user_sgpr_kernarg_segment_ptr 1
		.amdhsa_user_sgpr_dispatch_id 0
		.amdhsa_user_sgpr_flat_scratch_init 0
		.amdhsa_user_sgpr_private_segment_size 0
		.amdhsa_uses_dynamic_stack 0
		.amdhsa_system_sgpr_private_segment_wavefront_offset 0
		.amdhsa_system_sgpr_workgroup_id_x 1
		.amdhsa_system_sgpr_workgroup_id_y 0
		.amdhsa_system_sgpr_workgroup_id_z 0
		.amdhsa_system_sgpr_workgroup_info 0
		.amdhsa_system_vgpr_workitem_id 0
		.amdhsa_next_free_vgpr 1
		.amdhsa_next_free_sgpr 0
		.amdhsa_reserve_vcc 0
		.amdhsa_reserve_flat_scratch 0
		.amdhsa_float_round_mode_32 0
		.amdhsa_float_round_mode_16_64 0
		.amdhsa_float_denorm_mode_32 3
		.amdhsa_float_denorm_mode_16_64 3
		.amdhsa_dx10_clamp 1
		.amdhsa_ieee_mode 1
		.amdhsa_fp16_overflow 0
		.amdhsa_exception_fp_ieee_invalid_op 0
		.amdhsa_exception_fp_denorm_src 0
		.amdhsa_exception_fp_ieee_div_zero 0
		.amdhsa_exception_fp_ieee_overflow 0
		.amdhsa_exception_fp_ieee_underflow 0
		.amdhsa_exception_fp_ieee_inexact 0
		.amdhsa_exception_int_div_zero 0
	.end_amdhsa_kernel
	.section	.text._ZN7rocprim17ROCPRIM_400000_NS6detail17trampoline_kernelINS0_14default_configENS1_38merge_sort_block_merge_config_selectorIflEEZZNS1_27merge_sort_block_merge_implIS3_PfN6thrust23THRUST_200600_302600_NS10device_ptrIlEEjNS1_19radix_merge_compareILb0ELb0EfNS0_19identity_decomposerEEEEE10hipError_tT0_T1_T2_jT3_P12ihipStream_tbPNSt15iterator_traitsISG_E10value_typeEPNSM_ISH_E10value_typeEPSI_NS1_7vsmem_tEENKUlT_SG_SH_SI_E_clIS7_S7_SB_PlEESF_SV_SG_SH_SI_EUlSV_E_NS1_11comp_targetILNS1_3genE8ELNS1_11target_archE1030ELNS1_3gpuE2ELNS1_3repE0EEENS1_48merge_mergepath_partition_config_static_selectorELNS0_4arch9wavefront6targetE1EEEvSH_,"axG",@progbits,_ZN7rocprim17ROCPRIM_400000_NS6detail17trampoline_kernelINS0_14default_configENS1_38merge_sort_block_merge_config_selectorIflEEZZNS1_27merge_sort_block_merge_implIS3_PfN6thrust23THRUST_200600_302600_NS10device_ptrIlEEjNS1_19radix_merge_compareILb0ELb0EfNS0_19identity_decomposerEEEEE10hipError_tT0_T1_T2_jT3_P12ihipStream_tbPNSt15iterator_traitsISG_E10value_typeEPNSM_ISH_E10value_typeEPSI_NS1_7vsmem_tEENKUlT_SG_SH_SI_E_clIS7_S7_SB_PlEESF_SV_SG_SH_SI_EUlSV_E_NS1_11comp_targetILNS1_3genE8ELNS1_11target_archE1030ELNS1_3gpuE2ELNS1_3repE0EEENS1_48merge_mergepath_partition_config_static_selectorELNS0_4arch9wavefront6targetE1EEEvSH_,comdat
.Lfunc_end1791:
	.size	_ZN7rocprim17ROCPRIM_400000_NS6detail17trampoline_kernelINS0_14default_configENS1_38merge_sort_block_merge_config_selectorIflEEZZNS1_27merge_sort_block_merge_implIS3_PfN6thrust23THRUST_200600_302600_NS10device_ptrIlEEjNS1_19radix_merge_compareILb0ELb0EfNS0_19identity_decomposerEEEEE10hipError_tT0_T1_T2_jT3_P12ihipStream_tbPNSt15iterator_traitsISG_E10value_typeEPNSM_ISH_E10value_typeEPSI_NS1_7vsmem_tEENKUlT_SG_SH_SI_E_clIS7_S7_SB_PlEESF_SV_SG_SH_SI_EUlSV_E_NS1_11comp_targetILNS1_3genE8ELNS1_11target_archE1030ELNS1_3gpuE2ELNS1_3repE0EEENS1_48merge_mergepath_partition_config_static_selectorELNS0_4arch9wavefront6targetE1EEEvSH_, .Lfunc_end1791-_ZN7rocprim17ROCPRIM_400000_NS6detail17trampoline_kernelINS0_14default_configENS1_38merge_sort_block_merge_config_selectorIflEEZZNS1_27merge_sort_block_merge_implIS3_PfN6thrust23THRUST_200600_302600_NS10device_ptrIlEEjNS1_19radix_merge_compareILb0ELb0EfNS0_19identity_decomposerEEEEE10hipError_tT0_T1_T2_jT3_P12ihipStream_tbPNSt15iterator_traitsISG_E10value_typeEPNSM_ISH_E10value_typeEPSI_NS1_7vsmem_tEENKUlT_SG_SH_SI_E_clIS7_S7_SB_PlEESF_SV_SG_SH_SI_EUlSV_E_NS1_11comp_targetILNS1_3genE8ELNS1_11target_archE1030ELNS1_3gpuE2ELNS1_3repE0EEENS1_48merge_mergepath_partition_config_static_selectorELNS0_4arch9wavefront6targetE1EEEvSH_
                                        ; -- End function
	.set _ZN7rocprim17ROCPRIM_400000_NS6detail17trampoline_kernelINS0_14default_configENS1_38merge_sort_block_merge_config_selectorIflEEZZNS1_27merge_sort_block_merge_implIS3_PfN6thrust23THRUST_200600_302600_NS10device_ptrIlEEjNS1_19radix_merge_compareILb0ELb0EfNS0_19identity_decomposerEEEEE10hipError_tT0_T1_T2_jT3_P12ihipStream_tbPNSt15iterator_traitsISG_E10value_typeEPNSM_ISH_E10value_typeEPSI_NS1_7vsmem_tEENKUlT_SG_SH_SI_E_clIS7_S7_SB_PlEESF_SV_SG_SH_SI_EUlSV_E_NS1_11comp_targetILNS1_3genE8ELNS1_11target_archE1030ELNS1_3gpuE2ELNS1_3repE0EEENS1_48merge_mergepath_partition_config_static_selectorELNS0_4arch9wavefront6targetE1EEEvSH_.num_vgpr, 0
	.set _ZN7rocprim17ROCPRIM_400000_NS6detail17trampoline_kernelINS0_14default_configENS1_38merge_sort_block_merge_config_selectorIflEEZZNS1_27merge_sort_block_merge_implIS3_PfN6thrust23THRUST_200600_302600_NS10device_ptrIlEEjNS1_19radix_merge_compareILb0ELb0EfNS0_19identity_decomposerEEEEE10hipError_tT0_T1_T2_jT3_P12ihipStream_tbPNSt15iterator_traitsISG_E10value_typeEPNSM_ISH_E10value_typeEPSI_NS1_7vsmem_tEENKUlT_SG_SH_SI_E_clIS7_S7_SB_PlEESF_SV_SG_SH_SI_EUlSV_E_NS1_11comp_targetILNS1_3genE8ELNS1_11target_archE1030ELNS1_3gpuE2ELNS1_3repE0EEENS1_48merge_mergepath_partition_config_static_selectorELNS0_4arch9wavefront6targetE1EEEvSH_.num_agpr, 0
	.set _ZN7rocprim17ROCPRIM_400000_NS6detail17trampoline_kernelINS0_14default_configENS1_38merge_sort_block_merge_config_selectorIflEEZZNS1_27merge_sort_block_merge_implIS3_PfN6thrust23THRUST_200600_302600_NS10device_ptrIlEEjNS1_19radix_merge_compareILb0ELb0EfNS0_19identity_decomposerEEEEE10hipError_tT0_T1_T2_jT3_P12ihipStream_tbPNSt15iterator_traitsISG_E10value_typeEPNSM_ISH_E10value_typeEPSI_NS1_7vsmem_tEENKUlT_SG_SH_SI_E_clIS7_S7_SB_PlEESF_SV_SG_SH_SI_EUlSV_E_NS1_11comp_targetILNS1_3genE8ELNS1_11target_archE1030ELNS1_3gpuE2ELNS1_3repE0EEENS1_48merge_mergepath_partition_config_static_selectorELNS0_4arch9wavefront6targetE1EEEvSH_.numbered_sgpr, 0
	.set _ZN7rocprim17ROCPRIM_400000_NS6detail17trampoline_kernelINS0_14default_configENS1_38merge_sort_block_merge_config_selectorIflEEZZNS1_27merge_sort_block_merge_implIS3_PfN6thrust23THRUST_200600_302600_NS10device_ptrIlEEjNS1_19radix_merge_compareILb0ELb0EfNS0_19identity_decomposerEEEEE10hipError_tT0_T1_T2_jT3_P12ihipStream_tbPNSt15iterator_traitsISG_E10value_typeEPNSM_ISH_E10value_typeEPSI_NS1_7vsmem_tEENKUlT_SG_SH_SI_E_clIS7_S7_SB_PlEESF_SV_SG_SH_SI_EUlSV_E_NS1_11comp_targetILNS1_3genE8ELNS1_11target_archE1030ELNS1_3gpuE2ELNS1_3repE0EEENS1_48merge_mergepath_partition_config_static_selectorELNS0_4arch9wavefront6targetE1EEEvSH_.num_named_barrier, 0
	.set _ZN7rocprim17ROCPRIM_400000_NS6detail17trampoline_kernelINS0_14default_configENS1_38merge_sort_block_merge_config_selectorIflEEZZNS1_27merge_sort_block_merge_implIS3_PfN6thrust23THRUST_200600_302600_NS10device_ptrIlEEjNS1_19radix_merge_compareILb0ELb0EfNS0_19identity_decomposerEEEEE10hipError_tT0_T1_T2_jT3_P12ihipStream_tbPNSt15iterator_traitsISG_E10value_typeEPNSM_ISH_E10value_typeEPSI_NS1_7vsmem_tEENKUlT_SG_SH_SI_E_clIS7_S7_SB_PlEESF_SV_SG_SH_SI_EUlSV_E_NS1_11comp_targetILNS1_3genE8ELNS1_11target_archE1030ELNS1_3gpuE2ELNS1_3repE0EEENS1_48merge_mergepath_partition_config_static_selectorELNS0_4arch9wavefront6targetE1EEEvSH_.private_seg_size, 0
	.set _ZN7rocprim17ROCPRIM_400000_NS6detail17trampoline_kernelINS0_14default_configENS1_38merge_sort_block_merge_config_selectorIflEEZZNS1_27merge_sort_block_merge_implIS3_PfN6thrust23THRUST_200600_302600_NS10device_ptrIlEEjNS1_19radix_merge_compareILb0ELb0EfNS0_19identity_decomposerEEEEE10hipError_tT0_T1_T2_jT3_P12ihipStream_tbPNSt15iterator_traitsISG_E10value_typeEPNSM_ISH_E10value_typeEPSI_NS1_7vsmem_tEENKUlT_SG_SH_SI_E_clIS7_S7_SB_PlEESF_SV_SG_SH_SI_EUlSV_E_NS1_11comp_targetILNS1_3genE8ELNS1_11target_archE1030ELNS1_3gpuE2ELNS1_3repE0EEENS1_48merge_mergepath_partition_config_static_selectorELNS0_4arch9wavefront6targetE1EEEvSH_.uses_vcc, 0
	.set _ZN7rocprim17ROCPRIM_400000_NS6detail17trampoline_kernelINS0_14default_configENS1_38merge_sort_block_merge_config_selectorIflEEZZNS1_27merge_sort_block_merge_implIS3_PfN6thrust23THRUST_200600_302600_NS10device_ptrIlEEjNS1_19radix_merge_compareILb0ELb0EfNS0_19identity_decomposerEEEEE10hipError_tT0_T1_T2_jT3_P12ihipStream_tbPNSt15iterator_traitsISG_E10value_typeEPNSM_ISH_E10value_typeEPSI_NS1_7vsmem_tEENKUlT_SG_SH_SI_E_clIS7_S7_SB_PlEESF_SV_SG_SH_SI_EUlSV_E_NS1_11comp_targetILNS1_3genE8ELNS1_11target_archE1030ELNS1_3gpuE2ELNS1_3repE0EEENS1_48merge_mergepath_partition_config_static_selectorELNS0_4arch9wavefront6targetE1EEEvSH_.uses_flat_scratch, 0
	.set _ZN7rocprim17ROCPRIM_400000_NS6detail17trampoline_kernelINS0_14default_configENS1_38merge_sort_block_merge_config_selectorIflEEZZNS1_27merge_sort_block_merge_implIS3_PfN6thrust23THRUST_200600_302600_NS10device_ptrIlEEjNS1_19radix_merge_compareILb0ELb0EfNS0_19identity_decomposerEEEEE10hipError_tT0_T1_T2_jT3_P12ihipStream_tbPNSt15iterator_traitsISG_E10value_typeEPNSM_ISH_E10value_typeEPSI_NS1_7vsmem_tEENKUlT_SG_SH_SI_E_clIS7_S7_SB_PlEESF_SV_SG_SH_SI_EUlSV_E_NS1_11comp_targetILNS1_3genE8ELNS1_11target_archE1030ELNS1_3gpuE2ELNS1_3repE0EEENS1_48merge_mergepath_partition_config_static_selectorELNS0_4arch9wavefront6targetE1EEEvSH_.has_dyn_sized_stack, 0
	.set _ZN7rocprim17ROCPRIM_400000_NS6detail17trampoline_kernelINS0_14default_configENS1_38merge_sort_block_merge_config_selectorIflEEZZNS1_27merge_sort_block_merge_implIS3_PfN6thrust23THRUST_200600_302600_NS10device_ptrIlEEjNS1_19radix_merge_compareILb0ELb0EfNS0_19identity_decomposerEEEEE10hipError_tT0_T1_T2_jT3_P12ihipStream_tbPNSt15iterator_traitsISG_E10value_typeEPNSM_ISH_E10value_typeEPSI_NS1_7vsmem_tEENKUlT_SG_SH_SI_E_clIS7_S7_SB_PlEESF_SV_SG_SH_SI_EUlSV_E_NS1_11comp_targetILNS1_3genE8ELNS1_11target_archE1030ELNS1_3gpuE2ELNS1_3repE0EEENS1_48merge_mergepath_partition_config_static_selectorELNS0_4arch9wavefront6targetE1EEEvSH_.has_recursion, 0
	.set _ZN7rocprim17ROCPRIM_400000_NS6detail17trampoline_kernelINS0_14default_configENS1_38merge_sort_block_merge_config_selectorIflEEZZNS1_27merge_sort_block_merge_implIS3_PfN6thrust23THRUST_200600_302600_NS10device_ptrIlEEjNS1_19radix_merge_compareILb0ELb0EfNS0_19identity_decomposerEEEEE10hipError_tT0_T1_T2_jT3_P12ihipStream_tbPNSt15iterator_traitsISG_E10value_typeEPNSM_ISH_E10value_typeEPSI_NS1_7vsmem_tEENKUlT_SG_SH_SI_E_clIS7_S7_SB_PlEESF_SV_SG_SH_SI_EUlSV_E_NS1_11comp_targetILNS1_3genE8ELNS1_11target_archE1030ELNS1_3gpuE2ELNS1_3repE0EEENS1_48merge_mergepath_partition_config_static_selectorELNS0_4arch9wavefront6targetE1EEEvSH_.has_indirect_call, 0
	.section	.AMDGPU.csdata,"",@progbits
; Kernel info:
; codeLenInByte = 0
; TotalNumSgprs: 4
; NumVgprs: 0
; ScratchSize: 0
; MemoryBound: 0
; FloatMode: 240
; IeeeMode: 1
; LDSByteSize: 0 bytes/workgroup (compile time only)
; SGPRBlocks: 0
; VGPRBlocks: 0
; NumSGPRsForWavesPerEU: 4
; NumVGPRsForWavesPerEU: 1
; Occupancy: 10
; WaveLimiterHint : 0
; COMPUTE_PGM_RSRC2:SCRATCH_EN: 0
; COMPUTE_PGM_RSRC2:USER_SGPR: 6
; COMPUTE_PGM_RSRC2:TRAP_HANDLER: 0
; COMPUTE_PGM_RSRC2:TGID_X_EN: 1
; COMPUTE_PGM_RSRC2:TGID_Y_EN: 0
; COMPUTE_PGM_RSRC2:TGID_Z_EN: 0
; COMPUTE_PGM_RSRC2:TIDIG_COMP_CNT: 0
	.section	.text._ZN7rocprim17ROCPRIM_400000_NS6detail17trampoline_kernelINS0_14default_configENS1_38merge_sort_block_merge_config_selectorIflEEZZNS1_27merge_sort_block_merge_implIS3_PfN6thrust23THRUST_200600_302600_NS10device_ptrIlEEjNS1_19radix_merge_compareILb0ELb0EfNS0_19identity_decomposerEEEEE10hipError_tT0_T1_T2_jT3_P12ihipStream_tbPNSt15iterator_traitsISG_E10value_typeEPNSM_ISH_E10value_typeEPSI_NS1_7vsmem_tEENKUlT_SG_SH_SI_E_clIS7_S7_SB_PlEESF_SV_SG_SH_SI_EUlSV_E0_NS1_11comp_targetILNS1_3genE0ELNS1_11target_archE4294967295ELNS1_3gpuE0ELNS1_3repE0EEENS1_38merge_mergepath_config_static_selectorELNS0_4arch9wavefront6targetE1EEEvSH_,"axG",@progbits,_ZN7rocprim17ROCPRIM_400000_NS6detail17trampoline_kernelINS0_14default_configENS1_38merge_sort_block_merge_config_selectorIflEEZZNS1_27merge_sort_block_merge_implIS3_PfN6thrust23THRUST_200600_302600_NS10device_ptrIlEEjNS1_19radix_merge_compareILb0ELb0EfNS0_19identity_decomposerEEEEE10hipError_tT0_T1_T2_jT3_P12ihipStream_tbPNSt15iterator_traitsISG_E10value_typeEPNSM_ISH_E10value_typeEPSI_NS1_7vsmem_tEENKUlT_SG_SH_SI_E_clIS7_S7_SB_PlEESF_SV_SG_SH_SI_EUlSV_E0_NS1_11comp_targetILNS1_3genE0ELNS1_11target_archE4294967295ELNS1_3gpuE0ELNS1_3repE0EEENS1_38merge_mergepath_config_static_selectorELNS0_4arch9wavefront6targetE1EEEvSH_,comdat
	.protected	_ZN7rocprim17ROCPRIM_400000_NS6detail17trampoline_kernelINS0_14default_configENS1_38merge_sort_block_merge_config_selectorIflEEZZNS1_27merge_sort_block_merge_implIS3_PfN6thrust23THRUST_200600_302600_NS10device_ptrIlEEjNS1_19radix_merge_compareILb0ELb0EfNS0_19identity_decomposerEEEEE10hipError_tT0_T1_T2_jT3_P12ihipStream_tbPNSt15iterator_traitsISG_E10value_typeEPNSM_ISH_E10value_typeEPSI_NS1_7vsmem_tEENKUlT_SG_SH_SI_E_clIS7_S7_SB_PlEESF_SV_SG_SH_SI_EUlSV_E0_NS1_11comp_targetILNS1_3genE0ELNS1_11target_archE4294967295ELNS1_3gpuE0ELNS1_3repE0EEENS1_38merge_mergepath_config_static_selectorELNS0_4arch9wavefront6targetE1EEEvSH_ ; -- Begin function _ZN7rocprim17ROCPRIM_400000_NS6detail17trampoline_kernelINS0_14default_configENS1_38merge_sort_block_merge_config_selectorIflEEZZNS1_27merge_sort_block_merge_implIS3_PfN6thrust23THRUST_200600_302600_NS10device_ptrIlEEjNS1_19radix_merge_compareILb0ELb0EfNS0_19identity_decomposerEEEEE10hipError_tT0_T1_T2_jT3_P12ihipStream_tbPNSt15iterator_traitsISG_E10value_typeEPNSM_ISH_E10value_typeEPSI_NS1_7vsmem_tEENKUlT_SG_SH_SI_E_clIS7_S7_SB_PlEESF_SV_SG_SH_SI_EUlSV_E0_NS1_11comp_targetILNS1_3genE0ELNS1_11target_archE4294967295ELNS1_3gpuE0ELNS1_3repE0EEENS1_38merge_mergepath_config_static_selectorELNS0_4arch9wavefront6targetE1EEEvSH_
	.globl	_ZN7rocprim17ROCPRIM_400000_NS6detail17trampoline_kernelINS0_14default_configENS1_38merge_sort_block_merge_config_selectorIflEEZZNS1_27merge_sort_block_merge_implIS3_PfN6thrust23THRUST_200600_302600_NS10device_ptrIlEEjNS1_19radix_merge_compareILb0ELb0EfNS0_19identity_decomposerEEEEE10hipError_tT0_T1_T2_jT3_P12ihipStream_tbPNSt15iterator_traitsISG_E10value_typeEPNSM_ISH_E10value_typeEPSI_NS1_7vsmem_tEENKUlT_SG_SH_SI_E_clIS7_S7_SB_PlEESF_SV_SG_SH_SI_EUlSV_E0_NS1_11comp_targetILNS1_3genE0ELNS1_11target_archE4294967295ELNS1_3gpuE0ELNS1_3repE0EEENS1_38merge_mergepath_config_static_selectorELNS0_4arch9wavefront6targetE1EEEvSH_
	.p2align	8
	.type	_ZN7rocprim17ROCPRIM_400000_NS6detail17trampoline_kernelINS0_14default_configENS1_38merge_sort_block_merge_config_selectorIflEEZZNS1_27merge_sort_block_merge_implIS3_PfN6thrust23THRUST_200600_302600_NS10device_ptrIlEEjNS1_19radix_merge_compareILb0ELb0EfNS0_19identity_decomposerEEEEE10hipError_tT0_T1_T2_jT3_P12ihipStream_tbPNSt15iterator_traitsISG_E10value_typeEPNSM_ISH_E10value_typeEPSI_NS1_7vsmem_tEENKUlT_SG_SH_SI_E_clIS7_S7_SB_PlEESF_SV_SG_SH_SI_EUlSV_E0_NS1_11comp_targetILNS1_3genE0ELNS1_11target_archE4294967295ELNS1_3gpuE0ELNS1_3repE0EEENS1_38merge_mergepath_config_static_selectorELNS0_4arch9wavefront6targetE1EEEvSH_,@function
_ZN7rocprim17ROCPRIM_400000_NS6detail17trampoline_kernelINS0_14default_configENS1_38merge_sort_block_merge_config_selectorIflEEZZNS1_27merge_sort_block_merge_implIS3_PfN6thrust23THRUST_200600_302600_NS10device_ptrIlEEjNS1_19radix_merge_compareILb0ELb0EfNS0_19identity_decomposerEEEEE10hipError_tT0_T1_T2_jT3_P12ihipStream_tbPNSt15iterator_traitsISG_E10value_typeEPNSM_ISH_E10value_typeEPSI_NS1_7vsmem_tEENKUlT_SG_SH_SI_E_clIS7_S7_SB_PlEESF_SV_SG_SH_SI_EUlSV_E0_NS1_11comp_targetILNS1_3genE0ELNS1_11target_archE4294967295ELNS1_3gpuE0ELNS1_3repE0EEENS1_38merge_mergepath_config_static_selectorELNS0_4arch9wavefront6targetE1EEEvSH_: ; @_ZN7rocprim17ROCPRIM_400000_NS6detail17trampoline_kernelINS0_14default_configENS1_38merge_sort_block_merge_config_selectorIflEEZZNS1_27merge_sort_block_merge_implIS3_PfN6thrust23THRUST_200600_302600_NS10device_ptrIlEEjNS1_19radix_merge_compareILb0ELb0EfNS0_19identity_decomposerEEEEE10hipError_tT0_T1_T2_jT3_P12ihipStream_tbPNSt15iterator_traitsISG_E10value_typeEPNSM_ISH_E10value_typeEPSI_NS1_7vsmem_tEENKUlT_SG_SH_SI_E_clIS7_S7_SB_PlEESF_SV_SG_SH_SI_EUlSV_E0_NS1_11comp_targetILNS1_3genE0ELNS1_11target_archE4294967295ELNS1_3gpuE0ELNS1_3repE0EEENS1_38merge_mergepath_config_static_selectorELNS0_4arch9wavefront6targetE1EEEvSH_
; %bb.0:
	.section	.rodata,"a",@progbits
	.p2align	6, 0x0
	.amdhsa_kernel _ZN7rocprim17ROCPRIM_400000_NS6detail17trampoline_kernelINS0_14default_configENS1_38merge_sort_block_merge_config_selectorIflEEZZNS1_27merge_sort_block_merge_implIS3_PfN6thrust23THRUST_200600_302600_NS10device_ptrIlEEjNS1_19radix_merge_compareILb0ELb0EfNS0_19identity_decomposerEEEEE10hipError_tT0_T1_T2_jT3_P12ihipStream_tbPNSt15iterator_traitsISG_E10value_typeEPNSM_ISH_E10value_typeEPSI_NS1_7vsmem_tEENKUlT_SG_SH_SI_E_clIS7_S7_SB_PlEESF_SV_SG_SH_SI_EUlSV_E0_NS1_11comp_targetILNS1_3genE0ELNS1_11target_archE4294967295ELNS1_3gpuE0ELNS1_3repE0EEENS1_38merge_mergepath_config_static_selectorELNS0_4arch9wavefront6targetE1EEEvSH_
		.amdhsa_group_segment_fixed_size 0
		.amdhsa_private_segment_fixed_size 0
		.amdhsa_kernarg_size 64
		.amdhsa_user_sgpr_count 6
		.amdhsa_user_sgpr_private_segment_buffer 1
		.amdhsa_user_sgpr_dispatch_ptr 0
		.amdhsa_user_sgpr_queue_ptr 0
		.amdhsa_user_sgpr_kernarg_segment_ptr 1
		.amdhsa_user_sgpr_dispatch_id 0
		.amdhsa_user_sgpr_flat_scratch_init 0
		.amdhsa_user_sgpr_private_segment_size 0
		.amdhsa_uses_dynamic_stack 0
		.amdhsa_system_sgpr_private_segment_wavefront_offset 0
		.amdhsa_system_sgpr_workgroup_id_x 1
		.amdhsa_system_sgpr_workgroup_id_y 0
		.amdhsa_system_sgpr_workgroup_id_z 0
		.amdhsa_system_sgpr_workgroup_info 0
		.amdhsa_system_vgpr_workitem_id 0
		.amdhsa_next_free_vgpr 1
		.amdhsa_next_free_sgpr 0
		.amdhsa_reserve_vcc 0
		.amdhsa_reserve_flat_scratch 0
		.amdhsa_float_round_mode_32 0
		.amdhsa_float_round_mode_16_64 0
		.amdhsa_float_denorm_mode_32 3
		.amdhsa_float_denorm_mode_16_64 3
		.amdhsa_dx10_clamp 1
		.amdhsa_ieee_mode 1
		.amdhsa_fp16_overflow 0
		.amdhsa_exception_fp_ieee_invalid_op 0
		.amdhsa_exception_fp_denorm_src 0
		.amdhsa_exception_fp_ieee_div_zero 0
		.amdhsa_exception_fp_ieee_overflow 0
		.amdhsa_exception_fp_ieee_underflow 0
		.amdhsa_exception_fp_ieee_inexact 0
		.amdhsa_exception_int_div_zero 0
	.end_amdhsa_kernel
	.section	.text._ZN7rocprim17ROCPRIM_400000_NS6detail17trampoline_kernelINS0_14default_configENS1_38merge_sort_block_merge_config_selectorIflEEZZNS1_27merge_sort_block_merge_implIS3_PfN6thrust23THRUST_200600_302600_NS10device_ptrIlEEjNS1_19radix_merge_compareILb0ELb0EfNS0_19identity_decomposerEEEEE10hipError_tT0_T1_T2_jT3_P12ihipStream_tbPNSt15iterator_traitsISG_E10value_typeEPNSM_ISH_E10value_typeEPSI_NS1_7vsmem_tEENKUlT_SG_SH_SI_E_clIS7_S7_SB_PlEESF_SV_SG_SH_SI_EUlSV_E0_NS1_11comp_targetILNS1_3genE0ELNS1_11target_archE4294967295ELNS1_3gpuE0ELNS1_3repE0EEENS1_38merge_mergepath_config_static_selectorELNS0_4arch9wavefront6targetE1EEEvSH_,"axG",@progbits,_ZN7rocprim17ROCPRIM_400000_NS6detail17trampoline_kernelINS0_14default_configENS1_38merge_sort_block_merge_config_selectorIflEEZZNS1_27merge_sort_block_merge_implIS3_PfN6thrust23THRUST_200600_302600_NS10device_ptrIlEEjNS1_19radix_merge_compareILb0ELb0EfNS0_19identity_decomposerEEEEE10hipError_tT0_T1_T2_jT3_P12ihipStream_tbPNSt15iterator_traitsISG_E10value_typeEPNSM_ISH_E10value_typeEPSI_NS1_7vsmem_tEENKUlT_SG_SH_SI_E_clIS7_S7_SB_PlEESF_SV_SG_SH_SI_EUlSV_E0_NS1_11comp_targetILNS1_3genE0ELNS1_11target_archE4294967295ELNS1_3gpuE0ELNS1_3repE0EEENS1_38merge_mergepath_config_static_selectorELNS0_4arch9wavefront6targetE1EEEvSH_,comdat
.Lfunc_end1792:
	.size	_ZN7rocprim17ROCPRIM_400000_NS6detail17trampoline_kernelINS0_14default_configENS1_38merge_sort_block_merge_config_selectorIflEEZZNS1_27merge_sort_block_merge_implIS3_PfN6thrust23THRUST_200600_302600_NS10device_ptrIlEEjNS1_19radix_merge_compareILb0ELb0EfNS0_19identity_decomposerEEEEE10hipError_tT0_T1_T2_jT3_P12ihipStream_tbPNSt15iterator_traitsISG_E10value_typeEPNSM_ISH_E10value_typeEPSI_NS1_7vsmem_tEENKUlT_SG_SH_SI_E_clIS7_S7_SB_PlEESF_SV_SG_SH_SI_EUlSV_E0_NS1_11comp_targetILNS1_3genE0ELNS1_11target_archE4294967295ELNS1_3gpuE0ELNS1_3repE0EEENS1_38merge_mergepath_config_static_selectorELNS0_4arch9wavefront6targetE1EEEvSH_, .Lfunc_end1792-_ZN7rocprim17ROCPRIM_400000_NS6detail17trampoline_kernelINS0_14default_configENS1_38merge_sort_block_merge_config_selectorIflEEZZNS1_27merge_sort_block_merge_implIS3_PfN6thrust23THRUST_200600_302600_NS10device_ptrIlEEjNS1_19radix_merge_compareILb0ELb0EfNS0_19identity_decomposerEEEEE10hipError_tT0_T1_T2_jT3_P12ihipStream_tbPNSt15iterator_traitsISG_E10value_typeEPNSM_ISH_E10value_typeEPSI_NS1_7vsmem_tEENKUlT_SG_SH_SI_E_clIS7_S7_SB_PlEESF_SV_SG_SH_SI_EUlSV_E0_NS1_11comp_targetILNS1_3genE0ELNS1_11target_archE4294967295ELNS1_3gpuE0ELNS1_3repE0EEENS1_38merge_mergepath_config_static_selectorELNS0_4arch9wavefront6targetE1EEEvSH_
                                        ; -- End function
	.set _ZN7rocprim17ROCPRIM_400000_NS6detail17trampoline_kernelINS0_14default_configENS1_38merge_sort_block_merge_config_selectorIflEEZZNS1_27merge_sort_block_merge_implIS3_PfN6thrust23THRUST_200600_302600_NS10device_ptrIlEEjNS1_19radix_merge_compareILb0ELb0EfNS0_19identity_decomposerEEEEE10hipError_tT0_T1_T2_jT3_P12ihipStream_tbPNSt15iterator_traitsISG_E10value_typeEPNSM_ISH_E10value_typeEPSI_NS1_7vsmem_tEENKUlT_SG_SH_SI_E_clIS7_S7_SB_PlEESF_SV_SG_SH_SI_EUlSV_E0_NS1_11comp_targetILNS1_3genE0ELNS1_11target_archE4294967295ELNS1_3gpuE0ELNS1_3repE0EEENS1_38merge_mergepath_config_static_selectorELNS0_4arch9wavefront6targetE1EEEvSH_.num_vgpr, 0
	.set _ZN7rocprim17ROCPRIM_400000_NS6detail17trampoline_kernelINS0_14default_configENS1_38merge_sort_block_merge_config_selectorIflEEZZNS1_27merge_sort_block_merge_implIS3_PfN6thrust23THRUST_200600_302600_NS10device_ptrIlEEjNS1_19radix_merge_compareILb0ELb0EfNS0_19identity_decomposerEEEEE10hipError_tT0_T1_T2_jT3_P12ihipStream_tbPNSt15iterator_traitsISG_E10value_typeEPNSM_ISH_E10value_typeEPSI_NS1_7vsmem_tEENKUlT_SG_SH_SI_E_clIS7_S7_SB_PlEESF_SV_SG_SH_SI_EUlSV_E0_NS1_11comp_targetILNS1_3genE0ELNS1_11target_archE4294967295ELNS1_3gpuE0ELNS1_3repE0EEENS1_38merge_mergepath_config_static_selectorELNS0_4arch9wavefront6targetE1EEEvSH_.num_agpr, 0
	.set _ZN7rocprim17ROCPRIM_400000_NS6detail17trampoline_kernelINS0_14default_configENS1_38merge_sort_block_merge_config_selectorIflEEZZNS1_27merge_sort_block_merge_implIS3_PfN6thrust23THRUST_200600_302600_NS10device_ptrIlEEjNS1_19radix_merge_compareILb0ELb0EfNS0_19identity_decomposerEEEEE10hipError_tT0_T1_T2_jT3_P12ihipStream_tbPNSt15iterator_traitsISG_E10value_typeEPNSM_ISH_E10value_typeEPSI_NS1_7vsmem_tEENKUlT_SG_SH_SI_E_clIS7_S7_SB_PlEESF_SV_SG_SH_SI_EUlSV_E0_NS1_11comp_targetILNS1_3genE0ELNS1_11target_archE4294967295ELNS1_3gpuE0ELNS1_3repE0EEENS1_38merge_mergepath_config_static_selectorELNS0_4arch9wavefront6targetE1EEEvSH_.numbered_sgpr, 0
	.set _ZN7rocprim17ROCPRIM_400000_NS6detail17trampoline_kernelINS0_14default_configENS1_38merge_sort_block_merge_config_selectorIflEEZZNS1_27merge_sort_block_merge_implIS3_PfN6thrust23THRUST_200600_302600_NS10device_ptrIlEEjNS1_19radix_merge_compareILb0ELb0EfNS0_19identity_decomposerEEEEE10hipError_tT0_T1_T2_jT3_P12ihipStream_tbPNSt15iterator_traitsISG_E10value_typeEPNSM_ISH_E10value_typeEPSI_NS1_7vsmem_tEENKUlT_SG_SH_SI_E_clIS7_S7_SB_PlEESF_SV_SG_SH_SI_EUlSV_E0_NS1_11comp_targetILNS1_3genE0ELNS1_11target_archE4294967295ELNS1_3gpuE0ELNS1_3repE0EEENS1_38merge_mergepath_config_static_selectorELNS0_4arch9wavefront6targetE1EEEvSH_.num_named_barrier, 0
	.set _ZN7rocprim17ROCPRIM_400000_NS6detail17trampoline_kernelINS0_14default_configENS1_38merge_sort_block_merge_config_selectorIflEEZZNS1_27merge_sort_block_merge_implIS3_PfN6thrust23THRUST_200600_302600_NS10device_ptrIlEEjNS1_19radix_merge_compareILb0ELb0EfNS0_19identity_decomposerEEEEE10hipError_tT0_T1_T2_jT3_P12ihipStream_tbPNSt15iterator_traitsISG_E10value_typeEPNSM_ISH_E10value_typeEPSI_NS1_7vsmem_tEENKUlT_SG_SH_SI_E_clIS7_S7_SB_PlEESF_SV_SG_SH_SI_EUlSV_E0_NS1_11comp_targetILNS1_3genE0ELNS1_11target_archE4294967295ELNS1_3gpuE0ELNS1_3repE0EEENS1_38merge_mergepath_config_static_selectorELNS0_4arch9wavefront6targetE1EEEvSH_.private_seg_size, 0
	.set _ZN7rocprim17ROCPRIM_400000_NS6detail17trampoline_kernelINS0_14default_configENS1_38merge_sort_block_merge_config_selectorIflEEZZNS1_27merge_sort_block_merge_implIS3_PfN6thrust23THRUST_200600_302600_NS10device_ptrIlEEjNS1_19radix_merge_compareILb0ELb0EfNS0_19identity_decomposerEEEEE10hipError_tT0_T1_T2_jT3_P12ihipStream_tbPNSt15iterator_traitsISG_E10value_typeEPNSM_ISH_E10value_typeEPSI_NS1_7vsmem_tEENKUlT_SG_SH_SI_E_clIS7_S7_SB_PlEESF_SV_SG_SH_SI_EUlSV_E0_NS1_11comp_targetILNS1_3genE0ELNS1_11target_archE4294967295ELNS1_3gpuE0ELNS1_3repE0EEENS1_38merge_mergepath_config_static_selectorELNS0_4arch9wavefront6targetE1EEEvSH_.uses_vcc, 0
	.set _ZN7rocprim17ROCPRIM_400000_NS6detail17trampoline_kernelINS0_14default_configENS1_38merge_sort_block_merge_config_selectorIflEEZZNS1_27merge_sort_block_merge_implIS3_PfN6thrust23THRUST_200600_302600_NS10device_ptrIlEEjNS1_19radix_merge_compareILb0ELb0EfNS0_19identity_decomposerEEEEE10hipError_tT0_T1_T2_jT3_P12ihipStream_tbPNSt15iterator_traitsISG_E10value_typeEPNSM_ISH_E10value_typeEPSI_NS1_7vsmem_tEENKUlT_SG_SH_SI_E_clIS7_S7_SB_PlEESF_SV_SG_SH_SI_EUlSV_E0_NS1_11comp_targetILNS1_3genE0ELNS1_11target_archE4294967295ELNS1_3gpuE0ELNS1_3repE0EEENS1_38merge_mergepath_config_static_selectorELNS0_4arch9wavefront6targetE1EEEvSH_.uses_flat_scratch, 0
	.set _ZN7rocprim17ROCPRIM_400000_NS6detail17trampoline_kernelINS0_14default_configENS1_38merge_sort_block_merge_config_selectorIflEEZZNS1_27merge_sort_block_merge_implIS3_PfN6thrust23THRUST_200600_302600_NS10device_ptrIlEEjNS1_19radix_merge_compareILb0ELb0EfNS0_19identity_decomposerEEEEE10hipError_tT0_T1_T2_jT3_P12ihipStream_tbPNSt15iterator_traitsISG_E10value_typeEPNSM_ISH_E10value_typeEPSI_NS1_7vsmem_tEENKUlT_SG_SH_SI_E_clIS7_S7_SB_PlEESF_SV_SG_SH_SI_EUlSV_E0_NS1_11comp_targetILNS1_3genE0ELNS1_11target_archE4294967295ELNS1_3gpuE0ELNS1_3repE0EEENS1_38merge_mergepath_config_static_selectorELNS0_4arch9wavefront6targetE1EEEvSH_.has_dyn_sized_stack, 0
	.set _ZN7rocprim17ROCPRIM_400000_NS6detail17trampoline_kernelINS0_14default_configENS1_38merge_sort_block_merge_config_selectorIflEEZZNS1_27merge_sort_block_merge_implIS3_PfN6thrust23THRUST_200600_302600_NS10device_ptrIlEEjNS1_19radix_merge_compareILb0ELb0EfNS0_19identity_decomposerEEEEE10hipError_tT0_T1_T2_jT3_P12ihipStream_tbPNSt15iterator_traitsISG_E10value_typeEPNSM_ISH_E10value_typeEPSI_NS1_7vsmem_tEENKUlT_SG_SH_SI_E_clIS7_S7_SB_PlEESF_SV_SG_SH_SI_EUlSV_E0_NS1_11comp_targetILNS1_3genE0ELNS1_11target_archE4294967295ELNS1_3gpuE0ELNS1_3repE0EEENS1_38merge_mergepath_config_static_selectorELNS0_4arch9wavefront6targetE1EEEvSH_.has_recursion, 0
	.set _ZN7rocprim17ROCPRIM_400000_NS6detail17trampoline_kernelINS0_14default_configENS1_38merge_sort_block_merge_config_selectorIflEEZZNS1_27merge_sort_block_merge_implIS3_PfN6thrust23THRUST_200600_302600_NS10device_ptrIlEEjNS1_19radix_merge_compareILb0ELb0EfNS0_19identity_decomposerEEEEE10hipError_tT0_T1_T2_jT3_P12ihipStream_tbPNSt15iterator_traitsISG_E10value_typeEPNSM_ISH_E10value_typeEPSI_NS1_7vsmem_tEENKUlT_SG_SH_SI_E_clIS7_S7_SB_PlEESF_SV_SG_SH_SI_EUlSV_E0_NS1_11comp_targetILNS1_3genE0ELNS1_11target_archE4294967295ELNS1_3gpuE0ELNS1_3repE0EEENS1_38merge_mergepath_config_static_selectorELNS0_4arch9wavefront6targetE1EEEvSH_.has_indirect_call, 0
	.section	.AMDGPU.csdata,"",@progbits
; Kernel info:
; codeLenInByte = 0
; TotalNumSgprs: 4
; NumVgprs: 0
; ScratchSize: 0
; MemoryBound: 0
; FloatMode: 240
; IeeeMode: 1
; LDSByteSize: 0 bytes/workgroup (compile time only)
; SGPRBlocks: 0
; VGPRBlocks: 0
; NumSGPRsForWavesPerEU: 4
; NumVGPRsForWavesPerEU: 1
; Occupancy: 10
; WaveLimiterHint : 0
; COMPUTE_PGM_RSRC2:SCRATCH_EN: 0
; COMPUTE_PGM_RSRC2:USER_SGPR: 6
; COMPUTE_PGM_RSRC2:TRAP_HANDLER: 0
; COMPUTE_PGM_RSRC2:TGID_X_EN: 1
; COMPUTE_PGM_RSRC2:TGID_Y_EN: 0
; COMPUTE_PGM_RSRC2:TGID_Z_EN: 0
; COMPUTE_PGM_RSRC2:TIDIG_COMP_CNT: 0
	.section	.text._ZN7rocprim17ROCPRIM_400000_NS6detail17trampoline_kernelINS0_14default_configENS1_38merge_sort_block_merge_config_selectorIflEEZZNS1_27merge_sort_block_merge_implIS3_PfN6thrust23THRUST_200600_302600_NS10device_ptrIlEEjNS1_19radix_merge_compareILb0ELb0EfNS0_19identity_decomposerEEEEE10hipError_tT0_T1_T2_jT3_P12ihipStream_tbPNSt15iterator_traitsISG_E10value_typeEPNSM_ISH_E10value_typeEPSI_NS1_7vsmem_tEENKUlT_SG_SH_SI_E_clIS7_S7_SB_PlEESF_SV_SG_SH_SI_EUlSV_E0_NS1_11comp_targetILNS1_3genE10ELNS1_11target_archE1201ELNS1_3gpuE5ELNS1_3repE0EEENS1_38merge_mergepath_config_static_selectorELNS0_4arch9wavefront6targetE1EEEvSH_,"axG",@progbits,_ZN7rocprim17ROCPRIM_400000_NS6detail17trampoline_kernelINS0_14default_configENS1_38merge_sort_block_merge_config_selectorIflEEZZNS1_27merge_sort_block_merge_implIS3_PfN6thrust23THRUST_200600_302600_NS10device_ptrIlEEjNS1_19radix_merge_compareILb0ELb0EfNS0_19identity_decomposerEEEEE10hipError_tT0_T1_T2_jT3_P12ihipStream_tbPNSt15iterator_traitsISG_E10value_typeEPNSM_ISH_E10value_typeEPSI_NS1_7vsmem_tEENKUlT_SG_SH_SI_E_clIS7_S7_SB_PlEESF_SV_SG_SH_SI_EUlSV_E0_NS1_11comp_targetILNS1_3genE10ELNS1_11target_archE1201ELNS1_3gpuE5ELNS1_3repE0EEENS1_38merge_mergepath_config_static_selectorELNS0_4arch9wavefront6targetE1EEEvSH_,comdat
	.protected	_ZN7rocprim17ROCPRIM_400000_NS6detail17trampoline_kernelINS0_14default_configENS1_38merge_sort_block_merge_config_selectorIflEEZZNS1_27merge_sort_block_merge_implIS3_PfN6thrust23THRUST_200600_302600_NS10device_ptrIlEEjNS1_19radix_merge_compareILb0ELb0EfNS0_19identity_decomposerEEEEE10hipError_tT0_T1_T2_jT3_P12ihipStream_tbPNSt15iterator_traitsISG_E10value_typeEPNSM_ISH_E10value_typeEPSI_NS1_7vsmem_tEENKUlT_SG_SH_SI_E_clIS7_S7_SB_PlEESF_SV_SG_SH_SI_EUlSV_E0_NS1_11comp_targetILNS1_3genE10ELNS1_11target_archE1201ELNS1_3gpuE5ELNS1_3repE0EEENS1_38merge_mergepath_config_static_selectorELNS0_4arch9wavefront6targetE1EEEvSH_ ; -- Begin function _ZN7rocprim17ROCPRIM_400000_NS6detail17trampoline_kernelINS0_14default_configENS1_38merge_sort_block_merge_config_selectorIflEEZZNS1_27merge_sort_block_merge_implIS3_PfN6thrust23THRUST_200600_302600_NS10device_ptrIlEEjNS1_19radix_merge_compareILb0ELb0EfNS0_19identity_decomposerEEEEE10hipError_tT0_T1_T2_jT3_P12ihipStream_tbPNSt15iterator_traitsISG_E10value_typeEPNSM_ISH_E10value_typeEPSI_NS1_7vsmem_tEENKUlT_SG_SH_SI_E_clIS7_S7_SB_PlEESF_SV_SG_SH_SI_EUlSV_E0_NS1_11comp_targetILNS1_3genE10ELNS1_11target_archE1201ELNS1_3gpuE5ELNS1_3repE0EEENS1_38merge_mergepath_config_static_selectorELNS0_4arch9wavefront6targetE1EEEvSH_
	.globl	_ZN7rocprim17ROCPRIM_400000_NS6detail17trampoline_kernelINS0_14default_configENS1_38merge_sort_block_merge_config_selectorIflEEZZNS1_27merge_sort_block_merge_implIS3_PfN6thrust23THRUST_200600_302600_NS10device_ptrIlEEjNS1_19radix_merge_compareILb0ELb0EfNS0_19identity_decomposerEEEEE10hipError_tT0_T1_T2_jT3_P12ihipStream_tbPNSt15iterator_traitsISG_E10value_typeEPNSM_ISH_E10value_typeEPSI_NS1_7vsmem_tEENKUlT_SG_SH_SI_E_clIS7_S7_SB_PlEESF_SV_SG_SH_SI_EUlSV_E0_NS1_11comp_targetILNS1_3genE10ELNS1_11target_archE1201ELNS1_3gpuE5ELNS1_3repE0EEENS1_38merge_mergepath_config_static_selectorELNS0_4arch9wavefront6targetE1EEEvSH_
	.p2align	8
	.type	_ZN7rocprim17ROCPRIM_400000_NS6detail17trampoline_kernelINS0_14default_configENS1_38merge_sort_block_merge_config_selectorIflEEZZNS1_27merge_sort_block_merge_implIS3_PfN6thrust23THRUST_200600_302600_NS10device_ptrIlEEjNS1_19radix_merge_compareILb0ELb0EfNS0_19identity_decomposerEEEEE10hipError_tT0_T1_T2_jT3_P12ihipStream_tbPNSt15iterator_traitsISG_E10value_typeEPNSM_ISH_E10value_typeEPSI_NS1_7vsmem_tEENKUlT_SG_SH_SI_E_clIS7_S7_SB_PlEESF_SV_SG_SH_SI_EUlSV_E0_NS1_11comp_targetILNS1_3genE10ELNS1_11target_archE1201ELNS1_3gpuE5ELNS1_3repE0EEENS1_38merge_mergepath_config_static_selectorELNS0_4arch9wavefront6targetE1EEEvSH_,@function
_ZN7rocprim17ROCPRIM_400000_NS6detail17trampoline_kernelINS0_14default_configENS1_38merge_sort_block_merge_config_selectorIflEEZZNS1_27merge_sort_block_merge_implIS3_PfN6thrust23THRUST_200600_302600_NS10device_ptrIlEEjNS1_19radix_merge_compareILb0ELb0EfNS0_19identity_decomposerEEEEE10hipError_tT0_T1_T2_jT3_P12ihipStream_tbPNSt15iterator_traitsISG_E10value_typeEPNSM_ISH_E10value_typeEPSI_NS1_7vsmem_tEENKUlT_SG_SH_SI_E_clIS7_S7_SB_PlEESF_SV_SG_SH_SI_EUlSV_E0_NS1_11comp_targetILNS1_3genE10ELNS1_11target_archE1201ELNS1_3gpuE5ELNS1_3repE0EEENS1_38merge_mergepath_config_static_selectorELNS0_4arch9wavefront6targetE1EEEvSH_: ; @_ZN7rocprim17ROCPRIM_400000_NS6detail17trampoline_kernelINS0_14default_configENS1_38merge_sort_block_merge_config_selectorIflEEZZNS1_27merge_sort_block_merge_implIS3_PfN6thrust23THRUST_200600_302600_NS10device_ptrIlEEjNS1_19radix_merge_compareILb0ELb0EfNS0_19identity_decomposerEEEEE10hipError_tT0_T1_T2_jT3_P12ihipStream_tbPNSt15iterator_traitsISG_E10value_typeEPNSM_ISH_E10value_typeEPSI_NS1_7vsmem_tEENKUlT_SG_SH_SI_E_clIS7_S7_SB_PlEESF_SV_SG_SH_SI_EUlSV_E0_NS1_11comp_targetILNS1_3genE10ELNS1_11target_archE1201ELNS1_3gpuE5ELNS1_3repE0EEENS1_38merge_mergepath_config_static_selectorELNS0_4arch9wavefront6targetE1EEEvSH_
; %bb.0:
	.section	.rodata,"a",@progbits
	.p2align	6, 0x0
	.amdhsa_kernel _ZN7rocprim17ROCPRIM_400000_NS6detail17trampoline_kernelINS0_14default_configENS1_38merge_sort_block_merge_config_selectorIflEEZZNS1_27merge_sort_block_merge_implIS3_PfN6thrust23THRUST_200600_302600_NS10device_ptrIlEEjNS1_19radix_merge_compareILb0ELb0EfNS0_19identity_decomposerEEEEE10hipError_tT0_T1_T2_jT3_P12ihipStream_tbPNSt15iterator_traitsISG_E10value_typeEPNSM_ISH_E10value_typeEPSI_NS1_7vsmem_tEENKUlT_SG_SH_SI_E_clIS7_S7_SB_PlEESF_SV_SG_SH_SI_EUlSV_E0_NS1_11comp_targetILNS1_3genE10ELNS1_11target_archE1201ELNS1_3gpuE5ELNS1_3repE0EEENS1_38merge_mergepath_config_static_selectorELNS0_4arch9wavefront6targetE1EEEvSH_
		.amdhsa_group_segment_fixed_size 0
		.amdhsa_private_segment_fixed_size 0
		.amdhsa_kernarg_size 64
		.amdhsa_user_sgpr_count 6
		.amdhsa_user_sgpr_private_segment_buffer 1
		.amdhsa_user_sgpr_dispatch_ptr 0
		.amdhsa_user_sgpr_queue_ptr 0
		.amdhsa_user_sgpr_kernarg_segment_ptr 1
		.amdhsa_user_sgpr_dispatch_id 0
		.amdhsa_user_sgpr_flat_scratch_init 0
		.amdhsa_user_sgpr_private_segment_size 0
		.amdhsa_uses_dynamic_stack 0
		.amdhsa_system_sgpr_private_segment_wavefront_offset 0
		.amdhsa_system_sgpr_workgroup_id_x 1
		.amdhsa_system_sgpr_workgroup_id_y 0
		.amdhsa_system_sgpr_workgroup_id_z 0
		.amdhsa_system_sgpr_workgroup_info 0
		.amdhsa_system_vgpr_workitem_id 0
		.amdhsa_next_free_vgpr 1
		.amdhsa_next_free_sgpr 0
		.amdhsa_reserve_vcc 0
		.amdhsa_reserve_flat_scratch 0
		.amdhsa_float_round_mode_32 0
		.amdhsa_float_round_mode_16_64 0
		.amdhsa_float_denorm_mode_32 3
		.amdhsa_float_denorm_mode_16_64 3
		.amdhsa_dx10_clamp 1
		.amdhsa_ieee_mode 1
		.amdhsa_fp16_overflow 0
		.amdhsa_exception_fp_ieee_invalid_op 0
		.amdhsa_exception_fp_denorm_src 0
		.amdhsa_exception_fp_ieee_div_zero 0
		.amdhsa_exception_fp_ieee_overflow 0
		.amdhsa_exception_fp_ieee_underflow 0
		.amdhsa_exception_fp_ieee_inexact 0
		.amdhsa_exception_int_div_zero 0
	.end_amdhsa_kernel
	.section	.text._ZN7rocprim17ROCPRIM_400000_NS6detail17trampoline_kernelINS0_14default_configENS1_38merge_sort_block_merge_config_selectorIflEEZZNS1_27merge_sort_block_merge_implIS3_PfN6thrust23THRUST_200600_302600_NS10device_ptrIlEEjNS1_19radix_merge_compareILb0ELb0EfNS0_19identity_decomposerEEEEE10hipError_tT0_T1_T2_jT3_P12ihipStream_tbPNSt15iterator_traitsISG_E10value_typeEPNSM_ISH_E10value_typeEPSI_NS1_7vsmem_tEENKUlT_SG_SH_SI_E_clIS7_S7_SB_PlEESF_SV_SG_SH_SI_EUlSV_E0_NS1_11comp_targetILNS1_3genE10ELNS1_11target_archE1201ELNS1_3gpuE5ELNS1_3repE0EEENS1_38merge_mergepath_config_static_selectorELNS0_4arch9wavefront6targetE1EEEvSH_,"axG",@progbits,_ZN7rocprim17ROCPRIM_400000_NS6detail17trampoline_kernelINS0_14default_configENS1_38merge_sort_block_merge_config_selectorIflEEZZNS1_27merge_sort_block_merge_implIS3_PfN6thrust23THRUST_200600_302600_NS10device_ptrIlEEjNS1_19radix_merge_compareILb0ELb0EfNS0_19identity_decomposerEEEEE10hipError_tT0_T1_T2_jT3_P12ihipStream_tbPNSt15iterator_traitsISG_E10value_typeEPNSM_ISH_E10value_typeEPSI_NS1_7vsmem_tEENKUlT_SG_SH_SI_E_clIS7_S7_SB_PlEESF_SV_SG_SH_SI_EUlSV_E0_NS1_11comp_targetILNS1_3genE10ELNS1_11target_archE1201ELNS1_3gpuE5ELNS1_3repE0EEENS1_38merge_mergepath_config_static_selectorELNS0_4arch9wavefront6targetE1EEEvSH_,comdat
.Lfunc_end1793:
	.size	_ZN7rocprim17ROCPRIM_400000_NS6detail17trampoline_kernelINS0_14default_configENS1_38merge_sort_block_merge_config_selectorIflEEZZNS1_27merge_sort_block_merge_implIS3_PfN6thrust23THRUST_200600_302600_NS10device_ptrIlEEjNS1_19radix_merge_compareILb0ELb0EfNS0_19identity_decomposerEEEEE10hipError_tT0_T1_T2_jT3_P12ihipStream_tbPNSt15iterator_traitsISG_E10value_typeEPNSM_ISH_E10value_typeEPSI_NS1_7vsmem_tEENKUlT_SG_SH_SI_E_clIS7_S7_SB_PlEESF_SV_SG_SH_SI_EUlSV_E0_NS1_11comp_targetILNS1_3genE10ELNS1_11target_archE1201ELNS1_3gpuE5ELNS1_3repE0EEENS1_38merge_mergepath_config_static_selectorELNS0_4arch9wavefront6targetE1EEEvSH_, .Lfunc_end1793-_ZN7rocprim17ROCPRIM_400000_NS6detail17trampoline_kernelINS0_14default_configENS1_38merge_sort_block_merge_config_selectorIflEEZZNS1_27merge_sort_block_merge_implIS3_PfN6thrust23THRUST_200600_302600_NS10device_ptrIlEEjNS1_19radix_merge_compareILb0ELb0EfNS0_19identity_decomposerEEEEE10hipError_tT0_T1_T2_jT3_P12ihipStream_tbPNSt15iterator_traitsISG_E10value_typeEPNSM_ISH_E10value_typeEPSI_NS1_7vsmem_tEENKUlT_SG_SH_SI_E_clIS7_S7_SB_PlEESF_SV_SG_SH_SI_EUlSV_E0_NS1_11comp_targetILNS1_3genE10ELNS1_11target_archE1201ELNS1_3gpuE5ELNS1_3repE0EEENS1_38merge_mergepath_config_static_selectorELNS0_4arch9wavefront6targetE1EEEvSH_
                                        ; -- End function
	.set _ZN7rocprim17ROCPRIM_400000_NS6detail17trampoline_kernelINS0_14default_configENS1_38merge_sort_block_merge_config_selectorIflEEZZNS1_27merge_sort_block_merge_implIS3_PfN6thrust23THRUST_200600_302600_NS10device_ptrIlEEjNS1_19radix_merge_compareILb0ELb0EfNS0_19identity_decomposerEEEEE10hipError_tT0_T1_T2_jT3_P12ihipStream_tbPNSt15iterator_traitsISG_E10value_typeEPNSM_ISH_E10value_typeEPSI_NS1_7vsmem_tEENKUlT_SG_SH_SI_E_clIS7_S7_SB_PlEESF_SV_SG_SH_SI_EUlSV_E0_NS1_11comp_targetILNS1_3genE10ELNS1_11target_archE1201ELNS1_3gpuE5ELNS1_3repE0EEENS1_38merge_mergepath_config_static_selectorELNS0_4arch9wavefront6targetE1EEEvSH_.num_vgpr, 0
	.set _ZN7rocprim17ROCPRIM_400000_NS6detail17trampoline_kernelINS0_14default_configENS1_38merge_sort_block_merge_config_selectorIflEEZZNS1_27merge_sort_block_merge_implIS3_PfN6thrust23THRUST_200600_302600_NS10device_ptrIlEEjNS1_19radix_merge_compareILb0ELb0EfNS0_19identity_decomposerEEEEE10hipError_tT0_T1_T2_jT3_P12ihipStream_tbPNSt15iterator_traitsISG_E10value_typeEPNSM_ISH_E10value_typeEPSI_NS1_7vsmem_tEENKUlT_SG_SH_SI_E_clIS7_S7_SB_PlEESF_SV_SG_SH_SI_EUlSV_E0_NS1_11comp_targetILNS1_3genE10ELNS1_11target_archE1201ELNS1_3gpuE5ELNS1_3repE0EEENS1_38merge_mergepath_config_static_selectorELNS0_4arch9wavefront6targetE1EEEvSH_.num_agpr, 0
	.set _ZN7rocprim17ROCPRIM_400000_NS6detail17trampoline_kernelINS0_14default_configENS1_38merge_sort_block_merge_config_selectorIflEEZZNS1_27merge_sort_block_merge_implIS3_PfN6thrust23THRUST_200600_302600_NS10device_ptrIlEEjNS1_19radix_merge_compareILb0ELb0EfNS0_19identity_decomposerEEEEE10hipError_tT0_T1_T2_jT3_P12ihipStream_tbPNSt15iterator_traitsISG_E10value_typeEPNSM_ISH_E10value_typeEPSI_NS1_7vsmem_tEENKUlT_SG_SH_SI_E_clIS7_S7_SB_PlEESF_SV_SG_SH_SI_EUlSV_E0_NS1_11comp_targetILNS1_3genE10ELNS1_11target_archE1201ELNS1_3gpuE5ELNS1_3repE0EEENS1_38merge_mergepath_config_static_selectorELNS0_4arch9wavefront6targetE1EEEvSH_.numbered_sgpr, 0
	.set _ZN7rocprim17ROCPRIM_400000_NS6detail17trampoline_kernelINS0_14default_configENS1_38merge_sort_block_merge_config_selectorIflEEZZNS1_27merge_sort_block_merge_implIS3_PfN6thrust23THRUST_200600_302600_NS10device_ptrIlEEjNS1_19radix_merge_compareILb0ELb0EfNS0_19identity_decomposerEEEEE10hipError_tT0_T1_T2_jT3_P12ihipStream_tbPNSt15iterator_traitsISG_E10value_typeEPNSM_ISH_E10value_typeEPSI_NS1_7vsmem_tEENKUlT_SG_SH_SI_E_clIS7_S7_SB_PlEESF_SV_SG_SH_SI_EUlSV_E0_NS1_11comp_targetILNS1_3genE10ELNS1_11target_archE1201ELNS1_3gpuE5ELNS1_3repE0EEENS1_38merge_mergepath_config_static_selectorELNS0_4arch9wavefront6targetE1EEEvSH_.num_named_barrier, 0
	.set _ZN7rocprim17ROCPRIM_400000_NS6detail17trampoline_kernelINS0_14default_configENS1_38merge_sort_block_merge_config_selectorIflEEZZNS1_27merge_sort_block_merge_implIS3_PfN6thrust23THRUST_200600_302600_NS10device_ptrIlEEjNS1_19radix_merge_compareILb0ELb0EfNS0_19identity_decomposerEEEEE10hipError_tT0_T1_T2_jT3_P12ihipStream_tbPNSt15iterator_traitsISG_E10value_typeEPNSM_ISH_E10value_typeEPSI_NS1_7vsmem_tEENKUlT_SG_SH_SI_E_clIS7_S7_SB_PlEESF_SV_SG_SH_SI_EUlSV_E0_NS1_11comp_targetILNS1_3genE10ELNS1_11target_archE1201ELNS1_3gpuE5ELNS1_3repE0EEENS1_38merge_mergepath_config_static_selectorELNS0_4arch9wavefront6targetE1EEEvSH_.private_seg_size, 0
	.set _ZN7rocprim17ROCPRIM_400000_NS6detail17trampoline_kernelINS0_14default_configENS1_38merge_sort_block_merge_config_selectorIflEEZZNS1_27merge_sort_block_merge_implIS3_PfN6thrust23THRUST_200600_302600_NS10device_ptrIlEEjNS1_19radix_merge_compareILb0ELb0EfNS0_19identity_decomposerEEEEE10hipError_tT0_T1_T2_jT3_P12ihipStream_tbPNSt15iterator_traitsISG_E10value_typeEPNSM_ISH_E10value_typeEPSI_NS1_7vsmem_tEENKUlT_SG_SH_SI_E_clIS7_S7_SB_PlEESF_SV_SG_SH_SI_EUlSV_E0_NS1_11comp_targetILNS1_3genE10ELNS1_11target_archE1201ELNS1_3gpuE5ELNS1_3repE0EEENS1_38merge_mergepath_config_static_selectorELNS0_4arch9wavefront6targetE1EEEvSH_.uses_vcc, 0
	.set _ZN7rocprim17ROCPRIM_400000_NS6detail17trampoline_kernelINS0_14default_configENS1_38merge_sort_block_merge_config_selectorIflEEZZNS1_27merge_sort_block_merge_implIS3_PfN6thrust23THRUST_200600_302600_NS10device_ptrIlEEjNS1_19radix_merge_compareILb0ELb0EfNS0_19identity_decomposerEEEEE10hipError_tT0_T1_T2_jT3_P12ihipStream_tbPNSt15iterator_traitsISG_E10value_typeEPNSM_ISH_E10value_typeEPSI_NS1_7vsmem_tEENKUlT_SG_SH_SI_E_clIS7_S7_SB_PlEESF_SV_SG_SH_SI_EUlSV_E0_NS1_11comp_targetILNS1_3genE10ELNS1_11target_archE1201ELNS1_3gpuE5ELNS1_3repE0EEENS1_38merge_mergepath_config_static_selectorELNS0_4arch9wavefront6targetE1EEEvSH_.uses_flat_scratch, 0
	.set _ZN7rocprim17ROCPRIM_400000_NS6detail17trampoline_kernelINS0_14default_configENS1_38merge_sort_block_merge_config_selectorIflEEZZNS1_27merge_sort_block_merge_implIS3_PfN6thrust23THRUST_200600_302600_NS10device_ptrIlEEjNS1_19radix_merge_compareILb0ELb0EfNS0_19identity_decomposerEEEEE10hipError_tT0_T1_T2_jT3_P12ihipStream_tbPNSt15iterator_traitsISG_E10value_typeEPNSM_ISH_E10value_typeEPSI_NS1_7vsmem_tEENKUlT_SG_SH_SI_E_clIS7_S7_SB_PlEESF_SV_SG_SH_SI_EUlSV_E0_NS1_11comp_targetILNS1_3genE10ELNS1_11target_archE1201ELNS1_3gpuE5ELNS1_3repE0EEENS1_38merge_mergepath_config_static_selectorELNS0_4arch9wavefront6targetE1EEEvSH_.has_dyn_sized_stack, 0
	.set _ZN7rocprim17ROCPRIM_400000_NS6detail17trampoline_kernelINS0_14default_configENS1_38merge_sort_block_merge_config_selectorIflEEZZNS1_27merge_sort_block_merge_implIS3_PfN6thrust23THRUST_200600_302600_NS10device_ptrIlEEjNS1_19radix_merge_compareILb0ELb0EfNS0_19identity_decomposerEEEEE10hipError_tT0_T1_T2_jT3_P12ihipStream_tbPNSt15iterator_traitsISG_E10value_typeEPNSM_ISH_E10value_typeEPSI_NS1_7vsmem_tEENKUlT_SG_SH_SI_E_clIS7_S7_SB_PlEESF_SV_SG_SH_SI_EUlSV_E0_NS1_11comp_targetILNS1_3genE10ELNS1_11target_archE1201ELNS1_3gpuE5ELNS1_3repE0EEENS1_38merge_mergepath_config_static_selectorELNS0_4arch9wavefront6targetE1EEEvSH_.has_recursion, 0
	.set _ZN7rocprim17ROCPRIM_400000_NS6detail17trampoline_kernelINS0_14default_configENS1_38merge_sort_block_merge_config_selectorIflEEZZNS1_27merge_sort_block_merge_implIS3_PfN6thrust23THRUST_200600_302600_NS10device_ptrIlEEjNS1_19radix_merge_compareILb0ELb0EfNS0_19identity_decomposerEEEEE10hipError_tT0_T1_T2_jT3_P12ihipStream_tbPNSt15iterator_traitsISG_E10value_typeEPNSM_ISH_E10value_typeEPSI_NS1_7vsmem_tEENKUlT_SG_SH_SI_E_clIS7_S7_SB_PlEESF_SV_SG_SH_SI_EUlSV_E0_NS1_11comp_targetILNS1_3genE10ELNS1_11target_archE1201ELNS1_3gpuE5ELNS1_3repE0EEENS1_38merge_mergepath_config_static_selectorELNS0_4arch9wavefront6targetE1EEEvSH_.has_indirect_call, 0
	.section	.AMDGPU.csdata,"",@progbits
; Kernel info:
; codeLenInByte = 0
; TotalNumSgprs: 4
; NumVgprs: 0
; ScratchSize: 0
; MemoryBound: 0
; FloatMode: 240
; IeeeMode: 1
; LDSByteSize: 0 bytes/workgroup (compile time only)
; SGPRBlocks: 0
; VGPRBlocks: 0
; NumSGPRsForWavesPerEU: 4
; NumVGPRsForWavesPerEU: 1
; Occupancy: 10
; WaveLimiterHint : 0
; COMPUTE_PGM_RSRC2:SCRATCH_EN: 0
; COMPUTE_PGM_RSRC2:USER_SGPR: 6
; COMPUTE_PGM_RSRC2:TRAP_HANDLER: 0
; COMPUTE_PGM_RSRC2:TGID_X_EN: 1
; COMPUTE_PGM_RSRC2:TGID_Y_EN: 0
; COMPUTE_PGM_RSRC2:TGID_Z_EN: 0
; COMPUTE_PGM_RSRC2:TIDIG_COMP_CNT: 0
	.section	.text._ZN7rocprim17ROCPRIM_400000_NS6detail17trampoline_kernelINS0_14default_configENS1_38merge_sort_block_merge_config_selectorIflEEZZNS1_27merge_sort_block_merge_implIS3_PfN6thrust23THRUST_200600_302600_NS10device_ptrIlEEjNS1_19radix_merge_compareILb0ELb0EfNS0_19identity_decomposerEEEEE10hipError_tT0_T1_T2_jT3_P12ihipStream_tbPNSt15iterator_traitsISG_E10value_typeEPNSM_ISH_E10value_typeEPSI_NS1_7vsmem_tEENKUlT_SG_SH_SI_E_clIS7_S7_SB_PlEESF_SV_SG_SH_SI_EUlSV_E0_NS1_11comp_targetILNS1_3genE5ELNS1_11target_archE942ELNS1_3gpuE9ELNS1_3repE0EEENS1_38merge_mergepath_config_static_selectorELNS0_4arch9wavefront6targetE1EEEvSH_,"axG",@progbits,_ZN7rocprim17ROCPRIM_400000_NS6detail17trampoline_kernelINS0_14default_configENS1_38merge_sort_block_merge_config_selectorIflEEZZNS1_27merge_sort_block_merge_implIS3_PfN6thrust23THRUST_200600_302600_NS10device_ptrIlEEjNS1_19radix_merge_compareILb0ELb0EfNS0_19identity_decomposerEEEEE10hipError_tT0_T1_T2_jT3_P12ihipStream_tbPNSt15iterator_traitsISG_E10value_typeEPNSM_ISH_E10value_typeEPSI_NS1_7vsmem_tEENKUlT_SG_SH_SI_E_clIS7_S7_SB_PlEESF_SV_SG_SH_SI_EUlSV_E0_NS1_11comp_targetILNS1_3genE5ELNS1_11target_archE942ELNS1_3gpuE9ELNS1_3repE0EEENS1_38merge_mergepath_config_static_selectorELNS0_4arch9wavefront6targetE1EEEvSH_,comdat
	.protected	_ZN7rocprim17ROCPRIM_400000_NS6detail17trampoline_kernelINS0_14default_configENS1_38merge_sort_block_merge_config_selectorIflEEZZNS1_27merge_sort_block_merge_implIS3_PfN6thrust23THRUST_200600_302600_NS10device_ptrIlEEjNS1_19radix_merge_compareILb0ELb0EfNS0_19identity_decomposerEEEEE10hipError_tT0_T1_T2_jT3_P12ihipStream_tbPNSt15iterator_traitsISG_E10value_typeEPNSM_ISH_E10value_typeEPSI_NS1_7vsmem_tEENKUlT_SG_SH_SI_E_clIS7_S7_SB_PlEESF_SV_SG_SH_SI_EUlSV_E0_NS1_11comp_targetILNS1_3genE5ELNS1_11target_archE942ELNS1_3gpuE9ELNS1_3repE0EEENS1_38merge_mergepath_config_static_selectorELNS0_4arch9wavefront6targetE1EEEvSH_ ; -- Begin function _ZN7rocprim17ROCPRIM_400000_NS6detail17trampoline_kernelINS0_14default_configENS1_38merge_sort_block_merge_config_selectorIflEEZZNS1_27merge_sort_block_merge_implIS3_PfN6thrust23THRUST_200600_302600_NS10device_ptrIlEEjNS1_19radix_merge_compareILb0ELb0EfNS0_19identity_decomposerEEEEE10hipError_tT0_T1_T2_jT3_P12ihipStream_tbPNSt15iterator_traitsISG_E10value_typeEPNSM_ISH_E10value_typeEPSI_NS1_7vsmem_tEENKUlT_SG_SH_SI_E_clIS7_S7_SB_PlEESF_SV_SG_SH_SI_EUlSV_E0_NS1_11comp_targetILNS1_3genE5ELNS1_11target_archE942ELNS1_3gpuE9ELNS1_3repE0EEENS1_38merge_mergepath_config_static_selectorELNS0_4arch9wavefront6targetE1EEEvSH_
	.globl	_ZN7rocprim17ROCPRIM_400000_NS6detail17trampoline_kernelINS0_14default_configENS1_38merge_sort_block_merge_config_selectorIflEEZZNS1_27merge_sort_block_merge_implIS3_PfN6thrust23THRUST_200600_302600_NS10device_ptrIlEEjNS1_19radix_merge_compareILb0ELb0EfNS0_19identity_decomposerEEEEE10hipError_tT0_T1_T2_jT3_P12ihipStream_tbPNSt15iterator_traitsISG_E10value_typeEPNSM_ISH_E10value_typeEPSI_NS1_7vsmem_tEENKUlT_SG_SH_SI_E_clIS7_S7_SB_PlEESF_SV_SG_SH_SI_EUlSV_E0_NS1_11comp_targetILNS1_3genE5ELNS1_11target_archE942ELNS1_3gpuE9ELNS1_3repE0EEENS1_38merge_mergepath_config_static_selectorELNS0_4arch9wavefront6targetE1EEEvSH_
	.p2align	8
	.type	_ZN7rocprim17ROCPRIM_400000_NS6detail17trampoline_kernelINS0_14default_configENS1_38merge_sort_block_merge_config_selectorIflEEZZNS1_27merge_sort_block_merge_implIS3_PfN6thrust23THRUST_200600_302600_NS10device_ptrIlEEjNS1_19radix_merge_compareILb0ELb0EfNS0_19identity_decomposerEEEEE10hipError_tT0_T1_T2_jT3_P12ihipStream_tbPNSt15iterator_traitsISG_E10value_typeEPNSM_ISH_E10value_typeEPSI_NS1_7vsmem_tEENKUlT_SG_SH_SI_E_clIS7_S7_SB_PlEESF_SV_SG_SH_SI_EUlSV_E0_NS1_11comp_targetILNS1_3genE5ELNS1_11target_archE942ELNS1_3gpuE9ELNS1_3repE0EEENS1_38merge_mergepath_config_static_selectorELNS0_4arch9wavefront6targetE1EEEvSH_,@function
_ZN7rocprim17ROCPRIM_400000_NS6detail17trampoline_kernelINS0_14default_configENS1_38merge_sort_block_merge_config_selectorIflEEZZNS1_27merge_sort_block_merge_implIS3_PfN6thrust23THRUST_200600_302600_NS10device_ptrIlEEjNS1_19radix_merge_compareILb0ELb0EfNS0_19identity_decomposerEEEEE10hipError_tT0_T1_T2_jT3_P12ihipStream_tbPNSt15iterator_traitsISG_E10value_typeEPNSM_ISH_E10value_typeEPSI_NS1_7vsmem_tEENKUlT_SG_SH_SI_E_clIS7_S7_SB_PlEESF_SV_SG_SH_SI_EUlSV_E0_NS1_11comp_targetILNS1_3genE5ELNS1_11target_archE942ELNS1_3gpuE9ELNS1_3repE0EEENS1_38merge_mergepath_config_static_selectorELNS0_4arch9wavefront6targetE1EEEvSH_: ; @_ZN7rocprim17ROCPRIM_400000_NS6detail17trampoline_kernelINS0_14default_configENS1_38merge_sort_block_merge_config_selectorIflEEZZNS1_27merge_sort_block_merge_implIS3_PfN6thrust23THRUST_200600_302600_NS10device_ptrIlEEjNS1_19radix_merge_compareILb0ELb0EfNS0_19identity_decomposerEEEEE10hipError_tT0_T1_T2_jT3_P12ihipStream_tbPNSt15iterator_traitsISG_E10value_typeEPNSM_ISH_E10value_typeEPSI_NS1_7vsmem_tEENKUlT_SG_SH_SI_E_clIS7_S7_SB_PlEESF_SV_SG_SH_SI_EUlSV_E0_NS1_11comp_targetILNS1_3genE5ELNS1_11target_archE942ELNS1_3gpuE9ELNS1_3repE0EEENS1_38merge_mergepath_config_static_selectorELNS0_4arch9wavefront6targetE1EEEvSH_
; %bb.0:
	.section	.rodata,"a",@progbits
	.p2align	6, 0x0
	.amdhsa_kernel _ZN7rocprim17ROCPRIM_400000_NS6detail17trampoline_kernelINS0_14default_configENS1_38merge_sort_block_merge_config_selectorIflEEZZNS1_27merge_sort_block_merge_implIS3_PfN6thrust23THRUST_200600_302600_NS10device_ptrIlEEjNS1_19radix_merge_compareILb0ELb0EfNS0_19identity_decomposerEEEEE10hipError_tT0_T1_T2_jT3_P12ihipStream_tbPNSt15iterator_traitsISG_E10value_typeEPNSM_ISH_E10value_typeEPSI_NS1_7vsmem_tEENKUlT_SG_SH_SI_E_clIS7_S7_SB_PlEESF_SV_SG_SH_SI_EUlSV_E0_NS1_11comp_targetILNS1_3genE5ELNS1_11target_archE942ELNS1_3gpuE9ELNS1_3repE0EEENS1_38merge_mergepath_config_static_selectorELNS0_4arch9wavefront6targetE1EEEvSH_
		.amdhsa_group_segment_fixed_size 0
		.amdhsa_private_segment_fixed_size 0
		.amdhsa_kernarg_size 64
		.amdhsa_user_sgpr_count 6
		.amdhsa_user_sgpr_private_segment_buffer 1
		.amdhsa_user_sgpr_dispatch_ptr 0
		.amdhsa_user_sgpr_queue_ptr 0
		.amdhsa_user_sgpr_kernarg_segment_ptr 1
		.amdhsa_user_sgpr_dispatch_id 0
		.amdhsa_user_sgpr_flat_scratch_init 0
		.amdhsa_user_sgpr_private_segment_size 0
		.amdhsa_uses_dynamic_stack 0
		.amdhsa_system_sgpr_private_segment_wavefront_offset 0
		.amdhsa_system_sgpr_workgroup_id_x 1
		.amdhsa_system_sgpr_workgroup_id_y 0
		.amdhsa_system_sgpr_workgroup_id_z 0
		.amdhsa_system_sgpr_workgroup_info 0
		.amdhsa_system_vgpr_workitem_id 0
		.amdhsa_next_free_vgpr 1
		.amdhsa_next_free_sgpr 0
		.amdhsa_reserve_vcc 0
		.amdhsa_reserve_flat_scratch 0
		.amdhsa_float_round_mode_32 0
		.amdhsa_float_round_mode_16_64 0
		.amdhsa_float_denorm_mode_32 3
		.amdhsa_float_denorm_mode_16_64 3
		.amdhsa_dx10_clamp 1
		.amdhsa_ieee_mode 1
		.amdhsa_fp16_overflow 0
		.amdhsa_exception_fp_ieee_invalid_op 0
		.amdhsa_exception_fp_denorm_src 0
		.amdhsa_exception_fp_ieee_div_zero 0
		.amdhsa_exception_fp_ieee_overflow 0
		.amdhsa_exception_fp_ieee_underflow 0
		.amdhsa_exception_fp_ieee_inexact 0
		.amdhsa_exception_int_div_zero 0
	.end_amdhsa_kernel
	.section	.text._ZN7rocprim17ROCPRIM_400000_NS6detail17trampoline_kernelINS0_14default_configENS1_38merge_sort_block_merge_config_selectorIflEEZZNS1_27merge_sort_block_merge_implIS3_PfN6thrust23THRUST_200600_302600_NS10device_ptrIlEEjNS1_19radix_merge_compareILb0ELb0EfNS0_19identity_decomposerEEEEE10hipError_tT0_T1_T2_jT3_P12ihipStream_tbPNSt15iterator_traitsISG_E10value_typeEPNSM_ISH_E10value_typeEPSI_NS1_7vsmem_tEENKUlT_SG_SH_SI_E_clIS7_S7_SB_PlEESF_SV_SG_SH_SI_EUlSV_E0_NS1_11comp_targetILNS1_3genE5ELNS1_11target_archE942ELNS1_3gpuE9ELNS1_3repE0EEENS1_38merge_mergepath_config_static_selectorELNS0_4arch9wavefront6targetE1EEEvSH_,"axG",@progbits,_ZN7rocprim17ROCPRIM_400000_NS6detail17trampoline_kernelINS0_14default_configENS1_38merge_sort_block_merge_config_selectorIflEEZZNS1_27merge_sort_block_merge_implIS3_PfN6thrust23THRUST_200600_302600_NS10device_ptrIlEEjNS1_19radix_merge_compareILb0ELb0EfNS0_19identity_decomposerEEEEE10hipError_tT0_T1_T2_jT3_P12ihipStream_tbPNSt15iterator_traitsISG_E10value_typeEPNSM_ISH_E10value_typeEPSI_NS1_7vsmem_tEENKUlT_SG_SH_SI_E_clIS7_S7_SB_PlEESF_SV_SG_SH_SI_EUlSV_E0_NS1_11comp_targetILNS1_3genE5ELNS1_11target_archE942ELNS1_3gpuE9ELNS1_3repE0EEENS1_38merge_mergepath_config_static_selectorELNS0_4arch9wavefront6targetE1EEEvSH_,comdat
.Lfunc_end1794:
	.size	_ZN7rocprim17ROCPRIM_400000_NS6detail17trampoline_kernelINS0_14default_configENS1_38merge_sort_block_merge_config_selectorIflEEZZNS1_27merge_sort_block_merge_implIS3_PfN6thrust23THRUST_200600_302600_NS10device_ptrIlEEjNS1_19radix_merge_compareILb0ELb0EfNS0_19identity_decomposerEEEEE10hipError_tT0_T1_T2_jT3_P12ihipStream_tbPNSt15iterator_traitsISG_E10value_typeEPNSM_ISH_E10value_typeEPSI_NS1_7vsmem_tEENKUlT_SG_SH_SI_E_clIS7_S7_SB_PlEESF_SV_SG_SH_SI_EUlSV_E0_NS1_11comp_targetILNS1_3genE5ELNS1_11target_archE942ELNS1_3gpuE9ELNS1_3repE0EEENS1_38merge_mergepath_config_static_selectorELNS0_4arch9wavefront6targetE1EEEvSH_, .Lfunc_end1794-_ZN7rocprim17ROCPRIM_400000_NS6detail17trampoline_kernelINS0_14default_configENS1_38merge_sort_block_merge_config_selectorIflEEZZNS1_27merge_sort_block_merge_implIS3_PfN6thrust23THRUST_200600_302600_NS10device_ptrIlEEjNS1_19radix_merge_compareILb0ELb0EfNS0_19identity_decomposerEEEEE10hipError_tT0_T1_T2_jT3_P12ihipStream_tbPNSt15iterator_traitsISG_E10value_typeEPNSM_ISH_E10value_typeEPSI_NS1_7vsmem_tEENKUlT_SG_SH_SI_E_clIS7_S7_SB_PlEESF_SV_SG_SH_SI_EUlSV_E0_NS1_11comp_targetILNS1_3genE5ELNS1_11target_archE942ELNS1_3gpuE9ELNS1_3repE0EEENS1_38merge_mergepath_config_static_selectorELNS0_4arch9wavefront6targetE1EEEvSH_
                                        ; -- End function
	.set _ZN7rocprim17ROCPRIM_400000_NS6detail17trampoline_kernelINS0_14default_configENS1_38merge_sort_block_merge_config_selectorIflEEZZNS1_27merge_sort_block_merge_implIS3_PfN6thrust23THRUST_200600_302600_NS10device_ptrIlEEjNS1_19radix_merge_compareILb0ELb0EfNS0_19identity_decomposerEEEEE10hipError_tT0_T1_T2_jT3_P12ihipStream_tbPNSt15iterator_traitsISG_E10value_typeEPNSM_ISH_E10value_typeEPSI_NS1_7vsmem_tEENKUlT_SG_SH_SI_E_clIS7_S7_SB_PlEESF_SV_SG_SH_SI_EUlSV_E0_NS1_11comp_targetILNS1_3genE5ELNS1_11target_archE942ELNS1_3gpuE9ELNS1_3repE0EEENS1_38merge_mergepath_config_static_selectorELNS0_4arch9wavefront6targetE1EEEvSH_.num_vgpr, 0
	.set _ZN7rocprim17ROCPRIM_400000_NS6detail17trampoline_kernelINS0_14default_configENS1_38merge_sort_block_merge_config_selectorIflEEZZNS1_27merge_sort_block_merge_implIS3_PfN6thrust23THRUST_200600_302600_NS10device_ptrIlEEjNS1_19radix_merge_compareILb0ELb0EfNS0_19identity_decomposerEEEEE10hipError_tT0_T1_T2_jT3_P12ihipStream_tbPNSt15iterator_traitsISG_E10value_typeEPNSM_ISH_E10value_typeEPSI_NS1_7vsmem_tEENKUlT_SG_SH_SI_E_clIS7_S7_SB_PlEESF_SV_SG_SH_SI_EUlSV_E0_NS1_11comp_targetILNS1_3genE5ELNS1_11target_archE942ELNS1_3gpuE9ELNS1_3repE0EEENS1_38merge_mergepath_config_static_selectorELNS0_4arch9wavefront6targetE1EEEvSH_.num_agpr, 0
	.set _ZN7rocprim17ROCPRIM_400000_NS6detail17trampoline_kernelINS0_14default_configENS1_38merge_sort_block_merge_config_selectorIflEEZZNS1_27merge_sort_block_merge_implIS3_PfN6thrust23THRUST_200600_302600_NS10device_ptrIlEEjNS1_19radix_merge_compareILb0ELb0EfNS0_19identity_decomposerEEEEE10hipError_tT0_T1_T2_jT3_P12ihipStream_tbPNSt15iterator_traitsISG_E10value_typeEPNSM_ISH_E10value_typeEPSI_NS1_7vsmem_tEENKUlT_SG_SH_SI_E_clIS7_S7_SB_PlEESF_SV_SG_SH_SI_EUlSV_E0_NS1_11comp_targetILNS1_3genE5ELNS1_11target_archE942ELNS1_3gpuE9ELNS1_3repE0EEENS1_38merge_mergepath_config_static_selectorELNS0_4arch9wavefront6targetE1EEEvSH_.numbered_sgpr, 0
	.set _ZN7rocprim17ROCPRIM_400000_NS6detail17trampoline_kernelINS0_14default_configENS1_38merge_sort_block_merge_config_selectorIflEEZZNS1_27merge_sort_block_merge_implIS3_PfN6thrust23THRUST_200600_302600_NS10device_ptrIlEEjNS1_19radix_merge_compareILb0ELb0EfNS0_19identity_decomposerEEEEE10hipError_tT0_T1_T2_jT3_P12ihipStream_tbPNSt15iterator_traitsISG_E10value_typeEPNSM_ISH_E10value_typeEPSI_NS1_7vsmem_tEENKUlT_SG_SH_SI_E_clIS7_S7_SB_PlEESF_SV_SG_SH_SI_EUlSV_E0_NS1_11comp_targetILNS1_3genE5ELNS1_11target_archE942ELNS1_3gpuE9ELNS1_3repE0EEENS1_38merge_mergepath_config_static_selectorELNS0_4arch9wavefront6targetE1EEEvSH_.num_named_barrier, 0
	.set _ZN7rocprim17ROCPRIM_400000_NS6detail17trampoline_kernelINS0_14default_configENS1_38merge_sort_block_merge_config_selectorIflEEZZNS1_27merge_sort_block_merge_implIS3_PfN6thrust23THRUST_200600_302600_NS10device_ptrIlEEjNS1_19radix_merge_compareILb0ELb0EfNS0_19identity_decomposerEEEEE10hipError_tT0_T1_T2_jT3_P12ihipStream_tbPNSt15iterator_traitsISG_E10value_typeEPNSM_ISH_E10value_typeEPSI_NS1_7vsmem_tEENKUlT_SG_SH_SI_E_clIS7_S7_SB_PlEESF_SV_SG_SH_SI_EUlSV_E0_NS1_11comp_targetILNS1_3genE5ELNS1_11target_archE942ELNS1_3gpuE9ELNS1_3repE0EEENS1_38merge_mergepath_config_static_selectorELNS0_4arch9wavefront6targetE1EEEvSH_.private_seg_size, 0
	.set _ZN7rocprim17ROCPRIM_400000_NS6detail17trampoline_kernelINS0_14default_configENS1_38merge_sort_block_merge_config_selectorIflEEZZNS1_27merge_sort_block_merge_implIS3_PfN6thrust23THRUST_200600_302600_NS10device_ptrIlEEjNS1_19radix_merge_compareILb0ELb0EfNS0_19identity_decomposerEEEEE10hipError_tT0_T1_T2_jT3_P12ihipStream_tbPNSt15iterator_traitsISG_E10value_typeEPNSM_ISH_E10value_typeEPSI_NS1_7vsmem_tEENKUlT_SG_SH_SI_E_clIS7_S7_SB_PlEESF_SV_SG_SH_SI_EUlSV_E0_NS1_11comp_targetILNS1_3genE5ELNS1_11target_archE942ELNS1_3gpuE9ELNS1_3repE0EEENS1_38merge_mergepath_config_static_selectorELNS0_4arch9wavefront6targetE1EEEvSH_.uses_vcc, 0
	.set _ZN7rocprim17ROCPRIM_400000_NS6detail17trampoline_kernelINS0_14default_configENS1_38merge_sort_block_merge_config_selectorIflEEZZNS1_27merge_sort_block_merge_implIS3_PfN6thrust23THRUST_200600_302600_NS10device_ptrIlEEjNS1_19radix_merge_compareILb0ELb0EfNS0_19identity_decomposerEEEEE10hipError_tT0_T1_T2_jT3_P12ihipStream_tbPNSt15iterator_traitsISG_E10value_typeEPNSM_ISH_E10value_typeEPSI_NS1_7vsmem_tEENKUlT_SG_SH_SI_E_clIS7_S7_SB_PlEESF_SV_SG_SH_SI_EUlSV_E0_NS1_11comp_targetILNS1_3genE5ELNS1_11target_archE942ELNS1_3gpuE9ELNS1_3repE0EEENS1_38merge_mergepath_config_static_selectorELNS0_4arch9wavefront6targetE1EEEvSH_.uses_flat_scratch, 0
	.set _ZN7rocprim17ROCPRIM_400000_NS6detail17trampoline_kernelINS0_14default_configENS1_38merge_sort_block_merge_config_selectorIflEEZZNS1_27merge_sort_block_merge_implIS3_PfN6thrust23THRUST_200600_302600_NS10device_ptrIlEEjNS1_19radix_merge_compareILb0ELb0EfNS0_19identity_decomposerEEEEE10hipError_tT0_T1_T2_jT3_P12ihipStream_tbPNSt15iterator_traitsISG_E10value_typeEPNSM_ISH_E10value_typeEPSI_NS1_7vsmem_tEENKUlT_SG_SH_SI_E_clIS7_S7_SB_PlEESF_SV_SG_SH_SI_EUlSV_E0_NS1_11comp_targetILNS1_3genE5ELNS1_11target_archE942ELNS1_3gpuE9ELNS1_3repE0EEENS1_38merge_mergepath_config_static_selectorELNS0_4arch9wavefront6targetE1EEEvSH_.has_dyn_sized_stack, 0
	.set _ZN7rocprim17ROCPRIM_400000_NS6detail17trampoline_kernelINS0_14default_configENS1_38merge_sort_block_merge_config_selectorIflEEZZNS1_27merge_sort_block_merge_implIS3_PfN6thrust23THRUST_200600_302600_NS10device_ptrIlEEjNS1_19radix_merge_compareILb0ELb0EfNS0_19identity_decomposerEEEEE10hipError_tT0_T1_T2_jT3_P12ihipStream_tbPNSt15iterator_traitsISG_E10value_typeEPNSM_ISH_E10value_typeEPSI_NS1_7vsmem_tEENKUlT_SG_SH_SI_E_clIS7_S7_SB_PlEESF_SV_SG_SH_SI_EUlSV_E0_NS1_11comp_targetILNS1_3genE5ELNS1_11target_archE942ELNS1_3gpuE9ELNS1_3repE0EEENS1_38merge_mergepath_config_static_selectorELNS0_4arch9wavefront6targetE1EEEvSH_.has_recursion, 0
	.set _ZN7rocprim17ROCPRIM_400000_NS6detail17trampoline_kernelINS0_14default_configENS1_38merge_sort_block_merge_config_selectorIflEEZZNS1_27merge_sort_block_merge_implIS3_PfN6thrust23THRUST_200600_302600_NS10device_ptrIlEEjNS1_19radix_merge_compareILb0ELb0EfNS0_19identity_decomposerEEEEE10hipError_tT0_T1_T2_jT3_P12ihipStream_tbPNSt15iterator_traitsISG_E10value_typeEPNSM_ISH_E10value_typeEPSI_NS1_7vsmem_tEENKUlT_SG_SH_SI_E_clIS7_S7_SB_PlEESF_SV_SG_SH_SI_EUlSV_E0_NS1_11comp_targetILNS1_3genE5ELNS1_11target_archE942ELNS1_3gpuE9ELNS1_3repE0EEENS1_38merge_mergepath_config_static_selectorELNS0_4arch9wavefront6targetE1EEEvSH_.has_indirect_call, 0
	.section	.AMDGPU.csdata,"",@progbits
; Kernel info:
; codeLenInByte = 0
; TotalNumSgprs: 4
; NumVgprs: 0
; ScratchSize: 0
; MemoryBound: 0
; FloatMode: 240
; IeeeMode: 1
; LDSByteSize: 0 bytes/workgroup (compile time only)
; SGPRBlocks: 0
; VGPRBlocks: 0
; NumSGPRsForWavesPerEU: 4
; NumVGPRsForWavesPerEU: 1
; Occupancy: 10
; WaveLimiterHint : 0
; COMPUTE_PGM_RSRC2:SCRATCH_EN: 0
; COMPUTE_PGM_RSRC2:USER_SGPR: 6
; COMPUTE_PGM_RSRC2:TRAP_HANDLER: 0
; COMPUTE_PGM_RSRC2:TGID_X_EN: 1
; COMPUTE_PGM_RSRC2:TGID_Y_EN: 0
; COMPUTE_PGM_RSRC2:TGID_Z_EN: 0
; COMPUTE_PGM_RSRC2:TIDIG_COMP_CNT: 0
	.section	.text._ZN7rocprim17ROCPRIM_400000_NS6detail17trampoline_kernelINS0_14default_configENS1_38merge_sort_block_merge_config_selectorIflEEZZNS1_27merge_sort_block_merge_implIS3_PfN6thrust23THRUST_200600_302600_NS10device_ptrIlEEjNS1_19radix_merge_compareILb0ELb0EfNS0_19identity_decomposerEEEEE10hipError_tT0_T1_T2_jT3_P12ihipStream_tbPNSt15iterator_traitsISG_E10value_typeEPNSM_ISH_E10value_typeEPSI_NS1_7vsmem_tEENKUlT_SG_SH_SI_E_clIS7_S7_SB_PlEESF_SV_SG_SH_SI_EUlSV_E0_NS1_11comp_targetILNS1_3genE4ELNS1_11target_archE910ELNS1_3gpuE8ELNS1_3repE0EEENS1_38merge_mergepath_config_static_selectorELNS0_4arch9wavefront6targetE1EEEvSH_,"axG",@progbits,_ZN7rocprim17ROCPRIM_400000_NS6detail17trampoline_kernelINS0_14default_configENS1_38merge_sort_block_merge_config_selectorIflEEZZNS1_27merge_sort_block_merge_implIS3_PfN6thrust23THRUST_200600_302600_NS10device_ptrIlEEjNS1_19radix_merge_compareILb0ELb0EfNS0_19identity_decomposerEEEEE10hipError_tT0_T1_T2_jT3_P12ihipStream_tbPNSt15iterator_traitsISG_E10value_typeEPNSM_ISH_E10value_typeEPSI_NS1_7vsmem_tEENKUlT_SG_SH_SI_E_clIS7_S7_SB_PlEESF_SV_SG_SH_SI_EUlSV_E0_NS1_11comp_targetILNS1_3genE4ELNS1_11target_archE910ELNS1_3gpuE8ELNS1_3repE0EEENS1_38merge_mergepath_config_static_selectorELNS0_4arch9wavefront6targetE1EEEvSH_,comdat
	.protected	_ZN7rocprim17ROCPRIM_400000_NS6detail17trampoline_kernelINS0_14default_configENS1_38merge_sort_block_merge_config_selectorIflEEZZNS1_27merge_sort_block_merge_implIS3_PfN6thrust23THRUST_200600_302600_NS10device_ptrIlEEjNS1_19radix_merge_compareILb0ELb0EfNS0_19identity_decomposerEEEEE10hipError_tT0_T1_T2_jT3_P12ihipStream_tbPNSt15iterator_traitsISG_E10value_typeEPNSM_ISH_E10value_typeEPSI_NS1_7vsmem_tEENKUlT_SG_SH_SI_E_clIS7_S7_SB_PlEESF_SV_SG_SH_SI_EUlSV_E0_NS1_11comp_targetILNS1_3genE4ELNS1_11target_archE910ELNS1_3gpuE8ELNS1_3repE0EEENS1_38merge_mergepath_config_static_selectorELNS0_4arch9wavefront6targetE1EEEvSH_ ; -- Begin function _ZN7rocprim17ROCPRIM_400000_NS6detail17trampoline_kernelINS0_14default_configENS1_38merge_sort_block_merge_config_selectorIflEEZZNS1_27merge_sort_block_merge_implIS3_PfN6thrust23THRUST_200600_302600_NS10device_ptrIlEEjNS1_19radix_merge_compareILb0ELb0EfNS0_19identity_decomposerEEEEE10hipError_tT0_T1_T2_jT3_P12ihipStream_tbPNSt15iterator_traitsISG_E10value_typeEPNSM_ISH_E10value_typeEPSI_NS1_7vsmem_tEENKUlT_SG_SH_SI_E_clIS7_S7_SB_PlEESF_SV_SG_SH_SI_EUlSV_E0_NS1_11comp_targetILNS1_3genE4ELNS1_11target_archE910ELNS1_3gpuE8ELNS1_3repE0EEENS1_38merge_mergepath_config_static_selectorELNS0_4arch9wavefront6targetE1EEEvSH_
	.globl	_ZN7rocprim17ROCPRIM_400000_NS6detail17trampoline_kernelINS0_14default_configENS1_38merge_sort_block_merge_config_selectorIflEEZZNS1_27merge_sort_block_merge_implIS3_PfN6thrust23THRUST_200600_302600_NS10device_ptrIlEEjNS1_19radix_merge_compareILb0ELb0EfNS0_19identity_decomposerEEEEE10hipError_tT0_T1_T2_jT3_P12ihipStream_tbPNSt15iterator_traitsISG_E10value_typeEPNSM_ISH_E10value_typeEPSI_NS1_7vsmem_tEENKUlT_SG_SH_SI_E_clIS7_S7_SB_PlEESF_SV_SG_SH_SI_EUlSV_E0_NS1_11comp_targetILNS1_3genE4ELNS1_11target_archE910ELNS1_3gpuE8ELNS1_3repE0EEENS1_38merge_mergepath_config_static_selectorELNS0_4arch9wavefront6targetE1EEEvSH_
	.p2align	8
	.type	_ZN7rocprim17ROCPRIM_400000_NS6detail17trampoline_kernelINS0_14default_configENS1_38merge_sort_block_merge_config_selectorIflEEZZNS1_27merge_sort_block_merge_implIS3_PfN6thrust23THRUST_200600_302600_NS10device_ptrIlEEjNS1_19radix_merge_compareILb0ELb0EfNS0_19identity_decomposerEEEEE10hipError_tT0_T1_T2_jT3_P12ihipStream_tbPNSt15iterator_traitsISG_E10value_typeEPNSM_ISH_E10value_typeEPSI_NS1_7vsmem_tEENKUlT_SG_SH_SI_E_clIS7_S7_SB_PlEESF_SV_SG_SH_SI_EUlSV_E0_NS1_11comp_targetILNS1_3genE4ELNS1_11target_archE910ELNS1_3gpuE8ELNS1_3repE0EEENS1_38merge_mergepath_config_static_selectorELNS0_4arch9wavefront6targetE1EEEvSH_,@function
_ZN7rocprim17ROCPRIM_400000_NS6detail17trampoline_kernelINS0_14default_configENS1_38merge_sort_block_merge_config_selectorIflEEZZNS1_27merge_sort_block_merge_implIS3_PfN6thrust23THRUST_200600_302600_NS10device_ptrIlEEjNS1_19radix_merge_compareILb0ELb0EfNS0_19identity_decomposerEEEEE10hipError_tT0_T1_T2_jT3_P12ihipStream_tbPNSt15iterator_traitsISG_E10value_typeEPNSM_ISH_E10value_typeEPSI_NS1_7vsmem_tEENKUlT_SG_SH_SI_E_clIS7_S7_SB_PlEESF_SV_SG_SH_SI_EUlSV_E0_NS1_11comp_targetILNS1_3genE4ELNS1_11target_archE910ELNS1_3gpuE8ELNS1_3repE0EEENS1_38merge_mergepath_config_static_selectorELNS0_4arch9wavefront6targetE1EEEvSH_: ; @_ZN7rocprim17ROCPRIM_400000_NS6detail17trampoline_kernelINS0_14default_configENS1_38merge_sort_block_merge_config_selectorIflEEZZNS1_27merge_sort_block_merge_implIS3_PfN6thrust23THRUST_200600_302600_NS10device_ptrIlEEjNS1_19radix_merge_compareILb0ELb0EfNS0_19identity_decomposerEEEEE10hipError_tT0_T1_T2_jT3_P12ihipStream_tbPNSt15iterator_traitsISG_E10value_typeEPNSM_ISH_E10value_typeEPSI_NS1_7vsmem_tEENKUlT_SG_SH_SI_E_clIS7_S7_SB_PlEESF_SV_SG_SH_SI_EUlSV_E0_NS1_11comp_targetILNS1_3genE4ELNS1_11target_archE910ELNS1_3gpuE8ELNS1_3repE0EEENS1_38merge_mergepath_config_static_selectorELNS0_4arch9wavefront6targetE1EEEvSH_
; %bb.0:
	.section	.rodata,"a",@progbits
	.p2align	6, 0x0
	.amdhsa_kernel _ZN7rocprim17ROCPRIM_400000_NS6detail17trampoline_kernelINS0_14default_configENS1_38merge_sort_block_merge_config_selectorIflEEZZNS1_27merge_sort_block_merge_implIS3_PfN6thrust23THRUST_200600_302600_NS10device_ptrIlEEjNS1_19radix_merge_compareILb0ELb0EfNS0_19identity_decomposerEEEEE10hipError_tT0_T1_T2_jT3_P12ihipStream_tbPNSt15iterator_traitsISG_E10value_typeEPNSM_ISH_E10value_typeEPSI_NS1_7vsmem_tEENKUlT_SG_SH_SI_E_clIS7_S7_SB_PlEESF_SV_SG_SH_SI_EUlSV_E0_NS1_11comp_targetILNS1_3genE4ELNS1_11target_archE910ELNS1_3gpuE8ELNS1_3repE0EEENS1_38merge_mergepath_config_static_selectorELNS0_4arch9wavefront6targetE1EEEvSH_
		.amdhsa_group_segment_fixed_size 0
		.amdhsa_private_segment_fixed_size 0
		.amdhsa_kernarg_size 64
		.amdhsa_user_sgpr_count 6
		.amdhsa_user_sgpr_private_segment_buffer 1
		.amdhsa_user_sgpr_dispatch_ptr 0
		.amdhsa_user_sgpr_queue_ptr 0
		.amdhsa_user_sgpr_kernarg_segment_ptr 1
		.amdhsa_user_sgpr_dispatch_id 0
		.amdhsa_user_sgpr_flat_scratch_init 0
		.amdhsa_user_sgpr_private_segment_size 0
		.amdhsa_uses_dynamic_stack 0
		.amdhsa_system_sgpr_private_segment_wavefront_offset 0
		.amdhsa_system_sgpr_workgroup_id_x 1
		.amdhsa_system_sgpr_workgroup_id_y 0
		.amdhsa_system_sgpr_workgroup_id_z 0
		.amdhsa_system_sgpr_workgroup_info 0
		.amdhsa_system_vgpr_workitem_id 0
		.amdhsa_next_free_vgpr 1
		.amdhsa_next_free_sgpr 0
		.amdhsa_reserve_vcc 0
		.amdhsa_reserve_flat_scratch 0
		.amdhsa_float_round_mode_32 0
		.amdhsa_float_round_mode_16_64 0
		.amdhsa_float_denorm_mode_32 3
		.amdhsa_float_denorm_mode_16_64 3
		.amdhsa_dx10_clamp 1
		.amdhsa_ieee_mode 1
		.amdhsa_fp16_overflow 0
		.amdhsa_exception_fp_ieee_invalid_op 0
		.amdhsa_exception_fp_denorm_src 0
		.amdhsa_exception_fp_ieee_div_zero 0
		.amdhsa_exception_fp_ieee_overflow 0
		.amdhsa_exception_fp_ieee_underflow 0
		.amdhsa_exception_fp_ieee_inexact 0
		.amdhsa_exception_int_div_zero 0
	.end_amdhsa_kernel
	.section	.text._ZN7rocprim17ROCPRIM_400000_NS6detail17trampoline_kernelINS0_14default_configENS1_38merge_sort_block_merge_config_selectorIflEEZZNS1_27merge_sort_block_merge_implIS3_PfN6thrust23THRUST_200600_302600_NS10device_ptrIlEEjNS1_19radix_merge_compareILb0ELb0EfNS0_19identity_decomposerEEEEE10hipError_tT0_T1_T2_jT3_P12ihipStream_tbPNSt15iterator_traitsISG_E10value_typeEPNSM_ISH_E10value_typeEPSI_NS1_7vsmem_tEENKUlT_SG_SH_SI_E_clIS7_S7_SB_PlEESF_SV_SG_SH_SI_EUlSV_E0_NS1_11comp_targetILNS1_3genE4ELNS1_11target_archE910ELNS1_3gpuE8ELNS1_3repE0EEENS1_38merge_mergepath_config_static_selectorELNS0_4arch9wavefront6targetE1EEEvSH_,"axG",@progbits,_ZN7rocprim17ROCPRIM_400000_NS6detail17trampoline_kernelINS0_14default_configENS1_38merge_sort_block_merge_config_selectorIflEEZZNS1_27merge_sort_block_merge_implIS3_PfN6thrust23THRUST_200600_302600_NS10device_ptrIlEEjNS1_19radix_merge_compareILb0ELb0EfNS0_19identity_decomposerEEEEE10hipError_tT0_T1_T2_jT3_P12ihipStream_tbPNSt15iterator_traitsISG_E10value_typeEPNSM_ISH_E10value_typeEPSI_NS1_7vsmem_tEENKUlT_SG_SH_SI_E_clIS7_S7_SB_PlEESF_SV_SG_SH_SI_EUlSV_E0_NS1_11comp_targetILNS1_3genE4ELNS1_11target_archE910ELNS1_3gpuE8ELNS1_3repE0EEENS1_38merge_mergepath_config_static_selectorELNS0_4arch9wavefront6targetE1EEEvSH_,comdat
.Lfunc_end1795:
	.size	_ZN7rocprim17ROCPRIM_400000_NS6detail17trampoline_kernelINS0_14default_configENS1_38merge_sort_block_merge_config_selectorIflEEZZNS1_27merge_sort_block_merge_implIS3_PfN6thrust23THRUST_200600_302600_NS10device_ptrIlEEjNS1_19radix_merge_compareILb0ELb0EfNS0_19identity_decomposerEEEEE10hipError_tT0_T1_T2_jT3_P12ihipStream_tbPNSt15iterator_traitsISG_E10value_typeEPNSM_ISH_E10value_typeEPSI_NS1_7vsmem_tEENKUlT_SG_SH_SI_E_clIS7_S7_SB_PlEESF_SV_SG_SH_SI_EUlSV_E0_NS1_11comp_targetILNS1_3genE4ELNS1_11target_archE910ELNS1_3gpuE8ELNS1_3repE0EEENS1_38merge_mergepath_config_static_selectorELNS0_4arch9wavefront6targetE1EEEvSH_, .Lfunc_end1795-_ZN7rocprim17ROCPRIM_400000_NS6detail17trampoline_kernelINS0_14default_configENS1_38merge_sort_block_merge_config_selectorIflEEZZNS1_27merge_sort_block_merge_implIS3_PfN6thrust23THRUST_200600_302600_NS10device_ptrIlEEjNS1_19radix_merge_compareILb0ELb0EfNS0_19identity_decomposerEEEEE10hipError_tT0_T1_T2_jT3_P12ihipStream_tbPNSt15iterator_traitsISG_E10value_typeEPNSM_ISH_E10value_typeEPSI_NS1_7vsmem_tEENKUlT_SG_SH_SI_E_clIS7_S7_SB_PlEESF_SV_SG_SH_SI_EUlSV_E0_NS1_11comp_targetILNS1_3genE4ELNS1_11target_archE910ELNS1_3gpuE8ELNS1_3repE0EEENS1_38merge_mergepath_config_static_selectorELNS0_4arch9wavefront6targetE1EEEvSH_
                                        ; -- End function
	.set _ZN7rocprim17ROCPRIM_400000_NS6detail17trampoline_kernelINS0_14default_configENS1_38merge_sort_block_merge_config_selectorIflEEZZNS1_27merge_sort_block_merge_implIS3_PfN6thrust23THRUST_200600_302600_NS10device_ptrIlEEjNS1_19radix_merge_compareILb0ELb0EfNS0_19identity_decomposerEEEEE10hipError_tT0_T1_T2_jT3_P12ihipStream_tbPNSt15iterator_traitsISG_E10value_typeEPNSM_ISH_E10value_typeEPSI_NS1_7vsmem_tEENKUlT_SG_SH_SI_E_clIS7_S7_SB_PlEESF_SV_SG_SH_SI_EUlSV_E0_NS1_11comp_targetILNS1_3genE4ELNS1_11target_archE910ELNS1_3gpuE8ELNS1_3repE0EEENS1_38merge_mergepath_config_static_selectorELNS0_4arch9wavefront6targetE1EEEvSH_.num_vgpr, 0
	.set _ZN7rocprim17ROCPRIM_400000_NS6detail17trampoline_kernelINS0_14default_configENS1_38merge_sort_block_merge_config_selectorIflEEZZNS1_27merge_sort_block_merge_implIS3_PfN6thrust23THRUST_200600_302600_NS10device_ptrIlEEjNS1_19radix_merge_compareILb0ELb0EfNS0_19identity_decomposerEEEEE10hipError_tT0_T1_T2_jT3_P12ihipStream_tbPNSt15iterator_traitsISG_E10value_typeEPNSM_ISH_E10value_typeEPSI_NS1_7vsmem_tEENKUlT_SG_SH_SI_E_clIS7_S7_SB_PlEESF_SV_SG_SH_SI_EUlSV_E0_NS1_11comp_targetILNS1_3genE4ELNS1_11target_archE910ELNS1_3gpuE8ELNS1_3repE0EEENS1_38merge_mergepath_config_static_selectorELNS0_4arch9wavefront6targetE1EEEvSH_.num_agpr, 0
	.set _ZN7rocprim17ROCPRIM_400000_NS6detail17trampoline_kernelINS0_14default_configENS1_38merge_sort_block_merge_config_selectorIflEEZZNS1_27merge_sort_block_merge_implIS3_PfN6thrust23THRUST_200600_302600_NS10device_ptrIlEEjNS1_19radix_merge_compareILb0ELb0EfNS0_19identity_decomposerEEEEE10hipError_tT0_T1_T2_jT3_P12ihipStream_tbPNSt15iterator_traitsISG_E10value_typeEPNSM_ISH_E10value_typeEPSI_NS1_7vsmem_tEENKUlT_SG_SH_SI_E_clIS7_S7_SB_PlEESF_SV_SG_SH_SI_EUlSV_E0_NS1_11comp_targetILNS1_3genE4ELNS1_11target_archE910ELNS1_3gpuE8ELNS1_3repE0EEENS1_38merge_mergepath_config_static_selectorELNS0_4arch9wavefront6targetE1EEEvSH_.numbered_sgpr, 0
	.set _ZN7rocprim17ROCPRIM_400000_NS6detail17trampoline_kernelINS0_14default_configENS1_38merge_sort_block_merge_config_selectorIflEEZZNS1_27merge_sort_block_merge_implIS3_PfN6thrust23THRUST_200600_302600_NS10device_ptrIlEEjNS1_19radix_merge_compareILb0ELb0EfNS0_19identity_decomposerEEEEE10hipError_tT0_T1_T2_jT3_P12ihipStream_tbPNSt15iterator_traitsISG_E10value_typeEPNSM_ISH_E10value_typeEPSI_NS1_7vsmem_tEENKUlT_SG_SH_SI_E_clIS7_S7_SB_PlEESF_SV_SG_SH_SI_EUlSV_E0_NS1_11comp_targetILNS1_3genE4ELNS1_11target_archE910ELNS1_3gpuE8ELNS1_3repE0EEENS1_38merge_mergepath_config_static_selectorELNS0_4arch9wavefront6targetE1EEEvSH_.num_named_barrier, 0
	.set _ZN7rocprim17ROCPRIM_400000_NS6detail17trampoline_kernelINS0_14default_configENS1_38merge_sort_block_merge_config_selectorIflEEZZNS1_27merge_sort_block_merge_implIS3_PfN6thrust23THRUST_200600_302600_NS10device_ptrIlEEjNS1_19radix_merge_compareILb0ELb0EfNS0_19identity_decomposerEEEEE10hipError_tT0_T1_T2_jT3_P12ihipStream_tbPNSt15iterator_traitsISG_E10value_typeEPNSM_ISH_E10value_typeEPSI_NS1_7vsmem_tEENKUlT_SG_SH_SI_E_clIS7_S7_SB_PlEESF_SV_SG_SH_SI_EUlSV_E0_NS1_11comp_targetILNS1_3genE4ELNS1_11target_archE910ELNS1_3gpuE8ELNS1_3repE0EEENS1_38merge_mergepath_config_static_selectorELNS0_4arch9wavefront6targetE1EEEvSH_.private_seg_size, 0
	.set _ZN7rocprim17ROCPRIM_400000_NS6detail17trampoline_kernelINS0_14default_configENS1_38merge_sort_block_merge_config_selectorIflEEZZNS1_27merge_sort_block_merge_implIS3_PfN6thrust23THRUST_200600_302600_NS10device_ptrIlEEjNS1_19radix_merge_compareILb0ELb0EfNS0_19identity_decomposerEEEEE10hipError_tT0_T1_T2_jT3_P12ihipStream_tbPNSt15iterator_traitsISG_E10value_typeEPNSM_ISH_E10value_typeEPSI_NS1_7vsmem_tEENKUlT_SG_SH_SI_E_clIS7_S7_SB_PlEESF_SV_SG_SH_SI_EUlSV_E0_NS1_11comp_targetILNS1_3genE4ELNS1_11target_archE910ELNS1_3gpuE8ELNS1_3repE0EEENS1_38merge_mergepath_config_static_selectorELNS0_4arch9wavefront6targetE1EEEvSH_.uses_vcc, 0
	.set _ZN7rocprim17ROCPRIM_400000_NS6detail17trampoline_kernelINS0_14default_configENS1_38merge_sort_block_merge_config_selectorIflEEZZNS1_27merge_sort_block_merge_implIS3_PfN6thrust23THRUST_200600_302600_NS10device_ptrIlEEjNS1_19radix_merge_compareILb0ELb0EfNS0_19identity_decomposerEEEEE10hipError_tT0_T1_T2_jT3_P12ihipStream_tbPNSt15iterator_traitsISG_E10value_typeEPNSM_ISH_E10value_typeEPSI_NS1_7vsmem_tEENKUlT_SG_SH_SI_E_clIS7_S7_SB_PlEESF_SV_SG_SH_SI_EUlSV_E0_NS1_11comp_targetILNS1_3genE4ELNS1_11target_archE910ELNS1_3gpuE8ELNS1_3repE0EEENS1_38merge_mergepath_config_static_selectorELNS0_4arch9wavefront6targetE1EEEvSH_.uses_flat_scratch, 0
	.set _ZN7rocprim17ROCPRIM_400000_NS6detail17trampoline_kernelINS0_14default_configENS1_38merge_sort_block_merge_config_selectorIflEEZZNS1_27merge_sort_block_merge_implIS3_PfN6thrust23THRUST_200600_302600_NS10device_ptrIlEEjNS1_19radix_merge_compareILb0ELb0EfNS0_19identity_decomposerEEEEE10hipError_tT0_T1_T2_jT3_P12ihipStream_tbPNSt15iterator_traitsISG_E10value_typeEPNSM_ISH_E10value_typeEPSI_NS1_7vsmem_tEENKUlT_SG_SH_SI_E_clIS7_S7_SB_PlEESF_SV_SG_SH_SI_EUlSV_E0_NS1_11comp_targetILNS1_3genE4ELNS1_11target_archE910ELNS1_3gpuE8ELNS1_3repE0EEENS1_38merge_mergepath_config_static_selectorELNS0_4arch9wavefront6targetE1EEEvSH_.has_dyn_sized_stack, 0
	.set _ZN7rocprim17ROCPRIM_400000_NS6detail17trampoline_kernelINS0_14default_configENS1_38merge_sort_block_merge_config_selectorIflEEZZNS1_27merge_sort_block_merge_implIS3_PfN6thrust23THRUST_200600_302600_NS10device_ptrIlEEjNS1_19radix_merge_compareILb0ELb0EfNS0_19identity_decomposerEEEEE10hipError_tT0_T1_T2_jT3_P12ihipStream_tbPNSt15iterator_traitsISG_E10value_typeEPNSM_ISH_E10value_typeEPSI_NS1_7vsmem_tEENKUlT_SG_SH_SI_E_clIS7_S7_SB_PlEESF_SV_SG_SH_SI_EUlSV_E0_NS1_11comp_targetILNS1_3genE4ELNS1_11target_archE910ELNS1_3gpuE8ELNS1_3repE0EEENS1_38merge_mergepath_config_static_selectorELNS0_4arch9wavefront6targetE1EEEvSH_.has_recursion, 0
	.set _ZN7rocprim17ROCPRIM_400000_NS6detail17trampoline_kernelINS0_14default_configENS1_38merge_sort_block_merge_config_selectorIflEEZZNS1_27merge_sort_block_merge_implIS3_PfN6thrust23THRUST_200600_302600_NS10device_ptrIlEEjNS1_19radix_merge_compareILb0ELb0EfNS0_19identity_decomposerEEEEE10hipError_tT0_T1_T2_jT3_P12ihipStream_tbPNSt15iterator_traitsISG_E10value_typeEPNSM_ISH_E10value_typeEPSI_NS1_7vsmem_tEENKUlT_SG_SH_SI_E_clIS7_S7_SB_PlEESF_SV_SG_SH_SI_EUlSV_E0_NS1_11comp_targetILNS1_3genE4ELNS1_11target_archE910ELNS1_3gpuE8ELNS1_3repE0EEENS1_38merge_mergepath_config_static_selectorELNS0_4arch9wavefront6targetE1EEEvSH_.has_indirect_call, 0
	.section	.AMDGPU.csdata,"",@progbits
; Kernel info:
; codeLenInByte = 0
; TotalNumSgprs: 4
; NumVgprs: 0
; ScratchSize: 0
; MemoryBound: 0
; FloatMode: 240
; IeeeMode: 1
; LDSByteSize: 0 bytes/workgroup (compile time only)
; SGPRBlocks: 0
; VGPRBlocks: 0
; NumSGPRsForWavesPerEU: 4
; NumVGPRsForWavesPerEU: 1
; Occupancy: 10
; WaveLimiterHint : 0
; COMPUTE_PGM_RSRC2:SCRATCH_EN: 0
; COMPUTE_PGM_RSRC2:USER_SGPR: 6
; COMPUTE_PGM_RSRC2:TRAP_HANDLER: 0
; COMPUTE_PGM_RSRC2:TGID_X_EN: 1
; COMPUTE_PGM_RSRC2:TGID_Y_EN: 0
; COMPUTE_PGM_RSRC2:TGID_Z_EN: 0
; COMPUTE_PGM_RSRC2:TIDIG_COMP_CNT: 0
	.section	.text._ZN7rocprim17ROCPRIM_400000_NS6detail17trampoline_kernelINS0_14default_configENS1_38merge_sort_block_merge_config_selectorIflEEZZNS1_27merge_sort_block_merge_implIS3_PfN6thrust23THRUST_200600_302600_NS10device_ptrIlEEjNS1_19radix_merge_compareILb0ELb0EfNS0_19identity_decomposerEEEEE10hipError_tT0_T1_T2_jT3_P12ihipStream_tbPNSt15iterator_traitsISG_E10value_typeEPNSM_ISH_E10value_typeEPSI_NS1_7vsmem_tEENKUlT_SG_SH_SI_E_clIS7_S7_SB_PlEESF_SV_SG_SH_SI_EUlSV_E0_NS1_11comp_targetILNS1_3genE3ELNS1_11target_archE908ELNS1_3gpuE7ELNS1_3repE0EEENS1_38merge_mergepath_config_static_selectorELNS0_4arch9wavefront6targetE1EEEvSH_,"axG",@progbits,_ZN7rocprim17ROCPRIM_400000_NS6detail17trampoline_kernelINS0_14default_configENS1_38merge_sort_block_merge_config_selectorIflEEZZNS1_27merge_sort_block_merge_implIS3_PfN6thrust23THRUST_200600_302600_NS10device_ptrIlEEjNS1_19radix_merge_compareILb0ELb0EfNS0_19identity_decomposerEEEEE10hipError_tT0_T1_T2_jT3_P12ihipStream_tbPNSt15iterator_traitsISG_E10value_typeEPNSM_ISH_E10value_typeEPSI_NS1_7vsmem_tEENKUlT_SG_SH_SI_E_clIS7_S7_SB_PlEESF_SV_SG_SH_SI_EUlSV_E0_NS1_11comp_targetILNS1_3genE3ELNS1_11target_archE908ELNS1_3gpuE7ELNS1_3repE0EEENS1_38merge_mergepath_config_static_selectorELNS0_4arch9wavefront6targetE1EEEvSH_,comdat
	.protected	_ZN7rocprim17ROCPRIM_400000_NS6detail17trampoline_kernelINS0_14default_configENS1_38merge_sort_block_merge_config_selectorIflEEZZNS1_27merge_sort_block_merge_implIS3_PfN6thrust23THRUST_200600_302600_NS10device_ptrIlEEjNS1_19radix_merge_compareILb0ELb0EfNS0_19identity_decomposerEEEEE10hipError_tT0_T1_T2_jT3_P12ihipStream_tbPNSt15iterator_traitsISG_E10value_typeEPNSM_ISH_E10value_typeEPSI_NS1_7vsmem_tEENKUlT_SG_SH_SI_E_clIS7_S7_SB_PlEESF_SV_SG_SH_SI_EUlSV_E0_NS1_11comp_targetILNS1_3genE3ELNS1_11target_archE908ELNS1_3gpuE7ELNS1_3repE0EEENS1_38merge_mergepath_config_static_selectorELNS0_4arch9wavefront6targetE1EEEvSH_ ; -- Begin function _ZN7rocprim17ROCPRIM_400000_NS6detail17trampoline_kernelINS0_14default_configENS1_38merge_sort_block_merge_config_selectorIflEEZZNS1_27merge_sort_block_merge_implIS3_PfN6thrust23THRUST_200600_302600_NS10device_ptrIlEEjNS1_19radix_merge_compareILb0ELb0EfNS0_19identity_decomposerEEEEE10hipError_tT0_T1_T2_jT3_P12ihipStream_tbPNSt15iterator_traitsISG_E10value_typeEPNSM_ISH_E10value_typeEPSI_NS1_7vsmem_tEENKUlT_SG_SH_SI_E_clIS7_S7_SB_PlEESF_SV_SG_SH_SI_EUlSV_E0_NS1_11comp_targetILNS1_3genE3ELNS1_11target_archE908ELNS1_3gpuE7ELNS1_3repE0EEENS1_38merge_mergepath_config_static_selectorELNS0_4arch9wavefront6targetE1EEEvSH_
	.globl	_ZN7rocprim17ROCPRIM_400000_NS6detail17trampoline_kernelINS0_14default_configENS1_38merge_sort_block_merge_config_selectorIflEEZZNS1_27merge_sort_block_merge_implIS3_PfN6thrust23THRUST_200600_302600_NS10device_ptrIlEEjNS1_19radix_merge_compareILb0ELb0EfNS0_19identity_decomposerEEEEE10hipError_tT0_T1_T2_jT3_P12ihipStream_tbPNSt15iterator_traitsISG_E10value_typeEPNSM_ISH_E10value_typeEPSI_NS1_7vsmem_tEENKUlT_SG_SH_SI_E_clIS7_S7_SB_PlEESF_SV_SG_SH_SI_EUlSV_E0_NS1_11comp_targetILNS1_3genE3ELNS1_11target_archE908ELNS1_3gpuE7ELNS1_3repE0EEENS1_38merge_mergepath_config_static_selectorELNS0_4arch9wavefront6targetE1EEEvSH_
	.p2align	8
	.type	_ZN7rocprim17ROCPRIM_400000_NS6detail17trampoline_kernelINS0_14default_configENS1_38merge_sort_block_merge_config_selectorIflEEZZNS1_27merge_sort_block_merge_implIS3_PfN6thrust23THRUST_200600_302600_NS10device_ptrIlEEjNS1_19radix_merge_compareILb0ELb0EfNS0_19identity_decomposerEEEEE10hipError_tT0_T1_T2_jT3_P12ihipStream_tbPNSt15iterator_traitsISG_E10value_typeEPNSM_ISH_E10value_typeEPSI_NS1_7vsmem_tEENKUlT_SG_SH_SI_E_clIS7_S7_SB_PlEESF_SV_SG_SH_SI_EUlSV_E0_NS1_11comp_targetILNS1_3genE3ELNS1_11target_archE908ELNS1_3gpuE7ELNS1_3repE0EEENS1_38merge_mergepath_config_static_selectorELNS0_4arch9wavefront6targetE1EEEvSH_,@function
_ZN7rocprim17ROCPRIM_400000_NS6detail17trampoline_kernelINS0_14default_configENS1_38merge_sort_block_merge_config_selectorIflEEZZNS1_27merge_sort_block_merge_implIS3_PfN6thrust23THRUST_200600_302600_NS10device_ptrIlEEjNS1_19radix_merge_compareILb0ELb0EfNS0_19identity_decomposerEEEEE10hipError_tT0_T1_T2_jT3_P12ihipStream_tbPNSt15iterator_traitsISG_E10value_typeEPNSM_ISH_E10value_typeEPSI_NS1_7vsmem_tEENKUlT_SG_SH_SI_E_clIS7_S7_SB_PlEESF_SV_SG_SH_SI_EUlSV_E0_NS1_11comp_targetILNS1_3genE3ELNS1_11target_archE908ELNS1_3gpuE7ELNS1_3repE0EEENS1_38merge_mergepath_config_static_selectorELNS0_4arch9wavefront6targetE1EEEvSH_: ; @_ZN7rocprim17ROCPRIM_400000_NS6detail17trampoline_kernelINS0_14default_configENS1_38merge_sort_block_merge_config_selectorIflEEZZNS1_27merge_sort_block_merge_implIS3_PfN6thrust23THRUST_200600_302600_NS10device_ptrIlEEjNS1_19radix_merge_compareILb0ELb0EfNS0_19identity_decomposerEEEEE10hipError_tT0_T1_T2_jT3_P12ihipStream_tbPNSt15iterator_traitsISG_E10value_typeEPNSM_ISH_E10value_typeEPSI_NS1_7vsmem_tEENKUlT_SG_SH_SI_E_clIS7_S7_SB_PlEESF_SV_SG_SH_SI_EUlSV_E0_NS1_11comp_targetILNS1_3genE3ELNS1_11target_archE908ELNS1_3gpuE7ELNS1_3repE0EEENS1_38merge_mergepath_config_static_selectorELNS0_4arch9wavefront6targetE1EEEvSH_
; %bb.0:
	.section	.rodata,"a",@progbits
	.p2align	6, 0x0
	.amdhsa_kernel _ZN7rocprim17ROCPRIM_400000_NS6detail17trampoline_kernelINS0_14default_configENS1_38merge_sort_block_merge_config_selectorIflEEZZNS1_27merge_sort_block_merge_implIS3_PfN6thrust23THRUST_200600_302600_NS10device_ptrIlEEjNS1_19radix_merge_compareILb0ELb0EfNS0_19identity_decomposerEEEEE10hipError_tT0_T1_T2_jT3_P12ihipStream_tbPNSt15iterator_traitsISG_E10value_typeEPNSM_ISH_E10value_typeEPSI_NS1_7vsmem_tEENKUlT_SG_SH_SI_E_clIS7_S7_SB_PlEESF_SV_SG_SH_SI_EUlSV_E0_NS1_11comp_targetILNS1_3genE3ELNS1_11target_archE908ELNS1_3gpuE7ELNS1_3repE0EEENS1_38merge_mergepath_config_static_selectorELNS0_4arch9wavefront6targetE1EEEvSH_
		.amdhsa_group_segment_fixed_size 0
		.amdhsa_private_segment_fixed_size 0
		.amdhsa_kernarg_size 64
		.amdhsa_user_sgpr_count 6
		.amdhsa_user_sgpr_private_segment_buffer 1
		.amdhsa_user_sgpr_dispatch_ptr 0
		.amdhsa_user_sgpr_queue_ptr 0
		.amdhsa_user_sgpr_kernarg_segment_ptr 1
		.amdhsa_user_sgpr_dispatch_id 0
		.amdhsa_user_sgpr_flat_scratch_init 0
		.amdhsa_user_sgpr_private_segment_size 0
		.amdhsa_uses_dynamic_stack 0
		.amdhsa_system_sgpr_private_segment_wavefront_offset 0
		.amdhsa_system_sgpr_workgroup_id_x 1
		.amdhsa_system_sgpr_workgroup_id_y 0
		.amdhsa_system_sgpr_workgroup_id_z 0
		.amdhsa_system_sgpr_workgroup_info 0
		.amdhsa_system_vgpr_workitem_id 0
		.amdhsa_next_free_vgpr 1
		.amdhsa_next_free_sgpr 0
		.amdhsa_reserve_vcc 0
		.amdhsa_reserve_flat_scratch 0
		.amdhsa_float_round_mode_32 0
		.amdhsa_float_round_mode_16_64 0
		.amdhsa_float_denorm_mode_32 3
		.amdhsa_float_denorm_mode_16_64 3
		.amdhsa_dx10_clamp 1
		.amdhsa_ieee_mode 1
		.amdhsa_fp16_overflow 0
		.amdhsa_exception_fp_ieee_invalid_op 0
		.amdhsa_exception_fp_denorm_src 0
		.amdhsa_exception_fp_ieee_div_zero 0
		.amdhsa_exception_fp_ieee_overflow 0
		.amdhsa_exception_fp_ieee_underflow 0
		.amdhsa_exception_fp_ieee_inexact 0
		.amdhsa_exception_int_div_zero 0
	.end_amdhsa_kernel
	.section	.text._ZN7rocprim17ROCPRIM_400000_NS6detail17trampoline_kernelINS0_14default_configENS1_38merge_sort_block_merge_config_selectorIflEEZZNS1_27merge_sort_block_merge_implIS3_PfN6thrust23THRUST_200600_302600_NS10device_ptrIlEEjNS1_19radix_merge_compareILb0ELb0EfNS0_19identity_decomposerEEEEE10hipError_tT0_T1_T2_jT3_P12ihipStream_tbPNSt15iterator_traitsISG_E10value_typeEPNSM_ISH_E10value_typeEPSI_NS1_7vsmem_tEENKUlT_SG_SH_SI_E_clIS7_S7_SB_PlEESF_SV_SG_SH_SI_EUlSV_E0_NS1_11comp_targetILNS1_3genE3ELNS1_11target_archE908ELNS1_3gpuE7ELNS1_3repE0EEENS1_38merge_mergepath_config_static_selectorELNS0_4arch9wavefront6targetE1EEEvSH_,"axG",@progbits,_ZN7rocprim17ROCPRIM_400000_NS6detail17trampoline_kernelINS0_14default_configENS1_38merge_sort_block_merge_config_selectorIflEEZZNS1_27merge_sort_block_merge_implIS3_PfN6thrust23THRUST_200600_302600_NS10device_ptrIlEEjNS1_19radix_merge_compareILb0ELb0EfNS0_19identity_decomposerEEEEE10hipError_tT0_T1_T2_jT3_P12ihipStream_tbPNSt15iterator_traitsISG_E10value_typeEPNSM_ISH_E10value_typeEPSI_NS1_7vsmem_tEENKUlT_SG_SH_SI_E_clIS7_S7_SB_PlEESF_SV_SG_SH_SI_EUlSV_E0_NS1_11comp_targetILNS1_3genE3ELNS1_11target_archE908ELNS1_3gpuE7ELNS1_3repE0EEENS1_38merge_mergepath_config_static_selectorELNS0_4arch9wavefront6targetE1EEEvSH_,comdat
.Lfunc_end1796:
	.size	_ZN7rocprim17ROCPRIM_400000_NS6detail17trampoline_kernelINS0_14default_configENS1_38merge_sort_block_merge_config_selectorIflEEZZNS1_27merge_sort_block_merge_implIS3_PfN6thrust23THRUST_200600_302600_NS10device_ptrIlEEjNS1_19radix_merge_compareILb0ELb0EfNS0_19identity_decomposerEEEEE10hipError_tT0_T1_T2_jT3_P12ihipStream_tbPNSt15iterator_traitsISG_E10value_typeEPNSM_ISH_E10value_typeEPSI_NS1_7vsmem_tEENKUlT_SG_SH_SI_E_clIS7_S7_SB_PlEESF_SV_SG_SH_SI_EUlSV_E0_NS1_11comp_targetILNS1_3genE3ELNS1_11target_archE908ELNS1_3gpuE7ELNS1_3repE0EEENS1_38merge_mergepath_config_static_selectorELNS0_4arch9wavefront6targetE1EEEvSH_, .Lfunc_end1796-_ZN7rocprim17ROCPRIM_400000_NS6detail17trampoline_kernelINS0_14default_configENS1_38merge_sort_block_merge_config_selectorIflEEZZNS1_27merge_sort_block_merge_implIS3_PfN6thrust23THRUST_200600_302600_NS10device_ptrIlEEjNS1_19radix_merge_compareILb0ELb0EfNS0_19identity_decomposerEEEEE10hipError_tT0_T1_T2_jT3_P12ihipStream_tbPNSt15iterator_traitsISG_E10value_typeEPNSM_ISH_E10value_typeEPSI_NS1_7vsmem_tEENKUlT_SG_SH_SI_E_clIS7_S7_SB_PlEESF_SV_SG_SH_SI_EUlSV_E0_NS1_11comp_targetILNS1_3genE3ELNS1_11target_archE908ELNS1_3gpuE7ELNS1_3repE0EEENS1_38merge_mergepath_config_static_selectorELNS0_4arch9wavefront6targetE1EEEvSH_
                                        ; -- End function
	.set _ZN7rocprim17ROCPRIM_400000_NS6detail17trampoline_kernelINS0_14default_configENS1_38merge_sort_block_merge_config_selectorIflEEZZNS1_27merge_sort_block_merge_implIS3_PfN6thrust23THRUST_200600_302600_NS10device_ptrIlEEjNS1_19radix_merge_compareILb0ELb0EfNS0_19identity_decomposerEEEEE10hipError_tT0_T1_T2_jT3_P12ihipStream_tbPNSt15iterator_traitsISG_E10value_typeEPNSM_ISH_E10value_typeEPSI_NS1_7vsmem_tEENKUlT_SG_SH_SI_E_clIS7_S7_SB_PlEESF_SV_SG_SH_SI_EUlSV_E0_NS1_11comp_targetILNS1_3genE3ELNS1_11target_archE908ELNS1_3gpuE7ELNS1_3repE0EEENS1_38merge_mergepath_config_static_selectorELNS0_4arch9wavefront6targetE1EEEvSH_.num_vgpr, 0
	.set _ZN7rocprim17ROCPRIM_400000_NS6detail17trampoline_kernelINS0_14default_configENS1_38merge_sort_block_merge_config_selectorIflEEZZNS1_27merge_sort_block_merge_implIS3_PfN6thrust23THRUST_200600_302600_NS10device_ptrIlEEjNS1_19radix_merge_compareILb0ELb0EfNS0_19identity_decomposerEEEEE10hipError_tT0_T1_T2_jT3_P12ihipStream_tbPNSt15iterator_traitsISG_E10value_typeEPNSM_ISH_E10value_typeEPSI_NS1_7vsmem_tEENKUlT_SG_SH_SI_E_clIS7_S7_SB_PlEESF_SV_SG_SH_SI_EUlSV_E0_NS1_11comp_targetILNS1_3genE3ELNS1_11target_archE908ELNS1_3gpuE7ELNS1_3repE0EEENS1_38merge_mergepath_config_static_selectorELNS0_4arch9wavefront6targetE1EEEvSH_.num_agpr, 0
	.set _ZN7rocprim17ROCPRIM_400000_NS6detail17trampoline_kernelINS0_14default_configENS1_38merge_sort_block_merge_config_selectorIflEEZZNS1_27merge_sort_block_merge_implIS3_PfN6thrust23THRUST_200600_302600_NS10device_ptrIlEEjNS1_19radix_merge_compareILb0ELb0EfNS0_19identity_decomposerEEEEE10hipError_tT0_T1_T2_jT3_P12ihipStream_tbPNSt15iterator_traitsISG_E10value_typeEPNSM_ISH_E10value_typeEPSI_NS1_7vsmem_tEENKUlT_SG_SH_SI_E_clIS7_S7_SB_PlEESF_SV_SG_SH_SI_EUlSV_E0_NS1_11comp_targetILNS1_3genE3ELNS1_11target_archE908ELNS1_3gpuE7ELNS1_3repE0EEENS1_38merge_mergepath_config_static_selectorELNS0_4arch9wavefront6targetE1EEEvSH_.numbered_sgpr, 0
	.set _ZN7rocprim17ROCPRIM_400000_NS6detail17trampoline_kernelINS0_14default_configENS1_38merge_sort_block_merge_config_selectorIflEEZZNS1_27merge_sort_block_merge_implIS3_PfN6thrust23THRUST_200600_302600_NS10device_ptrIlEEjNS1_19radix_merge_compareILb0ELb0EfNS0_19identity_decomposerEEEEE10hipError_tT0_T1_T2_jT3_P12ihipStream_tbPNSt15iterator_traitsISG_E10value_typeEPNSM_ISH_E10value_typeEPSI_NS1_7vsmem_tEENKUlT_SG_SH_SI_E_clIS7_S7_SB_PlEESF_SV_SG_SH_SI_EUlSV_E0_NS1_11comp_targetILNS1_3genE3ELNS1_11target_archE908ELNS1_3gpuE7ELNS1_3repE0EEENS1_38merge_mergepath_config_static_selectorELNS0_4arch9wavefront6targetE1EEEvSH_.num_named_barrier, 0
	.set _ZN7rocprim17ROCPRIM_400000_NS6detail17trampoline_kernelINS0_14default_configENS1_38merge_sort_block_merge_config_selectorIflEEZZNS1_27merge_sort_block_merge_implIS3_PfN6thrust23THRUST_200600_302600_NS10device_ptrIlEEjNS1_19radix_merge_compareILb0ELb0EfNS0_19identity_decomposerEEEEE10hipError_tT0_T1_T2_jT3_P12ihipStream_tbPNSt15iterator_traitsISG_E10value_typeEPNSM_ISH_E10value_typeEPSI_NS1_7vsmem_tEENKUlT_SG_SH_SI_E_clIS7_S7_SB_PlEESF_SV_SG_SH_SI_EUlSV_E0_NS1_11comp_targetILNS1_3genE3ELNS1_11target_archE908ELNS1_3gpuE7ELNS1_3repE0EEENS1_38merge_mergepath_config_static_selectorELNS0_4arch9wavefront6targetE1EEEvSH_.private_seg_size, 0
	.set _ZN7rocprim17ROCPRIM_400000_NS6detail17trampoline_kernelINS0_14default_configENS1_38merge_sort_block_merge_config_selectorIflEEZZNS1_27merge_sort_block_merge_implIS3_PfN6thrust23THRUST_200600_302600_NS10device_ptrIlEEjNS1_19radix_merge_compareILb0ELb0EfNS0_19identity_decomposerEEEEE10hipError_tT0_T1_T2_jT3_P12ihipStream_tbPNSt15iterator_traitsISG_E10value_typeEPNSM_ISH_E10value_typeEPSI_NS1_7vsmem_tEENKUlT_SG_SH_SI_E_clIS7_S7_SB_PlEESF_SV_SG_SH_SI_EUlSV_E0_NS1_11comp_targetILNS1_3genE3ELNS1_11target_archE908ELNS1_3gpuE7ELNS1_3repE0EEENS1_38merge_mergepath_config_static_selectorELNS0_4arch9wavefront6targetE1EEEvSH_.uses_vcc, 0
	.set _ZN7rocprim17ROCPRIM_400000_NS6detail17trampoline_kernelINS0_14default_configENS1_38merge_sort_block_merge_config_selectorIflEEZZNS1_27merge_sort_block_merge_implIS3_PfN6thrust23THRUST_200600_302600_NS10device_ptrIlEEjNS1_19radix_merge_compareILb0ELb0EfNS0_19identity_decomposerEEEEE10hipError_tT0_T1_T2_jT3_P12ihipStream_tbPNSt15iterator_traitsISG_E10value_typeEPNSM_ISH_E10value_typeEPSI_NS1_7vsmem_tEENKUlT_SG_SH_SI_E_clIS7_S7_SB_PlEESF_SV_SG_SH_SI_EUlSV_E0_NS1_11comp_targetILNS1_3genE3ELNS1_11target_archE908ELNS1_3gpuE7ELNS1_3repE0EEENS1_38merge_mergepath_config_static_selectorELNS0_4arch9wavefront6targetE1EEEvSH_.uses_flat_scratch, 0
	.set _ZN7rocprim17ROCPRIM_400000_NS6detail17trampoline_kernelINS0_14default_configENS1_38merge_sort_block_merge_config_selectorIflEEZZNS1_27merge_sort_block_merge_implIS3_PfN6thrust23THRUST_200600_302600_NS10device_ptrIlEEjNS1_19radix_merge_compareILb0ELb0EfNS0_19identity_decomposerEEEEE10hipError_tT0_T1_T2_jT3_P12ihipStream_tbPNSt15iterator_traitsISG_E10value_typeEPNSM_ISH_E10value_typeEPSI_NS1_7vsmem_tEENKUlT_SG_SH_SI_E_clIS7_S7_SB_PlEESF_SV_SG_SH_SI_EUlSV_E0_NS1_11comp_targetILNS1_3genE3ELNS1_11target_archE908ELNS1_3gpuE7ELNS1_3repE0EEENS1_38merge_mergepath_config_static_selectorELNS0_4arch9wavefront6targetE1EEEvSH_.has_dyn_sized_stack, 0
	.set _ZN7rocprim17ROCPRIM_400000_NS6detail17trampoline_kernelINS0_14default_configENS1_38merge_sort_block_merge_config_selectorIflEEZZNS1_27merge_sort_block_merge_implIS3_PfN6thrust23THRUST_200600_302600_NS10device_ptrIlEEjNS1_19radix_merge_compareILb0ELb0EfNS0_19identity_decomposerEEEEE10hipError_tT0_T1_T2_jT3_P12ihipStream_tbPNSt15iterator_traitsISG_E10value_typeEPNSM_ISH_E10value_typeEPSI_NS1_7vsmem_tEENKUlT_SG_SH_SI_E_clIS7_S7_SB_PlEESF_SV_SG_SH_SI_EUlSV_E0_NS1_11comp_targetILNS1_3genE3ELNS1_11target_archE908ELNS1_3gpuE7ELNS1_3repE0EEENS1_38merge_mergepath_config_static_selectorELNS0_4arch9wavefront6targetE1EEEvSH_.has_recursion, 0
	.set _ZN7rocprim17ROCPRIM_400000_NS6detail17trampoline_kernelINS0_14default_configENS1_38merge_sort_block_merge_config_selectorIflEEZZNS1_27merge_sort_block_merge_implIS3_PfN6thrust23THRUST_200600_302600_NS10device_ptrIlEEjNS1_19radix_merge_compareILb0ELb0EfNS0_19identity_decomposerEEEEE10hipError_tT0_T1_T2_jT3_P12ihipStream_tbPNSt15iterator_traitsISG_E10value_typeEPNSM_ISH_E10value_typeEPSI_NS1_7vsmem_tEENKUlT_SG_SH_SI_E_clIS7_S7_SB_PlEESF_SV_SG_SH_SI_EUlSV_E0_NS1_11comp_targetILNS1_3genE3ELNS1_11target_archE908ELNS1_3gpuE7ELNS1_3repE0EEENS1_38merge_mergepath_config_static_selectorELNS0_4arch9wavefront6targetE1EEEvSH_.has_indirect_call, 0
	.section	.AMDGPU.csdata,"",@progbits
; Kernel info:
; codeLenInByte = 0
; TotalNumSgprs: 4
; NumVgprs: 0
; ScratchSize: 0
; MemoryBound: 0
; FloatMode: 240
; IeeeMode: 1
; LDSByteSize: 0 bytes/workgroup (compile time only)
; SGPRBlocks: 0
; VGPRBlocks: 0
; NumSGPRsForWavesPerEU: 4
; NumVGPRsForWavesPerEU: 1
; Occupancy: 10
; WaveLimiterHint : 0
; COMPUTE_PGM_RSRC2:SCRATCH_EN: 0
; COMPUTE_PGM_RSRC2:USER_SGPR: 6
; COMPUTE_PGM_RSRC2:TRAP_HANDLER: 0
; COMPUTE_PGM_RSRC2:TGID_X_EN: 1
; COMPUTE_PGM_RSRC2:TGID_Y_EN: 0
; COMPUTE_PGM_RSRC2:TGID_Z_EN: 0
; COMPUTE_PGM_RSRC2:TIDIG_COMP_CNT: 0
	.section	.text._ZN7rocprim17ROCPRIM_400000_NS6detail17trampoline_kernelINS0_14default_configENS1_38merge_sort_block_merge_config_selectorIflEEZZNS1_27merge_sort_block_merge_implIS3_PfN6thrust23THRUST_200600_302600_NS10device_ptrIlEEjNS1_19radix_merge_compareILb0ELb0EfNS0_19identity_decomposerEEEEE10hipError_tT0_T1_T2_jT3_P12ihipStream_tbPNSt15iterator_traitsISG_E10value_typeEPNSM_ISH_E10value_typeEPSI_NS1_7vsmem_tEENKUlT_SG_SH_SI_E_clIS7_S7_SB_PlEESF_SV_SG_SH_SI_EUlSV_E0_NS1_11comp_targetILNS1_3genE2ELNS1_11target_archE906ELNS1_3gpuE6ELNS1_3repE0EEENS1_38merge_mergepath_config_static_selectorELNS0_4arch9wavefront6targetE1EEEvSH_,"axG",@progbits,_ZN7rocprim17ROCPRIM_400000_NS6detail17trampoline_kernelINS0_14default_configENS1_38merge_sort_block_merge_config_selectorIflEEZZNS1_27merge_sort_block_merge_implIS3_PfN6thrust23THRUST_200600_302600_NS10device_ptrIlEEjNS1_19radix_merge_compareILb0ELb0EfNS0_19identity_decomposerEEEEE10hipError_tT0_T1_T2_jT3_P12ihipStream_tbPNSt15iterator_traitsISG_E10value_typeEPNSM_ISH_E10value_typeEPSI_NS1_7vsmem_tEENKUlT_SG_SH_SI_E_clIS7_S7_SB_PlEESF_SV_SG_SH_SI_EUlSV_E0_NS1_11comp_targetILNS1_3genE2ELNS1_11target_archE906ELNS1_3gpuE6ELNS1_3repE0EEENS1_38merge_mergepath_config_static_selectorELNS0_4arch9wavefront6targetE1EEEvSH_,comdat
	.protected	_ZN7rocprim17ROCPRIM_400000_NS6detail17trampoline_kernelINS0_14default_configENS1_38merge_sort_block_merge_config_selectorIflEEZZNS1_27merge_sort_block_merge_implIS3_PfN6thrust23THRUST_200600_302600_NS10device_ptrIlEEjNS1_19radix_merge_compareILb0ELb0EfNS0_19identity_decomposerEEEEE10hipError_tT0_T1_T2_jT3_P12ihipStream_tbPNSt15iterator_traitsISG_E10value_typeEPNSM_ISH_E10value_typeEPSI_NS1_7vsmem_tEENKUlT_SG_SH_SI_E_clIS7_S7_SB_PlEESF_SV_SG_SH_SI_EUlSV_E0_NS1_11comp_targetILNS1_3genE2ELNS1_11target_archE906ELNS1_3gpuE6ELNS1_3repE0EEENS1_38merge_mergepath_config_static_selectorELNS0_4arch9wavefront6targetE1EEEvSH_ ; -- Begin function _ZN7rocprim17ROCPRIM_400000_NS6detail17trampoline_kernelINS0_14default_configENS1_38merge_sort_block_merge_config_selectorIflEEZZNS1_27merge_sort_block_merge_implIS3_PfN6thrust23THRUST_200600_302600_NS10device_ptrIlEEjNS1_19radix_merge_compareILb0ELb0EfNS0_19identity_decomposerEEEEE10hipError_tT0_T1_T2_jT3_P12ihipStream_tbPNSt15iterator_traitsISG_E10value_typeEPNSM_ISH_E10value_typeEPSI_NS1_7vsmem_tEENKUlT_SG_SH_SI_E_clIS7_S7_SB_PlEESF_SV_SG_SH_SI_EUlSV_E0_NS1_11comp_targetILNS1_3genE2ELNS1_11target_archE906ELNS1_3gpuE6ELNS1_3repE0EEENS1_38merge_mergepath_config_static_selectorELNS0_4arch9wavefront6targetE1EEEvSH_
	.globl	_ZN7rocprim17ROCPRIM_400000_NS6detail17trampoline_kernelINS0_14default_configENS1_38merge_sort_block_merge_config_selectorIflEEZZNS1_27merge_sort_block_merge_implIS3_PfN6thrust23THRUST_200600_302600_NS10device_ptrIlEEjNS1_19radix_merge_compareILb0ELb0EfNS0_19identity_decomposerEEEEE10hipError_tT0_T1_T2_jT3_P12ihipStream_tbPNSt15iterator_traitsISG_E10value_typeEPNSM_ISH_E10value_typeEPSI_NS1_7vsmem_tEENKUlT_SG_SH_SI_E_clIS7_S7_SB_PlEESF_SV_SG_SH_SI_EUlSV_E0_NS1_11comp_targetILNS1_3genE2ELNS1_11target_archE906ELNS1_3gpuE6ELNS1_3repE0EEENS1_38merge_mergepath_config_static_selectorELNS0_4arch9wavefront6targetE1EEEvSH_
	.p2align	8
	.type	_ZN7rocprim17ROCPRIM_400000_NS6detail17trampoline_kernelINS0_14default_configENS1_38merge_sort_block_merge_config_selectorIflEEZZNS1_27merge_sort_block_merge_implIS3_PfN6thrust23THRUST_200600_302600_NS10device_ptrIlEEjNS1_19radix_merge_compareILb0ELb0EfNS0_19identity_decomposerEEEEE10hipError_tT0_T1_T2_jT3_P12ihipStream_tbPNSt15iterator_traitsISG_E10value_typeEPNSM_ISH_E10value_typeEPSI_NS1_7vsmem_tEENKUlT_SG_SH_SI_E_clIS7_S7_SB_PlEESF_SV_SG_SH_SI_EUlSV_E0_NS1_11comp_targetILNS1_3genE2ELNS1_11target_archE906ELNS1_3gpuE6ELNS1_3repE0EEENS1_38merge_mergepath_config_static_selectorELNS0_4arch9wavefront6targetE1EEEvSH_,@function
_ZN7rocprim17ROCPRIM_400000_NS6detail17trampoline_kernelINS0_14default_configENS1_38merge_sort_block_merge_config_selectorIflEEZZNS1_27merge_sort_block_merge_implIS3_PfN6thrust23THRUST_200600_302600_NS10device_ptrIlEEjNS1_19radix_merge_compareILb0ELb0EfNS0_19identity_decomposerEEEEE10hipError_tT0_T1_T2_jT3_P12ihipStream_tbPNSt15iterator_traitsISG_E10value_typeEPNSM_ISH_E10value_typeEPSI_NS1_7vsmem_tEENKUlT_SG_SH_SI_E_clIS7_S7_SB_PlEESF_SV_SG_SH_SI_EUlSV_E0_NS1_11comp_targetILNS1_3genE2ELNS1_11target_archE906ELNS1_3gpuE6ELNS1_3repE0EEENS1_38merge_mergepath_config_static_selectorELNS0_4arch9wavefront6targetE1EEEvSH_: ; @_ZN7rocprim17ROCPRIM_400000_NS6detail17trampoline_kernelINS0_14default_configENS1_38merge_sort_block_merge_config_selectorIflEEZZNS1_27merge_sort_block_merge_implIS3_PfN6thrust23THRUST_200600_302600_NS10device_ptrIlEEjNS1_19radix_merge_compareILb0ELb0EfNS0_19identity_decomposerEEEEE10hipError_tT0_T1_T2_jT3_P12ihipStream_tbPNSt15iterator_traitsISG_E10value_typeEPNSM_ISH_E10value_typeEPSI_NS1_7vsmem_tEENKUlT_SG_SH_SI_E_clIS7_S7_SB_PlEESF_SV_SG_SH_SI_EUlSV_E0_NS1_11comp_targetILNS1_3genE2ELNS1_11target_archE906ELNS1_3gpuE6ELNS1_3repE0EEENS1_38merge_mergepath_config_static_selectorELNS0_4arch9wavefront6targetE1EEEvSH_
; %bb.0:
	s_load_dwordx2 s[22:23], s[4:5], 0x40
	s_load_dword s1, s[4:5], 0x30
	s_add_u32 s20, s4, 64
	s_addc_u32 s21, s5, 0
	s_waitcnt lgkmcnt(0)
	s_mul_i32 s0, s23, s8
	s_add_i32 s0, s0, s7
	s_mul_i32 s0, s0, s22
	s_add_i32 s0, s0, s6
	s_cmp_ge_u32 s0, s1
	s_cbranch_scc1 .LBB1797_60
; %bb.1:
	s_load_dwordx8 s[8:15], s[4:5], 0x10
	s_load_dwordx2 s[26:27], s[4:5], 0x8
	s_load_dwordx2 s[16:17], s[4:5], 0x38
	s_mov_b32 s1, 0
	v_mov_b32_e32 v2, 0
	s_waitcnt lgkmcnt(0)
	s_lshr_b32 s30, s14, 10
	s_cmp_lg_u32 s0, s30
	s_cselect_b64 s[2:3], -1, 0
	s_lshl_b64 s[4:5], s[0:1], 2
	s_add_u32 s16, s16, s4
	s_addc_u32 s17, s17, s5
	s_lshr_b32 s7, s15, 9
	s_and_b32 s7, s7, 0x7ffffe
	s_load_dwordx2 s[4:5], s[16:17], 0x0
	s_sub_i32 s7, 0, s7
	s_and_b32 s17, s0, s7
	s_lshl_b32 s19, s17, 10
	s_lshl_b32 s16, s0, 10
	;; [unrolled: 1-line block ×3, first 2 shown]
	s_sub_i32 s18, s16, s19
	s_add_i32 s17, s17, s15
	s_add_i32 s23, s17, s18
	s_waitcnt lgkmcnt(0)
	s_sub_i32 s18, s23, s4
	s_sub_i32 s23, s23, s5
	;; [unrolled: 1-line block ×3, first 2 shown]
	s_min_u32 s18, s14, s18
	s_addk_i32 s23, 0x400
	s_or_b32 s7, s0, s7
	s_min_u32 s19, s14, s17
	s_add_i32 s17, s17, s15
	s_cmp_eq_u32 s7, -1
	s_cselect_b32 s5, s19, s5
	s_cselect_b32 s7, s17, s23
	s_sub_i32 s15, s5, s4
	s_mov_b32 s5, s1
	s_min_u32 s17, s7, s14
	s_lshl_b64 s[24:25], s[4:5], 2
	s_add_u32 s24, s26, s24
	s_mov_b32 s19, s1
	s_addc_u32 s25, s27, s25
	s_lshl_b64 s[28:29], s[18:19], 2
	s_add_u32 s23, s26, s28
	global_load_dword v1, v2, s[20:21] offset:14
	s_addc_u32 s26, s27, s29
	s_cmp_lt_u32 s6, s22
	s_cselect_b32 s1, 12, 18
	s_add_u32 s6, s20, s1
	s_addc_u32 s7, s21, 0
	global_load_ushort v3, v2, s[6:7]
	s_cmp_eq_u32 s0, s30
	v_lshlrev_b32_e32 v17, 2, v0
	s_waitcnt vmcnt(1)
	v_lshrrev_b32_e32 v4, 16, v1
	v_and_b32_e32 v1, 0xffff, v1
	v_mul_lo_u32 v1, v1, v4
	s_waitcnt vmcnt(0)
	v_mul_lo_u32 v19, v1, v3
	v_add_u32_e32 v15, v19, v0
	v_add_u32_e32 v13, v15, v19
	s_cbranch_scc1 .LBB1797_3
; %bb.2:
	v_mov_b32_e32 v1, s25
	v_add_co_u32_e32 v5, vcc, s24, v17
	v_addc_co_u32_e32 v6, vcc, 0, v1, vcc
	v_subrev_co_u32_e32 v1, vcc, s15, v0
	v_lshlrev_b64 v[3:4], 2, v[1:2]
	v_mov_b32_e32 v1, s26
	v_add_co_u32_e64 v3, s[0:1], s23, v3
	v_addc_co_u32_e64 v1, s[0:1], v1, v4, s[0:1]
	v_cndmask_b32_e32 v4, v1, v6, vcc
	v_cndmask_b32_e32 v3, v3, v5, vcc
	v_mov_b32_e32 v16, v2
	global_load_dword v9, v[3:4], off
	v_lshlrev_b64 v[3:4], 2, v[15:16]
	v_mov_b32_e32 v1, s25
	v_add_co_u32_e32 v5, vcc, s24, v3
	v_addc_co_u32_e32 v6, vcc, v1, v4, vcc
	v_subrev_co_u32_e32 v1, vcc, s15, v15
	v_lshlrev_b64 v[3:4], 2, v[1:2]
	v_mov_b32_e32 v1, s26
	v_add_co_u32_e64 v3, s[0:1], s23, v3
	v_addc_co_u32_e64 v1, s[0:1], v1, v4, s[0:1]
	v_cndmask_b32_e32 v4, v1, v6, vcc
	v_cndmask_b32_e32 v3, v3, v5, vcc
	v_mov_b32_e32 v14, v2
	global_load_dword v10, v[3:4], off
	v_lshlrev_b64 v[3:4], 2, v[13:14]
	v_mov_b32_e32 v1, s25
	v_add_co_u32_e32 v3, vcc, s24, v3
	v_addc_co_u32_e32 v4, vcc, v1, v4, vcc
	v_subrev_co_u32_e32 v1, vcc, s15, v13
	v_lshlrev_b64 v[1:2], 2, v[1:2]
	v_mov_b32_e32 v5, s26
	v_add_co_u32_e64 v1, s[0:1], s23, v1
	v_addc_co_u32_e64 v2, s[0:1], v5, v2, s[0:1]
	v_cndmask_b32_e32 v2, v2, v4, vcc
	v_cndmask_b32_e32 v1, v1, v3, vcc
	global_load_dword v11, v[1:2], off
	v_add_u32_e32 v1, v13, v19
	s_mov_b64 s[0:1], -1
	s_sub_i32 s17, s17, s18
	s_cbranch_execz .LBB1797_4
	s_branch .LBB1797_9
.LBB1797_3:
	s_mov_b64 s[0:1], 0
                                        ; implicit-def: $vgpr1
                                        ; implicit-def: $vgpr9_vgpr10_vgpr11_vgpr12
	s_sub_i32 s17, s17, s18
.LBB1797_4:
	s_add_i32 s20, s17, s15
	s_waitcnt vmcnt(2)
	v_mov_b32_e32 v9, 0
	v_cmp_gt_u32_e32 vcc, s20, v0
	s_waitcnt vmcnt(1)
	v_mov_b32_e32 v10, v9
	s_waitcnt vmcnt(0)
	v_mov_b32_e32 v11, v9
	v_mov_b32_e32 v12, v9
	s_and_saveexec_b64 s[6:7], vcc
	s_cbranch_execnz .LBB1797_61
; %bb.5:
	s_or_b64 exec, exec, s[6:7]
	v_cmp_gt_u32_e32 vcc, s20, v15
	s_and_saveexec_b64 s[6:7], vcc
	s_cbranch_execnz .LBB1797_62
.LBB1797_6:
	s_or_b64 exec, exec, s[6:7]
	v_cmp_gt_u32_e32 vcc, s20, v13
	s_and_saveexec_b64 s[6:7], vcc
	s_cbranch_execz .LBB1797_8
.LBB1797_7:
	v_mov_b32_e32 v14, 0
	v_lshlrev_b64 v[1:2], 2, v[13:14]
	v_mov_b32_e32 v3, s25
	v_add_co_u32_e32 v4, vcc, s24, v1
	v_addc_co_u32_e32 v3, vcc, v3, v2, vcc
	v_subrev_co_u32_e32 v1, vcc, s15, v13
	v_mov_b32_e32 v2, v14
	v_lshlrev_b64 v[1:2], 2, v[1:2]
	v_mov_b32_e32 v5, s26
	v_add_co_u32_e64 v1, s[0:1], s23, v1
	v_addc_co_u32_e64 v2, s[0:1], v5, v2, s[0:1]
	v_cndmask_b32_e32 v2, v2, v3, vcc
	v_cndmask_b32_e32 v1, v1, v4, vcc
	global_load_dword v11, v[1:2], off
.LBB1797_8:
	s_or_b64 exec, exec, s[6:7]
	v_add_u32_e32 v1, v13, v19
	v_cmp_gt_u32_e64 s[0:1], s20, v1
.LBB1797_9:
	s_and_saveexec_b64 s[6:7], s[0:1]
	s_cbranch_execz .LBB1797_11
; %bb.10:
	v_mov_b32_e32 v2, 0
	v_lshlrev_b64 v[3:4], 2, v[1:2]
	v_mov_b32_e32 v5, s25
	v_add_co_u32_e32 v3, vcc, s24, v3
	v_addc_co_u32_e32 v4, vcc, v5, v4, vcc
	v_subrev_co_u32_e32 v1, vcc, s15, v1
	v_lshlrev_b64 v[1:2], 2, v[1:2]
	v_mov_b32_e32 v5, s26
	v_add_co_u32_e64 v1, s[0:1], s23, v1
	v_addc_co_u32_e64 v2, s[0:1], v5, v2, s[0:1]
	v_cndmask_b32_e32 v2, v2, v4, vcc
	v_cndmask_b32_e32 v1, v1, v3, vcc
	global_load_dword v12, v[1:2], off
.LBB1797_11:
	s_or_b64 exec, exec, s[6:7]
	s_lshl_b64 s[0:1], s[4:5], 3
	s_add_u32 s7, s10, s0
	s_addc_u32 s20, s11, s1
	s_lshl_b64 s[0:1], s[18:19], 3
	s_add_u32 s6, s10, s0
	v_mov_b32_e32 v7, 0
	s_addc_u32 s10, s11, s1
	s_andn2_b64 vcc, exec, s[2:3]
	v_lshlrev_b32_e32 v18, 3, v0
	s_waitcnt vmcnt(0)
	ds_write2st64_b32 v17, v9, v10 offset1:4
	ds_write2st64_b32 v17, v11, v12 offset0:8 offset1:12
	s_cbranch_vccnz .LBB1797_13
; %bb.12:
	v_mov_b32_e32 v1, s20
	v_add_co_u32_e32 v3, vcc, s7, v18
	v_addc_co_u32_e32 v4, vcc, 0, v1, vcc
	v_subrev_co_u32_e32 v6, vcc, s15, v0
	v_lshlrev_b64 v[1:2], 3, v[6:7]
	v_mov_b32_e32 v5, s10
	v_add_co_u32_e64 v1, s[0:1], s6, v1
	v_addc_co_u32_e64 v2, s[0:1], v5, v2, s[0:1]
	v_mov_b32_e32 v16, v7
	v_cndmask_b32_e32 v2, v2, v4, vcc
	v_cndmask_b32_e32 v1, v1, v3, vcc
	v_lshlrev_b64 v[3:4], 3, v[15:16]
	v_mov_b32_e32 v5, s20
	v_add_co_u32_e32 v8, vcc, s7, v3
	v_addc_co_u32_e32 v5, vcc, v5, v4, vcc
	v_subrev_co_u32_e32 v6, vcc, s15, v15
	v_lshlrev_b64 v[3:4], 3, v[6:7]
	v_mov_b32_e32 v6, s10
	v_add_co_u32_e64 v3, s[0:1], s6, v3
	v_addc_co_u32_e64 v4, s[0:1], v6, v4, s[0:1]
	v_mov_b32_e32 v14, v7
	v_cndmask_b32_e32 v4, v4, v5, vcc
	v_lshlrev_b64 v[5:6], 3, v[13:14]
	v_cndmask_b32_e32 v3, v3, v8, vcc
	v_mov_b32_e32 v8, s20
	v_add_co_u32_e32 v14, vcc, s7, v5
	v_addc_co_u32_e32 v8, vcc, v8, v6, vcc
	v_subrev_co_u32_e32 v6, vcc, s15, v13
	v_lshlrev_b64 v[5:6], 3, v[6:7]
	v_mov_b32_e32 v16, s10
	v_add_co_u32_e64 v5, s[0:1], s6, v5
	v_addc_co_u32_e64 v6, s[0:1], v16, v6, s[0:1]
	v_cndmask_b32_e32 v6, v6, v8, vcc
	v_cndmask_b32_e32 v5, v5, v14, vcc
	global_load_dwordx2 v[1:2], v[1:2], off
	s_add_i32 s11, s17, s15
	global_load_dwordx2 v[3:4], v[3:4], off
	v_mov_b32_e32 v8, v7
	global_load_dwordx2 v[5:6], v[5:6], off
	v_add_u32_e32 v14, v13, v19
	s_mov_b64 s[0:1], -1
	v_mov_b32_e32 v16, s11
	s_cbranch_execz .LBB1797_14
	s_branch .LBB1797_19
.LBB1797_13:
	s_mov_b64 s[0:1], 0
                                        ; implicit-def: $vgpr14
                                        ; implicit-def: $vgpr1_vgpr2_vgpr3_vgpr4_vgpr5_vgpr6_vgpr7_vgpr8
                                        ; implicit-def: $vgpr16
.LBB1797_14:
	s_add_i32 s11, s17, s15
	s_waitcnt vmcnt(2)
	v_mov_b32_e32 v1, 0
	v_cmp_gt_u32_e32 vcc, s11, v0
	v_mov_b32_e32 v2, v1
	s_waitcnt vmcnt(1)
	v_mov_b32_e32 v3, v1
	v_mov_b32_e32 v4, v1
	s_waitcnt vmcnt(0)
	v_mov_b32_e32 v5, v1
	v_mov_b32_e32 v6, v1
	;; [unrolled: 1-line block ×4, first 2 shown]
	s_and_saveexec_b64 s[4:5], vcc
	s_cbranch_execnz .LBB1797_63
; %bb.15:
	s_or_b64 exec, exec, s[4:5]
	v_cmp_gt_u32_e32 vcc, s11, v15
	s_and_saveexec_b64 s[4:5], vcc
	s_cbranch_execnz .LBB1797_64
.LBB1797_16:
	s_or_b64 exec, exec, s[4:5]
	v_cmp_gt_u32_e32 vcc, s11, v13
	s_and_saveexec_b64 s[4:5], vcc
	s_cbranch_execz .LBB1797_18
.LBB1797_17:
	v_mov_b32_e32 v14, 0
	v_lshlrev_b64 v[5:6], 3, v[13:14]
	v_mov_b32_e32 v15, s20
	v_add_co_u32_e32 v16, vcc, s7, v5
	v_addc_co_u32_e32 v15, vcc, v15, v6, vcc
	v_subrev_co_u32_e32 v5, vcc, s15, v13
	v_mov_b32_e32 v6, v14
	v_lshlrev_b64 v[5:6], 3, v[5:6]
	v_mov_b32_e32 v14, s10
	v_add_co_u32_e64 v5, s[0:1], s6, v5
	v_addc_co_u32_e64 v6, s[0:1], v14, v6, s[0:1]
	v_cndmask_b32_e32 v6, v6, v15, vcc
	v_cndmask_b32_e32 v5, v5, v16, vcc
	global_load_dwordx2 v[5:6], v[5:6], off
.LBB1797_18:
	s_or_b64 exec, exec, s[4:5]
	v_add_u32_e32 v14, v13, v19
	v_cmp_gt_u32_e64 s[0:1], s11, v14
	v_mov_b32_e32 v16, s11
.LBB1797_19:
	s_and_saveexec_b64 s[4:5], s[0:1]
	s_cbranch_execz .LBB1797_21
; %bb.20:
	v_mov_b32_e32 v8, 0
	v_mov_b32_e32 v15, v8
	v_lshlrev_b64 v[19:20], 3, v[14:15]
	v_mov_b32_e32 v7, s20
	v_add_co_u32_e32 v13, vcc, s7, v19
	v_addc_co_u32_e32 v15, vcc, v7, v20, vcc
	v_subrev_co_u32_e32 v7, vcc, s15, v14
	v_lshlrev_b64 v[7:8], 3, v[7:8]
	v_mov_b32_e32 v14, s10
	v_add_co_u32_e64 v7, s[0:1], s6, v7
	v_addc_co_u32_e64 v8, s[0:1], v14, v8, s[0:1]
	v_cndmask_b32_e32 v8, v8, v15, vcc
	v_cndmask_b32_e32 v7, v7, v13, vcc
	global_load_dwordx2 v[7:8], v[7:8], off
.LBB1797_21:
	s_or_b64 exec, exec, s[4:5]
	v_min_u32_e32 v13, v16, v17
	v_sub_u32_e64 v15, v13, s17 clamp
	v_min_u32_e32 v14, s15, v13
	v_cmp_lt_u32_e32 vcc, v15, v14
	s_waitcnt vmcnt(0) lgkmcnt(0)
	s_barrier
	s_and_saveexec_b64 s[0:1], vcc
	s_cbranch_execz .LBB1797_25
; %bb.22:
	v_lshlrev_b32_e32 v19, 2, v13
	v_lshl_add_u32 v19, s15, 2, v19
	s_mov_b64 s[4:5], 0
.LBB1797_23:                            ; =>This Inner Loop Header: Depth=1
	v_add_u32_e32 v20, v14, v15
	v_lshrrev_b32_e32 v20, 1, v20
	v_not_b32_e32 v21, v20
	v_lshlrev_b32_e32 v22, 2, v20
	v_lshl_add_u32 v21, v21, 2, v19
	ds_read_b32 v22, v22
	ds_read_b32 v21, v21
	v_add_u32_e32 v23, 1, v20
	s_waitcnt lgkmcnt(1)
	v_add_f32_e32 v22, 0, v22
	s_waitcnt lgkmcnt(0)
	v_add_f32_e32 v21, 0, v21
	v_ashrrev_i32_e32 v24, 31, v22
	v_or_b32_e32 v24, 0x80000000, v24
	v_ashrrev_i32_e32 v25, 31, v21
	v_xor_b32_e32 v22, v24, v22
	v_or_b32_e32 v24, 0x80000000, v25
	v_xor_b32_e32 v21, v24, v21
	v_cmp_gt_u32_e32 vcc, v22, v21
	v_cndmask_b32_e32 v14, v14, v20, vcc
	v_cndmask_b32_e32 v15, v23, v15, vcc
	v_cmp_ge_u32_e32 vcc, v15, v14
	s_or_b64 s[4:5], vcc, s[4:5]
	s_andn2_b64 exec, exec, s[4:5]
	s_cbranch_execnz .LBB1797_23
; %bb.24:
	s_or_b64 exec, exec, s[4:5]
.LBB1797_25:
	s_or_b64 exec, exec, s[0:1]
	v_sub_u32_e32 v13, v13, v15
	v_add_u32_e32 v19, s15, v13
	v_cmp_ge_u32_e32 vcc, s15, v15
	v_cmp_le_u32_e64 s[0:1], v19, v16
	s_or_b64 s[0:1], vcc, s[0:1]
	v_mov_b32_e32 v21, 0
	v_mov_b32_e32 v20, 0
	;; [unrolled: 1-line block ×4, first 2 shown]
	s_and_saveexec_b64 s[4:5], s[0:1]
	s_cbranch_execz .LBB1797_45
; %bb.26:
	v_cmp_le_u32_e32 vcc, s15, v15
	v_cmp_gt_u32_e64 s[0:1], s15, v15
                                        ; implicit-def: $vgpr9
	s_and_saveexec_b64 s[6:7], s[0:1]
; %bb.27:
	v_lshlrev_b32_e32 v9, 2, v15
	ds_read_b32 v9, v9
; %bb.28:
	s_or_b64 exec, exec, s[6:7]
	v_cmp_ge_u32_e64 s[6:7], v19, v16
	v_cmp_lt_u32_e64 s[0:1], v19, v16
                                        ; implicit-def: $vgpr12
	s_and_saveexec_b64 s[10:11], s[0:1]
; %bb.29:
	v_lshlrev_b32_e32 v10, 2, v19
	ds_read_b32 v12, v10
; %bb.30:
	s_or_b64 exec, exec, s[10:11]
	s_nor_b64 s[10:11], vcc, s[6:7]
	s_and_saveexec_b64 s[0:1], s[10:11]
	s_cbranch_execz .LBB1797_32
; %bb.31:
	s_waitcnt lgkmcnt(0)
	v_add_f32_e32 v10, 0, v9
	v_ashrrev_i32_e32 v13, 31, v10
	v_add_f32_e32 v11, 0, v12
	v_or_b32_e32 v13, 0x80000000, v13
	v_xor_b32_e32 v10, v13, v10
	v_ashrrev_i32_e32 v13, 31, v11
	v_or_b32_e32 v13, 0x80000000, v13
	v_xor_b32_e32 v11, v13, v11
	v_cmp_le_u32_e32 vcc, v10, v11
	s_andn2_b64 s[6:7], s[6:7], exec
	s_and_b64 s[10:11], vcc, exec
	s_or_b64 s[6:7], s[6:7], s[10:11]
.LBB1797_32:
	s_or_b64 exec, exec, s[0:1]
	v_mov_b32_e32 v10, s15
	v_cndmask_b32_e64 v13, v19, v15, s[6:7]
	v_cndmask_b32_e64 v10, v16, v10, s[6:7]
	v_add_u32_e32 v14, 1, v13
	v_add_u32_e32 v10, -1, v10
	v_min_u32_e32 v10, v14, v10
	v_lshlrev_b32_e32 v10, 2, v10
	ds_read_b32 v20, v10
	v_cndmask_b32_e64 v11, v14, v19, s[6:7]
	v_cmp_lt_u32_e32 vcc, v11, v16
	s_mov_b64 s[10:11], -1
	s_mov_b64 s[0:1], -1
	s_waitcnt lgkmcnt(0)
	v_cndmask_b32_e64 v10, v20, v12, s[6:7]
	v_cndmask_b32_e64 v19, v9, v20, s[6:7]
	;; [unrolled: 1-line block ×3, first 2 shown]
	s_and_saveexec_b64 s[18:19], vcc
	s_cbranch_execz .LBB1797_36
; %bb.33:
	v_cmp_gt_u32_e32 vcc, s15, v20
	s_mov_b64 s[20:21], 0
	s_and_saveexec_b64 s[0:1], vcc
	s_cbranch_execz .LBB1797_35
; %bb.34:
	v_add_f32_e32 v14, 0, v19
	v_ashrrev_i32_e32 v21, 31, v14
	v_add_f32_e32 v15, 0, v10
	v_or_b32_e32 v21, 0x80000000, v21
	v_xor_b32_e32 v14, v21, v14
	v_ashrrev_i32_e32 v21, 31, v15
	v_or_b32_e32 v21, 0x80000000, v21
	v_xor_b32_e32 v15, v21, v15
	v_cmp_le_u32_e32 vcc, v14, v15
	s_and_b64 s[20:21], vcc, exec
.LBB1797_35:
	s_or_b64 exec, exec, s[0:1]
	s_orn2_b64 s[0:1], s[20:21], exec
.LBB1797_36:
	s_or_b64 exec, exec, s[18:19]
	v_mov_b32_e32 v15, s15
	v_cndmask_b32_e64 v14, v11, v20, s[0:1]
	v_cndmask_b32_e64 v15, v16, v15, s[0:1]
	v_add_u32_e32 v22, 1, v14
	v_add_u32_e32 v15, -1, v15
	v_min_u32_e32 v15, v22, v15
	v_lshlrev_b32_e32 v15, 2, v15
	ds_read_b32 v15, v15
	v_cndmask_b32_e64 v21, v22, v11, s[0:1]
	v_cndmask_b32_e64 v22, v20, v22, s[0:1]
	v_cmp_lt_u32_e32 vcc, v21, v16
	s_waitcnt lgkmcnt(0)
	v_cndmask_b32_e64 v11, v15, v10, s[0:1]
	v_cndmask_b32_e64 v15, v19, v15, s[0:1]
	s_and_saveexec_b64 s[18:19], vcc
	s_cbranch_execz .LBB1797_40
; %bb.37:
	v_cmp_gt_u32_e32 vcc, s15, v22
	s_mov_b64 s[20:21], 0
	s_and_saveexec_b64 s[10:11], vcc
	s_cbranch_execz .LBB1797_39
; %bb.38:
	v_add_f32_e32 v20, 0, v15
	v_ashrrev_i32_e32 v24, 31, v20
	v_add_f32_e32 v23, 0, v11
	v_or_b32_e32 v24, 0x80000000, v24
	v_xor_b32_e32 v20, v24, v20
	v_ashrrev_i32_e32 v24, 31, v23
	v_or_b32_e32 v24, 0x80000000, v24
	v_xor_b32_e32 v23, v24, v23
	v_cmp_le_u32_e32 vcc, v20, v23
	s_and_b64 s[20:21], vcc, exec
.LBB1797_39:
	s_or_b64 exec, exec, s[10:11]
	s_orn2_b64 s[10:11], s[20:21], exec
.LBB1797_40:
	s_or_b64 exec, exec, s[18:19]
	v_mov_b32_e32 v23, s15
	v_cndmask_b32_e64 v20, v21, v22, s[10:11]
	v_cndmask_b32_e64 v23, v16, v23, s[10:11]
	v_add_u32_e32 v25, 1, v20
	v_add_u32_e32 v23, -1, v23
	v_min_u32_e32 v23, v25, v23
	v_lshlrev_b32_e32 v23, 2, v23
	ds_read_b32 v24, v23
	v_cndmask_b32_e64 v21, v25, v21, s[10:11]
	v_cndmask_b32_e64 v22, v22, v25, s[10:11]
	v_cmp_lt_u32_e32 vcc, v21, v16
	s_mov_b64 s[20:21], -1
	s_waitcnt lgkmcnt(0)
	v_cndmask_b32_e64 v23, v24, v11, s[10:11]
	v_cndmask_b32_e64 v24, v15, v24, s[10:11]
	s_and_saveexec_b64 s[18:19], vcc
	s_cbranch_execz .LBB1797_44
; %bb.41:
	v_cmp_gt_u32_e32 vcc, s15, v22
	s_mov_b64 s[22:23], 0
	s_and_saveexec_b64 s[20:21], vcc
	s_cbranch_execz .LBB1797_43
; %bb.42:
	v_add_f32_e32 v16, 0, v24
	v_ashrrev_i32_e32 v26, 31, v16
	v_add_f32_e32 v25, 0, v23
	v_or_b32_e32 v26, 0x80000000, v26
	v_xor_b32_e32 v16, v26, v16
	v_ashrrev_i32_e32 v26, 31, v25
	v_or_b32_e32 v26, 0x80000000, v26
	v_xor_b32_e32 v25, v26, v25
	v_cmp_le_u32_e32 vcc, v16, v25
	s_and_b64 s[22:23], vcc, exec
.LBB1797_43:
	s_or_b64 exec, exec, s[20:21]
	s_orn2_b64 s[20:21], s[22:23], exec
.LBB1797_44:
	s_or_b64 exec, exec, s[18:19]
	v_cndmask_b32_e64 v11, v11, v15, s[10:11]
	v_cndmask_b32_e64 v10, v10, v19, s[0:1]
	;; [unrolled: 1-line block ×5, first 2 shown]
.LBB1797_45:
	s_or_b64 exec, exec, s[4:5]
	v_add_u32_e32 v24, v17, v17
	s_barrier
	ds_write2st64_b64 v24, v[1:2], v[3:4] offset1:4
	ds_write2st64_b64 v24, v[5:6], v[7:8] offset0:8 offset1:12
	v_lshlrev_b32_e32 v1, 3, v13
	v_lshlrev_b32_e32 v2, 3, v14
	;; [unrolled: 1-line block ×4, first 2 shown]
	s_waitcnt lgkmcnt(0)
	s_barrier
	ds_read_b64 v[5:6], v1
	ds_read_b64 v[7:8], v2
	;; [unrolled: 1-line block ×4, first 2 shown]
	s_mov_b32 s17, 0
	s_lshl_b64 s[0:1], s[16:17], 2
	v_lshrrev_b32_e32 v13, 3, v0
	s_add_u32 s0, s8, s0
	v_add_u32_e32 v15, v13, v17
	s_addc_u32 s1, s9, s1
	v_lshlrev_b32_e32 v16, 2, v15
	s_waitcnt lgkmcnt(0)
	s_barrier
	s_barrier
	ds_write2_b32 v16, v9, v10 offset1:1
	ds_write2_b32 v16, v11, v12 offset0:2 offset1:3
	v_or_b32_e32 v23, 0x100, v0
	v_or_b32_e32 v22, 0x200, v0
	;; [unrolled: 1-line block ×3, first 2 shown]
	v_mov_b32_e32 v10, s1
	v_add_co_u32_e32 v9, vcc, s0, v17
	v_lshrrev_b32_e32 v13, 5, v0
	v_lshrrev_b32_e32 v11, 5, v23
	v_lshrrev_b32_e32 v12, 5, v22
	v_lshrrev_b32_e32 v20, 5, v21
	v_addc_co_u32_e32 v10, vcc, 0, v10, vcc
	v_lshl_add_u32 v14, v13, 2, v17
	v_lshl_add_u32 v25, v11, 2, v17
	;; [unrolled: 1-line block ×4, first 2 shown]
	s_and_b64 vcc, exec, s[2:3]
	v_lshl_add_u32 v17, v11, 3, v24
	v_lshl_add_u32 v19, v12, 3, v24
	;; [unrolled: 1-line block ×3, first 2 shown]
	s_waitcnt lgkmcnt(0)
	s_cbranch_vccz .LBB1797_47
; %bb.46:
	s_barrier
	ds_read_b32 v11, v14
	ds_read_b32 v12, v25 offset:1024
	ds_read_b32 v28, v26 offset:2048
	;; [unrolled: 1-line block ×3, first 2 shown]
	s_lshl_b64 s[0:1], s[16:17], 3
	s_add_u32 s0, s12, s0
	s_waitcnt lgkmcnt(3)
	global_store_dword v[9:10], v11, off
	s_waitcnt lgkmcnt(2)
	global_store_dword v[9:10], v12, off offset:1024
	s_waitcnt lgkmcnt(1)
	global_store_dword v[9:10], v28, off offset:2048
	;; [unrolled: 2-line block ×3, first 2 shown]
	v_lshlrev_b32_e32 v11, 3, v15
	s_waitcnt vmcnt(0)
	s_barrier
	ds_write2_b64 v11, v[5:6], v[7:8] offset1:1
	ds_write2_b64 v11, v[1:2], v[3:4] offset0:2 offset1:3
	v_lshl_add_u32 v11, v13, 3, v24
	s_addc_u32 s1, s13, s1
	s_waitcnt lgkmcnt(0)
	s_barrier
	ds_read_b64 v[28:29], v11
	ds_read_b64 v[30:31], v17 offset:2048
	ds_read_b64 v[32:33], v19 offset:4096
	;; [unrolled: 1-line block ×3, first 2 shown]
	v_mov_b32_e32 v24, s1
	v_add_co_u32_e32 v34, vcc, s0, v18
	v_addc_co_u32_e32 v24, vcc, 0, v24, vcc
	s_waitcnt lgkmcnt(3)
	global_store_dwordx2 v18, v[28:29], s[0:1]
	s_waitcnt lgkmcnt(2)
	global_store_dwordx2 v18, v[30:31], s[0:1] offset:2048
	v_add_co_u32_e32 v28, vcc, 0x1000, v34
	v_addc_co_u32_e32 v29, vcc, 0, v24, vcc
	s_waitcnt lgkmcnt(1)
	global_store_dwordx2 v[28:29], v[32:33], off
	s_mov_b64 s[6:7], -1
	s_cbranch_execz .LBB1797_48
	s_branch .LBB1797_58
.LBB1797_47:
	s_mov_b64 s[6:7], 0
                                        ; implicit-def: $vgpr11_vgpr12
.LBB1797_48:
	s_waitcnt vmcnt(0) lgkmcnt(0)
	s_barrier
	ds_read_b32 v24, v25 offset:1024
	ds_read_b32 v12, v26 offset:2048
	;; [unrolled: 1-line block ×3, first 2 shown]
	s_sub_i32 s6, s14, s16
	v_cmp_gt_u32_e32 vcc, s6, v0
	s_and_saveexec_b64 s[0:1], vcc
	s_cbranch_execnz .LBB1797_65
; %bb.49:
	s_or_b64 exec, exec, s[0:1]
	v_cmp_gt_u32_e64 s[0:1], s6, v23
	s_and_saveexec_b64 s[2:3], s[0:1]
	s_cbranch_execnz .LBB1797_66
.LBB1797_50:
	s_or_b64 exec, exec, s[2:3]
	v_cmp_gt_u32_e64 s[2:3], s6, v22
	s_and_saveexec_b64 s[4:5], s[2:3]
	s_cbranch_execnz .LBB1797_67
.LBB1797_51:
	s_or_b64 exec, exec, s[4:5]
	v_cmp_gt_u32_e64 s[6:7], s6, v21
	s_and_saveexec_b64 s[4:5], s[6:7]
	s_cbranch_execz .LBB1797_53
.LBB1797_52:
	s_waitcnt lgkmcnt(0)
	global_store_dword v[9:10], v11, off offset:3072
.LBB1797_53:
	s_or_b64 exec, exec, s[4:5]
	v_lshl_add_u32 v9, v15, 2, v16
	s_waitcnt vmcnt(0) lgkmcnt(0)
	s_barrier
	ds_write2_b64 v9, v[5:6], v[7:8] offset1:1
	ds_write2_b64 v9, v[1:2], v[3:4] offset0:2 offset1:3
	s_waitcnt lgkmcnt(0)
	s_barrier
	ds_read_b64 v[5:6], v17 offset:2048
	ds_read_b64 v[1:2], v19 offset:4096
	;; [unrolled: 1-line block ×3, first 2 shown]
	s_lshl_b64 s[4:5], s[16:17], 3
	s_add_u32 s4, s12, s4
	s_addc_u32 s5, s13, s5
	v_mov_b32_e32 v4, s5
	v_add_co_u32_e64 v3, s[4:5], s4, v18
	v_addc_co_u32_e64 v4, s[4:5], 0, v4, s[4:5]
	s_and_saveexec_b64 s[4:5], vcc
	s_cbranch_execnz .LBB1797_68
; %bb.54:
	s_or_b64 exec, exec, s[4:5]
	s_and_saveexec_b64 s[4:5], s[0:1]
	s_cbranch_execnz .LBB1797_69
.LBB1797_55:
	s_or_b64 exec, exec, s[4:5]
	s_and_saveexec_b64 s[0:1], s[2:3]
	s_cbranch_execz .LBB1797_57
.LBB1797_56:
	v_add_co_u32_e32 v3, vcc, 0x1000, v3
	v_addc_co_u32_e32 v4, vcc, 0, v4, vcc
	s_waitcnt lgkmcnt(1)
	global_store_dwordx2 v[3:4], v[1:2], off
.LBB1797_57:
	s_or_b64 exec, exec, s[0:1]
.LBB1797_58:
	s_and_saveexec_b64 s[0:1], s[6:7]
	s_cbranch_execz .LBB1797_60
; %bb.59:
	s_lshl_b64 s[0:1], s[16:17], 3
	s_add_u32 s0, s12, s0
	s_addc_u32 s1, s13, s1
	v_mov_b32_e32 v0, s1
	s_waitcnt lgkmcnt(1)
	v_add_co_u32_e32 v1, vcc, s0, v18
	v_addc_co_u32_e32 v2, vcc, 0, v0, vcc
	v_add_co_u32_e32 v0, vcc, 0x1000, v1
	v_addc_co_u32_e32 v1, vcc, 0, v2, vcc
	s_waitcnt lgkmcnt(0)
	global_store_dwordx2 v[0:1], v[11:12], off offset:2048
.LBB1797_60:
	s_endpgm
.LBB1797_61:
	v_mov_b32_e32 v1, s25
	v_add_co_u32_e32 v3, vcc, s24, v17
	v_addc_co_u32_e32 v4, vcc, 0, v1, vcc
	v_subrev_co_u32_e32 v1, vcc, s15, v0
	v_mov_b32_e32 v2, v9
	v_lshlrev_b64 v[1:2], 2, v[1:2]
	v_mov_b32_e32 v5, s26
	v_add_co_u32_e64 v1, s[0:1], s23, v1
	v_addc_co_u32_e64 v2, s[0:1], v5, v2, s[0:1]
	v_cndmask_b32_e32 v2, v2, v4, vcc
	v_cndmask_b32_e32 v1, v1, v3, vcc
	global_load_dword v1, v[1:2], off
	v_mov_b32_e32 v4, v9
	v_mov_b32_e32 v2, v9
	;; [unrolled: 1-line block ×3, first 2 shown]
	s_waitcnt vmcnt(0)
	v_mov_b32_e32 v12, v4
	v_mov_b32_e32 v11, v3
	;; [unrolled: 1-line block ×4, first 2 shown]
	s_or_b64 exec, exec, s[6:7]
	v_cmp_gt_u32_e32 vcc, s20, v15
	s_and_saveexec_b64 s[6:7], vcc
	s_cbranch_execz .LBB1797_6
.LBB1797_62:
	v_mov_b32_e32 v16, 0
	v_lshlrev_b64 v[1:2], 2, v[15:16]
	v_mov_b32_e32 v3, s25
	v_add_co_u32_e32 v4, vcc, s24, v1
	v_addc_co_u32_e32 v3, vcc, v3, v2, vcc
	v_subrev_co_u32_e32 v1, vcc, s15, v15
	v_mov_b32_e32 v2, v16
	v_lshlrev_b64 v[1:2], 2, v[1:2]
	v_mov_b32_e32 v5, s26
	v_add_co_u32_e64 v1, s[0:1], s23, v1
	v_addc_co_u32_e64 v2, s[0:1], v5, v2, s[0:1]
	v_cndmask_b32_e32 v2, v2, v3, vcc
	v_cndmask_b32_e32 v1, v1, v4, vcc
	global_load_dword v10, v[1:2], off
	s_or_b64 exec, exec, s[6:7]
	v_cmp_gt_u32_e32 vcc, s20, v13
	s_and_saveexec_b64 s[6:7], vcc
	s_cbranch_execnz .LBB1797_7
	s_branch .LBB1797_8
.LBB1797_63:
	v_mov_b32_e32 v2, s20
	v_add_co_u32_e32 v4, vcc, s7, v18
	v_addc_co_u32_e32 v5, vcc, 0, v2, vcc
	v_subrev_co_u32_e32 v2, vcc, s15, v0
	v_mov_b32_e32 v3, v1
	v_lshlrev_b64 v[2:3], 3, v[2:3]
	v_mov_b32_e32 v6, s10
	v_add_co_u32_e64 v2, s[0:1], s6, v2
	v_addc_co_u32_e64 v3, s[0:1], v6, v3, s[0:1]
	v_cndmask_b32_e32 v3, v3, v5, vcc
	v_cndmask_b32_e32 v2, v2, v4, vcc
	global_load_dwordx2 v[20:21], v[2:3], off
	v_mov_b32_e32 v22, v1
	v_mov_b32_e32 v23, v1
	;; [unrolled: 1-line block ×6, first 2 shown]
	s_waitcnt vmcnt(0)
	v_mov_b32_e32 v1, v20
	v_mov_b32_e32 v2, v21
	;; [unrolled: 1-line block ×8, first 2 shown]
	s_or_b64 exec, exec, s[4:5]
	v_cmp_gt_u32_e32 vcc, s11, v15
	s_and_saveexec_b64 s[4:5], vcc
	s_cbranch_execz .LBB1797_16
.LBB1797_64:
	v_mov_b32_e32 v16, 0
	v_lshlrev_b64 v[3:4], 3, v[15:16]
	v_mov_b32_e32 v14, s20
	v_add_co_u32_e32 v20, vcc, s7, v3
	v_addc_co_u32_e32 v14, vcc, v14, v4, vcc
	v_subrev_co_u32_e32 v15, vcc, s15, v15
	v_lshlrev_b64 v[3:4], 3, v[15:16]
	v_mov_b32_e32 v15, s10
	v_add_co_u32_e64 v3, s[0:1], s6, v3
	v_addc_co_u32_e64 v4, s[0:1], v15, v4, s[0:1]
	v_cndmask_b32_e32 v4, v4, v14, vcc
	v_cndmask_b32_e32 v3, v3, v20, vcc
	global_load_dwordx2 v[3:4], v[3:4], off
	s_or_b64 exec, exec, s[4:5]
	v_cmp_gt_u32_e32 vcc, s11, v13
	s_and_saveexec_b64 s[4:5], vcc
	s_cbranch_execnz .LBB1797_17
	s_branch .LBB1797_18
.LBB1797_65:
	ds_read_b32 v25, v14
	s_waitcnt lgkmcnt(0)
	global_store_dword v[9:10], v25, off
	s_or_b64 exec, exec, s[0:1]
	v_cmp_gt_u32_e64 s[0:1], s6, v23
	s_and_saveexec_b64 s[2:3], s[0:1]
	s_cbranch_execz .LBB1797_50
.LBB1797_66:
	s_waitcnt lgkmcnt(2)
	global_store_dword v[9:10], v24, off offset:1024
	s_or_b64 exec, exec, s[2:3]
	v_cmp_gt_u32_e64 s[2:3], s6, v22
	s_and_saveexec_b64 s[4:5], s[2:3]
	s_cbranch_execz .LBB1797_51
.LBB1797_67:
	s_waitcnt lgkmcnt(1)
	global_store_dword v[9:10], v12, off offset:2048
	s_or_b64 exec, exec, s[4:5]
	v_cmp_gt_u32_e64 s[6:7], s6, v21
	s_and_saveexec_b64 s[4:5], s[6:7]
	s_cbranch_execnz .LBB1797_52
	s_branch .LBB1797_53
.LBB1797_68:
	v_add_u32_e32 v0, v13, v0
	v_lshl_add_u32 v0, v0, 2, v14
	ds_read_b64 v[7:8], v0
	s_waitcnt lgkmcnt(0)
	global_store_dwordx2 v[3:4], v[7:8], off
	s_or_b64 exec, exec, s[4:5]
	s_and_saveexec_b64 s[4:5], s[0:1]
	s_cbranch_execz .LBB1797_55
.LBB1797_69:
	s_waitcnt lgkmcnt(2)
	global_store_dwordx2 v[3:4], v[5:6], off offset:2048
	s_or_b64 exec, exec, s[4:5]
	s_and_saveexec_b64 s[0:1], s[2:3]
	s_cbranch_execnz .LBB1797_56
	s_branch .LBB1797_57
	.section	.rodata,"a",@progbits
	.p2align	6, 0x0
	.amdhsa_kernel _ZN7rocprim17ROCPRIM_400000_NS6detail17trampoline_kernelINS0_14default_configENS1_38merge_sort_block_merge_config_selectorIflEEZZNS1_27merge_sort_block_merge_implIS3_PfN6thrust23THRUST_200600_302600_NS10device_ptrIlEEjNS1_19radix_merge_compareILb0ELb0EfNS0_19identity_decomposerEEEEE10hipError_tT0_T1_T2_jT3_P12ihipStream_tbPNSt15iterator_traitsISG_E10value_typeEPNSM_ISH_E10value_typeEPSI_NS1_7vsmem_tEENKUlT_SG_SH_SI_E_clIS7_S7_SB_PlEESF_SV_SG_SH_SI_EUlSV_E0_NS1_11comp_targetILNS1_3genE2ELNS1_11target_archE906ELNS1_3gpuE6ELNS1_3repE0EEENS1_38merge_mergepath_config_static_selectorELNS0_4arch9wavefront6targetE1EEEvSH_
		.amdhsa_group_segment_fixed_size 8448
		.amdhsa_private_segment_fixed_size 0
		.amdhsa_kernarg_size 320
		.amdhsa_user_sgpr_count 6
		.amdhsa_user_sgpr_private_segment_buffer 1
		.amdhsa_user_sgpr_dispatch_ptr 0
		.amdhsa_user_sgpr_queue_ptr 0
		.amdhsa_user_sgpr_kernarg_segment_ptr 1
		.amdhsa_user_sgpr_dispatch_id 0
		.amdhsa_user_sgpr_flat_scratch_init 0
		.amdhsa_user_sgpr_private_segment_size 0
		.amdhsa_uses_dynamic_stack 0
		.amdhsa_system_sgpr_private_segment_wavefront_offset 0
		.amdhsa_system_sgpr_workgroup_id_x 1
		.amdhsa_system_sgpr_workgroup_id_y 1
		.amdhsa_system_sgpr_workgroup_id_z 1
		.amdhsa_system_sgpr_workgroup_info 0
		.amdhsa_system_vgpr_workitem_id 0
		.amdhsa_next_free_vgpr 35
		.amdhsa_next_free_sgpr 77
		.amdhsa_reserve_vcc 1
		.amdhsa_reserve_flat_scratch 0
		.amdhsa_float_round_mode_32 0
		.amdhsa_float_round_mode_16_64 0
		.amdhsa_float_denorm_mode_32 3
		.amdhsa_float_denorm_mode_16_64 3
		.amdhsa_dx10_clamp 1
		.amdhsa_ieee_mode 1
		.amdhsa_fp16_overflow 0
		.amdhsa_exception_fp_ieee_invalid_op 0
		.amdhsa_exception_fp_denorm_src 0
		.amdhsa_exception_fp_ieee_div_zero 0
		.amdhsa_exception_fp_ieee_overflow 0
		.amdhsa_exception_fp_ieee_underflow 0
		.amdhsa_exception_fp_ieee_inexact 0
		.amdhsa_exception_int_div_zero 0
	.end_amdhsa_kernel
	.section	.text._ZN7rocprim17ROCPRIM_400000_NS6detail17trampoline_kernelINS0_14default_configENS1_38merge_sort_block_merge_config_selectorIflEEZZNS1_27merge_sort_block_merge_implIS3_PfN6thrust23THRUST_200600_302600_NS10device_ptrIlEEjNS1_19radix_merge_compareILb0ELb0EfNS0_19identity_decomposerEEEEE10hipError_tT0_T1_T2_jT3_P12ihipStream_tbPNSt15iterator_traitsISG_E10value_typeEPNSM_ISH_E10value_typeEPSI_NS1_7vsmem_tEENKUlT_SG_SH_SI_E_clIS7_S7_SB_PlEESF_SV_SG_SH_SI_EUlSV_E0_NS1_11comp_targetILNS1_3genE2ELNS1_11target_archE906ELNS1_3gpuE6ELNS1_3repE0EEENS1_38merge_mergepath_config_static_selectorELNS0_4arch9wavefront6targetE1EEEvSH_,"axG",@progbits,_ZN7rocprim17ROCPRIM_400000_NS6detail17trampoline_kernelINS0_14default_configENS1_38merge_sort_block_merge_config_selectorIflEEZZNS1_27merge_sort_block_merge_implIS3_PfN6thrust23THRUST_200600_302600_NS10device_ptrIlEEjNS1_19radix_merge_compareILb0ELb0EfNS0_19identity_decomposerEEEEE10hipError_tT0_T1_T2_jT3_P12ihipStream_tbPNSt15iterator_traitsISG_E10value_typeEPNSM_ISH_E10value_typeEPSI_NS1_7vsmem_tEENKUlT_SG_SH_SI_E_clIS7_S7_SB_PlEESF_SV_SG_SH_SI_EUlSV_E0_NS1_11comp_targetILNS1_3genE2ELNS1_11target_archE906ELNS1_3gpuE6ELNS1_3repE0EEENS1_38merge_mergepath_config_static_selectorELNS0_4arch9wavefront6targetE1EEEvSH_,comdat
.Lfunc_end1797:
	.size	_ZN7rocprim17ROCPRIM_400000_NS6detail17trampoline_kernelINS0_14default_configENS1_38merge_sort_block_merge_config_selectorIflEEZZNS1_27merge_sort_block_merge_implIS3_PfN6thrust23THRUST_200600_302600_NS10device_ptrIlEEjNS1_19radix_merge_compareILb0ELb0EfNS0_19identity_decomposerEEEEE10hipError_tT0_T1_T2_jT3_P12ihipStream_tbPNSt15iterator_traitsISG_E10value_typeEPNSM_ISH_E10value_typeEPSI_NS1_7vsmem_tEENKUlT_SG_SH_SI_E_clIS7_S7_SB_PlEESF_SV_SG_SH_SI_EUlSV_E0_NS1_11comp_targetILNS1_3genE2ELNS1_11target_archE906ELNS1_3gpuE6ELNS1_3repE0EEENS1_38merge_mergepath_config_static_selectorELNS0_4arch9wavefront6targetE1EEEvSH_, .Lfunc_end1797-_ZN7rocprim17ROCPRIM_400000_NS6detail17trampoline_kernelINS0_14default_configENS1_38merge_sort_block_merge_config_selectorIflEEZZNS1_27merge_sort_block_merge_implIS3_PfN6thrust23THRUST_200600_302600_NS10device_ptrIlEEjNS1_19radix_merge_compareILb0ELb0EfNS0_19identity_decomposerEEEEE10hipError_tT0_T1_T2_jT3_P12ihipStream_tbPNSt15iterator_traitsISG_E10value_typeEPNSM_ISH_E10value_typeEPSI_NS1_7vsmem_tEENKUlT_SG_SH_SI_E_clIS7_S7_SB_PlEESF_SV_SG_SH_SI_EUlSV_E0_NS1_11comp_targetILNS1_3genE2ELNS1_11target_archE906ELNS1_3gpuE6ELNS1_3repE0EEENS1_38merge_mergepath_config_static_selectorELNS0_4arch9wavefront6targetE1EEEvSH_
                                        ; -- End function
	.set _ZN7rocprim17ROCPRIM_400000_NS6detail17trampoline_kernelINS0_14default_configENS1_38merge_sort_block_merge_config_selectorIflEEZZNS1_27merge_sort_block_merge_implIS3_PfN6thrust23THRUST_200600_302600_NS10device_ptrIlEEjNS1_19radix_merge_compareILb0ELb0EfNS0_19identity_decomposerEEEEE10hipError_tT0_T1_T2_jT3_P12ihipStream_tbPNSt15iterator_traitsISG_E10value_typeEPNSM_ISH_E10value_typeEPSI_NS1_7vsmem_tEENKUlT_SG_SH_SI_E_clIS7_S7_SB_PlEESF_SV_SG_SH_SI_EUlSV_E0_NS1_11comp_targetILNS1_3genE2ELNS1_11target_archE906ELNS1_3gpuE6ELNS1_3repE0EEENS1_38merge_mergepath_config_static_selectorELNS0_4arch9wavefront6targetE1EEEvSH_.num_vgpr, 35
	.set _ZN7rocprim17ROCPRIM_400000_NS6detail17trampoline_kernelINS0_14default_configENS1_38merge_sort_block_merge_config_selectorIflEEZZNS1_27merge_sort_block_merge_implIS3_PfN6thrust23THRUST_200600_302600_NS10device_ptrIlEEjNS1_19radix_merge_compareILb0ELb0EfNS0_19identity_decomposerEEEEE10hipError_tT0_T1_T2_jT3_P12ihipStream_tbPNSt15iterator_traitsISG_E10value_typeEPNSM_ISH_E10value_typeEPSI_NS1_7vsmem_tEENKUlT_SG_SH_SI_E_clIS7_S7_SB_PlEESF_SV_SG_SH_SI_EUlSV_E0_NS1_11comp_targetILNS1_3genE2ELNS1_11target_archE906ELNS1_3gpuE6ELNS1_3repE0EEENS1_38merge_mergepath_config_static_selectorELNS0_4arch9wavefront6targetE1EEEvSH_.num_agpr, 0
	.set _ZN7rocprim17ROCPRIM_400000_NS6detail17trampoline_kernelINS0_14default_configENS1_38merge_sort_block_merge_config_selectorIflEEZZNS1_27merge_sort_block_merge_implIS3_PfN6thrust23THRUST_200600_302600_NS10device_ptrIlEEjNS1_19radix_merge_compareILb0ELb0EfNS0_19identity_decomposerEEEEE10hipError_tT0_T1_T2_jT3_P12ihipStream_tbPNSt15iterator_traitsISG_E10value_typeEPNSM_ISH_E10value_typeEPSI_NS1_7vsmem_tEENKUlT_SG_SH_SI_E_clIS7_S7_SB_PlEESF_SV_SG_SH_SI_EUlSV_E0_NS1_11comp_targetILNS1_3genE2ELNS1_11target_archE906ELNS1_3gpuE6ELNS1_3repE0EEENS1_38merge_mergepath_config_static_selectorELNS0_4arch9wavefront6targetE1EEEvSH_.numbered_sgpr, 31
	.set _ZN7rocprim17ROCPRIM_400000_NS6detail17trampoline_kernelINS0_14default_configENS1_38merge_sort_block_merge_config_selectorIflEEZZNS1_27merge_sort_block_merge_implIS3_PfN6thrust23THRUST_200600_302600_NS10device_ptrIlEEjNS1_19radix_merge_compareILb0ELb0EfNS0_19identity_decomposerEEEEE10hipError_tT0_T1_T2_jT3_P12ihipStream_tbPNSt15iterator_traitsISG_E10value_typeEPNSM_ISH_E10value_typeEPSI_NS1_7vsmem_tEENKUlT_SG_SH_SI_E_clIS7_S7_SB_PlEESF_SV_SG_SH_SI_EUlSV_E0_NS1_11comp_targetILNS1_3genE2ELNS1_11target_archE906ELNS1_3gpuE6ELNS1_3repE0EEENS1_38merge_mergepath_config_static_selectorELNS0_4arch9wavefront6targetE1EEEvSH_.num_named_barrier, 0
	.set _ZN7rocprim17ROCPRIM_400000_NS6detail17trampoline_kernelINS0_14default_configENS1_38merge_sort_block_merge_config_selectorIflEEZZNS1_27merge_sort_block_merge_implIS3_PfN6thrust23THRUST_200600_302600_NS10device_ptrIlEEjNS1_19radix_merge_compareILb0ELb0EfNS0_19identity_decomposerEEEEE10hipError_tT0_T1_T2_jT3_P12ihipStream_tbPNSt15iterator_traitsISG_E10value_typeEPNSM_ISH_E10value_typeEPSI_NS1_7vsmem_tEENKUlT_SG_SH_SI_E_clIS7_S7_SB_PlEESF_SV_SG_SH_SI_EUlSV_E0_NS1_11comp_targetILNS1_3genE2ELNS1_11target_archE906ELNS1_3gpuE6ELNS1_3repE0EEENS1_38merge_mergepath_config_static_selectorELNS0_4arch9wavefront6targetE1EEEvSH_.private_seg_size, 0
	.set _ZN7rocprim17ROCPRIM_400000_NS6detail17trampoline_kernelINS0_14default_configENS1_38merge_sort_block_merge_config_selectorIflEEZZNS1_27merge_sort_block_merge_implIS3_PfN6thrust23THRUST_200600_302600_NS10device_ptrIlEEjNS1_19radix_merge_compareILb0ELb0EfNS0_19identity_decomposerEEEEE10hipError_tT0_T1_T2_jT3_P12ihipStream_tbPNSt15iterator_traitsISG_E10value_typeEPNSM_ISH_E10value_typeEPSI_NS1_7vsmem_tEENKUlT_SG_SH_SI_E_clIS7_S7_SB_PlEESF_SV_SG_SH_SI_EUlSV_E0_NS1_11comp_targetILNS1_3genE2ELNS1_11target_archE906ELNS1_3gpuE6ELNS1_3repE0EEENS1_38merge_mergepath_config_static_selectorELNS0_4arch9wavefront6targetE1EEEvSH_.uses_vcc, 1
	.set _ZN7rocprim17ROCPRIM_400000_NS6detail17trampoline_kernelINS0_14default_configENS1_38merge_sort_block_merge_config_selectorIflEEZZNS1_27merge_sort_block_merge_implIS3_PfN6thrust23THRUST_200600_302600_NS10device_ptrIlEEjNS1_19radix_merge_compareILb0ELb0EfNS0_19identity_decomposerEEEEE10hipError_tT0_T1_T2_jT3_P12ihipStream_tbPNSt15iterator_traitsISG_E10value_typeEPNSM_ISH_E10value_typeEPSI_NS1_7vsmem_tEENKUlT_SG_SH_SI_E_clIS7_S7_SB_PlEESF_SV_SG_SH_SI_EUlSV_E0_NS1_11comp_targetILNS1_3genE2ELNS1_11target_archE906ELNS1_3gpuE6ELNS1_3repE0EEENS1_38merge_mergepath_config_static_selectorELNS0_4arch9wavefront6targetE1EEEvSH_.uses_flat_scratch, 0
	.set _ZN7rocprim17ROCPRIM_400000_NS6detail17trampoline_kernelINS0_14default_configENS1_38merge_sort_block_merge_config_selectorIflEEZZNS1_27merge_sort_block_merge_implIS3_PfN6thrust23THRUST_200600_302600_NS10device_ptrIlEEjNS1_19radix_merge_compareILb0ELb0EfNS0_19identity_decomposerEEEEE10hipError_tT0_T1_T2_jT3_P12ihipStream_tbPNSt15iterator_traitsISG_E10value_typeEPNSM_ISH_E10value_typeEPSI_NS1_7vsmem_tEENKUlT_SG_SH_SI_E_clIS7_S7_SB_PlEESF_SV_SG_SH_SI_EUlSV_E0_NS1_11comp_targetILNS1_3genE2ELNS1_11target_archE906ELNS1_3gpuE6ELNS1_3repE0EEENS1_38merge_mergepath_config_static_selectorELNS0_4arch9wavefront6targetE1EEEvSH_.has_dyn_sized_stack, 0
	.set _ZN7rocprim17ROCPRIM_400000_NS6detail17trampoline_kernelINS0_14default_configENS1_38merge_sort_block_merge_config_selectorIflEEZZNS1_27merge_sort_block_merge_implIS3_PfN6thrust23THRUST_200600_302600_NS10device_ptrIlEEjNS1_19radix_merge_compareILb0ELb0EfNS0_19identity_decomposerEEEEE10hipError_tT0_T1_T2_jT3_P12ihipStream_tbPNSt15iterator_traitsISG_E10value_typeEPNSM_ISH_E10value_typeEPSI_NS1_7vsmem_tEENKUlT_SG_SH_SI_E_clIS7_S7_SB_PlEESF_SV_SG_SH_SI_EUlSV_E0_NS1_11comp_targetILNS1_3genE2ELNS1_11target_archE906ELNS1_3gpuE6ELNS1_3repE0EEENS1_38merge_mergepath_config_static_selectorELNS0_4arch9wavefront6targetE1EEEvSH_.has_recursion, 0
	.set _ZN7rocprim17ROCPRIM_400000_NS6detail17trampoline_kernelINS0_14default_configENS1_38merge_sort_block_merge_config_selectorIflEEZZNS1_27merge_sort_block_merge_implIS3_PfN6thrust23THRUST_200600_302600_NS10device_ptrIlEEjNS1_19radix_merge_compareILb0ELb0EfNS0_19identity_decomposerEEEEE10hipError_tT0_T1_T2_jT3_P12ihipStream_tbPNSt15iterator_traitsISG_E10value_typeEPNSM_ISH_E10value_typeEPSI_NS1_7vsmem_tEENKUlT_SG_SH_SI_E_clIS7_S7_SB_PlEESF_SV_SG_SH_SI_EUlSV_E0_NS1_11comp_targetILNS1_3genE2ELNS1_11target_archE906ELNS1_3gpuE6ELNS1_3repE0EEENS1_38merge_mergepath_config_static_selectorELNS0_4arch9wavefront6targetE1EEEvSH_.has_indirect_call, 0
	.section	.AMDGPU.csdata,"",@progbits
; Kernel info:
; codeLenInByte = 3796
; TotalNumSgprs: 35
; NumVgprs: 35
; ScratchSize: 0
; MemoryBound: 0
; FloatMode: 240
; IeeeMode: 1
; LDSByteSize: 8448 bytes/workgroup (compile time only)
; SGPRBlocks: 10
; VGPRBlocks: 8
; NumSGPRsForWavesPerEU: 81
; NumVGPRsForWavesPerEU: 35
; Occupancy: 7
; WaveLimiterHint : 1
; COMPUTE_PGM_RSRC2:SCRATCH_EN: 0
; COMPUTE_PGM_RSRC2:USER_SGPR: 6
; COMPUTE_PGM_RSRC2:TRAP_HANDLER: 0
; COMPUTE_PGM_RSRC2:TGID_X_EN: 1
; COMPUTE_PGM_RSRC2:TGID_Y_EN: 1
; COMPUTE_PGM_RSRC2:TGID_Z_EN: 1
; COMPUTE_PGM_RSRC2:TIDIG_COMP_CNT: 0
	.section	.text._ZN7rocprim17ROCPRIM_400000_NS6detail17trampoline_kernelINS0_14default_configENS1_38merge_sort_block_merge_config_selectorIflEEZZNS1_27merge_sort_block_merge_implIS3_PfN6thrust23THRUST_200600_302600_NS10device_ptrIlEEjNS1_19radix_merge_compareILb0ELb0EfNS0_19identity_decomposerEEEEE10hipError_tT0_T1_T2_jT3_P12ihipStream_tbPNSt15iterator_traitsISG_E10value_typeEPNSM_ISH_E10value_typeEPSI_NS1_7vsmem_tEENKUlT_SG_SH_SI_E_clIS7_S7_SB_PlEESF_SV_SG_SH_SI_EUlSV_E0_NS1_11comp_targetILNS1_3genE9ELNS1_11target_archE1100ELNS1_3gpuE3ELNS1_3repE0EEENS1_38merge_mergepath_config_static_selectorELNS0_4arch9wavefront6targetE1EEEvSH_,"axG",@progbits,_ZN7rocprim17ROCPRIM_400000_NS6detail17trampoline_kernelINS0_14default_configENS1_38merge_sort_block_merge_config_selectorIflEEZZNS1_27merge_sort_block_merge_implIS3_PfN6thrust23THRUST_200600_302600_NS10device_ptrIlEEjNS1_19radix_merge_compareILb0ELb0EfNS0_19identity_decomposerEEEEE10hipError_tT0_T1_T2_jT3_P12ihipStream_tbPNSt15iterator_traitsISG_E10value_typeEPNSM_ISH_E10value_typeEPSI_NS1_7vsmem_tEENKUlT_SG_SH_SI_E_clIS7_S7_SB_PlEESF_SV_SG_SH_SI_EUlSV_E0_NS1_11comp_targetILNS1_3genE9ELNS1_11target_archE1100ELNS1_3gpuE3ELNS1_3repE0EEENS1_38merge_mergepath_config_static_selectorELNS0_4arch9wavefront6targetE1EEEvSH_,comdat
	.protected	_ZN7rocprim17ROCPRIM_400000_NS6detail17trampoline_kernelINS0_14default_configENS1_38merge_sort_block_merge_config_selectorIflEEZZNS1_27merge_sort_block_merge_implIS3_PfN6thrust23THRUST_200600_302600_NS10device_ptrIlEEjNS1_19radix_merge_compareILb0ELb0EfNS0_19identity_decomposerEEEEE10hipError_tT0_T1_T2_jT3_P12ihipStream_tbPNSt15iterator_traitsISG_E10value_typeEPNSM_ISH_E10value_typeEPSI_NS1_7vsmem_tEENKUlT_SG_SH_SI_E_clIS7_S7_SB_PlEESF_SV_SG_SH_SI_EUlSV_E0_NS1_11comp_targetILNS1_3genE9ELNS1_11target_archE1100ELNS1_3gpuE3ELNS1_3repE0EEENS1_38merge_mergepath_config_static_selectorELNS0_4arch9wavefront6targetE1EEEvSH_ ; -- Begin function _ZN7rocprim17ROCPRIM_400000_NS6detail17trampoline_kernelINS0_14default_configENS1_38merge_sort_block_merge_config_selectorIflEEZZNS1_27merge_sort_block_merge_implIS3_PfN6thrust23THRUST_200600_302600_NS10device_ptrIlEEjNS1_19radix_merge_compareILb0ELb0EfNS0_19identity_decomposerEEEEE10hipError_tT0_T1_T2_jT3_P12ihipStream_tbPNSt15iterator_traitsISG_E10value_typeEPNSM_ISH_E10value_typeEPSI_NS1_7vsmem_tEENKUlT_SG_SH_SI_E_clIS7_S7_SB_PlEESF_SV_SG_SH_SI_EUlSV_E0_NS1_11comp_targetILNS1_3genE9ELNS1_11target_archE1100ELNS1_3gpuE3ELNS1_3repE0EEENS1_38merge_mergepath_config_static_selectorELNS0_4arch9wavefront6targetE1EEEvSH_
	.globl	_ZN7rocprim17ROCPRIM_400000_NS6detail17trampoline_kernelINS0_14default_configENS1_38merge_sort_block_merge_config_selectorIflEEZZNS1_27merge_sort_block_merge_implIS3_PfN6thrust23THRUST_200600_302600_NS10device_ptrIlEEjNS1_19radix_merge_compareILb0ELb0EfNS0_19identity_decomposerEEEEE10hipError_tT0_T1_T2_jT3_P12ihipStream_tbPNSt15iterator_traitsISG_E10value_typeEPNSM_ISH_E10value_typeEPSI_NS1_7vsmem_tEENKUlT_SG_SH_SI_E_clIS7_S7_SB_PlEESF_SV_SG_SH_SI_EUlSV_E0_NS1_11comp_targetILNS1_3genE9ELNS1_11target_archE1100ELNS1_3gpuE3ELNS1_3repE0EEENS1_38merge_mergepath_config_static_selectorELNS0_4arch9wavefront6targetE1EEEvSH_
	.p2align	8
	.type	_ZN7rocprim17ROCPRIM_400000_NS6detail17trampoline_kernelINS0_14default_configENS1_38merge_sort_block_merge_config_selectorIflEEZZNS1_27merge_sort_block_merge_implIS3_PfN6thrust23THRUST_200600_302600_NS10device_ptrIlEEjNS1_19radix_merge_compareILb0ELb0EfNS0_19identity_decomposerEEEEE10hipError_tT0_T1_T2_jT3_P12ihipStream_tbPNSt15iterator_traitsISG_E10value_typeEPNSM_ISH_E10value_typeEPSI_NS1_7vsmem_tEENKUlT_SG_SH_SI_E_clIS7_S7_SB_PlEESF_SV_SG_SH_SI_EUlSV_E0_NS1_11comp_targetILNS1_3genE9ELNS1_11target_archE1100ELNS1_3gpuE3ELNS1_3repE0EEENS1_38merge_mergepath_config_static_selectorELNS0_4arch9wavefront6targetE1EEEvSH_,@function
_ZN7rocprim17ROCPRIM_400000_NS6detail17trampoline_kernelINS0_14default_configENS1_38merge_sort_block_merge_config_selectorIflEEZZNS1_27merge_sort_block_merge_implIS3_PfN6thrust23THRUST_200600_302600_NS10device_ptrIlEEjNS1_19radix_merge_compareILb0ELb0EfNS0_19identity_decomposerEEEEE10hipError_tT0_T1_T2_jT3_P12ihipStream_tbPNSt15iterator_traitsISG_E10value_typeEPNSM_ISH_E10value_typeEPSI_NS1_7vsmem_tEENKUlT_SG_SH_SI_E_clIS7_S7_SB_PlEESF_SV_SG_SH_SI_EUlSV_E0_NS1_11comp_targetILNS1_3genE9ELNS1_11target_archE1100ELNS1_3gpuE3ELNS1_3repE0EEENS1_38merge_mergepath_config_static_selectorELNS0_4arch9wavefront6targetE1EEEvSH_: ; @_ZN7rocprim17ROCPRIM_400000_NS6detail17trampoline_kernelINS0_14default_configENS1_38merge_sort_block_merge_config_selectorIflEEZZNS1_27merge_sort_block_merge_implIS3_PfN6thrust23THRUST_200600_302600_NS10device_ptrIlEEjNS1_19radix_merge_compareILb0ELb0EfNS0_19identity_decomposerEEEEE10hipError_tT0_T1_T2_jT3_P12ihipStream_tbPNSt15iterator_traitsISG_E10value_typeEPNSM_ISH_E10value_typeEPSI_NS1_7vsmem_tEENKUlT_SG_SH_SI_E_clIS7_S7_SB_PlEESF_SV_SG_SH_SI_EUlSV_E0_NS1_11comp_targetILNS1_3genE9ELNS1_11target_archE1100ELNS1_3gpuE3ELNS1_3repE0EEENS1_38merge_mergepath_config_static_selectorELNS0_4arch9wavefront6targetE1EEEvSH_
; %bb.0:
	.section	.rodata,"a",@progbits
	.p2align	6, 0x0
	.amdhsa_kernel _ZN7rocprim17ROCPRIM_400000_NS6detail17trampoline_kernelINS0_14default_configENS1_38merge_sort_block_merge_config_selectorIflEEZZNS1_27merge_sort_block_merge_implIS3_PfN6thrust23THRUST_200600_302600_NS10device_ptrIlEEjNS1_19radix_merge_compareILb0ELb0EfNS0_19identity_decomposerEEEEE10hipError_tT0_T1_T2_jT3_P12ihipStream_tbPNSt15iterator_traitsISG_E10value_typeEPNSM_ISH_E10value_typeEPSI_NS1_7vsmem_tEENKUlT_SG_SH_SI_E_clIS7_S7_SB_PlEESF_SV_SG_SH_SI_EUlSV_E0_NS1_11comp_targetILNS1_3genE9ELNS1_11target_archE1100ELNS1_3gpuE3ELNS1_3repE0EEENS1_38merge_mergepath_config_static_selectorELNS0_4arch9wavefront6targetE1EEEvSH_
		.amdhsa_group_segment_fixed_size 0
		.amdhsa_private_segment_fixed_size 0
		.amdhsa_kernarg_size 64
		.amdhsa_user_sgpr_count 6
		.amdhsa_user_sgpr_private_segment_buffer 1
		.amdhsa_user_sgpr_dispatch_ptr 0
		.amdhsa_user_sgpr_queue_ptr 0
		.amdhsa_user_sgpr_kernarg_segment_ptr 1
		.amdhsa_user_sgpr_dispatch_id 0
		.amdhsa_user_sgpr_flat_scratch_init 0
		.amdhsa_user_sgpr_private_segment_size 0
		.amdhsa_uses_dynamic_stack 0
		.amdhsa_system_sgpr_private_segment_wavefront_offset 0
		.amdhsa_system_sgpr_workgroup_id_x 1
		.amdhsa_system_sgpr_workgroup_id_y 0
		.amdhsa_system_sgpr_workgroup_id_z 0
		.amdhsa_system_sgpr_workgroup_info 0
		.amdhsa_system_vgpr_workitem_id 0
		.amdhsa_next_free_vgpr 1
		.amdhsa_next_free_sgpr 0
		.amdhsa_reserve_vcc 0
		.amdhsa_reserve_flat_scratch 0
		.amdhsa_float_round_mode_32 0
		.amdhsa_float_round_mode_16_64 0
		.amdhsa_float_denorm_mode_32 3
		.amdhsa_float_denorm_mode_16_64 3
		.amdhsa_dx10_clamp 1
		.amdhsa_ieee_mode 1
		.amdhsa_fp16_overflow 0
		.amdhsa_exception_fp_ieee_invalid_op 0
		.amdhsa_exception_fp_denorm_src 0
		.amdhsa_exception_fp_ieee_div_zero 0
		.amdhsa_exception_fp_ieee_overflow 0
		.amdhsa_exception_fp_ieee_underflow 0
		.amdhsa_exception_fp_ieee_inexact 0
		.amdhsa_exception_int_div_zero 0
	.end_amdhsa_kernel
	.section	.text._ZN7rocprim17ROCPRIM_400000_NS6detail17trampoline_kernelINS0_14default_configENS1_38merge_sort_block_merge_config_selectorIflEEZZNS1_27merge_sort_block_merge_implIS3_PfN6thrust23THRUST_200600_302600_NS10device_ptrIlEEjNS1_19radix_merge_compareILb0ELb0EfNS0_19identity_decomposerEEEEE10hipError_tT0_T1_T2_jT3_P12ihipStream_tbPNSt15iterator_traitsISG_E10value_typeEPNSM_ISH_E10value_typeEPSI_NS1_7vsmem_tEENKUlT_SG_SH_SI_E_clIS7_S7_SB_PlEESF_SV_SG_SH_SI_EUlSV_E0_NS1_11comp_targetILNS1_3genE9ELNS1_11target_archE1100ELNS1_3gpuE3ELNS1_3repE0EEENS1_38merge_mergepath_config_static_selectorELNS0_4arch9wavefront6targetE1EEEvSH_,"axG",@progbits,_ZN7rocprim17ROCPRIM_400000_NS6detail17trampoline_kernelINS0_14default_configENS1_38merge_sort_block_merge_config_selectorIflEEZZNS1_27merge_sort_block_merge_implIS3_PfN6thrust23THRUST_200600_302600_NS10device_ptrIlEEjNS1_19radix_merge_compareILb0ELb0EfNS0_19identity_decomposerEEEEE10hipError_tT0_T1_T2_jT3_P12ihipStream_tbPNSt15iterator_traitsISG_E10value_typeEPNSM_ISH_E10value_typeEPSI_NS1_7vsmem_tEENKUlT_SG_SH_SI_E_clIS7_S7_SB_PlEESF_SV_SG_SH_SI_EUlSV_E0_NS1_11comp_targetILNS1_3genE9ELNS1_11target_archE1100ELNS1_3gpuE3ELNS1_3repE0EEENS1_38merge_mergepath_config_static_selectorELNS0_4arch9wavefront6targetE1EEEvSH_,comdat
.Lfunc_end1798:
	.size	_ZN7rocprim17ROCPRIM_400000_NS6detail17trampoline_kernelINS0_14default_configENS1_38merge_sort_block_merge_config_selectorIflEEZZNS1_27merge_sort_block_merge_implIS3_PfN6thrust23THRUST_200600_302600_NS10device_ptrIlEEjNS1_19radix_merge_compareILb0ELb0EfNS0_19identity_decomposerEEEEE10hipError_tT0_T1_T2_jT3_P12ihipStream_tbPNSt15iterator_traitsISG_E10value_typeEPNSM_ISH_E10value_typeEPSI_NS1_7vsmem_tEENKUlT_SG_SH_SI_E_clIS7_S7_SB_PlEESF_SV_SG_SH_SI_EUlSV_E0_NS1_11comp_targetILNS1_3genE9ELNS1_11target_archE1100ELNS1_3gpuE3ELNS1_3repE0EEENS1_38merge_mergepath_config_static_selectorELNS0_4arch9wavefront6targetE1EEEvSH_, .Lfunc_end1798-_ZN7rocprim17ROCPRIM_400000_NS6detail17trampoline_kernelINS0_14default_configENS1_38merge_sort_block_merge_config_selectorIflEEZZNS1_27merge_sort_block_merge_implIS3_PfN6thrust23THRUST_200600_302600_NS10device_ptrIlEEjNS1_19radix_merge_compareILb0ELb0EfNS0_19identity_decomposerEEEEE10hipError_tT0_T1_T2_jT3_P12ihipStream_tbPNSt15iterator_traitsISG_E10value_typeEPNSM_ISH_E10value_typeEPSI_NS1_7vsmem_tEENKUlT_SG_SH_SI_E_clIS7_S7_SB_PlEESF_SV_SG_SH_SI_EUlSV_E0_NS1_11comp_targetILNS1_3genE9ELNS1_11target_archE1100ELNS1_3gpuE3ELNS1_3repE0EEENS1_38merge_mergepath_config_static_selectorELNS0_4arch9wavefront6targetE1EEEvSH_
                                        ; -- End function
	.set _ZN7rocprim17ROCPRIM_400000_NS6detail17trampoline_kernelINS0_14default_configENS1_38merge_sort_block_merge_config_selectorIflEEZZNS1_27merge_sort_block_merge_implIS3_PfN6thrust23THRUST_200600_302600_NS10device_ptrIlEEjNS1_19radix_merge_compareILb0ELb0EfNS0_19identity_decomposerEEEEE10hipError_tT0_T1_T2_jT3_P12ihipStream_tbPNSt15iterator_traitsISG_E10value_typeEPNSM_ISH_E10value_typeEPSI_NS1_7vsmem_tEENKUlT_SG_SH_SI_E_clIS7_S7_SB_PlEESF_SV_SG_SH_SI_EUlSV_E0_NS1_11comp_targetILNS1_3genE9ELNS1_11target_archE1100ELNS1_3gpuE3ELNS1_3repE0EEENS1_38merge_mergepath_config_static_selectorELNS0_4arch9wavefront6targetE1EEEvSH_.num_vgpr, 0
	.set _ZN7rocprim17ROCPRIM_400000_NS6detail17trampoline_kernelINS0_14default_configENS1_38merge_sort_block_merge_config_selectorIflEEZZNS1_27merge_sort_block_merge_implIS3_PfN6thrust23THRUST_200600_302600_NS10device_ptrIlEEjNS1_19radix_merge_compareILb0ELb0EfNS0_19identity_decomposerEEEEE10hipError_tT0_T1_T2_jT3_P12ihipStream_tbPNSt15iterator_traitsISG_E10value_typeEPNSM_ISH_E10value_typeEPSI_NS1_7vsmem_tEENKUlT_SG_SH_SI_E_clIS7_S7_SB_PlEESF_SV_SG_SH_SI_EUlSV_E0_NS1_11comp_targetILNS1_3genE9ELNS1_11target_archE1100ELNS1_3gpuE3ELNS1_3repE0EEENS1_38merge_mergepath_config_static_selectorELNS0_4arch9wavefront6targetE1EEEvSH_.num_agpr, 0
	.set _ZN7rocprim17ROCPRIM_400000_NS6detail17trampoline_kernelINS0_14default_configENS1_38merge_sort_block_merge_config_selectorIflEEZZNS1_27merge_sort_block_merge_implIS3_PfN6thrust23THRUST_200600_302600_NS10device_ptrIlEEjNS1_19radix_merge_compareILb0ELb0EfNS0_19identity_decomposerEEEEE10hipError_tT0_T1_T2_jT3_P12ihipStream_tbPNSt15iterator_traitsISG_E10value_typeEPNSM_ISH_E10value_typeEPSI_NS1_7vsmem_tEENKUlT_SG_SH_SI_E_clIS7_S7_SB_PlEESF_SV_SG_SH_SI_EUlSV_E0_NS1_11comp_targetILNS1_3genE9ELNS1_11target_archE1100ELNS1_3gpuE3ELNS1_3repE0EEENS1_38merge_mergepath_config_static_selectorELNS0_4arch9wavefront6targetE1EEEvSH_.numbered_sgpr, 0
	.set _ZN7rocprim17ROCPRIM_400000_NS6detail17trampoline_kernelINS0_14default_configENS1_38merge_sort_block_merge_config_selectorIflEEZZNS1_27merge_sort_block_merge_implIS3_PfN6thrust23THRUST_200600_302600_NS10device_ptrIlEEjNS1_19radix_merge_compareILb0ELb0EfNS0_19identity_decomposerEEEEE10hipError_tT0_T1_T2_jT3_P12ihipStream_tbPNSt15iterator_traitsISG_E10value_typeEPNSM_ISH_E10value_typeEPSI_NS1_7vsmem_tEENKUlT_SG_SH_SI_E_clIS7_S7_SB_PlEESF_SV_SG_SH_SI_EUlSV_E0_NS1_11comp_targetILNS1_3genE9ELNS1_11target_archE1100ELNS1_3gpuE3ELNS1_3repE0EEENS1_38merge_mergepath_config_static_selectorELNS0_4arch9wavefront6targetE1EEEvSH_.num_named_barrier, 0
	.set _ZN7rocprim17ROCPRIM_400000_NS6detail17trampoline_kernelINS0_14default_configENS1_38merge_sort_block_merge_config_selectorIflEEZZNS1_27merge_sort_block_merge_implIS3_PfN6thrust23THRUST_200600_302600_NS10device_ptrIlEEjNS1_19radix_merge_compareILb0ELb0EfNS0_19identity_decomposerEEEEE10hipError_tT0_T1_T2_jT3_P12ihipStream_tbPNSt15iterator_traitsISG_E10value_typeEPNSM_ISH_E10value_typeEPSI_NS1_7vsmem_tEENKUlT_SG_SH_SI_E_clIS7_S7_SB_PlEESF_SV_SG_SH_SI_EUlSV_E0_NS1_11comp_targetILNS1_3genE9ELNS1_11target_archE1100ELNS1_3gpuE3ELNS1_3repE0EEENS1_38merge_mergepath_config_static_selectorELNS0_4arch9wavefront6targetE1EEEvSH_.private_seg_size, 0
	.set _ZN7rocprim17ROCPRIM_400000_NS6detail17trampoline_kernelINS0_14default_configENS1_38merge_sort_block_merge_config_selectorIflEEZZNS1_27merge_sort_block_merge_implIS3_PfN6thrust23THRUST_200600_302600_NS10device_ptrIlEEjNS1_19radix_merge_compareILb0ELb0EfNS0_19identity_decomposerEEEEE10hipError_tT0_T1_T2_jT3_P12ihipStream_tbPNSt15iterator_traitsISG_E10value_typeEPNSM_ISH_E10value_typeEPSI_NS1_7vsmem_tEENKUlT_SG_SH_SI_E_clIS7_S7_SB_PlEESF_SV_SG_SH_SI_EUlSV_E0_NS1_11comp_targetILNS1_3genE9ELNS1_11target_archE1100ELNS1_3gpuE3ELNS1_3repE0EEENS1_38merge_mergepath_config_static_selectorELNS0_4arch9wavefront6targetE1EEEvSH_.uses_vcc, 0
	.set _ZN7rocprim17ROCPRIM_400000_NS6detail17trampoline_kernelINS0_14default_configENS1_38merge_sort_block_merge_config_selectorIflEEZZNS1_27merge_sort_block_merge_implIS3_PfN6thrust23THRUST_200600_302600_NS10device_ptrIlEEjNS1_19radix_merge_compareILb0ELb0EfNS0_19identity_decomposerEEEEE10hipError_tT0_T1_T2_jT3_P12ihipStream_tbPNSt15iterator_traitsISG_E10value_typeEPNSM_ISH_E10value_typeEPSI_NS1_7vsmem_tEENKUlT_SG_SH_SI_E_clIS7_S7_SB_PlEESF_SV_SG_SH_SI_EUlSV_E0_NS1_11comp_targetILNS1_3genE9ELNS1_11target_archE1100ELNS1_3gpuE3ELNS1_3repE0EEENS1_38merge_mergepath_config_static_selectorELNS0_4arch9wavefront6targetE1EEEvSH_.uses_flat_scratch, 0
	.set _ZN7rocprim17ROCPRIM_400000_NS6detail17trampoline_kernelINS0_14default_configENS1_38merge_sort_block_merge_config_selectorIflEEZZNS1_27merge_sort_block_merge_implIS3_PfN6thrust23THRUST_200600_302600_NS10device_ptrIlEEjNS1_19radix_merge_compareILb0ELb0EfNS0_19identity_decomposerEEEEE10hipError_tT0_T1_T2_jT3_P12ihipStream_tbPNSt15iterator_traitsISG_E10value_typeEPNSM_ISH_E10value_typeEPSI_NS1_7vsmem_tEENKUlT_SG_SH_SI_E_clIS7_S7_SB_PlEESF_SV_SG_SH_SI_EUlSV_E0_NS1_11comp_targetILNS1_3genE9ELNS1_11target_archE1100ELNS1_3gpuE3ELNS1_3repE0EEENS1_38merge_mergepath_config_static_selectorELNS0_4arch9wavefront6targetE1EEEvSH_.has_dyn_sized_stack, 0
	.set _ZN7rocprim17ROCPRIM_400000_NS6detail17trampoline_kernelINS0_14default_configENS1_38merge_sort_block_merge_config_selectorIflEEZZNS1_27merge_sort_block_merge_implIS3_PfN6thrust23THRUST_200600_302600_NS10device_ptrIlEEjNS1_19radix_merge_compareILb0ELb0EfNS0_19identity_decomposerEEEEE10hipError_tT0_T1_T2_jT3_P12ihipStream_tbPNSt15iterator_traitsISG_E10value_typeEPNSM_ISH_E10value_typeEPSI_NS1_7vsmem_tEENKUlT_SG_SH_SI_E_clIS7_S7_SB_PlEESF_SV_SG_SH_SI_EUlSV_E0_NS1_11comp_targetILNS1_3genE9ELNS1_11target_archE1100ELNS1_3gpuE3ELNS1_3repE0EEENS1_38merge_mergepath_config_static_selectorELNS0_4arch9wavefront6targetE1EEEvSH_.has_recursion, 0
	.set _ZN7rocprim17ROCPRIM_400000_NS6detail17trampoline_kernelINS0_14default_configENS1_38merge_sort_block_merge_config_selectorIflEEZZNS1_27merge_sort_block_merge_implIS3_PfN6thrust23THRUST_200600_302600_NS10device_ptrIlEEjNS1_19radix_merge_compareILb0ELb0EfNS0_19identity_decomposerEEEEE10hipError_tT0_T1_T2_jT3_P12ihipStream_tbPNSt15iterator_traitsISG_E10value_typeEPNSM_ISH_E10value_typeEPSI_NS1_7vsmem_tEENKUlT_SG_SH_SI_E_clIS7_S7_SB_PlEESF_SV_SG_SH_SI_EUlSV_E0_NS1_11comp_targetILNS1_3genE9ELNS1_11target_archE1100ELNS1_3gpuE3ELNS1_3repE0EEENS1_38merge_mergepath_config_static_selectorELNS0_4arch9wavefront6targetE1EEEvSH_.has_indirect_call, 0
	.section	.AMDGPU.csdata,"",@progbits
; Kernel info:
; codeLenInByte = 0
; TotalNumSgprs: 4
; NumVgprs: 0
; ScratchSize: 0
; MemoryBound: 0
; FloatMode: 240
; IeeeMode: 1
; LDSByteSize: 0 bytes/workgroup (compile time only)
; SGPRBlocks: 0
; VGPRBlocks: 0
; NumSGPRsForWavesPerEU: 4
; NumVGPRsForWavesPerEU: 1
; Occupancy: 10
; WaveLimiterHint : 0
; COMPUTE_PGM_RSRC2:SCRATCH_EN: 0
; COMPUTE_PGM_RSRC2:USER_SGPR: 6
; COMPUTE_PGM_RSRC2:TRAP_HANDLER: 0
; COMPUTE_PGM_RSRC2:TGID_X_EN: 1
; COMPUTE_PGM_RSRC2:TGID_Y_EN: 0
; COMPUTE_PGM_RSRC2:TGID_Z_EN: 0
; COMPUTE_PGM_RSRC2:TIDIG_COMP_CNT: 0
	.section	.text._ZN7rocprim17ROCPRIM_400000_NS6detail17trampoline_kernelINS0_14default_configENS1_38merge_sort_block_merge_config_selectorIflEEZZNS1_27merge_sort_block_merge_implIS3_PfN6thrust23THRUST_200600_302600_NS10device_ptrIlEEjNS1_19radix_merge_compareILb0ELb0EfNS0_19identity_decomposerEEEEE10hipError_tT0_T1_T2_jT3_P12ihipStream_tbPNSt15iterator_traitsISG_E10value_typeEPNSM_ISH_E10value_typeEPSI_NS1_7vsmem_tEENKUlT_SG_SH_SI_E_clIS7_S7_SB_PlEESF_SV_SG_SH_SI_EUlSV_E0_NS1_11comp_targetILNS1_3genE8ELNS1_11target_archE1030ELNS1_3gpuE2ELNS1_3repE0EEENS1_38merge_mergepath_config_static_selectorELNS0_4arch9wavefront6targetE1EEEvSH_,"axG",@progbits,_ZN7rocprim17ROCPRIM_400000_NS6detail17trampoline_kernelINS0_14default_configENS1_38merge_sort_block_merge_config_selectorIflEEZZNS1_27merge_sort_block_merge_implIS3_PfN6thrust23THRUST_200600_302600_NS10device_ptrIlEEjNS1_19radix_merge_compareILb0ELb0EfNS0_19identity_decomposerEEEEE10hipError_tT0_T1_T2_jT3_P12ihipStream_tbPNSt15iterator_traitsISG_E10value_typeEPNSM_ISH_E10value_typeEPSI_NS1_7vsmem_tEENKUlT_SG_SH_SI_E_clIS7_S7_SB_PlEESF_SV_SG_SH_SI_EUlSV_E0_NS1_11comp_targetILNS1_3genE8ELNS1_11target_archE1030ELNS1_3gpuE2ELNS1_3repE0EEENS1_38merge_mergepath_config_static_selectorELNS0_4arch9wavefront6targetE1EEEvSH_,comdat
	.protected	_ZN7rocprim17ROCPRIM_400000_NS6detail17trampoline_kernelINS0_14default_configENS1_38merge_sort_block_merge_config_selectorIflEEZZNS1_27merge_sort_block_merge_implIS3_PfN6thrust23THRUST_200600_302600_NS10device_ptrIlEEjNS1_19radix_merge_compareILb0ELb0EfNS0_19identity_decomposerEEEEE10hipError_tT0_T1_T2_jT3_P12ihipStream_tbPNSt15iterator_traitsISG_E10value_typeEPNSM_ISH_E10value_typeEPSI_NS1_7vsmem_tEENKUlT_SG_SH_SI_E_clIS7_S7_SB_PlEESF_SV_SG_SH_SI_EUlSV_E0_NS1_11comp_targetILNS1_3genE8ELNS1_11target_archE1030ELNS1_3gpuE2ELNS1_3repE0EEENS1_38merge_mergepath_config_static_selectorELNS0_4arch9wavefront6targetE1EEEvSH_ ; -- Begin function _ZN7rocprim17ROCPRIM_400000_NS6detail17trampoline_kernelINS0_14default_configENS1_38merge_sort_block_merge_config_selectorIflEEZZNS1_27merge_sort_block_merge_implIS3_PfN6thrust23THRUST_200600_302600_NS10device_ptrIlEEjNS1_19radix_merge_compareILb0ELb0EfNS0_19identity_decomposerEEEEE10hipError_tT0_T1_T2_jT3_P12ihipStream_tbPNSt15iterator_traitsISG_E10value_typeEPNSM_ISH_E10value_typeEPSI_NS1_7vsmem_tEENKUlT_SG_SH_SI_E_clIS7_S7_SB_PlEESF_SV_SG_SH_SI_EUlSV_E0_NS1_11comp_targetILNS1_3genE8ELNS1_11target_archE1030ELNS1_3gpuE2ELNS1_3repE0EEENS1_38merge_mergepath_config_static_selectorELNS0_4arch9wavefront6targetE1EEEvSH_
	.globl	_ZN7rocprim17ROCPRIM_400000_NS6detail17trampoline_kernelINS0_14default_configENS1_38merge_sort_block_merge_config_selectorIflEEZZNS1_27merge_sort_block_merge_implIS3_PfN6thrust23THRUST_200600_302600_NS10device_ptrIlEEjNS1_19radix_merge_compareILb0ELb0EfNS0_19identity_decomposerEEEEE10hipError_tT0_T1_T2_jT3_P12ihipStream_tbPNSt15iterator_traitsISG_E10value_typeEPNSM_ISH_E10value_typeEPSI_NS1_7vsmem_tEENKUlT_SG_SH_SI_E_clIS7_S7_SB_PlEESF_SV_SG_SH_SI_EUlSV_E0_NS1_11comp_targetILNS1_3genE8ELNS1_11target_archE1030ELNS1_3gpuE2ELNS1_3repE0EEENS1_38merge_mergepath_config_static_selectorELNS0_4arch9wavefront6targetE1EEEvSH_
	.p2align	8
	.type	_ZN7rocprim17ROCPRIM_400000_NS6detail17trampoline_kernelINS0_14default_configENS1_38merge_sort_block_merge_config_selectorIflEEZZNS1_27merge_sort_block_merge_implIS3_PfN6thrust23THRUST_200600_302600_NS10device_ptrIlEEjNS1_19radix_merge_compareILb0ELb0EfNS0_19identity_decomposerEEEEE10hipError_tT0_T1_T2_jT3_P12ihipStream_tbPNSt15iterator_traitsISG_E10value_typeEPNSM_ISH_E10value_typeEPSI_NS1_7vsmem_tEENKUlT_SG_SH_SI_E_clIS7_S7_SB_PlEESF_SV_SG_SH_SI_EUlSV_E0_NS1_11comp_targetILNS1_3genE8ELNS1_11target_archE1030ELNS1_3gpuE2ELNS1_3repE0EEENS1_38merge_mergepath_config_static_selectorELNS0_4arch9wavefront6targetE1EEEvSH_,@function
_ZN7rocprim17ROCPRIM_400000_NS6detail17trampoline_kernelINS0_14default_configENS1_38merge_sort_block_merge_config_selectorIflEEZZNS1_27merge_sort_block_merge_implIS3_PfN6thrust23THRUST_200600_302600_NS10device_ptrIlEEjNS1_19radix_merge_compareILb0ELb0EfNS0_19identity_decomposerEEEEE10hipError_tT0_T1_T2_jT3_P12ihipStream_tbPNSt15iterator_traitsISG_E10value_typeEPNSM_ISH_E10value_typeEPSI_NS1_7vsmem_tEENKUlT_SG_SH_SI_E_clIS7_S7_SB_PlEESF_SV_SG_SH_SI_EUlSV_E0_NS1_11comp_targetILNS1_3genE8ELNS1_11target_archE1030ELNS1_3gpuE2ELNS1_3repE0EEENS1_38merge_mergepath_config_static_selectorELNS0_4arch9wavefront6targetE1EEEvSH_: ; @_ZN7rocprim17ROCPRIM_400000_NS6detail17trampoline_kernelINS0_14default_configENS1_38merge_sort_block_merge_config_selectorIflEEZZNS1_27merge_sort_block_merge_implIS3_PfN6thrust23THRUST_200600_302600_NS10device_ptrIlEEjNS1_19radix_merge_compareILb0ELb0EfNS0_19identity_decomposerEEEEE10hipError_tT0_T1_T2_jT3_P12ihipStream_tbPNSt15iterator_traitsISG_E10value_typeEPNSM_ISH_E10value_typeEPSI_NS1_7vsmem_tEENKUlT_SG_SH_SI_E_clIS7_S7_SB_PlEESF_SV_SG_SH_SI_EUlSV_E0_NS1_11comp_targetILNS1_3genE8ELNS1_11target_archE1030ELNS1_3gpuE2ELNS1_3repE0EEENS1_38merge_mergepath_config_static_selectorELNS0_4arch9wavefront6targetE1EEEvSH_
; %bb.0:
	.section	.rodata,"a",@progbits
	.p2align	6, 0x0
	.amdhsa_kernel _ZN7rocprim17ROCPRIM_400000_NS6detail17trampoline_kernelINS0_14default_configENS1_38merge_sort_block_merge_config_selectorIflEEZZNS1_27merge_sort_block_merge_implIS3_PfN6thrust23THRUST_200600_302600_NS10device_ptrIlEEjNS1_19radix_merge_compareILb0ELb0EfNS0_19identity_decomposerEEEEE10hipError_tT0_T1_T2_jT3_P12ihipStream_tbPNSt15iterator_traitsISG_E10value_typeEPNSM_ISH_E10value_typeEPSI_NS1_7vsmem_tEENKUlT_SG_SH_SI_E_clIS7_S7_SB_PlEESF_SV_SG_SH_SI_EUlSV_E0_NS1_11comp_targetILNS1_3genE8ELNS1_11target_archE1030ELNS1_3gpuE2ELNS1_3repE0EEENS1_38merge_mergepath_config_static_selectorELNS0_4arch9wavefront6targetE1EEEvSH_
		.amdhsa_group_segment_fixed_size 0
		.amdhsa_private_segment_fixed_size 0
		.amdhsa_kernarg_size 64
		.amdhsa_user_sgpr_count 6
		.amdhsa_user_sgpr_private_segment_buffer 1
		.amdhsa_user_sgpr_dispatch_ptr 0
		.amdhsa_user_sgpr_queue_ptr 0
		.amdhsa_user_sgpr_kernarg_segment_ptr 1
		.amdhsa_user_sgpr_dispatch_id 0
		.amdhsa_user_sgpr_flat_scratch_init 0
		.amdhsa_user_sgpr_private_segment_size 0
		.amdhsa_uses_dynamic_stack 0
		.amdhsa_system_sgpr_private_segment_wavefront_offset 0
		.amdhsa_system_sgpr_workgroup_id_x 1
		.amdhsa_system_sgpr_workgroup_id_y 0
		.amdhsa_system_sgpr_workgroup_id_z 0
		.amdhsa_system_sgpr_workgroup_info 0
		.amdhsa_system_vgpr_workitem_id 0
		.amdhsa_next_free_vgpr 1
		.amdhsa_next_free_sgpr 0
		.amdhsa_reserve_vcc 0
		.amdhsa_reserve_flat_scratch 0
		.amdhsa_float_round_mode_32 0
		.amdhsa_float_round_mode_16_64 0
		.amdhsa_float_denorm_mode_32 3
		.amdhsa_float_denorm_mode_16_64 3
		.amdhsa_dx10_clamp 1
		.amdhsa_ieee_mode 1
		.amdhsa_fp16_overflow 0
		.amdhsa_exception_fp_ieee_invalid_op 0
		.amdhsa_exception_fp_denorm_src 0
		.amdhsa_exception_fp_ieee_div_zero 0
		.amdhsa_exception_fp_ieee_overflow 0
		.amdhsa_exception_fp_ieee_underflow 0
		.amdhsa_exception_fp_ieee_inexact 0
		.amdhsa_exception_int_div_zero 0
	.end_amdhsa_kernel
	.section	.text._ZN7rocprim17ROCPRIM_400000_NS6detail17trampoline_kernelINS0_14default_configENS1_38merge_sort_block_merge_config_selectorIflEEZZNS1_27merge_sort_block_merge_implIS3_PfN6thrust23THRUST_200600_302600_NS10device_ptrIlEEjNS1_19radix_merge_compareILb0ELb0EfNS0_19identity_decomposerEEEEE10hipError_tT0_T1_T2_jT3_P12ihipStream_tbPNSt15iterator_traitsISG_E10value_typeEPNSM_ISH_E10value_typeEPSI_NS1_7vsmem_tEENKUlT_SG_SH_SI_E_clIS7_S7_SB_PlEESF_SV_SG_SH_SI_EUlSV_E0_NS1_11comp_targetILNS1_3genE8ELNS1_11target_archE1030ELNS1_3gpuE2ELNS1_3repE0EEENS1_38merge_mergepath_config_static_selectorELNS0_4arch9wavefront6targetE1EEEvSH_,"axG",@progbits,_ZN7rocprim17ROCPRIM_400000_NS6detail17trampoline_kernelINS0_14default_configENS1_38merge_sort_block_merge_config_selectorIflEEZZNS1_27merge_sort_block_merge_implIS3_PfN6thrust23THRUST_200600_302600_NS10device_ptrIlEEjNS1_19radix_merge_compareILb0ELb0EfNS0_19identity_decomposerEEEEE10hipError_tT0_T1_T2_jT3_P12ihipStream_tbPNSt15iterator_traitsISG_E10value_typeEPNSM_ISH_E10value_typeEPSI_NS1_7vsmem_tEENKUlT_SG_SH_SI_E_clIS7_S7_SB_PlEESF_SV_SG_SH_SI_EUlSV_E0_NS1_11comp_targetILNS1_3genE8ELNS1_11target_archE1030ELNS1_3gpuE2ELNS1_3repE0EEENS1_38merge_mergepath_config_static_selectorELNS0_4arch9wavefront6targetE1EEEvSH_,comdat
.Lfunc_end1799:
	.size	_ZN7rocprim17ROCPRIM_400000_NS6detail17trampoline_kernelINS0_14default_configENS1_38merge_sort_block_merge_config_selectorIflEEZZNS1_27merge_sort_block_merge_implIS3_PfN6thrust23THRUST_200600_302600_NS10device_ptrIlEEjNS1_19radix_merge_compareILb0ELb0EfNS0_19identity_decomposerEEEEE10hipError_tT0_T1_T2_jT3_P12ihipStream_tbPNSt15iterator_traitsISG_E10value_typeEPNSM_ISH_E10value_typeEPSI_NS1_7vsmem_tEENKUlT_SG_SH_SI_E_clIS7_S7_SB_PlEESF_SV_SG_SH_SI_EUlSV_E0_NS1_11comp_targetILNS1_3genE8ELNS1_11target_archE1030ELNS1_3gpuE2ELNS1_3repE0EEENS1_38merge_mergepath_config_static_selectorELNS0_4arch9wavefront6targetE1EEEvSH_, .Lfunc_end1799-_ZN7rocprim17ROCPRIM_400000_NS6detail17trampoline_kernelINS0_14default_configENS1_38merge_sort_block_merge_config_selectorIflEEZZNS1_27merge_sort_block_merge_implIS3_PfN6thrust23THRUST_200600_302600_NS10device_ptrIlEEjNS1_19radix_merge_compareILb0ELb0EfNS0_19identity_decomposerEEEEE10hipError_tT0_T1_T2_jT3_P12ihipStream_tbPNSt15iterator_traitsISG_E10value_typeEPNSM_ISH_E10value_typeEPSI_NS1_7vsmem_tEENKUlT_SG_SH_SI_E_clIS7_S7_SB_PlEESF_SV_SG_SH_SI_EUlSV_E0_NS1_11comp_targetILNS1_3genE8ELNS1_11target_archE1030ELNS1_3gpuE2ELNS1_3repE0EEENS1_38merge_mergepath_config_static_selectorELNS0_4arch9wavefront6targetE1EEEvSH_
                                        ; -- End function
	.set _ZN7rocprim17ROCPRIM_400000_NS6detail17trampoline_kernelINS0_14default_configENS1_38merge_sort_block_merge_config_selectorIflEEZZNS1_27merge_sort_block_merge_implIS3_PfN6thrust23THRUST_200600_302600_NS10device_ptrIlEEjNS1_19radix_merge_compareILb0ELb0EfNS0_19identity_decomposerEEEEE10hipError_tT0_T1_T2_jT3_P12ihipStream_tbPNSt15iterator_traitsISG_E10value_typeEPNSM_ISH_E10value_typeEPSI_NS1_7vsmem_tEENKUlT_SG_SH_SI_E_clIS7_S7_SB_PlEESF_SV_SG_SH_SI_EUlSV_E0_NS1_11comp_targetILNS1_3genE8ELNS1_11target_archE1030ELNS1_3gpuE2ELNS1_3repE0EEENS1_38merge_mergepath_config_static_selectorELNS0_4arch9wavefront6targetE1EEEvSH_.num_vgpr, 0
	.set _ZN7rocprim17ROCPRIM_400000_NS6detail17trampoline_kernelINS0_14default_configENS1_38merge_sort_block_merge_config_selectorIflEEZZNS1_27merge_sort_block_merge_implIS3_PfN6thrust23THRUST_200600_302600_NS10device_ptrIlEEjNS1_19radix_merge_compareILb0ELb0EfNS0_19identity_decomposerEEEEE10hipError_tT0_T1_T2_jT3_P12ihipStream_tbPNSt15iterator_traitsISG_E10value_typeEPNSM_ISH_E10value_typeEPSI_NS1_7vsmem_tEENKUlT_SG_SH_SI_E_clIS7_S7_SB_PlEESF_SV_SG_SH_SI_EUlSV_E0_NS1_11comp_targetILNS1_3genE8ELNS1_11target_archE1030ELNS1_3gpuE2ELNS1_3repE0EEENS1_38merge_mergepath_config_static_selectorELNS0_4arch9wavefront6targetE1EEEvSH_.num_agpr, 0
	.set _ZN7rocprim17ROCPRIM_400000_NS6detail17trampoline_kernelINS0_14default_configENS1_38merge_sort_block_merge_config_selectorIflEEZZNS1_27merge_sort_block_merge_implIS3_PfN6thrust23THRUST_200600_302600_NS10device_ptrIlEEjNS1_19radix_merge_compareILb0ELb0EfNS0_19identity_decomposerEEEEE10hipError_tT0_T1_T2_jT3_P12ihipStream_tbPNSt15iterator_traitsISG_E10value_typeEPNSM_ISH_E10value_typeEPSI_NS1_7vsmem_tEENKUlT_SG_SH_SI_E_clIS7_S7_SB_PlEESF_SV_SG_SH_SI_EUlSV_E0_NS1_11comp_targetILNS1_3genE8ELNS1_11target_archE1030ELNS1_3gpuE2ELNS1_3repE0EEENS1_38merge_mergepath_config_static_selectorELNS0_4arch9wavefront6targetE1EEEvSH_.numbered_sgpr, 0
	.set _ZN7rocprim17ROCPRIM_400000_NS6detail17trampoline_kernelINS0_14default_configENS1_38merge_sort_block_merge_config_selectorIflEEZZNS1_27merge_sort_block_merge_implIS3_PfN6thrust23THRUST_200600_302600_NS10device_ptrIlEEjNS1_19radix_merge_compareILb0ELb0EfNS0_19identity_decomposerEEEEE10hipError_tT0_T1_T2_jT3_P12ihipStream_tbPNSt15iterator_traitsISG_E10value_typeEPNSM_ISH_E10value_typeEPSI_NS1_7vsmem_tEENKUlT_SG_SH_SI_E_clIS7_S7_SB_PlEESF_SV_SG_SH_SI_EUlSV_E0_NS1_11comp_targetILNS1_3genE8ELNS1_11target_archE1030ELNS1_3gpuE2ELNS1_3repE0EEENS1_38merge_mergepath_config_static_selectorELNS0_4arch9wavefront6targetE1EEEvSH_.num_named_barrier, 0
	.set _ZN7rocprim17ROCPRIM_400000_NS6detail17trampoline_kernelINS0_14default_configENS1_38merge_sort_block_merge_config_selectorIflEEZZNS1_27merge_sort_block_merge_implIS3_PfN6thrust23THRUST_200600_302600_NS10device_ptrIlEEjNS1_19radix_merge_compareILb0ELb0EfNS0_19identity_decomposerEEEEE10hipError_tT0_T1_T2_jT3_P12ihipStream_tbPNSt15iterator_traitsISG_E10value_typeEPNSM_ISH_E10value_typeEPSI_NS1_7vsmem_tEENKUlT_SG_SH_SI_E_clIS7_S7_SB_PlEESF_SV_SG_SH_SI_EUlSV_E0_NS1_11comp_targetILNS1_3genE8ELNS1_11target_archE1030ELNS1_3gpuE2ELNS1_3repE0EEENS1_38merge_mergepath_config_static_selectorELNS0_4arch9wavefront6targetE1EEEvSH_.private_seg_size, 0
	.set _ZN7rocprim17ROCPRIM_400000_NS6detail17trampoline_kernelINS0_14default_configENS1_38merge_sort_block_merge_config_selectorIflEEZZNS1_27merge_sort_block_merge_implIS3_PfN6thrust23THRUST_200600_302600_NS10device_ptrIlEEjNS1_19radix_merge_compareILb0ELb0EfNS0_19identity_decomposerEEEEE10hipError_tT0_T1_T2_jT3_P12ihipStream_tbPNSt15iterator_traitsISG_E10value_typeEPNSM_ISH_E10value_typeEPSI_NS1_7vsmem_tEENKUlT_SG_SH_SI_E_clIS7_S7_SB_PlEESF_SV_SG_SH_SI_EUlSV_E0_NS1_11comp_targetILNS1_3genE8ELNS1_11target_archE1030ELNS1_3gpuE2ELNS1_3repE0EEENS1_38merge_mergepath_config_static_selectorELNS0_4arch9wavefront6targetE1EEEvSH_.uses_vcc, 0
	.set _ZN7rocprim17ROCPRIM_400000_NS6detail17trampoline_kernelINS0_14default_configENS1_38merge_sort_block_merge_config_selectorIflEEZZNS1_27merge_sort_block_merge_implIS3_PfN6thrust23THRUST_200600_302600_NS10device_ptrIlEEjNS1_19radix_merge_compareILb0ELb0EfNS0_19identity_decomposerEEEEE10hipError_tT0_T1_T2_jT3_P12ihipStream_tbPNSt15iterator_traitsISG_E10value_typeEPNSM_ISH_E10value_typeEPSI_NS1_7vsmem_tEENKUlT_SG_SH_SI_E_clIS7_S7_SB_PlEESF_SV_SG_SH_SI_EUlSV_E0_NS1_11comp_targetILNS1_3genE8ELNS1_11target_archE1030ELNS1_3gpuE2ELNS1_3repE0EEENS1_38merge_mergepath_config_static_selectorELNS0_4arch9wavefront6targetE1EEEvSH_.uses_flat_scratch, 0
	.set _ZN7rocprim17ROCPRIM_400000_NS6detail17trampoline_kernelINS0_14default_configENS1_38merge_sort_block_merge_config_selectorIflEEZZNS1_27merge_sort_block_merge_implIS3_PfN6thrust23THRUST_200600_302600_NS10device_ptrIlEEjNS1_19radix_merge_compareILb0ELb0EfNS0_19identity_decomposerEEEEE10hipError_tT0_T1_T2_jT3_P12ihipStream_tbPNSt15iterator_traitsISG_E10value_typeEPNSM_ISH_E10value_typeEPSI_NS1_7vsmem_tEENKUlT_SG_SH_SI_E_clIS7_S7_SB_PlEESF_SV_SG_SH_SI_EUlSV_E0_NS1_11comp_targetILNS1_3genE8ELNS1_11target_archE1030ELNS1_3gpuE2ELNS1_3repE0EEENS1_38merge_mergepath_config_static_selectorELNS0_4arch9wavefront6targetE1EEEvSH_.has_dyn_sized_stack, 0
	.set _ZN7rocprim17ROCPRIM_400000_NS6detail17trampoline_kernelINS0_14default_configENS1_38merge_sort_block_merge_config_selectorIflEEZZNS1_27merge_sort_block_merge_implIS3_PfN6thrust23THRUST_200600_302600_NS10device_ptrIlEEjNS1_19radix_merge_compareILb0ELb0EfNS0_19identity_decomposerEEEEE10hipError_tT0_T1_T2_jT3_P12ihipStream_tbPNSt15iterator_traitsISG_E10value_typeEPNSM_ISH_E10value_typeEPSI_NS1_7vsmem_tEENKUlT_SG_SH_SI_E_clIS7_S7_SB_PlEESF_SV_SG_SH_SI_EUlSV_E0_NS1_11comp_targetILNS1_3genE8ELNS1_11target_archE1030ELNS1_3gpuE2ELNS1_3repE0EEENS1_38merge_mergepath_config_static_selectorELNS0_4arch9wavefront6targetE1EEEvSH_.has_recursion, 0
	.set _ZN7rocprim17ROCPRIM_400000_NS6detail17trampoline_kernelINS0_14default_configENS1_38merge_sort_block_merge_config_selectorIflEEZZNS1_27merge_sort_block_merge_implIS3_PfN6thrust23THRUST_200600_302600_NS10device_ptrIlEEjNS1_19radix_merge_compareILb0ELb0EfNS0_19identity_decomposerEEEEE10hipError_tT0_T1_T2_jT3_P12ihipStream_tbPNSt15iterator_traitsISG_E10value_typeEPNSM_ISH_E10value_typeEPSI_NS1_7vsmem_tEENKUlT_SG_SH_SI_E_clIS7_S7_SB_PlEESF_SV_SG_SH_SI_EUlSV_E0_NS1_11comp_targetILNS1_3genE8ELNS1_11target_archE1030ELNS1_3gpuE2ELNS1_3repE0EEENS1_38merge_mergepath_config_static_selectorELNS0_4arch9wavefront6targetE1EEEvSH_.has_indirect_call, 0
	.section	.AMDGPU.csdata,"",@progbits
; Kernel info:
; codeLenInByte = 0
; TotalNumSgprs: 4
; NumVgprs: 0
; ScratchSize: 0
; MemoryBound: 0
; FloatMode: 240
; IeeeMode: 1
; LDSByteSize: 0 bytes/workgroup (compile time only)
; SGPRBlocks: 0
; VGPRBlocks: 0
; NumSGPRsForWavesPerEU: 4
; NumVGPRsForWavesPerEU: 1
; Occupancy: 10
; WaveLimiterHint : 0
; COMPUTE_PGM_RSRC2:SCRATCH_EN: 0
; COMPUTE_PGM_RSRC2:USER_SGPR: 6
; COMPUTE_PGM_RSRC2:TRAP_HANDLER: 0
; COMPUTE_PGM_RSRC2:TGID_X_EN: 1
; COMPUTE_PGM_RSRC2:TGID_Y_EN: 0
; COMPUTE_PGM_RSRC2:TGID_Z_EN: 0
; COMPUTE_PGM_RSRC2:TIDIG_COMP_CNT: 0
	.section	.text._ZN7rocprim17ROCPRIM_400000_NS6detail17trampoline_kernelINS0_14default_configENS1_38merge_sort_block_merge_config_selectorIflEEZZNS1_27merge_sort_block_merge_implIS3_PfN6thrust23THRUST_200600_302600_NS10device_ptrIlEEjNS1_19radix_merge_compareILb0ELb0EfNS0_19identity_decomposerEEEEE10hipError_tT0_T1_T2_jT3_P12ihipStream_tbPNSt15iterator_traitsISG_E10value_typeEPNSM_ISH_E10value_typeEPSI_NS1_7vsmem_tEENKUlT_SG_SH_SI_E_clIS7_S7_SB_PlEESF_SV_SG_SH_SI_EUlSV_E1_NS1_11comp_targetILNS1_3genE0ELNS1_11target_archE4294967295ELNS1_3gpuE0ELNS1_3repE0EEENS1_36merge_oddeven_config_static_selectorELNS0_4arch9wavefront6targetE1EEEvSH_,"axG",@progbits,_ZN7rocprim17ROCPRIM_400000_NS6detail17trampoline_kernelINS0_14default_configENS1_38merge_sort_block_merge_config_selectorIflEEZZNS1_27merge_sort_block_merge_implIS3_PfN6thrust23THRUST_200600_302600_NS10device_ptrIlEEjNS1_19radix_merge_compareILb0ELb0EfNS0_19identity_decomposerEEEEE10hipError_tT0_T1_T2_jT3_P12ihipStream_tbPNSt15iterator_traitsISG_E10value_typeEPNSM_ISH_E10value_typeEPSI_NS1_7vsmem_tEENKUlT_SG_SH_SI_E_clIS7_S7_SB_PlEESF_SV_SG_SH_SI_EUlSV_E1_NS1_11comp_targetILNS1_3genE0ELNS1_11target_archE4294967295ELNS1_3gpuE0ELNS1_3repE0EEENS1_36merge_oddeven_config_static_selectorELNS0_4arch9wavefront6targetE1EEEvSH_,comdat
	.protected	_ZN7rocprim17ROCPRIM_400000_NS6detail17trampoline_kernelINS0_14default_configENS1_38merge_sort_block_merge_config_selectorIflEEZZNS1_27merge_sort_block_merge_implIS3_PfN6thrust23THRUST_200600_302600_NS10device_ptrIlEEjNS1_19radix_merge_compareILb0ELb0EfNS0_19identity_decomposerEEEEE10hipError_tT0_T1_T2_jT3_P12ihipStream_tbPNSt15iterator_traitsISG_E10value_typeEPNSM_ISH_E10value_typeEPSI_NS1_7vsmem_tEENKUlT_SG_SH_SI_E_clIS7_S7_SB_PlEESF_SV_SG_SH_SI_EUlSV_E1_NS1_11comp_targetILNS1_3genE0ELNS1_11target_archE4294967295ELNS1_3gpuE0ELNS1_3repE0EEENS1_36merge_oddeven_config_static_selectorELNS0_4arch9wavefront6targetE1EEEvSH_ ; -- Begin function _ZN7rocprim17ROCPRIM_400000_NS6detail17trampoline_kernelINS0_14default_configENS1_38merge_sort_block_merge_config_selectorIflEEZZNS1_27merge_sort_block_merge_implIS3_PfN6thrust23THRUST_200600_302600_NS10device_ptrIlEEjNS1_19radix_merge_compareILb0ELb0EfNS0_19identity_decomposerEEEEE10hipError_tT0_T1_T2_jT3_P12ihipStream_tbPNSt15iterator_traitsISG_E10value_typeEPNSM_ISH_E10value_typeEPSI_NS1_7vsmem_tEENKUlT_SG_SH_SI_E_clIS7_S7_SB_PlEESF_SV_SG_SH_SI_EUlSV_E1_NS1_11comp_targetILNS1_3genE0ELNS1_11target_archE4294967295ELNS1_3gpuE0ELNS1_3repE0EEENS1_36merge_oddeven_config_static_selectorELNS0_4arch9wavefront6targetE1EEEvSH_
	.globl	_ZN7rocprim17ROCPRIM_400000_NS6detail17trampoline_kernelINS0_14default_configENS1_38merge_sort_block_merge_config_selectorIflEEZZNS1_27merge_sort_block_merge_implIS3_PfN6thrust23THRUST_200600_302600_NS10device_ptrIlEEjNS1_19radix_merge_compareILb0ELb0EfNS0_19identity_decomposerEEEEE10hipError_tT0_T1_T2_jT3_P12ihipStream_tbPNSt15iterator_traitsISG_E10value_typeEPNSM_ISH_E10value_typeEPSI_NS1_7vsmem_tEENKUlT_SG_SH_SI_E_clIS7_S7_SB_PlEESF_SV_SG_SH_SI_EUlSV_E1_NS1_11comp_targetILNS1_3genE0ELNS1_11target_archE4294967295ELNS1_3gpuE0ELNS1_3repE0EEENS1_36merge_oddeven_config_static_selectorELNS0_4arch9wavefront6targetE1EEEvSH_
	.p2align	8
	.type	_ZN7rocprim17ROCPRIM_400000_NS6detail17trampoline_kernelINS0_14default_configENS1_38merge_sort_block_merge_config_selectorIflEEZZNS1_27merge_sort_block_merge_implIS3_PfN6thrust23THRUST_200600_302600_NS10device_ptrIlEEjNS1_19radix_merge_compareILb0ELb0EfNS0_19identity_decomposerEEEEE10hipError_tT0_T1_T2_jT3_P12ihipStream_tbPNSt15iterator_traitsISG_E10value_typeEPNSM_ISH_E10value_typeEPSI_NS1_7vsmem_tEENKUlT_SG_SH_SI_E_clIS7_S7_SB_PlEESF_SV_SG_SH_SI_EUlSV_E1_NS1_11comp_targetILNS1_3genE0ELNS1_11target_archE4294967295ELNS1_3gpuE0ELNS1_3repE0EEENS1_36merge_oddeven_config_static_selectorELNS0_4arch9wavefront6targetE1EEEvSH_,@function
_ZN7rocprim17ROCPRIM_400000_NS6detail17trampoline_kernelINS0_14default_configENS1_38merge_sort_block_merge_config_selectorIflEEZZNS1_27merge_sort_block_merge_implIS3_PfN6thrust23THRUST_200600_302600_NS10device_ptrIlEEjNS1_19radix_merge_compareILb0ELb0EfNS0_19identity_decomposerEEEEE10hipError_tT0_T1_T2_jT3_P12ihipStream_tbPNSt15iterator_traitsISG_E10value_typeEPNSM_ISH_E10value_typeEPSI_NS1_7vsmem_tEENKUlT_SG_SH_SI_E_clIS7_S7_SB_PlEESF_SV_SG_SH_SI_EUlSV_E1_NS1_11comp_targetILNS1_3genE0ELNS1_11target_archE4294967295ELNS1_3gpuE0ELNS1_3repE0EEENS1_36merge_oddeven_config_static_selectorELNS0_4arch9wavefront6targetE1EEEvSH_: ; @_ZN7rocprim17ROCPRIM_400000_NS6detail17trampoline_kernelINS0_14default_configENS1_38merge_sort_block_merge_config_selectorIflEEZZNS1_27merge_sort_block_merge_implIS3_PfN6thrust23THRUST_200600_302600_NS10device_ptrIlEEjNS1_19radix_merge_compareILb0ELb0EfNS0_19identity_decomposerEEEEE10hipError_tT0_T1_T2_jT3_P12ihipStream_tbPNSt15iterator_traitsISG_E10value_typeEPNSM_ISH_E10value_typeEPSI_NS1_7vsmem_tEENKUlT_SG_SH_SI_E_clIS7_S7_SB_PlEESF_SV_SG_SH_SI_EUlSV_E1_NS1_11comp_targetILNS1_3genE0ELNS1_11target_archE4294967295ELNS1_3gpuE0ELNS1_3repE0EEENS1_36merge_oddeven_config_static_selectorELNS0_4arch9wavefront6targetE1EEEvSH_
; %bb.0:
	.section	.rodata,"a",@progbits
	.p2align	6, 0x0
	.amdhsa_kernel _ZN7rocprim17ROCPRIM_400000_NS6detail17trampoline_kernelINS0_14default_configENS1_38merge_sort_block_merge_config_selectorIflEEZZNS1_27merge_sort_block_merge_implIS3_PfN6thrust23THRUST_200600_302600_NS10device_ptrIlEEjNS1_19radix_merge_compareILb0ELb0EfNS0_19identity_decomposerEEEEE10hipError_tT0_T1_T2_jT3_P12ihipStream_tbPNSt15iterator_traitsISG_E10value_typeEPNSM_ISH_E10value_typeEPSI_NS1_7vsmem_tEENKUlT_SG_SH_SI_E_clIS7_S7_SB_PlEESF_SV_SG_SH_SI_EUlSV_E1_NS1_11comp_targetILNS1_3genE0ELNS1_11target_archE4294967295ELNS1_3gpuE0ELNS1_3repE0EEENS1_36merge_oddeven_config_static_selectorELNS0_4arch9wavefront6targetE1EEEvSH_
		.amdhsa_group_segment_fixed_size 0
		.amdhsa_private_segment_fixed_size 0
		.amdhsa_kernarg_size 48
		.amdhsa_user_sgpr_count 6
		.amdhsa_user_sgpr_private_segment_buffer 1
		.amdhsa_user_sgpr_dispatch_ptr 0
		.amdhsa_user_sgpr_queue_ptr 0
		.amdhsa_user_sgpr_kernarg_segment_ptr 1
		.amdhsa_user_sgpr_dispatch_id 0
		.amdhsa_user_sgpr_flat_scratch_init 0
		.amdhsa_user_sgpr_private_segment_size 0
		.amdhsa_uses_dynamic_stack 0
		.amdhsa_system_sgpr_private_segment_wavefront_offset 0
		.amdhsa_system_sgpr_workgroup_id_x 1
		.amdhsa_system_sgpr_workgroup_id_y 0
		.amdhsa_system_sgpr_workgroup_id_z 0
		.amdhsa_system_sgpr_workgroup_info 0
		.amdhsa_system_vgpr_workitem_id 0
		.amdhsa_next_free_vgpr 1
		.amdhsa_next_free_sgpr 0
		.amdhsa_reserve_vcc 0
		.amdhsa_reserve_flat_scratch 0
		.amdhsa_float_round_mode_32 0
		.amdhsa_float_round_mode_16_64 0
		.amdhsa_float_denorm_mode_32 3
		.amdhsa_float_denorm_mode_16_64 3
		.amdhsa_dx10_clamp 1
		.amdhsa_ieee_mode 1
		.amdhsa_fp16_overflow 0
		.amdhsa_exception_fp_ieee_invalid_op 0
		.amdhsa_exception_fp_denorm_src 0
		.amdhsa_exception_fp_ieee_div_zero 0
		.amdhsa_exception_fp_ieee_overflow 0
		.amdhsa_exception_fp_ieee_underflow 0
		.amdhsa_exception_fp_ieee_inexact 0
		.amdhsa_exception_int_div_zero 0
	.end_amdhsa_kernel
	.section	.text._ZN7rocprim17ROCPRIM_400000_NS6detail17trampoline_kernelINS0_14default_configENS1_38merge_sort_block_merge_config_selectorIflEEZZNS1_27merge_sort_block_merge_implIS3_PfN6thrust23THRUST_200600_302600_NS10device_ptrIlEEjNS1_19radix_merge_compareILb0ELb0EfNS0_19identity_decomposerEEEEE10hipError_tT0_T1_T2_jT3_P12ihipStream_tbPNSt15iterator_traitsISG_E10value_typeEPNSM_ISH_E10value_typeEPSI_NS1_7vsmem_tEENKUlT_SG_SH_SI_E_clIS7_S7_SB_PlEESF_SV_SG_SH_SI_EUlSV_E1_NS1_11comp_targetILNS1_3genE0ELNS1_11target_archE4294967295ELNS1_3gpuE0ELNS1_3repE0EEENS1_36merge_oddeven_config_static_selectorELNS0_4arch9wavefront6targetE1EEEvSH_,"axG",@progbits,_ZN7rocprim17ROCPRIM_400000_NS6detail17trampoline_kernelINS0_14default_configENS1_38merge_sort_block_merge_config_selectorIflEEZZNS1_27merge_sort_block_merge_implIS3_PfN6thrust23THRUST_200600_302600_NS10device_ptrIlEEjNS1_19radix_merge_compareILb0ELb0EfNS0_19identity_decomposerEEEEE10hipError_tT0_T1_T2_jT3_P12ihipStream_tbPNSt15iterator_traitsISG_E10value_typeEPNSM_ISH_E10value_typeEPSI_NS1_7vsmem_tEENKUlT_SG_SH_SI_E_clIS7_S7_SB_PlEESF_SV_SG_SH_SI_EUlSV_E1_NS1_11comp_targetILNS1_3genE0ELNS1_11target_archE4294967295ELNS1_3gpuE0ELNS1_3repE0EEENS1_36merge_oddeven_config_static_selectorELNS0_4arch9wavefront6targetE1EEEvSH_,comdat
.Lfunc_end1800:
	.size	_ZN7rocprim17ROCPRIM_400000_NS6detail17trampoline_kernelINS0_14default_configENS1_38merge_sort_block_merge_config_selectorIflEEZZNS1_27merge_sort_block_merge_implIS3_PfN6thrust23THRUST_200600_302600_NS10device_ptrIlEEjNS1_19radix_merge_compareILb0ELb0EfNS0_19identity_decomposerEEEEE10hipError_tT0_T1_T2_jT3_P12ihipStream_tbPNSt15iterator_traitsISG_E10value_typeEPNSM_ISH_E10value_typeEPSI_NS1_7vsmem_tEENKUlT_SG_SH_SI_E_clIS7_S7_SB_PlEESF_SV_SG_SH_SI_EUlSV_E1_NS1_11comp_targetILNS1_3genE0ELNS1_11target_archE4294967295ELNS1_3gpuE0ELNS1_3repE0EEENS1_36merge_oddeven_config_static_selectorELNS0_4arch9wavefront6targetE1EEEvSH_, .Lfunc_end1800-_ZN7rocprim17ROCPRIM_400000_NS6detail17trampoline_kernelINS0_14default_configENS1_38merge_sort_block_merge_config_selectorIflEEZZNS1_27merge_sort_block_merge_implIS3_PfN6thrust23THRUST_200600_302600_NS10device_ptrIlEEjNS1_19radix_merge_compareILb0ELb0EfNS0_19identity_decomposerEEEEE10hipError_tT0_T1_T2_jT3_P12ihipStream_tbPNSt15iterator_traitsISG_E10value_typeEPNSM_ISH_E10value_typeEPSI_NS1_7vsmem_tEENKUlT_SG_SH_SI_E_clIS7_S7_SB_PlEESF_SV_SG_SH_SI_EUlSV_E1_NS1_11comp_targetILNS1_3genE0ELNS1_11target_archE4294967295ELNS1_3gpuE0ELNS1_3repE0EEENS1_36merge_oddeven_config_static_selectorELNS0_4arch9wavefront6targetE1EEEvSH_
                                        ; -- End function
	.set _ZN7rocprim17ROCPRIM_400000_NS6detail17trampoline_kernelINS0_14default_configENS1_38merge_sort_block_merge_config_selectorIflEEZZNS1_27merge_sort_block_merge_implIS3_PfN6thrust23THRUST_200600_302600_NS10device_ptrIlEEjNS1_19radix_merge_compareILb0ELb0EfNS0_19identity_decomposerEEEEE10hipError_tT0_T1_T2_jT3_P12ihipStream_tbPNSt15iterator_traitsISG_E10value_typeEPNSM_ISH_E10value_typeEPSI_NS1_7vsmem_tEENKUlT_SG_SH_SI_E_clIS7_S7_SB_PlEESF_SV_SG_SH_SI_EUlSV_E1_NS1_11comp_targetILNS1_3genE0ELNS1_11target_archE4294967295ELNS1_3gpuE0ELNS1_3repE0EEENS1_36merge_oddeven_config_static_selectorELNS0_4arch9wavefront6targetE1EEEvSH_.num_vgpr, 0
	.set _ZN7rocprim17ROCPRIM_400000_NS6detail17trampoline_kernelINS0_14default_configENS1_38merge_sort_block_merge_config_selectorIflEEZZNS1_27merge_sort_block_merge_implIS3_PfN6thrust23THRUST_200600_302600_NS10device_ptrIlEEjNS1_19radix_merge_compareILb0ELb0EfNS0_19identity_decomposerEEEEE10hipError_tT0_T1_T2_jT3_P12ihipStream_tbPNSt15iterator_traitsISG_E10value_typeEPNSM_ISH_E10value_typeEPSI_NS1_7vsmem_tEENKUlT_SG_SH_SI_E_clIS7_S7_SB_PlEESF_SV_SG_SH_SI_EUlSV_E1_NS1_11comp_targetILNS1_3genE0ELNS1_11target_archE4294967295ELNS1_3gpuE0ELNS1_3repE0EEENS1_36merge_oddeven_config_static_selectorELNS0_4arch9wavefront6targetE1EEEvSH_.num_agpr, 0
	.set _ZN7rocprim17ROCPRIM_400000_NS6detail17trampoline_kernelINS0_14default_configENS1_38merge_sort_block_merge_config_selectorIflEEZZNS1_27merge_sort_block_merge_implIS3_PfN6thrust23THRUST_200600_302600_NS10device_ptrIlEEjNS1_19radix_merge_compareILb0ELb0EfNS0_19identity_decomposerEEEEE10hipError_tT0_T1_T2_jT3_P12ihipStream_tbPNSt15iterator_traitsISG_E10value_typeEPNSM_ISH_E10value_typeEPSI_NS1_7vsmem_tEENKUlT_SG_SH_SI_E_clIS7_S7_SB_PlEESF_SV_SG_SH_SI_EUlSV_E1_NS1_11comp_targetILNS1_3genE0ELNS1_11target_archE4294967295ELNS1_3gpuE0ELNS1_3repE0EEENS1_36merge_oddeven_config_static_selectorELNS0_4arch9wavefront6targetE1EEEvSH_.numbered_sgpr, 0
	.set _ZN7rocprim17ROCPRIM_400000_NS6detail17trampoline_kernelINS0_14default_configENS1_38merge_sort_block_merge_config_selectorIflEEZZNS1_27merge_sort_block_merge_implIS3_PfN6thrust23THRUST_200600_302600_NS10device_ptrIlEEjNS1_19radix_merge_compareILb0ELb0EfNS0_19identity_decomposerEEEEE10hipError_tT0_T1_T2_jT3_P12ihipStream_tbPNSt15iterator_traitsISG_E10value_typeEPNSM_ISH_E10value_typeEPSI_NS1_7vsmem_tEENKUlT_SG_SH_SI_E_clIS7_S7_SB_PlEESF_SV_SG_SH_SI_EUlSV_E1_NS1_11comp_targetILNS1_3genE0ELNS1_11target_archE4294967295ELNS1_3gpuE0ELNS1_3repE0EEENS1_36merge_oddeven_config_static_selectorELNS0_4arch9wavefront6targetE1EEEvSH_.num_named_barrier, 0
	.set _ZN7rocprim17ROCPRIM_400000_NS6detail17trampoline_kernelINS0_14default_configENS1_38merge_sort_block_merge_config_selectorIflEEZZNS1_27merge_sort_block_merge_implIS3_PfN6thrust23THRUST_200600_302600_NS10device_ptrIlEEjNS1_19radix_merge_compareILb0ELb0EfNS0_19identity_decomposerEEEEE10hipError_tT0_T1_T2_jT3_P12ihipStream_tbPNSt15iterator_traitsISG_E10value_typeEPNSM_ISH_E10value_typeEPSI_NS1_7vsmem_tEENKUlT_SG_SH_SI_E_clIS7_S7_SB_PlEESF_SV_SG_SH_SI_EUlSV_E1_NS1_11comp_targetILNS1_3genE0ELNS1_11target_archE4294967295ELNS1_3gpuE0ELNS1_3repE0EEENS1_36merge_oddeven_config_static_selectorELNS0_4arch9wavefront6targetE1EEEvSH_.private_seg_size, 0
	.set _ZN7rocprim17ROCPRIM_400000_NS6detail17trampoline_kernelINS0_14default_configENS1_38merge_sort_block_merge_config_selectorIflEEZZNS1_27merge_sort_block_merge_implIS3_PfN6thrust23THRUST_200600_302600_NS10device_ptrIlEEjNS1_19radix_merge_compareILb0ELb0EfNS0_19identity_decomposerEEEEE10hipError_tT0_T1_T2_jT3_P12ihipStream_tbPNSt15iterator_traitsISG_E10value_typeEPNSM_ISH_E10value_typeEPSI_NS1_7vsmem_tEENKUlT_SG_SH_SI_E_clIS7_S7_SB_PlEESF_SV_SG_SH_SI_EUlSV_E1_NS1_11comp_targetILNS1_3genE0ELNS1_11target_archE4294967295ELNS1_3gpuE0ELNS1_3repE0EEENS1_36merge_oddeven_config_static_selectorELNS0_4arch9wavefront6targetE1EEEvSH_.uses_vcc, 0
	.set _ZN7rocprim17ROCPRIM_400000_NS6detail17trampoline_kernelINS0_14default_configENS1_38merge_sort_block_merge_config_selectorIflEEZZNS1_27merge_sort_block_merge_implIS3_PfN6thrust23THRUST_200600_302600_NS10device_ptrIlEEjNS1_19radix_merge_compareILb0ELb0EfNS0_19identity_decomposerEEEEE10hipError_tT0_T1_T2_jT3_P12ihipStream_tbPNSt15iterator_traitsISG_E10value_typeEPNSM_ISH_E10value_typeEPSI_NS1_7vsmem_tEENKUlT_SG_SH_SI_E_clIS7_S7_SB_PlEESF_SV_SG_SH_SI_EUlSV_E1_NS1_11comp_targetILNS1_3genE0ELNS1_11target_archE4294967295ELNS1_3gpuE0ELNS1_3repE0EEENS1_36merge_oddeven_config_static_selectorELNS0_4arch9wavefront6targetE1EEEvSH_.uses_flat_scratch, 0
	.set _ZN7rocprim17ROCPRIM_400000_NS6detail17trampoline_kernelINS0_14default_configENS1_38merge_sort_block_merge_config_selectorIflEEZZNS1_27merge_sort_block_merge_implIS3_PfN6thrust23THRUST_200600_302600_NS10device_ptrIlEEjNS1_19radix_merge_compareILb0ELb0EfNS0_19identity_decomposerEEEEE10hipError_tT0_T1_T2_jT3_P12ihipStream_tbPNSt15iterator_traitsISG_E10value_typeEPNSM_ISH_E10value_typeEPSI_NS1_7vsmem_tEENKUlT_SG_SH_SI_E_clIS7_S7_SB_PlEESF_SV_SG_SH_SI_EUlSV_E1_NS1_11comp_targetILNS1_3genE0ELNS1_11target_archE4294967295ELNS1_3gpuE0ELNS1_3repE0EEENS1_36merge_oddeven_config_static_selectorELNS0_4arch9wavefront6targetE1EEEvSH_.has_dyn_sized_stack, 0
	.set _ZN7rocprim17ROCPRIM_400000_NS6detail17trampoline_kernelINS0_14default_configENS1_38merge_sort_block_merge_config_selectorIflEEZZNS1_27merge_sort_block_merge_implIS3_PfN6thrust23THRUST_200600_302600_NS10device_ptrIlEEjNS1_19radix_merge_compareILb0ELb0EfNS0_19identity_decomposerEEEEE10hipError_tT0_T1_T2_jT3_P12ihipStream_tbPNSt15iterator_traitsISG_E10value_typeEPNSM_ISH_E10value_typeEPSI_NS1_7vsmem_tEENKUlT_SG_SH_SI_E_clIS7_S7_SB_PlEESF_SV_SG_SH_SI_EUlSV_E1_NS1_11comp_targetILNS1_3genE0ELNS1_11target_archE4294967295ELNS1_3gpuE0ELNS1_3repE0EEENS1_36merge_oddeven_config_static_selectorELNS0_4arch9wavefront6targetE1EEEvSH_.has_recursion, 0
	.set _ZN7rocprim17ROCPRIM_400000_NS6detail17trampoline_kernelINS0_14default_configENS1_38merge_sort_block_merge_config_selectorIflEEZZNS1_27merge_sort_block_merge_implIS3_PfN6thrust23THRUST_200600_302600_NS10device_ptrIlEEjNS1_19radix_merge_compareILb0ELb0EfNS0_19identity_decomposerEEEEE10hipError_tT0_T1_T2_jT3_P12ihipStream_tbPNSt15iterator_traitsISG_E10value_typeEPNSM_ISH_E10value_typeEPSI_NS1_7vsmem_tEENKUlT_SG_SH_SI_E_clIS7_S7_SB_PlEESF_SV_SG_SH_SI_EUlSV_E1_NS1_11comp_targetILNS1_3genE0ELNS1_11target_archE4294967295ELNS1_3gpuE0ELNS1_3repE0EEENS1_36merge_oddeven_config_static_selectorELNS0_4arch9wavefront6targetE1EEEvSH_.has_indirect_call, 0
	.section	.AMDGPU.csdata,"",@progbits
; Kernel info:
; codeLenInByte = 0
; TotalNumSgprs: 4
; NumVgprs: 0
; ScratchSize: 0
; MemoryBound: 0
; FloatMode: 240
; IeeeMode: 1
; LDSByteSize: 0 bytes/workgroup (compile time only)
; SGPRBlocks: 0
; VGPRBlocks: 0
; NumSGPRsForWavesPerEU: 4
; NumVGPRsForWavesPerEU: 1
; Occupancy: 10
; WaveLimiterHint : 0
; COMPUTE_PGM_RSRC2:SCRATCH_EN: 0
; COMPUTE_PGM_RSRC2:USER_SGPR: 6
; COMPUTE_PGM_RSRC2:TRAP_HANDLER: 0
; COMPUTE_PGM_RSRC2:TGID_X_EN: 1
; COMPUTE_PGM_RSRC2:TGID_Y_EN: 0
; COMPUTE_PGM_RSRC2:TGID_Z_EN: 0
; COMPUTE_PGM_RSRC2:TIDIG_COMP_CNT: 0
	.section	.text._ZN7rocprim17ROCPRIM_400000_NS6detail17trampoline_kernelINS0_14default_configENS1_38merge_sort_block_merge_config_selectorIflEEZZNS1_27merge_sort_block_merge_implIS3_PfN6thrust23THRUST_200600_302600_NS10device_ptrIlEEjNS1_19radix_merge_compareILb0ELb0EfNS0_19identity_decomposerEEEEE10hipError_tT0_T1_T2_jT3_P12ihipStream_tbPNSt15iterator_traitsISG_E10value_typeEPNSM_ISH_E10value_typeEPSI_NS1_7vsmem_tEENKUlT_SG_SH_SI_E_clIS7_S7_SB_PlEESF_SV_SG_SH_SI_EUlSV_E1_NS1_11comp_targetILNS1_3genE10ELNS1_11target_archE1201ELNS1_3gpuE5ELNS1_3repE0EEENS1_36merge_oddeven_config_static_selectorELNS0_4arch9wavefront6targetE1EEEvSH_,"axG",@progbits,_ZN7rocprim17ROCPRIM_400000_NS6detail17trampoline_kernelINS0_14default_configENS1_38merge_sort_block_merge_config_selectorIflEEZZNS1_27merge_sort_block_merge_implIS3_PfN6thrust23THRUST_200600_302600_NS10device_ptrIlEEjNS1_19radix_merge_compareILb0ELb0EfNS0_19identity_decomposerEEEEE10hipError_tT0_T1_T2_jT3_P12ihipStream_tbPNSt15iterator_traitsISG_E10value_typeEPNSM_ISH_E10value_typeEPSI_NS1_7vsmem_tEENKUlT_SG_SH_SI_E_clIS7_S7_SB_PlEESF_SV_SG_SH_SI_EUlSV_E1_NS1_11comp_targetILNS1_3genE10ELNS1_11target_archE1201ELNS1_3gpuE5ELNS1_3repE0EEENS1_36merge_oddeven_config_static_selectorELNS0_4arch9wavefront6targetE1EEEvSH_,comdat
	.protected	_ZN7rocprim17ROCPRIM_400000_NS6detail17trampoline_kernelINS0_14default_configENS1_38merge_sort_block_merge_config_selectorIflEEZZNS1_27merge_sort_block_merge_implIS3_PfN6thrust23THRUST_200600_302600_NS10device_ptrIlEEjNS1_19radix_merge_compareILb0ELb0EfNS0_19identity_decomposerEEEEE10hipError_tT0_T1_T2_jT3_P12ihipStream_tbPNSt15iterator_traitsISG_E10value_typeEPNSM_ISH_E10value_typeEPSI_NS1_7vsmem_tEENKUlT_SG_SH_SI_E_clIS7_S7_SB_PlEESF_SV_SG_SH_SI_EUlSV_E1_NS1_11comp_targetILNS1_3genE10ELNS1_11target_archE1201ELNS1_3gpuE5ELNS1_3repE0EEENS1_36merge_oddeven_config_static_selectorELNS0_4arch9wavefront6targetE1EEEvSH_ ; -- Begin function _ZN7rocprim17ROCPRIM_400000_NS6detail17trampoline_kernelINS0_14default_configENS1_38merge_sort_block_merge_config_selectorIflEEZZNS1_27merge_sort_block_merge_implIS3_PfN6thrust23THRUST_200600_302600_NS10device_ptrIlEEjNS1_19radix_merge_compareILb0ELb0EfNS0_19identity_decomposerEEEEE10hipError_tT0_T1_T2_jT3_P12ihipStream_tbPNSt15iterator_traitsISG_E10value_typeEPNSM_ISH_E10value_typeEPSI_NS1_7vsmem_tEENKUlT_SG_SH_SI_E_clIS7_S7_SB_PlEESF_SV_SG_SH_SI_EUlSV_E1_NS1_11comp_targetILNS1_3genE10ELNS1_11target_archE1201ELNS1_3gpuE5ELNS1_3repE0EEENS1_36merge_oddeven_config_static_selectorELNS0_4arch9wavefront6targetE1EEEvSH_
	.globl	_ZN7rocprim17ROCPRIM_400000_NS6detail17trampoline_kernelINS0_14default_configENS1_38merge_sort_block_merge_config_selectorIflEEZZNS1_27merge_sort_block_merge_implIS3_PfN6thrust23THRUST_200600_302600_NS10device_ptrIlEEjNS1_19radix_merge_compareILb0ELb0EfNS0_19identity_decomposerEEEEE10hipError_tT0_T1_T2_jT3_P12ihipStream_tbPNSt15iterator_traitsISG_E10value_typeEPNSM_ISH_E10value_typeEPSI_NS1_7vsmem_tEENKUlT_SG_SH_SI_E_clIS7_S7_SB_PlEESF_SV_SG_SH_SI_EUlSV_E1_NS1_11comp_targetILNS1_3genE10ELNS1_11target_archE1201ELNS1_3gpuE5ELNS1_3repE0EEENS1_36merge_oddeven_config_static_selectorELNS0_4arch9wavefront6targetE1EEEvSH_
	.p2align	8
	.type	_ZN7rocprim17ROCPRIM_400000_NS6detail17trampoline_kernelINS0_14default_configENS1_38merge_sort_block_merge_config_selectorIflEEZZNS1_27merge_sort_block_merge_implIS3_PfN6thrust23THRUST_200600_302600_NS10device_ptrIlEEjNS1_19radix_merge_compareILb0ELb0EfNS0_19identity_decomposerEEEEE10hipError_tT0_T1_T2_jT3_P12ihipStream_tbPNSt15iterator_traitsISG_E10value_typeEPNSM_ISH_E10value_typeEPSI_NS1_7vsmem_tEENKUlT_SG_SH_SI_E_clIS7_S7_SB_PlEESF_SV_SG_SH_SI_EUlSV_E1_NS1_11comp_targetILNS1_3genE10ELNS1_11target_archE1201ELNS1_3gpuE5ELNS1_3repE0EEENS1_36merge_oddeven_config_static_selectorELNS0_4arch9wavefront6targetE1EEEvSH_,@function
_ZN7rocprim17ROCPRIM_400000_NS6detail17trampoline_kernelINS0_14default_configENS1_38merge_sort_block_merge_config_selectorIflEEZZNS1_27merge_sort_block_merge_implIS3_PfN6thrust23THRUST_200600_302600_NS10device_ptrIlEEjNS1_19radix_merge_compareILb0ELb0EfNS0_19identity_decomposerEEEEE10hipError_tT0_T1_T2_jT3_P12ihipStream_tbPNSt15iterator_traitsISG_E10value_typeEPNSM_ISH_E10value_typeEPSI_NS1_7vsmem_tEENKUlT_SG_SH_SI_E_clIS7_S7_SB_PlEESF_SV_SG_SH_SI_EUlSV_E1_NS1_11comp_targetILNS1_3genE10ELNS1_11target_archE1201ELNS1_3gpuE5ELNS1_3repE0EEENS1_36merge_oddeven_config_static_selectorELNS0_4arch9wavefront6targetE1EEEvSH_: ; @_ZN7rocprim17ROCPRIM_400000_NS6detail17trampoline_kernelINS0_14default_configENS1_38merge_sort_block_merge_config_selectorIflEEZZNS1_27merge_sort_block_merge_implIS3_PfN6thrust23THRUST_200600_302600_NS10device_ptrIlEEjNS1_19radix_merge_compareILb0ELb0EfNS0_19identity_decomposerEEEEE10hipError_tT0_T1_T2_jT3_P12ihipStream_tbPNSt15iterator_traitsISG_E10value_typeEPNSM_ISH_E10value_typeEPSI_NS1_7vsmem_tEENKUlT_SG_SH_SI_E_clIS7_S7_SB_PlEESF_SV_SG_SH_SI_EUlSV_E1_NS1_11comp_targetILNS1_3genE10ELNS1_11target_archE1201ELNS1_3gpuE5ELNS1_3repE0EEENS1_36merge_oddeven_config_static_selectorELNS0_4arch9wavefront6targetE1EEEvSH_
; %bb.0:
	.section	.rodata,"a",@progbits
	.p2align	6, 0x0
	.amdhsa_kernel _ZN7rocprim17ROCPRIM_400000_NS6detail17trampoline_kernelINS0_14default_configENS1_38merge_sort_block_merge_config_selectorIflEEZZNS1_27merge_sort_block_merge_implIS3_PfN6thrust23THRUST_200600_302600_NS10device_ptrIlEEjNS1_19radix_merge_compareILb0ELb0EfNS0_19identity_decomposerEEEEE10hipError_tT0_T1_T2_jT3_P12ihipStream_tbPNSt15iterator_traitsISG_E10value_typeEPNSM_ISH_E10value_typeEPSI_NS1_7vsmem_tEENKUlT_SG_SH_SI_E_clIS7_S7_SB_PlEESF_SV_SG_SH_SI_EUlSV_E1_NS1_11comp_targetILNS1_3genE10ELNS1_11target_archE1201ELNS1_3gpuE5ELNS1_3repE0EEENS1_36merge_oddeven_config_static_selectorELNS0_4arch9wavefront6targetE1EEEvSH_
		.amdhsa_group_segment_fixed_size 0
		.amdhsa_private_segment_fixed_size 0
		.amdhsa_kernarg_size 48
		.amdhsa_user_sgpr_count 6
		.amdhsa_user_sgpr_private_segment_buffer 1
		.amdhsa_user_sgpr_dispatch_ptr 0
		.amdhsa_user_sgpr_queue_ptr 0
		.amdhsa_user_sgpr_kernarg_segment_ptr 1
		.amdhsa_user_sgpr_dispatch_id 0
		.amdhsa_user_sgpr_flat_scratch_init 0
		.amdhsa_user_sgpr_private_segment_size 0
		.amdhsa_uses_dynamic_stack 0
		.amdhsa_system_sgpr_private_segment_wavefront_offset 0
		.amdhsa_system_sgpr_workgroup_id_x 1
		.amdhsa_system_sgpr_workgroup_id_y 0
		.amdhsa_system_sgpr_workgroup_id_z 0
		.amdhsa_system_sgpr_workgroup_info 0
		.amdhsa_system_vgpr_workitem_id 0
		.amdhsa_next_free_vgpr 1
		.amdhsa_next_free_sgpr 0
		.amdhsa_reserve_vcc 0
		.amdhsa_reserve_flat_scratch 0
		.amdhsa_float_round_mode_32 0
		.amdhsa_float_round_mode_16_64 0
		.amdhsa_float_denorm_mode_32 3
		.amdhsa_float_denorm_mode_16_64 3
		.amdhsa_dx10_clamp 1
		.amdhsa_ieee_mode 1
		.amdhsa_fp16_overflow 0
		.amdhsa_exception_fp_ieee_invalid_op 0
		.amdhsa_exception_fp_denorm_src 0
		.amdhsa_exception_fp_ieee_div_zero 0
		.amdhsa_exception_fp_ieee_overflow 0
		.amdhsa_exception_fp_ieee_underflow 0
		.amdhsa_exception_fp_ieee_inexact 0
		.amdhsa_exception_int_div_zero 0
	.end_amdhsa_kernel
	.section	.text._ZN7rocprim17ROCPRIM_400000_NS6detail17trampoline_kernelINS0_14default_configENS1_38merge_sort_block_merge_config_selectorIflEEZZNS1_27merge_sort_block_merge_implIS3_PfN6thrust23THRUST_200600_302600_NS10device_ptrIlEEjNS1_19radix_merge_compareILb0ELb0EfNS0_19identity_decomposerEEEEE10hipError_tT0_T1_T2_jT3_P12ihipStream_tbPNSt15iterator_traitsISG_E10value_typeEPNSM_ISH_E10value_typeEPSI_NS1_7vsmem_tEENKUlT_SG_SH_SI_E_clIS7_S7_SB_PlEESF_SV_SG_SH_SI_EUlSV_E1_NS1_11comp_targetILNS1_3genE10ELNS1_11target_archE1201ELNS1_3gpuE5ELNS1_3repE0EEENS1_36merge_oddeven_config_static_selectorELNS0_4arch9wavefront6targetE1EEEvSH_,"axG",@progbits,_ZN7rocprim17ROCPRIM_400000_NS6detail17trampoline_kernelINS0_14default_configENS1_38merge_sort_block_merge_config_selectorIflEEZZNS1_27merge_sort_block_merge_implIS3_PfN6thrust23THRUST_200600_302600_NS10device_ptrIlEEjNS1_19radix_merge_compareILb0ELb0EfNS0_19identity_decomposerEEEEE10hipError_tT0_T1_T2_jT3_P12ihipStream_tbPNSt15iterator_traitsISG_E10value_typeEPNSM_ISH_E10value_typeEPSI_NS1_7vsmem_tEENKUlT_SG_SH_SI_E_clIS7_S7_SB_PlEESF_SV_SG_SH_SI_EUlSV_E1_NS1_11comp_targetILNS1_3genE10ELNS1_11target_archE1201ELNS1_3gpuE5ELNS1_3repE0EEENS1_36merge_oddeven_config_static_selectorELNS0_4arch9wavefront6targetE1EEEvSH_,comdat
.Lfunc_end1801:
	.size	_ZN7rocprim17ROCPRIM_400000_NS6detail17trampoline_kernelINS0_14default_configENS1_38merge_sort_block_merge_config_selectorIflEEZZNS1_27merge_sort_block_merge_implIS3_PfN6thrust23THRUST_200600_302600_NS10device_ptrIlEEjNS1_19radix_merge_compareILb0ELb0EfNS0_19identity_decomposerEEEEE10hipError_tT0_T1_T2_jT3_P12ihipStream_tbPNSt15iterator_traitsISG_E10value_typeEPNSM_ISH_E10value_typeEPSI_NS1_7vsmem_tEENKUlT_SG_SH_SI_E_clIS7_S7_SB_PlEESF_SV_SG_SH_SI_EUlSV_E1_NS1_11comp_targetILNS1_3genE10ELNS1_11target_archE1201ELNS1_3gpuE5ELNS1_3repE0EEENS1_36merge_oddeven_config_static_selectorELNS0_4arch9wavefront6targetE1EEEvSH_, .Lfunc_end1801-_ZN7rocprim17ROCPRIM_400000_NS6detail17trampoline_kernelINS0_14default_configENS1_38merge_sort_block_merge_config_selectorIflEEZZNS1_27merge_sort_block_merge_implIS3_PfN6thrust23THRUST_200600_302600_NS10device_ptrIlEEjNS1_19radix_merge_compareILb0ELb0EfNS0_19identity_decomposerEEEEE10hipError_tT0_T1_T2_jT3_P12ihipStream_tbPNSt15iterator_traitsISG_E10value_typeEPNSM_ISH_E10value_typeEPSI_NS1_7vsmem_tEENKUlT_SG_SH_SI_E_clIS7_S7_SB_PlEESF_SV_SG_SH_SI_EUlSV_E1_NS1_11comp_targetILNS1_3genE10ELNS1_11target_archE1201ELNS1_3gpuE5ELNS1_3repE0EEENS1_36merge_oddeven_config_static_selectorELNS0_4arch9wavefront6targetE1EEEvSH_
                                        ; -- End function
	.set _ZN7rocprim17ROCPRIM_400000_NS6detail17trampoline_kernelINS0_14default_configENS1_38merge_sort_block_merge_config_selectorIflEEZZNS1_27merge_sort_block_merge_implIS3_PfN6thrust23THRUST_200600_302600_NS10device_ptrIlEEjNS1_19radix_merge_compareILb0ELb0EfNS0_19identity_decomposerEEEEE10hipError_tT0_T1_T2_jT3_P12ihipStream_tbPNSt15iterator_traitsISG_E10value_typeEPNSM_ISH_E10value_typeEPSI_NS1_7vsmem_tEENKUlT_SG_SH_SI_E_clIS7_S7_SB_PlEESF_SV_SG_SH_SI_EUlSV_E1_NS1_11comp_targetILNS1_3genE10ELNS1_11target_archE1201ELNS1_3gpuE5ELNS1_3repE0EEENS1_36merge_oddeven_config_static_selectorELNS0_4arch9wavefront6targetE1EEEvSH_.num_vgpr, 0
	.set _ZN7rocprim17ROCPRIM_400000_NS6detail17trampoline_kernelINS0_14default_configENS1_38merge_sort_block_merge_config_selectorIflEEZZNS1_27merge_sort_block_merge_implIS3_PfN6thrust23THRUST_200600_302600_NS10device_ptrIlEEjNS1_19radix_merge_compareILb0ELb0EfNS0_19identity_decomposerEEEEE10hipError_tT0_T1_T2_jT3_P12ihipStream_tbPNSt15iterator_traitsISG_E10value_typeEPNSM_ISH_E10value_typeEPSI_NS1_7vsmem_tEENKUlT_SG_SH_SI_E_clIS7_S7_SB_PlEESF_SV_SG_SH_SI_EUlSV_E1_NS1_11comp_targetILNS1_3genE10ELNS1_11target_archE1201ELNS1_3gpuE5ELNS1_3repE0EEENS1_36merge_oddeven_config_static_selectorELNS0_4arch9wavefront6targetE1EEEvSH_.num_agpr, 0
	.set _ZN7rocprim17ROCPRIM_400000_NS6detail17trampoline_kernelINS0_14default_configENS1_38merge_sort_block_merge_config_selectorIflEEZZNS1_27merge_sort_block_merge_implIS3_PfN6thrust23THRUST_200600_302600_NS10device_ptrIlEEjNS1_19radix_merge_compareILb0ELb0EfNS0_19identity_decomposerEEEEE10hipError_tT0_T1_T2_jT3_P12ihipStream_tbPNSt15iterator_traitsISG_E10value_typeEPNSM_ISH_E10value_typeEPSI_NS1_7vsmem_tEENKUlT_SG_SH_SI_E_clIS7_S7_SB_PlEESF_SV_SG_SH_SI_EUlSV_E1_NS1_11comp_targetILNS1_3genE10ELNS1_11target_archE1201ELNS1_3gpuE5ELNS1_3repE0EEENS1_36merge_oddeven_config_static_selectorELNS0_4arch9wavefront6targetE1EEEvSH_.numbered_sgpr, 0
	.set _ZN7rocprim17ROCPRIM_400000_NS6detail17trampoline_kernelINS0_14default_configENS1_38merge_sort_block_merge_config_selectorIflEEZZNS1_27merge_sort_block_merge_implIS3_PfN6thrust23THRUST_200600_302600_NS10device_ptrIlEEjNS1_19radix_merge_compareILb0ELb0EfNS0_19identity_decomposerEEEEE10hipError_tT0_T1_T2_jT3_P12ihipStream_tbPNSt15iterator_traitsISG_E10value_typeEPNSM_ISH_E10value_typeEPSI_NS1_7vsmem_tEENKUlT_SG_SH_SI_E_clIS7_S7_SB_PlEESF_SV_SG_SH_SI_EUlSV_E1_NS1_11comp_targetILNS1_3genE10ELNS1_11target_archE1201ELNS1_3gpuE5ELNS1_3repE0EEENS1_36merge_oddeven_config_static_selectorELNS0_4arch9wavefront6targetE1EEEvSH_.num_named_barrier, 0
	.set _ZN7rocprim17ROCPRIM_400000_NS6detail17trampoline_kernelINS0_14default_configENS1_38merge_sort_block_merge_config_selectorIflEEZZNS1_27merge_sort_block_merge_implIS3_PfN6thrust23THRUST_200600_302600_NS10device_ptrIlEEjNS1_19radix_merge_compareILb0ELb0EfNS0_19identity_decomposerEEEEE10hipError_tT0_T1_T2_jT3_P12ihipStream_tbPNSt15iterator_traitsISG_E10value_typeEPNSM_ISH_E10value_typeEPSI_NS1_7vsmem_tEENKUlT_SG_SH_SI_E_clIS7_S7_SB_PlEESF_SV_SG_SH_SI_EUlSV_E1_NS1_11comp_targetILNS1_3genE10ELNS1_11target_archE1201ELNS1_3gpuE5ELNS1_3repE0EEENS1_36merge_oddeven_config_static_selectorELNS0_4arch9wavefront6targetE1EEEvSH_.private_seg_size, 0
	.set _ZN7rocprim17ROCPRIM_400000_NS6detail17trampoline_kernelINS0_14default_configENS1_38merge_sort_block_merge_config_selectorIflEEZZNS1_27merge_sort_block_merge_implIS3_PfN6thrust23THRUST_200600_302600_NS10device_ptrIlEEjNS1_19radix_merge_compareILb0ELb0EfNS0_19identity_decomposerEEEEE10hipError_tT0_T1_T2_jT3_P12ihipStream_tbPNSt15iterator_traitsISG_E10value_typeEPNSM_ISH_E10value_typeEPSI_NS1_7vsmem_tEENKUlT_SG_SH_SI_E_clIS7_S7_SB_PlEESF_SV_SG_SH_SI_EUlSV_E1_NS1_11comp_targetILNS1_3genE10ELNS1_11target_archE1201ELNS1_3gpuE5ELNS1_3repE0EEENS1_36merge_oddeven_config_static_selectorELNS0_4arch9wavefront6targetE1EEEvSH_.uses_vcc, 0
	.set _ZN7rocprim17ROCPRIM_400000_NS6detail17trampoline_kernelINS0_14default_configENS1_38merge_sort_block_merge_config_selectorIflEEZZNS1_27merge_sort_block_merge_implIS3_PfN6thrust23THRUST_200600_302600_NS10device_ptrIlEEjNS1_19radix_merge_compareILb0ELb0EfNS0_19identity_decomposerEEEEE10hipError_tT0_T1_T2_jT3_P12ihipStream_tbPNSt15iterator_traitsISG_E10value_typeEPNSM_ISH_E10value_typeEPSI_NS1_7vsmem_tEENKUlT_SG_SH_SI_E_clIS7_S7_SB_PlEESF_SV_SG_SH_SI_EUlSV_E1_NS1_11comp_targetILNS1_3genE10ELNS1_11target_archE1201ELNS1_3gpuE5ELNS1_3repE0EEENS1_36merge_oddeven_config_static_selectorELNS0_4arch9wavefront6targetE1EEEvSH_.uses_flat_scratch, 0
	.set _ZN7rocprim17ROCPRIM_400000_NS6detail17trampoline_kernelINS0_14default_configENS1_38merge_sort_block_merge_config_selectorIflEEZZNS1_27merge_sort_block_merge_implIS3_PfN6thrust23THRUST_200600_302600_NS10device_ptrIlEEjNS1_19radix_merge_compareILb0ELb0EfNS0_19identity_decomposerEEEEE10hipError_tT0_T1_T2_jT3_P12ihipStream_tbPNSt15iterator_traitsISG_E10value_typeEPNSM_ISH_E10value_typeEPSI_NS1_7vsmem_tEENKUlT_SG_SH_SI_E_clIS7_S7_SB_PlEESF_SV_SG_SH_SI_EUlSV_E1_NS1_11comp_targetILNS1_3genE10ELNS1_11target_archE1201ELNS1_3gpuE5ELNS1_3repE0EEENS1_36merge_oddeven_config_static_selectorELNS0_4arch9wavefront6targetE1EEEvSH_.has_dyn_sized_stack, 0
	.set _ZN7rocprim17ROCPRIM_400000_NS6detail17trampoline_kernelINS0_14default_configENS1_38merge_sort_block_merge_config_selectorIflEEZZNS1_27merge_sort_block_merge_implIS3_PfN6thrust23THRUST_200600_302600_NS10device_ptrIlEEjNS1_19radix_merge_compareILb0ELb0EfNS0_19identity_decomposerEEEEE10hipError_tT0_T1_T2_jT3_P12ihipStream_tbPNSt15iterator_traitsISG_E10value_typeEPNSM_ISH_E10value_typeEPSI_NS1_7vsmem_tEENKUlT_SG_SH_SI_E_clIS7_S7_SB_PlEESF_SV_SG_SH_SI_EUlSV_E1_NS1_11comp_targetILNS1_3genE10ELNS1_11target_archE1201ELNS1_3gpuE5ELNS1_3repE0EEENS1_36merge_oddeven_config_static_selectorELNS0_4arch9wavefront6targetE1EEEvSH_.has_recursion, 0
	.set _ZN7rocprim17ROCPRIM_400000_NS6detail17trampoline_kernelINS0_14default_configENS1_38merge_sort_block_merge_config_selectorIflEEZZNS1_27merge_sort_block_merge_implIS3_PfN6thrust23THRUST_200600_302600_NS10device_ptrIlEEjNS1_19radix_merge_compareILb0ELb0EfNS0_19identity_decomposerEEEEE10hipError_tT0_T1_T2_jT3_P12ihipStream_tbPNSt15iterator_traitsISG_E10value_typeEPNSM_ISH_E10value_typeEPSI_NS1_7vsmem_tEENKUlT_SG_SH_SI_E_clIS7_S7_SB_PlEESF_SV_SG_SH_SI_EUlSV_E1_NS1_11comp_targetILNS1_3genE10ELNS1_11target_archE1201ELNS1_3gpuE5ELNS1_3repE0EEENS1_36merge_oddeven_config_static_selectorELNS0_4arch9wavefront6targetE1EEEvSH_.has_indirect_call, 0
	.section	.AMDGPU.csdata,"",@progbits
; Kernel info:
; codeLenInByte = 0
; TotalNumSgprs: 4
; NumVgprs: 0
; ScratchSize: 0
; MemoryBound: 0
; FloatMode: 240
; IeeeMode: 1
; LDSByteSize: 0 bytes/workgroup (compile time only)
; SGPRBlocks: 0
; VGPRBlocks: 0
; NumSGPRsForWavesPerEU: 4
; NumVGPRsForWavesPerEU: 1
; Occupancy: 10
; WaveLimiterHint : 0
; COMPUTE_PGM_RSRC2:SCRATCH_EN: 0
; COMPUTE_PGM_RSRC2:USER_SGPR: 6
; COMPUTE_PGM_RSRC2:TRAP_HANDLER: 0
; COMPUTE_PGM_RSRC2:TGID_X_EN: 1
; COMPUTE_PGM_RSRC2:TGID_Y_EN: 0
; COMPUTE_PGM_RSRC2:TGID_Z_EN: 0
; COMPUTE_PGM_RSRC2:TIDIG_COMP_CNT: 0
	.section	.text._ZN7rocprim17ROCPRIM_400000_NS6detail17trampoline_kernelINS0_14default_configENS1_38merge_sort_block_merge_config_selectorIflEEZZNS1_27merge_sort_block_merge_implIS3_PfN6thrust23THRUST_200600_302600_NS10device_ptrIlEEjNS1_19radix_merge_compareILb0ELb0EfNS0_19identity_decomposerEEEEE10hipError_tT0_T1_T2_jT3_P12ihipStream_tbPNSt15iterator_traitsISG_E10value_typeEPNSM_ISH_E10value_typeEPSI_NS1_7vsmem_tEENKUlT_SG_SH_SI_E_clIS7_S7_SB_PlEESF_SV_SG_SH_SI_EUlSV_E1_NS1_11comp_targetILNS1_3genE5ELNS1_11target_archE942ELNS1_3gpuE9ELNS1_3repE0EEENS1_36merge_oddeven_config_static_selectorELNS0_4arch9wavefront6targetE1EEEvSH_,"axG",@progbits,_ZN7rocprim17ROCPRIM_400000_NS6detail17trampoline_kernelINS0_14default_configENS1_38merge_sort_block_merge_config_selectorIflEEZZNS1_27merge_sort_block_merge_implIS3_PfN6thrust23THRUST_200600_302600_NS10device_ptrIlEEjNS1_19radix_merge_compareILb0ELb0EfNS0_19identity_decomposerEEEEE10hipError_tT0_T1_T2_jT3_P12ihipStream_tbPNSt15iterator_traitsISG_E10value_typeEPNSM_ISH_E10value_typeEPSI_NS1_7vsmem_tEENKUlT_SG_SH_SI_E_clIS7_S7_SB_PlEESF_SV_SG_SH_SI_EUlSV_E1_NS1_11comp_targetILNS1_3genE5ELNS1_11target_archE942ELNS1_3gpuE9ELNS1_3repE0EEENS1_36merge_oddeven_config_static_selectorELNS0_4arch9wavefront6targetE1EEEvSH_,comdat
	.protected	_ZN7rocprim17ROCPRIM_400000_NS6detail17trampoline_kernelINS0_14default_configENS1_38merge_sort_block_merge_config_selectorIflEEZZNS1_27merge_sort_block_merge_implIS3_PfN6thrust23THRUST_200600_302600_NS10device_ptrIlEEjNS1_19radix_merge_compareILb0ELb0EfNS0_19identity_decomposerEEEEE10hipError_tT0_T1_T2_jT3_P12ihipStream_tbPNSt15iterator_traitsISG_E10value_typeEPNSM_ISH_E10value_typeEPSI_NS1_7vsmem_tEENKUlT_SG_SH_SI_E_clIS7_S7_SB_PlEESF_SV_SG_SH_SI_EUlSV_E1_NS1_11comp_targetILNS1_3genE5ELNS1_11target_archE942ELNS1_3gpuE9ELNS1_3repE0EEENS1_36merge_oddeven_config_static_selectorELNS0_4arch9wavefront6targetE1EEEvSH_ ; -- Begin function _ZN7rocprim17ROCPRIM_400000_NS6detail17trampoline_kernelINS0_14default_configENS1_38merge_sort_block_merge_config_selectorIflEEZZNS1_27merge_sort_block_merge_implIS3_PfN6thrust23THRUST_200600_302600_NS10device_ptrIlEEjNS1_19radix_merge_compareILb0ELb0EfNS0_19identity_decomposerEEEEE10hipError_tT0_T1_T2_jT3_P12ihipStream_tbPNSt15iterator_traitsISG_E10value_typeEPNSM_ISH_E10value_typeEPSI_NS1_7vsmem_tEENKUlT_SG_SH_SI_E_clIS7_S7_SB_PlEESF_SV_SG_SH_SI_EUlSV_E1_NS1_11comp_targetILNS1_3genE5ELNS1_11target_archE942ELNS1_3gpuE9ELNS1_3repE0EEENS1_36merge_oddeven_config_static_selectorELNS0_4arch9wavefront6targetE1EEEvSH_
	.globl	_ZN7rocprim17ROCPRIM_400000_NS6detail17trampoline_kernelINS0_14default_configENS1_38merge_sort_block_merge_config_selectorIflEEZZNS1_27merge_sort_block_merge_implIS3_PfN6thrust23THRUST_200600_302600_NS10device_ptrIlEEjNS1_19radix_merge_compareILb0ELb0EfNS0_19identity_decomposerEEEEE10hipError_tT0_T1_T2_jT3_P12ihipStream_tbPNSt15iterator_traitsISG_E10value_typeEPNSM_ISH_E10value_typeEPSI_NS1_7vsmem_tEENKUlT_SG_SH_SI_E_clIS7_S7_SB_PlEESF_SV_SG_SH_SI_EUlSV_E1_NS1_11comp_targetILNS1_3genE5ELNS1_11target_archE942ELNS1_3gpuE9ELNS1_3repE0EEENS1_36merge_oddeven_config_static_selectorELNS0_4arch9wavefront6targetE1EEEvSH_
	.p2align	8
	.type	_ZN7rocprim17ROCPRIM_400000_NS6detail17trampoline_kernelINS0_14default_configENS1_38merge_sort_block_merge_config_selectorIflEEZZNS1_27merge_sort_block_merge_implIS3_PfN6thrust23THRUST_200600_302600_NS10device_ptrIlEEjNS1_19radix_merge_compareILb0ELb0EfNS0_19identity_decomposerEEEEE10hipError_tT0_T1_T2_jT3_P12ihipStream_tbPNSt15iterator_traitsISG_E10value_typeEPNSM_ISH_E10value_typeEPSI_NS1_7vsmem_tEENKUlT_SG_SH_SI_E_clIS7_S7_SB_PlEESF_SV_SG_SH_SI_EUlSV_E1_NS1_11comp_targetILNS1_3genE5ELNS1_11target_archE942ELNS1_3gpuE9ELNS1_3repE0EEENS1_36merge_oddeven_config_static_selectorELNS0_4arch9wavefront6targetE1EEEvSH_,@function
_ZN7rocprim17ROCPRIM_400000_NS6detail17trampoline_kernelINS0_14default_configENS1_38merge_sort_block_merge_config_selectorIflEEZZNS1_27merge_sort_block_merge_implIS3_PfN6thrust23THRUST_200600_302600_NS10device_ptrIlEEjNS1_19radix_merge_compareILb0ELb0EfNS0_19identity_decomposerEEEEE10hipError_tT0_T1_T2_jT3_P12ihipStream_tbPNSt15iterator_traitsISG_E10value_typeEPNSM_ISH_E10value_typeEPSI_NS1_7vsmem_tEENKUlT_SG_SH_SI_E_clIS7_S7_SB_PlEESF_SV_SG_SH_SI_EUlSV_E1_NS1_11comp_targetILNS1_3genE5ELNS1_11target_archE942ELNS1_3gpuE9ELNS1_3repE0EEENS1_36merge_oddeven_config_static_selectorELNS0_4arch9wavefront6targetE1EEEvSH_: ; @_ZN7rocprim17ROCPRIM_400000_NS6detail17trampoline_kernelINS0_14default_configENS1_38merge_sort_block_merge_config_selectorIflEEZZNS1_27merge_sort_block_merge_implIS3_PfN6thrust23THRUST_200600_302600_NS10device_ptrIlEEjNS1_19radix_merge_compareILb0ELb0EfNS0_19identity_decomposerEEEEE10hipError_tT0_T1_T2_jT3_P12ihipStream_tbPNSt15iterator_traitsISG_E10value_typeEPNSM_ISH_E10value_typeEPSI_NS1_7vsmem_tEENKUlT_SG_SH_SI_E_clIS7_S7_SB_PlEESF_SV_SG_SH_SI_EUlSV_E1_NS1_11comp_targetILNS1_3genE5ELNS1_11target_archE942ELNS1_3gpuE9ELNS1_3repE0EEENS1_36merge_oddeven_config_static_selectorELNS0_4arch9wavefront6targetE1EEEvSH_
; %bb.0:
	.section	.rodata,"a",@progbits
	.p2align	6, 0x0
	.amdhsa_kernel _ZN7rocprim17ROCPRIM_400000_NS6detail17trampoline_kernelINS0_14default_configENS1_38merge_sort_block_merge_config_selectorIflEEZZNS1_27merge_sort_block_merge_implIS3_PfN6thrust23THRUST_200600_302600_NS10device_ptrIlEEjNS1_19radix_merge_compareILb0ELb0EfNS0_19identity_decomposerEEEEE10hipError_tT0_T1_T2_jT3_P12ihipStream_tbPNSt15iterator_traitsISG_E10value_typeEPNSM_ISH_E10value_typeEPSI_NS1_7vsmem_tEENKUlT_SG_SH_SI_E_clIS7_S7_SB_PlEESF_SV_SG_SH_SI_EUlSV_E1_NS1_11comp_targetILNS1_3genE5ELNS1_11target_archE942ELNS1_3gpuE9ELNS1_3repE0EEENS1_36merge_oddeven_config_static_selectorELNS0_4arch9wavefront6targetE1EEEvSH_
		.amdhsa_group_segment_fixed_size 0
		.amdhsa_private_segment_fixed_size 0
		.amdhsa_kernarg_size 48
		.amdhsa_user_sgpr_count 6
		.amdhsa_user_sgpr_private_segment_buffer 1
		.amdhsa_user_sgpr_dispatch_ptr 0
		.amdhsa_user_sgpr_queue_ptr 0
		.amdhsa_user_sgpr_kernarg_segment_ptr 1
		.amdhsa_user_sgpr_dispatch_id 0
		.amdhsa_user_sgpr_flat_scratch_init 0
		.amdhsa_user_sgpr_private_segment_size 0
		.amdhsa_uses_dynamic_stack 0
		.amdhsa_system_sgpr_private_segment_wavefront_offset 0
		.amdhsa_system_sgpr_workgroup_id_x 1
		.amdhsa_system_sgpr_workgroup_id_y 0
		.amdhsa_system_sgpr_workgroup_id_z 0
		.amdhsa_system_sgpr_workgroup_info 0
		.amdhsa_system_vgpr_workitem_id 0
		.amdhsa_next_free_vgpr 1
		.amdhsa_next_free_sgpr 0
		.amdhsa_reserve_vcc 0
		.amdhsa_reserve_flat_scratch 0
		.amdhsa_float_round_mode_32 0
		.amdhsa_float_round_mode_16_64 0
		.amdhsa_float_denorm_mode_32 3
		.amdhsa_float_denorm_mode_16_64 3
		.amdhsa_dx10_clamp 1
		.amdhsa_ieee_mode 1
		.amdhsa_fp16_overflow 0
		.amdhsa_exception_fp_ieee_invalid_op 0
		.amdhsa_exception_fp_denorm_src 0
		.amdhsa_exception_fp_ieee_div_zero 0
		.amdhsa_exception_fp_ieee_overflow 0
		.amdhsa_exception_fp_ieee_underflow 0
		.amdhsa_exception_fp_ieee_inexact 0
		.amdhsa_exception_int_div_zero 0
	.end_amdhsa_kernel
	.section	.text._ZN7rocprim17ROCPRIM_400000_NS6detail17trampoline_kernelINS0_14default_configENS1_38merge_sort_block_merge_config_selectorIflEEZZNS1_27merge_sort_block_merge_implIS3_PfN6thrust23THRUST_200600_302600_NS10device_ptrIlEEjNS1_19radix_merge_compareILb0ELb0EfNS0_19identity_decomposerEEEEE10hipError_tT0_T1_T2_jT3_P12ihipStream_tbPNSt15iterator_traitsISG_E10value_typeEPNSM_ISH_E10value_typeEPSI_NS1_7vsmem_tEENKUlT_SG_SH_SI_E_clIS7_S7_SB_PlEESF_SV_SG_SH_SI_EUlSV_E1_NS1_11comp_targetILNS1_3genE5ELNS1_11target_archE942ELNS1_3gpuE9ELNS1_3repE0EEENS1_36merge_oddeven_config_static_selectorELNS0_4arch9wavefront6targetE1EEEvSH_,"axG",@progbits,_ZN7rocprim17ROCPRIM_400000_NS6detail17trampoline_kernelINS0_14default_configENS1_38merge_sort_block_merge_config_selectorIflEEZZNS1_27merge_sort_block_merge_implIS3_PfN6thrust23THRUST_200600_302600_NS10device_ptrIlEEjNS1_19radix_merge_compareILb0ELb0EfNS0_19identity_decomposerEEEEE10hipError_tT0_T1_T2_jT3_P12ihipStream_tbPNSt15iterator_traitsISG_E10value_typeEPNSM_ISH_E10value_typeEPSI_NS1_7vsmem_tEENKUlT_SG_SH_SI_E_clIS7_S7_SB_PlEESF_SV_SG_SH_SI_EUlSV_E1_NS1_11comp_targetILNS1_3genE5ELNS1_11target_archE942ELNS1_3gpuE9ELNS1_3repE0EEENS1_36merge_oddeven_config_static_selectorELNS0_4arch9wavefront6targetE1EEEvSH_,comdat
.Lfunc_end1802:
	.size	_ZN7rocprim17ROCPRIM_400000_NS6detail17trampoline_kernelINS0_14default_configENS1_38merge_sort_block_merge_config_selectorIflEEZZNS1_27merge_sort_block_merge_implIS3_PfN6thrust23THRUST_200600_302600_NS10device_ptrIlEEjNS1_19radix_merge_compareILb0ELb0EfNS0_19identity_decomposerEEEEE10hipError_tT0_T1_T2_jT3_P12ihipStream_tbPNSt15iterator_traitsISG_E10value_typeEPNSM_ISH_E10value_typeEPSI_NS1_7vsmem_tEENKUlT_SG_SH_SI_E_clIS7_S7_SB_PlEESF_SV_SG_SH_SI_EUlSV_E1_NS1_11comp_targetILNS1_3genE5ELNS1_11target_archE942ELNS1_3gpuE9ELNS1_3repE0EEENS1_36merge_oddeven_config_static_selectorELNS0_4arch9wavefront6targetE1EEEvSH_, .Lfunc_end1802-_ZN7rocprim17ROCPRIM_400000_NS6detail17trampoline_kernelINS0_14default_configENS1_38merge_sort_block_merge_config_selectorIflEEZZNS1_27merge_sort_block_merge_implIS3_PfN6thrust23THRUST_200600_302600_NS10device_ptrIlEEjNS1_19radix_merge_compareILb0ELb0EfNS0_19identity_decomposerEEEEE10hipError_tT0_T1_T2_jT3_P12ihipStream_tbPNSt15iterator_traitsISG_E10value_typeEPNSM_ISH_E10value_typeEPSI_NS1_7vsmem_tEENKUlT_SG_SH_SI_E_clIS7_S7_SB_PlEESF_SV_SG_SH_SI_EUlSV_E1_NS1_11comp_targetILNS1_3genE5ELNS1_11target_archE942ELNS1_3gpuE9ELNS1_3repE0EEENS1_36merge_oddeven_config_static_selectorELNS0_4arch9wavefront6targetE1EEEvSH_
                                        ; -- End function
	.set _ZN7rocprim17ROCPRIM_400000_NS6detail17trampoline_kernelINS0_14default_configENS1_38merge_sort_block_merge_config_selectorIflEEZZNS1_27merge_sort_block_merge_implIS3_PfN6thrust23THRUST_200600_302600_NS10device_ptrIlEEjNS1_19radix_merge_compareILb0ELb0EfNS0_19identity_decomposerEEEEE10hipError_tT0_T1_T2_jT3_P12ihipStream_tbPNSt15iterator_traitsISG_E10value_typeEPNSM_ISH_E10value_typeEPSI_NS1_7vsmem_tEENKUlT_SG_SH_SI_E_clIS7_S7_SB_PlEESF_SV_SG_SH_SI_EUlSV_E1_NS1_11comp_targetILNS1_3genE5ELNS1_11target_archE942ELNS1_3gpuE9ELNS1_3repE0EEENS1_36merge_oddeven_config_static_selectorELNS0_4arch9wavefront6targetE1EEEvSH_.num_vgpr, 0
	.set _ZN7rocprim17ROCPRIM_400000_NS6detail17trampoline_kernelINS0_14default_configENS1_38merge_sort_block_merge_config_selectorIflEEZZNS1_27merge_sort_block_merge_implIS3_PfN6thrust23THRUST_200600_302600_NS10device_ptrIlEEjNS1_19radix_merge_compareILb0ELb0EfNS0_19identity_decomposerEEEEE10hipError_tT0_T1_T2_jT3_P12ihipStream_tbPNSt15iterator_traitsISG_E10value_typeEPNSM_ISH_E10value_typeEPSI_NS1_7vsmem_tEENKUlT_SG_SH_SI_E_clIS7_S7_SB_PlEESF_SV_SG_SH_SI_EUlSV_E1_NS1_11comp_targetILNS1_3genE5ELNS1_11target_archE942ELNS1_3gpuE9ELNS1_3repE0EEENS1_36merge_oddeven_config_static_selectorELNS0_4arch9wavefront6targetE1EEEvSH_.num_agpr, 0
	.set _ZN7rocprim17ROCPRIM_400000_NS6detail17trampoline_kernelINS0_14default_configENS1_38merge_sort_block_merge_config_selectorIflEEZZNS1_27merge_sort_block_merge_implIS3_PfN6thrust23THRUST_200600_302600_NS10device_ptrIlEEjNS1_19radix_merge_compareILb0ELb0EfNS0_19identity_decomposerEEEEE10hipError_tT0_T1_T2_jT3_P12ihipStream_tbPNSt15iterator_traitsISG_E10value_typeEPNSM_ISH_E10value_typeEPSI_NS1_7vsmem_tEENKUlT_SG_SH_SI_E_clIS7_S7_SB_PlEESF_SV_SG_SH_SI_EUlSV_E1_NS1_11comp_targetILNS1_3genE5ELNS1_11target_archE942ELNS1_3gpuE9ELNS1_3repE0EEENS1_36merge_oddeven_config_static_selectorELNS0_4arch9wavefront6targetE1EEEvSH_.numbered_sgpr, 0
	.set _ZN7rocprim17ROCPRIM_400000_NS6detail17trampoline_kernelINS0_14default_configENS1_38merge_sort_block_merge_config_selectorIflEEZZNS1_27merge_sort_block_merge_implIS3_PfN6thrust23THRUST_200600_302600_NS10device_ptrIlEEjNS1_19radix_merge_compareILb0ELb0EfNS0_19identity_decomposerEEEEE10hipError_tT0_T1_T2_jT3_P12ihipStream_tbPNSt15iterator_traitsISG_E10value_typeEPNSM_ISH_E10value_typeEPSI_NS1_7vsmem_tEENKUlT_SG_SH_SI_E_clIS7_S7_SB_PlEESF_SV_SG_SH_SI_EUlSV_E1_NS1_11comp_targetILNS1_3genE5ELNS1_11target_archE942ELNS1_3gpuE9ELNS1_3repE0EEENS1_36merge_oddeven_config_static_selectorELNS0_4arch9wavefront6targetE1EEEvSH_.num_named_barrier, 0
	.set _ZN7rocprim17ROCPRIM_400000_NS6detail17trampoline_kernelINS0_14default_configENS1_38merge_sort_block_merge_config_selectorIflEEZZNS1_27merge_sort_block_merge_implIS3_PfN6thrust23THRUST_200600_302600_NS10device_ptrIlEEjNS1_19radix_merge_compareILb0ELb0EfNS0_19identity_decomposerEEEEE10hipError_tT0_T1_T2_jT3_P12ihipStream_tbPNSt15iterator_traitsISG_E10value_typeEPNSM_ISH_E10value_typeEPSI_NS1_7vsmem_tEENKUlT_SG_SH_SI_E_clIS7_S7_SB_PlEESF_SV_SG_SH_SI_EUlSV_E1_NS1_11comp_targetILNS1_3genE5ELNS1_11target_archE942ELNS1_3gpuE9ELNS1_3repE0EEENS1_36merge_oddeven_config_static_selectorELNS0_4arch9wavefront6targetE1EEEvSH_.private_seg_size, 0
	.set _ZN7rocprim17ROCPRIM_400000_NS6detail17trampoline_kernelINS0_14default_configENS1_38merge_sort_block_merge_config_selectorIflEEZZNS1_27merge_sort_block_merge_implIS3_PfN6thrust23THRUST_200600_302600_NS10device_ptrIlEEjNS1_19radix_merge_compareILb0ELb0EfNS0_19identity_decomposerEEEEE10hipError_tT0_T1_T2_jT3_P12ihipStream_tbPNSt15iterator_traitsISG_E10value_typeEPNSM_ISH_E10value_typeEPSI_NS1_7vsmem_tEENKUlT_SG_SH_SI_E_clIS7_S7_SB_PlEESF_SV_SG_SH_SI_EUlSV_E1_NS1_11comp_targetILNS1_3genE5ELNS1_11target_archE942ELNS1_3gpuE9ELNS1_3repE0EEENS1_36merge_oddeven_config_static_selectorELNS0_4arch9wavefront6targetE1EEEvSH_.uses_vcc, 0
	.set _ZN7rocprim17ROCPRIM_400000_NS6detail17trampoline_kernelINS0_14default_configENS1_38merge_sort_block_merge_config_selectorIflEEZZNS1_27merge_sort_block_merge_implIS3_PfN6thrust23THRUST_200600_302600_NS10device_ptrIlEEjNS1_19radix_merge_compareILb0ELb0EfNS0_19identity_decomposerEEEEE10hipError_tT0_T1_T2_jT3_P12ihipStream_tbPNSt15iterator_traitsISG_E10value_typeEPNSM_ISH_E10value_typeEPSI_NS1_7vsmem_tEENKUlT_SG_SH_SI_E_clIS7_S7_SB_PlEESF_SV_SG_SH_SI_EUlSV_E1_NS1_11comp_targetILNS1_3genE5ELNS1_11target_archE942ELNS1_3gpuE9ELNS1_3repE0EEENS1_36merge_oddeven_config_static_selectorELNS0_4arch9wavefront6targetE1EEEvSH_.uses_flat_scratch, 0
	.set _ZN7rocprim17ROCPRIM_400000_NS6detail17trampoline_kernelINS0_14default_configENS1_38merge_sort_block_merge_config_selectorIflEEZZNS1_27merge_sort_block_merge_implIS3_PfN6thrust23THRUST_200600_302600_NS10device_ptrIlEEjNS1_19radix_merge_compareILb0ELb0EfNS0_19identity_decomposerEEEEE10hipError_tT0_T1_T2_jT3_P12ihipStream_tbPNSt15iterator_traitsISG_E10value_typeEPNSM_ISH_E10value_typeEPSI_NS1_7vsmem_tEENKUlT_SG_SH_SI_E_clIS7_S7_SB_PlEESF_SV_SG_SH_SI_EUlSV_E1_NS1_11comp_targetILNS1_3genE5ELNS1_11target_archE942ELNS1_3gpuE9ELNS1_3repE0EEENS1_36merge_oddeven_config_static_selectorELNS0_4arch9wavefront6targetE1EEEvSH_.has_dyn_sized_stack, 0
	.set _ZN7rocprim17ROCPRIM_400000_NS6detail17trampoline_kernelINS0_14default_configENS1_38merge_sort_block_merge_config_selectorIflEEZZNS1_27merge_sort_block_merge_implIS3_PfN6thrust23THRUST_200600_302600_NS10device_ptrIlEEjNS1_19radix_merge_compareILb0ELb0EfNS0_19identity_decomposerEEEEE10hipError_tT0_T1_T2_jT3_P12ihipStream_tbPNSt15iterator_traitsISG_E10value_typeEPNSM_ISH_E10value_typeEPSI_NS1_7vsmem_tEENKUlT_SG_SH_SI_E_clIS7_S7_SB_PlEESF_SV_SG_SH_SI_EUlSV_E1_NS1_11comp_targetILNS1_3genE5ELNS1_11target_archE942ELNS1_3gpuE9ELNS1_3repE0EEENS1_36merge_oddeven_config_static_selectorELNS0_4arch9wavefront6targetE1EEEvSH_.has_recursion, 0
	.set _ZN7rocprim17ROCPRIM_400000_NS6detail17trampoline_kernelINS0_14default_configENS1_38merge_sort_block_merge_config_selectorIflEEZZNS1_27merge_sort_block_merge_implIS3_PfN6thrust23THRUST_200600_302600_NS10device_ptrIlEEjNS1_19radix_merge_compareILb0ELb0EfNS0_19identity_decomposerEEEEE10hipError_tT0_T1_T2_jT3_P12ihipStream_tbPNSt15iterator_traitsISG_E10value_typeEPNSM_ISH_E10value_typeEPSI_NS1_7vsmem_tEENKUlT_SG_SH_SI_E_clIS7_S7_SB_PlEESF_SV_SG_SH_SI_EUlSV_E1_NS1_11comp_targetILNS1_3genE5ELNS1_11target_archE942ELNS1_3gpuE9ELNS1_3repE0EEENS1_36merge_oddeven_config_static_selectorELNS0_4arch9wavefront6targetE1EEEvSH_.has_indirect_call, 0
	.section	.AMDGPU.csdata,"",@progbits
; Kernel info:
; codeLenInByte = 0
; TotalNumSgprs: 4
; NumVgprs: 0
; ScratchSize: 0
; MemoryBound: 0
; FloatMode: 240
; IeeeMode: 1
; LDSByteSize: 0 bytes/workgroup (compile time only)
; SGPRBlocks: 0
; VGPRBlocks: 0
; NumSGPRsForWavesPerEU: 4
; NumVGPRsForWavesPerEU: 1
; Occupancy: 10
; WaveLimiterHint : 0
; COMPUTE_PGM_RSRC2:SCRATCH_EN: 0
; COMPUTE_PGM_RSRC2:USER_SGPR: 6
; COMPUTE_PGM_RSRC2:TRAP_HANDLER: 0
; COMPUTE_PGM_RSRC2:TGID_X_EN: 1
; COMPUTE_PGM_RSRC2:TGID_Y_EN: 0
; COMPUTE_PGM_RSRC2:TGID_Z_EN: 0
; COMPUTE_PGM_RSRC2:TIDIG_COMP_CNT: 0
	.section	.text._ZN7rocprim17ROCPRIM_400000_NS6detail17trampoline_kernelINS0_14default_configENS1_38merge_sort_block_merge_config_selectorIflEEZZNS1_27merge_sort_block_merge_implIS3_PfN6thrust23THRUST_200600_302600_NS10device_ptrIlEEjNS1_19radix_merge_compareILb0ELb0EfNS0_19identity_decomposerEEEEE10hipError_tT0_T1_T2_jT3_P12ihipStream_tbPNSt15iterator_traitsISG_E10value_typeEPNSM_ISH_E10value_typeEPSI_NS1_7vsmem_tEENKUlT_SG_SH_SI_E_clIS7_S7_SB_PlEESF_SV_SG_SH_SI_EUlSV_E1_NS1_11comp_targetILNS1_3genE4ELNS1_11target_archE910ELNS1_3gpuE8ELNS1_3repE0EEENS1_36merge_oddeven_config_static_selectorELNS0_4arch9wavefront6targetE1EEEvSH_,"axG",@progbits,_ZN7rocprim17ROCPRIM_400000_NS6detail17trampoline_kernelINS0_14default_configENS1_38merge_sort_block_merge_config_selectorIflEEZZNS1_27merge_sort_block_merge_implIS3_PfN6thrust23THRUST_200600_302600_NS10device_ptrIlEEjNS1_19radix_merge_compareILb0ELb0EfNS0_19identity_decomposerEEEEE10hipError_tT0_T1_T2_jT3_P12ihipStream_tbPNSt15iterator_traitsISG_E10value_typeEPNSM_ISH_E10value_typeEPSI_NS1_7vsmem_tEENKUlT_SG_SH_SI_E_clIS7_S7_SB_PlEESF_SV_SG_SH_SI_EUlSV_E1_NS1_11comp_targetILNS1_3genE4ELNS1_11target_archE910ELNS1_3gpuE8ELNS1_3repE0EEENS1_36merge_oddeven_config_static_selectorELNS0_4arch9wavefront6targetE1EEEvSH_,comdat
	.protected	_ZN7rocprim17ROCPRIM_400000_NS6detail17trampoline_kernelINS0_14default_configENS1_38merge_sort_block_merge_config_selectorIflEEZZNS1_27merge_sort_block_merge_implIS3_PfN6thrust23THRUST_200600_302600_NS10device_ptrIlEEjNS1_19radix_merge_compareILb0ELb0EfNS0_19identity_decomposerEEEEE10hipError_tT0_T1_T2_jT3_P12ihipStream_tbPNSt15iterator_traitsISG_E10value_typeEPNSM_ISH_E10value_typeEPSI_NS1_7vsmem_tEENKUlT_SG_SH_SI_E_clIS7_S7_SB_PlEESF_SV_SG_SH_SI_EUlSV_E1_NS1_11comp_targetILNS1_3genE4ELNS1_11target_archE910ELNS1_3gpuE8ELNS1_3repE0EEENS1_36merge_oddeven_config_static_selectorELNS0_4arch9wavefront6targetE1EEEvSH_ ; -- Begin function _ZN7rocprim17ROCPRIM_400000_NS6detail17trampoline_kernelINS0_14default_configENS1_38merge_sort_block_merge_config_selectorIflEEZZNS1_27merge_sort_block_merge_implIS3_PfN6thrust23THRUST_200600_302600_NS10device_ptrIlEEjNS1_19radix_merge_compareILb0ELb0EfNS0_19identity_decomposerEEEEE10hipError_tT0_T1_T2_jT3_P12ihipStream_tbPNSt15iterator_traitsISG_E10value_typeEPNSM_ISH_E10value_typeEPSI_NS1_7vsmem_tEENKUlT_SG_SH_SI_E_clIS7_S7_SB_PlEESF_SV_SG_SH_SI_EUlSV_E1_NS1_11comp_targetILNS1_3genE4ELNS1_11target_archE910ELNS1_3gpuE8ELNS1_3repE0EEENS1_36merge_oddeven_config_static_selectorELNS0_4arch9wavefront6targetE1EEEvSH_
	.globl	_ZN7rocprim17ROCPRIM_400000_NS6detail17trampoline_kernelINS0_14default_configENS1_38merge_sort_block_merge_config_selectorIflEEZZNS1_27merge_sort_block_merge_implIS3_PfN6thrust23THRUST_200600_302600_NS10device_ptrIlEEjNS1_19radix_merge_compareILb0ELb0EfNS0_19identity_decomposerEEEEE10hipError_tT0_T1_T2_jT3_P12ihipStream_tbPNSt15iterator_traitsISG_E10value_typeEPNSM_ISH_E10value_typeEPSI_NS1_7vsmem_tEENKUlT_SG_SH_SI_E_clIS7_S7_SB_PlEESF_SV_SG_SH_SI_EUlSV_E1_NS1_11comp_targetILNS1_3genE4ELNS1_11target_archE910ELNS1_3gpuE8ELNS1_3repE0EEENS1_36merge_oddeven_config_static_selectorELNS0_4arch9wavefront6targetE1EEEvSH_
	.p2align	8
	.type	_ZN7rocprim17ROCPRIM_400000_NS6detail17trampoline_kernelINS0_14default_configENS1_38merge_sort_block_merge_config_selectorIflEEZZNS1_27merge_sort_block_merge_implIS3_PfN6thrust23THRUST_200600_302600_NS10device_ptrIlEEjNS1_19radix_merge_compareILb0ELb0EfNS0_19identity_decomposerEEEEE10hipError_tT0_T1_T2_jT3_P12ihipStream_tbPNSt15iterator_traitsISG_E10value_typeEPNSM_ISH_E10value_typeEPSI_NS1_7vsmem_tEENKUlT_SG_SH_SI_E_clIS7_S7_SB_PlEESF_SV_SG_SH_SI_EUlSV_E1_NS1_11comp_targetILNS1_3genE4ELNS1_11target_archE910ELNS1_3gpuE8ELNS1_3repE0EEENS1_36merge_oddeven_config_static_selectorELNS0_4arch9wavefront6targetE1EEEvSH_,@function
_ZN7rocprim17ROCPRIM_400000_NS6detail17trampoline_kernelINS0_14default_configENS1_38merge_sort_block_merge_config_selectorIflEEZZNS1_27merge_sort_block_merge_implIS3_PfN6thrust23THRUST_200600_302600_NS10device_ptrIlEEjNS1_19radix_merge_compareILb0ELb0EfNS0_19identity_decomposerEEEEE10hipError_tT0_T1_T2_jT3_P12ihipStream_tbPNSt15iterator_traitsISG_E10value_typeEPNSM_ISH_E10value_typeEPSI_NS1_7vsmem_tEENKUlT_SG_SH_SI_E_clIS7_S7_SB_PlEESF_SV_SG_SH_SI_EUlSV_E1_NS1_11comp_targetILNS1_3genE4ELNS1_11target_archE910ELNS1_3gpuE8ELNS1_3repE0EEENS1_36merge_oddeven_config_static_selectorELNS0_4arch9wavefront6targetE1EEEvSH_: ; @_ZN7rocprim17ROCPRIM_400000_NS6detail17trampoline_kernelINS0_14default_configENS1_38merge_sort_block_merge_config_selectorIflEEZZNS1_27merge_sort_block_merge_implIS3_PfN6thrust23THRUST_200600_302600_NS10device_ptrIlEEjNS1_19radix_merge_compareILb0ELb0EfNS0_19identity_decomposerEEEEE10hipError_tT0_T1_T2_jT3_P12ihipStream_tbPNSt15iterator_traitsISG_E10value_typeEPNSM_ISH_E10value_typeEPSI_NS1_7vsmem_tEENKUlT_SG_SH_SI_E_clIS7_S7_SB_PlEESF_SV_SG_SH_SI_EUlSV_E1_NS1_11comp_targetILNS1_3genE4ELNS1_11target_archE910ELNS1_3gpuE8ELNS1_3repE0EEENS1_36merge_oddeven_config_static_selectorELNS0_4arch9wavefront6targetE1EEEvSH_
; %bb.0:
	.section	.rodata,"a",@progbits
	.p2align	6, 0x0
	.amdhsa_kernel _ZN7rocprim17ROCPRIM_400000_NS6detail17trampoline_kernelINS0_14default_configENS1_38merge_sort_block_merge_config_selectorIflEEZZNS1_27merge_sort_block_merge_implIS3_PfN6thrust23THRUST_200600_302600_NS10device_ptrIlEEjNS1_19radix_merge_compareILb0ELb0EfNS0_19identity_decomposerEEEEE10hipError_tT0_T1_T2_jT3_P12ihipStream_tbPNSt15iterator_traitsISG_E10value_typeEPNSM_ISH_E10value_typeEPSI_NS1_7vsmem_tEENKUlT_SG_SH_SI_E_clIS7_S7_SB_PlEESF_SV_SG_SH_SI_EUlSV_E1_NS1_11comp_targetILNS1_3genE4ELNS1_11target_archE910ELNS1_3gpuE8ELNS1_3repE0EEENS1_36merge_oddeven_config_static_selectorELNS0_4arch9wavefront6targetE1EEEvSH_
		.amdhsa_group_segment_fixed_size 0
		.amdhsa_private_segment_fixed_size 0
		.amdhsa_kernarg_size 48
		.amdhsa_user_sgpr_count 6
		.amdhsa_user_sgpr_private_segment_buffer 1
		.amdhsa_user_sgpr_dispatch_ptr 0
		.amdhsa_user_sgpr_queue_ptr 0
		.amdhsa_user_sgpr_kernarg_segment_ptr 1
		.amdhsa_user_sgpr_dispatch_id 0
		.amdhsa_user_sgpr_flat_scratch_init 0
		.amdhsa_user_sgpr_private_segment_size 0
		.amdhsa_uses_dynamic_stack 0
		.amdhsa_system_sgpr_private_segment_wavefront_offset 0
		.amdhsa_system_sgpr_workgroup_id_x 1
		.amdhsa_system_sgpr_workgroup_id_y 0
		.amdhsa_system_sgpr_workgroup_id_z 0
		.amdhsa_system_sgpr_workgroup_info 0
		.amdhsa_system_vgpr_workitem_id 0
		.amdhsa_next_free_vgpr 1
		.amdhsa_next_free_sgpr 0
		.amdhsa_reserve_vcc 0
		.amdhsa_reserve_flat_scratch 0
		.amdhsa_float_round_mode_32 0
		.amdhsa_float_round_mode_16_64 0
		.amdhsa_float_denorm_mode_32 3
		.amdhsa_float_denorm_mode_16_64 3
		.amdhsa_dx10_clamp 1
		.amdhsa_ieee_mode 1
		.amdhsa_fp16_overflow 0
		.amdhsa_exception_fp_ieee_invalid_op 0
		.amdhsa_exception_fp_denorm_src 0
		.amdhsa_exception_fp_ieee_div_zero 0
		.amdhsa_exception_fp_ieee_overflow 0
		.amdhsa_exception_fp_ieee_underflow 0
		.amdhsa_exception_fp_ieee_inexact 0
		.amdhsa_exception_int_div_zero 0
	.end_amdhsa_kernel
	.section	.text._ZN7rocprim17ROCPRIM_400000_NS6detail17trampoline_kernelINS0_14default_configENS1_38merge_sort_block_merge_config_selectorIflEEZZNS1_27merge_sort_block_merge_implIS3_PfN6thrust23THRUST_200600_302600_NS10device_ptrIlEEjNS1_19radix_merge_compareILb0ELb0EfNS0_19identity_decomposerEEEEE10hipError_tT0_T1_T2_jT3_P12ihipStream_tbPNSt15iterator_traitsISG_E10value_typeEPNSM_ISH_E10value_typeEPSI_NS1_7vsmem_tEENKUlT_SG_SH_SI_E_clIS7_S7_SB_PlEESF_SV_SG_SH_SI_EUlSV_E1_NS1_11comp_targetILNS1_3genE4ELNS1_11target_archE910ELNS1_3gpuE8ELNS1_3repE0EEENS1_36merge_oddeven_config_static_selectorELNS0_4arch9wavefront6targetE1EEEvSH_,"axG",@progbits,_ZN7rocprim17ROCPRIM_400000_NS6detail17trampoline_kernelINS0_14default_configENS1_38merge_sort_block_merge_config_selectorIflEEZZNS1_27merge_sort_block_merge_implIS3_PfN6thrust23THRUST_200600_302600_NS10device_ptrIlEEjNS1_19radix_merge_compareILb0ELb0EfNS0_19identity_decomposerEEEEE10hipError_tT0_T1_T2_jT3_P12ihipStream_tbPNSt15iterator_traitsISG_E10value_typeEPNSM_ISH_E10value_typeEPSI_NS1_7vsmem_tEENKUlT_SG_SH_SI_E_clIS7_S7_SB_PlEESF_SV_SG_SH_SI_EUlSV_E1_NS1_11comp_targetILNS1_3genE4ELNS1_11target_archE910ELNS1_3gpuE8ELNS1_3repE0EEENS1_36merge_oddeven_config_static_selectorELNS0_4arch9wavefront6targetE1EEEvSH_,comdat
.Lfunc_end1803:
	.size	_ZN7rocprim17ROCPRIM_400000_NS6detail17trampoline_kernelINS0_14default_configENS1_38merge_sort_block_merge_config_selectorIflEEZZNS1_27merge_sort_block_merge_implIS3_PfN6thrust23THRUST_200600_302600_NS10device_ptrIlEEjNS1_19radix_merge_compareILb0ELb0EfNS0_19identity_decomposerEEEEE10hipError_tT0_T1_T2_jT3_P12ihipStream_tbPNSt15iterator_traitsISG_E10value_typeEPNSM_ISH_E10value_typeEPSI_NS1_7vsmem_tEENKUlT_SG_SH_SI_E_clIS7_S7_SB_PlEESF_SV_SG_SH_SI_EUlSV_E1_NS1_11comp_targetILNS1_3genE4ELNS1_11target_archE910ELNS1_3gpuE8ELNS1_3repE0EEENS1_36merge_oddeven_config_static_selectorELNS0_4arch9wavefront6targetE1EEEvSH_, .Lfunc_end1803-_ZN7rocprim17ROCPRIM_400000_NS6detail17trampoline_kernelINS0_14default_configENS1_38merge_sort_block_merge_config_selectorIflEEZZNS1_27merge_sort_block_merge_implIS3_PfN6thrust23THRUST_200600_302600_NS10device_ptrIlEEjNS1_19radix_merge_compareILb0ELb0EfNS0_19identity_decomposerEEEEE10hipError_tT0_T1_T2_jT3_P12ihipStream_tbPNSt15iterator_traitsISG_E10value_typeEPNSM_ISH_E10value_typeEPSI_NS1_7vsmem_tEENKUlT_SG_SH_SI_E_clIS7_S7_SB_PlEESF_SV_SG_SH_SI_EUlSV_E1_NS1_11comp_targetILNS1_3genE4ELNS1_11target_archE910ELNS1_3gpuE8ELNS1_3repE0EEENS1_36merge_oddeven_config_static_selectorELNS0_4arch9wavefront6targetE1EEEvSH_
                                        ; -- End function
	.set _ZN7rocprim17ROCPRIM_400000_NS6detail17trampoline_kernelINS0_14default_configENS1_38merge_sort_block_merge_config_selectorIflEEZZNS1_27merge_sort_block_merge_implIS3_PfN6thrust23THRUST_200600_302600_NS10device_ptrIlEEjNS1_19radix_merge_compareILb0ELb0EfNS0_19identity_decomposerEEEEE10hipError_tT0_T1_T2_jT3_P12ihipStream_tbPNSt15iterator_traitsISG_E10value_typeEPNSM_ISH_E10value_typeEPSI_NS1_7vsmem_tEENKUlT_SG_SH_SI_E_clIS7_S7_SB_PlEESF_SV_SG_SH_SI_EUlSV_E1_NS1_11comp_targetILNS1_3genE4ELNS1_11target_archE910ELNS1_3gpuE8ELNS1_3repE0EEENS1_36merge_oddeven_config_static_selectorELNS0_4arch9wavefront6targetE1EEEvSH_.num_vgpr, 0
	.set _ZN7rocprim17ROCPRIM_400000_NS6detail17trampoline_kernelINS0_14default_configENS1_38merge_sort_block_merge_config_selectorIflEEZZNS1_27merge_sort_block_merge_implIS3_PfN6thrust23THRUST_200600_302600_NS10device_ptrIlEEjNS1_19radix_merge_compareILb0ELb0EfNS0_19identity_decomposerEEEEE10hipError_tT0_T1_T2_jT3_P12ihipStream_tbPNSt15iterator_traitsISG_E10value_typeEPNSM_ISH_E10value_typeEPSI_NS1_7vsmem_tEENKUlT_SG_SH_SI_E_clIS7_S7_SB_PlEESF_SV_SG_SH_SI_EUlSV_E1_NS1_11comp_targetILNS1_3genE4ELNS1_11target_archE910ELNS1_3gpuE8ELNS1_3repE0EEENS1_36merge_oddeven_config_static_selectorELNS0_4arch9wavefront6targetE1EEEvSH_.num_agpr, 0
	.set _ZN7rocprim17ROCPRIM_400000_NS6detail17trampoline_kernelINS0_14default_configENS1_38merge_sort_block_merge_config_selectorIflEEZZNS1_27merge_sort_block_merge_implIS3_PfN6thrust23THRUST_200600_302600_NS10device_ptrIlEEjNS1_19radix_merge_compareILb0ELb0EfNS0_19identity_decomposerEEEEE10hipError_tT0_T1_T2_jT3_P12ihipStream_tbPNSt15iterator_traitsISG_E10value_typeEPNSM_ISH_E10value_typeEPSI_NS1_7vsmem_tEENKUlT_SG_SH_SI_E_clIS7_S7_SB_PlEESF_SV_SG_SH_SI_EUlSV_E1_NS1_11comp_targetILNS1_3genE4ELNS1_11target_archE910ELNS1_3gpuE8ELNS1_3repE0EEENS1_36merge_oddeven_config_static_selectorELNS0_4arch9wavefront6targetE1EEEvSH_.numbered_sgpr, 0
	.set _ZN7rocprim17ROCPRIM_400000_NS6detail17trampoline_kernelINS0_14default_configENS1_38merge_sort_block_merge_config_selectorIflEEZZNS1_27merge_sort_block_merge_implIS3_PfN6thrust23THRUST_200600_302600_NS10device_ptrIlEEjNS1_19radix_merge_compareILb0ELb0EfNS0_19identity_decomposerEEEEE10hipError_tT0_T1_T2_jT3_P12ihipStream_tbPNSt15iterator_traitsISG_E10value_typeEPNSM_ISH_E10value_typeEPSI_NS1_7vsmem_tEENKUlT_SG_SH_SI_E_clIS7_S7_SB_PlEESF_SV_SG_SH_SI_EUlSV_E1_NS1_11comp_targetILNS1_3genE4ELNS1_11target_archE910ELNS1_3gpuE8ELNS1_3repE0EEENS1_36merge_oddeven_config_static_selectorELNS0_4arch9wavefront6targetE1EEEvSH_.num_named_barrier, 0
	.set _ZN7rocprim17ROCPRIM_400000_NS6detail17trampoline_kernelINS0_14default_configENS1_38merge_sort_block_merge_config_selectorIflEEZZNS1_27merge_sort_block_merge_implIS3_PfN6thrust23THRUST_200600_302600_NS10device_ptrIlEEjNS1_19radix_merge_compareILb0ELb0EfNS0_19identity_decomposerEEEEE10hipError_tT0_T1_T2_jT3_P12ihipStream_tbPNSt15iterator_traitsISG_E10value_typeEPNSM_ISH_E10value_typeEPSI_NS1_7vsmem_tEENKUlT_SG_SH_SI_E_clIS7_S7_SB_PlEESF_SV_SG_SH_SI_EUlSV_E1_NS1_11comp_targetILNS1_3genE4ELNS1_11target_archE910ELNS1_3gpuE8ELNS1_3repE0EEENS1_36merge_oddeven_config_static_selectorELNS0_4arch9wavefront6targetE1EEEvSH_.private_seg_size, 0
	.set _ZN7rocprim17ROCPRIM_400000_NS6detail17trampoline_kernelINS0_14default_configENS1_38merge_sort_block_merge_config_selectorIflEEZZNS1_27merge_sort_block_merge_implIS3_PfN6thrust23THRUST_200600_302600_NS10device_ptrIlEEjNS1_19radix_merge_compareILb0ELb0EfNS0_19identity_decomposerEEEEE10hipError_tT0_T1_T2_jT3_P12ihipStream_tbPNSt15iterator_traitsISG_E10value_typeEPNSM_ISH_E10value_typeEPSI_NS1_7vsmem_tEENKUlT_SG_SH_SI_E_clIS7_S7_SB_PlEESF_SV_SG_SH_SI_EUlSV_E1_NS1_11comp_targetILNS1_3genE4ELNS1_11target_archE910ELNS1_3gpuE8ELNS1_3repE0EEENS1_36merge_oddeven_config_static_selectorELNS0_4arch9wavefront6targetE1EEEvSH_.uses_vcc, 0
	.set _ZN7rocprim17ROCPRIM_400000_NS6detail17trampoline_kernelINS0_14default_configENS1_38merge_sort_block_merge_config_selectorIflEEZZNS1_27merge_sort_block_merge_implIS3_PfN6thrust23THRUST_200600_302600_NS10device_ptrIlEEjNS1_19radix_merge_compareILb0ELb0EfNS0_19identity_decomposerEEEEE10hipError_tT0_T1_T2_jT3_P12ihipStream_tbPNSt15iterator_traitsISG_E10value_typeEPNSM_ISH_E10value_typeEPSI_NS1_7vsmem_tEENKUlT_SG_SH_SI_E_clIS7_S7_SB_PlEESF_SV_SG_SH_SI_EUlSV_E1_NS1_11comp_targetILNS1_3genE4ELNS1_11target_archE910ELNS1_3gpuE8ELNS1_3repE0EEENS1_36merge_oddeven_config_static_selectorELNS0_4arch9wavefront6targetE1EEEvSH_.uses_flat_scratch, 0
	.set _ZN7rocprim17ROCPRIM_400000_NS6detail17trampoline_kernelINS0_14default_configENS1_38merge_sort_block_merge_config_selectorIflEEZZNS1_27merge_sort_block_merge_implIS3_PfN6thrust23THRUST_200600_302600_NS10device_ptrIlEEjNS1_19radix_merge_compareILb0ELb0EfNS0_19identity_decomposerEEEEE10hipError_tT0_T1_T2_jT3_P12ihipStream_tbPNSt15iterator_traitsISG_E10value_typeEPNSM_ISH_E10value_typeEPSI_NS1_7vsmem_tEENKUlT_SG_SH_SI_E_clIS7_S7_SB_PlEESF_SV_SG_SH_SI_EUlSV_E1_NS1_11comp_targetILNS1_3genE4ELNS1_11target_archE910ELNS1_3gpuE8ELNS1_3repE0EEENS1_36merge_oddeven_config_static_selectorELNS0_4arch9wavefront6targetE1EEEvSH_.has_dyn_sized_stack, 0
	.set _ZN7rocprim17ROCPRIM_400000_NS6detail17trampoline_kernelINS0_14default_configENS1_38merge_sort_block_merge_config_selectorIflEEZZNS1_27merge_sort_block_merge_implIS3_PfN6thrust23THRUST_200600_302600_NS10device_ptrIlEEjNS1_19radix_merge_compareILb0ELb0EfNS0_19identity_decomposerEEEEE10hipError_tT0_T1_T2_jT3_P12ihipStream_tbPNSt15iterator_traitsISG_E10value_typeEPNSM_ISH_E10value_typeEPSI_NS1_7vsmem_tEENKUlT_SG_SH_SI_E_clIS7_S7_SB_PlEESF_SV_SG_SH_SI_EUlSV_E1_NS1_11comp_targetILNS1_3genE4ELNS1_11target_archE910ELNS1_3gpuE8ELNS1_3repE0EEENS1_36merge_oddeven_config_static_selectorELNS0_4arch9wavefront6targetE1EEEvSH_.has_recursion, 0
	.set _ZN7rocprim17ROCPRIM_400000_NS6detail17trampoline_kernelINS0_14default_configENS1_38merge_sort_block_merge_config_selectorIflEEZZNS1_27merge_sort_block_merge_implIS3_PfN6thrust23THRUST_200600_302600_NS10device_ptrIlEEjNS1_19radix_merge_compareILb0ELb0EfNS0_19identity_decomposerEEEEE10hipError_tT0_T1_T2_jT3_P12ihipStream_tbPNSt15iterator_traitsISG_E10value_typeEPNSM_ISH_E10value_typeEPSI_NS1_7vsmem_tEENKUlT_SG_SH_SI_E_clIS7_S7_SB_PlEESF_SV_SG_SH_SI_EUlSV_E1_NS1_11comp_targetILNS1_3genE4ELNS1_11target_archE910ELNS1_3gpuE8ELNS1_3repE0EEENS1_36merge_oddeven_config_static_selectorELNS0_4arch9wavefront6targetE1EEEvSH_.has_indirect_call, 0
	.section	.AMDGPU.csdata,"",@progbits
; Kernel info:
; codeLenInByte = 0
; TotalNumSgprs: 4
; NumVgprs: 0
; ScratchSize: 0
; MemoryBound: 0
; FloatMode: 240
; IeeeMode: 1
; LDSByteSize: 0 bytes/workgroup (compile time only)
; SGPRBlocks: 0
; VGPRBlocks: 0
; NumSGPRsForWavesPerEU: 4
; NumVGPRsForWavesPerEU: 1
; Occupancy: 10
; WaveLimiterHint : 0
; COMPUTE_PGM_RSRC2:SCRATCH_EN: 0
; COMPUTE_PGM_RSRC2:USER_SGPR: 6
; COMPUTE_PGM_RSRC2:TRAP_HANDLER: 0
; COMPUTE_PGM_RSRC2:TGID_X_EN: 1
; COMPUTE_PGM_RSRC2:TGID_Y_EN: 0
; COMPUTE_PGM_RSRC2:TGID_Z_EN: 0
; COMPUTE_PGM_RSRC2:TIDIG_COMP_CNT: 0
	.section	.text._ZN7rocprim17ROCPRIM_400000_NS6detail17trampoline_kernelINS0_14default_configENS1_38merge_sort_block_merge_config_selectorIflEEZZNS1_27merge_sort_block_merge_implIS3_PfN6thrust23THRUST_200600_302600_NS10device_ptrIlEEjNS1_19radix_merge_compareILb0ELb0EfNS0_19identity_decomposerEEEEE10hipError_tT0_T1_T2_jT3_P12ihipStream_tbPNSt15iterator_traitsISG_E10value_typeEPNSM_ISH_E10value_typeEPSI_NS1_7vsmem_tEENKUlT_SG_SH_SI_E_clIS7_S7_SB_PlEESF_SV_SG_SH_SI_EUlSV_E1_NS1_11comp_targetILNS1_3genE3ELNS1_11target_archE908ELNS1_3gpuE7ELNS1_3repE0EEENS1_36merge_oddeven_config_static_selectorELNS0_4arch9wavefront6targetE1EEEvSH_,"axG",@progbits,_ZN7rocprim17ROCPRIM_400000_NS6detail17trampoline_kernelINS0_14default_configENS1_38merge_sort_block_merge_config_selectorIflEEZZNS1_27merge_sort_block_merge_implIS3_PfN6thrust23THRUST_200600_302600_NS10device_ptrIlEEjNS1_19radix_merge_compareILb0ELb0EfNS0_19identity_decomposerEEEEE10hipError_tT0_T1_T2_jT3_P12ihipStream_tbPNSt15iterator_traitsISG_E10value_typeEPNSM_ISH_E10value_typeEPSI_NS1_7vsmem_tEENKUlT_SG_SH_SI_E_clIS7_S7_SB_PlEESF_SV_SG_SH_SI_EUlSV_E1_NS1_11comp_targetILNS1_3genE3ELNS1_11target_archE908ELNS1_3gpuE7ELNS1_3repE0EEENS1_36merge_oddeven_config_static_selectorELNS0_4arch9wavefront6targetE1EEEvSH_,comdat
	.protected	_ZN7rocprim17ROCPRIM_400000_NS6detail17trampoline_kernelINS0_14default_configENS1_38merge_sort_block_merge_config_selectorIflEEZZNS1_27merge_sort_block_merge_implIS3_PfN6thrust23THRUST_200600_302600_NS10device_ptrIlEEjNS1_19radix_merge_compareILb0ELb0EfNS0_19identity_decomposerEEEEE10hipError_tT0_T1_T2_jT3_P12ihipStream_tbPNSt15iterator_traitsISG_E10value_typeEPNSM_ISH_E10value_typeEPSI_NS1_7vsmem_tEENKUlT_SG_SH_SI_E_clIS7_S7_SB_PlEESF_SV_SG_SH_SI_EUlSV_E1_NS1_11comp_targetILNS1_3genE3ELNS1_11target_archE908ELNS1_3gpuE7ELNS1_3repE0EEENS1_36merge_oddeven_config_static_selectorELNS0_4arch9wavefront6targetE1EEEvSH_ ; -- Begin function _ZN7rocprim17ROCPRIM_400000_NS6detail17trampoline_kernelINS0_14default_configENS1_38merge_sort_block_merge_config_selectorIflEEZZNS1_27merge_sort_block_merge_implIS3_PfN6thrust23THRUST_200600_302600_NS10device_ptrIlEEjNS1_19radix_merge_compareILb0ELb0EfNS0_19identity_decomposerEEEEE10hipError_tT0_T1_T2_jT3_P12ihipStream_tbPNSt15iterator_traitsISG_E10value_typeEPNSM_ISH_E10value_typeEPSI_NS1_7vsmem_tEENKUlT_SG_SH_SI_E_clIS7_S7_SB_PlEESF_SV_SG_SH_SI_EUlSV_E1_NS1_11comp_targetILNS1_3genE3ELNS1_11target_archE908ELNS1_3gpuE7ELNS1_3repE0EEENS1_36merge_oddeven_config_static_selectorELNS0_4arch9wavefront6targetE1EEEvSH_
	.globl	_ZN7rocprim17ROCPRIM_400000_NS6detail17trampoline_kernelINS0_14default_configENS1_38merge_sort_block_merge_config_selectorIflEEZZNS1_27merge_sort_block_merge_implIS3_PfN6thrust23THRUST_200600_302600_NS10device_ptrIlEEjNS1_19radix_merge_compareILb0ELb0EfNS0_19identity_decomposerEEEEE10hipError_tT0_T1_T2_jT3_P12ihipStream_tbPNSt15iterator_traitsISG_E10value_typeEPNSM_ISH_E10value_typeEPSI_NS1_7vsmem_tEENKUlT_SG_SH_SI_E_clIS7_S7_SB_PlEESF_SV_SG_SH_SI_EUlSV_E1_NS1_11comp_targetILNS1_3genE3ELNS1_11target_archE908ELNS1_3gpuE7ELNS1_3repE0EEENS1_36merge_oddeven_config_static_selectorELNS0_4arch9wavefront6targetE1EEEvSH_
	.p2align	8
	.type	_ZN7rocprim17ROCPRIM_400000_NS6detail17trampoline_kernelINS0_14default_configENS1_38merge_sort_block_merge_config_selectorIflEEZZNS1_27merge_sort_block_merge_implIS3_PfN6thrust23THRUST_200600_302600_NS10device_ptrIlEEjNS1_19radix_merge_compareILb0ELb0EfNS0_19identity_decomposerEEEEE10hipError_tT0_T1_T2_jT3_P12ihipStream_tbPNSt15iterator_traitsISG_E10value_typeEPNSM_ISH_E10value_typeEPSI_NS1_7vsmem_tEENKUlT_SG_SH_SI_E_clIS7_S7_SB_PlEESF_SV_SG_SH_SI_EUlSV_E1_NS1_11comp_targetILNS1_3genE3ELNS1_11target_archE908ELNS1_3gpuE7ELNS1_3repE0EEENS1_36merge_oddeven_config_static_selectorELNS0_4arch9wavefront6targetE1EEEvSH_,@function
_ZN7rocprim17ROCPRIM_400000_NS6detail17trampoline_kernelINS0_14default_configENS1_38merge_sort_block_merge_config_selectorIflEEZZNS1_27merge_sort_block_merge_implIS3_PfN6thrust23THRUST_200600_302600_NS10device_ptrIlEEjNS1_19radix_merge_compareILb0ELb0EfNS0_19identity_decomposerEEEEE10hipError_tT0_T1_T2_jT3_P12ihipStream_tbPNSt15iterator_traitsISG_E10value_typeEPNSM_ISH_E10value_typeEPSI_NS1_7vsmem_tEENKUlT_SG_SH_SI_E_clIS7_S7_SB_PlEESF_SV_SG_SH_SI_EUlSV_E1_NS1_11comp_targetILNS1_3genE3ELNS1_11target_archE908ELNS1_3gpuE7ELNS1_3repE0EEENS1_36merge_oddeven_config_static_selectorELNS0_4arch9wavefront6targetE1EEEvSH_: ; @_ZN7rocprim17ROCPRIM_400000_NS6detail17trampoline_kernelINS0_14default_configENS1_38merge_sort_block_merge_config_selectorIflEEZZNS1_27merge_sort_block_merge_implIS3_PfN6thrust23THRUST_200600_302600_NS10device_ptrIlEEjNS1_19radix_merge_compareILb0ELb0EfNS0_19identity_decomposerEEEEE10hipError_tT0_T1_T2_jT3_P12ihipStream_tbPNSt15iterator_traitsISG_E10value_typeEPNSM_ISH_E10value_typeEPSI_NS1_7vsmem_tEENKUlT_SG_SH_SI_E_clIS7_S7_SB_PlEESF_SV_SG_SH_SI_EUlSV_E1_NS1_11comp_targetILNS1_3genE3ELNS1_11target_archE908ELNS1_3gpuE7ELNS1_3repE0EEENS1_36merge_oddeven_config_static_selectorELNS0_4arch9wavefront6targetE1EEEvSH_
; %bb.0:
	.section	.rodata,"a",@progbits
	.p2align	6, 0x0
	.amdhsa_kernel _ZN7rocprim17ROCPRIM_400000_NS6detail17trampoline_kernelINS0_14default_configENS1_38merge_sort_block_merge_config_selectorIflEEZZNS1_27merge_sort_block_merge_implIS3_PfN6thrust23THRUST_200600_302600_NS10device_ptrIlEEjNS1_19radix_merge_compareILb0ELb0EfNS0_19identity_decomposerEEEEE10hipError_tT0_T1_T2_jT3_P12ihipStream_tbPNSt15iterator_traitsISG_E10value_typeEPNSM_ISH_E10value_typeEPSI_NS1_7vsmem_tEENKUlT_SG_SH_SI_E_clIS7_S7_SB_PlEESF_SV_SG_SH_SI_EUlSV_E1_NS1_11comp_targetILNS1_3genE3ELNS1_11target_archE908ELNS1_3gpuE7ELNS1_3repE0EEENS1_36merge_oddeven_config_static_selectorELNS0_4arch9wavefront6targetE1EEEvSH_
		.amdhsa_group_segment_fixed_size 0
		.amdhsa_private_segment_fixed_size 0
		.amdhsa_kernarg_size 48
		.amdhsa_user_sgpr_count 6
		.amdhsa_user_sgpr_private_segment_buffer 1
		.amdhsa_user_sgpr_dispatch_ptr 0
		.amdhsa_user_sgpr_queue_ptr 0
		.amdhsa_user_sgpr_kernarg_segment_ptr 1
		.amdhsa_user_sgpr_dispatch_id 0
		.amdhsa_user_sgpr_flat_scratch_init 0
		.amdhsa_user_sgpr_private_segment_size 0
		.amdhsa_uses_dynamic_stack 0
		.amdhsa_system_sgpr_private_segment_wavefront_offset 0
		.amdhsa_system_sgpr_workgroup_id_x 1
		.amdhsa_system_sgpr_workgroup_id_y 0
		.amdhsa_system_sgpr_workgroup_id_z 0
		.amdhsa_system_sgpr_workgroup_info 0
		.amdhsa_system_vgpr_workitem_id 0
		.amdhsa_next_free_vgpr 1
		.amdhsa_next_free_sgpr 0
		.amdhsa_reserve_vcc 0
		.amdhsa_reserve_flat_scratch 0
		.amdhsa_float_round_mode_32 0
		.amdhsa_float_round_mode_16_64 0
		.amdhsa_float_denorm_mode_32 3
		.amdhsa_float_denorm_mode_16_64 3
		.amdhsa_dx10_clamp 1
		.amdhsa_ieee_mode 1
		.amdhsa_fp16_overflow 0
		.amdhsa_exception_fp_ieee_invalid_op 0
		.amdhsa_exception_fp_denorm_src 0
		.amdhsa_exception_fp_ieee_div_zero 0
		.amdhsa_exception_fp_ieee_overflow 0
		.amdhsa_exception_fp_ieee_underflow 0
		.amdhsa_exception_fp_ieee_inexact 0
		.amdhsa_exception_int_div_zero 0
	.end_amdhsa_kernel
	.section	.text._ZN7rocprim17ROCPRIM_400000_NS6detail17trampoline_kernelINS0_14default_configENS1_38merge_sort_block_merge_config_selectorIflEEZZNS1_27merge_sort_block_merge_implIS3_PfN6thrust23THRUST_200600_302600_NS10device_ptrIlEEjNS1_19radix_merge_compareILb0ELb0EfNS0_19identity_decomposerEEEEE10hipError_tT0_T1_T2_jT3_P12ihipStream_tbPNSt15iterator_traitsISG_E10value_typeEPNSM_ISH_E10value_typeEPSI_NS1_7vsmem_tEENKUlT_SG_SH_SI_E_clIS7_S7_SB_PlEESF_SV_SG_SH_SI_EUlSV_E1_NS1_11comp_targetILNS1_3genE3ELNS1_11target_archE908ELNS1_3gpuE7ELNS1_3repE0EEENS1_36merge_oddeven_config_static_selectorELNS0_4arch9wavefront6targetE1EEEvSH_,"axG",@progbits,_ZN7rocprim17ROCPRIM_400000_NS6detail17trampoline_kernelINS0_14default_configENS1_38merge_sort_block_merge_config_selectorIflEEZZNS1_27merge_sort_block_merge_implIS3_PfN6thrust23THRUST_200600_302600_NS10device_ptrIlEEjNS1_19radix_merge_compareILb0ELb0EfNS0_19identity_decomposerEEEEE10hipError_tT0_T1_T2_jT3_P12ihipStream_tbPNSt15iterator_traitsISG_E10value_typeEPNSM_ISH_E10value_typeEPSI_NS1_7vsmem_tEENKUlT_SG_SH_SI_E_clIS7_S7_SB_PlEESF_SV_SG_SH_SI_EUlSV_E1_NS1_11comp_targetILNS1_3genE3ELNS1_11target_archE908ELNS1_3gpuE7ELNS1_3repE0EEENS1_36merge_oddeven_config_static_selectorELNS0_4arch9wavefront6targetE1EEEvSH_,comdat
.Lfunc_end1804:
	.size	_ZN7rocprim17ROCPRIM_400000_NS6detail17trampoline_kernelINS0_14default_configENS1_38merge_sort_block_merge_config_selectorIflEEZZNS1_27merge_sort_block_merge_implIS3_PfN6thrust23THRUST_200600_302600_NS10device_ptrIlEEjNS1_19radix_merge_compareILb0ELb0EfNS0_19identity_decomposerEEEEE10hipError_tT0_T1_T2_jT3_P12ihipStream_tbPNSt15iterator_traitsISG_E10value_typeEPNSM_ISH_E10value_typeEPSI_NS1_7vsmem_tEENKUlT_SG_SH_SI_E_clIS7_S7_SB_PlEESF_SV_SG_SH_SI_EUlSV_E1_NS1_11comp_targetILNS1_3genE3ELNS1_11target_archE908ELNS1_3gpuE7ELNS1_3repE0EEENS1_36merge_oddeven_config_static_selectorELNS0_4arch9wavefront6targetE1EEEvSH_, .Lfunc_end1804-_ZN7rocprim17ROCPRIM_400000_NS6detail17trampoline_kernelINS0_14default_configENS1_38merge_sort_block_merge_config_selectorIflEEZZNS1_27merge_sort_block_merge_implIS3_PfN6thrust23THRUST_200600_302600_NS10device_ptrIlEEjNS1_19radix_merge_compareILb0ELb0EfNS0_19identity_decomposerEEEEE10hipError_tT0_T1_T2_jT3_P12ihipStream_tbPNSt15iterator_traitsISG_E10value_typeEPNSM_ISH_E10value_typeEPSI_NS1_7vsmem_tEENKUlT_SG_SH_SI_E_clIS7_S7_SB_PlEESF_SV_SG_SH_SI_EUlSV_E1_NS1_11comp_targetILNS1_3genE3ELNS1_11target_archE908ELNS1_3gpuE7ELNS1_3repE0EEENS1_36merge_oddeven_config_static_selectorELNS0_4arch9wavefront6targetE1EEEvSH_
                                        ; -- End function
	.set _ZN7rocprim17ROCPRIM_400000_NS6detail17trampoline_kernelINS0_14default_configENS1_38merge_sort_block_merge_config_selectorIflEEZZNS1_27merge_sort_block_merge_implIS3_PfN6thrust23THRUST_200600_302600_NS10device_ptrIlEEjNS1_19radix_merge_compareILb0ELb0EfNS0_19identity_decomposerEEEEE10hipError_tT0_T1_T2_jT3_P12ihipStream_tbPNSt15iterator_traitsISG_E10value_typeEPNSM_ISH_E10value_typeEPSI_NS1_7vsmem_tEENKUlT_SG_SH_SI_E_clIS7_S7_SB_PlEESF_SV_SG_SH_SI_EUlSV_E1_NS1_11comp_targetILNS1_3genE3ELNS1_11target_archE908ELNS1_3gpuE7ELNS1_3repE0EEENS1_36merge_oddeven_config_static_selectorELNS0_4arch9wavefront6targetE1EEEvSH_.num_vgpr, 0
	.set _ZN7rocprim17ROCPRIM_400000_NS6detail17trampoline_kernelINS0_14default_configENS1_38merge_sort_block_merge_config_selectorIflEEZZNS1_27merge_sort_block_merge_implIS3_PfN6thrust23THRUST_200600_302600_NS10device_ptrIlEEjNS1_19radix_merge_compareILb0ELb0EfNS0_19identity_decomposerEEEEE10hipError_tT0_T1_T2_jT3_P12ihipStream_tbPNSt15iterator_traitsISG_E10value_typeEPNSM_ISH_E10value_typeEPSI_NS1_7vsmem_tEENKUlT_SG_SH_SI_E_clIS7_S7_SB_PlEESF_SV_SG_SH_SI_EUlSV_E1_NS1_11comp_targetILNS1_3genE3ELNS1_11target_archE908ELNS1_3gpuE7ELNS1_3repE0EEENS1_36merge_oddeven_config_static_selectorELNS0_4arch9wavefront6targetE1EEEvSH_.num_agpr, 0
	.set _ZN7rocprim17ROCPRIM_400000_NS6detail17trampoline_kernelINS0_14default_configENS1_38merge_sort_block_merge_config_selectorIflEEZZNS1_27merge_sort_block_merge_implIS3_PfN6thrust23THRUST_200600_302600_NS10device_ptrIlEEjNS1_19radix_merge_compareILb0ELb0EfNS0_19identity_decomposerEEEEE10hipError_tT0_T1_T2_jT3_P12ihipStream_tbPNSt15iterator_traitsISG_E10value_typeEPNSM_ISH_E10value_typeEPSI_NS1_7vsmem_tEENKUlT_SG_SH_SI_E_clIS7_S7_SB_PlEESF_SV_SG_SH_SI_EUlSV_E1_NS1_11comp_targetILNS1_3genE3ELNS1_11target_archE908ELNS1_3gpuE7ELNS1_3repE0EEENS1_36merge_oddeven_config_static_selectorELNS0_4arch9wavefront6targetE1EEEvSH_.numbered_sgpr, 0
	.set _ZN7rocprim17ROCPRIM_400000_NS6detail17trampoline_kernelINS0_14default_configENS1_38merge_sort_block_merge_config_selectorIflEEZZNS1_27merge_sort_block_merge_implIS3_PfN6thrust23THRUST_200600_302600_NS10device_ptrIlEEjNS1_19radix_merge_compareILb0ELb0EfNS0_19identity_decomposerEEEEE10hipError_tT0_T1_T2_jT3_P12ihipStream_tbPNSt15iterator_traitsISG_E10value_typeEPNSM_ISH_E10value_typeEPSI_NS1_7vsmem_tEENKUlT_SG_SH_SI_E_clIS7_S7_SB_PlEESF_SV_SG_SH_SI_EUlSV_E1_NS1_11comp_targetILNS1_3genE3ELNS1_11target_archE908ELNS1_3gpuE7ELNS1_3repE0EEENS1_36merge_oddeven_config_static_selectorELNS0_4arch9wavefront6targetE1EEEvSH_.num_named_barrier, 0
	.set _ZN7rocprim17ROCPRIM_400000_NS6detail17trampoline_kernelINS0_14default_configENS1_38merge_sort_block_merge_config_selectorIflEEZZNS1_27merge_sort_block_merge_implIS3_PfN6thrust23THRUST_200600_302600_NS10device_ptrIlEEjNS1_19radix_merge_compareILb0ELb0EfNS0_19identity_decomposerEEEEE10hipError_tT0_T1_T2_jT3_P12ihipStream_tbPNSt15iterator_traitsISG_E10value_typeEPNSM_ISH_E10value_typeEPSI_NS1_7vsmem_tEENKUlT_SG_SH_SI_E_clIS7_S7_SB_PlEESF_SV_SG_SH_SI_EUlSV_E1_NS1_11comp_targetILNS1_3genE3ELNS1_11target_archE908ELNS1_3gpuE7ELNS1_3repE0EEENS1_36merge_oddeven_config_static_selectorELNS0_4arch9wavefront6targetE1EEEvSH_.private_seg_size, 0
	.set _ZN7rocprim17ROCPRIM_400000_NS6detail17trampoline_kernelINS0_14default_configENS1_38merge_sort_block_merge_config_selectorIflEEZZNS1_27merge_sort_block_merge_implIS3_PfN6thrust23THRUST_200600_302600_NS10device_ptrIlEEjNS1_19radix_merge_compareILb0ELb0EfNS0_19identity_decomposerEEEEE10hipError_tT0_T1_T2_jT3_P12ihipStream_tbPNSt15iterator_traitsISG_E10value_typeEPNSM_ISH_E10value_typeEPSI_NS1_7vsmem_tEENKUlT_SG_SH_SI_E_clIS7_S7_SB_PlEESF_SV_SG_SH_SI_EUlSV_E1_NS1_11comp_targetILNS1_3genE3ELNS1_11target_archE908ELNS1_3gpuE7ELNS1_3repE0EEENS1_36merge_oddeven_config_static_selectorELNS0_4arch9wavefront6targetE1EEEvSH_.uses_vcc, 0
	.set _ZN7rocprim17ROCPRIM_400000_NS6detail17trampoline_kernelINS0_14default_configENS1_38merge_sort_block_merge_config_selectorIflEEZZNS1_27merge_sort_block_merge_implIS3_PfN6thrust23THRUST_200600_302600_NS10device_ptrIlEEjNS1_19radix_merge_compareILb0ELb0EfNS0_19identity_decomposerEEEEE10hipError_tT0_T1_T2_jT3_P12ihipStream_tbPNSt15iterator_traitsISG_E10value_typeEPNSM_ISH_E10value_typeEPSI_NS1_7vsmem_tEENKUlT_SG_SH_SI_E_clIS7_S7_SB_PlEESF_SV_SG_SH_SI_EUlSV_E1_NS1_11comp_targetILNS1_3genE3ELNS1_11target_archE908ELNS1_3gpuE7ELNS1_3repE0EEENS1_36merge_oddeven_config_static_selectorELNS0_4arch9wavefront6targetE1EEEvSH_.uses_flat_scratch, 0
	.set _ZN7rocprim17ROCPRIM_400000_NS6detail17trampoline_kernelINS0_14default_configENS1_38merge_sort_block_merge_config_selectorIflEEZZNS1_27merge_sort_block_merge_implIS3_PfN6thrust23THRUST_200600_302600_NS10device_ptrIlEEjNS1_19radix_merge_compareILb0ELb0EfNS0_19identity_decomposerEEEEE10hipError_tT0_T1_T2_jT3_P12ihipStream_tbPNSt15iterator_traitsISG_E10value_typeEPNSM_ISH_E10value_typeEPSI_NS1_7vsmem_tEENKUlT_SG_SH_SI_E_clIS7_S7_SB_PlEESF_SV_SG_SH_SI_EUlSV_E1_NS1_11comp_targetILNS1_3genE3ELNS1_11target_archE908ELNS1_3gpuE7ELNS1_3repE0EEENS1_36merge_oddeven_config_static_selectorELNS0_4arch9wavefront6targetE1EEEvSH_.has_dyn_sized_stack, 0
	.set _ZN7rocprim17ROCPRIM_400000_NS6detail17trampoline_kernelINS0_14default_configENS1_38merge_sort_block_merge_config_selectorIflEEZZNS1_27merge_sort_block_merge_implIS3_PfN6thrust23THRUST_200600_302600_NS10device_ptrIlEEjNS1_19radix_merge_compareILb0ELb0EfNS0_19identity_decomposerEEEEE10hipError_tT0_T1_T2_jT3_P12ihipStream_tbPNSt15iterator_traitsISG_E10value_typeEPNSM_ISH_E10value_typeEPSI_NS1_7vsmem_tEENKUlT_SG_SH_SI_E_clIS7_S7_SB_PlEESF_SV_SG_SH_SI_EUlSV_E1_NS1_11comp_targetILNS1_3genE3ELNS1_11target_archE908ELNS1_3gpuE7ELNS1_3repE0EEENS1_36merge_oddeven_config_static_selectorELNS0_4arch9wavefront6targetE1EEEvSH_.has_recursion, 0
	.set _ZN7rocprim17ROCPRIM_400000_NS6detail17trampoline_kernelINS0_14default_configENS1_38merge_sort_block_merge_config_selectorIflEEZZNS1_27merge_sort_block_merge_implIS3_PfN6thrust23THRUST_200600_302600_NS10device_ptrIlEEjNS1_19radix_merge_compareILb0ELb0EfNS0_19identity_decomposerEEEEE10hipError_tT0_T1_T2_jT3_P12ihipStream_tbPNSt15iterator_traitsISG_E10value_typeEPNSM_ISH_E10value_typeEPSI_NS1_7vsmem_tEENKUlT_SG_SH_SI_E_clIS7_S7_SB_PlEESF_SV_SG_SH_SI_EUlSV_E1_NS1_11comp_targetILNS1_3genE3ELNS1_11target_archE908ELNS1_3gpuE7ELNS1_3repE0EEENS1_36merge_oddeven_config_static_selectorELNS0_4arch9wavefront6targetE1EEEvSH_.has_indirect_call, 0
	.section	.AMDGPU.csdata,"",@progbits
; Kernel info:
; codeLenInByte = 0
; TotalNumSgprs: 4
; NumVgprs: 0
; ScratchSize: 0
; MemoryBound: 0
; FloatMode: 240
; IeeeMode: 1
; LDSByteSize: 0 bytes/workgroup (compile time only)
; SGPRBlocks: 0
; VGPRBlocks: 0
; NumSGPRsForWavesPerEU: 4
; NumVGPRsForWavesPerEU: 1
; Occupancy: 10
; WaveLimiterHint : 0
; COMPUTE_PGM_RSRC2:SCRATCH_EN: 0
; COMPUTE_PGM_RSRC2:USER_SGPR: 6
; COMPUTE_PGM_RSRC2:TRAP_HANDLER: 0
; COMPUTE_PGM_RSRC2:TGID_X_EN: 1
; COMPUTE_PGM_RSRC2:TGID_Y_EN: 0
; COMPUTE_PGM_RSRC2:TGID_Z_EN: 0
; COMPUTE_PGM_RSRC2:TIDIG_COMP_CNT: 0
	.section	.text._ZN7rocprim17ROCPRIM_400000_NS6detail17trampoline_kernelINS0_14default_configENS1_38merge_sort_block_merge_config_selectorIflEEZZNS1_27merge_sort_block_merge_implIS3_PfN6thrust23THRUST_200600_302600_NS10device_ptrIlEEjNS1_19radix_merge_compareILb0ELb0EfNS0_19identity_decomposerEEEEE10hipError_tT0_T1_T2_jT3_P12ihipStream_tbPNSt15iterator_traitsISG_E10value_typeEPNSM_ISH_E10value_typeEPSI_NS1_7vsmem_tEENKUlT_SG_SH_SI_E_clIS7_S7_SB_PlEESF_SV_SG_SH_SI_EUlSV_E1_NS1_11comp_targetILNS1_3genE2ELNS1_11target_archE906ELNS1_3gpuE6ELNS1_3repE0EEENS1_36merge_oddeven_config_static_selectorELNS0_4arch9wavefront6targetE1EEEvSH_,"axG",@progbits,_ZN7rocprim17ROCPRIM_400000_NS6detail17trampoline_kernelINS0_14default_configENS1_38merge_sort_block_merge_config_selectorIflEEZZNS1_27merge_sort_block_merge_implIS3_PfN6thrust23THRUST_200600_302600_NS10device_ptrIlEEjNS1_19radix_merge_compareILb0ELb0EfNS0_19identity_decomposerEEEEE10hipError_tT0_T1_T2_jT3_P12ihipStream_tbPNSt15iterator_traitsISG_E10value_typeEPNSM_ISH_E10value_typeEPSI_NS1_7vsmem_tEENKUlT_SG_SH_SI_E_clIS7_S7_SB_PlEESF_SV_SG_SH_SI_EUlSV_E1_NS1_11comp_targetILNS1_3genE2ELNS1_11target_archE906ELNS1_3gpuE6ELNS1_3repE0EEENS1_36merge_oddeven_config_static_selectorELNS0_4arch9wavefront6targetE1EEEvSH_,comdat
	.protected	_ZN7rocprim17ROCPRIM_400000_NS6detail17trampoline_kernelINS0_14default_configENS1_38merge_sort_block_merge_config_selectorIflEEZZNS1_27merge_sort_block_merge_implIS3_PfN6thrust23THRUST_200600_302600_NS10device_ptrIlEEjNS1_19radix_merge_compareILb0ELb0EfNS0_19identity_decomposerEEEEE10hipError_tT0_T1_T2_jT3_P12ihipStream_tbPNSt15iterator_traitsISG_E10value_typeEPNSM_ISH_E10value_typeEPSI_NS1_7vsmem_tEENKUlT_SG_SH_SI_E_clIS7_S7_SB_PlEESF_SV_SG_SH_SI_EUlSV_E1_NS1_11comp_targetILNS1_3genE2ELNS1_11target_archE906ELNS1_3gpuE6ELNS1_3repE0EEENS1_36merge_oddeven_config_static_selectorELNS0_4arch9wavefront6targetE1EEEvSH_ ; -- Begin function _ZN7rocprim17ROCPRIM_400000_NS6detail17trampoline_kernelINS0_14default_configENS1_38merge_sort_block_merge_config_selectorIflEEZZNS1_27merge_sort_block_merge_implIS3_PfN6thrust23THRUST_200600_302600_NS10device_ptrIlEEjNS1_19radix_merge_compareILb0ELb0EfNS0_19identity_decomposerEEEEE10hipError_tT0_T1_T2_jT3_P12ihipStream_tbPNSt15iterator_traitsISG_E10value_typeEPNSM_ISH_E10value_typeEPSI_NS1_7vsmem_tEENKUlT_SG_SH_SI_E_clIS7_S7_SB_PlEESF_SV_SG_SH_SI_EUlSV_E1_NS1_11comp_targetILNS1_3genE2ELNS1_11target_archE906ELNS1_3gpuE6ELNS1_3repE0EEENS1_36merge_oddeven_config_static_selectorELNS0_4arch9wavefront6targetE1EEEvSH_
	.globl	_ZN7rocprim17ROCPRIM_400000_NS6detail17trampoline_kernelINS0_14default_configENS1_38merge_sort_block_merge_config_selectorIflEEZZNS1_27merge_sort_block_merge_implIS3_PfN6thrust23THRUST_200600_302600_NS10device_ptrIlEEjNS1_19radix_merge_compareILb0ELb0EfNS0_19identity_decomposerEEEEE10hipError_tT0_T1_T2_jT3_P12ihipStream_tbPNSt15iterator_traitsISG_E10value_typeEPNSM_ISH_E10value_typeEPSI_NS1_7vsmem_tEENKUlT_SG_SH_SI_E_clIS7_S7_SB_PlEESF_SV_SG_SH_SI_EUlSV_E1_NS1_11comp_targetILNS1_3genE2ELNS1_11target_archE906ELNS1_3gpuE6ELNS1_3repE0EEENS1_36merge_oddeven_config_static_selectorELNS0_4arch9wavefront6targetE1EEEvSH_
	.p2align	8
	.type	_ZN7rocprim17ROCPRIM_400000_NS6detail17trampoline_kernelINS0_14default_configENS1_38merge_sort_block_merge_config_selectorIflEEZZNS1_27merge_sort_block_merge_implIS3_PfN6thrust23THRUST_200600_302600_NS10device_ptrIlEEjNS1_19radix_merge_compareILb0ELb0EfNS0_19identity_decomposerEEEEE10hipError_tT0_T1_T2_jT3_P12ihipStream_tbPNSt15iterator_traitsISG_E10value_typeEPNSM_ISH_E10value_typeEPSI_NS1_7vsmem_tEENKUlT_SG_SH_SI_E_clIS7_S7_SB_PlEESF_SV_SG_SH_SI_EUlSV_E1_NS1_11comp_targetILNS1_3genE2ELNS1_11target_archE906ELNS1_3gpuE6ELNS1_3repE0EEENS1_36merge_oddeven_config_static_selectorELNS0_4arch9wavefront6targetE1EEEvSH_,@function
_ZN7rocprim17ROCPRIM_400000_NS6detail17trampoline_kernelINS0_14default_configENS1_38merge_sort_block_merge_config_selectorIflEEZZNS1_27merge_sort_block_merge_implIS3_PfN6thrust23THRUST_200600_302600_NS10device_ptrIlEEjNS1_19radix_merge_compareILb0ELb0EfNS0_19identity_decomposerEEEEE10hipError_tT0_T1_T2_jT3_P12ihipStream_tbPNSt15iterator_traitsISG_E10value_typeEPNSM_ISH_E10value_typeEPSI_NS1_7vsmem_tEENKUlT_SG_SH_SI_E_clIS7_S7_SB_PlEESF_SV_SG_SH_SI_EUlSV_E1_NS1_11comp_targetILNS1_3genE2ELNS1_11target_archE906ELNS1_3gpuE6ELNS1_3repE0EEENS1_36merge_oddeven_config_static_selectorELNS0_4arch9wavefront6targetE1EEEvSH_: ; @_ZN7rocprim17ROCPRIM_400000_NS6detail17trampoline_kernelINS0_14default_configENS1_38merge_sort_block_merge_config_selectorIflEEZZNS1_27merge_sort_block_merge_implIS3_PfN6thrust23THRUST_200600_302600_NS10device_ptrIlEEjNS1_19radix_merge_compareILb0ELb0EfNS0_19identity_decomposerEEEEE10hipError_tT0_T1_T2_jT3_P12ihipStream_tbPNSt15iterator_traitsISG_E10value_typeEPNSM_ISH_E10value_typeEPSI_NS1_7vsmem_tEENKUlT_SG_SH_SI_E_clIS7_S7_SB_PlEESF_SV_SG_SH_SI_EUlSV_E1_NS1_11comp_targetILNS1_3genE2ELNS1_11target_archE906ELNS1_3gpuE6ELNS1_3repE0EEENS1_36merge_oddeven_config_static_selectorELNS0_4arch9wavefront6targetE1EEEvSH_
; %bb.0:
	s_load_dword s7, s[4:5], 0x20
	s_waitcnt lgkmcnt(0)
	s_lshr_b32 s0, s7, 8
	s_cmp_eq_u32 s6, s0
	s_cselect_b64 s[16:17], -1, 0
	s_cmp_lg_u32 s6, s0
	s_cselect_b64 s[0:1], -1, 0
	s_lshl_b32 s18, s6, 8
	s_sub_i32 s2, s7, s18
	v_cmp_gt_u32_e64 s[2:3], s2, v0
	s_or_b64 s[0:1], s[0:1], s[2:3]
	s_and_saveexec_b64 s[8:9], s[0:1]
	s_cbranch_execz .LBB1805_24
; %bb.1:
	s_load_dwordx8 s[8:15], s[4:5], 0x0
	s_mov_b32 s19, 0
	s_lshl_b64 s[0:1], s[18:19], 2
	v_lshlrev_b32_e32 v4, 3, v0
	v_lshlrev_b32_e32 v3, 2, v0
	s_waitcnt lgkmcnt(0)
	s_add_u32 s0, s8, s0
	s_addc_u32 s1, s9, s1
	s_lshl_b64 s[20:21], s[18:19], 3
	s_add_u32 s12, s12, s20
	s_addc_u32 s13, s13, s21
	global_load_dwordx2 v[1:2], v4, s[12:13]
	global_load_dword v5, v3, s[0:1]
	s_load_dword s13, s[4:5], 0x24
	v_add_u32_e32 v3, s18, v0
	s_waitcnt lgkmcnt(0)
	s_lshr_b32 s0, s13, 8
	s_sub_i32 s1, 0, s0
	s_and_b32 s1, s6, s1
	s_and_b32 s0, s1, s0
	s_lshl_b32 s19, s1, 8
	s_sub_i32 s6, 0, s13
	s_cmp_eq_u32 s0, 0
	s_cselect_b64 s[0:1], -1, 0
	s_and_b64 s[4:5], s[0:1], exec
	s_cselect_b32 s6, s13, s6
	s_add_i32 s6, s6, s19
	s_mov_b64 s[4:5], -1
	s_cmp_gt_u32 s7, s6
	s_cbranch_scc1 .LBB1805_9
; %bb.2:
	s_and_b64 vcc, exec, s[16:17]
	s_cbranch_vccz .LBB1805_6
; %bb.3:
	v_cmp_gt_u32_e32 vcc, s7, v3
	s_and_saveexec_b64 s[4:5], vcc
	s_cbranch_execz .LBB1805_5
; %bb.4:
	v_mov_b32_e32 v4, 0
	v_lshlrev_b64 v[6:7], 2, v[3:4]
	v_mov_b32_e32 v0, s11
	v_add_co_u32_e32 v6, vcc, s10, v6
	v_lshlrev_b64 v[8:9], 3, v[3:4]
	v_addc_co_u32_e32 v7, vcc, v0, v7, vcc
	v_mov_b32_e32 v0, s15
	v_add_co_u32_e32 v8, vcc, s14, v8
	v_addc_co_u32_e32 v9, vcc, v0, v9, vcc
	s_waitcnt vmcnt(0)
	global_store_dword v[6:7], v5, off
	global_store_dwordx2 v[8:9], v[1:2], off
.LBB1805_5:
	s_or_b64 exec, exec, s[4:5]
	s_mov_b64 s[4:5], 0
.LBB1805_6:
	s_andn2_b64 vcc, exec, s[4:5]
	s_cbranch_vccnz .LBB1805_8
; %bb.7:
	v_mov_b32_e32 v4, 0
	v_lshlrev_b64 v[6:7], 2, v[3:4]
	v_mov_b32_e32 v0, s11
	v_add_co_u32_e32 v6, vcc, s10, v6
	v_lshlrev_b64 v[8:9], 3, v[3:4]
	v_addc_co_u32_e32 v7, vcc, v0, v7, vcc
	v_mov_b32_e32 v0, s15
	v_add_co_u32_e32 v8, vcc, s14, v8
	v_addc_co_u32_e32 v9, vcc, v0, v9, vcc
	s_waitcnt vmcnt(0)
	global_store_dword v[6:7], v5, off
	global_store_dwordx2 v[8:9], v[1:2], off
.LBB1805_8:
	s_mov_b64 s[4:5], 0
.LBB1805_9:
	s_andn2_b64 vcc, exec, s[4:5]
	s_cbranch_vccnz .LBB1805_24
; %bb.10:
	s_min_u32 s12, s6, s7
	s_add_i32 s4, s12, s13
	s_min_u32 s7, s4, s7
	s_min_u32 s4, s19, s12
	s_add_i32 s19, s19, s12
	v_subrev_u32_e32 v0, s19, v3
	s_waitcnt vmcnt(0)
	v_add_f32_e32 v3, 0, v5
	v_ashrrev_i32_e32 v4, 31, v3
	v_or_b32_e32 v4, 0x80000000, v4
	v_add_u32_e32 v0, s4, v0
	v_xor_b32_e32 v6, v4, v3
	s_mov_b64 s[4:5], -1
	s_and_b64 vcc, exec, s[16:17]
	s_cbranch_vccz .LBB1805_18
; %bb.11:
	s_and_saveexec_b64 s[4:5], s[2:3]
	s_cbranch_execz .LBB1805_17
; %bb.12:
	s_cmp_ge_u32 s6, s7
	v_mov_b32_e32 v7, s12
	s_cbranch_scc1 .LBB1805_16
; %bb.13:
	s_mov_b64 s[2:3], 0
	v_mov_b32_e32 v8, s7
	v_mov_b32_e32 v7, s12
	;; [unrolled: 1-line block ×4, first 2 shown]
.LBB1805_14:                            ; =>This Inner Loop Header: Depth=1
	v_add_u32_e32 v3, v7, v8
	v_lshrrev_b32_e32 v3, 1, v3
	v_lshlrev_b64 v[10:11], 2, v[3:4]
	v_add_co_u32_e32 v10, vcc, s8, v10
	v_addc_co_u32_e32 v11, vcc, v9, v11, vcc
	global_load_dword v10, v[10:11], off
	v_add_u32_e32 v11, 1, v3
	s_waitcnt vmcnt(0)
	v_add_f32_e32 v10, 0, v10
	v_ashrrev_i32_e32 v12, 31, v10
	v_or_b32_e32 v12, 0x80000000, v12
	v_xor_b32_e32 v10, v12, v10
	v_cmp_gt_u32_e32 vcc, v6, v10
	v_cndmask_b32_e64 v12, 0, 1, vcc
	v_cmp_le_u32_e32 vcc, v10, v6
	v_cndmask_b32_e64 v10, 0, 1, vcc
	v_cndmask_b32_e64 v10, v10, v12, s[0:1]
	v_and_b32_e32 v10, 1, v10
	v_cmp_eq_u32_e32 vcc, 1, v10
	v_cndmask_b32_e32 v8, v3, v8, vcc
	v_cndmask_b32_e32 v7, v7, v11, vcc
	v_cmp_ge_u32_e32 vcc, v7, v8
	s_or_b64 s[2:3], vcc, s[2:3]
	s_andn2_b64 exec, exec, s[2:3]
	s_cbranch_execnz .LBB1805_14
; %bb.15:
	s_or_b64 exec, exec, s[2:3]
.LBB1805_16:
	v_add_u32_e32 v3, v7, v0
	v_mov_b32_e32 v4, 0
	v_lshlrev_b64 v[7:8], 2, v[3:4]
	v_mov_b32_e32 v9, s11
	v_add_co_u32_e32 v7, vcc, s10, v7
	v_lshlrev_b64 v[3:4], 3, v[3:4]
	v_addc_co_u32_e32 v8, vcc, v9, v8, vcc
	global_store_dword v[7:8], v5, off
	v_mov_b32_e32 v7, s15
	v_add_co_u32_e32 v3, vcc, s14, v3
	v_addc_co_u32_e32 v4, vcc, v7, v4, vcc
	global_store_dwordx2 v[3:4], v[1:2], off
.LBB1805_17:
	s_or_b64 exec, exec, s[4:5]
	s_mov_b64 s[4:5], 0
.LBB1805_18:
	s_andn2_b64 vcc, exec, s[4:5]
	s_cbranch_vccnz .LBB1805_24
; %bb.19:
	s_cmp_ge_u32 s6, s7
	v_mov_b32_e32 v7, s12
	s_cbranch_scc1 .LBB1805_23
; %bb.20:
	s_mov_b64 s[2:3], 0
	v_mov_b32_e32 v8, s7
	v_mov_b32_e32 v7, s12
	;; [unrolled: 1-line block ×4, first 2 shown]
.LBB1805_21:                            ; =>This Inner Loop Header: Depth=1
	v_add_u32_e32 v3, v7, v8
	v_lshrrev_b32_e32 v3, 1, v3
	v_lshlrev_b64 v[10:11], 2, v[3:4]
	v_add_co_u32_e32 v10, vcc, s8, v10
	v_addc_co_u32_e32 v11, vcc, v9, v11, vcc
	global_load_dword v10, v[10:11], off
	v_add_u32_e32 v11, 1, v3
	s_waitcnt vmcnt(0)
	v_add_f32_e32 v10, 0, v10
	v_ashrrev_i32_e32 v12, 31, v10
	v_or_b32_e32 v12, 0x80000000, v12
	v_xor_b32_e32 v10, v12, v10
	v_cmp_gt_u32_e32 vcc, v6, v10
	v_cndmask_b32_e64 v12, 0, 1, vcc
	v_cmp_le_u32_e32 vcc, v10, v6
	v_cndmask_b32_e64 v10, 0, 1, vcc
	v_cndmask_b32_e64 v10, v10, v12, s[0:1]
	v_and_b32_e32 v10, 1, v10
	v_cmp_eq_u32_e32 vcc, 1, v10
	v_cndmask_b32_e32 v8, v3, v8, vcc
	v_cndmask_b32_e32 v7, v7, v11, vcc
	v_cmp_ge_u32_e32 vcc, v7, v8
	s_or_b64 s[2:3], vcc, s[2:3]
	s_andn2_b64 exec, exec, s[2:3]
	s_cbranch_execnz .LBB1805_21
; %bb.22:
	s_or_b64 exec, exec, s[2:3]
.LBB1805_23:
	v_add_u32_e32 v3, v7, v0
	v_mov_b32_e32 v4, 0
	v_lshlrev_b64 v[6:7], 2, v[3:4]
	v_mov_b32_e32 v0, s11
	v_add_co_u32_e32 v6, vcc, s10, v6
	v_lshlrev_b64 v[3:4], 3, v[3:4]
	v_addc_co_u32_e32 v7, vcc, v0, v7, vcc
	v_mov_b32_e32 v0, s15
	v_add_co_u32_e32 v3, vcc, s14, v3
	v_addc_co_u32_e32 v4, vcc, v0, v4, vcc
	global_store_dword v[6:7], v5, off
	global_store_dwordx2 v[3:4], v[1:2], off
.LBB1805_24:
	s_endpgm
	.section	.rodata,"a",@progbits
	.p2align	6, 0x0
	.amdhsa_kernel _ZN7rocprim17ROCPRIM_400000_NS6detail17trampoline_kernelINS0_14default_configENS1_38merge_sort_block_merge_config_selectorIflEEZZNS1_27merge_sort_block_merge_implIS3_PfN6thrust23THRUST_200600_302600_NS10device_ptrIlEEjNS1_19radix_merge_compareILb0ELb0EfNS0_19identity_decomposerEEEEE10hipError_tT0_T1_T2_jT3_P12ihipStream_tbPNSt15iterator_traitsISG_E10value_typeEPNSM_ISH_E10value_typeEPSI_NS1_7vsmem_tEENKUlT_SG_SH_SI_E_clIS7_S7_SB_PlEESF_SV_SG_SH_SI_EUlSV_E1_NS1_11comp_targetILNS1_3genE2ELNS1_11target_archE906ELNS1_3gpuE6ELNS1_3repE0EEENS1_36merge_oddeven_config_static_selectorELNS0_4arch9wavefront6targetE1EEEvSH_
		.amdhsa_group_segment_fixed_size 0
		.amdhsa_private_segment_fixed_size 0
		.amdhsa_kernarg_size 48
		.amdhsa_user_sgpr_count 6
		.amdhsa_user_sgpr_private_segment_buffer 1
		.amdhsa_user_sgpr_dispatch_ptr 0
		.amdhsa_user_sgpr_queue_ptr 0
		.amdhsa_user_sgpr_kernarg_segment_ptr 1
		.amdhsa_user_sgpr_dispatch_id 0
		.amdhsa_user_sgpr_flat_scratch_init 0
		.amdhsa_user_sgpr_private_segment_size 0
		.amdhsa_uses_dynamic_stack 0
		.amdhsa_system_sgpr_private_segment_wavefront_offset 0
		.amdhsa_system_sgpr_workgroup_id_x 1
		.amdhsa_system_sgpr_workgroup_id_y 0
		.amdhsa_system_sgpr_workgroup_id_z 0
		.amdhsa_system_sgpr_workgroup_info 0
		.amdhsa_system_vgpr_workitem_id 0
		.amdhsa_next_free_vgpr 13
		.amdhsa_next_free_sgpr 22
		.amdhsa_reserve_vcc 1
		.amdhsa_reserve_flat_scratch 0
		.amdhsa_float_round_mode_32 0
		.amdhsa_float_round_mode_16_64 0
		.amdhsa_float_denorm_mode_32 3
		.amdhsa_float_denorm_mode_16_64 3
		.amdhsa_dx10_clamp 1
		.amdhsa_ieee_mode 1
		.amdhsa_fp16_overflow 0
		.amdhsa_exception_fp_ieee_invalid_op 0
		.amdhsa_exception_fp_denorm_src 0
		.amdhsa_exception_fp_ieee_div_zero 0
		.amdhsa_exception_fp_ieee_overflow 0
		.amdhsa_exception_fp_ieee_underflow 0
		.amdhsa_exception_fp_ieee_inexact 0
		.amdhsa_exception_int_div_zero 0
	.end_amdhsa_kernel
	.section	.text._ZN7rocprim17ROCPRIM_400000_NS6detail17trampoline_kernelINS0_14default_configENS1_38merge_sort_block_merge_config_selectorIflEEZZNS1_27merge_sort_block_merge_implIS3_PfN6thrust23THRUST_200600_302600_NS10device_ptrIlEEjNS1_19radix_merge_compareILb0ELb0EfNS0_19identity_decomposerEEEEE10hipError_tT0_T1_T2_jT3_P12ihipStream_tbPNSt15iterator_traitsISG_E10value_typeEPNSM_ISH_E10value_typeEPSI_NS1_7vsmem_tEENKUlT_SG_SH_SI_E_clIS7_S7_SB_PlEESF_SV_SG_SH_SI_EUlSV_E1_NS1_11comp_targetILNS1_3genE2ELNS1_11target_archE906ELNS1_3gpuE6ELNS1_3repE0EEENS1_36merge_oddeven_config_static_selectorELNS0_4arch9wavefront6targetE1EEEvSH_,"axG",@progbits,_ZN7rocprim17ROCPRIM_400000_NS6detail17trampoline_kernelINS0_14default_configENS1_38merge_sort_block_merge_config_selectorIflEEZZNS1_27merge_sort_block_merge_implIS3_PfN6thrust23THRUST_200600_302600_NS10device_ptrIlEEjNS1_19radix_merge_compareILb0ELb0EfNS0_19identity_decomposerEEEEE10hipError_tT0_T1_T2_jT3_P12ihipStream_tbPNSt15iterator_traitsISG_E10value_typeEPNSM_ISH_E10value_typeEPSI_NS1_7vsmem_tEENKUlT_SG_SH_SI_E_clIS7_S7_SB_PlEESF_SV_SG_SH_SI_EUlSV_E1_NS1_11comp_targetILNS1_3genE2ELNS1_11target_archE906ELNS1_3gpuE6ELNS1_3repE0EEENS1_36merge_oddeven_config_static_selectorELNS0_4arch9wavefront6targetE1EEEvSH_,comdat
.Lfunc_end1805:
	.size	_ZN7rocprim17ROCPRIM_400000_NS6detail17trampoline_kernelINS0_14default_configENS1_38merge_sort_block_merge_config_selectorIflEEZZNS1_27merge_sort_block_merge_implIS3_PfN6thrust23THRUST_200600_302600_NS10device_ptrIlEEjNS1_19radix_merge_compareILb0ELb0EfNS0_19identity_decomposerEEEEE10hipError_tT0_T1_T2_jT3_P12ihipStream_tbPNSt15iterator_traitsISG_E10value_typeEPNSM_ISH_E10value_typeEPSI_NS1_7vsmem_tEENKUlT_SG_SH_SI_E_clIS7_S7_SB_PlEESF_SV_SG_SH_SI_EUlSV_E1_NS1_11comp_targetILNS1_3genE2ELNS1_11target_archE906ELNS1_3gpuE6ELNS1_3repE0EEENS1_36merge_oddeven_config_static_selectorELNS0_4arch9wavefront6targetE1EEEvSH_, .Lfunc_end1805-_ZN7rocprim17ROCPRIM_400000_NS6detail17trampoline_kernelINS0_14default_configENS1_38merge_sort_block_merge_config_selectorIflEEZZNS1_27merge_sort_block_merge_implIS3_PfN6thrust23THRUST_200600_302600_NS10device_ptrIlEEjNS1_19radix_merge_compareILb0ELb0EfNS0_19identity_decomposerEEEEE10hipError_tT0_T1_T2_jT3_P12ihipStream_tbPNSt15iterator_traitsISG_E10value_typeEPNSM_ISH_E10value_typeEPSI_NS1_7vsmem_tEENKUlT_SG_SH_SI_E_clIS7_S7_SB_PlEESF_SV_SG_SH_SI_EUlSV_E1_NS1_11comp_targetILNS1_3genE2ELNS1_11target_archE906ELNS1_3gpuE6ELNS1_3repE0EEENS1_36merge_oddeven_config_static_selectorELNS0_4arch9wavefront6targetE1EEEvSH_
                                        ; -- End function
	.set _ZN7rocprim17ROCPRIM_400000_NS6detail17trampoline_kernelINS0_14default_configENS1_38merge_sort_block_merge_config_selectorIflEEZZNS1_27merge_sort_block_merge_implIS3_PfN6thrust23THRUST_200600_302600_NS10device_ptrIlEEjNS1_19radix_merge_compareILb0ELb0EfNS0_19identity_decomposerEEEEE10hipError_tT0_T1_T2_jT3_P12ihipStream_tbPNSt15iterator_traitsISG_E10value_typeEPNSM_ISH_E10value_typeEPSI_NS1_7vsmem_tEENKUlT_SG_SH_SI_E_clIS7_S7_SB_PlEESF_SV_SG_SH_SI_EUlSV_E1_NS1_11comp_targetILNS1_3genE2ELNS1_11target_archE906ELNS1_3gpuE6ELNS1_3repE0EEENS1_36merge_oddeven_config_static_selectorELNS0_4arch9wavefront6targetE1EEEvSH_.num_vgpr, 13
	.set _ZN7rocprim17ROCPRIM_400000_NS6detail17trampoline_kernelINS0_14default_configENS1_38merge_sort_block_merge_config_selectorIflEEZZNS1_27merge_sort_block_merge_implIS3_PfN6thrust23THRUST_200600_302600_NS10device_ptrIlEEjNS1_19radix_merge_compareILb0ELb0EfNS0_19identity_decomposerEEEEE10hipError_tT0_T1_T2_jT3_P12ihipStream_tbPNSt15iterator_traitsISG_E10value_typeEPNSM_ISH_E10value_typeEPSI_NS1_7vsmem_tEENKUlT_SG_SH_SI_E_clIS7_S7_SB_PlEESF_SV_SG_SH_SI_EUlSV_E1_NS1_11comp_targetILNS1_3genE2ELNS1_11target_archE906ELNS1_3gpuE6ELNS1_3repE0EEENS1_36merge_oddeven_config_static_selectorELNS0_4arch9wavefront6targetE1EEEvSH_.num_agpr, 0
	.set _ZN7rocprim17ROCPRIM_400000_NS6detail17trampoline_kernelINS0_14default_configENS1_38merge_sort_block_merge_config_selectorIflEEZZNS1_27merge_sort_block_merge_implIS3_PfN6thrust23THRUST_200600_302600_NS10device_ptrIlEEjNS1_19radix_merge_compareILb0ELb0EfNS0_19identity_decomposerEEEEE10hipError_tT0_T1_T2_jT3_P12ihipStream_tbPNSt15iterator_traitsISG_E10value_typeEPNSM_ISH_E10value_typeEPSI_NS1_7vsmem_tEENKUlT_SG_SH_SI_E_clIS7_S7_SB_PlEESF_SV_SG_SH_SI_EUlSV_E1_NS1_11comp_targetILNS1_3genE2ELNS1_11target_archE906ELNS1_3gpuE6ELNS1_3repE0EEENS1_36merge_oddeven_config_static_selectorELNS0_4arch9wavefront6targetE1EEEvSH_.numbered_sgpr, 22
	.set _ZN7rocprim17ROCPRIM_400000_NS6detail17trampoline_kernelINS0_14default_configENS1_38merge_sort_block_merge_config_selectorIflEEZZNS1_27merge_sort_block_merge_implIS3_PfN6thrust23THRUST_200600_302600_NS10device_ptrIlEEjNS1_19radix_merge_compareILb0ELb0EfNS0_19identity_decomposerEEEEE10hipError_tT0_T1_T2_jT3_P12ihipStream_tbPNSt15iterator_traitsISG_E10value_typeEPNSM_ISH_E10value_typeEPSI_NS1_7vsmem_tEENKUlT_SG_SH_SI_E_clIS7_S7_SB_PlEESF_SV_SG_SH_SI_EUlSV_E1_NS1_11comp_targetILNS1_3genE2ELNS1_11target_archE906ELNS1_3gpuE6ELNS1_3repE0EEENS1_36merge_oddeven_config_static_selectorELNS0_4arch9wavefront6targetE1EEEvSH_.num_named_barrier, 0
	.set _ZN7rocprim17ROCPRIM_400000_NS6detail17trampoline_kernelINS0_14default_configENS1_38merge_sort_block_merge_config_selectorIflEEZZNS1_27merge_sort_block_merge_implIS3_PfN6thrust23THRUST_200600_302600_NS10device_ptrIlEEjNS1_19radix_merge_compareILb0ELb0EfNS0_19identity_decomposerEEEEE10hipError_tT0_T1_T2_jT3_P12ihipStream_tbPNSt15iterator_traitsISG_E10value_typeEPNSM_ISH_E10value_typeEPSI_NS1_7vsmem_tEENKUlT_SG_SH_SI_E_clIS7_S7_SB_PlEESF_SV_SG_SH_SI_EUlSV_E1_NS1_11comp_targetILNS1_3genE2ELNS1_11target_archE906ELNS1_3gpuE6ELNS1_3repE0EEENS1_36merge_oddeven_config_static_selectorELNS0_4arch9wavefront6targetE1EEEvSH_.private_seg_size, 0
	.set _ZN7rocprim17ROCPRIM_400000_NS6detail17trampoline_kernelINS0_14default_configENS1_38merge_sort_block_merge_config_selectorIflEEZZNS1_27merge_sort_block_merge_implIS3_PfN6thrust23THRUST_200600_302600_NS10device_ptrIlEEjNS1_19radix_merge_compareILb0ELb0EfNS0_19identity_decomposerEEEEE10hipError_tT0_T1_T2_jT3_P12ihipStream_tbPNSt15iterator_traitsISG_E10value_typeEPNSM_ISH_E10value_typeEPSI_NS1_7vsmem_tEENKUlT_SG_SH_SI_E_clIS7_S7_SB_PlEESF_SV_SG_SH_SI_EUlSV_E1_NS1_11comp_targetILNS1_3genE2ELNS1_11target_archE906ELNS1_3gpuE6ELNS1_3repE0EEENS1_36merge_oddeven_config_static_selectorELNS0_4arch9wavefront6targetE1EEEvSH_.uses_vcc, 1
	.set _ZN7rocprim17ROCPRIM_400000_NS6detail17trampoline_kernelINS0_14default_configENS1_38merge_sort_block_merge_config_selectorIflEEZZNS1_27merge_sort_block_merge_implIS3_PfN6thrust23THRUST_200600_302600_NS10device_ptrIlEEjNS1_19radix_merge_compareILb0ELb0EfNS0_19identity_decomposerEEEEE10hipError_tT0_T1_T2_jT3_P12ihipStream_tbPNSt15iterator_traitsISG_E10value_typeEPNSM_ISH_E10value_typeEPSI_NS1_7vsmem_tEENKUlT_SG_SH_SI_E_clIS7_S7_SB_PlEESF_SV_SG_SH_SI_EUlSV_E1_NS1_11comp_targetILNS1_3genE2ELNS1_11target_archE906ELNS1_3gpuE6ELNS1_3repE0EEENS1_36merge_oddeven_config_static_selectorELNS0_4arch9wavefront6targetE1EEEvSH_.uses_flat_scratch, 0
	.set _ZN7rocprim17ROCPRIM_400000_NS6detail17trampoline_kernelINS0_14default_configENS1_38merge_sort_block_merge_config_selectorIflEEZZNS1_27merge_sort_block_merge_implIS3_PfN6thrust23THRUST_200600_302600_NS10device_ptrIlEEjNS1_19radix_merge_compareILb0ELb0EfNS0_19identity_decomposerEEEEE10hipError_tT0_T1_T2_jT3_P12ihipStream_tbPNSt15iterator_traitsISG_E10value_typeEPNSM_ISH_E10value_typeEPSI_NS1_7vsmem_tEENKUlT_SG_SH_SI_E_clIS7_S7_SB_PlEESF_SV_SG_SH_SI_EUlSV_E1_NS1_11comp_targetILNS1_3genE2ELNS1_11target_archE906ELNS1_3gpuE6ELNS1_3repE0EEENS1_36merge_oddeven_config_static_selectorELNS0_4arch9wavefront6targetE1EEEvSH_.has_dyn_sized_stack, 0
	.set _ZN7rocprim17ROCPRIM_400000_NS6detail17trampoline_kernelINS0_14default_configENS1_38merge_sort_block_merge_config_selectorIflEEZZNS1_27merge_sort_block_merge_implIS3_PfN6thrust23THRUST_200600_302600_NS10device_ptrIlEEjNS1_19radix_merge_compareILb0ELb0EfNS0_19identity_decomposerEEEEE10hipError_tT0_T1_T2_jT3_P12ihipStream_tbPNSt15iterator_traitsISG_E10value_typeEPNSM_ISH_E10value_typeEPSI_NS1_7vsmem_tEENKUlT_SG_SH_SI_E_clIS7_S7_SB_PlEESF_SV_SG_SH_SI_EUlSV_E1_NS1_11comp_targetILNS1_3genE2ELNS1_11target_archE906ELNS1_3gpuE6ELNS1_3repE0EEENS1_36merge_oddeven_config_static_selectorELNS0_4arch9wavefront6targetE1EEEvSH_.has_recursion, 0
	.set _ZN7rocprim17ROCPRIM_400000_NS6detail17trampoline_kernelINS0_14default_configENS1_38merge_sort_block_merge_config_selectorIflEEZZNS1_27merge_sort_block_merge_implIS3_PfN6thrust23THRUST_200600_302600_NS10device_ptrIlEEjNS1_19radix_merge_compareILb0ELb0EfNS0_19identity_decomposerEEEEE10hipError_tT0_T1_T2_jT3_P12ihipStream_tbPNSt15iterator_traitsISG_E10value_typeEPNSM_ISH_E10value_typeEPSI_NS1_7vsmem_tEENKUlT_SG_SH_SI_E_clIS7_S7_SB_PlEESF_SV_SG_SH_SI_EUlSV_E1_NS1_11comp_targetILNS1_3genE2ELNS1_11target_archE906ELNS1_3gpuE6ELNS1_3repE0EEENS1_36merge_oddeven_config_static_selectorELNS0_4arch9wavefront6targetE1EEEvSH_.has_indirect_call, 0
	.section	.AMDGPU.csdata,"",@progbits
; Kernel info:
; codeLenInByte = 912
; TotalNumSgprs: 26
; NumVgprs: 13
; ScratchSize: 0
; MemoryBound: 0
; FloatMode: 240
; IeeeMode: 1
; LDSByteSize: 0 bytes/workgroup (compile time only)
; SGPRBlocks: 3
; VGPRBlocks: 3
; NumSGPRsForWavesPerEU: 26
; NumVGPRsForWavesPerEU: 13
; Occupancy: 10
; WaveLimiterHint : 0
; COMPUTE_PGM_RSRC2:SCRATCH_EN: 0
; COMPUTE_PGM_RSRC2:USER_SGPR: 6
; COMPUTE_PGM_RSRC2:TRAP_HANDLER: 0
; COMPUTE_PGM_RSRC2:TGID_X_EN: 1
; COMPUTE_PGM_RSRC2:TGID_Y_EN: 0
; COMPUTE_PGM_RSRC2:TGID_Z_EN: 0
; COMPUTE_PGM_RSRC2:TIDIG_COMP_CNT: 0
	.section	.text._ZN7rocprim17ROCPRIM_400000_NS6detail17trampoline_kernelINS0_14default_configENS1_38merge_sort_block_merge_config_selectorIflEEZZNS1_27merge_sort_block_merge_implIS3_PfN6thrust23THRUST_200600_302600_NS10device_ptrIlEEjNS1_19radix_merge_compareILb0ELb0EfNS0_19identity_decomposerEEEEE10hipError_tT0_T1_T2_jT3_P12ihipStream_tbPNSt15iterator_traitsISG_E10value_typeEPNSM_ISH_E10value_typeEPSI_NS1_7vsmem_tEENKUlT_SG_SH_SI_E_clIS7_S7_SB_PlEESF_SV_SG_SH_SI_EUlSV_E1_NS1_11comp_targetILNS1_3genE9ELNS1_11target_archE1100ELNS1_3gpuE3ELNS1_3repE0EEENS1_36merge_oddeven_config_static_selectorELNS0_4arch9wavefront6targetE1EEEvSH_,"axG",@progbits,_ZN7rocprim17ROCPRIM_400000_NS6detail17trampoline_kernelINS0_14default_configENS1_38merge_sort_block_merge_config_selectorIflEEZZNS1_27merge_sort_block_merge_implIS3_PfN6thrust23THRUST_200600_302600_NS10device_ptrIlEEjNS1_19radix_merge_compareILb0ELb0EfNS0_19identity_decomposerEEEEE10hipError_tT0_T1_T2_jT3_P12ihipStream_tbPNSt15iterator_traitsISG_E10value_typeEPNSM_ISH_E10value_typeEPSI_NS1_7vsmem_tEENKUlT_SG_SH_SI_E_clIS7_S7_SB_PlEESF_SV_SG_SH_SI_EUlSV_E1_NS1_11comp_targetILNS1_3genE9ELNS1_11target_archE1100ELNS1_3gpuE3ELNS1_3repE0EEENS1_36merge_oddeven_config_static_selectorELNS0_4arch9wavefront6targetE1EEEvSH_,comdat
	.protected	_ZN7rocprim17ROCPRIM_400000_NS6detail17trampoline_kernelINS0_14default_configENS1_38merge_sort_block_merge_config_selectorIflEEZZNS1_27merge_sort_block_merge_implIS3_PfN6thrust23THRUST_200600_302600_NS10device_ptrIlEEjNS1_19radix_merge_compareILb0ELb0EfNS0_19identity_decomposerEEEEE10hipError_tT0_T1_T2_jT3_P12ihipStream_tbPNSt15iterator_traitsISG_E10value_typeEPNSM_ISH_E10value_typeEPSI_NS1_7vsmem_tEENKUlT_SG_SH_SI_E_clIS7_S7_SB_PlEESF_SV_SG_SH_SI_EUlSV_E1_NS1_11comp_targetILNS1_3genE9ELNS1_11target_archE1100ELNS1_3gpuE3ELNS1_3repE0EEENS1_36merge_oddeven_config_static_selectorELNS0_4arch9wavefront6targetE1EEEvSH_ ; -- Begin function _ZN7rocprim17ROCPRIM_400000_NS6detail17trampoline_kernelINS0_14default_configENS1_38merge_sort_block_merge_config_selectorIflEEZZNS1_27merge_sort_block_merge_implIS3_PfN6thrust23THRUST_200600_302600_NS10device_ptrIlEEjNS1_19radix_merge_compareILb0ELb0EfNS0_19identity_decomposerEEEEE10hipError_tT0_T1_T2_jT3_P12ihipStream_tbPNSt15iterator_traitsISG_E10value_typeEPNSM_ISH_E10value_typeEPSI_NS1_7vsmem_tEENKUlT_SG_SH_SI_E_clIS7_S7_SB_PlEESF_SV_SG_SH_SI_EUlSV_E1_NS1_11comp_targetILNS1_3genE9ELNS1_11target_archE1100ELNS1_3gpuE3ELNS1_3repE0EEENS1_36merge_oddeven_config_static_selectorELNS0_4arch9wavefront6targetE1EEEvSH_
	.globl	_ZN7rocprim17ROCPRIM_400000_NS6detail17trampoline_kernelINS0_14default_configENS1_38merge_sort_block_merge_config_selectorIflEEZZNS1_27merge_sort_block_merge_implIS3_PfN6thrust23THRUST_200600_302600_NS10device_ptrIlEEjNS1_19radix_merge_compareILb0ELb0EfNS0_19identity_decomposerEEEEE10hipError_tT0_T1_T2_jT3_P12ihipStream_tbPNSt15iterator_traitsISG_E10value_typeEPNSM_ISH_E10value_typeEPSI_NS1_7vsmem_tEENKUlT_SG_SH_SI_E_clIS7_S7_SB_PlEESF_SV_SG_SH_SI_EUlSV_E1_NS1_11comp_targetILNS1_3genE9ELNS1_11target_archE1100ELNS1_3gpuE3ELNS1_3repE0EEENS1_36merge_oddeven_config_static_selectorELNS0_4arch9wavefront6targetE1EEEvSH_
	.p2align	8
	.type	_ZN7rocprim17ROCPRIM_400000_NS6detail17trampoline_kernelINS0_14default_configENS1_38merge_sort_block_merge_config_selectorIflEEZZNS1_27merge_sort_block_merge_implIS3_PfN6thrust23THRUST_200600_302600_NS10device_ptrIlEEjNS1_19radix_merge_compareILb0ELb0EfNS0_19identity_decomposerEEEEE10hipError_tT0_T1_T2_jT3_P12ihipStream_tbPNSt15iterator_traitsISG_E10value_typeEPNSM_ISH_E10value_typeEPSI_NS1_7vsmem_tEENKUlT_SG_SH_SI_E_clIS7_S7_SB_PlEESF_SV_SG_SH_SI_EUlSV_E1_NS1_11comp_targetILNS1_3genE9ELNS1_11target_archE1100ELNS1_3gpuE3ELNS1_3repE0EEENS1_36merge_oddeven_config_static_selectorELNS0_4arch9wavefront6targetE1EEEvSH_,@function
_ZN7rocprim17ROCPRIM_400000_NS6detail17trampoline_kernelINS0_14default_configENS1_38merge_sort_block_merge_config_selectorIflEEZZNS1_27merge_sort_block_merge_implIS3_PfN6thrust23THRUST_200600_302600_NS10device_ptrIlEEjNS1_19radix_merge_compareILb0ELb0EfNS0_19identity_decomposerEEEEE10hipError_tT0_T1_T2_jT3_P12ihipStream_tbPNSt15iterator_traitsISG_E10value_typeEPNSM_ISH_E10value_typeEPSI_NS1_7vsmem_tEENKUlT_SG_SH_SI_E_clIS7_S7_SB_PlEESF_SV_SG_SH_SI_EUlSV_E1_NS1_11comp_targetILNS1_3genE9ELNS1_11target_archE1100ELNS1_3gpuE3ELNS1_3repE0EEENS1_36merge_oddeven_config_static_selectorELNS0_4arch9wavefront6targetE1EEEvSH_: ; @_ZN7rocprim17ROCPRIM_400000_NS6detail17trampoline_kernelINS0_14default_configENS1_38merge_sort_block_merge_config_selectorIflEEZZNS1_27merge_sort_block_merge_implIS3_PfN6thrust23THRUST_200600_302600_NS10device_ptrIlEEjNS1_19radix_merge_compareILb0ELb0EfNS0_19identity_decomposerEEEEE10hipError_tT0_T1_T2_jT3_P12ihipStream_tbPNSt15iterator_traitsISG_E10value_typeEPNSM_ISH_E10value_typeEPSI_NS1_7vsmem_tEENKUlT_SG_SH_SI_E_clIS7_S7_SB_PlEESF_SV_SG_SH_SI_EUlSV_E1_NS1_11comp_targetILNS1_3genE9ELNS1_11target_archE1100ELNS1_3gpuE3ELNS1_3repE0EEENS1_36merge_oddeven_config_static_selectorELNS0_4arch9wavefront6targetE1EEEvSH_
; %bb.0:
	.section	.rodata,"a",@progbits
	.p2align	6, 0x0
	.amdhsa_kernel _ZN7rocprim17ROCPRIM_400000_NS6detail17trampoline_kernelINS0_14default_configENS1_38merge_sort_block_merge_config_selectorIflEEZZNS1_27merge_sort_block_merge_implIS3_PfN6thrust23THRUST_200600_302600_NS10device_ptrIlEEjNS1_19radix_merge_compareILb0ELb0EfNS0_19identity_decomposerEEEEE10hipError_tT0_T1_T2_jT3_P12ihipStream_tbPNSt15iterator_traitsISG_E10value_typeEPNSM_ISH_E10value_typeEPSI_NS1_7vsmem_tEENKUlT_SG_SH_SI_E_clIS7_S7_SB_PlEESF_SV_SG_SH_SI_EUlSV_E1_NS1_11comp_targetILNS1_3genE9ELNS1_11target_archE1100ELNS1_3gpuE3ELNS1_3repE0EEENS1_36merge_oddeven_config_static_selectorELNS0_4arch9wavefront6targetE1EEEvSH_
		.amdhsa_group_segment_fixed_size 0
		.amdhsa_private_segment_fixed_size 0
		.amdhsa_kernarg_size 48
		.amdhsa_user_sgpr_count 6
		.amdhsa_user_sgpr_private_segment_buffer 1
		.amdhsa_user_sgpr_dispatch_ptr 0
		.amdhsa_user_sgpr_queue_ptr 0
		.amdhsa_user_sgpr_kernarg_segment_ptr 1
		.amdhsa_user_sgpr_dispatch_id 0
		.amdhsa_user_sgpr_flat_scratch_init 0
		.amdhsa_user_sgpr_private_segment_size 0
		.amdhsa_uses_dynamic_stack 0
		.amdhsa_system_sgpr_private_segment_wavefront_offset 0
		.amdhsa_system_sgpr_workgroup_id_x 1
		.amdhsa_system_sgpr_workgroup_id_y 0
		.amdhsa_system_sgpr_workgroup_id_z 0
		.amdhsa_system_sgpr_workgroup_info 0
		.amdhsa_system_vgpr_workitem_id 0
		.amdhsa_next_free_vgpr 1
		.amdhsa_next_free_sgpr 0
		.amdhsa_reserve_vcc 0
		.amdhsa_reserve_flat_scratch 0
		.amdhsa_float_round_mode_32 0
		.amdhsa_float_round_mode_16_64 0
		.amdhsa_float_denorm_mode_32 3
		.amdhsa_float_denorm_mode_16_64 3
		.amdhsa_dx10_clamp 1
		.amdhsa_ieee_mode 1
		.amdhsa_fp16_overflow 0
		.amdhsa_exception_fp_ieee_invalid_op 0
		.amdhsa_exception_fp_denorm_src 0
		.amdhsa_exception_fp_ieee_div_zero 0
		.amdhsa_exception_fp_ieee_overflow 0
		.amdhsa_exception_fp_ieee_underflow 0
		.amdhsa_exception_fp_ieee_inexact 0
		.amdhsa_exception_int_div_zero 0
	.end_amdhsa_kernel
	.section	.text._ZN7rocprim17ROCPRIM_400000_NS6detail17trampoline_kernelINS0_14default_configENS1_38merge_sort_block_merge_config_selectorIflEEZZNS1_27merge_sort_block_merge_implIS3_PfN6thrust23THRUST_200600_302600_NS10device_ptrIlEEjNS1_19radix_merge_compareILb0ELb0EfNS0_19identity_decomposerEEEEE10hipError_tT0_T1_T2_jT3_P12ihipStream_tbPNSt15iterator_traitsISG_E10value_typeEPNSM_ISH_E10value_typeEPSI_NS1_7vsmem_tEENKUlT_SG_SH_SI_E_clIS7_S7_SB_PlEESF_SV_SG_SH_SI_EUlSV_E1_NS1_11comp_targetILNS1_3genE9ELNS1_11target_archE1100ELNS1_3gpuE3ELNS1_3repE0EEENS1_36merge_oddeven_config_static_selectorELNS0_4arch9wavefront6targetE1EEEvSH_,"axG",@progbits,_ZN7rocprim17ROCPRIM_400000_NS6detail17trampoline_kernelINS0_14default_configENS1_38merge_sort_block_merge_config_selectorIflEEZZNS1_27merge_sort_block_merge_implIS3_PfN6thrust23THRUST_200600_302600_NS10device_ptrIlEEjNS1_19radix_merge_compareILb0ELb0EfNS0_19identity_decomposerEEEEE10hipError_tT0_T1_T2_jT3_P12ihipStream_tbPNSt15iterator_traitsISG_E10value_typeEPNSM_ISH_E10value_typeEPSI_NS1_7vsmem_tEENKUlT_SG_SH_SI_E_clIS7_S7_SB_PlEESF_SV_SG_SH_SI_EUlSV_E1_NS1_11comp_targetILNS1_3genE9ELNS1_11target_archE1100ELNS1_3gpuE3ELNS1_3repE0EEENS1_36merge_oddeven_config_static_selectorELNS0_4arch9wavefront6targetE1EEEvSH_,comdat
.Lfunc_end1806:
	.size	_ZN7rocprim17ROCPRIM_400000_NS6detail17trampoline_kernelINS0_14default_configENS1_38merge_sort_block_merge_config_selectorIflEEZZNS1_27merge_sort_block_merge_implIS3_PfN6thrust23THRUST_200600_302600_NS10device_ptrIlEEjNS1_19radix_merge_compareILb0ELb0EfNS0_19identity_decomposerEEEEE10hipError_tT0_T1_T2_jT3_P12ihipStream_tbPNSt15iterator_traitsISG_E10value_typeEPNSM_ISH_E10value_typeEPSI_NS1_7vsmem_tEENKUlT_SG_SH_SI_E_clIS7_S7_SB_PlEESF_SV_SG_SH_SI_EUlSV_E1_NS1_11comp_targetILNS1_3genE9ELNS1_11target_archE1100ELNS1_3gpuE3ELNS1_3repE0EEENS1_36merge_oddeven_config_static_selectorELNS0_4arch9wavefront6targetE1EEEvSH_, .Lfunc_end1806-_ZN7rocprim17ROCPRIM_400000_NS6detail17trampoline_kernelINS0_14default_configENS1_38merge_sort_block_merge_config_selectorIflEEZZNS1_27merge_sort_block_merge_implIS3_PfN6thrust23THRUST_200600_302600_NS10device_ptrIlEEjNS1_19radix_merge_compareILb0ELb0EfNS0_19identity_decomposerEEEEE10hipError_tT0_T1_T2_jT3_P12ihipStream_tbPNSt15iterator_traitsISG_E10value_typeEPNSM_ISH_E10value_typeEPSI_NS1_7vsmem_tEENKUlT_SG_SH_SI_E_clIS7_S7_SB_PlEESF_SV_SG_SH_SI_EUlSV_E1_NS1_11comp_targetILNS1_3genE9ELNS1_11target_archE1100ELNS1_3gpuE3ELNS1_3repE0EEENS1_36merge_oddeven_config_static_selectorELNS0_4arch9wavefront6targetE1EEEvSH_
                                        ; -- End function
	.set _ZN7rocprim17ROCPRIM_400000_NS6detail17trampoline_kernelINS0_14default_configENS1_38merge_sort_block_merge_config_selectorIflEEZZNS1_27merge_sort_block_merge_implIS3_PfN6thrust23THRUST_200600_302600_NS10device_ptrIlEEjNS1_19radix_merge_compareILb0ELb0EfNS0_19identity_decomposerEEEEE10hipError_tT0_T1_T2_jT3_P12ihipStream_tbPNSt15iterator_traitsISG_E10value_typeEPNSM_ISH_E10value_typeEPSI_NS1_7vsmem_tEENKUlT_SG_SH_SI_E_clIS7_S7_SB_PlEESF_SV_SG_SH_SI_EUlSV_E1_NS1_11comp_targetILNS1_3genE9ELNS1_11target_archE1100ELNS1_3gpuE3ELNS1_3repE0EEENS1_36merge_oddeven_config_static_selectorELNS0_4arch9wavefront6targetE1EEEvSH_.num_vgpr, 0
	.set _ZN7rocprim17ROCPRIM_400000_NS6detail17trampoline_kernelINS0_14default_configENS1_38merge_sort_block_merge_config_selectorIflEEZZNS1_27merge_sort_block_merge_implIS3_PfN6thrust23THRUST_200600_302600_NS10device_ptrIlEEjNS1_19radix_merge_compareILb0ELb0EfNS0_19identity_decomposerEEEEE10hipError_tT0_T1_T2_jT3_P12ihipStream_tbPNSt15iterator_traitsISG_E10value_typeEPNSM_ISH_E10value_typeEPSI_NS1_7vsmem_tEENKUlT_SG_SH_SI_E_clIS7_S7_SB_PlEESF_SV_SG_SH_SI_EUlSV_E1_NS1_11comp_targetILNS1_3genE9ELNS1_11target_archE1100ELNS1_3gpuE3ELNS1_3repE0EEENS1_36merge_oddeven_config_static_selectorELNS0_4arch9wavefront6targetE1EEEvSH_.num_agpr, 0
	.set _ZN7rocprim17ROCPRIM_400000_NS6detail17trampoline_kernelINS0_14default_configENS1_38merge_sort_block_merge_config_selectorIflEEZZNS1_27merge_sort_block_merge_implIS3_PfN6thrust23THRUST_200600_302600_NS10device_ptrIlEEjNS1_19radix_merge_compareILb0ELb0EfNS0_19identity_decomposerEEEEE10hipError_tT0_T1_T2_jT3_P12ihipStream_tbPNSt15iterator_traitsISG_E10value_typeEPNSM_ISH_E10value_typeEPSI_NS1_7vsmem_tEENKUlT_SG_SH_SI_E_clIS7_S7_SB_PlEESF_SV_SG_SH_SI_EUlSV_E1_NS1_11comp_targetILNS1_3genE9ELNS1_11target_archE1100ELNS1_3gpuE3ELNS1_3repE0EEENS1_36merge_oddeven_config_static_selectorELNS0_4arch9wavefront6targetE1EEEvSH_.numbered_sgpr, 0
	.set _ZN7rocprim17ROCPRIM_400000_NS6detail17trampoline_kernelINS0_14default_configENS1_38merge_sort_block_merge_config_selectorIflEEZZNS1_27merge_sort_block_merge_implIS3_PfN6thrust23THRUST_200600_302600_NS10device_ptrIlEEjNS1_19radix_merge_compareILb0ELb0EfNS0_19identity_decomposerEEEEE10hipError_tT0_T1_T2_jT3_P12ihipStream_tbPNSt15iterator_traitsISG_E10value_typeEPNSM_ISH_E10value_typeEPSI_NS1_7vsmem_tEENKUlT_SG_SH_SI_E_clIS7_S7_SB_PlEESF_SV_SG_SH_SI_EUlSV_E1_NS1_11comp_targetILNS1_3genE9ELNS1_11target_archE1100ELNS1_3gpuE3ELNS1_3repE0EEENS1_36merge_oddeven_config_static_selectorELNS0_4arch9wavefront6targetE1EEEvSH_.num_named_barrier, 0
	.set _ZN7rocprim17ROCPRIM_400000_NS6detail17trampoline_kernelINS0_14default_configENS1_38merge_sort_block_merge_config_selectorIflEEZZNS1_27merge_sort_block_merge_implIS3_PfN6thrust23THRUST_200600_302600_NS10device_ptrIlEEjNS1_19radix_merge_compareILb0ELb0EfNS0_19identity_decomposerEEEEE10hipError_tT0_T1_T2_jT3_P12ihipStream_tbPNSt15iterator_traitsISG_E10value_typeEPNSM_ISH_E10value_typeEPSI_NS1_7vsmem_tEENKUlT_SG_SH_SI_E_clIS7_S7_SB_PlEESF_SV_SG_SH_SI_EUlSV_E1_NS1_11comp_targetILNS1_3genE9ELNS1_11target_archE1100ELNS1_3gpuE3ELNS1_3repE0EEENS1_36merge_oddeven_config_static_selectorELNS0_4arch9wavefront6targetE1EEEvSH_.private_seg_size, 0
	.set _ZN7rocprim17ROCPRIM_400000_NS6detail17trampoline_kernelINS0_14default_configENS1_38merge_sort_block_merge_config_selectorIflEEZZNS1_27merge_sort_block_merge_implIS3_PfN6thrust23THRUST_200600_302600_NS10device_ptrIlEEjNS1_19radix_merge_compareILb0ELb0EfNS0_19identity_decomposerEEEEE10hipError_tT0_T1_T2_jT3_P12ihipStream_tbPNSt15iterator_traitsISG_E10value_typeEPNSM_ISH_E10value_typeEPSI_NS1_7vsmem_tEENKUlT_SG_SH_SI_E_clIS7_S7_SB_PlEESF_SV_SG_SH_SI_EUlSV_E1_NS1_11comp_targetILNS1_3genE9ELNS1_11target_archE1100ELNS1_3gpuE3ELNS1_3repE0EEENS1_36merge_oddeven_config_static_selectorELNS0_4arch9wavefront6targetE1EEEvSH_.uses_vcc, 0
	.set _ZN7rocprim17ROCPRIM_400000_NS6detail17trampoline_kernelINS0_14default_configENS1_38merge_sort_block_merge_config_selectorIflEEZZNS1_27merge_sort_block_merge_implIS3_PfN6thrust23THRUST_200600_302600_NS10device_ptrIlEEjNS1_19radix_merge_compareILb0ELb0EfNS0_19identity_decomposerEEEEE10hipError_tT0_T1_T2_jT3_P12ihipStream_tbPNSt15iterator_traitsISG_E10value_typeEPNSM_ISH_E10value_typeEPSI_NS1_7vsmem_tEENKUlT_SG_SH_SI_E_clIS7_S7_SB_PlEESF_SV_SG_SH_SI_EUlSV_E1_NS1_11comp_targetILNS1_3genE9ELNS1_11target_archE1100ELNS1_3gpuE3ELNS1_3repE0EEENS1_36merge_oddeven_config_static_selectorELNS0_4arch9wavefront6targetE1EEEvSH_.uses_flat_scratch, 0
	.set _ZN7rocprim17ROCPRIM_400000_NS6detail17trampoline_kernelINS0_14default_configENS1_38merge_sort_block_merge_config_selectorIflEEZZNS1_27merge_sort_block_merge_implIS3_PfN6thrust23THRUST_200600_302600_NS10device_ptrIlEEjNS1_19radix_merge_compareILb0ELb0EfNS0_19identity_decomposerEEEEE10hipError_tT0_T1_T2_jT3_P12ihipStream_tbPNSt15iterator_traitsISG_E10value_typeEPNSM_ISH_E10value_typeEPSI_NS1_7vsmem_tEENKUlT_SG_SH_SI_E_clIS7_S7_SB_PlEESF_SV_SG_SH_SI_EUlSV_E1_NS1_11comp_targetILNS1_3genE9ELNS1_11target_archE1100ELNS1_3gpuE3ELNS1_3repE0EEENS1_36merge_oddeven_config_static_selectorELNS0_4arch9wavefront6targetE1EEEvSH_.has_dyn_sized_stack, 0
	.set _ZN7rocprim17ROCPRIM_400000_NS6detail17trampoline_kernelINS0_14default_configENS1_38merge_sort_block_merge_config_selectorIflEEZZNS1_27merge_sort_block_merge_implIS3_PfN6thrust23THRUST_200600_302600_NS10device_ptrIlEEjNS1_19radix_merge_compareILb0ELb0EfNS0_19identity_decomposerEEEEE10hipError_tT0_T1_T2_jT3_P12ihipStream_tbPNSt15iterator_traitsISG_E10value_typeEPNSM_ISH_E10value_typeEPSI_NS1_7vsmem_tEENKUlT_SG_SH_SI_E_clIS7_S7_SB_PlEESF_SV_SG_SH_SI_EUlSV_E1_NS1_11comp_targetILNS1_3genE9ELNS1_11target_archE1100ELNS1_3gpuE3ELNS1_3repE0EEENS1_36merge_oddeven_config_static_selectorELNS0_4arch9wavefront6targetE1EEEvSH_.has_recursion, 0
	.set _ZN7rocprim17ROCPRIM_400000_NS6detail17trampoline_kernelINS0_14default_configENS1_38merge_sort_block_merge_config_selectorIflEEZZNS1_27merge_sort_block_merge_implIS3_PfN6thrust23THRUST_200600_302600_NS10device_ptrIlEEjNS1_19radix_merge_compareILb0ELb0EfNS0_19identity_decomposerEEEEE10hipError_tT0_T1_T2_jT3_P12ihipStream_tbPNSt15iterator_traitsISG_E10value_typeEPNSM_ISH_E10value_typeEPSI_NS1_7vsmem_tEENKUlT_SG_SH_SI_E_clIS7_S7_SB_PlEESF_SV_SG_SH_SI_EUlSV_E1_NS1_11comp_targetILNS1_3genE9ELNS1_11target_archE1100ELNS1_3gpuE3ELNS1_3repE0EEENS1_36merge_oddeven_config_static_selectorELNS0_4arch9wavefront6targetE1EEEvSH_.has_indirect_call, 0
	.section	.AMDGPU.csdata,"",@progbits
; Kernel info:
; codeLenInByte = 0
; TotalNumSgprs: 4
; NumVgprs: 0
; ScratchSize: 0
; MemoryBound: 0
; FloatMode: 240
; IeeeMode: 1
; LDSByteSize: 0 bytes/workgroup (compile time only)
; SGPRBlocks: 0
; VGPRBlocks: 0
; NumSGPRsForWavesPerEU: 4
; NumVGPRsForWavesPerEU: 1
; Occupancy: 10
; WaveLimiterHint : 0
; COMPUTE_PGM_RSRC2:SCRATCH_EN: 0
; COMPUTE_PGM_RSRC2:USER_SGPR: 6
; COMPUTE_PGM_RSRC2:TRAP_HANDLER: 0
; COMPUTE_PGM_RSRC2:TGID_X_EN: 1
; COMPUTE_PGM_RSRC2:TGID_Y_EN: 0
; COMPUTE_PGM_RSRC2:TGID_Z_EN: 0
; COMPUTE_PGM_RSRC2:TIDIG_COMP_CNT: 0
	.section	.text._ZN7rocprim17ROCPRIM_400000_NS6detail17trampoline_kernelINS0_14default_configENS1_38merge_sort_block_merge_config_selectorIflEEZZNS1_27merge_sort_block_merge_implIS3_PfN6thrust23THRUST_200600_302600_NS10device_ptrIlEEjNS1_19radix_merge_compareILb0ELb0EfNS0_19identity_decomposerEEEEE10hipError_tT0_T1_T2_jT3_P12ihipStream_tbPNSt15iterator_traitsISG_E10value_typeEPNSM_ISH_E10value_typeEPSI_NS1_7vsmem_tEENKUlT_SG_SH_SI_E_clIS7_S7_SB_PlEESF_SV_SG_SH_SI_EUlSV_E1_NS1_11comp_targetILNS1_3genE8ELNS1_11target_archE1030ELNS1_3gpuE2ELNS1_3repE0EEENS1_36merge_oddeven_config_static_selectorELNS0_4arch9wavefront6targetE1EEEvSH_,"axG",@progbits,_ZN7rocprim17ROCPRIM_400000_NS6detail17trampoline_kernelINS0_14default_configENS1_38merge_sort_block_merge_config_selectorIflEEZZNS1_27merge_sort_block_merge_implIS3_PfN6thrust23THRUST_200600_302600_NS10device_ptrIlEEjNS1_19radix_merge_compareILb0ELb0EfNS0_19identity_decomposerEEEEE10hipError_tT0_T1_T2_jT3_P12ihipStream_tbPNSt15iterator_traitsISG_E10value_typeEPNSM_ISH_E10value_typeEPSI_NS1_7vsmem_tEENKUlT_SG_SH_SI_E_clIS7_S7_SB_PlEESF_SV_SG_SH_SI_EUlSV_E1_NS1_11comp_targetILNS1_3genE8ELNS1_11target_archE1030ELNS1_3gpuE2ELNS1_3repE0EEENS1_36merge_oddeven_config_static_selectorELNS0_4arch9wavefront6targetE1EEEvSH_,comdat
	.protected	_ZN7rocprim17ROCPRIM_400000_NS6detail17trampoline_kernelINS0_14default_configENS1_38merge_sort_block_merge_config_selectorIflEEZZNS1_27merge_sort_block_merge_implIS3_PfN6thrust23THRUST_200600_302600_NS10device_ptrIlEEjNS1_19radix_merge_compareILb0ELb0EfNS0_19identity_decomposerEEEEE10hipError_tT0_T1_T2_jT3_P12ihipStream_tbPNSt15iterator_traitsISG_E10value_typeEPNSM_ISH_E10value_typeEPSI_NS1_7vsmem_tEENKUlT_SG_SH_SI_E_clIS7_S7_SB_PlEESF_SV_SG_SH_SI_EUlSV_E1_NS1_11comp_targetILNS1_3genE8ELNS1_11target_archE1030ELNS1_3gpuE2ELNS1_3repE0EEENS1_36merge_oddeven_config_static_selectorELNS0_4arch9wavefront6targetE1EEEvSH_ ; -- Begin function _ZN7rocprim17ROCPRIM_400000_NS6detail17trampoline_kernelINS0_14default_configENS1_38merge_sort_block_merge_config_selectorIflEEZZNS1_27merge_sort_block_merge_implIS3_PfN6thrust23THRUST_200600_302600_NS10device_ptrIlEEjNS1_19radix_merge_compareILb0ELb0EfNS0_19identity_decomposerEEEEE10hipError_tT0_T1_T2_jT3_P12ihipStream_tbPNSt15iterator_traitsISG_E10value_typeEPNSM_ISH_E10value_typeEPSI_NS1_7vsmem_tEENKUlT_SG_SH_SI_E_clIS7_S7_SB_PlEESF_SV_SG_SH_SI_EUlSV_E1_NS1_11comp_targetILNS1_3genE8ELNS1_11target_archE1030ELNS1_3gpuE2ELNS1_3repE0EEENS1_36merge_oddeven_config_static_selectorELNS0_4arch9wavefront6targetE1EEEvSH_
	.globl	_ZN7rocprim17ROCPRIM_400000_NS6detail17trampoline_kernelINS0_14default_configENS1_38merge_sort_block_merge_config_selectorIflEEZZNS1_27merge_sort_block_merge_implIS3_PfN6thrust23THRUST_200600_302600_NS10device_ptrIlEEjNS1_19radix_merge_compareILb0ELb0EfNS0_19identity_decomposerEEEEE10hipError_tT0_T1_T2_jT3_P12ihipStream_tbPNSt15iterator_traitsISG_E10value_typeEPNSM_ISH_E10value_typeEPSI_NS1_7vsmem_tEENKUlT_SG_SH_SI_E_clIS7_S7_SB_PlEESF_SV_SG_SH_SI_EUlSV_E1_NS1_11comp_targetILNS1_3genE8ELNS1_11target_archE1030ELNS1_3gpuE2ELNS1_3repE0EEENS1_36merge_oddeven_config_static_selectorELNS0_4arch9wavefront6targetE1EEEvSH_
	.p2align	8
	.type	_ZN7rocprim17ROCPRIM_400000_NS6detail17trampoline_kernelINS0_14default_configENS1_38merge_sort_block_merge_config_selectorIflEEZZNS1_27merge_sort_block_merge_implIS3_PfN6thrust23THRUST_200600_302600_NS10device_ptrIlEEjNS1_19radix_merge_compareILb0ELb0EfNS0_19identity_decomposerEEEEE10hipError_tT0_T1_T2_jT3_P12ihipStream_tbPNSt15iterator_traitsISG_E10value_typeEPNSM_ISH_E10value_typeEPSI_NS1_7vsmem_tEENKUlT_SG_SH_SI_E_clIS7_S7_SB_PlEESF_SV_SG_SH_SI_EUlSV_E1_NS1_11comp_targetILNS1_3genE8ELNS1_11target_archE1030ELNS1_3gpuE2ELNS1_3repE0EEENS1_36merge_oddeven_config_static_selectorELNS0_4arch9wavefront6targetE1EEEvSH_,@function
_ZN7rocprim17ROCPRIM_400000_NS6detail17trampoline_kernelINS0_14default_configENS1_38merge_sort_block_merge_config_selectorIflEEZZNS1_27merge_sort_block_merge_implIS3_PfN6thrust23THRUST_200600_302600_NS10device_ptrIlEEjNS1_19radix_merge_compareILb0ELb0EfNS0_19identity_decomposerEEEEE10hipError_tT0_T1_T2_jT3_P12ihipStream_tbPNSt15iterator_traitsISG_E10value_typeEPNSM_ISH_E10value_typeEPSI_NS1_7vsmem_tEENKUlT_SG_SH_SI_E_clIS7_S7_SB_PlEESF_SV_SG_SH_SI_EUlSV_E1_NS1_11comp_targetILNS1_3genE8ELNS1_11target_archE1030ELNS1_3gpuE2ELNS1_3repE0EEENS1_36merge_oddeven_config_static_selectorELNS0_4arch9wavefront6targetE1EEEvSH_: ; @_ZN7rocprim17ROCPRIM_400000_NS6detail17trampoline_kernelINS0_14default_configENS1_38merge_sort_block_merge_config_selectorIflEEZZNS1_27merge_sort_block_merge_implIS3_PfN6thrust23THRUST_200600_302600_NS10device_ptrIlEEjNS1_19radix_merge_compareILb0ELb0EfNS0_19identity_decomposerEEEEE10hipError_tT0_T1_T2_jT3_P12ihipStream_tbPNSt15iterator_traitsISG_E10value_typeEPNSM_ISH_E10value_typeEPSI_NS1_7vsmem_tEENKUlT_SG_SH_SI_E_clIS7_S7_SB_PlEESF_SV_SG_SH_SI_EUlSV_E1_NS1_11comp_targetILNS1_3genE8ELNS1_11target_archE1030ELNS1_3gpuE2ELNS1_3repE0EEENS1_36merge_oddeven_config_static_selectorELNS0_4arch9wavefront6targetE1EEEvSH_
; %bb.0:
	.section	.rodata,"a",@progbits
	.p2align	6, 0x0
	.amdhsa_kernel _ZN7rocprim17ROCPRIM_400000_NS6detail17trampoline_kernelINS0_14default_configENS1_38merge_sort_block_merge_config_selectorIflEEZZNS1_27merge_sort_block_merge_implIS3_PfN6thrust23THRUST_200600_302600_NS10device_ptrIlEEjNS1_19radix_merge_compareILb0ELb0EfNS0_19identity_decomposerEEEEE10hipError_tT0_T1_T2_jT3_P12ihipStream_tbPNSt15iterator_traitsISG_E10value_typeEPNSM_ISH_E10value_typeEPSI_NS1_7vsmem_tEENKUlT_SG_SH_SI_E_clIS7_S7_SB_PlEESF_SV_SG_SH_SI_EUlSV_E1_NS1_11comp_targetILNS1_3genE8ELNS1_11target_archE1030ELNS1_3gpuE2ELNS1_3repE0EEENS1_36merge_oddeven_config_static_selectorELNS0_4arch9wavefront6targetE1EEEvSH_
		.amdhsa_group_segment_fixed_size 0
		.amdhsa_private_segment_fixed_size 0
		.amdhsa_kernarg_size 48
		.amdhsa_user_sgpr_count 6
		.amdhsa_user_sgpr_private_segment_buffer 1
		.amdhsa_user_sgpr_dispatch_ptr 0
		.amdhsa_user_sgpr_queue_ptr 0
		.amdhsa_user_sgpr_kernarg_segment_ptr 1
		.amdhsa_user_sgpr_dispatch_id 0
		.amdhsa_user_sgpr_flat_scratch_init 0
		.amdhsa_user_sgpr_private_segment_size 0
		.amdhsa_uses_dynamic_stack 0
		.amdhsa_system_sgpr_private_segment_wavefront_offset 0
		.amdhsa_system_sgpr_workgroup_id_x 1
		.amdhsa_system_sgpr_workgroup_id_y 0
		.amdhsa_system_sgpr_workgroup_id_z 0
		.amdhsa_system_sgpr_workgroup_info 0
		.amdhsa_system_vgpr_workitem_id 0
		.amdhsa_next_free_vgpr 1
		.amdhsa_next_free_sgpr 0
		.amdhsa_reserve_vcc 0
		.amdhsa_reserve_flat_scratch 0
		.amdhsa_float_round_mode_32 0
		.amdhsa_float_round_mode_16_64 0
		.amdhsa_float_denorm_mode_32 3
		.amdhsa_float_denorm_mode_16_64 3
		.amdhsa_dx10_clamp 1
		.amdhsa_ieee_mode 1
		.amdhsa_fp16_overflow 0
		.amdhsa_exception_fp_ieee_invalid_op 0
		.amdhsa_exception_fp_denorm_src 0
		.amdhsa_exception_fp_ieee_div_zero 0
		.amdhsa_exception_fp_ieee_overflow 0
		.amdhsa_exception_fp_ieee_underflow 0
		.amdhsa_exception_fp_ieee_inexact 0
		.amdhsa_exception_int_div_zero 0
	.end_amdhsa_kernel
	.section	.text._ZN7rocprim17ROCPRIM_400000_NS6detail17trampoline_kernelINS0_14default_configENS1_38merge_sort_block_merge_config_selectorIflEEZZNS1_27merge_sort_block_merge_implIS3_PfN6thrust23THRUST_200600_302600_NS10device_ptrIlEEjNS1_19radix_merge_compareILb0ELb0EfNS0_19identity_decomposerEEEEE10hipError_tT0_T1_T2_jT3_P12ihipStream_tbPNSt15iterator_traitsISG_E10value_typeEPNSM_ISH_E10value_typeEPSI_NS1_7vsmem_tEENKUlT_SG_SH_SI_E_clIS7_S7_SB_PlEESF_SV_SG_SH_SI_EUlSV_E1_NS1_11comp_targetILNS1_3genE8ELNS1_11target_archE1030ELNS1_3gpuE2ELNS1_3repE0EEENS1_36merge_oddeven_config_static_selectorELNS0_4arch9wavefront6targetE1EEEvSH_,"axG",@progbits,_ZN7rocprim17ROCPRIM_400000_NS6detail17trampoline_kernelINS0_14default_configENS1_38merge_sort_block_merge_config_selectorIflEEZZNS1_27merge_sort_block_merge_implIS3_PfN6thrust23THRUST_200600_302600_NS10device_ptrIlEEjNS1_19radix_merge_compareILb0ELb0EfNS0_19identity_decomposerEEEEE10hipError_tT0_T1_T2_jT3_P12ihipStream_tbPNSt15iterator_traitsISG_E10value_typeEPNSM_ISH_E10value_typeEPSI_NS1_7vsmem_tEENKUlT_SG_SH_SI_E_clIS7_S7_SB_PlEESF_SV_SG_SH_SI_EUlSV_E1_NS1_11comp_targetILNS1_3genE8ELNS1_11target_archE1030ELNS1_3gpuE2ELNS1_3repE0EEENS1_36merge_oddeven_config_static_selectorELNS0_4arch9wavefront6targetE1EEEvSH_,comdat
.Lfunc_end1807:
	.size	_ZN7rocprim17ROCPRIM_400000_NS6detail17trampoline_kernelINS0_14default_configENS1_38merge_sort_block_merge_config_selectorIflEEZZNS1_27merge_sort_block_merge_implIS3_PfN6thrust23THRUST_200600_302600_NS10device_ptrIlEEjNS1_19radix_merge_compareILb0ELb0EfNS0_19identity_decomposerEEEEE10hipError_tT0_T1_T2_jT3_P12ihipStream_tbPNSt15iterator_traitsISG_E10value_typeEPNSM_ISH_E10value_typeEPSI_NS1_7vsmem_tEENKUlT_SG_SH_SI_E_clIS7_S7_SB_PlEESF_SV_SG_SH_SI_EUlSV_E1_NS1_11comp_targetILNS1_3genE8ELNS1_11target_archE1030ELNS1_3gpuE2ELNS1_3repE0EEENS1_36merge_oddeven_config_static_selectorELNS0_4arch9wavefront6targetE1EEEvSH_, .Lfunc_end1807-_ZN7rocprim17ROCPRIM_400000_NS6detail17trampoline_kernelINS0_14default_configENS1_38merge_sort_block_merge_config_selectorIflEEZZNS1_27merge_sort_block_merge_implIS3_PfN6thrust23THRUST_200600_302600_NS10device_ptrIlEEjNS1_19radix_merge_compareILb0ELb0EfNS0_19identity_decomposerEEEEE10hipError_tT0_T1_T2_jT3_P12ihipStream_tbPNSt15iterator_traitsISG_E10value_typeEPNSM_ISH_E10value_typeEPSI_NS1_7vsmem_tEENKUlT_SG_SH_SI_E_clIS7_S7_SB_PlEESF_SV_SG_SH_SI_EUlSV_E1_NS1_11comp_targetILNS1_3genE8ELNS1_11target_archE1030ELNS1_3gpuE2ELNS1_3repE0EEENS1_36merge_oddeven_config_static_selectorELNS0_4arch9wavefront6targetE1EEEvSH_
                                        ; -- End function
	.set _ZN7rocprim17ROCPRIM_400000_NS6detail17trampoline_kernelINS0_14default_configENS1_38merge_sort_block_merge_config_selectorIflEEZZNS1_27merge_sort_block_merge_implIS3_PfN6thrust23THRUST_200600_302600_NS10device_ptrIlEEjNS1_19radix_merge_compareILb0ELb0EfNS0_19identity_decomposerEEEEE10hipError_tT0_T1_T2_jT3_P12ihipStream_tbPNSt15iterator_traitsISG_E10value_typeEPNSM_ISH_E10value_typeEPSI_NS1_7vsmem_tEENKUlT_SG_SH_SI_E_clIS7_S7_SB_PlEESF_SV_SG_SH_SI_EUlSV_E1_NS1_11comp_targetILNS1_3genE8ELNS1_11target_archE1030ELNS1_3gpuE2ELNS1_3repE0EEENS1_36merge_oddeven_config_static_selectorELNS0_4arch9wavefront6targetE1EEEvSH_.num_vgpr, 0
	.set _ZN7rocprim17ROCPRIM_400000_NS6detail17trampoline_kernelINS0_14default_configENS1_38merge_sort_block_merge_config_selectorIflEEZZNS1_27merge_sort_block_merge_implIS3_PfN6thrust23THRUST_200600_302600_NS10device_ptrIlEEjNS1_19radix_merge_compareILb0ELb0EfNS0_19identity_decomposerEEEEE10hipError_tT0_T1_T2_jT3_P12ihipStream_tbPNSt15iterator_traitsISG_E10value_typeEPNSM_ISH_E10value_typeEPSI_NS1_7vsmem_tEENKUlT_SG_SH_SI_E_clIS7_S7_SB_PlEESF_SV_SG_SH_SI_EUlSV_E1_NS1_11comp_targetILNS1_3genE8ELNS1_11target_archE1030ELNS1_3gpuE2ELNS1_3repE0EEENS1_36merge_oddeven_config_static_selectorELNS0_4arch9wavefront6targetE1EEEvSH_.num_agpr, 0
	.set _ZN7rocprim17ROCPRIM_400000_NS6detail17trampoline_kernelINS0_14default_configENS1_38merge_sort_block_merge_config_selectorIflEEZZNS1_27merge_sort_block_merge_implIS3_PfN6thrust23THRUST_200600_302600_NS10device_ptrIlEEjNS1_19radix_merge_compareILb0ELb0EfNS0_19identity_decomposerEEEEE10hipError_tT0_T1_T2_jT3_P12ihipStream_tbPNSt15iterator_traitsISG_E10value_typeEPNSM_ISH_E10value_typeEPSI_NS1_7vsmem_tEENKUlT_SG_SH_SI_E_clIS7_S7_SB_PlEESF_SV_SG_SH_SI_EUlSV_E1_NS1_11comp_targetILNS1_3genE8ELNS1_11target_archE1030ELNS1_3gpuE2ELNS1_3repE0EEENS1_36merge_oddeven_config_static_selectorELNS0_4arch9wavefront6targetE1EEEvSH_.numbered_sgpr, 0
	.set _ZN7rocprim17ROCPRIM_400000_NS6detail17trampoline_kernelINS0_14default_configENS1_38merge_sort_block_merge_config_selectorIflEEZZNS1_27merge_sort_block_merge_implIS3_PfN6thrust23THRUST_200600_302600_NS10device_ptrIlEEjNS1_19radix_merge_compareILb0ELb0EfNS0_19identity_decomposerEEEEE10hipError_tT0_T1_T2_jT3_P12ihipStream_tbPNSt15iterator_traitsISG_E10value_typeEPNSM_ISH_E10value_typeEPSI_NS1_7vsmem_tEENKUlT_SG_SH_SI_E_clIS7_S7_SB_PlEESF_SV_SG_SH_SI_EUlSV_E1_NS1_11comp_targetILNS1_3genE8ELNS1_11target_archE1030ELNS1_3gpuE2ELNS1_3repE0EEENS1_36merge_oddeven_config_static_selectorELNS0_4arch9wavefront6targetE1EEEvSH_.num_named_barrier, 0
	.set _ZN7rocprim17ROCPRIM_400000_NS6detail17trampoline_kernelINS0_14default_configENS1_38merge_sort_block_merge_config_selectorIflEEZZNS1_27merge_sort_block_merge_implIS3_PfN6thrust23THRUST_200600_302600_NS10device_ptrIlEEjNS1_19radix_merge_compareILb0ELb0EfNS0_19identity_decomposerEEEEE10hipError_tT0_T1_T2_jT3_P12ihipStream_tbPNSt15iterator_traitsISG_E10value_typeEPNSM_ISH_E10value_typeEPSI_NS1_7vsmem_tEENKUlT_SG_SH_SI_E_clIS7_S7_SB_PlEESF_SV_SG_SH_SI_EUlSV_E1_NS1_11comp_targetILNS1_3genE8ELNS1_11target_archE1030ELNS1_3gpuE2ELNS1_3repE0EEENS1_36merge_oddeven_config_static_selectorELNS0_4arch9wavefront6targetE1EEEvSH_.private_seg_size, 0
	.set _ZN7rocprim17ROCPRIM_400000_NS6detail17trampoline_kernelINS0_14default_configENS1_38merge_sort_block_merge_config_selectorIflEEZZNS1_27merge_sort_block_merge_implIS3_PfN6thrust23THRUST_200600_302600_NS10device_ptrIlEEjNS1_19radix_merge_compareILb0ELb0EfNS0_19identity_decomposerEEEEE10hipError_tT0_T1_T2_jT3_P12ihipStream_tbPNSt15iterator_traitsISG_E10value_typeEPNSM_ISH_E10value_typeEPSI_NS1_7vsmem_tEENKUlT_SG_SH_SI_E_clIS7_S7_SB_PlEESF_SV_SG_SH_SI_EUlSV_E1_NS1_11comp_targetILNS1_3genE8ELNS1_11target_archE1030ELNS1_3gpuE2ELNS1_3repE0EEENS1_36merge_oddeven_config_static_selectorELNS0_4arch9wavefront6targetE1EEEvSH_.uses_vcc, 0
	.set _ZN7rocprim17ROCPRIM_400000_NS6detail17trampoline_kernelINS0_14default_configENS1_38merge_sort_block_merge_config_selectorIflEEZZNS1_27merge_sort_block_merge_implIS3_PfN6thrust23THRUST_200600_302600_NS10device_ptrIlEEjNS1_19radix_merge_compareILb0ELb0EfNS0_19identity_decomposerEEEEE10hipError_tT0_T1_T2_jT3_P12ihipStream_tbPNSt15iterator_traitsISG_E10value_typeEPNSM_ISH_E10value_typeEPSI_NS1_7vsmem_tEENKUlT_SG_SH_SI_E_clIS7_S7_SB_PlEESF_SV_SG_SH_SI_EUlSV_E1_NS1_11comp_targetILNS1_3genE8ELNS1_11target_archE1030ELNS1_3gpuE2ELNS1_3repE0EEENS1_36merge_oddeven_config_static_selectorELNS0_4arch9wavefront6targetE1EEEvSH_.uses_flat_scratch, 0
	.set _ZN7rocprim17ROCPRIM_400000_NS6detail17trampoline_kernelINS0_14default_configENS1_38merge_sort_block_merge_config_selectorIflEEZZNS1_27merge_sort_block_merge_implIS3_PfN6thrust23THRUST_200600_302600_NS10device_ptrIlEEjNS1_19radix_merge_compareILb0ELb0EfNS0_19identity_decomposerEEEEE10hipError_tT0_T1_T2_jT3_P12ihipStream_tbPNSt15iterator_traitsISG_E10value_typeEPNSM_ISH_E10value_typeEPSI_NS1_7vsmem_tEENKUlT_SG_SH_SI_E_clIS7_S7_SB_PlEESF_SV_SG_SH_SI_EUlSV_E1_NS1_11comp_targetILNS1_3genE8ELNS1_11target_archE1030ELNS1_3gpuE2ELNS1_3repE0EEENS1_36merge_oddeven_config_static_selectorELNS0_4arch9wavefront6targetE1EEEvSH_.has_dyn_sized_stack, 0
	.set _ZN7rocprim17ROCPRIM_400000_NS6detail17trampoline_kernelINS0_14default_configENS1_38merge_sort_block_merge_config_selectorIflEEZZNS1_27merge_sort_block_merge_implIS3_PfN6thrust23THRUST_200600_302600_NS10device_ptrIlEEjNS1_19radix_merge_compareILb0ELb0EfNS0_19identity_decomposerEEEEE10hipError_tT0_T1_T2_jT3_P12ihipStream_tbPNSt15iterator_traitsISG_E10value_typeEPNSM_ISH_E10value_typeEPSI_NS1_7vsmem_tEENKUlT_SG_SH_SI_E_clIS7_S7_SB_PlEESF_SV_SG_SH_SI_EUlSV_E1_NS1_11comp_targetILNS1_3genE8ELNS1_11target_archE1030ELNS1_3gpuE2ELNS1_3repE0EEENS1_36merge_oddeven_config_static_selectorELNS0_4arch9wavefront6targetE1EEEvSH_.has_recursion, 0
	.set _ZN7rocprim17ROCPRIM_400000_NS6detail17trampoline_kernelINS0_14default_configENS1_38merge_sort_block_merge_config_selectorIflEEZZNS1_27merge_sort_block_merge_implIS3_PfN6thrust23THRUST_200600_302600_NS10device_ptrIlEEjNS1_19radix_merge_compareILb0ELb0EfNS0_19identity_decomposerEEEEE10hipError_tT0_T1_T2_jT3_P12ihipStream_tbPNSt15iterator_traitsISG_E10value_typeEPNSM_ISH_E10value_typeEPSI_NS1_7vsmem_tEENKUlT_SG_SH_SI_E_clIS7_S7_SB_PlEESF_SV_SG_SH_SI_EUlSV_E1_NS1_11comp_targetILNS1_3genE8ELNS1_11target_archE1030ELNS1_3gpuE2ELNS1_3repE0EEENS1_36merge_oddeven_config_static_selectorELNS0_4arch9wavefront6targetE1EEEvSH_.has_indirect_call, 0
	.section	.AMDGPU.csdata,"",@progbits
; Kernel info:
; codeLenInByte = 0
; TotalNumSgprs: 4
; NumVgprs: 0
; ScratchSize: 0
; MemoryBound: 0
; FloatMode: 240
; IeeeMode: 1
; LDSByteSize: 0 bytes/workgroup (compile time only)
; SGPRBlocks: 0
; VGPRBlocks: 0
; NumSGPRsForWavesPerEU: 4
; NumVGPRsForWavesPerEU: 1
; Occupancy: 10
; WaveLimiterHint : 0
; COMPUTE_PGM_RSRC2:SCRATCH_EN: 0
; COMPUTE_PGM_RSRC2:USER_SGPR: 6
; COMPUTE_PGM_RSRC2:TRAP_HANDLER: 0
; COMPUTE_PGM_RSRC2:TGID_X_EN: 1
; COMPUTE_PGM_RSRC2:TGID_Y_EN: 0
; COMPUTE_PGM_RSRC2:TGID_Z_EN: 0
; COMPUTE_PGM_RSRC2:TIDIG_COMP_CNT: 0
	.section	.text._ZN7rocprim17ROCPRIM_400000_NS6detail17trampoline_kernelINS0_14default_configENS1_25transform_config_selectorIfLb1EEEZNS1_14transform_implILb1ES3_S5_PfS7_NS0_8identityIfEEEE10hipError_tT2_T3_mT4_P12ihipStream_tbEUlT_E_NS1_11comp_targetILNS1_3genE0ELNS1_11target_archE4294967295ELNS1_3gpuE0ELNS1_3repE0EEENS1_30default_config_static_selectorELNS0_4arch9wavefront6targetE1EEEvT1_,"axG",@progbits,_ZN7rocprim17ROCPRIM_400000_NS6detail17trampoline_kernelINS0_14default_configENS1_25transform_config_selectorIfLb1EEEZNS1_14transform_implILb1ES3_S5_PfS7_NS0_8identityIfEEEE10hipError_tT2_T3_mT4_P12ihipStream_tbEUlT_E_NS1_11comp_targetILNS1_3genE0ELNS1_11target_archE4294967295ELNS1_3gpuE0ELNS1_3repE0EEENS1_30default_config_static_selectorELNS0_4arch9wavefront6targetE1EEEvT1_,comdat
	.protected	_ZN7rocprim17ROCPRIM_400000_NS6detail17trampoline_kernelINS0_14default_configENS1_25transform_config_selectorIfLb1EEEZNS1_14transform_implILb1ES3_S5_PfS7_NS0_8identityIfEEEE10hipError_tT2_T3_mT4_P12ihipStream_tbEUlT_E_NS1_11comp_targetILNS1_3genE0ELNS1_11target_archE4294967295ELNS1_3gpuE0ELNS1_3repE0EEENS1_30default_config_static_selectorELNS0_4arch9wavefront6targetE1EEEvT1_ ; -- Begin function _ZN7rocprim17ROCPRIM_400000_NS6detail17trampoline_kernelINS0_14default_configENS1_25transform_config_selectorIfLb1EEEZNS1_14transform_implILb1ES3_S5_PfS7_NS0_8identityIfEEEE10hipError_tT2_T3_mT4_P12ihipStream_tbEUlT_E_NS1_11comp_targetILNS1_3genE0ELNS1_11target_archE4294967295ELNS1_3gpuE0ELNS1_3repE0EEENS1_30default_config_static_selectorELNS0_4arch9wavefront6targetE1EEEvT1_
	.globl	_ZN7rocprim17ROCPRIM_400000_NS6detail17trampoline_kernelINS0_14default_configENS1_25transform_config_selectorIfLb1EEEZNS1_14transform_implILb1ES3_S5_PfS7_NS0_8identityIfEEEE10hipError_tT2_T3_mT4_P12ihipStream_tbEUlT_E_NS1_11comp_targetILNS1_3genE0ELNS1_11target_archE4294967295ELNS1_3gpuE0ELNS1_3repE0EEENS1_30default_config_static_selectorELNS0_4arch9wavefront6targetE1EEEvT1_
	.p2align	8
	.type	_ZN7rocprim17ROCPRIM_400000_NS6detail17trampoline_kernelINS0_14default_configENS1_25transform_config_selectorIfLb1EEEZNS1_14transform_implILb1ES3_S5_PfS7_NS0_8identityIfEEEE10hipError_tT2_T3_mT4_P12ihipStream_tbEUlT_E_NS1_11comp_targetILNS1_3genE0ELNS1_11target_archE4294967295ELNS1_3gpuE0ELNS1_3repE0EEENS1_30default_config_static_selectorELNS0_4arch9wavefront6targetE1EEEvT1_,@function
_ZN7rocprim17ROCPRIM_400000_NS6detail17trampoline_kernelINS0_14default_configENS1_25transform_config_selectorIfLb1EEEZNS1_14transform_implILb1ES3_S5_PfS7_NS0_8identityIfEEEE10hipError_tT2_T3_mT4_P12ihipStream_tbEUlT_E_NS1_11comp_targetILNS1_3genE0ELNS1_11target_archE4294967295ELNS1_3gpuE0ELNS1_3repE0EEENS1_30default_config_static_selectorELNS0_4arch9wavefront6targetE1EEEvT1_: ; @_ZN7rocprim17ROCPRIM_400000_NS6detail17trampoline_kernelINS0_14default_configENS1_25transform_config_selectorIfLb1EEEZNS1_14transform_implILb1ES3_S5_PfS7_NS0_8identityIfEEEE10hipError_tT2_T3_mT4_P12ihipStream_tbEUlT_E_NS1_11comp_targetILNS1_3genE0ELNS1_11target_archE4294967295ELNS1_3gpuE0ELNS1_3repE0EEENS1_30default_config_static_selectorELNS0_4arch9wavefront6targetE1EEEvT1_
; %bb.0:
	.section	.rodata,"a",@progbits
	.p2align	6, 0x0
	.amdhsa_kernel _ZN7rocprim17ROCPRIM_400000_NS6detail17trampoline_kernelINS0_14default_configENS1_25transform_config_selectorIfLb1EEEZNS1_14transform_implILb1ES3_S5_PfS7_NS0_8identityIfEEEE10hipError_tT2_T3_mT4_P12ihipStream_tbEUlT_E_NS1_11comp_targetILNS1_3genE0ELNS1_11target_archE4294967295ELNS1_3gpuE0ELNS1_3repE0EEENS1_30default_config_static_selectorELNS0_4arch9wavefront6targetE1EEEvT1_
		.amdhsa_group_segment_fixed_size 0
		.amdhsa_private_segment_fixed_size 0
		.amdhsa_kernarg_size 40
		.amdhsa_user_sgpr_count 6
		.amdhsa_user_sgpr_private_segment_buffer 1
		.amdhsa_user_sgpr_dispatch_ptr 0
		.amdhsa_user_sgpr_queue_ptr 0
		.amdhsa_user_sgpr_kernarg_segment_ptr 1
		.amdhsa_user_sgpr_dispatch_id 0
		.amdhsa_user_sgpr_flat_scratch_init 0
		.amdhsa_user_sgpr_private_segment_size 0
		.amdhsa_uses_dynamic_stack 0
		.amdhsa_system_sgpr_private_segment_wavefront_offset 0
		.amdhsa_system_sgpr_workgroup_id_x 1
		.amdhsa_system_sgpr_workgroup_id_y 0
		.amdhsa_system_sgpr_workgroup_id_z 0
		.amdhsa_system_sgpr_workgroup_info 0
		.amdhsa_system_vgpr_workitem_id 0
		.amdhsa_next_free_vgpr 1
		.amdhsa_next_free_sgpr 0
		.amdhsa_reserve_vcc 0
		.amdhsa_reserve_flat_scratch 0
		.amdhsa_float_round_mode_32 0
		.amdhsa_float_round_mode_16_64 0
		.amdhsa_float_denorm_mode_32 3
		.amdhsa_float_denorm_mode_16_64 3
		.amdhsa_dx10_clamp 1
		.amdhsa_ieee_mode 1
		.amdhsa_fp16_overflow 0
		.amdhsa_exception_fp_ieee_invalid_op 0
		.amdhsa_exception_fp_denorm_src 0
		.amdhsa_exception_fp_ieee_div_zero 0
		.amdhsa_exception_fp_ieee_overflow 0
		.amdhsa_exception_fp_ieee_underflow 0
		.amdhsa_exception_fp_ieee_inexact 0
		.amdhsa_exception_int_div_zero 0
	.end_amdhsa_kernel
	.section	.text._ZN7rocprim17ROCPRIM_400000_NS6detail17trampoline_kernelINS0_14default_configENS1_25transform_config_selectorIfLb1EEEZNS1_14transform_implILb1ES3_S5_PfS7_NS0_8identityIfEEEE10hipError_tT2_T3_mT4_P12ihipStream_tbEUlT_E_NS1_11comp_targetILNS1_3genE0ELNS1_11target_archE4294967295ELNS1_3gpuE0ELNS1_3repE0EEENS1_30default_config_static_selectorELNS0_4arch9wavefront6targetE1EEEvT1_,"axG",@progbits,_ZN7rocprim17ROCPRIM_400000_NS6detail17trampoline_kernelINS0_14default_configENS1_25transform_config_selectorIfLb1EEEZNS1_14transform_implILb1ES3_S5_PfS7_NS0_8identityIfEEEE10hipError_tT2_T3_mT4_P12ihipStream_tbEUlT_E_NS1_11comp_targetILNS1_3genE0ELNS1_11target_archE4294967295ELNS1_3gpuE0ELNS1_3repE0EEENS1_30default_config_static_selectorELNS0_4arch9wavefront6targetE1EEEvT1_,comdat
.Lfunc_end1808:
	.size	_ZN7rocprim17ROCPRIM_400000_NS6detail17trampoline_kernelINS0_14default_configENS1_25transform_config_selectorIfLb1EEEZNS1_14transform_implILb1ES3_S5_PfS7_NS0_8identityIfEEEE10hipError_tT2_T3_mT4_P12ihipStream_tbEUlT_E_NS1_11comp_targetILNS1_3genE0ELNS1_11target_archE4294967295ELNS1_3gpuE0ELNS1_3repE0EEENS1_30default_config_static_selectorELNS0_4arch9wavefront6targetE1EEEvT1_, .Lfunc_end1808-_ZN7rocprim17ROCPRIM_400000_NS6detail17trampoline_kernelINS0_14default_configENS1_25transform_config_selectorIfLb1EEEZNS1_14transform_implILb1ES3_S5_PfS7_NS0_8identityIfEEEE10hipError_tT2_T3_mT4_P12ihipStream_tbEUlT_E_NS1_11comp_targetILNS1_3genE0ELNS1_11target_archE4294967295ELNS1_3gpuE0ELNS1_3repE0EEENS1_30default_config_static_selectorELNS0_4arch9wavefront6targetE1EEEvT1_
                                        ; -- End function
	.set _ZN7rocprim17ROCPRIM_400000_NS6detail17trampoline_kernelINS0_14default_configENS1_25transform_config_selectorIfLb1EEEZNS1_14transform_implILb1ES3_S5_PfS7_NS0_8identityIfEEEE10hipError_tT2_T3_mT4_P12ihipStream_tbEUlT_E_NS1_11comp_targetILNS1_3genE0ELNS1_11target_archE4294967295ELNS1_3gpuE0ELNS1_3repE0EEENS1_30default_config_static_selectorELNS0_4arch9wavefront6targetE1EEEvT1_.num_vgpr, 0
	.set _ZN7rocprim17ROCPRIM_400000_NS6detail17trampoline_kernelINS0_14default_configENS1_25transform_config_selectorIfLb1EEEZNS1_14transform_implILb1ES3_S5_PfS7_NS0_8identityIfEEEE10hipError_tT2_T3_mT4_P12ihipStream_tbEUlT_E_NS1_11comp_targetILNS1_3genE0ELNS1_11target_archE4294967295ELNS1_3gpuE0ELNS1_3repE0EEENS1_30default_config_static_selectorELNS0_4arch9wavefront6targetE1EEEvT1_.num_agpr, 0
	.set _ZN7rocprim17ROCPRIM_400000_NS6detail17trampoline_kernelINS0_14default_configENS1_25transform_config_selectorIfLb1EEEZNS1_14transform_implILb1ES3_S5_PfS7_NS0_8identityIfEEEE10hipError_tT2_T3_mT4_P12ihipStream_tbEUlT_E_NS1_11comp_targetILNS1_3genE0ELNS1_11target_archE4294967295ELNS1_3gpuE0ELNS1_3repE0EEENS1_30default_config_static_selectorELNS0_4arch9wavefront6targetE1EEEvT1_.numbered_sgpr, 0
	.set _ZN7rocprim17ROCPRIM_400000_NS6detail17trampoline_kernelINS0_14default_configENS1_25transform_config_selectorIfLb1EEEZNS1_14transform_implILb1ES3_S5_PfS7_NS0_8identityIfEEEE10hipError_tT2_T3_mT4_P12ihipStream_tbEUlT_E_NS1_11comp_targetILNS1_3genE0ELNS1_11target_archE4294967295ELNS1_3gpuE0ELNS1_3repE0EEENS1_30default_config_static_selectorELNS0_4arch9wavefront6targetE1EEEvT1_.num_named_barrier, 0
	.set _ZN7rocprim17ROCPRIM_400000_NS6detail17trampoline_kernelINS0_14default_configENS1_25transform_config_selectorIfLb1EEEZNS1_14transform_implILb1ES3_S5_PfS7_NS0_8identityIfEEEE10hipError_tT2_T3_mT4_P12ihipStream_tbEUlT_E_NS1_11comp_targetILNS1_3genE0ELNS1_11target_archE4294967295ELNS1_3gpuE0ELNS1_3repE0EEENS1_30default_config_static_selectorELNS0_4arch9wavefront6targetE1EEEvT1_.private_seg_size, 0
	.set _ZN7rocprim17ROCPRIM_400000_NS6detail17trampoline_kernelINS0_14default_configENS1_25transform_config_selectorIfLb1EEEZNS1_14transform_implILb1ES3_S5_PfS7_NS0_8identityIfEEEE10hipError_tT2_T3_mT4_P12ihipStream_tbEUlT_E_NS1_11comp_targetILNS1_3genE0ELNS1_11target_archE4294967295ELNS1_3gpuE0ELNS1_3repE0EEENS1_30default_config_static_selectorELNS0_4arch9wavefront6targetE1EEEvT1_.uses_vcc, 0
	.set _ZN7rocprim17ROCPRIM_400000_NS6detail17trampoline_kernelINS0_14default_configENS1_25transform_config_selectorIfLb1EEEZNS1_14transform_implILb1ES3_S5_PfS7_NS0_8identityIfEEEE10hipError_tT2_T3_mT4_P12ihipStream_tbEUlT_E_NS1_11comp_targetILNS1_3genE0ELNS1_11target_archE4294967295ELNS1_3gpuE0ELNS1_3repE0EEENS1_30default_config_static_selectorELNS0_4arch9wavefront6targetE1EEEvT1_.uses_flat_scratch, 0
	.set _ZN7rocprim17ROCPRIM_400000_NS6detail17trampoline_kernelINS0_14default_configENS1_25transform_config_selectorIfLb1EEEZNS1_14transform_implILb1ES3_S5_PfS7_NS0_8identityIfEEEE10hipError_tT2_T3_mT4_P12ihipStream_tbEUlT_E_NS1_11comp_targetILNS1_3genE0ELNS1_11target_archE4294967295ELNS1_3gpuE0ELNS1_3repE0EEENS1_30default_config_static_selectorELNS0_4arch9wavefront6targetE1EEEvT1_.has_dyn_sized_stack, 0
	.set _ZN7rocprim17ROCPRIM_400000_NS6detail17trampoline_kernelINS0_14default_configENS1_25transform_config_selectorIfLb1EEEZNS1_14transform_implILb1ES3_S5_PfS7_NS0_8identityIfEEEE10hipError_tT2_T3_mT4_P12ihipStream_tbEUlT_E_NS1_11comp_targetILNS1_3genE0ELNS1_11target_archE4294967295ELNS1_3gpuE0ELNS1_3repE0EEENS1_30default_config_static_selectorELNS0_4arch9wavefront6targetE1EEEvT1_.has_recursion, 0
	.set _ZN7rocprim17ROCPRIM_400000_NS6detail17trampoline_kernelINS0_14default_configENS1_25transform_config_selectorIfLb1EEEZNS1_14transform_implILb1ES3_S5_PfS7_NS0_8identityIfEEEE10hipError_tT2_T3_mT4_P12ihipStream_tbEUlT_E_NS1_11comp_targetILNS1_3genE0ELNS1_11target_archE4294967295ELNS1_3gpuE0ELNS1_3repE0EEENS1_30default_config_static_selectorELNS0_4arch9wavefront6targetE1EEEvT1_.has_indirect_call, 0
	.section	.AMDGPU.csdata,"",@progbits
; Kernel info:
; codeLenInByte = 0
; TotalNumSgprs: 4
; NumVgprs: 0
; ScratchSize: 0
; MemoryBound: 0
; FloatMode: 240
; IeeeMode: 1
; LDSByteSize: 0 bytes/workgroup (compile time only)
; SGPRBlocks: 0
; VGPRBlocks: 0
; NumSGPRsForWavesPerEU: 4
; NumVGPRsForWavesPerEU: 1
; Occupancy: 10
; WaveLimiterHint : 0
; COMPUTE_PGM_RSRC2:SCRATCH_EN: 0
; COMPUTE_PGM_RSRC2:USER_SGPR: 6
; COMPUTE_PGM_RSRC2:TRAP_HANDLER: 0
; COMPUTE_PGM_RSRC2:TGID_X_EN: 1
; COMPUTE_PGM_RSRC2:TGID_Y_EN: 0
; COMPUTE_PGM_RSRC2:TGID_Z_EN: 0
; COMPUTE_PGM_RSRC2:TIDIG_COMP_CNT: 0
	.section	.text._ZN7rocprim17ROCPRIM_400000_NS6detail17trampoline_kernelINS0_14default_configENS1_25transform_config_selectorIfLb1EEEZNS1_14transform_implILb1ES3_S5_PfS7_NS0_8identityIfEEEE10hipError_tT2_T3_mT4_P12ihipStream_tbEUlT_E_NS1_11comp_targetILNS1_3genE10ELNS1_11target_archE1201ELNS1_3gpuE5ELNS1_3repE0EEENS1_30default_config_static_selectorELNS0_4arch9wavefront6targetE1EEEvT1_,"axG",@progbits,_ZN7rocprim17ROCPRIM_400000_NS6detail17trampoline_kernelINS0_14default_configENS1_25transform_config_selectorIfLb1EEEZNS1_14transform_implILb1ES3_S5_PfS7_NS0_8identityIfEEEE10hipError_tT2_T3_mT4_P12ihipStream_tbEUlT_E_NS1_11comp_targetILNS1_3genE10ELNS1_11target_archE1201ELNS1_3gpuE5ELNS1_3repE0EEENS1_30default_config_static_selectorELNS0_4arch9wavefront6targetE1EEEvT1_,comdat
	.protected	_ZN7rocprim17ROCPRIM_400000_NS6detail17trampoline_kernelINS0_14default_configENS1_25transform_config_selectorIfLb1EEEZNS1_14transform_implILb1ES3_S5_PfS7_NS0_8identityIfEEEE10hipError_tT2_T3_mT4_P12ihipStream_tbEUlT_E_NS1_11comp_targetILNS1_3genE10ELNS1_11target_archE1201ELNS1_3gpuE5ELNS1_3repE0EEENS1_30default_config_static_selectorELNS0_4arch9wavefront6targetE1EEEvT1_ ; -- Begin function _ZN7rocprim17ROCPRIM_400000_NS6detail17trampoline_kernelINS0_14default_configENS1_25transform_config_selectorIfLb1EEEZNS1_14transform_implILb1ES3_S5_PfS7_NS0_8identityIfEEEE10hipError_tT2_T3_mT4_P12ihipStream_tbEUlT_E_NS1_11comp_targetILNS1_3genE10ELNS1_11target_archE1201ELNS1_3gpuE5ELNS1_3repE0EEENS1_30default_config_static_selectorELNS0_4arch9wavefront6targetE1EEEvT1_
	.globl	_ZN7rocprim17ROCPRIM_400000_NS6detail17trampoline_kernelINS0_14default_configENS1_25transform_config_selectorIfLb1EEEZNS1_14transform_implILb1ES3_S5_PfS7_NS0_8identityIfEEEE10hipError_tT2_T3_mT4_P12ihipStream_tbEUlT_E_NS1_11comp_targetILNS1_3genE10ELNS1_11target_archE1201ELNS1_3gpuE5ELNS1_3repE0EEENS1_30default_config_static_selectorELNS0_4arch9wavefront6targetE1EEEvT1_
	.p2align	8
	.type	_ZN7rocprim17ROCPRIM_400000_NS6detail17trampoline_kernelINS0_14default_configENS1_25transform_config_selectorIfLb1EEEZNS1_14transform_implILb1ES3_S5_PfS7_NS0_8identityIfEEEE10hipError_tT2_T3_mT4_P12ihipStream_tbEUlT_E_NS1_11comp_targetILNS1_3genE10ELNS1_11target_archE1201ELNS1_3gpuE5ELNS1_3repE0EEENS1_30default_config_static_selectorELNS0_4arch9wavefront6targetE1EEEvT1_,@function
_ZN7rocprim17ROCPRIM_400000_NS6detail17trampoline_kernelINS0_14default_configENS1_25transform_config_selectorIfLb1EEEZNS1_14transform_implILb1ES3_S5_PfS7_NS0_8identityIfEEEE10hipError_tT2_T3_mT4_P12ihipStream_tbEUlT_E_NS1_11comp_targetILNS1_3genE10ELNS1_11target_archE1201ELNS1_3gpuE5ELNS1_3repE0EEENS1_30default_config_static_selectorELNS0_4arch9wavefront6targetE1EEEvT1_: ; @_ZN7rocprim17ROCPRIM_400000_NS6detail17trampoline_kernelINS0_14default_configENS1_25transform_config_selectorIfLb1EEEZNS1_14transform_implILb1ES3_S5_PfS7_NS0_8identityIfEEEE10hipError_tT2_T3_mT4_P12ihipStream_tbEUlT_E_NS1_11comp_targetILNS1_3genE10ELNS1_11target_archE1201ELNS1_3gpuE5ELNS1_3repE0EEENS1_30default_config_static_selectorELNS0_4arch9wavefront6targetE1EEEvT1_
; %bb.0:
	.section	.rodata,"a",@progbits
	.p2align	6, 0x0
	.amdhsa_kernel _ZN7rocprim17ROCPRIM_400000_NS6detail17trampoline_kernelINS0_14default_configENS1_25transform_config_selectorIfLb1EEEZNS1_14transform_implILb1ES3_S5_PfS7_NS0_8identityIfEEEE10hipError_tT2_T3_mT4_P12ihipStream_tbEUlT_E_NS1_11comp_targetILNS1_3genE10ELNS1_11target_archE1201ELNS1_3gpuE5ELNS1_3repE0EEENS1_30default_config_static_selectorELNS0_4arch9wavefront6targetE1EEEvT1_
		.amdhsa_group_segment_fixed_size 0
		.amdhsa_private_segment_fixed_size 0
		.amdhsa_kernarg_size 40
		.amdhsa_user_sgpr_count 6
		.amdhsa_user_sgpr_private_segment_buffer 1
		.amdhsa_user_sgpr_dispatch_ptr 0
		.amdhsa_user_sgpr_queue_ptr 0
		.amdhsa_user_sgpr_kernarg_segment_ptr 1
		.amdhsa_user_sgpr_dispatch_id 0
		.amdhsa_user_sgpr_flat_scratch_init 0
		.amdhsa_user_sgpr_private_segment_size 0
		.amdhsa_uses_dynamic_stack 0
		.amdhsa_system_sgpr_private_segment_wavefront_offset 0
		.amdhsa_system_sgpr_workgroup_id_x 1
		.amdhsa_system_sgpr_workgroup_id_y 0
		.amdhsa_system_sgpr_workgroup_id_z 0
		.amdhsa_system_sgpr_workgroup_info 0
		.amdhsa_system_vgpr_workitem_id 0
		.amdhsa_next_free_vgpr 1
		.amdhsa_next_free_sgpr 0
		.amdhsa_reserve_vcc 0
		.amdhsa_reserve_flat_scratch 0
		.amdhsa_float_round_mode_32 0
		.amdhsa_float_round_mode_16_64 0
		.amdhsa_float_denorm_mode_32 3
		.amdhsa_float_denorm_mode_16_64 3
		.amdhsa_dx10_clamp 1
		.amdhsa_ieee_mode 1
		.amdhsa_fp16_overflow 0
		.amdhsa_exception_fp_ieee_invalid_op 0
		.amdhsa_exception_fp_denorm_src 0
		.amdhsa_exception_fp_ieee_div_zero 0
		.amdhsa_exception_fp_ieee_overflow 0
		.amdhsa_exception_fp_ieee_underflow 0
		.amdhsa_exception_fp_ieee_inexact 0
		.amdhsa_exception_int_div_zero 0
	.end_amdhsa_kernel
	.section	.text._ZN7rocprim17ROCPRIM_400000_NS6detail17trampoline_kernelINS0_14default_configENS1_25transform_config_selectorIfLb1EEEZNS1_14transform_implILb1ES3_S5_PfS7_NS0_8identityIfEEEE10hipError_tT2_T3_mT4_P12ihipStream_tbEUlT_E_NS1_11comp_targetILNS1_3genE10ELNS1_11target_archE1201ELNS1_3gpuE5ELNS1_3repE0EEENS1_30default_config_static_selectorELNS0_4arch9wavefront6targetE1EEEvT1_,"axG",@progbits,_ZN7rocprim17ROCPRIM_400000_NS6detail17trampoline_kernelINS0_14default_configENS1_25transform_config_selectorIfLb1EEEZNS1_14transform_implILb1ES3_S5_PfS7_NS0_8identityIfEEEE10hipError_tT2_T3_mT4_P12ihipStream_tbEUlT_E_NS1_11comp_targetILNS1_3genE10ELNS1_11target_archE1201ELNS1_3gpuE5ELNS1_3repE0EEENS1_30default_config_static_selectorELNS0_4arch9wavefront6targetE1EEEvT1_,comdat
.Lfunc_end1809:
	.size	_ZN7rocprim17ROCPRIM_400000_NS6detail17trampoline_kernelINS0_14default_configENS1_25transform_config_selectorIfLb1EEEZNS1_14transform_implILb1ES3_S5_PfS7_NS0_8identityIfEEEE10hipError_tT2_T3_mT4_P12ihipStream_tbEUlT_E_NS1_11comp_targetILNS1_3genE10ELNS1_11target_archE1201ELNS1_3gpuE5ELNS1_3repE0EEENS1_30default_config_static_selectorELNS0_4arch9wavefront6targetE1EEEvT1_, .Lfunc_end1809-_ZN7rocprim17ROCPRIM_400000_NS6detail17trampoline_kernelINS0_14default_configENS1_25transform_config_selectorIfLb1EEEZNS1_14transform_implILb1ES3_S5_PfS7_NS0_8identityIfEEEE10hipError_tT2_T3_mT4_P12ihipStream_tbEUlT_E_NS1_11comp_targetILNS1_3genE10ELNS1_11target_archE1201ELNS1_3gpuE5ELNS1_3repE0EEENS1_30default_config_static_selectorELNS0_4arch9wavefront6targetE1EEEvT1_
                                        ; -- End function
	.set _ZN7rocprim17ROCPRIM_400000_NS6detail17trampoline_kernelINS0_14default_configENS1_25transform_config_selectorIfLb1EEEZNS1_14transform_implILb1ES3_S5_PfS7_NS0_8identityIfEEEE10hipError_tT2_T3_mT4_P12ihipStream_tbEUlT_E_NS1_11comp_targetILNS1_3genE10ELNS1_11target_archE1201ELNS1_3gpuE5ELNS1_3repE0EEENS1_30default_config_static_selectorELNS0_4arch9wavefront6targetE1EEEvT1_.num_vgpr, 0
	.set _ZN7rocprim17ROCPRIM_400000_NS6detail17trampoline_kernelINS0_14default_configENS1_25transform_config_selectorIfLb1EEEZNS1_14transform_implILb1ES3_S5_PfS7_NS0_8identityIfEEEE10hipError_tT2_T3_mT4_P12ihipStream_tbEUlT_E_NS1_11comp_targetILNS1_3genE10ELNS1_11target_archE1201ELNS1_3gpuE5ELNS1_3repE0EEENS1_30default_config_static_selectorELNS0_4arch9wavefront6targetE1EEEvT1_.num_agpr, 0
	.set _ZN7rocprim17ROCPRIM_400000_NS6detail17trampoline_kernelINS0_14default_configENS1_25transform_config_selectorIfLb1EEEZNS1_14transform_implILb1ES3_S5_PfS7_NS0_8identityIfEEEE10hipError_tT2_T3_mT4_P12ihipStream_tbEUlT_E_NS1_11comp_targetILNS1_3genE10ELNS1_11target_archE1201ELNS1_3gpuE5ELNS1_3repE0EEENS1_30default_config_static_selectorELNS0_4arch9wavefront6targetE1EEEvT1_.numbered_sgpr, 0
	.set _ZN7rocprim17ROCPRIM_400000_NS6detail17trampoline_kernelINS0_14default_configENS1_25transform_config_selectorIfLb1EEEZNS1_14transform_implILb1ES3_S5_PfS7_NS0_8identityIfEEEE10hipError_tT2_T3_mT4_P12ihipStream_tbEUlT_E_NS1_11comp_targetILNS1_3genE10ELNS1_11target_archE1201ELNS1_3gpuE5ELNS1_3repE0EEENS1_30default_config_static_selectorELNS0_4arch9wavefront6targetE1EEEvT1_.num_named_barrier, 0
	.set _ZN7rocprim17ROCPRIM_400000_NS6detail17trampoline_kernelINS0_14default_configENS1_25transform_config_selectorIfLb1EEEZNS1_14transform_implILb1ES3_S5_PfS7_NS0_8identityIfEEEE10hipError_tT2_T3_mT4_P12ihipStream_tbEUlT_E_NS1_11comp_targetILNS1_3genE10ELNS1_11target_archE1201ELNS1_3gpuE5ELNS1_3repE0EEENS1_30default_config_static_selectorELNS0_4arch9wavefront6targetE1EEEvT1_.private_seg_size, 0
	.set _ZN7rocprim17ROCPRIM_400000_NS6detail17trampoline_kernelINS0_14default_configENS1_25transform_config_selectorIfLb1EEEZNS1_14transform_implILb1ES3_S5_PfS7_NS0_8identityIfEEEE10hipError_tT2_T3_mT4_P12ihipStream_tbEUlT_E_NS1_11comp_targetILNS1_3genE10ELNS1_11target_archE1201ELNS1_3gpuE5ELNS1_3repE0EEENS1_30default_config_static_selectorELNS0_4arch9wavefront6targetE1EEEvT1_.uses_vcc, 0
	.set _ZN7rocprim17ROCPRIM_400000_NS6detail17trampoline_kernelINS0_14default_configENS1_25transform_config_selectorIfLb1EEEZNS1_14transform_implILb1ES3_S5_PfS7_NS0_8identityIfEEEE10hipError_tT2_T3_mT4_P12ihipStream_tbEUlT_E_NS1_11comp_targetILNS1_3genE10ELNS1_11target_archE1201ELNS1_3gpuE5ELNS1_3repE0EEENS1_30default_config_static_selectorELNS0_4arch9wavefront6targetE1EEEvT1_.uses_flat_scratch, 0
	.set _ZN7rocprim17ROCPRIM_400000_NS6detail17trampoline_kernelINS0_14default_configENS1_25transform_config_selectorIfLb1EEEZNS1_14transform_implILb1ES3_S5_PfS7_NS0_8identityIfEEEE10hipError_tT2_T3_mT4_P12ihipStream_tbEUlT_E_NS1_11comp_targetILNS1_3genE10ELNS1_11target_archE1201ELNS1_3gpuE5ELNS1_3repE0EEENS1_30default_config_static_selectorELNS0_4arch9wavefront6targetE1EEEvT1_.has_dyn_sized_stack, 0
	.set _ZN7rocprim17ROCPRIM_400000_NS6detail17trampoline_kernelINS0_14default_configENS1_25transform_config_selectorIfLb1EEEZNS1_14transform_implILb1ES3_S5_PfS7_NS0_8identityIfEEEE10hipError_tT2_T3_mT4_P12ihipStream_tbEUlT_E_NS1_11comp_targetILNS1_3genE10ELNS1_11target_archE1201ELNS1_3gpuE5ELNS1_3repE0EEENS1_30default_config_static_selectorELNS0_4arch9wavefront6targetE1EEEvT1_.has_recursion, 0
	.set _ZN7rocprim17ROCPRIM_400000_NS6detail17trampoline_kernelINS0_14default_configENS1_25transform_config_selectorIfLb1EEEZNS1_14transform_implILb1ES3_S5_PfS7_NS0_8identityIfEEEE10hipError_tT2_T3_mT4_P12ihipStream_tbEUlT_E_NS1_11comp_targetILNS1_3genE10ELNS1_11target_archE1201ELNS1_3gpuE5ELNS1_3repE0EEENS1_30default_config_static_selectorELNS0_4arch9wavefront6targetE1EEEvT1_.has_indirect_call, 0
	.section	.AMDGPU.csdata,"",@progbits
; Kernel info:
; codeLenInByte = 0
; TotalNumSgprs: 4
; NumVgprs: 0
; ScratchSize: 0
; MemoryBound: 0
; FloatMode: 240
; IeeeMode: 1
; LDSByteSize: 0 bytes/workgroup (compile time only)
; SGPRBlocks: 0
; VGPRBlocks: 0
; NumSGPRsForWavesPerEU: 4
; NumVGPRsForWavesPerEU: 1
; Occupancy: 10
; WaveLimiterHint : 0
; COMPUTE_PGM_RSRC2:SCRATCH_EN: 0
; COMPUTE_PGM_RSRC2:USER_SGPR: 6
; COMPUTE_PGM_RSRC2:TRAP_HANDLER: 0
; COMPUTE_PGM_RSRC2:TGID_X_EN: 1
; COMPUTE_PGM_RSRC2:TGID_Y_EN: 0
; COMPUTE_PGM_RSRC2:TGID_Z_EN: 0
; COMPUTE_PGM_RSRC2:TIDIG_COMP_CNT: 0
	.section	.text._ZN7rocprim17ROCPRIM_400000_NS6detail17trampoline_kernelINS0_14default_configENS1_25transform_config_selectorIfLb1EEEZNS1_14transform_implILb1ES3_S5_PfS7_NS0_8identityIfEEEE10hipError_tT2_T3_mT4_P12ihipStream_tbEUlT_E_NS1_11comp_targetILNS1_3genE5ELNS1_11target_archE942ELNS1_3gpuE9ELNS1_3repE0EEENS1_30default_config_static_selectorELNS0_4arch9wavefront6targetE1EEEvT1_,"axG",@progbits,_ZN7rocprim17ROCPRIM_400000_NS6detail17trampoline_kernelINS0_14default_configENS1_25transform_config_selectorIfLb1EEEZNS1_14transform_implILb1ES3_S5_PfS7_NS0_8identityIfEEEE10hipError_tT2_T3_mT4_P12ihipStream_tbEUlT_E_NS1_11comp_targetILNS1_3genE5ELNS1_11target_archE942ELNS1_3gpuE9ELNS1_3repE0EEENS1_30default_config_static_selectorELNS0_4arch9wavefront6targetE1EEEvT1_,comdat
	.protected	_ZN7rocprim17ROCPRIM_400000_NS6detail17trampoline_kernelINS0_14default_configENS1_25transform_config_selectorIfLb1EEEZNS1_14transform_implILb1ES3_S5_PfS7_NS0_8identityIfEEEE10hipError_tT2_T3_mT4_P12ihipStream_tbEUlT_E_NS1_11comp_targetILNS1_3genE5ELNS1_11target_archE942ELNS1_3gpuE9ELNS1_3repE0EEENS1_30default_config_static_selectorELNS0_4arch9wavefront6targetE1EEEvT1_ ; -- Begin function _ZN7rocprim17ROCPRIM_400000_NS6detail17trampoline_kernelINS0_14default_configENS1_25transform_config_selectorIfLb1EEEZNS1_14transform_implILb1ES3_S5_PfS7_NS0_8identityIfEEEE10hipError_tT2_T3_mT4_P12ihipStream_tbEUlT_E_NS1_11comp_targetILNS1_3genE5ELNS1_11target_archE942ELNS1_3gpuE9ELNS1_3repE0EEENS1_30default_config_static_selectorELNS0_4arch9wavefront6targetE1EEEvT1_
	.globl	_ZN7rocprim17ROCPRIM_400000_NS6detail17trampoline_kernelINS0_14default_configENS1_25transform_config_selectorIfLb1EEEZNS1_14transform_implILb1ES3_S5_PfS7_NS0_8identityIfEEEE10hipError_tT2_T3_mT4_P12ihipStream_tbEUlT_E_NS1_11comp_targetILNS1_3genE5ELNS1_11target_archE942ELNS1_3gpuE9ELNS1_3repE0EEENS1_30default_config_static_selectorELNS0_4arch9wavefront6targetE1EEEvT1_
	.p2align	8
	.type	_ZN7rocprim17ROCPRIM_400000_NS6detail17trampoline_kernelINS0_14default_configENS1_25transform_config_selectorIfLb1EEEZNS1_14transform_implILb1ES3_S5_PfS7_NS0_8identityIfEEEE10hipError_tT2_T3_mT4_P12ihipStream_tbEUlT_E_NS1_11comp_targetILNS1_3genE5ELNS1_11target_archE942ELNS1_3gpuE9ELNS1_3repE0EEENS1_30default_config_static_selectorELNS0_4arch9wavefront6targetE1EEEvT1_,@function
_ZN7rocprim17ROCPRIM_400000_NS6detail17trampoline_kernelINS0_14default_configENS1_25transform_config_selectorIfLb1EEEZNS1_14transform_implILb1ES3_S5_PfS7_NS0_8identityIfEEEE10hipError_tT2_T3_mT4_P12ihipStream_tbEUlT_E_NS1_11comp_targetILNS1_3genE5ELNS1_11target_archE942ELNS1_3gpuE9ELNS1_3repE0EEENS1_30default_config_static_selectorELNS0_4arch9wavefront6targetE1EEEvT1_: ; @_ZN7rocprim17ROCPRIM_400000_NS6detail17trampoline_kernelINS0_14default_configENS1_25transform_config_selectorIfLb1EEEZNS1_14transform_implILb1ES3_S5_PfS7_NS0_8identityIfEEEE10hipError_tT2_T3_mT4_P12ihipStream_tbEUlT_E_NS1_11comp_targetILNS1_3genE5ELNS1_11target_archE942ELNS1_3gpuE9ELNS1_3repE0EEENS1_30default_config_static_selectorELNS0_4arch9wavefront6targetE1EEEvT1_
; %bb.0:
	.section	.rodata,"a",@progbits
	.p2align	6, 0x0
	.amdhsa_kernel _ZN7rocprim17ROCPRIM_400000_NS6detail17trampoline_kernelINS0_14default_configENS1_25transform_config_selectorIfLb1EEEZNS1_14transform_implILb1ES3_S5_PfS7_NS0_8identityIfEEEE10hipError_tT2_T3_mT4_P12ihipStream_tbEUlT_E_NS1_11comp_targetILNS1_3genE5ELNS1_11target_archE942ELNS1_3gpuE9ELNS1_3repE0EEENS1_30default_config_static_selectorELNS0_4arch9wavefront6targetE1EEEvT1_
		.amdhsa_group_segment_fixed_size 0
		.amdhsa_private_segment_fixed_size 0
		.amdhsa_kernarg_size 40
		.amdhsa_user_sgpr_count 6
		.amdhsa_user_sgpr_private_segment_buffer 1
		.amdhsa_user_sgpr_dispatch_ptr 0
		.amdhsa_user_sgpr_queue_ptr 0
		.amdhsa_user_sgpr_kernarg_segment_ptr 1
		.amdhsa_user_sgpr_dispatch_id 0
		.amdhsa_user_sgpr_flat_scratch_init 0
		.amdhsa_user_sgpr_private_segment_size 0
		.amdhsa_uses_dynamic_stack 0
		.amdhsa_system_sgpr_private_segment_wavefront_offset 0
		.amdhsa_system_sgpr_workgroup_id_x 1
		.amdhsa_system_sgpr_workgroup_id_y 0
		.amdhsa_system_sgpr_workgroup_id_z 0
		.amdhsa_system_sgpr_workgroup_info 0
		.amdhsa_system_vgpr_workitem_id 0
		.amdhsa_next_free_vgpr 1
		.amdhsa_next_free_sgpr 0
		.amdhsa_reserve_vcc 0
		.amdhsa_reserve_flat_scratch 0
		.amdhsa_float_round_mode_32 0
		.amdhsa_float_round_mode_16_64 0
		.amdhsa_float_denorm_mode_32 3
		.amdhsa_float_denorm_mode_16_64 3
		.amdhsa_dx10_clamp 1
		.amdhsa_ieee_mode 1
		.amdhsa_fp16_overflow 0
		.amdhsa_exception_fp_ieee_invalid_op 0
		.amdhsa_exception_fp_denorm_src 0
		.amdhsa_exception_fp_ieee_div_zero 0
		.amdhsa_exception_fp_ieee_overflow 0
		.amdhsa_exception_fp_ieee_underflow 0
		.amdhsa_exception_fp_ieee_inexact 0
		.amdhsa_exception_int_div_zero 0
	.end_amdhsa_kernel
	.section	.text._ZN7rocprim17ROCPRIM_400000_NS6detail17trampoline_kernelINS0_14default_configENS1_25transform_config_selectorIfLb1EEEZNS1_14transform_implILb1ES3_S5_PfS7_NS0_8identityIfEEEE10hipError_tT2_T3_mT4_P12ihipStream_tbEUlT_E_NS1_11comp_targetILNS1_3genE5ELNS1_11target_archE942ELNS1_3gpuE9ELNS1_3repE0EEENS1_30default_config_static_selectorELNS0_4arch9wavefront6targetE1EEEvT1_,"axG",@progbits,_ZN7rocprim17ROCPRIM_400000_NS6detail17trampoline_kernelINS0_14default_configENS1_25transform_config_selectorIfLb1EEEZNS1_14transform_implILb1ES3_S5_PfS7_NS0_8identityIfEEEE10hipError_tT2_T3_mT4_P12ihipStream_tbEUlT_E_NS1_11comp_targetILNS1_3genE5ELNS1_11target_archE942ELNS1_3gpuE9ELNS1_3repE0EEENS1_30default_config_static_selectorELNS0_4arch9wavefront6targetE1EEEvT1_,comdat
.Lfunc_end1810:
	.size	_ZN7rocprim17ROCPRIM_400000_NS6detail17trampoline_kernelINS0_14default_configENS1_25transform_config_selectorIfLb1EEEZNS1_14transform_implILb1ES3_S5_PfS7_NS0_8identityIfEEEE10hipError_tT2_T3_mT4_P12ihipStream_tbEUlT_E_NS1_11comp_targetILNS1_3genE5ELNS1_11target_archE942ELNS1_3gpuE9ELNS1_3repE0EEENS1_30default_config_static_selectorELNS0_4arch9wavefront6targetE1EEEvT1_, .Lfunc_end1810-_ZN7rocprim17ROCPRIM_400000_NS6detail17trampoline_kernelINS0_14default_configENS1_25transform_config_selectorIfLb1EEEZNS1_14transform_implILb1ES3_S5_PfS7_NS0_8identityIfEEEE10hipError_tT2_T3_mT4_P12ihipStream_tbEUlT_E_NS1_11comp_targetILNS1_3genE5ELNS1_11target_archE942ELNS1_3gpuE9ELNS1_3repE0EEENS1_30default_config_static_selectorELNS0_4arch9wavefront6targetE1EEEvT1_
                                        ; -- End function
	.set _ZN7rocprim17ROCPRIM_400000_NS6detail17trampoline_kernelINS0_14default_configENS1_25transform_config_selectorIfLb1EEEZNS1_14transform_implILb1ES3_S5_PfS7_NS0_8identityIfEEEE10hipError_tT2_T3_mT4_P12ihipStream_tbEUlT_E_NS1_11comp_targetILNS1_3genE5ELNS1_11target_archE942ELNS1_3gpuE9ELNS1_3repE0EEENS1_30default_config_static_selectorELNS0_4arch9wavefront6targetE1EEEvT1_.num_vgpr, 0
	.set _ZN7rocprim17ROCPRIM_400000_NS6detail17trampoline_kernelINS0_14default_configENS1_25transform_config_selectorIfLb1EEEZNS1_14transform_implILb1ES3_S5_PfS7_NS0_8identityIfEEEE10hipError_tT2_T3_mT4_P12ihipStream_tbEUlT_E_NS1_11comp_targetILNS1_3genE5ELNS1_11target_archE942ELNS1_3gpuE9ELNS1_3repE0EEENS1_30default_config_static_selectorELNS0_4arch9wavefront6targetE1EEEvT1_.num_agpr, 0
	.set _ZN7rocprim17ROCPRIM_400000_NS6detail17trampoline_kernelINS0_14default_configENS1_25transform_config_selectorIfLb1EEEZNS1_14transform_implILb1ES3_S5_PfS7_NS0_8identityIfEEEE10hipError_tT2_T3_mT4_P12ihipStream_tbEUlT_E_NS1_11comp_targetILNS1_3genE5ELNS1_11target_archE942ELNS1_3gpuE9ELNS1_3repE0EEENS1_30default_config_static_selectorELNS0_4arch9wavefront6targetE1EEEvT1_.numbered_sgpr, 0
	.set _ZN7rocprim17ROCPRIM_400000_NS6detail17trampoline_kernelINS0_14default_configENS1_25transform_config_selectorIfLb1EEEZNS1_14transform_implILb1ES3_S5_PfS7_NS0_8identityIfEEEE10hipError_tT2_T3_mT4_P12ihipStream_tbEUlT_E_NS1_11comp_targetILNS1_3genE5ELNS1_11target_archE942ELNS1_3gpuE9ELNS1_3repE0EEENS1_30default_config_static_selectorELNS0_4arch9wavefront6targetE1EEEvT1_.num_named_barrier, 0
	.set _ZN7rocprim17ROCPRIM_400000_NS6detail17trampoline_kernelINS0_14default_configENS1_25transform_config_selectorIfLb1EEEZNS1_14transform_implILb1ES3_S5_PfS7_NS0_8identityIfEEEE10hipError_tT2_T3_mT4_P12ihipStream_tbEUlT_E_NS1_11comp_targetILNS1_3genE5ELNS1_11target_archE942ELNS1_3gpuE9ELNS1_3repE0EEENS1_30default_config_static_selectorELNS0_4arch9wavefront6targetE1EEEvT1_.private_seg_size, 0
	.set _ZN7rocprim17ROCPRIM_400000_NS6detail17trampoline_kernelINS0_14default_configENS1_25transform_config_selectorIfLb1EEEZNS1_14transform_implILb1ES3_S5_PfS7_NS0_8identityIfEEEE10hipError_tT2_T3_mT4_P12ihipStream_tbEUlT_E_NS1_11comp_targetILNS1_3genE5ELNS1_11target_archE942ELNS1_3gpuE9ELNS1_3repE0EEENS1_30default_config_static_selectorELNS0_4arch9wavefront6targetE1EEEvT1_.uses_vcc, 0
	.set _ZN7rocprim17ROCPRIM_400000_NS6detail17trampoline_kernelINS0_14default_configENS1_25transform_config_selectorIfLb1EEEZNS1_14transform_implILb1ES3_S5_PfS7_NS0_8identityIfEEEE10hipError_tT2_T3_mT4_P12ihipStream_tbEUlT_E_NS1_11comp_targetILNS1_3genE5ELNS1_11target_archE942ELNS1_3gpuE9ELNS1_3repE0EEENS1_30default_config_static_selectorELNS0_4arch9wavefront6targetE1EEEvT1_.uses_flat_scratch, 0
	.set _ZN7rocprim17ROCPRIM_400000_NS6detail17trampoline_kernelINS0_14default_configENS1_25transform_config_selectorIfLb1EEEZNS1_14transform_implILb1ES3_S5_PfS7_NS0_8identityIfEEEE10hipError_tT2_T3_mT4_P12ihipStream_tbEUlT_E_NS1_11comp_targetILNS1_3genE5ELNS1_11target_archE942ELNS1_3gpuE9ELNS1_3repE0EEENS1_30default_config_static_selectorELNS0_4arch9wavefront6targetE1EEEvT1_.has_dyn_sized_stack, 0
	.set _ZN7rocprim17ROCPRIM_400000_NS6detail17trampoline_kernelINS0_14default_configENS1_25transform_config_selectorIfLb1EEEZNS1_14transform_implILb1ES3_S5_PfS7_NS0_8identityIfEEEE10hipError_tT2_T3_mT4_P12ihipStream_tbEUlT_E_NS1_11comp_targetILNS1_3genE5ELNS1_11target_archE942ELNS1_3gpuE9ELNS1_3repE0EEENS1_30default_config_static_selectorELNS0_4arch9wavefront6targetE1EEEvT1_.has_recursion, 0
	.set _ZN7rocprim17ROCPRIM_400000_NS6detail17trampoline_kernelINS0_14default_configENS1_25transform_config_selectorIfLb1EEEZNS1_14transform_implILb1ES3_S5_PfS7_NS0_8identityIfEEEE10hipError_tT2_T3_mT4_P12ihipStream_tbEUlT_E_NS1_11comp_targetILNS1_3genE5ELNS1_11target_archE942ELNS1_3gpuE9ELNS1_3repE0EEENS1_30default_config_static_selectorELNS0_4arch9wavefront6targetE1EEEvT1_.has_indirect_call, 0
	.section	.AMDGPU.csdata,"",@progbits
; Kernel info:
; codeLenInByte = 0
; TotalNumSgprs: 4
; NumVgprs: 0
; ScratchSize: 0
; MemoryBound: 0
; FloatMode: 240
; IeeeMode: 1
; LDSByteSize: 0 bytes/workgroup (compile time only)
; SGPRBlocks: 0
; VGPRBlocks: 0
; NumSGPRsForWavesPerEU: 4
; NumVGPRsForWavesPerEU: 1
; Occupancy: 10
; WaveLimiterHint : 0
; COMPUTE_PGM_RSRC2:SCRATCH_EN: 0
; COMPUTE_PGM_RSRC2:USER_SGPR: 6
; COMPUTE_PGM_RSRC2:TRAP_HANDLER: 0
; COMPUTE_PGM_RSRC2:TGID_X_EN: 1
; COMPUTE_PGM_RSRC2:TGID_Y_EN: 0
; COMPUTE_PGM_RSRC2:TGID_Z_EN: 0
; COMPUTE_PGM_RSRC2:TIDIG_COMP_CNT: 0
	.section	.text._ZN7rocprim17ROCPRIM_400000_NS6detail17trampoline_kernelINS0_14default_configENS1_25transform_config_selectorIfLb1EEEZNS1_14transform_implILb1ES3_S5_PfS7_NS0_8identityIfEEEE10hipError_tT2_T3_mT4_P12ihipStream_tbEUlT_E_NS1_11comp_targetILNS1_3genE4ELNS1_11target_archE910ELNS1_3gpuE8ELNS1_3repE0EEENS1_30default_config_static_selectorELNS0_4arch9wavefront6targetE1EEEvT1_,"axG",@progbits,_ZN7rocprim17ROCPRIM_400000_NS6detail17trampoline_kernelINS0_14default_configENS1_25transform_config_selectorIfLb1EEEZNS1_14transform_implILb1ES3_S5_PfS7_NS0_8identityIfEEEE10hipError_tT2_T3_mT4_P12ihipStream_tbEUlT_E_NS1_11comp_targetILNS1_3genE4ELNS1_11target_archE910ELNS1_3gpuE8ELNS1_3repE0EEENS1_30default_config_static_selectorELNS0_4arch9wavefront6targetE1EEEvT1_,comdat
	.protected	_ZN7rocprim17ROCPRIM_400000_NS6detail17trampoline_kernelINS0_14default_configENS1_25transform_config_selectorIfLb1EEEZNS1_14transform_implILb1ES3_S5_PfS7_NS0_8identityIfEEEE10hipError_tT2_T3_mT4_P12ihipStream_tbEUlT_E_NS1_11comp_targetILNS1_3genE4ELNS1_11target_archE910ELNS1_3gpuE8ELNS1_3repE0EEENS1_30default_config_static_selectorELNS0_4arch9wavefront6targetE1EEEvT1_ ; -- Begin function _ZN7rocprim17ROCPRIM_400000_NS6detail17trampoline_kernelINS0_14default_configENS1_25transform_config_selectorIfLb1EEEZNS1_14transform_implILb1ES3_S5_PfS7_NS0_8identityIfEEEE10hipError_tT2_T3_mT4_P12ihipStream_tbEUlT_E_NS1_11comp_targetILNS1_3genE4ELNS1_11target_archE910ELNS1_3gpuE8ELNS1_3repE0EEENS1_30default_config_static_selectorELNS0_4arch9wavefront6targetE1EEEvT1_
	.globl	_ZN7rocprim17ROCPRIM_400000_NS6detail17trampoline_kernelINS0_14default_configENS1_25transform_config_selectorIfLb1EEEZNS1_14transform_implILb1ES3_S5_PfS7_NS0_8identityIfEEEE10hipError_tT2_T3_mT4_P12ihipStream_tbEUlT_E_NS1_11comp_targetILNS1_3genE4ELNS1_11target_archE910ELNS1_3gpuE8ELNS1_3repE0EEENS1_30default_config_static_selectorELNS0_4arch9wavefront6targetE1EEEvT1_
	.p2align	8
	.type	_ZN7rocprim17ROCPRIM_400000_NS6detail17trampoline_kernelINS0_14default_configENS1_25transform_config_selectorIfLb1EEEZNS1_14transform_implILb1ES3_S5_PfS7_NS0_8identityIfEEEE10hipError_tT2_T3_mT4_P12ihipStream_tbEUlT_E_NS1_11comp_targetILNS1_3genE4ELNS1_11target_archE910ELNS1_3gpuE8ELNS1_3repE0EEENS1_30default_config_static_selectorELNS0_4arch9wavefront6targetE1EEEvT1_,@function
_ZN7rocprim17ROCPRIM_400000_NS6detail17trampoline_kernelINS0_14default_configENS1_25transform_config_selectorIfLb1EEEZNS1_14transform_implILb1ES3_S5_PfS7_NS0_8identityIfEEEE10hipError_tT2_T3_mT4_P12ihipStream_tbEUlT_E_NS1_11comp_targetILNS1_3genE4ELNS1_11target_archE910ELNS1_3gpuE8ELNS1_3repE0EEENS1_30default_config_static_selectorELNS0_4arch9wavefront6targetE1EEEvT1_: ; @_ZN7rocprim17ROCPRIM_400000_NS6detail17trampoline_kernelINS0_14default_configENS1_25transform_config_selectorIfLb1EEEZNS1_14transform_implILb1ES3_S5_PfS7_NS0_8identityIfEEEE10hipError_tT2_T3_mT4_P12ihipStream_tbEUlT_E_NS1_11comp_targetILNS1_3genE4ELNS1_11target_archE910ELNS1_3gpuE8ELNS1_3repE0EEENS1_30default_config_static_selectorELNS0_4arch9wavefront6targetE1EEEvT1_
; %bb.0:
	.section	.rodata,"a",@progbits
	.p2align	6, 0x0
	.amdhsa_kernel _ZN7rocprim17ROCPRIM_400000_NS6detail17trampoline_kernelINS0_14default_configENS1_25transform_config_selectorIfLb1EEEZNS1_14transform_implILb1ES3_S5_PfS7_NS0_8identityIfEEEE10hipError_tT2_T3_mT4_P12ihipStream_tbEUlT_E_NS1_11comp_targetILNS1_3genE4ELNS1_11target_archE910ELNS1_3gpuE8ELNS1_3repE0EEENS1_30default_config_static_selectorELNS0_4arch9wavefront6targetE1EEEvT1_
		.amdhsa_group_segment_fixed_size 0
		.amdhsa_private_segment_fixed_size 0
		.amdhsa_kernarg_size 40
		.amdhsa_user_sgpr_count 6
		.amdhsa_user_sgpr_private_segment_buffer 1
		.amdhsa_user_sgpr_dispatch_ptr 0
		.amdhsa_user_sgpr_queue_ptr 0
		.amdhsa_user_sgpr_kernarg_segment_ptr 1
		.amdhsa_user_sgpr_dispatch_id 0
		.amdhsa_user_sgpr_flat_scratch_init 0
		.amdhsa_user_sgpr_private_segment_size 0
		.amdhsa_uses_dynamic_stack 0
		.amdhsa_system_sgpr_private_segment_wavefront_offset 0
		.amdhsa_system_sgpr_workgroup_id_x 1
		.amdhsa_system_sgpr_workgroup_id_y 0
		.amdhsa_system_sgpr_workgroup_id_z 0
		.amdhsa_system_sgpr_workgroup_info 0
		.amdhsa_system_vgpr_workitem_id 0
		.amdhsa_next_free_vgpr 1
		.amdhsa_next_free_sgpr 0
		.amdhsa_reserve_vcc 0
		.amdhsa_reserve_flat_scratch 0
		.amdhsa_float_round_mode_32 0
		.amdhsa_float_round_mode_16_64 0
		.amdhsa_float_denorm_mode_32 3
		.amdhsa_float_denorm_mode_16_64 3
		.amdhsa_dx10_clamp 1
		.amdhsa_ieee_mode 1
		.amdhsa_fp16_overflow 0
		.amdhsa_exception_fp_ieee_invalid_op 0
		.amdhsa_exception_fp_denorm_src 0
		.amdhsa_exception_fp_ieee_div_zero 0
		.amdhsa_exception_fp_ieee_overflow 0
		.amdhsa_exception_fp_ieee_underflow 0
		.amdhsa_exception_fp_ieee_inexact 0
		.amdhsa_exception_int_div_zero 0
	.end_amdhsa_kernel
	.section	.text._ZN7rocprim17ROCPRIM_400000_NS6detail17trampoline_kernelINS0_14default_configENS1_25transform_config_selectorIfLb1EEEZNS1_14transform_implILb1ES3_S5_PfS7_NS0_8identityIfEEEE10hipError_tT2_T3_mT4_P12ihipStream_tbEUlT_E_NS1_11comp_targetILNS1_3genE4ELNS1_11target_archE910ELNS1_3gpuE8ELNS1_3repE0EEENS1_30default_config_static_selectorELNS0_4arch9wavefront6targetE1EEEvT1_,"axG",@progbits,_ZN7rocprim17ROCPRIM_400000_NS6detail17trampoline_kernelINS0_14default_configENS1_25transform_config_selectorIfLb1EEEZNS1_14transform_implILb1ES3_S5_PfS7_NS0_8identityIfEEEE10hipError_tT2_T3_mT4_P12ihipStream_tbEUlT_E_NS1_11comp_targetILNS1_3genE4ELNS1_11target_archE910ELNS1_3gpuE8ELNS1_3repE0EEENS1_30default_config_static_selectorELNS0_4arch9wavefront6targetE1EEEvT1_,comdat
.Lfunc_end1811:
	.size	_ZN7rocprim17ROCPRIM_400000_NS6detail17trampoline_kernelINS0_14default_configENS1_25transform_config_selectorIfLb1EEEZNS1_14transform_implILb1ES3_S5_PfS7_NS0_8identityIfEEEE10hipError_tT2_T3_mT4_P12ihipStream_tbEUlT_E_NS1_11comp_targetILNS1_3genE4ELNS1_11target_archE910ELNS1_3gpuE8ELNS1_3repE0EEENS1_30default_config_static_selectorELNS0_4arch9wavefront6targetE1EEEvT1_, .Lfunc_end1811-_ZN7rocprim17ROCPRIM_400000_NS6detail17trampoline_kernelINS0_14default_configENS1_25transform_config_selectorIfLb1EEEZNS1_14transform_implILb1ES3_S5_PfS7_NS0_8identityIfEEEE10hipError_tT2_T3_mT4_P12ihipStream_tbEUlT_E_NS1_11comp_targetILNS1_3genE4ELNS1_11target_archE910ELNS1_3gpuE8ELNS1_3repE0EEENS1_30default_config_static_selectorELNS0_4arch9wavefront6targetE1EEEvT1_
                                        ; -- End function
	.set _ZN7rocprim17ROCPRIM_400000_NS6detail17trampoline_kernelINS0_14default_configENS1_25transform_config_selectorIfLb1EEEZNS1_14transform_implILb1ES3_S5_PfS7_NS0_8identityIfEEEE10hipError_tT2_T3_mT4_P12ihipStream_tbEUlT_E_NS1_11comp_targetILNS1_3genE4ELNS1_11target_archE910ELNS1_3gpuE8ELNS1_3repE0EEENS1_30default_config_static_selectorELNS0_4arch9wavefront6targetE1EEEvT1_.num_vgpr, 0
	.set _ZN7rocprim17ROCPRIM_400000_NS6detail17trampoline_kernelINS0_14default_configENS1_25transform_config_selectorIfLb1EEEZNS1_14transform_implILb1ES3_S5_PfS7_NS0_8identityIfEEEE10hipError_tT2_T3_mT4_P12ihipStream_tbEUlT_E_NS1_11comp_targetILNS1_3genE4ELNS1_11target_archE910ELNS1_3gpuE8ELNS1_3repE0EEENS1_30default_config_static_selectorELNS0_4arch9wavefront6targetE1EEEvT1_.num_agpr, 0
	.set _ZN7rocprim17ROCPRIM_400000_NS6detail17trampoline_kernelINS0_14default_configENS1_25transform_config_selectorIfLb1EEEZNS1_14transform_implILb1ES3_S5_PfS7_NS0_8identityIfEEEE10hipError_tT2_T3_mT4_P12ihipStream_tbEUlT_E_NS1_11comp_targetILNS1_3genE4ELNS1_11target_archE910ELNS1_3gpuE8ELNS1_3repE0EEENS1_30default_config_static_selectorELNS0_4arch9wavefront6targetE1EEEvT1_.numbered_sgpr, 0
	.set _ZN7rocprim17ROCPRIM_400000_NS6detail17trampoline_kernelINS0_14default_configENS1_25transform_config_selectorIfLb1EEEZNS1_14transform_implILb1ES3_S5_PfS7_NS0_8identityIfEEEE10hipError_tT2_T3_mT4_P12ihipStream_tbEUlT_E_NS1_11comp_targetILNS1_3genE4ELNS1_11target_archE910ELNS1_3gpuE8ELNS1_3repE0EEENS1_30default_config_static_selectorELNS0_4arch9wavefront6targetE1EEEvT1_.num_named_barrier, 0
	.set _ZN7rocprim17ROCPRIM_400000_NS6detail17trampoline_kernelINS0_14default_configENS1_25transform_config_selectorIfLb1EEEZNS1_14transform_implILb1ES3_S5_PfS7_NS0_8identityIfEEEE10hipError_tT2_T3_mT4_P12ihipStream_tbEUlT_E_NS1_11comp_targetILNS1_3genE4ELNS1_11target_archE910ELNS1_3gpuE8ELNS1_3repE0EEENS1_30default_config_static_selectorELNS0_4arch9wavefront6targetE1EEEvT1_.private_seg_size, 0
	.set _ZN7rocprim17ROCPRIM_400000_NS6detail17trampoline_kernelINS0_14default_configENS1_25transform_config_selectorIfLb1EEEZNS1_14transform_implILb1ES3_S5_PfS7_NS0_8identityIfEEEE10hipError_tT2_T3_mT4_P12ihipStream_tbEUlT_E_NS1_11comp_targetILNS1_3genE4ELNS1_11target_archE910ELNS1_3gpuE8ELNS1_3repE0EEENS1_30default_config_static_selectorELNS0_4arch9wavefront6targetE1EEEvT1_.uses_vcc, 0
	.set _ZN7rocprim17ROCPRIM_400000_NS6detail17trampoline_kernelINS0_14default_configENS1_25transform_config_selectorIfLb1EEEZNS1_14transform_implILb1ES3_S5_PfS7_NS0_8identityIfEEEE10hipError_tT2_T3_mT4_P12ihipStream_tbEUlT_E_NS1_11comp_targetILNS1_3genE4ELNS1_11target_archE910ELNS1_3gpuE8ELNS1_3repE0EEENS1_30default_config_static_selectorELNS0_4arch9wavefront6targetE1EEEvT1_.uses_flat_scratch, 0
	.set _ZN7rocprim17ROCPRIM_400000_NS6detail17trampoline_kernelINS0_14default_configENS1_25transform_config_selectorIfLb1EEEZNS1_14transform_implILb1ES3_S5_PfS7_NS0_8identityIfEEEE10hipError_tT2_T3_mT4_P12ihipStream_tbEUlT_E_NS1_11comp_targetILNS1_3genE4ELNS1_11target_archE910ELNS1_3gpuE8ELNS1_3repE0EEENS1_30default_config_static_selectorELNS0_4arch9wavefront6targetE1EEEvT1_.has_dyn_sized_stack, 0
	.set _ZN7rocprim17ROCPRIM_400000_NS6detail17trampoline_kernelINS0_14default_configENS1_25transform_config_selectorIfLb1EEEZNS1_14transform_implILb1ES3_S5_PfS7_NS0_8identityIfEEEE10hipError_tT2_T3_mT4_P12ihipStream_tbEUlT_E_NS1_11comp_targetILNS1_3genE4ELNS1_11target_archE910ELNS1_3gpuE8ELNS1_3repE0EEENS1_30default_config_static_selectorELNS0_4arch9wavefront6targetE1EEEvT1_.has_recursion, 0
	.set _ZN7rocprim17ROCPRIM_400000_NS6detail17trampoline_kernelINS0_14default_configENS1_25transform_config_selectorIfLb1EEEZNS1_14transform_implILb1ES3_S5_PfS7_NS0_8identityIfEEEE10hipError_tT2_T3_mT4_P12ihipStream_tbEUlT_E_NS1_11comp_targetILNS1_3genE4ELNS1_11target_archE910ELNS1_3gpuE8ELNS1_3repE0EEENS1_30default_config_static_selectorELNS0_4arch9wavefront6targetE1EEEvT1_.has_indirect_call, 0
	.section	.AMDGPU.csdata,"",@progbits
; Kernel info:
; codeLenInByte = 0
; TotalNumSgprs: 4
; NumVgprs: 0
; ScratchSize: 0
; MemoryBound: 0
; FloatMode: 240
; IeeeMode: 1
; LDSByteSize: 0 bytes/workgroup (compile time only)
; SGPRBlocks: 0
; VGPRBlocks: 0
; NumSGPRsForWavesPerEU: 4
; NumVGPRsForWavesPerEU: 1
; Occupancy: 10
; WaveLimiterHint : 0
; COMPUTE_PGM_RSRC2:SCRATCH_EN: 0
; COMPUTE_PGM_RSRC2:USER_SGPR: 6
; COMPUTE_PGM_RSRC2:TRAP_HANDLER: 0
; COMPUTE_PGM_RSRC2:TGID_X_EN: 1
; COMPUTE_PGM_RSRC2:TGID_Y_EN: 0
; COMPUTE_PGM_RSRC2:TGID_Z_EN: 0
; COMPUTE_PGM_RSRC2:TIDIG_COMP_CNT: 0
	.section	.text._ZN7rocprim17ROCPRIM_400000_NS6detail17trampoline_kernelINS0_14default_configENS1_25transform_config_selectorIfLb1EEEZNS1_14transform_implILb1ES3_S5_PfS7_NS0_8identityIfEEEE10hipError_tT2_T3_mT4_P12ihipStream_tbEUlT_E_NS1_11comp_targetILNS1_3genE3ELNS1_11target_archE908ELNS1_3gpuE7ELNS1_3repE0EEENS1_30default_config_static_selectorELNS0_4arch9wavefront6targetE1EEEvT1_,"axG",@progbits,_ZN7rocprim17ROCPRIM_400000_NS6detail17trampoline_kernelINS0_14default_configENS1_25transform_config_selectorIfLb1EEEZNS1_14transform_implILb1ES3_S5_PfS7_NS0_8identityIfEEEE10hipError_tT2_T3_mT4_P12ihipStream_tbEUlT_E_NS1_11comp_targetILNS1_3genE3ELNS1_11target_archE908ELNS1_3gpuE7ELNS1_3repE0EEENS1_30default_config_static_selectorELNS0_4arch9wavefront6targetE1EEEvT1_,comdat
	.protected	_ZN7rocprim17ROCPRIM_400000_NS6detail17trampoline_kernelINS0_14default_configENS1_25transform_config_selectorIfLb1EEEZNS1_14transform_implILb1ES3_S5_PfS7_NS0_8identityIfEEEE10hipError_tT2_T3_mT4_P12ihipStream_tbEUlT_E_NS1_11comp_targetILNS1_3genE3ELNS1_11target_archE908ELNS1_3gpuE7ELNS1_3repE0EEENS1_30default_config_static_selectorELNS0_4arch9wavefront6targetE1EEEvT1_ ; -- Begin function _ZN7rocprim17ROCPRIM_400000_NS6detail17trampoline_kernelINS0_14default_configENS1_25transform_config_selectorIfLb1EEEZNS1_14transform_implILb1ES3_S5_PfS7_NS0_8identityIfEEEE10hipError_tT2_T3_mT4_P12ihipStream_tbEUlT_E_NS1_11comp_targetILNS1_3genE3ELNS1_11target_archE908ELNS1_3gpuE7ELNS1_3repE0EEENS1_30default_config_static_selectorELNS0_4arch9wavefront6targetE1EEEvT1_
	.globl	_ZN7rocprim17ROCPRIM_400000_NS6detail17trampoline_kernelINS0_14default_configENS1_25transform_config_selectorIfLb1EEEZNS1_14transform_implILb1ES3_S5_PfS7_NS0_8identityIfEEEE10hipError_tT2_T3_mT4_P12ihipStream_tbEUlT_E_NS1_11comp_targetILNS1_3genE3ELNS1_11target_archE908ELNS1_3gpuE7ELNS1_3repE0EEENS1_30default_config_static_selectorELNS0_4arch9wavefront6targetE1EEEvT1_
	.p2align	8
	.type	_ZN7rocprim17ROCPRIM_400000_NS6detail17trampoline_kernelINS0_14default_configENS1_25transform_config_selectorIfLb1EEEZNS1_14transform_implILb1ES3_S5_PfS7_NS0_8identityIfEEEE10hipError_tT2_T3_mT4_P12ihipStream_tbEUlT_E_NS1_11comp_targetILNS1_3genE3ELNS1_11target_archE908ELNS1_3gpuE7ELNS1_3repE0EEENS1_30default_config_static_selectorELNS0_4arch9wavefront6targetE1EEEvT1_,@function
_ZN7rocprim17ROCPRIM_400000_NS6detail17trampoline_kernelINS0_14default_configENS1_25transform_config_selectorIfLb1EEEZNS1_14transform_implILb1ES3_S5_PfS7_NS0_8identityIfEEEE10hipError_tT2_T3_mT4_P12ihipStream_tbEUlT_E_NS1_11comp_targetILNS1_3genE3ELNS1_11target_archE908ELNS1_3gpuE7ELNS1_3repE0EEENS1_30default_config_static_selectorELNS0_4arch9wavefront6targetE1EEEvT1_: ; @_ZN7rocprim17ROCPRIM_400000_NS6detail17trampoline_kernelINS0_14default_configENS1_25transform_config_selectorIfLb1EEEZNS1_14transform_implILb1ES3_S5_PfS7_NS0_8identityIfEEEE10hipError_tT2_T3_mT4_P12ihipStream_tbEUlT_E_NS1_11comp_targetILNS1_3genE3ELNS1_11target_archE908ELNS1_3gpuE7ELNS1_3repE0EEENS1_30default_config_static_selectorELNS0_4arch9wavefront6targetE1EEEvT1_
; %bb.0:
	.section	.rodata,"a",@progbits
	.p2align	6, 0x0
	.amdhsa_kernel _ZN7rocprim17ROCPRIM_400000_NS6detail17trampoline_kernelINS0_14default_configENS1_25transform_config_selectorIfLb1EEEZNS1_14transform_implILb1ES3_S5_PfS7_NS0_8identityIfEEEE10hipError_tT2_T3_mT4_P12ihipStream_tbEUlT_E_NS1_11comp_targetILNS1_3genE3ELNS1_11target_archE908ELNS1_3gpuE7ELNS1_3repE0EEENS1_30default_config_static_selectorELNS0_4arch9wavefront6targetE1EEEvT1_
		.amdhsa_group_segment_fixed_size 0
		.amdhsa_private_segment_fixed_size 0
		.amdhsa_kernarg_size 40
		.amdhsa_user_sgpr_count 6
		.amdhsa_user_sgpr_private_segment_buffer 1
		.amdhsa_user_sgpr_dispatch_ptr 0
		.amdhsa_user_sgpr_queue_ptr 0
		.amdhsa_user_sgpr_kernarg_segment_ptr 1
		.amdhsa_user_sgpr_dispatch_id 0
		.amdhsa_user_sgpr_flat_scratch_init 0
		.amdhsa_user_sgpr_private_segment_size 0
		.amdhsa_uses_dynamic_stack 0
		.amdhsa_system_sgpr_private_segment_wavefront_offset 0
		.amdhsa_system_sgpr_workgroup_id_x 1
		.amdhsa_system_sgpr_workgroup_id_y 0
		.amdhsa_system_sgpr_workgroup_id_z 0
		.amdhsa_system_sgpr_workgroup_info 0
		.amdhsa_system_vgpr_workitem_id 0
		.amdhsa_next_free_vgpr 1
		.amdhsa_next_free_sgpr 0
		.amdhsa_reserve_vcc 0
		.amdhsa_reserve_flat_scratch 0
		.amdhsa_float_round_mode_32 0
		.amdhsa_float_round_mode_16_64 0
		.amdhsa_float_denorm_mode_32 3
		.amdhsa_float_denorm_mode_16_64 3
		.amdhsa_dx10_clamp 1
		.amdhsa_ieee_mode 1
		.amdhsa_fp16_overflow 0
		.amdhsa_exception_fp_ieee_invalid_op 0
		.amdhsa_exception_fp_denorm_src 0
		.amdhsa_exception_fp_ieee_div_zero 0
		.amdhsa_exception_fp_ieee_overflow 0
		.amdhsa_exception_fp_ieee_underflow 0
		.amdhsa_exception_fp_ieee_inexact 0
		.amdhsa_exception_int_div_zero 0
	.end_amdhsa_kernel
	.section	.text._ZN7rocprim17ROCPRIM_400000_NS6detail17trampoline_kernelINS0_14default_configENS1_25transform_config_selectorIfLb1EEEZNS1_14transform_implILb1ES3_S5_PfS7_NS0_8identityIfEEEE10hipError_tT2_T3_mT4_P12ihipStream_tbEUlT_E_NS1_11comp_targetILNS1_3genE3ELNS1_11target_archE908ELNS1_3gpuE7ELNS1_3repE0EEENS1_30default_config_static_selectorELNS0_4arch9wavefront6targetE1EEEvT1_,"axG",@progbits,_ZN7rocprim17ROCPRIM_400000_NS6detail17trampoline_kernelINS0_14default_configENS1_25transform_config_selectorIfLb1EEEZNS1_14transform_implILb1ES3_S5_PfS7_NS0_8identityIfEEEE10hipError_tT2_T3_mT4_P12ihipStream_tbEUlT_E_NS1_11comp_targetILNS1_3genE3ELNS1_11target_archE908ELNS1_3gpuE7ELNS1_3repE0EEENS1_30default_config_static_selectorELNS0_4arch9wavefront6targetE1EEEvT1_,comdat
.Lfunc_end1812:
	.size	_ZN7rocprim17ROCPRIM_400000_NS6detail17trampoline_kernelINS0_14default_configENS1_25transform_config_selectorIfLb1EEEZNS1_14transform_implILb1ES3_S5_PfS7_NS0_8identityIfEEEE10hipError_tT2_T3_mT4_P12ihipStream_tbEUlT_E_NS1_11comp_targetILNS1_3genE3ELNS1_11target_archE908ELNS1_3gpuE7ELNS1_3repE0EEENS1_30default_config_static_selectorELNS0_4arch9wavefront6targetE1EEEvT1_, .Lfunc_end1812-_ZN7rocprim17ROCPRIM_400000_NS6detail17trampoline_kernelINS0_14default_configENS1_25transform_config_selectorIfLb1EEEZNS1_14transform_implILb1ES3_S5_PfS7_NS0_8identityIfEEEE10hipError_tT2_T3_mT4_P12ihipStream_tbEUlT_E_NS1_11comp_targetILNS1_3genE3ELNS1_11target_archE908ELNS1_3gpuE7ELNS1_3repE0EEENS1_30default_config_static_selectorELNS0_4arch9wavefront6targetE1EEEvT1_
                                        ; -- End function
	.set _ZN7rocprim17ROCPRIM_400000_NS6detail17trampoline_kernelINS0_14default_configENS1_25transform_config_selectorIfLb1EEEZNS1_14transform_implILb1ES3_S5_PfS7_NS0_8identityIfEEEE10hipError_tT2_T3_mT4_P12ihipStream_tbEUlT_E_NS1_11comp_targetILNS1_3genE3ELNS1_11target_archE908ELNS1_3gpuE7ELNS1_3repE0EEENS1_30default_config_static_selectorELNS0_4arch9wavefront6targetE1EEEvT1_.num_vgpr, 0
	.set _ZN7rocprim17ROCPRIM_400000_NS6detail17trampoline_kernelINS0_14default_configENS1_25transform_config_selectorIfLb1EEEZNS1_14transform_implILb1ES3_S5_PfS7_NS0_8identityIfEEEE10hipError_tT2_T3_mT4_P12ihipStream_tbEUlT_E_NS1_11comp_targetILNS1_3genE3ELNS1_11target_archE908ELNS1_3gpuE7ELNS1_3repE0EEENS1_30default_config_static_selectorELNS0_4arch9wavefront6targetE1EEEvT1_.num_agpr, 0
	.set _ZN7rocprim17ROCPRIM_400000_NS6detail17trampoline_kernelINS0_14default_configENS1_25transform_config_selectorIfLb1EEEZNS1_14transform_implILb1ES3_S5_PfS7_NS0_8identityIfEEEE10hipError_tT2_T3_mT4_P12ihipStream_tbEUlT_E_NS1_11comp_targetILNS1_3genE3ELNS1_11target_archE908ELNS1_3gpuE7ELNS1_3repE0EEENS1_30default_config_static_selectorELNS0_4arch9wavefront6targetE1EEEvT1_.numbered_sgpr, 0
	.set _ZN7rocprim17ROCPRIM_400000_NS6detail17trampoline_kernelINS0_14default_configENS1_25transform_config_selectorIfLb1EEEZNS1_14transform_implILb1ES3_S5_PfS7_NS0_8identityIfEEEE10hipError_tT2_T3_mT4_P12ihipStream_tbEUlT_E_NS1_11comp_targetILNS1_3genE3ELNS1_11target_archE908ELNS1_3gpuE7ELNS1_3repE0EEENS1_30default_config_static_selectorELNS0_4arch9wavefront6targetE1EEEvT1_.num_named_barrier, 0
	.set _ZN7rocprim17ROCPRIM_400000_NS6detail17trampoline_kernelINS0_14default_configENS1_25transform_config_selectorIfLb1EEEZNS1_14transform_implILb1ES3_S5_PfS7_NS0_8identityIfEEEE10hipError_tT2_T3_mT4_P12ihipStream_tbEUlT_E_NS1_11comp_targetILNS1_3genE3ELNS1_11target_archE908ELNS1_3gpuE7ELNS1_3repE0EEENS1_30default_config_static_selectorELNS0_4arch9wavefront6targetE1EEEvT1_.private_seg_size, 0
	.set _ZN7rocprim17ROCPRIM_400000_NS6detail17trampoline_kernelINS0_14default_configENS1_25transform_config_selectorIfLb1EEEZNS1_14transform_implILb1ES3_S5_PfS7_NS0_8identityIfEEEE10hipError_tT2_T3_mT4_P12ihipStream_tbEUlT_E_NS1_11comp_targetILNS1_3genE3ELNS1_11target_archE908ELNS1_3gpuE7ELNS1_3repE0EEENS1_30default_config_static_selectorELNS0_4arch9wavefront6targetE1EEEvT1_.uses_vcc, 0
	.set _ZN7rocprim17ROCPRIM_400000_NS6detail17trampoline_kernelINS0_14default_configENS1_25transform_config_selectorIfLb1EEEZNS1_14transform_implILb1ES3_S5_PfS7_NS0_8identityIfEEEE10hipError_tT2_T3_mT4_P12ihipStream_tbEUlT_E_NS1_11comp_targetILNS1_3genE3ELNS1_11target_archE908ELNS1_3gpuE7ELNS1_3repE0EEENS1_30default_config_static_selectorELNS0_4arch9wavefront6targetE1EEEvT1_.uses_flat_scratch, 0
	.set _ZN7rocprim17ROCPRIM_400000_NS6detail17trampoline_kernelINS0_14default_configENS1_25transform_config_selectorIfLb1EEEZNS1_14transform_implILb1ES3_S5_PfS7_NS0_8identityIfEEEE10hipError_tT2_T3_mT4_P12ihipStream_tbEUlT_E_NS1_11comp_targetILNS1_3genE3ELNS1_11target_archE908ELNS1_3gpuE7ELNS1_3repE0EEENS1_30default_config_static_selectorELNS0_4arch9wavefront6targetE1EEEvT1_.has_dyn_sized_stack, 0
	.set _ZN7rocprim17ROCPRIM_400000_NS6detail17trampoline_kernelINS0_14default_configENS1_25transform_config_selectorIfLb1EEEZNS1_14transform_implILb1ES3_S5_PfS7_NS0_8identityIfEEEE10hipError_tT2_T3_mT4_P12ihipStream_tbEUlT_E_NS1_11comp_targetILNS1_3genE3ELNS1_11target_archE908ELNS1_3gpuE7ELNS1_3repE0EEENS1_30default_config_static_selectorELNS0_4arch9wavefront6targetE1EEEvT1_.has_recursion, 0
	.set _ZN7rocprim17ROCPRIM_400000_NS6detail17trampoline_kernelINS0_14default_configENS1_25transform_config_selectorIfLb1EEEZNS1_14transform_implILb1ES3_S5_PfS7_NS0_8identityIfEEEE10hipError_tT2_T3_mT4_P12ihipStream_tbEUlT_E_NS1_11comp_targetILNS1_3genE3ELNS1_11target_archE908ELNS1_3gpuE7ELNS1_3repE0EEENS1_30default_config_static_selectorELNS0_4arch9wavefront6targetE1EEEvT1_.has_indirect_call, 0
	.section	.AMDGPU.csdata,"",@progbits
; Kernel info:
; codeLenInByte = 0
; TotalNumSgprs: 4
; NumVgprs: 0
; ScratchSize: 0
; MemoryBound: 0
; FloatMode: 240
; IeeeMode: 1
; LDSByteSize: 0 bytes/workgroup (compile time only)
; SGPRBlocks: 0
; VGPRBlocks: 0
; NumSGPRsForWavesPerEU: 4
; NumVGPRsForWavesPerEU: 1
; Occupancy: 10
; WaveLimiterHint : 0
; COMPUTE_PGM_RSRC2:SCRATCH_EN: 0
; COMPUTE_PGM_RSRC2:USER_SGPR: 6
; COMPUTE_PGM_RSRC2:TRAP_HANDLER: 0
; COMPUTE_PGM_RSRC2:TGID_X_EN: 1
; COMPUTE_PGM_RSRC2:TGID_Y_EN: 0
; COMPUTE_PGM_RSRC2:TGID_Z_EN: 0
; COMPUTE_PGM_RSRC2:TIDIG_COMP_CNT: 0
	.section	.text._ZN7rocprim17ROCPRIM_400000_NS6detail17trampoline_kernelINS0_14default_configENS1_25transform_config_selectorIfLb1EEEZNS1_14transform_implILb1ES3_S5_PfS7_NS0_8identityIfEEEE10hipError_tT2_T3_mT4_P12ihipStream_tbEUlT_E_NS1_11comp_targetILNS1_3genE2ELNS1_11target_archE906ELNS1_3gpuE6ELNS1_3repE0EEENS1_30default_config_static_selectorELNS0_4arch9wavefront6targetE1EEEvT1_,"axG",@progbits,_ZN7rocprim17ROCPRIM_400000_NS6detail17trampoline_kernelINS0_14default_configENS1_25transform_config_selectorIfLb1EEEZNS1_14transform_implILb1ES3_S5_PfS7_NS0_8identityIfEEEE10hipError_tT2_T3_mT4_P12ihipStream_tbEUlT_E_NS1_11comp_targetILNS1_3genE2ELNS1_11target_archE906ELNS1_3gpuE6ELNS1_3repE0EEENS1_30default_config_static_selectorELNS0_4arch9wavefront6targetE1EEEvT1_,comdat
	.protected	_ZN7rocprim17ROCPRIM_400000_NS6detail17trampoline_kernelINS0_14default_configENS1_25transform_config_selectorIfLb1EEEZNS1_14transform_implILb1ES3_S5_PfS7_NS0_8identityIfEEEE10hipError_tT2_T3_mT4_P12ihipStream_tbEUlT_E_NS1_11comp_targetILNS1_3genE2ELNS1_11target_archE906ELNS1_3gpuE6ELNS1_3repE0EEENS1_30default_config_static_selectorELNS0_4arch9wavefront6targetE1EEEvT1_ ; -- Begin function _ZN7rocprim17ROCPRIM_400000_NS6detail17trampoline_kernelINS0_14default_configENS1_25transform_config_selectorIfLb1EEEZNS1_14transform_implILb1ES3_S5_PfS7_NS0_8identityIfEEEE10hipError_tT2_T3_mT4_P12ihipStream_tbEUlT_E_NS1_11comp_targetILNS1_3genE2ELNS1_11target_archE906ELNS1_3gpuE6ELNS1_3repE0EEENS1_30default_config_static_selectorELNS0_4arch9wavefront6targetE1EEEvT1_
	.globl	_ZN7rocprim17ROCPRIM_400000_NS6detail17trampoline_kernelINS0_14default_configENS1_25transform_config_selectorIfLb1EEEZNS1_14transform_implILb1ES3_S5_PfS7_NS0_8identityIfEEEE10hipError_tT2_T3_mT4_P12ihipStream_tbEUlT_E_NS1_11comp_targetILNS1_3genE2ELNS1_11target_archE906ELNS1_3gpuE6ELNS1_3repE0EEENS1_30default_config_static_selectorELNS0_4arch9wavefront6targetE1EEEvT1_
	.p2align	8
	.type	_ZN7rocprim17ROCPRIM_400000_NS6detail17trampoline_kernelINS0_14default_configENS1_25transform_config_selectorIfLb1EEEZNS1_14transform_implILb1ES3_S5_PfS7_NS0_8identityIfEEEE10hipError_tT2_T3_mT4_P12ihipStream_tbEUlT_E_NS1_11comp_targetILNS1_3genE2ELNS1_11target_archE906ELNS1_3gpuE6ELNS1_3repE0EEENS1_30default_config_static_selectorELNS0_4arch9wavefront6targetE1EEEvT1_,@function
_ZN7rocprim17ROCPRIM_400000_NS6detail17trampoline_kernelINS0_14default_configENS1_25transform_config_selectorIfLb1EEEZNS1_14transform_implILb1ES3_S5_PfS7_NS0_8identityIfEEEE10hipError_tT2_T3_mT4_P12ihipStream_tbEUlT_E_NS1_11comp_targetILNS1_3genE2ELNS1_11target_archE906ELNS1_3gpuE6ELNS1_3repE0EEENS1_30default_config_static_selectorELNS0_4arch9wavefront6targetE1EEEvT1_: ; @_ZN7rocprim17ROCPRIM_400000_NS6detail17trampoline_kernelINS0_14default_configENS1_25transform_config_selectorIfLb1EEEZNS1_14transform_implILb1ES3_S5_PfS7_NS0_8identityIfEEEE10hipError_tT2_T3_mT4_P12ihipStream_tbEUlT_E_NS1_11comp_targetILNS1_3genE2ELNS1_11target_archE906ELNS1_3gpuE6ELNS1_3repE0EEENS1_30default_config_static_selectorELNS0_4arch9wavefront6targetE1EEEvT1_
; %bb.0:
	s_load_dwordx8 s[8:15], s[4:5], 0x0
	s_load_dword s2, s[4:5], 0x28
	s_waitcnt lgkmcnt(0)
	s_lshl_b64 s[0:1], s[10:11], 2
	s_add_u32 s3, s8, s0
	s_addc_u32 s4, s9, s1
	s_add_u32 s13, s14, s0
	s_addc_u32 s14, s15, s1
	s_lshl_b32 s0, s6, 12
	s_mov_b32 s1, 0
	s_add_i32 s2, s2, -1
	s_lshl_b64 s[8:9], s[0:1], 2
	s_add_u32 s10, s3, s8
	s_addc_u32 s11, s4, s9
	s_cmp_lg_u32 s6, s2
	s_mov_b64 s[2:3], -1
	s_cbranch_scc0 .LBB1813_2
; %bb.1:
	v_lshlrev_b32_e32 v5, 4, v0
	global_load_dwordx4 v[1:4], v5, s[10:11]
	s_add_u32 s2, s13, s8
	s_addc_u32 s3, s14, s9
	s_waitcnt vmcnt(0)
	global_store_dwordx4 v5, v[1:4], s[2:3]
	s_mov_b64 s[2:3], 0
.LBB1813_2:
	s_andn2_b64 vcc, exec, s[2:3]
	s_cbranch_vccnz .LBB1813_16
; %bb.3:
	s_sub_i32 s6, s12, s0
	v_mov_b32_e32 v1, 0
	v_cmp_gt_u32_e32 vcc, s6, v0
	v_mov_b32_e32 v2, v1
	v_mov_b32_e32 v3, v1
	;; [unrolled: 1-line block ×3, first 2 shown]
	v_lshlrev_b32_e32 v5, 2, v0
	s_and_saveexec_b64 s[0:1], vcc
	s_cbranch_execz .LBB1813_5
; %bb.4:
	global_load_dword v6, v5, s[10:11]
	v_mov_b32_e32 v7, v1
	v_mov_b32_e32 v8, v1
	;; [unrolled: 1-line block ×3, first 2 shown]
	s_waitcnt vmcnt(0)
	v_mov_b32_e32 v1, v6
	v_mov_b32_e32 v2, v7
	;; [unrolled: 1-line block ×4, first 2 shown]
.LBB1813_5:
	s_or_b64 exec, exec, s[0:1]
	v_or_b32_e32 v6, 0x400, v0
	v_cmp_gt_u32_e64 s[4:5], s6, v6
	s_and_saveexec_b64 s[0:1], s[4:5]
	s_cbranch_execz .LBB1813_7
; %bb.6:
	v_lshlrev_b32_e32 v2, 2, v6
	global_load_dword v2, v2, s[10:11]
.LBB1813_7:
	s_or_b64 exec, exec, s[0:1]
	v_or_b32_e32 v6, 0x800, v0
	v_cmp_gt_u32_e64 s[0:1], s6, v6
	s_and_saveexec_b64 s[2:3], s[0:1]
	s_cbranch_execz .LBB1813_9
; %bb.8:
	v_lshlrev_b32_e32 v3, 2, v6
	global_load_dword v3, v3, s[10:11]
.LBB1813_9:
	;; [unrolled: 9-line block ×3, first 2 shown]
	s_or_b64 exec, exec, s[6:7]
	s_add_u32 s6, s13, s8
	s_addc_u32 s7, s14, s9
	v_cndmask_b32_e32 v6, 0, v1, vcc
	v_mov_b32_e32 v1, s7
	v_add_co_u32_e64 v0, s[6:7], s6, v5
	v_addc_co_u32_e64 v1, s[6:7], 0, v1, s[6:7]
	s_and_saveexec_b64 s[6:7], vcc
	s_cbranch_execnz .LBB1813_17
; %bb.12:
	s_or_b64 exec, exec, s[6:7]
	s_waitcnt vmcnt(0)
	v_cndmask_b32_e64 v2, 0, v2, s[4:5]
	s_and_saveexec_b64 s[6:7], s[4:5]
	s_cbranch_execnz .LBB1813_18
.LBB1813_13:
	s_or_b64 exec, exec, s[6:7]
	s_and_saveexec_b64 s[4:5], s[0:1]
	s_cbranch_execnz .LBB1813_19
.LBB1813_14:
	s_or_b64 exec, exec, s[4:5]
	s_and_saveexec_b64 s[0:1], s[2:3]
	s_cbranch_execz .LBB1813_16
.LBB1813_15:
	v_add_co_u32_e32 v0, vcc, 0x3000, v0
	v_cndmask_b32_e64 v2, 0, v4, s[2:3]
	v_addc_co_u32_e32 v1, vcc, 0, v1, vcc
	global_store_dword v[0:1], v2, off
.LBB1813_16:
	s_endpgm
.LBB1813_17:
	global_store_dword v[0:1], v6, off
	s_or_b64 exec, exec, s[6:7]
	s_waitcnt vmcnt(1)
	v_cndmask_b32_e64 v2, 0, v2, s[4:5]
	s_and_saveexec_b64 s[6:7], s[4:5]
	s_cbranch_execz .LBB1813_13
.LBB1813_18:
	v_add_co_u32_e32 v5, vcc, 0x1000, v0
	v_addc_co_u32_e32 v6, vcc, 0, v1, vcc
	global_store_dword v[5:6], v2, off
	s_or_b64 exec, exec, s[6:7]
	s_and_saveexec_b64 s[4:5], s[0:1]
	s_cbranch_execz .LBB1813_14
.LBB1813_19:
	v_add_co_u32_e32 v2, vcc, 0x2000, v0
	v_cndmask_b32_e64 v5, 0, v3, s[0:1]
	v_addc_co_u32_e32 v3, vcc, 0, v1, vcc
	global_store_dword v[2:3], v5, off
	s_or_b64 exec, exec, s[4:5]
	s_and_saveexec_b64 s[0:1], s[2:3]
	s_cbranch_execnz .LBB1813_15
	s_branch .LBB1813_16
	.section	.rodata,"a",@progbits
	.p2align	6, 0x0
	.amdhsa_kernel _ZN7rocprim17ROCPRIM_400000_NS6detail17trampoline_kernelINS0_14default_configENS1_25transform_config_selectorIfLb1EEEZNS1_14transform_implILb1ES3_S5_PfS7_NS0_8identityIfEEEE10hipError_tT2_T3_mT4_P12ihipStream_tbEUlT_E_NS1_11comp_targetILNS1_3genE2ELNS1_11target_archE906ELNS1_3gpuE6ELNS1_3repE0EEENS1_30default_config_static_selectorELNS0_4arch9wavefront6targetE1EEEvT1_
		.amdhsa_group_segment_fixed_size 0
		.amdhsa_private_segment_fixed_size 0
		.amdhsa_kernarg_size 296
		.amdhsa_user_sgpr_count 6
		.amdhsa_user_sgpr_private_segment_buffer 1
		.amdhsa_user_sgpr_dispatch_ptr 0
		.amdhsa_user_sgpr_queue_ptr 0
		.amdhsa_user_sgpr_kernarg_segment_ptr 1
		.amdhsa_user_sgpr_dispatch_id 0
		.amdhsa_user_sgpr_flat_scratch_init 0
		.amdhsa_user_sgpr_private_segment_size 0
		.amdhsa_uses_dynamic_stack 0
		.amdhsa_system_sgpr_private_segment_wavefront_offset 0
		.amdhsa_system_sgpr_workgroup_id_x 1
		.amdhsa_system_sgpr_workgroup_id_y 0
		.amdhsa_system_sgpr_workgroup_id_z 0
		.amdhsa_system_sgpr_workgroup_info 0
		.amdhsa_system_vgpr_workitem_id 0
		.amdhsa_next_free_vgpr 10
		.amdhsa_next_free_sgpr 16
		.amdhsa_reserve_vcc 1
		.amdhsa_reserve_flat_scratch 0
		.amdhsa_float_round_mode_32 0
		.amdhsa_float_round_mode_16_64 0
		.amdhsa_float_denorm_mode_32 3
		.amdhsa_float_denorm_mode_16_64 3
		.amdhsa_dx10_clamp 1
		.amdhsa_ieee_mode 1
		.amdhsa_fp16_overflow 0
		.amdhsa_exception_fp_ieee_invalid_op 0
		.amdhsa_exception_fp_denorm_src 0
		.amdhsa_exception_fp_ieee_div_zero 0
		.amdhsa_exception_fp_ieee_overflow 0
		.amdhsa_exception_fp_ieee_underflow 0
		.amdhsa_exception_fp_ieee_inexact 0
		.amdhsa_exception_int_div_zero 0
	.end_amdhsa_kernel
	.section	.text._ZN7rocprim17ROCPRIM_400000_NS6detail17trampoline_kernelINS0_14default_configENS1_25transform_config_selectorIfLb1EEEZNS1_14transform_implILb1ES3_S5_PfS7_NS0_8identityIfEEEE10hipError_tT2_T3_mT4_P12ihipStream_tbEUlT_E_NS1_11comp_targetILNS1_3genE2ELNS1_11target_archE906ELNS1_3gpuE6ELNS1_3repE0EEENS1_30default_config_static_selectorELNS0_4arch9wavefront6targetE1EEEvT1_,"axG",@progbits,_ZN7rocprim17ROCPRIM_400000_NS6detail17trampoline_kernelINS0_14default_configENS1_25transform_config_selectorIfLb1EEEZNS1_14transform_implILb1ES3_S5_PfS7_NS0_8identityIfEEEE10hipError_tT2_T3_mT4_P12ihipStream_tbEUlT_E_NS1_11comp_targetILNS1_3genE2ELNS1_11target_archE906ELNS1_3gpuE6ELNS1_3repE0EEENS1_30default_config_static_selectorELNS0_4arch9wavefront6targetE1EEEvT1_,comdat
.Lfunc_end1813:
	.size	_ZN7rocprim17ROCPRIM_400000_NS6detail17trampoline_kernelINS0_14default_configENS1_25transform_config_selectorIfLb1EEEZNS1_14transform_implILb1ES3_S5_PfS7_NS0_8identityIfEEEE10hipError_tT2_T3_mT4_P12ihipStream_tbEUlT_E_NS1_11comp_targetILNS1_3genE2ELNS1_11target_archE906ELNS1_3gpuE6ELNS1_3repE0EEENS1_30default_config_static_selectorELNS0_4arch9wavefront6targetE1EEEvT1_, .Lfunc_end1813-_ZN7rocprim17ROCPRIM_400000_NS6detail17trampoline_kernelINS0_14default_configENS1_25transform_config_selectorIfLb1EEEZNS1_14transform_implILb1ES3_S5_PfS7_NS0_8identityIfEEEE10hipError_tT2_T3_mT4_P12ihipStream_tbEUlT_E_NS1_11comp_targetILNS1_3genE2ELNS1_11target_archE906ELNS1_3gpuE6ELNS1_3repE0EEENS1_30default_config_static_selectorELNS0_4arch9wavefront6targetE1EEEvT1_
                                        ; -- End function
	.set _ZN7rocprim17ROCPRIM_400000_NS6detail17trampoline_kernelINS0_14default_configENS1_25transform_config_selectorIfLb1EEEZNS1_14transform_implILb1ES3_S5_PfS7_NS0_8identityIfEEEE10hipError_tT2_T3_mT4_P12ihipStream_tbEUlT_E_NS1_11comp_targetILNS1_3genE2ELNS1_11target_archE906ELNS1_3gpuE6ELNS1_3repE0EEENS1_30default_config_static_selectorELNS0_4arch9wavefront6targetE1EEEvT1_.num_vgpr, 10
	.set _ZN7rocprim17ROCPRIM_400000_NS6detail17trampoline_kernelINS0_14default_configENS1_25transform_config_selectorIfLb1EEEZNS1_14transform_implILb1ES3_S5_PfS7_NS0_8identityIfEEEE10hipError_tT2_T3_mT4_P12ihipStream_tbEUlT_E_NS1_11comp_targetILNS1_3genE2ELNS1_11target_archE906ELNS1_3gpuE6ELNS1_3repE0EEENS1_30default_config_static_selectorELNS0_4arch9wavefront6targetE1EEEvT1_.num_agpr, 0
	.set _ZN7rocprim17ROCPRIM_400000_NS6detail17trampoline_kernelINS0_14default_configENS1_25transform_config_selectorIfLb1EEEZNS1_14transform_implILb1ES3_S5_PfS7_NS0_8identityIfEEEE10hipError_tT2_T3_mT4_P12ihipStream_tbEUlT_E_NS1_11comp_targetILNS1_3genE2ELNS1_11target_archE906ELNS1_3gpuE6ELNS1_3repE0EEENS1_30default_config_static_selectorELNS0_4arch9wavefront6targetE1EEEvT1_.numbered_sgpr, 16
	.set _ZN7rocprim17ROCPRIM_400000_NS6detail17trampoline_kernelINS0_14default_configENS1_25transform_config_selectorIfLb1EEEZNS1_14transform_implILb1ES3_S5_PfS7_NS0_8identityIfEEEE10hipError_tT2_T3_mT4_P12ihipStream_tbEUlT_E_NS1_11comp_targetILNS1_3genE2ELNS1_11target_archE906ELNS1_3gpuE6ELNS1_3repE0EEENS1_30default_config_static_selectorELNS0_4arch9wavefront6targetE1EEEvT1_.num_named_barrier, 0
	.set _ZN7rocprim17ROCPRIM_400000_NS6detail17trampoline_kernelINS0_14default_configENS1_25transform_config_selectorIfLb1EEEZNS1_14transform_implILb1ES3_S5_PfS7_NS0_8identityIfEEEE10hipError_tT2_T3_mT4_P12ihipStream_tbEUlT_E_NS1_11comp_targetILNS1_3genE2ELNS1_11target_archE906ELNS1_3gpuE6ELNS1_3repE0EEENS1_30default_config_static_selectorELNS0_4arch9wavefront6targetE1EEEvT1_.private_seg_size, 0
	.set _ZN7rocprim17ROCPRIM_400000_NS6detail17trampoline_kernelINS0_14default_configENS1_25transform_config_selectorIfLb1EEEZNS1_14transform_implILb1ES3_S5_PfS7_NS0_8identityIfEEEE10hipError_tT2_T3_mT4_P12ihipStream_tbEUlT_E_NS1_11comp_targetILNS1_3genE2ELNS1_11target_archE906ELNS1_3gpuE6ELNS1_3repE0EEENS1_30default_config_static_selectorELNS0_4arch9wavefront6targetE1EEEvT1_.uses_vcc, 1
	.set _ZN7rocprim17ROCPRIM_400000_NS6detail17trampoline_kernelINS0_14default_configENS1_25transform_config_selectorIfLb1EEEZNS1_14transform_implILb1ES3_S5_PfS7_NS0_8identityIfEEEE10hipError_tT2_T3_mT4_P12ihipStream_tbEUlT_E_NS1_11comp_targetILNS1_3genE2ELNS1_11target_archE906ELNS1_3gpuE6ELNS1_3repE0EEENS1_30default_config_static_selectorELNS0_4arch9wavefront6targetE1EEEvT1_.uses_flat_scratch, 0
	.set _ZN7rocprim17ROCPRIM_400000_NS6detail17trampoline_kernelINS0_14default_configENS1_25transform_config_selectorIfLb1EEEZNS1_14transform_implILb1ES3_S5_PfS7_NS0_8identityIfEEEE10hipError_tT2_T3_mT4_P12ihipStream_tbEUlT_E_NS1_11comp_targetILNS1_3genE2ELNS1_11target_archE906ELNS1_3gpuE6ELNS1_3repE0EEENS1_30default_config_static_selectorELNS0_4arch9wavefront6targetE1EEEvT1_.has_dyn_sized_stack, 0
	.set _ZN7rocprim17ROCPRIM_400000_NS6detail17trampoline_kernelINS0_14default_configENS1_25transform_config_selectorIfLb1EEEZNS1_14transform_implILb1ES3_S5_PfS7_NS0_8identityIfEEEE10hipError_tT2_T3_mT4_P12ihipStream_tbEUlT_E_NS1_11comp_targetILNS1_3genE2ELNS1_11target_archE906ELNS1_3gpuE6ELNS1_3repE0EEENS1_30default_config_static_selectorELNS0_4arch9wavefront6targetE1EEEvT1_.has_recursion, 0
	.set _ZN7rocprim17ROCPRIM_400000_NS6detail17trampoline_kernelINS0_14default_configENS1_25transform_config_selectorIfLb1EEEZNS1_14transform_implILb1ES3_S5_PfS7_NS0_8identityIfEEEE10hipError_tT2_T3_mT4_P12ihipStream_tbEUlT_E_NS1_11comp_targetILNS1_3genE2ELNS1_11target_archE906ELNS1_3gpuE6ELNS1_3repE0EEENS1_30default_config_static_selectorELNS0_4arch9wavefront6targetE1EEEvT1_.has_indirect_call, 0
	.section	.AMDGPU.csdata,"",@progbits
; Kernel info:
; codeLenInByte = 548
; TotalNumSgprs: 20
; NumVgprs: 10
; ScratchSize: 0
; MemoryBound: 1
; FloatMode: 240
; IeeeMode: 1
; LDSByteSize: 0 bytes/workgroup (compile time only)
; SGPRBlocks: 2
; VGPRBlocks: 2
; NumSGPRsForWavesPerEU: 20
; NumVGPRsForWavesPerEU: 10
; Occupancy: 10
; WaveLimiterHint : 0
; COMPUTE_PGM_RSRC2:SCRATCH_EN: 0
; COMPUTE_PGM_RSRC2:USER_SGPR: 6
; COMPUTE_PGM_RSRC2:TRAP_HANDLER: 0
; COMPUTE_PGM_RSRC2:TGID_X_EN: 1
; COMPUTE_PGM_RSRC2:TGID_Y_EN: 0
; COMPUTE_PGM_RSRC2:TGID_Z_EN: 0
; COMPUTE_PGM_RSRC2:TIDIG_COMP_CNT: 0
	.section	.text._ZN7rocprim17ROCPRIM_400000_NS6detail17trampoline_kernelINS0_14default_configENS1_25transform_config_selectorIfLb1EEEZNS1_14transform_implILb1ES3_S5_PfS7_NS0_8identityIfEEEE10hipError_tT2_T3_mT4_P12ihipStream_tbEUlT_E_NS1_11comp_targetILNS1_3genE9ELNS1_11target_archE1100ELNS1_3gpuE3ELNS1_3repE0EEENS1_30default_config_static_selectorELNS0_4arch9wavefront6targetE1EEEvT1_,"axG",@progbits,_ZN7rocprim17ROCPRIM_400000_NS6detail17trampoline_kernelINS0_14default_configENS1_25transform_config_selectorIfLb1EEEZNS1_14transform_implILb1ES3_S5_PfS7_NS0_8identityIfEEEE10hipError_tT2_T3_mT4_P12ihipStream_tbEUlT_E_NS1_11comp_targetILNS1_3genE9ELNS1_11target_archE1100ELNS1_3gpuE3ELNS1_3repE0EEENS1_30default_config_static_selectorELNS0_4arch9wavefront6targetE1EEEvT1_,comdat
	.protected	_ZN7rocprim17ROCPRIM_400000_NS6detail17trampoline_kernelINS0_14default_configENS1_25transform_config_selectorIfLb1EEEZNS1_14transform_implILb1ES3_S5_PfS7_NS0_8identityIfEEEE10hipError_tT2_T3_mT4_P12ihipStream_tbEUlT_E_NS1_11comp_targetILNS1_3genE9ELNS1_11target_archE1100ELNS1_3gpuE3ELNS1_3repE0EEENS1_30default_config_static_selectorELNS0_4arch9wavefront6targetE1EEEvT1_ ; -- Begin function _ZN7rocprim17ROCPRIM_400000_NS6detail17trampoline_kernelINS0_14default_configENS1_25transform_config_selectorIfLb1EEEZNS1_14transform_implILb1ES3_S5_PfS7_NS0_8identityIfEEEE10hipError_tT2_T3_mT4_P12ihipStream_tbEUlT_E_NS1_11comp_targetILNS1_3genE9ELNS1_11target_archE1100ELNS1_3gpuE3ELNS1_3repE0EEENS1_30default_config_static_selectorELNS0_4arch9wavefront6targetE1EEEvT1_
	.globl	_ZN7rocprim17ROCPRIM_400000_NS6detail17trampoline_kernelINS0_14default_configENS1_25transform_config_selectorIfLb1EEEZNS1_14transform_implILb1ES3_S5_PfS7_NS0_8identityIfEEEE10hipError_tT2_T3_mT4_P12ihipStream_tbEUlT_E_NS1_11comp_targetILNS1_3genE9ELNS1_11target_archE1100ELNS1_3gpuE3ELNS1_3repE0EEENS1_30default_config_static_selectorELNS0_4arch9wavefront6targetE1EEEvT1_
	.p2align	8
	.type	_ZN7rocprim17ROCPRIM_400000_NS6detail17trampoline_kernelINS0_14default_configENS1_25transform_config_selectorIfLb1EEEZNS1_14transform_implILb1ES3_S5_PfS7_NS0_8identityIfEEEE10hipError_tT2_T3_mT4_P12ihipStream_tbEUlT_E_NS1_11comp_targetILNS1_3genE9ELNS1_11target_archE1100ELNS1_3gpuE3ELNS1_3repE0EEENS1_30default_config_static_selectorELNS0_4arch9wavefront6targetE1EEEvT1_,@function
_ZN7rocprim17ROCPRIM_400000_NS6detail17trampoline_kernelINS0_14default_configENS1_25transform_config_selectorIfLb1EEEZNS1_14transform_implILb1ES3_S5_PfS7_NS0_8identityIfEEEE10hipError_tT2_T3_mT4_P12ihipStream_tbEUlT_E_NS1_11comp_targetILNS1_3genE9ELNS1_11target_archE1100ELNS1_3gpuE3ELNS1_3repE0EEENS1_30default_config_static_selectorELNS0_4arch9wavefront6targetE1EEEvT1_: ; @_ZN7rocprim17ROCPRIM_400000_NS6detail17trampoline_kernelINS0_14default_configENS1_25transform_config_selectorIfLb1EEEZNS1_14transform_implILb1ES3_S5_PfS7_NS0_8identityIfEEEE10hipError_tT2_T3_mT4_P12ihipStream_tbEUlT_E_NS1_11comp_targetILNS1_3genE9ELNS1_11target_archE1100ELNS1_3gpuE3ELNS1_3repE0EEENS1_30default_config_static_selectorELNS0_4arch9wavefront6targetE1EEEvT1_
; %bb.0:
	.section	.rodata,"a",@progbits
	.p2align	6, 0x0
	.amdhsa_kernel _ZN7rocprim17ROCPRIM_400000_NS6detail17trampoline_kernelINS0_14default_configENS1_25transform_config_selectorIfLb1EEEZNS1_14transform_implILb1ES3_S5_PfS7_NS0_8identityIfEEEE10hipError_tT2_T3_mT4_P12ihipStream_tbEUlT_E_NS1_11comp_targetILNS1_3genE9ELNS1_11target_archE1100ELNS1_3gpuE3ELNS1_3repE0EEENS1_30default_config_static_selectorELNS0_4arch9wavefront6targetE1EEEvT1_
		.amdhsa_group_segment_fixed_size 0
		.amdhsa_private_segment_fixed_size 0
		.amdhsa_kernarg_size 40
		.amdhsa_user_sgpr_count 6
		.amdhsa_user_sgpr_private_segment_buffer 1
		.amdhsa_user_sgpr_dispatch_ptr 0
		.amdhsa_user_sgpr_queue_ptr 0
		.amdhsa_user_sgpr_kernarg_segment_ptr 1
		.amdhsa_user_sgpr_dispatch_id 0
		.amdhsa_user_sgpr_flat_scratch_init 0
		.amdhsa_user_sgpr_private_segment_size 0
		.amdhsa_uses_dynamic_stack 0
		.amdhsa_system_sgpr_private_segment_wavefront_offset 0
		.amdhsa_system_sgpr_workgroup_id_x 1
		.amdhsa_system_sgpr_workgroup_id_y 0
		.amdhsa_system_sgpr_workgroup_id_z 0
		.amdhsa_system_sgpr_workgroup_info 0
		.amdhsa_system_vgpr_workitem_id 0
		.amdhsa_next_free_vgpr 1
		.amdhsa_next_free_sgpr 0
		.amdhsa_reserve_vcc 0
		.amdhsa_reserve_flat_scratch 0
		.amdhsa_float_round_mode_32 0
		.amdhsa_float_round_mode_16_64 0
		.amdhsa_float_denorm_mode_32 3
		.amdhsa_float_denorm_mode_16_64 3
		.amdhsa_dx10_clamp 1
		.amdhsa_ieee_mode 1
		.amdhsa_fp16_overflow 0
		.amdhsa_exception_fp_ieee_invalid_op 0
		.amdhsa_exception_fp_denorm_src 0
		.amdhsa_exception_fp_ieee_div_zero 0
		.amdhsa_exception_fp_ieee_overflow 0
		.amdhsa_exception_fp_ieee_underflow 0
		.amdhsa_exception_fp_ieee_inexact 0
		.amdhsa_exception_int_div_zero 0
	.end_amdhsa_kernel
	.section	.text._ZN7rocprim17ROCPRIM_400000_NS6detail17trampoline_kernelINS0_14default_configENS1_25transform_config_selectorIfLb1EEEZNS1_14transform_implILb1ES3_S5_PfS7_NS0_8identityIfEEEE10hipError_tT2_T3_mT4_P12ihipStream_tbEUlT_E_NS1_11comp_targetILNS1_3genE9ELNS1_11target_archE1100ELNS1_3gpuE3ELNS1_3repE0EEENS1_30default_config_static_selectorELNS0_4arch9wavefront6targetE1EEEvT1_,"axG",@progbits,_ZN7rocprim17ROCPRIM_400000_NS6detail17trampoline_kernelINS0_14default_configENS1_25transform_config_selectorIfLb1EEEZNS1_14transform_implILb1ES3_S5_PfS7_NS0_8identityIfEEEE10hipError_tT2_T3_mT4_P12ihipStream_tbEUlT_E_NS1_11comp_targetILNS1_3genE9ELNS1_11target_archE1100ELNS1_3gpuE3ELNS1_3repE0EEENS1_30default_config_static_selectorELNS0_4arch9wavefront6targetE1EEEvT1_,comdat
.Lfunc_end1814:
	.size	_ZN7rocprim17ROCPRIM_400000_NS6detail17trampoline_kernelINS0_14default_configENS1_25transform_config_selectorIfLb1EEEZNS1_14transform_implILb1ES3_S5_PfS7_NS0_8identityIfEEEE10hipError_tT2_T3_mT4_P12ihipStream_tbEUlT_E_NS1_11comp_targetILNS1_3genE9ELNS1_11target_archE1100ELNS1_3gpuE3ELNS1_3repE0EEENS1_30default_config_static_selectorELNS0_4arch9wavefront6targetE1EEEvT1_, .Lfunc_end1814-_ZN7rocprim17ROCPRIM_400000_NS6detail17trampoline_kernelINS0_14default_configENS1_25transform_config_selectorIfLb1EEEZNS1_14transform_implILb1ES3_S5_PfS7_NS0_8identityIfEEEE10hipError_tT2_T3_mT4_P12ihipStream_tbEUlT_E_NS1_11comp_targetILNS1_3genE9ELNS1_11target_archE1100ELNS1_3gpuE3ELNS1_3repE0EEENS1_30default_config_static_selectorELNS0_4arch9wavefront6targetE1EEEvT1_
                                        ; -- End function
	.set _ZN7rocprim17ROCPRIM_400000_NS6detail17trampoline_kernelINS0_14default_configENS1_25transform_config_selectorIfLb1EEEZNS1_14transform_implILb1ES3_S5_PfS7_NS0_8identityIfEEEE10hipError_tT2_T3_mT4_P12ihipStream_tbEUlT_E_NS1_11comp_targetILNS1_3genE9ELNS1_11target_archE1100ELNS1_3gpuE3ELNS1_3repE0EEENS1_30default_config_static_selectorELNS0_4arch9wavefront6targetE1EEEvT1_.num_vgpr, 0
	.set _ZN7rocprim17ROCPRIM_400000_NS6detail17trampoline_kernelINS0_14default_configENS1_25transform_config_selectorIfLb1EEEZNS1_14transform_implILb1ES3_S5_PfS7_NS0_8identityIfEEEE10hipError_tT2_T3_mT4_P12ihipStream_tbEUlT_E_NS1_11comp_targetILNS1_3genE9ELNS1_11target_archE1100ELNS1_3gpuE3ELNS1_3repE0EEENS1_30default_config_static_selectorELNS0_4arch9wavefront6targetE1EEEvT1_.num_agpr, 0
	.set _ZN7rocprim17ROCPRIM_400000_NS6detail17trampoline_kernelINS0_14default_configENS1_25transform_config_selectorIfLb1EEEZNS1_14transform_implILb1ES3_S5_PfS7_NS0_8identityIfEEEE10hipError_tT2_T3_mT4_P12ihipStream_tbEUlT_E_NS1_11comp_targetILNS1_3genE9ELNS1_11target_archE1100ELNS1_3gpuE3ELNS1_3repE0EEENS1_30default_config_static_selectorELNS0_4arch9wavefront6targetE1EEEvT1_.numbered_sgpr, 0
	.set _ZN7rocprim17ROCPRIM_400000_NS6detail17trampoline_kernelINS0_14default_configENS1_25transform_config_selectorIfLb1EEEZNS1_14transform_implILb1ES3_S5_PfS7_NS0_8identityIfEEEE10hipError_tT2_T3_mT4_P12ihipStream_tbEUlT_E_NS1_11comp_targetILNS1_3genE9ELNS1_11target_archE1100ELNS1_3gpuE3ELNS1_3repE0EEENS1_30default_config_static_selectorELNS0_4arch9wavefront6targetE1EEEvT1_.num_named_barrier, 0
	.set _ZN7rocprim17ROCPRIM_400000_NS6detail17trampoline_kernelINS0_14default_configENS1_25transform_config_selectorIfLb1EEEZNS1_14transform_implILb1ES3_S5_PfS7_NS0_8identityIfEEEE10hipError_tT2_T3_mT4_P12ihipStream_tbEUlT_E_NS1_11comp_targetILNS1_3genE9ELNS1_11target_archE1100ELNS1_3gpuE3ELNS1_3repE0EEENS1_30default_config_static_selectorELNS0_4arch9wavefront6targetE1EEEvT1_.private_seg_size, 0
	.set _ZN7rocprim17ROCPRIM_400000_NS6detail17trampoline_kernelINS0_14default_configENS1_25transform_config_selectorIfLb1EEEZNS1_14transform_implILb1ES3_S5_PfS7_NS0_8identityIfEEEE10hipError_tT2_T3_mT4_P12ihipStream_tbEUlT_E_NS1_11comp_targetILNS1_3genE9ELNS1_11target_archE1100ELNS1_3gpuE3ELNS1_3repE0EEENS1_30default_config_static_selectorELNS0_4arch9wavefront6targetE1EEEvT1_.uses_vcc, 0
	.set _ZN7rocprim17ROCPRIM_400000_NS6detail17trampoline_kernelINS0_14default_configENS1_25transform_config_selectorIfLb1EEEZNS1_14transform_implILb1ES3_S5_PfS7_NS0_8identityIfEEEE10hipError_tT2_T3_mT4_P12ihipStream_tbEUlT_E_NS1_11comp_targetILNS1_3genE9ELNS1_11target_archE1100ELNS1_3gpuE3ELNS1_3repE0EEENS1_30default_config_static_selectorELNS0_4arch9wavefront6targetE1EEEvT1_.uses_flat_scratch, 0
	.set _ZN7rocprim17ROCPRIM_400000_NS6detail17trampoline_kernelINS0_14default_configENS1_25transform_config_selectorIfLb1EEEZNS1_14transform_implILb1ES3_S5_PfS7_NS0_8identityIfEEEE10hipError_tT2_T3_mT4_P12ihipStream_tbEUlT_E_NS1_11comp_targetILNS1_3genE9ELNS1_11target_archE1100ELNS1_3gpuE3ELNS1_3repE0EEENS1_30default_config_static_selectorELNS0_4arch9wavefront6targetE1EEEvT1_.has_dyn_sized_stack, 0
	.set _ZN7rocprim17ROCPRIM_400000_NS6detail17trampoline_kernelINS0_14default_configENS1_25transform_config_selectorIfLb1EEEZNS1_14transform_implILb1ES3_S5_PfS7_NS0_8identityIfEEEE10hipError_tT2_T3_mT4_P12ihipStream_tbEUlT_E_NS1_11comp_targetILNS1_3genE9ELNS1_11target_archE1100ELNS1_3gpuE3ELNS1_3repE0EEENS1_30default_config_static_selectorELNS0_4arch9wavefront6targetE1EEEvT1_.has_recursion, 0
	.set _ZN7rocprim17ROCPRIM_400000_NS6detail17trampoline_kernelINS0_14default_configENS1_25transform_config_selectorIfLb1EEEZNS1_14transform_implILb1ES3_S5_PfS7_NS0_8identityIfEEEE10hipError_tT2_T3_mT4_P12ihipStream_tbEUlT_E_NS1_11comp_targetILNS1_3genE9ELNS1_11target_archE1100ELNS1_3gpuE3ELNS1_3repE0EEENS1_30default_config_static_selectorELNS0_4arch9wavefront6targetE1EEEvT1_.has_indirect_call, 0
	.section	.AMDGPU.csdata,"",@progbits
; Kernel info:
; codeLenInByte = 0
; TotalNumSgprs: 4
; NumVgprs: 0
; ScratchSize: 0
; MemoryBound: 0
; FloatMode: 240
; IeeeMode: 1
; LDSByteSize: 0 bytes/workgroup (compile time only)
; SGPRBlocks: 0
; VGPRBlocks: 0
; NumSGPRsForWavesPerEU: 4
; NumVGPRsForWavesPerEU: 1
; Occupancy: 10
; WaveLimiterHint : 0
; COMPUTE_PGM_RSRC2:SCRATCH_EN: 0
; COMPUTE_PGM_RSRC2:USER_SGPR: 6
; COMPUTE_PGM_RSRC2:TRAP_HANDLER: 0
; COMPUTE_PGM_RSRC2:TGID_X_EN: 1
; COMPUTE_PGM_RSRC2:TGID_Y_EN: 0
; COMPUTE_PGM_RSRC2:TGID_Z_EN: 0
; COMPUTE_PGM_RSRC2:TIDIG_COMP_CNT: 0
	.section	.text._ZN7rocprim17ROCPRIM_400000_NS6detail17trampoline_kernelINS0_14default_configENS1_25transform_config_selectorIfLb1EEEZNS1_14transform_implILb1ES3_S5_PfS7_NS0_8identityIfEEEE10hipError_tT2_T3_mT4_P12ihipStream_tbEUlT_E_NS1_11comp_targetILNS1_3genE8ELNS1_11target_archE1030ELNS1_3gpuE2ELNS1_3repE0EEENS1_30default_config_static_selectorELNS0_4arch9wavefront6targetE1EEEvT1_,"axG",@progbits,_ZN7rocprim17ROCPRIM_400000_NS6detail17trampoline_kernelINS0_14default_configENS1_25transform_config_selectorIfLb1EEEZNS1_14transform_implILb1ES3_S5_PfS7_NS0_8identityIfEEEE10hipError_tT2_T3_mT4_P12ihipStream_tbEUlT_E_NS1_11comp_targetILNS1_3genE8ELNS1_11target_archE1030ELNS1_3gpuE2ELNS1_3repE0EEENS1_30default_config_static_selectorELNS0_4arch9wavefront6targetE1EEEvT1_,comdat
	.protected	_ZN7rocprim17ROCPRIM_400000_NS6detail17trampoline_kernelINS0_14default_configENS1_25transform_config_selectorIfLb1EEEZNS1_14transform_implILb1ES3_S5_PfS7_NS0_8identityIfEEEE10hipError_tT2_T3_mT4_P12ihipStream_tbEUlT_E_NS1_11comp_targetILNS1_3genE8ELNS1_11target_archE1030ELNS1_3gpuE2ELNS1_3repE0EEENS1_30default_config_static_selectorELNS0_4arch9wavefront6targetE1EEEvT1_ ; -- Begin function _ZN7rocprim17ROCPRIM_400000_NS6detail17trampoline_kernelINS0_14default_configENS1_25transform_config_selectorIfLb1EEEZNS1_14transform_implILb1ES3_S5_PfS7_NS0_8identityIfEEEE10hipError_tT2_T3_mT4_P12ihipStream_tbEUlT_E_NS1_11comp_targetILNS1_3genE8ELNS1_11target_archE1030ELNS1_3gpuE2ELNS1_3repE0EEENS1_30default_config_static_selectorELNS0_4arch9wavefront6targetE1EEEvT1_
	.globl	_ZN7rocprim17ROCPRIM_400000_NS6detail17trampoline_kernelINS0_14default_configENS1_25transform_config_selectorIfLb1EEEZNS1_14transform_implILb1ES3_S5_PfS7_NS0_8identityIfEEEE10hipError_tT2_T3_mT4_P12ihipStream_tbEUlT_E_NS1_11comp_targetILNS1_3genE8ELNS1_11target_archE1030ELNS1_3gpuE2ELNS1_3repE0EEENS1_30default_config_static_selectorELNS0_4arch9wavefront6targetE1EEEvT1_
	.p2align	8
	.type	_ZN7rocprim17ROCPRIM_400000_NS6detail17trampoline_kernelINS0_14default_configENS1_25transform_config_selectorIfLb1EEEZNS1_14transform_implILb1ES3_S5_PfS7_NS0_8identityIfEEEE10hipError_tT2_T3_mT4_P12ihipStream_tbEUlT_E_NS1_11comp_targetILNS1_3genE8ELNS1_11target_archE1030ELNS1_3gpuE2ELNS1_3repE0EEENS1_30default_config_static_selectorELNS0_4arch9wavefront6targetE1EEEvT1_,@function
_ZN7rocprim17ROCPRIM_400000_NS6detail17trampoline_kernelINS0_14default_configENS1_25transform_config_selectorIfLb1EEEZNS1_14transform_implILb1ES3_S5_PfS7_NS0_8identityIfEEEE10hipError_tT2_T3_mT4_P12ihipStream_tbEUlT_E_NS1_11comp_targetILNS1_3genE8ELNS1_11target_archE1030ELNS1_3gpuE2ELNS1_3repE0EEENS1_30default_config_static_selectorELNS0_4arch9wavefront6targetE1EEEvT1_: ; @_ZN7rocprim17ROCPRIM_400000_NS6detail17trampoline_kernelINS0_14default_configENS1_25transform_config_selectorIfLb1EEEZNS1_14transform_implILb1ES3_S5_PfS7_NS0_8identityIfEEEE10hipError_tT2_T3_mT4_P12ihipStream_tbEUlT_E_NS1_11comp_targetILNS1_3genE8ELNS1_11target_archE1030ELNS1_3gpuE2ELNS1_3repE0EEENS1_30default_config_static_selectorELNS0_4arch9wavefront6targetE1EEEvT1_
; %bb.0:
	.section	.rodata,"a",@progbits
	.p2align	6, 0x0
	.amdhsa_kernel _ZN7rocprim17ROCPRIM_400000_NS6detail17trampoline_kernelINS0_14default_configENS1_25transform_config_selectorIfLb1EEEZNS1_14transform_implILb1ES3_S5_PfS7_NS0_8identityIfEEEE10hipError_tT2_T3_mT4_P12ihipStream_tbEUlT_E_NS1_11comp_targetILNS1_3genE8ELNS1_11target_archE1030ELNS1_3gpuE2ELNS1_3repE0EEENS1_30default_config_static_selectorELNS0_4arch9wavefront6targetE1EEEvT1_
		.amdhsa_group_segment_fixed_size 0
		.amdhsa_private_segment_fixed_size 0
		.amdhsa_kernarg_size 40
		.amdhsa_user_sgpr_count 6
		.amdhsa_user_sgpr_private_segment_buffer 1
		.amdhsa_user_sgpr_dispatch_ptr 0
		.amdhsa_user_sgpr_queue_ptr 0
		.amdhsa_user_sgpr_kernarg_segment_ptr 1
		.amdhsa_user_sgpr_dispatch_id 0
		.amdhsa_user_sgpr_flat_scratch_init 0
		.amdhsa_user_sgpr_private_segment_size 0
		.amdhsa_uses_dynamic_stack 0
		.amdhsa_system_sgpr_private_segment_wavefront_offset 0
		.amdhsa_system_sgpr_workgroup_id_x 1
		.amdhsa_system_sgpr_workgroup_id_y 0
		.amdhsa_system_sgpr_workgroup_id_z 0
		.amdhsa_system_sgpr_workgroup_info 0
		.amdhsa_system_vgpr_workitem_id 0
		.amdhsa_next_free_vgpr 1
		.amdhsa_next_free_sgpr 0
		.amdhsa_reserve_vcc 0
		.amdhsa_reserve_flat_scratch 0
		.amdhsa_float_round_mode_32 0
		.amdhsa_float_round_mode_16_64 0
		.amdhsa_float_denorm_mode_32 3
		.amdhsa_float_denorm_mode_16_64 3
		.amdhsa_dx10_clamp 1
		.amdhsa_ieee_mode 1
		.amdhsa_fp16_overflow 0
		.amdhsa_exception_fp_ieee_invalid_op 0
		.amdhsa_exception_fp_denorm_src 0
		.amdhsa_exception_fp_ieee_div_zero 0
		.amdhsa_exception_fp_ieee_overflow 0
		.amdhsa_exception_fp_ieee_underflow 0
		.amdhsa_exception_fp_ieee_inexact 0
		.amdhsa_exception_int_div_zero 0
	.end_amdhsa_kernel
	.section	.text._ZN7rocprim17ROCPRIM_400000_NS6detail17trampoline_kernelINS0_14default_configENS1_25transform_config_selectorIfLb1EEEZNS1_14transform_implILb1ES3_S5_PfS7_NS0_8identityIfEEEE10hipError_tT2_T3_mT4_P12ihipStream_tbEUlT_E_NS1_11comp_targetILNS1_3genE8ELNS1_11target_archE1030ELNS1_3gpuE2ELNS1_3repE0EEENS1_30default_config_static_selectorELNS0_4arch9wavefront6targetE1EEEvT1_,"axG",@progbits,_ZN7rocprim17ROCPRIM_400000_NS6detail17trampoline_kernelINS0_14default_configENS1_25transform_config_selectorIfLb1EEEZNS1_14transform_implILb1ES3_S5_PfS7_NS0_8identityIfEEEE10hipError_tT2_T3_mT4_P12ihipStream_tbEUlT_E_NS1_11comp_targetILNS1_3genE8ELNS1_11target_archE1030ELNS1_3gpuE2ELNS1_3repE0EEENS1_30default_config_static_selectorELNS0_4arch9wavefront6targetE1EEEvT1_,comdat
.Lfunc_end1815:
	.size	_ZN7rocprim17ROCPRIM_400000_NS6detail17trampoline_kernelINS0_14default_configENS1_25transform_config_selectorIfLb1EEEZNS1_14transform_implILb1ES3_S5_PfS7_NS0_8identityIfEEEE10hipError_tT2_T3_mT4_P12ihipStream_tbEUlT_E_NS1_11comp_targetILNS1_3genE8ELNS1_11target_archE1030ELNS1_3gpuE2ELNS1_3repE0EEENS1_30default_config_static_selectorELNS0_4arch9wavefront6targetE1EEEvT1_, .Lfunc_end1815-_ZN7rocprim17ROCPRIM_400000_NS6detail17trampoline_kernelINS0_14default_configENS1_25transform_config_selectorIfLb1EEEZNS1_14transform_implILb1ES3_S5_PfS7_NS0_8identityIfEEEE10hipError_tT2_T3_mT4_P12ihipStream_tbEUlT_E_NS1_11comp_targetILNS1_3genE8ELNS1_11target_archE1030ELNS1_3gpuE2ELNS1_3repE0EEENS1_30default_config_static_selectorELNS0_4arch9wavefront6targetE1EEEvT1_
                                        ; -- End function
	.set _ZN7rocprim17ROCPRIM_400000_NS6detail17trampoline_kernelINS0_14default_configENS1_25transform_config_selectorIfLb1EEEZNS1_14transform_implILb1ES3_S5_PfS7_NS0_8identityIfEEEE10hipError_tT2_T3_mT4_P12ihipStream_tbEUlT_E_NS1_11comp_targetILNS1_3genE8ELNS1_11target_archE1030ELNS1_3gpuE2ELNS1_3repE0EEENS1_30default_config_static_selectorELNS0_4arch9wavefront6targetE1EEEvT1_.num_vgpr, 0
	.set _ZN7rocprim17ROCPRIM_400000_NS6detail17trampoline_kernelINS0_14default_configENS1_25transform_config_selectorIfLb1EEEZNS1_14transform_implILb1ES3_S5_PfS7_NS0_8identityIfEEEE10hipError_tT2_T3_mT4_P12ihipStream_tbEUlT_E_NS1_11comp_targetILNS1_3genE8ELNS1_11target_archE1030ELNS1_3gpuE2ELNS1_3repE0EEENS1_30default_config_static_selectorELNS0_4arch9wavefront6targetE1EEEvT1_.num_agpr, 0
	.set _ZN7rocprim17ROCPRIM_400000_NS6detail17trampoline_kernelINS0_14default_configENS1_25transform_config_selectorIfLb1EEEZNS1_14transform_implILb1ES3_S5_PfS7_NS0_8identityIfEEEE10hipError_tT2_T3_mT4_P12ihipStream_tbEUlT_E_NS1_11comp_targetILNS1_3genE8ELNS1_11target_archE1030ELNS1_3gpuE2ELNS1_3repE0EEENS1_30default_config_static_selectorELNS0_4arch9wavefront6targetE1EEEvT1_.numbered_sgpr, 0
	.set _ZN7rocprim17ROCPRIM_400000_NS6detail17trampoline_kernelINS0_14default_configENS1_25transform_config_selectorIfLb1EEEZNS1_14transform_implILb1ES3_S5_PfS7_NS0_8identityIfEEEE10hipError_tT2_T3_mT4_P12ihipStream_tbEUlT_E_NS1_11comp_targetILNS1_3genE8ELNS1_11target_archE1030ELNS1_3gpuE2ELNS1_3repE0EEENS1_30default_config_static_selectorELNS0_4arch9wavefront6targetE1EEEvT1_.num_named_barrier, 0
	.set _ZN7rocprim17ROCPRIM_400000_NS6detail17trampoline_kernelINS0_14default_configENS1_25transform_config_selectorIfLb1EEEZNS1_14transform_implILb1ES3_S5_PfS7_NS0_8identityIfEEEE10hipError_tT2_T3_mT4_P12ihipStream_tbEUlT_E_NS1_11comp_targetILNS1_3genE8ELNS1_11target_archE1030ELNS1_3gpuE2ELNS1_3repE0EEENS1_30default_config_static_selectorELNS0_4arch9wavefront6targetE1EEEvT1_.private_seg_size, 0
	.set _ZN7rocprim17ROCPRIM_400000_NS6detail17trampoline_kernelINS0_14default_configENS1_25transform_config_selectorIfLb1EEEZNS1_14transform_implILb1ES3_S5_PfS7_NS0_8identityIfEEEE10hipError_tT2_T3_mT4_P12ihipStream_tbEUlT_E_NS1_11comp_targetILNS1_3genE8ELNS1_11target_archE1030ELNS1_3gpuE2ELNS1_3repE0EEENS1_30default_config_static_selectorELNS0_4arch9wavefront6targetE1EEEvT1_.uses_vcc, 0
	.set _ZN7rocprim17ROCPRIM_400000_NS6detail17trampoline_kernelINS0_14default_configENS1_25transform_config_selectorIfLb1EEEZNS1_14transform_implILb1ES3_S5_PfS7_NS0_8identityIfEEEE10hipError_tT2_T3_mT4_P12ihipStream_tbEUlT_E_NS1_11comp_targetILNS1_3genE8ELNS1_11target_archE1030ELNS1_3gpuE2ELNS1_3repE0EEENS1_30default_config_static_selectorELNS0_4arch9wavefront6targetE1EEEvT1_.uses_flat_scratch, 0
	.set _ZN7rocprim17ROCPRIM_400000_NS6detail17trampoline_kernelINS0_14default_configENS1_25transform_config_selectorIfLb1EEEZNS1_14transform_implILb1ES3_S5_PfS7_NS0_8identityIfEEEE10hipError_tT2_T3_mT4_P12ihipStream_tbEUlT_E_NS1_11comp_targetILNS1_3genE8ELNS1_11target_archE1030ELNS1_3gpuE2ELNS1_3repE0EEENS1_30default_config_static_selectorELNS0_4arch9wavefront6targetE1EEEvT1_.has_dyn_sized_stack, 0
	.set _ZN7rocprim17ROCPRIM_400000_NS6detail17trampoline_kernelINS0_14default_configENS1_25transform_config_selectorIfLb1EEEZNS1_14transform_implILb1ES3_S5_PfS7_NS0_8identityIfEEEE10hipError_tT2_T3_mT4_P12ihipStream_tbEUlT_E_NS1_11comp_targetILNS1_3genE8ELNS1_11target_archE1030ELNS1_3gpuE2ELNS1_3repE0EEENS1_30default_config_static_selectorELNS0_4arch9wavefront6targetE1EEEvT1_.has_recursion, 0
	.set _ZN7rocprim17ROCPRIM_400000_NS6detail17trampoline_kernelINS0_14default_configENS1_25transform_config_selectorIfLb1EEEZNS1_14transform_implILb1ES3_S5_PfS7_NS0_8identityIfEEEE10hipError_tT2_T3_mT4_P12ihipStream_tbEUlT_E_NS1_11comp_targetILNS1_3genE8ELNS1_11target_archE1030ELNS1_3gpuE2ELNS1_3repE0EEENS1_30default_config_static_selectorELNS0_4arch9wavefront6targetE1EEEvT1_.has_indirect_call, 0
	.section	.AMDGPU.csdata,"",@progbits
; Kernel info:
; codeLenInByte = 0
; TotalNumSgprs: 4
; NumVgprs: 0
; ScratchSize: 0
; MemoryBound: 0
; FloatMode: 240
; IeeeMode: 1
; LDSByteSize: 0 bytes/workgroup (compile time only)
; SGPRBlocks: 0
; VGPRBlocks: 0
; NumSGPRsForWavesPerEU: 4
; NumVGPRsForWavesPerEU: 1
; Occupancy: 10
; WaveLimiterHint : 0
; COMPUTE_PGM_RSRC2:SCRATCH_EN: 0
; COMPUTE_PGM_RSRC2:USER_SGPR: 6
; COMPUTE_PGM_RSRC2:TRAP_HANDLER: 0
; COMPUTE_PGM_RSRC2:TGID_X_EN: 1
; COMPUTE_PGM_RSRC2:TGID_Y_EN: 0
; COMPUTE_PGM_RSRC2:TGID_Z_EN: 0
; COMPUTE_PGM_RSRC2:TIDIG_COMP_CNT: 0
	.section	.text._ZN7rocprim17ROCPRIM_400000_NS6detail17trampoline_kernelINS0_14default_configENS1_35radix_sort_onesweep_config_selectorIflEEZNS1_34radix_sort_onesweep_global_offsetsIS3_Lb0EPfN6thrust23THRUST_200600_302600_NS10device_ptrIlEEjNS0_19identity_decomposerEEE10hipError_tT1_T2_PT3_SG_jT4_jjP12ihipStream_tbEUlT_E_NS1_11comp_targetILNS1_3genE0ELNS1_11target_archE4294967295ELNS1_3gpuE0ELNS1_3repE0EEENS1_52radix_sort_onesweep_histogram_config_static_selectorELNS0_4arch9wavefront6targetE1EEEvSE_,"axG",@progbits,_ZN7rocprim17ROCPRIM_400000_NS6detail17trampoline_kernelINS0_14default_configENS1_35radix_sort_onesweep_config_selectorIflEEZNS1_34radix_sort_onesweep_global_offsetsIS3_Lb0EPfN6thrust23THRUST_200600_302600_NS10device_ptrIlEEjNS0_19identity_decomposerEEE10hipError_tT1_T2_PT3_SG_jT4_jjP12ihipStream_tbEUlT_E_NS1_11comp_targetILNS1_3genE0ELNS1_11target_archE4294967295ELNS1_3gpuE0ELNS1_3repE0EEENS1_52radix_sort_onesweep_histogram_config_static_selectorELNS0_4arch9wavefront6targetE1EEEvSE_,comdat
	.protected	_ZN7rocprim17ROCPRIM_400000_NS6detail17trampoline_kernelINS0_14default_configENS1_35radix_sort_onesweep_config_selectorIflEEZNS1_34radix_sort_onesweep_global_offsetsIS3_Lb0EPfN6thrust23THRUST_200600_302600_NS10device_ptrIlEEjNS0_19identity_decomposerEEE10hipError_tT1_T2_PT3_SG_jT4_jjP12ihipStream_tbEUlT_E_NS1_11comp_targetILNS1_3genE0ELNS1_11target_archE4294967295ELNS1_3gpuE0ELNS1_3repE0EEENS1_52radix_sort_onesweep_histogram_config_static_selectorELNS0_4arch9wavefront6targetE1EEEvSE_ ; -- Begin function _ZN7rocprim17ROCPRIM_400000_NS6detail17trampoline_kernelINS0_14default_configENS1_35radix_sort_onesweep_config_selectorIflEEZNS1_34radix_sort_onesweep_global_offsetsIS3_Lb0EPfN6thrust23THRUST_200600_302600_NS10device_ptrIlEEjNS0_19identity_decomposerEEE10hipError_tT1_T2_PT3_SG_jT4_jjP12ihipStream_tbEUlT_E_NS1_11comp_targetILNS1_3genE0ELNS1_11target_archE4294967295ELNS1_3gpuE0ELNS1_3repE0EEENS1_52radix_sort_onesweep_histogram_config_static_selectorELNS0_4arch9wavefront6targetE1EEEvSE_
	.globl	_ZN7rocprim17ROCPRIM_400000_NS6detail17trampoline_kernelINS0_14default_configENS1_35radix_sort_onesweep_config_selectorIflEEZNS1_34radix_sort_onesweep_global_offsetsIS3_Lb0EPfN6thrust23THRUST_200600_302600_NS10device_ptrIlEEjNS0_19identity_decomposerEEE10hipError_tT1_T2_PT3_SG_jT4_jjP12ihipStream_tbEUlT_E_NS1_11comp_targetILNS1_3genE0ELNS1_11target_archE4294967295ELNS1_3gpuE0ELNS1_3repE0EEENS1_52radix_sort_onesweep_histogram_config_static_selectorELNS0_4arch9wavefront6targetE1EEEvSE_
	.p2align	8
	.type	_ZN7rocprim17ROCPRIM_400000_NS6detail17trampoline_kernelINS0_14default_configENS1_35radix_sort_onesweep_config_selectorIflEEZNS1_34radix_sort_onesweep_global_offsetsIS3_Lb0EPfN6thrust23THRUST_200600_302600_NS10device_ptrIlEEjNS0_19identity_decomposerEEE10hipError_tT1_T2_PT3_SG_jT4_jjP12ihipStream_tbEUlT_E_NS1_11comp_targetILNS1_3genE0ELNS1_11target_archE4294967295ELNS1_3gpuE0ELNS1_3repE0EEENS1_52radix_sort_onesweep_histogram_config_static_selectorELNS0_4arch9wavefront6targetE1EEEvSE_,@function
_ZN7rocprim17ROCPRIM_400000_NS6detail17trampoline_kernelINS0_14default_configENS1_35radix_sort_onesweep_config_selectorIflEEZNS1_34radix_sort_onesweep_global_offsetsIS3_Lb0EPfN6thrust23THRUST_200600_302600_NS10device_ptrIlEEjNS0_19identity_decomposerEEE10hipError_tT1_T2_PT3_SG_jT4_jjP12ihipStream_tbEUlT_E_NS1_11comp_targetILNS1_3genE0ELNS1_11target_archE4294967295ELNS1_3gpuE0ELNS1_3repE0EEENS1_52radix_sort_onesweep_histogram_config_static_selectorELNS0_4arch9wavefront6targetE1EEEvSE_: ; @_ZN7rocprim17ROCPRIM_400000_NS6detail17trampoline_kernelINS0_14default_configENS1_35radix_sort_onesweep_config_selectorIflEEZNS1_34radix_sort_onesweep_global_offsetsIS3_Lb0EPfN6thrust23THRUST_200600_302600_NS10device_ptrIlEEjNS0_19identity_decomposerEEE10hipError_tT1_T2_PT3_SG_jT4_jjP12ihipStream_tbEUlT_E_NS1_11comp_targetILNS1_3genE0ELNS1_11target_archE4294967295ELNS1_3gpuE0ELNS1_3repE0EEENS1_52radix_sort_onesweep_histogram_config_static_selectorELNS0_4arch9wavefront6targetE1EEEvSE_
; %bb.0:
	.section	.rodata,"a",@progbits
	.p2align	6, 0x0
	.amdhsa_kernel _ZN7rocprim17ROCPRIM_400000_NS6detail17trampoline_kernelINS0_14default_configENS1_35radix_sort_onesweep_config_selectorIflEEZNS1_34radix_sort_onesweep_global_offsetsIS3_Lb0EPfN6thrust23THRUST_200600_302600_NS10device_ptrIlEEjNS0_19identity_decomposerEEE10hipError_tT1_T2_PT3_SG_jT4_jjP12ihipStream_tbEUlT_E_NS1_11comp_targetILNS1_3genE0ELNS1_11target_archE4294967295ELNS1_3gpuE0ELNS1_3repE0EEENS1_52radix_sort_onesweep_histogram_config_static_selectorELNS0_4arch9wavefront6targetE1EEEvSE_
		.amdhsa_group_segment_fixed_size 0
		.amdhsa_private_segment_fixed_size 0
		.amdhsa_kernarg_size 40
		.amdhsa_user_sgpr_count 6
		.amdhsa_user_sgpr_private_segment_buffer 1
		.amdhsa_user_sgpr_dispatch_ptr 0
		.amdhsa_user_sgpr_queue_ptr 0
		.amdhsa_user_sgpr_kernarg_segment_ptr 1
		.amdhsa_user_sgpr_dispatch_id 0
		.amdhsa_user_sgpr_flat_scratch_init 0
		.amdhsa_user_sgpr_private_segment_size 0
		.amdhsa_uses_dynamic_stack 0
		.amdhsa_system_sgpr_private_segment_wavefront_offset 0
		.amdhsa_system_sgpr_workgroup_id_x 1
		.amdhsa_system_sgpr_workgroup_id_y 0
		.amdhsa_system_sgpr_workgroup_id_z 0
		.amdhsa_system_sgpr_workgroup_info 0
		.amdhsa_system_vgpr_workitem_id 0
		.amdhsa_next_free_vgpr 1
		.amdhsa_next_free_sgpr 0
		.amdhsa_reserve_vcc 0
		.amdhsa_reserve_flat_scratch 0
		.amdhsa_float_round_mode_32 0
		.amdhsa_float_round_mode_16_64 0
		.amdhsa_float_denorm_mode_32 3
		.amdhsa_float_denorm_mode_16_64 3
		.amdhsa_dx10_clamp 1
		.amdhsa_ieee_mode 1
		.amdhsa_fp16_overflow 0
		.amdhsa_exception_fp_ieee_invalid_op 0
		.amdhsa_exception_fp_denorm_src 0
		.amdhsa_exception_fp_ieee_div_zero 0
		.amdhsa_exception_fp_ieee_overflow 0
		.amdhsa_exception_fp_ieee_underflow 0
		.amdhsa_exception_fp_ieee_inexact 0
		.amdhsa_exception_int_div_zero 0
	.end_amdhsa_kernel
	.section	.text._ZN7rocprim17ROCPRIM_400000_NS6detail17trampoline_kernelINS0_14default_configENS1_35radix_sort_onesweep_config_selectorIflEEZNS1_34radix_sort_onesweep_global_offsetsIS3_Lb0EPfN6thrust23THRUST_200600_302600_NS10device_ptrIlEEjNS0_19identity_decomposerEEE10hipError_tT1_T2_PT3_SG_jT4_jjP12ihipStream_tbEUlT_E_NS1_11comp_targetILNS1_3genE0ELNS1_11target_archE4294967295ELNS1_3gpuE0ELNS1_3repE0EEENS1_52radix_sort_onesweep_histogram_config_static_selectorELNS0_4arch9wavefront6targetE1EEEvSE_,"axG",@progbits,_ZN7rocprim17ROCPRIM_400000_NS6detail17trampoline_kernelINS0_14default_configENS1_35radix_sort_onesweep_config_selectorIflEEZNS1_34radix_sort_onesweep_global_offsetsIS3_Lb0EPfN6thrust23THRUST_200600_302600_NS10device_ptrIlEEjNS0_19identity_decomposerEEE10hipError_tT1_T2_PT3_SG_jT4_jjP12ihipStream_tbEUlT_E_NS1_11comp_targetILNS1_3genE0ELNS1_11target_archE4294967295ELNS1_3gpuE0ELNS1_3repE0EEENS1_52radix_sort_onesweep_histogram_config_static_selectorELNS0_4arch9wavefront6targetE1EEEvSE_,comdat
.Lfunc_end1816:
	.size	_ZN7rocprim17ROCPRIM_400000_NS6detail17trampoline_kernelINS0_14default_configENS1_35radix_sort_onesweep_config_selectorIflEEZNS1_34radix_sort_onesweep_global_offsetsIS3_Lb0EPfN6thrust23THRUST_200600_302600_NS10device_ptrIlEEjNS0_19identity_decomposerEEE10hipError_tT1_T2_PT3_SG_jT4_jjP12ihipStream_tbEUlT_E_NS1_11comp_targetILNS1_3genE0ELNS1_11target_archE4294967295ELNS1_3gpuE0ELNS1_3repE0EEENS1_52radix_sort_onesweep_histogram_config_static_selectorELNS0_4arch9wavefront6targetE1EEEvSE_, .Lfunc_end1816-_ZN7rocprim17ROCPRIM_400000_NS6detail17trampoline_kernelINS0_14default_configENS1_35radix_sort_onesweep_config_selectorIflEEZNS1_34radix_sort_onesweep_global_offsetsIS3_Lb0EPfN6thrust23THRUST_200600_302600_NS10device_ptrIlEEjNS0_19identity_decomposerEEE10hipError_tT1_T2_PT3_SG_jT4_jjP12ihipStream_tbEUlT_E_NS1_11comp_targetILNS1_3genE0ELNS1_11target_archE4294967295ELNS1_3gpuE0ELNS1_3repE0EEENS1_52radix_sort_onesweep_histogram_config_static_selectorELNS0_4arch9wavefront6targetE1EEEvSE_
                                        ; -- End function
	.set _ZN7rocprim17ROCPRIM_400000_NS6detail17trampoline_kernelINS0_14default_configENS1_35radix_sort_onesweep_config_selectorIflEEZNS1_34radix_sort_onesweep_global_offsetsIS3_Lb0EPfN6thrust23THRUST_200600_302600_NS10device_ptrIlEEjNS0_19identity_decomposerEEE10hipError_tT1_T2_PT3_SG_jT4_jjP12ihipStream_tbEUlT_E_NS1_11comp_targetILNS1_3genE0ELNS1_11target_archE4294967295ELNS1_3gpuE0ELNS1_3repE0EEENS1_52radix_sort_onesweep_histogram_config_static_selectorELNS0_4arch9wavefront6targetE1EEEvSE_.num_vgpr, 0
	.set _ZN7rocprim17ROCPRIM_400000_NS6detail17trampoline_kernelINS0_14default_configENS1_35radix_sort_onesweep_config_selectorIflEEZNS1_34radix_sort_onesweep_global_offsetsIS3_Lb0EPfN6thrust23THRUST_200600_302600_NS10device_ptrIlEEjNS0_19identity_decomposerEEE10hipError_tT1_T2_PT3_SG_jT4_jjP12ihipStream_tbEUlT_E_NS1_11comp_targetILNS1_3genE0ELNS1_11target_archE4294967295ELNS1_3gpuE0ELNS1_3repE0EEENS1_52radix_sort_onesweep_histogram_config_static_selectorELNS0_4arch9wavefront6targetE1EEEvSE_.num_agpr, 0
	.set _ZN7rocprim17ROCPRIM_400000_NS6detail17trampoline_kernelINS0_14default_configENS1_35radix_sort_onesweep_config_selectorIflEEZNS1_34radix_sort_onesweep_global_offsetsIS3_Lb0EPfN6thrust23THRUST_200600_302600_NS10device_ptrIlEEjNS0_19identity_decomposerEEE10hipError_tT1_T2_PT3_SG_jT4_jjP12ihipStream_tbEUlT_E_NS1_11comp_targetILNS1_3genE0ELNS1_11target_archE4294967295ELNS1_3gpuE0ELNS1_3repE0EEENS1_52radix_sort_onesweep_histogram_config_static_selectorELNS0_4arch9wavefront6targetE1EEEvSE_.numbered_sgpr, 0
	.set _ZN7rocprim17ROCPRIM_400000_NS6detail17trampoline_kernelINS0_14default_configENS1_35radix_sort_onesweep_config_selectorIflEEZNS1_34radix_sort_onesweep_global_offsetsIS3_Lb0EPfN6thrust23THRUST_200600_302600_NS10device_ptrIlEEjNS0_19identity_decomposerEEE10hipError_tT1_T2_PT3_SG_jT4_jjP12ihipStream_tbEUlT_E_NS1_11comp_targetILNS1_3genE0ELNS1_11target_archE4294967295ELNS1_3gpuE0ELNS1_3repE0EEENS1_52radix_sort_onesweep_histogram_config_static_selectorELNS0_4arch9wavefront6targetE1EEEvSE_.num_named_barrier, 0
	.set _ZN7rocprim17ROCPRIM_400000_NS6detail17trampoline_kernelINS0_14default_configENS1_35radix_sort_onesweep_config_selectorIflEEZNS1_34radix_sort_onesweep_global_offsetsIS3_Lb0EPfN6thrust23THRUST_200600_302600_NS10device_ptrIlEEjNS0_19identity_decomposerEEE10hipError_tT1_T2_PT3_SG_jT4_jjP12ihipStream_tbEUlT_E_NS1_11comp_targetILNS1_3genE0ELNS1_11target_archE4294967295ELNS1_3gpuE0ELNS1_3repE0EEENS1_52radix_sort_onesweep_histogram_config_static_selectorELNS0_4arch9wavefront6targetE1EEEvSE_.private_seg_size, 0
	.set _ZN7rocprim17ROCPRIM_400000_NS6detail17trampoline_kernelINS0_14default_configENS1_35radix_sort_onesweep_config_selectorIflEEZNS1_34radix_sort_onesweep_global_offsetsIS3_Lb0EPfN6thrust23THRUST_200600_302600_NS10device_ptrIlEEjNS0_19identity_decomposerEEE10hipError_tT1_T2_PT3_SG_jT4_jjP12ihipStream_tbEUlT_E_NS1_11comp_targetILNS1_3genE0ELNS1_11target_archE4294967295ELNS1_3gpuE0ELNS1_3repE0EEENS1_52radix_sort_onesweep_histogram_config_static_selectorELNS0_4arch9wavefront6targetE1EEEvSE_.uses_vcc, 0
	.set _ZN7rocprim17ROCPRIM_400000_NS6detail17trampoline_kernelINS0_14default_configENS1_35radix_sort_onesweep_config_selectorIflEEZNS1_34radix_sort_onesweep_global_offsetsIS3_Lb0EPfN6thrust23THRUST_200600_302600_NS10device_ptrIlEEjNS0_19identity_decomposerEEE10hipError_tT1_T2_PT3_SG_jT4_jjP12ihipStream_tbEUlT_E_NS1_11comp_targetILNS1_3genE0ELNS1_11target_archE4294967295ELNS1_3gpuE0ELNS1_3repE0EEENS1_52radix_sort_onesweep_histogram_config_static_selectorELNS0_4arch9wavefront6targetE1EEEvSE_.uses_flat_scratch, 0
	.set _ZN7rocprim17ROCPRIM_400000_NS6detail17trampoline_kernelINS0_14default_configENS1_35radix_sort_onesweep_config_selectorIflEEZNS1_34radix_sort_onesweep_global_offsetsIS3_Lb0EPfN6thrust23THRUST_200600_302600_NS10device_ptrIlEEjNS0_19identity_decomposerEEE10hipError_tT1_T2_PT3_SG_jT4_jjP12ihipStream_tbEUlT_E_NS1_11comp_targetILNS1_3genE0ELNS1_11target_archE4294967295ELNS1_3gpuE0ELNS1_3repE0EEENS1_52radix_sort_onesweep_histogram_config_static_selectorELNS0_4arch9wavefront6targetE1EEEvSE_.has_dyn_sized_stack, 0
	.set _ZN7rocprim17ROCPRIM_400000_NS6detail17trampoline_kernelINS0_14default_configENS1_35radix_sort_onesweep_config_selectorIflEEZNS1_34radix_sort_onesweep_global_offsetsIS3_Lb0EPfN6thrust23THRUST_200600_302600_NS10device_ptrIlEEjNS0_19identity_decomposerEEE10hipError_tT1_T2_PT3_SG_jT4_jjP12ihipStream_tbEUlT_E_NS1_11comp_targetILNS1_3genE0ELNS1_11target_archE4294967295ELNS1_3gpuE0ELNS1_3repE0EEENS1_52radix_sort_onesweep_histogram_config_static_selectorELNS0_4arch9wavefront6targetE1EEEvSE_.has_recursion, 0
	.set _ZN7rocprim17ROCPRIM_400000_NS6detail17trampoline_kernelINS0_14default_configENS1_35radix_sort_onesweep_config_selectorIflEEZNS1_34radix_sort_onesweep_global_offsetsIS3_Lb0EPfN6thrust23THRUST_200600_302600_NS10device_ptrIlEEjNS0_19identity_decomposerEEE10hipError_tT1_T2_PT3_SG_jT4_jjP12ihipStream_tbEUlT_E_NS1_11comp_targetILNS1_3genE0ELNS1_11target_archE4294967295ELNS1_3gpuE0ELNS1_3repE0EEENS1_52radix_sort_onesweep_histogram_config_static_selectorELNS0_4arch9wavefront6targetE1EEEvSE_.has_indirect_call, 0
	.section	.AMDGPU.csdata,"",@progbits
; Kernel info:
; codeLenInByte = 0
; TotalNumSgprs: 4
; NumVgprs: 0
; ScratchSize: 0
; MemoryBound: 0
; FloatMode: 240
; IeeeMode: 1
; LDSByteSize: 0 bytes/workgroup (compile time only)
; SGPRBlocks: 0
; VGPRBlocks: 0
; NumSGPRsForWavesPerEU: 4
; NumVGPRsForWavesPerEU: 1
; Occupancy: 10
; WaveLimiterHint : 0
; COMPUTE_PGM_RSRC2:SCRATCH_EN: 0
; COMPUTE_PGM_RSRC2:USER_SGPR: 6
; COMPUTE_PGM_RSRC2:TRAP_HANDLER: 0
; COMPUTE_PGM_RSRC2:TGID_X_EN: 1
; COMPUTE_PGM_RSRC2:TGID_Y_EN: 0
; COMPUTE_PGM_RSRC2:TGID_Z_EN: 0
; COMPUTE_PGM_RSRC2:TIDIG_COMP_CNT: 0
	.section	.text._ZN7rocprim17ROCPRIM_400000_NS6detail17trampoline_kernelINS0_14default_configENS1_35radix_sort_onesweep_config_selectorIflEEZNS1_34radix_sort_onesweep_global_offsetsIS3_Lb0EPfN6thrust23THRUST_200600_302600_NS10device_ptrIlEEjNS0_19identity_decomposerEEE10hipError_tT1_T2_PT3_SG_jT4_jjP12ihipStream_tbEUlT_E_NS1_11comp_targetILNS1_3genE6ELNS1_11target_archE950ELNS1_3gpuE13ELNS1_3repE0EEENS1_52radix_sort_onesweep_histogram_config_static_selectorELNS0_4arch9wavefront6targetE1EEEvSE_,"axG",@progbits,_ZN7rocprim17ROCPRIM_400000_NS6detail17trampoline_kernelINS0_14default_configENS1_35radix_sort_onesweep_config_selectorIflEEZNS1_34radix_sort_onesweep_global_offsetsIS3_Lb0EPfN6thrust23THRUST_200600_302600_NS10device_ptrIlEEjNS0_19identity_decomposerEEE10hipError_tT1_T2_PT3_SG_jT4_jjP12ihipStream_tbEUlT_E_NS1_11comp_targetILNS1_3genE6ELNS1_11target_archE950ELNS1_3gpuE13ELNS1_3repE0EEENS1_52radix_sort_onesweep_histogram_config_static_selectorELNS0_4arch9wavefront6targetE1EEEvSE_,comdat
	.protected	_ZN7rocprim17ROCPRIM_400000_NS6detail17trampoline_kernelINS0_14default_configENS1_35radix_sort_onesweep_config_selectorIflEEZNS1_34radix_sort_onesweep_global_offsetsIS3_Lb0EPfN6thrust23THRUST_200600_302600_NS10device_ptrIlEEjNS0_19identity_decomposerEEE10hipError_tT1_T2_PT3_SG_jT4_jjP12ihipStream_tbEUlT_E_NS1_11comp_targetILNS1_3genE6ELNS1_11target_archE950ELNS1_3gpuE13ELNS1_3repE0EEENS1_52radix_sort_onesweep_histogram_config_static_selectorELNS0_4arch9wavefront6targetE1EEEvSE_ ; -- Begin function _ZN7rocprim17ROCPRIM_400000_NS6detail17trampoline_kernelINS0_14default_configENS1_35radix_sort_onesweep_config_selectorIflEEZNS1_34radix_sort_onesweep_global_offsetsIS3_Lb0EPfN6thrust23THRUST_200600_302600_NS10device_ptrIlEEjNS0_19identity_decomposerEEE10hipError_tT1_T2_PT3_SG_jT4_jjP12ihipStream_tbEUlT_E_NS1_11comp_targetILNS1_3genE6ELNS1_11target_archE950ELNS1_3gpuE13ELNS1_3repE0EEENS1_52radix_sort_onesweep_histogram_config_static_selectorELNS0_4arch9wavefront6targetE1EEEvSE_
	.globl	_ZN7rocprim17ROCPRIM_400000_NS6detail17trampoline_kernelINS0_14default_configENS1_35radix_sort_onesweep_config_selectorIflEEZNS1_34radix_sort_onesweep_global_offsetsIS3_Lb0EPfN6thrust23THRUST_200600_302600_NS10device_ptrIlEEjNS0_19identity_decomposerEEE10hipError_tT1_T2_PT3_SG_jT4_jjP12ihipStream_tbEUlT_E_NS1_11comp_targetILNS1_3genE6ELNS1_11target_archE950ELNS1_3gpuE13ELNS1_3repE0EEENS1_52radix_sort_onesweep_histogram_config_static_selectorELNS0_4arch9wavefront6targetE1EEEvSE_
	.p2align	8
	.type	_ZN7rocprim17ROCPRIM_400000_NS6detail17trampoline_kernelINS0_14default_configENS1_35radix_sort_onesweep_config_selectorIflEEZNS1_34radix_sort_onesweep_global_offsetsIS3_Lb0EPfN6thrust23THRUST_200600_302600_NS10device_ptrIlEEjNS0_19identity_decomposerEEE10hipError_tT1_T2_PT3_SG_jT4_jjP12ihipStream_tbEUlT_E_NS1_11comp_targetILNS1_3genE6ELNS1_11target_archE950ELNS1_3gpuE13ELNS1_3repE0EEENS1_52radix_sort_onesweep_histogram_config_static_selectorELNS0_4arch9wavefront6targetE1EEEvSE_,@function
_ZN7rocprim17ROCPRIM_400000_NS6detail17trampoline_kernelINS0_14default_configENS1_35radix_sort_onesweep_config_selectorIflEEZNS1_34radix_sort_onesweep_global_offsetsIS3_Lb0EPfN6thrust23THRUST_200600_302600_NS10device_ptrIlEEjNS0_19identity_decomposerEEE10hipError_tT1_T2_PT3_SG_jT4_jjP12ihipStream_tbEUlT_E_NS1_11comp_targetILNS1_3genE6ELNS1_11target_archE950ELNS1_3gpuE13ELNS1_3repE0EEENS1_52radix_sort_onesweep_histogram_config_static_selectorELNS0_4arch9wavefront6targetE1EEEvSE_: ; @_ZN7rocprim17ROCPRIM_400000_NS6detail17trampoline_kernelINS0_14default_configENS1_35radix_sort_onesweep_config_selectorIflEEZNS1_34radix_sort_onesweep_global_offsetsIS3_Lb0EPfN6thrust23THRUST_200600_302600_NS10device_ptrIlEEjNS0_19identity_decomposerEEE10hipError_tT1_T2_PT3_SG_jT4_jjP12ihipStream_tbEUlT_E_NS1_11comp_targetILNS1_3genE6ELNS1_11target_archE950ELNS1_3gpuE13ELNS1_3repE0EEENS1_52radix_sort_onesweep_histogram_config_static_selectorELNS0_4arch9wavefront6targetE1EEEvSE_
; %bb.0:
	.section	.rodata,"a",@progbits
	.p2align	6, 0x0
	.amdhsa_kernel _ZN7rocprim17ROCPRIM_400000_NS6detail17trampoline_kernelINS0_14default_configENS1_35radix_sort_onesweep_config_selectorIflEEZNS1_34radix_sort_onesweep_global_offsetsIS3_Lb0EPfN6thrust23THRUST_200600_302600_NS10device_ptrIlEEjNS0_19identity_decomposerEEE10hipError_tT1_T2_PT3_SG_jT4_jjP12ihipStream_tbEUlT_E_NS1_11comp_targetILNS1_3genE6ELNS1_11target_archE950ELNS1_3gpuE13ELNS1_3repE0EEENS1_52radix_sort_onesweep_histogram_config_static_selectorELNS0_4arch9wavefront6targetE1EEEvSE_
		.amdhsa_group_segment_fixed_size 0
		.amdhsa_private_segment_fixed_size 0
		.amdhsa_kernarg_size 40
		.amdhsa_user_sgpr_count 6
		.amdhsa_user_sgpr_private_segment_buffer 1
		.amdhsa_user_sgpr_dispatch_ptr 0
		.amdhsa_user_sgpr_queue_ptr 0
		.amdhsa_user_sgpr_kernarg_segment_ptr 1
		.amdhsa_user_sgpr_dispatch_id 0
		.amdhsa_user_sgpr_flat_scratch_init 0
		.amdhsa_user_sgpr_private_segment_size 0
		.amdhsa_uses_dynamic_stack 0
		.amdhsa_system_sgpr_private_segment_wavefront_offset 0
		.amdhsa_system_sgpr_workgroup_id_x 1
		.amdhsa_system_sgpr_workgroup_id_y 0
		.amdhsa_system_sgpr_workgroup_id_z 0
		.amdhsa_system_sgpr_workgroup_info 0
		.amdhsa_system_vgpr_workitem_id 0
		.amdhsa_next_free_vgpr 1
		.amdhsa_next_free_sgpr 0
		.amdhsa_reserve_vcc 0
		.amdhsa_reserve_flat_scratch 0
		.amdhsa_float_round_mode_32 0
		.amdhsa_float_round_mode_16_64 0
		.amdhsa_float_denorm_mode_32 3
		.amdhsa_float_denorm_mode_16_64 3
		.amdhsa_dx10_clamp 1
		.amdhsa_ieee_mode 1
		.amdhsa_fp16_overflow 0
		.amdhsa_exception_fp_ieee_invalid_op 0
		.amdhsa_exception_fp_denorm_src 0
		.amdhsa_exception_fp_ieee_div_zero 0
		.amdhsa_exception_fp_ieee_overflow 0
		.amdhsa_exception_fp_ieee_underflow 0
		.amdhsa_exception_fp_ieee_inexact 0
		.amdhsa_exception_int_div_zero 0
	.end_amdhsa_kernel
	.section	.text._ZN7rocprim17ROCPRIM_400000_NS6detail17trampoline_kernelINS0_14default_configENS1_35radix_sort_onesweep_config_selectorIflEEZNS1_34radix_sort_onesweep_global_offsetsIS3_Lb0EPfN6thrust23THRUST_200600_302600_NS10device_ptrIlEEjNS0_19identity_decomposerEEE10hipError_tT1_T2_PT3_SG_jT4_jjP12ihipStream_tbEUlT_E_NS1_11comp_targetILNS1_3genE6ELNS1_11target_archE950ELNS1_3gpuE13ELNS1_3repE0EEENS1_52radix_sort_onesweep_histogram_config_static_selectorELNS0_4arch9wavefront6targetE1EEEvSE_,"axG",@progbits,_ZN7rocprim17ROCPRIM_400000_NS6detail17trampoline_kernelINS0_14default_configENS1_35radix_sort_onesweep_config_selectorIflEEZNS1_34radix_sort_onesweep_global_offsetsIS3_Lb0EPfN6thrust23THRUST_200600_302600_NS10device_ptrIlEEjNS0_19identity_decomposerEEE10hipError_tT1_T2_PT3_SG_jT4_jjP12ihipStream_tbEUlT_E_NS1_11comp_targetILNS1_3genE6ELNS1_11target_archE950ELNS1_3gpuE13ELNS1_3repE0EEENS1_52radix_sort_onesweep_histogram_config_static_selectorELNS0_4arch9wavefront6targetE1EEEvSE_,comdat
.Lfunc_end1817:
	.size	_ZN7rocprim17ROCPRIM_400000_NS6detail17trampoline_kernelINS0_14default_configENS1_35radix_sort_onesweep_config_selectorIflEEZNS1_34radix_sort_onesweep_global_offsetsIS3_Lb0EPfN6thrust23THRUST_200600_302600_NS10device_ptrIlEEjNS0_19identity_decomposerEEE10hipError_tT1_T2_PT3_SG_jT4_jjP12ihipStream_tbEUlT_E_NS1_11comp_targetILNS1_3genE6ELNS1_11target_archE950ELNS1_3gpuE13ELNS1_3repE0EEENS1_52radix_sort_onesweep_histogram_config_static_selectorELNS0_4arch9wavefront6targetE1EEEvSE_, .Lfunc_end1817-_ZN7rocprim17ROCPRIM_400000_NS6detail17trampoline_kernelINS0_14default_configENS1_35radix_sort_onesweep_config_selectorIflEEZNS1_34radix_sort_onesweep_global_offsetsIS3_Lb0EPfN6thrust23THRUST_200600_302600_NS10device_ptrIlEEjNS0_19identity_decomposerEEE10hipError_tT1_T2_PT3_SG_jT4_jjP12ihipStream_tbEUlT_E_NS1_11comp_targetILNS1_3genE6ELNS1_11target_archE950ELNS1_3gpuE13ELNS1_3repE0EEENS1_52radix_sort_onesweep_histogram_config_static_selectorELNS0_4arch9wavefront6targetE1EEEvSE_
                                        ; -- End function
	.set _ZN7rocprim17ROCPRIM_400000_NS6detail17trampoline_kernelINS0_14default_configENS1_35radix_sort_onesweep_config_selectorIflEEZNS1_34radix_sort_onesweep_global_offsetsIS3_Lb0EPfN6thrust23THRUST_200600_302600_NS10device_ptrIlEEjNS0_19identity_decomposerEEE10hipError_tT1_T2_PT3_SG_jT4_jjP12ihipStream_tbEUlT_E_NS1_11comp_targetILNS1_3genE6ELNS1_11target_archE950ELNS1_3gpuE13ELNS1_3repE0EEENS1_52radix_sort_onesweep_histogram_config_static_selectorELNS0_4arch9wavefront6targetE1EEEvSE_.num_vgpr, 0
	.set _ZN7rocprim17ROCPRIM_400000_NS6detail17trampoline_kernelINS0_14default_configENS1_35radix_sort_onesweep_config_selectorIflEEZNS1_34radix_sort_onesweep_global_offsetsIS3_Lb0EPfN6thrust23THRUST_200600_302600_NS10device_ptrIlEEjNS0_19identity_decomposerEEE10hipError_tT1_T2_PT3_SG_jT4_jjP12ihipStream_tbEUlT_E_NS1_11comp_targetILNS1_3genE6ELNS1_11target_archE950ELNS1_3gpuE13ELNS1_3repE0EEENS1_52radix_sort_onesweep_histogram_config_static_selectorELNS0_4arch9wavefront6targetE1EEEvSE_.num_agpr, 0
	.set _ZN7rocprim17ROCPRIM_400000_NS6detail17trampoline_kernelINS0_14default_configENS1_35radix_sort_onesweep_config_selectorIflEEZNS1_34radix_sort_onesweep_global_offsetsIS3_Lb0EPfN6thrust23THRUST_200600_302600_NS10device_ptrIlEEjNS0_19identity_decomposerEEE10hipError_tT1_T2_PT3_SG_jT4_jjP12ihipStream_tbEUlT_E_NS1_11comp_targetILNS1_3genE6ELNS1_11target_archE950ELNS1_3gpuE13ELNS1_3repE0EEENS1_52radix_sort_onesweep_histogram_config_static_selectorELNS0_4arch9wavefront6targetE1EEEvSE_.numbered_sgpr, 0
	.set _ZN7rocprim17ROCPRIM_400000_NS6detail17trampoline_kernelINS0_14default_configENS1_35radix_sort_onesweep_config_selectorIflEEZNS1_34radix_sort_onesweep_global_offsetsIS3_Lb0EPfN6thrust23THRUST_200600_302600_NS10device_ptrIlEEjNS0_19identity_decomposerEEE10hipError_tT1_T2_PT3_SG_jT4_jjP12ihipStream_tbEUlT_E_NS1_11comp_targetILNS1_3genE6ELNS1_11target_archE950ELNS1_3gpuE13ELNS1_3repE0EEENS1_52radix_sort_onesweep_histogram_config_static_selectorELNS0_4arch9wavefront6targetE1EEEvSE_.num_named_barrier, 0
	.set _ZN7rocprim17ROCPRIM_400000_NS6detail17trampoline_kernelINS0_14default_configENS1_35radix_sort_onesweep_config_selectorIflEEZNS1_34radix_sort_onesweep_global_offsetsIS3_Lb0EPfN6thrust23THRUST_200600_302600_NS10device_ptrIlEEjNS0_19identity_decomposerEEE10hipError_tT1_T2_PT3_SG_jT4_jjP12ihipStream_tbEUlT_E_NS1_11comp_targetILNS1_3genE6ELNS1_11target_archE950ELNS1_3gpuE13ELNS1_3repE0EEENS1_52radix_sort_onesweep_histogram_config_static_selectorELNS0_4arch9wavefront6targetE1EEEvSE_.private_seg_size, 0
	.set _ZN7rocprim17ROCPRIM_400000_NS6detail17trampoline_kernelINS0_14default_configENS1_35radix_sort_onesweep_config_selectorIflEEZNS1_34radix_sort_onesweep_global_offsetsIS3_Lb0EPfN6thrust23THRUST_200600_302600_NS10device_ptrIlEEjNS0_19identity_decomposerEEE10hipError_tT1_T2_PT3_SG_jT4_jjP12ihipStream_tbEUlT_E_NS1_11comp_targetILNS1_3genE6ELNS1_11target_archE950ELNS1_3gpuE13ELNS1_3repE0EEENS1_52radix_sort_onesweep_histogram_config_static_selectorELNS0_4arch9wavefront6targetE1EEEvSE_.uses_vcc, 0
	.set _ZN7rocprim17ROCPRIM_400000_NS6detail17trampoline_kernelINS0_14default_configENS1_35radix_sort_onesweep_config_selectorIflEEZNS1_34radix_sort_onesweep_global_offsetsIS3_Lb0EPfN6thrust23THRUST_200600_302600_NS10device_ptrIlEEjNS0_19identity_decomposerEEE10hipError_tT1_T2_PT3_SG_jT4_jjP12ihipStream_tbEUlT_E_NS1_11comp_targetILNS1_3genE6ELNS1_11target_archE950ELNS1_3gpuE13ELNS1_3repE0EEENS1_52radix_sort_onesweep_histogram_config_static_selectorELNS0_4arch9wavefront6targetE1EEEvSE_.uses_flat_scratch, 0
	.set _ZN7rocprim17ROCPRIM_400000_NS6detail17trampoline_kernelINS0_14default_configENS1_35radix_sort_onesweep_config_selectorIflEEZNS1_34radix_sort_onesweep_global_offsetsIS3_Lb0EPfN6thrust23THRUST_200600_302600_NS10device_ptrIlEEjNS0_19identity_decomposerEEE10hipError_tT1_T2_PT3_SG_jT4_jjP12ihipStream_tbEUlT_E_NS1_11comp_targetILNS1_3genE6ELNS1_11target_archE950ELNS1_3gpuE13ELNS1_3repE0EEENS1_52radix_sort_onesweep_histogram_config_static_selectorELNS0_4arch9wavefront6targetE1EEEvSE_.has_dyn_sized_stack, 0
	.set _ZN7rocprim17ROCPRIM_400000_NS6detail17trampoline_kernelINS0_14default_configENS1_35radix_sort_onesweep_config_selectorIflEEZNS1_34radix_sort_onesweep_global_offsetsIS3_Lb0EPfN6thrust23THRUST_200600_302600_NS10device_ptrIlEEjNS0_19identity_decomposerEEE10hipError_tT1_T2_PT3_SG_jT4_jjP12ihipStream_tbEUlT_E_NS1_11comp_targetILNS1_3genE6ELNS1_11target_archE950ELNS1_3gpuE13ELNS1_3repE0EEENS1_52radix_sort_onesweep_histogram_config_static_selectorELNS0_4arch9wavefront6targetE1EEEvSE_.has_recursion, 0
	.set _ZN7rocprim17ROCPRIM_400000_NS6detail17trampoline_kernelINS0_14default_configENS1_35radix_sort_onesweep_config_selectorIflEEZNS1_34radix_sort_onesweep_global_offsetsIS3_Lb0EPfN6thrust23THRUST_200600_302600_NS10device_ptrIlEEjNS0_19identity_decomposerEEE10hipError_tT1_T2_PT3_SG_jT4_jjP12ihipStream_tbEUlT_E_NS1_11comp_targetILNS1_3genE6ELNS1_11target_archE950ELNS1_3gpuE13ELNS1_3repE0EEENS1_52radix_sort_onesweep_histogram_config_static_selectorELNS0_4arch9wavefront6targetE1EEEvSE_.has_indirect_call, 0
	.section	.AMDGPU.csdata,"",@progbits
; Kernel info:
; codeLenInByte = 0
; TotalNumSgprs: 4
; NumVgprs: 0
; ScratchSize: 0
; MemoryBound: 0
; FloatMode: 240
; IeeeMode: 1
; LDSByteSize: 0 bytes/workgroup (compile time only)
; SGPRBlocks: 0
; VGPRBlocks: 0
; NumSGPRsForWavesPerEU: 4
; NumVGPRsForWavesPerEU: 1
; Occupancy: 10
; WaveLimiterHint : 0
; COMPUTE_PGM_RSRC2:SCRATCH_EN: 0
; COMPUTE_PGM_RSRC2:USER_SGPR: 6
; COMPUTE_PGM_RSRC2:TRAP_HANDLER: 0
; COMPUTE_PGM_RSRC2:TGID_X_EN: 1
; COMPUTE_PGM_RSRC2:TGID_Y_EN: 0
; COMPUTE_PGM_RSRC2:TGID_Z_EN: 0
; COMPUTE_PGM_RSRC2:TIDIG_COMP_CNT: 0
	.section	.text._ZN7rocprim17ROCPRIM_400000_NS6detail17trampoline_kernelINS0_14default_configENS1_35radix_sort_onesweep_config_selectorIflEEZNS1_34radix_sort_onesweep_global_offsetsIS3_Lb0EPfN6thrust23THRUST_200600_302600_NS10device_ptrIlEEjNS0_19identity_decomposerEEE10hipError_tT1_T2_PT3_SG_jT4_jjP12ihipStream_tbEUlT_E_NS1_11comp_targetILNS1_3genE5ELNS1_11target_archE942ELNS1_3gpuE9ELNS1_3repE0EEENS1_52radix_sort_onesweep_histogram_config_static_selectorELNS0_4arch9wavefront6targetE1EEEvSE_,"axG",@progbits,_ZN7rocprim17ROCPRIM_400000_NS6detail17trampoline_kernelINS0_14default_configENS1_35radix_sort_onesweep_config_selectorIflEEZNS1_34radix_sort_onesweep_global_offsetsIS3_Lb0EPfN6thrust23THRUST_200600_302600_NS10device_ptrIlEEjNS0_19identity_decomposerEEE10hipError_tT1_T2_PT3_SG_jT4_jjP12ihipStream_tbEUlT_E_NS1_11comp_targetILNS1_3genE5ELNS1_11target_archE942ELNS1_3gpuE9ELNS1_3repE0EEENS1_52radix_sort_onesweep_histogram_config_static_selectorELNS0_4arch9wavefront6targetE1EEEvSE_,comdat
	.protected	_ZN7rocprim17ROCPRIM_400000_NS6detail17trampoline_kernelINS0_14default_configENS1_35radix_sort_onesweep_config_selectorIflEEZNS1_34radix_sort_onesweep_global_offsetsIS3_Lb0EPfN6thrust23THRUST_200600_302600_NS10device_ptrIlEEjNS0_19identity_decomposerEEE10hipError_tT1_T2_PT3_SG_jT4_jjP12ihipStream_tbEUlT_E_NS1_11comp_targetILNS1_3genE5ELNS1_11target_archE942ELNS1_3gpuE9ELNS1_3repE0EEENS1_52radix_sort_onesweep_histogram_config_static_selectorELNS0_4arch9wavefront6targetE1EEEvSE_ ; -- Begin function _ZN7rocprim17ROCPRIM_400000_NS6detail17trampoline_kernelINS0_14default_configENS1_35radix_sort_onesweep_config_selectorIflEEZNS1_34radix_sort_onesweep_global_offsetsIS3_Lb0EPfN6thrust23THRUST_200600_302600_NS10device_ptrIlEEjNS0_19identity_decomposerEEE10hipError_tT1_T2_PT3_SG_jT4_jjP12ihipStream_tbEUlT_E_NS1_11comp_targetILNS1_3genE5ELNS1_11target_archE942ELNS1_3gpuE9ELNS1_3repE0EEENS1_52radix_sort_onesweep_histogram_config_static_selectorELNS0_4arch9wavefront6targetE1EEEvSE_
	.globl	_ZN7rocprim17ROCPRIM_400000_NS6detail17trampoline_kernelINS0_14default_configENS1_35radix_sort_onesweep_config_selectorIflEEZNS1_34radix_sort_onesweep_global_offsetsIS3_Lb0EPfN6thrust23THRUST_200600_302600_NS10device_ptrIlEEjNS0_19identity_decomposerEEE10hipError_tT1_T2_PT3_SG_jT4_jjP12ihipStream_tbEUlT_E_NS1_11comp_targetILNS1_3genE5ELNS1_11target_archE942ELNS1_3gpuE9ELNS1_3repE0EEENS1_52radix_sort_onesweep_histogram_config_static_selectorELNS0_4arch9wavefront6targetE1EEEvSE_
	.p2align	8
	.type	_ZN7rocprim17ROCPRIM_400000_NS6detail17trampoline_kernelINS0_14default_configENS1_35radix_sort_onesweep_config_selectorIflEEZNS1_34radix_sort_onesweep_global_offsetsIS3_Lb0EPfN6thrust23THRUST_200600_302600_NS10device_ptrIlEEjNS0_19identity_decomposerEEE10hipError_tT1_T2_PT3_SG_jT4_jjP12ihipStream_tbEUlT_E_NS1_11comp_targetILNS1_3genE5ELNS1_11target_archE942ELNS1_3gpuE9ELNS1_3repE0EEENS1_52radix_sort_onesweep_histogram_config_static_selectorELNS0_4arch9wavefront6targetE1EEEvSE_,@function
_ZN7rocprim17ROCPRIM_400000_NS6detail17trampoline_kernelINS0_14default_configENS1_35radix_sort_onesweep_config_selectorIflEEZNS1_34radix_sort_onesweep_global_offsetsIS3_Lb0EPfN6thrust23THRUST_200600_302600_NS10device_ptrIlEEjNS0_19identity_decomposerEEE10hipError_tT1_T2_PT3_SG_jT4_jjP12ihipStream_tbEUlT_E_NS1_11comp_targetILNS1_3genE5ELNS1_11target_archE942ELNS1_3gpuE9ELNS1_3repE0EEENS1_52radix_sort_onesweep_histogram_config_static_selectorELNS0_4arch9wavefront6targetE1EEEvSE_: ; @_ZN7rocprim17ROCPRIM_400000_NS6detail17trampoline_kernelINS0_14default_configENS1_35radix_sort_onesweep_config_selectorIflEEZNS1_34radix_sort_onesweep_global_offsetsIS3_Lb0EPfN6thrust23THRUST_200600_302600_NS10device_ptrIlEEjNS0_19identity_decomposerEEE10hipError_tT1_T2_PT3_SG_jT4_jjP12ihipStream_tbEUlT_E_NS1_11comp_targetILNS1_3genE5ELNS1_11target_archE942ELNS1_3gpuE9ELNS1_3repE0EEENS1_52radix_sort_onesweep_histogram_config_static_selectorELNS0_4arch9wavefront6targetE1EEEvSE_
; %bb.0:
	.section	.rodata,"a",@progbits
	.p2align	6, 0x0
	.amdhsa_kernel _ZN7rocprim17ROCPRIM_400000_NS6detail17trampoline_kernelINS0_14default_configENS1_35radix_sort_onesweep_config_selectorIflEEZNS1_34radix_sort_onesweep_global_offsetsIS3_Lb0EPfN6thrust23THRUST_200600_302600_NS10device_ptrIlEEjNS0_19identity_decomposerEEE10hipError_tT1_T2_PT3_SG_jT4_jjP12ihipStream_tbEUlT_E_NS1_11comp_targetILNS1_3genE5ELNS1_11target_archE942ELNS1_3gpuE9ELNS1_3repE0EEENS1_52radix_sort_onesweep_histogram_config_static_selectorELNS0_4arch9wavefront6targetE1EEEvSE_
		.amdhsa_group_segment_fixed_size 0
		.amdhsa_private_segment_fixed_size 0
		.amdhsa_kernarg_size 40
		.amdhsa_user_sgpr_count 6
		.amdhsa_user_sgpr_private_segment_buffer 1
		.amdhsa_user_sgpr_dispatch_ptr 0
		.amdhsa_user_sgpr_queue_ptr 0
		.amdhsa_user_sgpr_kernarg_segment_ptr 1
		.amdhsa_user_sgpr_dispatch_id 0
		.amdhsa_user_sgpr_flat_scratch_init 0
		.amdhsa_user_sgpr_private_segment_size 0
		.amdhsa_uses_dynamic_stack 0
		.amdhsa_system_sgpr_private_segment_wavefront_offset 0
		.amdhsa_system_sgpr_workgroup_id_x 1
		.amdhsa_system_sgpr_workgroup_id_y 0
		.amdhsa_system_sgpr_workgroup_id_z 0
		.amdhsa_system_sgpr_workgroup_info 0
		.amdhsa_system_vgpr_workitem_id 0
		.amdhsa_next_free_vgpr 1
		.amdhsa_next_free_sgpr 0
		.amdhsa_reserve_vcc 0
		.amdhsa_reserve_flat_scratch 0
		.amdhsa_float_round_mode_32 0
		.amdhsa_float_round_mode_16_64 0
		.amdhsa_float_denorm_mode_32 3
		.amdhsa_float_denorm_mode_16_64 3
		.amdhsa_dx10_clamp 1
		.amdhsa_ieee_mode 1
		.amdhsa_fp16_overflow 0
		.amdhsa_exception_fp_ieee_invalid_op 0
		.amdhsa_exception_fp_denorm_src 0
		.amdhsa_exception_fp_ieee_div_zero 0
		.amdhsa_exception_fp_ieee_overflow 0
		.amdhsa_exception_fp_ieee_underflow 0
		.amdhsa_exception_fp_ieee_inexact 0
		.amdhsa_exception_int_div_zero 0
	.end_amdhsa_kernel
	.section	.text._ZN7rocprim17ROCPRIM_400000_NS6detail17trampoline_kernelINS0_14default_configENS1_35radix_sort_onesweep_config_selectorIflEEZNS1_34radix_sort_onesweep_global_offsetsIS3_Lb0EPfN6thrust23THRUST_200600_302600_NS10device_ptrIlEEjNS0_19identity_decomposerEEE10hipError_tT1_T2_PT3_SG_jT4_jjP12ihipStream_tbEUlT_E_NS1_11comp_targetILNS1_3genE5ELNS1_11target_archE942ELNS1_3gpuE9ELNS1_3repE0EEENS1_52radix_sort_onesweep_histogram_config_static_selectorELNS0_4arch9wavefront6targetE1EEEvSE_,"axG",@progbits,_ZN7rocprim17ROCPRIM_400000_NS6detail17trampoline_kernelINS0_14default_configENS1_35radix_sort_onesweep_config_selectorIflEEZNS1_34radix_sort_onesweep_global_offsetsIS3_Lb0EPfN6thrust23THRUST_200600_302600_NS10device_ptrIlEEjNS0_19identity_decomposerEEE10hipError_tT1_T2_PT3_SG_jT4_jjP12ihipStream_tbEUlT_E_NS1_11comp_targetILNS1_3genE5ELNS1_11target_archE942ELNS1_3gpuE9ELNS1_3repE0EEENS1_52radix_sort_onesweep_histogram_config_static_selectorELNS0_4arch9wavefront6targetE1EEEvSE_,comdat
.Lfunc_end1818:
	.size	_ZN7rocprim17ROCPRIM_400000_NS6detail17trampoline_kernelINS0_14default_configENS1_35radix_sort_onesweep_config_selectorIflEEZNS1_34radix_sort_onesweep_global_offsetsIS3_Lb0EPfN6thrust23THRUST_200600_302600_NS10device_ptrIlEEjNS0_19identity_decomposerEEE10hipError_tT1_T2_PT3_SG_jT4_jjP12ihipStream_tbEUlT_E_NS1_11comp_targetILNS1_3genE5ELNS1_11target_archE942ELNS1_3gpuE9ELNS1_3repE0EEENS1_52radix_sort_onesweep_histogram_config_static_selectorELNS0_4arch9wavefront6targetE1EEEvSE_, .Lfunc_end1818-_ZN7rocprim17ROCPRIM_400000_NS6detail17trampoline_kernelINS0_14default_configENS1_35radix_sort_onesweep_config_selectorIflEEZNS1_34radix_sort_onesweep_global_offsetsIS3_Lb0EPfN6thrust23THRUST_200600_302600_NS10device_ptrIlEEjNS0_19identity_decomposerEEE10hipError_tT1_T2_PT3_SG_jT4_jjP12ihipStream_tbEUlT_E_NS1_11comp_targetILNS1_3genE5ELNS1_11target_archE942ELNS1_3gpuE9ELNS1_3repE0EEENS1_52radix_sort_onesweep_histogram_config_static_selectorELNS0_4arch9wavefront6targetE1EEEvSE_
                                        ; -- End function
	.set _ZN7rocprim17ROCPRIM_400000_NS6detail17trampoline_kernelINS0_14default_configENS1_35radix_sort_onesweep_config_selectorIflEEZNS1_34radix_sort_onesweep_global_offsetsIS3_Lb0EPfN6thrust23THRUST_200600_302600_NS10device_ptrIlEEjNS0_19identity_decomposerEEE10hipError_tT1_T2_PT3_SG_jT4_jjP12ihipStream_tbEUlT_E_NS1_11comp_targetILNS1_3genE5ELNS1_11target_archE942ELNS1_3gpuE9ELNS1_3repE0EEENS1_52radix_sort_onesweep_histogram_config_static_selectorELNS0_4arch9wavefront6targetE1EEEvSE_.num_vgpr, 0
	.set _ZN7rocprim17ROCPRIM_400000_NS6detail17trampoline_kernelINS0_14default_configENS1_35radix_sort_onesweep_config_selectorIflEEZNS1_34radix_sort_onesweep_global_offsetsIS3_Lb0EPfN6thrust23THRUST_200600_302600_NS10device_ptrIlEEjNS0_19identity_decomposerEEE10hipError_tT1_T2_PT3_SG_jT4_jjP12ihipStream_tbEUlT_E_NS1_11comp_targetILNS1_3genE5ELNS1_11target_archE942ELNS1_3gpuE9ELNS1_3repE0EEENS1_52radix_sort_onesweep_histogram_config_static_selectorELNS0_4arch9wavefront6targetE1EEEvSE_.num_agpr, 0
	.set _ZN7rocprim17ROCPRIM_400000_NS6detail17trampoline_kernelINS0_14default_configENS1_35radix_sort_onesweep_config_selectorIflEEZNS1_34radix_sort_onesweep_global_offsetsIS3_Lb0EPfN6thrust23THRUST_200600_302600_NS10device_ptrIlEEjNS0_19identity_decomposerEEE10hipError_tT1_T2_PT3_SG_jT4_jjP12ihipStream_tbEUlT_E_NS1_11comp_targetILNS1_3genE5ELNS1_11target_archE942ELNS1_3gpuE9ELNS1_3repE0EEENS1_52radix_sort_onesweep_histogram_config_static_selectorELNS0_4arch9wavefront6targetE1EEEvSE_.numbered_sgpr, 0
	.set _ZN7rocprim17ROCPRIM_400000_NS6detail17trampoline_kernelINS0_14default_configENS1_35radix_sort_onesweep_config_selectorIflEEZNS1_34radix_sort_onesweep_global_offsetsIS3_Lb0EPfN6thrust23THRUST_200600_302600_NS10device_ptrIlEEjNS0_19identity_decomposerEEE10hipError_tT1_T2_PT3_SG_jT4_jjP12ihipStream_tbEUlT_E_NS1_11comp_targetILNS1_3genE5ELNS1_11target_archE942ELNS1_3gpuE9ELNS1_3repE0EEENS1_52radix_sort_onesweep_histogram_config_static_selectorELNS0_4arch9wavefront6targetE1EEEvSE_.num_named_barrier, 0
	.set _ZN7rocprim17ROCPRIM_400000_NS6detail17trampoline_kernelINS0_14default_configENS1_35radix_sort_onesweep_config_selectorIflEEZNS1_34radix_sort_onesweep_global_offsetsIS3_Lb0EPfN6thrust23THRUST_200600_302600_NS10device_ptrIlEEjNS0_19identity_decomposerEEE10hipError_tT1_T2_PT3_SG_jT4_jjP12ihipStream_tbEUlT_E_NS1_11comp_targetILNS1_3genE5ELNS1_11target_archE942ELNS1_3gpuE9ELNS1_3repE0EEENS1_52radix_sort_onesweep_histogram_config_static_selectorELNS0_4arch9wavefront6targetE1EEEvSE_.private_seg_size, 0
	.set _ZN7rocprim17ROCPRIM_400000_NS6detail17trampoline_kernelINS0_14default_configENS1_35radix_sort_onesweep_config_selectorIflEEZNS1_34radix_sort_onesweep_global_offsetsIS3_Lb0EPfN6thrust23THRUST_200600_302600_NS10device_ptrIlEEjNS0_19identity_decomposerEEE10hipError_tT1_T2_PT3_SG_jT4_jjP12ihipStream_tbEUlT_E_NS1_11comp_targetILNS1_3genE5ELNS1_11target_archE942ELNS1_3gpuE9ELNS1_3repE0EEENS1_52radix_sort_onesweep_histogram_config_static_selectorELNS0_4arch9wavefront6targetE1EEEvSE_.uses_vcc, 0
	.set _ZN7rocprim17ROCPRIM_400000_NS6detail17trampoline_kernelINS0_14default_configENS1_35radix_sort_onesweep_config_selectorIflEEZNS1_34radix_sort_onesweep_global_offsetsIS3_Lb0EPfN6thrust23THRUST_200600_302600_NS10device_ptrIlEEjNS0_19identity_decomposerEEE10hipError_tT1_T2_PT3_SG_jT4_jjP12ihipStream_tbEUlT_E_NS1_11comp_targetILNS1_3genE5ELNS1_11target_archE942ELNS1_3gpuE9ELNS1_3repE0EEENS1_52radix_sort_onesweep_histogram_config_static_selectorELNS0_4arch9wavefront6targetE1EEEvSE_.uses_flat_scratch, 0
	.set _ZN7rocprim17ROCPRIM_400000_NS6detail17trampoline_kernelINS0_14default_configENS1_35radix_sort_onesweep_config_selectorIflEEZNS1_34radix_sort_onesweep_global_offsetsIS3_Lb0EPfN6thrust23THRUST_200600_302600_NS10device_ptrIlEEjNS0_19identity_decomposerEEE10hipError_tT1_T2_PT3_SG_jT4_jjP12ihipStream_tbEUlT_E_NS1_11comp_targetILNS1_3genE5ELNS1_11target_archE942ELNS1_3gpuE9ELNS1_3repE0EEENS1_52radix_sort_onesweep_histogram_config_static_selectorELNS0_4arch9wavefront6targetE1EEEvSE_.has_dyn_sized_stack, 0
	.set _ZN7rocprim17ROCPRIM_400000_NS6detail17trampoline_kernelINS0_14default_configENS1_35radix_sort_onesweep_config_selectorIflEEZNS1_34radix_sort_onesweep_global_offsetsIS3_Lb0EPfN6thrust23THRUST_200600_302600_NS10device_ptrIlEEjNS0_19identity_decomposerEEE10hipError_tT1_T2_PT3_SG_jT4_jjP12ihipStream_tbEUlT_E_NS1_11comp_targetILNS1_3genE5ELNS1_11target_archE942ELNS1_3gpuE9ELNS1_3repE0EEENS1_52radix_sort_onesweep_histogram_config_static_selectorELNS0_4arch9wavefront6targetE1EEEvSE_.has_recursion, 0
	.set _ZN7rocprim17ROCPRIM_400000_NS6detail17trampoline_kernelINS0_14default_configENS1_35radix_sort_onesweep_config_selectorIflEEZNS1_34radix_sort_onesweep_global_offsetsIS3_Lb0EPfN6thrust23THRUST_200600_302600_NS10device_ptrIlEEjNS0_19identity_decomposerEEE10hipError_tT1_T2_PT3_SG_jT4_jjP12ihipStream_tbEUlT_E_NS1_11comp_targetILNS1_3genE5ELNS1_11target_archE942ELNS1_3gpuE9ELNS1_3repE0EEENS1_52radix_sort_onesweep_histogram_config_static_selectorELNS0_4arch9wavefront6targetE1EEEvSE_.has_indirect_call, 0
	.section	.AMDGPU.csdata,"",@progbits
; Kernel info:
; codeLenInByte = 0
; TotalNumSgprs: 4
; NumVgprs: 0
; ScratchSize: 0
; MemoryBound: 0
; FloatMode: 240
; IeeeMode: 1
; LDSByteSize: 0 bytes/workgroup (compile time only)
; SGPRBlocks: 0
; VGPRBlocks: 0
; NumSGPRsForWavesPerEU: 4
; NumVGPRsForWavesPerEU: 1
; Occupancy: 10
; WaveLimiterHint : 0
; COMPUTE_PGM_RSRC2:SCRATCH_EN: 0
; COMPUTE_PGM_RSRC2:USER_SGPR: 6
; COMPUTE_PGM_RSRC2:TRAP_HANDLER: 0
; COMPUTE_PGM_RSRC2:TGID_X_EN: 1
; COMPUTE_PGM_RSRC2:TGID_Y_EN: 0
; COMPUTE_PGM_RSRC2:TGID_Z_EN: 0
; COMPUTE_PGM_RSRC2:TIDIG_COMP_CNT: 0
	.section	.text._ZN7rocprim17ROCPRIM_400000_NS6detail17trampoline_kernelINS0_14default_configENS1_35radix_sort_onesweep_config_selectorIflEEZNS1_34radix_sort_onesweep_global_offsetsIS3_Lb0EPfN6thrust23THRUST_200600_302600_NS10device_ptrIlEEjNS0_19identity_decomposerEEE10hipError_tT1_T2_PT3_SG_jT4_jjP12ihipStream_tbEUlT_E_NS1_11comp_targetILNS1_3genE2ELNS1_11target_archE906ELNS1_3gpuE6ELNS1_3repE0EEENS1_52radix_sort_onesweep_histogram_config_static_selectorELNS0_4arch9wavefront6targetE1EEEvSE_,"axG",@progbits,_ZN7rocprim17ROCPRIM_400000_NS6detail17trampoline_kernelINS0_14default_configENS1_35radix_sort_onesweep_config_selectorIflEEZNS1_34radix_sort_onesweep_global_offsetsIS3_Lb0EPfN6thrust23THRUST_200600_302600_NS10device_ptrIlEEjNS0_19identity_decomposerEEE10hipError_tT1_T2_PT3_SG_jT4_jjP12ihipStream_tbEUlT_E_NS1_11comp_targetILNS1_3genE2ELNS1_11target_archE906ELNS1_3gpuE6ELNS1_3repE0EEENS1_52radix_sort_onesweep_histogram_config_static_selectorELNS0_4arch9wavefront6targetE1EEEvSE_,comdat
	.protected	_ZN7rocprim17ROCPRIM_400000_NS6detail17trampoline_kernelINS0_14default_configENS1_35radix_sort_onesweep_config_selectorIflEEZNS1_34radix_sort_onesweep_global_offsetsIS3_Lb0EPfN6thrust23THRUST_200600_302600_NS10device_ptrIlEEjNS0_19identity_decomposerEEE10hipError_tT1_T2_PT3_SG_jT4_jjP12ihipStream_tbEUlT_E_NS1_11comp_targetILNS1_3genE2ELNS1_11target_archE906ELNS1_3gpuE6ELNS1_3repE0EEENS1_52radix_sort_onesweep_histogram_config_static_selectorELNS0_4arch9wavefront6targetE1EEEvSE_ ; -- Begin function _ZN7rocprim17ROCPRIM_400000_NS6detail17trampoline_kernelINS0_14default_configENS1_35radix_sort_onesweep_config_selectorIflEEZNS1_34radix_sort_onesweep_global_offsetsIS3_Lb0EPfN6thrust23THRUST_200600_302600_NS10device_ptrIlEEjNS0_19identity_decomposerEEE10hipError_tT1_T2_PT3_SG_jT4_jjP12ihipStream_tbEUlT_E_NS1_11comp_targetILNS1_3genE2ELNS1_11target_archE906ELNS1_3gpuE6ELNS1_3repE0EEENS1_52radix_sort_onesweep_histogram_config_static_selectorELNS0_4arch9wavefront6targetE1EEEvSE_
	.globl	_ZN7rocprim17ROCPRIM_400000_NS6detail17trampoline_kernelINS0_14default_configENS1_35radix_sort_onesweep_config_selectorIflEEZNS1_34radix_sort_onesweep_global_offsetsIS3_Lb0EPfN6thrust23THRUST_200600_302600_NS10device_ptrIlEEjNS0_19identity_decomposerEEE10hipError_tT1_T2_PT3_SG_jT4_jjP12ihipStream_tbEUlT_E_NS1_11comp_targetILNS1_3genE2ELNS1_11target_archE906ELNS1_3gpuE6ELNS1_3repE0EEENS1_52radix_sort_onesweep_histogram_config_static_selectorELNS0_4arch9wavefront6targetE1EEEvSE_
	.p2align	8
	.type	_ZN7rocprim17ROCPRIM_400000_NS6detail17trampoline_kernelINS0_14default_configENS1_35radix_sort_onesweep_config_selectorIflEEZNS1_34radix_sort_onesweep_global_offsetsIS3_Lb0EPfN6thrust23THRUST_200600_302600_NS10device_ptrIlEEjNS0_19identity_decomposerEEE10hipError_tT1_T2_PT3_SG_jT4_jjP12ihipStream_tbEUlT_E_NS1_11comp_targetILNS1_3genE2ELNS1_11target_archE906ELNS1_3gpuE6ELNS1_3repE0EEENS1_52radix_sort_onesweep_histogram_config_static_selectorELNS0_4arch9wavefront6targetE1EEEvSE_,@function
_ZN7rocprim17ROCPRIM_400000_NS6detail17trampoline_kernelINS0_14default_configENS1_35radix_sort_onesweep_config_selectorIflEEZNS1_34radix_sort_onesweep_global_offsetsIS3_Lb0EPfN6thrust23THRUST_200600_302600_NS10device_ptrIlEEjNS0_19identity_decomposerEEE10hipError_tT1_T2_PT3_SG_jT4_jjP12ihipStream_tbEUlT_E_NS1_11comp_targetILNS1_3genE2ELNS1_11target_archE906ELNS1_3gpuE6ELNS1_3repE0EEENS1_52radix_sort_onesweep_histogram_config_static_selectorELNS0_4arch9wavefront6targetE1EEEvSE_: ; @_ZN7rocprim17ROCPRIM_400000_NS6detail17trampoline_kernelINS0_14default_configENS1_35radix_sort_onesweep_config_selectorIflEEZNS1_34radix_sort_onesweep_global_offsetsIS3_Lb0EPfN6thrust23THRUST_200600_302600_NS10device_ptrIlEEjNS0_19identity_decomposerEEE10hipError_tT1_T2_PT3_SG_jT4_jjP12ihipStream_tbEUlT_E_NS1_11comp_targetILNS1_3genE2ELNS1_11target_archE906ELNS1_3gpuE6ELNS1_3repE0EEENS1_52radix_sort_onesweep_histogram_config_static_selectorELNS0_4arch9wavefront6targetE1EEEvSE_
; %bb.0:
	s_load_dword s7, s[4:5], 0x14
	s_load_dwordx4 s[8:11], s[4:5], 0x0
	s_load_dwordx2 s[2:3], s[4:5], 0x1c
	s_lshl_b32 s12, s6, 12
	s_mov_b64 s[0:1], -1
	s_waitcnt lgkmcnt(0)
	s_cmp_ge_u32 s6, s7
	s_cbranch_scc0 .LBB1819_161
; %bb.1:
	s_load_dword s4, s[4:5], 0x10
	s_lshl_b32 s5, s7, 12
	s_mov_b32 s13, 0
	s_lshl_b64 s[0:1], s[12:13], 2
	v_mov_b32_e32 v1, 0
	s_waitcnt lgkmcnt(0)
	s_sub_i32 s13, s4, s5
	s_add_u32 s0, s8, s0
	v_cmp_gt_u32_e32 vcc, s13, v0
	s_addc_u32 s1, s9, s1
	v_mov_b32_e32 v2, v1
	v_mov_b32_e32 v3, v1
	;; [unrolled: 1-line block ×7, first 2 shown]
	s_and_saveexec_b64 s[4:5], vcc
	s_cbranch_execz .LBB1819_3
; %bb.2:
	v_lshlrev_b32_e32 v2, 2, v0
	global_load_dword v2, v2, s[0:1]
	v_mov_b32_e32 v3, v1
	v_mov_b32_e32 v4, v1
	;; [unrolled: 1-line block ×7, first 2 shown]
	s_waitcnt vmcnt(0)
	v_mov_b32_e32 v1, v2
	v_mov_b32_e32 v2, v3
	v_mov_b32_e32 v3, v4
	v_mov_b32_e32 v4, v5
	v_mov_b32_e32 v5, v6
	v_mov_b32_e32 v6, v7
	v_mov_b32_e32 v7, v8
	v_mov_b32_e32 v8, v9
.LBB1819_3:
	s_or_b64 exec, exec, s[4:5]
	v_or_b32_e32 v17, 0x200, v0
	v_cmp_gt_u32_e32 vcc, s13, v17
	s_and_saveexec_b64 s[4:5], vcc
	s_cbranch_execz .LBB1819_5
; %bb.4:
	v_lshlrev_b32_e32 v2, 2, v0
	global_load_dword v2, v2, s[0:1] offset:2048
.LBB1819_5:
	s_or_b64 exec, exec, s[4:5]
	v_or_b32_e32 v16, 0x400, v0
	v_cmp_gt_u32_e32 vcc, s13, v16
	s_and_saveexec_b64 s[4:5], vcc
	s_cbranch_execz .LBB1819_7
; %bb.6:
	v_lshlrev_b32_e32 v3, 2, v16
	global_load_dword v3, v3, s[0:1]
.LBB1819_7:
	s_or_b64 exec, exec, s[4:5]
	v_or_b32_e32 v15, 0x600, v0
	v_cmp_gt_u32_e32 vcc, s13, v15
	s_and_saveexec_b64 s[4:5], vcc
	s_cbranch_execz .LBB1819_9
; %bb.8:
	v_lshlrev_b32_e32 v4, 2, v15
	global_load_dword v4, v4, s[0:1]
.LBB1819_9:
	;; [unrolled: 9-line block ×5, first 2 shown]
	s_or_b64 exec, exec, s[4:5]
	v_or_b32_e32 v11, 0xe00, v0
	s_movk_i32 s6, 0xe00
	v_cmp_gt_u32_e32 vcc, s13, v11
	s_and_saveexec_b64 s[4:5], vcc
	s_cbranch_execz .LBB1819_17
; %bb.16:
	v_lshlrev_b32_e32 v8, 2, v11
	global_load_dword v8, v8, s[0:1]
.LBB1819_17:
	s_or_b64 exec, exec, s[4:5]
	v_lshlrev_b32_e32 v9, 2, v0
	v_mov_b32_e32 v10, 0
	v_cmp_gt_u32_e32 vcc, s6, v12
	ds_write2st64_b32 v9, v10, v10 offset1:8
	ds_write2st64_b32 v9, v10, v10 offset0:16 offset1:24
	ds_write2st64_b32 v9, v10, v10 offset0:32 offset1:40
	ds_write_b32 v9, v10 offset:12288
	s_and_saveexec_b64 s[0:1], vcc
; %bb.18:
	ds_write_b32 v9, v10 offset:14336
; %bb.19:
	s_or_b64 exec, exec, s[0:1]
	v_bfrev_b32_e32 v18, 1
	v_cmp_lt_i32_e32 vcc, -1, v1
	v_cndmask_b32_e32 v19, -1, v18, vcc
	v_xor_b32_e32 v1, v19, v1
	s_brev_b32 s0, -2
	s_cmp_le_u32 s3, s2
	v_cmp_ne_u32_e64 s[0:1], s0, v1
	s_cselect_b64 s[4:5], -1, 0
	v_cndmask_b32_e64 v1, v18, v1, s[0:1]
	s_and_b64 s[0:1], s[4:5], exec
	v_cmp_le_u32_e32 vcc, s13, v0
	s_cselect_b32 s18, 8, 10
	v_and_b32_e32 v10, 3, v0
	s_nor_b64 s[6:7], s[4:5], vcc
	v_mov_b32_e32 v18, s18
	s_waitcnt vmcnt(0) lgkmcnt(0)
	s_barrier
	s_and_saveexec_b64 s[0:1], s[6:7]
	s_cbranch_execz .LBB1819_21
; %bb.20:
	s_sub_i32 s6, s3, s2
	s_min_u32 s6, s6, 8
	v_lshrrev_b32_e32 v18, s2, v1
	v_bfe_u32 v18, v18, 0, s6
	v_lshlrev_b32_e32 v19, 2, v10
	v_lshl_or_b32 v18, v18, 4, v19
	v_mov_b32_e32 v19, 1
	ds_add_u32 v18, v19
	v_mov_b32_e32 v18, 0
.LBB1819_21:
	s_or_b64 exec, exec, s[0:1]
	v_cmp_gt_i32_e64 s[0:1], 10, v18
	s_mov_b64 s[14:15], -1
	s_and_saveexec_b64 s[6:7], s[0:1]
; %bb.22:
	v_cmp_eq_u32_e64 s[0:1], 0, v18
	s_orn2_b64 s[14:15], s[0:1], exec
; %bb.23:
	s_or_b64 exec, exec, s[6:7]
	s_and_saveexec_b64 s[6:7], s[14:15]
	s_cbranch_execz .LBB1819_36
; %bb.24:
	s_add_i32 s14, s2, 8
	s_cmp_le_u32 s3, s14
	s_cselect_b64 s[0:1], -1, 0
	s_and_b64 s[16:17], s[0:1], exec
	s_cselect_b32 s15, 8, 10
	s_nor_b64 s[16:17], s[0:1], vcc
	v_mov_b32_e32 v18, s15
	s_and_saveexec_b64 s[0:1], s[16:17]
	s_cbranch_execz .LBB1819_26
; %bb.25:
	s_sub_i32 s15, s3, s14
	s_min_u32 s15, s15, 8
	v_lshrrev_b32_e32 v18, s14, v1
	v_bfe_u32 v18, v18, 0, s15
	v_lshlrev_b32_e32 v19, 2, v10
	v_lshl_or_b32 v18, v18, 4, v19
	v_mov_b32_e32 v19, 1
	ds_add_u32 v18, v19 offset:4096
	v_mov_b32_e32 v18, 0
.LBB1819_26:
	s_or_b64 exec, exec, s[0:1]
	v_cmp_gt_i32_e64 s[0:1], 10, v18
	s_mov_b64 s[14:15], -1
	s_and_saveexec_b64 s[16:17], s[0:1]
; %bb.27:
	v_cmp_eq_u32_e64 s[0:1], 0, v18
	s_orn2_b64 s[14:15], s[0:1], exec
; %bb.28:
	s_or_b64 exec, exec, s[16:17]
	s_and_b64 exec, exec, s[14:15]
	s_cbranch_execz .LBB1819_36
; %bb.29:
	s_add_i32 s14, s2, 16
	s_cmp_le_u32 s3, s14
	s_cselect_b64 s[0:1], -1, 0
	s_and_b64 s[16:17], s[0:1], exec
	s_cselect_b32 s15, 8, 10
	s_nor_b64 s[16:17], s[0:1], vcc
	v_mov_b32_e32 v18, s15
	s_and_saveexec_b64 s[0:1], s[16:17]
	s_cbranch_execz .LBB1819_31
; %bb.30:
	s_sub_i32 s15, s3, s14
	s_min_u32 s15, s15, 8
	v_lshrrev_b32_e32 v18, s14, v1
	v_bfe_u32 v18, v18, 0, s15
	v_lshlrev_b32_e32 v19, 2, v10
	v_lshl_or_b32 v18, v18, 4, v19
	v_mov_b32_e32 v19, 1
	ds_add_u32 v18, v19 offset:8192
	v_mov_b32_e32 v18, 0
.LBB1819_31:
	s_or_b64 exec, exec, s[0:1]
	v_cmp_gt_i32_e64 s[0:1], 10, v18
	s_mov_b64 s[14:15], -1
	s_and_saveexec_b64 s[16:17], s[0:1]
; %bb.32:
	v_cmp_eq_u32_e64 s[0:1], 0, v18
	s_orn2_b64 s[14:15], s[0:1], exec
; %bb.33:
	s_or_b64 exec, exec, s[16:17]
	s_and_b64 exec, exec, s[14:15]
	s_cbranch_execz .LBB1819_36
; %bb.34:
	s_add_i32 s0, s2, 24
	s_cmp_gt_u32 s3, s0
	s_cselect_b64 s[14:15], -1, 0
	s_xor_b64 s[16:17], vcc, -1
	s_and_b64 s[14:15], s[14:15], s[16:17]
	s_and_b64 exec, exec, s[14:15]
	s_cbranch_execz .LBB1819_36
; %bb.35:
	s_sub_i32 s1, s3, s0
	s_min_u32 s1, s1, 8
	v_lshrrev_b32_e32 v1, s0, v1
	v_bfe_u32 v1, v1, 0, s1
	v_lshlrev_b32_e32 v18, 2, v10
	v_lshl_or_b32 v1, v1, 4, v18
	v_mov_b32_e32 v18, 1
	ds_add_u32 v1, v18 offset:12288
.LBB1819_36:
	s_or_b64 exec, exec, s[6:7]
	v_bfrev_b32_e32 v1, 1
	v_cmp_lt_i32_e32 vcc, -1, v2
	v_cndmask_b32_e32 v18, -1, v1, vcc
	v_xor_b32_e32 v2, v18, v2
	s_brev_b32 s0, -2
	v_cmp_le_u32_e32 vcc, s13, v17
	v_cmp_ne_u32_e64 s[0:1], s0, v2
	v_cndmask_b32_e64 v1, v1, v2, s[0:1]
	s_nor_b64 s[6:7], s[4:5], vcc
	v_mov_b32_e32 v2, s18
	s_and_saveexec_b64 s[0:1], s[6:7]
	s_cbranch_execz .LBB1819_38
; %bb.37:
	s_sub_i32 s6, s3, s2
	s_min_u32 s6, s6, 8
	v_lshrrev_b32_e32 v2, s2, v1
	v_bfe_u32 v2, v2, 0, s6
	v_lshlrev_b32_e32 v17, 2, v10
	v_lshl_or_b32 v2, v2, 4, v17
	v_mov_b32_e32 v17, 1
	ds_add_u32 v2, v17
	v_mov_b32_e32 v2, 0
.LBB1819_38:
	s_or_b64 exec, exec, s[0:1]
	v_cmp_gt_i32_e64 s[0:1], 10, v2
	s_mov_b64 s[14:15], -1
	s_and_saveexec_b64 s[6:7], s[0:1]
; %bb.39:
	v_cmp_eq_u32_e64 s[0:1], 0, v2
	s_orn2_b64 s[14:15], s[0:1], exec
; %bb.40:
	s_or_b64 exec, exec, s[6:7]
	s_and_saveexec_b64 s[6:7], s[14:15]
	s_cbranch_execz .LBB1819_53
; %bb.41:
	s_add_i32 s14, s2, 8
	s_cmp_le_u32 s3, s14
	s_cselect_b64 s[0:1], -1, 0
	s_and_b64 s[16:17], s[0:1], exec
	s_cselect_b32 s15, 8, 10
	s_nor_b64 s[16:17], s[0:1], vcc
	v_mov_b32_e32 v2, s15
	s_and_saveexec_b64 s[0:1], s[16:17]
	s_cbranch_execz .LBB1819_43
; %bb.42:
	s_sub_i32 s15, s3, s14
	s_min_u32 s15, s15, 8
	v_lshrrev_b32_e32 v2, s14, v1
	v_bfe_u32 v2, v2, 0, s15
	v_lshlrev_b32_e32 v17, 2, v10
	v_lshl_or_b32 v2, v2, 4, v17
	v_mov_b32_e32 v17, 1
	ds_add_u32 v2, v17 offset:4096
	v_mov_b32_e32 v2, 0
.LBB1819_43:
	s_or_b64 exec, exec, s[0:1]
	v_cmp_gt_i32_e64 s[0:1], 10, v2
	s_mov_b64 s[14:15], -1
	s_and_saveexec_b64 s[16:17], s[0:1]
; %bb.44:
	v_cmp_eq_u32_e64 s[0:1], 0, v2
	s_orn2_b64 s[14:15], s[0:1], exec
; %bb.45:
	s_or_b64 exec, exec, s[16:17]
	s_and_b64 exec, exec, s[14:15]
	s_cbranch_execz .LBB1819_53
; %bb.46:
	s_add_i32 s14, s2, 16
	s_cmp_le_u32 s3, s14
	s_cselect_b64 s[0:1], -1, 0
	s_and_b64 s[16:17], s[0:1], exec
	s_cselect_b32 s15, 8, 10
	s_nor_b64 s[16:17], s[0:1], vcc
	v_mov_b32_e32 v2, s15
	s_and_saveexec_b64 s[0:1], s[16:17]
	s_cbranch_execz .LBB1819_48
; %bb.47:
	s_sub_i32 s15, s3, s14
	s_min_u32 s15, s15, 8
	v_lshrrev_b32_e32 v2, s14, v1
	v_bfe_u32 v2, v2, 0, s15
	v_lshlrev_b32_e32 v17, 2, v10
	v_lshl_or_b32 v2, v2, 4, v17
	v_mov_b32_e32 v17, 1
	ds_add_u32 v2, v17 offset:8192
	v_mov_b32_e32 v2, 0
.LBB1819_48:
	s_or_b64 exec, exec, s[0:1]
	v_cmp_gt_i32_e64 s[0:1], 10, v2
	s_mov_b64 s[14:15], -1
	s_and_saveexec_b64 s[16:17], s[0:1]
; %bb.49:
	v_cmp_eq_u32_e64 s[0:1], 0, v2
	s_orn2_b64 s[14:15], s[0:1], exec
; %bb.50:
	s_or_b64 exec, exec, s[16:17]
	s_and_b64 exec, exec, s[14:15]
	s_cbranch_execz .LBB1819_53
; %bb.51:
	s_add_i32 s0, s2, 24
	s_cmp_gt_u32 s3, s0
	s_cselect_b64 s[14:15], -1, 0
	s_xor_b64 s[16:17], vcc, -1
	s_and_b64 s[14:15], s[14:15], s[16:17]
	s_and_b64 exec, exec, s[14:15]
	s_cbranch_execz .LBB1819_53
; %bb.52:
	s_sub_i32 s1, s3, s0
	s_min_u32 s1, s1, 8
	v_lshrrev_b32_e32 v1, s0, v1
	v_bfe_u32 v1, v1, 0, s1
	v_lshlrev_b32_e32 v2, 2, v10
	v_lshl_or_b32 v1, v1, 4, v2
	v_mov_b32_e32 v2, 1
	ds_add_u32 v1, v2 offset:12288
.LBB1819_53:
	s_or_b64 exec, exec, s[6:7]
	v_bfrev_b32_e32 v1, 1
	v_cmp_lt_i32_e32 vcc, -1, v3
	v_cndmask_b32_e32 v2, -1, v1, vcc
	v_xor_b32_e32 v2, v2, v3
	s_brev_b32 s0, -2
	v_cmp_le_u32_e32 vcc, s13, v16
	v_cmp_ne_u32_e64 s[0:1], s0, v2
	v_cndmask_b32_e64 v1, v1, v2, s[0:1]
	s_nor_b64 s[6:7], s[4:5], vcc
	v_mov_b32_e32 v2, s18
	s_and_saveexec_b64 s[0:1], s[6:7]
	s_cbranch_execz .LBB1819_55
; %bb.54:
	s_sub_i32 s6, s3, s2
	s_min_u32 s6, s6, 8
	v_lshrrev_b32_e32 v2, s2, v1
	v_bfe_u32 v2, v2, 0, s6
	v_lshlrev_b32_e32 v3, 2, v10
	v_lshl_or_b32 v2, v2, 4, v3
	v_mov_b32_e32 v3, 1
	ds_add_u32 v2, v3
	v_mov_b32_e32 v2, 0
.LBB1819_55:
	s_or_b64 exec, exec, s[0:1]
	v_cmp_gt_i32_e64 s[0:1], 10, v2
	s_mov_b64 s[14:15], -1
	s_and_saveexec_b64 s[6:7], s[0:1]
; %bb.56:
	v_cmp_eq_u32_e64 s[0:1], 0, v2
	s_orn2_b64 s[14:15], s[0:1], exec
; %bb.57:
	s_or_b64 exec, exec, s[6:7]
	s_and_saveexec_b64 s[6:7], s[14:15]
	s_cbranch_execz .LBB1819_70
; %bb.58:
	s_add_i32 s14, s2, 8
	s_cmp_le_u32 s3, s14
	s_cselect_b64 s[0:1], -1, 0
	s_and_b64 s[16:17], s[0:1], exec
	s_cselect_b32 s15, 8, 10
	s_nor_b64 s[16:17], s[0:1], vcc
	v_mov_b32_e32 v2, s15
	s_and_saveexec_b64 s[0:1], s[16:17]
	s_cbranch_execz .LBB1819_60
; %bb.59:
	s_sub_i32 s15, s3, s14
	s_min_u32 s15, s15, 8
	v_lshrrev_b32_e32 v2, s14, v1
	v_bfe_u32 v2, v2, 0, s15
	v_lshlrev_b32_e32 v3, 2, v10
	v_lshl_or_b32 v2, v2, 4, v3
	v_mov_b32_e32 v3, 1
	ds_add_u32 v2, v3 offset:4096
	v_mov_b32_e32 v2, 0
.LBB1819_60:
	s_or_b64 exec, exec, s[0:1]
	v_cmp_gt_i32_e64 s[0:1], 10, v2
	s_mov_b64 s[14:15], -1
	s_and_saveexec_b64 s[16:17], s[0:1]
; %bb.61:
	v_cmp_eq_u32_e64 s[0:1], 0, v2
	s_orn2_b64 s[14:15], s[0:1], exec
; %bb.62:
	s_or_b64 exec, exec, s[16:17]
	s_and_b64 exec, exec, s[14:15]
	s_cbranch_execz .LBB1819_70
; %bb.63:
	s_add_i32 s14, s2, 16
	s_cmp_le_u32 s3, s14
	s_cselect_b64 s[0:1], -1, 0
	s_and_b64 s[16:17], s[0:1], exec
	s_cselect_b32 s15, 8, 10
	s_nor_b64 s[16:17], s[0:1], vcc
	v_mov_b32_e32 v2, s15
	s_and_saveexec_b64 s[0:1], s[16:17]
	s_cbranch_execz .LBB1819_65
; %bb.64:
	s_sub_i32 s15, s3, s14
	s_min_u32 s15, s15, 8
	v_lshrrev_b32_e32 v2, s14, v1
	v_bfe_u32 v2, v2, 0, s15
	v_lshlrev_b32_e32 v3, 2, v10
	v_lshl_or_b32 v2, v2, 4, v3
	v_mov_b32_e32 v3, 1
	ds_add_u32 v2, v3 offset:8192
	v_mov_b32_e32 v2, 0
.LBB1819_65:
	s_or_b64 exec, exec, s[0:1]
	v_cmp_gt_i32_e64 s[0:1], 10, v2
	s_mov_b64 s[14:15], -1
	s_and_saveexec_b64 s[16:17], s[0:1]
; %bb.66:
	v_cmp_eq_u32_e64 s[0:1], 0, v2
	s_orn2_b64 s[14:15], s[0:1], exec
; %bb.67:
	s_or_b64 exec, exec, s[16:17]
	s_and_b64 exec, exec, s[14:15]
	s_cbranch_execz .LBB1819_70
; %bb.68:
	s_add_i32 s0, s2, 24
	s_cmp_gt_u32 s3, s0
	s_cselect_b64 s[14:15], -1, 0
	s_xor_b64 s[16:17], vcc, -1
	s_and_b64 s[14:15], s[14:15], s[16:17]
	s_and_b64 exec, exec, s[14:15]
	s_cbranch_execz .LBB1819_70
; %bb.69:
	s_sub_i32 s1, s3, s0
	s_min_u32 s1, s1, 8
	v_lshrrev_b32_e32 v1, s0, v1
	v_bfe_u32 v1, v1, 0, s1
	v_lshlrev_b32_e32 v2, 2, v10
	v_lshl_or_b32 v1, v1, 4, v2
	v_mov_b32_e32 v2, 1
	ds_add_u32 v1, v2 offset:12288
.LBB1819_70:
	s_or_b64 exec, exec, s[6:7]
	v_bfrev_b32_e32 v1, 1
	v_cmp_lt_i32_e32 vcc, -1, v4
	v_cndmask_b32_e32 v2, -1, v1, vcc
	v_xor_b32_e32 v2, v2, v4
	s_brev_b32 s0, -2
	v_cmp_le_u32_e32 vcc, s13, v15
	v_cmp_ne_u32_e64 s[0:1], s0, v2
	v_cndmask_b32_e64 v1, v1, v2, s[0:1]
	s_nor_b64 s[6:7], s[4:5], vcc
	v_mov_b32_e32 v2, s18
	s_and_saveexec_b64 s[0:1], s[6:7]
	s_cbranch_execz .LBB1819_72
; %bb.71:
	s_sub_i32 s6, s3, s2
	s_min_u32 s6, s6, 8
	v_lshrrev_b32_e32 v2, s2, v1
	v_bfe_u32 v2, v2, 0, s6
	v_lshlrev_b32_e32 v3, 2, v10
	v_lshl_or_b32 v2, v2, 4, v3
	v_mov_b32_e32 v3, 1
	ds_add_u32 v2, v3
	v_mov_b32_e32 v2, 0
.LBB1819_72:
	s_or_b64 exec, exec, s[0:1]
	v_cmp_gt_i32_e64 s[0:1], 10, v2
	s_mov_b64 s[14:15], -1
	s_and_saveexec_b64 s[6:7], s[0:1]
; %bb.73:
	v_cmp_eq_u32_e64 s[0:1], 0, v2
	s_orn2_b64 s[14:15], s[0:1], exec
; %bb.74:
	s_or_b64 exec, exec, s[6:7]
	s_and_saveexec_b64 s[6:7], s[14:15]
	s_cbranch_execz .LBB1819_87
; %bb.75:
	s_add_i32 s14, s2, 8
	s_cmp_le_u32 s3, s14
	s_cselect_b64 s[0:1], -1, 0
	s_and_b64 s[16:17], s[0:1], exec
	s_cselect_b32 s15, 8, 10
	s_nor_b64 s[16:17], s[0:1], vcc
	v_mov_b32_e32 v2, s15
	s_and_saveexec_b64 s[0:1], s[16:17]
	s_cbranch_execz .LBB1819_77
; %bb.76:
	s_sub_i32 s15, s3, s14
	s_min_u32 s15, s15, 8
	v_lshrrev_b32_e32 v2, s14, v1
	v_bfe_u32 v2, v2, 0, s15
	v_lshlrev_b32_e32 v3, 2, v10
	v_lshl_or_b32 v2, v2, 4, v3
	v_mov_b32_e32 v3, 1
	ds_add_u32 v2, v3 offset:4096
	v_mov_b32_e32 v2, 0
.LBB1819_77:
	s_or_b64 exec, exec, s[0:1]
	v_cmp_gt_i32_e64 s[0:1], 10, v2
	s_mov_b64 s[14:15], -1
	s_and_saveexec_b64 s[16:17], s[0:1]
; %bb.78:
	v_cmp_eq_u32_e64 s[0:1], 0, v2
	s_orn2_b64 s[14:15], s[0:1], exec
; %bb.79:
	s_or_b64 exec, exec, s[16:17]
	s_and_b64 exec, exec, s[14:15]
	s_cbranch_execz .LBB1819_87
; %bb.80:
	s_add_i32 s14, s2, 16
	s_cmp_le_u32 s3, s14
	s_cselect_b64 s[0:1], -1, 0
	s_and_b64 s[16:17], s[0:1], exec
	s_cselect_b32 s15, 8, 10
	s_nor_b64 s[16:17], s[0:1], vcc
	v_mov_b32_e32 v2, s15
	s_and_saveexec_b64 s[0:1], s[16:17]
	s_cbranch_execz .LBB1819_82
; %bb.81:
	s_sub_i32 s15, s3, s14
	s_min_u32 s15, s15, 8
	v_lshrrev_b32_e32 v2, s14, v1
	v_bfe_u32 v2, v2, 0, s15
	v_lshlrev_b32_e32 v3, 2, v10
	v_lshl_or_b32 v2, v2, 4, v3
	v_mov_b32_e32 v3, 1
	ds_add_u32 v2, v3 offset:8192
	v_mov_b32_e32 v2, 0
.LBB1819_82:
	s_or_b64 exec, exec, s[0:1]
	v_cmp_gt_i32_e64 s[0:1], 10, v2
	s_mov_b64 s[14:15], -1
	s_and_saveexec_b64 s[16:17], s[0:1]
; %bb.83:
	v_cmp_eq_u32_e64 s[0:1], 0, v2
	s_orn2_b64 s[14:15], s[0:1], exec
; %bb.84:
	s_or_b64 exec, exec, s[16:17]
	s_and_b64 exec, exec, s[14:15]
	s_cbranch_execz .LBB1819_87
; %bb.85:
	s_add_i32 s0, s2, 24
	s_cmp_gt_u32 s3, s0
	s_cselect_b64 s[14:15], -1, 0
	s_xor_b64 s[16:17], vcc, -1
	s_and_b64 s[14:15], s[14:15], s[16:17]
	s_and_b64 exec, exec, s[14:15]
	s_cbranch_execz .LBB1819_87
; %bb.86:
	s_sub_i32 s1, s3, s0
	s_min_u32 s1, s1, 8
	v_lshrrev_b32_e32 v1, s0, v1
	v_bfe_u32 v1, v1, 0, s1
	v_lshlrev_b32_e32 v2, 2, v10
	v_lshl_or_b32 v1, v1, 4, v2
	v_mov_b32_e32 v2, 1
	ds_add_u32 v1, v2 offset:12288
.LBB1819_87:
	s_or_b64 exec, exec, s[6:7]
	v_bfrev_b32_e32 v1, 1
	v_cmp_lt_i32_e32 vcc, -1, v5
	v_cndmask_b32_e32 v2, -1, v1, vcc
	v_xor_b32_e32 v2, v2, v5
	s_brev_b32 s0, -2
	v_cmp_le_u32_e32 vcc, s13, v14
	v_cmp_ne_u32_e64 s[0:1], s0, v2
	v_cndmask_b32_e64 v1, v1, v2, s[0:1]
	s_nor_b64 s[6:7], s[4:5], vcc
	v_mov_b32_e32 v2, s18
	s_and_saveexec_b64 s[0:1], s[6:7]
	s_cbranch_execz .LBB1819_89
; %bb.88:
	s_sub_i32 s6, s3, s2
	s_min_u32 s6, s6, 8
	v_lshrrev_b32_e32 v2, s2, v1
	v_bfe_u32 v2, v2, 0, s6
	v_lshlrev_b32_e32 v3, 2, v10
	v_lshl_or_b32 v2, v2, 4, v3
	v_mov_b32_e32 v3, 1
	ds_add_u32 v2, v3
	v_mov_b32_e32 v2, 0
.LBB1819_89:
	s_or_b64 exec, exec, s[0:1]
	v_cmp_gt_i32_e64 s[0:1], 10, v2
	s_mov_b64 s[14:15], -1
	s_and_saveexec_b64 s[6:7], s[0:1]
; %bb.90:
	v_cmp_eq_u32_e64 s[0:1], 0, v2
	s_orn2_b64 s[14:15], s[0:1], exec
; %bb.91:
	s_or_b64 exec, exec, s[6:7]
	s_and_saveexec_b64 s[6:7], s[14:15]
	s_cbranch_execz .LBB1819_104
; %bb.92:
	s_add_i32 s14, s2, 8
	s_cmp_le_u32 s3, s14
	s_cselect_b64 s[0:1], -1, 0
	s_and_b64 s[16:17], s[0:1], exec
	s_cselect_b32 s15, 8, 10
	s_nor_b64 s[16:17], s[0:1], vcc
	v_mov_b32_e32 v2, s15
	s_and_saveexec_b64 s[0:1], s[16:17]
	s_cbranch_execz .LBB1819_94
; %bb.93:
	s_sub_i32 s15, s3, s14
	s_min_u32 s15, s15, 8
	v_lshrrev_b32_e32 v2, s14, v1
	v_bfe_u32 v2, v2, 0, s15
	v_lshlrev_b32_e32 v3, 2, v10
	v_lshl_or_b32 v2, v2, 4, v3
	v_mov_b32_e32 v3, 1
	ds_add_u32 v2, v3 offset:4096
	v_mov_b32_e32 v2, 0
.LBB1819_94:
	s_or_b64 exec, exec, s[0:1]
	v_cmp_gt_i32_e64 s[0:1], 10, v2
	s_mov_b64 s[14:15], -1
	s_and_saveexec_b64 s[16:17], s[0:1]
; %bb.95:
	v_cmp_eq_u32_e64 s[0:1], 0, v2
	s_orn2_b64 s[14:15], s[0:1], exec
; %bb.96:
	s_or_b64 exec, exec, s[16:17]
	s_and_b64 exec, exec, s[14:15]
	s_cbranch_execz .LBB1819_104
; %bb.97:
	s_add_i32 s14, s2, 16
	s_cmp_le_u32 s3, s14
	s_cselect_b64 s[0:1], -1, 0
	s_and_b64 s[16:17], s[0:1], exec
	s_cselect_b32 s15, 8, 10
	s_nor_b64 s[16:17], s[0:1], vcc
	v_mov_b32_e32 v2, s15
	s_and_saveexec_b64 s[0:1], s[16:17]
	s_cbranch_execz .LBB1819_99
; %bb.98:
	s_sub_i32 s15, s3, s14
	s_min_u32 s15, s15, 8
	v_lshrrev_b32_e32 v2, s14, v1
	v_bfe_u32 v2, v2, 0, s15
	v_lshlrev_b32_e32 v3, 2, v10
	v_lshl_or_b32 v2, v2, 4, v3
	v_mov_b32_e32 v3, 1
	ds_add_u32 v2, v3 offset:8192
	v_mov_b32_e32 v2, 0
.LBB1819_99:
	s_or_b64 exec, exec, s[0:1]
	v_cmp_gt_i32_e64 s[0:1], 10, v2
	s_mov_b64 s[14:15], -1
	s_and_saveexec_b64 s[16:17], s[0:1]
; %bb.100:
	v_cmp_eq_u32_e64 s[0:1], 0, v2
	s_orn2_b64 s[14:15], s[0:1], exec
; %bb.101:
	s_or_b64 exec, exec, s[16:17]
	s_and_b64 exec, exec, s[14:15]
	s_cbranch_execz .LBB1819_104
; %bb.102:
	s_add_i32 s0, s2, 24
	s_cmp_gt_u32 s3, s0
	s_cselect_b64 s[14:15], -1, 0
	s_xor_b64 s[16:17], vcc, -1
	s_and_b64 s[14:15], s[14:15], s[16:17]
	s_and_b64 exec, exec, s[14:15]
	s_cbranch_execz .LBB1819_104
; %bb.103:
	s_sub_i32 s1, s3, s0
	s_min_u32 s1, s1, 8
	v_lshrrev_b32_e32 v1, s0, v1
	v_bfe_u32 v1, v1, 0, s1
	v_lshlrev_b32_e32 v2, 2, v10
	v_lshl_or_b32 v1, v1, 4, v2
	v_mov_b32_e32 v2, 1
	ds_add_u32 v1, v2 offset:12288
.LBB1819_104:
	s_or_b64 exec, exec, s[6:7]
	v_bfrev_b32_e32 v1, 1
	v_cmp_lt_i32_e32 vcc, -1, v6
	v_cndmask_b32_e32 v2, -1, v1, vcc
	v_xor_b32_e32 v2, v2, v6
	s_brev_b32 s0, -2
	v_cmp_le_u32_e32 vcc, s13, v13
	v_cmp_ne_u32_e64 s[0:1], s0, v2
	v_cndmask_b32_e64 v1, v1, v2, s[0:1]
	s_nor_b64 s[6:7], s[4:5], vcc
	v_mov_b32_e32 v2, s18
	s_and_saveexec_b64 s[0:1], s[6:7]
	s_cbranch_execz .LBB1819_106
; %bb.105:
	s_sub_i32 s6, s3, s2
	s_min_u32 s6, s6, 8
	v_lshrrev_b32_e32 v2, s2, v1
	v_bfe_u32 v2, v2, 0, s6
	v_lshlrev_b32_e32 v3, 2, v10
	v_lshl_or_b32 v2, v2, 4, v3
	v_mov_b32_e32 v3, 1
	ds_add_u32 v2, v3
	v_mov_b32_e32 v2, 0
.LBB1819_106:
	s_or_b64 exec, exec, s[0:1]
	v_cmp_gt_i32_e64 s[0:1], 10, v2
	s_mov_b64 s[14:15], -1
	s_and_saveexec_b64 s[6:7], s[0:1]
; %bb.107:
	v_cmp_eq_u32_e64 s[0:1], 0, v2
	s_orn2_b64 s[14:15], s[0:1], exec
; %bb.108:
	s_or_b64 exec, exec, s[6:7]
	s_and_saveexec_b64 s[6:7], s[14:15]
	s_cbranch_execz .LBB1819_121
; %bb.109:
	s_add_i32 s14, s2, 8
	s_cmp_le_u32 s3, s14
	s_cselect_b64 s[0:1], -1, 0
	s_and_b64 s[16:17], s[0:1], exec
	s_cselect_b32 s15, 8, 10
	s_nor_b64 s[16:17], s[0:1], vcc
	v_mov_b32_e32 v2, s15
	s_and_saveexec_b64 s[0:1], s[16:17]
	s_cbranch_execz .LBB1819_111
; %bb.110:
	s_sub_i32 s15, s3, s14
	s_min_u32 s15, s15, 8
	v_lshrrev_b32_e32 v2, s14, v1
	v_bfe_u32 v2, v2, 0, s15
	v_lshlrev_b32_e32 v3, 2, v10
	v_lshl_or_b32 v2, v2, 4, v3
	v_mov_b32_e32 v3, 1
	ds_add_u32 v2, v3 offset:4096
	v_mov_b32_e32 v2, 0
.LBB1819_111:
	s_or_b64 exec, exec, s[0:1]
	v_cmp_gt_i32_e64 s[0:1], 10, v2
	s_mov_b64 s[14:15], -1
	s_and_saveexec_b64 s[16:17], s[0:1]
; %bb.112:
	v_cmp_eq_u32_e64 s[0:1], 0, v2
	s_orn2_b64 s[14:15], s[0:1], exec
; %bb.113:
	s_or_b64 exec, exec, s[16:17]
	s_and_b64 exec, exec, s[14:15]
	s_cbranch_execz .LBB1819_121
; %bb.114:
	s_add_i32 s14, s2, 16
	s_cmp_le_u32 s3, s14
	s_cselect_b64 s[0:1], -1, 0
	s_and_b64 s[16:17], s[0:1], exec
	s_cselect_b32 s15, 8, 10
	s_nor_b64 s[16:17], s[0:1], vcc
	v_mov_b32_e32 v2, s15
	s_and_saveexec_b64 s[0:1], s[16:17]
	s_cbranch_execz .LBB1819_116
; %bb.115:
	s_sub_i32 s15, s3, s14
	s_min_u32 s15, s15, 8
	v_lshrrev_b32_e32 v2, s14, v1
	v_bfe_u32 v2, v2, 0, s15
	v_lshlrev_b32_e32 v3, 2, v10
	v_lshl_or_b32 v2, v2, 4, v3
	v_mov_b32_e32 v3, 1
	ds_add_u32 v2, v3 offset:8192
	v_mov_b32_e32 v2, 0
.LBB1819_116:
	s_or_b64 exec, exec, s[0:1]
	v_cmp_gt_i32_e64 s[0:1], 10, v2
	s_mov_b64 s[14:15], -1
	s_and_saveexec_b64 s[16:17], s[0:1]
; %bb.117:
	v_cmp_eq_u32_e64 s[0:1], 0, v2
	s_orn2_b64 s[14:15], s[0:1], exec
; %bb.118:
	s_or_b64 exec, exec, s[16:17]
	s_and_b64 exec, exec, s[14:15]
	s_cbranch_execz .LBB1819_121
; %bb.119:
	s_add_i32 s0, s2, 24
	s_cmp_gt_u32 s3, s0
	s_cselect_b64 s[14:15], -1, 0
	s_xor_b64 s[16:17], vcc, -1
	s_and_b64 s[14:15], s[14:15], s[16:17]
	s_and_b64 exec, exec, s[14:15]
	s_cbranch_execz .LBB1819_121
; %bb.120:
	s_sub_i32 s1, s3, s0
	s_min_u32 s1, s1, 8
	v_lshrrev_b32_e32 v1, s0, v1
	v_bfe_u32 v1, v1, 0, s1
	v_lshlrev_b32_e32 v2, 2, v10
	v_lshl_or_b32 v1, v1, 4, v2
	v_mov_b32_e32 v2, 1
	ds_add_u32 v1, v2 offset:12288
.LBB1819_121:
	s_or_b64 exec, exec, s[6:7]
	v_bfrev_b32_e32 v1, 1
	v_cmp_lt_i32_e32 vcc, -1, v7
	v_cndmask_b32_e32 v2, -1, v1, vcc
	v_xor_b32_e32 v2, v2, v7
	s_brev_b32 s0, -2
	v_cmp_le_u32_e32 vcc, s13, v12
	v_cmp_ne_u32_e64 s[0:1], s0, v2
	v_cndmask_b32_e64 v1, v1, v2, s[0:1]
	s_nor_b64 s[6:7], s[4:5], vcc
	v_mov_b32_e32 v2, s18
	s_and_saveexec_b64 s[0:1], s[6:7]
	s_cbranch_execz .LBB1819_123
; %bb.122:
	s_sub_i32 s6, s3, s2
	s_min_u32 s6, s6, 8
	v_lshrrev_b32_e32 v2, s2, v1
	v_bfe_u32 v2, v2, 0, s6
	v_lshlrev_b32_e32 v3, 2, v10
	v_lshl_or_b32 v2, v2, 4, v3
	v_mov_b32_e32 v3, 1
	ds_add_u32 v2, v3
	v_mov_b32_e32 v2, 0
.LBB1819_123:
	s_or_b64 exec, exec, s[0:1]
	v_cmp_gt_i32_e64 s[0:1], 10, v2
	s_mov_b64 s[14:15], -1
	s_and_saveexec_b64 s[6:7], s[0:1]
; %bb.124:
	v_cmp_eq_u32_e64 s[0:1], 0, v2
	s_orn2_b64 s[14:15], s[0:1], exec
; %bb.125:
	s_or_b64 exec, exec, s[6:7]
	s_and_saveexec_b64 s[6:7], s[14:15]
	s_cbranch_execz .LBB1819_138
; %bb.126:
	s_add_i32 s14, s2, 8
	s_cmp_le_u32 s3, s14
	s_cselect_b64 s[0:1], -1, 0
	s_and_b64 s[16:17], s[0:1], exec
	s_cselect_b32 s15, 8, 10
	s_nor_b64 s[16:17], s[0:1], vcc
	v_mov_b32_e32 v2, s15
	s_and_saveexec_b64 s[0:1], s[16:17]
	s_cbranch_execz .LBB1819_128
; %bb.127:
	s_sub_i32 s15, s3, s14
	s_min_u32 s15, s15, 8
	v_lshrrev_b32_e32 v2, s14, v1
	v_bfe_u32 v2, v2, 0, s15
	v_lshlrev_b32_e32 v3, 2, v10
	v_lshl_or_b32 v2, v2, 4, v3
	v_mov_b32_e32 v3, 1
	ds_add_u32 v2, v3 offset:4096
	v_mov_b32_e32 v2, 0
.LBB1819_128:
	s_or_b64 exec, exec, s[0:1]
	v_cmp_gt_i32_e64 s[0:1], 10, v2
	s_mov_b64 s[14:15], -1
	s_and_saveexec_b64 s[16:17], s[0:1]
; %bb.129:
	v_cmp_eq_u32_e64 s[0:1], 0, v2
	s_orn2_b64 s[14:15], s[0:1], exec
; %bb.130:
	s_or_b64 exec, exec, s[16:17]
	s_and_b64 exec, exec, s[14:15]
	s_cbranch_execz .LBB1819_138
; %bb.131:
	s_add_i32 s14, s2, 16
	s_cmp_le_u32 s3, s14
	s_cselect_b64 s[0:1], -1, 0
	s_and_b64 s[16:17], s[0:1], exec
	s_cselect_b32 s15, 8, 10
	s_nor_b64 s[16:17], s[0:1], vcc
	v_mov_b32_e32 v2, s15
	s_and_saveexec_b64 s[0:1], s[16:17]
	s_cbranch_execz .LBB1819_133
; %bb.132:
	s_sub_i32 s15, s3, s14
	s_min_u32 s15, s15, 8
	v_lshrrev_b32_e32 v2, s14, v1
	v_bfe_u32 v2, v2, 0, s15
	v_lshlrev_b32_e32 v3, 2, v10
	v_lshl_or_b32 v2, v2, 4, v3
	v_mov_b32_e32 v3, 1
	ds_add_u32 v2, v3 offset:8192
	v_mov_b32_e32 v2, 0
.LBB1819_133:
	s_or_b64 exec, exec, s[0:1]
	v_cmp_gt_i32_e64 s[0:1], 10, v2
	s_mov_b64 s[14:15], -1
	s_and_saveexec_b64 s[16:17], s[0:1]
; %bb.134:
	v_cmp_eq_u32_e64 s[0:1], 0, v2
	s_orn2_b64 s[14:15], s[0:1], exec
; %bb.135:
	s_or_b64 exec, exec, s[16:17]
	s_and_b64 exec, exec, s[14:15]
	s_cbranch_execz .LBB1819_138
; %bb.136:
	s_add_i32 s0, s2, 24
	s_cmp_gt_u32 s3, s0
	s_cselect_b64 s[14:15], -1, 0
	s_xor_b64 s[16:17], vcc, -1
	s_and_b64 s[14:15], s[14:15], s[16:17]
	s_and_b64 exec, exec, s[14:15]
	s_cbranch_execz .LBB1819_138
; %bb.137:
	s_sub_i32 s1, s3, s0
	s_min_u32 s1, s1, 8
	v_lshrrev_b32_e32 v1, s0, v1
	v_bfe_u32 v1, v1, 0, s1
	v_lshlrev_b32_e32 v2, 2, v10
	v_lshl_or_b32 v1, v1, 4, v2
	v_mov_b32_e32 v2, 1
	ds_add_u32 v1, v2 offset:12288
.LBB1819_138:
	s_or_b64 exec, exec, s[6:7]
	v_bfrev_b32_e32 v1, 1
	v_cmp_lt_i32_e32 vcc, -1, v8
	v_cndmask_b32_e32 v2, -1, v1, vcc
	v_xor_b32_e32 v2, v2, v8
	s_brev_b32 s0, -2
	v_cmp_le_u32_e32 vcc, s13, v11
	v_cmp_ne_u32_e64 s[0:1], s0, v2
	v_cndmask_b32_e64 v1, v1, v2, s[0:1]
	s_nor_b64 s[4:5], s[4:5], vcc
	v_mov_b32_e32 v2, s18
	s_and_saveexec_b64 s[0:1], s[4:5]
	s_cbranch_execz .LBB1819_140
; %bb.139:
	s_sub_i32 s4, s3, s2
	s_min_u32 s4, s4, 8
	v_lshrrev_b32_e32 v2, s2, v1
	v_bfe_u32 v2, v2, 0, s4
	v_lshlrev_b32_e32 v3, 2, v10
	v_lshl_or_b32 v2, v2, 4, v3
	v_mov_b32_e32 v3, 1
	ds_add_u32 v2, v3
	v_mov_b32_e32 v2, 0
.LBB1819_140:
	s_or_b64 exec, exec, s[0:1]
	v_cmp_gt_i32_e64 s[0:1], 10, v2
	s_mov_b64 s[6:7], -1
	s_and_saveexec_b64 s[4:5], s[0:1]
; %bb.141:
	v_cmp_eq_u32_e64 s[0:1], 0, v2
	s_orn2_b64 s[6:7], s[0:1], exec
; %bb.142:
	s_or_b64 exec, exec, s[4:5]
	s_and_saveexec_b64 s[4:5], s[6:7]
	s_cbranch_execz .LBB1819_155
; %bb.143:
	s_add_i32 s6, s2, 8
	s_cmp_le_u32 s3, s6
	s_cselect_b64 s[0:1], -1, 0
	s_and_b64 s[14:15], s[0:1], exec
	s_cselect_b32 s7, 8, 10
	s_nor_b64 s[14:15], s[0:1], vcc
	v_mov_b32_e32 v2, s7
	s_and_saveexec_b64 s[0:1], s[14:15]
	s_cbranch_execz .LBB1819_145
; %bb.144:
	s_sub_i32 s7, s3, s6
	s_min_u32 s7, s7, 8
	v_lshrrev_b32_e32 v2, s6, v1
	v_bfe_u32 v2, v2, 0, s7
	v_lshlrev_b32_e32 v3, 2, v10
	v_lshl_or_b32 v2, v2, 4, v3
	v_mov_b32_e32 v3, 1
	ds_add_u32 v2, v3 offset:4096
	v_mov_b32_e32 v2, 0
.LBB1819_145:
	s_or_b64 exec, exec, s[0:1]
	v_cmp_gt_i32_e64 s[0:1], 10, v2
	s_mov_b64 s[6:7], -1
	s_and_saveexec_b64 s[14:15], s[0:1]
; %bb.146:
	v_cmp_eq_u32_e64 s[0:1], 0, v2
	s_orn2_b64 s[6:7], s[0:1], exec
; %bb.147:
	s_or_b64 exec, exec, s[14:15]
	s_and_b64 exec, exec, s[6:7]
	s_cbranch_execz .LBB1819_155
; %bb.148:
	s_add_i32 s6, s2, 16
	s_cmp_le_u32 s3, s6
	s_cselect_b64 s[0:1], -1, 0
	s_and_b64 s[14:15], s[0:1], exec
	s_cselect_b32 s7, 8, 10
	s_nor_b64 s[14:15], s[0:1], vcc
	v_mov_b32_e32 v2, s7
	s_and_saveexec_b64 s[0:1], s[14:15]
	s_cbranch_execz .LBB1819_150
; %bb.149:
	s_sub_i32 s7, s3, s6
	s_min_u32 s7, s7, 8
	v_lshrrev_b32_e32 v2, s6, v1
	v_bfe_u32 v2, v2, 0, s7
	v_lshlrev_b32_e32 v3, 2, v10
	v_lshl_or_b32 v2, v2, 4, v3
	v_mov_b32_e32 v3, 1
	ds_add_u32 v2, v3 offset:8192
	v_mov_b32_e32 v2, 0
.LBB1819_150:
	s_or_b64 exec, exec, s[0:1]
	v_cmp_gt_i32_e64 s[0:1], 10, v2
	s_mov_b64 s[6:7], -1
	s_and_saveexec_b64 s[14:15], s[0:1]
; %bb.151:
	v_cmp_eq_u32_e64 s[0:1], 0, v2
	s_orn2_b64 s[6:7], s[0:1], exec
; %bb.152:
	s_or_b64 exec, exec, s[14:15]
	s_and_b64 exec, exec, s[6:7]
	s_cbranch_execz .LBB1819_155
; %bb.153:
	s_add_i32 s0, s2, 24
	s_cmp_gt_u32 s3, s0
	s_cselect_b64 s[6:7], -1, 0
	s_xor_b64 s[14:15], vcc, -1
	s_and_b64 s[6:7], s[6:7], s[14:15]
	s_and_b64 exec, exec, s[6:7]
	s_cbranch_execz .LBB1819_155
; %bb.154:
	s_sub_i32 s1, s3, s0
	s_min_u32 s1, s1, 8
	v_lshrrev_b32_e32 v1, s0, v1
	v_bfe_u32 v1, v1, 0, s1
	v_lshlrev_b32_e32 v2, 2, v10
	v_lshl_or_b32 v1, v1, 4, v2
	v_mov_b32_e32 v2, 1
	ds_add_u32 v1, v2 offset:12288
.LBB1819_155:
	s_or_b64 exec, exec, s[4:5]
	s_cmp_gt_u32 s3, s2
	s_waitcnt lgkmcnt(0)
	s_barrier
	s_cbranch_scc0 .LBB1819_160
; %bb.156:
	s_movk_i32 s0, 0x100
	v_cmp_gt_u32_e32 vcc, s0, v0
	v_mad_u32_u24 v3, v0, 12, v9
	v_mov_b32_e32 v2, 0
	v_mov_b32_e32 v1, v0
	s_mov_b32 s6, s2
	s_branch .LBB1819_158
.LBB1819_157:                           ;   in Loop: Header=BB1819_158 Depth=1
	s_or_b64 exec, exec, s[4:5]
	s_add_i32 s6, s6, 8
	v_add_u32_e32 v1, 0x100, v1
	s_cmp_lt_u32 s6, s3
	v_add_u32_e32 v3, 0x1000, v3
	s_cbranch_scc0 .LBB1819_160
.LBB1819_158:                           ; =>This Inner Loop Header: Depth=1
	s_and_saveexec_b64 s[4:5], vcc
	s_cbranch_execz .LBB1819_157
; %bb.159:                              ;   in Loop: Header=BB1819_158 Depth=1
	ds_read2_b32 v[4:5], v3 offset1:1
	ds_read2_b32 v[6:7], v3 offset0:2 offset1:3
	v_lshlrev_b64 v[8:9], 2, v[1:2]
	v_mov_b32_e32 v10, s11
	s_waitcnt lgkmcnt(1)
	v_add_u32_e32 v4, v5, v4
	s_waitcnt lgkmcnt(0)
	v_add3_u32 v6, v4, v6, v7
	v_add_co_u32_e64 v4, s[0:1], s10, v8
	v_addc_co_u32_e64 v5, s[0:1], v10, v9, s[0:1]
	global_atomic_add v[4:5], v6, off
	s_branch .LBB1819_157
.LBB1819_160:
	s_mov_b64 s[0:1], 0
.LBB1819_161:
	s_and_b64 vcc, exec, s[0:1]
	s_cbranch_vccz .LBB1819_225
; %bb.162:
	s_cmp_lg_u32 s2, 0
	s_cselect_b64 s[0:1], -1, 0
	s_cmp_lg_u32 s3, 32
	s_mov_b32 s13, 0
	s_cselect_b64 s[4:5], -1, 0
	s_or_b64 s[4:5], s[0:1], s[4:5]
	s_lshl_b64 s[0:1], s[12:13], 2
	s_add_u32 s0, s8, s0
	s_addc_u32 s1, s9, s1
	v_lshlrev_b32_e32 v3, 2, v0
	v_mov_b32_e32 v1, s1
	v_add_co_u32_e32 v4, vcc, s0, v3
	v_addc_co_u32_e32 v5, vcc, 0, v1, vcc
	s_movk_i32 s6, 0x1000
	v_add_co_u32_e32 v1, vcc, s6, v4
	v_addc_co_u32_e32 v2, vcc, 0, v5, vcc
	v_add_co_u32_e32 v12, vcc, 0x2000, v4
	v_addc_co_u32_e32 v13, vcc, 0, v5, vcc
	;; [unrolled: 2-line block ×3, first 2 shown]
	global_load_dword v11, v3, s[0:1]
	global_load_dword v10, v3, s[0:1] offset:2048
	global_load_dword v9, v[1:2], off
	global_load_dword v8, v[1:2], off offset:2048
	global_load_dword v7, v[12:13], off
	global_load_dword v5, v[12:13], off offset:2048
	;; [unrolled: 2-line block ×3, first 2 shown]
	v_mov_b32_e32 v1, 0
	s_mov_b64 s[0:1], -1
	s_and_b64 vcc, exec, s[4:5]
	s_cbranch_vccz .LBB1819_220
; %bb.163:
	v_or_b32_e32 v2, 0xc00, v0
	s_movk_i32 s0, 0xe00
	v_cmp_gt_u32_e32 vcc, s0, v2
	ds_write2st64_b32 v3, v1, v1 offset1:8
	ds_write2st64_b32 v3, v1, v1 offset0:16 offset1:24
	ds_write2st64_b32 v3, v1, v1 offset0:32 offset1:40
	ds_write_b32 v3, v1 offset:12288
	s_and_saveexec_b64 s[0:1], vcc
; %bb.164:
	v_mov_b32_e32 v1, 0
	ds_write_b32 v3, v1 offset:14336
; %bb.165:
	s_or_b64 exec, exec, s[0:1]
	s_cmp_gt_u32 s3, s2
	s_cselect_b64 s[0:1], -1, 0
	s_and_b64 vcc, exec, s[0:1]
	s_waitcnt vmcnt(0) lgkmcnt(0)
	s_barrier
	s_cbranch_vccz .LBB1819_214
; %bb.166:
	v_bfrev_b32_e32 v14, 1
	v_cmp_lt_i32_e32 vcc, -1, v11
	v_cndmask_b32_e32 v1, -1, v14, vcc
	v_xor_b32_e32 v2, v1, v11
	v_cmp_lt_i32_e32 vcc, -1, v10
	s_brev_b32 s6, -2
	s_sub_i32 s4, s3, s2
	v_cndmask_b32_e32 v1, -1, v14, vcc
	v_cmp_ne_u32_e32 vcc, s6, v2
	s_min_u32 s4, s4, 8
	v_cndmask_b32_e32 v13, v14, v2, vcc
	s_lshl_b32 s4, -1, s4
	v_xor_b32_e32 v12, v1, v10
	v_and_b32_e32 v1, 3, v0
	s_not_b32 s12, s4
	v_lshrrev_b32_e32 v2, s2, v13
	v_and_b32_e32 v15, s12, v2
	v_lshlrev_b32_e32 v2, 2, v1
	v_lshl_or_b32 v15, v15, 4, v2
	v_mov_b32_e32 v16, 1
	ds_add_u32 v15, v16
	s_add_i32 s13, s2, 8
	s_cmp_le_u32 s3, s13
	s_cselect_b64 s[4:5], -1, 0
	s_and_b64 vcc, exec, s[4:5]
	s_cbranch_vccz .LBB1819_168
; %bb.167:
	v_cmp_ne_u32_e32 vcc, s6, v12
	v_cndmask_b32_e32 v14, v14, v12, vcc
	v_lshrrev_b32_e32 v14, s2, v14
	v_and_b32_e32 v14, s12, v14
	v_lshlrev_b32_e32 v14, 4, v14
	s_mov_b64 s[6:7], -1
	s_cbranch_execz .LBB1819_169
	s_branch .LBB1819_176
.LBB1819_168:
	s_mov_b64 s[6:7], 0
                                        ; implicit-def: $vgpr14
.LBB1819_169:
	s_sub_i32 s8, s3, s13
	s_min_u32 s8, s8, 8
	s_lshl_b32 s8, -1, s8
	s_not_b32 s15, s8
	v_lshrrev_b32_e32 v14, s13, v13
	v_and_b32_e32 v14, s15, v14
	v_lshl_or_b32 v15, v14, 4, v2
	v_mov_b32_e32 v14, 1
	ds_add_u32 v15, v14 offset:4096
	s_add_i32 s14, s2, 16
	s_cmp_gt_u32 s3, s14
	s_cselect_b64 s[8:9], -1, 0
	s_cmp_le_u32 s3, s14
	s_cbranch_scc1 .LBB1819_172
; %bb.170:
	s_sub_i32 s16, s3, s14
	s_min_u32 s16, s16, 8
	v_lshrrev_b32_e32 v15, s14, v13
	v_bfe_u32 v15, v15, 0, s16
	v_lshl_or_b32 v15, v15, 4, v2
	ds_add_u32 v15, v14 offset:8192
	s_add_i32 s16, s2, 24
	s_cmp_le_u32 s3, s16
	s_cbranch_scc1 .LBB1819_172
; %bb.171:
	s_sub_i32 s17, s3, s16
	s_min_u32 s17, s17, 8
	v_lshrrev_b32_e32 v13, s16, v13
	v_bfe_u32 v13, v13, 0, s17
	v_lshl_or_b32 v13, v13, 4, v2
	v_mov_b32_e32 v15, 1
	ds_add_u32 v13, v15 offset:12288
.LBB1819_172:
	s_brev_b32 s16, -2
	v_bfrev_b32_e32 v13, 1
	v_cmp_ne_u32_e32 vcc, s16, v12
	v_cndmask_b32_e32 v12, v13, v12, vcc
	v_lshrrev_b32_e32 v13, s2, v12
	v_and_b32_e32 v13, s12, v13
	v_lshl_or_b32 v13, v13, 4, v2
	ds_add_u32 v13, v14
	v_lshrrev_b32_e32 v13, s13, v12
	v_and_b32_e32 v13, s15, v13
	v_lshl_or_b32 v13, v13, 4, v2
	ds_add_u32 v13, v14 offset:4096
	s_andn2_b64 vcc, exec, s[8:9]
	s_cbranch_vccnz .LBB1819_175
; %bb.173:
	s_sub_i32 s8, s3, s14
	s_min_u32 s8, s8, 8
	v_lshrrev_b32_e32 v13, s14, v12
	v_bfe_u32 v13, v13, 0, s8
	v_lshl_or_b32 v13, v13, 4, v2
	v_mov_b32_e32 v14, 1
	ds_add_u32 v13, v14 offset:8192
	s_add_i32 s8, s2, 24
	s_cmp_gt_u32 s3, s8
                                        ; implicit-def: $vgpr14
	s_cbranch_scc0 .LBB1819_176
; %bb.174:
	s_sub_i32 s6, s3, s8
	s_min_u32 s6, s6, 8
	v_lshrrev_b32_e32 v12, s8, v12
	v_bfe_u32 v12, v12, 0, s6
	v_mov_b32_e32 v13, 0x3000
	v_lshl_add_u32 v14, v12, 4, v13
	s_mov_b64 s[6:7], -1
	s_branch .LBB1819_176
.LBB1819_175:
                                        ; implicit-def: $vgpr14
.LBB1819_176:
	s_and_b64 vcc, exec, s[6:7]
	s_cbranch_vccz .LBB1819_178
; %bb.177:
	v_lshl_add_u32 v12, v1, 2, v14
	v_mov_b32_e32 v13, 1
	ds_add_u32 v12, v13
.LBB1819_178:
	v_bfrev_b32_e32 v14, 1
	v_cmp_lt_i32_e32 vcc, -1, v9
	v_cndmask_b32_e32 v12, -1, v14, vcc
	v_xor_b32_e32 v12, v12, v9
	v_cmp_lt_i32_e32 vcc, -1, v8
	s_brev_b32 s6, -2
	v_cndmask_b32_e32 v15, -1, v14, vcc
	v_cmp_ne_u32_e32 vcc, s6, v12
	v_cndmask_b32_e32 v13, v14, v12, vcc
	v_lshrrev_b32_e32 v12, s2, v13
	v_and_b32_e32 v12, s12, v12
	v_lshl_or_b32 v12, v12, 4, v2
	v_mov_b32_e32 v16, 1
	ds_add_u32 v12, v16
	v_xor_b32_e32 v12, v15, v8
	s_and_b64 vcc, exec, s[4:5]
	s_cbranch_vccz .LBB1819_180
; %bb.179:
	v_cmp_ne_u32_e32 vcc, s6, v12
	v_cndmask_b32_e32 v14, v14, v12, vcc
	v_lshrrev_b32_e32 v14, s2, v14
	v_and_b32_e32 v14, s12, v14
	v_lshlrev_b32_e32 v14, 4, v14
	s_mov_b64 s[6:7], -1
	s_cbranch_execz .LBB1819_181
	s_branch .LBB1819_188
.LBB1819_180:
	s_mov_b64 s[6:7], 0
                                        ; implicit-def: $vgpr14
.LBB1819_181:
	s_sub_i32 s8, s3, s13
	s_min_u32 s8, s8, 8
	s_lshl_b32 s8, -1, s8
	s_not_b32 s15, s8
	v_lshrrev_b32_e32 v14, s13, v13
	v_and_b32_e32 v14, s15, v14
	v_lshl_or_b32 v15, v14, 4, v2
	v_mov_b32_e32 v14, 1
	ds_add_u32 v15, v14 offset:4096
	s_add_i32 s14, s2, 16
	s_cmp_gt_u32 s3, s14
	s_cselect_b64 s[8:9], -1, 0
	s_cmp_le_u32 s3, s14
	s_cbranch_scc1 .LBB1819_184
; %bb.182:
	s_sub_i32 s16, s3, s14
	s_min_u32 s16, s16, 8
	v_lshrrev_b32_e32 v15, s14, v13
	v_bfe_u32 v15, v15, 0, s16
	v_lshl_or_b32 v15, v15, 4, v2
	ds_add_u32 v15, v14 offset:8192
	s_add_i32 s16, s2, 24
	s_cmp_le_u32 s3, s16
	s_cbranch_scc1 .LBB1819_184
; %bb.183:
	s_sub_i32 s17, s3, s16
	s_min_u32 s17, s17, 8
	v_lshrrev_b32_e32 v13, s16, v13
	v_bfe_u32 v13, v13, 0, s17
	v_lshl_or_b32 v13, v13, 4, v2
	v_mov_b32_e32 v15, 1
	ds_add_u32 v13, v15 offset:12288
.LBB1819_184:
	s_brev_b32 s16, -2
	v_bfrev_b32_e32 v13, 1
	v_cmp_ne_u32_e32 vcc, s16, v12
	v_cndmask_b32_e32 v12, v13, v12, vcc
	v_lshrrev_b32_e32 v13, s2, v12
	v_and_b32_e32 v13, s12, v13
	v_lshl_or_b32 v13, v13, 4, v2
	ds_add_u32 v13, v14
	v_lshrrev_b32_e32 v13, s13, v12
	v_and_b32_e32 v13, s15, v13
	v_lshl_or_b32 v13, v13, 4, v2
	ds_add_u32 v13, v14 offset:4096
	s_andn2_b64 vcc, exec, s[8:9]
	s_cbranch_vccnz .LBB1819_187
; %bb.185:
	s_sub_i32 s8, s3, s14
	s_min_u32 s8, s8, 8
	v_lshrrev_b32_e32 v13, s14, v12
	v_bfe_u32 v13, v13, 0, s8
	v_lshl_or_b32 v13, v13, 4, v2
	v_mov_b32_e32 v14, 1
	ds_add_u32 v13, v14 offset:8192
	s_add_i32 s8, s2, 24
	s_cmp_gt_u32 s3, s8
                                        ; implicit-def: $vgpr14
	s_cbranch_scc0 .LBB1819_188
; %bb.186:
	s_sub_i32 s6, s3, s8
	s_min_u32 s6, s6, 8
	v_lshrrev_b32_e32 v12, s8, v12
	v_bfe_u32 v12, v12, 0, s6
	v_mov_b32_e32 v13, 0x3000
	v_lshl_add_u32 v14, v12, 4, v13
	s_mov_b64 s[6:7], -1
	s_branch .LBB1819_188
.LBB1819_187:
                                        ; implicit-def: $vgpr14
.LBB1819_188:
	s_and_b64 vcc, exec, s[6:7]
	s_cbranch_vccz .LBB1819_190
; %bb.189:
	v_lshl_add_u32 v12, v1, 2, v14
	v_mov_b32_e32 v13, 1
	ds_add_u32 v12, v13
.LBB1819_190:
	v_bfrev_b32_e32 v14, 1
	v_cmp_lt_i32_e32 vcc, -1, v7
	v_cndmask_b32_e32 v12, -1, v14, vcc
	v_xor_b32_e32 v12, v12, v7
	v_cmp_lt_i32_e32 vcc, -1, v5
	s_brev_b32 s6, -2
	v_cndmask_b32_e32 v15, -1, v14, vcc
	v_cmp_ne_u32_e32 vcc, s6, v12
	v_cndmask_b32_e32 v13, v14, v12, vcc
	v_lshrrev_b32_e32 v12, s2, v13
	v_and_b32_e32 v12, s12, v12
	v_lshl_or_b32 v12, v12, 4, v2
	v_mov_b32_e32 v16, 1
	ds_add_u32 v12, v16
	v_xor_b32_e32 v12, v15, v5
	s_and_b64 vcc, exec, s[4:5]
	s_cbranch_vccz .LBB1819_192
; %bb.191:
	v_cmp_ne_u32_e32 vcc, s6, v12
	v_cndmask_b32_e32 v14, v14, v12, vcc
	v_lshrrev_b32_e32 v14, s2, v14
	v_and_b32_e32 v14, s12, v14
	v_lshlrev_b32_e32 v14, 4, v14
	s_mov_b64 s[6:7], -1
	s_cbranch_execz .LBB1819_193
	s_branch .LBB1819_200
.LBB1819_192:
	s_mov_b64 s[6:7], 0
                                        ; implicit-def: $vgpr14
.LBB1819_193:
	s_sub_i32 s8, s3, s13
	s_min_u32 s8, s8, 8
	s_lshl_b32 s8, -1, s8
	s_not_b32 s15, s8
	v_lshrrev_b32_e32 v14, s13, v13
	v_and_b32_e32 v14, s15, v14
	v_lshl_or_b32 v15, v14, 4, v2
	v_mov_b32_e32 v14, 1
	ds_add_u32 v15, v14 offset:4096
	s_add_i32 s14, s2, 16
	s_cmp_gt_u32 s3, s14
	s_cselect_b64 s[8:9], -1, 0
	s_cmp_le_u32 s3, s14
	s_cbranch_scc1 .LBB1819_196
; %bb.194:
	s_sub_i32 s16, s3, s14
	s_min_u32 s16, s16, 8
	v_lshrrev_b32_e32 v15, s14, v13
	v_bfe_u32 v15, v15, 0, s16
	v_lshl_or_b32 v15, v15, 4, v2
	ds_add_u32 v15, v14 offset:8192
	s_add_i32 s16, s2, 24
	s_cmp_le_u32 s3, s16
	s_cbranch_scc1 .LBB1819_196
; %bb.195:
	s_sub_i32 s17, s3, s16
	s_min_u32 s17, s17, 8
	v_lshrrev_b32_e32 v13, s16, v13
	v_bfe_u32 v13, v13, 0, s17
	v_lshl_or_b32 v13, v13, 4, v2
	v_mov_b32_e32 v15, 1
	ds_add_u32 v13, v15 offset:12288
.LBB1819_196:
	s_brev_b32 s16, -2
	v_bfrev_b32_e32 v13, 1
	v_cmp_ne_u32_e32 vcc, s16, v12
	v_cndmask_b32_e32 v12, v13, v12, vcc
	v_lshrrev_b32_e32 v13, s2, v12
	v_and_b32_e32 v13, s12, v13
	v_lshl_or_b32 v13, v13, 4, v2
	ds_add_u32 v13, v14
	v_lshrrev_b32_e32 v13, s13, v12
	v_and_b32_e32 v13, s15, v13
	v_lshl_or_b32 v13, v13, 4, v2
	ds_add_u32 v13, v14 offset:4096
	s_andn2_b64 vcc, exec, s[8:9]
	s_cbranch_vccnz .LBB1819_199
; %bb.197:
	s_sub_i32 s8, s3, s14
	s_min_u32 s8, s8, 8
	v_lshrrev_b32_e32 v13, s14, v12
	v_bfe_u32 v13, v13, 0, s8
	v_lshl_or_b32 v13, v13, 4, v2
	v_mov_b32_e32 v14, 1
	ds_add_u32 v13, v14 offset:8192
	s_add_i32 s8, s2, 24
	s_cmp_gt_u32 s3, s8
                                        ; implicit-def: $vgpr14
	s_cbranch_scc0 .LBB1819_200
; %bb.198:
	s_sub_i32 s6, s3, s8
	s_min_u32 s6, s6, 8
	v_lshrrev_b32_e32 v12, s8, v12
	v_bfe_u32 v12, v12, 0, s6
	v_mov_b32_e32 v13, 0x3000
	v_lshl_add_u32 v14, v12, 4, v13
	s_mov_b64 s[6:7], -1
	s_branch .LBB1819_200
.LBB1819_199:
                                        ; implicit-def: $vgpr14
.LBB1819_200:
	s_and_b64 vcc, exec, s[6:7]
	s_cbranch_vccz .LBB1819_202
; %bb.201:
	v_lshl_add_u32 v12, v1, 2, v14
	v_mov_b32_e32 v13, 1
	ds_add_u32 v12, v13
.LBB1819_202:
	v_bfrev_b32_e32 v14, 1
	v_cmp_lt_i32_e32 vcc, -1, v6
	v_cndmask_b32_e32 v12, -1, v14, vcc
	v_xor_b32_e32 v12, v12, v6
	v_cmp_lt_i32_e32 vcc, -1, v4
	s_brev_b32 s6, -2
	v_cndmask_b32_e32 v15, -1, v14, vcc
	v_cmp_ne_u32_e32 vcc, s6, v12
	v_cndmask_b32_e32 v13, v14, v12, vcc
	v_lshrrev_b32_e32 v12, s2, v13
	v_and_b32_e32 v12, s12, v12
	v_lshl_or_b32 v12, v12, 4, v2
	v_mov_b32_e32 v16, 1
	ds_add_u32 v12, v16
	v_xor_b32_e32 v12, v15, v4
	s_and_b64 vcc, exec, s[4:5]
	s_cbranch_vccz .LBB1819_204
; %bb.203:
	v_cmp_ne_u32_e32 vcc, s6, v12
	v_cndmask_b32_e32 v14, v14, v12, vcc
	v_lshrrev_b32_e32 v14, s2, v14
	v_and_b32_e32 v14, s12, v14
	v_lshlrev_b32_e32 v14, 4, v14
	s_mov_b64 s[4:5], -1
	s_cbranch_execz .LBB1819_205
	s_branch .LBB1819_212
.LBB1819_204:
	s_mov_b64 s[4:5], 0
                                        ; implicit-def: $vgpr14
.LBB1819_205:
	s_sub_i32 s6, s3, s13
	s_min_u32 s6, s6, 8
	s_lshl_b32 s6, -1, s6
	s_not_b32 s9, s6
	v_lshrrev_b32_e32 v14, s13, v13
	v_and_b32_e32 v14, s9, v14
	v_lshl_or_b32 v15, v14, 4, v2
	v_mov_b32_e32 v14, 1
	ds_add_u32 v15, v14 offset:4096
	s_add_i32 s8, s2, 16
	s_cmp_gt_u32 s3, s8
	s_cselect_b64 s[6:7], -1, 0
	s_cmp_le_u32 s3, s8
	s_cbranch_scc1 .LBB1819_208
; %bb.206:
	s_sub_i32 s14, s3, s8
	s_min_u32 s14, s14, 8
	v_lshrrev_b32_e32 v15, s8, v13
	v_bfe_u32 v15, v15, 0, s14
	v_lshl_or_b32 v15, v15, 4, v2
	ds_add_u32 v15, v14 offset:8192
	s_add_i32 s14, s2, 24
	s_cmp_le_u32 s3, s14
	s_cbranch_scc1 .LBB1819_208
; %bb.207:
	s_sub_i32 s15, s3, s14
	s_min_u32 s15, s15, 8
	v_lshrrev_b32_e32 v13, s14, v13
	v_bfe_u32 v13, v13, 0, s15
	v_lshl_or_b32 v13, v13, 4, v2
	v_mov_b32_e32 v15, 1
	ds_add_u32 v13, v15 offset:12288
.LBB1819_208:
	s_brev_b32 s14, -2
	v_bfrev_b32_e32 v13, 1
	v_cmp_ne_u32_e32 vcc, s14, v12
	v_cndmask_b32_e32 v12, v13, v12, vcc
	v_lshrrev_b32_e32 v13, s2, v12
	v_and_b32_e32 v13, s12, v13
	v_lshl_or_b32 v13, v13, 4, v2
	ds_add_u32 v13, v14
	v_lshrrev_b32_e32 v13, s13, v12
	v_and_b32_e32 v13, s9, v13
	v_lshl_or_b32 v13, v13, 4, v2
	ds_add_u32 v13, v14 offset:4096
	s_andn2_b64 vcc, exec, s[6:7]
	s_cbranch_vccnz .LBB1819_211
; %bb.209:
	s_sub_i32 s6, s3, s8
	s_min_u32 s6, s6, 8
	v_lshrrev_b32_e32 v13, s8, v12
	v_bfe_u32 v13, v13, 0, s6
	v_lshl_or_b32 v2, v13, 4, v2
	v_mov_b32_e32 v13, 1
	ds_add_u32 v2, v13 offset:8192
	s_add_i32 s6, s2, 24
	s_cmp_gt_u32 s3, s6
                                        ; implicit-def: $vgpr14
	s_cbranch_scc0 .LBB1819_212
; %bb.210:
	s_sub_i32 s4, s3, s6
	s_min_u32 s4, s4, 8
	v_lshrrev_b32_e32 v2, s6, v12
	v_bfe_u32 v2, v2, 0, s4
	v_mov_b32_e32 v12, 0x3000
	v_lshl_add_u32 v14, v2, 4, v12
	s_mov_b64 s[4:5], -1
	s_branch .LBB1819_212
.LBB1819_211:
                                        ; implicit-def: $vgpr14
.LBB1819_212:
	s_and_b64 vcc, exec, s[4:5]
	s_cbranch_vccz .LBB1819_214
; %bb.213:
	v_lshl_add_u32 v1, v1, 2, v14
	v_mov_b32_e32 v2, 1
	ds_add_u32 v1, v2
.LBB1819_214:
	s_and_b64 vcc, exec, s[0:1]
	s_waitcnt lgkmcnt(0)
	s_barrier
	s_cbranch_vccz .LBB1819_219
; %bb.215:
	s_movk_i32 s0, 0x100
	v_cmp_gt_u32_e32 vcc, s0, v0
	v_lshlrev_b32_e32 v12, 4, v0
	v_mov_b32_e32 v2, 0
	v_mov_b32_e32 v1, v0
	s_branch .LBB1819_217
.LBB1819_216:                           ;   in Loop: Header=BB1819_217 Depth=1
	s_or_b64 exec, exec, s[4:5]
	s_add_i32 s2, s2, 8
	v_add_u32_e32 v1, 0x100, v1
	s_cmp_ge_u32 s2, s3
	v_add_u32_e32 v12, 0x1000, v12
	s_cbranch_scc1 .LBB1819_219
.LBB1819_217:                           ; =>This Inner Loop Header: Depth=1
	s_and_saveexec_b64 s[4:5], vcc
	s_cbranch_execz .LBB1819_216
; %bb.218:                              ;   in Loop: Header=BB1819_217 Depth=1
	ds_read2_b32 v[13:14], v12 offset1:1
	ds_read2_b32 v[15:16], v12 offset0:2 offset1:3
	v_lshlrev_b64 v[17:18], 2, v[1:2]
	v_mov_b32_e32 v19, s11
	s_waitcnt lgkmcnt(1)
	v_add_u32_e32 v13, v14, v13
	s_waitcnt lgkmcnt(0)
	v_add3_u32 v15, v13, v15, v16
	v_add_co_u32_e64 v13, s[0:1], s10, v17
	v_addc_co_u32_e64 v14, s[0:1], v19, v18, s[0:1]
	global_atomic_add v[13:14], v15, off
	s_branch .LBB1819_216
.LBB1819_219:
	s_mov_b64 s[0:1], 0
.LBB1819_220:
	s_and_b64 vcc, exec, s[0:1]
	s_cbranch_vccz .LBB1819_225
; %bb.221:
	v_or_b32_e32 v2, 0xc00, v0
	s_movk_i32 s0, 0xe00
	v_mov_b32_e32 v1, 0
	v_cmp_gt_u32_e32 vcc, s0, v2
	ds_write2st64_b32 v3, v1, v1 offset1:8
	ds_write2st64_b32 v3, v1, v1 offset0:16 offset1:24
	ds_write2st64_b32 v3, v1, v1 offset0:32 offset1:40
	ds_write_b32 v3, v1 offset:12288
	s_and_saveexec_b64 s[0:1], vcc
; %bb.222:
	ds_write_b32 v3, v1 offset:14336
; %bb.223:
	s_or_b64 exec, exec, s[0:1]
	v_bfrev_b32_e32 v1, 1
	s_waitcnt vmcnt(7)
	v_cmp_lt_i32_e32 vcc, -1, v11
	v_cndmask_b32_e32 v2, -1, v1, vcc
	s_waitcnt vmcnt(6)
	v_cmp_lt_i32_e32 vcc, -1, v10
	v_xor_b32_e32 v2, v2, v11
	v_cndmask_b32_e32 v11, -1, v1, vcc
	s_waitcnt vmcnt(5)
	v_cmp_lt_i32_e32 vcc, -1, v9
	v_xor_b32_e32 v10, v11, v10
	;; [unrolled: 4-line block ×6, first 2 shown]
	v_cndmask_b32_e32 v11, -1, v1, vcc
	s_waitcnt vmcnt(0)
	v_cmp_lt_i32_e32 vcc, -1, v4
	s_brev_b32 s0, -2
	v_xor_b32_e32 v6, v11, v6
	v_cndmask_b32_e32 v11, -1, v1, vcc
	v_cmp_ne_u32_e32 vcc, s0, v2
	v_xor_b32_e32 v4, v11, v4
	v_and_b32_e32 v11, 3, v0
	v_cndmask_b32_e32 v2, v1, v2, vcc
	v_lshlrev_b32_e32 v12, 4, v2
	v_lshlrev_b32_e32 v11, 2, v11
	s_movk_i32 s1, 0xff0
	v_and_or_b32 v12, v12, s1, v11
	v_mov_b32_e32 v13, 1
	s_waitcnt lgkmcnt(0)
	s_barrier
	ds_add_u32 v12, v13
	v_bfe_u32 v12, v2, 8, 8
	v_lshl_or_b32 v12, v12, 4, v11
	ds_add_u32 v12, v13 offset:4096
	v_bfe_u32 v12, v2, 16, 8
	v_lshl_or_b32 v12, v12, 4, v11
	v_lshrrev_b32_e32 v2, 24, v2
	ds_add_u32 v12, v13 offset:8192
	v_lshl_or_b32 v2, v2, 4, v11
	v_cmp_ne_u32_e32 vcc, s0, v10
	ds_add_u32 v2, v13 offset:12288
	v_cndmask_b32_e32 v2, v1, v10, vcc
	v_lshlrev_b32_e32 v10, 4, v2
	v_and_or_b32 v10, v10, s1, v11
	ds_add_u32 v10, v13
	v_bfe_u32 v10, v2, 8, 8
	v_lshl_or_b32 v10, v10, 4, v11
	ds_add_u32 v10, v13 offset:4096
	v_bfe_u32 v10, v2, 16, 8
	v_lshl_or_b32 v10, v10, 4, v11
	v_lshrrev_b32_e32 v2, 24, v2
	ds_add_u32 v10, v13 offset:8192
	v_lshl_or_b32 v2, v2, 4, v11
	v_cmp_ne_u32_e32 vcc, s0, v9
	ds_add_u32 v2, v13 offset:12288
	v_cndmask_b32_e32 v2, v1, v9, vcc
	v_lshlrev_b32_e32 v9, 4, v2
	v_and_or_b32 v9, v9, s1, v11
	;; [unrolled: 14-line block ×6, first 2 shown]
	ds_add_u32 v5, v13
	v_bfe_u32 v5, v2, 8, 8
	v_lshl_or_b32 v5, v5, 4, v11
	ds_add_u32 v5, v13 offset:4096
	v_bfe_u32 v5, v2, 16, 8
	v_lshl_or_b32 v5, v5, 4, v11
	v_lshrrev_b32_e32 v2, 24, v2
	v_cmp_ne_u32_e32 vcc, s0, v4
	ds_add_u32 v5, v13 offset:8192
	v_lshl_or_b32 v2, v2, 4, v11
	v_cndmask_b32_e32 v1, v1, v4, vcc
	ds_add_u32 v2, v13 offset:12288
	v_lshlrev_b32_e32 v2, 4, v1
	v_and_or_b32 v2, v2, s1, v11
	ds_add_u32 v2, v13
	v_bfe_u32 v2, v1, 8, 8
	v_lshl_or_b32 v2, v2, 4, v11
	ds_add_u32 v2, v13 offset:4096
	v_bfe_u32 v2, v1, 16, 8
	v_lshl_or_b32 v2, v2, 4, v11
	v_lshrrev_b32_e32 v1, 24, v1
	ds_add_u32 v2, v13 offset:8192
	v_lshl_or_b32 v1, v1, 4, v11
	ds_add_u32 v1, v13 offset:12288
	s_movk_i32 s0, 0x100
	v_cmp_gt_u32_e32 vcc, s0, v0
	s_waitcnt lgkmcnt(0)
	s_barrier
	s_and_saveexec_b64 s[0:1], vcc
	s_cbranch_execz .LBB1819_225
; %bb.224:
	v_lshlrev_b32_e32 v2, 4, v0
	ds_read2_b32 v[0:1], v2 offset1:1
	ds_read2_b32 v[4:5], v2 offset0:2 offset1:3
	v_add_u32_e32 v6, 0x1000, v2
	v_add_u32_e32 v7, 0x1008, v2
	s_waitcnt lgkmcnt(1)
	v_add_u32_e32 v0, v1, v0
	s_waitcnt lgkmcnt(0)
	v_add3_u32 v0, v0, v4, v5
	global_atomic_add v3, v0, s[10:11]
	ds_read2_b32 v[0:1], v6 offset1:1
	ds_read2_b32 v[4:5], v7 offset1:1
	v_or_b32_e32 v6, 0x2000, v2
	v_or_b32_e32 v7, 0x2008, v2
	s_waitcnt lgkmcnt(1)
	v_add_u32_e32 v0, v1, v0
	s_waitcnt lgkmcnt(0)
	v_add3_u32 v0, v0, v4, v5
	global_atomic_add v3, v0, s[10:11] offset:1024
	ds_read2_b32 v[0:1], v6 offset1:1
	ds_read2_b32 v[4:5], v7 offset1:1
	v_add_u32_e32 v6, 0x3000, v2
	v_add_u32_e32 v2, 0x3008, v2
	s_waitcnt lgkmcnt(1)
	v_add_u32_e32 v0, v1, v0
	s_waitcnt lgkmcnt(0)
	v_add3_u32 v0, v0, v4, v5
	global_atomic_add v3, v0, s[10:11] offset:2048
	ds_read2_b32 v[0:1], v6 offset1:1
	ds_read2_b32 v[4:5], v2 offset1:1
	s_waitcnt lgkmcnt(1)
	v_add_u32_e32 v0, v1, v0
	s_waitcnt lgkmcnt(0)
	v_add3_u32 v0, v0, v4, v5
	global_atomic_add v3, v0, s[10:11] offset:3072
.LBB1819_225:
	s_endpgm
	.section	.rodata,"a",@progbits
	.p2align	6, 0x0
	.amdhsa_kernel _ZN7rocprim17ROCPRIM_400000_NS6detail17trampoline_kernelINS0_14default_configENS1_35radix_sort_onesweep_config_selectorIflEEZNS1_34radix_sort_onesweep_global_offsetsIS3_Lb0EPfN6thrust23THRUST_200600_302600_NS10device_ptrIlEEjNS0_19identity_decomposerEEE10hipError_tT1_T2_PT3_SG_jT4_jjP12ihipStream_tbEUlT_E_NS1_11comp_targetILNS1_3genE2ELNS1_11target_archE906ELNS1_3gpuE6ELNS1_3repE0EEENS1_52radix_sort_onesweep_histogram_config_static_selectorELNS0_4arch9wavefront6targetE1EEEvSE_
		.amdhsa_group_segment_fixed_size 16384
		.amdhsa_private_segment_fixed_size 0
		.amdhsa_kernarg_size 40
		.amdhsa_user_sgpr_count 6
		.amdhsa_user_sgpr_private_segment_buffer 1
		.amdhsa_user_sgpr_dispatch_ptr 0
		.amdhsa_user_sgpr_queue_ptr 0
		.amdhsa_user_sgpr_kernarg_segment_ptr 1
		.amdhsa_user_sgpr_dispatch_id 0
		.amdhsa_user_sgpr_flat_scratch_init 0
		.amdhsa_user_sgpr_private_segment_size 0
		.amdhsa_uses_dynamic_stack 0
		.amdhsa_system_sgpr_private_segment_wavefront_offset 0
		.amdhsa_system_sgpr_workgroup_id_x 1
		.amdhsa_system_sgpr_workgroup_id_y 0
		.amdhsa_system_sgpr_workgroup_id_z 0
		.amdhsa_system_sgpr_workgroup_info 0
		.amdhsa_system_vgpr_workitem_id 0
		.amdhsa_next_free_vgpr 29
		.amdhsa_next_free_sgpr 61
		.amdhsa_reserve_vcc 1
		.amdhsa_reserve_flat_scratch 0
		.amdhsa_float_round_mode_32 0
		.amdhsa_float_round_mode_16_64 0
		.amdhsa_float_denorm_mode_32 3
		.amdhsa_float_denorm_mode_16_64 3
		.amdhsa_dx10_clamp 1
		.amdhsa_ieee_mode 1
		.amdhsa_fp16_overflow 0
		.amdhsa_exception_fp_ieee_invalid_op 0
		.amdhsa_exception_fp_denorm_src 0
		.amdhsa_exception_fp_ieee_div_zero 0
		.amdhsa_exception_fp_ieee_overflow 0
		.amdhsa_exception_fp_ieee_underflow 0
		.amdhsa_exception_fp_ieee_inexact 0
		.amdhsa_exception_int_div_zero 0
	.end_amdhsa_kernel
	.section	.text._ZN7rocprim17ROCPRIM_400000_NS6detail17trampoline_kernelINS0_14default_configENS1_35radix_sort_onesweep_config_selectorIflEEZNS1_34radix_sort_onesweep_global_offsetsIS3_Lb0EPfN6thrust23THRUST_200600_302600_NS10device_ptrIlEEjNS0_19identity_decomposerEEE10hipError_tT1_T2_PT3_SG_jT4_jjP12ihipStream_tbEUlT_E_NS1_11comp_targetILNS1_3genE2ELNS1_11target_archE906ELNS1_3gpuE6ELNS1_3repE0EEENS1_52radix_sort_onesweep_histogram_config_static_selectorELNS0_4arch9wavefront6targetE1EEEvSE_,"axG",@progbits,_ZN7rocprim17ROCPRIM_400000_NS6detail17trampoline_kernelINS0_14default_configENS1_35radix_sort_onesweep_config_selectorIflEEZNS1_34radix_sort_onesweep_global_offsetsIS3_Lb0EPfN6thrust23THRUST_200600_302600_NS10device_ptrIlEEjNS0_19identity_decomposerEEE10hipError_tT1_T2_PT3_SG_jT4_jjP12ihipStream_tbEUlT_E_NS1_11comp_targetILNS1_3genE2ELNS1_11target_archE906ELNS1_3gpuE6ELNS1_3repE0EEENS1_52radix_sort_onesweep_histogram_config_static_selectorELNS0_4arch9wavefront6targetE1EEEvSE_,comdat
.Lfunc_end1819:
	.size	_ZN7rocprim17ROCPRIM_400000_NS6detail17trampoline_kernelINS0_14default_configENS1_35radix_sort_onesweep_config_selectorIflEEZNS1_34radix_sort_onesweep_global_offsetsIS3_Lb0EPfN6thrust23THRUST_200600_302600_NS10device_ptrIlEEjNS0_19identity_decomposerEEE10hipError_tT1_T2_PT3_SG_jT4_jjP12ihipStream_tbEUlT_E_NS1_11comp_targetILNS1_3genE2ELNS1_11target_archE906ELNS1_3gpuE6ELNS1_3repE0EEENS1_52radix_sort_onesweep_histogram_config_static_selectorELNS0_4arch9wavefront6targetE1EEEvSE_, .Lfunc_end1819-_ZN7rocprim17ROCPRIM_400000_NS6detail17trampoline_kernelINS0_14default_configENS1_35radix_sort_onesweep_config_selectorIflEEZNS1_34radix_sort_onesweep_global_offsetsIS3_Lb0EPfN6thrust23THRUST_200600_302600_NS10device_ptrIlEEjNS0_19identity_decomposerEEE10hipError_tT1_T2_PT3_SG_jT4_jjP12ihipStream_tbEUlT_E_NS1_11comp_targetILNS1_3genE2ELNS1_11target_archE906ELNS1_3gpuE6ELNS1_3repE0EEENS1_52radix_sort_onesweep_histogram_config_static_selectorELNS0_4arch9wavefront6targetE1EEEvSE_
                                        ; -- End function
	.set _ZN7rocprim17ROCPRIM_400000_NS6detail17trampoline_kernelINS0_14default_configENS1_35radix_sort_onesweep_config_selectorIflEEZNS1_34radix_sort_onesweep_global_offsetsIS3_Lb0EPfN6thrust23THRUST_200600_302600_NS10device_ptrIlEEjNS0_19identity_decomposerEEE10hipError_tT1_T2_PT3_SG_jT4_jjP12ihipStream_tbEUlT_E_NS1_11comp_targetILNS1_3genE2ELNS1_11target_archE906ELNS1_3gpuE6ELNS1_3repE0EEENS1_52radix_sort_onesweep_histogram_config_static_selectorELNS0_4arch9wavefront6targetE1EEEvSE_.num_vgpr, 20
	.set _ZN7rocprim17ROCPRIM_400000_NS6detail17trampoline_kernelINS0_14default_configENS1_35radix_sort_onesweep_config_selectorIflEEZNS1_34radix_sort_onesweep_global_offsetsIS3_Lb0EPfN6thrust23THRUST_200600_302600_NS10device_ptrIlEEjNS0_19identity_decomposerEEE10hipError_tT1_T2_PT3_SG_jT4_jjP12ihipStream_tbEUlT_E_NS1_11comp_targetILNS1_3genE2ELNS1_11target_archE906ELNS1_3gpuE6ELNS1_3repE0EEENS1_52radix_sort_onesweep_histogram_config_static_selectorELNS0_4arch9wavefront6targetE1EEEvSE_.num_agpr, 0
	.set _ZN7rocprim17ROCPRIM_400000_NS6detail17trampoline_kernelINS0_14default_configENS1_35radix_sort_onesweep_config_selectorIflEEZNS1_34radix_sort_onesweep_global_offsetsIS3_Lb0EPfN6thrust23THRUST_200600_302600_NS10device_ptrIlEEjNS0_19identity_decomposerEEE10hipError_tT1_T2_PT3_SG_jT4_jjP12ihipStream_tbEUlT_E_NS1_11comp_targetILNS1_3genE2ELNS1_11target_archE906ELNS1_3gpuE6ELNS1_3repE0EEENS1_52radix_sort_onesweep_histogram_config_static_selectorELNS0_4arch9wavefront6targetE1EEEvSE_.numbered_sgpr, 19
	.set _ZN7rocprim17ROCPRIM_400000_NS6detail17trampoline_kernelINS0_14default_configENS1_35radix_sort_onesweep_config_selectorIflEEZNS1_34radix_sort_onesweep_global_offsetsIS3_Lb0EPfN6thrust23THRUST_200600_302600_NS10device_ptrIlEEjNS0_19identity_decomposerEEE10hipError_tT1_T2_PT3_SG_jT4_jjP12ihipStream_tbEUlT_E_NS1_11comp_targetILNS1_3genE2ELNS1_11target_archE906ELNS1_3gpuE6ELNS1_3repE0EEENS1_52radix_sort_onesweep_histogram_config_static_selectorELNS0_4arch9wavefront6targetE1EEEvSE_.num_named_barrier, 0
	.set _ZN7rocprim17ROCPRIM_400000_NS6detail17trampoline_kernelINS0_14default_configENS1_35radix_sort_onesweep_config_selectorIflEEZNS1_34radix_sort_onesweep_global_offsetsIS3_Lb0EPfN6thrust23THRUST_200600_302600_NS10device_ptrIlEEjNS0_19identity_decomposerEEE10hipError_tT1_T2_PT3_SG_jT4_jjP12ihipStream_tbEUlT_E_NS1_11comp_targetILNS1_3genE2ELNS1_11target_archE906ELNS1_3gpuE6ELNS1_3repE0EEENS1_52radix_sort_onesweep_histogram_config_static_selectorELNS0_4arch9wavefront6targetE1EEEvSE_.private_seg_size, 0
	.set _ZN7rocprim17ROCPRIM_400000_NS6detail17trampoline_kernelINS0_14default_configENS1_35radix_sort_onesweep_config_selectorIflEEZNS1_34radix_sort_onesweep_global_offsetsIS3_Lb0EPfN6thrust23THRUST_200600_302600_NS10device_ptrIlEEjNS0_19identity_decomposerEEE10hipError_tT1_T2_PT3_SG_jT4_jjP12ihipStream_tbEUlT_E_NS1_11comp_targetILNS1_3genE2ELNS1_11target_archE906ELNS1_3gpuE6ELNS1_3repE0EEENS1_52radix_sort_onesweep_histogram_config_static_selectorELNS0_4arch9wavefront6targetE1EEEvSE_.uses_vcc, 1
	.set _ZN7rocprim17ROCPRIM_400000_NS6detail17trampoline_kernelINS0_14default_configENS1_35radix_sort_onesweep_config_selectorIflEEZNS1_34radix_sort_onesweep_global_offsetsIS3_Lb0EPfN6thrust23THRUST_200600_302600_NS10device_ptrIlEEjNS0_19identity_decomposerEEE10hipError_tT1_T2_PT3_SG_jT4_jjP12ihipStream_tbEUlT_E_NS1_11comp_targetILNS1_3genE2ELNS1_11target_archE906ELNS1_3gpuE6ELNS1_3repE0EEENS1_52radix_sort_onesweep_histogram_config_static_selectorELNS0_4arch9wavefront6targetE1EEEvSE_.uses_flat_scratch, 0
	.set _ZN7rocprim17ROCPRIM_400000_NS6detail17trampoline_kernelINS0_14default_configENS1_35radix_sort_onesweep_config_selectorIflEEZNS1_34radix_sort_onesweep_global_offsetsIS3_Lb0EPfN6thrust23THRUST_200600_302600_NS10device_ptrIlEEjNS0_19identity_decomposerEEE10hipError_tT1_T2_PT3_SG_jT4_jjP12ihipStream_tbEUlT_E_NS1_11comp_targetILNS1_3genE2ELNS1_11target_archE906ELNS1_3gpuE6ELNS1_3repE0EEENS1_52radix_sort_onesweep_histogram_config_static_selectorELNS0_4arch9wavefront6targetE1EEEvSE_.has_dyn_sized_stack, 0
	.set _ZN7rocprim17ROCPRIM_400000_NS6detail17trampoline_kernelINS0_14default_configENS1_35radix_sort_onesweep_config_selectorIflEEZNS1_34radix_sort_onesweep_global_offsetsIS3_Lb0EPfN6thrust23THRUST_200600_302600_NS10device_ptrIlEEjNS0_19identity_decomposerEEE10hipError_tT1_T2_PT3_SG_jT4_jjP12ihipStream_tbEUlT_E_NS1_11comp_targetILNS1_3genE2ELNS1_11target_archE906ELNS1_3gpuE6ELNS1_3repE0EEENS1_52radix_sort_onesweep_histogram_config_static_selectorELNS0_4arch9wavefront6targetE1EEEvSE_.has_recursion, 0
	.set _ZN7rocprim17ROCPRIM_400000_NS6detail17trampoline_kernelINS0_14default_configENS1_35radix_sort_onesweep_config_selectorIflEEZNS1_34radix_sort_onesweep_global_offsetsIS3_Lb0EPfN6thrust23THRUST_200600_302600_NS10device_ptrIlEEjNS0_19identity_decomposerEEE10hipError_tT1_T2_PT3_SG_jT4_jjP12ihipStream_tbEUlT_E_NS1_11comp_targetILNS1_3genE2ELNS1_11target_archE906ELNS1_3gpuE6ELNS1_3repE0EEENS1_52radix_sort_onesweep_histogram_config_static_selectorELNS0_4arch9wavefront6targetE1EEEvSE_.has_indirect_call, 0
	.section	.AMDGPU.csdata,"",@progbits
; Kernel info:
; codeLenInByte = 8120
; TotalNumSgprs: 23
; NumVgprs: 20
; ScratchSize: 0
; MemoryBound: 0
; FloatMode: 240
; IeeeMode: 1
; LDSByteSize: 16384 bytes/workgroup (compile time only)
; SGPRBlocks: 8
; VGPRBlocks: 7
; NumSGPRsForWavesPerEU: 65
; NumVGPRsForWavesPerEU: 29
; Occupancy: 8
; WaveLimiterHint : 1
; COMPUTE_PGM_RSRC2:SCRATCH_EN: 0
; COMPUTE_PGM_RSRC2:USER_SGPR: 6
; COMPUTE_PGM_RSRC2:TRAP_HANDLER: 0
; COMPUTE_PGM_RSRC2:TGID_X_EN: 1
; COMPUTE_PGM_RSRC2:TGID_Y_EN: 0
; COMPUTE_PGM_RSRC2:TGID_Z_EN: 0
; COMPUTE_PGM_RSRC2:TIDIG_COMP_CNT: 0
	.section	.text._ZN7rocprim17ROCPRIM_400000_NS6detail17trampoline_kernelINS0_14default_configENS1_35radix_sort_onesweep_config_selectorIflEEZNS1_34radix_sort_onesweep_global_offsetsIS3_Lb0EPfN6thrust23THRUST_200600_302600_NS10device_ptrIlEEjNS0_19identity_decomposerEEE10hipError_tT1_T2_PT3_SG_jT4_jjP12ihipStream_tbEUlT_E_NS1_11comp_targetILNS1_3genE4ELNS1_11target_archE910ELNS1_3gpuE8ELNS1_3repE0EEENS1_52radix_sort_onesweep_histogram_config_static_selectorELNS0_4arch9wavefront6targetE1EEEvSE_,"axG",@progbits,_ZN7rocprim17ROCPRIM_400000_NS6detail17trampoline_kernelINS0_14default_configENS1_35radix_sort_onesweep_config_selectorIflEEZNS1_34radix_sort_onesweep_global_offsetsIS3_Lb0EPfN6thrust23THRUST_200600_302600_NS10device_ptrIlEEjNS0_19identity_decomposerEEE10hipError_tT1_T2_PT3_SG_jT4_jjP12ihipStream_tbEUlT_E_NS1_11comp_targetILNS1_3genE4ELNS1_11target_archE910ELNS1_3gpuE8ELNS1_3repE0EEENS1_52radix_sort_onesweep_histogram_config_static_selectorELNS0_4arch9wavefront6targetE1EEEvSE_,comdat
	.protected	_ZN7rocprim17ROCPRIM_400000_NS6detail17trampoline_kernelINS0_14default_configENS1_35radix_sort_onesweep_config_selectorIflEEZNS1_34radix_sort_onesweep_global_offsetsIS3_Lb0EPfN6thrust23THRUST_200600_302600_NS10device_ptrIlEEjNS0_19identity_decomposerEEE10hipError_tT1_T2_PT3_SG_jT4_jjP12ihipStream_tbEUlT_E_NS1_11comp_targetILNS1_3genE4ELNS1_11target_archE910ELNS1_3gpuE8ELNS1_3repE0EEENS1_52radix_sort_onesweep_histogram_config_static_selectorELNS0_4arch9wavefront6targetE1EEEvSE_ ; -- Begin function _ZN7rocprim17ROCPRIM_400000_NS6detail17trampoline_kernelINS0_14default_configENS1_35radix_sort_onesweep_config_selectorIflEEZNS1_34radix_sort_onesweep_global_offsetsIS3_Lb0EPfN6thrust23THRUST_200600_302600_NS10device_ptrIlEEjNS0_19identity_decomposerEEE10hipError_tT1_T2_PT3_SG_jT4_jjP12ihipStream_tbEUlT_E_NS1_11comp_targetILNS1_3genE4ELNS1_11target_archE910ELNS1_3gpuE8ELNS1_3repE0EEENS1_52radix_sort_onesweep_histogram_config_static_selectorELNS0_4arch9wavefront6targetE1EEEvSE_
	.globl	_ZN7rocprim17ROCPRIM_400000_NS6detail17trampoline_kernelINS0_14default_configENS1_35radix_sort_onesweep_config_selectorIflEEZNS1_34radix_sort_onesweep_global_offsetsIS3_Lb0EPfN6thrust23THRUST_200600_302600_NS10device_ptrIlEEjNS0_19identity_decomposerEEE10hipError_tT1_T2_PT3_SG_jT4_jjP12ihipStream_tbEUlT_E_NS1_11comp_targetILNS1_3genE4ELNS1_11target_archE910ELNS1_3gpuE8ELNS1_3repE0EEENS1_52radix_sort_onesweep_histogram_config_static_selectorELNS0_4arch9wavefront6targetE1EEEvSE_
	.p2align	8
	.type	_ZN7rocprim17ROCPRIM_400000_NS6detail17trampoline_kernelINS0_14default_configENS1_35radix_sort_onesweep_config_selectorIflEEZNS1_34radix_sort_onesweep_global_offsetsIS3_Lb0EPfN6thrust23THRUST_200600_302600_NS10device_ptrIlEEjNS0_19identity_decomposerEEE10hipError_tT1_T2_PT3_SG_jT4_jjP12ihipStream_tbEUlT_E_NS1_11comp_targetILNS1_3genE4ELNS1_11target_archE910ELNS1_3gpuE8ELNS1_3repE0EEENS1_52radix_sort_onesweep_histogram_config_static_selectorELNS0_4arch9wavefront6targetE1EEEvSE_,@function
_ZN7rocprim17ROCPRIM_400000_NS6detail17trampoline_kernelINS0_14default_configENS1_35radix_sort_onesweep_config_selectorIflEEZNS1_34radix_sort_onesweep_global_offsetsIS3_Lb0EPfN6thrust23THRUST_200600_302600_NS10device_ptrIlEEjNS0_19identity_decomposerEEE10hipError_tT1_T2_PT3_SG_jT4_jjP12ihipStream_tbEUlT_E_NS1_11comp_targetILNS1_3genE4ELNS1_11target_archE910ELNS1_3gpuE8ELNS1_3repE0EEENS1_52radix_sort_onesweep_histogram_config_static_selectorELNS0_4arch9wavefront6targetE1EEEvSE_: ; @_ZN7rocprim17ROCPRIM_400000_NS6detail17trampoline_kernelINS0_14default_configENS1_35radix_sort_onesweep_config_selectorIflEEZNS1_34radix_sort_onesweep_global_offsetsIS3_Lb0EPfN6thrust23THRUST_200600_302600_NS10device_ptrIlEEjNS0_19identity_decomposerEEE10hipError_tT1_T2_PT3_SG_jT4_jjP12ihipStream_tbEUlT_E_NS1_11comp_targetILNS1_3genE4ELNS1_11target_archE910ELNS1_3gpuE8ELNS1_3repE0EEENS1_52radix_sort_onesweep_histogram_config_static_selectorELNS0_4arch9wavefront6targetE1EEEvSE_
; %bb.0:
	.section	.rodata,"a",@progbits
	.p2align	6, 0x0
	.amdhsa_kernel _ZN7rocprim17ROCPRIM_400000_NS6detail17trampoline_kernelINS0_14default_configENS1_35radix_sort_onesweep_config_selectorIflEEZNS1_34radix_sort_onesweep_global_offsetsIS3_Lb0EPfN6thrust23THRUST_200600_302600_NS10device_ptrIlEEjNS0_19identity_decomposerEEE10hipError_tT1_T2_PT3_SG_jT4_jjP12ihipStream_tbEUlT_E_NS1_11comp_targetILNS1_3genE4ELNS1_11target_archE910ELNS1_3gpuE8ELNS1_3repE0EEENS1_52radix_sort_onesweep_histogram_config_static_selectorELNS0_4arch9wavefront6targetE1EEEvSE_
		.amdhsa_group_segment_fixed_size 0
		.amdhsa_private_segment_fixed_size 0
		.amdhsa_kernarg_size 40
		.amdhsa_user_sgpr_count 6
		.amdhsa_user_sgpr_private_segment_buffer 1
		.amdhsa_user_sgpr_dispatch_ptr 0
		.amdhsa_user_sgpr_queue_ptr 0
		.amdhsa_user_sgpr_kernarg_segment_ptr 1
		.amdhsa_user_sgpr_dispatch_id 0
		.amdhsa_user_sgpr_flat_scratch_init 0
		.amdhsa_user_sgpr_private_segment_size 0
		.amdhsa_uses_dynamic_stack 0
		.amdhsa_system_sgpr_private_segment_wavefront_offset 0
		.amdhsa_system_sgpr_workgroup_id_x 1
		.amdhsa_system_sgpr_workgroup_id_y 0
		.amdhsa_system_sgpr_workgroup_id_z 0
		.amdhsa_system_sgpr_workgroup_info 0
		.amdhsa_system_vgpr_workitem_id 0
		.amdhsa_next_free_vgpr 1
		.amdhsa_next_free_sgpr 0
		.amdhsa_reserve_vcc 0
		.amdhsa_reserve_flat_scratch 0
		.amdhsa_float_round_mode_32 0
		.amdhsa_float_round_mode_16_64 0
		.amdhsa_float_denorm_mode_32 3
		.amdhsa_float_denorm_mode_16_64 3
		.amdhsa_dx10_clamp 1
		.amdhsa_ieee_mode 1
		.amdhsa_fp16_overflow 0
		.amdhsa_exception_fp_ieee_invalid_op 0
		.amdhsa_exception_fp_denorm_src 0
		.amdhsa_exception_fp_ieee_div_zero 0
		.amdhsa_exception_fp_ieee_overflow 0
		.amdhsa_exception_fp_ieee_underflow 0
		.amdhsa_exception_fp_ieee_inexact 0
		.amdhsa_exception_int_div_zero 0
	.end_amdhsa_kernel
	.section	.text._ZN7rocprim17ROCPRIM_400000_NS6detail17trampoline_kernelINS0_14default_configENS1_35radix_sort_onesweep_config_selectorIflEEZNS1_34radix_sort_onesweep_global_offsetsIS3_Lb0EPfN6thrust23THRUST_200600_302600_NS10device_ptrIlEEjNS0_19identity_decomposerEEE10hipError_tT1_T2_PT3_SG_jT4_jjP12ihipStream_tbEUlT_E_NS1_11comp_targetILNS1_3genE4ELNS1_11target_archE910ELNS1_3gpuE8ELNS1_3repE0EEENS1_52radix_sort_onesweep_histogram_config_static_selectorELNS0_4arch9wavefront6targetE1EEEvSE_,"axG",@progbits,_ZN7rocprim17ROCPRIM_400000_NS6detail17trampoline_kernelINS0_14default_configENS1_35radix_sort_onesweep_config_selectorIflEEZNS1_34radix_sort_onesweep_global_offsetsIS3_Lb0EPfN6thrust23THRUST_200600_302600_NS10device_ptrIlEEjNS0_19identity_decomposerEEE10hipError_tT1_T2_PT3_SG_jT4_jjP12ihipStream_tbEUlT_E_NS1_11comp_targetILNS1_3genE4ELNS1_11target_archE910ELNS1_3gpuE8ELNS1_3repE0EEENS1_52radix_sort_onesweep_histogram_config_static_selectorELNS0_4arch9wavefront6targetE1EEEvSE_,comdat
.Lfunc_end1820:
	.size	_ZN7rocprim17ROCPRIM_400000_NS6detail17trampoline_kernelINS0_14default_configENS1_35radix_sort_onesweep_config_selectorIflEEZNS1_34radix_sort_onesweep_global_offsetsIS3_Lb0EPfN6thrust23THRUST_200600_302600_NS10device_ptrIlEEjNS0_19identity_decomposerEEE10hipError_tT1_T2_PT3_SG_jT4_jjP12ihipStream_tbEUlT_E_NS1_11comp_targetILNS1_3genE4ELNS1_11target_archE910ELNS1_3gpuE8ELNS1_3repE0EEENS1_52radix_sort_onesweep_histogram_config_static_selectorELNS0_4arch9wavefront6targetE1EEEvSE_, .Lfunc_end1820-_ZN7rocprim17ROCPRIM_400000_NS6detail17trampoline_kernelINS0_14default_configENS1_35radix_sort_onesweep_config_selectorIflEEZNS1_34radix_sort_onesweep_global_offsetsIS3_Lb0EPfN6thrust23THRUST_200600_302600_NS10device_ptrIlEEjNS0_19identity_decomposerEEE10hipError_tT1_T2_PT3_SG_jT4_jjP12ihipStream_tbEUlT_E_NS1_11comp_targetILNS1_3genE4ELNS1_11target_archE910ELNS1_3gpuE8ELNS1_3repE0EEENS1_52radix_sort_onesweep_histogram_config_static_selectorELNS0_4arch9wavefront6targetE1EEEvSE_
                                        ; -- End function
	.set _ZN7rocprim17ROCPRIM_400000_NS6detail17trampoline_kernelINS0_14default_configENS1_35radix_sort_onesweep_config_selectorIflEEZNS1_34radix_sort_onesweep_global_offsetsIS3_Lb0EPfN6thrust23THRUST_200600_302600_NS10device_ptrIlEEjNS0_19identity_decomposerEEE10hipError_tT1_T2_PT3_SG_jT4_jjP12ihipStream_tbEUlT_E_NS1_11comp_targetILNS1_3genE4ELNS1_11target_archE910ELNS1_3gpuE8ELNS1_3repE0EEENS1_52radix_sort_onesweep_histogram_config_static_selectorELNS0_4arch9wavefront6targetE1EEEvSE_.num_vgpr, 0
	.set _ZN7rocprim17ROCPRIM_400000_NS6detail17trampoline_kernelINS0_14default_configENS1_35radix_sort_onesweep_config_selectorIflEEZNS1_34radix_sort_onesweep_global_offsetsIS3_Lb0EPfN6thrust23THRUST_200600_302600_NS10device_ptrIlEEjNS0_19identity_decomposerEEE10hipError_tT1_T2_PT3_SG_jT4_jjP12ihipStream_tbEUlT_E_NS1_11comp_targetILNS1_3genE4ELNS1_11target_archE910ELNS1_3gpuE8ELNS1_3repE0EEENS1_52radix_sort_onesweep_histogram_config_static_selectorELNS0_4arch9wavefront6targetE1EEEvSE_.num_agpr, 0
	.set _ZN7rocprim17ROCPRIM_400000_NS6detail17trampoline_kernelINS0_14default_configENS1_35radix_sort_onesweep_config_selectorIflEEZNS1_34radix_sort_onesweep_global_offsetsIS3_Lb0EPfN6thrust23THRUST_200600_302600_NS10device_ptrIlEEjNS0_19identity_decomposerEEE10hipError_tT1_T2_PT3_SG_jT4_jjP12ihipStream_tbEUlT_E_NS1_11comp_targetILNS1_3genE4ELNS1_11target_archE910ELNS1_3gpuE8ELNS1_3repE0EEENS1_52radix_sort_onesweep_histogram_config_static_selectorELNS0_4arch9wavefront6targetE1EEEvSE_.numbered_sgpr, 0
	.set _ZN7rocprim17ROCPRIM_400000_NS6detail17trampoline_kernelINS0_14default_configENS1_35radix_sort_onesweep_config_selectorIflEEZNS1_34radix_sort_onesweep_global_offsetsIS3_Lb0EPfN6thrust23THRUST_200600_302600_NS10device_ptrIlEEjNS0_19identity_decomposerEEE10hipError_tT1_T2_PT3_SG_jT4_jjP12ihipStream_tbEUlT_E_NS1_11comp_targetILNS1_3genE4ELNS1_11target_archE910ELNS1_3gpuE8ELNS1_3repE0EEENS1_52radix_sort_onesweep_histogram_config_static_selectorELNS0_4arch9wavefront6targetE1EEEvSE_.num_named_barrier, 0
	.set _ZN7rocprim17ROCPRIM_400000_NS6detail17trampoline_kernelINS0_14default_configENS1_35radix_sort_onesweep_config_selectorIflEEZNS1_34radix_sort_onesweep_global_offsetsIS3_Lb0EPfN6thrust23THRUST_200600_302600_NS10device_ptrIlEEjNS0_19identity_decomposerEEE10hipError_tT1_T2_PT3_SG_jT4_jjP12ihipStream_tbEUlT_E_NS1_11comp_targetILNS1_3genE4ELNS1_11target_archE910ELNS1_3gpuE8ELNS1_3repE0EEENS1_52radix_sort_onesweep_histogram_config_static_selectorELNS0_4arch9wavefront6targetE1EEEvSE_.private_seg_size, 0
	.set _ZN7rocprim17ROCPRIM_400000_NS6detail17trampoline_kernelINS0_14default_configENS1_35radix_sort_onesweep_config_selectorIflEEZNS1_34radix_sort_onesweep_global_offsetsIS3_Lb0EPfN6thrust23THRUST_200600_302600_NS10device_ptrIlEEjNS0_19identity_decomposerEEE10hipError_tT1_T2_PT3_SG_jT4_jjP12ihipStream_tbEUlT_E_NS1_11comp_targetILNS1_3genE4ELNS1_11target_archE910ELNS1_3gpuE8ELNS1_3repE0EEENS1_52radix_sort_onesweep_histogram_config_static_selectorELNS0_4arch9wavefront6targetE1EEEvSE_.uses_vcc, 0
	.set _ZN7rocprim17ROCPRIM_400000_NS6detail17trampoline_kernelINS0_14default_configENS1_35radix_sort_onesweep_config_selectorIflEEZNS1_34radix_sort_onesweep_global_offsetsIS3_Lb0EPfN6thrust23THRUST_200600_302600_NS10device_ptrIlEEjNS0_19identity_decomposerEEE10hipError_tT1_T2_PT3_SG_jT4_jjP12ihipStream_tbEUlT_E_NS1_11comp_targetILNS1_3genE4ELNS1_11target_archE910ELNS1_3gpuE8ELNS1_3repE0EEENS1_52radix_sort_onesweep_histogram_config_static_selectorELNS0_4arch9wavefront6targetE1EEEvSE_.uses_flat_scratch, 0
	.set _ZN7rocprim17ROCPRIM_400000_NS6detail17trampoline_kernelINS0_14default_configENS1_35radix_sort_onesweep_config_selectorIflEEZNS1_34radix_sort_onesweep_global_offsetsIS3_Lb0EPfN6thrust23THRUST_200600_302600_NS10device_ptrIlEEjNS0_19identity_decomposerEEE10hipError_tT1_T2_PT3_SG_jT4_jjP12ihipStream_tbEUlT_E_NS1_11comp_targetILNS1_3genE4ELNS1_11target_archE910ELNS1_3gpuE8ELNS1_3repE0EEENS1_52radix_sort_onesweep_histogram_config_static_selectorELNS0_4arch9wavefront6targetE1EEEvSE_.has_dyn_sized_stack, 0
	.set _ZN7rocprim17ROCPRIM_400000_NS6detail17trampoline_kernelINS0_14default_configENS1_35radix_sort_onesweep_config_selectorIflEEZNS1_34radix_sort_onesweep_global_offsetsIS3_Lb0EPfN6thrust23THRUST_200600_302600_NS10device_ptrIlEEjNS0_19identity_decomposerEEE10hipError_tT1_T2_PT3_SG_jT4_jjP12ihipStream_tbEUlT_E_NS1_11comp_targetILNS1_3genE4ELNS1_11target_archE910ELNS1_3gpuE8ELNS1_3repE0EEENS1_52radix_sort_onesweep_histogram_config_static_selectorELNS0_4arch9wavefront6targetE1EEEvSE_.has_recursion, 0
	.set _ZN7rocprim17ROCPRIM_400000_NS6detail17trampoline_kernelINS0_14default_configENS1_35radix_sort_onesweep_config_selectorIflEEZNS1_34radix_sort_onesweep_global_offsetsIS3_Lb0EPfN6thrust23THRUST_200600_302600_NS10device_ptrIlEEjNS0_19identity_decomposerEEE10hipError_tT1_T2_PT3_SG_jT4_jjP12ihipStream_tbEUlT_E_NS1_11comp_targetILNS1_3genE4ELNS1_11target_archE910ELNS1_3gpuE8ELNS1_3repE0EEENS1_52radix_sort_onesweep_histogram_config_static_selectorELNS0_4arch9wavefront6targetE1EEEvSE_.has_indirect_call, 0
	.section	.AMDGPU.csdata,"",@progbits
; Kernel info:
; codeLenInByte = 0
; TotalNumSgprs: 4
; NumVgprs: 0
; ScratchSize: 0
; MemoryBound: 0
; FloatMode: 240
; IeeeMode: 1
; LDSByteSize: 0 bytes/workgroup (compile time only)
; SGPRBlocks: 0
; VGPRBlocks: 0
; NumSGPRsForWavesPerEU: 4
; NumVGPRsForWavesPerEU: 1
; Occupancy: 10
; WaveLimiterHint : 0
; COMPUTE_PGM_RSRC2:SCRATCH_EN: 0
; COMPUTE_PGM_RSRC2:USER_SGPR: 6
; COMPUTE_PGM_RSRC2:TRAP_HANDLER: 0
; COMPUTE_PGM_RSRC2:TGID_X_EN: 1
; COMPUTE_PGM_RSRC2:TGID_Y_EN: 0
; COMPUTE_PGM_RSRC2:TGID_Z_EN: 0
; COMPUTE_PGM_RSRC2:TIDIG_COMP_CNT: 0
	.section	.text._ZN7rocprim17ROCPRIM_400000_NS6detail17trampoline_kernelINS0_14default_configENS1_35radix_sort_onesweep_config_selectorIflEEZNS1_34radix_sort_onesweep_global_offsetsIS3_Lb0EPfN6thrust23THRUST_200600_302600_NS10device_ptrIlEEjNS0_19identity_decomposerEEE10hipError_tT1_T2_PT3_SG_jT4_jjP12ihipStream_tbEUlT_E_NS1_11comp_targetILNS1_3genE3ELNS1_11target_archE908ELNS1_3gpuE7ELNS1_3repE0EEENS1_52radix_sort_onesweep_histogram_config_static_selectorELNS0_4arch9wavefront6targetE1EEEvSE_,"axG",@progbits,_ZN7rocprim17ROCPRIM_400000_NS6detail17trampoline_kernelINS0_14default_configENS1_35radix_sort_onesweep_config_selectorIflEEZNS1_34radix_sort_onesweep_global_offsetsIS3_Lb0EPfN6thrust23THRUST_200600_302600_NS10device_ptrIlEEjNS0_19identity_decomposerEEE10hipError_tT1_T2_PT3_SG_jT4_jjP12ihipStream_tbEUlT_E_NS1_11comp_targetILNS1_3genE3ELNS1_11target_archE908ELNS1_3gpuE7ELNS1_3repE0EEENS1_52radix_sort_onesweep_histogram_config_static_selectorELNS0_4arch9wavefront6targetE1EEEvSE_,comdat
	.protected	_ZN7rocprim17ROCPRIM_400000_NS6detail17trampoline_kernelINS0_14default_configENS1_35radix_sort_onesweep_config_selectorIflEEZNS1_34radix_sort_onesweep_global_offsetsIS3_Lb0EPfN6thrust23THRUST_200600_302600_NS10device_ptrIlEEjNS0_19identity_decomposerEEE10hipError_tT1_T2_PT3_SG_jT4_jjP12ihipStream_tbEUlT_E_NS1_11comp_targetILNS1_3genE3ELNS1_11target_archE908ELNS1_3gpuE7ELNS1_3repE0EEENS1_52radix_sort_onesweep_histogram_config_static_selectorELNS0_4arch9wavefront6targetE1EEEvSE_ ; -- Begin function _ZN7rocprim17ROCPRIM_400000_NS6detail17trampoline_kernelINS0_14default_configENS1_35radix_sort_onesweep_config_selectorIflEEZNS1_34radix_sort_onesweep_global_offsetsIS3_Lb0EPfN6thrust23THRUST_200600_302600_NS10device_ptrIlEEjNS0_19identity_decomposerEEE10hipError_tT1_T2_PT3_SG_jT4_jjP12ihipStream_tbEUlT_E_NS1_11comp_targetILNS1_3genE3ELNS1_11target_archE908ELNS1_3gpuE7ELNS1_3repE0EEENS1_52radix_sort_onesweep_histogram_config_static_selectorELNS0_4arch9wavefront6targetE1EEEvSE_
	.globl	_ZN7rocprim17ROCPRIM_400000_NS6detail17trampoline_kernelINS0_14default_configENS1_35radix_sort_onesweep_config_selectorIflEEZNS1_34radix_sort_onesweep_global_offsetsIS3_Lb0EPfN6thrust23THRUST_200600_302600_NS10device_ptrIlEEjNS0_19identity_decomposerEEE10hipError_tT1_T2_PT3_SG_jT4_jjP12ihipStream_tbEUlT_E_NS1_11comp_targetILNS1_3genE3ELNS1_11target_archE908ELNS1_3gpuE7ELNS1_3repE0EEENS1_52radix_sort_onesweep_histogram_config_static_selectorELNS0_4arch9wavefront6targetE1EEEvSE_
	.p2align	8
	.type	_ZN7rocprim17ROCPRIM_400000_NS6detail17trampoline_kernelINS0_14default_configENS1_35radix_sort_onesweep_config_selectorIflEEZNS1_34radix_sort_onesweep_global_offsetsIS3_Lb0EPfN6thrust23THRUST_200600_302600_NS10device_ptrIlEEjNS0_19identity_decomposerEEE10hipError_tT1_T2_PT3_SG_jT4_jjP12ihipStream_tbEUlT_E_NS1_11comp_targetILNS1_3genE3ELNS1_11target_archE908ELNS1_3gpuE7ELNS1_3repE0EEENS1_52radix_sort_onesweep_histogram_config_static_selectorELNS0_4arch9wavefront6targetE1EEEvSE_,@function
_ZN7rocprim17ROCPRIM_400000_NS6detail17trampoline_kernelINS0_14default_configENS1_35radix_sort_onesweep_config_selectorIflEEZNS1_34radix_sort_onesweep_global_offsetsIS3_Lb0EPfN6thrust23THRUST_200600_302600_NS10device_ptrIlEEjNS0_19identity_decomposerEEE10hipError_tT1_T2_PT3_SG_jT4_jjP12ihipStream_tbEUlT_E_NS1_11comp_targetILNS1_3genE3ELNS1_11target_archE908ELNS1_3gpuE7ELNS1_3repE0EEENS1_52radix_sort_onesweep_histogram_config_static_selectorELNS0_4arch9wavefront6targetE1EEEvSE_: ; @_ZN7rocprim17ROCPRIM_400000_NS6detail17trampoline_kernelINS0_14default_configENS1_35radix_sort_onesweep_config_selectorIflEEZNS1_34radix_sort_onesweep_global_offsetsIS3_Lb0EPfN6thrust23THRUST_200600_302600_NS10device_ptrIlEEjNS0_19identity_decomposerEEE10hipError_tT1_T2_PT3_SG_jT4_jjP12ihipStream_tbEUlT_E_NS1_11comp_targetILNS1_3genE3ELNS1_11target_archE908ELNS1_3gpuE7ELNS1_3repE0EEENS1_52radix_sort_onesweep_histogram_config_static_selectorELNS0_4arch9wavefront6targetE1EEEvSE_
; %bb.0:
	.section	.rodata,"a",@progbits
	.p2align	6, 0x0
	.amdhsa_kernel _ZN7rocprim17ROCPRIM_400000_NS6detail17trampoline_kernelINS0_14default_configENS1_35radix_sort_onesweep_config_selectorIflEEZNS1_34radix_sort_onesweep_global_offsetsIS3_Lb0EPfN6thrust23THRUST_200600_302600_NS10device_ptrIlEEjNS0_19identity_decomposerEEE10hipError_tT1_T2_PT3_SG_jT4_jjP12ihipStream_tbEUlT_E_NS1_11comp_targetILNS1_3genE3ELNS1_11target_archE908ELNS1_3gpuE7ELNS1_3repE0EEENS1_52radix_sort_onesweep_histogram_config_static_selectorELNS0_4arch9wavefront6targetE1EEEvSE_
		.amdhsa_group_segment_fixed_size 0
		.amdhsa_private_segment_fixed_size 0
		.amdhsa_kernarg_size 40
		.amdhsa_user_sgpr_count 6
		.amdhsa_user_sgpr_private_segment_buffer 1
		.amdhsa_user_sgpr_dispatch_ptr 0
		.amdhsa_user_sgpr_queue_ptr 0
		.amdhsa_user_sgpr_kernarg_segment_ptr 1
		.amdhsa_user_sgpr_dispatch_id 0
		.amdhsa_user_sgpr_flat_scratch_init 0
		.amdhsa_user_sgpr_private_segment_size 0
		.amdhsa_uses_dynamic_stack 0
		.amdhsa_system_sgpr_private_segment_wavefront_offset 0
		.amdhsa_system_sgpr_workgroup_id_x 1
		.amdhsa_system_sgpr_workgroup_id_y 0
		.amdhsa_system_sgpr_workgroup_id_z 0
		.amdhsa_system_sgpr_workgroup_info 0
		.amdhsa_system_vgpr_workitem_id 0
		.amdhsa_next_free_vgpr 1
		.amdhsa_next_free_sgpr 0
		.amdhsa_reserve_vcc 0
		.amdhsa_reserve_flat_scratch 0
		.amdhsa_float_round_mode_32 0
		.amdhsa_float_round_mode_16_64 0
		.amdhsa_float_denorm_mode_32 3
		.amdhsa_float_denorm_mode_16_64 3
		.amdhsa_dx10_clamp 1
		.amdhsa_ieee_mode 1
		.amdhsa_fp16_overflow 0
		.amdhsa_exception_fp_ieee_invalid_op 0
		.amdhsa_exception_fp_denorm_src 0
		.amdhsa_exception_fp_ieee_div_zero 0
		.amdhsa_exception_fp_ieee_overflow 0
		.amdhsa_exception_fp_ieee_underflow 0
		.amdhsa_exception_fp_ieee_inexact 0
		.amdhsa_exception_int_div_zero 0
	.end_amdhsa_kernel
	.section	.text._ZN7rocprim17ROCPRIM_400000_NS6detail17trampoline_kernelINS0_14default_configENS1_35radix_sort_onesweep_config_selectorIflEEZNS1_34radix_sort_onesweep_global_offsetsIS3_Lb0EPfN6thrust23THRUST_200600_302600_NS10device_ptrIlEEjNS0_19identity_decomposerEEE10hipError_tT1_T2_PT3_SG_jT4_jjP12ihipStream_tbEUlT_E_NS1_11comp_targetILNS1_3genE3ELNS1_11target_archE908ELNS1_3gpuE7ELNS1_3repE0EEENS1_52radix_sort_onesweep_histogram_config_static_selectorELNS0_4arch9wavefront6targetE1EEEvSE_,"axG",@progbits,_ZN7rocprim17ROCPRIM_400000_NS6detail17trampoline_kernelINS0_14default_configENS1_35radix_sort_onesweep_config_selectorIflEEZNS1_34radix_sort_onesweep_global_offsetsIS3_Lb0EPfN6thrust23THRUST_200600_302600_NS10device_ptrIlEEjNS0_19identity_decomposerEEE10hipError_tT1_T2_PT3_SG_jT4_jjP12ihipStream_tbEUlT_E_NS1_11comp_targetILNS1_3genE3ELNS1_11target_archE908ELNS1_3gpuE7ELNS1_3repE0EEENS1_52radix_sort_onesweep_histogram_config_static_selectorELNS0_4arch9wavefront6targetE1EEEvSE_,comdat
.Lfunc_end1821:
	.size	_ZN7rocprim17ROCPRIM_400000_NS6detail17trampoline_kernelINS0_14default_configENS1_35radix_sort_onesweep_config_selectorIflEEZNS1_34radix_sort_onesweep_global_offsetsIS3_Lb0EPfN6thrust23THRUST_200600_302600_NS10device_ptrIlEEjNS0_19identity_decomposerEEE10hipError_tT1_T2_PT3_SG_jT4_jjP12ihipStream_tbEUlT_E_NS1_11comp_targetILNS1_3genE3ELNS1_11target_archE908ELNS1_3gpuE7ELNS1_3repE0EEENS1_52radix_sort_onesweep_histogram_config_static_selectorELNS0_4arch9wavefront6targetE1EEEvSE_, .Lfunc_end1821-_ZN7rocprim17ROCPRIM_400000_NS6detail17trampoline_kernelINS0_14default_configENS1_35radix_sort_onesweep_config_selectorIflEEZNS1_34radix_sort_onesweep_global_offsetsIS3_Lb0EPfN6thrust23THRUST_200600_302600_NS10device_ptrIlEEjNS0_19identity_decomposerEEE10hipError_tT1_T2_PT3_SG_jT4_jjP12ihipStream_tbEUlT_E_NS1_11comp_targetILNS1_3genE3ELNS1_11target_archE908ELNS1_3gpuE7ELNS1_3repE0EEENS1_52radix_sort_onesweep_histogram_config_static_selectorELNS0_4arch9wavefront6targetE1EEEvSE_
                                        ; -- End function
	.set _ZN7rocprim17ROCPRIM_400000_NS6detail17trampoline_kernelINS0_14default_configENS1_35radix_sort_onesweep_config_selectorIflEEZNS1_34radix_sort_onesweep_global_offsetsIS3_Lb0EPfN6thrust23THRUST_200600_302600_NS10device_ptrIlEEjNS0_19identity_decomposerEEE10hipError_tT1_T2_PT3_SG_jT4_jjP12ihipStream_tbEUlT_E_NS1_11comp_targetILNS1_3genE3ELNS1_11target_archE908ELNS1_3gpuE7ELNS1_3repE0EEENS1_52radix_sort_onesweep_histogram_config_static_selectorELNS0_4arch9wavefront6targetE1EEEvSE_.num_vgpr, 0
	.set _ZN7rocprim17ROCPRIM_400000_NS6detail17trampoline_kernelINS0_14default_configENS1_35radix_sort_onesweep_config_selectorIflEEZNS1_34radix_sort_onesweep_global_offsetsIS3_Lb0EPfN6thrust23THRUST_200600_302600_NS10device_ptrIlEEjNS0_19identity_decomposerEEE10hipError_tT1_T2_PT3_SG_jT4_jjP12ihipStream_tbEUlT_E_NS1_11comp_targetILNS1_3genE3ELNS1_11target_archE908ELNS1_3gpuE7ELNS1_3repE0EEENS1_52radix_sort_onesweep_histogram_config_static_selectorELNS0_4arch9wavefront6targetE1EEEvSE_.num_agpr, 0
	.set _ZN7rocprim17ROCPRIM_400000_NS6detail17trampoline_kernelINS0_14default_configENS1_35radix_sort_onesweep_config_selectorIflEEZNS1_34radix_sort_onesweep_global_offsetsIS3_Lb0EPfN6thrust23THRUST_200600_302600_NS10device_ptrIlEEjNS0_19identity_decomposerEEE10hipError_tT1_T2_PT3_SG_jT4_jjP12ihipStream_tbEUlT_E_NS1_11comp_targetILNS1_3genE3ELNS1_11target_archE908ELNS1_3gpuE7ELNS1_3repE0EEENS1_52radix_sort_onesweep_histogram_config_static_selectorELNS0_4arch9wavefront6targetE1EEEvSE_.numbered_sgpr, 0
	.set _ZN7rocprim17ROCPRIM_400000_NS6detail17trampoline_kernelINS0_14default_configENS1_35radix_sort_onesweep_config_selectorIflEEZNS1_34radix_sort_onesweep_global_offsetsIS3_Lb0EPfN6thrust23THRUST_200600_302600_NS10device_ptrIlEEjNS0_19identity_decomposerEEE10hipError_tT1_T2_PT3_SG_jT4_jjP12ihipStream_tbEUlT_E_NS1_11comp_targetILNS1_3genE3ELNS1_11target_archE908ELNS1_3gpuE7ELNS1_3repE0EEENS1_52radix_sort_onesweep_histogram_config_static_selectorELNS0_4arch9wavefront6targetE1EEEvSE_.num_named_barrier, 0
	.set _ZN7rocprim17ROCPRIM_400000_NS6detail17trampoline_kernelINS0_14default_configENS1_35radix_sort_onesweep_config_selectorIflEEZNS1_34radix_sort_onesweep_global_offsetsIS3_Lb0EPfN6thrust23THRUST_200600_302600_NS10device_ptrIlEEjNS0_19identity_decomposerEEE10hipError_tT1_T2_PT3_SG_jT4_jjP12ihipStream_tbEUlT_E_NS1_11comp_targetILNS1_3genE3ELNS1_11target_archE908ELNS1_3gpuE7ELNS1_3repE0EEENS1_52radix_sort_onesweep_histogram_config_static_selectorELNS0_4arch9wavefront6targetE1EEEvSE_.private_seg_size, 0
	.set _ZN7rocprim17ROCPRIM_400000_NS6detail17trampoline_kernelINS0_14default_configENS1_35radix_sort_onesweep_config_selectorIflEEZNS1_34radix_sort_onesweep_global_offsetsIS3_Lb0EPfN6thrust23THRUST_200600_302600_NS10device_ptrIlEEjNS0_19identity_decomposerEEE10hipError_tT1_T2_PT3_SG_jT4_jjP12ihipStream_tbEUlT_E_NS1_11comp_targetILNS1_3genE3ELNS1_11target_archE908ELNS1_3gpuE7ELNS1_3repE0EEENS1_52radix_sort_onesweep_histogram_config_static_selectorELNS0_4arch9wavefront6targetE1EEEvSE_.uses_vcc, 0
	.set _ZN7rocprim17ROCPRIM_400000_NS6detail17trampoline_kernelINS0_14default_configENS1_35radix_sort_onesweep_config_selectorIflEEZNS1_34radix_sort_onesweep_global_offsetsIS3_Lb0EPfN6thrust23THRUST_200600_302600_NS10device_ptrIlEEjNS0_19identity_decomposerEEE10hipError_tT1_T2_PT3_SG_jT4_jjP12ihipStream_tbEUlT_E_NS1_11comp_targetILNS1_3genE3ELNS1_11target_archE908ELNS1_3gpuE7ELNS1_3repE0EEENS1_52radix_sort_onesweep_histogram_config_static_selectorELNS0_4arch9wavefront6targetE1EEEvSE_.uses_flat_scratch, 0
	.set _ZN7rocprim17ROCPRIM_400000_NS6detail17trampoline_kernelINS0_14default_configENS1_35radix_sort_onesweep_config_selectorIflEEZNS1_34radix_sort_onesweep_global_offsetsIS3_Lb0EPfN6thrust23THRUST_200600_302600_NS10device_ptrIlEEjNS0_19identity_decomposerEEE10hipError_tT1_T2_PT3_SG_jT4_jjP12ihipStream_tbEUlT_E_NS1_11comp_targetILNS1_3genE3ELNS1_11target_archE908ELNS1_3gpuE7ELNS1_3repE0EEENS1_52radix_sort_onesweep_histogram_config_static_selectorELNS0_4arch9wavefront6targetE1EEEvSE_.has_dyn_sized_stack, 0
	.set _ZN7rocprim17ROCPRIM_400000_NS6detail17trampoline_kernelINS0_14default_configENS1_35radix_sort_onesweep_config_selectorIflEEZNS1_34radix_sort_onesweep_global_offsetsIS3_Lb0EPfN6thrust23THRUST_200600_302600_NS10device_ptrIlEEjNS0_19identity_decomposerEEE10hipError_tT1_T2_PT3_SG_jT4_jjP12ihipStream_tbEUlT_E_NS1_11comp_targetILNS1_3genE3ELNS1_11target_archE908ELNS1_3gpuE7ELNS1_3repE0EEENS1_52radix_sort_onesweep_histogram_config_static_selectorELNS0_4arch9wavefront6targetE1EEEvSE_.has_recursion, 0
	.set _ZN7rocprim17ROCPRIM_400000_NS6detail17trampoline_kernelINS0_14default_configENS1_35radix_sort_onesweep_config_selectorIflEEZNS1_34radix_sort_onesweep_global_offsetsIS3_Lb0EPfN6thrust23THRUST_200600_302600_NS10device_ptrIlEEjNS0_19identity_decomposerEEE10hipError_tT1_T2_PT3_SG_jT4_jjP12ihipStream_tbEUlT_E_NS1_11comp_targetILNS1_3genE3ELNS1_11target_archE908ELNS1_3gpuE7ELNS1_3repE0EEENS1_52radix_sort_onesweep_histogram_config_static_selectorELNS0_4arch9wavefront6targetE1EEEvSE_.has_indirect_call, 0
	.section	.AMDGPU.csdata,"",@progbits
; Kernel info:
; codeLenInByte = 0
; TotalNumSgprs: 4
; NumVgprs: 0
; ScratchSize: 0
; MemoryBound: 0
; FloatMode: 240
; IeeeMode: 1
; LDSByteSize: 0 bytes/workgroup (compile time only)
; SGPRBlocks: 0
; VGPRBlocks: 0
; NumSGPRsForWavesPerEU: 4
; NumVGPRsForWavesPerEU: 1
; Occupancy: 10
; WaveLimiterHint : 0
; COMPUTE_PGM_RSRC2:SCRATCH_EN: 0
; COMPUTE_PGM_RSRC2:USER_SGPR: 6
; COMPUTE_PGM_RSRC2:TRAP_HANDLER: 0
; COMPUTE_PGM_RSRC2:TGID_X_EN: 1
; COMPUTE_PGM_RSRC2:TGID_Y_EN: 0
; COMPUTE_PGM_RSRC2:TGID_Z_EN: 0
; COMPUTE_PGM_RSRC2:TIDIG_COMP_CNT: 0
	.section	.text._ZN7rocprim17ROCPRIM_400000_NS6detail17trampoline_kernelINS0_14default_configENS1_35radix_sort_onesweep_config_selectorIflEEZNS1_34radix_sort_onesweep_global_offsetsIS3_Lb0EPfN6thrust23THRUST_200600_302600_NS10device_ptrIlEEjNS0_19identity_decomposerEEE10hipError_tT1_T2_PT3_SG_jT4_jjP12ihipStream_tbEUlT_E_NS1_11comp_targetILNS1_3genE10ELNS1_11target_archE1201ELNS1_3gpuE5ELNS1_3repE0EEENS1_52radix_sort_onesweep_histogram_config_static_selectorELNS0_4arch9wavefront6targetE1EEEvSE_,"axG",@progbits,_ZN7rocprim17ROCPRIM_400000_NS6detail17trampoline_kernelINS0_14default_configENS1_35radix_sort_onesweep_config_selectorIflEEZNS1_34radix_sort_onesweep_global_offsetsIS3_Lb0EPfN6thrust23THRUST_200600_302600_NS10device_ptrIlEEjNS0_19identity_decomposerEEE10hipError_tT1_T2_PT3_SG_jT4_jjP12ihipStream_tbEUlT_E_NS1_11comp_targetILNS1_3genE10ELNS1_11target_archE1201ELNS1_3gpuE5ELNS1_3repE0EEENS1_52radix_sort_onesweep_histogram_config_static_selectorELNS0_4arch9wavefront6targetE1EEEvSE_,comdat
	.protected	_ZN7rocprim17ROCPRIM_400000_NS6detail17trampoline_kernelINS0_14default_configENS1_35radix_sort_onesweep_config_selectorIflEEZNS1_34radix_sort_onesweep_global_offsetsIS3_Lb0EPfN6thrust23THRUST_200600_302600_NS10device_ptrIlEEjNS0_19identity_decomposerEEE10hipError_tT1_T2_PT3_SG_jT4_jjP12ihipStream_tbEUlT_E_NS1_11comp_targetILNS1_3genE10ELNS1_11target_archE1201ELNS1_3gpuE5ELNS1_3repE0EEENS1_52radix_sort_onesweep_histogram_config_static_selectorELNS0_4arch9wavefront6targetE1EEEvSE_ ; -- Begin function _ZN7rocprim17ROCPRIM_400000_NS6detail17trampoline_kernelINS0_14default_configENS1_35radix_sort_onesweep_config_selectorIflEEZNS1_34radix_sort_onesweep_global_offsetsIS3_Lb0EPfN6thrust23THRUST_200600_302600_NS10device_ptrIlEEjNS0_19identity_decomposerEEE10hipError_tT1_T2_PT3_SG_jT4_jjP12ihipStream_tbEUlT_E_NS1_11comp_targetILNS1_3genE10ELNS1_11target_archE1201ELNS1_3gpuE5ELNS1_3repE0EEENS1_52radix_sort_onesweep_histogram_config_static_selectorELNS0_4arch9wavefront6targetE1EEEvSE_
	.globl	_ZN7rocprim17ROCPRIM_400000_NS6detail17trampoline_kernelINS0_14default_configENS1_35radix_sort_onesweep_config_selectorIflEEZNS1_34radix_sort_onesweep_global_offsetsIS3_Lb0EPfN6thrust23THRUST_200600_302600_NS10device_ptrIlEEjNS0_19identity_decomposerEEE10hipError_tT1_T2_PT3_SG_jT4_jjP12ihipStream_tbEUlT_E_NS1_11comp_targetILNS1_3genE10ELNS1_11target_archE1201ELNS1_3gpuE5ELNS1_3repE0EEENS1_52radix_sort_onesweep_histogram_config_static_selectorELNS0_4arch9wavefront6targetE1EEEvSE_
	.p2align	8
	.type	_ZN7rocprim17ROCPRIM_400000_NS6detail17trampoline_kernelINS0_14default_configENS1_35radix_sort_onesweep_config_selectorIflEEZNS1_34radix_sort_onesweep_global_offsetsIS3_Lb0EPfN6thrust23THRUST_200600_302600_NS10device_ptrIlEEjNS0_19identity_decomposerEEE10hipError_tT1_T2_PT3_SG_jT4_jjP12ihipStream_tbEUlT_E_NS1_11comp_targetILNS1_3genE10ELNS1_11target_archE1201ELNS1_3gpuE5ELNS1_3repE0EEENS1_52radix_sort_onesweep_histogram_config_static_selectorELNS0_4arch9wavefront6targetE1EEEvSE_,@function
_ZN7rocprim17ROCPRIM_400000_NS6detail17trampoline_kernelINS0_14default_configENS1_35radix_sort_onesweep_config_selectorIflEEZNS1_34radix_sort_onesweep_global_offsetsIS3_Lb0EPfN6thrust23THRUST_200600_302600_NS10device_ptrIlEEjNS0_19identity_decomposerEEE10hipError_tT1_T2_PT3_SG_jT4_jjP12ihipStream_tbEUlT_E_NS1_11comp_targetILNS1_3genE10ELNS1_11target_archE1201ELNS1_3gpuE5ELNS1_3repE0EEENS1_52radix_sort_onesweep_histogram_config_static_selectorELNS0_4arch9wavefront6targetE1EEEvSE_: ; @_ZN7rocprim17ROCPRIM_400000_NS6detail17trampoline_kernelINS0_14default_configENS1_35radix_sort_onesweep_config_selectorIflEEZNS1_34radix_sort_onesweep_global_offsetsIS3_Lb0EPfN6thrust23THRUST_200600_302600_NS10device_ptrIlEEjNS0_19identity_decomposerEEE10hipError_tT1_T2_PT3_SG_jT4_jjP12ihipStream_tbEUlT_E_NS1_11comp_targetILNS1_3genE10ELNS1_11target_archE1201ELNS1_3gpuE5ELNS1_3repE0EEENS1_52radix_sort_onesweep_histogram_config_static_selectorELNS0_4arch9wavefront6targetE1EEEvSE_
; %bb.0:
	.section	.rodata,"a",@progbits
	.p2align	6, 0x0
	.amdhsa_kernel _ZN7rocprim17ROCPRIM_400000_NS6detail17trampoline_kernelINS0_14default_configENS1_35radix_sort_onesweep_config_selectorIflEEZNS1_34radix_sort_onesweep_global_offsetsIS3_Lb0EPfN6thrust23THRUST_200600_302600_NS10device_ptrIlEEjNS0_19identity_decomposerEEE10hipError_tT1_T2_PT3_SG_jT4_jjP12ihipStream_tbEUlT_E_NS1_11comp_targetILNS1_3genE10ELNS1_11target_archE1201ELNS1_3gpuE5ELNS1_3repE0EEENS1_52radix_sort_onesweep_histogram_config_static_selectorELNS0_4arch9wavefront6targetE1EEEvSE_
		.amdhsa_group_segment_fixed_size 0
		.amdhsa_private_segment_fixed_size 0
		.amdhsa_kernarg_size 40
		.amdhsa_user_sgpr_count 6
		.amdhsa_user_sgpr_private_segment_buffer 1
		.amdhsa_user_sgpr_dispatch_ptr 0
		.amdhsa_user_sgpr_queue_ptr 0
		.amdhsa_user_sgpr_kernarg_segment_ptr 1
		.amdhsa_user_sgpr_dispatch_id 0
		.amdhsa_user_sgpr_flat_scratch_init 0
		.amdhsa_user_sgpr_private_segment_size 0
		.amdhsa_uses_dynamic_stack 0
		.amdhsa_system_sgpr_private_segment_wavefront_offset 0
		.amdhsa_system_sgpr_workgroup_id_x 1
		.amdhsa_system_sgpr_workgroup_id_y 0
		.amdhsa_system_sgpr_workgroup_id_z 0
		.amdhsa_system_sgpr_workgroup_info 0
		.amdhsa_system_vgpr_workitem_id 0
		.amdhsa_next_free_vgpr 1
		.amdhsa_next_free_sgpr 0
		.amdhsa_reserve_vcc 0
		.amdhsa_reserve_flat_scratch 0
		.amdhsa_float_round_mode_32 0
		.amdhsa_float_round_mode_16_64 0
		.amdhsa_float_denorm_mode_32 3
		.amdhsa_float_denorm_mode_16_64 3
		.amdhsa_dx10_clamp 1
		.amdhsa_ieee_mode 1
		.amdhsa_fp16_overflow 0
		.amdhsa_exception_fp_ieee_invalid_op 0
		.amdhsa_exception_fp_denorm_src 0
		.amdhsa_exception_fp_ieee_div_zero 0
		.amdhsa_exception_fp_ieee_overflow 0
		.amdhsa_exception_fp_ieee_underflow 0
		.amdhsa_exception_fp_ieee_inexact 0
		.amdhsa_exception_int_div_zero 0
	.end_amdhsa_kernel
	.section	.text._ZN7rocprim17ROCPRIM_400000_NS6detail17trampoline_kernelINS0_14default_configENS1_35radix_sort_onesweep_config_selectorIflEEZNS1_34radix_sort_onesweep_global_offsetsIS3_Lb0EPfN6thrust23THRUST_200600_302600_NS10device_ptrIlEEjNS0_19identity_decomposerEEE10hipError_tT1_T2_PT3_SG_jT4_jjP12ihipStream_tbEUlT_E_NS1_11comp_targetILNS1_3genE10ELNS1_11target_archE1201ELNS1_3gpuE5ELNS1_3repE0EEENS1_52radix_sort_onesweep_histogram_config_static_selectorELNS0_4arch9wavefront6targetE1EEEvSE_,"axG",@progbits,_ZN7rocprim17ROCPRIM_400000_NS6detail17trampoline_kernelINS0_14default_configENS1_35radix_sort_onesweep_config_selectorIflEEZNS1_34radix_sort_onesweep_global_offsetsIS3_Lb0EPfN6thrust23THRUST_200600_302600_NS10device_ptrIlEEjNS0_19identity_decomposerEEE10hipError_tT1_T2_PT3_SG_jT4_jjP12ihipStream_tbEUlT_E_NS1_11comp_targetILNS1_3genE10ELNS1_11target_archE1201ELNS1_3gpuE5ELNS1_3repE0EEENS1_52radix_sort_onesweep_histogram_config_static_selectorELNS0_4arch9wavefront6targetE1EEEvSE_,comdat
.Lfunc_end1822:
	.size	_ZN7rocprim17ROCPRIM_400000_NS6detail17trampoline_kernelINS0_14default_configENS1_35radix_sort_onesweep_config_selectorIflEEZNS1_34radix_sort_onesweep_global_offsetsIS3_Lb0EPfN6thrust23THRUST_200600_302600_NS10device_ptrIlEEjNS0_19identity_decomposerEEE10hipError_tT1_T2_PT3_SG_jT4_jjP12ihipStream_tbEUlT_E_NS1_11comp_targetILNS1_3genE10ELNS1_11target_archE1201ELNS1_3gpuE5ELNS1_3repE0EEENS1_52radix_sort_onesweep_histogram_config_static_selectorELNS0_4arch9wavefront6targetE1EEEvSE_, .Lfunc_end1822-_ZN7rocprim17ROCPRIM_400000_NS6detail17trampoline_kernelINS0_14default_configENS1_35radix_sort_onesweep_config_selectorIflEEZNS1_34radix_sort_onesweep_global_offsetsIS3_Lb0EPfN6thrust23THRUST_200600_302600_NS10device_ptrIlEEjNS0_19identity_decomposerEEE10hipError_tT1_T2_PT3_SG_jT4_jjP12ihipStream_tbEUlT_E_NS1_11comp_targetILNS1_3genE10ELNS1_11target_archE1201ELNS1_3gpuE5ELNS1_3repE0EEENS1_52radix_sort_onesweep_histogram_config_static_selectorELNS0_4arch9wavefront6targetE1EEEvSE_
                                        ; -- End function
	.set _ZN7rocprim17ROCPRIM_400000_NS6detail17trampoline_kernelINS0_14default_configENS1_35radix_sort_onesweep_config_selectorIflEEZNS1_34radix_sort_onesweep_global_offsetsIS3_Lb0EPfN6thrust23THRUST_200600_302600_NS10device_ptrIlEEjNS0_19identity_decomposerEEE10hipError_tT1_T2_PT3_SG_jT4_jjP12ihipStream_tbEUlT_E_NS1_11comp_targetILNS1_3genE10ELNS1_11target_archE1201ELNS1_3gpuE5ELNS1_3repE0EEENS1_52radix_sort_onesweep_histogram_config_static_selectorELNS0_4arch9wavefront6targetE1EEEvSE_.num_vgpr, 0
	.set _ZN7rocprim17ROCPRIM_400000_NS6detail17trampoline_kernelINS0_14default_configENS1_35radix_sort_onesweep_config_selectorIflEEZNS1_34radix_sort_onesweep_global_offsetsIS3_Lb0EPfN6thrust23THRUST_200600_302600_NS10device_ptrIlEEjNS0_19identity_decomposerEEE10hipError_tT1_T2_PT3_SG_jT4_jjP12ihipStream_tbEUlT_E_NS1_11comp_targetILNS1_3genE10ELNS1_11target_archE1201ELNS1_3gpuE5ELNS1_3repE0EEENS1_52radix_sort_onesweep_histogram_config_static_selectorELNS0_4arch9wavefront6targetE1EEEvSE_.num_agpr, 0
	.set _ZN7rocprim17ROCPRIM_400000_NS6detail17trampoline_kernelINS0_14default_configENS1_35radix_sort_onesweep_config_selectorIflEEZNS1_34radix_sort_onesweep_global_offsetsIS3_Lb0EPfN6thrust23THRUST_200600_302600_NS10device_ptrIlEEjNS0_19identity_decomposerEEE10hipError_tT1_T2_PT3_SG_jT4_jjP12ihipStream_tbEUlT_E_NS1_11comp_targetILNS1_3genE10ELNS1_11target_archE1201ELNS1_3gpuE5ELNS1_3repE0EEENS1_52radix_sort_onesweep_histogram_config_static_selectorELNS0_4arch9wavefront6targetE1EEEvSE_.numbered_sgpr, 0
	.set _ZN7rocprim17ROCPRIM_400000_NS6detail17trampoline_kernelINS0_14default_configENS1_35radix_sort_onesweep_config_selectorIflEEZNS1_34radix_sort_onesweep_global_offsetsIS3_Lb0EPfN6thrust23THRUST_200600_302600_NS10device_ptrIlEEjNS0_19identity_decomposerEEE10hipError_tT1_T2_PT3_SG_jT4_jjP12ihipStream_tbEUlT_E_NS1_11comp_targetILNS1_3genE10ELNS1_11target_archE1201ELNS1_3gpuE5ELNS1_3repE0EEENS1_52radix_sort_onesweep_histogram_config_static_selectorELNS0_4arch9wavefront6targetE1EEEvSE_.num_named_barrier, 0
	.set _ZN7rocprim17ROCPRIM_400000_NS6detail17trampoline_kernelINS0_14default_configENS1_35radix_sort_onesweep_config_selectorIflEEZNS1_34radix_sort_onesweep_global_offsetsIS3_Lb0EPfN6thrust23THRUST_200600_302600_NS10device_ptrIlEEjNS0_19identity_decomposerEEE10hipError_tT1_T2_PT3_SG_jT4_jjP12ihipStream_tbEUlT_E_NS1_11comp_targetILNS1_3genE10ELNS1_11target_archE1201ELNS1_3gpuE5ELNS1_3repE0EEENS1_52radix_sort_onesweep_histogram_config_static_selectorELNS0_4arch9wavefront6targetE1EEEvSE_.private_seg_size, 0
	.set _ZN7rocprim17ROCPRIM_400000_NS6detail17trampoline_kernelINS0_14default_configENS1_35radix_sort_onesweep_config_selectorIflEEZNS1_34radix_sort_onesweep_global_offsetsIS3_Lb0EPfN6thrust23THRUST_200600_302600_NS10device_ptrIlEEjNS0_19identity_decomposerEEE10hipError_tT1_T2_PT3_SG_jT4_jjP12ihipStream_tbEUlT_E_NS1_11comp_targetILNS1_3genE10ELNS1_11target_archE1201ELNS1_3gpuE5ELNS1_3repE0EEENS1_52radix_sort_onesweep_histogram_config_static_selectorELNS0_4arch9wavefront6targetE1EEEvSE_.uses_vcc, 0
	.set _ZN7rocprim17ROCPRIM_400000_NS6detail17trampoline_kernelINS0_14default_configENS1_35radix_sort_onesweep_config_selectorIflEEZNS1_34radix_sort_onesweep_global_offsetsIS3_Lb0EPfN6thrust23THRUST_200600_302600_NS10device_ptrIlEEjNS0_19identity_decomposerEEE10hipError_tT1_T2_PT3_SG_jT4_jjP12ihipStream_tbEUlT_E_NS1_11comp_targetILNS1_3genE10ELNS1_11target_archE1201ELNS1_3gpuE5ELNS1_3repE0EEENS1_52radix_sort_onesweep_histogram_config_static_selectorELNS0_4arch9wavefront6targetE1EEEvSE_.uses_flat_scratch, 0
	.set _ZN7rocprim17ROCPRIM_400000_NS6detail17trampoline_kernelINS0_14default_configENS1_35radix_sort_onesweep_config_selectorIflEEZNS1_34radix_sort_onesweep_global_offsetsIS3_Lb0EPfN6thrust23THRUST_200600_302600_NS10device_ptrIlEEjNS0_19identity_decomposerEEE10hipError_tT1_T2_PT3_SG_jT4_jjP12ihipStream_tbEUlT_E_NS1_11comp_targetILNS1_3genE10ELNS1_11target_archE1201ELNS1_3gpuE5ELNS1_3repE0EEENS1_52radix_sort_onesweep_histogram_config_static_selectorELNS0_4arch9wavefront6targetE1EEEvSE_.has_dyn_sized_stack, 0
	.set _ZN7rocprim17ROCPRIM_400000_NS6detail17trampoline_kernelINS0_14default_configENS1_35radix_sort_onesweep_config_selectorIflEEZNS1_34radix_sort_onesweep_global_offsetsIS3_Lb0EPfN6thrust23THRUST_200600_302600_NS10device_ptrIlEEjNS0_19identity_decomposerEEE10hipError_tT1_T2_PT3_SG_jT4_jjP12ihipStream_tbEUlT_E_NS1_11comp_targetILNS1_3genE10ELNS1_11target_archE1201ELNS1_3gpuE5ELNS1_3repE0EEENS1_52radix_sort_onesweep_histogram_config_static_selectorELNS0_4arch9wavefront6targetE1EEEvSE_.has_recursion, 0
	.set _ZN7rocprim17ROCPRIM_400000_NS6detail17trampoline_kernelINS0_14default_configENS1_35radix_sort_onesweep_config_selectorIflEEZNS1_34radix_sort_onesweep_global_offsetsIS3_Lb0EPfN6thrust23THRUST_200600_302600_NS10device_ptrIlEEjNS0_19identity_decomposerEEE10hipError_tT1_T2_PT3_SG_jT4_jjP12ihipStream_tbEUlT_E_NS1_11comp_targetILNS1_3genE10ELNS1_11target_archE1201ELNS1_3gpuE5ELNS1_3repE0EEENS1_52radix_sort_onesweep_histogram_config_static_selectorELNS0_4arch9wavefront6targetE1EEEvSE_.has_indirect_call, 0
	.section	.AMDGPU.csdata,"",@progbits
; Kernel info:
; codeLenInByte = 0
; TotalNumSgprs: 4
; NumVgprs: 0
; ScratchSize: 0
; MemoryBound: 0
; FloatMode: 240
; IeeeMode: 1
; LDSByteSize: 0 bytes/workgroup (compile time only)
; SGPRBlocks: 0
; VGPRBlocks: 0
; NumSGPRsForWavesPerEU: 4
; NumVGPRsForWavesPerEU: 1
; Occupancy: 10
; WaveLimiterHint : 0
; COMPUTE_PGM_RSRC2:SCRATCH_EN: 0
; COMPUTE_PGM_RSRC2:USER_SGPR: 6
; COMPUTE_PGM_RSRC2:TRAP_HANDLER: 0
; COMPUTE_PGM_RSRC2:TGID_X_EN: 1
; COMPUTE_PGM_RSRC2:TGID_Y_EN: 0
; COMPUTE_PGM_RSRC2:TGID_Z_EN: 0
; COMPUTE_PGM_RSRC2:TIDIG_COMP_CNT: 0
	.section	.text._ZN7rocprim17ROCPRIM_400000_NS6detail17trampoline_kernelINS0_14default_configENS1_35radix_sort_onesweep_config_selectorIflEEZNS1_34radix_sort_onesweep_global_offsetsIS3_Lb0EPfN6thrust23THRUST_200600_302600_NS10device_ptrIlEEjNS0_19identity_decomposerEEE10hipError_tT1_T2_PT3_SG_jT4_jjP12ihipStream_tbEUlT_E_NS1_11comp_targetILNS1_3genE9ELNS1_11target_archE1100ELNS1_3gpuE3ELNS1_3repE0EEENS1_52radix_sort_onesweep_histogram_config_static_selectorELNS0_4arch9wavefront6targetE1EEEvSE_,"axG",@progbits,_ZN7rocprim17ROCPRIM_400000_NS6detail17trampoline_kernelINS0_14default_configENS1_35radix_sort_onesweep_config_selectorIflEEZNS1_34radix_sort_onesweep_global_offsetsIS3_Lb0EPfN6thrust23THRUST_200600_302600_NS10device_ptrIlEEjNS0_19identity_decomposerEEE10hipError_tT1_T2_PT3_SG_jT4_jjP12ihipStream_tbEUlT_E_NS1_11comp_targetILNS1_3genE9ELNS1_11target_archE1100ELNS1_3gpuE3ELNS1_3repE0EEENS1_52radix_sort_onesweep_histogram_config_static_selectorELNS0_4arch9wavefront6targetE1EEEvSE_,comdat
	.protected	_ZN7rocprim17ROCPRIM_400000_NS6detail17trampoline_kernelINS0_14default_configENS1_35radix_sort_onesweep_config_selectorIflEEZNS1_34radix_sort_onesweep_global_offsetsIS3_Lb0EPfN6thrust23THRUST_200600_302600_NS10device_ptrIlEEjNS0_19identity_decomposerEEE10hipError_tT1_T2_PT3_SG_jT4_jjP12ihipStream_tbEUlT_E_NS1_11comp_targetILNS1_3genE9ELNS1_11target_archE1100ELNS1_3gpuE3ELNS1_3repE0EEENS1_52radix_sort_onesweep_histogram_config_static_selectorELNS0_4arch9wavefront6targetE1EEEvSE_ ; -- Begin function _ZN7rocprim17ROCPRIM_400000_NS6detail17trampoline_kernelINS0_14default_configENS1_35radix_sort_onesweep_config_selectorIflEEZNS1_34radix_sort_onesweep_global_offsetsIS3_Lb0EPfN6thrust23THRUST_200600_302600_NS10device_ptrIlEEjNS0_19identity_decomposerEEE10hipError_tT1_T2_PT3_SG_jT4_jjP12ihipStream_tbEUlT_E_NS1_11comp_targetILNS1_3genE9ELNS1_11target_archE1100ELNS1_3gpuE3ELNS1_3repE0EEENS1_52radix_sort_onesweep_histogram_config_static_selectorELNS0_4arch9wavefront6targetE1EEEvSE_
	.globl	_ZN7rocprim17ROCPRIM_400000_NS6detail17trampoline_kernelINS0_14default_configENS1_35radix_sort_onesweep_config_selectorIflEEZNS1_34radix_sort_onesweep_global_offsetsIS3_Lb0EPfN6thrust23THRUST_200600_302600_NS10device_ptrIlEEjNS0_19identity_decomposerEEE10hipError_tT1_T2_PT3_SG_jT4_jjP12ihipStream_tbEUlT_E_NS1_11comp_targetILNS1_3genE9ELNS1_11target_archE1100ELNS1_3gpuE3ELNS1_3repE0EEENS1_52radix_sort_onesweep_histogram_config_static_selectorELNS0_4arch9wavefront6targetE1EEEvSE_
	.p2align	8
	.type	_ZN7rocprim17ROCPRIM_400000_NS6detail17trampoline_kernelINS0_14default_configENS1_35radix_sort_onesweep_config_selectorIflEEZNS1_34radix_sort_onesweep_global_offsetsIS3_Lb0EPfN6thrust23THRUST_200600_302600_NS10device_ptrIlEEjNS0_19identity_decomposerEEE10hipError_tT1_T2_PT3_SG_jT4_jjP12ihipStream_tbEUlT_E_NS1_11comp_targetILNS1_3genE9ELNS1_11target_archE1100ELNS1_3gpuE3ELNS1_3repE0EEENS1_52radix_sort_onesweep_histogram_config_static_selectorELNS0_4arch9wavefront6targetE1EEEvSE_,@function
_ZN7rocprim17ROCPRIM_400000_NS6detail17trampoline_kernelINS0_14default_configENS1_35radix_sort_onesweep_config_selectorIflEEZNS1_34radix_sort_onesweep_global_offsetsIS3_Lb0EPfN6thrust23THRUST_200600_302600_NS10device_ptrIlEEjNS0_19identity_decomposerEEE10hipError_tT1_T2_PT3_SG_jT4_jjP12ihipStream_tbEUlT_E_NS1_11comp_targetILNS1_3genE9ELNS1_11target_archE1100ELNS1_3gpuE3ELNS1_3repE0EEENS1_52radix_sort_onesweep_histogram_config_static_selectorELNS0_4arch9wavefront6targetE1EEEvSE_: ; @_ZN7rocprim17ROCPRIM_400000_NS6detail17trampoline_kernelINS0_14default_configENS1_35radix_sort_onesweep_config_selectorIflEEZNS1_34radix_sort_onesweep_global_offsetsIS3_Lb0EPfN6thrust23THRUST_200600_302600_NS10device_ptrIlEEjNS0_19identity_decomposerEEE10hipError_tT1_T2_PT3_SG_jT4_jjP12ihipStream_tbEUlT_E_NS1_11comp_targetILNS1_3genE9ELNS1_11target_archE1100ELNS1_3gpuE3ELNS1_3repE0EEENS1_52radix_sort_onesweep_histogram_config_static_selectorELNS0_4arch9wavefront6targetE1EEEvSE_
; %bb.0:
	.section	.rodata,"a",@progbits
	.p2align	6, 0x0
	.amdhsa_kernel _ZN7rocprim17ROCPRIM_400000_NS6detail17trampoline_kernelINS0_14default_configENS1_35radix_sort_onesweep_config_selectorIflEEZNS1_34radix_sort_onesweep_global_offsetsIS3_Lb0EPfN6thrust23THRUST_200600_302600_NS10device_ptrIlEEjNS0_19identity_decomposerEEE10hipError_tT1_T2_PT3_SG_jT4_jjP12ihipStream_tbEUlT_E_NS1_11comp_targetILNS1_3genE9ELNS1_11target_archE1100ELNS1_3gpuE3ELNS1_3repE0EEENS1_52radix_sort_onesweep_histogram_config_static_selectorELNS0_4arch9wavefront6targetE1EEEvSE_
		.amdhsa_group_segment_fixed_size 0
		.amdhsa_private_segment_fixed_size 0
		.amdhsa_kernarg_size 40
		.amdhsa_user_sgpr_count 6
		.amdhsa_user_sgpr_private_segment_buffer 1
		.amdhsa_user_sgpr_dispatch_ptr 0
		.amdhsa_user_sgpr_queue_ptr 0
		.amdhsa_user_sgpr_kernarg_segment_ptr 1
		.amdhsa_user_sgpr_dispatch_id 0
		.amdhsa_user_sgpr_flat_scratch_init 0
		.amdhsa_user_sgpr_private_segment_size 0
		.amdhsa_uses_dynamic_stack 0
		.amdhsa_system_sgpr_private_segment_wavefront_offset 0
		.amdhsa_system_sgpr_workgroup_id_x 1
		.amdhsa_system_sgpr_workgroup_id_y 0
		.amdhsa_system_sgpr_workgroup_id_z 0
		.amdhsa_system_sgpr_workgroup_info 0
		.amdhsa_system_vgpr_workitem_id 0
		.amdhsa_next_free_vgpr 1
		.amdhsa_next_free_sgpr 0
		.amdhsa_reserve_vcc 0
		.amdhsa_reserve_flat_scratch 0
		.amdhsa_float_round_mode_32 0
		.amdhsa_float_round_mode_16_64 0
		.amdhsa_float_denorm_mode_32 3
		.amdhsa_float_denorm_mode_16_64 3
		.amdhsa_dx10_clamp 1
		.amdhsa_ieee_mode 1
		.amdhsa_fp16_overflow 0
		.amdhsa_exception_fp_ieee_invalid_op 0
		.amdhsa_exception_fp_denorm_src 0
		.amdhsa_exception_fp_ieee_div_zero 0
		.amdhsa_exception_fp_ieee_overflow 0
		.amdhsa_exception_fp_ieee_underflow 0
		.amdhsa_exception_fp_ieee_inexact 0
		.amdhsa_exception_int_div_zero 0
	.end_amdhsa_kernel
	.section	.text._ZN7rocprim17ROCPRIM_400000_NS6detail17trampoline_kernelINS0_14default_configENS1_35radix_sort_onesweep_config_selectorIflEEZNS1_34radix_sort_onesweep_global_offsetsIS3_Lb0EPfN6thrust23THRUST_200600_302600_NS10device_ptrIlEEjNS0_19identity_decomposerEEE10hipError_tT1_T2_PT3_SG_jT4_jjP12ihipStream_tbEUlT_E_NS1_11comp_targetILNS1_3genE9ELNS1_11target_archE1100ELNS1_3gpuE3ELNS1_3repE0EEENS1_52radix_sort_onesweep_histogram_config_static_selectorELNS0_4arch9wavefront6targetE1EEEvSE_,"axG",@progbits,_ZN7rocprim17ROCPRIM_400000_NS6detail17trampoline_kernelINS0_14default_configENS1_35radix_sort_onesweep_config_selectorIflEEZNS1_34radix_sort_onesweep_global_offsetsIS3_Lb0EPfN6thrust23THRUST_200600_302600_NS10device_ptrIlEEjNS0_19identity_decomposerEEE10hipError_tT1_T2_PT3_SG_jT4_jjP12ihipStream_tbEUlT_E_NS1_11comp_targetILNS1_3genE9ELNS1_11target_archE1100ELNS1_3gpuE3ELNS1_3repE0EEENS1_52radix_sort_onesweep_histogram_config_static_selectorELNS0_4arch9wavefront6targetE1EEEvSE_,comdat
.Lfunc_end1823:
	.size	_ZN7rocprim17ROCPRIM_400000_NS6detail17trampoline_kernelINS0_14default_configENS1_35radix_sort_onesweep_config_selectorIflEEZNS1_34radix_sort_onesweep_global_offsetsIS3_Lb0EPfN6thrust23THRUST_200600_302600_NS10device_ptrIlEEjNS0_19identity_decomposerEEE10hipError_tT1_T2_PT3_SG_jT4_jjP12ihipStream_tbEUlT_E_NS1_11comp_targetILNS1_3genE9ELNS1_11target_archE1100ELNS1_3gpuE3ELNS1_3repE0EEENS1_52radix_sort_onesweep_histogram_config_static_selectorELNS0_4arch9wavefront6targetE1EEEvSE_, .Lfunc_end1823-_ZN7rocprim17ROCPRIM_400000_NS6detail17trampoline_kernelINS0_14default_configENS1_35radix_sort_onesweep_config_selectorIflEEZNS1_34radix_sort_onesweep_global_offsetsIS3_Lb0EPfN6thrust23THRUST_200600_302600_NS10device_ptrIlEEjNS0_19identity_decomposerEEE10hipError_tT1_T2_PT3_SG_jT4_jjP12ihipStream_tbEUlT_E_NS1_11comp_targetILNS1_3genE9ELNS1_11target_archE1100ELNS1_3gpuE3ELNS1_3repE0EEENS1_52radix_sort_onesweep_histogram_config_static_selectorELNS0_4arch9wavefront6targetE1EEEvSE_
                                        ; -- End function
	.set _ZN7rocprim17ROCPRIM_400000_NS6detail17trampoline_kernelINS0_14default_configENS1_35radix_sort_onesweep_config_selectorIflEEZNS1_34radix_sort_onesweep_global_offsetsIS3_Lb0EPfN6thrust23THRUST_200600_302600_NS10device_ptrIlEEjNS0_19identity_decomposerEEE10hipError_tT1_T2_PT3_SG_jT4_jjP12ihipStream_tbEUlT_E_NS1_11comp_targetILNS1_3genE9ELNS1_11target_archE1100ELNS1_3gpuE3ELNS1_3repE0EEENS1_52radix_sort_onesweep_histogram_config_static_selectorELNS0_4arch9wavefront6targetE1EEEvSE_.num_vgpr, 0
	.set _ZN7rocprim17ROCPRIM_400000_NS6detail17trampoline_kernelINS0_14default_configENS1_35radix_sort_onesweep_config_selectorIflEEZNS1_34radix_sort_onesweep_global_offsetsIS3_Lb0EPfN6thrust23THRUST_200600_302600_NS10device_ptrIlEEjNS0_19identity_decomposerEEE10hipError_tT1_T2_PT3_SG_jT4_jjP12ihipStream_tbEUlT_E_NS1_11comp_targetILNS1_3genE9ELNS1_11target_archE1100ELNS1_3gpuE3ELNS1_3repE0EEENS1_52radix_sort_onesweep_histogram_config_static_selectorELNS0_4arch9wavefront6targetE1EEEvSE_.num_agpr, 0
	.set _ZN7rocprim17ROCPRIM_400000_NS6detail17trampoline_kernelINS0_14default_configENS1_35radix_sort_onesweep_config_selectorIflEEZNS1_34radix_sort_onesweep_global_offsetsIS3_Lb0EPfN6thrust23THRUST_200600_302600_NS10device_ptrIlEEjNS0_19identity_decomposerEEE10hipError_tT1_T2_PT3_SG_jT4_jjP12ihipStream_tbEUlT_E_NS1_11comp_targetILNS1_3genE9ELNS1_11target_archE1100ELNS1_3gpuE3ELNS1_3repE0EEENS1_52radix_sort_onesweep_histogram_config_static_selectorELNS0_4arch9wavefront6targetE1EEEvSE_.numbered_sgpr, 0
	.set _ZN7rocprim17ROCPRIM_400000_NS6detail17trampoline_kernelINS0_14default_configENS1_35radix_sort_onesweep_config_selectorIflEEZNS1_34radix_sort_onesweep_global_offsetsIS3_Lb0EPfN6thrust23THRUST_200600_302600_NS10device_ptrIlEEjNS0_19identity_decomposerEEE10hipError_tT1_T2_PT3_SG_jT4_jjP12ihipStream_tbEUlT_E_NS1_11comp_targetILNS1_3genE9ELNS1_11target_archE1100ELNS1_3gpuE3ELNS1_3repE0EEENS1_52radix_sort_onesweep_histogram_config_static_selectorELNS0_4arch9wavefront6targetE1EEEvSE_.num_named_barrier, 0
	.set _ZN7rocprim17ROCPRIM_400000_NS6detail17trampoline_kernelINS0_14default_configENS1_35radix_sort_onesweep_config_selectorIflEEZNS1_34radix_sort_onesweep_global_offsetsIS3_Lb0EPfN6thrust23THRUST_200600_302600_NS10device_ptrIlEEjNS0_19identity_decomposerEEE10hipError_tT1_T2_PT3_SG_jT4_jjP12ihipStream_tbEUlT_E_NS1_11comp_targetILNS1_3genE9ELNS1_11target_archE1100ELNS1_3gpuE3ELNS1_3repE0EEENS1_52radix_sort_onesweep_histogram_config_static_selectorELNS0_4arch9wavefront6targetE1EEEvSE_.private_seg_size, 0
	.set _ZN7rocprim17ROCPRIM_400000_NS6detail17trampoline_kernelINS0_14default_configENS1_35radix_sort_onesweep_config_selectorIflEEZNS1_34radix_sort_onesweep_global_offsetsIS3_Lb0EPfN6thrust23THRUST_200600_302600_NS10device_ptrIlEEjNS0_19identity_decomposerEEE10hipError_tT1_T2_PT3_SG_jT4_jjP12ihipStream_tbEUlT_E_NS1_11comp_targetILNS1_3genE9ELNS1_11target_archE1100ELNS1_3gpuE3ELNS1_3repE0EEENS1_52radix_sort_onesweep_histogram_config_static_selectorELNS0_4arch9wavefront6targetE1EEEvSE_.uses_vcc, 0
	.set _ZN7rocprim17ROCPRIM_400000_NS6detail17trampoline_kernelINS0_14default_configENS1_35radix_sort_onesweep_config_selectorIflEEZNS1_34radix_sort_onesweep_global_offsetsIS3_Lb0EPfN6thrust23THRUST_200600_302600_NS10device_ptrIlEEjNS0_19identity_decomposerEEE10hipError_tT1_T2_PT3_SG_jT4_jjP12ihipStream_tbEUlT_E_NS1_11comp_targetILNS1_3genE9ELNS1_11target_archE1100ELNS1_3gpuE3ELNS1_3repE0EEENS1_52radix_sort_onesweep_histogram_config_static_selectorELNS0_4arch9wavefront6targetE1EEEvSE_.uses_flat_scratch, 0
	.set _ZN7rocprim17ROCPRIM_400000_NS6detail17trampoline_kernelINS0_14default_configENS1_35radix_sort_onesweep_config_selectorIflEEZNS1_34radix_sort_onesweep_global_offsetsIS3_Lb0EPfN6thrust23THRUST_200600_302600_NS10device_ptrIlEEjNS0_19identity_decomposerEEE10hipError_tT1_T2_PT3_SG_jT4_jjP12ihipStream_tbEUlT_E_NS1_11comp_targetILNS1_3genE9ELNS1_11target_archE1100ELNS1_3gpuE3ELNS1_3repE0EEENS1_52radix_sort_onesweep_histogram_config_static_selectorELNS0_4arch9wavefront6targetE1EEEvSE_.has_dyn_sized_stack, 0
	.set _ZN7rocprim17ROCPRIM_400000_NS6detail17trampoline_kernelINS0_14default_configENS1_35radix_sort_onesweep_config_selectorIflEEZNS1_34radix_sort_onesweep_global_offsetsIS3_Lb0EPfN6thrust23THRUST_200600_302600_NS10device_ptrIlEEjNS0_19identity_decomposerEEE10hipError_tT1_T2_PT3_SG_jT4_jjP12ihipStream_tbEUlT_E_NS1_11comp_targetILNS1_3genE9ELNS1_11target_archE1100ELNS1_3gpuE3ELNS1_3repE0EEENS1_52radix_sort_onesweep_histogram_config_static_selectorELNS0_4arch9wavefront6targetE1EEEvSE_.has_recursion, 0
	.set _ZN7rocprim17ROCPRIM_400000_NS6detail17trampoline_kernelINS0_14default_configENS1_35radix_sort_onesweep_config_selectorIflEEZNS1_34radix_sort_onesweep_global_offsetsIS3_Lb0EPfN6thrust23THRUST_200600_302600_NS10device_ptrIlEEjNS0_19identity_decomposerEEE10hipError_tT1_T2_PT3_SG_jT4_jjP12ihipStream_tbEUlT_E_NS1_11comp_targetILNS1_3genE9ELNS1_11target_archE1100ELNS1_3gpuE3ELNS1_3repE0EEENS1_52radix_sort_onesweep_histogram_config_static_selectorELNS0_4arch9wavefront6targetE1EEEvSE_.has_indirect_call, 0
	.section	.AMDGPU.csdata,"",@progbits
; Kernel info:
; codeLenInByte = 0
; TotalNumSgprs: 4
; NumVgprs: 0
; ScratchSize: 0
; MemoryBound: 0
; FloatMode: 240
; IeeeMode: 1
; LDSByteSize: 0 bytes/workgroup (compile time only)
; SGPRBlocks: 0
; VGPRBlocks: 0
; NumSGPRsForWavesPerEU: 4
; NumVGPRsForWavesPerEU: 1
; Occupancy: 10
; WaveLimiterHint : 0
; COMPUTE_PGM_RSRC2:SCRATCH_EN: 0
; COMPUTE_PGM_RSRC2:USER_SGPR: 6
; COMPUTE_PGM_RSRC2:TRAP_HANDLER: 0
; COMPUTE_PGM_RSRC2:TGID_X_EN: 1
; COMPUTE_PGM_RSRC2:TGID_Y_EN: 0
; COMPUTE_PGM_RSRC2:TGID_Z_EN: 0
; COMPUTE_PGM_RSRC2:TIDIG_COMP_CNT: 0
	.section	.text._ZN7rocprim17ROCPRIM_400000_NS6detail17trampoline_kernelINS0_14default_configENS1_35radix_sort_onesweep_config_selectorIflEEZNS1_34radix_sort_onesweep_global_offsetsIS3_Lb0EPfN6thrust23THRUST_200600_302600_NS10device_ptrIlEEjNS0_19identity_decomposerEEE10hipError_tT1_T2_PT3_SG_jT4_jjP12ihipStream_tbEUlT_E_NS1_11comp_targetILNS1_3genE8ELNS1_11target_archE1030ELNS1_3gpuE2ELNS1_3repE0EEENS1_52radix_sort_onesweep_histogram_config_static_selectorELNS0_4arch9wavefront6targetE1EEEvSE_,"axG",@progbits,_ZN7rocprim17ROCPRIM_400000_NS6detail17trampoline_kernelINS0_14default_configENS1_35radix_sort_onesweep_config_selectorIflEEZNS1_34radix_sort_onesweep_global_offsetsIS3_Lb0EPfN6thrust23THRUST_200600_302600_NS10device_ptrIlEEjNS0_19identity_decomposerEEE10hipError_tT1_T2_PT3_SG_jT4_jjP12ihipStream_tbEUlT_E_NS1_11comp_targetILNS1_3genE8ELNS1_11target_archE1030ELNS1_3gpuE2ELNS1_3repE0EEENS1_52radix_sort_onesweep_histogram_config_static_selectorELNS0_4arch9wavefront6targetE1EEEvSE_,comdat
	.protected	_ZN7rocprim17ROCPRIM_400000_NS6detail17trampoline_kernelINS0_14default_configENS1_35radix_sort_onesweep_config_selectorIflEEZNS1_34radix_sort_onesweep_global_offsetsIS3_Lb0EPfN6thrust23THRUST_200600_302600_NS10device_ptrIlEEjNS0_19identity_decomposerEEE10hipError_tT1_T2_PT3_SG_jT4_jjP12ihipStream_tbEUlT_E_NS1_11comp_targetILNS1_3genE8ELNS1_11target_archE1030ELNS1_3gpuE2ELNS1_3repE0EEENS1_52radix_sort_onesweep_histogram_config_static_selectorELNS0_4arch9wavefront6targetE1EEEvSE_ ; -- Begin function _ZN7rocprim17ROCPRIM_400000_NS6detail17trampoline_kernelINS0_14default_configENS1_35radix_sort_onesweep_config_selectorIflEEZNS1_34radix_sort_onesweep_global_offsetsIS3_Lb0EPfN6thrust23THRUST_200600_302600_NS10device_ptrIlEEjNS0_19identity_decomposerEEE10hipError_tT1_T2_PT3_SG_jT4_jjP12ihipStream_tbEUlT_E_NS1_11comp_targetILNS1_3genE8ELNS1_11target_archE1030ELNS1_3gpuE2ELNS1_3repE0EEENS1_52radix_sort_onesweep_histogram_config_static_selectorELNS0_4arch9wavefront6targetE1EEEvSE_
	.globl	_ZN7rocprim17ROCPRIM_400000_NS6detail17trampoline_kernelINS0_14default_configENS1_35radix_sort_onesweep_config_selectorIflEEZNS1_34radix_sort_onesweep_global_offsetsIS3_Lb0EPfN6thrust23THRUST_200600_302600_NS10device_ptrIlEEjNS0_19identity_decomposerEEE10hipError_tT1_T2_PT3_SG_jT4_jjP12ihipStream_tbEUlT_E_NS1_11comp_targetILNS1_3genE8ELNS1_11target_archE1030ELNS1_3gpuE2ELNS1_3repE0EEENS1_52radix_sort_onesweep_histogram_config_static_selectorELNS0_4arch9wavefront6targetE1EEEvSE_
	.p2align	8
	.type	_ZN7rocprim17ROCPRIM_400000_NS6detail17trampoline_kernelINS0_14default_configENS1_35radix_sort_onesweep_config_selectorIflEEZNS1_34radix_sort_onesweep_global_offsetsIS3_Lb0EPfN6thrust23THRUST_200600_302600_NS10device_ptrIlEEjNS0_19identity_decomposerEEE10hipError_tT1_T2_PT3_SG_jT4_jjP12ihipStream_tbEUlT_E_NS1_11comp_targetILNS1_3genE8ELNS1_11target_archE1030ELNS1_3gpuE2ELNS1_3repE0EEENS1_52radix_sort_onesweep_histogram_config_static_selectorELNS0_4arch9wavefront6targetE1EEEvSE_,@function
_ZN7rocprim17ROCPRIM_400000_NS6detail17trampoline_kernelINS0_14default_configENS1_35radix_sort_onesweep_config_selectorIflEEZNS1_34radix_sort_onesweep_global_offsetsIS3_Lb0EPfN6thrust23THRUST_200600_302600_NS10device_ptrIlEEjNS0_19identity_decomposerEEE10hipError_tT1_T2_PT3_SG_jT4_jjP12ihipStream_tbEUlT_E_NS1_11comp_targetILNS1_3genE8ELNS1_11target_archE1030ELNS1_3gpuE2ELNS1_3repE0EEENS1_52radix_sort_onesweep_histogram_config_static_selectorELNS0_4arch9wavefront6targetE1EEEvSE_: ; @_ZN7rocprim17ROCPRIM_400000_NS6detail17trampoline_kernelINS0_14default_configENS1_35radix_sort_onesweep_config_selectorIflEEZNS1_34radix_sort_onesweep_global_offsetsIS3_Lb0EPfN6thrust23THRUST_200600_302600_NS10device_ptrIlEEjNS0_19identity_decomposerEEE10hipError_tT1_T2_PT3_SG_jT4_jjP12ihipStream_tbEUlT_E_NS1_11comp_targetILNS1_3genE8ELNS1_11target_archE1030ELNS1_3gpuE2ELNS1_3repE0EEENS1_52radix_sort_onesweep_histogram_config_static_selectorELNS0_4arch9wavefront6targetE1EEEvSE_
; %bb.0:
	.section	.rodata,"a",@progbits
	.p2align	6, 0x0
	.amdhsa_kernel _ZN7rocprim17ROCPRIM_400000_NS6detail17trampoline_kernelINS0_14default_configENS1_35radix_sort_onesweep_config_selectorIflEEZNS1_34radix_sort_onesweep_global_offsetsIS3_Lb0EPfN6thrust23THRUST_200600_302600_NS10device_ptrIlEEjNS0_19identity_decomposerEEE10hipError_tT1_T2_PT3_SG_jT4_jjP12ihipStream_tbEUlT_E_NS1_11comp_targetILNS1_3genE8ELNS1_11target_archE1030ELNS1_3gpuE2ELNS1_3repE0EEENS1_52radix_sort_onesweep_histogram_config_static_selectorELNS0_4arch9wavefront6targetE1EEEvSE_
		.amdhsa_group_segment_fixed_size 0
		.amdhsa_private_segment_fixed_size 0
		.amdhsa_kernarg_size 40
		.amdhsa_user_sgpr_count 6
		.amdhsa_user_sgpr_private_segment_buffer 1
		.amdhsa_user_sgpr_dispatch_ptr 0
		.amdhsa_user_sgpr_queue_ptr 0
		.amdhsa_user_sgpr_kernarg_segment_ptr 1
		.amdhsa_user_sgpr_dispatch_id 0
		.amdhsa_user_sgpr_flat_scratch_init 0
		.amdhsa_user_sgpr_private_segment_size 0
		.amdhsa_uses_dynamic_stack 0
		.amdhsa_system_sgpr_private_segment_wavefront_offset 0
		.amdhsa_system_sgpr_workgroup_id_x 1
		.amdhsa_system_sgpr_workgroup_id_y 0
		.amdhsa_system_sgpr_workgroup_id_z 0
		.amdhsa_system_sgpr_workgroup_info 0
		.amdhsa_system_vgpr_workitem_id 0
		.amdhsa_next_free_vgpr 1
		.amdhsa_next_free_sgpr 0
		.amdhsa_reserve_vcc 0
		.amdhsa_reserve_flat_scratch 0
		.amdhsa_float_round_mode_32 0
		.amdhsa_float_round_mode_16_64 0
		.amdhsa_float_denorm_mode_32 3
		.amdhsa_float_denorm_mode_16_64 3
		.amdhsa_dx10_clamp 1
		.amdhsa_ieee_mode 1
		.amdhsa_fp16_overflow 0
		.amdhsa_exception_fp_ieee_invalid_op 0
		.amdhsa_exception_fp_denorm_src 0
		.amdhsa_exception_fp_ieee_div_zero 0
		.amdhsa_exception_fp_ieee_overflow 0
		.amdhsa_exception_fp_ieee_underflow 0
		.amdhsa_exception_fp_ieee_inexact 0
		.amdhsa_exception_int_div_zero 0
	.end_amdhsa_kernel
	.section	.text._ZN7rocprim17ROCPRIM_400000_NS6detail17trampoline_kernelINS0_14default_configENS1_35radix_sort_onesweep_config_selectorIflEEZNS1_34radix_sort_onesweep_global_offsetsIS3_Lb0EPfN6thrust23THRUST_200600_302600_NS10device_ptrIlEEjNS0_19identity_decomposerEEE10hipError_tT1_T2_PT3_SG_jT4_jjP12ihipStream_tbEUlT_E_NS1_11comp_targetILNS1_3genE8ELNS1_11target_archE1030ELNS1_3gpuE2ELNS1_3repE0EEENS1_52radix_sort_onesweep_histogram_config_static_selectorELNS0_4arch9wavefront6targetE1EEEvSE_,"axG",@progbits,_ZN7rocprim17ROCPRIM_400000_NS6detail17trampoline_kernelINS0_14default_configENS1_35radix_sort_onesweep_config_selectorIflEEZNS1_34radix_sort_onesweep_global_offsetsIS3_Lb0EPfN6thrust23THRUST_200600_302600_NS10device_ptrIlEEjNS0_19identity_decomposerEEE10hipError_tT1_T2_PT3_SG_jT4_jjP12ihipStream_tbEUlT_E_NS1_11comp_targetILNS1_3genE8ELNS1_11target_archE1030ELNS1_3gpuE2ELNS1_3repE0EEENS1_52radix_sort_onesweep_histogram_config_static_selectorELNS0_4arch9wavefront6targetE1EEEvSE_,comdat
.Lfunc_end1824:
	.size	_ZN7rocprim17ROCPRIM_400000_NS6detail17trampoline_kernelINS0_14default_configENS1_35radix_sort_onesweep_config_selectorIflEEZNS1_34radix_sort_onesweep_global_offsetsIS3_Lb0EPfN6thrust23THRUST_200600_302600_NS10device_ptrIlEEjNS0_19identity_decomposerEEE10hipError_tT1_T2_PT3_SG_jT4_jjP12ihipStream_tbEUlT_E_NS1_11comp_targetILNS1_3genE8ELNS1_11target_archE1030ELNS1_3gpuE2ELNS1_3repE0EEENS1_52radix_sort_onesweep_histogram_config_static_selectorELNS0_4arch9wavefront6targetE1EEEvSE_, .Lfunc_end1824-_ZN7rocprim17ROCPRIM_400000_NS6detail17trampoline_kernelINS0_14default_configENS1_35radix_sort_onesweep_config_selectorIflEEZNS1_34radix_sort_onesweep_global_offsetsIS3_Lb0EPfN6thrust23THRUST_200600_302600_NS10device_ptrIlEEjNS0_19identity_decomposerEEE10hipError_tT1_T2_PT3_SG_jT4_jjP12ihipStream_tbEUlT_E_NS1_11comp_targetILNS1_3genE8ELNS1_11target_archE1030ELNS1_3gpuE2ELNS1_3repE0EEENS1_52radix_sort_onesweep_histogram_config_static_selectorELNS0_4arch9wavefront6targetE1EEEvSE_
                                        ; -- End function
	.set _ZN7rocprim17ROCPRIM_400000_NS6detail17trampoline_kernelINS0_14default_configENS1_35radix_sort_onesweep_config_selectorIflEEZNS1_34radix_sort_onesweep_global_offsetsIS3_Lb0EPfN6thrust23THRUST_200600_302600_NS10device_ptrIlEEjNS0_19identity_decomposerEEE10hipError_tT1_T2_PT3_SG_jT4_jjP12ihipStream_tbEUlT_E_NS1_11comp_targetILNS1_3genE8ELNS1_11target_archE1030ELNS1_3gpuE2ELNS1_3repE0EEENS1_52radix_sort_onesweep_histogram_config_static_selectorELNS0_4arch9wavefront6targetE1EEEvSE_.num_vgpr, 0
	.set _ZN7rocprim17ROCPRIM_400000_NS6detail17trampoline_kernelINS0_14default_configENS1_35radix_sort_onesweep_config_selectorIflEEZNS1_34radix_sort_onesweep_global_offsetsIS3_Lb0EPfN6thrust23THRUST_200600_302600_NS10device_ptrIlEEjNS0_19identity_decomposerEEE10hipError_tT1_T2_PT3_SG_jT4_jjP12ihipStream_tbEUlT_E_NS1_11comp_targetILNS1_3genE8ELNS1_11target_archE1030ELNS1_3gpuE2ELNS1_3repE0EEENS1_52radix_sort_onesweep_histogram_config_static_selectorELNS0_4arch9wavefront6targetE1EEEvSE_.num_agpr, 0
	.set _ZN7rocprim17ROCPRIM_400000_NS6detail17trampoline_kernelINS0_14default_configENS1_35radix_sort_onesweep_config_selectorIflEEZNS1_34radix_sort_onesweep_global_offsetsIS3_Lb0EPfN6thrust23THRUST_200600_302600_NS10device_ptrIlEEjNS0_19identity_decomposerEEE10hipError_tT1_T2_PT3_SG_jT4_jjP12ihipStream_tbEUlT_E_NS1_11comp_targetILNS1_3genE8ELNS1_11target_archE1030ELNS1_3gpuE2ELNS1_3repE0EEENS1_52radix_sort_onesweep_histogram_config_static_selectorELNS0_4arch9wavefront6targetE1EEEvSE_.numbered_sgpr, 0
	.set _ZN7rocprim17ROCPRIM_400000_NS6detail17trampoline_kernelINS0_14default_configENS1_35radix_sort_onesweep_config_selectorIflEEZNS1_34radix_sort_onesweep_global_offsetsIS3_Lb0EPfN6thrust23THRUST_200600_302600_NS10device_ptrIlEEjNS0_19identity_decomposerEEE10hipError_tT1_T2_PT3_SG_jT4_jjP12ihipStream_tbEUlT_E_NS1_11comp_targetILNS1_3genE8ELNS1_11target_archE1030ELNS1_3gpuE2ELNS1_3repE0EEENS1_52radix_sort_onesweep_histogram_config_static_selectorELNS0_4arch9wavefront6targetE1EEEvSE_.num_named_barrier, 0
	.set _ZN7rocprim17ROCPRIM_400000_NS6detail17trampoline_kernelINS0_14default_configENS1_35radix_sort_onesweep_config_selectorIflEEZNS1_34radix_sort_onesweep_global_offsetsIS3_Lb0EPfN6thrust23THRUST_200600_302600_NS10device_ptrIlEEjNS0_19identity_decomposerEEE10hipError_tT1_T2_PT3_SG_jT4_jjP12ihipStream_tbEUlT_E_NS1_11comp_targetILNS1_3genE8ELNS1_11target_archE1030ELNS1_3gpuE2ELNS1_3repE0EEENS1_52radix_sort_onesweep_histogram_config_static_selectorELNS0_4arch9wavefront6targetE1EEEvSE_.private_seg_size, 0
	.set _ZN7rocprim17ROCPRIM_400000_NS6detail17trampoline_kernelINS0_14default_configENS1_35radix_sort_onesweep_config_selectorIflEEZNS1_34radix_sort_onesweep_global_offsetsIS3_Lb0EPfN6thrust23THRUST_200600_302600_NS10device_ptrIlEEjNS0_19identity_decomposerEEE10hipError_tT1_T2_PT3_SG_jT4_jjP12ihipStream_tbEUlT_E_NS1_11comp_targetILNS1_3genE8ELNS1_11target_archE1030ELNS1_3gpuE2ELNS1_3repE0EEENS1_52radix_sort_onesweep_histogram_config_static_selectorELNS0_4arch9wavefront6targetE1EEEvSE_.uses_vcc, 0
	.set _ZN7rocprim17ROCPRIM_400000_NS6detail17trampoline_kernelINS0_14default_configENS1_35radix_sort_onesweep_config_selectorIflEEZNS1_34radix_sort_onesweep_global_offsetsIS3_Lb0EPfN6thrust23THRUST_200600_302600_NS10device_ptrIlEEjNS0_19identity_decomposerEEE10hipError_tT1_T2_PT3_SG_jT4_jjP12ihipStream_tbEUlT_E_NS1_11comp_targetILNS1_3genE8ELNS1_11target_archE1030ELNS1_3gpuE2ELNS1_3repE0EEENS1_52radix_sort_onesweep_histogram_config_static_selectorELNS0_4arch9wavefront6targetE1EEEvSE_.uses_flat_scratch, 0
	.set _ZN7rocprim17ROCPRIM_400000_NS6detail17trampoline_kernelINS0_14default_configENS1_35radix_sort_onesweep_config_selectorIflEEZNS1_34radix_sort_onesweep_global_offsetsIS3_Lb0EPfN6thrust23THRUST_200600_302600_NS10device_ptrIlEEjNS0_19identity_decomposerEEE10hipError_tT1_T2_PT3_SG_jT4_jjP12ihipStream_tbEUlT_E_NS1_11comp_targetILNS1_3genE8ELNS1_11target_archE1030ELNS1_3gpuE2ELNS1_3repE0EEENS1_52radix_sort_onesweep_histogram_config_static_selectorELNS0_4arch9wavefront6targetE1EEEvSE_.has_dyn_sized_stack, 0
	.set _ZN7rocprim17ROCPRIM_400000_NS6detail17trampoline_kernelINS0_14default_configENS1_35radix_sort_onesweep_config_selectorIflEEZNS1_34radix_sort_onesweep_global_offsetsIS3_Lb0EPfN6thrust23THRUST_200600_302600_NS10device_ptrIlEEjNS0_19identity_decomposerEEE10hipError_tT1_T2_PT3_SG_jT4_jjP12ihipStream_tbEUlT_E_NS1_11comp_targetILNS1_3genE8ELNS1_11target_archE1030ELNS1_3gpuE2ELNS1_3repE0EEENS1_52radix_sort_onesweep_histogram_config_static_selectorELNS0_4arch9wavefront6targetE1EEEvSE_.has_recursion, 0
	.set _ZN7rocprim17ROCPRIM_400000_NS6detail17trampoline_kernelINS0_14default_configENS1_35radix_sort_onesweep_config_selectorIflEEZNS1_34radix_sort_onesweep_global_offsetsIS3_Lb0EPfN6thrust23THRUST_200600_302600_NS10device_ptrIlEEjNS0_19identity_decomposerEEE10hipError_tT1_T2_PT3_SG_jT4_jjP12ihipStream_tbEUlT_E_NS1_11comp_targetILNS1_3genE8ELNS1_11target_archE1030ELNS1_3gpuE2ELNS1_3repE0EEENS1_52radix_sort_onesweep_histogram_config_static_selectorELNS0_4arch9wavefront6targetE1EEEvSE_.has_indirect_call, 0
	.section	.AMDGPU.csdata,"",@progbits
; Kernel info:
; codeLenInByte = 0
; TotalNumSgprs: 4
; NumVgprs: 0
; ScratchSize: 0
; MemoryBound: 0
; FloatMode: 240
; IeeeMode: 1
; LDSByteSize: 0 bytes/workgroup (compile time only)
; SGPRBlocks: 0
; VGPRBlocks: 0
; NumSGPRsForWavesPerEU: 4
; NumVGPRsForWavesPerEU: 1
; Occupancy: 10
; WaveLimiterHint : 0
; COMPUTE_PGM_RSRC2:SCRATCH_EN: 0
; COMPUTE_PGM_RSRC2:USER_SGPR: 6
; COMPUTE_PGM_RSRC2:TRAP_HANDLER: 0
; COMPUTE_PGM_RSRC2:TGID_X_EN: 1
; COMPUTE_PGM_RSRC2:TGID_Y_EN: 0
; COMPUTE_PGM_RSRC2:TGID_Z_EN: 0
; COMPUTE_PGM_RSRC2:TIDIG_COMP_CNT: 0
	.section	.text._ZN7rocprim17ROCPRIM_400000_NS6detail17trampoline_kernelINS0_14default_configENS1_35radix_sort_onesweep_config_selectorIflEEZNS1_34radix_sort_onesweep_global_offsetsIS3_Lb0EPfN6thrust23THRUST_200600_302600_NS10device_ptrIlEEjNS0_19identity_decomposerEEE10hipError_tT1_T2_PT3_SG_jT4_jjP12ihipStream_tbEUlT_E0_NS1_11comp_targetILNS1_3genE0ELNS1_11target_archE4294967295ELNS1_3gpuE0ELNS1_3repE0EEENS1_52radix_sort_onesweep_histogram_config_static_selectorELNS0_4arch9wavefront6targetE1EEEvSE_,"axG",@progbits,_ZN7rocprim17ROCPRIM_400000_NS6detail17trampoline_kernelINS0_14default_configENS1_35radix_sort_onesweep_config_selectorIflEEZNS1_34radix_sort_onesweep_global_offsetsIS3_Lb0EPfN6thrust23THRUST_200600_302600_NS10device_ptrIlEEjNS0_19identity_decomposerEEE10hipError_tT1_T2_PT3_SG_jT4_jjP12ihipStream_tbEUlT_E0_NS1_11comp_targetILNS1_3genE0ELNS1_11target_archE4294967295ELNS1_3gpuE0ELNS1_3repE0EEENS1_52radix_sort_onesweep_histogram_config_static_selectorELNS0_4arch9wavefront6targetE1EEEvSE_,comdat
	.protected	_ZN7rocprim17ROCPRIM_400000_NS6detail17trampoline_kernelINS0_14default_configENS1_35radix_sort_onesweep_config_selectorIflEEZNS1_34radix_sort_onesweep_global_offsetsIS3_Lb0EPfN6thrust23THRUST_200600_302600_NS10device_ptrIlEEjNS0_19identity_decomposerEEE10hipError_tT1_T2_PT3_SG_jT4_jjP12ihipStream_tbEUlT_E0_NS1_11comp_targetILNS1_3genE0ELNS1_11target_archE4294967295ELNS1_3gpuE0ELNS1_3repE0EEENS1_52radix_sort_onesweep_histogram_config_static_selectorELNS0_4arch9wavefront6targetE1EEEvSE_ ; -- Begin function _ZN7rocprim17ROCPRIM_400000_NS6detail17trampoline_kernelINS0_14default_configENS1_35radix_sort_onesweep_config_selectorIflEEZNS1_34radix_sort_onesweep_global_offsetsIS3_Lb0EPfN6thrust23THRUST_200600_302600_NS10device_ptrIlEEjNS0_19identity_decomposerEEE10hipError_tT1_T2_PT3_SG_jT4_jjP12ihipStream_tbEUlT_E0_NS1_11comp_targetILNS1_3genE0ELNS1_11target_archE4294967295ELNS1_3gpuE0ELNS1_3repE0EEENS1_52radix_sort_onesweep_histogram_config_static_selectorELNS0_4arch9wavefront6targetE1EEEvSE_
	.globl	_ZN7rocprim17ROCPRIM_400000_NS6detail17trampoline_kernelINS0_14default_configENS1_35radix_sort_onesweep_config_selectorIflEEZNS1_34radix_sort_onesweep_global_offsetsIS3_Lb0EPfN6thrust23THRUST_200600_302600_NS10device_ptrIlEEjNS0_19identity_decomposerEEE10hipError_tT1_T2_PT3_SG_jT4_jjP12ihipStream_tbEUlT_E0_NS1_11comp_targetILNS1_3genE0ELNS1_11target_archE4294967295ELNS1_3gpuE0ELNS1_3repE0EEENS1_52radix_sort_onesweep_histogram_config_static_selectorELNS0_4arch9wavefront6targetE1EEEvSE_
	.p2align	8
	.type	_ZN7rocprim17ROCPRIM_400000_NS6detail17trampoline_kernelINS0_14default_configENS1_35radix_sort_onesweep_config_selectorIflEEZNS1_34radix_sort_onesweep_global_offsetsIS3_Lb0EPfN6thrust23THRUST_200600_302600_NS10device_ptrIlEEjNS0_19identity_decomposerEEE10hipError_tT1_T2_PT3_SG_jT4_jjP12ihipStream_tbEUlT_E0_NS1_11comp_targetILNS1_3genE0ELNS1_11target_archE4294967295ELNS1_3gpuE0ELNS1_3repE0EEENS1_52radix_sort_onesweep_histogram_config_static_selectorELNS0_4arch9wavefront6targetE1EEEvSE_,@function
_ZN7rocprim17ROCPRIM_400000_NS6detail17trampoline_kernelINS0_14default_configENS1_35radix_sort_onesweep_config_selectorIflEEZNS1_34radix_sort_onesweep_global_offsetsIS3_Lb0EPfN6thrust23THRUST_200600_302600_NS10device_ptrIlEEjNS0_19identity_decomposerEEE10hipError_tT1_T2_PT3_SG_jT4_jjP12ihipStream_tbEUlT_E0_NS1_11comp_targetILNS1_3genE0ELNS1_11target_archE4294967295ELNS1_3gpuE0ELNS1_3repE0EEENS1_52radix_sort_onesweep_histogram_config_static_selectorELNS0_4arch9wavefront6targetE1EEEvSE_: ; @_ZN7rocprim17ROCPRIM_400000_NS6detail17trampoline_kernelINS0_14default_configENS1_35radix_sort_onesweep_config_selectorIflEEZNS1_34radix_sort_onesweep_global_offsetsIS3_Lb0EPfN6thrust23THRUST_200600_302600_NS10device_ptrIlEEjNS0_19identity_decomposerEEE10hipError_tT1_T2_PT3_SG_jT4_jjP12ihipStream_tbEUlT_E0_NS1_11comp_targetILNS1_3genE0ELNS1_11target_archE4294967295ELNS1_3gpuE0ELNS1_3repE0EEENS1_52radix_sort_onesweep_histogram_config_static_selectorELNS0_4arch9wavefront6targetE1EEEvSE_
; %bb.0:
	.section	.rodata,"a",@progbits
	.p2align	6, 0x0
	.amdhsa_kernel _ZN7rocprim17ROCPRIM_400000_NS6detail17trampoline_kernelINS0_14default_configENS1_35radix_sort_onesweep_config_selectorIflEEZNS1_34radix_sort_onesweep_global_offsetsIS3_Lb0EPfN6thrust23THRUST_200600_302600_NS10device_ptrIlEEjNS0_19identity_decomposerEEE10hipError_tT1_T2_PT3_SG_jT4_jjP12ihipStream_tbEUlT_E0_NS1_11comp_targetILNS1_3genE0ELNS1_11target_archE4294967295ELNS1_3gpuE0ELNS1_3repE0EEENS1_52radix_sort_onesweep_histogram_config_static_selectorELNS0_4arch9wavefront6targetE1EEEvSE_
		.amdhsa_group_segment_fixed_size 0
		.amdhsa_private_segment_fixed_size 0
		.amdhsa_kernarg_size 8
		.amdhsa_user_sgpr_count 6
		.amdhsa_user_sgpr_private_segment_buffer 1
		.amdhsa_user_sgpr_dispatch_ptr 0
		.amdhsa_user_sgpr_queue_ptr 0
		.amdhsa_user_sgpr_kernarg_segment_ptr 1
		.amdhsa_user_sgpr_dispatch_id 0
		.amdhsa_user_sgpr_flat_scratch_init 0
		.amdhsa_user_sgpr_private_segment_size 0
		.amdhsa_uses_dynamic_stack 0
		.amdhsa_system_sgpr_private_segment_wavefront_offset 0
		.amdhsa_system_sgpr_workgroup_id_x 1
		.amdhsa_system_sgpr_workgroup_id_y 0
		.amdhsa_system_sgpr_workgroup_id_z 0
		.amdhsa_system_sgpr_workgroup_info 0
		.amdhsa_system_vgpr_workitem_id 0
		.amdhsa_next_free_vgpr 1
		.amdhsa_next_free_sgpr 0
		.amdhsa_reserve_vcc 0
		.amdhsa_reserve_flat_scratch 0
		.amdhsa_float_round_mode_32 0
		.amdhsa_float_round_mode_16_64 0
		.amdhsa_float_denorm_mode_32 3
		.amdhsa_float_denorm_mode_16_64 3
		.amdhsa_dx10_clamp 1
		.amdhsa_ieee_mode 1
		.amdhsa_fp16_overflow 0
		.amdhsa_exception_fp_ieee_invalid_op 0
		.amdhsa_exception_fp_denorm_src 0
		.amdhsa_exception_fp_ieee_div_zero 0
		.amdhsa_exception_fp_ieee_overflow 0
		.amdhsa_exception_fp_ieee_underflow 0
		.amdhsa_exception_fp_ieee_inexact 0
		.amdhsa_exception_int_div_zero 0
	.end_amdhsa_kernel
	.section	.text._ZN7rocprim17ROCPRIM_400000_NS6detail17trampoline_kernelINS0_14default_configENS1_35radix_sort_onesweep_config_selectorIflEEZNS1_34radix_sort_onesweep_global_offsetsIS3_Lb0EPfN6thrust23THRUST_200600_302600_NS10device_ptrIlEEjNS0_19identity_decomposerEEE10hipError_tT1_T2_PT3_SG_jT4_jjP12ihipStream_tbEUlT_E0_NS1_11comp_targetILNS1_3genE0ELNS1_11target_archE4294967295ELNS1_3gpuE0ELNS1_3repE0EEENS1_52radix_sort_onesweep_histogram_config_static_selectorELNS0_4arch9wavefront6targetE1EEEvSE_,"axG",@progbits,_ZN7rocprim17ROCPRIM_400000_NS6detail17trampoline_kernelINS0_14default_configENS1_35radix_sort_onesweep_config_selectorIflEEZNS1_34radix_sort_onesweep_global_offsetsIS3_Lb0EPfN6thrust23THRUST_200600_302600_NS10device_ptrIlEEjNS0_19identity_decomposerEEE10hipError_tT1_T2_PT3_SG_jT4_jjP12ihipStream_tbEUlT_E0_NS1_11comp_targetILNS1_3genE0ELNS1_11target_archE4294967295ELNS1_3gpuE0ELNS1_3repE0EEENS1_52radix_sort_onesweep_histogram_config_static_selectorELNS0_4arch9wavefront6targetE1EEEvSE_,comdat
.Lfunc_end1825:
	.size	_ZN7rocprim17ROCPRIM_400000_NS6detail17trampoline_kernelINS0_14default_configENS1_35radix_sort_onesweep_config_selectorIflEEZNS1_34radix_sort_onesweep_global_offsetsIS3_Lb0EPfN6thrust23THRUST_200600_302600_NS10device_ptrIlEEjNS0_19identity_decomposerEEE10hipError_tT1_T2_PT3_SG_jT4_jjP12ihipStream_tbEUlT_E0_NS1_11comp_targetILNS1_3genE0ELNS1_11target_archE4294967295ELNS1_3gpuE0ELNS1_3repE0EEENS1_52radix_sort_onesweep_histogram_config_static_selectorELNS0_4arch9wavefront6targetE1EEEvSE_, .Lfunc_end1825-_ZN7rocprim17ROCPRIM_400000_NS6detail17trampoline_kernelINS0_14default_configENS1_35radix_sort_onesweep_config_selectorIflEEZNS1_34radix_sort_onesweep_global_offsetsIS3_Lb0EPfN6thrust23THRUST_200600_302600_NS10device_ptrIlEEjNS0_19identity_decomposerEEE10hipError_tT1_T2_PT3_SG_jT4_jjP12ihipStream_tbEUlT_E0_NS1_11comp_targetILNS1_3genE0ELNS1_11target_archE4294967295ELNS1_3gpuE0ELNS1_3repE0EEENS1_52radix_sort_onesweep_histogram_config_static_selectorELNS0_4arch9wavefront6targetE1EEEvSE_
                                        ; -- End function
	.set _ZN7rocprim17ROCPRIM_400000_NS6detail17trampoline_kernelINS0_14default_configENS1_35radix_sort_onesweep_config_selectorIflEEZNS1_34radix_sort_onesweep_global_offsetsIS3_Lb0EPfN6thrust23THRUST_200600_302600_NS10device_ptrIlEEjNS0_19identity_decomposerEEE10hipError_tT1_T2_PT3_SG_jT4_jjP12ihipStream_tbEUlT_E0_NS1_11comp_targetILNS1_3genE0ELNS1_11target_archE4294967295ELNS1_3gpuE0ELNS1_3repE0EEENS1_52radix_sort_onesweep_histogram_config_static_selectorELNS0_4arch9wavefront6targetE1EEEvSE_.num_vgpr, 0
	.set _ZN7rocprim17ROCPRIM_400000_NS6detail17trampoline_kernelINS0_14default_configENS1_35radix_sort_onesweep_config_selectorIflEEZNS1_34radix_sort_onesweep_global_offsetsIS3_Lb0EPfN6thrust23THRUST_200600_302600_NS10device_ptrIlEEjNS0_19identity_decomposerEEE10hipError_tT1_T2_PT3_SG_jT4_jjP12ihipStream_tbEUlT_E0_NS1_11comp_targetILNS1_3genE0ELNS1_11target_archE4294967295ELNS1_3gpuE0ELNS1_3repE0EEENS1_52radix_sort_onesweep_histogram_config_static_selectorELNS0_4arch9wavefront6targetE1EEEvSE_.num_agpr, 0
	.set _ZN7rocprim17ROCPRIM_400000_NS6detail17trampoline_kernelINS0_14default_configENS1_35radix_sort_onesweep_config_selectorIflEEZNS1_34radix_sort_onesweep_global_offsetsIS3_Lb0EPfN6thrust23THRUST_200600_302600_NS10device_ptrIlEEjNS0_19identity_decomposerEEE10hipError_tT1_T2_PT3_SG_jT4_jjP12ihipStream_tbEUlT_E0_NS1_11comp_targetILNS1_3genE0ELNS1_11target_archE4294967295ELNS1_3gpuE0ELNS1_3repE0EEENS1_52radix_sort_onesweep_histogram_config_static_selectorELNS0_4arch9wavefront6targetE1EEEvSE_.numbered_sgpr, 0
	.set _ZN7rocprim17ROCPRIM_400000_NS6detail17trampoline_kernelINS0_14default_configENS1_35radix_sort_onesweep_config_selectorIflEEZNS1_34radix_sort_onesweep_global_offsetsIS3_Lb0EPfN6thrust23THRUST_200600_302600_NS10device_ptrIlEEjNS0_19identity_decomposerEEE10hipError_tT1_T2_PT3_SG_jT4_jjP12ihipStream_tbEUlT_E0_NS1_11comp_targetILNS1_3genE0ELNS1_11target_archE4294967295ELNS1_3gpuE0ELNS1_3repE0EEENS1_52radix_sort_onesweep_histogram_config_static_selectorELNS0_4arch9wavefront6targetE1EEEvSE_.num_named_barrier, 0
	.set _ZN7rocprim17ROCPRIM_400000_NS6detail17trampoline_kernelINS0_14default_configENS1_35radix_sort_onesweep_config_selectorIflEEZNS1_34radix_sort_onesweep_global_offsetsIS3_Lb0EPfN6thrust23THRUST_200600_302600_NS10device_ptrIlEEjNS0_19identity_decomposerEEE10hipError_tT1_T2_PT3_SG_jT4_jjP12ihipStream_tbEUlT_E0_NS1_11comp_targetILNS1_3genE0ELNS1_11target_archE4294967295ELNS1_3gpuE0ELNS1_3repE0EEENS1_52radix_sort_onesweep_histogram_config_static_selectorELNS0_4arch9wavefront6targetE1EEEvSE_.private_seg_size, 0
	.set _ZN7rocprim17ROCPRIM_400000_NS6detail17trampoline_kernelINS0_14default_configENS1_35radix_sort_onesweep_config_selectorIflEEZNS1_34radix_sort_onesweep_global_offsetsIS3_Lb0EPfN6thrust23THRUST_200600_302600_NS10device_ptrIlEEjNS0_19identity_decomposerEEE10hipError_tT1_T2_PT3_SG_jT4_jjP12ihipStream_tbEUlT_E0_NS1_11comp_targetILNS1_3genE0ELNS1_11target_archE4294967295ELNS1_3gpuE0ELNS1_3repE0EEENS1_52radix_sort_onesweep_histogram_config_static_selectorELNS0_4arch9wavefront6targetE1EEEvSE_.uses_vcc, 0
	.set _ZN7rocprim17ROCPRIM_400000_NS6detail17trampoline_kernelINS0_14default_configENS1_35radix_sort_onesweep_config_selectorIflEEZNS1_34radix_sort_onesweep_global_offsetsIS3_Lb0EPfN6thrust23THRUST_200600_302600_NS10device_ptrIlEEjNS0_19identity_decomposerEEE10hipError_tT1_T2_PT3_SG_jT4_jjP12ihipStream_tbEUlT_E0_NS1_11comp_targetILNS1_3genE0ELNS1_11target_archE4294967295ELNS1_3gpuE0ELNS1_3repE0EEENS1_52radix_sort_onesweep_histogram_config_static_selectorELNS0_4arch9wavefront6targetE1EEEvSE_.uses_flat_scratch, 0
	.set _ZN7rocprim17ROCPRIM_400000_NS6detail17trampoline_kernelINS0_14default_configENS1_35radix_sort_onesweep_config_selectorIflEEZNS1_34radix_sort_onesweep_global_offsetsIS3_Lb0EPfN6thrust23THRUST_200600_302600_NS10device_ptrIlEEjNS0_19identity_decomposerEEE10hipError_tT1_T2_PT3_SG_jT4_jjP12ihipStream_tbEUlT_E0_NS1_11comp_targetILNS1_3genE0ELNS1_11target_archE4294967295ELNS1_3gpuE0ELNS1_3repE0EEENS1_52radix_sort_onesweep_histogram_config_static_selectorELNS0_4arch9wavefront6targetE1EEEvSE_.has_dyn_sized_stack, 0
	.set _ZN7rocprim17ROCPRIM_400000_NS6detail17trampoline_kernelINS0_14default_configENS1_35radix_sort_onesweep_config_selectorIflEEZNS1_34radix_sort_onesweep_global_offsetsIS3_Lb0EPfN6thrust23THRUST_200600_302600_NS10device_ptrIlEEjNS0_19identity_decomposerEEE10hipError_tT1_T2_PT3_SG_jT4_jjP12ihipStream_tbEUlT_E0_NS1_11comp_targetILNS1_3genE0ELNS1_11target_archE4294967295ELNS1_3gpuE0ELNS1_3repE0EEENS1_52radix_sort_onesweep_histogram_config_static_selectorELNS0_4arch9wavefront6targetE1EEEvSE_.has_recursion, 0
	.set _ZN7rocprim17ROCPRIM_400000_NS6detail17trampoline_kernelINS0_14default_configENS1_35radix_sort_onesweep_config_selectorIflEEZNS1_34radix_sort_onesweep_global_offsetsIS3_Lb0EPfN6thrust23THRUST_200600_302600_NS10device_ptrIlEEjNS0_19identity_decomposerEEE10hipError_tT1_T2_PT3_SG_jT4_jjP12ihipStream_tbEUlT_E0_NS1_11comp_targetILNS1_3genE0ELNS1_11target_archE4294967295ELNS1_3gpuE0ELNS1_3repE0EEENS1_52radix_sort_onesweep_histogram_config_static_selectorELNS0_4arch9wavefront6targetE1EEEvSE_.has_indirect_call, 0
	.section	.AMDGPU.csdata,"",@progbits
; Kernel info:
; codeLenInByte = 0
; TotalNumSgprs: 4
; NumVgprs: 0
; ScratchSize: 0
; MemoryBound: 0
; FloatMode: 240
; IeeeMode: 1
; LDSByteSize: 0 bytes/workgroup (compile time only)
; SGPRBlocks: 0
; VGPRBlocks: 0
; NumSGPRsForWavesPerEU: 4
; NumVGPRsForWavesPerEU: 1
; Occupancy: 10
; WaveLimiterHint : 0
; COMPUTE_PGM_RSRC2:SCRATCH_EN: 0
; COMPUTE_PGM_RSRC2:USER_SGPR: 6
; COMPUTE_PGM_RSRC2:TRAP_HANDLER: 0
; COMPUTE_PGM_RSRC2:TGID_X_EN: 1
; COMPUTE_PGM_RSRC2:TGID_Y_EN: 0
; COMPUTE_PGM_RSRC2:TGID_Z_EN: 0
; COMPUTE_PGM_RSRC2:TIDIG_COMP_CNT: 0
	.section	.text._ZN7rocprim17ROCPRIM_400000_NS6detail17trampoline_kernelINS0_14default_configENS1_35radix_sort_onesweep_config_selectorIflEEZNS1_34radix_sort_onesweep_global_offsetsIS3_Lb0EPfN6thrust23THRUST_200600_302600_NS10device_ptrIlEEjNS0_19identity_decomposerEEE10hipError_tT1_T2_PT3_SG_jT4_jjP12ihipStream_tbEUlT_E0_NS1_11comp_targetILNS1_3genE6ELNS1_11target_archE950ELNS1_3gpuE13ELNS1_3repE0EEENS1_52radix_sort_onesweep_histogram_config_static_selectorELNS0_4arch9wavefront6targetE1EEEvSE_,"axG",@progbits,_ZN7rocprim17ROCPRIM_400000_NS6detail17trampoline_kernelINS0_14default_configENS1_35radix_sort_onesweep_config_selectorIflEEZNS1_34radix_sort_onesweep_global_offsetsIS3_Lb0EPfN6thrust23THRUST_200600_302600_NS10device_ptrIlEEjNS0_19identity_decomposerEEE10hipError_tT1_T2_PT3_SG_jT4_jjP12ihipStream_tbEUlT_E0_NS1_11comp_targetILNS1_3genE6ELNS1_11target_archE950ELNS1_3gpuE13ELNS1_3repE0EEENS1_52radix_sort_onesweep_histogram_config_static_selectorELNS0_4arch9wavefront6targetE1EEEvSE_,comdat
	.protected	_ZN7rocprim17ROCPRIM_400000_NS6detail17trampoline_kernelINS0_14default_configENS1_35radix_sort_onesweep_config_selectorIflEEZNS1_34radix_sort_onesweep_global_offsetsIS3_Lb0EPfN6thrust23THRUST_200600_302600_NS10device_ptrIlEEjNS0_19identity_decomposerEEE10hipError_tT1_T2_PT3_SG_jT4_jjP12ihipStream_tbEUlT_E0_NS1_11comp_targetILNS1_3genE6ELNS1_11target_archE950ELNS1_3gpuE13ELNS1_3repE0EEENS1_52radix_sort_onesweep_histogram_config_static_selectorELNS0_4arch9wavefront6targetE1EEEvSE_ ; -- Begin function _ZN7rocprim17ROCPRIM_400000_NS6detail17trampoline_kernelINS0_14default_configENS1_35radix_sort_onesweep_config_selectorIflEEZNS1_34radix_sort_onesweep_global_offsetsIS3_Lb0EPfN6thrust23THRUST_200600_302600_NS10device_ptrIlEEjNS0_19identity_decomposerEEE10hipError_tT1_T2_PT3_SG_jT4_jjP12ihipStream_tbEUlT_E0_NS1_11comp_targetILNS1_3genE6ELNS1_11target_archE950ELNS1_3gpuE13ELNS1_3repE0EEENS1_52radix_sort_onesweep_histogram_config_static_selectorELNS0_4arch9wavefront6targetE1EEEvSE_
	.globl	_ZN7rocprim17ROCPRIM_400000_NS6detail17trampoline_kernelINS0_14default_configENS1_35radix_sort_onesweep_config_selectorIflEEZNS1_34radix_sort_onesweep_global_offsetsIS3_Lb0EPfN6thrust23THRUST_200600_302600_NS10device_ptrIlEEjNS0_19identity_decomposerEEE10hipError_tT1_T2_PT3_SG_jT4_jjP12ihipStream_tbEUlT_E0_NS1_11comp_targetILNS1_3genE6ELNS1_11target_archE950ELNS1_3gpuE13ELNS1_3repE0EEENS1_52radix_sort_onesweep_histogram_config_static_selectorELNS0_4arch9wavefront6targetE1EEEvSE_
	.p2align	8
	.type	_ZN7rocprim17ROCPRIM_400000_NS6detail17trampoline_kernelINS0_14default_configENS1_35radix_sort_onesweep_config_selectorIflEEZNS1_34radix_sort_onesweep_global_offsetsIS3_Lb0EPfN6thrust23THRUST_200600_302600_NS10device_ptrIlEEjNS0_19identity_decomposerEEE10hipError_tT1_T2_PT3_SG_jT4_jjP12ihipStream_tbEUlT_E0_NS1_11comp_targetILNS1_3genE6ELNS1_11target_archE950ELNS1_3gpuE13ELNS1_3repE0EEENS1_52radix_sort_onesweep_histogram_config_static_selectorELNS0_4arch9wavefront6targetE1EEEvSE_,@function
_ZN7rocprim17ROCPRIM_400000_NS6detail17trampoline_kernelINS0_14default_configENS1_35radix_sort_onesweep_config_selectorIflEEZNS1_34radix_sort_onesweep_global_offsetsIS3_Lb0EPfN6thrust23THRUST_200600_302600_NS10device_ptrIlEEjNS0_19identity_decomposerEEE10hipError_tT1_T2_PT3_SG_jT4_jjP12ihipStream_tbEUlT_E0_NS1_11comp_targetILNS1_3genE6ELNS1_11target_archE950ELNS1_3gpuE13ELNS1_3repE0EEENS1_52radix_sort_onesweep_histogram_config_static_selectorELNS0_4arch9wavefront6targetE1EEEvSE_: ; @_ZN7rocprim17ROCPRIM_400000_NS6detail17trampoline_kernelINS0_14default_configENS1_35radix_sort_onesweep_config_selectorIflEEZNS1_34radix_sort_onesweep_global_offsetsIS3_Lb0EPfN6thrust23THRUST_200600_302600_NS10device_ptrIlEEjNS0_19identity_decomposerEEE10hipError_tT1_T2_PT3_SG_jT4_jjP12ihipStream_tbEUlT_E0_NS1_11comp_targetILNS1_3genE6ELNS1_11target_archE950ELNS1_3gpuE13ELNS1_3repE0EEENS1_52radix_sort_onesweep_histogram_config_static_selectorELNS0_4arch9wavefront6targetE1EEEvSE_
; %bb.0:
	.section	.rodata,"a",@progbits
	.p2align	6, 0x0
	.amdhsa_kernel _ZN7rocprim17ROCPRIM_400000_NS6detail17trampoline_kernelINS0_14default_configENS1_35radix_sort_onesweep_config_selectorIflEEZNS1_34radix_sort_onesweep_global_offsetsIS3_Lb0EPfN6thrust23THRUST_200600_302600_NS10device_ptrIlEEjNS0_19identity_decomposerEEE10hipError_tT1_T2_PT3_SG_jT4_jjP12ihipStream_tbEUlT_E0_NS1_11comp_targetILNS1_3genE6ELNS1_11target_archE950ELNS1_3gpuE13ELNS1_3repE0EEENS1_52radix_sort_onesweep_histogram_config_static_selectorELNS0_4arch9wavefront6targetE1EEEvSE_
		.amdhsa_group_segment_fixed_size 0
		.amdhsa_private_segment_fixed_size 0
		.amdhsa_kernarg_size 8
		.amdhsa_user_sgpr_count 6
		.amdhsa_user_sgpr_private_segment_buffer 1
		.amdhsa_user_sgpr_dispatch_ptr 0
		.amdhsa_user_sgpr_queue_ptr 0
		.amdhsa_user_sgpr_kernarg_segment_ptr 1
		.amdhsa_user_sgpr_dispatch_id 0
		.amdhsa_user_sgpr_flat_scratch_init 0
		.amdhsa_user_sgpr_private_segment_size 0
		.amdhsa_uses_dynamic_stack 0
		.amdhsa_system_sgpr_private_segment_wavefront_offset 0
		.amdhsa_system_sgpr_workgroup_id_x 1
		.amdhsa_system_sgpr_workgroup_id_y 0
		.amdhsa_system_sgpr_workgroup_id_z 0
		.amdhsa_system_sgpr_workgroup_info 0
		.amdhsa_system_vgpr_workitem_id 0
		.amdhsa_next_free_vgpr 1
		.amdhsa_next_free_sgpr 0
		.amdhsa_reserve_vcc 0
		.amdhsa_reserve_flat_scratch 0
		.amdhsa_float_round_mode_32 0
		.amdhsa_float_round_mode_16_64 0
		.amdhsa_float_denorm_mode_32 3
		.amdhsa_float_denorm_mode_16_64 3
		.amdhsa_dx10_clamp 1
		.amdhsa_ieee_mode 1
		.amdhsa_fp16_overflow 0
		.amdhsa_exception_fp_ieee_invalid_op 0
		.amdhsa_exception_fp_denorm_src 0
		.amdhsa_exception_fp_ieee_div_zero 0
		.amdhsa_exception_fp_ieee_overflow 0
		.amdhsa_exception_fp_ieee_underflow 0
		.amdhsa_exception_fp_ieee_inexact 0
		.amdhsa_exception_int_div_zero 0
	.end_amdhsa_kernel
	.section	.text._ZN7rocprim17ROCPRIM_400000_NS6detail17trampoline_kernelINS0_14default_configENS1_35radix_sort_onesweep_config_selectorIflEEZNS1_34radix_sort_onesweep_global_offsetsIS3_Lb0EPfN6thrust23THRUST_200600_302600_NS10device_ptrIlEEjNS0_19identity_decomposerEEE10hipError_tT1_T2_PT3_SG_jT4_jjP12ihipStream_tbEUlT_E0_NS1_11comp_targetILNS1_3genE6ELNS1_11target_archE950ELNS1_3gpuE13ELNS1_3repE0EEENS1_52radix_sort_onesweep_histogram_config_static_selectorELNS0_4arch9wavefront6targetE1EEEvSE_,"axG",@progbits,_ZN7rocprim17ROCPRIM_400000_NS6detail17trampoline_kernelINS0_14default_configENS1_35radix_sort_onesweep_config_selectorIflEEZNS1_34radix_sort_onesweep_global_offsetsIS3_Lb0EPfN6thrust23THRUST_200600_302600_NS10device_ptrIlEEjNS0_19identity_decomposerEEE10hipError_tT1_T2_PT3_SG_jT4_jjP12ihipStream_tbEUlT_E0_NS1_11comp_targetILNS1_3genE6ELNS1_11target_archE950ELNS1_3gpuE13ELNS1_3repE0EEENS1_52radix_sort_onesweep_histogram_config_static_selectorELNS0_4arch9wavefront6targetE1EEEvSE_,comdat
.Lfunc_end1826:
	.size	_ZN7rocprim17ROCPRIM_400000_NS6detail17trampoline_kernelINS0_14default_configENS1_35radix_sort_onesweep_config_selectorIflEEZNS1_34radix_sort_onesweep_global_offsetsIS3_Lb0EPfN6thrust23THRUST_200600_302600_NS10device_ptrIlEEjNS0_19identity_decomposerEEE10hipError_tT1_T2_PT3_SG_jT4_jjP12ihipStream_tbEUlT_E0_NS1_11comp_targetILNS1_3genE6ELNS1_11target_archE950ELNS1_3gpuE13ELNS1_3repE0EEENS1_52radix_sort_onesweep_histogram_config_static_selectorELNS0_4arch9wavefront6targetE1EEEvSE_, .Lfunc_end1826-_ZN7rocprim17ROCPRIM_400000_NS6detail17trampoline_kernelINS0_14default_configENS1_35radix_sort_onesweep_config_selectorIflEEZNS1_34radix_sort_onesweep_global_offsetsIS3_Lb0EPfN6thrust23THRUST_200600_302600_NS10device_ptrIlEEjNS0_19identity_decomposerEEE10hipError_tT1_T2_PT3_SG_jT4_jjP12ihipStream_tbEUlT_E0_NS1_11comp_targetILNS1_3genE6ELNS1_11target_archE950ELNS1_3gpuE13ELNS1_3repE0EEENS1_52radix_sort_onesweep_histogram_config_static_selectorELNS0_4arch9wavefront6targetE1EEEvSE_
                                        ; -- End function
	.set _ZN7rocprim17ROCPRIM_400000_NS6detail17trampoline_kernelINS0_14default_configENS1_35radix_sort_onesweep_config_selectorIflEEZNS1_34radix_sort_onesweep_global_offsetsIS3_Lb0EPfN6thrust23THRUST_200600_302600_NS10device_ptrIlEEjNS0_19identity_decomposerEEE10hipError_tT1_T2_PT3_SG_jT4_jjP12ihipStream_tbEUlT_E0_NS1_11comp_targetILNS1_3genE6ELNS1_11target_archE950ELNS1_3gpuE13ELNS1_3repE0EEENS1_52radix_sort_onesweep_histogram_config_static_selectorELNS0_4arch9wavefront6targetE1EEEvSE_.num_vgpr, 0
	.set _ZN7rocprim17ROCPRIM_400000_NS6detail17trampoline_kernelINS0_14default_configENS1_35radix_sort_onesweep_config_selectorIflEEZNS1_34radix_sort_onesweep_global_offsetsIS3_Lb0EPfN6thrust23THRUST_200600_302600_NS10device_ptrIlEEjNS0_19identity_decomposerEEE10hipError_tT1_T2_PT3_SG_jT4_jjP12ihipStream_tbEUlT_E0_NS1_11comp_targetILNS1_3genE6ELNS1_11target_archE950ELNS1_3gpuE13ELNS1_3repE0EEENS1_52radix_sort_onesweep_histogram_config_static_selectorELNS0_4arch9wavefront6targetE1EEEvSE_.num_agpr, 0
	.set _ZN7rocprim17ROCPRIM_400000_NS6detail17trampoline_kernelINS0_14default_configENS1_35radix_sort_onesweep_config_selectorIflEEZNS1_34radix_sort_onesweep_global_offsetsIS3_Lb0EPfN6thrust23THRUST_200600_302600_NS10device_ptrIlEEjNS0_19identity_decomposerEEE10hipError_tT1_T2_PT3_SG_jT4_jjP12ihipStream_tbEUlT_E0_NS1_11comp_targetILNS1_3genE6ELNS1_11target_archE950ELNS1_3gpuE13ELNS1_3repE0EEENS1_52radix_sort_onesweep_histogram_config_static_selectorELNS0_4arch9wavefront6targetE1EEEvSE_.numbered_sgpr, 0
	.set _ZN7rocprim17ROCPRIM_400000_NS6detail17trampoline_kernelINS0_14default_configENS1_35radix_sort_onesweep_config_selectorIflEEZNS1_34radix_sort_onesweep_global_offsetsIS3_Lb0EPfN6thrust23THRUST_200600_302600_NS10device_ptrIlEEjNS0_19identity_decomposerEEE10hipError_tT1_T2_PT3_SG_jT4_jjP12ihipStream_tbEUlT_E0_NS1_11comp_targetILNS1_3genE6ELNS1_11target_archE950ELNS1_3gpuE13ELNS1_3repE0EEENS1_52radix_sort_onesweep_histogram_config_static_selectorELNS0_4arch9wavefront6targetE1EEEvSE_.num_named_barrier, 0
	.set _ZN7rocprim17ROCPRIM_400000_NS6detail17trampoline_kernelINS0_14default_configENS1_35radix_sort_onesweep_config_selectorIflEEZNS1_34radix_sort_onesweep_global_offsetsIS3_Lb0EPfN6thrust23THRUST_200600_302600_NS10device_ptrIlEEjNS0_19identity_decomposerEEE10hipError_tT1_T2_PT3_SG_jT4_jjP12ihipStream_tbEUlT_E0_NS1_11comp_targetILNS1_3genE6ELNS1_11target_archE950ELNS1_3gpuE13ELNS1_3repE0EEENS1_52radix_sort_onesweep_histogram_config_static_selectorELNS0_4arch9wavefront6targetE1EEEvSE_.private_seg_size, 0
	.set _ZN7rocprim17ROCPRIM_400000_NS6detail17trampoline_kernelINS0_14default_configENS1_35radix_sort_onesweep_config_selectorIflEEZNS1_34radix_sort_onesweep_global_offsetsIS3_Lb0EPfN6thrust23THRUST_200600_302600_NS10device_ptrIlEEjNS0_19identity_decomposerEEE10hipError_tT1_T2_PT3_SG_jT4_jjP12ihipStream_tbEUlT_E0_NS1_11comp_targetILNS1_3genE6ELNS1_11target_archE950ELNS1_3gpuE13ELNS1_3repE0EEENS1_52radix_sort_onesweep_histogram_config_static_selectorELNS0_4arch9wavefront6targetE1EEEvSE_.uses_vcc, 0
	.set _ZN7rocprim17ROCPRIM_400000_NS6detail17trampoline_kernelINS0_14default_configENS1_35radix_sort_onesweep_config_selectorIflEEZNS1_34radix_sort_onesweep_global_offsetsIS3_Lb0EPfN6thrust23THRUST_200600_302600_NS10device_ptrIlEEjNS0_19identity_decomposerEEE10hipError_tT1_T2_PT3_SG_jT4_jjP12ihipStream_tbEUlT_E0_NS1_11comp_targetILNS1_3genE6ELNS1_11target_archE950ELNS1_3gpuE13ELNS1_3repE0EEENS1_52radix_sort_onesweep_histogram_config_static_selectorELNS0_4arch9wavefront6targetE1EEEvSE_.uses_flat_scratch, 0
	.set _ZN7rocprim17ROCPRIM_400000_NS6detail17trampoline_kernelINS0_14default_configENS1_35radix_sort_onesweep_config_selectorIflEEZNS1_34radix_sort_onesweep_global_offsetsIS3_Lb0EPfN6thrust23THRUST_200600_302600_NS10device_ptrIlEEjNS0_19identity_decomposerEEE10hipError_tT1_T2_PT3_SG_jT4_jjP12ihipStream_tbEUlT_E0_NS1_11comp_targetILNS1_3genE6ELNS1_11target_archE950ELNS1_3gpuE13ELNS1_3repE0EEENS1_52radix_sort_onesweep_histogram_config_static_selectorELNS0_4arch9wavefront6targetE1EEEvSE_.has_dyn_sized_stack, 0
	.set _ZN7rocprim17ROCPRIM_400000_NS6detail17trampoline_kernelINS0_14default_configENS1_35radix_sort_onesweep_config_selectorIflEEZNS1_34radix_sort_onesweep_global_offsetsIS3_Lb0EPfN6thrust23THRUST_200600_302600_NS10device_ptrIlEEjNS0_19identity_decomposerEEE10hipError_tT1_T2_PT3_SG_jT4_jjP12ihipStream_tbEUlT_E0_NS1_11comp_targetILNS1_3genE6ELNS1_11target_archE950ELNS1_3gpuE13ELNS1_3repE0EEENS1_52radix_sort_onesweep_histogram_config_static_selectorELNS0_4arch9wavefront6targetE1EEEvSE_.has_recursion, 0
	.set _ZN7rocprim17ROCPRIM_400000_NS6detail17trampoline_kernelINS0_14default_configENS1_35radix_sort_onesweep_config_selectorIflEEZNS1_34radix_sort_onesweep_global_offsetsIS3_Lb0EPfN6thrust23THRUST_200600_302600_NS10device_ptrIlEEjNS0_19identity_decomposerEEE10hipError_tT1_T2_PT3_SG_jT4_jjP12ihipStream_tbEUlT_E0_NS1_11comp_targetILNS1_3genE6ELNS1_11target_archE950ELNS1_3gpuE13ELNS1_3repE0EEENS1_52radix_sort_onesweep_histogram_config_static_selectorELNS0_4arch9wavefront6targetE1EEEvSE_.has_indirect_call, 0
	.section	.AMDGPU.csdata,"",@progbits
; Kernel info:
; codeLenInByte = 0
; TotalNumSgprs: 4
; NumVgprs: 0
; ScratchSize: 0
; MemoryBound: 0
; FloatMode: 240
; IeeeMode: 1
; LDSByteSize: 0 bytes/workgroup (compile time only)
; SGPRBlocks: 0
; VGPRBlocks: 0
; NumSGPRsForWavesPerEU: 4
; NumVGPRsForWavesPerEU: 1
; Occupancy: 10
; WaveLimiterHint : 0
; COMPUTE_PGM_RSRC2:SCRATCH_EN: 0
; COMPUTE_PGM_RSRC2:USER_SGPR: 6
; COMPUTE_PGM_RSRC2:TRAP_HANDLER: 0
; COMPUTE_PGM_RSRC2:TGID_X_EN: 1
; COMPUTE_PGM_RSRC2:TGID_Y_EN: 0
; COMPUTE_PGM_RSRC2:TGID_Z_EN: 0
; COMPUTE_PGM_RSRC2:TIDIG_COMP_CNT: 0
	.section	.text._ZN7rocprim17ROCPRIM_400000_NS6detail17trampoline_kernelINS0_14default_configENS1_35radix_sort_onesweep_config_selectorIflEEZNS1_34radix_sort_onesweep_global_offsetsIS3_Lb0EPfN6thrust23THRUST_200600_302600_NS10device_ptrIlEEjNS0_19identity_decomposerEEE10hipError_tT1_T2_PT3_SG_jT4_jjP12ihipStream_tbEUlT_E0_NS1_11comp_targetILNS1_3genE5ELNS1_11target_archE942ELNS1_3gpuE9ELNS1_3repE0EEENS1_52radix_sort_onesweep_histogram_config_static_selectorELNS0_4arch9wavefront6targetE1EEEvSE_,"axG",@progbits,_ZN7rocprim17ROCPRIM_400000_NS6detail17trampoline_kernelINS0_14default_configENS1_35radix_sort_onesweep_config_selectorIflEEZNS1_34radix_sort_onesweep_global_offsetsIS3_Lb0EPfN6thrust23THRUST_200600_302600_NS10device_ptrIlEEjNS0_19identity_decomposerEEE10hipError_tT1_T2_PT3_SG_jT4_jjP12ihipStream_tbEUlT_E0_NS1_11comp_targetILNS1_3genE5ELNS1_11target_archE942ELNS1_3gpuE9ELNS1_3repE0EEENS1_52radix_sort_onesweep_histogram_config_static_selectorELNS0_4arch9wavefront6targetE1EEEvSE_,comdat
	.protected	_ZN7rocprim17ROCPRIM_400000_NS6detail17trampoline_kernelINS0_14default_configENS1_35radix_sort_onesweep_config_selectorIflEEZNS1_34radix_sort_onesweep_global_offsetsIS3_Lb0EPfN6thrust23THRUST_200600_302600_NS10device_ptrIlEEjNS0_19identity_decomposerEEE10hipError_tT1_T2_PT3_SG_jT4_jjP12ihipStream_tbEUlT_E0_NS1_11comp_targetILNS1_3genE5ELNS1_11target_archE942ELNS1_3gpuE9ELNS1_3repE0EEENS1_52radix_sort_onesweep_histogram_config_static_selectorELNS0_4arch9wavefront6targetE1EEEvSE_ ; -- Begin function _ZN7rocprim17ROCPRIM_400000_NS6detail17trampoline_kernelINS0_14default_configENS1_35radix_sort_onesweep_config_selectorIflEEZNS1_34radix_sort_onesweep_global_offsetsIS3_Lb0EPfN6thrust23THRUST_200600_302600_NS10device_ptrIlEEjNS0_19identity_decomposerEEE10hipError_tT1_T2_PT3_SG_jT4_jjP12ihipStream_tbEUlT_E0_NS1_11comp_targetILNS1_3genE5ELNS1_11target_archE942ELNS1_3gpuE9ELNS1_3repE0EEENS1_52radix_sort_onesweep_histogram_config_static_selectorELNS0_4arch9wavefront6targetE1EEEvSE_
	.globl	_ZN7rocprim17ROCPRIM_400000_NS6detail17trampoline_kernelINS0_14default_configENS1_35radix_sort_onesweep_config_selectorIflEEZNS1_34radix_sort_onesweep_global_offsetsIS3_Lb0EPfN6thrust23THRUST_200600_302600_NS10device_ptrIlEEjNS0_19identity_decomposerEEE10hipError_tT1_T2_PT3_SG_jT4_jjP12ihipStream_tbEUlT_E0_NS1_11comp_targetILNS1_3genE5ELNS1_11target_archE942ELNS1_3gpuE9ELNS1_3repE0EEENS1_52radix_sort_onesweep_histogram_config_static_selectorELNS0_4arch9wavefront6targetE1EEEvSE_
	.p2align	8
	.type	_ZN7rocprim17ROCPRIM_400000_NS6detail17trampoline_kernelINS0_14default_configENS1_35radix_sort_onesweep_config_selectorIflEEZNS1_34radix_sort_onesweep_global_offsetsIS3_Lb0EPfN6thrust23THRUST_200600_302600_NS10device_ptrIlEEjNS0_19identity_decomposerEEE10hipError_tT1_T2_PT3_SG_jT4_jjP12ihipStream_tbEUlT_E0_NS1_11comp_targetILNS1_3genE5ELNS1_11target_archE942ELNS1_3gpuE9ELNS1_3repE0EEENS1_52radix_sort_onesweep_histogram_config_static_selectorELNS0_4arch9wavefront6targetE1EEEvSE_,@function
_ZN7rocprim17ROCPRIM_400000_NS6detail17trampoline_kernelINS0_14default_configENS1_35radix_sort_onesweep_config_selectorIflEEZNS1_34radix_sort_onesweep_global_offsetsIS3_Lb0EPfN6thrust23THRUST_200600_302600_NS10device_ptrIlEEjNS0_19identity_decomposerEEE10hipError_tT1_T2_PT3_SG_jT4_jjP12ihipStream_tbEUlT_E0_NS1_11comp_targetILNS1_3genE5ELNS1_11target_archE942ELNS1_3gpuE9ELNS1_3repE0EEENS1_52radix_sort_onesweep_histogram_config_static_selectorELNS0_4arch9wavefront6targetE1EEEvSE_: ; @_ZN7rocprim17ROCPRIM_400000_NS6detail17trampoline_kernelINS0_14default_configENS1_35radix_sort_onesweep_config_selectorIflEEZNS1_34radix_sort_onesweep_global_offsetsIS3_Lb0EPfN6thrust23THRUST_200600_302600_NS10device_ptrIlEEjNS0_19identity_decomposerEEE10hipError_tT1_T2_PT3_SG_jT4_jjP12ihipStream_tbEUlT_E0_NS1_11comp_targetILNS1_3genE5ELNS1_11target_archE942ELNS1_3gpuE9ELNS1_3repE0EEENS1_52radix_sort_onesweep_histogram_config_static_selectorELNS0_4arch9wavefront6targetE1EEEvSE_
; %bb.0:
	.section	.rodata,"a",@progbits
	.p2align	6, 0x0
	.amdhsa_kernel _ZN7rocprim17ROCPRIM_400000_NS6detail17trampoline_kernelINS0_14default_configENS1_35radix_sort_onesweep_config_selectorIflEEZNS1_34radix_sort_onesweep_global_offsetsIS3_Lb0EPfN6thrust23THRUST_200600_302600_NS10device_ptrIlEEjNS0_19identity_decomposerEEE10hipError_tT1_T2_PT3_SG_jT4_jjP12ihipStream_tbEUlT_E0_NS1_11comp_targetILNS1_3genE5ELNS1_11target_archE942ELNS1_3gpuE9ELNS1_3repE0EEENS1_52radix_sort_onesweep_histogram_config_static_selectorELNS0_4arch9wavefront6targetE1EEEvSE_
		.amdhsa_group_segment_fixed_size 0
		.amdhsa_private_segment_fixed_size 0
		.amdhsa_kernarg_size 8
		.amdhsa_user_sgpr_count 6
		.amdhsa_user_sgpr_private_segment_buffer 1
		.amdhsa_user_sgpr_dispatch_ptr 0
		.amdhsa_user_sgpr_queue_ptr 0
		.amdhsa_user_sgpr_kernarg_segment_ptr 1
		.amdhsa_user_sgpr_dispatch_id 0
		.amdhsa_user_sgpr_flat_scratch_init 0
		.amdhsa_user_sgpr_private_segment_size 0
		.amdhsa_uses_dynamic_stack 0
		.amdhsa_system_sgpr_private_segment_wavefront_offset 0
		.amdhsa_system_sgpr_workgroup_id_x 1
		.amdhsa_system_sgpr_workgroup_id_y 0
		.amdhsa_system_sgpr_workgroup_id_z 0
		.amdhsa_system_sgpr_workgroup_info 0
		.amdhsa_system_vgpr_workitem_id 0
		.amdhsa_next_free_vgpr 1
		.amdhsa_next_free_sgpr 0
		.amdhsa_reserve_vcc 0
		.amdhsa_reserve_flat_scratch 0
		.amdhsa_float_round_mode_32 0
		.amdhsa_float_round_mode_16_64 0
		.amdhsa_float_denorm_mode_32 3
		.amdhsa_float_denorm_mode_16_64 3
		.amdhsa_dx10_clamp 1
		.amdhsa_ieee_mode 1
		.amdhsa_fp16_overflow 0
		.amdhsa_exception_fp_ieee_invalid_op 0
		.amdhsa_exception_fp_denorm_src 0
		.amdhsa_exception_fp_ieee_div_zero 0
		.amdhsa_exception_fp_ieee_overflow 0
		.amdhsa_exception_fp_ieee_underflow 0
		.amdhsa_exception_fp_ieee_inexact 0
		.amdhsa_exception_int_div_zero 0
	.end_amdhsa_kernel
	.section	.text._ZN7rocprim17ROCPRIM_400000_NS6detail17trampoline_kernelINS0_14default_configENS1_35radix_sort_onesweep_config_selectorIflEEZNS1_34radix_sort_onesweep_global_offsetsIS3_Lb0EPfN6thrust23THRUST_200600_302600_NS10device_ptrIlEEjNS0_19identity_decomposerEEE10hipError_tT1_T2_PT3_SG_jT4_jjP12ihipStream_tbEUlT_E0_NS1_11comp_targetILNS1_3genE5ELNS1_11target_archE942ELNS1_3gpuE9ELNS1_3repE0EEENS1_52radix_sort_onesweep_histogram_config_static_selectorELNS0_4arch9wavefront6targetE1EEEvSE_,"axG",@progbits,_ZN7rocprim17ROCPRIM_400000_NS6detail17trampoline_kernelINS0_14default_configENS1_35radix_sort_onesweep_config_selectorIflEEZNS1_34radix_sort_onesweep_global_offsetsIS3_Lb0EPfN6thrust23THRUST_200600_302600_NS10device_ptrIlEEjNS0_19identity_decomposerEEE10hipError_tT1_T2_PT3_SG_jT4_jjP12ihipStream_tbEUlT_E0_NS1_11comp_targetILNS1_3genE5ELNS1_11target_archE942ELNS1_3gpuE9ELNS1_3repE0EEENS1_52radix_sort_onesweep_histogram_config_static_selectorELNS0_4arch9wavefront6targetE1EEEvSE_,comdat
.Lfunc_end1827:
	.size	_ZN7rocprim17ROCPRIM_400000_NS6detail17trampoline_kernelINS0_14default_configENS1_35radix_sort_onesweep_config_selectorIflEEZNS1_34radix_sort_onesweep_global_offsetsIS3_Lb0EPfN6thrust23THRUST_200600_302600_NS10device_ptrIlEEjNS0_19identity_decomposerEEE10hipError_tT1_T2_PT3_SG_jT4_jjP12ihipStream_tbEUlT_E0_NS1_11comp_targetILNS1_3genE5ELNS1_11target_archE942ELNS1_3gpuE9ELNS1_3repE0EEENS1_52radix_sort_onesweep_histogram_config_static_selectorELNS0_4arch9wavefront6targetE1EEEvSE_, .Lfunc_end1827-_ZN7rocprim17ROCPRIM_400000_NS6detail17trampoline_kernelINS0_14default_configENS1_35radix_sort_onesweep_config_selectorIflEEZNS1_34radix_sort_onesweep_global_offsetsIS3_Lb0EPfN6thrust23THRUST_200600_302600_NS10device_ptrIlEEjNS0_19identity_decomposerEEE10hipError_tT1_T2_PT3_SG_jT4_jjP12ihipStream_tbEUlT_E0_NS1_11comp_targetILNS1_3genE5ELNS1_11target_archE942ELNS1_3gpuE9ELNS1_3repE0EEENS1_52radix_sort_onesweep_histogram_config_static_selectorELNS0_4arch9wavefront6targetE1EEEvSE_
                                        ; -- End function
	.set _ZN7rocprim17ROCPRIM_400000_NS6detail17trampoline_kernelINS0_14default_configENS1_35radix_sort_onesweep_config_selectorIflEEZNS1_34radix_sort_onesweep_global_offsetsIS3_Lb0EPfN6thrust23THRUST_200600_302600_NS10device_ptrIlEEjNS0_19identity_decomposerEEE10hipError_tT1_T2_PT3_SG_jT4_jjP12ihipStream_tbEUlT_E0_NS1_11comp_targetILNS1_3genE5ELNS1_11target_archE942ELNS1_3gpuE9ELNS1_3repE0EEENS1_52radix_sort_onesweep_histogram_config_static_selectorELNS0_4arch9wavefront6targetE1EEEvSE_.num_vgpr, 0
	.set _ZN7rocprim17ROCPRIM_400000_NS6detail17trampoline_kernelINS0_14default_configENS1_35radix_sort_onesweep_config_selectorIflEEZNS1_34radix_sort_onesweep_global_offsetsIS3_Lb0EPfN6thrust23THRUST_200600_302600_NS10device_ptrIlEEjNS0_19identity_decomposerEEE10hipError_tT1_T2_PT3_SG_jT4_jjP12ihipStream_tbEUlT_E0_NS1_11comp_targetILNS1_3genE5ELNS1_11target_archE942ELNS1_3gpuE9ELNS1_3repE0EEENS1_52radix_sort_onesweep_histogram_config_static_selectorELNS0_4arch9wavefront6targetE1EEEvSE_.num_agpr, 0
	.set _ZN7rocprim17ROCPRIM_400000_NS6detail17trampoline_kernelINS0_14default_configENS1_35radix_sort_onesweep_config_selectorIflEEZNS1_34radix_sort_onesweep_global_offsetsIS3_Lb0EPfN6thrust23THRUST_200600_302600_NS10device_ptrIlEEjNS0_19identity_decomposerEEE10hipError_tT1_T2_PT3_SG_jT4_jjP12ihipStream_tbEUlT_E0_NS1_11comp_targetILNS1_3genE5ELNS1_11target_archE942ELNS1_3gpuE9ELNS1_3repE0EEENS1_52radix_sort_onesweep_histogram_config_static_selectorELNS0_4arch9wavefront6targetE1EEEvSE_.numbered_sgpr, 0
	.set _ZN7rocprim17ROCPRIM_400000_NS6detail17trampoline_kernelINS0_14default_configENS1_35radix_sort_onesweep_config_selectorIflEEZNS1_34radix_sort_onesweep_global_offsetsIS3_Lb0EPfN6thrust23THRUST_200600_302600_NS10device_ptrIlEEjNS0_19identity_decomposerEEE10hipError_tT1_T2_PT3_SG_jT4_jjP12ihipStream_tbEUlT_E0_NS1_11comp_targetILNS1_3genE5ELNS1_11target_archE942ELNS1_3gpuE9ELNS1_3repE0EEENS1_52radix_sort_onesweep_histogram_config_static_selectorELNS0_4arch9wavefront6targetE1EEEvSE_.num_named_barrier, 0
	.set _ZN7rocprim17ROCPRIM_400000_NS6detail17trampoline_kernelINS0_14default_configENS1_35radix_sort_onesweep_config_selectorIflEEZNS1_34radix_sort_onesweep_global_offsetsIS3_Lb0EPfN6thrust23THRUST_200600_302600_NS10device_ptrIlEEjNS0_19identity_decomposerEEE10hipError_tT1_T2_PT3_SG_jT4_jjP12ihipStream_tbEUlT_E0_NS1_11comp_targetILNS1_3genE5ELNS1_11target_archE942ELNS1_3gpuE9ELNS1_3repE0EEENS1_52radix_sort_onesweep_histogram_config_static_selectorELNS0_4arch9wavefront6targetE1EEEvSE_.private_seg_size, 0
	.set _ZN7rocprim17ROCPRIM_400000_NS6detail17trampoline_kernelINS0_14default_configENS1_35radix_sort_onesweep_config_selectorIflEEZNS1_34radix_sort_onesweep_global_offsetsIS3_Lb0EPfN6thrust23THRUST_200600_302600_NS10device_ptrIlEEjNS0_19identity_decomposerEEE10hipError_tT1_T2_PT3_SG_jT4_jjP12ihipStream_tbEUlT_E0_NS1_11comp_targetILNS1_3genE5ELNS1_11target_archE942ELNS1_3gpuE9ELNS1_3repE0EEENS1_52radix_sort_onesweep_histogram_config_static_selectorELNS0_4arch9wavefront6targetE1EEEvSE_.uses_vcc, 0
	.set _ZN7rocprim17ROCPRIM_400000_NS6detail17trampoline_kernelINS0_14default_configENS1_35radix_sort_onesweep_config_selectorIflEEZNS1_34radix_sort_onesweep_global_offsetsIS3_Lb0EPfN6thrust23THRUST_200600_302600_NS10device_ptrIlEEjNS0_19identity_decomposerEEE10hipError_tT1_T2_PT3_SG_jT4_jjP12ihipStream_tbEUlT_E0_NS1_11comp_targetILNS1_3genE5ELNS1_11target_archE942ELNS1_3gpuE9ELNS1_3repE0EEENS1_52radix_sort_onesweep_histogram_config_static_selectorELNS0_4arch9wavefront6targetE1EEEvSE_.uses_flat_scratch, 0
	.set _ZN7rocprim17ROCPRIM_400000_NS6detail17trampoline_kernelINS0_14default_configENS1_35radix_sort_onesweep_config_selectorIflEEZNS1_34radix_sort_onesweep_global_offsetsIS3_Lb0EPfN6thrust23THRUST_200600_302600_NS10device_ptrIlEEjNS0_19identity_decomposerEEE10hipError_tT1_T2_PT3_SG_jT4_jjP12ihipStream_tbEUlT_E0_NS1_11comp_targetILNS1_3genE5ELNS1_11target_archE942ELNS1_3gpuE9ELNS1_3repE0EEENS1_52radix_sort_onesweep_histogram_config_static_selectorELNS0_4arch9wavefront6targetE1EEEvSE_.has_dyn_sized_stack, 0
	.set _ZN7rocprim17ROCPRIM_400000_NS6detail17trampoline_kernelINS0_14default_configENS1_35radix_sort_onesweep_config_selectorIflEEZNS1_34radix_sort_onesweep_global_offsetsIS3_Lb0EPfN6thrust23THRUST_200600_302600_NS10device_ptrIlEEjNS0_19identity_decomposerEEE10hipError_tT1_T2_PT3_SG_jT4_jjP12ihipStream_tbEUlT_E0_NS1_11comp_targetILNS1_3genE5ELNS1_11target_archE942ELNS1_3gpuE9ELNS1_3repE0EEENS1_52radix_sort_onesweep_histogram_config_static_selectorELNS0_4arch9wavefront6targetE1EEEvSE_.has_recursion, 0
	.set _ZN7rocprim17ROCPRIM_400000_NS6detail17trampoline_kernelINS0_14default_configENS1_35radix_sort_onesweep_config_selectorIflEEZNS1_34radix_sort_onesweep_global_offsetsIS3_Lb0EPfN6thrust23THRUST_200600_302600_NS10device_ptrIlEEjNS0_19identity_decomposerEEE10hipError_tT1_T2_PT3_SG_jT4_jjP12ihipStream_tbEUlT_E0_NS1_11comp_targetILNS1_3genE5ELNS1_11target_archE942ELNS1_3gpuE9ELNS1_3repE0EEENS1_52radix_sort_onesweep_histogram_config_static_selectorELNS0_4arch9wavefront6targetE1EEEvSE_.has_indirect_call, 0
	.section	.AMDGPU.csdata,"",@progbits
; Kernel info:
; codeLenInByte = 0
; TotalNumSgprs: 4
; NumVgprs: 0
; ScratchSize: 0
; MemoryBound: 0
; FloatMode: 240
; IeeeMode: 1
; LDSByteSize: 0 bytes/workgroup (compile time only)
; SGPRBlocks: 0
; VGPRBlocks: 0
; NumSGPRsForWavesPerEU: 4
; NumVGPRsForWavesPerEU: 1
; Occupancy: 10
; WaveLimiterHint : 0
; COMPUTE_PGM_RSRC2:SCRATCH_EN: 0
; COMPUTE_PGM_RSRC2:USER_SGPR: 6
; COMPUTE_PGM_RSRC2:TRAP_HANDLER: 0
; COMPUTE_PGM_RSRC2:TGID_X_EN: 1
; COMPUTE_PGM_RSRC2:TGID_Y_EN: 0
; COMPUTE_PGM_RSRC2:TGID_Z_EN: 0
; COMPUTE_PGM_RSRC2:TIDIG_COMP_CNT: 0
	.section	.text._ZN7rocprim17ROCPRIM_400000_NS6detail17trampoline_kernelINS0_14default_configENS1_35radix_sort_onesweep_config_selectorIflEEZNS1_34radix_sort_onesweep_global_offsetsIS3_Lb0EPfN6thrust23THRUST_200600_302600_NS10device_ptrIlEEjNS0_19identity_decomposerEEE10hipError_tT1_T2_PT3_SG_jT4_jjP12ihipStream_tbEUlT_E0_NS1_11comp_targetILNS1_3genE2ELNS1_11target_archE906ELNS1_3gpuE6ELNS1_3repE0EEENS1_52radix_sort_onesweep_histogram_config_static_selectorELNS0_4arch9wavefront6targetE1EEEvSE_,"axG",@progbits,_ZN7rocprim17ROCPRIM_400000_NS6detail17trampoline_kernelINS0_14default_configENS1_35radix_sort_onesweep_config_selectorIflEEZNS1_34radix_sort_onesweep_global_offsetsIS3_Lb0EPfN6thrust23THRUST_200600_302600_NS10device_ptrIlEEjNS0_19identity_decomposerEEE10hipError_tT1_T2_PT3_SG_jT4_jjP12ihipStream_tbEUlT_E0_NS1_11comp_targetILNS1_3genE2ELNS1_11target_archE906ELNS1_3gpuE6ELNS1_3repE0EEENS1_52radix_sort_onesweep_histogram_config_static_selectorELNS0_4arch9wavefront6targetE1EEEvSE_,comdat
	.protected	_ZN7rocprim17ROCPRIM_400000_NS6detail17trampoline_kernelINS0_14default_configENS1_35radix_sort_onesweep_config_selectorIflEEZNS1_34radix_sort_onesweep_global_offsetsIS3_Lb0EPfN6thrust23THRUST_200600_302600_NS10device_ptrIlEEjNS0_19identity_decomposerEEE10hipError_tT1_T2_PT3_SG_jT4_jjP12ihipStream_tbEUlT_E0_NS1_11comp_targetILNS1_3genE2ELNS1_11target_archE906ELNS1_3gpuE6ELNS1_3repE0EEENS1_52radix_sort_onesweep_histogram_config_static_selectorELNS0_4arch9wavefront6targetE1EEEvSE_ ; -- Begin function _ZN7rocprim17ROCPRIM_400000_NS6detail17trampoline_kernelINS0_14default_configENS1_35radix_sort_onesweep_config_selectorIflEEZNS1_34radix_sort_onesweep_global_offsetsIS3_Lb0EPfN6thrust23THRUST_200600_302600_NS10device_ptrIlEEjNS0_19identity_decomposerEEE10hipError_tT1_T2_PT3_SG_jT4_jjP12ihipStream_tbEUlT_E0_NS1_11comp_targetILNS1_3genE2ELNS1_11target_archE906ELNS1_3gpuE6ELNS1_3repE0EEENS1_52radix_sort_onesweep_histogram_config_static_selectorELNS0_4arch9wavefront6targetE1EEEvSE_
	.globl	_ZN7rocprim17ROCPRIM_400000_NS6detail17trampoline_kernelINS0_14default_configENS1_35radix_sort_onesweep_config_selectorIflEEZNS1_34radix_sort_onesweep_global_offsetsIS3_Lb0EPfN6thrust23THRUST_200600_302600_NS10device_ptrIlEEjNS0_19identity_decomposerEEE10hipError_tT1_T2_PT3_SG_jT4_jjP12ihipStream_tbEUlT_E0_NS1_11comp_targetILNS1_3genE2ELNS1_11target_archE906ELNS1_3gpuE6ELNS1_3repE0EEENS1_52radix_sort_onesweep_histogram_config_static_selectorELNS0_4arch9wavefront6targetE1EEEvSE_
	.p2align	8
	.type	_ZN7rocprim17ROCPRIM_400000_NS6detail17trampoline_kernelINS0_14default_configENS1_35radix_sort_onesweep_config_selectorIflEEZNS1_34radix_sort_onesweep_global_offsetsIS3_Lb0EPfN6thrust23THRUST_200600_302600_NS10device_ptrIlEEjNS0_19identity_decomposerEEE10hipError_tT1_T2_PT3_SG_jT4_jjP12ihipStream_tbEUlT_E0_NS1_11comp_targetILNS1_3genE2ELNS1_11target_archE906ELNS1_3gpuE6ELNS1_3repE0EEENS1_52radix_sort_onesweep_histogram_config_static_selectorELNS0_4arch9wavefront6targetE1EEEvSE_,@function
_ZN7rocprim17ROCPRIM_400000_NS6detail17trampoline_kernelINS0_14default_configENS1_35radix_sort_onesweep_config_selectorIflEEZNS1_34radix_sort_onesweep_global_offsetsIS3_Lb0EPfN6thrust23THRUST_200600_302600_NS10device_ptrIlEEjNS0_19identity_decomposerEEE10hipError_tT1_T2_PT3_SG_jT4_jjP12ihipStream_tbEUlT_E0_NS1_11comp_targetILNS1_3genE2ELNS1_11target_archE906ELNS1_3gpuE6ELNS1_3repE0EEENS1_52radix_sort_onesweep_histogram_config_static_selectorELNS0_4arch9wavefront6targetE1EEEvSE_: ; @_ZN7rocprim17ROCPRIM_400000_NS6detail17trampoline_kernelINS0_14default_configENS1_35radix_sort_onesweep_config_selectorIflEEZNS1_34radix_sort_onesweep_global_offsetsIS3_Lb0EPfN6thrust23THRUST_200600_302600_NS10device_ptrIlEEjNS0_19identity_decomposerEEE10hipError_tT1_T2_PT3_SG_jT4_jjP12ihipStream_tbEUlT_E0_NS1_11comp_targetILNS1_3genE2ELNS1_11target_archE906ELNS1_3gpuE6ELNS1_3repE0EEENS1_52radix_sort_onesweep_histogram_config_static_selectorELNS0_4arch9wavefront6targetE1EEEvSE_
; %bb.0:
	s_load_dwordx2 s[0:1], s[4:5], 0x0
	s_lshl_b32 s2, s6, 8
	s_mov_b32 s3, 0
	s_lshl_b64 s[2:3], s[2:3], 2
	v_lshlrev_b32_e32 v1, 2, v0
	s_waitcnt lgkmcnt(0)
	s_add_u32 s2, s0, s2
	s_movk_i32 s0, 0x100
	s_addc_u32 s3, s1, s3
	v_cmp_gt_u32_e32 vcc, s0, v0
                                        ; implicit-def: $vgpr3
	s_and_saveexec_b64 s[0:1], vcc
	s_cbranch_execz .LBB1828_2
; %bb.1:
	global_load_dword v3, v1, s[2:3]
.LBB1828_2:
	s_or_b64 exec, exec, s[0:1]
	v_mbcnt_lo_u32_b32 v2, -1, 0
	v_mbcnt_hi_u32_b32 v2, -1, v2
	v_and_b32_e32 v4, 15, v2
	s_waitcnt vmcnt(0)
	v_mov_b32_dpp v5, v3 row_shr:1 row_mask:0xf bank_mask:0xf
	v_cmp_ne_u32_e64 s[0:1], 0, v4
	v_cndmask_b32_e64 v5, 0, v5, s[0:1]
	v_add_u32_e32 v3, v5, v3
	v_cmp_lt_u32_e64 s[0:1], 1, v4
	s_nop 0
	v_mov_b32_dpp v5, v3 row_shr:2 row_mask:0xf bank_mask:0xf
	v_cndmask_b32_e64 v5, 0, v5, s[0:1]
	v_add_u32_e32 v3, v3, v5
	v_cmp_lt_u32_e64 s[0:1], 3, v4
	s_nop 0
	v_mov_b32_dpp v5, v3 row_shr:4 row_mask:0xf bank_mask:0xf
	;; [unrolled: 5-line block ×3, first 2 shown]
	v_cndmask_b32_e64 v4, 0, v5, s[0:1]
	v_add_u32_e32 v3, v3, v4
	v_bfe_i32 v5, v2, 4, 1
	v_cmp_lt_u32_e64 s[0:1], 31, v2
	v_mov_b32_dpp v4, v3 row_bcast:15 row_mask:0xf bank_mask:0xf
	v_and_b32_e32 v4, v5, v4
	v_add_u32_e32 v3, v3, v4
	v_or_b32_e32 v5, 63, v0
	s_nop 0
	v_mov_b32_dpp v4, v3 row_bcast:31 row_mask:0xf bank_mask:0xf
	v_cndmask_b32_e64 v4, 0, v4, s[0:1]
	v_add_u32_e32 v3, v3, v4
	v_lshrrev_b32_e32 v4, 6, v0
	v_cmp_eq_u32_e64 s[0:1], v0, v5
	s_and_saveexec_b64 s[4:5], s[0:1]
; %bb.3:
	v_lshlrev_b32_e32 v5, 2, v4
	ds_write_b32 v5, v3
; %bb.4:
	s_or_b64 exec, exec, s[4:5]
	v_cmp_gt_u32_e64 s[0:1], 8, v0
	s_waitcnt lgkmcnt(0)
	s_barrier
	s_and_saveexec_b64 s[4:5], s[0:1]
	s_cbranch_execz .LBB1828_6
; %bb.5:
	ds_read_b32 v5, v1
	v_and_b32_e32 v6, 7, v2
	v_cmp_ne_u32_e64 s[0:1], 0, v6
	s_waitcnt lgkmcnt(0)
	v_mov_b32_dpp v7, v5 row_shr:1 row_mask:0xf bank_mask:0xf
	v_cndmask_b32_e64 v7, 0, v7, s[0:1]
	v_add_u32_e32 v5, v7, v5
	v_cmp_lt_u32_e64 s[0:1], 1, v6
	s_nop 0
	v_mov_b32_dpp v7, v5 row_shr:2 row_mask:0xf bank_mask:0xf
	v_cndmask_b32_e64 v7, 0, v7, s[0:1]
	v_add_u32_e32 v5, v5, v7
	v_cmp_lt_u32_e64 s[0:1], 3, v6
	s_nop 0
	v_mov_b32_dpp v7, v5 row_shr:4 row_mask:0xf bank_mask:0xf
	v_cndmask_b32_e64 v6, 0, v7, s[0:1]
	v_add_u32_e32 v5, v5, v6
	ds_write_b32 v1, v5
.LBB1828_6:
	s_or_b64 exec, exec, s[4:5]
	v_cmp_lt_u32_e64 s[0:1], 63, v0
	v_mov_b32_e32 v0, 0
	s_waitcnt lgkmcnt(0)
	s_barrier
	s_and_saveexec_b64 s[4:5], s[0:1]
; %bb.7:
	v_lshl_add_u32 v0, v4, 2, -4
	ds_read_b32 v0, v0
; %bb.8:
	s_or_b64 exec, exec, s[4:5]
	v_add_u32_e32 v4, -1, v2
	v_and_b32_e32 v5, 64, v2
	v_cmp_lt_i32_e64 s[0:1], v4, v5
	v_cndmask_b32_e64 v4, v4, v2, s[0:1]
	s_waitcnt lgkmcnt(0)
	v_add_u32_e32 v3, v0, v3
	v_lshlrev_b32_e32 v4, 2, v4
	ds_bpermute_b32 v3, v4, v3
	s_and_saveexec_b64 s[0:1], vcc
	s_cbranch_execz .LBB1828_10
; %bb.9:
	v_cmp_eq_u32_e32 vcc, 0, v2
	s_waitcnt lgkmcnt(0)
	v_cndmask_b32_e32 v0, v3, v0, vcc
	global_store_dword v1, v0, s[2:3]
.LBB1828_10:
	s_endpgm
	.section	.rodata,"a",@progbits
	.p2align	6, 0x0
	.amdhsa_kernel _ZN7rocprim17ROCPRIM_400000_NS6detail17trampoline_kernelINS0_14default_configENS1_35radix_sort_onesweep_config_selectorIflEEZNS1_34radix_sort_onesweep_global_offsetsIS3_Lb0EPfN6thrust23THRUST_200600_302600_NS10device_ptrIlEEjNS0_19identity_decomposerEEE10hipError_tT1_T2_PT3_SG_jT4_jjP12ihipStream_tbEUlT_E0_NS1_11comp_targetILNS1_3genE2ELNS1_11target_archE906ELNS1_3gpuE6ELNS1_3repE0EEENS1_52radix_sort_onesweep_histogram_config_static_selectorELNS0_4arch9wavefront6targetE1EEEvSE_
		.amdhsa_group_segment_fixed_size 32
		.amdhsa_private_segment_fixed_size 0
		.amdhsa_kernarg_size 8
		.amdhsa_user_sgpr_count 6
		.amdhsa_user_sgpr_private_segment_buffer 1
		.amdhsa_user_sgpr_dispatch_ptr 0
		.amdhsa_user_sgpr_queue_ptr 0
		.amdhsa_user_sgpr_kernarg_segment_ptr 1
		.amdhsa_user_sgpr_dispatch_id 0
		.amdhsa_user_sgpr_flat_scratch_init 0
		.amdhsa_user_sgpr_private_segment_size 0
		.amdhsa_uses_dynamic_stack 0
		.amdhsa_system_sgpr_private_segment_wavefront_offset 0
		.amdhsa_system_sgpr_workgroup_id_x 1
		.amdhsa_system_sgpr_workgroup_id_y 0
		.amdhsa_system_sgpr_workgroup_id_z 0
		.amdhsa_system_sgpr_workgroup_info 0
		.amdhsa_system_vgpr_workitem_id 0
		.amdhsa_next_free_vgpr 8
		.amdhsa_next_free_sgpr 7
		.amdhsa_reserve_vcc 1
		.amdhsa_reserve_flat_scratch 0
		.amdhsa_float_round_mode_32 0
		.amdhsa_float_round_mode_16_64 0
		.amdhsa_float_denorm_mode_32 3
		.amdhsa_float_denorm_mode_16_64 3
		.amdhsa_dx10_clamp 1
		.amdhsa_ieee_mode 1
		.amdhsa_fp16_overflow 0
		.amdhsa_exception_fp_ieee_invalid_op 0
		.amdhsa_exception_fp_denorm_src 0
		.amdhsa_exception_fp_ieee_div_zero 0
		.amdhsa_exception_fp_ieee_overflow 0
		.amdhsa_exception_fp_ieee_underflow 0
		.amdhsa_exception_fp_ieee_inexact 0
		.amdhsa_exception_int_div_zero 0
	.end_amdhsa_kernel
	.section	.text._ZN7rocprim17ROCPRIM_400000_NS6detail17trampoline_kernelINS0_14default_configENS1_35radix_sort_onesweep_config_selectorIflEEZNS1_34radix_sort_onesweep_global_offsetsIS3_Lb0EPfN6thrust23THRUST_200600_302600_NS10device_ptrIlEEjNS0_19identity_decomposerEEE10hipError_tT1_T2_PT3_SG_jT4_jjP12ihipStream_tbEUlT_E0_NS1_11comp_targetILNS1_3genE2ELNS1_11target_archE906ELNS1_3gpuE6ELNS1_3repE0EEENS1_52radix_sort_onesweep_histogram_config_static_selectorELNS0_4arch9wavefront6targetE1EEEvSE_,"axG",@progbits,_ZN7rocprim17ROCPRIM_400000_NS6detail17trampoline_kernelINS0_14default_configENS1_35radix_sort_onesweep_config_selectorIflEEZNS1_34radix_sort_onesweep_global_offsetsIS3_Lb0EPfN6thrust23THRUST_200600_302600_NS10device_ptrIlEEjNS0_19identity_decomposerEEE10hipError_tT1_T2_PT3_SG_jT4_jjP12ihipStream_tbEUlT_E0_NS1_11comp_targetILNS1_3genE2ELNS1_11target_archE906ELNS1_3gpuE6ELNS1_3repE0EEENS1_52radix_sort_onesweep_histogram_config_static_selectorELNS0_4arch9wavefront6targetE1EEEvSE_,comdat
.Lfunc_end1828:
	.size	_ZN7rocprim17ROCPRIM_400000_NS6detail17trampoline_kernelINS0_14default_configENS1_35radix_sort_onesweep_config_selectorIflEEZNS1_34radix_sort_onesweep_global_offsetsIS3_Lb0EPfN6thrust23THRUST_200600_302600_NS10device_ptrIlEEjNS0_19identity_decomposerEEE10hipError_tT1_T2_PT3_SG_jT4_jjP12ihipStream_tbEUlT_E0_NS1_11comp_targetILNS1_3genE2ELNS1_11target_archE906ELNS1_3gpuE6ELNS1_3repE0EEENS1_52radix_sort_onesweep_histogram_config_static_selectorELNS0_4arch9wavefront6targetE1EEEvSE_, .Lfunc_end1828-_ZN7rocprim17ROCPRIM_400000_NS6detail17trampoline_kernelINS0_14default_configENS1_35radix_sort_onesweep_config_selectorIflEEZNS1_34radix_sort_onesweep_global_offsetsIS3_Lb0EPfN6thrust23THRUST_200600_302600_NS10device_ptrIlEEjNS0_19identity_decomposerEEE10hipError_tT1_T2_PT3_SG_jT4_jjP12ihipStream_tbEUlT_E0_NS1_11comp_targetILNS1_3genE2ELNS1_11target_archE906ELNS1_3gpuE6ELNS1_3repE0EEENS1_52radix_sort_onesweep_histogram_config_static_selectorELNS0_4arch9wavefront6targetE1EEEvSE_
                                        ; -- End function
	.set _ZN7rocprim17ROCPRIM_400000_NS6detail17trampoline_kernelINS0_14default_configENS1_35radix_sort_onesweep_config_selectorIflEEZNS1_34radix_sort_onesweep_global_offsetsIS3_Lb0EPfN6thrust23THRUST_200600_302600_NS10device_ptrIlEEjNS0_19identity_decomposerEEE10hipError_tT1_T2_PT3_SG_jT4_jjP12ihipStream_tbEUlT_E0_NS1_11comp_targetILNS1_3genE2ELNS1_11target_archE906ELNS1_3gpuE6ELNS1_3repE0EEENS1_52radix_sort_onesweep_histogram_config_static_selectorELNS0_4arch9wavefront6targetE1EEEvSE_.num_vgpr, 8
	.set _ZN7rocprim17ROCPRIM_400000_NS6detail17trampoline_kernelINS0_14default_configENS1_35radix_sort_onesweep_config_selectorIflEEZNS1_34radix_sort_onesweep_global_offsetsIS3_Lb0EPfN6thrust23THRUST_200600_302600_NS10device_ptrIlEEjNS0_19identity_decomposerEEE10hipError_tT1_T2_PT3_SG_jT4_jjP12ihipStream_tbEUlT_E0_NS1_11comp_targetILNS1_3genE2ELNS1_11target_archE906ELNS1_3gpuE6ELNS1_3repE0EEENS1_52radix_sort_onesweep_histogram_config_static_selectorELNS0_4arch9wavefront6targetE1EEEvSE_.num_agpr, 0
	.set _ZN7rocprim17ROCPRIM_400000_NS6detail17trampoline_kernelINS0_14default_configENS1_35radix_sort_onesweep_config_selectorIflEEZNS1_34radix_sort_onesweep_global_offsetsIS3_Lb0EPfN6thrust23THRUST_200600_302600_NS10device_ptrIlEEjNS0_19identity_decomposerEEE10hipError_tT1_T2_PT3_SG_jT4_jjP12ihipStream_tbEUlT_E0_NS1_11comp_targetILNS1_3genE2ELNS1_11target_archE906ELNS1_3gpuE6ELNS1_3repE0EEENS1_52radix_sort_onesweep_histogram_config_static_selectorELNS0_4arch9wavefront6targetE1EEEvSE_.numbered_sgpr, 7
	.set _ZN7rocprim17ROCPRIM_400000_NS6detail17trampoline_kernelINS0_14default_configENS1_35radix_sort_onesweep_config_selectorIflEEZNS1_34radix_sort_onesweep_global_offsetsIS3_Lb0EPfN6thrust23THRUST_200600_302600_NS10device_ptrIlEEjNS0_19identity_decomposerEEE10hipError_tT1_T2_PT3_SG_jT4_jjP12ihipStream_tbEUlT_E0_NS1_11comp_targetILNS1_3genE2ELNS1_11target_archE906ELNS1_3gpuE6ELNS1_3repE0EEENS1_52radix_sort_onesweep_histogram_config_static_selectorELNS0_4arch9wavefront6targetE1EEEvSE_.num_named_barrier, 0
	.set _ZN7rocprim17ROCPRIM_400000_NS6detail17trampoline_kernelINS0_14default_configENS1_35radix_sort_onesweep_config_selectorIflEEZNS1_34radix_sort_onesweep_global_offsetsIS3_Lb0EPfN6thrust23THRUST_200600_302600_NS10device_ptrIlEEjNS0_19identity_decomposerEEE10hipError_tT1_T2_PT3_SG_jT4_jjP12ihipStream_tbEUlT_E0_NS1_11comp_targetILNS1_3genE2ELNS1_11target_archE906ELNS1_3gpuE6ELNS1_3repE0EEENS1_52radix_sort_onesweep_histogram_config_static_selectorELNS0_4arch9wavefront6targetE1EEEvSE_.private_seg_size, 0
	.set _ZN7rocprim17ROCPRIM_400000_NS6detail17trampoline_kernelINS0_14default_configENS1_35radix_sort_onesweep_config_selectorIflEEZNS1_34radix_sort_onesweep_global_offsetsIS3_Lb0EPfN6thrust23THRUST_200600_302600_NS10device_ptrIlEEjNS0_19identity_decomposerEEE10hipError_tT1_T2_PT3_SG_jT4_jjP12ihipStream_tbEUlT_E0_NS1_11comp_targetILNS1_3genE2ELNS1_11target_archE906ELNS1_3gpuE6ELNS1_3repE0EEENS1_52radix_sort_onesweep_histogram_config_static_selectorELNS0_4arch9wavefront6targetE1EEEvSE_.uses_vcc, 1
	.set _ZN7rocprim17ROCPRIM_400000_NS6detail17trampoline_kernelINS0_14default_configENS1_35radix_sort_onesweep_config_selectorIflEEZNS1_34radix_sort_onesweep_global_offsetsIS3_Lb0EPfN6thrust23THRUST_200600_302600_NS10device_ptrIlEEjNS0_19identity_decomposerEEE10hipError_tT1_T2_PT3_SG_jT4_jjP12ihipStream_tbEUlT_E0_NS1_11comp_targetILNS1_3genE2ELNS1_11target_archE906ELNS1_3gpuE6ELNS1_3repE0EEENS1_52radix_sort_onesweep_histogram_config_static_selectorELNS0_4arch9wavefront6targetE1EEEvSE_.uses_flat_scratch, 0
	.set _ZN7rocprim17ROCPRIM_400000_NS6detail17trampoline_kernelINS0_14default_configENS1_35radix_sort_onesweep_config_selectorIflEEZNS1_34radix_sort_onesweep_global_offsetsIS3_Lb0EPfN6thrust23THRUST_200600_302600_NS10device_ptrIlEEjNS0_19identity_decomposerEEE10hipError_tT1_T2_PT3_SG_jT4_jjP12ihipStream_tbEUlT_E0_NS1_11comp_targetILNS1_3genE2ELNS1_11target_archE906ELNS1_3gpuE6ELNS1_3repE0EEENS1_52radix_sort_onesweep_histogram_config_static_selectorELNS0_4arch9wavefront6targetE1EEEvSE_.has_dyn_sized_stack, 0
	.set _ZN7rocprim17ROCPRIM_400000_NS6detail17trampoline_kernelINS0_14default_configENS1_35radix_sort_onesweep_config_selectorIflEEZNS1_34radix_sort_onesweep_global_offsetsIS3_Lb0EPfN6thrust23THRUST_200600_302600_NS10device_ptrIlEEjNS0_19identity_decomposerEEE10hipError_tT1_T2_PT3_SG_jT4_jjP12ihipStream_tbEUlT_E0_NS1_11comp_targetILNS1_3genE2ELNS1_11target_archE906ELNS1_3gpuE6ELNS1_3repE0EEENS1_52radix_sort_onesweep_histogram_config_static_selectorELNS0_4arch9wavefront6targetE1EEEvSE_.has_recursion, 0
	.set _ZN7rocprim17ROCPRIM_400000_NS6detail17trampoline_kernelINS0_14default_configENS1_35radix_sort_onesweep_config_selectorIflEEZNS1_34radix_sort_onesweep_global_offsetsIS3_Lb0EPfN6thrust23THRUST_200600_302600_NS10device_ptrIlEEjNS0_19identity_decomposerEEE10hipError_tT1_T2_PT3_SG_jT4_jjP12ihipStream_tbEUlT_E0_NS1_11comp_targetILNS1_3genE2ELNS1_11target_archE906ELNS1_3gpuE6ELNS1_3repE0EEENS1_52radix_sort_onesweep_histogram_config_static_selectorELNS0_4arch9wavefront6targetE1EEEvSE_.has_indirect_call, 0
	.section	.AMDGPU.csdata,"",@progbits
; Kernel info:
; codeLenInByte = 568
; TotalNumSgprs: 11
; NumVgprs: 8
; ScratchSize: 0
; MemoryBound: 0
; FloatMode: 240
; IeeeMode: 1
; LDSByteSize: 32 bytes/workgroup (compile time only)
; SGPRBlocks: 1
; VGPRBlocks: 1
; NumSGPRsForWavesPerEU: 11
; NumVGPRsForWavesPerEU: 8
; Occupancy: 10
; WaveLimiterHint : 0
; COMPUTE_PGM_RSRC2:SCRATCH_EN: 0
; COMPUTE_PGM_RSRC2:USER_SGPR: 6
; COMPUTE_PGM_RSRC2:TRAP_HANDLER: 0
; COMPUTE_PGM_RSRC2:TGID_X_EN: 1
; COMPUTE_PGM_RSRC2:TGID_Y_EN: 0
; COMPUTE_PGM_RSRC2:TGID_Z_EN: 0
; COMPUTE_PGM_RSRC2:TIDIG_COMP_CNT: 0
	.section	.text._ZN7rocprim17ROCPRIM_400000_NS6detail17trampoline_kernelINS0_14default_configENS1_35radix_sort_onesweep_config_selectorIflEEZNS1_34radix_sort_onesweep_global_offsetsIS3_Lb0EPfN6thrust23THRUST_200600_302600_NS10device_ptrIlEEjNS0_19identity_decomposerEEE10hipError_tT1_T2_PT3_SG_jT4_jjP12ihipStream_tbEUlT_E0_NS1_11comp_targetILNS1_3genE4ELNS1_11target_archE910ELNS1_3gpuE8ELNS1_3repE0EEENS1_52radix_sort_onesweep_histogram_config_static_selectorELNS0_4arch9wavefront6targetE1EEEvSE_,"axG",@progbits,_ZN7rocprim17ROCPRIM_400000_NS6detail17trampoline_kernelINS0_14default_configENS1_35radix_sort_onesweep_config_selectorIflEEZNS1_34radix_sort_onesweep_global_offsetsIS3_Lb0EPfN6thrust23THRUST_200600_302600_NS10device_ptrIlEEjNS0_19identity_decomposerEEE10hipError_tT1_T2_PT3_SG_jT4_jjP12ihipStream_tbEUlT_E0_NS1_11comp_targetILNS1_3genE4ELNS1_11target_archE910ELNS1_3gpuE8ELNS1_3repE0EEENS1_52radix_sort_onesweep_histogram_config_static_selectorELNS0_4arch9wavefront6targetE1EEEvSE_,comdat
	.protected	_ZN7rocprim17ROCPRIM_400000_NS6detail17trampoline_kernelINS0_14default_configENS1_35radix_sort_onesweep_config_selectorIflEEZNS1_34radix_sort_onesweep_global_offsetsIS3_Lb0EPfN6thrust23THRUST_200600_302600_NS10device_ptrIlEEjNS0_19identity_decomposerEEE10hipError_tT1_T2_PT3_SG_jT4_jjP12ihipStream_tbEUlT_E0_NS1_11comp_targetILNS1_3genE4ELNS1_11target_archE910ELNS1_3gpuE8ELNS1_3repE0EEENS1_52radix_sort_onesweep_histogram_config_static_selectorELNS0_4arch9wavefront6targetE1EEEvSE_ ; -- Begin function _ZN7rocprim17ROCPRIM_400000_NS6detail17trampoline_kernelINS0_14default_configENS1_35radix_sort_onesweep_config_selectorIflEEZNS1_34radix_sort_onesweep_global_offsetsIS3_Lb0EPfN6thrust23THRUST_200600_302600_NS10device_ptrIlEEjNS0_19identity_decomposerEEE10hipError_tT1_T2_PT3_SG_jT4_jjP12ihipStream_tbEUlT_E0_NS1_11comp_targetILNS1_3genE4ELNS1_11target_archE910ELNS1_3gpuE8ELNS1_3repE0EEENS1_52radix_sort_onesweep_histogram_config_static_selectorELNS0_4arch9wavefront6targetE1EEEvSE_
	.globl	_ZN7rocprim17ROCPRIM_400000_NS6detail17trampoline_kernelINS0_14default_configENS1_35radix_sort_onesweep_config_selectorIflEEZNS1_34radix_sort_onesweep_global_offsetsIS3_Lb0EPfN6thrust23THRUST_200600_302600_NS10device_ptrIlEEjNS0_19identity_decomposerEEE10hipError_tT1_T2_PT3_SG_jT4_jjP12ihipStream_tbEUlT_E0_NS1_11comp_targetILNS1_3genE4ELNS1_11target_archE910ELNS1_3gpuE8ELNS1_3repE0EEENS1_52radix_sort_onesweep_histogram_config_static_selectorELNS0_4arch9wavefront6targetE1EEEvSE_
	.p2align	8
	.type	_ZN7rocprim17ROCPRIM_400000_NS6detail17trampoline_kernelINS0_14default_configENS1_35radix_sort_onesweep_config_selectorIflEEZNS1_34radix_sort_onesweep_global_offsetsIS3_Lb0EPfN6thrust23THRUST_200600_302600_NS10device_ptrIlEEjNS0_19identity_decomposerEEE10hipError_tT1_T2_PT3_SG_jT4_jjP12ihipStream_tbEUlT_E0_NS1_11comp_targetILNS1_3genE4ELNS1_11target_archE910ELNS1_3gpuE8ELNS1_3repE0EEENS1_52radix_sort_onesweep_histogram_config_static_selectorELNS0_4arch9wavefront6targetE1EEEvSE_,@function
_ZN7rocprim17ROCPRIM_400000_NS6detail17trampoline_kernelINS0_14default_configENS1_35radix_sort_onesweep_config_selectorIflEEZNS1_34radix_sort_onesweep_global_offsetsIS3_Lb0EPfN6thrust23THRUST_200600_302600_NS10device_ptrIlEEjNS0_19identity_decomposerEEE10hipError_tT1_T2_PT3_SG_jT4_jjP12ihipStream_tbEUlT_E0_NS1_11comp_targetILNS1_3genE4ELNS1_11target_archE910ELNS1_3gpuE8ELNS1_3repE0EEENS1_52radix_sort_onesweep_histogram_config_static_selectorELNS0_4arch9wavefront6targetE1EEEvSE_: ; @_ZN7rocprim17ROCPRIM_400000_NS6detail17trampoline_kernelINS0_14default_configENS1_35radix_sort_onesweep_config_selectorIflEEZNS1_34radix_sort_onesweep_global_offsetsIS3_Lb0EPfN6thrust23THRUST_200600_302600_NS10device_ptrIlEEjNS0_19identity_decomposerEEE10hipError_tT1_T2_PT3_SG_jT4_jjP12ihipStream_tbEUlT_E0_NS1_11comp_targetILNS1_3genE4ELNS1_11target_archE910ELNS1_3gpuE8ELNS1_3repE0EEENS1_52radix_sort_onesweep_histogram_config_static_selectorELNS0_4arch9wavefront6targetE1EEEvSE_
; %bb.0:
	.section	.rodata,"a",@progbits
	.p2align	6, 0x0
	.amdhsa_kernel _ZN7rocprim17ROCPRIM_400000_NS6detail17trampoline_kernelINS0_14default_configENS1_35radix_sort_onesweep_config_selectorIflEEZNS1_34radix_sort_onesweep_global_offsetsIS3_Lb0EPfN6thrust23THRUST_200600_302600_NS10device_ptrIlEEjNS0_19identity_decomposerEEE10hipError_tT1_T2_PT3_SG_jT4_jjP12ihipStream_tbEUlT_E0_NS1_11comp_targetILNS1_3genE4ELNS1_11target_archE910ELNS1_3gpuE8ELNS1_3repE0EEENS1_52radix_sort_onesweep_histogram_config_static_selectorELNS0_4arch9wavefront6targetE1EEEvSE_
		.amdhsa_group_segment_fixed_size 0
		.amdhsa_private_segment_fixed_size 0
		.amdhsa_kernarg_size 8
		.amdhsa_user_sgpr_count 6
		.amdhsa_user_sgpr_private_segment_buffer 1
		.amdhsa_user_sgpr_dispatch_ptr 0
		.amdhsa_user_sgpr_queue_ptr 0
		.amdhsa_user_sgpr_kernarg_segment_ptr 1
		.amdhsa_user_sgpr_dispatch_id 0
		.amdhsa_user_sgpr_flat_scratch_init 0
		.amdhsa_user_sgpr_private_segment_size 0
		.amdhsa_uses_dynamic_stack 0
		.amdhsa_system_sgpr_private_segment_wavefront_offset 0
		.amdhsa_system_sgpr_workgroup_id_x 1
		.amdhsa_system_sgpr_workgroup_id_y 0
		.amdhsa_system_sgpr_workgroup_id_z 0
		.amdhsa_system_sgpr_workgroup_info 0
		.amdhsa_system_vgpr_workitem_id 0
		.amdhsa_next_free_vgpr 1
		.amdhsa_next_free_sgpr 0
		.amdhsa_reserve_vcc 0
		.amdhsa_reserve_flat_scratch 0
		.amdhsa_float_round_mode_32 0
		.amdhsa_float_round_mode_16_64 0
		.amdhsa_float_denorm_mode_32 3
		.amdhsa_float_denorm_mode_16_64 3
		.amdhsa_dx10_clamp 1
		.amdhsa_ieee_mode 1
		.amdhsa_fp16_overflow 0
		.amdhsa_exception_fp_ieee_invalid_op 0
		.amdhsa_exception_fp_denorm_src 0
		.amdhsa_exception_fp_ieee_div_zero 0
		.amdhsa_exception_fp_ieee_overflow 0
		.amdhsa_exception_fp_ieee_underflow 0
		.amdhsa_exception_fp_ieee_inexact 0
		.amdhsa_exception_int_div_zero 0
	.end_amdhsa_kernel
	.section	.text._ZN7rocprim17ROCPRIM_400000_NS6detail17trampoline_kernelINS0_14default_configENS1_35radix_sort_onesweep_config_selectorIflEEZNS1_34radix_sort_onesweep_global_offsetsIS3_Lb0EPfN6thrust23THRUST_200600_302600_NS10device_ptrIlEEjNS0_19identity_decomposerEEE10hipError_tT1_T2_PT3_SG_jT4_jjP12ihipStream_tbEUlT_E0_NS1_11comp_targetILNS1_3genE4ELNS1_11target_archE910ELNS1_3gpuE8ELNS1_3repE0EEENS1_52radix_sort_onesweep_histogram_config_static_selectorELNS0_4arch9wavefront6targetE1EEEvSE_,"axG",@progbits,_ZN7rocprim17ROCPRIM_400000_NS6detail17trampoline_kernelINS0_14default_configENS1_35radix_sort_onesweep_config_selectorIflEEZNS1_34radix_sort_onesweep_global_offsetsIS3_Lb0EPfN6thrust23THRUST_200600_302600_NS10device_ptrIlEEjNS0_19identity_decomposerEEE10hipError_tT1_T2_PT3_SG_jT4_jjP12ihipStream_tbEUlT_E0_NS1_11comp_targetILNS1_3genE4ELNS1_11target_archE910ELNS1_3gpuE8ELNS1_3repE0EEENS1_52radix_sort_onesweep_histogram_config_static_selectorELNS0_4arch9wavefront6targetE1EEEvSE_,comdat
.Lfunc_end1829:
	.size	_ZN7rocprim17ROCPRIM_400000_NS6detail17trampoline_kernelINS0_14default_configENS1_35radix_sort_onesweep_config_selectorIflEEZNS1_34radix_sort_onesweep_global_offsetsIS3_Lb0EPfN6thrust23THRUST_200600_302600_NS10device_ptrIlEEjNS0_19identity_decomposerEEE10hipError_tT1_T2_PT3_SG_jT4_jjP12ihipStream_tbEUlT_E0_NS1_11comp_targetILNS1_3genE4ELNS1_11target_archE910ELNS1_3gpuE8ELNS1_3repE0EEENS1_52radix_sort_onesweep_histogram_config_static_selectorELNS0_4arch9wavefront6targetE1EEEvSE_, .Lfunc_end1829-_ZN7rocprim17ROCPRIM_400000_NS6detail17trampoline_kernelINS0_14default_configENS1_35radix_sort_onesweep_config_selectorIflEEZNS1_34radix_sort_onesweep_global_offsetsIS3_Lb0EPfN6thrust23THRUST_200600_302600_NS10device_ptrIlEEjNS0_19identity_decomposerEEE10hipError_tT1_T2_PT3_SG_jT4_jjP12ihipStream_tbEUlT_E0_NS1_11comp_targetILNS1_3genE4ELNS1_11target_archE910ELNS1_3gpuE8ELNS1_3repE0EEENS1_52radix_sort_onesweep_histogram_config_static_selectorELNS0_4arch9wavefront6targetE1EEEvSE_
                                        ; -- End function
	.set _ZN7rocprim17ROCPRIM_400000_NS6detail17trampoline_kernelINS0_14default_configENS1_35radix_sort_onesweep_config_selectorIflEEZNS1_34radix_sort_onesweep_global_offsetsIS3_Lb0EPfN6thrust23THRUST_200600_302600_NS10device_ptrIlEEjNS0_19identity_decomposerEEE10hipError_tT1_T2_PT3_SG_jT4_jjP12ihipStream_tbEUlT_E0_NS1_11comp_targetILNS1_3genE4ELNS1_11target_archE910ELNS1_3gpuE8ELNS1_3repE0EEENS1_52radix_sort_onesweep_histogram_config_static_selectorELNS0_4arch9wavefront6targetE1EEEvSE_.num_vgpr, 0
	.set _ZN7rocprim17ROCPRIM_400000_NS6detail17trampoline_kernelINS0_14default_configENS1_35radix_sort_onesweep_config_selectorIflEEZNS1_34radix_sort_onesweep_global_offsetsIS3_Lb0EPfN6thrust23THRUST_200600_302600_NS10device_ptrIlEEjNS0_19identity_decomposerEEE10hipError_tT1_T2_PT3_SG_jT4_jjP12ihipStream_tbEUlT_E0_NS1_11comp_targetILNS1_3genE4ELNS1_11target_archE910ELNS1_3gpuE8ELNS1_3repE0EEENS1_52radix_sort_onesweep_histogram_config_static_selectorELNS0_4arch9wavefront6targetE1EEEvSE_.num_agpr, 0
	.set _ZN7rocprim17ROCPRIM_400000_NS6detail17trampoline_kernelINS0_14default_configENS1_35radix_sort_onesweep_config_selectorIflEEZNS1_34radix_sort_onesweep_global_offsetsIS3_Lb0EPfN6thrust23THRUST_200600_302600_NS10device_ptrIlEEjNS0_19identity_decomposerEEE10hipError_tT1_T2_PT3_SG_jT4_jjP12ihipStream_tbEUlT_E0_NS1_11comp_targetILNS1_3genE4ELNS1_11target_archE910ELNS1_3gpuE8ELNS1_3repE0EEENS1_52radix_sort_onesweep_histogram_config_static_selectorELNS0_4arch9wavefront6targetE1EEEvSE_.numbered_sgpr, 0
	.set _ZN7rocprim17ROCPRIM_400000_NS6detail17trampoline_kernelINS0_14default_configENS1_35radix_sort_onesweep_config_selectorIflEEZNS1_34radix_sort_onesweep_global_offsetsIS3_Lb0EPfN6thrust23THRUST_200600_302600_NS10device_ptrIlEEjNS0_19identity_decomposerEEE10hipError_tT1_T2_PT3_SG_jT4_jjP12ihipStream_tbEUlT_E0_NS1_11comp_targetILNS1_3genE4ELNS1_11target_archE910ELNS1_3gpuE8ELNS1_3repE0EEENS1_52radix_sort_onesweep_histogram_config_static_selectorELNS0_4arch9wavefront6targetE1EEEvSE_.num_named_barrier, 0
	.set _ZN7rocprim17ROCPRIM_400000_NS6detail17trampoline_kernelINS0_14default_configENS1_35radix_sort_onesweep_config_selectorIflEEZNS1_34radix_sort_onesweep_global_offsetsIS3_Lb0EPfN6thrust23THRUST_200600_302600_NS10device_ptrIlEEjNS0_19identity_decomposerEEE10hipError_tT1_T2_PT3_SG_jT4_jjP12ihipStream_tbEUlT_E0_NS1_11comp_targetILNS1_3genE4ELNS1_11target_archE910ELNS1_3gpuE8ELNS1_3repE0EEENS1_52radix_sort_onesweep_histogram_config_static_selectorELNS0_4arch9wavefront6targetE1EEEvSE_.private_seg_size, 0
	.set _ZN7rocprim17ROCPRIM_400000_NS6detail17trampoline_kernelINS0_14default_configENS1_35radix_sort_onesweep_config_selectorIflEEZNS1_34radix_sort_onesweep_global_offsetsIS3_Lb0EPfN6thrust23THRUST_200600_302600_NS10device_ptrIlEEjNS0_19identity_decomposerEEE10hipError_tT1_T2_PT3_SG_jT4_jjP12ihipStream_tbEUlT_E0_NS1_11comp_targetILNS1_3genE4ELNS1_11target_archE910ELNS1_3gpuE8ELNS1_3repE0EEENS1_52radix_sort_onesweep_histogram_config_static_selectorELNS0_4arch9wavefront6targetE1EEEvSE_.uses_vcc, 0
	.set _ZN7rocprim17ROCPRIM_400000_NS6detail17trampoline_kernelINS0_14default_configENS1_35radix_sort_onesweep_config_selectorIflEEZNS1_34radix_sort_onesweep_global_offsetsIS3_Lb0EPfN6thrust23THRUST_200600_302600_NS10device_ptrIlEEjNS0_19identity_decomposerEEE10hipError_tT1_T2_PT3_SG_jT4_jjP12ihipStream_tbEUlT_E0_NS1_11comp_targetILNS1_3genE4ELNS1_11target_archE910ELNS1_3gpuE8ELNS1_3repE0EEENS1_52radix_sort_onesweep_histogram_config_static_selectorELNS0_4arch9wavefront6targetE1EEEvSE_.uses_flat_scratch, 0
	.set _ZN7rocprim17ROCPRIM_400000_NS6detail17trampoline_kernelINS0_14default_configENS1_35radix_sort_onesweep_config_selectorIflEEZNS1_34radix_sort_onesweep_global_offsetsIS3_Lb0EPfN6thrust23THRUST_200600_302600_NS10device_ptrIlEEjNS0_19identity_decomposerEEE10hipError_tT1_T2_PT3_SG_jT4_jjP12ihipStream_tbEUlT_E0_NS1_11comp_targetILNS1_3genE4ELNS1_11target_archE910ELNS1_3gpuE8ELNS1_3repE0EEENS1_52radix_sort_onesweep_histogram_config_static_selectorELNS0_4arch9wavefront6targetE1EEEvSE_.has_dyn_sized_stack, 0
	.set _ZN7rocprim17ROCPRIM_400000_NS6detail17trampoline_kernelINS0_14default_configENS1_35radix_sort_onesweep_config_selectorIflEEZNS1_34radix_sort_onesweep_global_offsetsIS3_Lb0EPfN6thrust23THRUST_200600_302600_NS10device_ptrIlEEjNS0_19identity_decomposerEEE10hipError_tT1_T2_PT3_SG_jT4_jjP12ihipStream_tbEUlT_E0_NS1_11comp_targetILNS1_3genE4ELNS1_11target_archE910ELNS1_3gpuE8ELNS1_3repE0EEENS1_52radix_sort_onesweep_histogram_config_static_selectorELNS0_4arch9wavefront6targetE1EEEvSE_.has_recursion, 0
	.set _ZN7rocprim17ROCPRIM_400000_NS6detail17trampoline_kernelINS0_14default_configENS1_35radix_sort_onesweep_config_selectorIflEEZNS1_34radix_sort_onesweep_global_offsetsIS3_Lb0EPfN6thrust23THRUST_200600_302600_NS10device_ptrIlEEjNS0_19identity_decomposerEEE10hipError_tT1_T2_PT3_SG_jT4_jjP12ihipStream_tbEUlT_E0_NS1_11comp_targetILNS1_3genE4ELNS1_11target_archE910ELNS1_3gpuE8ELNS1_3repE0EEENS1_52radix_sort_onesweep_histogram_config_static_selectorELNS0_4arch9wavefront6targetE1EEEvSE_.has_indirect_call, 0
	.section	.AMDGPU.csdata,"",@progbits
; Kernel info:
; codeLenInByte = 0
; TotalNumSgprs: 4
; NumVgprs: 0
; ScratchSize: 0
; MemoryBound: 0
; FloatMode: 240
; IeeeMode: 1
; LDSByteSize: 0 bytes/workgroup (compile time only)
; SGPRBlocks: 0
; VGPRBlocks: 0
; NumSGPRsForWavesPerEU: 4
; NumVGPRsForWavesPerEU: 1
; Occupancy: 10
; WaveLimiterHint : 0
; COMPUTE_PGM_RSRC2:SCRATCH_EN: 0
; COMPUTE_PGM_RSRC2:USER_SGPR: 6
; COMPUTE_PGM_RSRC2:TRAP_HANDLER: 0
; COMPUTE_PGM_RSRC2:TGID_X_EN: 1
; COMPUTE_PGM_RSRC2:TGID_Y_EN: 0
; COMPUTE_PGM_RSRC2:TGID_Z_EN: 0
; COMPUTE_PGM_RSRC2:TIDIG_COMP_CNT: 0
	.section	.text._ZN7rocprim17ROCPRIM_400000_NS6detail17trampoline_kernelINS0_14default_configENS1_35radix_sort_onesweep_config_selectorIflEEZNS1_34radix_sort_onesweep_global_offsetsIS3_Lb0EPfN6thrust23THRUST_200600_302600_NS10device_ptrIlEEjNS0_19identity_decomposerEEE10hipError_tT1_T2_PT3_SG_jT4_jjP12ihipStream_tbEUlT_E0_NS1_11comp_targetILNS1_3genE3ELNS1_11target_archE908ELNS1_3gpuE7ELNS1_3repE0EEENS1_52radix_sort_onesweep_histogram_config_static_selectorELNS0_4arch9wavefront6targetE1EEEvSE_,"axG",@progbits,_ZN7rocprim17ROCPRIM_400000_NS6detail17trampoline_kernelINS0_14default_configENS1_35radix_sort_onesweep_config_selectorIflEEZNS1_34radix_sort_onesweep_global_offsetsIS3_Lb0EPfN6thrust23THRUST_200600_302600_NS10device_ptrIlEEjNS0_19identity_decomposerEEE10hipError_tT1_T2_PT3_SG_jT4_jjP12ihipStream_tbEUlT_E0_NS1_11comp_targetILNS1_3genE3ELNS1_11target_archE908ELNS1_3gpuE7ELNS1_3repE0EEENS1_52radix_sort_onesweep_histogram_config_static_selectorELNS0_4arch9wavefront6targetE1EEEvSE_,comdat
	.protected	_ZN7rocprim17ROCPRIM_400000_NS6detail17trampoline_kernelINS0_14default_configENS1_35radix_sort_onesweep_config_selectorIflEEZNS1_34radix_sort_onesweep_global_offsetsIS3_Lb0EPfN6thrust23THRUST_200600_302600_NS10device_ptrIlEEjNS0_19identity_decomposerEEE10hipError_tT1_T2_PT3_SG_jT4_jjP12ihipStream_tbEUlT_E0_NS1_11comp_targetILNS1_3genE3ELNS1_11target_archE908ELNS1_3gpuE7ELNS1_3repE0EEENS1_52radix_sort_onesweep_histogram_config_static_selectorELNS0_4arch9wavefront6targetE1EEEvSE_ ; -- Begin function _ZN7rocprim17ROCPRIM_400000_NS6detail17trampoline_kernelINS0_14default_configENS1_35radix_sort_onesweep_config_selectorIflEEZNS1_34radix_sort_onesweep_global_offsetsIS3_Lb0EPfN6thrust23THRUST_200600_302600_NS10device_ptrIlEEjNS0_19identity_decomposerEEE10hipError_tT1_T2_PT3_SG_jT4_jjP12ihipStream_tbEUlT_E0_NS1_11comp_targetILNS1_3genE3ELNS1_11target_archE908ELNS1_3gpuE7ELNS1_3repE0EEENS1_52radix_sort_onesweep_histogram_config_static_selectorELNS0_4arch9wavefront6targetE1EEEvSE_
	.globl	_ZN7rocprim17ROCPRIM_400000_NS6detail17trampoline_kernelINS0_14default_configENS1_35radix_sort_onesweep_config_selectorIflEEZNS1_34radix_sort_onesweep_global_offsetsIS3_Lb0EPfN6thrust23THRUST_200600_302600_NS10device_ptrIlEEjNS0_19identity_decomposerEEE10hipError_tT1_T2_PT3_SG_jT4_jjP12ihipStream_tbEUlT_E0_NS1_11comp_targetILNS1_3genE3ELNS1_11target_archE908ELNS1_3gpuE7ELNS1_3repE0EEENS1_52radix_sort_onesweep_histogram_config_static_selectorELNS0_4arch9wavefront6targetE1EEEvSE_
	.p2align	8
	.type	_ZN7rocprim17ROCPRIM_400000_NS6detail17trampoline_kernelINS0_14default_configENS1_35radix_sort_onesweep_config_selectorIflEEZNS1_34radix_sort_onesweep_global_offsetsIS3_Lb0EPfN6thrust23THRUST_200600_302600_NS10device_ptrIlEEjNS0_19identity_decomposerEEE10hipError_tT1_T2_PT3_SG_jT4_jjP12ihipStream_tbEUlT_E0_NS1_11comp_targetILNS1_3genE3ELNS1_11target_archE908ELNS1_3gpuE7ELNS1_3repE0EEENS1_52radix_sort_onesweep_histogram_config_static_selectorELNS0_4arch9wavefront6targetE1EEEvSE_,@function
_ZN7rocprim17ROCPRIM_400000_NS6detail17trampoline_kernelINS0_14default_configENS1_35radix_sort_onesweep_config_selectorIflEEZNS1_34radix_sort_onesweep_global_offsetsIS3_Lb0EPfN6thrust23THRUST_200600_302600_NS10device_ptrIlEEjNS0_19identity_decomposerEEE10hipError_tT1_T2_PT3_SG_jT4_jjP12ihipStream_tbEUlT_E0_NS1_11comp_targetILNS1_3genE3ELNS1_11target_archE908ELNS1_3gpuE7ELNS1_3repE0EEENS1_52radix_sort_onesweep_histogram_config_static_selectorELNS0_4arch9wavefront6targetE1EEEvSE_: ; @_ZN7rocprim17ROCPRIM_400000_NS6detail17trampoline_kernelINS0_14default_configENS1_35radix_sort_onesweep_config_selectorIflEEZNS1_34radix_sort_onesweep_global_offsetsIS3_Lb0EPfN6thrust23THRUST_200600_302600_NS10device_ptrIlEEjNS0_19identity_decomposerEEE10hipError_tT1_T2_PT3_SG_jT4_jjP12ihipStream_tbEUlT_E0_NS1_11comp_targetILNS1_3genE3ELNS1_11target_archE908ELNS1_3gpuE7ELNS1_3repE0EEENS1_52radix_sort_onesweep_histogram_config_static_selectorELNS0_4arch9wavefront6targetE1EEEvSE_
; %bb.0:
	.section	.rodata,"a",@progbits
	.p2align	6, 0x0
	.amdhsa_kernel _ZN7rocprim17ROCPRIM_400000_NS6detail17trampoline_kernelINS0_14default_configENS1_35radix_sort_onesweep_config_selectorIflEEZNS1_34radix_sort_onesweep_global_offsetsIS3_Lb0EPfN6thrust23THRUST_200600_302600_NS10device_ptrIlEEjNS0_19identity_decomposerEEE10hipError_tT1_T2_PT3_SG_jT4_jjP12ihipStream_tbEUlT_E0_NS1_11comp_targetILNS1_3genE3ELNS1_11target_archE908ELNS1_3gpuE7ELNS1_3repE0EEENS1_52radix_sort_onesweep_histogram_config_static_selectorELNS0_4arch9wavefront6targetE1EEEvSE_
		.amdhsa_group_segment_fixed_size 0
		.amdhsa_private_segment_fixed_size 0
		.amdhsa_kernarg_size 8
		.amdhsa_user_sgpr_count 6
		.amdhsa_user_sgpr_private_segment_buffer 1
		.amdhsa_user_sgpr_dispatch_ptr 0
		.amdhsa_user_sgpr_queue_ptr 0
		.amdhsa_user_sgpr_kernarg_segment_ptr 1
		.amdhsa_user_sgpr_dispatch_id 0
		.amdhsa_user_sgpr_flat_scratch_init 0
		.amdhsa_user_sgpr_private_segment_size 0
		.amdhsa_uses_dynamic_stack 0
		.amdhsa_system_sgpr_private_segment_wavefront_offset 0
		.amdhsa_system_sgpr_workgroup_id_x 1
		.amdhsa_system_sgpr_workgroup_id_y 0
		.amdhsa_system_sgpr_workgroup_id_z 0
		.amdhsa_system_sgpr_workgroup_info 0
		.amdhsa_system_vgpr_workitem_id 0
		.amdhsa_next_free_vgpr 1
		.amdhsa_next_free_sgpr 0
		.amdhsa_reserve_vcc 0
		.amdhsa_reserve_flat_scratch 0
		.amdhsa_float_round_mode_32 0
		.amdhsa_float_round_mode_16_64 0
		.amdhsa_float_denorm_mode_32 3
		.amdhsa_float_denorm_mode_16_64 3
		.amdhsa_dx10_clamp 1
		.amdhsa_ieee_mode 1
		.amdhsa_fp16_overflow 0
		.amdhsa_exception_fp_ieee_invalid_op 0
		.amdhsa_exception_fp_denorm_src 0
		.amdhsa_exception_fp_ieee_div_zero 0
		.amdhsa_exception_fp_ieee_overflow 0
		.amdhsa_exception_fp_ieee_underflow 0
		.amdhsa_exception_fp_ieee_inexact 0
		.amdhsa_exception_int_div_zero 0
	.end_amdhsa_kernel
	.section	.text._ZN7rocprim17ROCPRIM_400000_NS6detail17trampoline_kernelINS0_14default_configENS1_35radix_sort_onesweep_config_selectorIflEEZNS1_34radix_sort_onesweep_global_offsetsIS3_Lb0EPfN6thrust23THRUST_200600_302600_NS10device_ptrIlEEjNS0_19identity_decomposerEEE10hipError_tT1_T2_PT3_SG_jT4_jjP12ihipStream_tbEUlT_E0_NS1_11comp_targetILNS1_3genE3ELNS1_11target_archE908ELNS1_3gpuE7ELNS1_3repE0EEENS1_52radix_sort_onesweep_histogram_config_static_selectorELNS0_4arch9wavefront6targetE1EEEvSE_,"axG",@progbits,_ZN7rocprim17ROCPRIM_400000_NS6detail17trampoline_kernelINS0_14default_configENS1_35radix_sort_onesweep_config_selectorIflEEZNS1_34radix_sort_onesweep_global_offsetsIS3_Lb0EPfN6thrust23THRUST_200600_302600_NS10device_ptrIlEEjNS0_19identity_decomposerEEE10hipError_tT1_T2_PT3_SG_jT4_jjP12ihipStream_tbEUlT_E0_NS1_11comp_targetILNS1_3genE3ELNS1_11target_archE908ELNS1_3gpuE7ELNS1_3repE0EEENS1_52radix_sort_onesweep_histogram_config_static_selectorELNS0_4arch9wavefront6targetE1EEEvSE_,comdat
.Lfunc_end1830:
	.size	_ZN7rocprim17ROCPRIM_400000_NS6detail17trampoline_kernelINS0_14default_configENS1_35radix_sort_onesweep_config_selectorIflEEZNS1_34radix_sort_onesweep_global_offsetsIS3_Lb0EPfN6thrust23THRUST_200600_302600_NS10device_ptrIlEEjNS0_19identity_decomposerEEE10hipError_tT1_T2_PT3_SG_jT4_jjP12ihipStream_tbEUlT_E0_NS1_11comp_targetILNS1_3genE3ELNS1_11target_archE908ELNS1_3gpuE7ELNS1_3repE0EEENS1_52radix_sort_onesweep_histogram_config_static_selectorELNS0_4arch9wavefront6targetE1EEEvSE_, .Lfunc_end1830-_ZN7rocprim17ROCPRIM_400000_NS6detail17trampoline_kernelINS0_14default_configENS1_35radix_sort_onesweep_config_selectorIflEEZNS1_34radix_sort_onesweep_global_offsetsIS3_Lb0EPfN6thrust23THRUST_200600_302600_NS10device_ptrIlEEjNS0_19identity_decomposerEEE10hipError_tT1_T2_PT3_SG_jT4_jjP12ihipStream_tbEUlT_E0_NS1_11comp_targetILNS1_3genE3ELNS1_11target_archE908ELNS1_3gpuE7ELNS1_3repE0EEENS1_52radix_sort_onesweep_histogram_config_static_selectorELNS0_4arch9wavefront6targetE1EEEvSE_
                                        ; -- End function
	.set _ZN7rocprim17ROCPRIM_400000_NS6detail17trampoline_kernelINS0_14default_configENS1_35radix_sort_onesweep_config_selectorIflEEZNS1_34radix_sort_onesweep_global_offsetsIS3_Lb0EPfN6thrust23THRUST_200600_302600_NS10device_ptrIlEEjNS0_19identity_decomposerEEE10hipError_tT1_T2_PT3_SG_jT4_jjP12ihipStream_tbEUlT_E0_NS1_11comp_targetILNS1_3genE3ELNS1_11target_archE908ELNS1_3gpuE7ELNS1_3repE0EEENS1_52radix_sort_onesweep_histogram_config_static_selectorELNS0_4arch9wavefront6targetE1EEEvSE_.num_vgpr, 0
	.set _ZN7rocprim17ROCPRIM_400000_NS6detail17trampoline_kernelINS0_14default_configENS1_35radix_sort_onesweep_config_selectorIflEEZNS1_34radix_sort_onesweep_global_offsetsIS3_Lb0EPfN6thrust23THRUST_200600_302600_NS10device_ptrIlEEjNS0_19identity_decomposerEEE10hipError_tT1_T2_PT3_SG_jT4_jjP12ihipStream_tbEUlT_E0_NS1_11comp_targetILNS1_3genE3ELNS1_11target_archE908ELNS1_3gpuE7ELNS1_3repE0EEENS1_52radix_sort_onesweep_histogram_config_static_selectorELNS0_4arch9wavefront6targetE1EEEvSE_.num_agpr, 0
	.set _ZN7rocprim17ROCPRIM_400000_NS6detail17trampoline_kernelINS0_14default_configENS1_35radix_sort_onesweep_config_selectorIflEEZNS1_34radix_sort_onesweep_global_offsetsIS3_Lb0EPfN6thrust23THRUST_200600_302600_NS10device_ptrIlEEjNS0_19identity_decomposerEEE10hipError_tT1_T2_PT3_SG_jT4_jjP12ihipStream_tbEUlT_E0_NS1_11comp_targetILNS1_3genE3ELNS1_11target_archE908ELNS1_3gpuE7ELNS1_3repE0EEENS1_52radix_sort_onesweep_histogram_config_static_selectorELNS0_4arch9wavefront6targetE1EEEvSE_.numbered_sgpr, 0
	.set _ZN7rocprim17ROCPRIM_400000_NS6detail17trampoline_kernelINS0_14default_configENS1_35radix_sort_onesweep_config_selectorIflEEZNS1_34radix_sort_onesweep_global_offsetsIS3_Lb0EPfN6thrust23THRUST_200600_302600_NS10device_ptrIlEEjNS0_19identity_decomposerEEE10hipError_tT1_T2_PT3_SG_jT4_jjP12ihipStream_tbEUlT_E0_NS1_11comp_targetILNS1_3genE3ELNS1_11target_archE908ELNS1_3gpuE7ELNS1_3repE0EEENS1_52radix_sort_onesweep_histogram_config_static_selectorELNS0_4arch9wavefront6targetE1EEEvSE_.num_named_barrier, 0
	.set _ZN7rocprim17ROCPRIM_400000_NS6detail17trampoline_kernelINS0_14default_configENS1_35radix_sort_onesweep_config_selectorIflEEZNS1_34radix_sort_onesweep_global_offsetsIS3_Lb0EPfN6thrust23THRUST_200600_302600_NS10device_ptrIlEEjNS0_19identity_decomposerEEE10hipError_tT1_T2_PT3_SG_jT4_jjP12ihipStream_tbEUlT_E0_NS1_11comp_targetILNS1_3genE3ELNS1_11target_archE908ELNS1_3gpuE7ELNS1_3repE0EEENS1_52radix_sort_onesweep_histogram_config_static_selectorELNS0_4arch9wavefront6targetE1EEEvSE_.private_seg_size, 0
	.set _ZN7rocprim17ROCPRIM_400000_NS6detail17trampoline_kernelINS0_14default_configENS1_35radix_sort_onesweep_config_selectorIflEEZNS1_34radix_sort_onesweep_global_offsetsIS3_Lb0EPfN6thrust23THRUST_200600_302600_NS10device_ptrIlEEjNS0_19identity_decomposerEEE10hipError_tT1_T2_PT3_SG_jT4_jjP12ihipStream_tbEUlT_E0_NS1_11comp_targetILNS1_3genE3ELNS1_11target_archE908ELNS1_3gpuE7ELNS1_3repE0EEENS1_52radix_sort_onesweep_histogram_config_static_selectorELNS0_4arch9wavefront6targetE1EEEvSE_.uses_vcc, 0
	.set _ZN7rocprim17ROCPRIM_400000_NS6detail17trampoline_kernelINS0_14default_configENS1_35radix_sort_onesweep_config_selectorIflEEZNS1_34radix_sort_onesweep_global_offsetsIS3_Lb0EPfN6thrust23THRUST_200600_302600_NS10device_ptrIlEEjNS0_19identity_decomposerEEE10hipError_tT1_T2_PT3_SG_jT4_jjP12ihipStream_tbEUlT_E0_NS1_11comp_targetILNS1_3genE3ELNS1_11target_archE908ELNS1_3gpuE7ELNS1_3repE0EEENS1_52radix_sort_onesweep_histogram_config_static_selectorELNS0_4arch9wavefront6targetE1EEEvSE_.uses_flat_scratch, 0
	.set _ZN7rocprim17ROCPRIM_400000_NS6detail17trampoline_kernelINS0_14default_configENS1_35radix_sort_onesweep_config_selectorIflEEZNS1_34radix_sort_onesweep_global_offsetsIS3_Lb0EPfN6thrust23THRUST_200600_302600_NS10device_ptrIlEEjNS0_19identity_decomposerEEE10hipError_tT1_T2_PT3_SG_jT4_jjP12ihipStream_tbEUlT_E0_NS1_11comp_targetILNS1_3genE3ELNS1_11target_archE908ELNS1_3gpuE7ELNS1_3repE0EEENS1_52radix_sort_onesweep_histogram_config_static_selectorELNS0_4arch9wavefront6targetE1EEEvSE_.has_dyn_sized_stack, 0
	.set _ZN7rocprim17ROCPRIM_400000_NS6detail17trampoline_kernelINS0_14default_configENS1_35radix_sort_onesweep_config_selectorIflEEZNS1_34radix_sort_onesweep_global_offsetsIS3_Lb0EPfN6thrust23THRUST_200600_302600_NS10device_ptrIlEEjNS0_19identity_decomposerEEE10hipError_tT1_T2_PT3_SG_jT4_jjP12ihipStream_tbEUlT_E0_NS1_11comp_targetILNS1_3genE3ELNS1_11target_archE908ELNS1_3gpuE7ELNS1_3repE0EEENS1_52radix_sort_onesweep_histogram_config_static_selectorELNS0_4arch9wavefront6targetE1EEEvSE_.has_recursion, 0
	.set _ZN7rocprim17ROCPRIM_400000_NS6detail17trampoline_kernelINS0_14default_configENS1_35radix_sort_onesweep_config_selectorIflEEZNS1_34radix_sort_onesweep_global_offsetsIS3_Lb0EPfN6thrust23THRUST_200600_302600_NS10device_ptrIlEEjNS0_19identity_decomposerEEE10hipError_tT1_T2_PT3_SG_jT4_jjP12ihipStream_tbEUlT_E0_NS1_11comp_targetILNS1_3genE3ELNS1_11target_archE908ELNS1_3gpuE7ELNS1_3repE0EEENS1_52radix_sort_onesweep_histogram_config_static_selectorELNS0_4arch9wavefront6targetE1EEEvSE_.has_indirect_call, 0
	.section	.AMDGPU.csdata,"",@progbits
; Kernel info:
; codeLenInByte = 0
; TotalNumSgprs: 4
; NumVgprs: 0
; ScratchSize: 0
; MemoryBound: 0
; FloatMode: 240
; IeeeMode: 1
; LDSByteSize: 0 bytes/workgroup (compile time only)
; SGPRBlocks: 0
; VGPRBlocks: 0
; NumSGPRsForWavesPerEU: 4
; NumVGPRsForWavesPerEU: 1
; Occupancy: 10
; WaveLimiterHint : 0
; COMPUTE_PGM_RSRC2:SCRATCH_EN: 0
; COMPUTE_PGM_RSRC2:USER_SGPR: 6
; COMPUTE_PGM_RSRC2:TRAP_HANDLER: 0
; COMPUTE_PGM_RSRC2:TGID_X_EN: 1
; COMPUTE_PGM_RSRC2:TGID_Y_EN: 0
; COMPUTE_PGM_RSRC2:TGID_Z_EN: 0
; COMPUTE_PGM_RSRC2:TIDIG_COMP_CNT: 0
	.section	.text._ZN7rocprim17ROCPRIM_400000_NS6detail17trampoline_kernelINS0_14default_configENS1_35radix_sort_onesweep_config_selectorIflEEZNS1_34radix_sort_onesweep_global_offsetsIS3_Lb0EPfN6thrust23THRUST_200600_302600_NS10device_ptrIlEEjNS0_19identity_decomposerEEE10hipError_tT1_T2_PT3_SG_jT4_jjP12ihipStream_tbEUlT_E0_NS1_11comp_targetILNS1_3genE10ELNS1_11target_archE1201ELNS1_3gpuE5ELNS1_3repE0EEENS1_52radix_sort_onesweep_histogram_config_static_selectorELNS0_4arch9wavefront6targetE1EEEvSE_,"axG",@progbits,_ZN7rocprim17ROCPRIM_400000_NS6detail17trampoline_kernelINS0_14default_configENS1_35radix_sort_onesweep_config_selectorIflEEZNS1_34radix_sort_onesweep_global_offsetsIS3_Lb0EPfN6thrust23THRUST_200600_302600_NS10device_ptrIlEEjNS0_19identity_decomposerEEE10hipError_tT1_T2_PT3_SG_jT4_jjP12ihipStream_tbEUlT_E0_NS1_11comp_targetILNS1_3genE10ELNS1_11target_archE1201ELNS1_3gpuE5ELNS1_3repE0EEENS1_52radix_sort_onesweep_histogram_config_static_selectorELNS0_4arch9wavefront6targetE1EEEvSE_,comdat
	.protected	_ZN7rocprim17ROCPRIM_400000_NS6detail17trampoline_kernelINS0_14default_configENS1_35radix_sort_onesweep_config_selectorIflEEZNS1_34radix_sort_onesweep_global_offsetsIS3_Lb0EPfN6thrust23THRUST_200600_302600_NS10device_ptrIlEEjNS0_19identity_decomposerEEE10hipError_tT1_T2_PT3_SG_jT4_jjP12ihipStream_tbEUlT_E0_NS1_11comp_targetILNS1_3genE10ELNS1_11target_archE1201ELNS1_3gpuE5ELNS1_3repE0EEENS1_52radix_sort_onesweep_histogram_config_static_selectorELNS0_4arch9wavefront6targetE1EEEvSE_ ; -- Begin function _ZN7rocprim17ROCPRIM_400000_NS6detail17trampoline_kernelINS0_14default_configENS1_35radix_sort_onesweep_config_selectorIflEEZNS1_34radix_sort_onesweep_global_offsetsIS3_Lb0EPfN6thrust23THRUST_200600_302600_NS10device_ptrIlEEjNS0_19identity_decomposerEEE10hipError_tT1_T2_PT3_SG_jT4_jjP12ihipStream_tbEUlT_E0_NS1_11comp_targetILNS1_3genE10ELNS1_11target_archE1201ELNS1_3gpuE5ELNS1_3repE0EEENS1_52radix_sort_onesweep_histogram_config_static_selectorELNS0_4arch9wavefront6targetE1EEEvSE_
	.globl	_ZN7rocprim17ROCPRIM_400000_NS6detail17trampoline_kernelINS0_14default_configENS1_35radix_sort_onesweep_config_selectorIflEEZNS1_34radix_sort_onesweep_global_offsetsIS3_Lb0EPfN6thrust23THRUST_200600_302600_NS10device_ptrIlEEjNS0_19identity_decomposerEEE10hipError_tT1_T2_PT3_SG_jT4_jjP12ihipStream_tbEUlT_E0_NS1_11comp_targetILNS1_3genE10ELNS1_11target_archE1201ELNS1_3gpuE5ELNS1_3repE0EEENS1_52radix_sort_onesweep_histogram_config_static_selectorELNS0_4arch9wavefront6targetE1EEEvSE_
	.p2align	8
	.type	_ZN7rocprim17ROCPRIM_400000_NS6detail17trampoline_kernelINS0_14default_configENS1_35radix_sort_onesweep_config_selectorIflEEZNS1_34radix_sort_onesweep_global_offsetsIS3_Lb0EPfN6thrust23THRUST_200600_302600_NS10device_ptrIlEEjNS0_19identity_decomposerEEE10hipError_tT1_T2_PT3_SG_jT4_jjP12ihipStream_tbEUlT_E0_NS1_11comp_targetILNS1_3genE10ELNS1_11target_archE1201ELNS1_3gpuE5ELNS1_3repE0EEENS1_52radix_sort_onesweep_histogram_config_static_selectorELNS0_4arch9wavefront6targetE1EEEvSE_,@function
_ZN7rocprim17ROCPRIM_400000_NS6detail17trampoline_kernelINS0_14default_configENS1_35radix_sort_onesweep_config_selectorIflEEZNS1_34radix_sort_onesweep_global_offsetsIS3_Lb0EPfN6thrust23THRUST_200600_302600_NS10device_ptrIlEEjNS0_19identity_decomposerEEE10hipError_tT1_T2_PT3_SG_jT4_jjP12ihipStream_tbEUlT_E0_NS1_11comp_targetILNS1_3genE10ELNS1_11target_archE1201ELNS1_3gpuE5ELNS1_3repE0EEENS1_52radix_sort_onesweep_histogram_config_static_selectorELNS0_4arch9wavefront6targetE1EEEvSE_: ; @_ZN7rocprim17ROCPRIM_400000_NS6detail17trampoline_kernelINS0_14default_configENS1_35radix_sort_onesweep_config_selectorIflEEZNS1_34radix_sort_onesweep_global_offsetsIS3_Lb0EPfN6thrust23THRUST_200600_302600_NS10device_ptrIlEEjNS0_19identity_decomposerEEE10hipError_tT1_T2_PT3_SG_jT4_jjP12ihipStream_tbEUlT_E0_NS1_11comp_targetILNS1_3genE10ELNS1_11target_archE1201ELNS1_3gpuE5ELNS1_3repE0EEENS1_52radix_sort_onesweep_histogram_config_static_selectorELNS0_4arch9wavefront6targetE1EEEvSE_
; %bb.0:
	.section	.rodata,"a",@progbits
	.p2align	6, 0x0
	.amdhsa_kernel _ZN7rocprim17ROCPRIM_400000_NS6detail17trampoline_kernelINS0_14default_configENS1_35radix_sort_onesweep_config_selectorIflEEZNS1_34radix_sort_onesweep_global_offsetsIS3_Lb0EPfN6thrust23THRUST_200600_302600_NS10device_ptrIlEEjNS0_19identity_decomposerEEE10hipError_tT1_T2_PT3_SG_jT4_jjP12ihipStream_tbEUlT_E0_NS1_11comp_targetILNS1_3genE10ELNS1_11target_archE1201ELNS1_3gpuE5ELNS1_3repE0EEENS1_52radix_sort_onesweep_histogram_config_static_selectorELNS0_4arch9wavefront6targetE1EEEvSE_
		.amdhsa_group_segment_fixed_size 0
		.amdhsa_private_segment_fixed_size 0
		.amdhsa_kernarg_size 8
		.amdhsa_user_sgpr_count 6
		.amdhsa_user_sgpr_private_segment_buffer 1
		.amdhsa_user_sgpr_dispatch_ptr 0
		.amdhsa_user_sgpr_queue_ptr 0
		.amdhsa_user_sgpr_kernarg_segment_ptr 1
		.amdhsa_user_sgpr_dispatch_id 0
		.amdhsa_user_sgpr_flat_scratch_init 0
		.amdhsa_user_sgpr_private_segment_size 0
		.amdhsa_uses_dynamic_stack 0
		.amdhsa_system_sgpr_private_segment_wavefront_offset 0
		.amdhsa_system_sgpr_workgroup_id_x 1
		.amdhsa_system_sgpr_workgroup_id_y 0
		.amdhsa_system_sgpr_workgroup_id_z 0
		.amdhsa_system_sgpr_workgroup_info 0
		.amdhsa_system_vgpr_workitem_id 0
		.amdhsa_next_free_vgpr 1
		.amdhsa_next_free_sgpr 0
		.amdhsa_reserve_vcc 0
		.amdhsa_reserve_flat_scratch 0
		.amdhsa_float_round_mode_32 0
		.amdhsa_float_round_mode_16_64 0
		.amdhsa_float_denorm_mode_32 3
		.amdhsa_float_denorm_mode_16_64 3
		.amdhsa_dx10_clamp 1
		.amdhsa_ieee_mode 1
		.amdhsa_fp16_overflow 0
		.amdhsa_exception_fp_ieee_invalid_op 0
		.amdhsa_exception_fp_denorm_src 0
		.amdhsa_exception_fp_ieee_div_zero 0
		.amdhsa_exception_fp_ieee_overflow 0
		.amdhsa_exception_fp_ieee_underflow 0
		.amdhsa_exception_fp_ieee_inexact 0
		.amdhsa_exception_int_div_zero 0
	.end_amdhsa_kernel
	.section	.text._ZN7rocprim17ROCPRIM_400000_NS6detail17trampoline_kernelINS0_14default_configENS1_35radix_sort_onesweep_config_selectorIflEEZNS1_34radix_sort_onesweep_global_offsetsIS3_Lb0EPfN6thrust23THRUST_200600_302600_NS10device_ptrIlEEjNS0_19identity_decomposerEEE10hipError_tT1_T2_PT3_SG_jT4_jjP12ihipStream_tbEUlT_E0_NS1_11comp_targetILNS1_3genE10ELNS1_11target_archE1201ELNS1_3gpuE5ELNS1_3repE0EEENS1_52radix_sort_onesweep_histogram_config_static_selectorELNS0_4arch9wavefront6targetE1EEEvSE_,"axG",@progbits,_ZN7rocprim17ROCPRIM_400000_NS6detail17trampoline_kernelINS0_14default_configENS1_35radix_sort_onesweep_config_selectorIflEEZNS1_34radix_sort_onesweep_global_offsetsIS3_Lb0EPfN6thrust23THRUST_200600_302600_NS10device_ptrIlEEjNS0_19identity_decomposerEEE10hipError_tT1_T2_PT3_SG_jT4_jjP12ihipStream_tbEUlT_E0_NS1_11comp_targetILNS1_3genE10ELNS1_11target_archE1201ELNS1_3gpuE5ELNS1_3repE0EEENS1_52radix_sort_onesweep_histogram_config_static_selectorELNS0_4arch9wavefront6targetE1EEEvSE_,comdat
.Lfunc_end1831:
	.size	_ZN7rocprim17ROCPRIM_400000_NS6detail17trampoline_kernelINS0_14default_configENS1_35radix_sort_onesweep_config_selectorIflEEZNS1_34radix_sort_onesweep_global_offsetsIS3_Lb0EPfN6thrust23THRUST_200600_302600_NS10device_ptrIlEEjNS0_19identity_decomposerEEE10hipError_tT1_T2_PT3_SG_jT4_jjP12ihipStream_tbEUlT_E0_NS1_11comp_targetILNS1_3genE10ELNS1_11target_archE1201ELNS1_3gpuE5ELNS1_3repE0EEENS1_52radix_sort_onesweep_histogram_config_static_selectorELNS0_4arch9wavefront6targetE1EEEvSE_, .Lfunc_end1831-_ZN7rocprim17ROCPRIM_400000_NS6detail17trampoline_kernelINS0_14default_configENS1_35radix_sort_onesweep_config_selectorIflEEZNS1_34radix_sort_onesweep_global_offsetsIS3_Lb0EPfN6thrust23THRUST_200600_302600_NS10device_ptrIlEEjNS0_19identity_decomposerEEE10hipError_tT1_T2_PT3_SG_jT4_jjP12ihipStream_tbEUlT_E0_NS1_11comp_targetILNS1_3genE10ELNS1_11target_archE1201ELNS1_3gpuE5ELNS1_3repE0EEENS1_52radix_sort_onesweep_histogram_config_static_selectorELNS0_4arch9wavefront6targetE1EEEvSE_
                                        ; -- End function
	.set _ZN7rocprim17ROCPRIM_400000_NS6detail17trampoline_kernelINS0_14default_configENS1_35radix_sort_onesweep_config_selectorIflEEZNS1_34radix_sort_onesweep_global_offsetsIS3_Lb0EPfN6thrust23THRUST_200600_302600_NS10device_ptrIlEEjNS0_19identity_decomposerEEE10hipError_tT1_T2_PT3_SG_jT4_jjP12ihipStream_tbEUlT_E0_NS1_11comp_targetILNS1_3genE10ELNS1_11target_archE1201ELNS1_3gpuE5ELNS1_3repE0EEENS1_52radix_sort_onesweep_histogram_config_static_selectorELNS0_4arch9wavefront6targetE1EEEvSE_.num_vgpr, 0
	.set _ZN7rocprim17ROCPRIM_400000_NS6detail17trampoline_kernelINS0_14default_configENS1_35radix_sort_onesweep_config_selectorIflEEZNS1_34radix_sort_onesweep_global_offsetsIS3_Lb0EPfN6thrust23THRUST_200600_302600_NS10device_ptrIlEEjNS0_19identity_decomposerEEE10hipError_tT1_T2_PT3_SG_jT4_jjP12ihipStream_tbEUlT_E0_NS1_11comp_targetILNS1_3genE10ELNS1_11target_archE1201ELNS1_3gpuE5ELNS1_3repE0EEENS1_52radix_sort_onesweep_histogram_config_static_selectorELNS0_4arch9wavefront6targetE1EEEvSE_.num_agpr, 0
	.set _ZN7rocprim17ROCPRIM_400000_NS6detail17trampoline_kernelINS0_14default_configENS1_35radix_sort_onesweep_config_selectorIflEEZNS1_34radix_sort_onesweep_global_offsetsIS3_Lb0EPfN6thrust23THRUST_200600_302600_NS10device_ptrIlEEjNS0_19identity_decomposerEEE10hipError_tT1_T2_PT3_SG_jT4_jjP12ihipStream_tbEUlT_E0_NS1_11comp_targetILNS1_3genE10ELNS1_11target_archE1201ELNS1_3gpuE5ELNS1_3repE0EEENS1_52radix_sort_onesweep_histogram_config_static_selectorELNS0_4arch9wavefront6targetE1EEEvSE_.numbered_sgpr, 0
	.set _ZN7rocprim17ROCPRIM_400000_NS6detail17trampoline_kernelINS0_14default_configENS1_35radix_sort_onesweep_config_selectorIflEEZNS1_34radix_sort_onesweep_global_offsetsIS3_Lb0EPfN6thrust23THRUST_200600_302600_NS10device_ptrIlEEjNS0_19identity_decomposerEEE10hipError_tT1_T2_PT3_SG_jT4_jjP12ihipStream_tbEUlT_E0_NS1_11comp_targetILNS1_3genE10ELNS1_11target_archE1201ELNS1_3gpuE5ELNS1_3repE0EEENS1_52radix_sort_onesweep_histogram_config_static_selectorELNS0_4arch9wavefront6targetE1EEEvSE_.num_named_barrier, 0
	.set _ZN7rocprim17ROCPRIM_400000_NS6detail17trampoline_kernelINS0_14default_configENS1_35radix_sort_onesweep_config_selectorIflEEZNS1_34radix_sort_onesweep_global_offsetsIS3_Lb0EPfN6thrust23THRUST_200600_302600_NS10device_ptrIlEEjNS0_19identity_decomposerEEE10hipError_tT1_T2_PT3_SG_jT4_jjP12ihipStream_tbEUlT_E0_NS1_11comp_targetILNS1_3genE10ELNS1_11target_archE1201ELNS1_3gpuE5ELNS1_3repE0EEENS1_52radix_sort_onesweep_histogram_config_static_selectorELNS0_4arch9wavefront6targetE1EEEvSE_.private_seg_size, 0
	.set _ZN7rocprim17ROCPRIM_400000_NS6detail17trampoline_kernelINS0_14default_configENS1_35radix_sort_onesweep_config_selectorIflEEZNS1_34radix_sort_onesweep_global_offsetsIS3_Lb0EPfN6thrust23THRUST_200600_302600_NS10device_ptrIlEEjNS0_19identity_decomposerEEE10hipError_tT1_T2_PT3_SG_jT4_jjP12ihipStream_tbEUlT_E0_NS1_11comp_targetILNS1_3genE10ELNS1_11target_archE1201ELNS1_3gpuE5ELNS1_3repE0EEENS1_52radix_sort_onesweep_histogram_config_static_selectorELNS0_4arch9wavefront6targetE1EEEvSE_.uses_vcc, 0
	.set _ZN7rocprim17ROCPRIM_400000_NS6detail17trampoline_kernelINS0_14default_configENS1_35radix_sort_onesweep_config_selectorIflEEZNS1_34radix_sort_onesweep_global_offsetsIS3_Lb0EPfN6thrust23THRUST_200600_302600_NS10device_ptrIlEEjNS0_19identity_decomposerEEE10hipError_tT1_T2_PT3_SG_jT4_jjP12ihipStream_tbEUlT_E0_NS1_11comp_targetILNS1_3genE10ELNS1_11target_archE1201ELNS1_3gpuE5ELNS1_3repE0EEENS1_52radix_sort_onesweep_histogram_config_static_selectorELNS0_4arch9wavefront6targetE1EEEvSE_.uses_flat_scratch, 0
	.set _ZN7rocprim17ROCPRIM_400000_NS6detail17trampoline_kernelINS0_14default_configENS1_35radix_sort_onesweep_config_selectorIflEEZNS1_34radix_sort_onesweep_global_offsetsIS3_Lb0EPfN6thrust23THRUST_200600_302600_NS10device_ptrIlEEjNS0_19identity_decomposerEEE10hipError_tT1_T2_PT3_SG_jT4_jjP12ihipStream_tbEUlT_E0_NS1_11comp_targetILNS1_3genE10ELNS1_11target_archE1201ELNS1_3gpuE5ELNS1_3repE0EEENS1_52radix_sort_onesweep_histogram_config_static_selectorELNS0_4arch9wavefront6targetE1EEEvSE_.has_dyn_sized_stack, 0
	.set _ZN7rocprim17ROCPRIM_400000_NS6detail17trampoline_kernelINS0_14default_configENS1_35radix_sort_onesweep_config_selectorIflEEZNS1_34radix_sort_onesweep_global_offsetsIS3_Lb0EPfN6thrust23THRUST_200600_302600_NS10device_ptrIlEEjNS0_19identity_decomposerEEE10hipError_tT1_T2_PT3_SG_jT4_jjP12ihipStream_tbEUlT_E0_NS1_11comp_targetILNS1_3genE10ELNS1_11target_archE1201ELNS1_3gpuE5ELNS1_3repE0EEENS1_52radix_sort_onesweep_histogram_config_static_selectorELNS0_4arch9wavefront6targetE1EEEvSE_.has_recursion, 0
	.set _ZN7rocprim17ROCPRIM_400000_NS6detail17trampoline_kernelINS0_14default_configENS1_35radix_sort_onesweep_config_selectorIflEEZNS1_34radix_sort_onesweep_global_offsetsIS3_Lb0EPfN6thrust23THRUST_200600_302600_NS10device_ptrIlEEjNS0_19identity_decomposerEEE10hipError_tT1_T2_PT3_SG_jT4_jjP12ihipStream_tbEUlT_E0_NS1_11comp_targetILNS1_3genE10ELNS1_11target_archE1201ELNS1_3gpuE5ELNS1_3repE0EEENS1_52radix_sort_onesweep_histogram_config_static_selectorELNS0_4arch9wavefront6targetE1EEEvSE_.has_indirect_call, 0
	.section	.AMDGPU.csdata,"",@progbits
; Kernel info:
; codeLenInByte = 0
; TotalNumSgprs: 4
; NumVgprs: 0
; ScratchSize: 0
; MemoryBound: 0
; FloatMode: 240
; IeeeMode: 1
; LDSByteSize: 0 bytes/workgroup (compile time only)
; SGPRBlocks: 0
; VGPRBlocks: 0
; NumSGPRsForWavesPerEU: 4
; NumVGPRsForWavesPerEU: 1
; Occupancy: 10
; WaveLimiterHint : 0
; COMPUTE_PGM_RSRC2:SCRATCH_EN: 0
; COMPUTE_PGM_RSRC2:USER_SGPR: 6
; COMPUTE_PGM_RSRC2:TRAP_HANDLER: 0
; COMPUTE_PGM_RSRC2:TGID_X_EN: 1
; COMPUTE_PGM_RSRC2:TGID_Y_EN: 0
; COMPUTE_PGM_RSRC2:TGID_Z_EN: 0
; COMPUTE_PGM_RSRC2:TIDIG_COMP_CNT: 0
	.section	.text._ZN7rocprim17ROCPRIM_400000_NS6detail17trampoline_kernelINS0_14default_configENS1_35radix_sort_onesweep_config_selectorIflEEZNS1_34radix_sort_onesweep_global_offsetsIS3_Lb0EPfN6thrust23THRUST_200600_302600_NS10device_ptrIlEEjNS0_19identity_decomposerEEE10hipError_tT1_T2_PT3_SG_jT4_jjP12ihipStream_tbEUlT_E0_NS1_11comp_targetILNS1_3genE9ELNS1_11target_archE1100ELNS1_3gpuE3ELNS1_3repE0EEENS1_52radix_sort_onesweep_histogram_config_static_selectorELNS0_4arch9wavefront6targetE1EEEvSE_,"axG",@progbits,_ZN7rocprim17ROCPRIM_400000_NS6detail17trampoline_kernelINS0_14default_configENS1_35radix_sort_onesweep_config_selectorIflEEZNS1_34radix_sort_onesweep_global_offsetsIS3_Lb0EPfN6thrust23THRUST_200600_302600_NS10device_ptrIlEEjNS0_19identity_decomposerEEE10hipError_tT1_T2_PT3_SG_jT4_jjP12ihipStream_tbEUlT_E0_NS1_11comp_targetILNS1_3genE9ELNS1_11target_archE1100ELNS1_3gpuE3ELNS1_3repE0EEENS1_52radix_sort_onesweep_histogram_config_static_selectorELNS0_4arch9wavefront6targetE1EEEvSE_,comdat
	.protected	_ZN7rocprim17ROCPRIM_400000_NS6detail17trampoline_kernelINS0_14default_configENS1_35radix_sort_onesweep_config_selectorIflEEZNS1_34radix_sort_onesweep_global_offsetsIS3_Lb0EPfN6thrust23THRUST_200600_302600_NS10device_ptrIlEEjNS0_19identity_decomposerEEE10hipError_tT1_T2_PT3_SG_jT4_jjP12ihipStream_tbEUlT_E0_NS1_11comp_targetILNS1_3genE9ELNS1_11target_archE1100ELNS1_3gpuE3ELNS1_3repE0EEENS1_52radix_sort_onesweep_histogram_config_static_selectorELNS0_4arch9wavefront6targetE1EEEvSE_ ; -- Begin function _ZN7rocprim17ROCPRIM_400000_NS6detail17trampoline_kernelINS0_14default_configENS1_35radix_sort_onesweep_config_selectorIflEEZNS1_34radix_sort_onesweep_global_offsetsIS3_Lb0EPfN6thrust23THRUST_200600_302600_NS10device_ptrIlEEjNS0_19identity_decomposerEEE10hipError_tT1_T2_PT3_SG_jT4_jjP12ihipStream_tbEUlT_E0_NS1_11comp_targetILNS1_3genE9ELNS1_11target_archE1100ELNS1_3gpuE3ELNS1_3repE0EEENS1_52radix_sort_onesweep_histogram_config_static_selectorELNS0_4arch9wavefront6targetE1EEEvSE_
	.globl	_ZN7rocprim17ROCPRIM_400000_NS6detail17trampoline_kernelINS0_14default_configENS1_35radix_sort_onesweep_config_selectorIflEEZNS1_34radix_sort_onesweep_global_offsetsIS3_Lb0EPfN6thrust23THRUST_200600_302600_NS10device_ptrIlEEjNS0_19identity_decomposerEEE10hipError_tT1_T2_PT3_SG_jT4_jjP12ihipStream_tbEUlT_E0_NS1_11comp_targetILNS1_3genE9ELNS1_11target_archE1100ELNS1_3gpuE3ELNS1_3repE0EEENS1_52radix_sort_onesweep_histogram_config_static_selectorELNS0_4arch9wavefront6targetE1EEEvSE_
	.p2align	8
	.type	_ZN7rocprim17ROCPRIM_400000_NS6detail17trampoline_kernelINS0_14default_configENS1_35radix_sort_onesweep_config_selectorIflEEZNS1_34radix_sort_onesweep_global_offsetsIS3_Lb0EPfN6thrust23THRUST_200600_302600_NS10device_ptrIlEEjNS0_19identity_decomposerEEE10hipError_tT1_T2_PT3_SG_jT4_jjP12ihipStream_tbEUlT_E0_NS1_11comp_targetILNS1_3genE9ELNS1_11target_archE1100ELNS1_3gpuE3ELNS1_3repE0EEENS1_52radix_sort_onesweep_histogram_config_static_selectorELNS0_4arch9wavefront6targetE1EEEvSE_,@function
_ZN7rocprim17ROCPRIM_400000_NS6detail17trampoline_kernelINS0_14default_configENS1_35radix_sort_onesweep_config_selectorIflEEZNS1_34radix_sort_onesweep_global_offsetsIS3_Lb0EPfN6thrust23THRUST_200600_302600_NS10device_ptrIlEEjNS0_19identity_decomposerEEE10hipError_tT1_T2_PT3_SG_jT4_jjP12ihipStream_tbEUlT_E0_NS1_11comp_targetILNS1_3genE9ELNS1_11target_archE1100ELNS1_3gpuE3ELNS1_3repE0EEENS1_52radix_sort_onesweep_histogram_config_static_selectorELNS0_4arch9wavefront6targetE1EEEvSE_: ; @_ZN7rocprim17ROCPRIM_400000_NS6detail17trampoline_kernelINS0_14default_configENS1_35radix_sort_onesweep_config_selectorIflEEZNS1_34radix_sort_onesweep_global_offsetsIS3_Lb0EPfN6thrust23THRUST_200600_302600_NS10device_ptrIlEEjNS0_19identity_decomposerEEE10hipError_tT1_T2_PT3_SG_jT4_jjP12ihipStream_tbEUlT_E0_NS1_11comp_targetILNS1_3genE9ELNS1_11target_archE1100ELNS1_3gpuE3ELNS1_3repE0EEENS1_52radix_sort_onesweep_histogram_config_static_selectorELNS0_4arch9wavefront6targetE1EEEvSE_
; %bb.0:
	.section	.rodata,"a",@progbits
	.p2align	6, 0x0
	.amdhsa_kernel _ZN7rocprim17ROCPRIM_400000_NS6detail17trampoline_kernelINS0_14default_configENS1_35radix_sort_onesweep_config_selectorIflEEZNS1_34radix_sort_onesweep_global_offsetsIS3_Lb0EPfN6thrust23THRUST_200600_302600_NS10device_ptrIlEEjNS0_19identity_decomposerEEE10hipError_tT1_T2_PT3_SG_jT4_jjP12ihipStream_tbEUlT_E0_NS1_11comp_targetILNS1_3genE9ELNS1_11target_archE1100ELNS1_3gpuE3ELNS1_3repE0EEENS1_52radix_sort_onesweep_histogram_config_static_selectorELNS0_4arch9wavefront6targetE1EEEvSE_
		.amdhsa_group_segment_fixed_size 0
		.amdhsa_private_segment_fixed_size 0
		.amdhsa_kernarg_size 8
		.amdhsa_user_sgpr_count 6
		.amdhsa_user_sgpr_private_segment_buffer 1
		.amdhsa_user_sgpr_dispatch_ptr 0
		.amdhsa_user_sgpr_queue_ptr 0
		.amdhsa_user_sgpr_kernarg_segment_ptr 1
		.amdhsa_user_sgpr_dispatch_id 0
		.amdhsa_user_sgpr_flat_scratch_init 0
		.amdhsa_user_sgpr_private_segment_size 0
		.amdhsa_uses_dynamic_stack 0
		.amdhsa_system_sgpr_private_segment_wavefront_offset 0
		.amdhsa_system_sgpr_workgroup_id_x 1
		.amdhsa_system_sgpr_workgroup_id_y 0
		.amdhsa_system_sgpr_workgroup_id_z 0
		.amdhsa_system_sgpr_workgroup_info 0
		.amdhsa_system_vgpr_workitem_id 0
		.amdhsa_next_free_vgpr 1
		.amdhsa_next_free_sgpr 0
		.amdhsa_reserve_vcc 0
		.amdhsa_reserve_flat_scratch 0
		.amdhsa_float_round_mode_32 0
		.amdhsa_float_round_mode_16_64 0
		.amdhsa_float_denorm_mode_32 3
		.amdhsa_float_denorm_mode_16_64 3
		.amdhsa_dx10_clamp 1
		.amdhsa_ieee_mode 1
		.amdhsa_fp16_overflow 0
		.amdhsa_exception_fp_ieee_invalid_op 0
		.amdhsa_exception_fp_denorm_src 0
		.amdhsa_exception_fp_ieee_div_zero 0
		.amdhsa_exception_fp_ieee_overflow 0
		.amdhsa_exception_fp_ieee_underflow 0
		.amdhsa_exception_fp_ieee_inexact 0
		.amdhsa_exception_int_div_zero 0
	.end_amdhsa_kernel
	.section	.text._ZN7rocprim17ROCPRIM_400000_NS6detail17trampoline_kernelINS0_14default_configENS1_35radix_sort_onesweep_config_selectorIflEEZNS1_34radix_sort_onesweep_global_offsetsIS3_Lb0EPfN6thrust23THRUST_200600_302600_NS10device_ptrIlEEjNS0_19identity_decomposerEEE10hipError_tT1_T2_PT3_SG_jT4_jjP12ihipStream_tbEUlT_E0_NS1_11comp_targetILNS1_3genE9ELNS1_11target_archE1100ELNS1_3gpuE3ELNS1_3repE0EEENS1_52radix_sort_onesweep_histogram_config_static_selectorELNS0_4arch9wavefront6targetE1EEEvSE_,"axG",@progbits,_ZN7rocprim17ROCPRIM_400000_NS6detail17trampoline_kernelINS0_14default_configENS1_35radix_sort_onesweep_config_selectorIflEEZNS1_34radix_sort_onesweep_global_offsetsIS3_Lb0EPfN6thrust23THRUST_200600_302600_NS10device_ptrIlEEjNS0_19identity_decomposerEEE10hipError_tT1_T2_PT3_SG_jT4_jjP12ihipStream_tbEUlT_E0_NS1_11comp_targetILNS1_3genE9ELNS1_11target_archE1100ELNS1_3gpuE3ELNS1_3repE0EEENS1_52radix_sort_onesweep_histogram_config_static_selectorELNS0_4arch9wavefront6targetE1EEEvSE_,comdat
.Lfunc_end1832:
	.size	_ZN7rocprim17ROCPRIM_400000_NS6detail17trampoline_kernelINS0_14default_configENS1_35radix_sort_onesweep_config_selectorIflEEZNS1_34radix_sort_onesweep_global_offsetsIS3_Lb0EPfN6thrust23THRUST_200600_302600_NS10device_ptrIlEEjNS0_19identity_decomposerEEE10hipError_tT1_T2_PT3_SG_jT4_jjP12ihipStream_tbEUlT_E0_NS1_11comp_targetILNS1_3genE9ELNS1_11target_archE1100ELNS1_3gpuE3ELNS1_3repE0EEENS1_52radix_sort_onesweep_histogram_config_static_selectorELNS0_4arch9wavefront6targetE1EEEvSE_, .Lfunc_end1832-_ZN7rocprim17ROCPRIM_400000_NS6detail17trampoline_kernelINS0_14default_configENS1_35radix_sort_onesweep_config_selectorIflEEZNS1_34radix_sort_onesweep_global_offsetsIS3_Lb0EPfN6thrust23THRUST_200600_302600_NS10device_ptrIlEEjNS0_19identity_decomposerEEE10hipError_tT1_T2_PT3_SG_jT4_jjP12ihipStream_tbEUlT_E0_NS1_11comp_targetILNS1_3genE9ELNS1_11target_archE1100ELNS1_3gpuE3ELNS1_3repE0EEENS1_52radix_sort_onesweep_histogram_config_static_selectorELNS0_4arch9wavefront6targetE1EEEvSE_
                                        ; -- End function
	.set _ZN7rocprim17ROCPRIM_400000_NS6detail17trampoline_kernelINS0_14default_configENS1_35radix_sort_onesweep_config_selectorIflEEZNS1_34radix_sort_onesweep_global_offsetsIS3_Lb0EPfN6thrust23THRUST_200600_302600_NS10device_ptrIlEEjNS0_19identity_decomposerEEE10hipError_tT1_T2_PT3_SG_jT4_jjP12ihipStream_tbEUlT_E0_NS1_11comp_targetILNS1_3genE9ELNS1_11target_archE1100ELNS1_3gpuE3ELNS1_3repE0EEENS1_52radix_sort_onesweep_histogram_config_static_selectorELNS0_4arch9wavefront6targetE1EEEvSE_.num_vgpr, 0
	.set _ZN7rocprim17ROCPRIM_400000_NS6detail17trampoline_kernelINS0_14default_configENS1_35radix_sort_onesweep_config_selectorIflEEZNS1_34radix_sort_onesweep_global_offsetsIS3_Lb0EPfN6thrust23THRUST_200600_302600_NS10device_ptrIlEEjNS0_19identity_decomposerEEE10hipError_tT1_T2_PT3_SG_jT4_jjP12ihipStream_tbEUlT_E0_NS1_11comp_targetILNS1_3genE9ELNS1_11target_archE1100ELNS1_3gpuE3ELNS1_3repE0EEENS1_52radix_sort_onesweep_histogram_config_static_selectorELNS0_4arch9wavefront6targetE1EEEvSE_.num_agpr, 0
	.set _ZN7rocprim17ROCPRIM_400000_NS6detail17trampoline_kernelINS0_14default_configENS1_35radix_sort_onesweep_config_selectorIflEEZNS1_34radix_sort_onesweep_global_offsetsIS3_Lb0EPfN6thrust23THRUST_200600_302600_NS10device_ptrIlEEjNS0_19identity_decomposerEEE10hipError_tT1_T2_PT3_SG_jT4_jjP12ihipStream_tbEUlT_E0_NS1_11comp_targetILNS1_3genE9ELNS1_11target_archE1100ELNS1_3gpuE3ELNS1_3repE0EEENS1_52radix_sort_onesweep_histogram_config_static_selectorELNS0_4arch9wavefront6targetE1EEEvSE_.numbered_sgpr, 0
	.set _ZN7rocprim17ROCPRIM_400000_NS6detail17trampoline_kernelINS0_14default_configENS1_35radix_sort_onesweep_config_selectorIflEEZNS1_34radix_sort_onesweep_global_offsetsIS3_Lb0EPfN6thrust23THRUST_200600_302600_NS10device_ptrIlEEjNS0_19identity_decomposerEEE10hipError_tT1_T2_PT3_SG_jT4_jjP12ihipStream_tbEUlT_E0_NS1_11comp_targetILNS1_3genE9ELNS1_11target_archE1100ELNS1_3gpuE3ELNS1_3repE0EEENS1_52radix_sort_onesweep_histogram_config_static_selectorELNS0_4arch9wavefront6targetE1EEEvSE_.num_named_barrier, 0
	.set _ZN7rocprim17ROCPRIM_400000_NS6detail17trampoline_kernelINS0_14default_configENS1_35radix_sort_onesweep_config_selectorIflEEZNS1_34radix_sort_onesweep_global_offsetsIS3_Lb0EPfN6thrust23THRUST_200600_302600_NS10device_ptrIlEEjNS0_19identity_decomposerEEE10hipError_tT1_T2_PT3_SG_jT4_jjP12ihipStream_tbEUlT_E0_NS1_11comp_targetILNS1_3genE9ELNS1_11target_archE1100ELNS1_3gpuE3ELNS1_3repE0EEENS1_52radix_sort_onesweep_histogram_config_static_selectorELNS0_4arch9wavefront6targetE1EEEvSE_.private_seg_size, 0
	.set _ZN7rocprim17ROCPRIM_400000_NS6detail17trampoline_kernelINS0_14default_configENS1_35radix_sort_onesweep_config_selectorIflEEZNS1_34radix_sort_onesweep_global_offsetsIS3_Lb0EPfN6thrust23THRUST_200600_302600_NS10device_ptrIlEEjNS0_19identity_decomposerEEE10hipError_tT1_T2_PT3_SG_jT4_jjP12ihipStream_tbEUlT_E0_NS1_11comp_targetILNS1_3genE9ELNS1_11target_archE1100ELNS1_3gpuE3ELNS1_3repE0EEENS1_52radix_sort_onesweep_histogram_config_static_selectorELNS0_4arch9wavefront6targetE1EEEvSE_.uses_vcc, 0
	.set _ZN7rocprim17ROCPRIM_400000_NS6detail17trampoline_kernelINS0_14default_configENS1_35radix_sort_onesweep_config_selectorIflEEZNS1_34radix_sort_onesweep_global_offsetsIS3_Lb0EPfN6thrust23THRUST_200600_302600_NS10device_ptrIlEEjNS0_19identity_decomposerEEE10hipError_tT1_T2_PT3_SG_jT4_jjP12ihipStream_tbEUlT_E0_NS1_11comp_targetILNS1_3genE9ELNS1_11target_archE1100ELNS1_3gpuE3ELNS1_3repE0EEENS1_52radix_sort_onesweep_histogram_config_static_selectorELNS0_4arch9wavefront6targetE1EEEvSE_.uses_flat_scratch, 0
	.set _ZN7rocprim17ROCPRIM_400000_NS6detail17trampoline_kernelINS0_14default_configENS1_35radix_sort_onesweep_config_selectorIflEEZNS1_34radix_sort_onesweep_global_offsetsIS3_Lb0EPfN6thrust23THRUST_200600_302600_NS10device_ptrIlEEjNS0_19identity_decomposerEEE10hipError_tT1_T2_PT3_SG_jT4_jjP12ihipStream_tbEUlT_E0_NS1_11comp_targetILNS1_3genE9ELNS1_11target_archE1100ELNS1_3gpuE3ELNS1_3repE0EEENS1_52radix_sort_onesweep_histogram_config_static_selectorELNS0_4arch9wavefront6targetE1EEEvSE_.has_dyn_sized_stack, 0
	.set _ZN7rocprim17ROCPRIM_400000_NS6detail17trampoline_kernelINS0_14default_configENS1_35radix_sort_onesweep_config_selectorIflEEZNS1_34radix_sort_onesweep_global_offsetsIS3_Lb0EPfN6thrust23THRUST_200600_302600_NS10device_ptrIlEEjNS0_19identity_decomposerEEE10hipError_tT1_T2_PT3_SG_jT4_jjP12ihipStream_tbEUlT_E0_NS1_11comp_targetILNS1_3genE9ELNS1_11target_archE1100ELNS1_3gpuE3ELNS1_3repE0EEENS1_52radix_sort_onesweep_histogram_config_static_selectorELNS0_4arch9wavefront6targetE1EEEvSE_.has_recursion, 0
	.set _ZN7rocprim17ROCPRIM_400000_NS6detail17trampoline_kernelINS0_14default_configENS1_35radix_sort_onesweep_config_selectorIflEEZNS1_34radix_sort_onesweep_global_offsetsIS3_Lb0EPfN6thrust23THRUST_200600_302600_NS10device_ptrIlEEjNS0_19identity_decomposerEEE10hipError_tT1_T2_PT3_SG_jT4_jjP12ihipStream_tbEUlT_E0_NS1_11comp_targetILNS1_3genE9ELNS1_11target_archE1100ELNS1_3gpuE3ELNS1_3repE0EEENS1_52radix_sort_onesweep_histogram_config_static_selectorELNS0_4arch9wavefront6targetE1EEEvSE_.has_indirect_call, 0
	.section	.AMDGPU.csdata,"",@progbits
; Kernel info:
; codeLenInByte = 0
; TotalNumSgprs: 4
; NumVgprs: 0
; ScratchSize: 0
; MemoryBound: 0
; FloatMode: 240
; IeeeMode: 1
; LDSByteSize: 0 bytes/workgroup (compile time only)
; SGPRBlocks: 0
; VGPRBlocks: 0
; NumSGPRsForWavesPerEU: 4
; NumVGPRsForWavesPerEU: 1
; Occupancy: 10
; WaveLimiterHint : 0
; COMPUTE_PGM_RSRC2:SCRATCH_EN: 0
; COMPUTE_PGM_RSRC2:USER_SGPR: 6
; COMPUTE_PGM_RSRC2:TRAP_HANDLER: 0
; COMPUTE_PGM_RSRC2:TGID_X_EN: 1
; COMPUTE_PGM_RSRC2:TGID_Y_EN: 0
; COMPUTE_PGM_RSRC2:TGID_Z_EN: 0
; COMPUTE_PGM_RSRC2:TIDIG_COMP_CNT: 0
	.section	.text._ZN7rocprim17ROCPRIM_400000_NS6detail17trampoline_kernelINS0_14default_configENS1_35radix_sort_onesweep_config_selectorIflEEZNS1_34radix_sort_onesweep_global_offsetsIS3_Lb0EPfN6thrust23THRUST_200600_302600_NS10device_ptrIlEEjNS0_19identity_decomposerEEE10hipError_tT1_T2_PT3_SG_jT4_jjP12ihipStream_tbEUlT_E0_NS1_11comp_targetILNS1_3genE8ELNS1_11target_archE1030ELNS1_3gpuE2ELNS1_3repE0EEENS1_52radix_sort_onesweep_histogram_config_static_selectorELNS0_4arch9wavefront6targetE1EEEvSE_,"axG",@progbits,_ZN7rocprim17ROCPRIM_400000_NS6detail17trampoline_kernelINS0_14default_configENS1_35radix_sort_onesweep_config_selectorIflEEZNS1_34radix_sort_onesweep_global_offsetsIS3_Lb0EPfN6thrust23THRUST_200600_302600_NS10device_ptrIlEEjNS0_19identity_decomposerEEE10hipError_tT1_T2_PT3_SG_jT4_jjP12ihipStream_tbEUlT_E0_NS1_11comp_targetILNS1_3genE8ELNS1_11target_archE1030ELNS1_3gpuE2ELNS1_3repE0EEENS1_52radix_sort_onesweep_histogram_config_static_selectorELNS0_4arch9wavefront6targetE1EEEvSE_,comdat
	.protected	_ZN7rocprim17ROCPRIM_400000_NS6detail17trampoline_kernelINS0_14default_configENS1_35radix_sort_onesweep_config_selectorIflEEZNS1_34radix_sort_onesweep_global_offsetsIS3_Lb0EPfN6thrust23THRUST_200600_302600_NS10device_ptrIlEEjNS0_19identity_decomposerEEE10hipError_tT1_T2_PT3_SG_jT4_jjP12ihipStream_tbEUlT_E0_NS1_11comp_targetILNS1_3genE8ELNS1_11target_archE1030ELNS1_3gpuE2ELNS1_3repE0EEENS1_52radix_sort_onesweep_histogram_config_static_selectorELNS0_4arch9wavefront6targetE1EEEvSE_ ; -- Begin function _ZN7rocprim17ROCPRIM_400000_NS6detail17trampoline_kernelINS0_14default_configENS1_35radix_sort_onesweep_config_selectorIflEEZNS1_34radix_sort_onesweep_global_offsetsIS3_Lb0EPfN6thrust23THRUST_200600_302600_NS10device_ptrIlEEjNS0_19identity_decomposerEEE10hipError_tT1_T2_PT3_SG_jT4_jjP12ihipStream_tbEUlT_E0_NS1_11comp_targetILNS1_3genE8ELNS1_11target_archE1030ELNS1_3gpuE2ELNS1_3repE0EEENS1_52radix_sort_onesweep_histogram_config_static_selectorELNS0_4arch9wavefront6targetE1EEEvSE_
	.globl	_ZN7rocprim17ROCPRIM_400000_NS6detail17trampoline_kernelINS0_14default_configENS1_35radix_sort_onesweep_config_selectorIflEEZNS1_34radix_sort_onesweep_global_offsetsIS3_Lb0EPfN6thrust23THRUST_200600_302600_NS10device_ptrIlEEjNS0_19identity_decomposerEEE10hipError_tT1_T2_PT3_SG_jT4_jjP12ihipStream_tbEUlT_E0_NS1_11comp_targetILNS1_3genE8ELNS1_11target_archE1030ELNS1_3gpuE2ELNS1_3repE0EEENS1_52radix_sort_onesweep_histogram_config_static_selectorELNS0_4arch9wavefront6targetE1EEEvSE_
	.p2align	8
	.type	_ZN7rocprim17ROCPRIM_400000_NS6detail17trampoline_kernelINS0_14default_configENS1_35radix_sort_onesweep_config_selectorIflEEZNS1_34radix_sort_onesweep_global_offsetsIS3_Lb0EPfN6thrust23THRUST_200600_302600_NS10device_ptrIlEEjNS0_19identity_decomposerEEE10hipError_tT1_T2_PT3_SG_jT4_jjP12ihipStream_tbEUlT_E0_NS1_11comp_targetILNS1_3genE8ELNS1_11target_archE1030ELNS1_3gpuE2ELNS1_3repE0EEENS1_52radix_sort_onesweep_histogram_config_static_selectorELNS0_4arch9wavefront6targetE1EEEvSE_,@function
_ZN7rocprim17ROCPRIM_400000_NS6detail17trampoline_kernelINS0_14default_configENS1_35radix_sort_onesweep_config_selectorIflEEZNS1_34radix_sort_onesweep_global_offsetsIS3_Lb0EPfN6thrust23THRUST_200600_302600_NS10device_ptrIlEEjNS0_19identity_decomposerEEE10hipError_tT1_T2_PT3_SG_jT4_jjP12ihipStream_tbEUlT_E0_NS1_11comp_targetILNS1_3genE8ELNS1_11target_archE1030ELNS1_3gpuE2ELNS1_3repE0EEENS1_52radix_sort_onesweep_histogram_config_static_selectorELNS0_4arch9wavefront6targetE1EEEvSE_: ; @_ZN7rocprim17ROCPRIM_400000_NS6detail17trampoline_kernelINS0_14default_configENS1_35radix_sort_onesweep_config_selectorIflEEZNS1_34radix_sort_onesweep_global_offsetsIS3_Lb0EPfN6thrust23THRUST_200600_302600_NS10device_ptrIlEEjNS0_19identity_decomposerEEE10hipError_tT1_T2_PT3_SG_jT4_jjP12ihipStream_tbEUlT_E0_NS1_11comp_targetILNS1_3genE8ELNS1_11target_archE1030ELNS1_3gpuE2ELNS1_3repE0EEENS1_52radix_sort_onesweep_histogram_config_static_selectorELNS0_4arch9wavefront6targetE1EEEvSE_
; %bb.0:
	.section	.rodata,"a",@progbits
	.p2align	6, 0x0
	.amdhsa_kernel _ZN7rocprim17ROCPRIM_400000_NS6detail17trampoline_kernelINS0_14default_configENS1_35radix_sort_onesweep_config_selectorIflEEZNS1_34radix_sort_onesweep_global_offsetsIS3_Lb0EPfN6thrust23THRUST_200600_302600_NS10device_ptrIlEEjNS0_19identity_decomposerEEE10hipError_tT1_T2_PT3_SG_jT4_jjP12ihipStream_tbEUlT_E0_NS1_11comp_targetILNS1_3genE8ELNS1_11target_archE1030ELNS1_3gpuE2ELNS1_3repE0EEENS1_52radix_sort_onesweep_histogram_config_static_selectorELNS0_4arch9wavefront6targetE1EEEvSE_
		.amdhsa_group_segment_fixed_size 0
		.amdhsa_private_segment_fixed_size 0
		.amdhsa_kernarg_size 8
		.amdhsa_user_sgpr_count 6
		.amdhsa_user_sgpr_private_segment_buffer 1
		.amdhsa_user_sgpr_dispatch_ptr 0
		.amdhsa_user_sgpr_queue_ptr 0
		.amdhsa_user_sgpr_kernarg_segment_ptr 1
		.amdhsa_user_sgpr_dispatch_id 0
		.amdhsa_user_sgpr_flat_scratch_init 0
		.amdhsa_user_sgpr_private_segment_size 0
		.amdhsa_uses_dynamic_stack 0
		.amdhsa_system_sgpr_private_segment_wavefront_offset 0
		.amdhsa_system_sgpr_workgroup_id_x 1
		.amdhsa_system_sgpr_workgroup_id_y 0
		.amdhsa_system_sgpr_workgroup_id_z 0
		.amdhsa_system_sgpr_workgroup_info 0
		.amdhsa_system_vgpr_workitem_id 0
		.amdhsa_next_free_vgpr 1
		.amdhsa_next_free_sgpr 0
		.amdhsa_reserve_vcc 0
		.amdhsa_reserve_flat_scratch 0
		.amdhsa_float_round_mode_32 0
		.amdhsa_float_round_mode_16_64 0
		.amdhsa_float_denorm_mode_32 3
		.amdhsa_float_denorm_mode_16_64 3
		.amdhsa_dx10_clamp 1
		.amdhsa_ieee_mode 1
		.amdhsa_fp16_overflow 0
		.amdhsa_exception_fp_ieee_invalid_op 0
		.amdhsa_exception_fp_denorm_src 0
		.amdhsa_exception_fp_ieee_div_zero 0
		.amdhsa_exception_fp_ieee_overflow 0
		.amdhsa_exception_fp_ieee_underflow 0
		.amdhsa_exception_fp_ieee_inexact 0
		.amdhsa_exception_int_div_zero 0
	.end_amdhsa_kernel
	.section	.text._ZN7rocprim17ROCPRIM_400000_NS6detail17trampoline_kernelINS0_14default_configENS1_35radix_sort_onesweep_config_selectorIflEEZNS1_34radix_sort_onesweep_global_offsetsIS3_Lb0EPfN6thrust23THRUST_200600_302600_NS10device_ptrIlEEjNS0_19identity_decomposerEEE10hipError_tT1_T2_PT3_SG_jT4_jjP12ihipStream_tbEUlT_E0_NS1_11comp_targetILNS1_3genE8ELNS1_11target_archE1030ELNS1_3gpuE2ELNS1_3repE0EEENS1_52radix_sort_onesweep_histogram_config_static_selectorELNS0_4arch9wavefront6targetE1EEEvSE_,"axG",@progbits,_ZN7rocprim17ROCPRIM_400000_NS6detail17trampoline_kernelINS0_14default_configENS1_35radix_sort_onesweep_config_selectorIflEEZNS1_34radix_sort_onesweep_global_offsetsIS3_Lb0EPfN6thrust23THRUST_200600_302600_NS10device_ptrIlEEjNS0_19identity_decomposerEEE10hipError_tT1_T2_PT3_SG_jT4_jjP12ihipStream_tbEUlT_E0_NS1_11comp_targetILNS1_3genE8ELNS1_11target_archE1030ELNS1_3gpuE2ELNS1_3repE0EEENS1_52radix_sort_onesweep_histogram_config_static_selectorELNS0_4arch9wavefront6targetE1EEEvSE_,comdat
.Lfunc_end1833:
	.size	_ZN7rocprim17ROCPRIM_400000_NS6detail17trampoline_kernelINS0_14default_configENS1_35radix_sort_onesweep_config_selectorIflEEZNS1_34radix_sort_onesweep_global_offsetsIS3_Lb0EPfN6thrust23THRUST_200600_302600_NS10device_ptrIlEEjNS0_19identity_decomposerEEE10hipError_tT1_T2_PT3_SG_jT4_jjP12ihipStream_tbEUlT_E0_NS1_11comp_targetILNS1_3genE8ELNS1_11target_archE1030ELNS1_3gpuE2ELNS1_3repE0EEENS1_52radix_sort_onesweep_histogram_config_static_selectorELNS0_4arch9wavefront6targetE1EEEvSE_, .Lfunc_end1833-_ZN7rocprim17ROCPRIM_400000_NS6detail17trampoline_kernelINS0_14default_configENS1_35radix_sort_onesweep_config_selectorIflEEZNS1_34radix_sort_onesweep_global_offsetsIS3_Lb0EPfN6thrust23THRUST_200600_302600_NS10device_ptrIlEEjNS0_19identity_decomposerEEE10hipError_tT1_T2_PT3_SG_jT4_jjP12ihipStream_tbEUlT_E0_NS1_11comp_targetILNS1_3genE8ELNS1_11target_archE1030ELNS1_3gpuE2ELNS1_3repE0EEENS1_52radix_sort_onesweep_histogram_config_static_selectorELNS0_4arch9wavefront6targetE1EEEvSE_
                                        ; -- End function
	.set _ZN7rocprim17ROCPRIM_400000_NS6detail17trampoline_kernelINS0_14default_configENS1_35radix_sort_onesweep_config_selectorIflEEZNS1_34radix_sort_onesweep_global_offsetsIS3_Lb0EPfN6thrust23THRUST_200600_302600_NS10device_ptrIlEEjNS0_19identity_decomposerEEE10hipError_tT1_T2_PT3_SG_jT4_jjP12ihipStream_tbEUlT_E0_NS1_11comp_targetILNS1_3genE8ELNS1_11target_archE1030ELNS1_3gpuE2ELNS1_3repE0EEENS1_52radix_sort_onesweep_histogram_config_static_selectorELNS0_4arch9wavefront6targetE1EEEvSE_.num_vgpr, 0
	.set _ZN7rocprim17ROCPRIM_400000_NS6detail17trampoline_kernelINS0_14default_configENS1_35radix_sort_onesweep_config_selectorIflEEZNS1_34radix_sort_onesweep_global_offsetsIS3_Lb0EPfN6thrust23THRUST_200600_302600_NS10device_ptrIlEEjNS0_19identity_decomposerEEE10hipError_tT1_T2_PT3_SG_jT4_jjP12ihipStream_tbEUlT_E0_NS1_11comp_targetILNS1_3genE8ELNS1_11target_archE1030ELNS1_3gpuE2ELNS1_3repE0EEENS1_52radix_sort_onesweep_histogram_config_static_selectorELNS0_4arch9wavefront6targetE1EEEvSE_.num_agpr, 0
	.set _ZN7rocprim17ROCPRIM_400000_NS6detail17trampoline_kernelINS0_14default_configENS1_35radix_sort_onesweep_config_selectorIflEEZNS1_34radix_sort_onesweep_global_offsetsIS3_Lb0EPfN6thrust23THRUST_200600_302600_NS10device_ptrIlEEjNS0_19identity_decomposerEEE10hipError_tT1_T2_PT3_SG_jT4_jjP12ihipStream_tbEUlT_E0_NS1_11comp_targetILNS1_3genE8ELNS1_11target_archE1030ELNS1_3gpuE2ELNS1_3repE0EEENS1_52radix_sort_onesweep_histogram_config_static_selectorELNS0_4arch9wavefront6targetE1EEEvSE_.numbered_sgpr, 0
	.set _ZN7rocprim17ROCPRIM_400000_NS6detail17trampoline_kernelINS0_14default_configENS1_35radix_sort_onesweep_config_selectorIflEEZNS1_34radix_sort_onesweep_global_offsetsIS3_Lb0EPfN6thrust23THRUST_200600_302600_NS10device_ptrIlEEjNS0_19identity_decomposerEEE10hipError_tT1_T2_PT3_SG_jT4_jjP12ihipStream_tbEUlT_E0_NS1_11comp_targetILNS1_3genE8ELNS1_11target_archE1030ELNS1_3gpuE2ELNS1_3repE0EEENS1_52radix_sort_onesweep_histogram_config_static_selectorELNS0_4arch9wavefront6targetE1EEEvSE_.num_named_barrier, 0
	.set _ZN7rocprim17ROCPRIM_400000_NS6detail17trampoline_kernelINS0_14default_configENS1_35radix_sort_onesweep_config_selectorIflEEZNS1_34radix_sort_onesweep_global_offsetsIS3_Lb0EPfN6thrust23THRUST_200600_302600_NS10device_ptrIlEEjNS0_19identity_decomposerEEE10hipError_tT1_T2_PT3_SG_jT4_jjP12ihipStream_tbEUlT_E0_NS1_11comp_targetILNS1_3genE8ELNS1_11target_archE1030ELNS1_3gpuE2ELNS1_3repE0EEENS1_52radix_sort_onesweep_histogram_config_static_selectorELNS0_4arch9wavefront6targetE1EEEvSE_.private_seg_size, 0
	.set _ZN7rocprim17ROCPRIM_400000_NS6detail17trampoline_kernelINS0_14default_configENS1_35radix_sort_onesweep_config_selectorIflEEZNS1_34radix_sort_onesweep_global_offsetsIS3_Lb0EPfN6thrust23THRUST_200600_302600_NS10device_ptrIlEEjNS0_19identity_decomposerEEE10hipError_tT1_T2_PT3_SG_jT4_jjP12ihipStream_tbEUlT_E0_NS1_11comp_targetILNS1_3genE8ELNS1_11target_archE1030ELNS1_3gpuE2ELNS1_3repE0EEENS1_52radix_sort_onesweep_histogram_config_static_selectorELNS0_4arch9wavefront6targetE1EEEvSE_.uses_vcc, 0
	.set _ZN7rocprim17ROCPRIM_400000_NS6detail17trampoline_kernelINS0_14default_configENS1_35radix_sort_onesweep_config_selectorIflEEZNS1_34radix_sort_onesweep_global_offsetsIS3_Lb0EPfN6thrust23THRUST_200600_302600_NS10device_ptrIlEEjNS0_19identity_decomposerEEE10hipError_tT1_T2_PT3_SG_jT4_jjP12ihipStream_tbEUlT_E0_NS1_11comp_targetILNS1_3genE8ELNS1_11target_archE1030ELNS1_3gpuE2ELNS1_3repE0EEENS1_52radix_sort_onesweep_histogram_config_static_selectorELNS0_4arch9wavefront6targetE1EEEvSE_.uses_flat_scratch, 0
	.set _ZN7rocprim17ROCPRIM_400000_NS6detail17trampoline_kernelINS0_14default_configENS1_35radix_sort_onesweep_config_selectorIflEEZNS1_34radix_sort_onesweep_global_offsetsIS3_Lb0EPfN6thrust23THRUST_200600_302600_NS10device_ptrIlEEjNS0_19identity_decomposerEEE10hipError_tT1_T2_PT3_SG_jT4_jjP12ihipStream_tbEUlT_E0_NS1_11comp_targetILNS1_3genE8ELNS1_11target_archE1030ELNS1_3gpuE2ELNS1_3repE0EEENS1_52radix_sort_onesweep_histogram_config_static_selectorELNS0_4arch9wavefront6targetE1EEEvSE_.has_dyn_sized_stack, 0
	.set _ZN7rocprim17ROCPRIM_400000_NS6detail17trampoline_kernelINS0_14default_configENS1_35radix_sort_onesweep_config_selectorIflEEZNS1_34radix_sort_onesweep_global_offsetsIS3_Lb0EPfN6thrust23THRUST_200600_302600_NS10device_ptrIlEEjNS0_19identity_decomposerEEE10hipError_tT1_T2_PT3_SG_jT4_jjP12ihipStream_tbEUlT_E0_NS1_11comp_targetILNS1_3genE8ELNS1_11target_archE1030ELNS1_3gpuE2ELNS1_3repE0EEENS1_52radix_sort_onesweep_histogram_config_static_selectorELNS0_4arch9wavefront6targetE1EEEvSE_.has_recursion, 0
	.set _ZN7rocprim17ROCPRIM_400000_NS6detail17trampoline_kernelINS0_14default_configENS1_35radix_sort_onesweep_config_selectorIflEEZNS1_34radix_sort_onesweep_global_offsetsIS3_Lb0EPfN6thrust23THRUST_200600_302600_NS10device_ptrIlEEjNS0_19identity_decomposerEEE10hipError_tT1_T2_PT3_SG_jT4_jjP12ihipStream_tbEUlT_E0_NS1_11comp_targetILNS1_3genE8ELNS1_11target_archE1030ELNS1_3gpuE2ELNS1_3repE0EEENS1_52radix_sort_onesweep_histogram_config_static_selectorELNS0_4arch9wavefront6targetE1EEEvSE_.has_indirect_call, 0
	.section	.AMDGPU.csdata,"",@progbits
; Kernel info:
; codeLenInByte = 0
; TotalNumSgprs: 4
; NumVgprs: 0
; ScratchSize: 0
; MemoryBound: 0
; FloatMode: 240
; IeeeMode: 1
; LDSByteSize: 0 bytes/workgroup (compile time only)
; SGPRBlocks: 0
; VGPRBlocks: 0
; NumSGPRsForWavesPerEU: 4
; NumVGPRsForWavesPerEU: 1
; Occupancy: 10
; WaveLimiterHint : 0
; COMPUTE_PGM_RSRC2:SCRATCH_EN: 0
; COMPUTE_PGM_RSRC2:USER_SGPR: 6
; COMPUTE_PGM_RSRC2:TRAP_HANDLER: 0
; COMPUTE_PGM_RSRC2:TGID_X_EN: 1
; COMPUTE_PGM_RSRC2:TGID_Y_EN: 0
; COMPUTE_PGM_RSRC2:TGID_Z_EN: 0
; COMPUTE_PGM_RSRC2:TIDIG_COMP_CNT: 0
	.section	.text._ZN7rocprim17ROCPRIM_400000_NS6detail17trampoline_kernelINS0_14default_configENS1_35radix_sort_onesweep_config_selectorIflEEZZNS1_29radix_sort_onesweep_iterationIS3_Lb0EPfS7_N6thrust23THRUST_200600_302600_NS10device_ptrIlEESB_jNS0_19identity_decomposerENS1_16block_id_wrapperIjLb1EEEEE10hipError_tT1_PNSt15iterator_traitsISG_E10value_typeET2_T3_PNSH_ISM_E10value_typeET4_T5_PSR_SS_PNS1_23onesweep_lookback_stateEbbT6_jjT7_P12ihipStream_tbENKUlT_T0_SG_SL_E_clIS7_S7_SB_SB_EEDaSZ_S10_SG_SL_EUlSZ_E_NS1_11comp_targetILNS1_3genE0ELNS1_11target_archE4294967295ELNS1_3gpuE0ELNS1_3repE0EEENS1_47radix_sort_onesweep_sort_config_static_selectorELNS0_4arch9wavefront6targetE1EEEvSG_,"axG",@progbits,_ZN7rocprim17ROCPRIM_400000_NS6detail17trampoline_kernelINS0_14default_configENS1_35radix_sort_onesweep_config_selectorIflEEZZNS1_29radix_sort_onesweep_iterationIS3_Lb0EPfS7_N6thrust23THRUST_200600_302600_NS10device_ptrIlEESB_jNS0_19identity_decomposerENS1_16block_id_wrapperIjLb1EEEEE10hipError_tT1_PNSt15iterator_traitsISG_E10value_typeET2_T3_PNSH_ISM_E10value_typeET4_T5_PSR_SS_PNS1_23onesweep_lookback_stateEbbT6_jjT7_P12ihipStream_tbENKUlT_T0_SG_SL_E_clIS7_S7_SB_SB_EEDaSZ_S10_SG_SL_EUlSZ_E_NS1_11comp_targetILNS1_3genE0ELNS1_11target_archE4294967295ELNS1_3gpuE0ELNS1_3repE0EEENS1_47radix_sort_onesweep_sort_config_static_selectorELNS0_4arch9wavefront6targetE1EEEvSG_,comdat
	.protected	_ZN7rocprim17ROCPRIM_400000_NS6detail17trampoline_kernelINS0_14default_configENS1_35radix_sort_onesweep_config_selectorIflEEZZNS1_29radix_sort_onesweep_iterationIS3_Lb0EPfS7_N6thrust23THRUST_200600_302600_NS10device_ptrIlEESB_jNS0_19identity_decomposerENS1_16block_id_wrapperIjLb1EEEEE10hipError_tT1_PNSt15iterator_traitsISG_E10value_typeET2_T3_PNSH_ISM_E10value_typeET4_T5_PSR_SS_PNS1_23onesweep_lookback_stateEbbT6_jjT7_P12ihipStream_tbENKUlT_T0_SG_SL_E_clIS7_S7_SB_SB_EEDaSZ_S10_SG_SL_EUlSZ_E_NS1_11comp_targetILNS1_3genE0ELNS1_11target_archE4294967295ELNS1_3gpuE0ELNS1_3repE0EEENS1_47radix_sort_onesweep_sort_config_static_selectorELNS0_4arch9wavefront6targetE1EEEvSG_ ; -- Begin function _ZN7rocprim17ROCPRIM_400000_NS6detail17trampoline_kernelINS0_14default_configENS1_35radix_sort_onesweep_config_selectorIflEEZZNS1_29radix_sort_onesweep_iterationIS3_Lb0EPfS7_N6thrust23THRUST_200600_302600_NS10device_ptrIlEESB_jNS0_19identity_decomposerENS1_16block_id_wrapperIjLb1EEEEE10hipError_tT1_PNSt15iterator_traitsISG_E10value_typeET2_T3_PNSH_ISM_E10value_typeET4_T5_PSR_SS_PNS1_23onesweep_lookback_stateEbbT6_jjT7_P12ihipStream_tbENKUlT_T0_SG_SL_E_clIS7_S7_SB_SB_EEDaSZ_S10_SG_SL_EUlSZ_E_NS1_11comp_targetILNS1_3genE0ELNS1_11target_archE4294967295ELNS1_3gpuE0ELNS1_3repE0EEENS1_47radix_sort_onesweep_sort_config_static_selectorELNS0_4arch9wavefront6targetE1EEEvSG_
	.globl	_ZN7rocprim17ROCPRIM_400000_NS6detail17trampoline_kernelINS0_14default_configENS1_35radix_sort_onesweep_config_selectorIflEEZZNS1_29radix_sort_onesweep_iterationIS3_Lb0EPfS7_N6thrust23THRUST_200600_302600_NS10device_ptrIlEESB_jNS0_19identity_decomposerENS1_16block_id_wrapperIjLb1EEEEE10hipError_tT1_PNSt15iterator_traitsISG_E10value_typeET2_T3_PNSH_ISM_E10value_typeET4_T5_PSR_SS_PNS1_23onesweep_lookback_stateEbbT6_jjT7_P12ihipStream_tbENKUlT_T0_SG_SL_E_clIS7_S7_SB_SB_EEDaSZ_S10_SG_SL_EUlSZ_E_NS1_11comp_targetILNS1_3genE0ELNS1_11target_archE4294967295ELNS1_3gpuE0ELNS1_3repE0EEENS1_47radix_sort_onesweep_sort_config_static_selectorELNS0_4arch9wavefront6targetE1EEEvSG_
	.p2align	8
	.type	_ZN7rocprim17ROCPRIM_400000_NS6detail17trampoline_kernelINS0_14default_configENS1_35radix_sort_onesweep_config_selectorIflEEZZNS1_29radix_sort_onesweep_iterationIS3_Lb0EPfS7_N6thrust23THRUST_200600_302600_NS10device_ptrIlEESB_jNS0_19identity_decomposerENS1_16block_id_wrapperIjLb1EEEEE10hipError_tT1_PNSt15iterator_traitsISG_E10value_typeET2_T3_PNSH_ISM_E10value_typeET4_T5_PSR_SS_PNS1_23onesweep_lookback_stateEbbT6_jjT7_P12ihipStream_tbENKUlT_T0_SG_SL_E_clIS7_S7_SB_SB_EEDaSZ_S10_SG_SL_EUlSZ_E_NS1_11comp_targetILNS1_3genE0ELNS1_11target_archE4294967295ELNS1_3gpuE0ELNS1_3repE0EEENS1_47radix_sort_onesweep_sort_config_static_selectorELNS0_4arch9wavefront6targetE1EEEvSG_,@function
_ZN7rocprim17ROCPRIM_400000_NS6detail17trampoline_kernelINS0_14default_configENS1_35radix_sort_onesweep_config_selectorIflEEZZNS1_29radix_sort_onesweep_iterationIS3_Lb0EPfS7_N6thrust23THRUST_200600_302600_NS10device_ptrIlEESB_jNS0_19identity_decomposerENS1_16block_id_wrapperIjLb1EEEEE10hipError_tT1_PNSt15iterator_traitsISG_E10value_typeET2_T3_PNSH_ISM_E10value_typeET4_T5_PSR_SS_PNS1_23onesweep_lookback_stateEbbT6_jjT7_P12ihipStream_tbENKUlT_T0_SG_SL_E_clIS7_S7_SB_SB_EEDaSZ_S10_SG_SL_EUlSZ_E_NS1_11comp_targetILNS1_3genE0ELNS1_11target_archE4294967295ELNS1_3gpuE0ELNS1_3repE0EEENS1_47radix_sort_onesweep_sort_config_static_selectorELNS0_4arch9wavefront6targetE1EEEvSG_: ; @_ZN7rocprim17ROCPRIM_400000_NS6detail17trampoline_kernelINS0_14default_configENS1_35radix_sort_onesweep_config_selectorIflEEZZNS1_29radix_sort_onesweep_iterationIS3_Lb0EPfS7_N6thrust23THRUST_200600_302600_NS10device_ptrIlEESB_jNS0_19identity_decomposerENS1_16block_id_wrapperIjLb1EEEEE10hipError_tT1_PNSt15iterator_traitsISG_E10value_typeET2_T3_PNSH_ISM_E10value_typeET4_T5_PSR_SS_PNS1_23onesweep_lookback_stateEbbT6_jjT7_P12ihipStream_tbENKUlT_T0_SG_SL_E_clIS7_S7_SB_SB_EEDaSZ_S10_SG_SL_EUlSZ_E_NS1_11comp_targetILNS1_3genE0ELNS1_11target_archE4294967295ELNS1_3gpuE0ELNS1_3repE0EEENS1_47radix_sort_onesweep_sort_config_static_selectorELNS0_4arch9wavefront6targetE1EEEvSG_
; %bb.0:
	.section	.rodata,"a",@progbits
	.p2align	6, 0x0
	.amdhsa_kernel _ZN7rocprim17ROCPRIM_400000_NS6detail17trampoline_kernelINS0_14default_configENS1_35radix_sort_onesweep_config_selectorIflEEZZNS1_29radix_sort_onesweep_iterationIS3_Lb0EPfS7_N6thrust23THRUST_200600_302600_NS10device_ptrIlEESB_jNS0_19identity_decomposerENS1_16block_id_wrapperIjLb1EEEEE10hipError_tT1_PNSt15iterator_traitsISG_E10value_typeET2_T3_PNSH_ISM_E10value_typeET4_T5_PSR_SS_PNS1_23onesweep_lookback_stateEbbT6_jjT7_P12ihipStream_tbENKUlT_T0_SG_SL_E_clIS7_S7_SB_SB_EEDaSZ_S10_SG_SL_EUlSZ_E_NS1_11comp_targetILNS1_3genE0ELNS1_11target_archE4294967295ELNS1_3gpuE0ELNS1_3repE0EEENS1_47radix_sort_onesweep_sort_config_static_selectorELNS0_4arch9wavefront6targetE1EEEvSG_
		.amdhsa_group_segment_fixed_size 0
		.amdhsa_private_segment_fixed_size 0
		.amdhsa_kernarg_size 88
		.amdhsa_user_sgpr_count 6
		.amdhsa_user_sgpr_private_segment_buffer 1
		.amdhsa_user_sgpr_dispatch_ptr 0
		.amdhsa_user_sgpr_queue_ptr 0
		.amdhsa_user_sgpr_kernarg_segment_ptr 1
		.amdhsa_user_sgpr_dispatch_id 0
		.amdhsa_user_sgpr_flat_scratch_init 0
		.amdhsa_user_sgpr_private_segment_size 0
		.amdhsa_uses_dynamic_stack 0
		.amdhsa_system_sgpr_private_segment_wavefront_offset 0
		.amdhsa_system_sgpr_workgroup_id_x 1
		.amdhsa_system_sgpr_workgroup_id_y 0
		.amdhsa_system_sgpr_workgroup_id_z 0
		.amdhsa_system_sgpr_workgroup_info 0
		.amdhsa_system_vgpr_workitem_id 0
		.amdhsa_next_free_vgpr 1
		.amdhsa_next_free_sgpr 0
		.amdhsa_reserve_vcc 0
		.amdhsa_reserve_flat_scratch 0
		.amdhsa_float_round_mode_32 0
		.amdhsa_float_round_mode_16_64 0
		.amdhsa_float_denorm_mode_32 3
		.amdhsa_float_denorm_mode_16_64 3
		.amdhsa_dx10_clamp 1
		.amdhsa_ieee_mode 1
		.amdhsa_fp16_overflow 0
		.amdhsa_exception_fp_ieee_invalid_op 0
		.amdhsa_exception_fp_denorm_src 0
		.amdhsa_exception_fp_ieee_div_zero 0
		.amdhsa_exception_fp_ieee_overflow 0
		.amdhsa_exception_fp_ieee_underflow 0
		.amdhsa_exception_fp_ieee_inexact 0
		.amdhsa_exception_int_div_zero 0
	.end_amdhsa_kernel
	.section	.text._ZN7rocprim17ROCPRIM_400000_NS6detail17trampoline_kernelINS0_14default_configENS1_35radix_sort_onesweep_config_selectorIflEEZZNS1_29radix_sort_onesweep_iterationIS3_Lb0EPfS7_N6thrust23THRUST_200600_302600_NS10device_ptrIlEESB_jNS0_19identity_decomposerENS1_16block_id_wrapperIjLb1EEEEE10hipError_tT1_PNSt15iterator_traitsISG_E10value_typeET2_T3_PNSH_ISM_E10value_typeET4_T5_PSR_SS_PNS1_23onesweep_lookback_stateEbbT6_jjT7_P12ihipStream_tbENKUlT_T0_SG_SL_E_clIS7_S7_SB_SB_EEDaSZ_S10_SG_SL_EUlSZ_E_NS1_11comp_targetILNS1_3genE0ELNS1_11target_archE4294967295ELNS1_3gpuE0ELNS1_3repE0EEENS1_47radix_sort_onesweep_sort_config_static_selectorELNS0_4arch9wavefront6targetE1EEEvSG_,"axG",@progbits,_ZN7rocprim17ROCPRIM_400000_NS6detail17trampoline_kernelINS0_14default_configENS1_35radix_sort_onesweep_config_selectorIflEEZZNS1_29radix_sort_onesweep_iterationIS3_Lb0EPfS7_N6thrust23THRUST_200600_302600_NS10device_ptrIlEESB_jNS0_19identity_decomposerENS1_16block_id_wrapperIjLb1EEEEE10hipError_tT1_PNSt15iterator_traitsISG_E10value_typeET2_T3_PNSH_ISM_E10value_typeET4_T5_PSR_SS_PNS1_23onesweep_lookback_stateEbbT6_jjT7_P12ihipStream_tbENKUlT_T0_SG_SL_E_clIS7_S7_SB_SB_EEDaSZ_S10_SG_SL_EUlSZ_E_NS1_11comp_targetILNS1_3genE0ELNS1_11target_archE4294967295ELNS1_3gpuE0ELNS1_3repE0EEENS1_47radix_sort_onesweep_sort_config_static_selectorELNS0_4arch9wavefront6targetE1EEEvSG_,comdat
.Lfunc_end1834:
	.size	_ZN7rocprim17ROCPRIM_400000_NS6detail17trampoline_kernelINS0_14default_configENS1_35radix_sort_onesweep_config_selectorIflEEZZNS1_29radix_sort_onesweep_iterationIS3_Lb0EPfS7_N6thrust23THRUST_200600_302600_NS10device_ptrIlEESB_jNS0_19identity_decomposerENS1_16block_id_wrapperIjLb1EEEEE10hipError_tT1_PNSt15iterator_traitsISG_E10value_typeET2_T3_PNSH_ISM_E10value_typeET4_T5_PSR_SS_PNS1_23onesweep_lookback_stateEbbT6_jjT7_P12ihipStream_tbENKUlT_T0_SG_SL_E_clIS7_S7_SB_SB_EEDaSZ_S10_SG_SL_EUlSZ_E_NS1_11comp_targetILNS1_3genE0ELNS1_11target_archE4294967295ELNS1_3gpuE0ELNS1_3repE0EEENS1_47radix_sort_onesweep_sort_config_static_selectorELNS0_4arch9wavefront6targetE1EEEvSG_, .Lfunc_end1834-_ZN7rocprim17ROCPRIM_400000_NS6detail17trampoline_kernelINS0_14default_configENS1_35radix_sort_onesweep_config_selectorIflEEZZNS1_29radix_sort_onesweep_iterationIS3_Lb0EPfS7_N6thrust23THRUST_200600_302600_NS10device_ptrIlEESB_jNS0_19identity_decomposerENS1_16block_id_wrapperIjLb1EEEEE10hipError_tT1_PNSt15iterator_traitsISG_E10value_typeET2_T3_PNSH_ISM_E10value_typeET4_T5_PSR_SS_PNS1_23onesweep_lookback_stateEbbT6_jjT7_P12ihipStream_tbENKUlT_T0_SG_SL_E_clIS7_S7_SB_SB_EEDaSZ_S10_SG_SL_EUlSZ_E_NS1_11comp_targetILNS1_3genE0ELNS1_11target_archE4294967295ELNS1_3gpuE0ELNS1_3repE0EEENS1_47radix_sort_onesweep_sort_config_static_selectorELNS0_4arch9wavefront6targetE1EEEvSG_
                                        ; -- End function
	.set _ZN7rocprim17ROCPRIM_400000_NS6detail17trampoline_kernelINS0_14default_configENS1_35radix_sort_onesweep_config_selectorIflEEZZNS1_29radix_sort_onesweep_iterationIS3_Lb0EPfS7_N6thrust23THRUST_200600_302600_NS10device_ptrIlEESB_jNS0_19identity_decomposerENS1_16block_id_wrapperIjLb1EEEEE10hipError_tT1_PNSt15iterator_traitsISG_E10value_typeET2_T3_PNSH_ISM_E10value_typeET4_T5_PSR_SS_PNS1_23onesweep_lookback_stateEbbT6_jjT7_P12ihipStream_tbENKUlT_T0_SG_SL_E_clIS7_S7_SB_SB_EEDaSZ_S10_SG_SL_EUlSZ_E_NS1_11comp_targetILNS1_3genE0ELNS1_11target_archE4294967295ELNS1_3gpuE0ELNS1_3repE0EEENS1_47radix_sort_onesweep_sort_config_static_selectorELNS0_4arch9wavefront6targetE1EEEvSG_.num_vgpr, 0
	.set _ZN7rocprim17ROCPRIM_400000_NS6detail17trampoline_kernelINS0_14default_configENS1_35radix_sort_onesweep_config_selectorIflEEZZNS1_29radix_sort_onesweep_iterationIS3_Lb0EPfS7_N6thrust23THRUST_200600_302600_NS10device_ptrIlEESB_jNS0_19identity_decomposerENS1_16block_id_wrapperIjLb1EEEEE10hipError_tT1_PNSt15iterator_traitsISG_E10value_typeET2_T3_PNSH_ISM_E10value_typeET4_T5_PSR_SS_PNS1_23onesweep_lookback_stateEbbT6_jjT7_P12ihipStream_tbENKUlT_T0_SG_SL_E_clIS7_S7_SB_SB_EEDaSZ_S10_SG_SL_EUlSZ_E_NS1_11comp_targetILNS1_3genE0ELNS1_11target_archE4294967295ELNS1_3gpuE0ELNS1_3repE0EEENS1_47radix_sort_onesweep_sort_config_static_selectorELNS0_4arch9wavefront6targetE1EEEvSG_.num_agpr, 0
	.set _ZN7rocprim17ROCPRIM_400000_NS6detail17trampoline_kernelINS0_14default_configENS1_35radix_sort_onesweep_config_selectorIflEEZZNS1_29radix_sort_onesweep_iterationIS3_Lb0EPfS7_N6thrust23THRUST_200600_302600_NS10device_ptrIlEESB_jNS0_19identity_decomposerENS1_16block_id_wrapperIjLb1EEEEE10hipError_tT1_PNSt15iterator_traitsISG_E10value_typeET2_T3_PNSH_ISM_E10value_typeET4_T5_PSR_SS_PNS1_23onesweep_lookback_stateEbbT6_jjT7_P12ihipStream_tbENKUlT_T0_SG_SL_E_clIS7_S7_SB_SB_EEDaSZ_S10_SG_SL_EUlSZ_E_NS1_11comp_targetILNS1_3genE0ELNS1_11target_archE4294967295ELNS1_3gpuE0ELNS1_3repE0EEENS1_47radix_sort_onesweep_sort_config_static_selectorELNS0_4arch9wavefront6targetE1EEEvSG_.numbered_sgpr, 0
	.set _ZN7rocprim17ROCPRIM_400000_NS6detail17trampoline_kernelINS0_14default_configENS1_35radix_sort_onesweep_config_selectorIflEEZZNS1_29radix_sort_onesweep_iterationIS3_Lb0EPfS7_N6thrust23THRUST_200600_302600_NS10device_ptrIlEESB_jNS0_19identity_decomposerENS1_16block_id_wrapperIjLb1EEEEE10hipError_tT1_PNSt15iterator_traitsISG_E10value_typeET2_T3_PNSH_ISM_E10value_typeET4_T5_PSR_SS_PNS1_23onesweep_lookback_stateEbbT6_jjT7_P12ihipStream_tbENKUlT_T0_SG_SL_E_clIS7_S7_SB_SB_EEDaSZ_S10_SG_SL_EUlSZ_E_NS1_11comp_targetILNS1_3genE0ELNS1_11target_archE4294967295ELNS1_3gpuE0ELNS1_3repE0EEENS1_47radix_sort_onesweep_sort_config_static_selectorELNS0_4arch9wavefront6targetE1EEEvSG_.num_named_barrier, 0
	.set _ZN7rocprim17ROCPRIM_400000_NS6detail17trampoline_kernelINS0_14default_configENS1_35radix_sort_onesweep_config_selectorIflEEZZNS1_29radix_sort_onesweep_iterationIS3_Lb0EPfS7_N6thrust23THRUST_200600_302600_NS10device_ptrIlEESB_jNS0_19identity_decomposerENS1_16block_id_wrapperIjLb1EEEEE10hipError_tT1_PNSt15iterator_traitsISG_E10value_typeET2_T3_PNSH_ISM_E10value_typeET4_T5_PSR_SS_PNS1_23onesweep_lookback_stateEbbT6_jjT7_P12ihipStream_tbENKUlT_T0_SG_SL_E_clIS7_S7_SB_SB_EEDaSZ_S10_SG_SL_EUlSZ_E_NS1_11comp_targetILNS1_3genE0ELNS1_11target_archE4294967295ELNS1_3gpuE0ELNS1_3repE0EEENS1_47radix_sort_onesweep_sort_config_static_selectorELNS0_4arch9wavefront6targetE1EEEvSG_.private_seg_size, 0
	.set _ZN7rocprim17ROCPRIM_400000_NS6detail17trampoline_kernelINS0_14default_configENS1_35radix_sort_onesweep_config_selectorIflEEZZNS1_29radix_sort_onesweep_iterationIS3_Lb0EPfS7_N6thrust23THRUST_200600_302600_NS10device_ptrIlEESB_jNS0_19identity_decomposerENS1_16block_id_wrapperIjLb1EEEEE10hipError_tT1_PNSt15iterator_traitsISG_E10value_typeET2_T3_PNSH_ISM_E10value_typeET4_T5_PSR_SS_PNS1_23onesweep_lookback_stateEbbT6_jjT7_P12ihipStream_tbENKUlT_T0_SG_SL_E_clIS7_S7_SB_SB_EEDaSZ_S10_SG_SL_EUlSZ_E_NS1_11comp_targetILNS1_3genE0ELNS1_11target_archE4294967295ELNS1_3gpuE0ELNS1_3repE0EEENS1_47radix_sort_onesweep_sort_config_static_selectorELNS0_4arch9wavefront6targetE1EEEvSG_.uses_vcc, 0
	.set _ZN7rocprim17ROCPRIM_400000_NS6detail17trampoline_kernelINS0_14default_configENS1_35radix_sort_onesweep_config_selectorIflEEZZNS1_29radix_sort_onesweep_iterationIS3_Lb0EPfS7_N6thrust23THRUST_200600_302600_NS10device_ptrIlEESB_jNS0_19identity_decomposerENS1_16block_id_wrapperIjLb1EEEEE10hipError_tT1_PNSt15iterator_traitsISG_E10value_typeET2_T3_PNSH_ISM_E10value_typeET4_T5_PSR_SS_PNS1_23onesweep_lookback_stateEbbT6_jjT7_P12ihipStream_tbENKUlT_T0_SG_SL_E_clIS7_S7_SB_SB_EEDaSZ_S10_SG_SL_EUlSZ_E_NS1_11comp_targetILNS1_3genE0ELNS1_11target_archE4294967295ELNS1_3gpuE0ELNS1_3repE0EEENS1_47radix_sort_onesweep_sort_config_static_selectorELNS0_4arch9wavefront6targetE1EEEvSG_.uses_flat_scratch, 0
	.set _ZN7rocprim17ROCPRIM_400000_NS6detail17trampoline_kernelINS0_14default_configENS1_35radix_sort_onesweep_config_selectorIflEEZZNS1_29radix_sort_onesweep_iterationIS3_Lb0EPfS7_N6thrust23THRUST_200600_302600_NS10device_ptrIlEESB_jNS0_19identity_decomposerENS1_16block_id_wrapperIjLb1EEEEE10hipError_tT1_PNSt15iterator_traitsISG_E10value_typeET2_T3_PNSH_ISM_E10value_typeET4_T5_PSR_SS_PNS1_23onesweep_lookback_stateEbbT6_jjT7_P12ihipStream_tbENKUlT_T0_SG_SL_E_clIS7_S7_SB_SB_EEDaSZ_S10_SG_SL_EUlSZ_E_NS1_11comp_targetILNS1_3genE0ELNS1_11target_archE4294967295ELNS1_3gpuE0ELNS1_3repE0EEENS1_47radix_sort_onesweep_sort_config_static_selectorELNS0_4arch9wavefront6targetE1EEEvSG_.has_dyn_sized_stack, 0
	.set _ZN7rocprim17ROCPRIM_400000_NS6detail17trampoline_kernelINS0_14default_configENS1_35radix_sort_onesweep_config_selectorIflEEZZNS1_29radix_sort_onesweep_iterationIS3_Lb0EPfS7_N6thrust23THRUST_200600_302600_NS10device_ptrIlEESB_jNS0_19identity_decomposerENS1_16block_id_wrapperIjLb1EEEEE10hipError_tT1_PNSt15iterator_traitsISG_E10value_typeET2_T3_PNSH_ISM_E10value_typeET4_T5_PSR_SS_PNS1_23onesweep_lookback_stateEbbT6_jjT7_P12ihipStream_tbENKUlT_T0_SG_SL_E_clIS7_S7_SB_SB_EEDaSZ_S10_SG_SL_EUlSZ_E_NS1_11comp_targetILNS1_3genE0ELNS1_11target_archE4294967295ELNS1_3gpuE0ELNS1_3repE0EEENS1_47radix_sort_onesweep_sort_config_static_selectorELNS0_4arch9wavefront6targetE1EEEvSG_.has_recursion, 0
	.set _ZN7rocprim17ROCPRIM_400000_NS6detail17trampoline_kernelINS0_14default_configENS1_35radix_sort_onesweep_config_selectorIflEEZZNS1_29radix_sort_onesweep_iterationIS3_Lb0EPfS7_N6thrust23THRUST_200600_302600_NS10device_ptrIlEESB_jNS0_19identity_decomposerENS1_16block_id_wrapperIjLb1EEEEE10hipError_tT1_PNSt15iterator_traitsISG_E10value_typeET2_T3_PNSH_ISM_E10value_typeET4_T5_PSR_SS_PNS1_23onesweep_lookback_stateEbbT6_jjT7_P12ihipStream_tbENKUlT_T0_SG_SL_E_clIS7_S7_SB_SB_EEDaSZ_S10_SG_SL_EUlSZ_E_NS1_11comp_targetILNS1_3genE0ELNS1_11target_archE4294967295ELNS1_3gpuE0ELNS1_3repE0EEENS1_47radix_sort_onesweep_sort_config_static_selectorELNS0_4arch9wavefront6targetE1EEEvSG_.has_indirect_call, 0
	.section	.AMDGPU.csdata,"",@progbits
; Kernel info:
; codeLenInByte = 0
; TotalNumSgprs: 4
; NumVgprs: 0
; ScratchSize: 0
; MemoryBound: 0
; FloatMode: 240
; IeeeMode: 1
; LDSByteSize: 0 bytes/workgroup (compile time only)
; SGPRBlocks: 0
; VGPRBlocks: 0
; NumSGPRsForWavesPerEU: 4
; NumVGPRsForWavesPerEU: 1
; Occupancy: 10
; WaveLimiterHint : 0
; COMPUTE_PGM_RSRC2:SCRATCH_EN: 0
; COMPUTE_PGM_RSRC2:USER_SGPR: 6
; COMPUTE_PGM_RSRC2:TRAP_HANDLER: 0
; COMPUTE_PGM_RSRC2:TGID_X_EN: 1
; COMPUTE_PGM_RSRC2:TGID_Y_EN: 0
; COMPUTE_PGM_RSRC2:TGID_Z_EN: 0
; COMPUTE_PGM_RSRC2:TIDIG_COMP_CNT: 0
	.section	.text._ZN7rocprim17ROCPRIM_400000_NS6detail17trampoline_kernelINS0_14default_configENS1_35radix_sort_onesweep_config_selectorIflEEZZNS1_29radix_sort_onesweep_iterationIS3_Lb0EPfS7_N6thrust23THRUST_200600_302600_NS10device_ptrIlEESB_jNS0_19identity_decomposerENS1_16block_id_wrapperIjLb1EEEEE10hipError_tT1_PNSt15iterator_traitsISG_E10value_typeET2_T3_PNSH_ISM_E10value_typeET4_T5_PSR_SS_PNS1_23onesweep_lookback_stateEbbT6_jjT7_P12ihipStream_tbENKUlT_T0_SG_SL_E_clIS7_S7_SB_SB_EEDaSZ_S10_SG_SL_EUlSZ_E_NS1_11comp_targetILNS1_3genE6ELNS1_11target_archE950ELNS1_3gpuE13ELNS1_3repE0EEENS1_47radix_sort_onesweep_sort_config_static_selectorELNS0_4arch9wavefront6targetE1EEEvSG_,"axG",@progbits,_ZN7rocprim17ROCPRIM_400000_NS6detail17trampoline_kernelINS0_14default_configENS1_35radix_sort_onesweep_config_selectorIflEEZZNS1_29radix_sort_onesweep_iterationIS3_Lb0EPfS7_N6thrust23THRUST_200600_302600_NS10device_ptrIlEESB_jNS0_19identity_decomposerENS1_16block_id_wrapperIjLb1EEEEE10hipError_tT1_PNSt15iterator_traitsISG_E10value_typeET2_T3_PNSH_ISM_E10value_typeET4_T5_PSR_SS_PNS1_23onesweep_lookback_stateEbbT6_jjT7_P12ihipStream_tbENKUlT_T0_SG_SL_E_clIS7_S7_SB_SB_EEDaSZ_S10_SG_SL_EUlSZ_E_NS1_11comp_targetILNS1_3genE6ELNS1_11target_archE950ELNS1_3gpuE13ELNS1_3repE0EEENS1_47radix_sort_onesweep_sort_config_static_selectorELNS0_4arch9wavefront6targetE1EEEvSG_,comdat
	.protected	_ZN7rocprim17ROCPRIM_400000_NS6detail17trampoline_kernelINS0_14default_configENS1_35radix_sort_onesweep_config_selectorIflEEZZNS1_29radix_sort_onesweep_iterationIS3_Lb0EPfS7_N6thrust23THRUST_200600_302600_NS10device_ptrIlEESB_jNS0_19identity_decomposerENS1_16block_id_wrapperIjLb1EEEEE10hipError_tT1_PNSt15iterator_traitsISG_E10value_typeET2_T3_PNSH_ISM_E10value_typeET4_T5_PSR_SS_PNS1_23onesweep_lookback_stateEbbT6_jjT7_P12ihipStream_tbENKUlT_T0_SG_SL_E_clIS7_S7_SB_SB_EEDaSZ_S10_SG_SL_EUlSZ_E_NS1_11comp_targetILNS1_3genE6ELNS1_11target_archE950ELNS1_3gpuE13ELNS1_3repE0EEENS1_47radix_sort_onesweep_sort_config_static_selectorELNS0_4arch9wavefront6targetE1EEEvSG_ ; -- Begin function _ZN7rocprim17ROCPRIM_400000_NS6detail17trampoline_kernelINS0_14default_configENS1_35radix_sort_onesweep_config_selectorIflEEZZNS1_29radix_sort_onesweep_iterationIS3_Lb0EPfS7_N6thrust23THRUST_200600_302600_NS10device_ptrIlEESB_jNS0_19identity_decomposerENS1_16block_id_wrapperIjLb1EEEEE10hipError_tT1_PNSt15iterator_traitsISG_E10value_typeET2_T3_PNSH_ISM_E10value_typeET4_T5_PSR_SS_PNS1_23onesweep_lookback_stateEbbT6_jjT7_P12ihipStream_tbENKUlT_T0_SG_SL_E_clIS7_S7_SB_SB_EEDaSZ_S10_SG_SL_EUlSZ_E_NS1_11comp_targetILNS1_3genE6ELNS1_11target_archE950ELNS1_3gpuE13ELNS1_3repE0EEENS1_47radix_sort_onesweep_sort_config_static_selectorELNS0_4arch9wavefront6targetE1EEEvSG_
	.globl	_ZN7rocprim17ROCPRIM_400000_NS6detail17trampoline_kernelINS0_14default_configENS1_35radix_sort_onesweep_config_selectorIflEEZZNS1_29radix_sort_onesweep_iterationIS3_Lb0EPfS7_N6thrust23THRUST_200600_302600_NS10device_ptrIlEESB_jNS0_19identity_decomposerENS1_16block_id_wrapperIjLb1EEEEE10hipError_tT1_PNSt15iterator_traitsISG_E10value_typeET2_T3_PNSH_ISM_E10value_typeET4_T5_PSR_SS_PNS1_23onesweep_lookback_stateEbbT6_jjT7_P12ihipStream_tbENKUlT_T0_SG_SL_E_clIS7_S7_SB_SB_EEDaSZ_S10_SG_SL_EUlSZ_E_NS1_11comp_targetILNS1_3genE6ELNS1_11target_archE950ELNS1_3gpuE13ELNS1_3repE0EEENS1_47radix_sort_onesweep_sort_config_static_selectorELNS0_4arch9wavefront6targetE1EEEvSG_
	.p2align	8
	.type	_ZN7rocprim17ROCPRIM_400000_NS6detail17trampoline_kernelINS0_14default_configENS1_35radix_sort_onesweep_config_selectorIflEEZZNS1_29radix_sort_onesweep_iterationIS3_Lb0EPfS7_N6thrust23THRUST_200600_302600_NS10device_ptrIlEESB_jNS0_19identity_decomposerENS1_16block_id_wrapperIjLb1EEEEE10hipError_tT1_PNSt15iterator_traitsISG_E10value_typeET2_T3_PNSH_ISM_E10value_typeET4_T5_PSR_SS_PNS1_23onesweep_lookback_stateEbbT6_jjT7_P12ihipStream_tbENKUlT_T0_SG_SL_E_clIS7_S7_SB_SB_EEDaSZ_S10_SG_SL_EUlSZ_E_NS1_11comp_targetILNS1_3genE6ELNS1_11target_archE950ELNS1_3gpuE13ELNS1_3repE0EEENS1_47radix_sort_onesweep_sort_config_static_selectorELNS0_4arch9wavefront6targetE1EEEvSG_,@function
_ZN7rocprim17ROCPRIM_400000_NS6detail17trampoline_kernelINS0_14default_configENS1_35radix_sort_onesweep_config_selectorIflEEZZNS1_29radix_sort_onesweep_iterationIS3_Lb0EPfS7_N6thrust23THRUST_200600_302600_NS10device_ptrIlEESB_jNS0_19identity_decomposerENS1_16block_id_wrapperIjLb1EEEEE10hipError_tT1_PNSt15iterator_traitsISG_E10value_typeET2_T3_PNSH_ISM_E10value_typeET4_T5_PSR_SS_PNS1_23onesweep_lookback_stateEbbT6_jjT7_P12ihipStream_tbENKUlT_T0_SG_SL_E_clIS7_S7_SB_SB_EEDaSZ_S10_SG_SL_EUlSZ_E_NS1_11comp_targetILNS1_3genE6ELNS1_11target_archE950ELNS1_3gpuE13ELNS1_3repE0EEENS1_47radix_sort_onesweep_sort_config_static_selectorELNS0_4arch9wavefront6targetE1EEEvSG_: ; @_ZN7rocprim17ROCPRIM_400000_NS6detail17trampoline_kernelINS0_14default_configENS1_35radix_sort_onesweep_config_selectorIflEEZZNS1_29radix_sort_onesweep_iterationIS3_Lb0EPfS7_N6thrust23THRUST_200600_302600_NS10device_ptrIlEESB_jNS0_19identity_decomposerENS1_16block_id_wrapperIjLb1EEEEE10hipError_tT1_PNSt15iterator_traitsISG_E10value_typeET2_T3_PNSH_ISM_E10value_typeET4_T5_PSR_SS_PNS1_23onesweep_lookback_stateEbbT6_jjT7_P12ihipStream_tbENKUlT_T0_SG_SL_E_clIS7_S7_SB_SB_EEDaSZ_S10_SG_SL_EUlSZ_E_NS1_11comp_targetILNS1_3genE6ELNS1_11target_archE950ELNS1_3gpuE13ELNS1_3repE0EEENS1_47radix_sort_onesweep_sort_config_static_selectorELNS0_4arch9wavefront6targetE1EEEvSG_
; %bb.0:
	.section	.rodata,"a",@progbits
	.p2align	6, 0x0
	.amdhsa_kernel _ZN7rocprim17ROCPRIM_400000_NS6detail17trampoline_kernelINS0_14default_configENS1_35radix_sort_onesweep_config_selectorIflEEZZNS1_29radix_sort_onesweep_iterationIS3_Lb0EPfS7_N6thrust23THRUST_200600_302600_NS10device_ptrIlEESB_jNS0_19identity_decomposerENS1_16block_id_wrapperIjLb1EEEEE10hipError_tT1_PNSt15iterator_traitsISG_E10value_typeET2_T3_PNSH_ISM_E10value_typeET4_T5_PSR_SS_PNS1_23onesweep_lookback_stateEbbT6_jjT7_P12ihipStream_tbENKUlT_T0_SG_SL_E_clIS7_S7_SB_SB_EEDaSZ_S10_SG_SL_EUlSZ_E_NS1_11comp_targetILNS1_3genE6ELNS1_11target_archE950ELNS1_3gpuE13ELNS1_3repE0EEENS1_47radix_sort_onesweep_sort_config_static_selectorELNS0_4arch9wavefront6targetE1EEEvSG_
		.amdhsa_group_segment_fixed_size 0
		.amdhsa_private_segment_fixed_size 0
		.amdhsa_kernarg_size 88
		.amdhsa_user_sgpr_count 6
		.amdhsa_user_sgpr_private_segment_buffer 1
		.amdhsa_user_sgpr_dispatch_ptr 0
		.amdhsa_user_sgpr_queue_ptr 0
		.amdhsa_user_sgpr_kernarg_segment_ptr 1
		.amdhsa_user_sgpr_dispatch_id 0
		.amdhsa_user_sgpr_flat_scratch_init 0
		.amdhsa_user_sgpr_private_segment_size 0
		.amdhsa_uses_dynamic_stack 0
		.amdhsa_system_sgpr_private_segment_wavefront_offset 0
		.amdhsa_system_sgpr_workgroup_id_x 1
		.amdhsa_system_sgpr_workgroup_id_y 0
		.amdhsa_system_sgpr_workgroup_id_z 0
		.amdhsa_system_sgpr_workgroup_info 0
		.amdhsa_system_vgpr_workitem_id 0
		.amdhsa_next_free_vgpr 1
		.amdhsa_next_free_sgpr 0
		.amdhsa_reserve_vcc 0
		.amdhsa_reserve_flat_scratch 0
		.amdhsa_float_round_mode_32 0
		.amdhsa_float_round_mode_16_64 0
		.amdhsa_float_denorm_mode_32 3
		.amdhsa_float_denorm_mode_16_64 3
		.amdhsa_dx10_clamp 1
		.amdhsa_ieee_mode 1
		.amdhsa_fp16_overflow 0
		.amdhsa_exception_fp_ieee_invalid_op 0
		.amdhsa_exception_fp_denorm_src 0
		.amdhsa_exception_fp_ieee_div_zero 0
		.amdhsa_exception_fp_ieee_overflow 0
		.amdhsa_exception_fp_ieee_underflow 0
		.amdhsa_exception_fp_ieee_inexact 0
		.amdhsa_exception_int_div_zero 0
	.end_amdhsa_kernel
	.section	.text._ZN7rocprim17ROCPRIM_400000_NS6detail17trampoline_kernelINS0_14default_configENS1_35radix_sort_onesweep_config_selectorIflEEZZNS1_29radix_sort_onesweep_iterationIS3_Lb0EPfS7_N6thrust23THRUST_200600_302600_NS10device_ptrIlEESB_jNS0_19identity_decomposerENS1_16block_id_wrapperIjLb1EEEEE10hipError_tT1_PNSt15iterator_traitsISG_E10value_typeET2_T3_PNSH_ISM_E10value_typeET4_T5_PSR_SS_PNS1_23onesweep_lookback_stateEbbT6_jjT7_P12ihipStream_tbENKUlT_T0_SG_SL_E_clIS7_S7_SB_SB_EEDaSZ_S10_SG_SL_EUlSZ_E_NS1_11comp_targetILNS1_3genE6ELNS1_11target_archE950ELNS1_3gpuE13ELNS1_3repE0EEENS1_47radix_sort_onesweep_sort_config_static_selectorELNS0_4arch9wavefront6targetE1EEEvSG_,"axG",@progbits,_ZN7rocprim17ROCPRIM_400000_NS6detail17trampoline_kernelINS0_14default_configENS1_35radix_sort_onesweep_config_selectorIflEEZZNS1_29radix_sort_onesweep_iterationIS3_Lb0EPfS7_N6thrust23THRUST_200600_302600_NS10device_ptrIlEESB_jNS0_19identity_decomposerENS1_16block_id_wrapperIjLb1EEEEE10hipError_tT1_PNSt15iterator_traitsISG_E10value_typeET2_T3_PNSH_ISM_E10value_typeET4_T5_PSR_SS_PNS1_23onesweep_lookback_stateEbbT6_jjT7_P12ihipStream_tbENKUlT_T0_SG_SL_E_clIS7_S7_SB_SB_EEDaSZ_S10_SG_SL_EUlSZ_E_NS1_11comp_targetILNS1_3genE6ELNS1_11target_archE950ELNS1_3gpuE13ELNS1_3repE0EEENS1_47radix_sort_onesweep_sort_config_static_selectorELNS0_4arch9wavefront6targetE1EEEvSG_,comdat
.Lfunc_end1835:
	.size	_ZN7rocprim17ROCPRIM_400000_NS6detail17trampoline_kernelINS0_14default_configENS1_35radix_sort_onesweep_config_selectorIflEEZZNS1_29radix_sort_onesweep_iterationIS3_Lb0EPfS7_N6thrust23THRUST_200600_302600_NS10device_ptrIlEESB_jNS0_19identity_decomposerENS1_16block_id_wrapperIjLb1EEEEE10hipError_tT1_PNSt15iterator_traitsISG_E10value_typeET2_T3_PNSH_ISM_E10value_typeET4_T5_PSR_SS_PNS1_23onesweep_lookback_stateEbbT6_jjT7_P12ihipStream_tbENKUlT_T0_SG_SL_E_clIS7_S7_SB_SB_EEDaSZ_S10_SG_SL_EUlSZ_E_NS1_11comp_targetILNS1_3genE6ELNS1_11target_archE950ELNS1_3gpuE13ELNS1_3repE0EEENS1_47radix_sort_onesweep_sort_config_static_selectorELNS0_4arch9wavefront6targetE1EEEvSG_, .Lfunc_end1835-_ZN7rocprim17ROCPRIM_400000_NS6detail17trampoline_kernelINS0_14default_configENS1_35radix_sort_onesweep_config_selectorIflEEZZNS1_29radix_sort_onesweep_iterationIS3_Lb0EPfS7_N6thrust23THRUST_200600_302600_NS10device_ptrIlEESB_jNS0_19identity_decomposerENS1_16block_id_wrapperIjLb1EEEEE10hipError_tT1_PNSt15iterator_traitsISG_E10value_typeET2_T3_PNSH_ISM_E10value_typeET4_T5_PSR_SS_PNS1_23onesweep_lookback_stateEbbT6_jjT7_P12ihipStream_tbENKUlT_T0_SG_SL_E_clIS7_S7_SB_SB_EEDaSZ_S10_SG_SL_EUlSZ_E_NS1_11comp_targetILNS1_3genE6ELNS1_11target_archE950ELNS1_3gpuE13ELNS1_3repE0EEENS1_47radix_sort_onesweep_sort_config_static_selectorELNS0_4arch9wavefront6targetE1EEEvSG_
                                        ; -- End function
	.set _ZN7rocprim17ROCPRIM_400000_NS6detail17trampoline_kernelINS0_14default_configENS1_35radix_sort_onesweep_config_selectorIflEEZZNS1_29radix_sort_onesweep_iterationIS3_Lb0EPfS7_N6thrust23THRUST_200600_302600_NS10device_ptrIlEESB_jNS0_19identity_decomposerENS1_16block_id_wrapperIjLb1EEEEE10hipError_tT1_PNSt15iterator_traitsISG_E10value_typeET2_T3_PNSH_ISM_E10value_typeET4_T5_PSR_SS_PNS1_23onesweep_lookback_stateEbbT6_jjT7_P12ihipStream_tbENKUlT_T0_SG_SL_E_clIS7_S7_SB_SB_EEDaSZ_S10_SG_SL_EUlSZ_E_NS1_11comp_targetILNS1_3genE6ELNS1_11target_archE950ELNS1_3gpuE13ELNS1_3repE0EEENS1_47radix_sort_onesweep_sort_config_static_selectorELNS0_4arch9wavefront6targetE1EEEvSG_.num_vgpr, 0
	.set _ZN7rocprim17ROCPRIM_400000_NS6detail17trampoline_kernelINS0_14default_configENS1_35radix_sort_onesweep_config_selectorIflEEZZNS1_29radix_sort_onesweep_iterationIS3_Lb0EPfS7_N6thrust23THRUST_200600_302600_NS10device_ptrIlEESB_jNS0_19identity_decomposerENS1_16block_id_wrapperIjLb1EEEEE10hipError_tT1_PNSt15iterator_traitsISG_E10value_typeET2_T3_PNSH_ISM_E10value_typeET4_T5_PSR_SS_PNS1_23onesweep_lookback_stateEbbT6_jjT7_P12ihipStream_tbENKUlT_T0_SG_SL_E_clIS7_S7_SB_SB_EEDaSZ_S10_SG_SL_EUlSZ_E_NS1_11comp_targetILNS1_3genE6ELNS1_11target_archE950ELNS1_3gpuE13ELNS1_3repE0EEENS1_47radix_sort_onesweep_sort_config_static_selectorELNS0_4arch9wavefront6targetE1EEEvSG_.num_agpr, 0
	.set _ZN7rocprim17ROCPRIM_400000_NS6detail17trampoline_kernelINS0_14default_configENS1_35radix_sort_onesweep_config_selectorIflEEZZNS1_29radix_sort_onesweep_iterationIS3_Lb0EPfS7_N6thrust23THRUST_200600_302600_NS10device_ptrIlEESB_jNS0_19identity_decomposerENS1_16block_id_wrapperIjLb1EEEEE10hipError_tT1_PNSt15iterator_traitsISG_E10value_typeET2_T3_PNSH_ISM_E10value_typeET4_T5_PSR_SS_PNS1_23onesweep_lookback_stateEbbT6_jjT7_P12ihipStream_tbENKUlT_T0_SG_SL_E_clIS7_S7_SB_SB_EEDaSZ_S10_SG_SL_EUlSZ_E_NS1_11comp_targetILNS1_3genE6ELNS1_11target_archE950ELNS1_3gpuE13ELNS1_3repE0EEENS1_47radix_sort_onesweep_sort_config_static_selectorELNS0_4arch9wavefront6targetE1EEEvSG_.numbered_sgpr, 0
	.set _ZN7rocprim17ROCPRIM_400000_NS6detail17trampoline_kernelINS0_14default_configENS1_35radix_sort_onesweep_config_selectorIflEEZZNS1_29radix_sort_onesweep_iterationIS3_Lb0EPfS7_N6thrust23THRUST_200600_302600_NS10device_ptrIlEESB_jNS0_19identity_decomposerENS1_16block_id_wrapperIjLb1EEEEE10hipError_tT1_PNSt15iterator_traitsISG_E10value_typeET2_T3_PNSH_ISM_E10value_typeET4_T5_PSR_SS_PNS1_23onesweep_lookback_stateEbbT6_jjT7_P12ihipStream_tbENKUlT_T0_SG_SL_E_clIS7_S7_SB_SB_EEDaSZ_S10_SG_SL_EUlSZ_E_NS1_11comp_targetILNS1_3genE6ELNS1_11target_archE950ELNS1_3gpuE13ELNS1_3repE0EEENS1_47radix_sort_onesweep_sort_config_static_selectorELNS0_4arch9wavefront6targetE1EEEvSG_.num_named_barrier, 0
	.set _ZN7rocprim17ROCPRIM_400000_NS6detail17trampoline_kernelINS0_14default_configENS1_35radix_sort_onesweep_config_selectorIflEEZZNS1_29radix_sort_onesweep_iterationIS3_Lb0EPfS7_N6thrust23THRUST_200600_302600_NS10device_ptrIlEESB_jNS0_19identity_decomposerENS1_16block_id_wrapperIjLb1EEEEE10hipError_tT1_PNSt15iterator_traitsISG_E10value_typeET2_T3_PNSH_ISM_E10value_typeET4_T5_PSR_SS_PNS1_23onesweep_lookback_stateEbbT6_jjT7_P12ihipStream_tbENKUlT_T0_SG_SL_E_clIS7_S7_SB_SB_EEDaSZ_S10_SG_SL_EUlSZ_E_NS1_11comp_targetILNS1_3genE6ELNS1_11target_archE950ELNS1_3gpuE13ELNS1_3repE0EEENS1_47radix_sort_onesweep_sort_config_static_selectorELNS0_4arch9wavefront6targetE1EEEvSG_.private_seg_size, 0
	.set _ZN7rocprim17ROCPRIM_400000_NS6detail17trampoline_kernelINS0_14default_configENS1_35radix_sort_onesweep_config_selectorIflEEZZNS1_29radix_sort_onesweep_iterationIS3_Lb0EPfS7_N6thrust23THRUST_200600_302600_NS10device_ptrIlEESB_jNS0_19identity_decomposerENS1_16block_id_wrapperIjLb1EEEEE10hipError_tT1_PNSt15iterator_traitsISG_E10value_typeET2_T3_PNSH_ISM_E10value_typeET4_T5_PSR_SS_PNS1_23onesweep_lookback_stateEbbT6_jjT7_P12ihipStream_tbENKUlT_T0_SG_SL_E_clIS7_S7_SB_SB_EEDaSZ_S10_SG_SL_EUlSZ_E_NS1_11comp_targetILNS1_3genE6ELNS1_11target_archE950ELNS1_3gpuE13ELNS1_3repE0EEENS1_47radix_sort_onesweep_sort_config_static_selectorELNS0_4arch9wavefront6targetE1EEEvSG_.uses_vcc, 0
	.set _ZN7rocprim17ROCPRIM_400000_NS6detail17trampoline_kernelINS0_14default_configENS1_35radix_sort_onesweep_config_selectorIflEEZZNS1_29radix_sort_onesweep_iterationIS3_Lb0EPfS7_N6thrust23THRUST_200600_302600_NS10device_ptrIlEESB_jNS0_19identity_decomposerENS1_16block_id_wrapperIjLb1EEEEE10hipError_tT1_PNSt15iterator_traitsISG_E10value_typeET2_T3_PNSH_ISM_E10value_typeET4_T5_PSR_SS_PNS1_23onesweep_lookback_stateEbbT6_jjT7_P12ihipStream_tbENKUlT_T0_SG_SL_E_clIS7_S7_SB_SB_EEDaSZ_S10_SG_SL_EUlSZ_E_NS1_11comp_targetILNS1_3genE6ELNS1_11target_archE950ELNS1_3gpuE13ELNS1_3repE0EEENS1_47radix_sort_onesweep_sort_config_static_selectorELNS0_4arch9wavefront6targetE1EEEvSG_.uses_flat_scratch, 0
	.set _ZN7rocprim17ROCPRIM_400000_NS6detail17trampoline_kernelINS0_14default_configENS1_35radix_sort_onesweep_config_selectorIflEEZZNS1_29radix_sort_onesweep_iterationIS3_Lb0EPfS7_N6thrust23THRUST_200600_302600_NS10device_ptrIlEESB_jNS0_19identity_decomposerENS1_16block_id_wrapperIjLb1EEEEE10hipError_tT1_PNSt15iterator_traitsISG_E10value_typeET2_T3_PNSH_ISM_E10value_typeET4_T5_PSR_SS_PNS1_23onesweep_lookback_stateEbbT6_jjT7_P12ihipStream_tbENKUlT_T0_SG_SL_E_clIS7_S7_SB_SB_EEDaSZ_S10_SG_SL_EUlSZ_E_NS1_11comp_targetILNS1_3genE6ELNS1_11target_archE950ELNS1_3gpuE13ELNS1_3repE0EEENS1_47radix_sort_onesweep_sort_config_static_selectorELNS0_4arch9wavefront6targetE1EEEvSG_.has_dyn_sized_stack, 0
	.set _ZN7rocprim17ROCPRIM_400000_NS6detail17trampoline_kernelINS0_14default_configENS1_35radix_sort_onesweep_config_selectorIflEEZZNS1_29radix_sort_onesweep_iterationIS3_Lb0EPfS7_N6thrust23THRUST_200600_302600_NS10device_ptrIlEESB_jNS0_19identity_decomposerENS1_16block_id_wrapperIjLb1EEEEE10hipError_tT1_PNSt15iterator_traitsISG_E10value_typeET2_T3_PNSH_ISM_E10value_typeET4_T5_PSR_SS_PNS1_23onesweep_lookback_stateEbbT6_jjT7_P12ihipStream_tbENKUlT_T0_SG_SL_E_clIS7_S7_SB_SB_EEDaSZ_S10_SG_SL_EUlSZ_E_NS1_11comp_targetILNS1_3genE6ELNS1_11target_archE950ELNS1_3gpuE13ELNS1_3repE0EEENS1_47radix_sort_onesweep_sort_config_static_selectorELNS0_4arch9wavefront6targetE1EEEvSG_.has_recursion, 0
	.set _ZN7rocprim17ROCPRIM_400000_NS6detail17trampoline_kernelINS0_14default_configENS1_35radix_sort_onesweep_config_selectorIflEEZZNS1_29radix_sort_onesweep_iterationIS3_Lb0EPfS7_N6thrust23THRUST_200600_302600_NS10device_ptrIlEESB_jNS0_19identity_decomposerENS1_16block_id_wrapperIjLb1EEEEE10hipError_tT1_PNSt15iterator_traitsISG_E10value_typeET2_T3_PNSH_ISM_E10value_typeET4_T5_PSR_SS_PNS1_23onesweep_lookback_stateEbbT6_jjT7_P12ihipStream_tbENKUlT_T0_SG_SL_E_clIS7_S7_SB_SB_EEDaSZ_S10_SG_SL_EUlSZ_E_NS1_11comp_targetILNS1_3genE6ELNS1_11target_archE950ELNS1_3gpuE13ELNS1_3repE0EEENS1_47radix_sort_onesweep_sort_config_static_selectorELNS0_4arch9wavefront6targetE1EEEvSG_.has_indirect_call, 0
	.section	.AMDGPU.csdata,"",@progbits
; Kernel info:
; codeLenInByte = 0
; TotalNumSgprs: 4
; NumVgprs: 0
; ScratchSize: 0
; MemoryBound: 0
; FloatMode: 240
; IeeeMode: 1
; LDSByteSize: 0 bytes/workgroup (compile time only)
; SGPRBlocks: 0
; VGPRBlocks: 0
; NumSGPRsForWavesPerEU: 4
; NumVGPRsForWavesPerEU: 1
; Occupancy: 10
; WaveLimiterHint : 0
; COMPUTE_PGM_RSRC2:SCRATCH_EN: 0
; COMPUTE_PGM_RSRC2:USER_SGPR: 6
; COMPUTE_PGM_RSRC2:TRAP_HANDLER: 0
; COMPUTE_PGM_RSRC2:TGID_X_EN: 1
; COMPUTE_PGM_RSRC2:TGID_Y_EN: 0
; COMPUTE_PGM_RSRC2:TGID_Z_EN: 0
; COMPUTE_PGM_RSRC2:TIDIG_COMP_CNT: 0
	.section	.text._ZN7rocprim17ROCPRIM_400000_NS6detail17trampoline_kernelINS0_14default_configENS1_35radix_sort_onesweep_config_selectorIflEEZZNS1_29radix_sort_onesweep_iterationIS3_Lb0EPfS7_N6thrust23THRUST_200600_302600_NS10device_ptrIlEESB_jNS0_19identity_decomposerENS1_16block_id_wrapperIjLb1EEEEE10hipError_tT1_PNSt15iterator_traitsISG_E10value_typeET2_T3_PNSH_ISM_E10value_typeET4_T5_PSR_SS_PNS1_23onesweep_lookback_stateEbbT6_jjT7_P12ihipStream_tbENKUlT_T0_SG_SL_E_clIS7_S7_SB_SB_EEDaSZ_S10_SG_SL_EUlSZ_E_NS1_11comp_targetILNS1_3genE5ELNS1_11target_archE942ELNS1_3gpuE9ELNS1_3repE0EEENS1_47radix_sort_onesweep_sort_config_static_selectorELNS0_4arch9wavefront6targetE1EEEvSG_,"axG",@progbits,_ZN7rocprim17ROCPRIM_400000_NS6detail17trampoline_kernelINS0_14default_configENS1_35radix_sort_onesweep_config_selectorIflEEZZNS1_29radix_sort_onesweep_iterationIS3_Lb0EPfS7_N6thrust23THRUST_200600_302600_NS10device_ptrIlEESB_jNS0_19identity_decomposerENS1_16block_id_wrapperIjLb1EEEEE10hipError_tT1_PNSt15iterator_traitsISG_E10value_typeET2_T3_PNSH_ISM_E10value_typeET4_T5_PSR_SS_PNS1_23onesweep_lookback_stateEbbT6_jjT7_P12ihipStream_tbENKUlT_T0_SG_SL_E_clIS7_S7_SB_SB_EEDaSZ_S10_SG_SL_EUlSZ_E_NS1_11comp_targetILNS1_3genE5ELNS1_11target_archE942ELNS1_3gpuE9ELNS1_3repE0EEENS1_47radix_sort_onesweep_sort_config_static_selectorELNS0_4arch9wavefront6targetE1EEEvSG_,comdat
	.protected	_ZN7rocprim17ROCPRIM_400000_NS6detail17trampoline_kernelINS0_14default_configENS1_35radix_sort_onesweep_config_selectorIflEEZZNS1_29radix_sort_onesweep_iterationIS3_Lb0EPfS7_N6thrust23THRUST_200600_302600_NS10device_ptrIlEESB_jNS0_19identity_decomposerENS1_16block_id_wrapperIjLb1EEEEE10hipError_tT1_PNSt15iterator_traitsISG_E10value_typeET2_T3_PNSH_ISM_E10value_typeET4_T5_PSR_SS_PNS1_23onesweep_lookback_stateEbbT6_jjT7_P12ihipStream_tbENKUlT_T0_SG_SL_E_clIS7_S7_SB_SB_EEDaSZ_S10_SG_SL_EUlSZ_E_NS1_11comp_targetILNS1_3genE5ELNS1_11target_archE942ELNS1_3gpuE9ELNS1_3repE0EEENS1_47radix_sort_onesweep_sort_config_static_selectorELNS0_4arch9wavefront6targetE1EEEvSG_ ; -- Begin function _ZN7rocprim17ROCPRIM_400000_NS6detail17trampoline_kernelINS0_14default_configENS1_35radix_sort_onesweep_config_selectorIflEEZZNS1_29radix_sort_onesweep_iterationIS3_Lb0EPfS7_N6thrust23THRUST_200600_302600_NS10device_ptrIlEESB_jNS0_19identity_decomposerENS1_16block_id_wrapperIjLb1EEEEE10hipError_tT1_PNSt15iterator_traitsISG_E10value_typeET2_T3_PNSH_ISM_E10value_typeET4_T5_PSR_SS_PNS1_23onesweep_lookback_stateEbbT6_jjT7_P12ihipStream_tbENKUlT_T0_SG_SL_E_clIS7_S7_SB_SB_EEDaSZ_S10_SG_SL_EUlSZ_E_NS1_11comp_targetILNS1_3genE5ELNS1_11target_archE942ELNS1_3gpuE9ELNS1_3repE0EEENS1_47radix_sort_onesweep_sort_config_static_selectorELNS0_4arch9wavefront6targetE1EEEvSG_
	.globl	_ZN7rocprim17ROCPRIM_400000_NS6detail17trampoline_kernelINS0_14default_configENS1_35radix_sort_onesweep_config_selectorIflEEZZNS1_29radix_sort_onesweep_iterationIS3_Lb0EPfS7_N6thrust23THRUST_200600_302600_NS10device_ptrIlEESB_jNS0_19identity_decomposerENS1_16block_id_wrapperIjLb1EEEEE10hipError_tT1_PNSt15iterator_traitsISG_E10value_typeET2_T3_PNSH_ISM_E10value_typeET4_T5_PSR_SS_PNS1_23onesweep_lookback_stateEbbT6_jjT7_P12ihipStream_tbENKUlT_T0_SG_SL_E_clIS7_S7_SB_SB_EEDaSZ_S10_SG_SL_EUlSZ_E_NS1_11comp_targetILNS1_3genE5ELNS1_11target_archE942ELNS1_3gpuE9ELNS1_3repE0EEENS1_47radix_sort_onesweep_sort_config_static_selectorELNS0_4arch9wavefront6targetE1EEEvSG_
	.p2align	8
	.type	_ZN7rocprim17ROCPRIM_400000_NS6detail17trampoline_kernelINS0_14default_configENS1_35radix_sort_onesweep_config_selectorIflEEZZNS1_29radix_sort_onesweep_iterationIS3_Lb0EPfS7_N6thrust23THRUST_200600_302600_NS10device_ptrIlEESB_jNS0_19identity_decomposerENS1_16block_id_wrapperIjLb1EEEEE10hipError_tT1_PNSt15iterator_traitsISG_E10value_typeET2_T3_PNSH_ISM_E10value_typeET4_T5_PSR_SS_PNS1_23onesweep_lookback_stateEbbT6_jjT7_P12ihipStream_tbENKUlT_T0_SG_SL_E_clIS7_S7_SB_SB_EEDaSZ_S10_SG_SL_EUlSZ_E_NS1_11comp_targetILNS1_3genE5ELNS1_11target_archE942ELNS1_3gpuE9ELNS1_3repE0EEENS1_47radix_sort_onesweep_sort_config_static_selectorELNS0_4arch9wavefront6targetE1EEEvSG_,@function
_ZN7rocprim17ROCPRIM_400000_NS6detail17trampoline_kernelINS0_14default_configENS1_35radix_sort_onesweep_config_selectorIflEEZZNS1_29radix_sort_onesweep_iterationIS3_Lb0EPfS7_N6thrust23THRUST_200600_302600_NS10device_ptrIlEESB_jNS0_19identity_decomposerENS1_16block_id_wrapperIjLb1EEEEE10hipError_tT1_PNSt15iterator_traitsISG_E10value_typeET2_T3_PNSH_ISM_E10value_typeET4_T5_PSR_SS_PNS1_23onesweep_lookback_stateEbbT6_jjT7_P12ihipStream_tbENKUlT_T0_SG_SL_E_clIS7_S7_SB_SB_EEDaSZ_S10_SG_SL_EUlSZ_E_NS1_11comp_targetILNS1_3genE5ELNS1_11target_archE942ELNS1_3gpuE9ELNS1_3repE0EEENS1_47radix_sort_onesweep_sort_config_static_selectorELNS0_4arch9wavefront6targetE1EEEvSG_: ; @_ZN7rocprim17ROCPRIM_400000_NS6detail17trampoline_kernelINS0_14default_configENS1_35radix_sort_onesweep_config_selectorIflEEZZNS1_29radix_sort_onesweep_iterationIS3_Lb0EPfS7_N6thrust23THRUST_200600_302600_NS10device_ptrIlEESB_jNS0_19identity_decomposerENS1_16block_id_wrapperIjLb1EEEEE10hipError_tT1_PNSt15iterator_traitsISG_E10value_typeET2_T3_PNSH_ISM_E10value_typeET4_T5_PSR_SS_PNS1_23onesweep_lookback_stateEbbT6_jjT7_P12ihipStream_tbENKUlT_T0_SG_SL_E_clIS7_S7_SB_SB_EEDaSZ_S10_SG_SL_EUlSZ_E_NS1_11comp_targetILNS1_3genE5ELNS1_11target_archE942ELNS1_3gpuE9ELNS1_3repE0EEENS1_47radix_sort_onesweep_sort_config_static_selectorELNS0_4arch9wavefront6targetE1EEEvSG_
; %bb.0:
	.section	.rodata,"a",@progbits
	.p2align	6, 0x0
	.amdhsa_kernel _ZN7rocprim17ROCPRIM_400000_NS6detail17trampoline_kernelINS0_14default_configENS1_35radix_sort_onesweep_config_selectorIflEEZZNS1_29radix_sort_onesweep_iterationIS3_Lb0EPfS7_N6thrust23THRUST_200600_302600_NS10device_ptrIlEESB_jNS0_19identity_decomposerENS1_16block_id_wrapperIjLb1EEEEE10hipError_tT1_PNSt15iterator_traitsISG_E10value_typeET2_T3_PNSH_ISM_E10value_typeET4_T5_PSR_SS_PNS1_23onesweep_lookback_stateEbbT6_jjT7_P12ihipStream_tbENKUlT_T0_SG_SL_E_clIS7_S7_SB_SB_EEDaSZ_S10_SG_SL_EUlSZ_E_NS1_11comp_targetILNS1_3genE5ELNS1_11target_archE942ELNS1_3gpuE9ELNS1_3repE0EEENS1_47radix_sort_onesweep_sort_config_static_selectorELNS0_4arch9wavefront6targetE1EEEvSG_
		.amdhsa_group_segment_fixed_size 0
		.amdhsa_private_segment_fixed_size 0
		.amdhsa_kernarg_size 88
		.amdhsa_user_sgpr_count 6
		.amdhsa_user_sgpr_private_segment_buffer 1
		.amdhsa_user_sgpr_dispatch_ptr 0
		.amdhsa_user_sgpr_queue_ptr 0
		.amdhsa_user_sgpr_kernarg_segment_ptr 1
		.amdhsa_user_sgpr_dispatch_id 0
		.amdhsa_user_sgpr_flat_scratch_init 0
		.amdhsa_user_sgpr_private_segment_size 0
		.amdhsa_uses_dynamic_stack 0
		.amdhsa_system_sgpr_private_segment_wavefront_offset 0
		.amdhsa_system_sgpr_workgroup_id_x 1
		.amdhsa_system_sgpr_workgroup_id_y 0
		.amdhsa_system_sgpr_workgroup_id_z 0
		.amdhsa_system_sgpr_workgroup_info 0
		.amdhsa_system_vgpr_workitem_id 0
		.amdhsa_next_free_vgpr 1
		.amdhsa_next_free_sgpr 0
		.amdhsa_reserve_vcc 0
		.amdhsa_reserve_flat_scratch 0
		.amdhsa_float_round_mode_32 0
		.amdhsa_float_round_mode_16_64 0
		.amdhsa_float_denorm_mode_32 3
		.amdhsa_float_denorm_mode_16_64 3
		.amdhsa_dx10_clamp 1
		.amdhsa_ieee_mode 1
		.amdhsa_fp16_overflow 0
		.amdhsa_exception_fp_ieee_invalid_op 0
		.amdhsa_exception_fp_denorm_src 0
		.amdhsa_exception_fp_ieee_div_zero 0
		.amdhsa_exception_fp_ieee_overflow 0
		.amdhsa_exception_fp_ieee_underflow 0
		.amdhsa_exception_fp_ieee_inexact 0
		.amdhsa_exception_int_div_zero 0
	.end_amdhsa_kernel
	.section	.text._ZN7rocprim17ROCPRIM_400000_NS6detail17trampoline_kernelINS0_14default_configENS1_35radix_sort_onesweep_config_selectorIflEEZZNS1_29radix_sort_onesweep_iterationIS3_Lb0EPfS7_N6thrust23THRUST_200600_302600_NS10device_ptrIlEESB_jNS0_19identity_decomposerENS1_16block_id_wrapperIjLb1EEEEE10hipError_tT1_PNSt15iterator_traitsISG_E10value_typeET2_T3_PNSH_ISM_E10value_typeET4_T5_PSR_SS_PNS1_23onesweep_lookback_stateEbbT6_jjT7_P12ihipStream_tbENKUlT_T0_SG_SL_E_clIS7_S7_SB_SB_EEDaSZ_S10_SG_SL_EUlSZ_E_NS1_11comp_targetILNS1_3genE5ELNS1_11target_archE942ELNS1_3gpuE9ELNS1_3repE0EEENS1_47radix_sort_onesweep_sort_config_static_selectorELNS0_4arch9wavefront6targetE1EEEvSG_,"axG",@progbits,_ZN7rocprim17ROCPRIM_400000_NS6detail17trampoline_kernelINS0_14default_configENS1_35radix_sort_onesweep_config_selectorIflEEZZNS1_29radix_sort_onesweep_iterationIS3_Lb0EPfS7_N6thrust23THRUST_200600_302600_NS10device_ptrIlEESB_jNS0_19identity_decomposerENS1_16block_id_wrapperIjLb1EEEEE10hipError_tT1_PNSt15iterator_traitsISG_E10value_typeET2_T3_PNSH_ISM_E10value_typeET4_T5_PSR_SS_PNS1_23onesweep_lookback_stateEbbT6_jjT7_P12ihipStream_tbENKUlT_T0_SG_SL_E_clIS7_S7_SB_SB_EEDaSZ_S10_SG_SL_EUlSZ_E_NS1_11comp_targetILNS1_3genE5ELNS1_11target_archE942ELNS1_3gpuE9ELNS1_3repE0EEENS1_47radix_sort_onesweep_sort_config_static_selectorELNS0_4arch9wavefront6targetE1EEEvSG_,comdat
.Lfunc_end1836:
	.size	_ZN7rocprim17ROCPRIM_400000_NS6detail17trampoline_kernelINS0_14default_configENS1_35radix_sort_onesweep_config_selectorIflEEZZNS1_29radix_sort_onesweep_iterationIS3_Lb0EPfS7_N6thrust23THRUST_200600_302600_NS10device_ptrIlEESB_jNS0_19identity_decomposerENS1_16block_id_wrapperIjLb1EEEEE10hipError_tT1_PNSt15iterator_traitsISG_E10value_typeET2_T3_PNSH_ISM_E10value_typeET4_T5_PSR_SS_PNS1_23onesweep_lookback_stateEbbT6_jjT7_P12ihipStream_tbENKUlT_T0_SG_SL_E_clIS7_S7_SB_SB_EEDaSZ_S10_SG_SL_EUlSZ_E_NS1_11comp_targetILNS1_3genE5ELNS1_11target_archE942ELNS1_3gpuE9ELNS1_3repE0EEENS1_47radix_sort_onesweep_sort_config_static_selectorELNS0_4arch9wavefront6targetE1EEEvSG_, .Lfunc_end1836-_ZN7rocprim17ROCPRIM_400000_NS6detail17trampoline_kernelINS0_14default_configENS1_35radix_sort_onesweep_config_selectorIflEEZZNS1_29radix_sort_onesweep_iterationIS3_Lb0EPfS7_N6thrust23THRUST_200600_302600_NS10device_ptrIlEESB_jNS0_19identity_decomposerENS1_16block_id_wrapperIjLb1EEEEE10hipError_tT1_PNSt15iterator_traitsISG_E10value_typeET2_T3_PNSH_ISM_E10value_typeET4_T5_PSR_SS_PNS1_23onesweep_lookback_stateEbbT6_jjT7_P12ihipStream_tbENKUlT_T0_SG_SL_E_clIS7_S7_SB_SB_EEDaSZ_S10_SG_SL_EUlSZ_E_NS1_11comp_targetILNS1_3genE5ELNS1_11target_archE942ELNS1_3gpuE9ELNS1_3repE0EEENS1_47radix_sort_onesweep_sort_config_static_selectorELNS0_4arch9wavefront6targetE1EEEvSG_
                                        ; -- End function
	.set _ZN7rocprim17ROCPRIM_400000_NS6detail17trampoline_kernelINS0_14default_configENS1_35radix_sort_onesweep_config_selectorIflEEZZNS1_29radix_sort_onesweep_iterationIS3_Lb0EPfS7_N6thrust23THRUST_200600_302600_NS10device_ptrIlEESB_jNS0_19identity_decomposerENS1_16block_id_wrapperIjLb1EEEEE10hipError_tT1_PNSt15iterator_traitsISG_E10value_typeET2_T3_PNSH_ISM_E10value_typeET4_T5_PSR_SS_PNS1_23onesweep_lookback_stateEbbT6_jjT7_P12ihipStream_tbENKUlT_T0_SG_SL_E_clIS7_S7_SB_SB_EEDaSZ_S10_SG_SL_EUlSZ_E_NS1_11comp_targetILNS1_3genE5ELNS1_11target_archE942ELNS1_3gpuE9ELNS1_3repE0EEENS1_47radix_sort_onesweep_sort_config_static_selectorELNS0_4arch9wavefront6targetE1EEEvSG_.num_vgpr, 0
	.set _ZN7rocprim17ROCPRIM_400000_NS6detail17trampoline_kernelINS0_14default_configENS1_35radix_sort_onesweep_config_selectorIflEEZZNS1_29radix_sort_onesweep_iterationIS3_Lb0EPfS7_N6thrust23THRUST_200600_302600_NS10device_ptrIlEESB_jNS0_19identity_decomposerENS1_16block_id_wrapperIjLb1EEEEE10hipError_tT1_PNSt15iterator_traitsISG_E10value_typeET2_T3_PNSH_ISM_E10value_typeET4_T5_PSR_SS_PNS1_23onesweep_lookback_stateEbbT6_jjT7_P12ihipStream_tbENKUlT_T0_SG_SL_E_clIS7_S7_SB_SB_EEDaSZ_S10_SG_SL_EUlSZ_E_NS1_11comp_targetILNS1_3genE5ELNS1_11target_archE942ELNS1_3gpuE9ELNS1_3repE0EEENS1_47radix_sort_onesweep_sort_config_static_selectorELNS0_4arch9wavefront6targetE1EEEvSG_.num_agpr, 0
	.set _ZN7rocprim17ROCPRIM_400000_NS6detail17trampoline_kernelINS0_14default_configENS1_35radix_sort_onesweep_config_selectorIflEEZZNS1_29radix_sort_onesweep_iterationIS3_Lb0EPfS7_N6thrust23THRUST_200600_302600_NS10device_ptrIlEESB_jNS0_19identity_decomposerENS1_16block_id_wrapperIjLb1EEEEE10hipError_tT1_PNSt15iterator_traitsISG_E10value_typeET2_T3_PNSH_ISM_E10value_typeET4_T5_PSR_SS_PNS1_23onesweep_lookback_stateEbbT6_jjT7_P12ihipStream_tbENKUlT_T0_SG_SL_E_clIS7_S7_SB_SB_EEDaSZ_S10_SG_SL_EUlSZ_E_NS1_11comp_targetILNS1_3genE5ELNS1_11target_archE942ELNS1_3gpuE9ELNS1_3repE0EEENS1_47radix_sort_onesweep_sort_config_static_selectorELNS0_4arch9wavefront6targetE1EEEvSG_.numbered_sgpr, 0
	.set _ZN7rocprim17ROCPRIM_400000_NS6detail17trampoline_kernelINS0_14default_configENS1_35radix_sort_onesweep_config_selectorIflEEZZNS1_29radix_sort_onesweep_iterationIS3_Lb0EPfS7_N6thrust23THRUST_200600_302600_NS10device_ptrIlEESB_jNS0_19identity_decomposerENS1_16block_id_wrapperIjLb1EEEEE10hipError_tT1_PNSt15iterator_traitsISG_E10value_typeET2_T3_PNSH_ISM_E10value_typeET4_T5_PSR_SS_PNS1_23onesweep_lookback_stateEbbT6_jjT7_P12ihipStream_tbENKUlT_T0_SG_SL_E_clIS7_S7_SB_SB_EEDaSZ_S10_SG_SL_EUlSZ_E_NS1_11comp_targetILNS1_3genE5ELNS1_11target_archE942ELNS1_3gpuE9ELNS1_3repE0EEENS1_47radix_sort_onesweep_sort_config_static_selectorELNS0_4arch9wavefront6targetE1EEEvSG_.num_named_barrier, 0
	.set _ZN7rocprim17ROCPRIM_400000_NS6detail17trampoline_kernelINS0_14default_configENS1_35radix_sort_onesweep_config_selectorIflEEZZNS1_29radix_sort_onesweep_iterationIS3_Lb0EPfS7_N6thrust23THRUST_200600_302600_NS10device_ptrIlEESB_jNS0_19identity_decomposerENS1_16block_id_wrapperIjLb1EEEEE10hipError_tT1_PNSt15iterator_traitsISG_E10value_typeET2_T3_PNSH_ISM_E10value_typeET4_T5_PSR_SS_PNS1_23onesweep_lookback_stateEbbT6_jjT7_P12ihipStream_tbENKUlT_T0_SG_SL_E_clIS7_S7_SB_SB_EEDaSZ_S10_SG_SL_EUlSZ_E_NS1_11comp_targetILNS1_3genE5ELNS1_11target_archE942ELNS1_3gpuE9ELNS1_3repE0EEENS1_47radix_sort_onesweep_sort_config_static_selectorELNS0_4arch9wavefront6targetE1EEEvSG_.private_seg_size, 0
	.set _ZN7rocprim17ROCPRIM_400000_NS6detail17trampoline_kernelINS0_14default_configENS1_35radix_sort_onesweep_config_selectorIflEEZZNS1_29radix_sort_onesweep_iterationIS3_Lb0EPfS7_N6thrust23THRUST_200600_302600_NS10device_ptrIlEESB_jNS0_19identity_decomposerENS1_16block_id_wrapperIjLb1EEEEE10hipError_tT1_PNSt15iterator_traitsISG_E10value_typeET2_T3_PNSH_ISM_E10value_typeET4_T5_PSR_SS_PNS1_23onesweep_lookback_stateEbbT6_jjT7_P12ihipStream_tbENKUlT_T0_SG_SL_E_clIS7_S7_SB_SB_EEDaSZ_S10_SG_SL_EUlSZ_E_NS1_11comp_targetILNS1_3genE5ELNS1_11target_archE942ELNS1_3gpuE9ELNS1_3repE0EEENS1_47radix_sort_onesweep_sort_config_static_selectorELNS0_4arch9wavefront6targetE1EEEvSG_.uses_vcc, 0
	.set _ZN7rocprim17ROCPRIM_400000_NS6detail17trampoline_kernelINS0_14default_configENS1_35radix_sort_onesweep_config_selectorIflEEZZNS1_29radix_sort_onesweep_iterationIS3_Lb0EPfS7_N6thrust23THRUST_200600_302600_NS10device_ptrIlEESB_jNS0_19identity_decomposerENS1_16block_id_wrapperIjLb1EEEEE10hipError_tT1_PNSt15iterator_traitsISG_E10value_typeET2_T3_PNSH_ISM_E10value_typeET4_T5_PSR_SS_PNS1_23onesweep_lookback_stateEbbT6_jjT7_P12ihipStream_tbENKUlT_T0_SG_SL_E_clIS7_S7_SB_SB_EEDaSZ_S10_SG_SL_EUlSZ_E_NS1_11comp_targetILNS1_3genE5ELNS1_11target_archE942ELNS1_3gpuE9ELNS1_3repE0EEENS1_47radix_sort_onesweep_sort_config_static_selectorELNS0_4arch9wavefront6targetE1EEEvSG_.uses_flat_scratch, 0
	.set _ZN7rocprim17ROCPRIM_400000_NS6detail17trampoline_kernelINS0_14default_configENS1_35radix_sort_onesweep_config_selectorIflEEZZNS1_29radix_sort_onesweep_iterationIS3_Lb0EPfS7_N6thrust23THRUST_200600_302600_NS10device_ptrIlEESB_jNS0_19identity_decomposerENS1_16block_id_wrapperIjLb1EEEEE10hipError_tT1_PNSt15iterator_traitsISG_E10value_typeET2_T3_PNSH_ISM_E10value_typeET4_T5_PSR_SS_PNS1_23onesweep_lookback_stateEbbT6_jjT7_P12ihipStream_tbENKUlT_T0_SG_SL_E_clIS7_S7_SB_SB_EEDaSZ_S10_SG_SL_EUlSZ_E_NS1_11comp_targetILNS1_3genE5ELNS1_11target_archE942ELNS1_3gpuE9ELNS1_3repE0EEENS1_47radix_sort_onesweep_sort_config_static_selectorELNS0_4arch9wavefront6targetE1EEEvSG_.has_dyn_sized_stack, 0
	.set _ZN7rocprim17ROCPRIM_400000_NS6detail17trampoline_kernelINS0_14default_configENS1_35radix_sort_onesweep_config_selectorIflEEZZNS1_29radix_sort_onesweep_iterationIS3_Lb0EPfS7_N6thrust23THRUST_200600_302600_NS10device_ptrIlEESB_jNS0_19identity_decomposerENS1_16block_id_wrapperIjLb1EEEEE10hipError_tT1_PNSt15iterator_traitsISG_E10value_typeET2_T3_PNSH_ISM_E10value_typeET4_T5_PSR_SS_PNS1_23onesweep_lookback_stateEbbT6_jjT7_P12ihipStream_tbENKUlT_T0_SG_SL_E_clIS7_S7_SB_SB_EEDaSZ_S10_SG_SL_EUlSZ_E_NS1_11comp_targetILNS1_3genE5ELNS1_11target_archE942ELNS1_3gpuE9ELNS1_3repE0EEENS1_47radix_sort_onesweep_sort_config_static_selectorELNS0_4arch9wavefront6targetE1EEEvSG_.has_recursion, 0
	.set _ZN7rocprim17ROCPRIM_400000_NS6detail17trampoline_kernelINS0_14default_configENS1_35radix_sort_onesweep_config_selectorIflEEZZNS1_29radix_sort_onesweep_iterationIS3_Lb0EPfS7_N6thrust23THRUST_200600_302600_NS10device_ptrIlEESB_jNS0_19identity_decomposerENS1_16block_id_wrapperIjLb1EEEEE10hipError_tT1_PNSt15iterator_traitsISG_E10value_typeET2_T3_PNSH_ISM_E10value_typeET4_T5_PSR_SS_PNS1_23onesweep_lookback_stateEbbT6_jjT7_P12ihipStream_tbENKUlT_T0_SG_SL_E_clIS7_S7_SB_SB_EEDaSZ_S10_SG_SL_EUlSZ_E_NS1_11comp_targetILNS1_3genE5ELNS1_11target_archE942ELNS1_3gpuE9ELNS1_3repE0EEENS1_47radix_sort_onesweep_sort_config_static_selectorELNS0_4arch9wavefront6targetE1EEEvSG_.has_indirect_call, 0
	.section	.AMDGPU.csdata,"",@progbits
; Kernel info:
; codeLenInByte = 0
; TotalNumSgprs: 4
; NumVgprs: 0
; ScratchSize: 0
; MemoryBound: 0
; FloatMode: 240
; IeeeMode: 1
; LDSByteSize: 0 bytes/workgroup (compile time only)
; SGPRBlocks: 0
; VGPRBlocks: 0
; NumSGPRsForWavesPerEU: 4
; NumVGPRsForWavesPerEU: 1
; Occupancy: 10
; WaveLimiterHint : 0
; COMPUTE_PGM_RSRC2:SCRATCH_EN: 0
; COMPUTE_PGM_RSRC2:USER_SGPR: 6
; COMPUTE_PGM_RSRC2:TRAP_HANDLER: 0
; COMPUTE_PGM_RSRC2:TGID_X_EN: 1
; COMPUTE_PGM_RSRC2:TGID_Y_EN: 0
; COMPUTE_PGM_RSRC2:TGID_Z_EN: 0
; COMPUTE_PGM_RSRC2:TIDIG_COMP_CNT: 0
	.section	.text._ZN7rocprim17ROCPRIM_400000_NS6detail17trampoline_kernelINS0_14default_configENS1_35radix_sort_onesweep_config_selectorIflEEZZNS1_29radix_sort_onesweep_iterationIS3_Lb0EPfS7_N6thrust23THRUST_200600_302600_NS10device_ptrIlEESB_jNS0_19identity_decomposerENS1_16block_id_wrapperIjLb1EEEEE10hipError_tT1_PNSt15iterator_traitsISG_E10value_typeET2_T3_PNSH_ISM_E10value_typeET4_T5_PSR_SS_PNS1_23onesweep_lookback_stateEbbT6_jjT7_P12ihipStream_tbENKUlT_T0_SG_SL_E_clIS7_S7_SB_SB_EEDaSZ_S10_SG_SL_EUlSZ_E_NS1_11comp_targetILNS1_3genE2ELNS1_11target_archE906ELNS1_3gpuE6ELNS1_3repE0EEENS1_47radix_sort_onesweep_sort_config_static_selectorELNS0_4arch9wavefront6targetE1EEEvSG_,"axG",@progbits,_ZN7rocprim17ROCPRIM_400000_NS6detail17trampoline_kernelINS0_14default_configENS1_35radix_sort_onesweep_config_selectorIflEEZZNS1_29radix_sort_onesweep_iterationIS3_Lb0EPfS7_N6thrust23THRUST_200600_302600_NS10device_ptrIlEESB_jNS0_19identity_decomposerENS1_16block_id_wrapperIjLb1EEEEE10hipError_tT1_PNSt15iterator_traitsISG_E10value_typeET2_T3_PNSH_ISM_E10value_typeET4_T5_PSR_SS_PNS1_23onesweep_lookback_stateEbbT6_jjT7_P12ihipStream_tbENKUlT_T0_SG_SL_E_clIS7_S7_SB_SB_EEDaSZ_S10_SG_SL_EUlSZ_E_NS1_11comp_targetILNS1_3genE2ELNS1_11target_archE906ELNS1_3gpuE6ELNS1_3repE0EEENS1_47radix_sort_onesweep_sort_config_static_selectorELNS0_4arch9wavefront6targetE1EEEvSG_,comdat
	.protected	_ZN7rocprim17ROCPRIM_400000_NS6detail17trampoline_kernelINS0_14default_configENS1_35radix_sort_onesweep_config_selectorIflEEZZNS1_29radix_sort_onesweep_iterationIS3_Lb0EPfS7_N6thrust23THRUST_200600_302600_NS10device_ptrIlEESB_jNS0_19identity_decomposerENS1_16block_id_wrapperIjLb1EEEEE10hipError_tT1_PNSt15iterator_traitsISG_E10value_typeET2_T3_PNSH_ISM_E10value_typeET4_T5_PSR_SS_PNS1_23onesweep_lookback_stateEbbT6_jjT7_P12ihipStream_tbENKUlT_T0_SG_SL_E_clIS7_S7_SB_SB_EEDaSZ_S10_SG_SL_EUlSZ_E_NS1_11comp_targetILNS1_3genE2ELNS1_11target_archE906ELNS1_3gpuE6ELNS1_3repE0EEENS1_47radix_sort_onesweep_sort_config_static_selectorELNS0_4arch9wavefront6targetE1EEEvSG_ ; -- Begin function _ZN7rocprim17ROCPRIM_400000_NS6detail17trampoline_kernelINS0_14default_configENS1_35radix_sort_onesweep_config_selectorIflEEZZNS1_29radix_sort_onesweep_iterationIS3_Lb0EPfS7_N6thrust23THRUST_200600_302600_NS10device_ptrIlEESB_jNS0_19identity_decomposerENS1_16block_id_wrapperIjLb1EEEEE10hipError_tT1_PNSt15iterator_traitsISG_E10value_typeET2_T3_PNSH_ISM_E10value_typeET4_T5_PSR_SS_PNS1_23onesweep_lookback_stateEbbT6_jjT7_P12ihipStream_tbENKUlT_T0_SG_SL_E_clIS7_S7_SB_SB_EEDaSZ_S10_SG_SL_EUlSZ_E_NS1_11comp_targetILNS1_3genE2ELNS1_11target_archE906ELNS1_3gpuE6ELNS1_3repE0EEENS1_47radix_sort_onesweep_sort_config_static_selectorELNS0_4arch9wavefront6targetE1EEEvSG_
	.globl	_ZN7rocprim17ROCPRIM_400000_NS6detail17trampoline_kernelINS0_14default_configENS1_35radix_sort_onesweep_config_selectorIflEEZZNS1_29radix_sort_onesweep_iterationIS3_Lb0EPfS7_N6thrust23THRUST_200600_302600_NS10device_ptrIlEESB_jNS0_19identity_decomposerENS1_16block_id_wrapperIjLb1EEEEE10hipError_tT1_PNSt15iterator_traitsISG_E10value_typeET2_T3_PNSH_ISM_E10value_typeET4_T5_PSR_SS_PNS1_23onesweep_lookback_stateEbbT6_jjT7_P12ihipStream_tbENKUlT_T0_SG_SL_E_clIS7_S7_SB_SB_EEDaSZ_S10_SG_SL_EUlSZ_E_NS1_11comp_targetILNS1_3genE2ELNS1_11target_archE906ELNS1_3gpuE6ELNS1_3repE0EEENS1_47radix_sort_onesweep_sort_config_static_selectorELNS0_4arch9wavefront6targetE1EEEvSG_
	.p2align	8
	.type	_ZN7rocprim17ROCPRIM_400000_NS6detail17trampoline_kernelINS0_14default_configENS1_35radix_sort_onesweep_config_selectorIflEEZZNS1_29radix_sort_onesweep_iterationIS3_Lb0EPfS7_N6thrust23THRUST_200600_302600_NS10device_ptrIlEESB_jNS0_19identity_decomposerENS1_16block_id_wrapperIjLb1EEEEE10hipError_tT1_PNSt15iterator_traitsISG_E10value_typeET2_T3_PNSH_ISM_E10value_typeET4_T5_PSR_SS_PNS1_23onesweep_lookback_stateEbbT6_jjT7_P12ihipStream_tbENKUlT_T0_SG_SL_E_clIS7_S7_SB_SB_EEDaSZ_S10_SG_SL_EUlSZ_E_NS1_11comp_targetILNS1_3genE2ELNS1_11target_archE906ELNS1_3gpuE6ELNS1_3repE0EEENS1_47radix_sort_onesweep_sort_config_static_selectorELNS0_4arch9wavefront6targetE1EEEvSG_,@function
_ZN7rocprim17ROCPRIM_400000_NS6detail17trampoline_kernelINS0_14default_configENS1_35radix_sort_onesweep_config_selectorIflEEZZNS1_29radix_sort_onesweep_iterationIS3_Lb0EPfS7_N6thrust23THRUST_200600_302600_NS10device_ptrIlEESB_jNS0_19identity_decomposerENS1_16block_id_wrapperIjLb1EEEEE10hipError_tT1_PNSt15iterator_traitsISG_E10value_typeET2_T3_PNSH_ISM_E10value_typeET4_T5_PSR_SS_PNS1_23onesweep_lookback_stateEbbT6_jjT7_P12ihipStream_tbENKUlT_T0_SG_SL_E_clIS7_S7_SB_SB_EEDaSZ_S10_SG_SL_EUlSZ_E_NS1_11comp_targetILNS1_3genE2ELNS1_11target_archE906ELNS1_3gpuE6ELNS1_3repE0EEENS1_47radix_sort_onesweep_sort_config_static_selectorELNS0_4arch9wavefront6targetE1EEEvSG_: ; @_ZN7rocprim17ROCPRIM_400000_NS6detail17trampoline_kernelINS0_14default_configENS1_35radix_sort_onesweep_config_selectorIflEEZZNS1_29radix_sort_onesweep_iterationIS3_Lb0EPfS7_N6thrust23THRUST_200600_302600_NS10device_ptrIlEESB_jNS0_19identity_decomposerENS1_16block_id_wrapperIjLb1EEEEE10hipError_tT1_PNSt15iterator_traitsISG_E10value_typeET2_T3_PNSH_ISM_E10value_typeET4_T5_PSR_SS_PNS1_23onesweep_lookback_stateEbbT6_jjT7_P12ihipStream_tbENKUlT_T0_SG_SL_E_clIS7_S7_SB_SB_EEDaSZ_S10_SG_SL_EUlSZ_E_NS1_11comp_targetILNS1_3genE2ELNS1_11target_archE906ELNS1_3gpuE6ELNS1_3repE0EEENS1_47radix_sort_onesweep_sort_config_static_selectorELNS0_4arch9wavefront6targetE1EEEvSG_
; %bb.0:
	s_load_dwordx4 s[44:47], s[4:5], 0x28
	s_load_dwordx2 s[30:31], s[4:5], 0x38
	s_load_dwordx4 s[48:51], s[4:5], 0x44
	s_add_u32 s0, s0, s7
	s_addc_u32 s1, s1, 0
	v_cmp_eq_u32_e64 s[26:27], 0, v0
	s_and_saveexec_b64 s[8:9], s[26:27]
	s_cbranch_execz .LBB1837_4
; %bb.1:
	s_mov_b64 s[12:13], exec
	v_mbcnt_lo_u32_b32 v3, s12, 0
	v_mbcnt_hi_u32_b32 v3, s13, v3
	v_cmp_eq_u32_e32 vcc, 0, v3
                                        ; implicit-def: $vgpr4
	s_and_saveexec_b64 s[10:11], vcc
	s_cbranch_execz .LBB1837_3
; %bb.2:
	s_load_dwordx2 s[14:15], s[4:5], 0x50
	s_bcnt1_i32_b64 s7, s[12:13]
	v_mov_b32_e32 v4, 0
	v_mov_b32_e32 v5, s7
	s_waitcnt lgkmcnt(0)
	global_atomic_add v4, v4, v5, s[14:15] glc
.LBB1837_3:
	s_or_b64 exec, exec, s[10:11]
	s_waitcnt vmcnt(0)
	v_readfirstlane_b32 s7, v4
	v_add_u32_e32 v3, s7, v3
	v_mov_b32_e32 v4, 0
	ds_write_b32 v4, v3 offset:10272
.LBB1837_4:
	s_or_b64 exec, exec, s[8:9]
	v_mov_b32_e32 v3, 0
	s_load_dwordx8 s[36:43], s[4:5], 0x0
	s_load_dword s7, s[4:5], 0x20
	s_waitcnt lgkmcnt(0)
	s_barrier
	ds_read_b32 v3, v3 offset:10272
	s_mov_b64 s[8:9], -1
	v_mbcnt_lo_u32_b32 v22, -1, 0
	v_lshlrev_b32_e32 v21, 3, v0
	s_waitcnt lgkmcnt(0)
	v_cmp_le_u32_e32 vcc, s50, v3
	v_readfirstlane_b32 s33, v3
	s_barrier
	s_cbranch_vccz .LBB1837_92
; %bb.5:
	s_lshl_b32 s8, s50, 12
	s_lshl_b32 s34, s33, 12
	s_mov_b32 s35, 0
	s_sub_i32 s7, s7, s8
	s_lshl_b64 s[8:9], s[34:35], 2
	v_mbcnt_hi_u32_b32 v17, -1, v22
	s_add_u32 s8, s36, s8
	v_and_b32_e32 v15, 63, v17
	s_addc_u32 s9, s37, s9
	v_lshlrev_b32_e32 v3, 2, v15
	v_and_b32_e32 v14, 0xe00, v21
	v_mov_b32_e32 v4, s9
	v_add_co_u32_e32 v3, vcc, s8, v3
	v_addc_co_u32_e32 v4, vcc, 0, v4, vcc
	v_lshlrev_b32_e32 v5, 2, v14
	v_add_co_u32_e32 v11, vcc, v3, v5
	v_or_b32_e32 v13, v15, v14
	v_bfrev_b32_e32 v3, -2
	v_addc_co_u32_e32 v12, vcc, 0, v4, vcc
	v_cmp_gt_u32_e64 s[8:9], s7, v13
	v_mov_b32_e32 v4, v3
	v_mov_b32_e32 v5, v3
	;; [unrolled: 1-line block ×7, first 2 shown]
	s_and_saveexec_b64 s[10:11], s[8:9]
	s_cbranch_execz .LBB1837_7
; %bb.6:
	global_load_dword v23, v[11:12], off
	v_mov_b32_e32 v24, v3
	v_mov_b32_e32 v25, v3
	;; [unrolled: 1-line block ×7, first 2 shown]
	s_waitcnt vmcnt(0)
	v_mov_b32_e32 v3, v23
	v_mov_b32_e32 v4, v24
	;; [unrolled: 1-line block ×8, first 2 shown]
.LBB1837_7:
	s_or_b64 exec, exec, s[10:11]
	v_or_b32_e32 v16, 64, v13
	v_cmp_gt_u32_e64 s[10:11], s7, v16
	s_and_saveexec_b64 s[12:13], s[10:11]
	s_cbranch_execz .LBB1837_9
; %bb.8:
	global_load_dword v4, v[11:12], off offset:256
.LBB1837_9:
	s_or_b64 exec, exec, s[12:13]
	v_or_b32_e32 v16, 0x80, v13
	v_cmp_gt_u32_e64 s[12:13], s7, v16
	s_and_saveexec_b64 s[14:15], s[12:13]
	s_cbranch_execz .LBB1837_11
; %bb.10:
	global_load_dword v5, v[11:12], off offset:512
.LBB1837_11:
	;; [unrolled: 8-line block ×7, first 2 shown]
	s_or_b64 exec, exec, s[24:25]
	s_load_dword s24, s[4:5], 0x64
	s_load_dword s56, s[4:5], 0x58
	s_add_u32 s25, s4, 0x58
	s_addc_u32 s28, s5, 0
	v_mov_b32_e32 v11, 0
	s_waitcnt lgkmcnt(0)
	s_lshr_b32 s29, s24, 16
	s_cmp_lt_u32 s6, s56
	s_cselect_b32 s24, 12, 18
	s_add_u32 s24, s25, s24
	s_addc_u32 s25, s28, 0
	global_load_ushort v13, v11, s[24:25]
	v_bfrev_b32_e32 v20, 1
	v_cmp_lt_i32_e32 vcc, -1, v3
	v_cndmask_b32_e32 v12, -1, v20, vcc
	s_brev_b32 s28, -2
	v_xor_b32_e32 v16, v12, v3
	v_cmp_ne_u32_e32 vcc, s28, v16
	v_cndmask_b32_e32 v3, v20, v16, vcc
	s_lshl_b32 s24, -1, s49
	v_lshrrev_b32_e32 v3, s48, v3
	s_not_b32 s57, s24
	v_and_b32_e32 v3, s57, v3
	v_and_b32_e32 v24, 1, v3
	v_add_co_u32_e32 v25, vcc, -1, v24
	v_lshlrev_b32_e32 v12, 30, v3
	v_addc_co_u32_e64 v26, s[24:25], 0, -1, vcc
	v_cmp_ne_u32_e32 vcc, 0, v24
	v_cmp_gt_i64_e64 s[24:25], 0, v[11:12]
	v_not_b32_e32 v24, v12
	v_lshlrev_b32_e32 v12, 29, v3
	v_xor_b32_e32 v26, vcc_hi, v26
	v_xor_b32_e32 v25, vcc_lo, v25
	v_ashrrev_i32_e32 v24, 31, v24
	v_cmp_gt_i64_e32 vcc, 0, v[11:12]
	v_not_b32_e32 v27, v12
	v_lshlrev_b32_e32 v12, 28, v3
	v_and_b32_e32 v26, exec_hi, v26
	v_and_b32_e32 v25, exec_lo, v25
	v_xor_b32_e32 v28, s25, v24
	v_xor_b32_e32 v24, s24, v24
	v_ashrrev_i32_e32 v27, 31, v27
	v_cmp_gt_i64_e64 s[24:25], 0, v[11:12]
	v_not_b32_e32 v29, v12
	v_lshlrev_b32_e32 v12, 27, v3
	v_and_b32_e32 v26, v26, v28
	v_and_b32_e32 v24, v25, v24
	v_xor_b32_e32 v25, vcc_hi, v27
	v_xor_b32_e32 v27, vcc_lo, v27
	v_ashrrev_i32_e32 v28, 31, v29
	v_cmp_gt_i64_e32 vcc, 0, v[11:12]
	v_not_b32_e32 v29, v12
	v_lshlrev_b32_e32 v12, 26, v3
	v_and_b32_e32 v25, v26, v25
	v_and_b32_e32 v24, v24, v27
	v_xor_b32_e32 v26, s25, v28
	v_xor_b32_e32 v27, s24, v28
	v_ashrrev_i32_e32 v28, 31, v29
	v_cmp_gt_i64_e64 s[24:25], 0, v[11:12]
	v_not_b32_e32 v29, v12
	v_lshlrev_b32_e32 v12, 25, v3
	v_mad_u32_u24 v18, v2, s29, v1
	v_and_b32_e32 v25, v25, v26
	v_and_b32_e32 v24, v24, v27
	v_xor_b32_e32 v26, vcc_hi, v28
	v_xor_b32_e32 v27, vcc_lo, v28
	v_ashrrev_i32_e32 v28, 31, v29
	v_cmp_gt_i64_e32 vcc, 0, v[11:12]
	v_not_b32_e32 v29, v12
	v_lshlrev_b32_e32 v12, 24, v3
	v_mul_lo_u32 v23, v3, 36
	v_and_b32_e32 v3, v25, v26
	v_xor_b32_e32 v25, s25, v28
	v_xor_b32_e32 v26, s24, v28
	v_cmp_gt_i64_e64 s[24:25], 0, v[11:12]
	v_not_b32_e32 v28, v12
	v_and_b32_e32 v24, v24, v27
	v_ashrrev_i32_e32 v27, 31, v29
	v_and_b32_e32 v24, v24, v26
	v_and_b32_e32 v3, v3, v25
	v_xor_b32_e32 v25, vcc_hi, v27
	v_and_b32_e32 v3, v3, v25
	v_mul_u32_u24_e32 v19, 20, v0
	ds_write2_b32 v19, v11, v11 offset0:8 offset1:9
	ds_write2_b32 v19, v11, v11 offset0:10 offset1:11
	ds_write_b32 v19, v11 offset:48
	s_waitcnt vmcnt(0) lgkmcnt(0)
	s_barrier
	; wave barrier
	v_mad_u64_u32 v[12:13], s[50:51], v18, v13, v[0:1]
	v_xor_b32_e32 v13, vcc_lo, v27
	v_and_b32_e32 v18, v24, v13
	v_lshrrev_b32_e32 v12, 4, v12
	v_and_b32_e32 v39, 0xffffffc, v12
	v_ashrrev_i32_e32 v12, 31, v28
	v_xor_b32_e32 v13, s25, v12
	v_xor_b32_e32 v12, s24, v12
	v_and_b32_e32 v12, v18, v12
	v_and_b32_e32 v13, v3, v13
	v_mbcnt_lo_u32_b32 v3, v12, 0
	v_mbcnt_hi_u32_b32 v18, v13, v3
	v_cmp_ne_u64_e32 vcc, 0, v[12:13]
	v_cmp_eq_u32_e64 s[24:25], 0, v18
	s_and_b64 s[50:51], vcc, s[24:25]
	v_add_u32_e32 v32, v39, v23
	s_and_saveexec_b64 s[24:25], s[50:51]
; %bb.22:
	v_bcnt_u32_b32 v3, v12, 0
	v_bcnt_u32_b32 v3, v13, v3
	ds_write_b32 v32, v3 offset:32
; %bb.23:
	s_or_b64 exec, exec, s[24:25]
	v_cmp_lt_i32_e32 vcc, -1, v4
	v_cndmask_b32_e32 v3, -1, v20, vcc
	v_xor_b32_e32 v13, v3, v4
	v_cmp_ne_u32_e32 vcc, s28, v13
	v_cndmask_b32_e32 v3, v20, v13, vcc
	v_lshrrev_b32_e32 v3, s48, v3
	v_and_b32_e32 v3, s57, v3
	v_mul_lo_u32 v4, v3, 36
	; wave barrier
	v_add_u32_e32 v33, v39, v4
	v_and_b32_e32 v4, 1, v3
	v_add_co_u32_e32 v12, vcc, -1, v4
	v_addc_co_u32_e64 v20, s[24:25], 0, -1, vcc
	v_cmp_ne_u32_e32 vcc, 0, v4
	v_xor_b32_e32 v12, vcc_lo, v12
	v_xor_b32_e32 v4, vcc_hi, v20
	v_and_b32_e32 v20, exec_lo, v12
	v_lshlrev_b32_e32 v12, 30, v3
	v_cmp_gt_i64_e32 vcc, 0, v[11:12]
	v_not_b32_e32 v12, v12
	v_ashrrev_i32_e32 v12, 31, v12
	v_xor_b32_e32 v24, vcc_hi, v12
	v_xor_b32_e32 v12, vcc_lo, v12
	v_and_b32_e32 v20, v20, v12
	v_lshlrev_b32_e32 v12, 29, v3
	v_cmp_gt_i64_e32 vcc, 0, v[11:12]
	v_not_b32_e32 v12, v12
	v_and_b32_e32 v4, exec_hi, v4
	v_ashrrev_i32_e32 v12, 31, v12
	v_and_b32_e32 v4, v4, v24
	v_xor_b32_e32 v24, vcc_hi, v12
	v_xor_b32_e32 v12, vcc_lo, v12
	v_and_b32_e32 v20, v20, v12
	v_lshlrev_b32_e32 v12, 28, v3
	v_cmp_gt_i64_e32 vcc, 0, v[11:12]
	v_not_b32_e32 v12, v12
	v_ashrrev_i32_e32 v12, 31, v12
	v_and_b32_e32 v4, v4, v24
	v_xor_b32_e32 v24, vcc_hi, v12
	v_xor_b32_e32 v12, vcc_lo, v12
	v_and_b32_e32 v20, v20, v12
	v_lshlrev_b32_e32 v12, 27, v3
	v_cmp_gt_i64_e32 vcc, 0, v[11:12]
	v_not_b32_e32 v12, v12
	;; [unrolled: 8-line block ×5, first 2 shown]
	v_ashrrev_i32_e32 v3, 31, v3
	v_xor_b32_e32 v11, vcc_hi, v3
	v_xor_b32_e32 v3, vcc_lo, v3
	ds_read_b32 v23, v33 offset:32
	v_and_b32_e32 v4, v4, v24
	v_and_b32_e32 v3, v20, v3
	;; [unrolled: 1-line block ×3, first 2 shown]
	v_mbcnt_lo_u32_b32 v11, v3, 0
	v_mbcnt_hi_u32_b32 v24, v4, v11
	v_cmp_ne_u64_e32 vcc, 0, v[3:4]
	v_cmp_eq_u32_e64 s[24:25], 0, v24
	s_and_b64 s[28:29], vcc, s[24:25]
	; wave barrier
	s_and_saveexec_b64 s[24:25], s[28:29]
	s_cbranch_execz .LBB1837_25
; %bb.24:
	v_bcnt_u32_b32 v3, v3, 0
	v_bcnt_u32_b32 v3, v4, v3
	s_waitcnt lgkmcnt(0)
	v_add_u32_e32 v3, v23, v3
	ds_write_b32 v33, v3 offset:32
.LBB1837_25:
	s_or_b64 exec, exec, s[24:25]
	v_bfrev_b32_e32 v20, 1
	v_cmp_lt_i32_e32 vcc, -1, v5
	v_cndmask_b32_e32 v3, -1, v20, vcc
	v_xor_b32_e32 v11, v3, v5
	s_brev_b32 s28, -2
	v_cmp_ne_u32_e32 vcc, s28, v11
	v_cndmask_b32_e32 v3, v20, v11, vcc
	v_lshrrev_b32_e32 v3, s48, v3
	v_and_b32_e32 v5, s57, v3
	v_mul_lo_u32 v3, v5, 36
	v_and_b32_e32 v4, 1, v5
	v_add_co_u32_e32 v12, vcc, -1, v4
	v_addc_co_u32_e64 v26, s[24:25], 0, -1, vcc
	v_cmp_ne_u32_e32 vcc, 0, v4
	v_xor_b32_e32 v4, vcc_hi, v26
	v_add_u32_e32 v37, v39, v3
	v_mov_b32_e32 v3, 0
	v_and_b32_e32 v26, exec_hi, v4
	v_lshlrev_b32_e32 v4, 30, v5
	v_xor_b32_e32 v12, vcc_lo, v12
	v_cmp_gt_i64_e32 vcc, 0, v[3:4]
	v_not_b32_e32 v4, v4
	v_ashrrev_i32_e32 v4, 31, v4
	v_and_b32_e32 v12, exec_lo, v12
	v_xor_b32_e32 v27, vcc_hi, v4
	v_xor_b32_e32 v4, vcc_lo, v4
	v_and_b32_e32 v12, v12, v4
	v_lshlrev_b32_e32 v4, 29, v5
	v_cmp_gt_i64_e32 vcc, 0, v[3:4]
	v_not_b32_e32 v4, v4
	v_ashrrev_i32_e32 v4, 31, v4
	v_and_b32_e32 v26, v26, v27
	v_xor_b32_e32 v27, vcc_hi, v4
	v_xor_b32_e32 v4, vcc_lo, v4
	v_and_b32_e32 v12, v12, v4
	v_lshlrev_b32_e32 v4, 28, v5
	v_cmp_gt_i64_e32 vcc, 0, v[3:4]
	v_not_b32_e32 v4, v4
	v_ashrrev_i32_e32 v4, 31, v4
	v_and_b32_e32 v26, v26, v27
	;; [unrolled: 8-line block ×5, first 2 shown]
	v_xor_b32_e32 v27, vcc_hi, v4
	v_xor_b32_e32 v4, vcc_lo, v4
	v_and_b32_e32 v12, v12, v4
	v_lshlrev_b32_e32 v4, 24, v5
	v_cmp_gt_i64_e32 vcc, 0, v[3:4]
	v_not_b32_e32 v4, v4
	v_ashrrev_i32_e32 v4, 31, v4
	v_xor_b32_e32 v5, vcc_hi, v4
	v_xor_b32_e32 v4, vcc_lo, v4
	; wave barrier
	ds_read_b32 v25, v37 offset:32
	v_and_b32_e32 v26, v26, v27
	v_and_b32_e32 v4, v12, v4
	;; [unrolled: 1-line block ×3, first 2 shown]
	v_mbcnt_lo_u32_b32 v12, v4, 0
	v_mbcnt_hi_u32_b32 v26, v5, v12
	v_cmp_ne_u64_e32 vcc, 0, v[4:5]
	v_cmp_eq_u32_e64 s[24:25], 0, v26
	s_and_b64 s[50:51], vcc, s[24:25]
	; wave barrier
	s_and_saveexec_b64 s[24:25], s[50:51]
	s_cbranch_execz .LBB1837_27
; %bb.26:
	v_bcnt_u32_b32 v4, v4, 0
	v_bcnt_u32_b32 v4, v5, v4
	s_waitcnt lgkmcnt(0)
	v_add_u32_e32 v4, v25, v4
	ds_write_b32 v37, v4 offset:32
.LBB1837_27:
	s_or_b64 exec, exec, s[24:25]
	v_cmp_lt_i32_e32 vcc, -1, v6
	v_cndmask_b32_e32 v4, -1, v20, vcc
	v_xor_b32_e32 v12, v4, v6
	v_cmp_ne_u32_e32 vcc, s28, v12
	v_cndmask_b32_e32 v4, v20, v12, vcc
	v_lshrrev_b32_e32 v4, s48, v4
	v_and_b32_e32 v5, s57, v4
	v_mul_lo_u32 v4, v5, 36
	; wave barrier
	v_add_u32_e32 v40, v39, v4
	v_and_b32_e32 v4, 1, v5
	v_add_co_u32_e32 v6, vcc, -1, v4
	v_addc_co_u32_e64 v20, s[24:25], 0, -1, vcc
	v_cmp_ne_u32_e32 vcc, 0, v4
	v_xor_b32_e32 v4, vcc_hi, v20
	v_and_b32_e32 v20, exec_hi, v4
	v_lshlrev_b32_e32 v4, 30, v5
	v_xor_b32_e32 v6, vcc_lo, v6
	v_cmp_gt_i64_e32 vcc, 0, v[3:4]
	v_not_b32_e32 v4, v4
	v_ashrrev_i32_e32 v4, 31, v4
	v_and_b32_e32 v6, exec_lo, v6
	v_xor_b32_e32 v28, vcc_hi, v4
	v_xor_b32_e32 v4, vcc_lo, v4
	v_and_b32_e32 v6, v6, v4
	v_lshlrev_b32_e32 v4, 29, v5
	v_cmp_gt_i64_e32 vcc, 0, v[3:4]
	v_not_b32_e32 v4, v4
	v_ashrrev_i32_e32 v4, 31, v4
	v_and_b32_e32 v20, v20, v28
	v_xor_b32_e32 v28, vcc_hi, v4
	v_xor_b32_e32 v4, vcc_lo, v4
	v_and_b32_e32 v6, v6, v4
	v_lshlrev_b32_e32 v4, 28, v5
	v_cmp_gt_i64_e32 vcc, 0, v[3:4]
	v_not_b32_e32 v4, v4
	v_ashrrev_i32_e32 v4, 31, v4
	v_and_b32_e32 v20, v20, v28
	;; [unrolled: 8-line block ×5, first 2 shown]
	v_xor_b32_e32 v28, vcc_hi, v4
	v_xor_b32_e32 v4, vcc_lo, v4
	v_and_b32_e32 v6, v6, v4
	v_lshlrev_b32_e32 v4, 24, v5
	v_cmp_gt_i64_e32 vcc, 0, v[3:4]
	v_not_b32_e32 v3, v4
	v_ashrrev_i32_e32 v3, 31, v3
	v_xor_b32_e32 v4, vcc_hi, v3
	v_xor_b32_e32 v3, vcc_lo, v3
	ds_read_b32 v27, v40 offset:32
	v_and_b32_e32 v20, v20, v28
	v_and_b32_e32 v3, v6, v3
	;; [unrolled: 1-line block ×3, first 2 shown]
	v_mbcnt_lo_u32_b32 v5, v3, 0
	v_mbcnt_hi_u32_b32 v28, v4, v5
	v_cmp_ne_u64_e32 vcc, 0, v[3:4]
	v_cmp_eq_u32_e64 s[24:25], 0, v28
	s_and_b64 s[28:29], vcc, s[24:25]
	; wave barrier
	s_and_saveexec_b64 s[24:25], s[28:29]
	s_cbranch_execz .LBB1837_29
; %bb.28:
	v_bcnt_u32_b32 v3, v3, 0
	v_bcnt_u32_b32 v3, v4, v3
	s_waitcnt lgkmcnt(0)
	v_add_u32_e32 v3, v27, v3
	ds_write_b32 v40, v3 offset:32
.LBB1837_29:
	s_or_b64 exec, exec, s[24:25]
	v_bfrev_b32_e32 v6, 1
	v_cmp_lt_i32_e32 vcc, -1, v7
	v_cndmask_b32_e32 v3, -1, v6, vcc
	v_xor_b32_e32 v20, v3, v7
	s_brev_b32 s28, -2
	v_cmp_ne_u32_e32 vcc, s28, v20
	v_cndmask_b32_e32 v3, v6, v20, vcc
	v_lshrrev_b32_e32 v3, s48, v3
	v_and_b32_e32 v5, s57, v3
	v_mul_lo_u32 v3, v5, 36
	v_and_b32_e32 v4, 1, v5
	v_add_co_u32_e32 v30, vcc, -1, v4
	v_addc_co_u32_e64 v31, s[24:25], 0, -1, vcc
	v_cmp_ne_u32_e32 vcc, 0, v4
	v_xor_b32_e32 v4, vcc_hi, v31
	v_add_u32_e32 v7, v39, v3
	v_mov_b32_e32 v3, 0
	v_and_b32_e32 v31, exec_hi, v4
	v_lshlrev_b32_e32 v4, 30, v5
	v_xor_b32_e32 v30, vcc_lo, v30
	v_cmp_gt_i64_e32 vcc, 0, v[3:4]
	v_not_b32_e32 v4, v4
	v_ashrrev_i32_e32 v4, 31, v4
	v_and_b32_e32 v30, exec_lo, v30
	v_xor_b32_e32 v34, vcc_hi, v4
	v_xor_b32_e32 v4, vcc_lo, v4
	v_and_b32_e32 v30, v30, v4
	v_lshlrev_b32_e32 v4, 29, v5
	v_cmp_gt_i64_e32 vcc, 0, v[3:4]
	v_not_b32_e32 v4, v4
	v_ashrrev_i32_e32 v4, 31, v4
	v_and_b32_e32 v31, v31, v34
	v_xor_b32_e32 v34, vcc_hi, v4
	v_xor_b32_e32 v4, vcc_lo, v4
	v_and_b32_e32 v30, v30, v4
	v_lshlrev_b32_e32 v4, 28, v5
	v_cmp_gt_i64_e32 vcc, 0, v[3:4]
	v_not_b32_e32 v4, v4
	v_ashrrev_i32_e32 v4, 31, v4
	v_and_b32_e32 v31, v31, v34
	;; [unrolled: 8-line block ×5, first 2 shown]
	v_xor_b32_e32 v34, vcc_hi, v4
	v_xor_b32_e32 v4, vcc_lo, v4
	v_and_b32_e32 v30, v30, v4
	v_lshlrev_b32_e32 v4, 24, v5
	v_cmp_gt_i64_e32 vcc, 0, v[3:4]
	v_not_b32_e32 v4, v4
	v_ashrrev_i32_e32 v4, 31, v4
	v_xor_b32_e32 v5, vcc_hi, v4
	v_xor_b32_e32 v4, vcc_lo, v4
	; wave barrier
	ds_read_b32 v29, v7 offset:32
	v_and_b32_e32 v31, v31, v34
	v_and_b32_e32 v4, v30, v4
	;; [unrolled: 1-line block ×3, first 2 shown]
	v_mbcnt_lo_u32_b32 v30, v4, 0
	v_mbcnt_hi_u32_b32 v30, v5, v30
	v_cmp_ne_u64_e32 vcc, 0, v[4:5]
	v_cmp_eq_u32_e64 s[24:25], 0, v30
	s_and_b64 s[50:51], vcc, s[24:25]
	; wave barrier
	s_and_saveexec_b64 s[24:25], s[50:51]
	s_cbranch_execz .LBB1837_31
; %bb.30:
	v_bcnt_u32_b32 v4, v4, 0
	v_bcnt_u32_b32 v4, v5, v4
	s_waitcnt lgkmcnt(0)
	v_add_u32_e32 v4, v29, v4
	ds_write_b32 v7, v4 offset:32
.LBB1837_31:
	s_or_b64 exec, exec, s[24:25]
	v_cmp_lt_i32_e32 vcc, -1, v8
	v_cndmask_b32_e32 v4, -1, v6, vcc
	v_xor_b32_e32 v35, v4, v8
	v_cmp_ne_u32_e32 vcc, s28, v35
	v_cndmask_b32_e32 v4, v6, v35, vcc
	v_lshrrev_b32_e32 v4, s48, v4
	v_and_b32_e32 v5, s57, v4
	v_mul_lo_u32 v4, v5, 36
	; wave barrier
	v_add_u32_e32 v8, v39, v4
	v_and_b32_e32 v4, 1, v5
	v_add_co_u32_e32 v6, vcc, -1, v4
	v_addc_co_u32_e64 v34, s[24:25], 0, -1, vcc
	v_cmp_ne_u32_e32 vcc, 0, v4
	v_xor_b32_e32 v4, vcc_hi, v34
	v_and_b32_e32 v34, exec_hi, v4
	v_lshlrev_b32_e32 v4, 30, v5
	v_xor_b32_e32 v6, vcc_lo, v6
	v_cmp_gt_i64_e32 vcc, 0, v[3:4]
	v_not_b32_e32 v4, v4
	v_ashrrev_i32_e32 v4, 31, v4
	v_and_b32_e32 v6, exec_lo, v6
	v_xor_b32_e32 v36, vcc_hi, v4
	v_xor_b32_e32 v4, vcc_lo, v4
	v_and_b32_e32 v6, v6, v4
	v_lshlrev_b32_e32 v4, 29, v5
	v_cmp_gt_i64_e32 vcc, 0, v[3:4]
	v_not_b32_e32 v4, v4
	v_ashrrev_i32_e32 v4, 31, v4
	v_and_b32_e32 v34, v34, v36
	v_xor_b32_e32 v36, vcc_hi, v4
	v_xor_b32_e32 v4, vcc_lo, v4
	v_and_b32_e32 v6, v6, v4
	v_lshlrev_b32_e32 v4, 28, v5
	v_cmp_gt_i64_e32 vcc, 0, v[3:4]
	v_not_b32_e32 v4, v4
	v_ashrrev_i32_e32 v4, 31, v4
	v_and_b32_e32 v34, v34, v36
	;; [unrolled: 8-line block ×5, first 2 shown]
	v_xor_b32_e32 v36, vcc_hi, v4
	v_xor_b32_e32 v4, vcc_lo, v4
	v_and_b32_e32 v6, v6, v4
	v_lshlrev_b32_e32 v4, 24, v5
	v_cmp_gt_i64_e32 vcc, 0, v[3:4]
	v_not_b32_e32 v3, v4
	v_ashrrev_i32_e32 v3, 31, v3
	v_xor_b32_e32 v4, vcc_hi, v3
	v_xor_b32_e32 v3, vcc_lo, v3
	ds_read_b32 v31, v8 offset:32
	v_and_b32_e32 v34, v34, v36
	v_and_b32_e32 v3, v6, v3
	;; [unrolled: 1-line block ×3, first 2 shown]
	v_mbcnt_lo_u32_b32 v5, v3, 0
	v_mbcnt_hi_u32_b32 v34, v4, v5
	v_cmp_ne_u64_e32 vcc, 0, v[3:4]
	v_cmp_eq_u32_e64 s[24:25], 0, v34
	s_and_b64 s[28:29], vcc, s[24:25]
	; wave barrier
	s_and_saveexec_b64 s[24:25], s[28:29]
	s_cbranch_execz .LBB1837_33
; %bb.32:
	v_bcnt_u32_b32 v3, v3, 0
	v_bcnt_u32_b32 v3, v4, v3
	s_waitcnt lgkmcnt(0)
	v_add_u32_e32 v3, v31, v3
	ds_write_b32 v8, v3 offset:32
.LBB1837_33:
	s_or_b64 exec, exec, s[24:25]
	v_bfrev_b32_e32 v6, 1
	v_cmp_lt_i32_e32 vcc, -1, v9
	v_cndmask_b32_e32 v3, -1, v6, vcc
	v_xor_b32_e32 v9, v3, v9
	s_brev_b32 s28, -2
	v_cmp_ne_u32_e32 vcc, s28, v9
	v_cndmask_b32_e32 v3, v6, v9, vcc
	v_lshrrev_b32_e32 v3, s48, v3
	v_and_b32_e32 v5, s57, v3
	v_mul_lo_u32 v3, v5, 36
	v_and_b32_e32 v4, 1, v5
	v_add_co_u32_e32 v38, vcc, -1, v4
	v_addc_co_u32_e64 v41, s[24:25], 0, -1, vcc
	v_cmp_ne_u32_e32 vcc, 0, v4
	v_xor_b32_e32 v4, vcc_hi, v41
	v_add_u32_e32 v46, v39, v3
	v_mov_b32_e32 v3, 0
	v_and_b32_e32 v41, exec_hi, v4
	v_lshlrev_b32_e32 v4, 30, v5
	v_xor_b32_e32 v38, vcc_lo, v38
	v_cmp_gt_i64_e32 vcc, 0, v[3:4]
	v_not_b32_e32 v4, v4
	v_ashrrev_i32_e32 v4, 31, v4
	v_and_b32_e32 v38, exec_lo, v38
	v_xor_b32_e32 v42, vcc_hi, v4
	v_xor_b32_e32 v4, vcc_lo, v4
	v_and_b32_e32 v38, v38, v4
	v_lshlrev_b32_e32 v4, 29, v5
	v_cmp_gt_i64_e32 vcc, 0, v[3:4]
	v_not_b32_e32 v4, v4
	v_ashrrev_i32_e32 v4, 31, v4
	v_and_b32_e32 v41, v41, v42
	v_xor_b32_e32 v42, vcc_hi, v4
	v_xor_b32_e32 v4, vcc_lo, v4
	v_and_b32_e32 v38, v38, v4
	v_lshlrev_b32_e32 v4, 28, v5
	v_cmp_gt_i64_e32 vcc, 0, v[3:4]
	v_not_b32_e32 v4, v4
	v_ashrrev_i32_e32 v4, 31, v4
	v_and_b32_e32 v41, v41, v42
	;; [unrolled: 8-line block ×5, first 2 shown]
	v_xor_b32_e32 v42, vcc_hi, v4
	v_xor_b32_e32 v4, vcc_lo, v4
	v_and_b32_e32 v38, v38, v4
	v_lshlrev_b32_e32 v4, 24, v5
	v_cmp_gt_i64_e32 vcc, 0, v[3:4]
	v_not_b32_e32 v4, v4
	v_ashrrev_i32_e32 v4, 31, v4
	v_xor_b32_e32 v5, vcc_hi, v4
	v_xor_b32_e32 v4, vcc_lo, v4
	; wave barrier
	ds_read_b32 v36, v46 offset:32
	v_and_b32_e32 v41, v41, v42
	v_and_b32_e32 v4, v38, v4
	;; [unrolled: 1-line block ×3, first 2 shown]
	v_mbcnt_lo_u32_b32 v38, v4, 0
	v_mbcnt_hi_u32_b32 v38, v5, v38
	v_cmp_ne_u64_e32 vcc, 0, v[4:5]
	v_cmp_eq_u32_e64 s[24:25], 0, v38
	s_and_b64 s[50:51], vcc, s[24:25]
	; wave barrier
	s_and_saveexec_b64 s[24:25], s[50:51]
	s_cbranch_execz .LBB1837_35
; %bb.34:
	v_bcnt_u32_b32 v4, v4, 0
	v_bcnt_u32_b32 v4, v5, v4
	s_waitcnt lgkmcnt(0)
	v_add_u32_e32 v4, v36, v4
	ds_write_b32 v46, v4 offset:32
.LBB1837_35:
	s_or_b64 exec, exec, s[24:25]
	v_cmp_lt_i32_e32 vcc, -1, v10
	v_cndmask_b32_e32 v4, -1, v6, vcc
	v_xor_b32_e32 v10, v4, v10
	v_cmp_ne_u32_e32 vcc, s28, v10
	v_cndmask_b32_e32 v4, v6, v10, vcc
	v_lshrrev_b32_e32 v4, s48, v4
	v_and_b32_e32 v5, s57, v4
	v_mul_lo_u32 v4, v5, 36
	; wave barrier
	v_add_u32_e32 v47, v39, v4
	v_and_b32_e32 v4, 1, v5
	v_add_co_u32_e32 v6, vcc, -1, v4
	v_addc_co_u32_e64 v41, s[24:25], 0, -1, vcc
	v_cmp_ne_u32_e32 vcc, 0, v4
	v_xor_b32_e32 v4, vcc_hi, v41
	v_and_b32_e32 v41, exec_hi, v4
	v_lshlrev_b32_e32 v4, 30, v5
	v_xor_b32_e32 v6, vcc_lo, v6
	v_cmp_gt_i64_e32 vcc, 0, v[3:4]
	v_not_b32_e32 v4, v4
	v_ashrrev_i32_e32 v4, 31, v4
	v_and_b32_e32 v6, exec_lo, v6
	v_xor_b32_e32 v42, vcc_hi, v4
	v_xor_b32_e32 v4, vcc_lo, v4
	v_and_b32_e32 v6, v6, v4
	v_lshlrev_b32_e32 v4, 29, v5
	v_cmp_gt_i64_e32 vcc, 0, v[3:4]
	v_not_b32_e32 v4, v4
	v_ashrrev_i32_e32 v4, 31, v4
	v_and_b32_e32 v41, v41, v42
	v_xor_b32_e32 v42, vcc_hi, v4
	v_xor_b32_e32 v4, vcc_lo, v4
	v_and_b32_e32 v6, v6, v4
	v_lshlrev_b32_e32 v4, 28, v5
	v_cmp_gt_i64_e32 vcc, 0, v[3:4]
	v_not_b32_e32 v4, v4
	v_ashrrev_i32_e32 v4, 31, v4
	v_and_b32_e32 v41, v41, v42
	;; [unrolled: 8-line block ×5, first 2 shown]
	v_xor_b32_e32 v42, vcc_hi, v4
	v_xor_b32_e32 v4, vcc_lo, v4
	v_and_b32_e32 v6, v6, v4
	v_lshlrev_b32_e32 v4, 24, v5
	v_cmp_gt_i64_e32 vcc, 0, v[3:4]
	v_not_b32_e32 v3, v4
	v_ashrrev_i32_e32 v3, 31, v3
	v_xor_b32_e32 v4, vcc_hi, v3
	v_xor_b32_e32 v3, vcc_lo, v3
	ds_read_b32 v39, v47 offset:32
	v_and_b32_e32 v41, v41, v42
	v_and_b32_e32 v3, v6, v3
	;; [unrolled: 1-line block ×3, first 2 shown]
	v_mbcnt_lo_u32_b32 v5, v3, 0
	v_mbcnt_hi_u32_b32 v41, v4, v5
	v_cmp_ne_u64_e32 vcc, 0, v[3:4]
	v_cmp_eq_u32_e64 s[24:25], 0, v41
	s_and_b64 s[28:29], vcc, s[24:25]
	; wave barrier
	s_and_saveexec_b64 s[24:25], s[28:29]
	s_cbranch_execz .LBB1837_37
; %bb.36:
	v_bcnt_u32_b32 v3, v3, 0
	v_bcnt_u32_b32 v3, v4, v3
	s_waitcnt lgkmcnt(0)
	v_add_u32_e32 v3, v39, v3
	ds_write_b32 v47, v3 offset:32
.LBB1837_37:
	s_or_b64 exec, exec, s[24:25]
	; wave barrier
	s_waitcnt lgkmcnt(0)
	s_barrier
	ds_read2_b32 v[5:6], v19 offset0:8 offset1:9
	ds_read2_b32 v[3:4], v19 offset0:10 offset1:11
	ds_read_b32 v42, v19 offset:48
	s_waitcnt lgkmcnt(1)
	v_add3_u32 v43, v6, v5, v3
	s_waitcnt lgkmcnt(0)
	v_add3_u32 v42, v43, v4, v42
	v_and_b32_e32 v43, 15, v17
	v_cmp_ne_u32_e32 vcc, 0, v43
	v_mov_b32_dpp v44, v42 row_shr:1 row_mask:0xf bank_mask:0xf
	v_cndmask_b32_e32 v44, 0, v44, vcc
	v_add_u32_e32 v42, v44, v42
	v_cmp_lt_u32_e32 vcc, 1, v43
	s_nop 0
	v_mov_b32_dpp v44, v42 row_shr:2 row_mask:0xf bank_mask:0xf
	v_cndmask_b32_e32 v44, 0, v44, vcc
	v_add_u32_e32 v42, v42, v44
	v_cmp_lt_u32_e32 vcc, 3, v43
	s_nop 0
	;; [unrolled: 5-line block ×3, first 2 shown]
	v_mov_b32_dpp v44, v42 row_shr:8 row_mask:0xf bank_mask:0xf
	v_cndmask_b32_e32 v43, 0, v44, vcc
	v_add_u32_e32 v42, v42, v43
	v_bfe_i32 v44, v17, 4, 1
	v_cmp_lt_u32_e32 vcc, 31, v17
	v_mov_b32_dpp v43, v42 row_bcast:15 row_mask:0xf bank_mask:0xf
	v_and_b32_e32 v43, v44, v43
	v_add_u32_e32 v42, v42, v43
	v_or_b32_e32 v44, 63, v0
	s_nop 0
	v_mov_b32_dpp v43, v42 row_bcast:31 row_mask:0xf bank_mask:0xf
	v_cndmask_b32_e32 v43, 0, v43, vcc
	v_add_u32_e32 v42, v42, v43
	v_lshrrev_b32_e32 v43, 6, v0
	v_cmp_eq_u32_e32 vcc, v0, v44
	s_and_saveexec_b64 s[24:25], vcc
; %bb.38:
	v_lshlrev_b32_e32 v44, 2, v43
	ds_write_b32 v44, v42
; %bb.39:
	s_or_b64 exec, exec, s[24:25]
	v_cmp_gt_u32_e32 vcc, 8, v0
	s_waitcnt lgkmcnt(0)
	s_barrier
	s_and_saveexec_b64 s[28:29], vcc
	s_cbranch_execz .LBB1837_41
; %bb.40:
	v_lshlrev_b32_e32 v44, 2, v0
	ds_read_b32 v45, v44
	v_and_b32_e32 v48, 7, v17
	v_cmp_ne_u32_e32 vcc, 0, v48
	v_cmp_lt_u32_e64 s[24:25], 1, v48
	s_waitcnt lgkmcnt(0)
	v_mov_b32_dpp v49, v45 row_shr:1 row_mask:0xf bank_mask:0xf
	v_cndmask_b32_e32 v49, 0, v49, vcc
	v_add_u32_e32 v45, v49, v45
	v_cmp_lt_u32_e32 vcc, 3, v48
	s_nop 0
	v_mov_b32_dpp v49, v45 row_shr:2 row_mask:0xf bank_mask:0xf
	v_cndmask_b32_e64 v49, 0, v49, s[24:25]
	v_add_u32_e32 v45, v45, v49
	s_nop 1
	v_mov_b32_dpp v49, v45 row_shr:4 row_mask:0xf bank_mask:0xf
	v_cndmask_b32_e32 v48, 0, v49, vcc
	v_add_u32_e32 v45, v45, v48
	ds_write_b32 v44, v45
.LBB1837_41:
	s_or_b64 exec, exec, s[28:29]
	v_cmp_lt_u32_e32 vcc, 63, v0
	v_mov_b32_e32 v44, 0
	s_waitcnt lgkmcnt(0)
	s_barrier
	s_and_saveexec_b64 s[24:25], vcc
; %bb.42:
	v_lshl_add_u32 v43, v43, 2, -4
	ds_read_b32 v44, v43
; %bb.43:
	s_or_b64 exec, exec, s[24:25]
	v_subrev_co_u32_e32 v43, vcc, 1, v17
	v_and_b32_e32 v45, 64, v17
	v_cmp_lt_i32_e64 s[24:25], v43, v45
	v_cndmask_b32_e64 v17, v43, v17, s[24:25]
	s_waitcnt lgkmcnt(0)
	v_add_u32_e32 v42, v44, v42
	v_lshlrev_b32_e32 v17, 2, v17
	ds_bpermute_b32 v17, v17, v42
	s_movk_i32 s24, 0xff
	s_movk_i32 s28, 0x100
	v_cmp_lt_u32_e64 s[24:25], s24, v0
	s_waitcnt lgkmcnt(0)
	v_cndmask_b32_e32 v17, v17, v44, vcc
	v_cndmask_b32_e64 v17, v17, 0, s[26:27]
	v_add_u32_e32 v5, v17, v5
	v_add_u32_e32 v6, v5, v6
	v_add_u32_e32 v3, v6, v3
	v_add_u32_e32 v4, v3, v4
	ds_write2_b32 v19, v17, v5 offset0:8 offset1:9
	ds_write2_b32 v19, v6, v3 offset0:10 offset1:11
	ds_write_b32 v19, v4 offset:48
	s_waitcnt lgkmcnt(0)
	s_barrier
	ds_read_b32 v17, v32 offset:32
	ds_read_b32 v42, v33 offset:32
	;; [unrolled: 1-line block ×8, first 2 shown]
	v_cmp_gt_u32_e32 vcc, s28, v0
                                        ; implicit-def: $vgpr32
                                        ; implicit-def: $vgpr33
	s_and_saveexec_b64 s[50:51], vcc
	s_cbranch_execz .LBB1837_47
; %bb.44:
	v_mul_u32_u24_e32 v3, 36, v0
	ds_read_b32 v32, v3 offset:32
	v_add_u32_e32 v4, 1, v0
	v_cmp_ne_u32_e64 s[28:29], s28, v4
	v_mov_b32_e32 v3, 0x1000
	s_and_saveexec_b64 s[52:53], s[28:29]
; %bb.45:
	v_mul_u32_u24_e32 v3, 36, v4
	ds_read_b32 v3, v3 offset:32
; %bb.46:
	s_or_b64 exec, exec, s[52:53]
	s_waitcnt lgkmcnt(0)
	v_sub_u32_e32 v33, v3, v32
.LBB1837_47:
	s_or_b64 exec, exec, s[50:51]
	v_mov_b32_e32 v4, 0
	v_lshlrev_b32_e32 v37, 2, v0
	s_waitcnt lgkmcnt(0)
	s_barrier
	s_and_saveexec_b64 s[28:29], vcc
	s_cbranch_execz .LBB1837_57
; %bb.48:
	v_lshl_add_u32 v3, s33, 8, v0
	v_lshlrev_b64 v[5:6], 2, v[3:4]
	v_mov_b32_e32 v19, s31
	v_add_co_u32_e32 v5, vcc, s30, v5
	v_addc_co_u32_e32 v6, vcc, v19, v6, vcc
	v_or_b32_e32 v3, 2.0, v33
	s_mov_b64 s[50:51], 0
	s_brev_b32 s58, -4
	s_mov_b32 s59, s33
	v_mov_b32_e32 v48, 0
	global_store_dword v[5:6], v3, off
                                        ; implicit-def: $sgpr52_sgpr53
	s_branch .LBB1837_51
.LBB1837_49:                            ;   in Loop: Header=BB1837_51 Depth=1
	s_or_b64 exec, exec, s[54:55]
.LBB1837_50:                            ;   in Loop: Header=BB1837_51 Depth=1
	s_or_b64 exec, exec, s[52:53]
	v_and_b32_e32 v7, 0x3fffffff, v3
	v_add_u32_e32 v48, v7, v48
	v_cmp_gt_i32_e64 s[52:53], -2.0, v3
	s_and_b64 s[54:55], exec, s[52:53]
	s_or_b64 s[50:51], s[54:55], s[50:51]
	s_andn2_b64 exec, exec, s[50:51]
	s_cbranch_execz .LBB1837_56
.LBB1837_51:                            ; =>This Loop Header: Depth=1
                                        ;     Child Loop BB1837_54 Depth 2
	s_or_b64 s[52:53], s[52:53], exec
	s_cmp_eq_u32 s59, 0
	s_cbranch_scc1 .LBB1837_55
; %bb.52:                               ;   in Loop: Header=BB1837_51 Depth=1
	s_add_i32 s59, s59, -1
	v_lshl_or_b32 v3, s59, 8, v0
	v_lshlrev_b64 v[7:8], 2, v[3:4]
	v_add_co_u32_e32 v7, vcc, s30, v7
	v_addc_co_u32_e32 v8, vcc, v19, v8, vcc
	global_load_dword v3, v[7:8], off glc
	s_waitcnt vmcnt(0)
	v_cmp_gt_u32_e32 vcc, 2.0, v3
	s_and_saveexec_b64 s[52:53], vcc
	s_cbranch_execz .LBB1837_50
; %bb.53:                               ;   in Loop: Header=BB1837_51 Depth=1
	s_mov_b64 s[54:55], 0
.LBB1837_54:                            ;   Parent Loop BB1837_51 Depth=1
                                        ; =>  This Inner Loop Header: Depth=2
	global_load_dword v3, v[7:8], off glc
	s_waitcnt vmcnt(0)
	v_cmp_lt_u32_e32 vcc, s58, v3
	s_or_b64 s[54:55], vcc, s[54:55]
	s_andn2_b64 exec, exec, s[54:55]
	s_cbranch_execnz .LBB1837_54
	s_branch .LBB1837_49
.LBB1837_55:                            ;   in Loop: Header=BB1837_51 Depth=1
                                        ; implicit-def: $sgpr59
	s_and_b64 s[54:55], exec, s[52:53]
	s_or_b64 s[50:51], s[54:55], s[50:51]
	s_andn2_b64 exec, exec, s[50:51]
	s_cbranch_execnz .LBB1837_51
.LBB1837_56:
	s_or_b64 exec, exec, s[50:51]
	v_add_u32_e32 v3, v48, v33
	v_or_b32_e32 v3, 0x80000000, v3
	global_store_dword v[5:6], v3, off
	global_load_dword v3, v37, s[44:45]
	v_sub_u32_e32 v4, v48, v32
	s_waitcnt vmcnt(0)
	v_add_u32_e32 v3, v4, v3
	ds_write_b32 v37, v3
.LBB1837_57:
	s_or_b64 exec, exec, s[28:29]
	v_add_u32_e32 v48, v17, v18
	v_add3_u32 v5, v24, v23, v42
	v_add3_u32 v6, v26, v25, v43
	;; [unrolled: 1-line block ×7, first 2 shown]
	s_mov_b32 s52, 16
	s_mov_b32 s59, 0
	s_mov_b64 s[28:29], -1
	s_brev_b32 s53, -2
	v_mov_b32_e32 v4, 0
	s_movk_i32 s54, 0x200
	s_movk_i32 s55, 0x400
	s_movk_i32 s58, 0x600
	v_bfrev_b32_e32 v49, 1
	v_mov_b32_e32 v50, v48
	v_mov_b32_e32 v51, v0
	s_branch .LBB1837_59
.LBB1837_58:                            ;   in Loop: Header=BB1837_59 Depth=1
	s_or_b64 exec, exec, s[50:51]
	s_xor_b64 s[50:51], s[28:29], -1
	v_add_u32_e32 v51, 0x800, v51
	v_add_u32_e32 v19, 0xfffff800, v19
	v_add_u32_e32 v18, 0xfffff800, v18
	v_add_u32_e32 v17, 0xfffff800, v17
	v_add_u32_e32 v8, 0xfffff800, v8
	v_add_u32_e32 v7, 0xfffff800, v7
	v_add_u32_e32 v6, 0xfffff800, v6
	v_add_u32_e32 v5, 0xfffff800, v5
	v_add_u32_e32 v50, 0xfffff800, v50
	s_mov_b64 s[28:29], 0
	s_and_b64 vcc, exec, s[50:51]
	s_mov_b32 s59, s52
	s_waitcnt vmcnt(0)
	s_barrier
	s_cbranch_vccnz .LBB1837_67
.LBB1837_59:                            ; =>This Inner Loop Header: Depth=1
	v_min_u32_e32 v3, 0x800, v50
	v_lshlrev_b32_e32 v3, 2, v3
	ds_write_b32 v3, v16 offset:1024
	v_min_u32_e32 v3, 0x800, v5
	v_lshlrev_b32_e32 v3, 2, v3
	ds_write_b32 v3, v13 offset:1024
	;; [unrolled: 3-line block ×7, first 2 shown]
	v_min_u32_e32 v3, 0x800, v19
	v_lshlrev_b32_e32 v3, 2, v3
	v_cmp_gt_u32_e32 vcc, s7, v51
	ds_write_b32 v3, v10 offset:1024
	s_waitcnt lgkmcnt(0)
	s_barrier
	s_and_saveexec_b64 s[50:51], vcc
	s_cbranch_execz .LBB1837_61
; %bb.60:                               ;   in Loop: Header=BB1837_59 Depth=1
	ds_read_b32 v3, v37 offset:1024
	v_mov_b32_e32 v54, s39
	v_mov_b32_e32 v56, s59
	s_waitcnt lgkmcnt(0)
	v_cmp_ne_u32_e32 vcc, s53, v3
	v_cndmask_b32_e32 v52, v49, v3, vcc
	v_lshrrev_b32_e32 v52, s48, v52
	v_and_b32_e32 v55, s57, v52
	v_lshlrev_b32_e32 v52, 2, v55
	ds_read_b32 v52, v52
	v_cmp_lt_i32_e32 vcc, -1, v3
	v_cndmask_b32_e64 v53, v49, -1, vcc
	v_xor_b32_e32 v57, v53, v3
	buffer_store_dword v55, v56, s[0:3], 0 offen
	s_waitcnt lgkmcnt(0)
	v_add_u32_e32 v3, v51, v52
	v_lshlrev_b64 v[52:53], 2, v[3:4]
	v_add_co_u32_e32 v52, vcc, s38, v52
	v_addc_co_u32_e32 v53, vcc, v54, v53, vcc
	global_store_dword v[52:53], v57, off
.LBB1837_61:                            ;   in Loop: Header=BB1837_59 Depth=1
	s_or_b64 exec, exec, s[50:51]
	v_add_u32_e32 v3, 0x200, v51
	v_cmp_gt_u32_e32 vcc, s7, v3
	s_and_saveexec_b64 s[50:51], vcc
	s_cbranch_execz .LBB1837_63
; %bb.62:                               ;   in Loop: Header=BB1837_59 Depth=1
	ds_read_b32 v3, v37 offset:3072
	v_mov_b32_e32 v54, s39
	v_mov_b32_e32 v56, s59
	s_waitcnt lgkmcnt(0)
	v_cmp_ne_u32_e32 vcc, s53, v3
	v_cndmask_b32_e32 v52, v49, v3, vcc
	v_lshrrev_b32_e32 v52, s48, v52
	v_and_b32_e32 v55, s57, v52
	v_lshlrev_b32_e32 v52, 2, v55
	ds_read_b32 v52, v52
	v_cmp_lt_i32_e32 vcc, -1, v3
	v_cndmask_b32_e64 v53, v49, -1, vcc
	v_xor_b32_e32 v57, v53, v3
	buffer_store_dword v55, v56, s[0:3], 0 offen offset:4
	s_waitcnt lgkmcnt(0)
	v_add3_u32 v3, v51, v52, s54
	v_lshlrev_b64 v[52:53], 2, v[3:4]
	v_add_co_u32_e32 v52, vcc, s38, v52
	v_addc_co_u32_e32 v53, vcc, v54, v53, vcc
	global_store_dword v[52:53], v57, off
.LBB1837_63:                            ;   in Loop: Header=BB1837_59 Depth=1
	s_or_b64 exec, exec, s[50:51]
	v_add_u32_e32 v3, 0x400, v51
	v_cmp_gt_u32_e32 vcc, s7, v3
	s_and_saveexec_b64 s[50:51], vcc
	s_cbranch_execz .LBB1837_65
; %bb.64:                               ;   in Loop: Header=BB1837_59 Depth=1
	ds_read_b32 v3, v37 offset:5120
	v_mov_b32_e32 v54, s39
	v_mov_b32_e32 v56, s59
	s_waitcnt lgkmcnt(0)
	v_cmp_ne_u32_e32 vcc, s53, v3
	v_cndmask_b32_e32 v52, v49, v3, vcc
	v_lshrrev_b32_e32 v52, s48, v52
	v_and_b32_e32 v55, s57, v52
	v_lshlrev_b32_e32 v52, 2, v55
	ds_read_b32 v52, v52
	v_cmp_lt_i32_e32 vcc, -1, v3
	v_cndmask_b32_e64 v53, v49, -1, vcc
	v_xor_b32_e32 v57, v53, v3
	buffer_store_dword v55, v56, s[0:3], 0 offen offset:8
	s_waitcnt lgkmcnt(0)
	v_add3_u32 v3, v51, v52, s55
	v_lshlrev_b64 v[52:53], 2, v[3:4]
	v_add_co_u32_e32 v52, vcc, s38, v52
	v_addc_co_u32_e32 v53, vcc, v54, v53, vcc
	global_store_dword v[52:53], v57, off
.LBB1837_65:                            ;   in Loop: Header=BB1837_59 Depth=1
	s_or_b64 exec, exec, s[50:51]
	v_add_u32_e32 v3, 0x600, v51
	v_cmp_gt_u32_e32 vcc, s7, v3
	s_and_saveexec_b64 s[50:51], vcc
	s_cbranch_execz .LBB1837_58
; %bb.66:                               ;   in Loop: Header=BB1837_59 Depth=1
	ds_read_b32 v3, v37 offset:7168
	v_mov_b32_e32 v54, s39
	v_mov_b32_e32 v56, s59
	s_waitcnt lgkmcnt(0)
	v_cmp_ne_u32_e32 vcc, s53, v3
	v_cndmask_b32_e32 v52, v49, v3, vcc
	v_lshrrev_b32_e32 v52, s48, v52
	v_and_b32_e32 v55, s57, v52
	v_lshlrev_b32_e32 v52, 2, v55
	ds_read_b32 v52, v52
	v_cmp_lt_i32_e32 vcc, -1, v3
	v_cndmask_b32_e64 v53, v49, -1, vcc
	v_xor_b32_e32 v57, v53, v3
	buffer_store_dword v55, v56, s[0:3], 0 offen offset:12
	s_waitcnt lgkmcnt(0)
	v_add3_u32 v3, v51, v52, s58
	v_lshlrev_b64 v[52:53], 2, v[3:4]
	v_add_co_u32_e32 v52, vcc, s38, v52
	v_addc_co_u32_e32 v53, vcc, v54, v53, vcc
	global_store_dword v[52:53], v57, off
	s_branch .LBB1837_58
.LBB1837_67:
	s_lshl_b64 s[28:29], s[34:35], 3
	s_add_u32 s28, s40, s28
	s_addc_u32 s29, s41, s29
	v_lshlrev_b32_e32 v3, 3, v15
	v_mov_b32_e32 v4, s29
	v_add_co_u32_e32 v3, vcc, s28, v3
	v_addc_co_u32_e32 v4, vcc, 0, v4, vcc
	v_lshlrev_b32_e32 v5, 3, v14
	v_add_co_u32_e32 v19, vcc, v3, v5
	v_addc_co_u32_e32 v20, vcc, 0, v4, vcc
                                        ; implicit-def: $vgpr3_vgpr4
	s_and_saveexec_b64 s[28:29], s[8:9]
	s_cbranch_execz .LBB1837_75
; %bb.68:
	global_load_dwordx2 v[3:4], v[19:20], off
	s_or_b64 exec, exec, s[28:29]
                                        ; implicit-def: $vgpr5_vgpr6
	s_and_saveexec_b64 s[8:9], s[10:11]
	s_cbranch_execnz .LBB1837_76
.LBB1837_69:
	s_or_b64 exec, exec, s[8:9]
                                        ; implicit-def: $vgpr7_vgpr8
	s_and_saveexec_b64 s[8:9], s[12:13]
	s_cbranch_execz .LBB1837_77
.LBB1837_70:
	global_load_dwordx2 v[7:8], v[19:20], off offset:1024
	s_or_b64 exec, exec, s[8:9]
                                        ; implicit-def: $vgpr9_vgpr10
	s_and_saveexec_b64 s[8:9], s[14:15]
	s_cbranch_execnz .LBB1837_78
.LBB1837_71:
	s_or_b64 exec, exec, s[8:9]
                                        ; implicit-def: $vgpr11_vgpr12
	s_and_saveexec_b64 s[8:9], s[16:17]
	s_cbranch_execz .LBB1837_79
.LBB1837_72:
	global_load_dwordx2 v[11:12], v[19:20], off offset:2048
	s_or_b64 exec, exec, s[8:9]
                                        ; implicit-def: $vgpr13_vgpr14
	s_and_saveexec_b64 s[8:9], s[18:19]
	s_cbranch_execnz .LBB1837_80
.LBB1837_73:
	s_or_b64 exec, exec, s[8:9]
                                        ; implicit-def: $vgpr15_vgpr16
	s_and_saveexec_b64 s[8:9], s[20:21]
	s_cbranch_execz .LBB1837_81
.LBB1837_74:
	global_load_dwordx2 v[15:16], v[19:20], off offset:3072
	s_or_b64 exec, exec, s[8:9]
                                        ; implicit-def: $vgpr17_vgpr18
	s_and_saveexec_b64 s[8:9], s[22:23]
	s_cbranch_execnz .LBB1837_82
	s_branch .LBB1837_83
.LBB1837_75:
	s_or_b64 exec, exec, s[28:29]
                                        ; implicit-def: $vgpr5_vgpr6
	s_and_saveexec_b64 s[8:9], s[10:11]
	s_cbranch_execz .LBB1837_69
.LBB1837_76:
	global_load_dwordx2 v[5:6], v[19:20], off offset:512
	s_or_b64 exec, exec, s[8:9]
                                        ; implicit-def: $vgpr7_vgpr8
	s_and_saveexec_b64 s[8:9], s[12:13]
	s_cbranch_execnz .LBB1837_70
.LBB1837_77:
	s_or_b64 exec, exec, s[8:9]
                                        ; implicit-def: $vgpr9_vgpr10
	s_and_saveexec_b64 s[8:9], s[14:15]
	s_cbranch_execz .LBB1837_71
.LBB1837_78:
	global_load_dwordx2 v[9:10], v[19:20], off offset:1536
	s_or_b64 exec, exec, s[8:9]
                                        ; implicit-def: $vgpr11_vgpr12
	s_and_saveexec_b64 s[8:9], s[16:17]
	s_cbranch_execnz .LBB1837_72
.LBB1837_79:
	s_or_b64 exec, exec, s[8:9]
                                        ; implicit-def: $vgpr13_vgpr14
	s_and_saveexec_b64 s[8:9], s[18:19]
	s_cbranch_execz .LBB1837_73
.LBB1837_80:
	global_load_dwordx2 v[13:14], v[19:20], off offset:2560
	s_or_b64 exec, exec, s[8:9]
                                        ; implicit-def: $vgpr15_vgpr16
	s_and_saveexec_b64 s[8:9], s[20:21]
	s_cbranch_execnz .LBB1837_74
.LBB1837_81:
	s_or_b64 exec, exec, s[8:9]
                                        ; implicit-def: $vgpr17_vgpr18
	s_and_saveexec_b64 s[8:9], s[22:23]
	s_cbranch_execz .LBB1837_83
.LBB1837_82:
	global_load_dwordx2 v[17:18], v[19:20], off offset:3584
.LBB1837_83:
	s_or_b64 exec, exec, s[8:9]
	v_add3_u32 v35, v41, v47, v39
	v_add3_u32 v36, v38, v46, v36
	;; [unrolled: 1-line block ×7, first 2 shown]
	s_mov_b32 s10, 0
	s_mov_b32 s11, 0
	v_mov_b32_e32 v20, 0
	s_movk_i32 s12, 0x200
	v_mov_b32_e32 v24, v0
	s_branch .LBB1837_85
.LBB1837_84:                            ;   in Loop: Header=BB1837_85 Depth=1
	s_or_b64 exec, exec, s[8:9]
	s_addk_i32 s11, 0xfc00
	s_add_i32 s10, s10, 8
	s_cmpk_eq_i32 s11, 0xf000
	v_add_u32_e32 v24, 0x400, v24
	s_waitcnt vmcnt(0)
	s_barrier
	s_cbranch_scc1 .LBB1837_89
.LBB1837_85:                            ; =>This Inner Loop Header: Depth=1
	v_add_u32_e32 v19, s11, v48
	v_min_u32_e32 v19, 0x400, v19
	v_lshlrev_b32_e32 v19, 3, v19
	s_waitcnt vmcnt(0)
	ds_write_b64 v19, v[3:4] offset:1024
	v_add_u32_e32 v19, s11, v23
	v_min_u32_e32 v19, 0x400, v19
	v_lshlrev_b32_e32 v19, 3, v19
	ds_write_b64 v19, v[5:6] offset:1024
	v_add_u32_e32 v19, s11, v25
	v_min_u32_e32 v19, 0x400, v19
	v_lshlrev_b32_e32 v19, 3, v19
	;; [unrolled: 4-line block ×7, first 2 shown]
	v_cmp_gt_u32_e32 vcc, s7, v24
	ds_write_b64 v19, v[17:18] offset:1024
	s_waitcnt lgkmcnt(0)
	s_barrier
	s_and_saveexec_b64 s[8:9], vcc
	s_cbranch_execz .LBB1837_87
; %bb.86:                               ;   in Loop: Header=BB1837_85 Depth=1
	v_mov_b32_e32 v19, s10
	buffer_load_dword v19, v19, s[0:3], 0 offen
	v_mov_b32_e32 v26, s43
	s_waitcnt vmcnt(0)
	v_lshlrev_b32_e32 v19, 2, v19
	ds_read_b32 v19, v19
	ds_read_b64 v[38:39], v21 offset:1024
	s_waitcnt lgkmcnt(1)
	v_add_u32_e32 v19, v24, v19
	v_lshlrev_b64 v[40:41], 3, v[19:20]
	v_add_co_u32_e32 v40, vcc, s42, v40
	v_addc_co_u32_e32 v41, vcc, v26, v41, vcc
	s_waitcnt lgkmcnt(0)
	global_store_dwordx2 v[40:41], v[38:39], off
.LBB1837_87:                            ;   in Loop: Header=BB1837_85 Depth=1
	s_or_b64 exec, exec, s[8:9]
	v_add_u32_e32 v19, 0x200, v24
	v_cmp_gt_u32_e32 vcc, s7, v19
	s_and_saveexec_b64 s[8:9], vcc
	s_cbranch_execz .LBB1837_84
; %bb.88:                               ;   in Loop: Header=BB1837_85 Depth=1
	v_mov_b32_e32 v19, s10
	buffer_load_dword v19, v19, s[0:3], 0 offen offset:4
	v_mov_b32_e32 v26, s43
	s_waitcnt vmcnt(0)
	v_lshlrev_b32_e32 v19, 2, v19
	ds_read_b32 v19, v19
	ds_read_b64 v[38:39], v21 offset:5120
	s_waitcnt lgkmcnt(1)
	v_add3_u32 v19, v24, v19, s12
	v_lshlrev_b64 v[40:41], 3, v[19:20]
	v_add_co_u32_e32 v40, vcc, s42, v40
	v_addc_co_u32_e32 v41, vcc, v26, v41, vcc
	s_waitcnt lgkmcnt(0)
	global_store_dwordx2 v[40:41], v[38:39], off
	s_branch .LBB1837_84
.LBB1837_89:
	s_add_i32 s56, s56, -1
	s_cmp_eq_u32 s33, s56
	s_cselect_b64 s[8:9], -1, 0
	s_xor_b64 s[10:11], s[24:25], -1
	s_and_b64 s[10:11], s[10:11], s[8:9]
	s_and_saveexec_b64 s[8:9], s[10:11]
	s_cbranch_execz .LBB1837_91
; %bb.90:
	ds_read_b32 v3, v37
	s_waitcnt lgkmcnt(0)
	v_add3_u32 v3, v32, v33, v3
	global_store_dword v37, v3, s[46:47]
.LBB1837_91:
	s_or_b64 exec, exec, s[8:9]
	s_mov_b64 s[8:9], 0
.LBB1837_92:
	s_and_b64 vcc, exec, s[8:9]
	s_cbranch_vccz .LBB1837_135
; %bb.93:
	s_lshl_b32 s8, s33, 12
	s_mov_b32 s9, 0
	s_lshl_b64 s[10:11], s[8:9], 2
	v_mbcnt_hi_u32_b32 v5, -1, v22
	s_add_u32 s7, s36, s10
	v_and_b32_e32 v8, 63, v5
	s_addc_u32 s10, s37, s11
	v_lshlrev_b32_e32 v3, 2, v8
	v_and_b32_e32 v7, 0xe00, v21
	v_mov_b32_e32 v4, s10
	v_add_co_u32_e32 v3, vcc, s7, v3
	v_addc_co_u32_e32 v4, vcc, 0, v4, vcc
	v_lshlrev_b32_e32 v6, 2, v7
	v_add_co_u32_e32 v14, vcc, v3, v6
	v_addc_co_u32_e32 v15, vcc, 0, v4, vcc
	global_load_dword v4, v[14:15], off
	s_load_dword s16, s[4:5], 0x58
	s_load_dword s7, s[4:5], 0x64
	s_add_u32 s4, s4, 0x58
	s_addc_u32 s5, s5, 0
	v_mov_b32_e32 v3, 0
	v_bfrev_b32_e32 v11, 1
	s_waitcnt lgkmcnt(0)
	s_lshr_b32 s11, s7, 16
	s_cmp_lt_u32 s6, s16
	s_cselect_b32 s6, 12, 18
	s_add_u32 s4, s4, s6
	s_addc_u32 s5, s5, 0
	global_load_ushort v6, v3, s[4:5]
	global_load_dword v10, v[14:15], off offset:256
	global_load_dword v17, v[14:15], off offset:512
	;; [unrolled: 1-line block ×7, first 2 shown]
	s_brev_b32 s10, -2
	s_lshl_b32 s4, -1, s49
	s_not_b32 s17, s4
	v_mad_u32_u24 v1, v2, s11, v1
	s_waitcnt vmcnt(8)
	v_cmp_lt_i32_e32 vcc, -1, v4
	v_cndmask_b32_e32 v9, -1, v11, vcc
	v_xor_b32_e32 v9, v9, v4
	v_cmp_ne_u32_e32 vcc, s10, v9
	v_cndmask_b32_e32 v4, v11, v9, vcc
	v_lshrrev_b32_e32 v4, s48, v4
	v_and_b32_e32 v12, s17, v4
	v_and_b32_e32 v14, 1, v12
	v_lshlrev_b32_e32 v4, 30, v12
	v_cmp_ne_u32_e32 vcc, 0, v14
	v_add_co_u32_e64 v14, s[6:7], -1, v14
	v_cmp_gt_i64_e64 s[4:5], 0, v[3:4]
	v_addc_co_u32_e64 v15, s[6:7], 0, -1, s[6:7]
	v_not_b32_e32 v18, v4
	v_lshlrev_b32_e32 v4, 29, v12
	v_xor_b32_e32 v15, vcc_hi, v15
	v_ashrrev_i32_e32 v18, 31, v18
	v_xor_b32_e32 v14, vcc_lo, v14
	v_cmp_gt_i64_e32 vcc, 0, v[3:4]
	v_not_b32_e32 v19, v4
	v_lshlrev_b32_e32 v4, 28, v12
	v_and_b32_e32 v15, exec_hi, v15
	v_xor_b32_e32 v20, s5, v18
	v_and_b32_e32 v14, exec_lo, v14
	v_xor_b32_e32 v18, s4, v18
	v_ashrrev_i32_e32 v19, 31, v19
	v_cmp_gt_i64_e64 s[4:5], 0, v[3:4]
	v_not_b32_e32 v23, v4
	v_lshlrev_b32_e32 v4, 27, v12
	v_and_b32_e32 v15, v15, v20
	v_and_b32_e32 v14, v14, v18
	v_xor_b32_e32 v18, vcc_hi, v19
	v_xor_b32_e32 v19, vcc_lo, v19
	v_ashrrev_i32_e32 v20, 31, v23
	v_cmp_gt_i64_e32 vcc, 0, v[3:4]
	v_not_b32_e32 v23, v4
	v_lshlrev_b32_e32 v4, 26, v12
	v_and_b32_e32 v15, v15, v18
	v_and_b32_e32 v14, v14, v19
	v_xor_b32_e32 v18, s5, v20
	v_xor_b32_e32 v19, s4, v20
	v_ashrrev_i32_e32 v20, 31, v23
	v_cmp_gt_i64_e64 s[4:5], 0, v[3:4]
	v_not_b32_e32 v23, v4
	v_lshlrev_b32_e32 v4, 25, v12
	v_and_b32_e32 v15, v15, v18
	v_and_b32_e32 v14, v14, v19
	v_xor_b32_e32 v18, vcc_hi, v20
	v_xor_b32_e32 v19, vcc_lo, v20
	v_ashrrev_i32_e32 v20, 31, v23
	v_cmp_gt_i64_e32 vcc, 0, v[3:4]
	v_not_b32_e32 v4, v4
	v_and_b32_e32 v15, v15, v18
	v_and_b32_e32 v14, v14, v19
	v_xor_b32_e32 v18, s5, v20
	v_xor_b32_e32 v19, s4, v20
	v_ashrrev_i32_e32 v4, 31, v4
	v_and_b32_e32 v15, v15, v18
	v_and_b32_e32 v14, v14, v19
	v_xor_b32_e32 v18, vcc_hi, v4
	v_xor_b32_e32 v4, vcc_lo, v4
	v_and_b32_e32 v19, v14, v4
	v_lshlrev_b32_e32 v4, 24, v12
	v_cmp_gt_i64_e32 vcc, 0, v[3:4]
	v_not_b32_e32 v4, v4
	v_and_b32_e32 v18, v15, v18
	v_ashrrev_i32_e32 v4, 31, v4
	s_waitcnt vmcnt(7)
	v_mad_u64_u32 v[14:15], s[4:5], v1, v6, v[0:1]
	v_xor_b32_e32 v20, vcc_hi, v4
	v_xor_b32_e32 v1, vcc_lo, v4
	v_mul_lo_u32 v4, v12, 36
	v_and_b32_e32 v1, v19, v1
	v_lshrrev_b32_e32 v27, 6, v14
	v_and_b32_e32 v2, v18, v20
	v_lshl_add_u32 v18, v27, 2, v4
	v_mbcnt_lo_u32_b32 v4, v1, 0
	v_mbcnt_hi_u32_b32 v12, v2, v4
	v_cmp_ne_u64_e32 vcc, 0, v[1:2]
	v_cmp_eq_u32_e64 s[4:5], 0, v12
	v_mul_u32_u24_e32 v6, 20, v0
	s_and_b64 s[6:7], vcc, s[4:5]
	ds_write2_b32 v6, v3, v3 offset0:8 offset1:9
	ds_write2_b32 v6, v3, v3 offset0:10 offset1:11
	ds_write_b32 v6, v3 offset:48
	s_waitcnt vmcnt(0) lgkmcnt(0)
	s_barrier
	; wave barrier
	s_and_saveexec_b64 s[4:5], s[6:7]
; %bb.94:
	v_bcnt_u32_b32 v1, v1, 0
	v_bcnt_u32_b32 v1, v2, v1
	ds_write_b32 v18, v1 offset:32
; %bb.95:
	s_or_b64 exec, exec, s[4:5]
	v_cmp_lt_i32_e32 vcc, -1, v10
	v_cndmask_b32_e32 v1, -1, v11, vcc
	v_xor_b32_e32 v10, v1, v10
	v_cmp_ne_u32_e32 vcc, s10, v10
	v_cndmask_b32_e32 v1, v11, v10, vcc
	v_lshrrev_b32_e32 v1, s48, v1
	v_and_b32_e32 v1, s17, v1
	v_mul_lo_u32 v2, v1, 36
	; wave barrier
	v_lshl_add_u32 v19, v27, 2, v2
	v_and_b32_e32 v2, 1, v1
	v_add_co_u32_e32 v4, vcc, -1, v2
	v_addc_co_u32_e64 v11, s[4:5], 0, -1, vcc
	v_cmp_ne_u32_e32 vcc, 0, v2
	v_xor_b32_e32 v4, vcc_lo, v4
	v_xor_b32_e32 v2, vcc_hi, v11
	v_and_b32_e32 v11, exec_lo, v4
	v_lshlrev_b32_e32 v4, 30, v1
	v_cmp_gt_i64_e32 vcc, 0, v[3:4]
	v_not_b32_e32 v4, v4
	v_ashrrev_i32_e32 v4, 31, v4
	v_xor_b32_e32 v15, vcc_hi, v4
	v_xor_b32_e32 v4, vcc_lo, v4
	v_and_b32_e32 v11, v11, v4
	v_lshlrev_b32_e32 v4, 29, v1
	v_cmp_gt_i64_e32 vcc, 0, v[3:4]
	v_not_b32_e32 v4, v4
	v_and_b32_e32 v2, exec_hi, v2
	v_ashrrev_i32_e32 v4, 31, v4
	v_and_b32_e32 v2, v2, v15
	v_xor_b32_e32 v15, vcc_hi, v4
	v_xor_b32_e32 v4, vcc_lo, v4
	v_and_b32_e32 v11, v11, v4
	v_lshlrev_b32_e32 v4, 28, v1
	v_cmp_gt_i64_e32 vcc, 0, v[3:4]
	v_not_b32_e32 v4, v4
	v_ashrrev_i32_e32 v4, 31, v4
	v_and_b32_e32 v2, v2, v15
	v_xor_b32_e32 v15, vcc_hi, v4
	v_xor_b32_e32 v4, vcc_lo, v4
	v_and_b32_e32 v11, v11, v4
	v_lshlrev_b32_e32 v4, 27, v1
	v_cmp_gt_i64_e32 vcc, 0, v[3:4]
	v_not_b32_e32 v4, v4
	;; [unrolled: 8-line block ×5, first 2 shown]
	v_ashrrev_i32_e32 v1, 31, v1
	v_xor_b32_e32 v3, vcc_hi, v1
	v_xor_b32_e32 v1, vcc_lo, v1
	ds_read_b32 v14, v19 offset:32
	v_and_b32_e32 v2, v2, v15
	v_and_b32_e32 v1, v11, v1
	;; [unrolled: 1-line block ×3, first 2 shown]
	v_mbcnt_lo_u32_b32 v3, v1, 0
	v_mbcnt_hi_u32_b32 v15, v2, v3
	v_cmp_ne_u64_e32 vcc, 0, v[1:2]
	v_cmp_eq_u32_e64 s[4:5], 0, v15
	s_and_b64 s[6:7], vcc, s[4:5]
	; wave barrier
	s_and_saveexec_b64 s[4:5], s[6:7]
	s_cbranch_execz .LBB1837_97
; %bb.96:
	v_bcnt_u32_b32 v1, v1, 0
	v_bcnt_u32_b32 v1, v2, v1
	s_waitcnt lgkmcnt(0)
	v_add_u32_e32 v1, v14, v1
	ds_write_b32 v19, v1 offset:32
.LBB1837_97:
	s_or_b64 exec, exec, s[4:5]
	v_bfrev_b32_e32 v4, 1
	v_cmp_lt_i32_e32 vcc, -1, v17
	v_cndmask_b32_e32 v1, -1, v4, vcc
	v_xor_b32_e32 v11, v1, v17
	s_brev_b32 s6, -2
	v_cmp_ne_u32_e32 vcc, s6, v11
	v_cndmask_b32_e32 v1, v4, v11, vcc
	v_lshrrev_b32_e32 v1, s48, v1
	v_and_b32_e32 v3, s17, v1
	v_mul_lo_u32 v1, v3, 36
	v_and_b32_e32 v2, 1, v3
	v_add_co_u32_e32 v20, vcc, -1, v2
	v_addc_co_u32_e64 v23, s[4:5], 0, -1, vcc
	v_cmp_ne_u32_e32 vcc, 0, v2
	v_xor_b32_e32 v2, vcc_hi, v23
	v_lshl_add_u32 v25, v27, 2, v1
	v_mov_b32_e32 v1, 0
	v_and_b32_e32 v23, exec_hi, v2
	v_lshlrev_b32_e32 v2, 30, v3
	v_xor_b32_e32 v20, vcc_lo, v20
	v_cmp_gt_i64_e32 vcc, 0, v[1:2]
	v_not_b32_e32 v2, v2
	v_ashrrev_i32_e32 v2, 31, v2
	v_and_b32_e32 v20, exec_lo, v20
	v_xor_b32_e32 v26, vcc_hi, v2
	v_xor_b32_e32 v2, vcc_lo, v2
	v_and_b32_e32 v20, v20, v2
	v_lshlrev_b32_e32 v2, 29, v3
	v_cmp_gt_i64_e32 vcc, 0, v[1:2]
	v_not_b32_e32 v2, v2
	v_ashrrev_i32_e32 v2, 31, v2
	v_and_b32_e32 v23, v23, v26
	v_xor_b32_e32 v26, vcc_hi, v2
	v_xor_b32_e32 v2, vcc_lo, v2
	v_and_b32_e32 v20, v20, v2
	v_lshlrev_b32_e32 v2, 28, v3
	v_cmp_gt_i64_e32 vcc, 0, v[1:2]
	v_not_b32_e32 v2, v2
	v_ashrrev_i32_e32 v2, 31, v2
	v_and_b32_e32 v23, v23, v26
	;; [unrolled: 8-line block ×5, first 2 shown]
	v_xor_b32_e32 v26, vcc_hi, v2
	v_xor_b32_e32 v2, vcc_lo, v2
	v_and_b32_e32 v20, v20, v2
	v_lshlrev_b32_e32 v2, 24, v3
	v_cmp_gt_i64_e32 vcc, 0, v[1:2]
	v_not_b32_e32 v2, v2
	v_ashrrev_i32_e32 v2, 31, v2
	v_xor_b32_e32 v3, vcc_hi, v2
	v_xor_b32_e32 v2, vcc_lo, v2
	; wave barrier
	ds_read_b32 v17, v25 offset:32
	v_and_b32_e32 v23, v23, v26
	v_and_b32_e32 v2, v20, v2
	;; [unrolled: 1-line block ×3, first 2 shown]
	v_mbcnt_lo_u32_b32 v20, v2, 0
	v_mbcnt_hi_u32_b32 v20, v3, v20
	v_cmp_ne_u64_e32 vcc, 0, v[2:3]
	v_cmp_eq_u32_e64 s[4:5], 0, v20
	s_and_b64 s[10:11], vcc, s[4:5]
	; wave barrier
	s_and_saveexec_b64 s[4:5], s[10:11]
	s_cbranch_execz .LBB1837_99
; %bb.98:
	v_bcnt_u32_b32 v2, v2, 0
	v_bcnt_u32_b32 v2, v3, v2
	s_waitcnt lgkmcnt(0)
	v_add_u32_e32 v2, v17, v2
	ds_write_b32 v25, v2 offset:32
.LBB1837_99:
	s_or_b64 exec, exec, s[4:5]
	v_cmp_lt_i32_e32 vcc, -1, v13
	v_cndmask_b32_e32 v2, -1, v4, vcc
	v_xor_b32_e32 v13, v2, v13
	v_cmp_ne_u32_e32 vcc, s6, v13
	v_cndmask_b32_e32 v2, v4, v13, vcc
	v_lshrrev_b32_e32 v2, s48, v2
	v_and_b32_e32 v3, s17, v2
	v_mul_lo_u32 v2, v3, 36
	; wave barrier
	v_lshl_add_u32 v30, v27, 2, v2
	v_and_b32_e32 v2, 1, v3
	v_add_co_u32_e32 v4, vcc, -1, v2
	v_addc_co_u32_e64 v26, s[4:5], 0, -1, vcc
	v_cmp_ne_u32_e32 vcc, 0, v2
	v_xor_b32_e32 v2, vcc_hi, v26
	v_and_b32_e32 v26, exec_hi, v2
	v_lshlrev_b32_e32 v2, 30, v3
	v_xor_b32_e32 v4, vcc_lo, v4
	v_cmp_gt_i64_e32 vcc, 0, v[1:2]
	v_not_b32_e32 v2, v2
	v_ashrrev_i32_e32 v2, 31, v2
	v_and_b32_e32 v4, exec_lo, v4
	v_xor_b32_e32 v29, vcc_hi, v2
	v_xor_b32_e32 v2, vcc_lo, v2
	v_and_b32_e32 v4, v4, v2
	v_lshlrev_b32_e32 v2, 29, v3
	v_cmp_gt_i64_e32 vcc, 0, v[1:2]
	v_not_b32_e32 v2, v2
	v_ashrrev_i32_e32 v2, 31, v2
	v_and_b32_e32 v26, v26, v29
	v_xor_b32_e32 v29, vcc_hi, v2
	v_xor_b32_e32 v2, vcc_lo, v2
	v_and_b32_e32 v4, v4, v2
	v_lshlrev_b32_e32 v2, 28, v3
	v_cmp_gt_i64_e32 vcc, 0, v[1:2]
	v_not_b32_e32 v2, v2
	v_ashrrev_i32_e32 v2, 31, v2
	v_and_b32_e32 v26, v26, v29
	;; [unrolled: 8-line block ×5, first 2 shown]
	v_xor_b32_e32 v29, vcc_hi, v2
	v_xor_b32_e32 v2, vcc_lo, v2
	v_and_b32_e32 v4, v4, v2
	v_lshlrev_b32_e32 v2, 24, v3
	v_cmp_gt_i64_e32 vcc, 0, v[1:2]
	v_not_b32_e32 v1, v2
	v_ashrrev_i32_e32 v1, 31, v1
	v_xor_b32_e32 v2, vcc_hi, v1
	v_xor_b32_e32 v1, vcc_lo, v1
	ds_read_b32 v23, v30 offset:32
	v_and_b32_e32 v26, v26, v29
	v_and_b32_e32 v1, v4, v1
	;; [unrolled: 1-line block ×3, first 2 shown]
	v_mbcnt_lo_u32_b32 v3, v1, 0
	v_mbcnt_hi_u32_b32 v26, v2, v3
	v_cmp_ne_u64_e32 vcc, 0, v[1:2]
	v_cmp_eq_u32_e64 s[4:5], 0, v26
	s_and_b64 s[6:7], vcc, s[4:5]
	; wave barrier
	s_and_saveexec_b64 s[4:5], s[6:7]
	s_cbranch_execz .LBB1837_101
; %bb.100:
	v_bcnt_u32_b32 v1, v1, 0
	v_bcnt_u32_b32 v1, v2, v1
	s_waitcnt lgkmcnt(0)
	v_add_u32_e32 v1, v23, v1
	ds_write_b32 v30, v1 offset:32
.LBB1837_101:
	s_or_b64 exec, exec, s[4:5]
	v_bfrev_b32_e32 v4, 1
	v_cmp_lt_i32_e32 vcc, -1, v16
	v_cndmask_b32_e32 v1, -1, v4, vcc
	v_xor_b32_e32 v16, v1, v16
	s_brev_b32 s6, -2
	v_cmp_ne_u32_e32 vcc, s6, v16
	v_cndmask_b32_e32 v1, v4, v16, vcc
	v_lshrrev_b32_e32 v1, s48, v1
	v_and_b32_e32 v3, s17, v1
	v_mul_lo_u32 v1, v3, 36
	v_and_b32_e32 v2, 1, v3
	v_add_co_u32_e32 v31, vcc, -1, v2
	v_addc_co_u32_e64 v32, s[4:5], 0, -1, vcc
	v_cmp_ne_u32_e32 vcc, 0, v2
	v_xor_b32_e32 v2, vcc_hi, v32
	v_lshl_add_u32 v34, v27, 2, v1
	v_mov_b32_e32 v1, 0
	v_and_b32_e32 v32, exec_hi, v2
	v_lshlrev_b32_e32 v2, 30, v3
	v_xor_b32_e32 v31, vcc_lo, v31
	v_cmp_gt_i64_e32 vcc, 0, v[1:2]
	v_not_b32_e32 v2, v2
	v_ashrrev_i32_e32 v2, 31, v2
	v_and_b32_e32 v31, exec_lo, v31
	v_xor_b32_e32 v33, vcc_hi, v2
	v_xor_b32_e32 v2, vcc_lo, v2
	v_and_b32_e32 v31, v31, v2
	v_lshlrev_b32_e32 v2, 29, v3
	v_cmp_gt_i64_e32 vcc, 0, v[1:2]
	v_not_b32_e32 v2, v2
	v_ashrrev_i32_e32 v2, 31, v2
	v_and_b32_e32 v32, v32, v33
	v_xor_b32_e32 v33, vcc_hi, v2
	v_xor_b32_e32 v2, vcc_lo, v2
	v_and_b32_e32 v31, v31, v2
	v_lshlrev_b32_e32 v2, 28, v3
	v_cmp_gt_i64_e32 vcc, 0, v[1:2]
	v_not_b32_e32 v2, v2
	v_ashrrev_i32_e32 v2, 31, v2
	v_and_b32_e32 v32, v32, v33
	;; [unrolled: 8-line block ×5, first 2 shown]
	v_xor_b32_e32 v33, vcc_hi, v2
	v_xor_b32_e32 v2, vcc_lo, v2
	v_and_b32_e32 v31, v31, v2
	v_lshlrev_b32_e32 v2, 24, v3
	v_cmp_gt_i64_e32 vcc, 0, v[1:2]
	v_not_b32_e32 v2, v2
	v_ashrrev_i32_e32 v2, 31, v2
	v_xor_b32_e32 v3, vcc_hi, v2
	v_xor_b32_e32 v2, vcc_lo, v2
	; wave barrier
	ds_read_b32 v29, v34 offset:32
	v_and_b32_e32 v32, v32, v33
	v_and_b32_e32 v2, v31, v2
	;; [unrolled: 1-line block ×3, first 2 shown]
	v_mbcnt_lo_u32_b32 v31, v2, 0
	v_mbcnt_hi_u32_b32 v31, v3, v31
	v_cmp_ne_u64_e32 vcc, 0, v[2:3]
	v_cmp_eq_u32_e64 s[4:5], 0, v31
	s_and_b64 s[10:11], vcc, s[4:5]
	; wave barrier
	s_and_saveexec_b64 s[4:5], s[10:11]
	s_cbranch_execz .LBB1837_103
; %bb.102:
	v_bcnt_u32_b32 v2, v2, 0
	v_bcnt_u32_b32 v2, v3, v2
	s_waitcnt lgkmcnt(0)
	v_add_u32_e32 v2, v29, v2
	ds_write_b32 v34, v2 offset:32
.LBB1837_103:
	s_or_b64 exec, exec, s[4:5]
	v_cmp_lt_i32_e32 vcc, -1, v22
	v_cndmask_b32_e32 v2, -1, v4, vcc
	v_xor_b32_e32 v22, v2, v22
	v_cmp_ne_u32_e32 vcc, s6, v22
	v_cndmask_b32_e32 v2, v4, v22, vcc
	v_lshrrev_b32_e32 v2, s48, v2
	v_and_b32_e32 v3, s17, v2
	v_mul_lo_u32 v2, v3, 36
	; wave barrier
	v_lshl_add_u32 v37, v27, 2, v2
	v_and_b32_e32 v2, 1, v3
	v_add_co_u32_e32 v4, vcc, -1, v2
	v_addc_co_u32_e64 v32, s[4:5], 0, -1, vcc
	v_cmp_ne_u32_e32 vcc, 0, v2
	v_xor_b32_e32 v2, vcc_hi, v32
	v_and_b32_e32 v32, exec_hi, v2
	v_lshlrev_b32_e32 v2, 30, v3
	v_xor_b32_e32 v4, vcc_lo, v4
	v_cmp_gt_i64_e32 vcc, 0, v[1:2]
	v_not_b32_e32 v2, v2
	v_ashrrev_i32_e32 v2, 31, v2
	v_and_b32_e32 v4, exec_lo, v4
	v_xor_b32_e32 v35, vcc_hi, v2
	v_xor_b32_e32 v2, vcc_lo, v2
	v_and_b32_e32 v4, v4, v2
	v_lshlrev_b32_e32 v2, 29, v3
	v_cmp_gt_i64_e32 vcc, 0, v[1:2]
	v_not_b32_e32 v2, v2
	v_ashrrev_i32_e32 v2, 31, v2
	v_and_b32_e32 v32, v32, v35
	v_xor_b32_e32 v35, vcc_hi, v2
	v_xor_b32_e32 v2, vcc_lo, v2
	v_and_b32_e32 v4, v4, v2
	v_lshlrev_b32_e32 v2, 28, v3
	v_cmp_gt_i64_e32 vcc, 0, v[1:2]
	v_not_b32_e32 v2, v2
	v_ashrrev_i32_e32 v2, 31, v2
	v_and_b32_e32 v32, v32, v35
	;; [unrolled: 8-line block ×5, first 2 shown]
	v_xor_b32_e32 v35, vcc_hi, v2
	v_xor_b32_e32 v2, vcc_lo, v2
	v_and_b32_e32 v4, v4, v2
	v_lshlrev_b32_e32 v2, 24, v3
	v_cmp_gt_i64_e32 vcc, 0, v[1:2]
	v_not_b32_e32 v1, v2
	v_ashrrev_i32_e32 v1, 31, v1
	v_xor_b32_e32 v2, vcc_hi, v1
	v_xor_b32_e32 v1, vcc_lo, v1
	ds_read_b32 v33, v37 offset:32
	v_and_b32_e32 v32, v32, v35
	v_and_b32_e32 v1, v4, v1
	;; [unrolled: 1-line block ×3, first 2 shown]
	v_mbcnt_lo_u32_b32 v3, v1, 0
	v_mbcnt_hi_u32_b32 v35, v2, v3
	v_cmp_ne_u64_e32 vcc, 0, v[1:2]
	v_cmp_eq_u32_e64 s[4:5], 0, v35
	s_and_b64 s[6:7], vcc, s[4:5]
	; wave barrier
	s_and_saveexec_b64 s[4:5], s[6:7]
	s_cbranch_execz .LBB1837_105
; %bb.104:
	v_bcnt_u32_b32 v1, v1, 0
	v_bcnt_u32_b32 v1, v2, v1
	s_waitcnt lgkmcnt(0)
	v_add_u32_e32 v1, v33, v1
	ds_write_b32 v37, v1 offset:32
.LBB1837_105:
	s_or_b64 exec, exec, s[4:5]
	v_bfrev_b32_e32 v4, 1
	v_cmp_lt_i32_e32 vcc, -1, v28
	v_cndmask_b32_e32 v1, -1, v4, vcc
	v_xor_b32_e32 v28, v1, v28
	s_brev_b32 s6, -2
	v_cmp_ne_u32_e32 vcc, s6, v28
	v_cndmask_b32_e32 v1, v4, v28, vcc
	v_lshrrev_b32_e32 v1, s48, v1
	v_and_b32_e32 v3, s17, v1
	v_mul_lo_u32 v1, v3, 36
	v_and_b32_e32 v2, 1, v3
	v_add_co_u32_e32 v32, vcc, -1, v2
	v_addc_co_u32_e64 v38, s[4:5], 0, -1, vcc
	v_cmp_ne_u32_e32 vcc, 0, v2
	v_xor_b32_e32 v2, vcc_hi, v38
	v_lshl_add_u32 v40, v27, 2, v1
	v_mov_b32_e32 v1, 0
	v_and_b32_e32 v38, exec_hi, v2
	v_lshlrev_b32_e32 v2, 30, v3
	v_xor_b32_e32 v32, vcc_lo, v32
	v_cmp_gt_i64_e32 vcc, 0, v[1:2]
	v_not_b32_e32 v2, v2
	v_ashrrev_i32_e32 v2, 31, v2
	v_and_b32_e32 v32, exec_lo, v32
	v_xor_b32_e32 v39, vcc_hi, v2
	v_xor_b32_e32 v2, vcc_lo, v2
	v_and_b32_e32 v32, v32, v2
	v_lshlrev_b32_e32 v2, 29, v3
	v_cmp_gt_i64_e32 vcc, 0, v[1:2]
	v_not_b32_e32 v2, v2
	v_ashrrev_i32_e32 v2, 31, v2
	v_and_b32_e32 v38, v38, v39
	v_xor_b32_e32 v39, vcc_hi, v2
	v_xor_b32_e32 v2, vcc_lo, v2
	v_and_b32_e32 v32, v32, v2
	v_lshlrev_b32_e32 v2, 28, v3
	v_cmp_gt_i64_e32 vcc, 0, v[1:2]
	v_not_b32_e32 v2, v2
	v_ashrrev_i32_e32 v2, 31, v2
	v_and_b32_e32 v38, v38, v39
	;; [unrolled: 8-line block ×5, first 2 shown]
	v_xor_b32_e32 v39, vcc_hi, v2
	v_xor_b32_e32 v2, vcc_lo, v2
	v_and_b32_e32 v32, v32, v2
	v_lshlrev_b32_e32 v2, 24, v3
	v_cmp_gt_i64_e32 vcc, 0, v[1:2]
	v_not_b32_e32 v2, v2
	v_ashrrev_i32_e32 v2, 31, v2
	v_xor_b32_e32 v3, vcc_hi, v2
	v_xor_b32_e32 v2, vcc_lo, v2
	; wave barrier
	ds_read_b32 v36, v40 offset:32
	v_and_b32_e32 v38, v38, v39
	v_and_b32_e32 v2, v32, v2
	;; [unrolled: 1-line block ×3, first 2 shown]
	v_mbcnt_lo_u32_b32 v32, v2, 0
	v_mbcnt_hi_u32_b32 v38, v3, v32
	v_cmp_ne_u64_e32 vcc, 0, v[2:3]
	v_cmp_eq_u32_e64 s[4:5], 0, v38
	s_and_b64 s[10:11], vcc, s[4:5]
	; wave barrier
	s_and_saveexec_b64 s[4:5], s[10:11]
	s_cbranch_execz .LBB1837_107
; %bb.106:
	v_bcnt_u32_b32 v2, v2, 0
	v_bcnt_u32_b32 v2, v3, v2
	s_waitcnt lgkmcnt(0)
	v_add_u32_e32 v2, v36, v2
	ds_write_b32 v40, v2 offset:32
.LBB1837_107:
	s_or_b64 exec, exec, s[4:5]
	v_cmp_lt_i32_e32 vcc, -1, v24
	v_cndmask_b32_e32 v2, -1, v4, vcc
	v_xor_b32_e32 v32, v2, v24
	v_cmp_ne_u32_e32 vcc, s6, v32
	v_cndmask_b32_e32 v2, v4, v32, vcc
	v_lshrrev_b32_e32 v2, s48, v2
	v_and_b32_e32 v3, s17, v2
	v_mul_lo_u32 v2, v3, 36
	; wave barrier
	v_lshl_add_u32 v27, v27, 2, v2
	v_and_b32_e32 v2, 1, v3
	v_add_co_u32_e32 v4, vcc, -1, v2
	v_addc_co_u32_e64 v24, s[4:5], 0, -1, vcc
	v_cmp_ne_u32_e32 vcc, 0, v2
	v_xor_b32_e32 v2, vcc_hi, v24
	v_and_b32_e32 v24, exec_hi, v2
	v_lshlrev_b32_e32 v2, 30, v3
	v_xor_b32_e32 v4, vcc_lo, v4
	v_cmp_gt_i64_e32 vcc, 0, v[1:2]
	v_not_b32_e32 v2, v2
	v_ashrrev_i32_e32 v2, 31, v2
	v_and_b32_e32 v4, exec_lo, v4
	v_xor_b32_e32 v41, vcc_hi, v2
	v_xor_b32_e32 v2, vcc_lo, v2
	v_and_b32_e32 v4, v4, v2
	v_lshlrev_b32_e32 v2, 29, v3
	v_cmp_gt_i64_e32 vcc, 0, v[1:2]
	v_not_b32_e32 v2, v2
	v_ashrrev_i32_e32 v2, 31, v2
	v_and_b32_e32 v24, v24, v41
	v_xor_b32_e32 v41, vcc_hi, v2
	v_xor_b32_e32 v2, vcc_lo, v2
	v_and_b32_e32 v4, v4, v2
	v_lshlrev_b32_e32 v2, 28, v3
	v_cmp_gt_i64_e32 vcc, 0, v[1:2]
	v_not_b32_e32 v2, v2
	v_ashrrev_i32_e32 v2, 31, v2
	v_and_b32_e32 v24, v24, v41
	;; [unrolled: 8-line block ×5, first 2 shown]
	v_xor_b32_e32 v41, vcc_hi, v2
	v_xor_b32_e32 v2, vcc_lo, v2
	v_and_b32_e32 v4, v4, v2
	v_lshlrev_b32_e32 v2, 24, v3
	v_cmp_gt_i64_e32 vcc, 0, v[1:2]
	v_not_b32_e32 v1, v2
	v_ashrrev_i32_e32 v1, 31, v1
	v_xor_b32_e32 v2, vcc_hi, v1
	v_xor_b32_e32 v1, vcc_lo, v1
	ds_read_b32 v39, v27 offset:32
	v_and_b32_e32 v24, v24, v41
	v_and_b32_e32 v1, v4, v1
	;; [unrolled: 1-line block ×3, first 2 shown]
	v_mbcnt_lo_u32_b32 v3, v1, 0
	v_mbcnt_hi_u32_b32 v41, v2, v3
	v_cmp_ne_u64_e32 vcc, 0, v[1:2]
	v_cmp_eq_u32_e64 s[4:5], 0, v41
	s_and_b64 s[6:7], vcc, s[4:5]
	; wave barrier
	s_and_saveexec_b64 s[4:5], s[6:7]
	s_cbranch_execz .LBB1837_109
; %bb.108:
	v_bcnt_u32_b32 v1, v1, 0
	v_bcnt_u32_b32 v1, v2, v1
	s_waitcnt lgkmcnt(0)
	v_add_u32_e32 v1, v39, v1
	ds_write_b32 v27, v1 offset:32
.LBB1837_109:
	s_or_b64 exec, exec, s[4:5]
	; wave barrier
	s_waitcnt lgkmcnt(0)
	s_barrier
	ds_read2_b32 v[3:4], v6 offset0:8 offset1:9
	ds_read2_b32 v[1:2], v6 offset0:10 offset1:11
	ds_read_b32 v24, v6 offset:48
	s_waitcnt lgkmcnt(1)
	v_add3_u32 v42, v4, v3, v1
	s_waitcnt lgkmcnt(0)
	v_add3_u32 v24, v42, v2, v24
	v_and_b32_e32 v42, 15, v5
	v_cmp_ne_u32_e32 vcc, 0, v42
	v_mov_b32_dpp v43, v24 row_shr:1 row_mask:0xf bank_mask:0xf
	v_cndmask_b32_e32 v43, 0, v43, vcc
	v_add_u32_e32 v24, v43, v24
	v_cmp_lt_u32_e32 vcc, 1, v42
	s_nop 0
	v_mov_b32_dpp v43, v24 row_shr:2 row_mask:0xf bank_mask:0xf
	v_cndmask_b32_e32 v43, 0, v43, vcc
	v_add_u32_e32 v24, v24, v43
	v_cmp_lt_u32_e32 vcc, 3, v42
	s_nop 0
	;; [unrolled: 5-line block ×3, first 2 shown]
	v_mov_b32_dpp v43, v24 row_shr:8 row_mask:0xf bank_mask:0xf
	v_cndmask_b32_e32 v42, 0, v43, vcc
	v_add_u32_e32 v24, v24, v42
	v_bfe_i32 v43, v5, 4, 1
	v_cmp_lt_u32_e32 vcc, 31, v5
	v_mov_b32_dpp v42, v24 row_bcast:15 row_mask:0xf bank_mask:0xf
	v_and_b32_e32 v42, v43, v42
	v_add_u32_e32 v24, v24, v42
	v_lshrrev_b32_e32 v43, 6, v0
	s_nop 0
	v_mov_b32_dpp v42, v24 row_bcast:31 row_mask:0xf bank_mask:0xf
	v_cndmask_b32_e32 v42, 0, v42, vcc
	v_add_u32_e32 v42, v24, v42
	v_or_b32_e32 v24, 63, v0
	v_cmp_eq_u32_e32 vcc, v0, v24
	s_and_saveexec_b64 s[4:5], vcc
; %bb.110:
	v_lshlrev_b32_e32 v24, 2, v43
	ds_write_b32 v24, v42
; %bb.111:
	s_or_b64 exec, exec, s[4:5]
	v_cmp_gt_u32_e32 vcc, 8, v0
	v_lshlrev_b32_e32 v24, 2, v0
	s_waitcnt lgkmcnt(0)
	s_barrier
	s_and_saveexec_b64 s[4:5], vcc
	s_cbranch_execz .LBB1837_113
; %bb.112:
	ds_read_b32 v44, v24
	v_and_b32_e32 v45, 7, v5
	v_cmp_ne_u32_e32 vcc, 0, v45
	s_waitcnt lgkmcnt(0)
	v_mov_b32_dpp v46, v44 row_shr:1 row_mask:0xf bank_mask:0xf
	v_cndmask_b32_e32 v46, 0, v46, vcc
	v_add_u32_e32 v44, v46, v44
	v_cmp_lt_u32_e32 vcc, 1, v45
	s_nop 0
	v_mov_b32_dpp v46, v44 row_shr:2 row_mask:0xf bank_mask:0xf
	v_cndmask_b32_e32 v46, 0, v46, vcc
	v_add_u32_e32 v44, v44, v46
	v_cmp_lt_u32_e32 vcc, 3, v45
	s_nop 0
	v_mov_b32_dpp v46, v44 row_shr:4 row_mask:0xf bank_mask:0xf
	v_cndmask_b32_e32 v45, 0, v46, vcc
	v_add_u32_e32 v44, v44, v45
	ds_write_b32 v24, v44
.LBB1837_113:
	s_or_b64 exec, exec, s[4:5]
	v_cmp_lt_u32_e32 vcc, 63, v0
	v_mov_b32_e32 v44, 0
	s_waitcnt lgkmcnt(0)
	s_barrier
	s_and_saveexec_b64 s[4:5], vcc
; %bb.114:
	v_lshl_add_u32 v43, v43, 2, -4
	ds_read_b32 v44, v43
; %bb.115:
	s_or_b64 exec, exec, s[4:5]
	v_subrev_co_u32_e32 v43, vcc, 1, v5
	v_and_b32_e32 v45, 64, v5
	v_cmp_lt_i32_e64 s[4:5], v43, v45
	v_cndmask_b32_e64 v5, v43, v5, s[4:5]
	s_waitcnt lgkmcnt(0)
	v_add_u32_e32 v42, v44, v42
	v_lshlrev_b32_e32 v5, 2, v5
	ds_bpermute_b32 v5, v5, v42
	s_movk_i32 s4, 0xff
	s_movk_i32 s6, 0x100
	v_cmp_lt_u32_e64 s[4:5], s4, v0
	s_waitcnt lgkmcnt(0)
	v_cndmask_b32_e32 v5, v5, v44, vcc
	v_cndmask_b32_e64 v5, v5, 0, s[26:27]
	v_add_u32_e32 v3, v5, v3
	v_add_u32_e32 v4, v3, v4
	;; [unrolled: 1-line block ×4, first 2 shown]
	ds_write2_b32 v6, v5, v3 offset0:8 offset1:9
	ds_write2_b32 v6, v4, v1 offset0:10 offset1:11
	ds_write_b32 v6, v2 offset:48
	s_waitcnt lgkmcnt(0)
	s_barrier
	ds_read_b32 v45, v18 offset:32
	ds_read_b32 v18, v19 offset:32
	;; [unrolled: 1-line block ×8, first 2 shown]
	v_cmp_gt_u32_e32 vcc, s6, v0
                                        ; implicit-def: $vgpr19
                                        ; implicit-def: $vgpr25
	s_and_saveexec_b64 s[10:11], vcc
	s_cbranch_execz .LBB1837_119
; %bb.116:
	v_mul_u32_u24_e32 v1, 36, v0
	ds_read_b32 v19, v1 offset:32
	v_add_u32_e32 v2, 1, v0
	v_cmp_ne_u32_e64 s[6:7], s6, v2
	v_mov_b32_e32 v1, 0x1000
	s_and_saveexec_b64 s[12:13], s[6:7]
; %bb.117:
	v_mul_u32_u24_e32 v1, 36, v2
	ds_read_b32 v1, v1 offset:32
; %bb.118:
	s_or_b64 exec, exec, s[12:13]
	s_waitcnt lgkmcnt(0)
	v_sub_u32_e32 v25, v1, v19
.LBB1837_119:
	s_or_b64 exec, exec, s[10:11]
	v_mov_b32_e32 v2, 0
	s_waitcnt lgkmcnt(0)
	s_barrier
	s_and_saveexec_b64 s[6:7], vcc
	s_cbranch_execz .LBB1837_129
; %bb.120:
	v_lshl_add_u32 v1, s33, 8, v0
	v_lshlrev_b64 v[3:4], 2, v[1:2]
	v_mov_b32_e32 v27, s31
	v_add_co_u32_e32 v3, vcc, s30, v3
	v_addc_co_u32_e32 v4, vcc, v27, v4, vcc
	v_or_b32_e32 v1, 2.0, v25
	s_mov_b64 s[10:11], 0
	s_brev_b32 s18, -4
	s_mov_b32 s19, s33
	v_mov_b32_e32 v40, 0
	global_store_dword v[3:4], v1, off
                                        ; implicit-def: $sgpr12_sgpr13
	s_branch .LBB1837_123
.LBB1837_121:                           ;   in Loop: Header=BB1837_123 Depth=1
	s_or_b64 exec, exec, s[14:15]
.LBB1837_122:                           ;   in Loop: Header=BB1837_123 Depth=1
	s_or_b64 exec, exec, s[12:13]
	v_and_b32_e32 v5, 0x3fffffff, v1
	v_add_u32_e32 v40, v5, v40
	v_cmp_gt_i32_e64 s[12:13], -2.0, v1
	s_and_b64 s[14:15], exec, s[12:13]
	s_or_b64 s[10:11], s[14:15], s[10:11]
	s_andn2_b64 exec, exec, s[10:11]
	s_cbranch_execz .LBB1837_128
.LBB1837_123:                           ; =>This Loop Header: Depth=1
                                        ;     Child Loop BB1837_126 Depth 2
	s_or_b64 s[12:13], s[12:13], exec
	s_cmp_eq_u32 s19, 0
	s_cbranch_scc1 .LBB1837_127
; %bb.124:                              ;   in Loop: Header=BB1837_123 Depth=1
	s_add_i32 s19, s19, -1
	v_lshl_or_b32 v1, s19, 8, v0
	v_lshlrev_b64 v[5:6], 2, v[1:2]
	v_add_co_u32_e32 v5, vcc, s30, v5
	v_addc_co_u32_e32 v6, vcc, v27, v6, vcc
	global_load_dword v1, v[5:6], off glc
	s_waitcnt vmcnt(0)
	v_cmp_gt_u32_e32 vcc, 2.0, v1
	s_and_saveexec_b64 s[12:13], vcc
	s_cbranch_execz .LBB1837_122
; %bb.125:                              ;   in Loop: Header=BB1837_123 Depth=1
	s_mov_b64 s[14:15], 0
.LBB1837_126:                           ;   Parent Loop BB1837_123 Depth=1
                                        ; =>  This Inner Loop Header: Depth=2
	global_load_dword v1, v[5:6], off glc
	s_waitcnt vmcnt(0)
	v_cmp_lt_u32_e32 vcc, s18, v1
	s_or_b64 s[14:15], vcc, s[14:15]
	s_andn2_b64 exec, exec, s[14:15]
	s_cbranch_execnz .LBB1837_126
	s_branch .LBB1837_121
.LBB1837_127:                           ;   in Loop: Header=BB1837_123 Depth=1
                                        ; implicit-def: $sgpr19
	s_and_b64 s[14:15], exec, s[12:13]
	s_or_b64 s[10:11], s[14:15], s[10:11]
	s_andn2_b64 exec, exec, s[10:11]
	s_cbranch_execnz .LBB1837_123
.LBB1837_128:
	s_or_b64 exec, exec, s[10:11]
	v_add_u32_e32 v1, v40, v25
	v_or_b32_e32 v1, 0x80000000, v1
	global_store_dword v[3:4], v1, off
	global_load_dword v1, v24, s[44:45]
	v_sub_u32_e32 v2, v40, v19
	s_waitcnt vmcnt(0)
	v_add_u32_e32 v1, v2, v1
	ds_write_b32 v24, v1
.LBB1837_129:
	s_or_b64 exec, exec, s[6:7]
	v_add_u32_e32 v27, v45, v12
	s_mov_b32 s12, 16
	v_add3_u32 v30, v41, v30, v39
	v_add3_u32 v34, v38, v34, v36
	;; [unrolled: 1-line block ×7, first 2 shown]
	s_mov_b32 s20, 0
	s_mov_b64 s[10:11], -1
	s_mov_b32 s13, 0
	s_brev_b32 s14, -2
	v_bfrev_b32_e32 v3, 1
	v_mov_b32_e32 v2, 0
	v_mov_b32_e32 v4, s39
	s_movk_i32 s15, 0x200
	s_movk_i32 s18, 0x400
	;; [unrolled: 1-line block ×3, first 2 shown]
	v_mov_b32_e32 v5, v0
.LBB1837_130:                           ; =>This Inner Loop Header: Depth=1
	v_add_u32_e32 v1, s13, v27
	v_add_u32_e32 v14, s13, v23
	;; [unrolled: 1-line block ×8, first 2 shown]
	v_min_u32_e32 v1, 0x800, v1
	v_min_u32_e32 v14, 0x800, v14
	;; [unrolled: 1-line block ×8, first 2 shown]
	v_lshlrev_b32_e32 v1, 2, v1
	v_lshlrev_b32_e32 v14, 2, v14
	;; [unrolled: 1-line block ×8, first 2 shown]
	ds_write_b32 v1, v9 offset:1024
	ds_write_b32 v6, v10 offset:1024
	;; [unrolled: 1-line block ×8, first 2 shown]
	s_waitcnt lgkmcnt(0)
	s_barrier
	ds_read2st64_b32 v[14:15], v24 offset0:4 offset1:12
	ds_read2st64_b32 v[17:18], v24 offset0:20 offset1:28
	v_mov_b32_e32 v35, s20
	s_addk_i32 s13, 0xf800
	s_and_b64 vcc, exec, s[10:11]
	s_waitcnt lgkmcnt(1)
	v_cmp_ne_u32_e64 s[6:7], s14, v14
	v_cndmask_b32_e64 v1, v3, v14, s[6:7]
	v_cmp_lt_i32_e64 s[6:7], -1, v14
	v_cndmask_b32_e64 v6, v3, -1, s[6:7]
	v_cmp_ne_u32_e64 s[6:7], s14, v15
	v_cndmask_b32_e64 v12, v3, v15, s[6:7]
	v_cmp_lt_i32_e64 s[6:7], -1, v15
	v_cndmask_b32_e64 v31, v3, -1, s[6:7]
	s_waitcnt lgkmcnt(0)
	v_cmp_ne_u32_e64 s[6:7], s14, v17
	v_cndmask_b32_e64 v36, v3, v17, s[6:7]
	v_cmp_lt_i32_e64 s[6:7], -1, v17
	v_cndmask_b32_e64 v37, v3, -1, s[6:7]
	v_cmp_ne_u32_e64 s[6:7], s14, v18
	v_cndmask_b32_e64 v38, v3, v18, s[6:7]
	v_lshrrev_b32_e32 v1, s48, v1
	v_xor_b32_e32 v6, v6, v14
	v_lshrrev_b32_e32 v12, s48, v12
	v_xor_b32_e32 v31, v31, v15
	v_lshrrev_b32_e32 v14, s48, v36
	v_lshrrev_b32_e32 v15, s48, v38
	v_cmp_lt_i32_e64 s[6:7], -1, v18
	v_and_b32_e32 v1, s17, v1
	v_and_b32_e32 v12, s17, v12
	;; [unrolled: 1-line block ×4, first 2 shown]
	v_cndmask_b32_e64 v39, v3, -1, s[6:7]
	v_xor_b32_e32 v37, v37, v17
	v_lshlrev_b32_e32 v17, 2, v1
	buffer_store_dword v1, v35, s[0:3], 0 offen
	v_lshlrev_b32_e32 v1, 2, v12
	buffer_store_dword v12, v35, s[0:3], 0 offen offset:4
	v_lshlrev_b32_e32 v12, 2, v14
	buffer_store_dword v14, v35, s[0:3], 0 offen offset:8
	buffer_store_dword v15, v35, s[0:3], 0 offen offset:12
	v_xor_b32_e32 v38, v39, v18
	v_lshlrev_b32_e32 v14, 2, v15
	ds_read_b32 v15, v17
	ds_read_b32 v17, v1
	;; [unrolled: 1-line block ×4, first 2 shown]
	s_mov_b64 s[10:11], 0
	s_waitcnt lgkmcnt(3)
	v_add_u32_e32 v1, v5, v15
	v_lshlrev_b64 v[14:15], 2, v[1:2]
	s_waitcnt lgkmcnt(2)
	v_add3_u32 v1, v5, v17, s15
	v_lshlrev_b64 v[17:18], 2, v[1:2]
	v_add_co_u32_e64 v14, s[6:7], s38, v14
	s_waitcnt lgkmcnt(1)
	v_add3_u32 v1, v5, v12, s18
	v_addc_co_u32_e64 v15, s[6:7], v4, v15, s[6:7]
	v_lshlrev_b64 v[35:36], 2, v[1:2]
	global_store_dword v[14:15], v6, off
	v_add_co_u32_e64 v14, s[6:7], s38, v17
	s_waitcnt lgkmcnt(0)
	v_add3_u32 v1, v5, v39, s19
	v_addc_co_u32_e64 v15, s[6:7], v4, v18, s[6:7]
	v_lshlrev_b64 v[17:18], 2, v[1:2]
	global_store_dword v[14:15], v31, off
	v_add_co_u32_e64 v14, s[6:7], s38, v35
	v_addc_co_u32_e64 v15, s[6:7], v4, v36, s[6:7]
	global_store_dword v[14:15], v37, off
	v_add_co_u32_e64 v14, s[6:7], s38, v17
	s_mov_b32 s20, s12
	v_add_u32_e32 v5, 0x800, v5
	v_addc_co_u32_e64 v15, s[6:7], v4, v18, s[6:7]
	global_store_dword v[14:15], v38, off
	s_waitcnt vmcnt(0)
	s_barrier
	s_cbranch_vccnz .LBB1837_130
; %bb.131:
	s_lshl_b64 s[6:7], s[8:9], 3
	s_add_u32 s6, s40, s6
	s_addc_u32 s7, s41, s7
	v_lshlrev_b32_e32 v1, 3, v8
	v_mov_b32_e32 v2, s7
	v_add_co_u32_e32 v1, vcc, s6, v1
	v_addc_co_u32_e32 v2, vcc, 0, v2, vcc
	v_lshlrev_b32_e32 v3, 3, v7
	v_add_co_u32_e32 v17, vcc, v1, v3
	v_addc_co_u32_e32 v18, vcc, 0, v2, vcc
	global_load_dwordx2 v[1:2], v[17:18], off
	global_load_dwordx2 v[3:4], v[17:18], off offset:512
	global_load_dwordx2 v[5:6], v[17:18], off offset:1024
	global_load_dwordx2 v[7:8], v[17:18], off offset:1536
	global_load_dwordx2 v[9:10], v[17:18], off offset:2048
	global_load_dwordx2 v[11:12], v[17:18], off offset:2560
	global_load_dwordx2 v[13:14], v[17:18], off offset:3072
	global_load_dwordx2 v[15:16], v[17:18], off offset:3584
	v_mov_b32_e32 v18, 0
	s_mov_b32 s6, 0
	s_mov_b32 s7, 0
	v_mov_b32_e32 v22, s43
	s_movk_i32 s8, 0x200
.LBB1837_132:                           ; =>This Inner Loop Header: Depth=1
	v_add_u32_e32 v17, s7, v27
	v_add_u32_e32 v28, s7, v26
	v_add_u32_e32 v31, s7, v20
	v_add_u32_e32 v32, s7, v23
	v_add_u32_e32 v35, s7, v29
	v_add_u32_e32 v36, s7, v33
	v_add_u32_e32 v37, s7, v34
	v_add_u32_e32 v38, s7, v30
	v_min_u32_e32 v17, 0x400, v17
	v_min_u32_e32 v28, 0x400, v28
	v_mov_b32_e32 v39, s6
	v_min_u32_e32 v31, 0x400, v31
	v_min_u32_e32 v32, 0x400, v32
	;; [unrolled: 1-line block ×6, first 2 shown]
	v_lshlrev_b32_e32 v17, 3, v17
	v_lshlrev_b32_e32 v28, 3, v28
	;; [unrolled: 1-line block ×8, first 2 shown]
	s_waitcnt vmcnt(7)
	ds_write_b64 v17, v[1:2] offset:1024
	s_waitcnt vmcnt(6)
	ds_write_b64 v28, v[3:4] offset:1024
	;; [unrolled: 2-line block ×8, first 2 shown]
	s_waitcnt lgkmcnt(0)
	s_barrier
	buffer_load_dword v17, v39, s[0:3], 0 offen
	buffer_load_dword v28, v39, s[0:3], 0 offen offset:4
	ds_read2st64_b64 v[35:38], v21 offset0:2 offset1:10
	s_addk_i32 s7, 0xfc00
	s_add_i32 s6, s6, 8
	s_cmpk_lg_i32 s7, 0xf000
	s_waitcnt vmcnt(1)
	v_lshlrev_b32_e32 v17, 2, v17
	s_waitcnt vmcnt(0)
	v_lshlrev_b32_e32 v28, 2, v28
	ds_read_b32 v17, v17
	ds_read_b32 v28, v28
	s_waitcnt lgkmcnt(1)
	v_add_u32_e32 v17, v0, v17
	v_lshlrev_b64 v[31:32], 3, v[17:18]
	s_waitcnt lgkmcnt(0)
	v_add3_u32 v17, v0, v28, s8
	v_lshlrev_b64 v[39:40], 3, v[17:18]
	v_add_co_u32_e32 v31, vcc, s42, v31
	v_addc_co_u32_e32 v32, vcc, v22, v32, vcc
	global_store_dwordx2 v[31:32], v[35:36], off
	v_add_co_u32_e32 v31, vcc, s42, v39
	v_add_u32_e32 v0, 0x400, v0
	v_addc_co_u32_e32 v32, vcc, v22, v40, vcc
	global_store_dwordx2 v[31:32], v[37:38], off
	s_waitcnt vmcnt(0)
	s_barrier
	s_cbranch_scc1 .LBB1837_132
; %bb.133:
	s_add_i32 s16, s16, -1
	s_cmp_eq_u32 s33, s16
	s_cselect_b64 s[6:7], -1, 0
	s_xor_b64 s[4:5], s[4:5], -1
	s_and_b64 s[4:5], s[4:5], s[6:7]
	s_and_saveexec_b64 s[6:7], s[4:5]
	s_cbranch_execz .LBB1837_135
; %bb.134:
	ds_read_b32 v0, v24
	s_waitcnt lgkmcnt(0)
	v_add3_u32 v0, v19, v25, v0
	global_store_dword v24, v0, s[46:47]
.LBB1837_135:
	s_endpgm
	.section	.rodata,"a",@progbits
	.p2align	6, 0x0
	.amdhsa_kernel _ZN7rocprim17ROCPRIM_400000_NS6detail17trampoline_kernelINS0_14default_configENS1_35radix_sort_onesweep_config_selectorIflEEZZNS1_29radix_sort_onesweep_iterationIS3_Lb0EPfS7_N6thrust23THRUST_200600_302600_NS10device_ptrIlEESB_jNS0_19identity_decomposerENS1_16block_id_wrapperIjLb1EEEEE10hipError_tT1_PNSt15iterator_traitsISG_E10value_typeET2_T3_PNSH_ISM_E10value_typeET4_T5_PSR_SS_PNS1_23onesweep_lookback_stateEbbT6_jjT7_P12ihipStream_tbENKUlT_T0_SG_SL_E_clIS7_S7_SB_SB_EEDaSZ_S10_SG_SL_EUlSZ_E_NS1_11comp_targetILNS1_3genE2ELNS1_11target_archE906ELNS1_3gpuE6ELNS1_3repE0EEENS1_47radix_sort_onesweep_sort_config_static_selectorELNS0_4arch9wavefront6targetE1EEEvSG_
		.amdhsa_group_segment_fixed_size 10280
		.amdhsa_private_segment_fixed_size 48
		.amdhsa_kernarg_size 344
		.amdhsa_user_sgpr_count 6
		.amdhsa_user_sgpr_private_segment_buffer 1
		.amdhsa_user_sgpr_dispatch_ptr 0
		.amdhsa_user_sgpr_queue_ptr 0
		.amdhsa_user_sgpr_kernarg_segment_ptr 1
		.amdhsa_user_sgpr_dispatch_id 0
		.amdhsa_user_sgpr_flat_scratch_init 0
		.amdhsa_user_sgpr_private_segment_size 0
		.amdhsa_uses_dynamic_stack 0
		.amdhsa_system_sgpr_private_segment_wavefront_offset 1
		.amdhsa_system_sgpr_workgroup_id_x 1
		.amdhsa_system_sgpr_workgroup_id_y 0
		.amdhsa_system_sgpr_workgroup_id_z 0
		.amdhsa_system_sgpr_workgroup_info 0
		.amdhsa_system_vgpr_workitem_id 2
		.amdhsa_next_free_vgpr 58
		.amdhsa_next_free_sgpr 60
		.amdhsa_reserve_vcc 1
		.amdhsa_reserve_flat_scratch 0
		.amdhsa_float_round_mode_32 0
		.amdhsa_float_round_mode_16_64 0
		.amdhsa_float_denorm_mode_32 3
		.amdhsa_float_denorm_mode_16_64 3
		.amdhsa_dx10_clamp 1
		.amdhsa_ieee_mode 1
		.amdhsa_fp16_overflow 0
		.amdhsa_exception_fp_ieee_invalid_op 0
		.amdhsa_exception_fp_denorm_src 0
		.amdhsa_exception_fp_ieee_div_zero 0
		.amdhsa_exception_fp_ieee_overflow 0
		.amdhsa_exception_fp_ieee_underflow 0
		.amdhsa_exception_fp_ieee_inexact 0
		.amdhsa_exception_int_div_zero 0
	.end_amdhsa_kernel
	.section	.text._ZN7rocprim17ROCPRIM_400000_NS6detail17trampoline_kernelINS0_14default_configENS1_35radix_sort_onesweep_config_selectorIflEEZZNS1_29radix_sort_onesweep_iterationIS3_Lb0EPfS7_N6thrust23THRUST_200600_302600_NS10device_ptrIlEESB_jNS0_19identity_decomposerENS1_16block_id_wrapperIjLb1EEEEE10hipError_tT1_PNSt15iterator_traitsISG_E10value_typeET2_T3_PNSH_ISM_E10value_typeET4_T5_PSR_SS_PNS1_23onesweep_lookback_stateEbbT6_jjT7_P12ihipStream_tbENKUlT_T0_SG_SL_E_clIS7_S7_SB_SB_EEDaSZ_S10_SG_SL_EUlSZ_E_NS1_11comp_targetILNS1_3genE2ELNS1_11target_archE906ELNS1_3gpuE6ELNS1_3repE0EEENS1_47radix_sort_onesweep_sort_config_static_selectorELNS0_4arch9wavefront6targetE1EEEvSG_,"axG",@progbits,_ZN7rocprim17ROCPRIM_400000_NS6detail17trampoline_kernelINS0_14default_configENS1_35radix_sort_onesweep_config_selectorIflEEZZNS1_29radix_sort_onesweep_iterationIS3_Lb0EPfS7_N6thrust23THRUST_200600_302600_NS10device_ptrIlEESB_jNS0_19identity_decomposerENS1_16block_id_wrapperIjLb1EEEEE10hipError_tT1_PNSt15iterator_traitsISG_E10value_typeET2_T3_PNSH_ISM_E10value_typeET4_T5_PSR_SS_PNS1_23onesweep_lookback_stateEbbT6_jjT7_P12ihipStream_tbENKUlT_T0_SG_SL_E_clIS7_S7_SB_SB_EEDaSZ_S10_SG_SL_EUlSZ_E_NS1_11comp_targetILNS1_3genE2ELNS1_11target_archE906ELNS1_3gpuE6ELNS1_3repE0EEENS1_47radix_sort_onesweep_sort_config_static_selectorELNS0_4arch9wavefront6targetE1EEEvSG_,comdat
.Lfunc_end1837:
	.size	_ZN7rocprim17ROCPRIM_400000_NS6detail17trampoline_kernelINS0_14default_configENS1_35radix_sort_onesweep_config_selectorIflEEZZNS1_29radix_sort_onesweep_iterationIS3_Lb0EPfS7_N6thrust23THRUST_200600_302600_NS10device_ptrIlEESB_jNS0_19identity_decomposerENS1_16block_id_wrapperIjLb1EEEEE10hipError_tT1_PNSt15iterator_traitsISG_E10value_typeET2_T3_PNSH_ISM_E10value_typeET4_T5_PSR_SS_PNS1_23onesweep_lookback_stateEbbT6_jjT7_P12ihipStream_tbENKUlT_T0_SG_SL_E_clIS7_S7_SB_SB_EEDaSZ_S10_SG_SL_EUlSZ_E_NS1_11comp_targetILNS1_3genE2ELNS1_11target_archE906ELNS1_3gpuE6ELNS1_3repE0EEENS1_47radix_sort_onesweep_sort_config_static_selectorELNS0_4arch9wavefront6targetE1EEEvSG_, .Lfunc_end1837-_ZN7rocprim17ROCPRIM_400000_NS6detail17trampoline_kernelINS0_14default_configENS1_35radix_sort_onesweep_config_selectorIflEEZZNS1_29radix_sort_onesweep_iterationIS3_Lb0EPfS7_N6thrust23THRUST_200600_302600_NS10device_ptrIlEESB_jNS0_19identity_decomposerENS1_16block_id_wrapperIjLb1EEEEE10hipError_tT1_PNSt15iterator_traitsISG_E10value_typeET2_T3_PNSH_ISM_E10value_typeET4_T5_PSR_SS_PNS1_23onesweep_lookback_stateEbbT6_jjT7_P12ihipStream_tbENKUlT_T0_SG_SL_E_clIS7_S7_SB_SB_EEDaSZ_S10_SG_SL_EUlSZ_E_NS1_11comp_targetILNS1_3genE2ELNS1_11target_archE906ELNS1_3gpuE6ELNS1_3repE0EEENS1_47radix_sort_onesweep_sort_config_static_selectorELNS0_4arch9wavefront6targetE1EEEvSG_
                                        ; -- End function
	.set _ZN7rocprim17ROCPRIM_400000_NS6detail17trampoline_kernelINS0_14default_configENS1_35radix_sort_onesweep_config_selectorIflEEZZNS1_29radix_sort_onesweep_iterationIS3_Lb0EPfS7_N6thrust23THRUST_200600_302600_NS10device_ptrIlEESB_jNS0_19identity_decomposerENS1_16block_id_wrapperIjLb1EEEEE10hipError_tT1_PNSt15iterator_traitsISG_E10value_typeET2_T3_PNSH_ISM_E10value_typeET4_T5_PSR_SS_PNS1_23onesweep_lookback_stateEbbT6_jjT7_P12ihipStream_tbENKUlT_T0_SG_SL_E_clIS7_S7_SB_SB_EEDaSZ_S10_SG_SL_EUlSZ_E_NS1_11comp_targetILNS1_3genE2ELNS1_11target_archE906ELNS1_3gpuE6ELNS1_3repE0EEENS1_47radix_sort_onesweep_sort_config_static_selectorELNS0_4arch9wavefront6targetE1EEEvSG_.num_vgpr, 58
	.set _ZN7rocprim17ROCPRIM_400000_NS6detail17trampoline_kernelINS0_14default_configENS1_35radix_sort_onesweep_config_selectorIflEEZZNS1_29radix_sort_onesweep_iterationIS3_Lb0EPfS7_N6thrust23THRUST_200600_302600_NS10device_ptrIlEESB_jNS0_19identity_decomposerENS1_16block_id_wrapperIjLb1EEEEE10hipError_tT1_PNSt15iterator_traitsISG_E10value_typeET2_T3_PNSH_ISM_E10value_typeET4_T5_PSR_SS_PNS1_23onesweep_lookback_stateEbbT6_jjT7_P12ihipStream_tbENKUlT_T0_SG_SL_E_clIS7_S7_SB_SB_EEDaSZ_S10_SG_SL_EUlSZ_E_NS1_11comp_targetILNS1_3genE2ELNS1_11target_archE906ELNS1_3gpuE6ELNS1_3repE0EEENS1_47radix_sort_onesweep_sort_config_static_selectorELNS0_4arch9wavefront6targetE1EEEvSG_.num_agpr, 0
	.set _ZN7rocprim17ROCPRIM_400000_NS6detail17trampoline_kernelINS0_14default_configENS1_35radix_sort_onesweep_config_selectorIflEEZZNS1_29radix_sort_onesweep_iterationIS3_Lb0EPfS7_N6thrust23THRUST_200600_302600_NS10device_ptrIlEESB_jNS0_19identity_decomposerENS1_16block_id_wrapperIjLb1EEEEE10hipError_tT1_PNSt15iterator_traitsISG_E10value_typeET2_T3_PNSH_ISM_E10value_typeET4_T5_PSR_SS_PNS1_23onesweep_lookback_stateEbbT6_jjT7_P12ihipStream_tbENKUlT_T0_SG_SL_E_clIS7_S7_SB_SB_EEDaSZ_S10_SG_SL_EUlSZ_E_NS1_11comp_targetILNS1_3genE2ELNS1_11target_archE906ELNS1_3gpuE6ELNS1_3repE0EEENS1_47radix_sort_onesweep_sort_config_static_selectorELNS0_4arch9wavefront6targetE1EEEvSG_.numbered_sgpr, 60
	.set _ZN7rocprim17ROCPRIM_400000_NS6detail17trampoline_kernelINS0_14default_configENS1_35radix_sort_onesweep_config_selectorIflEEZZNS1_29radix_sort_onesweep_iterationIS3_Lb0EPfS7_N6thrust23THRUST_200600_302600_NS10device_ptrIlEESB_jNS0_19identity_decomposerENS1_16block_id_wrapperIjLb1EEEEE10hipError_tT1_PNSt15iterator_traitsISG_E10value_typeET2_T3_PNSH_ISM_E10value_typeET4_T5_PSR_SS_PNS1_23onesweep_lookback_stateEbbT6_jjT7_P12ihipStream_tbENKUlT_T0_SG_SL_E_clIS7_S7_SB_SB_EEDaSZ_S10_SG_SL_EUlSZ_E_NS1_11comp_targetILNS1_3genE2ELNS1_11target_archE906ELNS1_3gpuE6ELNS1_3repE0EEENS1_47radix_sort_onesweep_sort_config_static_selectorELNS0_4arch9wavefront6targetE1EEEvSG_.num_named_barrier, 0
	.set _ZN7rocprim17ROCPRIM_400000_NS6detail17trampoline_kernelINS0_14default_configENS1_35radix_sort_onesweep_config_selectorIflEEZZNS1_29radix_sort_onesweep_iterationIS3_Lb0EPfS7_N6thrust23THRUST_200600_302600_NS10device_ptrIlEESB_jNS0_19identity_decomposerENS1_16block_id_wrapperIjLb1EEEEE10hipError_tT1_PNSt15iterator_traitsISG_E10value_typeET2_T3_PNSH_ISM_E10value_typeET4_T5_PSR_SS_PNS1_23onesweep_lookback_stateEbbT6_jjT7_P12ihipStream_tbENKUlT_T0_SG_SL_E_clIS7_S7_SB_SB_EEDaSZ_S10_SG_SL_EUlSZ_E_NS1_11comp_targetILNS1_3genE2ELNS1_11target_archE906ELNS1_3gpuE6ELNS1_3repE0EEENS1_47radix_sort_onesweep_sort_config_static_selectorELNS0_4arch9wavefront6targetE1EEEvSG_.private_seg_size, 48
	.set _ZN7rocprim17ROCPRIM_400000_NS6detail17trampoline_kernelINS0_14default_configENS1_35radix_sort_onesweep_config_selectorIflEEZZNS1_29radix_sort_onesweep_iterationIS3_Lb0EPfS7_N6thrust23THRUST_200600_302600_NS10device_ptrIlEESB_jNS0_19identity_decomposerENS1_16block_id_wrapperIjLb1EEEEE10hipError_tT1_PNSt15iterator_traitsISG_E10value_typeET2_T3_PNSH_ISM_E10value_typeET4_T5_PSR_SS_PNS1_23onesweep_lookback_stateEbbT6_jjT7_P12ihipStream_tbENKUlT_T0_SG_SL_E_clIS7_S7_SB_SB_EEDaSZ_S10_SG_SL_EUlSZ_E_NS1_11comp_targetILNS1_3genE2ELNS1_11target_archE906ELNS1_3gpuE6ELNS1_3repE0EEENS1_47radix_sort_onesweep_sort_config_static_selectorELNS0_4arch9wavefront6targetE1EEEvSG_.uses_vcc, 1
	.set _ZN7rocprim17ROCPRIM_400000_NS6detail17trampoline_kernelINS0_14default_configENS1_35radix_sort_onesweep_config_selectorIflEEZZNS1_29radix_sort_onesweep_iterationIS3_Lb0EPfS7_N6thrust23THRUST_200600_302600_NS10device_ptrIlEESB_jNS0_19identity_decomposerENS1_16block_id_wrapperIjLb1EEEEE10hipError_tT1_PNSt15iterator_traitsISG_E10value_typeET2_T3_PNSH_ISM_E10value_typeET4_T5_PSR_SS_PNS1_23onesweep_lookback_stateEbbT6_jjT7_P12ihipStream_tbENKUlT_T0_SG_SL_E_clIS7_S7_SB_SB_EEDaSZ_S10_SG_SL_EUlSZ_E_NS1_11comp_targetILNS1_3genE2ELNS1_11target_archE906ELNS1_3gpuE6ELNS1_3repE0EEENS1_47radix_sort_onesweep_sort_config_static_selectorELNS0_4arch9wavefront6targetE1EEEvSG_.uses_flat_scratch, 0
	.set _ZN7rocprim17ROCPRIM_400000_NS6detail17trampoline_kernelINS0_14default_configENS1_35radix_sort_onesweep_config_selectorIflEEZZNS1_29radix_sort_onesweep_iterationIS3_Lb0EPfS7_N6thrust23THRUST_200600_302600_NS10device_ptrIlEESB_jNS0_19identity_decomposerENS1_16block_id_wrapperIjLb1EEEEE10hipError_tT1_PNSt15iterator_traitsISG_E10value_typeET2_T3_PNSH_ISM_E10value_typeET4_T5_PSR_SS_PNS1_23onesweep_lookback_stateEbbT6_jjT7_P12ihipStream_tbENKUlT_T0_SG_SL_E_clIS7_S7_SB_SB_EEDaSZ_S10_SG_SL_EUlSZ_E_NS1_11comp_targetILNS1_3genE2ELNS1_11target_archE906ELNS1_3gpuE6ELNS1_3repE0EEENS1_47radix_sort_onesweep_sort_config_static_selectorELNS0_4arch9wavefront6targetE1EEEvSG_.has_dyn_sized_stack, 0
	.set _ZN7rocprim17ROCPRIM_400000_NS6detail17trampoline_kernelINS0_14default_configENS1_35radix_sort_onesweep_config_selectorIflEEZZNS1_29radix_sort_onesweep_iterationIS3_Lb0EPfS7_N6thrust23THRUST_200600_302600_NS10device_ptrIlEESB_jNS0_19identity_decomposerENS1_16block_id_wrapperIjLb1EEEEE10hipError_tT1_PNSt15iterator_traitsISG_E10value_typeET2_T3_PNSH_ISM_E10value_typeET4_T5_PSR_SS_PNS1_23onesweep_lookback_stateEbbT6_jjT7_P12ihipStream_tbENKUlT_T0_SG_SL_E_clIS7_S7_SB_SB_EEDaSZ_S10_SG_SL_EUlSZ_E_NS1_11comp_targetILNS1_3genE2ELNS1_11target_archE906ELNS1_3gpuE6ELNS1_3repE0EEENS1_47radix_sort_onesweep_sort_config_static_selectorELNS0_4arch9wavefront6targetE1EEEvSG_.has_recursion, 0
	.set _ZN7rocprim17ROCPRIM_400000_NS6detail17trampoline_kernelINS0_14default_configENS1_35radix_sort_onesweep_config_selectorIflEEZZNS1_29radix_sort_onesweep_iterationIS3_Lb0EPfS7_N6thrust23THRUST_200600_302600_NS10device_ptrIlEESB_jNS0_19identity_decomposerENS1_16block_id_wrapperIjLb1EEEEE10hipError_tT1_PNSt15iterator_traitsISG_E10value_typeET2_T3_PNSH_ISM_E10value_typeET4_T5_PSR_SS_PNS1_23onesweep_lookback_stateEbbT6_jjT7_P12ihipStream_tbENKUlT_T0_SG_SL_E_clIS7_S7_SB_SB_EEDaSZ_S10_SG_SL_EUlSZ_E_NS1_11comp_targetILNS1_3genE2ELNS1_11target_archE906ELNS1_3gpuE6ELNS1_3repE0EEENS1_47radix_sort_onesweep_sort_config_static_selectorELNS0_4arch9wavefront6targetE1EEEvSG_.has_indirect_call, 0
	.section	.AMDGPU.csdata,"",@progbits
; Kernel info:
; codeLenInByte = 12392
; TotalNumSgprs: 64
; NumVgprs: 58
; ScratchSize: 48
; MemoryBound: 0
; FloatMode: 240
; IeeeMode: 1
; LDSByteSize: 10280 bytes/workgroup (compile time only)
; SGPRBlocks: 7
; VGPRBlocks: 14
; NumSGPRsForWavesPerEU: 64
; NumVGPRsForWavesPerEU: 58
; Occupancy: 4
; WaveLimiterHint : 1
; COMPUTE_PGM_RSRC2:SCRATCH_EN: 1
; COMPUTE_PGM_RSRC2:USER_SGPR: 6
; COMPUTE_PGM_RSRC2:TRAP_HANDLER: 0
; COMPUTE_PGM_RSRC2:TGID_X_EN: 1
; COMPUTE_PGM_RSRC2:TGID_Y_EN: 0
; COMPUTE_PGM_RSRC2:TGID_Z_EN: 0
; COMPUTE_PGM_RSRC2:TIDIG_COMP_CNT: 2
	.section	.text._ZN7rocprim17ROCPRIM_400000_NS6detail17trampoline_kernelINS0_14default_configENS1_35radix_sort_onesweep_config_selectorIflEEZZNS1_29radix_sort_onesweep_iterationIS3_Lb0EPfS7_N6thrust23THRUST_200600_302600_NS10device_ptrIlEESB_jNS0_19identity_decomposerENS1_16block_id_wrapperIjLb1EEEEE10hipError_tT1_PNSt15iterator_traitsISG_E10value_typeET2_T3_PNSH_ISM_E10value_typeET4_T5_PSR_SS_PNS1_23onesweep_lookback_stateEbbT6_jjT7_P12ihipStream_tbENKUlT_T0_SG_SL_E_clIS7_S7_SB_SB_EEDaSZ_S10_SG_SL_EUlSZ_E_NS1_11comp_targetILNS1_3genE4ELNS1_11target_archE910ELNS1_3gpuE8ELNS1_3repE0EEENS1_47radix_sort_onesweep_sort_config_static_selectorELNS0_4arch9wavefront6targetE1EEEvSG_,"axG",@progbits,_ZN7rocprim17ROCPRIM_400000_NS6detail17trampoline_kernelINS0_14default_configENS1_35radix_sort_onesweep_config_selectorIflEEZZNS1_29radix_sort_onesweep_iterationIS3_Lb0EPfS7_N6thrust23THRUST_200600_302600_NS10device_ptrIlEESB_jNS0_19identity_decomposerENS1_16block_id_wrapperIjLb1EEEEE10hipError_tT1_PNSt15iterator_traitsISG_E10value_typeET2_T3_PNSH_ISM_E10value_typeET4_T5_PSR_SS_PNS1_23onesweep_lookback_stateEbbT6_jjT7_P12ihipStream_tbENKUlT_T0_SG_SL_E_clIS7_S7_SB_SB_EEDaSZ_S10_SG_SL_EUlSZ_E_NS1_11comp_targetILNS1_3genE4ELNS1_11target_archE910ELNS1_3gpuE8ELNS1_3repE0EEENS1_47radix_sort_onesweep_sort_config_static_selectorELNS0_4arch9wavefront6targetE1EEEvSG_,comdat
	.protected	_ZN7rocprim17ROCPRIM_400000_NS6detail17trampoline_kernelINS0_14default_configENS1_35radix_sort_onesweep_config_selectorIflEEZZNS1_29radix_sort_onesweep_iterationIS3_Lb0EPfS7_N6thrust23THRUST_200600_302600_NS10device_ptrIlEESB_jNS0_19identity_decomposerENS1_16block_id_wrapperIjLb1EEEEE10hipError_tT1_PNSt15iterator_traitsISG_E10value_typeET2_T3_PNSH_ISM_E10value_typeET4_T5_PSR_SS_PNS1_23onesweep_lookback_stateEbbT6_jjT7_P12ihipStream_tbENKUlT_T0_SG_SL_E_clIS7_S7_SB_SB_EEDaSZ_S10_SG_SL_EUlSZ_E_NS1_11comp_targetILNS1_3genE4ELNS1_11target_archE910ELNS1_3gpuE8ELNS1_3repE0EEENS1_47radix_sort_onesweep_sort_config_static_selectorELNS0_4arch9wavefront6targetE1EEEvSG_ ; -- Begin function _ZN7rocprim17ROCPRIM_400000_NS6detail17trampoline_kernelINS0_14default_configENS1_35radix_sort_onesweep_config_selectorIflEEZZNS1_29radix_sort_onesweep_iterationIS3_Lb0EPfS7_N6thrust23THRUST_200600_302600_NS10device_ptrIlEESB_jNS0_19identity_decomposerENS1_16block_id_wrapperIjLb1EEEEE10hipError_tT1_PNSt15iterator_traitsISG_E10value_typeET2_T3_PNSH_ISM_E10value_typeET4_T5_PSR_SS_PNS1_23onesweep_lookback_stateEbbT6_jjT7_P12ihipStream_tbENKUlT_T0_SG_SL_E_clIS7_S7_SB_SB_EEDaSZ_S10_SG_SL_EUlSZ_E_NS1_11comp_targetILNS1_3genE4ELNS1_11target_archE910ELNS1_3gpuE8ELNS1_3repE0EEENS1_47radix_sort_onesweep_sort_config_static_selectorELNS0_4arch9wavefront6targetE1EEEvSG_
	.globl	_ZN7rocprim17ROCPRIM_400000_NS6detail17trampoline_kernelINS0_14default_configENS1_35radix_sort_onesweep_config_selectorIflEEZZNS1_29radix_sort_onesweep_iterationIS3_Lb0EPfS7_N6thrust23THRUST_200600_302600_NS10device_ptrIlEESB_jNS0_19identity_decomposerENS1_16block_id_wrapperIjLb1EEEEE10hipError_tT1_PNSt15iterator_traitsISG_E10value_typeET2_T3_PNSH_ISM_E10value_typeET4_T5_PSR_SS_PNS1_23onesweep_lookback_stateEbbT6_jjT7_P12ihipStream_tbENKUlT_T0_SG_SL_E_clIS7_S7_SB_SB_EEDaSZ_S10_SG_SL_EUlSZ_E_NS1_11comp_targetILNS1_3genE4ELNS1_11target_archE910ELNS1_3gpuE8ELNS1_3repE0EEENS1_47radix_sort_onesweep_sort_config_static_selectorELNS0_4arch9wavefront6targetE1EEEvSG_
	.p2align	8
	.type	_ZN7rocprim17ROCPRIM_400000_NS6detail17trampoline_kernelINS0_14default_configENS1_35radix_sort_onesweep_config_selectorIflEEZZNS1_29radix_sort_onesweep_iterationIS3_Lb0EPfS7_N6thrust23THRUST_200600_302600_NS10device_ptrIlEESB_jNS0_19identity_decomposerENS1_16block_id_wrapperIjLb1EEEEE10hipError_tT1_PNSt15iterator_traitsISG_E10value_typeET2_T3_PNSH_ISM_E10value_typeET4_T5_PSR_SS_PNS1_23onesweep_lookback_stateEbbT6_jjT7_P12ihipStream_tbENKUlT_T0_SG_SL_E_clIS7_S7_SB_SB_EEDaSZ_S10_SG_SL_EUlSZ_E_NS1_11comp_targetILNS1_3genE4ELNS1_11target_archE910ELNS1_3gpuE8ELNS1_3repE0EEENS1_47radix_sort_onesweep_sort_config_static_selectorELNS0_4arch9wavefront6targetE1EEEvSG_,@function
_ZN7rocprim17ROCPRIM_400000_NS6detail17trampoline_kernelINS0_14default_configENS1_35radix_sort_onesweep_config_selectorIflEEZZNS1_29radix_sort_onesweep_iterationIS3_Lb0EPfS7_N6thrust23THRUST_200600_302600_NS10device_ptrIlEESB_jNS0_19identity_decomposerENS1_16block_id_wrapperIjLb1EEEEE10hipError_tT1_PNSt15iterator_traitsISG_E10value_typeET2_T3_PNSH_ISM_E10value_typeET4_T5_PSR_SS_PNS1_23onesweep_lookback_stateEbbT6_jjT7_P12ihipStream_tbENKUlT_T0_SG_SL_E_clIS7_S7_SB_SB_EEDaSZ_S10_SG_SL_EUlSZ_E_NS1_11comp_targetILNS1_3genE4ELNS1_11target_archE910ELNS1_3gpuE8ELNS1_3repE0EEENS1_47radix_sort_onesweep_sort_config_static_selectorELNS0_4arch9wavefront6targetE1EEEvSG_: ; @_ZN7rocprim17ROCPRIM_400000_NS6detail17trampoline_kernelINS0_14default_configENS1_35radix_sort_onesweep_config_selectorIflEEZZNS1_29radix_sort_onesweep_iterationIS3_Lb0EPfS7_N6thrust23THRUST_200600_302600_NS10device_ptrIlEESB_jNS0_19identity_decomposerENS1_16block_id_wrapperIjLb1EEEEE10hipError_tT1_PNSt15iterator_traitsISG_E10value_typeET2_T3_PNSH_ISM_E10value_typeET4_T5_PSR_SS_PNS1_23onesweep_lookback_stateEbbT6_jjT7_P12ihipStream_tbENKUlT_T0_SG_SL_E_clIS7_S7_SB_SB_EEDaSZ_S10_SG_SL_EUlSZ_E_NS1_11comp_targetILNS1_3genE4ELNS1_11target_archE910ELNS1_3gpuE8ELNS1_3repE0EEENS1_47radix_sort_onesweep_sort_config_static_selectorELNS0_4arch9wavefront6targetE1EEEvSG_
; %bb.0:
	.section	.rodata,"a",@progbits
	.p2align	6, 0x0
	.amdhsa_kernel _ZN7rocprim17ROCPRIM_400000_NS6detail17trampoline_kernelINS0_14default_configENS1_35radix_sort_onesweep_config_selectorIflEEZZNS1_29radix_sort_onesweep_iterationIS3_Lb0EPfS7_N6thrust23THRUST_200600_302600_NS10device_ptrIlEESB_jNS0_19identity_decomposerENS1_16block_id_wrapperIjLb1EEEEE10hipError_tT1_PNSt15iterator_traitsISG_E10value_typeET2_T3_PNSH_ISM_E10value_typeET4_T5_PSR_SS_PNS1_23onesweep_lookback_stateEbbT6_jjT7_P12ihipStream_tbENKUlT_T0_SG_SL_E_clIS7_S7_SB_SB_EEDaSZ_S10_SG_SL_EUlSZ_E_NS1_11comp_targetILNS1_3genE4ELNS1_11target_archE910ELNS1_3gpuE8ELNS1_3repE0EEENS1_47radix_sort_onesweep_sort_config_static_selectorELNS0_4arch9wavefront6targetE1EEEvSG_
		.amdhsa_group_segment_fixed_size 0
		.amdhsa_private_segment_fixed_size 0
		.amdhsa_kernarg_size 88
		.amdhsa_user_sgpr_count 6
		.amdhsa_user_sgpr_private_segment_buffer 1
		.amdhsa_user_sgpr_dispatch_ptr 0
		.amdhsa_user_sgpr_queue_ptr 0
		.amdhsa_user_sgpr_kernarg_segment_ptr 1
		.amdhsa_user_sgpr_dispatch_id 0
		.amdhsa_user_sgpr_flat_scratch_init 0
		.amdhsa_user_sgpr_private_segment_size 0
		.amdhsa_uses_dynamic_stack 0
		.amdhsa_system_sgpr_private_segment_wavefront_offset 0
		.amdhsa_system_sgpr_workgroup_id_x 1
		.amdhsa_system_sgpr_workgroup_id_y 0
		.amdhsa_system_sgpr_workgroup_id_z 0
		.amdhsa_system_sgpr_workgroup_info 0
		.amdhsa_system_vgpr_workitem_id 0
		.amdhsa_next_free_vgpr 1
		.amdhsa_next_free_sgpr 0
		.amdhsa_reserve_vcc 0
		.amdhsa_reserve_flat_scratch 0
		.amdhsa_float_round_mode_32 0
		.amdhsa_float_round_mode_16_64 0
		.amdhsa_float_denorm_mode_32 3
		.amdhsa_float_denorm_mode_16_64 3
		.amdhsa_dx10_clamp 1
		.amdhsa_ieee_mode 1
		.amdhsa_fp16_overflow 0
		.amdhsa_exception_fp_ieee_invalid_op 0
		.amdhsa_exception_fp_denorm_src 0
		.amdhsa_exception_fp_ieee_div_zero 0
		.amdhsa_exception_fp_ieee_overflow 0
		.amdhsa_exception_fp_ieee_underflow 0
		.amdhsa_exception_fp_ieee_inexact 0
		.amdhsa_exception_int_div_zero 0
	.end_amdhsa_kernel
	.section	.text._ZN7rocprim17ROCPRIM_400000_NS6detail17trampoline_kernelINS0_14default_configENS1_35radix_sort_onesweep_config_selectorIflEEZZNS1_29radix_sort_onesweep_iterationIS3_Lb0EPfS7_N6thrust23THRUST_200600_302600_NS10device_ptrIlEESB_jNS0_19identity_decomposerENS1_16block_id_wrapperIjLb1EEEEE10hipError_tT1_PNSt15iterator_traitsISG_E10value_typeET2_T3_PNSH_ISM_E10value_typeET4_T5_PSR_SS_PNS1_23onesweep_lookback_stateEbbT6_jjT7_P12ihipStream_tbENKUlT_T0_SG_SL_E_clIS7_S7_SB_SB_EEDaSZ_S10_SG_SL_EUlSZ_E_NS1_11comp_targetILNS1_3genE4ELNS1_11target_archE910ELNS1_3gpuE8ELNS1_3repE0EEENS1_47radix_sort_onesweep_sort_config_static_selectorELNS0_4arch9wavefront6targetE1EEEvSG_,"axG",@progbits,_ZN7rocprim17ROCPRIM_400000_NS6detail17trampoline_kernelINS0_14default_configENS1_35radix_sort_onesweep_config_selectorIflEEZZNS1_29radix_sort_onesweep_iterationIS3_Lb0EPfS7_N6thrust23THRUST_200600_302600_NS10device_ptrIlEESB_jNS0_19identity_decomposerENS1_16block_id_wrapperIjLb1EEEEE10hipError_tT1_PNSt15iterator_traitsISG_E10value_typeET2_T3_PNSH_ISM_E10value_typeET4_T5_PSR_SS_PNS1_23onesweep_lookback_stateEbbT6_jjT7_P12ihipStream_tbENKUlT_T0_SG_SL_E_clIS7_S7_SB_SB_EEDaSZ_S10_SG_SL_EUlSZ_E_NS1_11comp_targetILNS1_3genE4ELNS1_11target_archE910ELNS1_3gpuE8ELNS1_3repE0EEENS1_47radix_sort_onesweep_sort_config_static_selectorELNS0_4arch9wavefront6targetE1EEEvSG_,comdat
.Lfunc_end1838:
	.size	_ZN7rocprim17ROCPRIM_400000_NS6detail17trampoline_kernelINS0_14default_configENS1_35radix_sort_onesweep_config_selectorIflEEZZNS1_29radix_sort_onesweep_iterationIS3_Lb0EPfS7_N6thrust23THRUST_200600_302600_NS10device_ptrIlEESB_jNS0_19identity_decomposerENS1_16block_id_wrapperIjLb1EEEEE10hipError_tT1_PNSt15iterator_traitsISG_E10value_typeET2_T3_PNSH_ISM_E10value_typeET4_T5_PSR_SS_PNS1_23onesweep_lookback_stateEbbT6_jjT7_P12ihipStream_tbENKUlT_T0_SG_SL_E_clIS7_S7_SB_SB_EEDaSZ_S10_SG_SL_EUlSZ_E_NS1_11comp_targetILNS1_3genE4ELNS1_11target_archE910ELNS1_3gpuE8ELNS1_3repE0EEENS1_47radix_sort_onesweep_sort_config_static_selectorELNS0_4arch9wavefront6targetE1EEEvSG_, .Lfunc_end1838-_ZN7rocprim17ROCPRIM_400000_NS6detail17trampoline_kernelINS0_14default_configENS1_35radix_sort_onesweep_config_selectorIflEEZZNS1_29radix_sort_onesweep_iterationIS3_Lb0EPfS7_N6thrust23THRUST_200600_302600_NS10device_ptrIlEESB_jNS0_19identity_decomposerENS1_16block_id_wrapperIjLb1EEEEE10hipError_tT1_PNSt15iterator_traitsISG_E10value_typeET2_T3_PNSH_ISM_E10value_typeET4_T5_PSR_SS_PNS1_23onesweep_lookback_stateEbbT6_jjT7_P12ihipStream_tbENKUlT_T0_SG_SL_E_clIS7_S7_SB_SB_EEDaSZ_S10_SG_SL_EUlSZ_E_NS1_11comp_targetILNS1_3genE4ELNS1_11target_archE910ELNS1_3gpuE8ELNS1_3repE0EEENS1_47radix_sort_onesweep_sort_config_static_selectorELNS0_4arch9wavefront6targetE1EEEvSG_
                                        ; -- End function
	.set _ZN7rocprim17ROCPRIM_400000_NS6detail17trampoline_kernelINS0_14default_configENS1_35radix_sort_onesweep_config_selectorIflEEZZNS1_29radix_sort_onesweep_iterationIS3_Lb0EPfS7_N6thrust23THRUST_200600_302600_NS10device_ptrIlEESB_jNS0_19identity_decomposerENS1_16block_id_wrapperIjLb1EEEEE10hipError_tT1_PNSt15iterator_traitsISG_E10value_typeET2_T3_PNSH_ISM_E10value_typeET4_T5_PSR_SS_PNS1_23onesweep_lookback_stateEbbT6_jjT7_P12ihipStream_tbENKUlT_T0_SG_SL_E_clIS7_S7_SB_SB_EEDaSZ_S10_SG_SL_EUlSZ_E_NS1_11comp_targetILNS1_3genE4ELNS1_11target_archE910ELNS1_3gpuE8ELNS1_3repE0EEENS1_47radix_sort_onesweep_sort_config_static_selectorELNS0_4arch9wavefront6targetE1EEEvSG_.num_vgpr, 0
	.set _ZN7rocprim17ROCPRIM_400000_NS6detail17trampoline_kernelINS0_14default_configENS1_35radix_sort_onesweep_config_selectorIflEEZZNS1_29radix_sort_onesweep_iterationIS3_Lb0EPfS7_N6thrust23THRUST_200600_302600_NS10device_ptrIlEESB_jNS0_19identity_decomposerENS1_16block_id_wrapperIjLb1EEEEE10hipError_tT1_PNSt15iterator_traitsISG_E10value_typeET2_T3_PNSH_ISM_E10value_typeET4_T5_PSR_SS_PNS1_23onesweep_lookback_stateEbbT6_jjT7_P12ihipStream_tbENKUlT_T0_SG_SL_E_clIS7_S7_SB_SB_EEDaSZ_S10_SG_SL_EUlSZ_E_NS1_11comp_targetILNS1_3genE4ELNS1_11target_archE910ELNS1_3gpuE8ELNS1_3repE0EEENS1_47radix_sort_onesweep_sort_config_static_selectorELNS0_4arch9wavefront6targetE1EEEvSG_.num_agpr, 0
	.set _ZN7rocprim17ROCPRIM_400000_NS6detail17trampoline_kernelINS0_14default_configENS1_35radix_sort_onesweep_config_selectorIflEEZZNS1_29radix_sort_onesweep_iterationIS3_Lb0EPfS7_N6thrust23THRUST_200600_302600_NS10device_ptrIlEESB_jNS0_19identity_decomposerENS1_16block_id_wrapperIjLb1EEEEE10hipError_tT1_PNSt15iterator_traitsISG_E10value_typeET2_T3_PNSH_ISM_E10value_typeET4_T5_PSR_SS_PNS1_23onesweep_lookback_stateEbbT6_jjT7_P12ihipStream_tbENKUlT_T0_SG_SL_E_clIS7_S7_SB_SB_EEDaSZ_S10_SG_SL_EUlSZ_E_NS1_11comp_targetILNS1_3genE4ELNS1_11target_archE910ELNS1_3gpuE8ELNS1_3repE0EEENS1_47radix_sort_onesweep_sort_config_static_selectorELNS0_4arch9wavefront6targetE1EEEvSG_.numbered_sgpr, 0
	.set _ZN7rocprim17ROCPRIM_400000_NS6detail17trampoline_kernelINS0_14default_configENS1_35radix_sort_onesweep_config_selectorIflEEZZNS1_29radix_sort_onesweep_iterationIS3_Lb0EPfS7_N6thrust23THRUST_200600_302600_NS10device_ptrIlEESB_jNS0_19identity_decomposerENS1_16block_id_wrapperIjLb1EEEEE10hipError_tT1_PNSt15iterator_traitsISG_E10value_typeET2_T3_PNSH_ISM_E10value_typeET4_T5_PSR_SS_PNS1_23onesweep_lookback_stateEbbT6_jjT7_P12ihipStream_tbENKUlT_T0_SG_SL_E_clIS7_S7_SB_SB_EEDaSZ_S10_SG_SL_EUlSZ_E_NS1_11comp_targetILNS1_3genE4ELNS1_11target_archE910ELNS1_3gpuE8ELNS1_3repE0EEENS1_47radix_sort_onesweep_sort_config_static_selectorELNS0_4arch9wavefront6targetE1EEEvSG_.num_named_barrier, 0
	.set _ZN7rocprim17ROCPRIM_400000_NS6detail17trampoline_kernelINS0_14default_configENS1_35radix_sort_onesweep_config_selectorIflEEZZNS1_29radix_sort_onesweep_iterationIS3_Lb0EPfS7_N6thrust23THRUST_200600_302600_NS10device_ptrIlEESB_jNS0_19identity_decomposerENS1_16block_id_wrapperIjLb1EEEEE10hipError_tT1_PNSt15iterator_traitsISG_E10value_typeET2_T3_PNSH_ISM_E10value_typeET4_T5_PSR_SS_PNS1_23onesweep_lookback_stateEbbT6_jjT7_P12ihipStream_tbENKUlT_T0_SG_SL_E_clIS7_S7_SB_SB_EEDaSZ_S10_SG_SL_EUlSZ_E_NS1_11comp_targetILNS1_3genE4ELNS1_11target_archE910ELNS1_3gpuE8ELNS1_3repE0EEENS1_47radix_sort_onesweep_sort_config_static_selectorELNS0_4arch9wavefront6targetE1EEEvSG_.private_seg_size, 0
	.set _ZN7rocprim17ROCPRIM_400000_NS6detail17trampoline_kernelINS0_14default_configENS1_35radix_sort_onesweep_config_selectorIflEEZZNS1_29radix_sort_onesweep_iterationIS3_Lb0EPfS7_N6thrust23THRUST_200600_302600_NS10device_ptrIlEESB_jNS0_19identity_decomposerENS1_16block_id_wrapperIjLb1EEEEE10hipError_tT1_PNSt15iterator_traitsISG_E10value_typeET2_T3_PNSH_ISM_E10value_typeET4_T5_PSR_SS_PNS1_23onesweep_lookback_stateEbbT6_jjT7_P12ihipStream_tbENKUlT_T0_SG_SL_E_clIS7_S7_SB_SB_EEDaSZ_S10_SG_SL_EUlSZ_E_NS1_11comp_targetILNS1_3genE4ELNS1_11target_archE910ELNS1_3gpuE8ELNS1_3repE0EEENS1_47radix_sort_onesweep_sort_config_static_selectorELNS0_4arch9wavefront6targetE1EEEvSG_.uses_vcc, 0
	.set _ZN7rocprim17ROCPRIM_400000_NS6detail17trampoline_kernelINS0_14default_configENS1_35radix_sort_onesweep_config_selectorIflEEZZNS1_29radix_sort_onesweep_iterationIS3_Lb0EPfS7_N6thrust23THRUST_200600_302600_NS10device_ptrIlEESB_jNS0_19identity_decomposerENS1_16block_id_wrapperIjLb1EEEEE10hipError_tT1_PNSt15iterator_traitsISG_E10value_typeET2_T3_PNSH_ISM_E10value_typeET4_T5_PSR_SS_PNS1_23onesweep_lookback_stateEbbT6_jjT7_P12ihipStream_tbENKUlT_T0_SG_SL_E_clIS7_S7_SB_SB_EEDaSZ_S10_SG_SL_EUlSZ_E_NS1_11comp_targetILNS1_3genE4ELNS1_11target_archE910ELNS1_3gpuE8ELNS1_3repE0EEENS1_47radix_sort_onesweep_sort_config_static_selectorELNS0_4arch9wavefront6targetE1EEEvSG_.uses_flat_scratch, 0
	.set _ZN7rocprim17ROCPRIM_400000_NS6detail17trampoline_kernelINS0_14default_configENS1_35radix_sort_onesweep_config_selectorIflEEZZNS1_29radix_sort_onesweep_iterationIS3_Lb0EPfS7_N6thrust23THRUST_200600_302600_NS10device_ptrIlEESB_jNS0_19identity_decomposerENS1_16block_id_wrapperIjLb1EEEEE10hipError_tT1_PNSt15iterator_traitsISG_E10value_typeET2_T3_PNSH_ISM_E10value_typeET4_T5_PSR_SS_PNS1_23onesweep_lookback_stateEbbT6_jjT7_P12ihipStream_tbENKUlT_T0_SG_SL_E_clIS7_S7_SB_SB_EEDaSZ_S10_SG_SL_EUlSZ_E_NS1_11comp_targetILNS1_3genE4ELNS1_11target_archE910ELNS1_3gpuE8ELNS1_3repE0EEENS1_47radix_sort_onesweep_sort_config_static_selectorELNS0_4arch9wavefront6targetE1EEEvSG_.has_dyn_sized_stack, 0
	.set _ZN7rocprim17ROCPRIM_400000_NS6detail17trampoline_kernelINS0_14default_configENS1_35radix_sort_onesweep_config_selectorIflEEZZNS1_29radix_sort_onesweep_iterationIS3_Lb0EPfS7_N6thrust23THRUST_200600_302600_NS10device_ptrIlEESB_jNS0_19identity_decomposerENS1_16block_id_wrapperIjLb1EEEEE10hipError_tT1_PNSt15iterator_traitsISG_E10value_typeET2_T3_PNSH_ISM_E10value_typeET4_T5_PSR_SS_PNS1_23onesweep_lookback_stateEbbT6_jjT7_P12ihipStream_tbENKUlT_T0_SG_SL_E_clIS7_S7_SB_SB_EEDaSZ_S10_SG_SL_EUlSZ_E_NS1_11comp_targetILNS1_3genE4ELNS1_11target_archE910ELNS1_3gpuE8ELNS1_3repE0EEENS1_47radix_sort_onesweep_sort_config_static_selectorELNS0_4arch9wavefront6targetE1EEEvSG_.has_recursion, 0
	.set _ZN7rocprim17ROCPRIM_400000_NS6detail17trampoline_kernelINS0_14default_configENS1_35radix_sort_onesweep_config_selectorIflEEZZNS1_29radix_sort_onesweep_iterationIS3_Lb0EPfS7_N6thrust23THRUST_200600_302600_NS10device_ptrIlEESB_jNS0_19identity_decomposerENS1_16block_id_wrapperIjLb1EEEEE10hipError_tT1_PNSt15iterator_traitsISG_E10value_typeET2_T3_PNSH_ISM_E10value_typeET4_T5_PSR_SS_PNS1_23onesweep_lookback_stateEbbT6_jjT7_P12ihipStream_tbENKUlT_T0_SG_SL_E_clIS7_S7_SB_SB_EEDaSZ_S10_SG_SL_EUlSZ_E_NS1_11comp_targetILNS1_3genE4ELNS1_11target_archE910ELNS1_3gpuE8ELNS1_3repE0EEENS1_47radix_sort_onesweep_sort_config_static_selectorELNS0_4arch9wavefront6targetE1EEEvSG_.has_indirect_call, 0
	.section	.AMDGPU.csdata,"",@progbits
; Kernel info:
; codeLenInByte = 0
; TotalNumSgprs: 4
; NumVgprs: 0
; ScratchSize: 0
; MemoryBound: 0
; FloatMode: 240
; IeeeMode: 1
; LDSByteSize: 0 bytes/workgroup (compile time only)
; SGPRBlocks: 0
; VGPRBlocks: 0
; NumSGPRsForWavesPerEU: 4
; NumVGPRsForWavesPerEU: 1
; Occupancy: 10
; WaveLimiterHint : 0
; COMPUTE_PGM_RSRC2:SCRATCH_EN: 0
; COMPUTE_PGM_RSRC2:USER_SGPR: 6
; COMPUTE_PGM_RSRC2:TRAP_HANDLER: 0
; COMPUTE_PGM_RSRC2:TGID_X_EN: 1
; COMPUTE_PGM_RSRC2:TGID_Y_EN: 0
; COMPUTE_PGM_RSRC2:TGID_Z_EN: 0
; COMPUTE_PGM_RSRC2:TIDIG_COMP_CNT: 0
	.section	.text._ZN7rocprim17ROCPRIM_400000_NS6detail17trampoline_kernelINS0_14default_configENS1_35radix_sort_onesweep_config_selectorIflEEZZNS1_29radix_sort_onesweep_iterationIS3_Lb0EPfS7_N6thrust23THRUST_200600_302600_NS10device_ptrIlEESB_jNS0_19identity_decomposerENS1_16block_id_wrapperIjLb1EEEEE10hipError_tT1_PNSt15iterator_traitsISG_E10value_typeET2_T3_PNSH_ISM_E10value_typeET4_T5_PSR_SS_PNS1_23onesweep_lookback_stateEbbT6_jjT7_P12ihipStream_tbENKUlT_T0_SG_SL_E_clIS7_S7_SB_SB_EEDaSZ_S10_SG_SL_EUlSZ_E_NS1_11comp_targetILNS1_3genE3ELNS1_11target_archE908ELNS1_3gpuE7ELNS1_3repE0EEENS1_47radix_sort_onesweep_sort_config_static_selectorELNS0_4arch9wavefront6targetE1EEEvSG_,"axG",@progbits,_ZN7rocprim17ROCPRIM_400000_NS6detail17trampoline_kernelINS0_14default_configENS1_35radix_sort_onesweep_config_selectorIflEEZZNS1_29radix_sort_onesweep_iterationIS3_Lb0EPfS7_N6thrust23THRUST_200600_302600_NS10device_ptrIlEESB_jNS0_19identity_decomposerENS1_16block_id_wrapperIjLb1EEEEE10hipError_tT1_PNSt15iterator_traitsISG_E10value_typeET2_T3_PNSH_ISM_E10value_typeET4_T5_PSR_SS_PNS1_23onesweep_lookback_stateEbbT6_jjT7_P12ihipStream_tbENKUlT_T0_SG_SL_E_clIS7_S7_SB_SB_EEDaSZ_S10_SG_SL_EUlSZ_E_NS1_11comp_targetILNS1_3genE3ELNS1_11target_archE908ELNS1_3gpuE7ELNS1_3repE0EEENS1_47radix_sort_onesweep_sort_config_static_selectorELNS0_4arch9wavefront6targetE1EEEvSG_,comdat
	.protected	_ZN7rocprim17ROCPRIM_400000_NS6detail17trampoline_kernelINS0_14default_configENS1_35radix_sort_onesweep_config_selectorIflEEZZNS1_29radix_sort_onesweep_iterationIS3_Lb0EPfS7_N6thrust23THRUST_200600_302600_NS10device_ptrIlEESB_jNS0_19identity_decomposerENS1_16block_id_wrapperIjLb1EEEEE10hipError_tT1_PNSt15iterator_traitsISG_E10value_typeET2_T3_PNSH_ISM_E10value_typeET4_T5_PSR_SS_PNS1_23onesweep_lookback_stateEbbT6_jjT7_P12ihipStream_tbENKUlT_T0_SG_SL_E_clIS7_S7_SB_SB_EEDaSZ_S10_SG_SL_EUlSZ_E_NS1_11comp_targetILNS1_3genE3ELNS1_11target_archE908ELNS1_3gpuE7ELNS1_3repE0EEENS1_47radix_sort_onesweep_sort_config_static_selectorELNS0_4arch9wavefront6targetE1EEEvSG_ ; -- Begin function _ZN7rocprim17ROCPRIM_400000_NS6detail17trampoline_kernelINS0_14default_configENS1_35radix_sort_onesweep_config_selectorIflEEZZNS1_29radix_sort_onesweep_iterationIS3_Lb0EPfS7_N6thrust23THRUST_200600_302600_NS10device_ptrIlEESB_jNS0_19identity_decomposerENS1_16block_id_wrapperIjLb1EEEEE10hipError_tT1_PNSt15iterator_traitsISG_E10value_typeET2_T3_PNSH_ISM_E10value_typeET4_T5_PSR_SS_PNS1_23onesweep_lookback_stateEbbT6_jjT7_P12ihipStream_tbENKUlT_T0_SG_SL_E_clIS7_S7_SB_SB_EEDaSZ_S10_SG_SL_EUlSZ_E_NS1_11comp_targetILNS1_3genE3ELNS1_11target_archE908ELNS1_3gpuE7ELNS1_3repE0EEENS1_47radix_sort_onesweep_sort_config_static_selectorELNS0_4arch9wavefront6targetE1EEEvSG_
	.globl	_ZN7rocprim17ROCPRIM_400000_NS6detail17trampoline_kernelINS0_14default_configENS1_35radix_sort_onesweep_config_selectorIflEEZZNS1_29radix_sort_onesweep_iterationIS3_Lb0EPfS7_N6thrust23THRUST_200600_302600_NS10device_ptrIlEESB_jNS0_19identity_decomposerENS1_16block_id_wrapperIjLb1EEEEE10hipError_tT1_PNSt15iterator_traitsISG_E10value_typeET2_T3_PNSH_ISM_E10value_typeET4_T5_PSR_SS_PNS1_23onesweep_lookback_stateEbbT6_jjT7_P12ihipStream_tbENKUlT_T0_SG_SL_E_clIS7_S7_SB_SB_EEDaSZ_S10_SG_SL_EUlSZ_E_NS1_11comp_targetILNS1_3genE3ELNS1_11target_archE908ELNS1_3gpuE7ELNS1_3repE0EEENS1_47radix_sort_onesweep_sort_config_static_selectorELNS0_4arch9wavefront6targetE1EEEvSG_
	.p2align	8
	.type	_ZN7rocprim17ROCPRIM_400000_NS6detail17trampoline_kernelINS0_14default_configENS1_35radix_sort_onesweep_config_selectorIflEEZZNS1_29radix_sort_onesweep_iterationIS3_Lb0EPfS7_N6thrust23THRUST_200600_302600_NS10device_ptrIlEESB_jNS0_19identity_decomposerENS1_16block_id_wrapperIjLb1EEEEE10hipError_tT1_PNSt15iterator_traitsISG_E10value_typeET2_T3_PNSH_ISM_E10value_typeET4_T5_PSR_SS_PNS1_23onesweep_lookback_stateEbbT6_jjT7_P12ihipStream_tbENKUlT_T0_SG_SL_E_clIS7_S7_SB_SB_EEDaSZ_S10_SG_SL_EUlSZ_E_NS1_11comp_targetILNS1_3genE3ELNS1_11target_archE908ELNS1_3gpuE7ELNS1_3repE0EEENS1_47radix_sort_onesweep_sort_config_static_selectorELNS0_4arch9wavefront6targetE1EEEvSG_,@function
_ZN7rocprim17ROCPRIM_400000_NS6detail17trampoline_kernelINS0_14default_configENS1_35radix_sort_onesweep_config_selectorIflEEZZNS1_29radix_sort_onesweep_iterationIS3_Lb0EPfS7_N6thrust23THRUST_200600_302600_NS10device_ptrIlEESB_jNS0_19identity_decomposerENS1_16block_id_wrapperIjLb1EEEEE10hipError_tT1_PNSt15iterator_traitsISG_E10value_typeET2_T3_PNSH_ISM_E10value_typeET4_T5_PSR_SS_PNS1_23onesweep_lookback_stateEbbT6_jjT7_P12ihipStream_tbENKUlT_T0_SG_SL_E_clIS7_S7_SB_SB_EEDaSZ_S10_SG_SL_EUlSZ_E_NS1_11comp_targetILNS1_3genE3ELNS1_11target_archE908ELNS1_3gpuE7ELNS1_3repE0EEENS1_47radix_sort_onesweep_sort_config_static_selectorELNS0_4arch9wavefront6targetE1EEEvSG_: ; @_ZN7rocprim17ROCPRIM_400000_NS6detail17trampoline_kernelINS0_14default_configENS1_35radix_sort_onesweep_config_selectorIflEEZZNS1_29radix_sort_onesweep_iterationIS3_Lb0EPfS7_N6thrust23THRUST_200600_302600_NS10device_ptrIlEESB_jNS0_19identity_decomposerENS1_16block_id_wrapperIjLb1EEEEE10hipError_tT1_PNSt15iterator_traitsISG_E10value_typeET2_T3_PNSH_ISM_E10value_typeET4_T5_PSR_SS_PNS1_23onesweep_lookback_stateEbbT6_jjT7_P12ihipStream_tbENKUlT_T0_SG_SL_E_clIS7_S7_SB_SB_EEDaSZ_S10_SG_SL_EUlSZ_E_NS1_11comp_targetILNS1_3genE3ELNS1_11target_archE908ELNS1_3gpuE7ELNS1_3repE0EEENS1_47radix_sort_onesweep_sort_config_static_selectorELNS0_4arch9wavefront6targetE1EEEvSG_
; %bb.0:
	.section	.rodata,"a",@progbits
	.p2align	6, 0x0
	.amdhsa_kernel _ZN7rocprim17ROCPRIM_400000_NS6detail17trampoline_kernelINS0_14default_configENS1_35radix_sort_onesweep_config_selectorIflEEZZNS1_29radix_sort_onesweep_iterationIS3_Lb0EPfS7_N6thrust23THRUST_200600_302600_NS10device_ptrIlEESB_jNS0_19identity_decomposerENS1_16block_id_wrapperIjLb1EEEEE10hipError_tT1_PNSt15iterator_traitsISG_E10value_typeET2_T3_PNSH_ISM_E10value_typeET4_T5_PSR_SS_PNS1_23onesweep_lookback_stateEbbT6_jjT7_P12ihipStream_tbENKUlT_T0_SG_SL_E_clIS7_S7_SB_SB_EEDaSZ_S10_SG_SL_EUlSZ_E_NS1_11comp_targetILNS1_3genE3ELNS1_11target_archE908ELNS1_3gpuE7ELNS1_3repE0EEENS1_47radix_sort_onesweep_sort_config_static_selectorELNS0_4arch9wavefront6targetE1EEEvSG_
		.amdhsa_group_segment_fixed_size 0
		.amdhsa_private_segment_fixed_size 0
		.amdhsa_kernarg_size 88
		.amdhsa_user_sgpr_count 6
		.amdhsa_user_sgpr_private_segment_buffer 1
		.amdhsa_user_sgpr_dispatch_ptr 0
		.amdhsa_user_sgpr_queue_ptr 0
		.amdhsa_user_sgpr_kernarg_segment_ptr 1
		.amdhsa_user_sgpr_dispatch_id 0
		.amdhsa_user_sgpr_flat_scratch_init 0
		.amdhsa_user_sgpr_private_segment_size 0
		.amdhsa_uses_dynamic_stack 0
		.amdhsa_system_sgpr_private_segment_wavefront_offset 0
		.amdhsa_system_sgpr_workgroup_id_x 1
		.amdhsa_system_sgpr_workgroup_id_y 0
		.amdhsa_system_sgpr_workgroup_id_z 0
		.amdhsa_system_sgpr_workgroup_info 0
		.amdhsa_system_vgpr_workitem_id 0
		.amdhsa_next_free_vgpr 1
		.amdhsa_next_free_sgpr 0
		.amdhsa_reserve_vcc 0
		.amdhsa_reserve_flat_scratch 0
		.amdhsa_float_round_mode_32 0
		.amdhsa_float_round_mode_16_64 0
		.amdhsa_float_denorm_mode_32 3
		.amdhsa_float_denorm_mode_16_64 3
		.amdhsa_dx10_clamp 1
		.amdhsa_ieee_mode 1
		.amdhsa_fp16_overflow 0
		.amdhsa_exception_fp_ieee_invalid_op 0
		.amdhsa_exception_fp_denorm_src 0
		.amdhsa_exception_fp_ieee_div_zero 0
		.amdhsa_exception_fp_ieee_overflow 0
		.amdhsa_exception_fp_ieee_underflow 0
		.amdhsa_exception_fp_ieee_inexact 0
		.amdhsa_exception_int_div_zero 0
	.end_amdhsa_kernel
	.section	.text._ZN7rocprim17ROCPRIM_400000_NS6detail17trampoline_kernelINS0_14default_configENS1_35radix_sort_onesweep_config_selectorIflEEZZNS1_29radix_sort_onesweep_iterationIS3_Lb0EPfS7_N6thrust23THRUST_200600_302600_NS10device_ptrIlEESB_jNS0_19identity_decomposerENS1_16block_id_wrapperIjLb1EEEEE10hipError_tT1_PNSt15iterator_traitsISG_E10value_typeET2_T3_PNSH_ISM_E10value_typeET4_T5_PSR_SS_PNS1_23onesweep_lookback_stateEbbT6_jjT7_P12ihipStream_tbENKUlT_T0_SG_SL_E_clIS7_S7_SB_SB_EEDaSZ_S10_SG_SL_EUlSZ_E_NS1_11comp_targetILNS1_3genE3ELNS1_11target_archE908ELNS1_3gpuE7ELNS1_3repE0EEENS1_47radix_sort_onesweep_sort_config_static_selectorELNS0_4arch9wavefront6targetE1EEEvSG_,"axG",@progbits,_ZN7rocprim17ROCPRIM_400000_NS6detail17trampoline_kernelINS0_14default_configENS1_35radix_sort_onesweep_config_selectorIflEEZZNS1_29radix_sort_onesweep_iterationIS3_Lb0EPfS7_N6thrust23THRUST_200600_302600_NS10device_ptrIlEESB_jNS0_19identity_decomposerENS1_16block_id_wrapperIjLb1EEEEE10hipError_tT1_PNSt15iterator_traitsISG_E10value_typeET2_T3_PNSH_ISM_E10value_typeET4_T5_PSR_SS_PNS1_23onesweep_lookback_stateEbbT6_jjT7_P12ihipStream_tbENKUlT_T0_SG_SL_E_clIS7_S7_SB_SB_EEDaSZ_S10_SG_SL_EUlSZ_E_NS1_11comp_targetILNS1_3genE3ELNS1_11target_archE908ELNS1_3gpuE7ELNS1_3repE0EEENS1_47radix_sort_onesweep_sort_config_static_selectorELNS0_4arch9wavefront6targetE1EEEvSG_,comdat
.Lfunc_end1839:
	.size	_ZN7rocprim17ROCPRIM_400000_NS6detail17trampoline_kernelINS0_14default_configENS1_35radix_sort_onesweep_config_selectorIflEEZZNS1_29radix_sort_onesweep_iterationIS3_Lb0EPfS7_N6thrust23THRUST_200600_302600_NS10device_ptrIlEESB_jNS0_19identity_decomposerENS1_16block_id_wrapperIjLb1EEEEE10hipError_tT1_PNSt15iterator_traitsISG_E10value_typeET2_T3_PNSH_ISM_E10value_typeET4_T5_PSR_SS_PNS1_23onesweep_lookback_stateEbbT6_jjT7_P12ihipStream_tbENKUlT_T0_SG_SL_E_clIS7_S7_SB_SB_EEDaSZ_S10_SG_SL_EUlSZ_E_NS1_11comp_targetILNS1_3genE3ELNS1_11target_archE908ELNS1_3gpuE7ELNS1_3repE0EEENS1_47radix_sort_onesweep_sort_config_static_selectorELNS0_4arch9wavefront6targetE1EEEvSG_, .Lfunc_end1839-_ZN7rocprim17ROCPRIM_400000_NS6detail17trampoline_kernelINS0_14default_configENS1_35radix_sort_onesweep_config_selectorIflEEZZNS1_29radix_sort_onesweep_iterationIS3_Lb0EPfS7_N6thrust23THRUST_200600_302600_NS10device_ptrIlEESB_jNS0_19identity_decomposerENS1_16block_id_wrapperIjLb1EEEEE10hipError_tT1_PNSt15iterator_traitsISG_E10value_typeET2_T3_PNSH_ISM_E10value_typeET4_T5_PSR_SS_PNS1_23onesweep_lookback_stateEbbT6_jjT7_P12ihipStream_tbENKUlT_T0_SG_SL_E_clIS7_S7_SB_SB_EEDaSZ_S10_SG_SL_EUlSZ_E_NS1_11comp_targetILNS1_3genE3ELNS1_11target_archE908ELNS1_3gpuE7ELNS1_3repE0EEENS1_47radix_sort_onesweep_sort_config_static_selectorELNS0_4arch9wavefront6targetE1EEEvSG_
                                        ; -- End function
	.set _ZN7rocprim17ROCPRIM_400000_NS6detail17trampoline_kernelINS0_14default_configENS1_35radix_sort_onesweep_config_selectorIflEEZZNS1_29radix_sort_onesweep_iterationIS3_Lb0EPfS7_N6thrust23THRUST_200600_302600_NS10device_ptrIlEESB_jNS0_19identity_decomposerENS1_16block_id_wrapperIjLb1EEEEE10hipError_tT1_PNSt15iterator_traitsISG_E10value_typeET2_T3_PNSH_ISM_E10value_typeET4_T5_PSR_SS_PNS1_23onesweep_lookback_stateEbbT6_jjT7_P12ihipStream_tbENKUlT_T0_SG_SL_E_clIS7_S7_SB_SB_EEDaSZ_S10_SG_SL_EUlSZ_E_NS1_11comp_targetILNS1_3genE3ELNS1_11target_archE908ELNS1_3gpuE7ELNS1_3repE0EEENS1_47radix_sort_onesweep_sort_config_static_selectorELNS0_4arch9wavefront6targetE1EEEvSG_.num_vgpr, 0
	.set _ZN7rocprim17ROCPRIM_400000_NS6detail17trampoline_kernelINS0_14default_configENS1_35radix_sort_onesweep_config_selectorIflEEZZNS1_29radix_sort_onesweep_iterationIS3_Lb0EPfS7_N6thrust23THRUST_200600_302600_NS10device_ptrIlEESB_jNS0_19identity_decomposerENS1_16block_id_wrapperIjLb1EEEEE10hipError_tT1_PNSt15iterator_traitsISG_E10value_typeET2_T3_PNSH_ISM_E10value_typeET4_T5_PSR_SS_PNS1_23onesweep_lookback_stateEbbT6_jjT7_P12ihipStream_tbENKUlT_T0_SG_SL_E_clIS7_S7_SB_SB_EEDaSZ_S10_SG_SL_EUlSZ_E_NS1_11comp_targetILNS1_3genE3ELNS1_11target_archE908ELNS1_3gpuE7ELNS1_3repE0EEENS1_47radix_sort_onesweep_sort_config_static_selectorELNS0_4arch9wavefront6targetE1EEEvSG_.num_agpr, 0
	.set _ZN7rocprim17ROCPRIM_400000_NS6detail17trampoline_kernelINS0_14default_configENS1_35radix_sort_onesweep_config_selectorIflEEZZNS1_29radix_sort_onesweep_iterationIS3_Lb0EPfS7_N6thrust23THRUST_200600_302600_NS10device_ptrIlEESB_jNS0_19identity_decomposerENS1_16block_id_wrapperIjLb1EEEEE10hipError_tT1_PNSt15iterator_traitsISG_E10value_typeET2_T3_PNSH_ISM_E10value_typeET4_T5_PSR_SS_PNS1_23onesweep_lookback_stateEbbT6_jjT7_P12ihipStream_tbENKUlT_T0_SG_SL_E_clIS7_S7_SB_SB_EEDaSZ_S10_SG_SL_EUlSZ_E_NS1_11comp_targetILNS1_3genE3ELNS1_11target_archE908ELNS1_3gpuE7ELNS1_3repE0EEENS1_47radix_sort_onesweep_sort_config_static_selectorELNS0_4arch9wavefront6targetE1EEEvSG_.numbered_sgpr, 0
	.set _ZN7rocprim17ROCPRIM_400000_NS6detail17trampoline_kernelINS0_14default_configENS1_35radix_sort_onesweep_config_selectorIflEEZZNS1_29radix_sort_onesweep_iterationIS3_Lb0EPfS7_N6thrust23THRUST_200600_302600_NS10device_ptrIlEESB_jNS0_19identity_decomposerENS1_16block_id_wrapperIjLb1EEEEE10hipError_tT1_PNSt15iterator_traitsISG_E10value_typeET2_T3_PNSH_ISM_E10value_typeET4_T5_PSR_SS_PNS1_23onesweep_lookback_stateEbbT6_jjT7_P12ihipStream_tbENKUlT_T0_SG_SL_E_clIS7_S7_SB_SB_EEDaSZ_S10_SG_SL_EUlSZ_E_NS1_11comp_targetILNS1_3genE3ELNS1_11target_archE908ELNS1_3gpuE7ELNS1_3repE0EEENS1_47radix_sort_onesweep_sort_config_static_selectorELNS0_4arch9wavefront6targetE1EEEvSG_.num_named_barrier, 0
	.set _ZN7rocprim17ROCPRIM_400000_NS6detail17trampoline_kernelINS0_14default_configENS1_35radix_sort_onesweep_config_selectorIflEEZZNS1_29radix_sort_onesweep_iterationIS3_Lb0EPfS7_N6thrust23THRUST_200600_302600_NS10device_ptrIlEESB_jNS0_19identity_decomposerENS1_16block_id_wrapperIjLb1EEEEE10hipError_tT1_PNSt15iterator_traitsISG_E10value_typeET2_T3_PNSH_ISM_E10value_typeET4_T5_PSR_SS_PNS1_23onesweep_lookback_stateEbbT6_jjT7_P12ihipStream_tbENKUlT_T0_SG_SL_E_clIS7_S7_SB_SB_EEDaSZ_S10_SG_SL_EUlSZ_E_NS1_11comp_targetILNS1_3genE3ELNS1_11target_archE908ELNS1_3gpuE7ELNS1_3repE0EEENS1_47radix_sort_onesweep_sort_config_static_selectorELNS0_4arch9wavefront6targetE1EEEvSG_.private_seg_size, 0
	.set _ZN7rocprim17ROCPRIM_400000_NS6detail17trampoline_kernelINS0_14default_configENS1_35radix_sort_onesweep_config_selectorIflEEZZNS1_29radix_sort_onesweep_iterationIS3_Lb0EPfS7_N6thrust23THRUST_200600_302600_NS10device_ptrIlEESB_jNS0_19identity_decomposerENS1_16block_id_wrapperIjLb1EEEEE10hipError_tT1_PNSt15iterator_traitsISG_E10value_typeET2_T3_PNSH_ISM_E10value_typeET4_T5_PSR_SS_PNS1_23onesweep_lookback_stateEbbT6_jjT7_P12ihipStream_tbENKUlT_T0_SG_SL_E_clIS7_S7_SB_SB_EEDaSZ_S10_SG_SL_EUlSZ_E_NS1_11comp_targetILNS1_3genE3ELNS1_11target_archE908ELNS1_3gpuE7ELNS1_3repE0EEENS1_47radix_sort_onesweep_sort_config_static_selectorELNS0_4arch9wavefront6targetE1EEEvSG_.uses_vcc, 0
	.set _ZN7rocprim17ROCPRIM_400000_NS6detail17trampoline_kernelINS0_14default_configENS1_35radix_sort_onesweep_config_selectorIflEEZZNS1_29radix_sort_onesweep_iterationIS3_Lb0EPfS7_N6thrust23THRUST_200600_302600_NS10device_ptrIlEESB_jNS0_19identity_decomposerENS1_16block_id_wrapperIjLb1EEEEE10hipError_tT1_PNSt15iterator_traitsISG_E10value_typeET2_T3_PNSH_ISM_E10value_typeET4_T5_PSR_SS_PNS1_23onesweep_lookback_stateEbbT6_jjT7_P12ihipStream_tbENKUlT_T0_SG_SL_E_clIS7_S7_SB_SB_EEDaSZ_S10_SG_SL_EUlSZ_E_NS1_11comp_targetILNS1_3genE3ELNS1_11target_archE908ELNS1_3gpuE7ELNS1_3repE0EEENS1_47radix_sort_onesweep_sort_config_static_selectorELNS0_4arch9wavefront6targetE1EEEvSG_.uses_flat_scratch, 0
	.set _ZN7rocprim17ROCPRIM_400000_NS6detail17trampoline_kernelINS0_14default_configENS1_35radix_sort_onesweep_config_selectorIflEEZZNS1_29radix_sort_onesweep_iterationIS3_Lb0EPfS7_N6thrust23THRUST_200600_302600_NS10device_ptrIlEESB_jNS0_19identity_decomposerENS1_16block_id_wrapperIjLb1EEEEE10hipError_tT1_PNSt15iterator_traitsISG_E10value_typeET2_T3_PNSH_ISM_E10value_typeET4_T5_PSR_SS_PNS1_23onesweep_lookback_stateEbbT6_jjT7_P12ihipStream_tbENKUlT_T0_SG_SL_E_clIS7_S7_SB_SB_EEDaSZ_S10_SG_SL_EUlSZ_E_NS1_11comp_targetILNS1_3genE3ELNS1_11target_archE908ELNS1_3gpuE7ELNS1_3repE0EEENS1_47radix_sort_onesweep_sort_config_static_selectorELNS0_4arch9wavefront6targetE1EEEvSG_.has_dyn_sized_stack, 0
	.set _ZN7rocprim17ROCPRIM_400000_NS6detail17trampoline_kernelINS0_14default_configENS1_35radix_sort_onesweep_config_selectorIflEEZZNS1_29radix_sort_onesweep_iterationIS3_Lb0EPfS7_N6thrust23THRUST_200600_302600_NS10device_ptrIlEESB_jNS0_19identity_decomposerENS1_16block_id_wrapperIjLb1EEEEE10hipError_tT1_PNSt15iterator_traitsISG_E10value_typeET2_T3_PNSH_ISM_E10value_typeET4_T5_PSR_SS_PNS1_23onesweep_lookback_stateEbbT6_jjT7_P12ihipStream_tbENKUlT_T0_SG_SL_E_clIS7_S7_SB_SB_EEDaSZ_S10_SG_SL_EUlSZ_E_NS1_11comp_targetILNS1_3genE3ELNS1_11target_archE908ELNS1_3gpuE7ELNS1_3repE0EEENS1_47radix_sort_onesweep_sort_config_static_selectorELNS0_4arch9wavefront6targetE1EEEvSG_.has_recursion, 0
	.set _ZN7rocprim17ROCPRIM_400000_NS6detail17trampoline_kernelINS0_14default_configENS1_35radix_sort_onesweep_config_selectorIflEEZZNS1_29radix_sort_onesweep_iterationIS3_Lb0EPfS7_N6thrust23THRUST_200600_302600_NS10device_ptrIlEESB_jNS0_19identity_decomposerENS1_16block_id_wrapperIjLb1EEEEE10hipError_tT1_PNSt15iterator_traitsISG_E10value_typeET2_T3_PNSH_ISM_E10value_typeET4_T5_PSR_SS_PNS1_23onesweep_lookback_stateEbbT6_jjT7_P12ihipStream_tbENKUlT_T0_SG_SL_E_clIS7_S7_SB_SB_EEDaSZ_S10_SG_SL_EUlSZ_E_NS1_11comp_targetILNS1_3genE3ELNS1_11target_archE908ELNS1_3gpuE7ELNS1_3repE0EEENS1_47radix_sort_onesweep_sort_config_static_selectorELNS0_4arch9wavefront6targetE1EEEvSG_.has_indirect_call, 0
	.section	.AMDGPU.csdata,"",@progbits
; Kernel info:
; codeLenInByte = 0
; TotalNumSgprs: 4
; NumVgprs: 0
; ScratchSize: 0
; MemoryBound: 0
; FloatMode: 240
; IeeeMode: 1
; LDSByteSize: 0 bytes/workgroup (compile time only)
; SGPRBlocks: 0
; VGPRBlocks: 0
; NumSGPRsForWavesPerEU: 4
; NumVGPRsForWavesPerEU: 1
; Occupancy: 10
; WaveLimiterHint : 0
; COMPUTE_PGM_RSRC2:SCRATCH_EN: 0
; COMPUTE_PGM_RSRC2:USER_SGPR: 6
; COMPUTE_PGM_RSRC2:TRAP_HANDLER: 0
; COMPUTE_PGM_RSRC2:TGID_X_EN: 1
; COMPUTE_PGM_RSRC2:TGID_Y_EN: 0
; COMPUTE_PGM_RSRC2:TGID_Z_EN: 0
; COMPUTE_PGM_RSRC2:TIDIG_COMP_CNT: 0
	.section	.text._ZN7rocprim17ROCPRIM_400000_NS6detail17trampoline_kernelINS0_14default_configENS1_35radix_sort_onesweep_config_selectorIflEEZZNS1_29radix_sort_onesweep_iterationIS3_Lb0EPfS7_N6thrust23THRUST_200600_302600_NS10device_ptrIlEESB_jNS0_19identity_decomposerENS1_16block_id_wrapperIjLb1EEEEE10hipError_tT1_PNSt15iterator_traitsISG_E10value_typeET2_T3_PNSH_ISM_E10value_typeET4_T5_PSR_SS_PNS1_23onesweep_lookback_stateEbbT6_jjT7_P12ihipStream_tbENKUlT_T0_SG_SL_E_clIS7_S7_SB_SB_EEDaSZ_S10_SG_SL_EUlSZ_E_NS1_11comp_targetILNS1_3genE10ELNS1_11target_archE1201ELNS1_3gpuE5ELNS1_3repE0EEENS1_47radix_sort_onesweep_sort_config_static_selectorELNS0_4arch9wavefront6targetE1EEEvSG_,"axG",@progbits,_ZN7rocprim17ROCPRIM_400000_NS6detail17trampoline_kernelINS0_14default_configENS1_35radix_sort_onesweep_config_selectorIflEEZZNS1_29radix_sort_onesweep_iterationIS3_Lb0EPfS7_N6thrust23THRUST_200600_302600_NS10device_ptrIlEESB_jNS0_19identity_decomposerENS1_16block_id_wrapperIjLb1EEEEE10hipError_tT1_PNSt15iterator_traitsISG_E10value_typeET2_T3_PNSH_ISM_E10value_typeET4_T5_PSR_SS_PNS1_23onesweep_lookback_stateEbbT6_jjT7_P12ihipStream_tbENKUlT_T0_SG_SL_E_clIS7_S7_SB_SB_EEDaSZ_S10_SG_SL_EUlSZ_E_NS1_11comp_targetILNS1_3genE10ELNS1_11target_archE1201ELNS1_3gpuE5ELNS1_3repE0EEENS1_47radix_sort_onesweep_sort_config_static_selectorELNS0_4arch9wavefront6targetE1EEEvSG_,comdat
	.protected	_ZN7rocprim17ROCPRIM_400000_NS6detail17trampoline_kernelINS0_14default_configENS1_35radix_sort_onesweep_config_selectorIflEEZZNS1_29radix_sort_onesweep_iterationIS3_Lb0EPfS7_N6thrust23THRUST_200600_302600_NS10device_ptrIlEESB_jNS0_19identity_decomposerENS1_16block_id_wrapperIjLb1EEEEE10hipError_tT1_PNSt15iterator_traitsISG_E10value_typeET2_T3_PNSH_ISM_E10value_typeET4_T5_PSR_SS_PNS1_23onesweep_lookback_stateEbbT6_jjT7_P12ihipStream_tbENKUlT_T0_SG_SL_E_clIS7_S7_SB_SB_EEDaSZ_S10_SG_SL_EUlSZ_E_NS1_11comp_targetILNS1_3genE10ELNS1_11target_archE1201ELNS1_3gpuE5ELNS1_3repE0EEENS1_47radix_sort_onesweep_sort_config_static_selectorELNS0_4arch9wavefront6targetE1EEEvSG_ ; -- Begin function _ZN7rocprim17ROCPRIM_400000_NS6detail17trampoline_kernelINS0_14default_configENS1_35radix_sort_onesweep_config_selectorIflEEZZNS1_29radix_sort_onesweep_iterationIS3_Lb0EPfS7_N6thrust23THRUST_200600_302600_NS10device_ptrIlEESB_jNS0_19identity_decomposerENS1_16block_id_wrapperIjLb1EEEEE10hipError_tT1_PNSt15iterator_traitsISG_E10value_typeET2_T3_PNSH_ISM_E10value_typeET4_T5_PSR_SS_PNS1_23onesweep_lookback_stateEbbT6_jjT7_P12ihipStream_tbENKUlT_T0_SG_SL_E_clIS7_S7_SB_SB_EEDaSZ_S10_SG_SL_EUlSZ_E_NS1_11comp_targetILNS1_3genE10ELNS1_11target_archE1201ELNS1_3gpuE5ELNS1_3repE0EEENS1_47radix_sort_onesweep_sort_config_static_selectorELNS0_4arch9wavefront6targetE1EEEvSG_
	.globl	_ZN7rocprim17ROCPRIM_400000_NS6detail17trampoline_kernelINS0_14default_configENS1_35radix_sort_onesweep_config_selectorIflEEZZNS1_29radix_sort_onesweep_iterationIS3_Lb0EPfS7_N6thrust23THRUST_200600_302600_NS10device_ptrIlEESB_jNS0_19identity_decomposerENS1_16block_id_wrapperIjLb1EEEEE10hipError_tT1_PNSt15iterator_traitsISG_E10value_typeET2_T3_PNSH_ISM_E10value_typeET4_T5_PSR_SS_PNS1_23onesweep_lookback_stateEbbT6_jjT7_P12ihipStream_tbENKUlT_T0_SG_SL_E_clIS7_S7_SB_SB_EEDaSZ_S10_SG_SL_EUlSZ_E_NS1_11comp_targetILNS1_3genE10ELNS1_11target_archE1201ELNS1_3gpuE5ELNS1_3repE0EEENS1_47radix_sort_onesweep_sort_config_static_selectorELNS0_4arch9wavefront6targetE1EEEvSG_
	.p2align	8
	.type	_ZN7rocprim17ROCPRIM_400000_NS6detail17trampoline_kernelINS0_14default_configENS1_35radix_sort_onesweep_config_selectorIflEEZZNS1_29radix_sort_onesweep_iterationIS3_Lb0EPfS7_N6thrust23THRUST_200600_302600_NS10device_ptrIlEESB_jNS0_19identity_decomposerENS1_16block_id_wrapperIjLb1EEEEE10hipError_tT1_PNSt15iterator_traitsISG_E10value_typeET2_T3_PNSH_ISM_E10value_typeET4_T5_PSR_SS_PNS1_23onesweep_lookback_stateEbbT6_jjT7_P12ihipStream_tbENKUlT_T0_SG_SL_E_clIS7_S7_SB_SB_EEDaSZ_S10_SG_SL_EUlSZ_E_NS1_11comp_targetILNS1_3genE10ELNS1_11target_archE1201ELNS1_3gpuE5ELNS1_3repE0EEENS1_47radix_sort_onesweep_sort_config_static_selectorELNS0_4arch9wavefront6targetE1EEEvSG_,@function
_ZN7rocprim17ROCPRIM_400000_NS6detail17trampoline_kernelINS0_14default_configENS1_35radix_sort_onesweep_config_selectorIflEEZZNS1_29radix_sort_onesweep_iterationIS3_Lb0EPfS7_N6thrust23THRUST_200600_302600_NS10device_ptrIlEESB_jNS0_19identity_decomposerENS1_16block_id_wrapperIjLb1EEEEE10hipError_tT1_PNSt15iterator_traitsISG_E10value_typeET2_T3_PNSH_ISM_E10value_typeET4_T5_PSR_SS_PNS1_23onesweep_lookback_stateEbbT6_jjT7_P12ihipStream_tbENKUlT_T0_SG_SL_E_clIS7_S7_SB_SB_EEDaSZ_S10_SG_SL_EUlSZ_E_NS1_11comp_targetILNS1_3genE10ELNS1_11target_archE1201ELNS1_3gpuE5ELNS1_3repE0EEENS1_47radix_sort_onesweep_sort_config_static_selectorELNS0_4arch9wavefront6targetE1EEEvSG_: ; @_ZN7rocprim17ROCPRIM_400000_NS6detail17trampoline_kernelINS0_14default_configENS1_35radix_sort_onesweep_config_selectorIflEEZZNS1_29radix_sort_onesweep_iterationIS3_Lb0EPfS7_N6thrust23THRUST_200600_302600_NS10device_ptrIlEESB_jNS0_19identity_decomposerENS1_16block_id_wrapperIjLb1EEEEE10hipError_tT1_PNSt15iterator_traitsISG_E10value_typeET2_T3_PNSH_ISM_E10value_typeET4_T5_PSR_SS_PNS1_23onesweep_lookback_stateEbbT6_jjT7_P12ihipStream_tbENKUlT_T0_SG_SL_E_clIS7_S7_SB_SB_EEDaSZ_S10_SG_SL_EUlSZ_E_NS1_11comp_targetILNS1_3genE10ELNS1_11target_archE1201ELNS1_3gpuE5ELNS1_3repE0EEENS1_47radix_sort_onesweep_sort_config_static_selectorELNS0_4arch9wavefront6targetE1EEEvSG_
; %bb.0:
	.section	.rodata,"a",@progbits
	.p2align	6, 0x0
	.amdhsa_kernel _ZN7rocprim17ROCPRIM_400000_NS6detail17trampoline_kernelINS0_14default_configENS1_35radix_sort_onesweep_config_selectorIflEEZZNS1_29radix_sort_onesweep_iterationIS3_Lb0EPfS7_N6thrust23THRUST_200600_302600_NS10device_ptrIlEESB_jNS0_19identity_decomposerENS1_16block_id_wrapperIjLb1EEEEE10hipError_tT1_PNSt15iterator_traitsISG_E10value_typeET2_T3_PNSH_ISM_E10value_typeET4_T5_PSR_SS_PNS1_23onesweep_lookback_stateEbbT6_jjT7_P12ihipStream_tbENKUlT_T0_SG_SL_E_clIS7_S7_SB_SB_EEDaSZ_S10_SG_SL_EUlSZ_E_NS1_11comp_targetILNS1_3genE10ELNS1_11target_archE1201ELNS1_3gpuE5ELNS1_3repE0EEENS1_47radix_sort_onesweep_sort_config_static_selectorELNS0_4arch9wavefront6targetE1EEEvSG_
		.amdhsa_group_segment_fixed_size 0
		.amdhsa_private_segment_fixed_size 0
		.amdhsa_kernarg_size 88
		.amdhsa_user_sgpr_count 6
		.amdhsa_user_sgpr_private_segment_buffer 1
		.amdhsa_user_sgpr_dispatch_ptr 0
		.amdhsa_user_sgpr_queue_ptr 0
		.amdhsa_user_sgpr_kernarg_segment_ptr 1
		.amdhsa_user_sgpr_dispatch_id 0
		.amdhsa_user_sgpr_flat_scratch_init 0
		.amdhsa_user_sgpr_private_segment_size 0
		.amdhsa_uses_dynamic_stack 0
		.amdhsa_system_sgpr_private_segment_wavefront_offset 0
		.amdhsa_system_sgpr_workgroup_id_x 1
		.amdhsa_system_sgpr_workgroup_id_y 0
		.amdhsa_system_sgpr_workgroup_id_z 0
		.amdhsa_system_sgpr_workgroup_info 0
		.amdhsa_system_vgpr_workitem_id 0
		.amdhsa_next_free_vgpr 1
		.amdhsa_next_free_sgpr 0
		.amdhsa_reserve_vcc 0
		.amdhsa_reserve_flat_scratch 0
		.amdhsa_float_round_mode_32 0
		.amdhsa_float_round_mode_16_64 0
		.amdhsa_float_denorm_mode_32 3
		.amdhsa_float_denorm_mode_16_64 3
		.amdhsa_dx10_clamp 1
		.amdhsa_ieee_mode 1
		.amdhsa_fp16_overflow 0
		.amdhsa_exception_fp_ieee_invalid_op 0
		.amdhsa_exception_fp_denorm_src 0
		.amdhsa_exception_fp_ieee_div_zero 0
		.amdhsa_exception_fp_ieee_overflow 0
		.amdhsa_exception_fp_ieee_underflow 0
		.amdhsa_exception_fp_ieee_inexact 0
		.amdhsa_exception_int_div_zero 0
	.end_amdhsa_kernel
	.section	.text._ZN7rocprim17ROCPRIM_400000_NS6detail17trampoline_kernelINS0_14default_configENS1_35radix_sort_onesweep_config_selectorIflEEZZNS1_29radix_sort_onesweep_iterationIS3_Lb0EPfS7_N6thrust23THRUST_200600_302600_NS10device_ptrIlEESB_jNS0_19identity_decomposerENS1_16block_id_wrapperIjLb1EEEEE10hipError_tT1_PNSt15iterator_traitsISG_E10value_typeET2_T3_PNSH_ISM_E10value_typeET4_T5_PSR_SS_PNS1_23onesweep_lookback_stateEbbT6_jjT7_P12ihipStream_tbENKUlT_T0_SG_SL_E_clIS7_S7_SB_SB_EEDaSZ_S10_SG_SL_EUlSZ_E_NS1_11comp_targetILNS1_3genE10ELNS1_11target_archE1201ELNS1_3gpuE5ELNS1_3repE0EEENS1_47radix_sort_onesweep_sort_config_static_selectorELNS0_4arch9wavefront6targetE1EEEvSG_,"axG",@progbits,_ZN7rocprim17ROCPRIM_400000_NS6detail17trampoline_kernelINS0_14default_configENS1_35radix_sort_onesweep_config_selectorIflEEZZNS1_29radix_sort_onesweep_iterationIS3_Lb0EPfS7_N6thrust23THRUST_200600_302600_NS10device_ptrIlEESB_jNS0_19identity_decomposerENS1_16block_id_wrapperIjLb1EEEEE10hipError_tT1_PNSt15iterator_traitsISG_E10value_typeET2_T3_PNSH_ISM_E10value_typeET4_T5_PSR_SS_PNS1_23onesweep_lookback_stateEbbT6_jjT7_P12ihipStream_tbENKUlT_T0_SG_SL_E_clIS7_S7_SB_SB_EEDaSZ_S10_SG_SL_EUlSZ_E_NS1_11comp_targetILNS1_3genE10ELNS1_11target_archE1201ELNS1_3gpuE5ELNS1_3repE0EEENS1_47radix_sort_onesweep_sort_config_static_selectorELNS0_4arch9wavefront6targetE1EEEvSG_,comdat
.Lfunc_end1840:
	.size	_ZN7rocprim17ROCPRIM_400000_NS6detail17trampoline_kernelINS0_14default_configENS1_35radix_sort_onesweep_config_selectorIflEEZZNS1_29radix_sort_onesweep_iterationIS3_Lb0EPfS7_N6thrust23THRUST_200600_302600_NS10device_ptrIlEESB_jNS0_19identity_decomposerENS1_16block_id_wrapperIjLb1EEEEE10hipError_tT1_PNSt15iterator_traitsISG_E10value_typeET2_T3_PNSH_ISM_E10value_typeET4_T5_PSR_SS_PNS1_23onesweep_lookback_stateEbbT6_jjT7_P12ihipStream_tbENKUlT_T0_SG_SL_E_clIS7_S7_SB_SB_EEDaSZ_S10_SG_SL_EUlSZ_E_NS1_11comp_targetILNS1_3genE10ELNS1_11target_archE1201ELNS1_3gpuE5ELNS1_3repE0EEENS1_47radix_sort_onesweep_sort_config_static_selectorELNS0_4arch9wavefront6targetE1EEEvSG_, .Lfunc_end1840-_ZN7rocprim17ROCPRIM_400000_NS6detail17trampoline_kernelINS0_14default_configENS1_35radix_sort_onesweep_config_selectorIflEEZZNS1_29radix_sort_onesweep_iterationIS3_Lb0EPfS7_N6thrust23THRUST_200600_302600_NS10device_ptrIlEESB_jNS0_19identity_decomposerENS1_16block_id_wrapperIjLb1EEEEE10hipError_tT1_PNSt15iterator_traitsISG_E10value_typeET2_T3_PNSH_ISM_E10value_typeET4_T5_PSR_SS_PNS1_23onesweep_lookback_stateEbbT6_jjT7_P12ihipStream_tbENKUlT_T0_SG_SL_E_clIS7_S7_SB_SB_EEDaSZ_S10_SG_SL_EUlSZ_E_NS1_11comp_targetILNS1_3genE10ELNS1_11target_archE1201ELNS1_3gpuE5ELNS1_3repE0EEENS1_47radix_sort_onesweep_sort_config_static_selectorELNS0_4arch9wavefront6targetE1EEEvSG_
                                        ; -- End function
	.set _ZN7rocprim17ROCPRIM_400000_NS6detail17trampoline_kernelINS0_14default_configENS1_35radix_sort_onesweep_config_selectorIflEEZZNS1_29radix_sort_onesweep_iterationIS3_Lb0EPfS7_N6thrust23THRUST_200600_302600_NS10device_ptrIlEESB_jNS0_19identity_decomposerENS1_16block_id_wrapperIjLb1EEEEE10hipError_tT1_PNSt15iterator_traitsISG_E10value_typeET2_T3_PNSH_ISM_E10value_typeET4_T5_PSR_SS_PNS1_23onesweep_lookback_stateEbbT6_jjT7_P12ihipStream_tbENKUlT_T0_SG_SL_E_clIS7_S7_SB_SB_EEDaSZ_S10_SG_SL_EUlSZ_E_NS1_11comp_targetILNS1_3genE10ELNS1_11target_archE1201ELNS1_3gpuE5ELNS1_3repE0EEENS1_47radix_sort_onesweep_sort_config_static_selectorELNS0_4arch9wavefront6targetE1EEEvSG_.num_vgpr, 0
	.set _ZN7rocprim17ROCPRIM_400000_NS6detail17trampoline_kernelINS0_14default_configENS1_35radix_sort_onesweep_config_selectorIflEEZZNS1_29radix_sort_onesweep_iterationIS3_Lb0EPfS7_N6thrust23THRUST_200600_302600_NS10device_ptrIlEESB_jNS0_19identity_decomposerENS1_16block_id_wrapperIjLb1EEEEE10hipError_tT1_PNSt15iterator_traitsISG_E10value_typeET2_T3_PNSH_ISM_E10value_typeET4_T5_PSR_SS_PNS1_23onesweep_lookback_stateEbbT6_jjT7_P12ihipStream_tbENKUlT_T0_SG_SL_E_clIS7_S7_SB_SB_EEDaSZ_S10_SG_SL_EUlSZ_E_NS1_11comp_targetILNS1_3genE10ELNS1_11target_archE1201ELNS1_3gpuE5ELNS1_3repE0EEENS1_47radix_sort_onesweep_sort_config_static_selectorELNS0_4arch9wavefront6targetE1EEEvSG_.num_agpr, 0
	.set _ZN7rocprim17ROCPRIM_400000_NS6detail17trampoline_kernelINS0_14default_configENS1_35radix_sort_onesweep_config_selectorIflEEZZNS1_29radix_sort_onesweep_iterationIS3_Lb0EPfS7_N6thrust23THRUST_200600_302600_NS10device_ptrIlEESB_jNS0_19identity_decomposerENS1_16block_id_wrapperIjLb1EEEEE10hipError_tT1_PNSt15iterator_traitsISG_E10value_typeET2_T3_PNSH_ISM_E10value_typeET4_T5_PSR_SS_PNS1_23onesweep_lookback_stateEbbT6_jjT7_P12ihipStream_tbENKUlT_T0_SG_SL_E_clIS7_S7_SB_SB_EEDaSZ_S10_SG_SL_EUlSZ_E_NS1_11comp_targetILNS1_3genE10ELNS1_11target_archE1201ELNS1_3gpuE5ELNS1_3repE0EEENS1_47radix_sort_onesweep_sort_config_static_selectorELNS0_4arch9wavefront6targetE1EEEvSG_.numbered_sgpr, 0
	.set _ZN7rocprim17ROCPRIM_400000_NS6detail17trampoline_kernelINS0_14default_configENS1_35radix_sort_onesweep_config_selectorIflEEZZNS1_29radix_sort_onesweep_iterationIS3_Lb0EPfS7_N6thrust23THRUST_200600_302600_NS10device_ptrIlEESB_jNS0_19identity_decomposerENS1_16block_id_wrapperIjLb1EEEEE10hipError_tT1_PNSt15iterator_traitsISG_E10value_typeET2_T3_PNSH_ISM_E10value_typeET4_T5_PSR_SS_PNS1_23onesweep_lookback_stateEbbT6_jjT7_P12ihipStream_tbENKUlT_T0_SG_SL_E_clIS7_S7_SB_SB_EEDaSZ_S10_SG_SL_EUlSZ_E_NS1_11comp_targetILNS1_3genE10ELNS1_11target_archE1201ELNS1_3gpuE5ELNS1_3repE0EEENS1_47radix_sort_onesweep_sort_config_static_selectorELNS0_4arch9wavefront6targetE1EEEvSG_.num_named_barrier, 0
	.set _ZN7rocprim17ROCPRIM_400000_NS6detail17trampoline_kernelINS0_14default_configENS1_35radix_sort_onesweep_config_selectorIflEEZZNS1_29radix_sort_onesweep_iterationIS3_Lb0EPfS7_N6thrust23THRUST_200600_302600_NS10device_ptrIlEESB_jNS0_19identity_decomposerENS1_16block_id_wrapperIjLb1EEEEE10hipError_tT1_PNSt15iterator_traitsISG_E10value_typeET2_T3_PNSH_ISM_E10value_typeET4_T5_PSR_SS_PNS1_23onesweep_lookback_stateEbbT6_jjT7_P12ihipStream_tbENKUlT_T0_SG_SL_E_clIS7_S7_SB_SB_EEDaSZ_S10_SG_SL_EUlSZ_E_NS1_11comp_targetILNS1_3genE10ELNS1_11target_archE1201ELNS1_3gpuE5ELNS1_3repE0EEENS1_47radix_sort_onesweep_sort_config_static_selectorELNS0_4arch9wavefront6targetE1EEEvSG_.private_seg_size, 0
	.set _ZN7rocprim17ROCPRIM_400000_NS6detail17trampoline_kernelINS0_14default_configENS1_35radix_sort_onesweep_config_selectorIflEEZZNS1_29radix_sort_onesweep_iterationIS3_Lb0EPfS7_N6thrust23THRUST_200600_302600_NS10device_ptrIlEESB_jNS0_19identity_decomposerENS1_16block_id_wrapperIjLb1EEEEE10hipError_tT1_PNSt15iterator_traitsISG_E10value_typeET2_T3_PNSH_ISM_E10value_typeET4_T5_PSR_SS_PNS1_23onesweep_lookback_stateEbbT6_jjT7_P12ihipStream_tbENKUlT_T0_SG_SL_E_clIS7_S7_SB_SB_EEDaSZ_S10_SG_SL_EUlSZ_E_NS1_11comp_targetILNS1_3genE10ELNS1_11target_archE1201ELNS1_3gpuE5ELNS1_3repE0EEENS1_47radix_sort_onesweep_sort_config_static_selectorELNS0_4arch9wavefront6targetE1EEEvSG_.uses_vcc, 0
	.set _ZN7rocprim17ROCPRIM_400000_NS6detail17trampoline_kernelINS0_14default_configENS1_35radix_sort_onesweep_config_selectorIflEEZZNS1_29radix_sort_onesweep_iterationIS3_Lb0EPfS7_N6thrust23THRUST_200600_302600_NS10device_ptrIlEESB_jNS0_19identity_decomposerENS1_16block_id_wrapperIjLb1EEEEE10hipError_tT1_PNSt15iterator_traitsISG_E10value_typeET2_T3_PNSH_ISM_E10value_typeET4_T5_PSR_SS_PNS1_23onesweep_lookback_stateEbbT6_jjT7_P12ihipStream_tbENKUlT_T0_SG_SL_E_clIS7_S7_SB_SB_EEDaSZ_S10_SG_SL_EUlSZ_E_NS1_11comp_targetILNS1_3genE10ELNS1_11target_archE1201ELNS1_3gpuE5ELNS1_3repE0EEENS1_47radix_sort_onesweep_sort_config_static_selectorELNS0_4arch9wavefront6targetE1EEEvSG_.uses_flat_scratch, 0
	.set _ZN7rocprim17ROCPRIM_400000_NS6detail17trampoline_kernelINS0_14default_configENS1_35radix_sort_onesweep_config_selectorIflEEZZNS1_29radix_sort_onesweep_iterationIS3_Lb0EPfS7_N6thrust23THRUST_200600_302600_NS10device_ptrIlEESB_jNS0_19identity_decomposerENS1_16block_id_wrapperIjLb1EEEEE10hipError_tT1_PNSt15iterator_traitsISG_E10value_typeET2_T3_PNSH_ISM_E10value_typeET4_T5_PSR_SS_PNS1_23onesweep_lookback_stateEbbT6_jjT7_P12ihipStream_tbENKUlT_T0_SG_SL_E_clIS7_S7_SB_SB_EEDaSZ_S10_SG_SL_EUlSZ_E_NS1_11comp_targetILNS1_3genE10ELNS1_11target_archE1201ELNS1_3gpuE5ELNS1_3repE0EEENS1_47radix_sort_onesweep_sort_config_static_selectorELNS0_4arch9wavefront6targetE1EEEvSG_.has_dyn_sized_stack, 0
	.set _ZN7rocprim17ROCPRIM_400000_NS6detail17trampoline_kernelINS0_14default_configENS1_35radix_sort_onesweep_config_selectorIflEEZZNS1_29radix_sort_onesweep_iterationIS3_Lb0EPfS7_N6thrust23THRUST_200600_302600_NS10device_ptrIlEESB_jNS0_19identity_decomposerENS1_16block_id_wrapperIjLb1EEEEE10hipError_tT1_PNSt15iterator_traitsISG_E10value_typeET2_T3_PNSH_ISM_E10value_typeET4_T5_PSR_SS_PNS1_23onesweep_lookback_stateEbbT6_jjT7_P12ihipStream_tbENKUlT_T0_SG_SL_E_clIS7_S7_SB_SB_EEDaSZ_S10_SG_SL_EUlSZ_E_NS1_11comp_targetILNS1_3genE10ELNS1_11target_archE1201ELNS1_3gpuE5ELNS1_3repE0EEENS1_47radix_sort_onesweep_sort_config_static_selectorELNS0_4arch9wavefront6targetE1EEEvSG_.has_recursion, 0
	.set _ZN7rocprim17ROCPRIM_400000_NS6detail17trampoline_kernelINS0_14default_configENS1_35radix_sort_onesweep_config_selectorIflEEZZNS1_29radix_sort_onesweep_iterationIS3_Lb0EPfS7_N6thrust23THRUST_200600_302600_NS10device_ptrIlEESB_jNS0_19identity_decomposerENS1_16block_id_wrapperIjLb1EEEEE10hipError_tT1_PNSt15iterator_traitsISG_E10value_typeET2_T3_PNSH_ISM_E10value_typeET4_T5_PSR_SS_PNS1_23onesweep_lookback_stateEbbT6_jjT7_P12ihipStream_tbENKUlT_T0_SG_SL_E_clIS7_S7_SB_SB_EEDaSZ_S10_SG_SL_EUlSZ_E_NS1_11comp_targetILNS1_3genE10ELNS1_11target_archE1201ELNS1_3gpuE5ELNS1_3repE0EEENS1_47radix_sort_onesweep_sort_config_static_selectorELNS0_4arch9wavefront6targetE1EEEvSG_.has_indirect_call, 0
	.section	.AMDGPU.csdata,"",@progbits
; Kernel info:
; codeLenInByte = 0
; TotalNumSgprs: 4
; NumVgprs: 0
; ScratchSize: 0
; MemoryBound: 0
; FloatMode: 240
; IeeeMode: 1
; LDSByteSize: 0 bytes/workgroup (compile time only)
; SGPRBlocks: 0
; VGPRBlocks: 0
; NumSGPRsForWavesPerEU: 4
; NumVGPRsForWavesPerEU: 1
; Occupancy: 10
; WaveLimiterHint : 0
; COMPUTE_PGM_RSRC2:SCRATCH_EN: 0
; COMPUTE_PGM_RSRC2:USER_SGPR: 6
; COMPUTE_PGM_RSRC2:TRAP_HANDLER: 0
; COMPUTE_PGM_RSRC2:TGID_X_EN: 1
; COMPUTE_PGM_RSRC2:TGID_Y_EN: 0
; COMPUTE_PGM_RSRC2:TGID_Z_EN: 0
; COMPUTE_PGM_RSRC2:TIDIG_COMP_CNT: 0
	.section	.text._ZN7rocprim17ROCPRIM_400000_NS6detail17trampoline_kernelINS0_14default_configENS1_35radix_sort_onesweep_config_selectorIflEEZZNS1_29radix_sort_onesweep_iterationIS3_Lb0EPfS7_N6thrust23THRUST_200600_302600_NS10device_ptrIlEESB_jNS0_19identity_decomposerENS1_16block_id_wrapperIjLb1EEEEE10hipError_tT1_PNSt15iterator_traitsISG_E10value_typeET2_T3_PNSH_ISM_E10value_typeET4_T5_PSR_SS_PNS1_23onesweep_lookback_stateEbbT6_jjT7_P12ihipStream_tbENKUlT_T0_SG_SL_E_clIS7_S7_SB_SB_EEDaSZ_S10_SG_SL_EUlSZ_E_NS1_11comp_targetILNS1_3genE9ELNS1_11target_archE1100ELNS1_3gpuE3ELNS1_3repE0EEENS1_47radix_sort_onesweep_sort_config_static_selectorELNS0_4arch9wavefront6targetE1EEEvSG_,"axG",@progbits,_ZN7rocprim17ROCPRIM_400000_NS6detail17trampoline_kernelINS0_14default_configENS1_35radix_sort_onesweep_config_selectorIflEEZZNS1_29radix_sort_onesweep_iterationIS3_Lb0EPfS7_N6thrust23THRUST_200600_302600_NS10device_ptrIlEESB_jNS0_19identity_decomposerENS1_16block_id_wrapperIjLb1EEEEE10hipError_tT1_PNSt15iterator_traitsISG_E10value_typeET2_T3_PNSH_ISM_E10value_typeET4_T5_PSR_SS_PNS1_23onesweep_lookback_stateEbbT6_jjT7_P12ihipStream_tbENKUlT_T0_SG_SL_E_clIS7_S7_SB_SB_EEDaSZ_S10_SG_SL_EUlSZ_E_NS1_11comp_targetILNS1_3genE9ELNS1_11target_archE1100ELNS1_3gpuE3ELNS1_3repE0EEENS1_47radix_sort_onesweep_sort_config_static_selectorELNS0_4arch9wavefront6targetE1EEEvSG_,comdat
	.protected	_ZN7rocprim17ROCPRIM_400000_NS6detail17trampoline_kernelINS0_14default_configENS1_35radix_sort_onesweep_config_selectorIflEEZZNS1_29radix_sort_onesweep_iterationIS3_Lb0EPfS7_N6thrust23THRUST_200600_302600_NS10device_ptrIlEESB_jNS0_19identity_decomposerENS1_16block_id_wrapperIjLb1EEEEE10hipError_tT1_PNSt15iterator_traitsISG_E10value_typeET2_T3_PNSH_ISM_E10value_typeET4_T5_PSR_SS_PNS1_23onesweep_lookback_stateEbbT6_jjT7_P12ihipStream_tbENKUlT_T0_SG_SL_E_clIS7_S7_SB_SB_EEDaSZ_S10_SG_SL_EUlSZ_E_NS1_11comp_targetILNS1_3genE9ELNS1_11target_archE1100ELNS1_3gpuE3ELNS1_3repE0EEENS1_47radix_sort_onesweep_sort_config_static_selectorELNS0_4arch9wavefront6targetE1EEEvSG_ ; -- Begin function _ZN7rocprim17ROCPRIM_400000_NS6detail17trampoline_kernelINS0_14default_configENS1_35radix_sort_onesweep_config_selectorIflEEZZNS1_29radix_sort_onesweep_iterationIS3_Lb0EPfS7_N6thrust23THRUST_200600_302600_NS10device_ptrIlEESB_jNS0_19identity_decomposerENS1_16block_id_wrapperIjLb1EEEEE10hipError_tT1_PNSt15iterator_traitsISG_E10value_typeET2_T3_PNSH_ISM_E10value_typeET4_T5_PSR_SS_PNS1_23onesweep_lookback_stateEbbT6_jjT7_P12ihipStream_tbENKUlT_T0_SG_SL_E_clIS7_S7_SB_SB_EEDaSZ_S10_SG_SL_EUlSZ_E_NS1_11comp_targetILNS1_3genE9ELNS1_11target_archE1100ELNS1_3gpuE3ELNS1_3repE0EEENS1_47radix_sort_onesweep_sort_config_static_selectorELNS0_4arch9wavefront6targetE1EEEvSG_
	.globl	_ZN7rocprim17ROCPRIM_400000_NS6detail17trampoline_kernelINS0_14default_configENS1_35radix_sort_onesweep_config_selectorIflEEZZNS1_29radix_sort_onesweep_iterationIS3_Lb0EPfS7_N6thrust23THRUST_200600_302600_NS10device_ptrIlEESB_jNS0_19identity_decomposerENS1_16block_id_wrapperIjLb1EEEEE10hipError_tT1_PNSt15iterator_traitsISG_E10value_typeET2_T3_PNSH_ISM_E10value_typeET4_T5_PSR_SS_PNS1_23onesweep_lookback_stateEbbT6_jjT7_P12ihipStream_tbENKUlT_T0_SG_SL_E_clIS7_S7_SB_SB_EEDaSZ_S10_SG_SL_EUlSZ_E_NS1_11comp_targetILNS1_3genE9ELNS1_11target_archE1100ELNS1_3gpuE3ELNS1_3repE0EEENS1_47radix_sort_onesweep_sort_config_static_selectorELNS0_4arch9wavefront6targetE1EEEvSG_
	.p2align	8
	.type	_ZN7rocprim17ROCPRIM_400000_NS6detail17trampoline_kernelINS0_14default_configENS1_35radix_sort_onesweep_config_selectorIflEEZZNS1_29radix_sort_onesweep_iterationIS3_Lb0EPfS7_N6thrust23THRUST_200600_302600_NS10device_ptrIlEESB_jNS0_19identity_decomposerENS1_16block_id_wrapperIjLb1EEEEE10hipError_tT1_PNSt15iterator_traitsISG_E10value_typeET2_T3_PNSH_ISM_E10value_typeET4_T5_PSR_SS_PNS1_23onesweep_lookback_stateEbbT6_jjT7_P12ihipStream_tbENKUlT_T0_SG_SL_E_clIS7_S7_SB_SB_EEDaSZ_S10_SG_SL_EUlSZ_E_NS1_11comp_targetILNS1_3genE9ELNS1_11target_archE1100ELNS1_3gpuE3ELNS1_3repE0EEENS1_47radix_sort_onesweep_sort_config_static_selectorELNS0_4arch9wavefront6targetE1EEEvSG_,@function
_ZN7rocprim17ROCPRIM_400000_NS6detail17trampoline_kernelINS0_14default_configENS1_35radix_sort_onesweep_config_selectorIflEEZZNS1_29radix_sort_onesweep_iterationIS3_Lb0EPfS7_N6thrust23THRUST_200600_302600_NS10device_ptrIlEESB_jNS0_19identity_decomposerENS1_16block_id_wrapperIjLb1EEEEE10hipError_tT1_PNSt15iterator_traitsISG_E10value_typeET2_T3_PNSH_ISM_E10value_typeET4_T5_PSR_SS_PNS1_23onesweep_lookback_stateEbbT6_jjT7_P12ihipStream_tbENKUlT_T0_SG_SL_E_clIS7_S7_SB_SB_EEDaSZ_S10_SG_SL_EUlSZ_E_NS1_11comp_targetILNS1_3genE9ELNS1_11target_archE1100ELNS1_3gpuE3ELNS1_3repE0EEENS1_47radix_sort_onesweep_sort_config_static_selectorELNS0_4arch9wavefront6targetE1EEEvSG_: ; @_ZN7rocprim17ROCPRIM_400000_NS6detail17trampoline_kernelINS0_14default_configENS1_35radix_sort_onesweep_config_selectorIflEEZZNS1_29radix_sort_onesweep_iterationIS3_Lb0EPfS7_N6thrust23THRUST_200600_302600_NS10device_ptrIlEESB_jNS0_19identity_decomposerENS1_16block_id_wrapperIjLb1EEEEE10hipError_tT1_PNSt15iterator_traitsISG_E10value_typeET2_T3_PNSH_ISM_E10value_typeET4_T5_PSR_SS_PNS1_23onesweep_lookback_stateEbbT6_jjT7_P12ihipStream_tbENKUlT_T0_SG_SL_E_clIS7_S7_SB_SB_EEDaSZ_S10_SG_SL_EUlSZ_E_NS1_11comp_targetILNS1_3genE9ELNS1_11target_archE1100ELNS1_3gpuE3ELNS1_3repE0EEENS1_47radix_sort_onesweep_sort_config_static_selectorELNS0_4arch9wavefront6targetE1EEEvSG_
; %bb.0:
	.section	.rodata,"a",@progbits
	.p2align	6, 0x0
	.amdhsa_kernel _ZN7rocprim17ROCPRIM_400000_NS6detail17trampoline_kernelINS0_14default_configENS1_35radix_sort_onesweep_config_selectorIflEEZZNS1_29radix_sort_onesweep_iterationIS3_Lb0EPfS7_N6thrust23THRUST_200600_302600_NS10device_ptrIlEESB_jNS0_19identity_decomposerENS1_16block_id_wrapperIjLb1EEEEE10hipError_tT1_PNSt15iterator_traitsISG_E10value_typeET2_T3_PNSH_ISM_E10value_typeET4_T5_PSR_SS_PNS1_23onesweep_lookback_stateEbbT6_jjT7_P12ihipStream_tbENKUlT_T0_SG_SL_E_clIS7_S7_SB_SB_EEDaSZ_S10_SG_SL_EUlSZ_E_NS1_11comp_targetILNS1_3genE9ELNS1_11target_archE1100ELNS1_3gpuE3ELNS1_3repE0EEENS1_47radix_sort_onesweep_sort_config_static_selectorELNS0_4arch9wavefront6targetE1EEEvSG_
		.amdhsa_group_segment_fixed_size 0
		.amdhsa_private_segment_fixed_size 0
		.amdhsa_kernarg_size 88
		.amdhsa_user_sgpr_count 6
		.amdhsa_user_sgpr_private_segment_buffer 1
		.amdhsa_user_sgpr_dispatch_ptr 0
		.amdhsa_user_sgpr_queue_ptr 0
		.amdhsa_user_sgpr_kernarg_segment_ptr 1
		.amdhsa_user_sgpr_dispatch_id 0
		.amdhsa_user_sgpr_flat_scratch_init 0
		.amdhsa_user_sgpr_private_segment_size 0
		.amdhsa_uses_dynamic_stack 0
		.amdhsa_system_sgpr_private_segment_wavefront_offset 0
		.amdhsa_system_sgpr_workgroup_id_x 1
		.amdhsa_system_sgpr_workgroup_id_y 0
		.amdhsa_system_sgpr_workgroup_id_z 0
		.amdhsa_system_sgpr_workgroup_info 0
		.amdhsa_system_vgpr_workitem_id 0
		.amdhsa_next_free_vgpr 1
		.amdhsa_next_free_sgpr 0
		.amdhsa_reserve_vcc 0
		.amdhsa_reserve_flat_scratch 0
		.amdhsa_float_round_mode_32 0
		.amdhsa_float_round_mode_16_64 0
		.amdhsa_float_denorm_mode_32 3
		.amdhsa_float_denorm_mode_16_64 3
		.amdhsa_dx10_clamp 1
		.amdhsa_ieee_mode 1
		.amdhsa_fp16_overflow 0
		.amdhsa_exception_fp_ieee_invalid_op 0
		.amdhsa_exception_fp_denorm_src 0
		.amdhsa_exception_fp_ieee_div_zero 0
		.amdhsa_exception_fp_ieee_overflow 0
		.amdhsa_exception_fp_ieee_underflow 0
		.amdhsa_exception_fp_ieee_inexact 0
		.amdhsa_exception_int_div_zero 0
	.end_amdhsa_kernel
	.section	.text._ZN7rocprim17ROCPRIM_400000_NS6detail17trampoline_kernelINS0_14default_configENS1_35radix_sort_onesweep_config_selectorIflEEZZNS1_29radix_sort_onesweep_iterationIS3_Lb0EPfS7_N6thrust23THRUST_200600_302600_NS10device_ptrIlEESB_jNS0_19identity_decomposerENS1_16block_id_wrapperIjLb1EEEEE10hipError_tT1_PNSt15iterator_traitsISG_E10value_typeET2_T3_PNSH_ISM_E10value_typeET4_T5_PSR_SS_PNS1_23onesweep_lookback_stateEbbT6_jjT7_P12ihipStream_tbENKUlT_T0_SG_SL_E_clIS7_S7_SB_SB_EEDaSZ_S10_SG_SL_EUlSZ_E_NS1_11comp_targetILNS1_3genE9ELNS1_11target_archE1100ELNS1_3gpuE3ELNS1_3repE0EEENS1_47radix_sort_onesweep_sort_config_static_selectorELNS0_4arch9wavefront6targetE1EEEvSG_,"axG",@progbits,_ZN7rocprim17ROCPRIM_400000_NS6detail17trampoline_kernelINS0_14default_configENS1_35radix_sort_onesweep_config_selectorIflEEZZNS1_29radix_sort_onesweep_iterationIS3_Lb0EPfS7_N6thrust23THRUST_200600_302600_NS10device_ptrIlEESB_jNS0_19identity_decomposerENS1_16block_id_wrapperIjLb1EEEEE10hipError_tT1_PNSt15iterator_traitsISG_E10value_typeET2_T3_PNSH_ISM_E10value_typeET4_T5_PSR_SS_PNS1_23onesweep_lookback_stateEbbT6_jjT7_P12ihipStream_tbENKUlT_T0_SG_SL_E_clIS7_S7_SB_SB_EEDaSZ_S10_SG_SL_EUlSZ_E_NS1_11comp_targetILNS1_3genE9ELNS1_11target_archE1100ELNS1_3gpuE3ELNS1_3repE0EEENS1_47radix_sort_onesweep_sort_config_static_selectorELNS0_4arch9wavefront6targetE1EEEvSG_,comdat
.Lfunc_end1841:
	.size	_ZN7rocprim17ROCPRIM_400000_NS6detail17trampoline_kernelINS0_14default_configENS1_35radix_sort_onesweep_config_selectorIflEEZZNS1_29radix_sort_onesweep_iterationIS3_Lb0EPfS7_N6thrust23THRUST_200600_302600_NS10device_ptrIlEESB_jNS0_19identity_decomposerENS1_16block_id_wrapperIjLb1EEEEE10hipError_tT1_PNSt15iterator_traitsISG_E10value_typeET2_T3_PNSH_ISM_E10value_typeET4_T5_PSR_SS_PNS1_23onesweep_lookback_stateEbbT6_jjT7_P12ihipStream_tbENKUlT_T0_SG_SL_E_clIS7_S7_SB_SB_EEDaSZ_S10_SG_SL_EUlSZ_E_NS1_11comp_targetILNS1_3genE9ELNS1_11target_archE1100ELNS1_3gpuE3ELNS1_3repE0EEENS1_47radix_sort_onesweep_sort_config_static_selectorELNS0_4arch9wavefront6targetE1EEEvSG_, .Lfunc_end1841-_ZN7rocprim17ROCPRIM_400000_NS6detail17trampoline_kernelINS0_14default_configENS1_35radix_sort_onesweep_config_selectorIflEEZZNS1_29radix_sort_onesweep_iterationIS3_Lb0EPfS7_N6thrust23THRUST_200600_302600_NS10device_ptrIlEESB_jNS0_19identity_decomposerENS1_16block_id_wrapperIjLb1EEEEE10hipError_tT1_PNSt15iterator_traitsISG_E10value_typeET2_T3_PNSH_ISM_E10value_typeET4_T5_PSR_SS_PNS1_23onesweep_lookback_stateEbbT6_jjT7_P12ihipStream_tbENKUlT_T0_SG_SL_E_clIS7_S7_SB_SB_EEDaSZ_S10_SG_SL_EUlSZ_E_NS1_11comp_targetILNS1_3genE9ELNS1_11target_archE1100ELNS1_3gpuE3ELNS1_3repE0EEENS1_47radix_sort_onesweep_sort_config_static_selectorELNS0_4arch9wavefront6targetE1EEEvSG_
                                        ; -- End function
	.set _ZN7rocprim17ROCPRIM_400000_NS6detail17trampoline_kernelINS0_14default_configENS1_35radix_sort_onesweep_config_selectorIflEEZZNS1_29radix_sort_onesweep_iterationIS3_Lb0EPfS7_N6thrust23THRUST_200600_302600_NS10device_ptrIlEESB_jNS0_19identity_decomposerENS1_16block_id_wrapperIjLb1EEEEE10hipError_tT1_PNSt15iterator_traitsISG_E10value_typeET2_T3_PNSH_ISM_E10value_typeET4_T5_PSR_SS_PNS1_23onesweep_lookback_stateEbbT6_jjT7_P12ihipStream_tbENKUlT_T0_SG_SL_E_clIS7_S7_SB_SB_EEDaSZ_S10_SG_SL_EUlSZ_E_NS1_11comp_targetILNS1_3genE9ELNS1_11target_archE1100ELNS1_3gpuE3ELNS1_3repE0EEENS1_47radix_sort_onesweep_sort_config_static_selectorELNS0_4arch9wavefront6targetE1EEEvSG_.num_vgpr, 0
	.set _ZN7rocprim17ROCPRIM_400000_NS6detail17trampoline_kernelINS0_14default_configENS1_35radix_sort_onesweep_config_selectorIflEEZZNS1_29radix_sort_onesweep_iterationIS3_Lb0EPfS7_N6thrust23THRUST_200600_302600_NS10device_ptrIlEESB_jNS0_19identity_decomposerENS1_16block_id_wrapperIjLb1EEEEE10hipError_tT1_PNSt15iterator_traitsISG_E10value_typeET2_T3_PNSH_ISM_E10value_typeET4_T5_PSR_SS_PNS1_23onesweep_lookback_stateEbbT6_jjT7_P12ihipStream_tbENKUlT_T0_SG_SL_E_clIS7_S7_SB_SB_EEDaSZ_S10_SG_SL_EUlSZ_E_NS1_11comp_targetILNS1_3genE9ELNS1_11target_archE1100ELNS1_3gpuE3ELNS1_3repE0EEENS1_47radix_sort_onesweep_sort_config_static_selectorELNS0_4arch9wavefront6targetE1EEEvSG_.num_agpr, 0
	.set _ZN7rocprim17ROCPRIM_400000_NS6detail17trampoline_kernelINS0_14default_configENS1_35radix_sort_onesweep_config_selectorIflEEZZNS1_29radix_sort_onesweep_iterationIS3_Lb0EPfS7_N6thrust23THRUST_200600_302600_NS10device_ptrIlEESB_jNS0_19identity_decomposerENS1_16block_id_wrapperIjLb1EEEEE10hipError_tT1_PNSt15iterator_traitsISG_E10value_typeET2_T3_PNSH_ISM_E10value_typeET4_T5_PSR_SS_PNS1_23onesweep_lookback_stateEbbT6_jjT7_P12ihipStream_tbENKUlT_T0_SG_SL_E_clIS7_S7_SB_SB_EEDaSZ_S10_SG_SL_EUlSZ_E_NS1_11comp_targetILNS1_3genE9ELNS1_11target_archE1100ELNS1_3gpuE3ELNS1_3repE0EEENS1_47radix_sort_onesweep_sort_config_static_selectorELNS0_4arch9wavefront6targetE1EEEvSG_.numbered_sgpr, 0
	.set _ZN7rocprim17ROCPRIM_400000_NS6detail17trampoline_kernelINS0_14default_configENS1_35radix_sort_onesweep_config_selectorIflEEZZNS1_29radix_sort_onesweep_iterationIS3_Lb0EPfS7_N6thrust23THRUST_200600_302600_NS10device_ptrIlEESB_jNS0_19identity_decomposerENS1_16block_id_wrapperIjLb1EEEEE10hipError_tT1_PNSt15iterator_traitsISG_E10value_typeET2_T3_PNSH_ISM_E10value_typeET4_T5_PSR_SS_PNS1_23onesweep_lookback_stateEbbT6_jjT7_P12ihipStream_tbENKUlT_T0_SG_SL_E_clIS7_S7_SB_SB_EEDaSZ_S10_SG_SL_EUlSZ_E_NS1_11comp_targetILNS1_3genE9ELNS1_11target_archE1100ELNS1_3gpuE3ELNS1_3repE0EEENS1_47radix_sort_onesweep_sort_config_static_selectorELNS0_4arch9wavefront6targetE1EEEvSG_.num_named_barrier, 0
	.set _ZN7rocprim17ROCPRIM_400000_NS6detail17trampoline_kernelINS0_14default_configENS1_35radix_sort_onesweep_config_selectorIflEEZZNS1_29radix_sort_onesweep_iterationIS3_Lb0EPfS7_N6thrust23THRUST_200600_302600_NS10device_ptrIlEESB_jNS0_19identity_decomposerENS1_16block_id_wrapperIjLb1EEEEE10hipError_tT1_PNSt15iterator_traitsISG_E10value_typeET2_T3_PNSH_ISM_E10value_typeET4_T5_PSR_SS_PNS1_23onesweep_lookback_stateEbbT6_jjT7_P12ihipStream_tbENKUlT_T0_SG_SL_E_clIS7_S7_SB_SB_EEDaSZ_S10_SG_SL_EUlSZ_E_NS1_11comp_targetILNS1_3genE9ELNS1_11target_archE1100ELNS1_3gpuE3ELNS1_3repE0EEENS1_47radix_sort_onesweep_sort_config_static_selectorELNS0_4arch9wavefront6targetE1EEEvSG_.private_seg_size, 0
	.set _ZN7rocprim17ROCPRIM_400000_NS6detail17trampoline_kernelINS0_14default_configENS1_35radix_sort_onesweep_config_selectorIflEEZZNS1_29radix_sort_onesweep_iterationIS3_Lb0EPfS7_N6thrust23THRUST_200600_302600_NS10device_ptrIlEESB_jNS0_19identity_decomposerENS1_16block_id_wrapperIjLb1EEEEE10hipError_tT1_PNSt15iterator_traitsISG_E10value_typeET2_T3_PNSH_ISM_E10value_typeET4_T5_PSR_SS_PNS1_23onesweep_lookback_stateEbbT6_jjT7_P12ihipStream_tbENKUlT_T0_SG_SL_E_clIS7_S7_SB_SB_EEDaSZ_S10_SG_SL_EUlSZ_E_NS1_11comp_targetILNS1_3genE9ELNS1_11target_archE1100ELNS1_3gpuE3ELNS1_3repE0EEENS1_47radix_sort_onesweep_sort_config_static_selectorELNS0_4arch9wavefront6targetE1EEEvSG_.uses_vcc, 0
	.set _ZN7rocprim17ROCPRIM_400000_NS6detail17trampoline_kernelINS0_14default_configENS1_35radix_sort_onesweep_config_selectorIflEEZZNS1_29radix_sort_onesweep_iterationIS3_Lb0EPfS7_N6thrust23THRUST_200600_302600_NS10device_ptrIlEESB_jNS0_19identity_decomposerENS1_16block_id_wrapperIjLb1EEEEE10hipError_tT1_PNSt15iterator_traitsISG_E10value_typeET2_T3_PNSH_ISM_E10value_typeET4_T5_PSR_SS_PNS1_23onesweep_lookback_stateEbbT6_jjT7_P12ihipStream_tbENKUlT_T0_SG_SL_E_clIS7_S7_SB_SB_EEDaSZ_S10_SG_SL_EUlSZ_E_NS1_11comp_targetILNS1_3genE9ELNS1_11target_archE1100ELNS1_3gpuE3ELNS1_3repE0EEENS1_47radix_sort_onesweep_sort_config_static_selectorELNS0_4arch9wavefront6targetE1EEEvSG_.uses_flat_scratch, 0
	.set _ZN7rocprim17ROCPRIM_400000_NS6detail17trampoline_kernelINS0_14default_configENS1_35radix_sort_onesweep_config_selectorIflEEZZNS1_29radix_sort_onesweep_iterationIS3_Lb0EPfS7_N6thrust23THRUST_200600_302600_NS10device_ptrIlEESB_jNS0_19identity_decomposerENS1_16block_id_wrapperIjLb1EEEEE10hipError_tT1_PNSt15iterator_traitsISG_E10value_typeET2_T3_PNSH_ISM_E10value_typeET4_T5_PSR_SS_PNS1_23onesweep_lookback_stateEbbT6_jjT7_P12ihipStream_tbENKUlT_T0_SG_SL_E_clIS7_S7_SB_SB_EEDaSZ_S10_SG_SL_EUlSZ_E_NS1_11comp_targetILNS1_3genE9ELNS1_11target_archE1100ELNS1_3gpuE3ELNS1_3repE0EEENS1_47radix_sort_onesweep_sort_config_static_selectorELNS0_4arch9wavefront6targetE1EEEvSG_.has_dyn_sized_stack, 0
	.set _ZN7rocprim17ROCPRIM_400000_NS6detail17trampoline_kernelINS0_14default_configENS1_35radix_sort_onesweep_config_selectorIflEEZZNS1_29radix_sort_onesweep_iterationIS3_Lb0EPfS7_N6thrust23THRUST_200600_302600_NS10device_ptrIlEESB_jNS0_19identity_decomposerENS1_16block_id_wrapperIjLb1EEEEE10hipError_tT1_PNSt15iterator_traitsISG_E10value_typeET2_T3_PNSH_ISM_E10value_typeET4_T5_PSR_SS_PNS1_23onesweep_lookback_stateEbbT6_jjT7_P12ihipStream_tbENKUlT_T0_SG_SL_E_clIS7_S7_SB_SB_EEDaSZ_S10_SG_SL_EUlSZ_E_NS1_11comp_targetILNS1_3genE9ELNS1_11target_archE1100ELNS1_3gpuE3ELNS1_3repE0EEENS1_47radix_sort_onesweep_sort_config_static_selectorELNS0_4arch9wavefront6targetE1EEEvSG_.has_recursion, 0
	.set _ZN7rocprim17ROCPRIM_400000_NS6detail17trampoline_kernelINS0_14default_configENS1_35radix_sort_onesweep_config_selectorIflEEZZNS1_29radix_sort_onesweep_iterationIS3_Lb0EPfS7_N6thrust23THRUST_200600_302600_NS10device_ptrIlEESB_jNS0_19identity_decomposerENS1_16block_id_wrapperIjLb1EEEEE10hipError_tT1_PNSt15iterator_traitsISG_E10value_typeET2_T3_PNSH_ISM_E10value_typeET4_T5_PSR_SS_PNS1_23onesweep_lookback_stateEbbT6_jjT7_P12ihipStream_tbENKUlT_T0_SG_SL_E_clIS7_S7_SB_SB_EEDaSZ_S10_SG_SL_EUlSZ_E_NS1_11comp_targetILNS1_3genE9ELNS1_11target_archE1100ELNS1_3gpuE3ELNS1_3repE0EEENS1_47radix_sort_onesweep_sort_config_static_selectorELNS0_4arch9wavefront6targetE1EEEvSG_.has_indirect_call, 0
	.section	.AMDGPU.csdata,"",@progbits
; Kernel info:
; codeLenInByte = 0
; TotalNumSgprs: 4
; NumVgprs: 0
; ScratchSize: 0
; MemoryBound: 0
; FloatMode: 240
; IeeeMode: 1
; LDSByteSize: 0 bytes/workgroup (compile time only)
; SGPRBlocks: 0
; VGPRBlocks: 0
; NumSGPRsForWavesPerEU: 4
; NumVGPRsForWavesPerEU: 1
; Occupancy: 10
; WaveLimiterHint : 0
; COMPUTE_PGM_RSRC2:SCRATCH_EN: 0
; COMPUTE_PGM_RSRC2:USER_SGPR: 6
; COMPUTE_PGM_RSRC2:TRAP_HANDLER: 0
; COMPUTE_PGM_RSRC2:TGID_X_EN: 1
; COMPUTE_PGM_RSRC2:TGID_Y_EN: 0
; COMPUTE_PGM_RSRC2:TGID_Z_EN: 0
; COMPUTE_PGM_RSRC2:TIDIG_COMP_CNT: 0
	.section	.text._ZN7rocprim17ROCPRIM_400000_NS6detail17trampoline_kernelINS0_14default_configENS1_35radix_sort_onesweep_config_selectorIflEEZZNS1_29radix_sort_onesweep_iterationIS3_Lb0EPfS7_N6thrust23THRUST_200600_302600_NS10device_ptrIlEESB_jNS0_19identity_decomposerENS1_16block_id_wrapperIjLb1EEEEE10hipError_tT1_PNSt15iterator_traitsISG_E10value_typeET2_T3_PNSH_ISM_E10value_typeET4_T5_PSR_SS_PNS1_23onesweep_lookback_stateEbbT6_jjT7_P12ihipStream_tbENKUlT_T0_SG_SL_E_clIS7_S7_SB_SB_EEDaSZ_S10_SG_SL_EUlSZ_E_NS1_11comp_targetILNS1_3genE8ELNS1_11target_archE1030ELNS1_3gpuE2ELNS1_3repE0EEENS1_47radix_sort_onesweep_sort_config_static_selectorELNS0_4arch9wavefront6targetE1EEEvSG_,"axG",@progbits,_ZN7rocprim17ROCPRIM_400000_NS6detail17trampoline_kernelINS0_14default_configENS1_35radix_sort_onesweep_config_selectorIflEEZZNS1_29radix_sort_onesweep_iterationIS3_Lb0EPfS7_N6thrust23THRUST_200600_302600_NS10device_ptrIlEESB_jNS0_19identity_decomposerENS1_16block_id_wrapperIjLb1EEEEE10hipError_tT1_PNSt15iterator_traitsISG_E10value_typeET2_T3_PNSH_ISM_E10value_typeET4_T5_PSR_SS_PNS1_23onesweep_lookback_stateEbbT6_jjT7_P12ihipStream_tbENKUlT_T0_SG_SL_E_clIS7_S7_SB_SB_EEDaSZ_S10_SG_SL_EUlSZ_E_NS1_11comp_targetILNS1_3genE8ELNS1_11target_archE1030ELNS1_3gpuE2ELNS1_3repE0EEENS1_47radix_sort_onesweep_sort_config_static_selectorELNS0_4arch9wavefront6targetE1EEEvSG_,comdat
	.protected	_ZN7rocprim17ROCPRIM_400000_NS6detail17trampoline_kernelINS0_14default_configENS1_35radix_sort_onesweep_config_selectorIflEEZZNS1_29radix_sort_onesweep_iterationIS3_Lb0EPfS7_N6thrust23THRUST_200600_302600_NS10device_ptrIlEESB_jNS0_19identity_decomposerENS1_16block_id_wrapperIjLb1EEEEE10hipError_tT1_PNSt15iterator_traitsISG_E10value_typeET2_T3_PNSH_ISM_E10value_typeET4_T5_PSR_SS_PNS1_23onesweep_lookback_stateEbbT6_jjT7_P12ihipStream_tbENKUlT_T0_SG_SL_E_clIS7_S7_SB_SB_EEDaSZ_S10_SG_SL_EUlSZ_E_NS1_11comp_targetILNS1_3genE8ELNS1_11target_archE1030ELNS1_3gpuE2ELNS1_3repE0EEENS1_47radix_sort_onesweep_sort_config_static_selectorELNS0_4arch9wavefront6targetE1EEEvSG_ ; -- Begin function _ZN7rocprim17ROCPRIM_400000_NS6detail17trampoline_kernelINS0_14default_configENS1_35radix_sort_onesweep_config_selectorIflEEZZNS1_29radix_sort_onesweep_iterationIS3_Lb0EPfS7_N6thrust23THRUST_200600_302600_NS10device_ptrIlEESB_jNS0_19identity_decomposerENS1_16block_id_wrapperIjLb1EEEEE10hipError_tT1_PNSt15iterator_traitsISG_E10value_typeET2_T3_PNSH_ISM_E10value_typeET4_T5_PSR_SS_PNS1_23onesweep_lookback_stateEbbT6_jjT7_P12ihipStream_tbENKUlT_T0_SG_SL_E_clIS7_S7_SB_SB_EEDaSZ_S10_SG_SL_EUlSZ_E_NS1_11comp_targetILNS1_3genE8ELNS1_11target_archE1030ELNS1_3gpuE2ELNS1_3repE0EEENS1_47radix_sort_onesweep_sort_config_static_selectorELNS0_4arch9wavefront6targetE1EEEvSG_
	.globl	_ZN7rocprim17ROCPRIM_400000_NS6detail17trampoline_kernelINS0_14default_configENS1_35radix_sort_onesweep_config_selectorIflEEZZNS1_29radix_sort_onesweep_iterationIS3_Lb0EPfS7_N6thrust23THRUST_200600_302600_NS10device_ptrIlEESB_jNS0_19identity_decomposerENS1_16block_id_wrapperIjLb1EEEEE10hipError_tT1_PNSt15iterator_traitsISG_E10value_typeET2_T3_PNSH_ISM_E10value_typeET4_T5_PSR_SS_PNS1_23onesweep_lookback_stateEbbT6_jjT7_P12ihipStream_tbENKUlT_T0_SG_SL_E_clIS7_S7_SB_SB_EEDaSZ_S10_SG_SL_EUlSZ_E_NS1_11comp_targetILNS1_3genE8ELNS1_11target_archE1030ELNS1_3gpuE2ELNS1_3repE0EEENS1_47radix_sort_onesweep_sort_config_static_selectorELNS0_4arch9wavefront6targetE1EEEvSG_
	.p2align	8
	.type	_ZN7rocprim17ROCPRIM_400000_NS6detail17trampoline_kernelINS0_14default_configENS1_35radix_sort_onesweep_config_selectorIflEEZZNS1_29radix_sort_onesweep_iterationIS3_Lb0EPfS7_N6thrust23THRUST_200600_302600_NS10device_ptrIlEESB_jNS0_19identity_decomposerENS1_16block_id_wrapperIjLb1EEEEE10hipError_tT1_PNSt15iterator_traitsISG_E10value_typeET2_T3_PNSH_ISM_E10value_typeET4_T5_PSR_SS_PNS1_23onesweep_lookback_stateEbbT6_jjT7_P12ihipStream_tbENKUlT_T0_SG_SL_E_clIS7_S7_SB_SB_EEDaSZ_S10_SG_SL_EUlSZ_E_NS1_11comp_targetILNS1_3genE8ELNS1_11target_archE1030ELNS1_3gpuE2ELNS1_3repE0EEENS1_47radix_sort_onesweep_sort_config_static_selectorELNS0_4arch9wavefront6targetE1EEEvSG_,@function
_ZN7rocprim17ROCPRIM_400000_NS6detail17trampoline_kernelINS0_14default_configENS1_35radix_sort_onesweep_config_selectorIflEEZZNS1_29radix_sort_onesweep_iterationIS3_Lb0EPfS7_N6thrust23THRUST_200600_302600_NS10device_ptrIlEESB_jNS0_19identity_decomposerENS1_16block_id_wrapperIjLb1EEEEE10hipError_tT1_PNSt15iterator_traitsISG_E10value_typeET2_T3_PNSH_ISM_E10value_typeET4_T5_PSR_SS_PNS1_23onesweep_lookback_stateEbbT6_jjT7_P12ihipStream_tbENKUlT_T0_SG_SL_E_clIS7_S7_SB_SB_EEDaSZ_S10_SG_SL_EUlSZ_E_NS1_11comp_targetILNS1_3genE8ELNS1_11target_archE1030ELNS1_3gpuE2ELNS1_3repE0EEENS1_47radix_sort_onesweep_sort_config_static_selectorELNS0_4arch9wavefront6targetE1EEEvSG_: ; @_ZN7rocprim17ROCPRIM_400000_NS6detail17trampoline_kernelINS0_14default_configENS1_35radix_sort_onesweep_config_selectorIflEEZZNS1_29radix_sort_onesweep_iterationIS3_Lb0EPfS7_N6thrust23THRUST_200600_302600_NS10device_ptrIlEESB_jNS0_19identity_decomposerENS1_16block_id_wrapperIjLb1EEEEE10hipError_tT1_PNSt15iterator_traitsISG_E10value_typeET2_T3_PNSH_ISM_E10value_typeET4_T5_PSR_SS_PNS1_23onesweep_lookback_stateEbbT6_jjT7_P12ihipStream_tbENKUlT_T0_SG_SL_E_clIS7_S7_SB_SB_EEDaSZ_S10_SG_SL_EUlSZ_E_NS1_11comp_targetILNS1_3genE8ELNS1_11target_archE1030ELNS1_3gpuE2ELNS1_3repE0EEENS1_47radix_sort_onesweep_sort_config_static_selectorELNS0_4arch9wavefront6targetE1EEEvSG_
; %bb.0:
	.section	.rodata,"a",@progbits
	.p2align	6, 0x0
	.amdhsa_kernel _ZN7rocprim17ROCPRIM_400000_NS6detail17trampoline_kernelINS0_14default_configENS1_35radix_sort_onesweep_config_selectorIflEEZZNS1_29radix_sort_onesweep_iterationIS3_Lb0EPfS7_N6thrust23THRUST_200600_302600_NS10device_ptrIlEESB_jNS0_19identity_decomposerENS1_16block_id_wrapperIjLb1EEEEE10hipError_tT1_PNSt15iterator_traitsISG_E10value_typeET2_T3_PNSH_ISM_E10value_typeET4_T5_PSR_SS_PNS1_23onesweep_lookback_stateEbbT6_jjT7_P12ihipStream_tbENKUlT_T0_SG_SL_E_clIS7_S7_SB_SB_EEDaSZ_S10_SG_SL_EUlSZ_E_NS1_11comp_targetILNS1_3genE8ELNS1_11target_archE1030ELNS1_3gpuE2ELNS1_3repE0EEENS1_47radix_sort_onesweep_sort_config_static_selectorELNS0_4arch9wavefront6targetE1EEEvSG_
		.amdhsa_group_segment_fixed_size 0
		.amdhsa_private_segment_fixed_size 0
		.amdhsa_kernarg_size 88
		.amdhsa_user_sgpr_count 6
		.amdhsa_user_sgpr_private_segment_buffer 1
		.amdhsa_user_sgpr_dispatch_ptr 0
		.amdhsa_user_sgpr_queue_ptr 0
		.amdhsa_user_sgpr_kernarg_segment_ptr 1
		.amdhsa_user_sgpr_dispatch_id 0
		.amdhsa_user_sgpr_flat_scratch_init 0
		.amdhsa_user_sgpr_private_segment_size 0
		.amdhsa_uses_dynamic_stack 0
		.amdhsa_system_sgpr_private_segment_wavefront_offset 0
		.amdhsa_system_sgpr_workgroup_id_x 1
		.amdhsa_system_sgpr_workgroup_id_y 0
		.amdhsa_system_sgpr_workgroup_id_z 0
		.amdhsa_system_sgpr_workgroup_info 0
		.amdhsa_system_vgpr_workitem_id 0
		.amdhsa_next_free_vgpr 1
		.amdhsa_next_free_sgpr 0
		.amdhsa_reserve_vcc 0
		.amdhsa_reserve_flat_scratch 0
		.amdhsa_float_round_mode_32 0
		.amdhsa_float_round_mode_16_64 0
		.amdhsa_float_denorm_mode_32 3
		.amdhsa_float_denorm_mode_16_64 3
		.amdhsa_dx10_clamp 1
		.amdhsa_ieee_mode 1
		.amdhsa_fp16_overflow 0
		.amdhsa_exception_fp_ieee_invalid_op 0
		.amdhsa_exception_fp_denorm_src 0
		.amdhsa_exception_fp_ieee_div_zero 0
		.amdhsa_exception_fp_ieee_overflow 0
		.amdhsa_exception_fp_ieee_underflow 0
		.amdhsa_exception_fp_ieee_inexact 0
		.amdhsa_exception_int_div_zero 0
	.end_amdhsa_kernel
	.section	.text._ZN7rocprim17ROCPRIM_400000_NS6detail17trampoline_kernelINS0_14default_configENS1_35radix_sort_onesweep_config_selectorIflEEZZNS1_29radix_sort_onesweep_iterationIS3_Lb0EPfS7_N6thrust23THRUST_200600_302600_NS10device_ptrIlEESB_jNS0_19identity_decomposerENS1_16block_id_wrapperIjLb1EEEEE10hipError_tT1_PNSt15iterator_traitsISG_E10value_typeET2_T3_PNSH_ISM_E10value_typeET4_T5_PSR_SS_PNS1_23onesweep_lookback_stateEbbT6_jjT7_P12ihipStream_tbENKUlT_T0_SG_SL_E_clIS7_S7_SB_SB_EEDaSZ_S10_SG_SL_EUlSZ_E_NS1_11comp_targetILNS1_3genE8ELNS1_11target_archE1030ELNS1_3gpuE2ELNS1_3repE0EEENS1_47radix_sort_onesweep_sort_config_static_selectorELNS0_4arch9wavefront6targetE1EEEvSG_,"axG",@progbits,_ZN7rocprim17ROCPRIM_400000_NS6detail17trampoline_kernelINS0_14default_configENS1_35radix_sort_onesweep_config_selectorIflEEZZNS1_29radix_sort_onesweep_iterationIS3_Lb0EPfS7_N6thrust23THRUST_200600_302600_NS10device_ptrIlEESB_jNS0_19identity_decomposerENS1_16block_id_wrapperIjLb1EEEEE10hipError_tT1_PNSt15iterator_traitsISG_E10value_typeET2_T3_PNSH_ISM_E10value_typeET4_T5_PSR_SS_PNS1_23onesweep_lookback_stateEbbT6_jjT7_P12ihipStream_tbENKUlT_T0_SG_SL_E_clIS7_S7_SB_SB_EEDaSZ_S10_SG_SL_EUlSZ_E_NS1_11comp_targetILNS1_3genE8ELNS1_11target_archE1030ELNS1_3gpuE2ELNS1_3repE0EEENS1_47radix_sort_onesweep_sort_config_static_selectorELNS0_4arch9wavefront6targetE1EEEvSG_,comdat
.Lfunc_end1842:
	.size	_ZN7rocprim17ROCPRIM_400000_NS6detail17trampoline_kernelINS0_14default_configENS1_35radix_sort_onesweep_config_selectorIflEEZZNS1_29radix_sort_onesweep_iterationIS3_Lb0EPfS7_N6thrust23THRUST_200600_302600_NS10device_ptrIlEESB_jNS0_19identity_decomposerENS1_16block_id_wrapperIjLb1EEEEE10hipError_tT1_PNSt15iterator_traitsISG_E10value_typeET2_T3_PNSH_ISM_E10value_typeET4_T5_PSR_SS_PNS1_23onesweep_lookback_stateEbbT6_jjT7_P12ihipStream_tbENKUlT_T0_SG_SL_E_clIS7_S7_SB_SB_EEDaSZ_S10_SG_SL_EUlSZ_E_NS1_11comp_targetILNS1_3genE8ELNS1_11target_archE1030ELNS1_3gpuE2ELNS1_3repE0EEENS1_47radix_sort_onesweep_sort_config_static_selectorELNS0_4arch9wavefront6targetE1EEEvSG_, .Lfunc_end1842-_ZN7rocprim17ROCPRIM_400000_NS6detail17trampoline_kernelINS0_14default_configENS1_35radix_sort_onesweep_config_selectorIflEEZZNS1_29radix_sort_onesweep_iterationIS3_Lb0EPfS7_N6thrust23THRUST_200600_302600_NS10device_ptrIlEESB_jNS0_19identity_decomposerENS1_16block_id_wrapperIjLb1EEEEE10hipError_tT1_PNSt15iterator_traitsISG_E10value_typeET2_T3_PNSH_ISM_E10value_typeET4_T5_PSR_SS_PNS1_23onesweep_lookback_stateEbbT6_jjT7_P12ihipStream_tbENKUlT_T0_SG_SL_E_clIS7_S7_SB_SB_EEDaSZ_S10_SG_SL_EUlSZ_E_NS1_11comp_targetILNS1_3genE8ELNS1_11target_archE1030ELNS1_3gpuE2ELNS1_3repE0EEENS1_47radix_sort_onesweep_sort_config_static_selectorELNS0_4arch9wavefront6targetE1EEEvSG_
                                        ; -- End function
	.set _ZN7rocprim17ROCPRIM_400000_NS6detail17trampoline_kernelINS0_14default_configENS1_35radix_sort_onesweep_config_selectorIflEEZZNS1_29radix_sort_onesweep_iterationIS3_Lb0EPfS7_N6thrust23THRUST_200600_302600_NS10device_ptrIlEESB_jNS0_19identity_decomposerENS1_16block_id_wrapperIjLb1EEEEE10hipError_tT1_PNSt15iterator_traitsISG_E10value_typeET2_T3_PNSH_ISM_E10value_typeET4_T5_PSR_SS_PNS1_23onesweep_lookback_stateEbbT6_jjT7_P12ihipStream_tbENKUlT_T0_SG_SL_E_clIS7_S7_SB_SB_EEDaSZ_S10_SG_SL_EUlSZ_E_NS1_11comp_targetILNS1_3genE8ELNS1_11target_archE1030ELNS1_3gpuE2ELNS1_3repE0EEENS1_47radix_sort_onesweep_sort_config_static_selectorELNS0_4arch9wavefront6targetE1EEEvSG_.num_vgpr, 0
	.set _ZN7rocprim17ROCPRIM_400000_NS6detail17trampoline_kernelINS0_14default_configENS1_35radix_sort_onesweep_config_selectorIflEEZZNS1_29radix_sort_onesweep_iterationIS3_Lb0EPfS7_N6thrust23THRUST_200600_302600_NS10device_ptrIlEESB_jNS0_19identity_decomposerENS1_16block_id_wrapperIjLb1EEEEE10hipError_tT1_PNSt15iterator_traitsISG_E10value_typeET2_T3_PNSH_ISM_E10value_typeET4_T5_PSR_SS_PNS1_23onesweep_lookback_stateEbbT6_jjT7_P12ihipStream_tbENKUlT_T0_SG_SL_E_clIS7_S7_SB_SB_EEDaSZ_S10_SG_SL_EUlSZ_E_NS1_11comp_targetILNS1_3genE8ELNS1_11target_archE1030ELNS1_3gpuE2ELNS1_3repE0EEENS1_47radix_sort_onesweep_sort_config_static_selectorELNS0_4arch9wavefront6targetE1EEEvSG_.num_agpr, 0
	.set _ZN7rocprim17ROCPRIM_400000_NS6detail17trampoline_kernelINS0_14default_configENS1_35radix_sort_onesweep_config_selectorIflEEZZNS1_29radix_sort_onesweep_iterationIS3_Lb0EPfS7_N6thrust23THRUST_200600_302600_NS10device_ptrIlEESB_jNS0_19identity_decomposerENS1_16block_id_wrapperIjLb1EEEEE10hipError_tT1_PNSt15iterator_traitsISG_E10value_typeET2_T3_PNSH_ISM_E10value_typeET4_T5_PSR_SS_PNS1_23onesweep_lookback_stateEbbT6_jjT7_P12ihipStream_tbENKUlT_T0_SG_SL_E_clIS7_S7_SB_SB_EEDaSZ_S10_SG_SL_EUlSZ_E_NS1_11comp_targetILNS1_3genE8ELNS1_11target_archE1030ELNS1_3gpuE2ELNS1_3repE0EEENS1_47radix_sort_onesweep_sort_config_static_selectorELNS0_4arch9wavefront6targetE1EEEvSG_.numbered_sgpr, 0
	.set _ZN7rocprim17ROCPRIM_400000_NS6detail17trampoline_kernelINS0_14default_configENS1_35radix_sort_onesweep_config_selectorIflEEZZNS1_29radix_sort_onesweep_iterationIS3_Lb0EPfS7_N6thrust23THRUST_200600_302600_NS10device_ptrIlEESB_jNS0_19identity_decomposerENS1_16block_id_wrapperIjLb1EEEEE10hipError_tT1_PNSt15iterator_traitsISG_E10value_typeET2_T3_PNSH_ISM_E10value_typeET4_T5_PSR_SS_PNS1_23onesweep_lookback_stateEbbT6_jjT7_P12ihipStream_tbENKUlT_T0_SG_SL_E_clIS7_S7_SB_SB_EEDaSZ_S10_SG_SL_EUlSZ_E_NS1_11comp_targetILNS1_3genE8ELNS1_11target_archE1030ELNS1_3gpuE2ELNS1_3repE0EEENS1_47radix_sort_onesweep_sort_config_static_selectorELNS0_4arch9wavefront6targetE1EEEvSG_.num_named_barrier, 0
	.set _ZN7rocprim17ROCPRIM_400000_NS6detail17trampoline_kernelINS0_14default_configENS1_35radix_sort_onesweep_config_selectorIflEEZZNS1_29radix_sort_onesweep_iterationIS3_Lb0EPfS7_N6thrust23THRUST_200600_302600_NS10device_ptrIlEESB_jNS0_19identity_decomposerENS1_16block_id_wrapperIjLb1EEEEE10hipError_tT1_PNSt15iterator_traitsISG_E10value_typeET2_T3_PNSH_ISM_E10value_typeET4_T5_PSR_SS_PNS1_23onesweep_lookback_stateEbbT6_jjT7_P12ihipStream_tbENKUlT_T0_SG_SL_E_clIS7_S7_SB_SB_EEDaSZ_S10_SG_SL_EUlSZ_E_NS1_11comp_targetILNS1_3genE8ELNS1_11target_archE1030ELNS1_3gpuE2ELNS1_3repE0EEENS1_47radix_sort_onesweep_sort_config_static_selectorELNS0_4arch9wavefront6targetE1EEEvSG_.private_seg_size, 0
	.set _ZN7rocprim17ROCPRIM_400000_NS6detail17trampoline_kernelINS0_14default_configENS1_35radix_sort_onesweep_config_selectorIflEEZZNS1_29radix_sort_onesweep_iterationIS3_Lb0EPfS7_N6thrust23THRUST_200600_302600_NS10device_ptrIlEESB_jNS0_19identity_decomposerENS1_16block_id_wrapperIjLb1EEEEE10hipError_tT1_PNSt15iterator_traitsISG_E10value_typeET2_T3_PNSH_ISM_E10value_typeET4_T5_PSR_SS_PNS1_23onesweep_lookback_stateEbbT6_jjT7_P12ihipStream_tbENKUlT_T0_SG_SL_E_clIS7_S7_SB_SB_EEDaSZ_S10_SG_SL_EUlSZ_E_NS1_11comp_targetILNS1_3genE8ELNS1_11target_archE1030ELNS1_3gpuE2ELNS1_3repE0EEENS1_47radix_sort_onesweep_sort_config_static_selectorELNS0_4arch9wavefront6targetE1EEEvSG_.uses_vcc, 0
	.set _ZN7rocprim17ROCPRIM_400000_NS6detail17trampoline_kernelINS0_14default_configENS1_35radix_sort_onesweep_config_selectorIflEEZZNS1_29radix_sort_onesweep_iterationIS3_Lb0EPfS7_N6thrust23THRUST_200600_302600_NS10device_ptrIlEESB_jNS0_19identity_decomposerENS1_16block_id_wrapperIjLb1EEEEE10hipError_tT1_PNSt15iterator_traitsISG_E10value_typeET2_T3_PNSH_ISM_E10value_typeET4_T5_PSR_SS_PNS1_23onesweep_lookback_stateEbbT6_jjT7_P12ihipStream_tbENKUlT_T0_SG_SL_E_clIS7_S7_SB_SB_EEDaSZ_S10_SG_SL_EUlSZ_E_NS1_11comp_targetILNS1_3genE8ELNS1_11target_archE1030ELNS1_3gpuE2ELNS1_3repE0EEENS1_47radix_sort_onesweep_sort_config_static_selectorELNS0_4arch9wavefront6targetE1EEEvSG_.uses_flat_scratch, 0
	.set _ZN7rocprim17ROCPRIM_400000_NS6detail17trampoline_kernelINS0_14default_configENS1_35radix_sort_onesweep_config_selectorIflEEZZNS1_29radix_sort_onesweep_iterationIS3_Lb0EPfS7_N6thrust23THRUST_200600_302600_NS10device_ptrIlEESB_jNS0_19identity_decomposerENS1_16block_id_wrapperIjLb1EEEEE10hipError_tT1_PNSt15iterator_traitsISG_E10value_typeET2_T3_PNSH_ISM_E10value_typeET4_T5_PSR_SS_PNS1_23onesweep_lookback_stateEbbT6_jjT7_P12ihipStream_tbENKUlT_T0_SG_SL_E_clIS7_S7_SB_SB_EEDaSZ_S10_SG_SL_EUlSZ_E_NS1_11comp_targetILNS1_3genE8ELNS1_11target_archE1030ELNS1_3gpuE2ELNS1_3repE0EEENS1_47radix_sort_onesweep_sort_config_static_selectorELNS0_4arch9wavefront6targetE1EEEvSG_.has_dyn_sized_stack, 0
	.set _ZN7rocprim17ROCPRIM_400000_NS6detail17trampoline_kernelINS0_14default_configENS1_35radix_sort_onesweep_config_selectorIflEEZZNS1_29radix_sort_onesweep_iterationIS3_Lb0EPfS7_N6thrust23THRUST_200600_302600_NS10device_ptrIlEESB_jNS0_19identity_decomposerENS1_16block_id_wrapperIjLb1EEEEE10hipError_tT1_PNSt15iterator_traitsISG_E10value_typeET2_T3_PNSH_ISM_E10value_typeET4_T5_PSR_SS_PNS1_23onesweep_lookback_stateEbbT6_jjT7_P12ihipStream_tbENKUlT_T0_SG_SL_E_clIS7_S7_SB_SB_EEDaSZ_S10_SG_SL_EUlSZ_E_NS1_11comp_targetILNS1_3genE8ELNS1_11target_archE1030ELNS1_3gpuE2ELNS1_3repE0EEENS1_47radix_sort_onesweep_sort_config_static_selectorELNS0_4arch9wavefront6targetE1EEEvSG_.has_recursion, 0
	.set _ZN7rocprim17ROCPRIM_400000_NS6detail17trampoline_kernelINS0_14default_configENS1_35radix_sort_onesweep_config_selectorIflEEZZNS1_29radix_sort_onesweep_iterationIS3_Lb0EPfS7_N6thrust23THRUST_200600_302600_NS10device_ptrIlEESB_jNS0_19identity_decomposerENS1_16block_id_wrapperIjLb1EEEEE10hipError_tT1_PNSt15iterator_traitsISG_E10value_typeET2_T3_PNSH_ISM_E10value_typeET4_T5_PSR_SS_PNS1_23onesweep_lookback_stateEbbT6_jjT7_P12ihipStream_tbENKUlT_T0_SG_SL_E_clIS7_S7_SB_SB_EEDaSZ_S10_SG_SL_EUlSZ_E_NS1_11comp_targetILNS1_3genE8ELNS1_11target_archE1030ELNS1_3gpuE2ELNS1_3repE0EEENS1_47radix_sort_onesweep_sort_config_static_selectorELNS0_4arch9wavefront6targetE1EEEvSG_.has_indirect_call, 0
	.section	.AMDGPU.csdata,"",@progbits
; Kernel info:
; codeLenInByte = 0
; TotalNumSgprs: 4
; NumVgprs: 0
; ScratchSize: 0
; MemoryBound: 0
; FloatMode: 240
; IeeeMode: 1
; LDSByteSize: 0 bytes/workgroup (compile time only)
; SGPRBlocks: 0
; VGPRBlocks: 0
; NumSGPRsForWavesPerEU: 4
; NumVGPRsForWavesPerEU: 1
; Occupancy: 10
; WaveLimiterHint : 0
; COMPUTE_PGM_RSRC2:SCRATCH_EN: 0
; COMPUTE_PGM_RSRC2:USER_SGPR: 6
; COMPUTE_PGM_RSRC2:TRAP_HANDLER: 0
; COMPUTE_PGM_RSRC2:TGID_X_EN: 1
; COMPUTE_PGM_RSRC2:TGID_Y_EN: 0
; COMPUTE_PGM_RSRC2:TGID_Z_EN: 0
; COMPUTE_PGM_RSRC2:TIDIG_COMP_CNT: 0
	.section	.text._ZN7rocprim17ROCPRIM_400000_NS6detail17trampoline_kernelINS0_14default_configENS1_35radix_sort_onesweep_config_selectorIflEEZZNS1_29radix_sort_onesweep_iterationIS3_Lb0EPfS7_N6thrust23THRUST_200600_302600_NS10device_ptrIlEESB_jNS0_19identity_decomposerENS1_16block_id_wrapperIjLb1EEEEE10hipError_tT1_PNSt15iterator_traitsISG_E10value_typeET2_T3_PNSH_ISM_E10value_typeET4_T5_PSR_SS_PNS1_23onesweep_lookback_stateEbbT6_jjT7_P12ihipStream_tbENKUlT_T0_SG_SL_E_clIS7_S7_SB_PlEEDaSZ_S10_SG_SL_EUlSZ_E_NS1_11comp_targetILNS1_3genE0ELNS1_11target_archE4294967295ELNS1_3gpuE0ELNS1_3repE0EEENS1_47radix_sort_onesweep_sort_config_static_selectorELNS0_4arch9wavefront6targetE1EEEvSG_,"axG",@progbits,_ZN7rocprim17ROCPRIM_400000_NS6detail17trampoline_kernelINS0_14default_configENS1_35radix_sort_onesweep_config_selectorIflEEZZNS1_29radix_sort_onesweep_iterationIS3_Lb0EPfS7_N6thrust23THRUST_200600_302600_NS10device_ptrIlEESB_jNS0_19identity_decomposerENS1_16block_id_wrapperIjLb1EEEEE10hipError_tT1_PNSt15iterator_traitsISG_E10value_typeET2_T3_PNSH_ISM_E10value_typeET4_T5_PSR_SS_PNS1_23onesweep_lookback_stateEbbT6_jjT7_P12ihipStream_tbENKUlT_T0_SG_SL_E_clIS7_S7_SB_PlEEDaSZ_S10_SG_SL_EUlSZ_E_NS1_11comp_targetILNS1_3genE0ELNS1_11target_archE4294967295ELNS1_3gpuE0ELNS1_3repE0EEENS1_47radix_sort_onesweep_sort_config_static_selectorELNS0_4arch9wavefront6targetE1EEEvSG_,comdat
	.protected	_ZN7rocprim17ROCPRIM_400000_NS6detail17trampoline_kernelINS0_14default_configENS1_35radix_sort_onesweep_config_selectorIflEEZZNS1_29radix_sort_onesweep_iterationIS3_Lb0EPfS7_N6thrust23THRUST_200600_302600_NS10device_ptrIlEESB_jNS0_19identity_decomposerENS1_16block_id_wrapperIjLb1EEEEE10hipError_tT1_PNSt15iterator_traitsISG_E10value_typeET2_T3_PNSH_ISM_E10value_typeET4_T5_PSR_SS_PNS1_23onesweep_lookback_stateEbbT6_jjT7_P12ihipStream_tbENKUlT_T0_SG_SL_E_clIS7_S7_SB_PlEEDaSZ_S10_SG_SL_EUlSZ_E_NS1_11comp_targetILNS1_3genE0ELNS1_11target_archE4294967295ELNS1_3gpuE0ELNS1_3repE0EEENS1_47radix_sort_onesweep_sort_config_static_selectorELNS0_4arch9wavefront6targetE1EEEvSG_ ; -- Begin function _ZN7rocprim17ROCPRIM_400000_NS6detail17trampoline_kernelINS0_14default_configENS1_35radix_sort_onesweep_config_selectorIflEEZZNS1_29radix_sort_onesweep_iterationIS3_Lb0EPfS7_N6thrust23THRUST_200600_302600_NS10device_ptrIlEESB_jNS0_19identity_decomposerENS1_16block_id_wrapperIjLb1EEEEE10hipError_tT1_PNSt15iterator_traitsISG_E10value_typeET2_T3_PNSH_ISM_E10value_typeET4_T5_PSR_SS_PNS1_23onesweep_lookback_stateEbbT6_jjT7_P12ihipStream_tbENKUlT_T0_SG_SL_E_clIS7_S7_SB_PlEEDaSZ_S10_SG_SL_EUlSZ_E_NS1_11comp_targetILNS1_3genE0ELNS1_11target_archE4294967295ELNS1_3gpuE0ELNS1_3repE0EEENS1_47radix_sort_onesweep_sort_config_static_selectorELNS0_4arch9wavefront6targetE1EEEvSG_
	.globl	_ZN7rocprim17ROCPRIM_400000_NS6detail17trampoline_kernelINS0_14default_configENS1_35radix_sort_onesweep_config_selectorIflEEZZNS1_29radix_sort_onesweep_iterationIS3_Lb0EPfS7_N6thrust23THRUST_200600_302600_NS10device_ptrIlEESB_jNS0_19identity_decomposerENS1_16block_id_wrapperIjLb1EEEEE10hipError_tT1_PNSt15iterator_traitsISG_E10value_typeET2_T3_PNSH_ISM_E10value_typeET4_T5_PSR_SS_PNS1_23onesweep_lookback_stateEbbT6_jjT7_P12ihipStream_tbENKUlT_T0_SG_SL_E_clIS7_S7_SB_PlEEDaSZ_S10_SG_SL_EUlSZ_E_NS1_11comp_targetILNS1_3genE0ELNS1_11target_archE4294967295ELNS1_3gpuE0ELNS1_3repE0EEENS1_47radix_sort_onesweep_sort_config_static_selectorELNS0_4arch9wavefront6targetE1EEEvSG_
	.p2align	8
	.type	_ZN7rocprim17ROCPRIM_400000_NS6detail17trampoline_kernelINS0_14default_configENS1_35radix_sort_onesweep_config_selectorIflEEZZNS1_29radix_sort_onesweep_iterationIS3_Lb0EPfS7_N6thrust23THRUST_200600_302600_NS10device_ptrIlEESB_jNS0_19identity_decomposerENS1_16block_id_wrapperIjLb1EEEEE10hipError_tT1_PNSt15iterator_traitsISG_E10value_typeET2_T3_PNSH_ISM_E10value_typeET4_T5_PSR_SS_PNS1_23onesweep_lookback_stateEbbT6_jjT7_P12ihipStream_tbENKUlT_T0_SG_SL_E_clIS7_S7_SB_PlEEDaSZ_S10_SG_SL_EUlSZ_E_NS1_11comp_targetILNS1_3genE0ELNS1_11target_archE4294967295ELNS1_3gpuE0ELNS1_3repE0EEENS1_47radix_sort_onesweep_sort_config_static_selectorELNS0_4arch9wavefront6targetE1EEEvSG_,@function
_ZN7rocprim17ROCPRIM_400000_NS6detail17trampoline_kernelINS0_14default_configENS1_35radix_sort_onesweep_config_selectorIflEEZZNS1_29radix_sort_onesweep_iterationIS3_Lb0EPfS7_N6thrust23THRUST_200600_302600_NS10device_ptrIlEESB_jNS0_19identity_decomposerENS1_16block_id_wrapperIjLb1EEEEE10hipError_tT1_PNSt15iterator_traitsISG_E10value_typeET2_T3_PNSH_ISM_E10value_typeET4_T5_PSR_SS_PNS1_23onesweep_lookback_stateEbbT6_jjT7_P12ihipStream_tbENKUlT_T0_SG_SL_E_clIS7_S7_SB_PlEEDaSZ_S10_SG_SL_EUlSZ_E_NS1_11comp_targetILNS1_3genE0ELNS1_11target_archE4294967295ELNS1_3gpuE0ELNS1_3repE0EEENS1_47radix_sort_onesweep_sort_config_static_selectorELNS0_4arch9wavefront6targetE1EEEvSG_: ; @_ZN7rocprim17ROCPRIM_400000_NS6detail17trampoline_kernelINS0_14default_configENS1_35radix_sort_onesweep_config_selectorIflEEZZNS1_29radix_sort_onesweep_iterationIS3_Lb0EPfS7_N6thrust23THRUST_200600_302600_NS10device_ptrIlEESB_jNS0_19identity_decomposerENS1_16block_id_wrapperIjLb1EEEEE10hipError_tT1_PNSt15iterator_traitsISG_E10value_typeET2_T3_PNSH_ISM_E10value_typeET4_T5_PSR_SS_PNS1_23onesweep_lookback_stateEbbT6_jjT7_P12ihipStream_tbENKUlT_T0_SG_SL_E_clIS7_S7_SB_PlEEDaSZ_S10_SG_SL_EUlSZ_E_NS1_11comp_targetILNS1_3genE0ELNS1_11target_archE4294967295ELNS1_3gpuE0ELNS1_3repE0EEENS1_47radix_sort_onesweep_sort_config_static_selectorELNS0_4arch9wavefront6targetE1EEEvSG_
; %bb.0:
	.section	.rodata,"a",@progbits
	.p2align	6, 0x0
	.amdhsa_kernel _ZN7rocprim17ROCPRIM_400000_NS6detail17trampoline_kernelINS0_14default_configENS1_35radix_sort_onesweep_config_selectorIflEEZZNS1_29radix_sort_onesweep_iterationIS3_Lb0EPfS7_N6thrust23THRUST_200600_302600_NS10device_ptrIlEESB_jNS0_19identity_decomposerENS1_16block_id_wrapperIjLb1EEEEE10hipError_tT1_PNSt15iterator_traitsISG_E10value_typeET2_T3_PNSH_ISM_E10value_typeET4_T5_PSR_SS_PNS1_23onesweep_lookback_stateEbbT6_jjT7_P12ihipStream_tbENKUlT_T0_SG_SL_E_clIS7_S7_SB_PlEEDaSZ_S10_SG_SL_EUlSZ_E_NS1_11comp_targetILNS1_3genE0ELNS1_11target_archE4294967295ELNS1_3gpuE0ELNS1_3repE0EEENS1_47radix_sort_onesweep_sort_config_static_selectorELNS0_4arch9wavefront6targetE1EEEvSG_
		.amdhsa_group_segment_fixed_size 0
		.amdhsa_private_segment_fixed_size 0
		.amdhsa_kernarg_size 88
		.amdhsa_user_sgpr_count 6
		.amdhsa_user_sgpr_private_segment_buffer 1
		.amdhsa_user_sgpr_dispatch_ptr 0
		.amdhsa_user_sgpr_queue_ptr 0
		.amdhsa_user_sgpr_kernarg_segment_ptr 1
		.amdhsa_user_sgpr_dispatch_id 0
		.amdhsa_user_sgpr_flat_scratch_init 0
		.amdhsa_user_sgpr_private_segment_size 0
		.amdhsa_uses_dynamic_stack 0
		.amdhsa_system_sgpr_private_segment_wavefront_offset 0
		.amdhsa_system_sgpr_workgroup_id_x 1
		.amdhsa_system_sgpr_workgroup_id_y 0
		.amdhsa_system_sgpr_workgroup_id_z 0
		.amdhsa_system_sgpr_workgroup_info 0
		.amdhsa_system_vgpr_workitem_id 0
		.amdhsa_next_free_vgpr 1
		.amdhsa_next_free_sgpr 0
		.amdhsa_reserve_vcc 0
		.amdhsa_reserve_flat_scratch 0
		.amdhsa_float_round_mode_32 0
		.amdhsa_float_round_mode_16_64 0
		.amdhsa_float_denorm_mode_32 3
		.amdhsa_float_denorm_mode_16_64 3
		.amdhsa_dx10_clamp 1
		.amdhsa_ieee_mode 1
		.amdhsa_fp16_overflow 0
		.amdhsa_exception_fp_ieee_invalid_op 0
		.amdhsa_exception_fp_denorm_src 0
		.amdhsa_exception_fp_ieee_div_zero 0
		.amdhsa_exception_fp_ieee_overflow 0
		.amdhsa_exception_fp_ieee_underflow 0
		.amdhsa_exception_fp_ieee_inexact 0
		.amdhsa_exception_int_div_zero 0
	.end_amdhsa_kernel
	.section	.text._ZN7rocprim17ROCPRIM_400000_NS6detail17trampoline_kernelINS0_14default_configENS1_35radix_sort_onesweep_config_selectorIflEEZZNS1_29radix_sort_onesweep_iterationIS3_Lb0EPfS7_N6thrust23THRUST_200600_302600_NS10device_ptrIlEESB_jNS0_19identity_decomposerENS1_16block_id_wrapperIjLb1EEEEE10hipError_tT1_PNSt15iterator_traitsISG_E10value_typeET2_T3_PNSH_ISM_E10value_typeET4_T5_PSR_SS_PNS1_23onesweep_lookback_stateEbbT6_jjT7_P12ihipStream_tbENKUlT_T0_SG_SL_E_clIS7_S7_SB_PlEEDaSZ_S10_SG_SL_EUlSZ_E_NS1_11comp_targetILNS1_3genE0ELNS1_11target_archE4294967295ELNS1_3gpuE0ELNS1_3repE0EEENS1_47radix_sort_onesweep_sort_config_static_selectorELNS0_4arch9wavefront6targetE1EEEvSG_,"axG",@progbits,_ZN7rocprim17ROCPRIM_400000_NS6detail17trampoline_kernelINS0_14default_configENS1_35radix_sort_onesweep_config_selectorIflEEZZNS1_29radix_sort_onesweep_iterationIS3_Lb0EPfS7_N6thrust23THRUST_200600_302600_NS10device_ptrIlEESB_jNS0_19identity_decomposerENS1_16block_id_wrapperIjLb1EEEEE10hipError_tT1_PNSt15iterator_traitsISG_E10value_typeET2_T3_PNSH_ISM_E10value_typeET4_T5_PSR_SS_PNS1_23onesweep_lookback_stateEbbT6_jjT7_P12ihipStream_tbENKUlT_T0_SG_SL_E_clIS7_S7_SB_PlEEDaSZ_S10_SG_SL_EUlSZ_E_NS1_11comp_targetILNS1_3genE0ELNS1_11target_archE4294967295ELNS1_3gpuE0ELNS1_3repE0EEENS1_47radix_sort_onesweep_sort_config_static_selectorELNS0_4arch9wavefront6targetE1EEEvSG_,comdat
.Lfunc_end1843:
	.size	_ZN7rocprim17ROCPRIM_400000_NS6detail17trampoline_kernelINS0_14default_configENS1_35radix_sort_onesweep_config_selectorIflEEZZNS1_29radix_sort_onesweep_iterationIS3_Lb0EPfS7_N6thrust23THRUST_200600_302600_NS10device_ptrIlEESB_jNS0_19identity_decomposerENS1_16block_id_wrapperIjLb1EEEEE10hipError_tT1_PNSt15iterator_traitsISG_E10value_typeET2_T3_PNSH_ISM_E10value_typeET4_T5_PSR_SS_PNS1_23onesweep_lookback_stateEbbT6_jjT7_P12ihipStream_tbENKUlT_T0_SG_SL_E_clIS7_S7_SB_PlEEDaSZ_S10_SG_SL_EUlSZ_E_NS1_11comp_targetILNS1_3genE0ELNS1_11target_archE4294967295ELNS1_3gpuE0ELNS1_3repE0EEENS1_47radix_sort_onesweep_sort_config_static_selectorELNS0_4arch9wavefront6targetE1EEEvSG_, .Lfunc_end1843-_ZN7rocprim17ROCPRIM_400000_NS6detail17trampoline_kernelINS0_14default_configENS1_35radix_sort_onesweep_config_selectorIflEEZZNS1_29radix_sort_onesweep_iterationIS3_Lb0EPfS7_N6thrust23THRUST_200600_302600_NS10device_ptrIlEESB_jNS0_19identity_decomposerENS1_16block_id_wrapperIjLb1EEEEE10hipError_tT1_PNSt15iterator_traitsISG_E10value_typeET2_T3_PNSH_ISM_E10value_typeET4_T5_PSR_SS_PNS1_23onesweep_lookback_stateEbbT6_jjT7_P12ihipStream_tbENKUlT_T0_SG_SL_E_clIS7_S7_SB_PlEEDaSZ_S10_SG_SL_EUlSZ_E_NS1_11comp_targetILNS1_3genE0ELNS1_11target_archE4294967295ELNS1_3gpuE0ELNS1_3repE0EEENS1_47radix_sort_onesweep_sort_config_static_selectorELNS0_4arch9wavefront6targetE1EEEvSG_
                                        ; -- End function
	.set _ZN7rocprim17ROCPRIM_400000_NS6detail17trampoline_kernelINS0_14default_configENS1_35radix_sort_onesweep_config_selectorIflEEZZNS1_29radix_sort_onesweep_iterationIS3_Lb0EPfS7_N6thrust23THRUST_200600_302600_NS10device_ptrIlEESB_jNS0_19identity_decomposerENS1_16block_id_wrapperIjLb1EEEEE10hipError_tT1_PNSt15iterator_traitsISG_E10value_typeET2_T3_PNSH_ISM_E10value_typeET4_T5_PSR_SS_PNS1_23onesweep_lookback_stateEbbT6_jjT7_P12ihipStream_tbENKUlT_T0_SG_SL_E_clIS7_S7_SB_PlEEDaSZ_S10_SG_SL_EUlSZ_E_NS1_11comp_targetILNS1_3genE0ELNS1_11target_archE4294967295ELNS1_3gpuE0ELNS1_3repE0EEENS1_47radix_sort_onesweep_sort_config_static_selectorELNS0_4arch9wavefront6targetE1EEEvSG_.num_vgpr, 0
	.set _ZN7rocprim17ROCPRIM_400000_NS6detail17trampoline_kernelINS0_14default_configENS1_35radix_sort_onesweep_config_selectorIflEEZZNS1_29radix_sort_onesweep_iterationIS3_Lb0EPfS7_N6thrust23THRUST_200600_302600_NS10device_ptrIlEESB_jNS0_19identity_decomposerENS1_16block_id_wrapperIjLb1EEEEE10hipError_tT1_PNSt15iterator_traitsISG_E10value_typeET2_T3_PNSH_ISM_E10value_typeET4_T5_PSR_SS_PNS1_23onesweep_lookback_stateEbbT6_jjT7_P12ihipStream_tbENKUlT_T0_SG_SL_E_clIS7_S7_SB_PlEEDaSZ_S10_SG_SL_EUlSZ_E_NS1_11comp_targetILNS1_3genE0ELNS1_11target_archE4294967295ELNS1_3gpuE0ELNS1_3repE0EEENS1_47radix_sort_onesweep_sort_config_static_selectorELNS0_4arch9wavefront6targetE1EEEvSG_.num_agpr, 0
	.set _ZN7rocprim17ROCPRIM_400000_NS6detail17trampoline_kernelINS0_14default_configENS1_35radix_sort_onesweep_config_selectorIflEEZZNS1_29radix_sort_onesweep_iterationIS3_Lb0EPfS7_N6thrust23THRUST_200600_302600_NS10device_ptrIlEESB_jNS0_19identity_decomposerENS1_16block_id_wrapperIjLb1EEEEE10hipError_tT1_PNSt15iterator_traitsISG_E10value_typeET2_T3_PNSH_ISM_E10value_typeET4_T5_PSR_SS_PNS1_23onesweep_lookback_stateEbbT6_jjT7_P12ihipStream_tbENKUlT_T0_SG_SL_E_clIS7_S7_SB_PlEEDaSZ_S10_SG_SL_EUlSZ_E_NS1_11comp_targetILNS1_3genE0ELNS1_11target_archE4294967295ELNS1_3gpuE0ELNS1_3repE0EEENS1_47radix_sort_onesweep_sort_config_static_selectorELNS0_4arch9wavefront6targetE1EEEvSG_.numbered_sgpr, 0
	.set _ZN7rocprim17ROCPRIM_400000_NS6detail17trampoline_kernelINS0_14default_configENS1_35radix_sort_onesweep_config_selectorIflEEZZNS1_29radix_sort_onesweep_iterationIS3_Lb0EPfS7_N6thrust23THRUST_200600_302600_NS10device_ptrIlEESB_jNS0_19identity_decomposerENS1_16block_id_wrapperIjLb1EEEEE10hipError_tT1_PNSt15iterator_traitsISG_E10value_typeET2_T3_PNSH_ISM_E10value_typeET4_T5_PSR_SS_PNS1_23onesweep_lookback_stateEbbT6_jjT7_P12ihipStream_tbENKUlT_T0_SG_SL_E_clIS7_S7_SB_PlEEDaSZ_S10_SG_SL_EUlSZ_E_NS1_11comp_targetILNS1_3genE0ELNS1_11target_archE4294967295ELNS1_3gpuE0ELNS1_3repE0EEENS1_47radix_sort_onesweep_sort_config_static_selectorELNS0_4arch9wavefront6targetE1EEEvSG_.num_named_barrier, 0
	.set _ZN7rocprim17ROCPRIM_400000_NS6detail17trampoline_kernelINS0_14default_configENS1_35radix_sort_onesweep_config_selectorIflEEZZNS1_29radix_sort_onesweep_iterationIS3_Lb0EPfS7_N6thrust23THRUST_200600_302600_NS10device_ptrIlEESB_jNS0_19identity_decomposerENS1_16block_id_wrapperIjLb1EEEEE10hipError_tT1_PNSt15iterator_traitsISG_E10value_typeET2_T3_PNSH_ISM_E10value_typeET4_T5_PSR_SS_PNS1_23onesweep_lookback_stateEbbT6_jjT7_P12ihipStream_tbENKUlT_T0_SG_SL_E_clIS7_S7_SB_PlEEDaSZ_S10_SG_SL_EUlSZ_E_NS1_11comp_targetILNS1_3genE0ELNS1_11target_archE4294967295ELNS1_3gpuE0ELNS1_3repE0EEENS1_47radix_sort_onesweep_sort_config_static_selectorELNS0_4arch9wavefront6targetE1EEEvSG_.private_seg_size, 0
	.set _ZN7rocprim17ROCPRIM_400000_NS6detail17trampoline_kernelINS0_14default_configENS1_35radix_sort_onesweep_config_selectorIflEEZZNS1_29radix_sort_onesweep_iterationIS3_Lb0EPfS7_N6thrust23THRUST_200600_302600_NS10device_ptrIlEESB_jNS0_19identity_decomposerENS1_16block_id_wrapperIjLb1EEEEE10hipError_tT1_PNSt15iterator_traitsISG_E10value_typeET2_T3_PNSH_ISM_E10value_typeET4_T5_PSR_SS_PNS1_23onesweep_lookback_stateEbbT6_jjT7_P12ihipStream_tbENKUlT_T0_SG_SL_E_clIS7_S7_SB_PlEEDaSZ_S10_SG_SL_EUlSZ_E_NS1_11comp_targetILNS1_3genE0ELNS1_11target_archE4294967295ELNS1_3gpuE0ELNS1_3repE0EEENS1_47radix_sort_onesweep_sort_config_static_selectorELNS0_4arch9wavefront6targetE1EEEvSG_.uses_vcc, 0
	.set _ZN7rocprim17ROCPRIM_400000_NS6detail17trampoline_kernelINS0_14default_configENS1_35radix_sort_onesweep_config_selectorIflEEZZNS1_29radix_sort_onesweep_iterationIS3_Lb0EPfS7_N6thrust23THRUST_200600_302600_NS10device_ptrIlEESB_jNS0_19identity_decomposerENS1_16block_id_wrapperIjLb1EEEEE10hipError_tT1_PNSt15iterator_traitsISG_E10value_typeET2_T3_PNSH_ISM_E10value_typeET4_T5_PSR_SS_PNS1_23onesweep_lookback_stateEbbT6_jjT7_P12ihipStream_tbENKUlT_T0_SG_SL_E_clIS7_S7_SB_PlEEDaSZ_S10_SG_SL_EUlSZ_E_NS1_11comp_targetILNS1_3genE0ELNS1_11target_archE4294967295ELNS1_3gpuE0ELNS1_3repE0EEENS1_47radix_sort_onesweep_sort_config_static_selectorELNS0_4arch9wavefront6targetE1EEEvSG_.uses_flat_scratch, 0
	.set _ZN7rocprim17ROCPRIM_400000_NS6detail17trampoline_kernelINS0_14default_configENS1_35radix_sort_onesweep_config_selectorIflEEZZNS1_29radix_sort_onesweep_iterationIS3_Lb0EPfS7_N6thrust23THRUST_200600_302600_NS10device_ptrIlEESB_jNS0_19identity_decomposerENS1_16block_id_wrapperIjLb1EEEEE10hipError_tT1_PNSt15iterator_traitsISG_E10value_typeET2_T3_PNSH_ISM_E10value_typeET4_T5_PSR_SS_PNS1_23onesweep_lookback_stateEbbT6_jjT7_P12ihipStream_tbENKUlT_T0_SG_SL_E_clIS7_S7_SB_PlEEDaSZ_S10_SG_SL_EUlSZ_E_NS1_11comp_targetILNS1_3genE0ELNS1_11target_archE4294967295ELNS1_3gpuE0ELNS1_3repE0EEENS1_47radix_sort_onesweep_sort_config_static_selectorELNS0_4arch9wavefront6targetE1EEEvSG_.has_dyn_sized_stack, 0
	.set _ZN7rocprim17ROCPRIM_400000_NS6detail17trampoline_kernelINS0_14default_configENS1_35radix_sort_onesweep_config_selectorIflEEZZNS1_29radix_sort_onesweep_iterationIS3_Lb0EPfS7_N6thrust23THRUST_200600_302600_NS10device_ptrIlEESB_jNS0_19identity_decomposerENS1_16block_id_wrapperIjLb1EEEEE10hipError_tT1_PNSt15iterator_traitsISG_E10value_typeET2_T3_PNSH_ISM_E10value_typeET4_T5_PSR_SS_PNS1_23onesweep_lookback_stateEbbT6_jjT7_P12ihipStream_tbENKUlT_T0_SG_SL_E_clIS7_S7_SB_PlEEDaSZ_S10_SG_SL_EUlSZ_E_NS1_11comp_targetILNS1_3genE0ELNS1_11target_archE4294967295ELNS1_3gpuE0ELNS1_3repE0EEENS1_47radix_sort_onesweep_sort_config_static_selectorELNS0_4arch9wavefront6targetE1EEEvSG_.has_recursion, 0
	.set _ZN7rocprim17ROCPRIM_400000_NS6detail17trampoline_kernelINS0_14default_configENS1_35radix_sort_onesweep_config_selectorIflEEZZNS1_29radix_sort_onesweep_iterationIS3_Lb0EPfS7_N6thrust23THRUST_200600_302600_NS10device_ptrIlEESB_jNS0_19identity_decomposerENS1_16block_id_wrapperIjLb1EEEEE10hipError_tT1_PNSt15iterator_traitsISG_E10value_typeET2_T3_PNSH_ISM_E10value_typeET4_T5_PSR_SS_PNS1_23onesweep_lookback_stateEbbT6_jjT7_P12ihipStream_tbENKUlT_T0_SG_SL_E_clIS7_S7_SB_PlEEDaSZ_S10_SG_SL_EUlSZ_E_NS1_11comp_targetILNS1_3genE0ELNS1_11target_archE4294967295ELNS1_3gpuE0ELNS1_3repE0EEENS1_47radix_sort_onesweep_sort_config_static_selectorELNS0_4arch9wavefront6targetE1EEEvSG_.has_indirect_call, 0
	.section	.AMDGPU.csdata,"",@progbits
; Kernel info:
; codeLenInByte = 0
; TotalNumSgprs: 4
; NumVgprs: 0
; ScratchSize: 0
; MemoryBound: 0
; FloatMode: 240
; IeeeMode: 1
; LDSByteSize: 0 bytes/workgroup (compile time only)
; SGPRBlocks: 0
; VGPRBlocks: 0
; NumSGPRsForWavesPerEU: 4
; NumVGPRsForWavesPerEU: 1
; Occupancy: 10
; WaveLimiterHint : 0
; COMPUTE_PGM_RSRC2:SCRATCH_EN: 0
; COMPUTE_PGM_RSRC2:USER_SGPR: 6
; COMPUTE_PGM_RSRC2:TRAP_HANDLER: 0
; COMPUTE_PGM_RSRC2:TGID_X_EN: 1
; COMPUTE_PGM_RSRC2:TGID_Y_EN: 0
; COMPUTE_PGM_RSRC2:TGID_Z_EN: 0
; COMPUTE_PGM_RSRC2:TIDIG_COMP_CNT: 0
	.section	.text._ZN7rocprim17ROCPRIM_400000_NS6detail17trampoline_kernelINS0_14default_configENS1_35radix_sort_onesweep_config_selectorIflEEZZNS1_29radix_sort_onesweep_iterationIS3_Lb0EPfS7_N6thrust23THRUST_200600_302600_NS10device_ptrIlEESB_jNS0_19identity_decomposerENS1_16block_id_wrapperIjLb1EEEEE10hipError_tT1_PNSt15iterator_traitsISG_E10value_typeET2_T3_PNSH_ISM_E10value_typeET4_T5_PSR_SS_PNS1_23onesweep_lookback_stateEbbT6_jjT7_P12ihipStream_tbENKUlT_T0_SG_SL_E_clIS7_S7_SB_PlEEDaSZ_S10_SG_SL_EUlSZ_E_NS1_11comp_targetILNS1_3genE6ELNS1_11target_archE950ELNS1_3gpuE13ELNS1_3repE0EEENS1_47radix_sort_onesweep_sort_config_static_selectorELNS0_4arch9wavefront6targetE1EEEvSG_,"axG",@progbits,_ZN7rocprim17ROCPRIM_400000_NS6detail17trampoline_kernelINS0_14default_configENS1_35radix_sort_onesweep_config_selectorIflEEZZNS1_29radix_sort_onesweep_iterationIS3_Lb0EPfS7_N6thrust23THRUST_200600_302600_NS10device_ptrIlEESB_jNS0_19identity_decomposerENS1_16block_id_wrapperIjLb1EEEEE10hipError_tT1_PNSt15iterator_traitsISG_E10value_typeET2_T3_PNSH_ISM_E10value_typeET4_T5_PSR_SS_PNS1_23onesweep_lookback_stateEbbT6_jjT7_P12ihipStream_tbENKUlT_T0_SG_SL_E_clIS7_S7_SB_PlEEDaSZ_S10_SG_SL_EUlSZ_E_NS1_11comp_targetILNS1_3genE6ELNS1_11target_archE950ELNS1_3gpuE13ELNS1_3repE0EEENS1_47radix_sort_onesweep_sort_config_static_selectorELNS0_4arch9wavefront6targetE1EEEvSG_,comdat
	.protected	_ZN7rocprim17ROCPRIM_400000_NS6detail17trampoline_kernelINS0_14default_configENS1_35radix_sort_onesweep_config_selectorIflEEZZNS1_29radix_sort_onesweep_iterationIS3_Lb0EPfS7_N6thrust23THRUST_200600_302600_NS10device_ptrIlEESB_jNS0_19identity_decomposerENS1_16block_id_wrapperIjLb1EEEEE10hipError_tT1_PNSt15iterator_traitsISG_E10value_typeET2_T3_PNSH_ISM_E10value_typeET4_T5_PSR_SS_PNS1_23onesweep_lookback_stateEbbT6_jjT7_P12ihipStream_tbENKUlT_T0_SG_SL_E_clIS7_S7_SB_PlEEDaSZ_S10_SG_SL_EUlSZ_E_NS1_11comp_targetILNS1_3genE6ELNS1_11target_archE950ELNS1_3gpuE13ELNS1_3repE0EEENS1_47radix_sort_onesweep_sort_config_static_selectorELNS0_4arch9wavefront6targetE1EEEvSG_ ; -- Begin function _ZN7rocprim17ROCPRIM_400000_NS6detail17trampoline_kernelINS0_14default_configENS1_35radix_sort_onesweep_config_selectorIflEEZZNS1_29radix_sort_onesweep_iterationIS3_Lb0EPfS7_N6thrust23THRUST_200600_302600_NS10device_ptrIlEESB_jNS0_19identity_decomposerENS1_16block_id_wrapperIjLb1EEEEE10hipError_tT1_PNSt15iterator_traitsISG_E10value_typeET2_T3_PNSH_ISM_E10value_typeET4_T5_PSR_SS_PNS1_23onesweep_lookback_stateEbbT6_jjT7_P12ihipStream_tbENKUlT_T0_SG_SL_E_clIS7_S7_SB_PlEEDaSZ_S10_SG_SL_EUlSZ_E_NS1_11comp_targetILNS1_3genE6ELNS1_11target_archE950ELNS1_3gpuE13ELNS1_3repE0EEENS1_47radix_sort_onesweep_sort_config_static_selectorELNS0_4arch9wavefront6targetE1EEEvSG_
	.globl	_ZN7rocprim17ROCPRIM_400000_NS6detail17trampoline_kernelINS0_14default_configENS1_35radix_sort_onesweep_config_selectorIflEEZZNS1_29radix_sort_onesweep_iterationIS3_Lb0EPfS7_N6thrust23THRUST_200600_302600_NS10device_ptrIlEESB_jNS0_19identity_decomposerENS1_16block_id_wrapperIjLb1EEEEE10hipError_tT1_PNSt15iterator_traitsISG_E10value_typeET2_T3_PNSH_ISM_E10value_typeET4_T5_PSR_SS_PNS1_23onesweep_lookback_stateEbbT6_jjT7_P12ihipStream_tbENKUlT_T0_SG_SL_E_clIS7_S7_SB_PlEEDaSZ_S10_SG_SL_EUlSZ_E_NS1_11comp_targetILNS1_3genE6ELNS1_11target_archE950ELNS1_3gpuE13ELNS1_3repE0EEENS1_47radix_sort_onesweep_sort_config_static_selectorELNS0_4arch9wavefront6targetE1EEEvSG_
	.p2align	8
	.type	_ZN7rocprim17ROCPRIM_400000_NS6detail17trampoline_kernelINS0_14default_configENS1_35radix_sort_onesweep_config_selectorIflEEZZNS1_29radix_sort_onesweep_iterationIS3_Lb0EPfS7_N6thrust23THRUST_200600_302600_NS10device_ptrIlEESB_jNS0_19identity_decomposerENS1_16block_id_wrapperIjLb1EEEEE10hipError_tT1_PNSt15iterator_traitsISG_E10value_typeET2_T3_PNSH_ISM_E10value_typeET4_T5_PSR_SS_PNS1_23onesweep_lookback_stateEbbT6_jjT7_P12ihipStream_tbENKUlT_T0_SG_SL_E_clIS7_S7_SB_PlEEDaSZ_S10_SG_SL_EUlSZ_E_NS1_11comp_targetILNS1_3genE6ELNS1_11target_archE950ELNS1_3gpuE13ELNS1_3repE0EEENS1_47radix_sort_onesweep_sort_config_static_selectorELNS0_4arch9wavefront6targetE1EEEvSG_,@function
_ZN7rocprim17ROCPRIM_400000_NS6detail17trampoline_kernelINS0_14default_configENS1_35radix_sort_onesweep_config_selectorIflEEZZNS1_29radix_sort_onesweep_iterationIS3_Lb0EPfS7_N6thrust23THRUST_200600_302600_NS10device_ptrIlEESB_jNS0_19identity_decomposerENS1_16block_id_wrapperIjLb1EEEEE10hipError_tT1_PNSt15iterator_traitsISG_E10value_typeET2_T3_PNSH_ISM_E10value_typeET4_T5_PSR_SS_PNS1_23onesweep_lookback_stateEbbT6_jjT7_P12ihipStream_tbENKUlT_T0_SG_SL_E_clIS7_S7_SB_PlEEDaSZ_S10_SG_SL_EUlSZ_E_NS1_11comp_targetILNS1_3genE6ELNS1_11target_archE950ELNS1_3gpuE13ELNS1_3repE0EEENS1_47radix_sort_onesweep_sort_config_static_selectorELNS0_4arch9wavefront6targetE1EEEvSG_: ; @_ZN7rocprim17ROCPRIM_400000_NS6detail17trampoline_kernelINS0_14default_configENS1_35radix_sort_onesweep_config_selectorIflEEZZNS1_29radix_sort_onesweep_iterationIS3_Lb0EPfS7_N6thrust23THRUST_200600_302600_NS10device_ptrIlEESB_jNS0_19identity_decomposerENS1_16block_id_wrapperIjLb1EEEEE10hipError_tT1_PNSt15iterator_traitsISG_E10value_typeET2_T3_PNSH_ISM_E10value_typeET4_T5_PSR_SS_PNS1_23onesweep_lookback_stateEbbT6_jjT7_P12ihipStream_tbENKUlT_T0_SG_SL_E_clIS7_S7_SB_PlEEDaSZ_S10_SG_SL_EUlSZ_E_NS1_11comp_targetILNS1_3genE6ELNS1_11target_archE950ELNS1_3gpuE13ELNS1_3repE0EEENS1_47radix_sort_onesweep_sort_config_static_selectorELNS0_4arch9wavefront6targetE1EEEvSG_
; %bb.0:
	.section	.rodata,"a",@progbits
	.p2align	6, 0x0
	.amdhsa_kernel _ZN7rocprim17ROCPRIM_400000_NS6detail17trampoline_kernelINS0_14default_configENS1_35radix_sort_onesweep_config_selectorIflEEZZNS1_29radix_sort_onesweep_iterationIS3_Lb0EPfS7_N6thrust23THRUST_200600_302600_NS10device_ptrIlEESB_jNS0_19identity_decomposerENS1_16block_id_wrapperIjLb1EEEEE10hipError_tT1_PNSt15iterator_traitsISG_E10value_typeET2_T3_PNSH_ISM_E10value_typeET4_T5_PSR_SS_PNS1_23onesweep_lookback_stateEbbT6_jjT7_P12ihipStream_tbENKUlT_T0_SG_SL_E_clIS7_S7_SB_PlEEDaSZ_S10_SG_SL_EUlSZ_E_NS1_11comp_targetILNS1_3genE6ELNS1_11target_archE950ELNS1_3gpuE13ELNS1_3repE0EEENS1_47radix_sort_onesweep_sort_config_static_selectorELNS0_4arch9wavefront6targetE1EEEvSG_
		.amdhsa_group_segment_fixed_size 0
		.amdhsa_private_segment_fixed_size 0
		.amdhsa_kernarg_size 88
		.amdhsa_user_sgpr_count 6
		.amdhsa_user_sgpr_private_segment_buffer 1
		.amdhsa_user_sgpr_dispatch_ptr 0
		.amdhsa_user_sgpr_queue_ptr 0
		.amdhsa_user_sgpr_kernarg_segment_ptr 1
		.amdhsa_user_sgpr_dispatch_id 0
		.amdhsa_user_sgpr_flat_scratch_init 0
		.amdhsa_user_sgpr_private_segment_size 0
		.amdhsa_uses_dynamic_stack 0
		.amdhsa_system_sgpr_private_segment_wavefront_offset 0
		.amdhsa_system_sgpr_workgroup_id_x 1
		.amdhsa_system_sgpr_workgroup_id_y 0
		.amdhsa_system_sgpr_workgroup_id_z 0
		.amdhsa_system_sgpr_workgroup_info 0
		.amdhsa_system_vgpr_workitem_id 0
		.amdhsa_next_free_vgpr 1
		.amdhsa_next_free_sgpr 0
		.amdhsa_reserve_vcc 0
		.amdhsa_reserve_flat_scratch 0
		.amdhsa_float_round_mode_32 0
		.amdhsa_float_round_mode_16_64 0
		.amdhsa_float_denorm_mode_32 3
		.amdhsa_float_denorm_mode_16_64 3
		.amdhsa_dx10_clamp 1
		.amdhsa_ieee_mode 1
		.amdhsa_fp16_overflow 0
		.amdhsa_exception_fp_ieee_invalid_op 0
		.amdhsa_exception_fp_denorm_src 0
		.amdhsa_exception_fp_ieee_div_zero 0
		.amdhsa_exception_fp_ieee_overflow 0
		.amdhsa_exception_fp_ieee_underflow 0
		.amdhsa_exception_fp_ieee_inexact 0
		.amdhsa_exception_int_div_zero 0
	.end_amdhsa_kernel
	.section	.text._ZN7rocprim17ROCPRIM_400000_NS6detail17trampoline_kernelINS0_14default_configENS1_35radix_sort_onesweep_config_selectorIflEEZZNS1_29radix_sort_onesweep_iterationIS3_Lb0EPfS7_N6thrust23THRUST_200600_302600_NS10device_ptrIlEESB_jNS0_19identity_decomposerENS1_16block_id_wrapperIjLb1EEEEE10hipError_tT1_PNSt15iterator_traitsISG_E10value_typeET2_T3_PNSH_ISM_E10value_typeET4_T5_PSR_SS_PNS1_23onesweep_lookback_stateEbbT6_jjT7_P12ihipStream_tbENKUlT_T0_SG_SL_E_clIS7_S7_SB_PlEEDaSZ_S10_SG_SL_EUlSZ_E_NS1_11comp_targetILNS1_3genE6ELNS1_11target_archE950ELNS1_3gpuE13ELNS1_3repE0EEENS1_47radix_sort_onesweep_sort_config_static_selectorELNS0_4arch9wavefront6targetE1EEEvSG_,"axG",@progbits,_ZN7rocprim17ROCPRIM_400000_NS6detail17trampoline_kernelINS0_14default_configENS1_35radix_sort_onesweep_config_selectorIflEEZZNS1_29radix_sort_onesweep_iterationIS3_Lb0EPfS7_N6thrust23THRUST_200600_302600_NS10device_ptrIlEESB_jNS0_19identity_decomposerENS1_16block_id_wrapperIjLb1EEEEE10hipError_tT1_PNSt15iterator_traitsISG_E10value_typeET2_T3_PNSH_ISM_E10value_typeET4_T5_PSR_SS_PNS1_23onesweep_lookback_stateEbbT6_jjT7_P12ihipStream_tbENKUlT_T0_SG_SL_E_clIS7_S7_SB_PlEEDaSZ_S10_SG_SL_EUlSZ_E_NS1_11comp_targetILNS1_3genE6ELNS1_11target_archE950ELNS1_3gpuE13ELNS1_3repE0EEENS1_47radix_sort_onesweep_sort_config_static_selectorELNS0_4arch9wavefront6targetE1EEEvSG_,comdat
.Lfunc_end1844:
	.size	_ZN7rocprim17ROCPRIM_400000_NS6detail17trampoline_kernelINS0_14default_configENS1_35radix_sort_onesweep_config_selectorIflEEZZNS1_29radix_sort_onesweep_iterationIS3_Lb0EPfS7_N6thrust23THRUST_200600_302600_NS10device_ptrIlEESB_jNS0_19identity_decomposerENS1_16block_id_wrapperIjLb1EEEEE10hipError_tT1_PNSt15iterator_traitsISG_E10value_typeET2_T3_PNSH_ISM_E10value_typeET4_T5_PSR_SS_PNS1_23onesweep_lookback_stateEbbT6_jjT7_P12ihipStream_tbENKUlT_T0_SG_SL_E_clIS7_S7_SB_PlEEDaSZ_S10_SG_SL_EUlSZ_E_NS1_11comp_targetILNS1_3genE6ELNS1_11target_archE950ELNS1_3gpuE13ELNS1_3repE0EEENS1_47radix_sort_onesweep_sort_config_static_selectorELNS0_4arch9wavefront6targetE1EEEvSG_, .Lfunc_end1844-_ZN7rocprim17ROCPRIM_400000_NS6detail17trampoline_kernelINS0_14default_configENS1_35radix_sort_onesweep_config_selectorIflEEZZNS1_29radix_sort_onesweep_iterationIS3_Lb0EPfS7_N6thrust23THRUST_200600_302600_NS10device_ptrIlEESB_jNS0_19identity_decomposerENS1_16block_id_wrapperIjLb1EEEEE10hipError_tT1_PNSt15iterator_traitsISG_E10value_typeET2_T3_PNSH_ISM_E10value_typeET4_T5_PSR_SS_PNS1_23onesweep_lookback_stateEbbT6_jjT7_P12ihipStream_tbENKUlT_T0_SG_SL_E_clIS7_S7_SB_PlEEDaSZ_S10_SG_SL_EUlSZ_E_NS1_11comp_targetILNS1_3genE6ELNS1_11target_archE950ELNS1_3gpuE13ELNS1_3repE0EEENS1_47radix_sort_onesweep_sort_config_static_selectorELNS0_4arch9wavefront6targetE1EEEvSG_
                                        ; -- End function
	.set _ZN7rocprim17ROCPRIM_400000_NS6detail17trampoline_kernelINS0_14default_configENS1_35radix_sort_onesweep_config_selectorIflEEZZNS1_29radix_sort_onesweep_iterationIS3_Lb0EPfS7_N6thrust23THRUST_200600_302600_NS10device_ptrIlEESB_jNS0_19identity_decomposerENS1_16block_id_wrapperIjLb1EEEEE10hipError_tT1_PNSt15iterator_traitsISG_E10value_typeET2_T3_PNSH_ISM_E10value_typeET4_T5_PSR_SS_PNS1_23onesweep_lookback_stateEbbT6_jjT7_P12ihipStream_tbENKUlT_T0_SG_SL_E_clIS7_S7_SB_PlEEDaSZ_S10_SG_SL_EUlSZ_E_NS1_11comp_targetILNS1_3genE6ELNS1_11target_archE950ELNS1_3gpuE13ELNS1_3repE0EEENS1_47radix_sort_onesweep_sort_config_static_selectorELNS0_4arch9wavefront6targetE1EEEvSG_.num_vgpr, 0
	.set _ZN7rocprim17ROCPRIM_400000_NS6detail17trampoline_kernelINS0_14default_configENS1_35radix_sort_onesweep_config_selectorIflEEZZNS1_29radix_sort_onesweep_iterationIS3_Lb0EPfS7_N6thrust23THRUST_200600_302600_NS10device_ptrIlEESB_jNS0_19identity_decomposerENS1_16block_id_wrapperIjLb1EEEEE10hipError_tT1_PNSt15iterator_traitsISG_E10value_typeET2_T3_PNSH_ISM_E10value_typeET4_T5_PSR_SS_PNS1_23onesweep_lookback_stateEbbT6_jjT7_P12ihipStream_tbENKUlT_T0_SG_SL_E_clIS7_S7_SB_PlEEDaSZ_S10_SG_SL_EUlSZ_E_NS1_11comp_targetILNS1_3genE6ELNS1_11target_archE950ELNS1_3gpuE13ELNS1_3repE0EEENS1_47radix_sort_onesweep_sort_config_static_selectorELNS0_4arch9wavefront6targetE1EEEvSG_.num_agpr, 0
	.set _ZN7rocprim17ROCPRIM_400000_NS6detail17trampoline_kernelINS0_14default_configENS1_35radix_sort_onesweep_config_selectorIflEEZZNS1_29radix_sort_onesweep_iterationIS3_Lb0EPfS7_N6thrust23THRUST_200600_302600_NS10device_ptrIlEESB_jNS0_19identity_decomposerENS1_16block_id_wrapperIjLb1EEEEE10hipError_tT1_PNSt15iterator_traitsISG_E10value_typeET2_T3_PNSH_ISM_E10value_typeET4_T5_PSR_SS_PNS1_23onesweep_lookback_stateEbbT6_jjT7_P12ihipStream_tbENKUlT_T0_SG_SL_E_clIS7_S7_SB_PlEEDaSZ_S10_SG_SL_EUlSZ_E_NS1_11comp_targetILNS1_3genE6ELNS1_11target_archE950ELNS1_3gpuE13ELNS1_3repE0EEENS1_47radix_sort_onesweep_sort_config_static_selectorELNS0_4arch9wavefront6targetE1EEEvSG_.numbered_sgpr, 0
	.set _ZN7rocprim17ROCPRIM_400000_NS6detail17trampoline_kernelINS0_14default_configENS1_35radix_sort_onesweep_config_selectorIflEEZZNS1_29radix_sort_onesweep_iterationIS3_Lb0EPfS7_N6thrust23THRUST_200600_302600_NS10device_ptrIlEESB_jNS0_19identity_decomposerENS1_16block_id_wrapperIjLb1EEEEE10hipError_tT1_PNSt15iterator_traitsISG_E10value_typeET2_T3_PNSH_ISM_E10value_typeET4_T5_PSR_SS_PNS1_23onesweep_lookback_stateEbbT6_jjT7_P12ihipStream_tbENKUlT_T0_SG_SL_E_clIS7_S7_SB_PlEEDaSZ_S10_SG_SL_EUlSZ_E_NS1_11comp_targetILNS1_3genE6ELNS1_11target_archE950ELNS1_3gpuE13ELNS1_3repE0EEENS1_47radix_sort_onesweep_sort_config_static_selectorELNS0_4arch9wavefront6targetE1EEEvSG_.num_named_barrier, 0
	.set _ZN7rocprim17ROCPRIM_400000_NS6detail17trampoline_kernelINS0_14default_configENS1_35radix_sort_onesweep_config_selectorIflEEZZNS1_29radix_sort_onesweep_iterationIS3_Lb0EPfS7_N6thrust23THRUST_200600_302600_NS10device_ptrIlEESB_jNS0_19identity_decomposerENS1_16block_id_wrapperIjLb1EEEEE10hipError_tT1_PNSt15iterator_traitsISG_E10value_typeET2_T3_PNSH_ISM_E10value_typeET4_T5_PSR_SS_PNS1_23onesweep_lookback_stateEbbT6_jjT7_P12ihipStream_tbENKUlT_T0_SG_SL_E_clIS7_S7_SB_PlEEDaSZ_S10_SG_SL_EUlSZ_E_NS1_11comp_targetILNS1_3genE6ELNS1_11target_archE950ELNS1_3gpuE13ELNS1_3repE0EEENS1_47radix_sort_onesweep_sort_config_static_selectorELNS0_4arch9wavefront6targetE1EEEvSG_.private_seg_size, 0
	.set _ZN7rocprim17ROCPRIM_400000_NS6detail17trampoline_kernelINS0_14default_configENS1_35radix_sort_onesweep_config_selectorIflEEZZNS1_29radix_sort_onesweep_iterationIS3_Lb0EPfS7_N6thrust23THRUST_200600_302600_NS10device_ptrIlEESB_jNS0_19identity_decomposerENS1_16block_id_wrapperIjLb1EEEEE10hipError_tT1_PNSt15iterator_traitsISG_E10value_typeET2_T3_PNSH_ISM_E10value_typeET4_T5_PSR_SS_PNS1_23onesweep_lookback_stateEbbT6_jjT7_P12ihipStream_tbENKUlT_T0_SG_SL_E_clIS7_S7_SB_PlEEDaSZ_S10_SG_SL_EUlSZ_E_NS1_11comp_targetILNS1_3genE6ELNS1_11target_archE950ELNS1_3gpuE13ELNS1_3repE0EEENS1_47radix_sort_onesweep_sort_config_static_selectorELNS0_4arch9wavefront6targetE1EEEvSG_.uses_vcc, 0
	.set _ZN7rocprim17ROCPRIM_400000_NS6detail17trampoline_kernelINS0_14default_configENS1_35radix_sort_onesweep_config_selectorIflEEZZNS1_29radix_sort_onesweep_iterationIS3_Lb0EPfS7_N6thrust23THRUST_200600_302600_NS10device_ptrIlEESB_jNS0_19identity_decomposerENS1_16block_id_wrapperIjLb1EEEEE10hipError_tT1_PNSt15iterator_traitsISG_E10value_typeET2_T3_PNSH_ISM_E10value_typeET4_T5_PSR_SS_PNS1_23onesweep_lookback_stateEbbT6_jjT7_P12ihipStream_tbENKUlT_T0_SG_SL_E_clIS7_S7_SB_PlEEDaSZ_S10_SG_SL_EUlSZ_E_NS1_11comp_targetILNS1_3genE6ELNS1_11target_archE950ELNS1_3gpuE13ELNS1_3repE0EEENS1_47radix_sort_onesweep_sort_config_static_selectorELNS0_4arch9wavefront6targetE1EEEvSG_.uses_flat_scratch, 0
	.set _ZN7rocprim17ROCPRIM_400000_NS6detail17trampoline_kernelINS0_14default_configENS1_35radix_sort_onesweep_config_selectorIflEEZZNS1_29radix_sort_onesweep_iterationIS3_Lb0EPfS7_N6thrust23THRUST_200600_302600_NS10device_ptrIlEESB_jNS0_19identity_decomposerENS1_16block_id_wrapperIjLb1EEEEE10hipError_tT1_PNSt15iterator_traitsISG_E10value_typeET2_T3_PNSH_ISM_E10value_typeET4_T5_PSR_SS_PNS1_23onesweep_lookback_stateEbbT6_jjT7_P12ihipStream_tbENKUlT_T0_SG_SL_E_clIS7_S7_SB_PlEEDaSZ_S10_SG_SL_EUlSZ_E_NS1_11comp_targetILNS1_3genE6ELNS1_11target_archE950ELNS1_3gpuE13ELNS1_3repE0EEENS1_47radix_sort_onesweep_sort_config_static_selectorELNS0_4arch9wavefront6targetE1EEEvSG_.has_dyn_sized_stack, 0
	.set _ZN7rocprim17ROCPRIM_400000_NS6detail17trampoline_kernelINS0_14default_configENS1_35radix_sort_onesweep_config_selectorIflEEZZNS1_29radix_sort_onesweep_iterationIS3_Lb0EPfS7_N6thrust23THRUST_200600_302600_NS10device_ptrIlEESB_jNS0_19identity_decomposerENS1_16block_id_wrapperIjLb1EEEEE10hipError_tT1_PNSt15iterator_traitsISG_E10value_typeET2_T3_PNSH_ISM_E10value_typeET4_T5_PSR_SS_PNS1_23onesweep_lookback_stateEbbT6_jjT7_P12ihipStream_tbENKUlT_T0_SG_SL_E_clIS7_S7_SB_PlEEDaSZ_S10_SG_SL_EUlSZ_E_NS1_11comp_targetILNS1_3genE6ELNS1_11target_archE950ELNS1_3gpuE13ELNS1_3repE0EEENS1_47radix_sort_onesweep_sort_config_static_selectorELNS0_4arch9wavefront6targetE1EEEvSG_.has_recursion, 0
	.set _ZN7rocprim17ROCPRIM_400000_NS6detail17trampoline_kernelINS0_14default_configENS1_35radix_sort_onesweep_config_selectorIflEEZZNS1_29radix_sort_onesweep_iterationIS3_Lb0EPfS7_N6thrust23THRUST_200600_302600_NS10device_ptrIlEESB_jNS0_19identity_decomposerENS1_16block_id_wrapperIjLb1EEEEE10hipError_tT1_PNSt15iterator_traitsISG_E10value_typeET2_T3_PNSH_ISM_E10value_typeET4_T5_PSR_SS_PNS1_23onesweep_lookback_stateEbbT6_jjT7_P12ihipStream_tbENKUlT_T0_SG_SL_E_clIS7_S7_SB_PlEEDaSZ_S10_SG_SL_EUlSZ_E_NS1_11comp_targetILNS1_3genE6ELNS1_11target_archE950ELNS1_3gpuE13ELNS1_3repE0EEENS1_47radix_sort_onesweep_sort_config_static_selectorELNS0_4arch9wavefront6targetE1EEEvSG_.has_indirect_call, 0
	.section	.AMDGPU.csdata,"",@progbits
; Kernel info:
; codeLenInByte = 0
; TotalNumSgprs: 4
; NumVgprs: 0
; ScratchSize: 0
; MemoryBound: 0
; FloatMode: 240
; IeeeMode: 1
; LDSByteSize: 0 bytes/workgroup (compile time only)
; SGPRBlocks: 0
; VGPRBlocks: 0
; NumSGPRsForWavesPerEU: 4
; NumVGPRsForWavesPerEU: 1
; Occupancy: 10
; WaveLimiterHint : 0
; COMPUTE_PGM_RSRC2:SCRATCH_EN: 0
; COMPUTE_PGM_RSRC2:USER_SGPR: 6
; COMPUTE_PGM_RSRC2:TRAP_HANDLER: 0
; COMPUTE_PGM_RSRC2:TGID_X_EN: 1
; COMPUTE_PGM_RSRC2:TGID_Y_EN: 0
; COMPUTE_PGM_RSRC2:TGID_Z_EN: 0
; COMPUTE_PGM_RSRC2:TIDIG_COMP_CNT: 0
	.section	.text._ZN7rocprim17ROCPRIM_400000_NS6detail17trampoline_kernelINS0_14default_configENS1_35radix_sort_onesweep_config_selectorIflEEZZNS1_29radix_sort_onesweep_iterationIS3_Lb0EPfS7_N6thrust23THRUST_200600_302600_NS10device_ptrIlEESB_jNS0_19identity_decomposerENS1_16block_id_wrapperIjLb1EEEEE10hipError_tT1_PNSt15iterator_traitsISG_E10value_typeET2_T3_PNSH_ISM_E10value_typeET4_T5_PSR_SS_PNS1_23onesweep_lookback_stateEbbT6_jjT7_P12ihipStream_tbENKUlT_T0_SG_SL_E_clIS7_S7_SB_PlEEDaSZ_S10_SG_SL_EUlSZ_E_NS1_11comp_targetILNS1_3genE5ELNS1_11target_archE942ELNS1_3gpuE9ELNS1_3repE0EEENS1_47radix_sort_onesweep_sort_config_static_selectorELNS0_4arch9wavefront6targetE1EEEvSG_,"axG",@progbits,_ZN7rocprim17ROCPRIM_400000_NS6detail17trampoline_kernelINS0_14default_configENS1_35radix_sort_onesweep_config_selectorIflEEZZNS1_29radix_sort_onesweep_iterationIS3_Lb0EPfS7_N6thrust23THRUST_200600_302600_NS10device_ptrIlEESB_jNS0_19identity_decomposerENS1_16block_id_wrapperIjLb1EEEEE10hipError_tT1_PNSt15iterator_traitsISG_E10value_typeET2_T3_PNSH_ISM_E10value_typeET4_T5_PSR_SS_PNS1_23onesweep_lookback_stateEbbT6_jjT7_P12ihipStream_tbENKUlT_T0_SG_SL_E_clIS7_S7_SB_PlEEDaSZ_S10_SG_SL_EUlSZ_E_NS1_11comp_targetILNS1_3genE5ELNS1_11target_archE942ELNS1_3gpuE9ELNS1_3repE0EEENS1_47radix_sort_onesweep_sort_config_static_selectorELNS0_4arch9wavefront6targetE1EEEvSG_,comdat
	.protected	_ZN7rocprim17ROCPRIM_400000_NS6detail17trampoline_kernelINS0_14default_configENS1_35radix_sort_onesweep_config_selectorIflEEZZNS1_29radix_sort_onesweep_iterationIS3_Lb0EPfS7_N6thrust23THRUST_200600_302600_NS10device_ptrIlEESB_jNS0_19identity_decomposerENS1_16block_id_wrapperIjLb1EEEEE10hipError_tT1_PNSt15iterator_traitsISG_E10value_typeET2_T3_PNSH_ISM_E10value_typeET4_T5_PSR_SS_PNS1_23onesweep_lookback_stateEbbT6_jjT7_P12ihipStream_tbENKUlT_T0_SG_SL_E_clIS7_S7_SB_PlEEDaSZ_S10_SG_SL_EUlSZ_E_NS1_11comp_targetILNS1_3genE5ELNS1_11target_archE942ELNS1_3gpuE9ELNS1_3repE0EEENS1_47radix_sort_onesweep_sort_config_static_selectorELNS0_4arch9wavefront6targetE1EEEvSG_ ; -- Begin function _ZN7rocprim17ROCPRIM_400000_NS6detail17trampoline_kernelINS0_14default_configENS1_35radix_sort_onesweep_config_selectorIflEEZZNS1_29radix_sort_onesweep_iterationIS3_Lb0EPfS7_N6thrust23THRUST_200600_302600_NS10device_ptrIlEESB_jNS0_19identity_decomposerENS1_16block_id_wrapperIjLb1EEEEE10hipError_tT1_PNSt15iterator_traitsISG_E10value_typeET2_T3_PNSH_ISM_E10value_typeET4_T5_PSR_SS_PNS1_23onesweep_lookback_stateEbbT6_jjT7_P12ihipStream_tbENKUlT_T0_SG_SL_E_clIS7_S7_SB_PlEEDaSZ_S10_SG_SL_EUlSZ_E_NS1_11comp_targetILNS1_3genE5ELNS1_11target_archE942ELNS1_3gpuE9ELNS1_3repE0EEENS1_47radix_sort_onesweep_sort_config_static_selectorELNS0_4arch9wavefront6targetE1EEEvSG_
	.globl	_ZN7rocprim17ROCPRIM_400000_NS6detail17trampoline_kernelINS0_14default_configENS1_35radix_sort_onesweep_config_selectorIflEEZZNS1_29radix_sort_onesweep_iterationIS3_Lb0EPfS7_N6thrust23THRUST_200600_302600_NS10device_ptrIlEESB_jNS0_19identity_decomposerENS1_16block_id_wrapperIjLb1EEEEE10hipError_tT1_PNSt15iterator_traitsISG_E10value_typeET2_T3_PNSH_ISM_E10value_typeET4_T5_PSR_SS_PNS1_23onesweep_lookback_stateEbbT6_jjT7_P12ihipStream_tbENKUlT_T0_SG_SL_E_clIS7_S7_SB_PlEEDaSZ_S10_SG_SL_EUlSZ_E_NS1_11comp_targetILNS1_3genE5ELNS1_11target_archE942ELNS1_3gpuE9ELNS1_3repE0EEENS1_47radix_sort_onesweep_sort_config_static_selectorELNS0_4arch9wavefront6targetE1EEEvSG_
	.p2align	8
	.type	_ZN7rocprim17ROCPRIM_400000_NS6detail17trampoline_kernelINS0_14default_configENS1_35radix_sort_onesweep_config_selectorIflEEZZNS1_29radix_sort_onesweep_iterationIS3_Lb0EPfS7_N6thrust23THRUST_200600_302600_NS10device_ptrIlEESB_jNS0_19identity_decomposerENS1_16block_id_wrapperIjLb1EEEEE10hipError_tT1_PNSt15iterator_traitsISG_E10value_typeET2_T3_PNSH_ISM_E10value_typeET4_T5_PSR_SS_PNS1_23onesweep_lookback_stateEbbT6_jjT7_P12ihipStream_tbENKUlT_T0_SG_SL_E_clIS7_S7_SB_PlEEDaSZ_S10_SG_SL_EUlSZ_E_NS1_11comp_targetILNS1_3genE5ELNS1_11target_archE942ELNS1_3gpuE9ELNS1_3repE0EEENS1_47radix_sort_onesweep_sort_config_static_selectorELNS0_4arch9wavefront6targetE1EEEvSG_,@function
_ZN7rocprim17ROCPRIM_400000_NS6detail17trampoline_kernelINS0_14default_configENS1_35radix_sort_onesweep_config_selectorIflEEZZNS1_29radix_sort_onesweep_iterationIS3_Lb0EPfS7_N6thrust23THRUST_200600_302600_NS10device_ptrIlEESB_jNS0_19identity_decomposerENS1_16block_id_wrapperIjLb1EEEEE10hipError_tT1_PNSt15iterator_traitsISG_E10value_typeET2_T3_PNSH_ISM_E10value_typeET4_T5_PSR_SS_PNS1_23onesweep_lookback_stateEbbT6_jjT7_P12ihipStream_tbENKUlT_T0_SG_SL_E_clIS7_S7_SB_PlEEDaSZ_S10_SG_SL_EUlSZ_E_NS1_11comp_targetILNS1_3genE5ELNS1_11target_archE942ELNS1_3gpuE9ELNS1_3repE0EEENS1_47radix_sort_onesweep_sort_config_static_selectorELNS0_4arch9wavefront6targetE1EEEvSG_: ; @_ZN7rocprim17ROCPRIM_400000_NS6detail17trampoline_kernelINS0_14default_configENS1_35radix_sort_onesweep_config_selectorIflEEZZNS1_29radix_sort_onesweep_iterationIS3_Lb0EPfS7_N6thrust23THRUST_200600_302600_NS10device_ptrIlEESB_jNS0_19identity_decomposerENS1_16block_id_wrapperIjLb1EEEEE10hipError_tT1_PNSt15iterator_traitsISG_E10value_typeET2_T3_PNSH_ISM_E10value_typeET4_T5_PSR_SS_PNS1_23onesweep_lookback_stateEbbT6_jjT7_P12ihipStream_tbENKUlT_T0_SG_SL_E_clIS7_S7_SB_PlEEDaSZ_S10_SG_SL_EUlSZ_E_NS1_11comp_targetILNS1_3genE5ELNS1_11target_archE942ELNS1_3gpuE9ELNS1_3repE0EEENS1_47radix_sort_onesweep_sort_config_static_selectorELNS0_4arch9wavefront6targetE1EEEvSG_
; %bb.0:
	.section	.rodata,"a",@progbits
	.p2align	6, 0x0
	.amdhsa_kernel _ZN7rocprim17ROCPRIM_400000_NS6detail17trampoline_kernelINS0_14default_configENS1_35radix_sort_onesweep_config_selectorIflEEZZNS1_29radix_sort_onesweep_iterationIS3_Lb0EPfS7_N6thrust23THRUST_200600_302600_NS10device_ptrIlEESB_jNS0_19identity_decomposerENS1_16block_id_wrapperIjLb1EEEEE10hipError_tT1_PNSt15iterator_traitsISG_E10value_typeET2_T3_PNSH_ISM_E10value_typeET4_T5_PSR_SS_PNS1_23onesweep_lookback_stateEbbT6_jjT7_P12ihipStream_tbENKUlT_T0_SG_SL_E_clIS7_S7_SB_PlEEDaSZ_S10_SG_SL_EUlSZ_E_NS1_11comp_targetILNS1_3genE5ELNS1_11target_archE942ELNS1_3gpuE9ELNS1_3repE0EEENS1_47radix_sort_onesweep_sort_config_static_selectorELNS0_4arch9wavefront6targetE1EEEvSG_
		.amdhsa_group_segment_fixed_size 0
		.amdhsa_private_segment_fixed_size 0
		.amdhsa_kernarg_size 88
		.amdhsa_user_sgpr_count 6
		.amdhsa_user_sgpr_private_segment_buffer 1
		.amdhsa_user_sgpr_dispatch_ptr 0
		.amdhsa_user_sgpr_queue_ptr 0
		.amdhsa_user_sgpr_kernarg_segment_ptr 1
		.amdhsa_user_sgpr_dispatch_id 0
		.amdhsa_user_sgpr_flat_scratch_init 0
		.amdhsa_user_sgpr_private_segment_size 0
		.amdhsa_uses_dynamic_stack 0
		.amdhsa_system_sgpr_private_segment_wavefront_offset 0
		.amdhsa_system_sgpr_workgroup_id_x 1
		.amdhsa_system_sgpr_workgroup_id_y 0
		.amdhsa_system_sgpr_workgroup_id_z 0
		.amdhsa_system_sgpr_workgroup_info 0
		.amdhsa_system_vgpr_workitem_id 0
		.amdhsa_next_free_vgpr 1
		.amdhsa_next_free_sgpr 0
		.amdhsa_reserve_vcc 0
		.amdhsa_reserve_flat_scratch 0
		.amdhsa_float_round_mode_32 0
		.amdhsa_float_round_mode_16_64 0
		.amdhsa_float_denorm_mode_32 3
		.amdhsa_float_denorm_mode_16_64 3
		.amdhsa_dx10_clamp 1
		.amdhsa_ieee_mode 1
		.amdhsa_fp16_overflow 0
		.amdhsa_exception_fp_ieee_invalid_op 0
		.amdhsa_exception_fp_denorm_src 0
		.amdhsa_exception_fp_ieee_div_zero 0
		.amdhsa_exception_fp_ieee_overflow 0
		.amdhsa_exception_fp_ieee_underflow 0
		.amdhsa_exception_fp_ieee_inexact 0
		.amdhsa_exception_int_div_zero 0
	.end_amdhsa_kernel
	.section	.text._ZN7rocprim17ROCPRIM_400000_NS6detail17trampoline_kernelINS0_14default_configENS1_35radix_sort_onesweep_config_selectorIflEEZZNS1_29radix_sort_onesweep_iterationIS3_Lb0EPfS7_N6thrust23THRUST_200600_302600_NS10device_ptrIlEESB_jNS0_19identity_decomposerENS1_16block_id_wrapperIjLb1EEEEE10hipError_tT1_PNSt15iterator_traitsISG_E10value_typeET2_T3_PNSH_ISM_E10value_typeET4_T5_PSR_SS_PNS1_23onesweep_lookback_stateEbbT6_jjT7_P12ihipStream_tbENKUlT_T0_SG_SL_E_clIS7_S7_SB_PlEEDaSZ_S10_SG_SL_EUlSZ_E_NS1_11comp_targetILNS1_3genE5ELNS1_11target_archE942ELNS1_3gpuE9ELNS1_3repE0EEENS1_47radix_sort_onesweep_sort_config_static_selectorELNS0_4arch9wavefront6targetE1EEEvSG_,"axG",@progbits,_ZN7rocprim17ROCPRIM_400000_NS6detail17trampoline_kernelINS0_14default_configENS1_35radix_sort_onesweep_config_selectorIflEEZZNS1_29radix_sort_onesweep_iterationIS3_Lb0EPfS7_N6thrust23THRUST_200600_302600_NS10device_ptrIlEESB_jNS0_19identity_decomposerENS1_16block_id_wrapperIjLb1EEEEE10hipError_tT1_PNSt15iterator_traitsISG_E10value_typeET2_T3_PNSH_ISM_E10value_typeET4_T5_PSR_SS_PNS1_23onesweep_lookback_stateEbbT6_jjT7_P12ihipStream_tbENKUlT_T0_SG_SL_E_clIS7_S7_SB_PlEEDaSZ_S10_SG_SL_EUlSZ_E_NS1_11comp_targetILNS1_3genE5ELNS1_11target_archE942ELNS1_3gpuE9ELNS1_3repE0EEENS1_47radix_sort_onesweep_sort_config_static_selectorELNS0_4arch9wavefront6targetE1EEEvSG_,comdat
.Lfunc_end1845:
	.size	_ZN7rocprim17ROCPRIM_400000_NS6detail17trampoline_kernelINS0_14default_configENS1_35radix_sort_onesweep_config_selectorIflEEZZNS1_29radix_sort_onesweep_iterationIS3_Lb0EPfS7_N6thrust23THRUST_200600_302600_NS10device_ptrIlEESB_jNS0_19identity_decomposerENS1_16block_id_wrapperIjLb1EEEEE10hipError_tT1_PNSt15iterator_traitsISG_E10value_typeET2_T3_PNSH_ISM_E10value_typeET4_T5_PSR_SS_PNS1_23onesweep_lookback_stateEbbT6_jjT7_P12ihipStream_tbENKUlT_T0_SG_SL_E_clIS7_S7_SB_PlEEDaSZ_S10_SG_SL_EUlSZ_E_NS1_11comp_targetILNS1_3genE5ELNS1_11target_archE942ELNS1_3gpuE9ELNS1_3repE0EEENS1_47radix_sort_onesweep_sort_config_static_selectorELNS0_4arch9wavefront6targetE1EEEvSG_, .Lfunc_end1845-_ZN7rocprim17ROCPRIM_400000_NS6detail17trampoline_kernelINS0_14default_configENS1_35radix_sort_onesweep_config_selectorIflEEZZNS1_29radix_sort_onesweep_iterationIS3_Lb0EPfS7_N6thrust23THRUST_200600_302600_NS10device_ptrIlEESB_jNS0_19identity_decomposerENS1_16block_id_wrapperIjLb1EEEEE10hipError_tT1_PNSt15iterator_traitsISG_E10value_typeET2_T3_PNSH_ISM_E10value_typeET4_T5_PSR_SS_PNS1_23onesweep_lookback_stateEbbT6_jjT7_P12ihipStream_tbENKUlT_T0_SG_SL_E_clIS7_S7_SB_PlEEDaSZ_S10_SG_SL_EUlSZ_E_NS1_11comp_targetILNS1_3genE5ELNS1_11target_archE942ELNS1_3gpuE9ELNS1_3repE0EEENS1_47radix_sort_onesweep_sort_config_static_selectorELNS0_4arch9wavefront6targetE1EEEvSG_
                                        ; -- End function
	.set _ZN7rocprim17ROCPRIM_400000_NS6detail17trampoline_kernelINS0_14default_configENS1_35radix_sort_onesweep_config_selectorIflEEZZNS1_29radix_sort_onesweep_iterationIS3_Lb0EPfS7_N6thrust23THRUST_200600_302600_NS10device_ptrIlEESB_jNS0_19identity_decomposerENS1_16block_id_wrapperIjLb1EEEEE10hipError_tT1_PNSt15iterator_traitsISG_E10value_typeET2_T3_PNSH_ISM_E10value_typeET4_T5_PSR_SS_PNS1_23onesweep_lookback_stateEbbT6_jjT7_P12ihipStream_tbENKUlT_T0_SG_SL_E_clIS7_S7_SB_PlEEDaSZ_S10_SG_SL_EUlSZ_E_NS1_11comp_targetILNS1_3genE5ELNS1_11target_archE942ELNS1_3gpuE9ELNS1_3repE0EEENS1_47radix_sort_onesweep_sort_config_static_selectorELNS0_4arch9wavefront6targetE1EEEvSG_.num_vgpr, 0
	.set _ZN7rocprim17ROCPRIM_400000_NS6detail17trampoline_kernelINS0_14default_configENS1_35radix_sort_onesweep_config_selectorIflEEZZNS1_29radix_sort_onesweep_iterationIS3_Lb0EPfS7_N6thrust23THRUST_200600_302600_NS10device_ptrIlEESB_jNS0_19identity_decomposerENS1_16block_id_wrapperIjLb1EEEEE10hipError_tT1_PNSt15iterator_traitsISG_E10value_typeET2_T3_PNSH_ISM_E10value_typeET4_T5_PSR_SS_PNS1_23onesweep_lookback_stateEbbT6_jjT7_P12ihipStream_tbENKUlT_T0_SG_SL_E_clIS7_S7_SB_PlEEDaSZ_S10_SG_SL_EUlSZ_E_NS1_11comp_targetILNS1_3genE5ELNS1_11target_archE942ELNS1_3gpuE9ELNS1_3repE0EEENS1_47radix_sort_onesweep_sort_config_static_selectorELNS0_4arch9wavefront6targetE1EEEvSG_.num_agpr, 0
	.set _ZN7rocprim17ROCPRIM_400000_NS6detail17trampoline_kernelINS0_14default_configENS1_35radix_sort_onesweep_config_selectorIflEEZZNS1_29radix_sort_onesweep_iterationIS3_Lb0EPfS7_N6thrust23THRUST_200600_302600_NS10device_ptrIlEESB_jNS0_19identity_decomposerENS1_16block_id_wrapperIjLb1EEEEE10hipError_tT1_PNSt15iterator_traitsISG_E10value_typeET2_T3_PNSH_ISM_E10value_typeET4_T5_PSR_SS_PNS1_23onesweep_lookback_stateEbbT6_jjT7_P12ihipStream_tbENKUlT_T0_SG_SL_E_clIS7_S7_SB_PlEEDaSZ_S10_SG_SL_EUlSZ_E_NS1_11comp_targetILNS1_3genE5ELNS1_11target_archE942ELNS1_3gpuE9ELNS1_3repE0EEENS1_47radix_sort_onesweep_sort_config_static_selectorELNS0_4arch9wavefront6targetE1EEEvSG_.numbered_sgpr, 0
	.set _ZN7rocprim17ROCPRIM_400000_NS6detail17trampoline_kernelINS0_14default_configENS1_35radix_sort_onesweep_config_selectorIflEEZZNS1_29radix_sort_onesweep_iterationIS3_Lb0EPfS7_N6thrust23THRUST_200600_302600_NS10device_ptrIlEESB_jNS0_19identity_decomposerENS1_16block_id_wrapperIjLb1EEEEE10hipError_tT1_PNSt15iterator_traitsISG_E10value_typeET2_T3_PNSH_ISM_E10value_typeET4_T5_PSR_SS_PNS1_23onesweep_lookback_stateEbbT6_jjT7_P12ihipStream_tbENKUlT_T0_SG_SL_E_clIS7_S7_SB_PlEEDaSZ_S10_SG_SL_EUlSZ_E_NS1_11comp_targetILNS1_3genE5ELNS1_11target_archE942ELNS1_3gpuE9ELNS1_3repE0EEENS1_47radix_sort_onesweep_sort_config_static_selectorELNS0_4arch9wavefront6targetE1EEEvSG_.num_named_barrier, 0
	.set _ZN7rocprim17ROCPRIM_400000_NS6detail17trampoline_kernelINS0_14default_configENS1_35radix_sort_onesweep_config_selectorIflEEZZNS1_29radix_sort_onesweep_iterationIS3_Lb0EPfS7_N6thrust23THRUST_200600_302600_NS10device_ptrIlEESB_jNS0_19identity_decomposerENS1_16block_id_wrapperIjLb1EEEEE10hipError_tT1_PNSt15iterator_traitsISG_E10value_typeET2_T3_PNSH_ISM_E10value_typeET4_T5_PSR_SS_PNS1_23onesweep_lookback_stateEbbT6_jjT7_P12ihipStream_tbENKUlT_T0_SG_SL_E_clIS7_S7_SB_PlEEDaSZ_S10_SG_SL_EUlSZ_E_NS1_11comp_targetILNS1_3genE5ELNS1_11target_archE942ELNS1_3gpuE9ELNS1_3repE0EEENS1_47radix_sort_onesweep_sort_config_static_selectorELNS0_4arch9wavefront6targetE1EEEvSG_.private_seg_size, 0
	.set _ZN7rocprim17ROCPRIM_400000_NS6detail17trampoline_kernelINS0_14default_configENS1_35radix_sort_onesweep_config_selectorIflEEZZNS1_29radix_sort_onesweep_iterationIS3_Lb0EPfS7_N6thrust23THRUST_200600_302600_NS10device_ptrIlEESB_jNS0_19identity_decomposerENS1_16block_id_wrapperIjLb1EEEEE10hipError_tT1_PNSt15iterator_traitsISG_E10value_typeET2_T3_PNSH_ISM_E10value_typeET4_T5_PSR_SS_PNS1_23onesweep_lookback_stateEbbT6_jjT7_P12ihipStream_tbENKUlT_T0_SG_SL_E_clIS7_S7_SB_PlEEDaSZ_S10_SG_SL_EUlSZ_E_NS1_11comp_targetILNS1_3genE5ELNS1_11target_archE942ELNS1_3gpuE9ELNS1_3repE0EEENS1_47radix_sort_onesweep_sort_config_static_selectorELNS0_4arch9wavefront6targetE1EEEvSG_.uses_vcc, 0
	.set _ZN7rocprim17ROCPRIM_400000_NS6detail17trampoline_kernelINS0_14default_configENS1_35radix_sort_onesweep_config_selectorIflEEZZNS1_29radix_sort_onesweep_iterationIS3_Lb0EPfS7_N6thrust23THRUST_200600_302600_NS10device_ptrIlEESB_jNS0_19identity_decomposerENS1_16block_id_wrapperIjLb1EEEEE10hipError_tT1_PNSt15iterator_traitsISG_E10value_typeET2_T3_PNSH_ISM_E10value_typeET4_T5_PSR_SS_PNS1_23onesweep_lookback_stateEbbT6_jjT7_P12ihipStream_tbENKUlT_T0_SG_SL_E_clIS7_S7_SB_PlEEDaSZ_S10_SG_SL_EUlSZ_E_NS1_11comp_targetILNS1_3genE5ELNS1_11target_archE942ELNS1_3gpuE9ELNS1_3repE0EEENS1_47radix_sort_onesweep_sort_config_static_selectorELNS0_4arch9wavefront6targetE1EEEvSG_.uses_flat_scratch, 0
	.set _ZN7rocprim17ROCPRIM_400000_NS6detail17trampoline_kernelINS0_14default_configENS1_35radix_sort_onesweep_config_selectorIflEEZZNS1_29radix_sort_onesweep_iterationIS3_Lb0EPfS7_N6thrust23THRUST_200600_302600_NS10device_ptrIlEESB_jNS0_19identity_decomposerENS1_16block_id_wrapperIjLb1EEEEE10hipError_tT1_PNSt15iterator_traitsISG_E10value_typeET2_T3_PNSH_ISM_E10value_typeET4_T5_PSR_SS_PNS1_23onesweep_lookback_stateEbbT6_jjT7_P12ihipStream_tbENKUlT_T0_SG_SL_E_clIS7_S7_SB_PlEEDaSZ_S10_SG_SL_EUlSZ_E_NS1_11comp_targetILNS1_3genE5ELNS1_11target_archE942ELNS1_3gpuE9ELNS1_3repE0EEENS1_47radix_sort_onesweep_sort_config_static_selectorELNS0_4arch9wavefront6targetE1EEEvSG_.has_dyn_sized_stack, 0
	.set _ZN7rocprim17ROCPRIM_400000_NS6detail17trampoline_kernelINS0_14default_configENS1_35radix_sort_onesweep_config_selectorIflEEZZNS1_29radix_sort_onesweep_iterationIS3_Lb0EPfS7_N6thrust23THRUST_200600_302600_NS10device_ptrIlEESB_jNS0_19identity_decomposerENS1_16block_id_wrapperIjLb1EEEEE10hipError_tT1_PNSt15iterator_traitsISG_E10value_typeET2_T3_PNSH_ISM_E10value_typeET4_T5_PSR_SS_PNS1_23onesweep_lookback_stateEbbT6_jjT7_P12ihipStream_tbENKUlT_T0_SG_SL_E_clIS7_S7_SB_PlEEDaSZ_S10_SG_SL_EUlSZ_E_NS1_11comp_targetILNS1_3genE5ELNS1_11target_archE942ELNS1_3gpuE9ELNS1_3repE0EEENS1_47radix_sort_onesweep_sort_config_static_selectorELNS0_4arch9wavefront6targetE1EEEvSG_.has_recursion, 0
	.set _ZN7rocprim17ROCPRIM_400000_NS6detail17trampoline_kernelINS0_14default_configENS1_35radix_sort_onesweep_config_selectorIflEEZZNS1_29radix_sort_onesweep_iterationIS3_Lb0EPfS7_N6thrust23THRUST_200600_302600_NS10device_ptrIlEESB_jNS0_19identity_decomposerENS1_16block_id_wrapperIjLb1EEEEE10hipError_tT1_PNSt15iterator_traitsISG_E10value_typeET2_T3_PNSH_ISM_E10value_typeET4_T5_PSR_SS_PNS1_23onesweep_lookback_stateEbbT6_jjT7_P12ihipStream_tbENKUlT_T0_SG_SL_E_clIS7_S7_SB_PlEEDaSZ_S10_SG_SL_EUlSZ_E_NS1_11comp_targetILNS1_3genE5ELNS1_11target_archE942ELNS1_3gpuE9ELNS1_3repE0EEENS1_47radix_sort_onesweep_sort_config_static_selectorELNS0_4arch9wavefront6targetE1EEEvSG_.has_indirect_call, 0
	.section	.AMDGPU.csdata,"",@progbits
; Kernel info:
; codeLenInByte = 0
; TotalNumSgprs: 4
; NumVgprs: 0
; ScratchSize: 0
; MemoryBound: 0
; FloatMode: 240
; IeeeMode: 1
; LDSByteSize: 0 bytes/workgroup (compile time only)
; SGPRBlocks: 0
; VGPRBlocks: 0
; NumSGPRsForWavesPerEU: 4
; NumVGPRsForWavesPerEU: 1
; Occupancy: 10
; WaveLimiterHint : 0
; COMPUTE_PGM_RSRC2:SCRATCH_EN: 0
; COMPUTE_PGM_RSRC2:USER_SGPR: 6
; COMPUTE_PGM_RSRC2:TRAP_HANDLER: 0
; COMPUTE_PGM_RSRC2:TGID_X_EN: 1
; COMPUTE_PGM_RSRC2:TGID_Y_EN: 0
; COMPUTE_PGM_RSRC2:TGID_Z_EN: 0
; COMPUTE_PGM_RSRC2:TIDIG_COMP_CNT: 0
	.section	.text._ZN7rocprim17ROCPRIM_400000_NS6detail17trampoline_kernelINS0_14default_configENS1_35radix_sort_onesweep_config_selectorIflEEZZNS1_29radix_sort_onesweep_iterationIS3_Lb0EPfS7_N6thrust23THRUST_200600_302600_NS10device_ptrIlEESB_jNS0_19identity_decomposerENS1_16block_id_wrapperIjLb1EEEEE10hipError_tT1_PNSt15iterator_traitsISG_E10value_typeET2_T3_PNSH_ISM_E10value_typeET4_T5_PSR_SS_PNS1_23onesweep_lookback_stateEbbT6_jjT7_P12ihipStream_tbENKUlT_T0_SG_SL_E_clIS7_S7_SB_PlEEDaSZ_S10_SG_SL_EUlSZ_E_NS1_11comp_targetILNS1_3genE2ELNS1_11target_archE906ELNS1_3gpuE6ELNS1_3repE0EEENS1_47radix_sort_onesweep_sort_config_static_selectorELNS0_4arch9wavefront6targetE1EEEvSG_,"axG",@progbits,_ZN7rocprim17ROCPRIM_400000_NS6detail17trampoline_kernelINS0_14default_configENS1_35radix_sort_onesweep_config_selectorIflEEZZNS1_29radix_sort_onesweep_iterationIS3_Lb0EPfS7_N6thrust23THRUST_200600_302600_NS10device_ptrIlEESB_jNS0_19identity_decomposerENS1_16block_id_wrapperIjLb1EEEEE10hipError_tT1_PNSt15iterator_traitsISG_E10value_typeET2_T3_PNSH_ISM_E10value_typeET4_T5_PSR_SS_PNS1_23onesweep_lookback_stateEbbT6_jjT7_P12ihipStream_tbENKUlT_T0_SG_SL_E_clIS7_S7_SB_PlEEDaSZ_S10_SG_SL_EUlSZ_E_NS1_11comp_targetILNS1_3genE2ELNS1_11target_archE906ELNS1_3gpuE6ELNS1_3repE0EEENS1_47radix_sort_onesweep_sort_config_static_selectorELNS0_4arch9wavefront6targetE1EEEvSG_,comdat
	.protected	_ZN7rocprim17ROCPRIM_400000_NS6detail17trampoline_kernelINS0_14default_configENS1_35radix_sort_onesweep_config_selectorIflEEZZNS1_29radix_sort_onesweep_iterationIS3_Lb0EPfS7_N6thrust23THRUST_200600_302600_NS10device_ptrIlEESB_jNS0_19identity_decomposerENS1_16block_id_wrapperIjLb1EEEEE10hipError_tT1_PNSt15iterator_traitsISG_E10value_typeET2_T3_PNSH_ISM_E10value_typeET4_T5_PSR_SS_PNS1_23onesweep_lookback_stateEbbT6_jjT7_P12ihipStream_tbENKUlT_T0_SG_SL_E_clIS7_S7_SB_PlEEDaSZ_S10_SG_SL_EUlSZ_E_NS1_11comp_targetILNS1_3genE2ELNS1_11target_archE906ELNS1_3gpuE6ELNS1_3repE0EEENS1_47radix_sort_onesweep_sort_config_static_selectorELNS0_4arch9wavefront6targetE1EEEvSG_ ; -- Begin function _ZN7rocprim17ROCPRIM_400000_NS6detail17trampoline_kernelINS0_14default_configENS1_35radix_sort_onesweep_config_selectorIflEEZZNS1_29radix_sort_onesweep_iterationIS3_Lb0EPfS7_N6thrust23THRUST_200600_302600_NS10device_ptrIlEESB_jNS0_19identity_decomposerENS1_16block_id_wrapperIjLb1EEEEE10hipError_tT1_PNSt15iterator_traitsISG_E10value_typeET2_T3_PNSH_ISM_E10value_typeET4_T5_PSR_SS_PNS1_23onesweep_lookback_stateEbbT6_jjT7_P12ihipStream_tbENKUlT_T0_SG_SL_E_clIS7_S7_SB_PlEEDaSZ_S10_SG_SL_EUlSZ_E_NS1_11comp_targetILNS1_3genE2ELNS1_11target_archE906ELNS1_3gpuE6ELNS1_3repE0EEENS1_47radix_sort_onesweep_sort_config_static_selectorELNS0_4arch9wavefront6targetE1EEEvSG_
	.globl	_ZN7rocprim17ROCPRIM_400000_NS6detail17trampoline_kernelINS0_14default_configENS1_35radix_sort_onesweep_config_selectorIflEEZZNS1_29radix_sort_onesweep_iterationIS3_Lb0EPfS7_N6thrust23THRUST_200600_302600_NS10device_ptrIlEESB_jNS0_19identity_decomposerENS1_16block_id_wrapperIjLb1EEEEE10hipError_tT1_PNSt15iterator_traitsISG_E10value_typeET2_T3_PNSH_ISM_E10value_typeET4_T5_PSR_SS_PNS1_23onesweep_lookback_stateEbbT6_jjT7_P12ihipStream_tbENKUlT_T0_SG_SL_E_clIS7_S7_SB_PlEEDaSZ_S10_SG_SL_EUlSZ_E_NS1_11comp_targetILNS1_3genE2ELNS1_11target_archE906ELNS1_3gpuE6ELNS1_3repE0EEENS1_47radix_sort_onesweep_sort_config_static_selectorELNS0_4arch9wavefront6targetE1EEEvSG_
	.p2align	8
	.type	_ZN7rocprim17ROCPRIM_400000_NS6detail17trampoline_kernelINS0_14default_configENS1_35radix_sort_onesweep_config_selectorIflEEZZNS1_29radix_sort_onesweep_iterationIS3_Lb0EPfS7_N6thrust23THRUST_200600_302600_NS10device_ptrIlEESB_jNS0_19identity_decomposerENS1_16block_id_wrapperIjLb1EEEEE10hipError_tT1_PNSt15iterator_traitsISG_E10value_typeET2_T3_PNSH_ISM_E10value_typeET4_T5_PSR_SS_PNS1_23onesweep_lookback_stateEbbT6_jjT7_P12ihipStream_tbENKUlT_T0_SG_SL_E_clIS7_S7_SB_PlEEDaSZ_S10_SG_SL_EUlSZ_E_NS1_11comp_targetILNS1_3genE2ELNS1_11target_archE906ELNS1_3gpuE6ELNS1_3repE0EEENS1_47radix_sort_onesweep_sort_config_static_selectorELNS0_4arch9wavefront6targetE1EEEvSG_,@function
_ZN7rocprim17ROCPRIM_400000_NS6detail17trampoline_kernelINS0_14default_configENS1_35radix_sort_onesweep_config_selectorIflEEZZNS1_29radix_sort_onesweep_iterationIS3_Lb0EPfS7_N6thrust23THRUST_200600_302600_NS10device_ptrIlEESB_jNS0_19identity_decomposerENS1_16block_id_wrapperIjLb1EEEEE10hipError_tT1_PNSt15iterator_traitsISG_E10value_typeET2_T3_PNSH_ISM_E10value_typeET4_T5_PSR_SS_PNS1_23onesweep_lookback_stateEbbT6_jjT7_P12ihipStream_tbENKUlT_T0_SG_SL_E_clIS7_S7_SB_PlEEDaSZ_S10_SG_SL_EUlSZ_E_NS1_11comp_targetILNS1_3genE2ELNS1_11target_archE906ELNS1_3gpuE6ELNS1_3repE0EEENS1_47radix_sort_onesweep_sort_config_static_selectorELNS0_4arch9wavefront6targetE1EEEvSG_: ; @_ZN7rocprim17ROCPRIM_400000_NS6detail17trampoline_kernelINS0_14default_configENS1_35radix_sort_onesweep_config_selectorIflEEZZNS1_29radix_sort_onesweep_iterationIS3_Lb0EPfS7_N6thrust23THRUST_200600_302600_NS10device_ptrIlEESB_jNS0_19identity_decomposerENS1_16block_id_wrapperIjLb1EEEEE10hipError_tT1_PNSt15iterator_traitsISG_E10value_typeET2_T3_PNSH_ISM_E10value_typeET4_T5_PSR_SS_PNS1_23onesweep_lookback_stateEbbT6_jjT7_P12ihipStream_tbENKUlT_T0_SG_SL_E_clIS7_S7_SB_PlEEDaSZ_S10_SG_SL_EUlSZ_E_NS1_11comp_targetILNS1_3genE2ELNS1_11target_archE906ELNS1_3gpuE6ELNS1_3repE0EEENS1_47radix_sort_onesweep_sort_config_static_selectorELNS0_4arch9wavefront6targetE1EEEvSG_
; %bb.0:
	s_load_dwordx4 s[44:47], s[4:5], 0x28
	s_load_dwordx2 s[30:31], s[4:5], 0x38
	s_load_dwordx4 s[48:51], s[4:5], 0x44
	s_add_u32 s0, s0, s7
	s_addc_u32 s1, s1, 0
	v_cmp_eq_u32_e64 s[26:27], 0, v0
	s_and_saveexec_b64 s[8:9], s[26:27]
	s_cbranch_execz .LBB1846_4
; %bb.1:
	s_mov_b64 s[12:13], exec
	v_mbcnt_lo_u32_b32 v3, s12, 0
	v_mbcnt_hi_u32_b32 v3, s13, v3
	v_cmp_eq_u32_e32 vcc, 0, v3
                                        ; implicit-def: $vgpr4
	s_and_saveexec_b64 s[10:11], vcc
	s_cbranch_execz .LBB1846_3
; %bb.2:
	s_load_dwordx2 s[14:15], s[4:5], 0x50
	s_bcnt1_i32_b64 s7, s[12:13]
	v_mov_b32_e32 v4, 0
	v_mov_b32_e32 v5, s7
	s_waitcnt lgkmcnt(0)
	global_atomic_add v4, v4, v5, s[14:15] glc
.LBB1846_3:
	s_or_b64 exec, exec, s[10:11]
	s_waitcnt vmcnt(0)
	v_readfirstlane_b32 s7, v4
	v_add_u32_e32 v3, s7, v3
	v_mov_b32_e32 v4, 0
	ds_write_b32 v4, v3 offset:10272
.LBB1846_4:
	s_or_b64 exec, exec, s[8:9]
	v_mov_b32_e32 v3, 0
	s_load_dwordx8 s[36:43], s[4:5], 0x0
	s_load_dword s7, s[4:5], 0x20
	s_waitcnt lgkmcnt(0)
	s_barrier
	ds_read_b32 v3, v3 offset:10272
	s_mov_b64 s[8:9], -1
	v_mbcnt_lo_u32_b32 v22, -1, 0
	v_lshlrev_b32_e32 v21, 3, v0
	s_waitcnt lgkmcnt(0)
	v_cmp_le_u32_e32 vcc, s50, v3
	v_readfirstlane_b32 s33, v3
	s_barrier
	s_cbranch_vccz .LBB1846_92
; %bb.5:
	s_lshl_b32 s8, s50, 12
	s_lshl_b32 s34, s33, 12
	s_mov_b32 s35, 0
	s_sub_i32 s7, s7, s8
	s_lshl_b64 s[8:9], s[34:35], 2
	v_mbcnt_hi_u32_b32 v17, -1, v22
	s_add_u32 s8, s36, s8
	v_and_b32_e32 v15, 63, v17
	s_addc_u32 s9, s37, s9
	v_lshlrev_b32_e32 v3, 2, v15
	v_and_b32_e32 v14, 0xe00, v21
	v_mov_b32_e32 v4, s9
	v_add_co_u32_e32 v3, vcc, s8, v3
	v_addc_co_u32_e32 v4, vcc, 0, v4, vcc
	v_lshlrev_b32_e32 v5, 2, v14
	v_add_co_u32_e32 v11, vcc, v3, v5
	v_or_b32_e32 v13, v15, v14
	v_bfrev_b32_e32 v3, -2
	v_addc_co_u32_e32 v12, vcc, 0, v4, vcc
	v_cmp_gt_u32_e64 s[8:9], s7, v13
	v_mov_b32_e32 v4, v3
	v_mov_b32_e32 v5, v3
	;; [unrolled: 1-line block ×7, first 2 shown]
	s_and_saveexec_b64 s[10:11], s[8:9]
	s_cbranch_execz .LBB1846_7
; %bb.6:
	global_load_dword v23, v[11:12], off
	v_mov_b32_e32 v24, v3
	v_mov_b32_e32 v25, v3
	;; [unrolled: 1-line block ×7, first 2 shown]
	s_waitcnt vmcnt(0)
	v_mov_b32_e32 v3, v23
	v_mov_b32_e32 v4, v24
	;; [unrolled: 1-line block ×8, first 2 shown]
.LBB1846_7:
	s_or_b64 exec, exec, s[10:11]
	v_or_b32_e32 v16, 64, v13
	v_cmp_gt_u32_e64 s[10:11], s7, v16
	s_and_saveexec_b64 s[12:13], s[10:11]
	s_cbranch_execz .LBB1846_9
; %bb.8:
	global_load_dword v4, v[11:12], off offset:256
.LBB1846_9:
	s_or_b64 exec, exec, s[12:13]
	v_or_b32_e32 v16, 0x80, v13
	v_cmp_gt_u32_e64 s[12:13], s7, v16
	s_and_saveexec_b64 s[14:15], s[12:13]
	s_cbranch_execz .LBB1846_11
; %bb.10:
	global_load_dword v5, v[11:12], off offset:512
.LBB1846_11:
	;; [unrolled: 8-line block ×7, first 2 shown]
	s_or_b64 exec, exec, s[24:25]
	s_load_dword s24, s[4:5], 0x64
	s_load_dword s56, s[4:5], 0x58
	s_add_u32 s25, s4, 0x58
	s_addc_u32 s28, s5, 0
	v_mov_b32_e32 v11, 0
	s_waitcnt lgkmcnt(0)
	s_lshr_b32 s29, s24, 16
	s_cmp_lt_u32 s6, s56
	s_cselect_b32 s24, 12, 18
	s_add_u32 s24, s25, s24
	s_addc_u32 s25, s28, 0
	global_load_ushort v13, v11, s[24:25]
	v_bfrev_b32_e32 v20, 1
	v_cmp_lt_i32_e32 vcc, -1, v3
	v_cndmask_b32_e32 v12, -1, v20, vcc
	s_brev_b32 s28, -2
	v_xor_b32_e32 v16, v12, v3
	v_cmp_ne_u32_e32 vcc, s28, v16
	v_cndmask_b32_e32 v3, v20, v16, vcc
	s_lshl_b32 s24, -1, s49
	v_lshrrev_b32_e32 v3, s48, v3
	s_not_b32 s57, s24
	v_and_b32_e32 v3, s57, v3
	v_and_b32_e32 v24, 1, v3
	v_add_co_u32_e32 v25, vcc, -1, v24
	v_lshlrev_b32_e32 v12, 30, v3
	v_addc_co_u32_e64 v26, s[24:25], 0, -1, vcc
	v_cmp_ne_u32_e32 vcc, 0, v24
	v_cmp_gt_i64_e64 s[24:25], 0, v[11:12]
	v_not_b32_e32 v24, v12
	v_lshlrev_b32_e32 v12, 29, v3
	v_xor_b32_e32 v26, vcc_hi, v26
	v_xor_b32_e32 v25, vcc_lo, v25
	v_ashrrev_i32_e32 v24, 31, v24
	v_cmp_gt_i64_e32 vcc, 0, v[11:12]
	v_not_b32_e32 v27, v12
	v_lshlrev_b32_e32 v12, 28, v3
	v_and_b32_e32 v26, exec_hi, v26
	v_and_b32_e32 v25, exec_lo, v25
	v_xor_b32_e32 v28, s25, v24
	v_xor_b32_e32 v24, s24, v24
	v_ashrrev_i32_e32 v27, 31, v27
	v_cmp_gt_i64_e64 s[24:25], 0, v[11:12]
	v_not_b32_e32 v29, v12
	v_lshlrev_b32_e32 v12, 27, v3
	v_and_b32_e32 v26, v26, v28
	v_and_b32_e32 v24, v25, v24
	v_xor_b32_e32 v25, vcc_hi, v27
	v_xor_b32_e32 v27, vcc_lo, v27
	v_ashrrev_i32_e32 v28, 31, v29
	v_cmp_gt_i64_e32 vcc, 0, v[11:12]
	v_not_b32_e32 v29, v12
	v_lshlrev_b32_e32 v12, 26, v3
	v_and_b32_e32 v25, v26, v25
	v_and_b32_e32 v24, v24, v27
	v_xor_b32_e32 v26, s25, v28
	v_xor_b32_e32 v27, s24, v28
	v_ashrrev_i32_e32 v28, 31, v29
	v_cmp_gt_i64_e64 s[24:25], 0, v[11:12]
	v_not_b32_e32 v29, v12
	v_lshlrev_b32_e32 v12, 25, v3
	v_mad_u32_u24 v18, v2, s29, v1
	v_and_b32_e32 v25, v25, v26
	v_and_b32_e32 v24, v24, v27
	v_xor_b32_e32 v26, vcc_hi, v28
	v_xor_b32_e32 v27, vcc_lo, v28
	v_ashrrev_i32_e32 v28, 31, v29
	v_cmp_gt_i64_e32 vcc, 0, v[11:12]
	v_not_b32_e32 v29, v12
	v_lshlrev_b32_e32 v12, 24, v3
	v_mul_lo_u32 v23, v3, 36
	v_and_b32_e32 v3, v25, v26
	v_xor_b32_e32 v25, s25, v28
	v_xor_b32_e32 v26, s24, v28
	v_cmp_gt_i64_e64 s[24:25], 0, v[11:12]
	v_not_b32_e32 v28, v12
	v_and_b32_e32 v24, v24, v27
	v_ashrrev_i32_e32 v27, 31, v29
	v_and_b32_e32 v24, v24, v26
	v_and_b32_e32 v3, v3, v25
	v_xor_b32_e32 v25, vcc_hi, v27
	v_and_b32_e32 v3, v3, v25
	v_mul_u32_u24_e32 v19, 20, v0
	ds_write2_b32 v19, v11, v11 offset0:8 offset1:9
	ds_write2_b32 v19, v11, v11 offset0:10 offset1:11
	ds_write_b32 v19, v11 offset:48
	s_waitcnt vmcnt(0) lgkmcnt(0)
	s_barrier
	; wave barrier
	v_mad_u64_u32 v[12:13], s[50:51], v18, v13, v[0:1]
	v_xor_b32_e32 v13, vcc_lo, v27
	v_and_b32_e32 v18, v24, v13
	v_lshrrev_b32_e32 v12, 4, v12
	v_and_b32_e32 v39, 0xffffffc, v12
	v_ashrrev_i32_e32 v12, 31, v28
	v_xor_b32_e32 v13, s25, v12
	v_xor_b32_e32 v12, s24, v12
	v_and_b32_e32 v12, v18, v12
	v_and_b32_e32 v13, v3, v13
	v_mbcnt_lo_u32_b32 v3, v12, 0
	v_mbcnt_hi_u32_b32 v18, v13, v3
	v_cmp_ne_u64_e32 vcc, 0, v[12:13]
	v_cmp_eq_u32_e64 s[24:25], 0, v18
	s_and_b64 s[50:51], vcc, s[24:25]
	v_add_u32_e32 v32, v39, v23
	s_and_saveexec_b64 s[24:25], s[50:51]
; %bb.22:
	v_bcnt_u32_b32 v3, v12, 0
	v_bcnt_u32_b32 v3, v13, v3
	ds_write_b32 v32, v3 offset:32
; %bb.23:
	s_or_b64 exec, exec, s[24:25]
	v_cmp_lt_i32_e32 vcc, -1, v4
	v_cndmask_b32_e32 v3, -1, v20, vcc
	v_xor_b32_e32 v13, v3, v4
	v_cmp_ne_u32_e32 vcc, s28, v13
	v_cndmask_b32_e32 v3, v20, v13, vcc
	v_lshrrev_b32_e32 v3, s48, v3
	v_and_b32_e32 v3, s57, v3
	v_mul_lo_u32 v4, v3, 36
	; wave barrier
	v_add_u32_e32 v33, v39, v4
	v_and_b32_e32 v4, 1, v3
	v_add_co_u32_e32 v12, vcc, -1, v4
	v_addc_co_u32_e64 v20, s[24:25], 0, -1, vcc
	v_cmp_ne_u32_e32 vcc, 0, v4
	v_xor_b32_e32 v12, vcc_lo, v12
	v_xor_b32_e32 v4, vcc_hi, v20
	v_and_b32_e32 v20, exec_lo, v12
	v_lshlrev_b32_e32 v12, 30, v3
	v_cmp_gt_i64_e32 vcc, 0, v[11:12]
	v_not_b32_e32 v12, v12
	v_ashrrev_i32_e32 v12, 31, v12
	v_xor_b32_e32 v24, vcc_hi, v12
	v_xor_b32_e32 v12, vcc_lo, v12
	v_and_b32_e32 v20, v20, v12
	v_lshlrev_b32_e32 v12, 29, v3
	v_cmp_gt_i64_e32 vcc, 0, v[11:12]
	v_not_b32_e32 v12, v12
	v_and_b32_e32 v4, exec_hi, v4
	v_ashrrev_i32_e32 v12, 31, v12
	v_and_b32_e32 v4, v4, v24
	v_xor_b32_e32 v24, vcc_hi, v12
	v_xor_b32_e32 v12, vcc_lo, v12
	v_and_b32_e32 v20, v20, v12
	v_lshlrev_b32_e32 v12, 28, v3
	v_cmp_gt_i64_e32 vcc, 0, v[11:12]
	v_not_b32_e32 v12, v12
	v_ashrrev_i32_e32 v12, 31, v12
	v_and_b32_e32 v4, v4, v24
	v_xor_b32_e32 v24, vcc_hi, v12
	v_xor_b32_e32 v12, vcc_lo, v12
	v_and_b32_e32 v20, v20, v12
	v_lshlrev_b32_e32 v12, 27, v3
	v_cmp_gt_i64_e32 vcc, 0, v[11:12]
	v_not_b32_e32 v12, v12
	;; [unrolled: 8-line block ×5, first 2 shown]
	v_ashrrev_i32_e32 v3, 31, v3
	v_xor_b32_e32 v11, vcc_hi, v3
	v_xor_b32_e32 v3, vcc_lo, v3
	ds_read_b32 v23, v33 offset:32
	v_and_b32_e32 v4, v4, v24
	v_and_b32_e32 v3, v20, v3
	;; [unrolled: 1-line block ×3, first 2 shown]
	v_mbcnt_lo_u32_b32 v11, v3, 0
	v_mbcnt_hi_u32_b32 v24, v4, v11
	v_cmp_ne_u64_e32 vcc, 0, v[3:4]
	v_cmp_eq_u32_e64 s[24:25], 0, v24
	s_and_b64 s[28:29], vcc, s[24:25]
	; wave barrier
	s_and_saveexec_b64 s[24:25], s[28:29]
	s_cbranch_execz .LBB1846_25
; %bb.24:
	v_bcnt_u32_b32 v3, v3, 0
	v_bcnt_u32_b32 v3, v4, v3
	s_waitcnt lgkmcnt(0)
	v_add_u32_e32 v3, v23, v3
	ds_write_b32 v33, v3 offset:32
.LBB1846_25:
	s_or_b64 exec, exec, s[24:25]
	v_bfrev_b32_e32 v20, 1
	v_cmp_lt_i32_e32 vcc, -1, v5
	v_cndmask_b32_e32 v3, -1, v20, vcc
	v_xor_b32_e32 v11, v3, v5
	s_brev_b32 s28, -2
	v_cmp_ne_u32_e32 vcc, s28, v11
	v_cndmask_b32_e32 v3, v20, v11, vcc
	v_lshrrev_b32_e32 v3, s48, v3
	v_and_b32_e32 v5, s57, v3
	v_mul_lo_u32 v3, v5, 36
	v_and_b32_e32 v4, 1, v5
	v_add_co_u32_e32 v12, vcc, -1, v4
	v_addc_co_u32_e64 v26, s[24:25], 0, -1, vcc
	v_cmp_ne_u32_e32 vcc, 0, v4
	v_xor_b32_e32 v4, vcc_hi, v26
	v_add_u32_e32 v37, v39, v3
	v_mov_b32_e32 v3, 0
	v_and_b32_e32 v26, exec_hi, v4
	v_lshlrev_b32_e32 v4, 30, v5
	v_xor_b32_e32 v12, vcc_lo, v12
	v_cmp_gt_i64_e32 vcc, 0, v[3:4]
	v_not_b32_e32 v4, v4
	v_ashrrev_i32_e32 v4, 31, v4
	v_and_b32_e32 v12, exec_lo, v12
	v_xor_b32_e32 v27, vcc_hi, v4
	v_xor_b32_e32 v4, vcc_lo, v4
	v_and_b32_e32 v12, v12, v4
	v_lshlrev_b32_e32 v4, 29, v5
	v_cmp_gt_i64_e32 vcc, 0, v[3:4]
	v_not_b32_e32 v4, v4
	v_ashrrev_i32_e32 v4, 31, v4
	v_and_b32_e32 v26, v26, v27
	v_xor_b32_e32 v27, vcc_hi, v4
	v_xor_b32_e32 v4, vcc_lo, v4
	v_and_b32_e32 v12, v12, v4
	v_lshlrev_b32_e32 v4, 28, v5
	v_cmp_gt_i64_e32 vcc, 0, v[3:4]
	v_not_b32_e32 v4, v4
	v_ashrrev_i32_e32 v4, 31, v4
	v_and_b32_e32 v26, v26, v27
	;; [unrolled: 8-line block ×5, first 2 shown]
	v_xor_b32_e32 v27, vcc_hi, v4
	v_xor_b32_e32 v4, vcc_lo, v4
	v_and_b32_e32 v12, v12, v4
	v_lshlrev_b32_e32 v4, 24, v5
	v_cmp_gt_i64_e32 vcc, 0, v[3:4]
	v_not_b32_e32 v4, v4
	v_ashrrev_i32_e32 v4, 31, v4
	v_xor_b32_e32 v5, vcc_hi, v4
	v_xor_b32_e32 v4, vcc_lo, v4
	; wave barrier
	ds_read_b32 v25, v37 offset:32
	v_and_b32_e32 v26, v26, v27
	v_and_b32_e32 v4, v12, v4
	;; [unrolled: 1-line block ×3, first 2 shown]
	v_mbcnt_lo_u32_b32 v12, v4, 0
	v_mbcnt_hi_u32_b32 v26, v5, v12
	v_cmp_ne_u64_e32 vcc, 0, v[4:5]
	v_cmp_eq_u32_e64 s[24:25], 0, v26
	s_and_b64 s[50:51], vcc, s[24:25]
	; wave barrier
	s_and_saveexec_b64 s[24:25], s[50:51]
	s_cbranch_execz .LBB1846_27
; %bb.26:
	v_bcnt_u32_b32 v4, v4, 0
	v_bcnt_u32_b32 v4, v5, v4
	s_waitcnt lgkmcnt(0)
	v_add_u32_e32 v4, v25, v4
	ds_write_b32 v37, v4 offset:32
.LBB1846_27:
	s_or_b64 exec, exec, s[24:25]
	v_cmp_lt_i32_e32 vcc, -1, v6
	v_cndmask_b32_e32 v4, -1, v20, vcc
	v_xor_b32_e32 v12, v4, v6
	v_cmp_ne_u32_e32 vcc, s28, v12
	v_cndmask_b32_e32 v4, v20, v12, vcc
	v_lshrrev_b32_e32 v4, s48, v4
	v_and_b32_e32 v5, s57, v4
	v_mul_lo_u32 v4, v5, 36
	; wave barrier
	v_add_u32_e32 v40, v39, v4
	v_and_b32_e32 v4, 1, v5
	v_add_co_u32_e32 v6, vcc, -1, v4
	v_addc_co_u32_e64 v20, s[24:25], 0, -1, vcc
	v_cmp_ne_u32_e32 vcc, 0, v4
	v_xor_b32_e32 v4, vcc_hi, v20
	v_and_b32_e32 v20, exec_hi, v4
	v_lshlrev_b32_e32 v4, 30, v5
	v_xor_b32_e32 v6, vcc_lo, v6
	v_cmp_gt_i64_e32 vcc, 0, v[3:4]
	v_not_b32_e32 v4, v4
	v_ashrrev_i32_e32 v4, 31, v4
	v_and_b32_e32 v6, exec_lo, v6
	v_xor_b32_e32 v28, vcc_hi, v4
	v_xor_b32_e32 v4, vcc_lo, v4
	v_and_b32_e32 v6, v6, v4
	v_lshlrev_b32_e32 v4, 29, v5
	v_cmp_gt_i64_e32 vcc, 0, v[3:4]
	v_not_b32_e32 v4, v4
	v_ashrrev_i32_e32 v4, 31, v4
	v_and_b32_e32 v20, v20, v28
	v_xor_b32_e32 v28, vcc_hi, v4
	v_xor_b32_e32 v4, vcc_lo, v4
	v_and_b32_e32 v6, v6, v4
	v_lshlrev_b32_e32 v4, 28, v5
	v_cmp_gt_i64_e32 vcc, 0, v[3:4]
	v_not_b32_e32 v4, v4
	v_ashrrev_i32_e32 v4, 31, v4
	v_and_b32_e32 v20, v20, v28
	;; [unrolled: 8-line block ×5, first 2 shown]
	v_xor_b32_e32 v28, vcc_hi, v4
	v_xor_b32_e32 v4, vcc_lo, v4
	v_and_b32_e32 v6, v6, v4
	v_lshlrev_b32_e32 v4, 24, v5
	v_cmp_gt_i64_e32 vcc, 0, v[3:4]
	v_not_b32_e32 v3, v4
	v_ashrrev_i32_e32 v3, 31, v3
	v_xor_b32_e32 v4, vcc_hi, v3
	v_xor_b32_e32 v3, vcc_lo, v3
	ds_read_b32 v27, v40 offset:32
	v_and_b32_e32 v20, v20, v28
	v_and_b32_e32 v3, v6, v3
	;; [unrolled: 1-line block ×3, first 2 shown]
	v_mbcnt_lo_u32_b32 v5, v3, 0
	v_mbcnt_hi_u32_b32 v28, v4, v5
	v_cmp_ne_u64_e32 vcc, 0, v[3:4]
	v_cmp_eq_u32_e64 s[24:25], 0, v28
	s_and_b64 s[28:29], vcc, s[24:25]
	; wave barrier
	s_and_saveexec_b64 s[24:25], s[28:29]
	s_cbranch_execz .LBB1846_29
; %bb.28:
	v_bcnt_u32_b32 v3, v3, 0
	v_bcnt_u32_b32 v3, v4, v3
	s_waitcnt lgkmcnt(0)
	v_add_u32_e32 v3, v27, v3
	ds_write_b32 v40, v3 offset:32
.LBB1846_29:
	s_or_b64 exec, exec, s[24:25]
	v_bfrev_b32_e32 v6, 1
	v_cmp_lt_i32_e32 vcc, -1, v7
	v_cndmask_b32_e32 v3, -1, v6, vcc
	v_xor_b32_e32 v20, v3, v7
	s_brev_b32 s28, -2
	v_cmp_ne_u32_e32 vcc, s28, v20
	v_cndmask_b32_e32 v3, v6, v20, vcc
	v_lshrrev_b32_e32 v3, s48, v3
	v_and_b32_e32 v5, s57, v3
	v_mul_lo_u32 v3, v5, 36
	v_and_b32_e32 v4, 1, v5
	v_add_co_u32_e32 v30, vcc, -1, v4
	v_addc_co_u32_e64 v31, s[24:25], 0, -1, vcc
	v_cmp_ne_u32_e32 vcc, 0, v4
	v_xor_b32_e32 v4, vcc_hi, v31
	v_add_u32_e32 v7, v39, v3
	v_mov_b32_e32 v3, 0
	v_and_b32_e32 v31, exec_hi, v4
	v_lshlrev_b32_e32 v4, 30, v5
	v_xor_b32_e32 v30, vcc_lo, v30
	v_cmp_gt_i64_e32 vcc, 0, v[3:4]
	v_not_b32_e32 v4, v4
	v_ashrrev_i32_e32 v4, 31, v4
	v_and_b32_e32 v30, exec_lo, v30
	v_xor_b32_e32 v34, vcc_hi, v4
	v_xor_b32_e32 v4, vcc_lo, v4
	v_and_b32_e32 v30, v30, v4
	v_lshlrev_b32_e32 v4, 29, v5
	v_cmp_gt_i64_e32 vcc, 0, v[3:4]
	v_not_b32_e32 v4, v4
	v_ashrrev_i32_e32 v4, 31, v4
	v_and_b32_e32 v31, v31, v34
	v_xor_b32_e32 v34, vcc_hi, v4
	v_xor_b32_e32 v4, vcc_lo, v4
	v_and_b32_e32 v30, v30, v4
	v_lshlrev_b32_e32 v4, 28, v5
	v_cmp_gt_i64_e32 vcc, 0, v[3:4]
	v_not_b32_e32 v4, v4
	v_ashrrev_i32_e32 v4, 31, v4
	v_and_b32_e32 v31, v31, v34
	;; [unrolled: 8-line block ×5, first 2 shown]
	v_xor_b32_e32 v34, vcc_hi, v4
	v_xor_b32_e32 v4, vcc_lo, v4
	v_and_b32_e32 v30, v30, v4
	v_lshlrev_b32_e32 v4, 24, v5
	v_cmp_gt_i64_e32 vcc, 0, v[3:4]
	v_not_b32_e32 v4, v4
	v_ashrrev_i32_e32 v4, 31, v4
	v_xor_b32_e32 v5, vcc_hi, v4
	v_xor_b32_e32 v4, vcc_lo, v4
	; wave barrier
	ds_read_b32 v29, v7 offset:32
	v_and_b32_e32 v31, v31, v34
	v_and_b32_e32 v4, v30, v4
	;; [unrolled: 1-line block ×3, first 2 shown]
	v_mbcnt_lo_u32_b32 v30, v4, 0
	v_mbcnt_hi_u32_b32 v30, v5, v30
	v_cmp_ne_u64_e32 vcc, 0, v[4:5]
	v_cmp_eq_u32_e64 s[24:25], 0, v30
	s_and_b64 s[50:51], vcc, s[24:25]
	; wave barrier
	s_and_saveexec_b64 s[24:25], s[50:51]
	s_cbranch_execz .LBB1846_31
; %bb.30:
	v_bcnt_u32_b32 v4, v4, 0
	v_bcnt_u32_b32 v4, v5, v4
	s_waitcnt lgkmcnt(0)
	v_add_u32_e32 v4, v29, v4
	ds_write_b32 v7, v4 offset:32
.LBB1846_31:
	s_or_b64 exec, exec, s[24:25]
	v_cmp_lt_i32_e32 vcc, -1, v8
	v_cndmask_b32_e32 v4, -1, v6, vcc
	v_xor_b32_e32 v35, v4, v8
	v_cmp_ne_u32_e32 vcc, s28, v35
	v_cndmask_b32_e32 v4, v6, v35, vcc
	v_lshrrev_b32_e32 v4, s48, v4
	v_and_b32_e32 v5, s57, v4
	v_mul_lo_u32 v4, v5, 36
	; wave barrier
	v_add_u32_e32 v8, v39, v4
	v_and_b32_e32 v4, 1, v5
	v_add_co_u32_e32 v6, vcc, -1, v4
	v_addc_co_u32_e64 v34, s[24:25], 0, -1, vcc
	v_cmp_ne_u32_e32 vcc, 0, v4
	v_xor_b32_e32 v4, vcc_hi, v34
	v_and_b32_e32 v34, exec_hi, v4
	v_lshlrev_b32_e32 v4, 30, v5
	v_xor_b32_e32 v6, vcc_lo, v6
	v_cmp_gt_i64_e32 vcc, 0, v[3:4]
	v_not_b32_e32 v4, v4
	v_ashrrev_i32_e32 v4, 31, v4
	v_and_b32_e32 v6, exec_lo, v6
	v_xor_b32_e32 v36, vcc_hi, v4
	v_xor_b32_e32 v4, vcc_lo, v4
	v_and_b32_e32 v6, v6, v4
	v_lshlrev_b32_e32 v4, 29, v5
	v_cmp_gt_i64_e32 vcc, 0, v[3:4]
	v_not_b32_e32 v4, v4
	v_ashrrev_i32_e32 v4, 31, v4
	v_and_b32_e32 v34, v34, v36
	v_xor_b32_e32 v36, vcc_hi, v4
	v_xor_b32_e32 v4, vcc_lo, v4
	v_and_b32_e32 v6, v6, v4
	v_lshlrev_b32_e32 v4, 28, v5
	v_cmp_gt_i64_e32 vcc, 0, v[3:4]
	v_not_b32_e32 v4, v4
	v_ashrrev_i32_e32 v4, 31, v4
	v_and_b32_e32 v34, v34, v36
	;; [unrolled: 8-line block ×5, first 2 shown]
	v_xor_b32_e32 v36, vcc_hi, v4
	v_xor_b32_e32 v4, vcc_lo, v4
	v_and_b32_e32 v6, v6, v4
	v_lshlrev_b32_e32 v4, 24, v5
	v_cmp_gt_i64_e32 vcc, 0, v[3:4]
	v_not_b32_e32 v3, v4
	v_ashrrev_i32_e32 v3, 31, v3
	v_xor_b32_e32 v4, vcc_hi, v3
	v_xor_b32_e32 v3, vcc_lo, v3
	ds_read_b32 v31, v8 offset:32
	v_and_b32_e32 v34, v34, v36
	v_and_b32_e32 v3, v6, v3
	;; [unrolled: 1-line block ×3, first 2 shown]
	v_mbcnt_lo_u32_b32 v5, v3, 0
	v_mbcnt_hi_u32_b32 v34, v4, v5
	v_cmp_ne_u64_e32 vcc, 0, v[3:4]
	v_cmp_eq_u32_e64 s[24:25], 0, v34
	s_and_b64 s[28:29], vcc, s[24:25]
	; wave barrier
	s_and_saveexec_b64 s[24:25], s[28:29]
	s_cbranch_execz .LBB1846_33
; %bb.32:
	v_bcnt_u32_b32 v3, v3, 0
	v_bcnt_u32_b32 v3, v4, v3
	s_waitcnt lgkmcnt(0)
	v_add_u32_e32 v3, v31, v3
	ds_write_b32 v8, v3 offset:32
.LBB1846_33:
	s_or_b64 exec, exec, s[24:25]
	v_bfrev_b32_e32 v6, 1
	v_cmp_lt_i32_e32 vcc, -1, v9
	v_cndmask_b32_e32 v3, -1, v6, vcc
	v_xor_b32_e32 v9, v3, v9
	s_brev_b32 s28, -2
	v_cmp_ne_u32_e32 vcc, s28, v9
	v_cndmask_b32_e32 v3, v6, v9, vcc
	v_lshrrev_b32_e32 v3, s48, v3
	v_and_b32_e32 v5, s57, v3
	v_mul_lo_u32 v3, v5, 36
	v_and_b32_e32 v4, 1, v5
	v_add_co_u32_e32 v38, vcc, -1, v4
	v_addc_co_u32_e64 v41, s[24:25], 0, -1, vcc
	v_cmp_ne_u32_e32 vcc, 0, v4
	v_xor_b32_e32 v4, vcc_hi, v41
	v_add_u32_e32 v46, v39, v3
	v_mov_b32_e32 v3, 0
	v_and_b32_e32 v41, exec_hi, v4
	v_lshlrev_b32_e32 v4, 30, v5
	v_xor_b32_e32 v38, vcc_lo, v38
	v_cmp_gt_i64_e32 vcc, 0, v[3:4]
	v_not_b32_e32 v4, v4
	v_ashrrev_i32_e32 v4, 31, v4
	v_and_b32_e32 v38, exec_lo, v38
	v_xor_b32_e32 v42, vcc_hi, v4
	v_xor_b32_e32 v4, vcc_lo, v4
	v_and_b32_e32 v38, v38, v4
	v_lshlrev_b32_e32 v4, 29, v5
	v_cmp_gt_i64_e32 vcc, 0, v[3:4]
	v_not_b32_e32 v4, v4
	v_ashrrev_i32_e32 v4, 31, v4
	v_and_b32_e32 v41, v41, v42
	v_xor_b32_e32 v42, vcc_hi, v4
	v_xor_b32_e32 v4, vcc_lo, v4
	v_and_b32_e32 v38, v38, v4
	v_lshlrev_b32_e32 v4, 28, v5
	v_cmp_gt_i64_e32 vcc, 0, v[3:4]
	v_not_b32_e32 v4, v4
	v_ashrrev_i32_e32 v4, 31, v4
	v_and_b32_e32 v41, v41, v42
	;; [unrolled: 8-line block ×5, first 2 shown]
	v_xor_b32_e32 v42, vcc_hi, v4
	v_xor_b32_e32 v4, vcc_lo, v4
	v_and_b32_e32 v38, v38, v4
	v_lshlrev_b32_e32 v4, 24, v5
	v_cmp_gt_i64_e32 vcc, 0, v[3:4]
	v_not_b32_e32 v4, v4
	v_ashrrev_i32_e32 v4, 31, v4
	v_xor_b32_e32 v5, vcc_hi, v4
	v_xor_b32_e32 v4, vcc_lo, v4
	; wave barrier
	ds_read_b32 v36, v46 offset:32
	v_and_b32_e32 v41, v41, v42
	v_and_b32_e32 v4, v38, v4
	;; [unrolled: 1-line block ×3, first 2 shown]
	v_mbcnt_lo_u32_b32 v38, v4, 0
	v_mbcnt_hi_u32_b32 v38, v5, v38
	v_cmp_ne_u64_e32 vcc, 0, v[4:5]
	v_cmp_eq_u32_e64 s[24:25], 0, v38
	s_and_b64 s[50:51], vcc, s[24:25]
	; wave barrier
	s_and_saveexec_b64 s[24:25], s[50:51]
	s_cbranch_execz .LBB1846_35
; %bb.34:
	v_bcnt_u32_b32 v4, v4, 0
	v_bcnt_u32_b32 v4, v5, v4
	s_waitcnt lgkmcnt(0)
	v_add_u32_e32 v4, v36, v4
	ds_write_b32 v46, v4 offset:32
.LBB1846_35:
	s_or_b64 exec, exec, s[24:25]
	v_cmp_lt_i32_e32 vcc, -1, v10
	v_cndmask_b32_e32 v4, -1, v6, vcc
	v_xor_b32_e32 v10, v4, v10
	v_cmp_ne_u32_e32 vcc, s28, v10
	v_cndmask_b32_e32 v4, v6, v10, vcc
	v_lshrrev_b32_e32 v4, s48, v4
	v_and_b32_e32 v5, s57, v4
	v_mul_lo_u32 v4, v5, 36
	; wave barrier
	v_add_u32_e32 v47, v39, v4
	v_and_b32_e32 v4, 1, v5
	v_add_co_u32_e32 v6, vcc, -1, v4
	v_addc_co_u32_e64 v41, s[24:25], 0, -1, vcc
	v_cmp_ne_u32_e32 vcc, 0, v4
	v_xor_b32_e32 v4, vcc_hi, v41
	v_and_b32_e32 v41, exec_hi, v4
	v_lshlrev_b32_e32 v4, 30, v5
	v_xor_b32_e32 v6, vcc_lo, v6
	v_cmp_gt_i64_e32 vcc, 0, v[3:4]
	v_not_b32_e32 v4, v4
	v_ashrrev_i32_e32 v4, 31, v4
	v_and_b32_e32 v6, exec_lo, v6
	v_xor_b32_e32 v42, vcc_hi, v4
	v_xor_b32_e32 v4, vcc_lo, v4
	v_and_b32_e32 v6, v6, v4
	v_lshlrev_b32_e32 v4, 29, v5
	v_cmp_gt_i64_e32 vcc, 0, v[3:4]
	v_not_b32_e32 v4, v4
	v_ashrrev_i32_e32 v4, 31, v4
	v_and_b32_e32 v41, v41, v42
	v_xor_b32_e32 v42, vcc_hi, v4
	v_xor_b32_e32 v4, vcc_lo, v4
	v_and_b32_e32 v6, v6, v4
	v_lshlrev_b32_e32 v4, 28, v5
	v_cmp_gt_i64_e32 vcc, 0, v[3:4]
	v_not_b32_e32 v4, v4
	v_ashrrev_i32_e32 v4, 31, v4
	v_and_b32_e32 v41, v41, v42
	;; [unrolled: 8-line block ×5, first 2 shown]
	v_xor_b32_e32 v42, vcc_hi, v4
	v_xor_b32_e32 v4, vcc_lo, v4
	v_and_b32_e32 v6, v6, v4
	v_lshlrev_b32_e32 v4, 24, v5
	v_cmp_gt_i64_e32 vcc, 0, v[3:4]
	v_not_b32_e32 v3, v4
	v_ashrrev_i32_e32 v3, 31, v3
	v_xor_b32_e32 v4, vcc_hi, v3
	v_xor_b32_e32 v3, vcc_lo, v3
	ds_read_b32 v39, v47 offset:32
	v_and_b32_e32 v41, v41, v42
	v_and_b32_e32 v3, v6, v3
	;; [unrolled: 1-line block ×3, first 2 shown]
	v_mbcnt_lo_u32_b32 v5, v3, 0
	v_mbcnt_hi_u32_b32 v41, v4, v5
	v_cmp_ne_u64_e32 vcc, 0, v[3:4]
	v_cmp_eq_u32_e64 s[24:25], 0, v41
	s_and_b64 s[28:29], vcc, s[24:25]
	; wave barrier
	s_and_saveexec_b64 s[24:25], s[28:29]
	s_cbranch_execz .LBB1846_37
; %bb.36:
	v_bcnt_u32_b32 v3, v3, 0
	v_bcnt_u32_b32 v3, v4, v3
	s_waitcnt lgkmcnt(0)
	v_add_u32_e32 v3, v39, v3
	ds_write_b32 v47, v3 offset:32
.LBB1846_37:
	s_or_b64 exec, exec, s[24:25]
	; wave barrier
	s_waitcnt lgkmcnt(0)
	s_barrier
	ds_read2_b32 v[5:6], v19 offset0:8 offset1:9
	ds_read2_b32 v[3:4], v19 offset0:10 offset1:11
	ds_read_b32 v42, v19 offset:48
	s_waitcnt lgkmcnt(1)
	v_add3_u32 v43, v6, v5, v3
	s_waitcnt lgkmcnt(0)
	v_add3_u32 v42, v43, v4, v42
	v_and_b32_e32 v43, 15, v17
	v_cmp_ne_u32_e32 vcc, 0, v43
	v_mov_b32_dpp v44, v42 row_shr:1 row_mask:0xf bank_mask:0xf
	v_cndmask_b32_e32 v44, 0, v44, vcc
	v_add_u32_e32 v42, v44, v42
	v_cmp_lt_u32_e32 vcc, 1, v43
	s_nop 0
	v_mov_b32_dpp v44, v42 row_shr:2 row_mask:0xf bank_mask:0xf
	v_cndmask_b32_e32 v44, 0, v44, vcc
	v_add_u32_e32 v42, v42, v44
	v_cmp_lt_u32_e32 vcc, 3, v43
	s_nop 0
	;; [unrolled: 5-line block ×3, first 2 shown]
	v_mov_b32_dpp v44, v42 row_shr:8 row_mask:0xf bank_mask:0xf
	v_cndmask_b32_e32 v43, 0, v44, vcc
	v_add_u32_e32 v42, v42, v43
	v_bfe_i32 v44, v17, 4, 1
	v_cmp_lt_u32_e32 vcc, 31, v17
	v_mov_b32_dpp v43, v42 row_bcast:15 row_mask:0xf bank_mask:0xf
	v_and_b32_e32 v43, v44, v43
	v_add_u32_e32 v42, v42, v43
	v_or_b32_e32 v44, 63, v0
	s_nop 0
	v_mov_b32_dpp v43, v42 row_bcast:31 row_mask:0xf bank_mask:0xf
	v_cndmask_b32_e32 v43, 0, v43, vcc
	v_add_u32_e32 v42, v42, v43
	v_lshrrev_b32_e32 v43, 6, v0
	v_cmp_eq_u32_e32 vcc, v0, v44
	s_and_saveexec_b64 s[24:25], vcc
; %bb.38:
	v_lshlrev_b32_e32 v44, 2, v43
	ds_write_b32 v44, v42
; %bb.39:
	s_or_b64 exec, exec, s[24:25]
	v_cmp_gt_u32_e32 vcc, 8, v0
	s_waitcnt lgkmcnt(0)
	s_barrier
	s_and_saveexec_b64 s[28:29], vcc
	s_cbranch_execz .LBB1846_41
; %bb.40:
	v_lshlrev_b32_e32 v44, 2, v0
	ds_read_b32 v45, v44
	v_and_b32_e32 v48, 7, v17
	v_cmp_ne_u32_e32 vcc, 0, v48
	v_cmp_lt_u32_e64 s[24:25], 1, v48
	s_waitcnt lgkmcnt(0)
	v_mov_b32_dpp v49, v45 row_shr:1 row_mask:0xf bank_mask:0xf
	v_cndmask_b32_e32 v49, 0, v49, vcc
	v_add_u32_e32 v45, v49, v45
	v_cmp_lt_u32_e32 vcc, 3, v48
	s_nop 0
	v_mov_b32_dpp v49, v45 row_shr:2 row_mask:0xf bank_mask:0xf
	v_cndmask_b32_e64 v49, 0, v49, s[24:25]
	v_add_u32_e32 v45, v45, v49
	s_nop 1
	v_mov_b32_dpp v49, v45 row_shr:4 row_mask:0xf bank_mask:0xf
	v_cndmask_b32_e32 v48, 0, v49, vcc
	v_add_u32_e32 v45, v45, v48
	ds_write_b32 v44, v45
.LBB1846_41:
	s_or_b64 exec, exec, s[28:29]
	v_cmp_lt_u32_e32 vcc, 63, v0
	v_mov_b32_e32 v44, 0
	s_waitcnt lgkmcnt(0)
	s_barrier
	s_and_saveexec_b64 s[24:25], vcc
; %bb.42:
	v_lshl_add_u32 v43, v43, 2, -4
	ds_read_b32 v44, v43
; %bb.43:
	s_or_b64 exec, exec, s[24:25]
	v_subrev_co_u32_e32 v43, vcc, 1, v17
	v_and_b32_e32 v45, 64, v17
	v_cmp_lt_i32_e64 s[24:25], v43, v45
	v_cndmask_b32_e64 v17, v43, v17, s[24:25]
	s_waitcnt lgkmcnt(0)
	v_add_u32_e32 v42, v44, v42
	v_lshlrev_b32_e32 v17, 2, v17
	ds_bpermute_b32 v17, v17, v42
	s_movk_i32 s24, 0xff
	s_movk_i32 s28, 0x100
	v_cmp_lt_u32_e64 s[24:25], s24, v0
	s_waitcnt lgkmcnt(0)
	v_cndmask_b32_e32 v17, v17, v44, vcc
	v_cndmask_b32_e64 v17, v17, 0, s[26:27]
	v_add_u32_e32 v5, v17, v5
	v_add_u32_e32 v6, v5, v6
	;; [unrolled: 1-line block ×4, first 2 shown]
	ds_write2_b32 v19, v17, v5 offset0:8 offset1:9
	ds_write2_b32 v19, v6, v3 offset0:10 offset1:11
	ds_write_b32 v19, v4 offset:48
	s_waitcnt lgkmcnt(0)
	s_barrier
	ds_read_b32 v17, v32 offset:32
	ds_read_b32 v42, v33 offset:32
	;; [unrolled: 1-line block ×8, first 2 shown]
	v_cmp_gt_u32_e32 vcc, s28, v0
                                        ; implicit-def: $vgpr32
                                        ; implicit-def: $vgpr33
	s_and_saveexec_b64 s[50:51], vcc
	s_cbranch_execz .LBB1846_47
; %bb.44:
	v_mul_u32_u24_e32 v3, 36, v0
	ds_read_b32 v32, v3 offset:32
	v_add_u32_e32 v4, 1, v0
	v_cmp_ne_u32_e64 s[28:29], s28, v4
	v_mov_b32_e32 v3, 0x1000
	s_and_saveexec_b64 s[52:53], s[28:29]
; %bb.45:
	v_mul_u32_u24_e32 v3, 36, v4
	ds_read_b32 v3, v3 offset:32
; %bb.46:
	s_or_b64 exec, exec, s[52:53]
	s_waitcnt lgkmcnt(0)
	v_sub_u32_e32 v33, v3, v32
.LBB1846_47:
	s_or_b64 exec, exec, s[50:51]
	v_mov_b32_e32 v4, 0
	v_lshlrev_b32_e32 v37, 2, v0
	s_waitcnt lgkmcnt(0)
	s_barrier
	s_and_saveexec_b64 s[28:29], vcc
	s_cbranch_execz .LBB1846_57
; %bb.48:
	v_lshl_add_u32 v3, s33, 8, v0
	v_lshlrev_b64 v[5:6], 2, v[3:4]
	v_mov_b32_e32 v19, s31
	v_add_co_u32_e32 v5, vcc, s30, v5
	v_addc_co_u32_e32 v6, vcc, v19, v6, vcc
	v_or_b32_e32 v3, 2.0, v33
	s_mov_b64 s[50:51], 0
	s_brev_b32 s58, -4
	s_mov_b32 s59, s33
	v_mov_b32_e32 v48, 0
	global_store_dword v[5:6], v3, off
                                        ; implicit-def: $sgpr52_sgpr53
	s_branch .LBB1846_51
.LBB1846_49:                            ;   in Loop: Header=BB1846_51 Depth=1
	s_or_b64 exec, exec, s[54:55]
.LBB1846_50:                            ;   in Loop: Header=BB1846_51 Depth=1
	s_or_b64 exec, exec, s[52:53]
	v_and_b32_e32 v7, 0x3fffffff, v3
	v_add_u32_e32 v48, v7, v48
	v_cmp_gt_i32_e64 s[52:53], -2.0, v3
	s_and_b64 s[54:55], exec, s[52:53]
	s_or_b64 s[50:51], s[54:55], s[50:51]
	s_andn2_b64 exec, exec, s[50:51]
	s_cbranch_execz .LBB1846_56
.LBB1846_51:                            ; =>This Loop Header: Depth=1
                                        ;     Child Loop BB1846_54 Depth 2
	s_or_b64 s[52:53], s[52:53], exec
	s_cmp_eq_u32 s59, 0
	s_cbranch_scc1 .LBB1846_55
; %bb.52:                               ;   in Loop: Header=BB1846_51 Depth=1
	s_add_i32 s59, s59, -1
	v_lshl_or_b32 v3, s59, 8, v0
	v_lshlrev_b64 v[7:8], 2, v[3:4]
	v_add_co_u32_e32 v7, vcc, s30, v7
	v_addc_co_u32_e32 v8, vcc, v19, v8, vcc
	global_load_dword v3, v[7:8], off glc
	s_waitcnt vmcnt(0)
	v_cmp_gt_u32_e32 vcc, 2.0, v3
	s_and_saveexec_b64 s[52:53], vcc
	s_cbranch_execz .LBB1846_50
; %bb.53:                               ;   in Loop: Header=BB1846_51 Depth=1
	s_mov_b64 s[54:55], 0
.LBB1846_54:                            ;   Parent Loop BB1846_51 Depth=1
                                        ; =>  This Inner Loop Header: Depth=2
	global_load_dword v3, v[7:8], off glc
	s_waitcnt vmcnt(0)
	v_cmp_lt_u32_e32 vcc, s58, v3
	s_or_b64 s[54:55], vcc, s[54:55]
	s_andn2_b64 exec, exec, s[54:55]
	s_cbranch_execnz .LBB1846_54
	s_branch .LBB1846_49
.LBB1846_55:                            ;   in Loop: Header=BB1846_51 Depth=1
                                        ; implicit-def: $sgpr59
	s_and_b64 s[54:55], exec, s[52:53]
	s_or_b64 s[50:51], s[54:55], s[50:51]
	s_andn2_b64 exec, exec, s[50:51]
	s_cbranch_execnz .LBB1846_51
.LBB1846_56:
	s_or_b64 exec, exec, s[50:51]
	v_add_u32_e32 v3, v48, v33
	v_or_b32_e32 v3, 0x80000000, v3
	global_store_dword v[5:6], v3, off
	global_load_dword v3, v37, s[44:45]
	v_sub_u32_e32 v4, v48, v32
	s_waitcnt vmcnt(0)
	v_add_u32_e32 v3, v4, v3
	ds_write_b32 v37, v3
.LBB1846_57:
	s_or_b64 exec, exec, s[28:29]
	v_add_u32_e32 v48, v17, v18
	v_add3_u32 v5, v24, v23, v42
	v_add3_u32 v6, v26, v25, v43
	v_add3_u32 v7, v28, v27, v40
	v_add3_u32 v8, v30, v29, v44
	v_add3_u32 v17, v34, v31, v45
	v_add3_u32 v18, v38, v36, v46
	v_add3_u32 v19, v41, v39, v47
	s_mov_b32 s52, 16
	s_mov_b32 s59, 0
	s_mov_b64 s[28:29], -1
	s_brev_b32 s53, -2
	v_mov_b32_e32 v4, 0
	s_movk_i32 s54, 0x200
	s_movk_i32 s55, 0x400
	;; [unrolled: 1-line block ×3, first 2 shown]
	v_bfrev_b32_e32 v49, 1
	v_mov_b32_e32 v50, v48
	v_mov_b32_e32 v51, v0
	s_branch .LBB1846_59
.LBB1846_58:                            ;   in Loop: Header=BB1846_59 Depth=1
	s_or_b64 exec, exec, s[50:51]
	s_xor_b64 s[50:51], s[28:29], -1
	v_add_u32_e32 v51, 0x800, v51
	v_add_u32_e32 v19, 0xfffff800, v19
	;; [unrolled: 1-line block ×9, first 2 shown]
	s_mov_b64 s[28:29], 0
	s_and_b64 vcc, exec, s[50:51]
	s_mov_b32 s59, s52
	s_waitcnt vmcnt(0)
	s_barrier
	s_cbranch_vccnz .LBB1846_67
.LBB1846_59:                            ; =>This Inner Loop Header: Depth=1
	v_min_u32_e32 v3, 0x800, v50
	v_lshlrev_b32_e32 v3, 2, v3
	ds_write_b32 v3, v16 offset:1024
	v_min_u32_e32 v3, 0x800, v5
	v_lshlrev_b32_e32 v3, 2, v3
	ds_write_b32 v3, v13 offset:1024
	;; [unrolled: 3-line block ×7, first 2 shown]
	v_min_u32_e32 v3, 0x800, v19
	v_lshlrev_b32_e32 v3, 2, v3
	v_cmp_gt_u32_e32 vcc, s7, v51
	ds_write_b32 v3, v10 offset:1024
	s_waitcnt lgkmcnt(0)
	s_barrier
	s_and_saveexec_b64 s[50:51], vcc
	s_cbranch_execz .LBB1846_61
; %bb.60:                               ;   in Loop: Header=BB1846_59 Depth=1
	ds_read_b32 v3, v37 offset:1024
	v_mov_b32_e32 v54, s39
	v_mov_b32_e32 v56, s59
	s_waitcnt lgkmcnt(0)
	v_cmp_ne_u32_e32 vcc, s53, v3
	v_cndmask_b32_e32 v52, v49, v3, vcc
	v_lshrrev_b32_e32 v52, s48, v52
	v_and_b32_e32 v55, s57, v52
	v_lshlrev_b32_e32 v52, 2, v55
	ds_read_b32 v52, v52
	v_cmp_lt_i32_e32 vcc, -1, v3
	v_cndmask_b32_e64 v53, v49, -1, vcc
	v_xor_b32_e32 v57, v53, v3
	buffer_store_dword v55, v56, s[0:3], 0 offen
	s_waitcnt lgkmcnt(0)
	v_add_u32_e32 v3, v51, v52
	v_lshlrev_b64 v[52:53], 2, v[3:4]
	v_add_co_u32_e32 v52, vcc, s38, v52
	v_addc_co_u32_e32 v53, vcc, v54, v53, vcc
	global_store_dword v[52:53], v57, off
.LBB1846_61:                            ;   in Loop: Header=BB1846_59 Depth=1
	s_or_b64 exec, exec, s[50:51]
	v_add_u32_e32 v3, 0x200, v51
	v_cmp_gt_u32_e32 vcc, s7, v3
	s_and_saveexec_b64 s[50:51], vcc
	s_cbranch_execz .LBB1846_63
; %bb.62:                               ;   in Loop: Header=BB1846_59 Depth=1
	ds_read_b32 v3, v37 offset:3072
	v_mov_b32_e32 v54, s39
	v_mov_b32_e32 v56, s59
	s_waitcnt lgkmcnt(0)
	v_cmp_ne_u32_e32 vcc, s53, v3
	v_cndmask_b32_e32 v52, v49, v3, vcc
	v_lshrrev_b32_e32 v52, s48, v52
	v_and_b32_e32 v55, s57, v52
	v_lshlrev_b32_e32 v52, 2, v55
	ds_read_b32 v52, v52
	v_cmp_lt_i32_e32 vcc, -1, v3
	v_cndmask_b32_e64 v53, v49, -1, vcc
	v_xor_b32_e32 v57, v53, v3
	buffer_store_dword v55, v56, s[0:3], 0 offen offset:4
	s_waitcnt lgkmcnt(0)
	v_add3_u32 v3, v51, v52, s54
	v_lshlrev_b64 v[52:53], 2, v[3:4]
	v_add_co_u32_e32 v52, vcc, s38, v52
	v_addc_co_u32_e32 v53, vcc, v54, v53, vcc
	global_store_dword v[52:53], v57, off
.LBB1846_63:                            ;   in Loop: Header=BB1846_59 Depth=1
	s_or_b64 exec, exec, s[50:51]
	v_add_u32_e32 v3, 0x400, v51
	v_cmp_gt_u32_e32 vcc, s7, v3
	s_and_saveexec_b64 s[50:51], vcc
	s_cbranch_execz .LBB1846_65
; %bb.64:                               ;   in Loop: Header=BB1846_59 Depth=1
	ds_read_b32 v3, v37 offset:5120
	v_mov_b32_e32 v54, s39
	v_mov_b32_e32 v56, s59
	s_waitcnt lgkmcnt(0)
	v_cmp_ne_u32_e32 vcc, s53, v3
	v_cndmask_b32_e32 v52, v49, v3, vcc
	v_lshrrev_b32_e32 v52, s48, v52
	v_and_b32_e32 v55, s57, v52
	v_lshlrev_b32_e32 v52, 2, v55
	ds_read_b32 v52, v52
	v_cmp_lt_i32_e32 vcc, -1, v3
	v_cndmask_b32_e64 v53, v49, -1, vcc
	v_xor_b32_e32 v57, v53, v3
	buffer_store_dword v55, v56, s[0:3], 0 offen offset:8
	s_waitcnt lgkmcnt(0)
	v_add3_u32 v3, v51, v52, s55
	v_lshlrev_b64 v[52:53], 2, v[3:4]
	v_add_co_u32_e32 v52, vcc, s38, v52
	v_addc_co_u32_e32 v53, vcc, v54, v53, vcc
	global_store_dword v[52:53], v57, off
.LBB1846_65:                            ;   in Loop: Header=BB1846_59 Depth=1
	s_or_b64 exec, exec, s[50:51]
	v_add_u32_e32 v3, 0x600, v51
	v_cmp_gt_u32_e32 vcc, s7, v3
	s_and_saveexec_b64 s[50:51], vcc
	s_cbranch_execz .LBB1846_58
; %bb.66:                               ;   in Loop: Header=BB1846_59 Depth=1
	ds_read_b32 v3, v37 offset:7168
	v_mov_b32_e32 v54, s39
	v_mov_b32_e32 v56, s59
	s_waitcnt lgkmcnt(0)
	v_cmp_ne_u32_e32 vcc, s53, v3
	v_cndmask_b32_e32 v52, v49, v3, vcc
	v_lshrrev_b32_e32 v52, s48, v52
	v_and_b32_e32 v55, s57, v52
	v_lshlrev_b32_e32 v52, 2, v55
	ds_read_b32 v52, v52
	v_cmp_lt_i32_e32 vcc, -1, v3
	v_cndmask_b32_e64 v53, v49, -1, vcc
	v_xor_b32_e32 v57, v53, v3
	buffer_store_dword v55, v56, s[0:3], 0 offen offset:12
	s_waitcnt lgkmcnt(0)
	v_add3_u32 v3, v51, v52, s58
	v_lshlrev_b64 v[52:53], 2, v[3:4]
	v_add_co_u32_e32 v52, vcc, s38, v52
	v_addc_co_u32_e32 v53, vcc, v54, v53, vcc
	global_store_dword v[52:53], v57, off
	s_branch .LBB1846_58
.LBB1846_67:
	s_lshl_b64 s[28:29], s[34:35], 3
	s_add_u32 s28, s40, s28
	s_addc_u32 s29, s41, s29
	v_lshlrev_b32_e32 v3, 3, v15
	v_mov_b32_e32 v4, s29
	v_add_co_u32_e32 v3, vcc, s28, v3
	v_addc_co_u32_e32 v4, vcc, 0, v4, vcc
	v_lshlrev_b32_e32 v5, 3, v14
	v_add_co_u32_e32 v19, vcc, v3, v5
	v_addc_co_u32_e32 v20, vcc, 0, v4, vcc
                                        ; implicit-def: $vgpr3_vgpr4
	s_and_saveexec_b64 s[28:29], s[8:9]
	s_cbranch_execz .LBB1846_75
; %bb.68:
	global_load_dwordx2 v[3:4], v[19:20], off
	s_or_b64 exec, exec, s[28:29]
                                        ; implicit-def: $vgpr5_vgpr6
	s_and_saveexec_b64 s[8:9], s[10:11]
	s_cbranch_execnz .LBB1846_76
.LBB1846_69:
	s_or_b64 exec, exec, s[8:9]
                                        ; implicit-def: $vgpr7_vgpr8
	s_and_saveexec_b64 s[8:9], s[12:13]
	s_cbranch_execz .LBB1846_77
.LBB1846_70:
	global_load_dwordx2 v[7:8], v[19:20], off offset:1024
	s_or_b64 exec, exec, s[8:9]
                                        ; implicit-def: $vgpr9_vgpr10
	s_and_saveexec_b64 s[8:9], s[14:15]
	s_cbranch_execnz .LBB1846_78
.LBB1846_71:
	s_or_b64 exec, exec, s[8:9]
                                        ; implicit-def: $vgpr11_vgpr12
	s_and_saveexec_b64 s[8:9], s[16:17]
	s_cbranch_execz .LBB1846_79
.LBB1846_72:
	global_load_dwordx2 v[11:12], v[19:20], off offset:2048
	s_or_b64 exec, exec, s[8:9]
                                        ; implicit-def: $vgpr13_vgpr14
	s_and_saveexec_b64 s[8:9], s[18:19]
	s_cbranch_execnz .LBB1846_80
.LBB1846_73:
	s_or_b64 exec, exec, s[8:9]
                                        ; implicit-def: $vgpr15_vgpr16
	s_and_saveexec_b64 s[8:9], s[20:21]
	s_cbranch_execz .LBB1846_81
.LBB1846_74:
	global_load_dwordx2 v[15:16], v[19:20], off offset:3072
	s_or_b64 exec, exec, s[8:9]
                                        ; implicit-def: $vgpr17_vgpr18
	s_and_saveexec_b64 s[8:9], s[22:23]
	s_cbranch_execnz .LBB1846_82
	s_branch .LBB1846_83
.LBB1846_75:
	s_or_b64 exec, exec, s[28:29]
                                        ; implicit-def: $vgpr5_vgpr6
	s_and_saveexec_b64 s[8:9], s[10:11]
	s_cbranch_execz .LBB1846_69
.LBB1846_76:
	global_load_dwordx2 v[5:6], v[19:20], off offset:512
	s_or_b64 exec, exec, s[8:9]
                                        ; implicit-def: $vgpr7_vgpr8
	s_and_saveexec_b64 s[8:9], s[12:13]
	s_cbranch_execnz .LBB1846_70
.LBB1846_77:
	s_or_b64 exec, exec, s[8:9]
                                        ; implicit-def: $vgpr9_vgpr10
	s_and_saveexec_b64 s[8:9], s[14:15]
	s_cbranch_execz .LBB1846_71
.LBB1846_78:
	global_load_dwordx2 v[9:10], v[19:20], off offset:1536
	s_or_b64 exec, exec, s[8:9]
                                        ; implicit-def: $vgpr11_vgpr12
	s_and_saveexec_b64 s[8:9], s[16:17]
	s_cbranch_execnz .LBB1846_72
.LBB1846_79:
	s_or_b64 exec, exec, s[8:9]
                                        ; implicit-def: $vgpr13_vgpr14
	s_and_saveexec_b64 s[8:9], s[18:19]
	s_cbranch_execz .LBB1846_73
.LBB1846_80:
	global_load_dwordx2 v[13:14], v[19:20], off offset:2560
	s_or_b64 exec, exec, s[8:9]
                                        ; implicit-def: $vgpr15_vgpr16
	s_and_saveexec_b64 s[8:9], s[20:21]
	s_cbranch_execnz .LBB1846_74
.LBB1846_81:
	s_or_b64 exec, exec, s[8:9]
                                        ; implicit-def: $vgpr17_vgpr18
	s_and_saveexec_b64 s[8:9], s[22:23]
	s_cbranch_execz .LBB1846_83
.LBB1846_82:
	global_load_dwordx2 v[17:18], v[19:20], off offset:3584
.LBB1846_83:
	s_or_b64 exec, exec, s[8:9]
	v_add3_u32 v35, v41, v47, v39
	v_add3_u32 v36, v38, v46, v36
	;; [unrolled: 1-line block ×7, first 2 shown]
	s_mov_b32 s10, 0
	s_mov_b32 s11, 0
	v_mov_b32_e32 v20, 0
	s_movk_i32 s12, 0x200
	v_mov_b32_e32 v24, v0
	s_branch .LBB1846_85
.LBB1846_84:                            ;   in Loop: Header=BB1846_85 Depth=1
	s_or_b64 exec, exec, s[8:9]
	s_addk_i32 s11, 0xfc00
	s_add_i32 s10, s10, 8
	s_cmpk_eq_i32 s11, 0xf000
	v_add_u32_e32 v24, 0x400, v24
	s_waitcnt vmcnt(0)
	s_barrier
	s_cbranch_scc1 .LBB1846_89
.LBB1846_85:                            ; =>This Inner Loop Header: Depth=1
	v_add_u32_e32 v19, s11, v48
	v_min_u32_e32 v19, 0x400, v19
	v_lshlrev_b32_e32 v19, 3, v19
	s_waitcnt vmcnt(0)
	ds_write_b64 v19, v[3:4] offset:1024
	v_add_u32_e32 v19, s11, v23
	v_min_u32_e32 v19, 0x400, v19
	v_lshlrev_b32_e32 v19, 3, v19
	ds_write_b64 v19, v[5:6] offset:1024
	v_add_u32_e32 v19, s11, v25
	v_min_u32_e32 v19, 0x400, v19
	v_lshlrev_b32_e32 v19, 3, v19
	;; [unrolled: 4-line block ×7, first 2 shown]
	v_cmp_gt_u32_e32 vcc, s7, v24
	ds_write_b64 v19, v[17:18] offset:1024
	s_waitcnt lgkmcnt(0)
	s_barrier
	s_and_saveexec_b64 s[8:9], vcc
	s_cbranch_execz .LBB1846_87
; %bb.86:                               ;   in Loop: Header=BB1846_85 Depth=1
	v_mov_b32_e32 v19, s10
	buffer_load_dword v19, v19, s[0:3], 0 offen
	v_mov_b32_e32 v26, s43
	s_waitcnt vmcnt(0)
	v_lshlrev_b32_e32 v19, 2, v19
	ds_read_b32 v19, v19
	ds_read_b64 v[38:39], v21 offset:1024
	s_waitcnt lgkmcnt(1)
	v_add_u32_e32 v19, v24, v19
	v_lshlrev_b64 v[40:41], 3, v[19:20]
	v_add_co_u32_e32 v40, vcc, s42, v40
	v_addc_co_u32_e32 v41, vcc, v26, v41, vcc
	s_waitcnt lgkmcnt(0)
	global_store_dwordx2 v[40:41], v[38:39], off
.LBB1846_87:                            ;   in Loop: Header=BB1846_85 Depth=1
	s_or_b64 exec, exec, s[8:9]
	v_add_u32_e32 v19, 0x200, v24
	v_cmp_gt_u32_e32 vcc, s7, v19
	s_and_saveexec_b64 s[8:9], vcc
	s_cbranch_execz .LBB1846_84
; %bb.88:                               ;   in Loop: Header=BB1846_85 Depth=1
	v_mov_b32_e32 v19, s10
	buffer_load_dword v19, v19, s[0:3], 0 offen offset:4
	v_mov_b32_e32 v26, s43
	s_waitcnt vmcnt(0)
	v_lshlrev_b32_e32 v19, 2, v19
	ds_read_b32 v19, v19
	ds_read_b64 v[38:39], v21 offset:5120
	s_waitcnt lgkmcnt(1)
	v_add3_u32 v19, v24, v19, s12
	v_lshlrev_b64 v[40:41], 3, v[19:20]
	v_add_co_u32_e32 v40, vcc, s42, v40
	v_addc_co_u32_e32 v41, vcc, v26, v41, vcc
	s_waitcnt lgkmcnt(0)
	global_store_dwordx2 v[40:41], v[38:39], off
	s_branch .LBB1846_84
.LBB1846_89:
	s_add_i32 s56, s56, -1
	s_cmp_eq_u32 s33, s56
	s_cselect_b64 s[8:9], -1, 0
	s_xor_b64 s[10:11], s[24:25], -1
	s_and_b64 s[10:11], s[10:11], s[8:9]
	s_and_saveexec_b64 s[8:9], s[10:11]
	s_cbranch_execz .LBB1846_91
; %bb.90:
	ds_read_b32 v3, v37
	s_waitcnt lgkmcnt(0)
	v_add3_u32 v3, v32, v33, v3
	global_store_dword v37, v3, s[46:47]
.LBB1846_91:
	s_or_b64 exec, exec, s[8:9]
	s_mov_b64 s[8:9], 0
.LBB1846_92:
	s_and_b64 vcc, exec, s[8:9]
	s_cbranch_vccz .LBB1846_135
; %bb.93:
	s_lshl_b32 s8, s33, 12
	s_mov_b32 s9, 0
	s_lshl_b64 s[10:11], s[8:9], 2
	v_mbcnt_hi_u32_b32 v5, -1, v22
	s_add_u32 s7, s36, s10
	v_and_b32_e32 v8, 63, v5
	s_addc_u32 s10, s37, s11
	v_lshlrev_b32_e32 v3, 2, v8
	v_and_b32_e32 v7, 0xe00, v21
	v_mov_b32_e32 v4, s10
	v_add_co_u32_e32 v3, vcc, s7, v3
	v_addc_co_u32_e32 v4, vcc, 0, v4, vcc
	v_lshlrev_b32_e32 v6, 2, v7
	v_add_co_u32_e32 v14, vcc, v3, v6
	v_addc_co_u32_e32 v15, vcc, 0, v4, vcc
	global_load_dword v4, v[14:15], off
	s_load_dword s16, s[4:5], 0x58
	s_load_dword s7, s[4:5], 0x64
	s_add_u32 s4, s4, 0x58
	s_addc_u32 s5, s5, 0
	v_mov_b32_e32 v3, 0
	v_bfrev_b32_e32 v11, 1
	s_waitcnt lgkmcnt(0)
	s_lshr_b32 s11, s7, 16
	s_cmp_lt_u32 s6, s16
	s_cselect_b32 s6, 12, 18
	s_add_u32 s4, s4, s6
	s_addc_u32 s5, s5, 0
	global_load_ushort v6, v3, s[4:5]
	global_load_dword v10, v[14:15], off offset:256
	global_load_dword v17, v[14:15], off offset:512
	;; [unrolled: 1-line block ×7, first 2 shown]
	s_brev_b32 s10, -2
	s_lshl_b32 s4, -1, s49
	s_not_b32 s17, s4
	v_mad_u32_u24 v1, v2, s11, v1
	s_waitcnt vmcnt(8)
	v_cmp_lt_i32_e32 vcc, -1, v4
	v_cndmask_b32_e32 v9, -1, v11, vcc
	v_xor_b32_e32 v9, v9, v4
	v_cmp_ne_u32_e32 vcc, s10, v9
	v_cndmask_b32_e32 v4, v11, v9, vcc
	v_lshrrev_b32_e32 v4, s48, v4
	v_and_b32_e32 v12, s17, v4
	v_and_b32_e32 v14, 1, v12
	v_lshlrev_b32_e32 v4, 30, v12
	v_cmp_ne_u32_e32 vcc, 0, v14
	v_add_co_u32_e64 v14, s[6:7], -1, v14
	v_cmp_gt_i64_e64 s[4:5], 0, v[3:4]
	v_addc_co_u32_e64 v15, s[6:7], 0, -1, s[6:7]
	v_not_b32_e32 v18, v4
	v_lshlrev_b32_e32 v4, 29, v12
	v_xor_b32_e32 v15, vcc_hi, v15
	v_ashrrev_i32_e32 v18, 31, v18
	v_xor_b32_e32 v14, vcc_lo, v14
	v_cmp_gt_i64_e32 vcc, 0, v[3:4]
	v_not_b32_e32 v19, v4
	v_lshlrev_b32_e32 v4, 28, v12
	v_and_b32_e32 v15, exec_hi, v15
	v_xor_b32_e32 v20, s5, v18
	v_and_b32_e32 v14, exec_lo, v14
	v_xor_b32_e32 v18, s4, v18
	v_ashrrev_i32_e32 v19, 31, v19
	v_cmp_gt_i64_e64 s[4:5], 0, v[3:4]
	v_not_b32_e32 v23, v4
	v_lshlrev_b32_e32 v4, 27, v12
	v_and_b32_e32 v15, v15, v20
	v_and_b32_e32 v14, v14, v18
	v_xor_b32_e32 v18, vcc_hi, v19
	v_xor_b32_e32 v19, vcc_lo, v19
	v_ashrrev_i32_e32 v20, 31, v23
	v_cmp_gt_i64_e32 vcc, 0, v[3:4]
	v_not_b32_e32 v23, v4
	v_lshlrev_b32_e32 v4, 26, v12
	v_and_b32_e32 v15, v15, v18
	v_and_b32_e32 v14, v14, v19
	v_xor_b32_e32 v18, s5, v20
	v_xor_b32_e32 v19, s4, v20
	v_ashrrev_i32_e32 v20, 31, v23
	v_cmp_gt_i64_e64 s[4:5], 0, v[3:4]
	v_not_b32_e32 v23, v4
	v_lshlrev_b32_e32 v4, 25, v12
	v_and_b32_e32 v15, v15, v18
	v_and_b32_e32 v14, v14, v19
	v_xor_b32_e32 v18, vcc_hi, v20
	v_xor_b32_e32 v19, vcc_lo, v20
	v_ashrrev_i32_e32 v20, 31, v23
	v_cmp_gt_i64_e32 vcc, 0, v[3:4]
	v_not_b32_e32 v4, v4
	v_and_b32_e32 v15, v15, v18
	v_and_b32_e32 v14, v14, v19
	v_xor_b32_e32 v18, s5, v20
	v_xor_b32_e32 v19, s4, v20
	v_ashrrev_i32_e32 v4, 31, v4
	v_and_b32_e32 v15, v15, v18
	v_and_b32_e32 v14, v14, v19
	v_xor_b32_e32 v18, vcc_hi, v4
	v_xor_b32_e32 v4, vcc_lo, v4
	v_and_b32_e32 v19, v14, v4
	v_lshlrev_b32_e32 v4, 24, v12
	v_cmp_gt_i64_e32 vcc, 0, v[3:4]
	v_not_b32_e32 v4, v4
	v_and_b32_e32 v18, v15, v18
	v_ashrrev_i32_e32 v4, 31, v4
	s_waitcnt vmcnt(7)
	v_mad_u64_u32 v[14:15], s[4:5], v1, v6, v[0:1]
	v_xor_b32_e32 v20, vcc_hi, v4
	v_xor_b32_e32 v1, vcc_lo, v4
	v_mul_lo_u32 v4, v12, 36
	v_and_b32_e32 v1, v19, v1
	v_lshrrev_b32_e32 v27, 6, v14
	v_and_b32_e32 v2, v18, v20
	v_lshl_add_u32 v18, v27, 2, v4
	v_mbcnt_lo_u32_b32 v4, v1, 0
	v_mbcnt_hi_u32_b32 v12, v2, v4
	v_cmp_ne_u64_e32 vcc, 0, v[1:2]
	v_cmp_eq_u32_e64 s[4:5], 0, v12
	v_mul_u32_u24_e32 v6, 20, v0
	s_and_b64 s[6:7], vcc, s[4:5]
	ds_write2_b32 v6, v3, v3 offset0:8 offset1:9
	ds_write2_b32 v6, v3, v3 offset0:10 offset1:11
	ds_write_b32 v6, v3 offset:48
	s_waitcnt vmcnt(0) lgkmcnt(0)
	s_barrier
	; wave barrier
	s_and_saveexec_b64 s[4:5], s[6:7]
; %bb.94:
	v_bcnt_u32_b32 v1, v1, 0
	v_bcnt_u32_b32 v1, v2, v1
	ds_write_b32 v18, v1 offset:32
; %bb.95:
	s_or_b64 exec, exec, s[4:5]
	v_cmp_lt_i32_e32 vcc, -1, v10
	v_cndmask_b32_e32 v1, -1, v11, vcc
	v_xor_b32_e32 v10, v1, v10
	v_cmp_ne_u32_e32 vcc, s10, v10
	v_cndmask_b32_e32 v1, v11, v10, vcc
	v_lshrrev_b32_e32 v1, s48, v1
	v_and_b32_e32 v1, s17, v1
	v_mul_lo_u32 v2, v1, 36
	; wave barrier
	v_lshl_add_u32 v19, v27, 2, v2
	v_and_b32_e32 v2, 1, v1
	v_add_co_u32_e32 v4, vcc, -1, v2
	v_addc_co_u32_e64 v11, s[4:5], 0, -1, vcc
	v_cmp_ne_u32_e32 vcc, 0, v2
	v_xor_b32_e32 v4, vcc_lo, v4
	v_xor_b32_e32 v2, vcc_hi, v11
	v_and_b32_e32 v11, exec_lo, v4
	v_lshlrev_b32_e32 v4, 30, v1
	v_cmp_gt_i64_e32 vcc, 0, v[3:4]
	v_not_b32_e32 v4, v4
	v_ashrrev_i32_e32 v4, 31, v4
	v_xor_b32_e32 v15, vcc_hi, v4
	v_xor_b32_e32 v4, vcc_lo, v4
	v_and_b32_e32 v11, v11, v4
	v_lshlrev_b32_e32 v4, 29, v1
	v_cmp_gt_i64_e32 vcc, 0, v[3:4]
	v_not_b32_e32 v4, v4
	v_and_b32_e32 v2, exec_hi, v2
	v_ashrrev_i32_e32 v4, 31, v4
	v_and_b32_e32 v2, v2, v15
	v_xor_b32_e32 v15, vcc_hi, v4
	v_xor_b32_e32 v4, vcc_lo, v4
	v_and_b32_e32 v11, v11, v4
	v_lshlrev_b32_e32 v4, 28, v1
	v_cmp_gt_i64_e32 vcc, 0, v[3:4]
	v_not_b32_e32 v4, v4
	v_ashrrev_i32_e32 v4, 31, v4
	v_and_b32_e32 v2, v2, v15
	v_xor_b32_e32 v15, vcc_hi, v4
	v_xor_b32_e32 v4, vcc_lo, v4
	v_and_b32_e32 v11, v11, v4
	v_lshlrev_b32_e32 v4, 27, v1
	v_cmp_gt_i64_e32 vcc, 0, v[3:4]
	v_not_b32_e32 v4, v4
	;; [unrolled: 8-line block ×5, first 2 shown]
	v_ashrrev_i32_e32 v1, 31, v1
	v_xor_b32_e32 v3, vcc_hi, v1
	v_xor_b32_e32 v1, vcc_lo, v1
	ds_read_b32 v14, v19 offset:32
	v_and_b32_e32 v2, v2, v15
	v_and_b32_e32 v1, v11, v1
	;; [unrolled: 1-line block ×3, first 2 shown]
	v_mbcnt_lo_u32_b32 v3, v1, 0
	v_mbcnt_hi_u32_b32 v15, v2, v3
	v_cmp_ne_u64_e32 vcc, 0, v[1:2]
	v_cmp_eq_u32_e64 s[4:5], 0, v15
	s_and_b64 s[6:7], vcc, s[4:5]
	; wave barrier
	s_and_saveexec_b64 s[4:5], s[6:7]
	s_cbranch_execz .LBB1846_97
; %bb.96:
	v_bcnt_u32_b32 v1, v1, 0
	v_bcnt_u32_b32 v1, v2, v1
	s_waitcnt lgkmcnt(0)
	v_add_u32_e32 v1, v14, v1
	ds_write_b32 v19, v1 offset:32
.LBB1846_97:
	s_or_b64 exec, exec, s[4:5]
	v_bfrev_b32_e32 v4, 1
	v_cmp_lt_i32_e32 vcc, -1, v17
	v_cndmask_b32_e32 v1, -1, v4, vcc
	v_xor_b32_e32 v11, v1, v17
	s_brev_b32 s6, -2
	v_cmp_ne_u32_e32 vcc, s6, v11
	v_cndmask_b32_e32 v1, v4, v11, vcc
	v_lshrrev_b32_e32 v1, s48, v1
	v_and_b32_e32 v3, s17, v1
	v_mul_lo_u32 v1, v3, 36
	v_and_b32_e32 v2, 1, v3
	v_add_co_u32_e32 v20, vcc, -1, v2
	v_addc_co_u32_e64 v23, s[4:5], 0, -1, vcc
	v_cmp_ne_u32_e32 vcc, 0, v2
	v_xor_b32_e32 v2, vcc_hi, v23
	v_lshl_add_u32 v25, v27, 2, v1
	v_mov_b32_e32 v1, 0
	v_and_b32_e32 v23, exec_hi, v2
	v_lshlrev_b32_e32 v2, 30, v3
	v_xor_b32_e32 v20, vcc_lo, v20
	v_cmp_gt_i64_e32 vcc, 0, v[1:2]
	v_not_b32_e32 v2, v2
	v_ashrrev_i32_e32 v2, 31, v2
	v_and_b32_e32 v20, exec_lo, v20
	v_xor_b32_e32 v26, vcc_hi, v2
	v_xor_b32_e32 v2, vcc_lo, v2
	v_and_b32_e32 v20, v20, v2
	v_lshlrev_b32_e32 v2, 29, v3
	v_cmp_gt_i64_e32 vcc, 0, v[1:2]
	v_not_b32_e32 v2, v2
	v_ashrrev_i32_e32 v2, 31, v2
	v_and_b32_e32 v23, v23, v26
	v_xor_b32_e32 v26, vcc_hi, v2
	v_xor_b32_e32 v2, vcc_lo, v2
	v_and_b32_e32 v20, v20, v2
	v_lshlrev_b32_e32 v2, 28, v3
	v_cmp_gt_i64_e32 vcc, 0, v[1:2]
	v_not_b32_e32 v2, v2
	v_ashrrev_i32_e32 v2, 31, v2
	v_and_b32_e32 v23, v23, v26
	;; [unrolled: 8-line block ×5, first 2 shown]
	v_xor_b32_e32 v26, vcc_hi, v2
	v_xor_b32_e32 v2, vcc_lo, v2
	v_and_b32_e32 v20, v20, v2
	v_lshlrev_b32_e32 v2, 24, v3
	v_cmp_gt_i64_e32 vcc, 0, v[1:2]
	v_not_b32_e32 v2, v2
	v_ashrrev_i32_e32 v2, 31, v2
	v_xor_b32_e32 v3, vcc_hi, v2
	v_xor_b32_e32 v2, vcc_lo, v2
	; wave barrier
	ds_read_b32 v17, v25 offset:32
	v_and_b32_e32 v23, v23, v26
	v_and_b32_e32 v2, v20, v2
	;; [unrolled: 1-line block ×3, first 2 shown]
	v_mbcnt_lo_u32_b32 v20, v2, 0
	v_mbcnt_hi_u32_b32 v20, v3, v20
	v_cmp_ne_u64_e32 vcc, 0, v[2:3]
	v_cmp_eq_u32_e64 s[4:5], 0, v20
	s_and_b64 s[10:11], vcc, s[4:5]
	; wave barrier
	s_and_saveexec_b64 s[4:5], s[10:11]
	s_cbranch_execz .LBB1846_99
; %bb.98:
	v_bcnt_u32_b32 v2, v2, 0
	v_bcnt_u32_b32 v2, v3, v2
	s_waitcnt lgkmcnt(0)
	v_add_u32_e32 v2, v17, v2
	ds_write_b32 v25, v2 offset:32
.LBB1846_99:
	s_or_b64 exec, exec, s[4:5]
	v_cmp_lt_i32_e32 vcc, -1, v13
	v_cndmask_b32_e32 v2, -1, v4, vcc
	v_xor_b32_e32 v13, v2, v13
	v_cmp_ne_u32_e32 vcc, s6, v13
	v_cndmask_b32_e32 v2, v4, v13, vcc
	v_lshrrev_b32_e32 v2, s48, v2
	v_and_b32_e32 v3, s17, v2
	v_mul_lo_u32 v2, v3, 36
	; wave barrier
	v_lshl_add_u32 v30, v27, 2, v2
	v_and_b32_e32 v2, 1, v3
	v_add_co_u32_e32 v4, vcc, -1, v2
	v_addc_co_u32_e64 v26, s[4:5], 0, -1, vcc
	v_cmp_ne_u32_e32 vcc, 0, v2
	v_xor_b32_e32 v2, vcc_hi, v26
	v_and_b32_e32 v26, exec_hi, v2
	v_lshlrev_b32_e32 v2, 30, v3
	v_xor_b32_e32 v4, vcc_lo, v4
	v_cmp_gt_i64_e32 vcc, 0, v[1:2]
	v_not_b32_e32 v2, v2
	v_ashrrev_i32_e32 v2, 31, v2
	v_and_b32_e32 v4, exec_lo, v4
	v_xor_b32_e32 v29, vcc_hi, v2
	v_xor_b32_e32 v2, vcc_lo, v2
	v_and_b32_e32 v4, v4, v2
	v_lshlrev_b32_e32 v2, 29, v3
	v_cmp_gt_i64_e32 vcc, 0, v[1:2]
	v_not_b32_e32 v2, v2
	v_ashrrev_i32_e32 v2, 31, v2
	v_and_b32_e32 v26, v26, v29
	v_xor_b32_e32 v29, vcc_hi, v2
	v_xor_b32_e32 v2, vcc_lo, v2
	v_and_b32_e32 v4, v4, v2
	v_lshlrev_b32_e32 v2, 28, v3
	v_cmp_gt_i64_e32 vcc, 0, v[1:2]
	v_not_b32_e32 v2, v2
	v_ashrrev_i32_e32 v2, 31, v2
	v_and_b32_e32 v26, v26, v29
	;; [unrolled: 8-line block ×5, first 2 shown]
	v_xor_b32_e32 v29, vcc_hi, v2
	v_xor_b32_e32 v2, vcc_lo, v2
	v_and_b32_e32 v4, v4, v2
	v_lshlrev_b32_e32 v2, 24, v3
	v_cmp_gt_i64_e32 vcc, 0, v[1:2]
	v_not_b32_e32 v1, v2
	v_ashrrev_i32_e32 v1, 31, v1
	v_xor_b32_e32 v2, vcc_hi, v1
	v_xor_b32_e32 v1, vcc_lo, v1
	ds_read_b32 v23, v30 offset:32
	v_and_b32_e32 v26, v26, v29
	v_and_b32_e32 v1, v4, v1
	;; [unrolled: 1-line block ×3, first 2 shown]
	v_mbcnt_lo_u32_b32 v3, v1, 0
	v_mbcnt_hi_u32_b32 v26, v2, v3
	v_cmp_ne_u64_e32 vcc, 0, v[1:2]
	v_cmp_eq_u32_e64 s[4:5], 0, v26
	s_and_b64 s[6:7], vcc, s[4:5]
	; wave barrier
	s_and_saveexec_b64 s[4:5], s[6:7]
	s_cbranch_execz .LBB1846_101
; %bb.100:
	v_bcnt_u32_b32 v1, v1, 0
	v_bcnt_u32_b32 v1, v2, v1
	s_waitcnt lgkmcnt(0)
	v_add_u32_e32 v1, v23, v1
	ds_write_b32 v30, v1 offset:32
.LBB1846_101:
	s_or_b64 exec, exec, s[4:5]
	v_bfrev_b32_e32 v4, 1
	v_cmp_lt_i32_e32 vcc, -1, v16
	v_cndmask_b32_e32 v1, -1, v4, vcc
	v_xor_b32_e32 v16, v1, v16
	s_brev_b32 s6, -2
	v_cmp_ne_u32_e32 vcc, s6, v16
	v_cndmask_b32_e32 v1, v4, v16, vcc
	v_lshrrev_b32_e32 v1, s48, v1
	v_and_b32_e32 v3, s17, v1
	v_mul_lo_u32 v1, v3, 36
	v_and_b32_e32 v2, 1, v3
	v_add_co_u32_e32 v31, vcc, -1, v2
	v_addc_co_u32_e64 v32, s[4:5], 0, -1, vcc
	v_cmp_ne_u32_e32 vcc, 0, v2
	v_xor_b32_e32 v2, vcc_hi, v32
	v_lshl_add_u32 v34, v27, 2, v1
	v_mov_b32_e32 v1, 0
	v_and_b32_e32 v32, exec_hi, v2
	v_lshlrev_b32_e32 v2, 30, v3
	v_xor_b32_e32 v31, vcc_lo, v31
	v_cmp_gt_i64_e32 vcc, 0, v[1:2]
	v_not_b32_e32 v2, v2
	v_ashrrev_i32_e32 v2, 31, v2
	v_and_b32_e32 v31, exec_lo, v31
	v_xor_b32_e32 v33, vcc_hi, v2
	v_xor_b32_e32 v2, vcc_lo, v2
	v_and_b32_e32 v31, v31, v2
	v_lshlrev_b32_e32 v2, 29, v3
	v_cmp_gt_i64_e32 vcc, 0, v[1:2]
	v_not_b32_e32 v2, v2
	v_ashrrev_i32_e32 v2, 31, v2
	v_and_b32_e32 v32, v32, v33
	v_xor_b32_e32 v33, vcc_hi, v2
	v_xor_b32_e32 v2, vcc_lo, v2
	v_and_b32_e32 v31, v31, v2
	v_lshlrev_b32_e32 v2, 28, v3
	v_cmp_gt_i64_e32 vcc, 0, v[1:2]
	v_not_b32_e32 v2, v2
	v_ashrrev_i32_e32 v2, 31, v2
	v_and_b32_e32 v32, v32, v33
	;; [unrolled: 8-line block ×5, first 2 shown]
	v_xor_b32_e32 v33, vcc_hi, v2
	v_xor_b32_e32 v2, vcc_lo, v2
	v_and_b32_e32 v31, v31, v2
	v_lshlrev_b32_e32 v2, 24, v3
	v_cmp_gt_i64_e32 vcc, 0, v[1:2]
	v_not_b32_e32 v2, v2
	v_ashrrev_i32_e32 v2, 31, v2
	v_xor_b32_e32 v3, vcc_hi, v2
	v_xor_b32_e32 v2, vcc_lo, v2
	; wave barrier
	ds_read_b32 v29, v34 offset:32
	v_and_b32_e32 v32, v32, v33
	v_and_b32_e32 v2, v31, v2
	;; [unrolled: 1-line block ×3, first 2 shown]
	v_mbcnt_lo_u32_b32 v31, v2, 0
	v_mbcnt_hi_u32_b32 v31, v3, v31
	v_cmp_ne_u64_e32 vcc, 0, v[2:3]
	v_cmp_eq_u32_e64 s[4:5], 0, v31
	s_and_b64 s[10:11], vcc, s[4:5]
	; wave barrier
	s_and_saveexec_b64 s[4:5], s[10:11]
	s_cbranch_execz .LBB1846_103
; %bb.102:
	v_bcnt_u32_b32 v2, v2, 0
	v_bcnt_u32_b32 v2, v3, v2
	s_waitcnt lgkmcnt(0)
	v_add_u32_e32 v2, v29, v2
	ds_write_b32 v34, v2 offset:32
.LBB1846_103:
	s_or_b64 exec, exec, s[4:5]
	v_cmp_lt_i32_e32 vcc, -1, v22
	v_cndmask_b32_e32 v2, -1, v4, vcc
	v_xor_b32_e32 v22, v2, v22
	v_cmp_ne_u32_e32 vcc, s6, v22
	v_cndmask_b32_e32 v2, v4, v22, vcc
	v_lshrrev_b32_e32 v2, s48, v2
	v_and_b32_e32 v3, s17, v2
	v_mul_lo_u32 v2, v3, 36
	; wave barrier
	v_lshl_add_u32 v37, v27, 2, v2
	v_and_b32_e32 v2, 1, v3
	v_add_co_u32_e32 v4, vcc, -1, v2
	v_addc_co_u32_e64 v32, s[4:5], 0, -1, vcc
	v_cmp_ne_u32_e32 vcc, 0, v2
	v_xor_b32_e32 v2, vcc_hi, v32
	v_and_b32_e32 v32, exec_hi, v2
	v_lshlrev_b32_e32 v2, 30, v3
	v_xor_b32_e32 v4, vcc_lo, v4
	v_cmp_gt_i64_e32 vcc, 0, v[1:2]
	v_not_b32_e32 v2, v2
	v_ashrrev_i32_e32 v2, 31, v2
	v_and_b32_e32 v4, exec_lo, v4
	v_xor_b32_e32 v35, vcc_hi, v2
	v_xor_b32_e32 v2, vcc_lo, v2
	v_and_b32_e32 v4, v4, v2
	v_lshlrev_b32_e32 v2, 29, v3
	v_cmp_gt_i64_e32 vcc, 0, v[1:2]
	v_not_b32_e32 v2, v2
	v_ashrrev_i32_e32 v2, 31, v2
	v_and_b32_e32 v32, v32, v35
	v_xor_b32_e32 v35, vcc_hi, v2
	v_xor_b32_e32 v2, vcc_lo, v2
	v_and_b32_e32 v4, v4, v2
	v_lshlrev_b32_e32 v2, 28, v3
	v_cmp_gt_i64_e32 vcc, 0, v[1:2]
	v_not_b32_e32 v2, v2
	v_ashrrev_i32_e32 v2, 31, v2
	v_and_b32_e32 v32, v32, v35
	;; [unrolled: 8-line block ×5, first 2 shown]
	v_xor_b32_e32 v35, vcc_hi, v2
	v_xor_b32_e32 v2, vcc_lo, v2
	v_and_b32_e32 v4, v4, v2
	v_lshlrev_b32_e32 v2, 24, v3
	v_cmp_gt_i64_e32 vcc, 0, v[1:2]
	v_not_b32_e32 v1, v2
	v_ashrrev_i32_e32 v1, 31, v1
	v_xor_b32_e32 v2, vcc_hi, v1
	v_xor_b32_e32 v1, vcc_lo, v1
	ds_read_b32 v33, v37 offset:32
	v_and_b32_e32 v32, v32, v35
	v_and_b32_e32 v1, v4, v1
	;; [unrolled: 1-line block ×3, first 2 shown]
	v_mbcnt_lo_u32_b32 v3, v1, 0
	v_mbcnt_hi_u32_b32 v35, v2, v3
	v_cmp_ne_u64_e32 vcc, 0, v[1:2]
	v_cmp_eq_u32_e64 s[4:5], 0, v35
	s_and_b64 s[6:7], vcc, s[4:5]
	; wave barrier
	s_and_saveexec_b64 s[4:5], s[6:7]
	s_cbranch_execz .LBB1846_105
; %bb.104:
	v_bcnt_u32_b32 v1, v1, 0
	v_bcnt_u32_b32 v1, v2, v1
	s_waitcnt lgkmcnt(0)
	v_add_u32_e32 v1, v33, v1
	ds_write_b32 v37, v1 offset:32
.LBB1846_105:
	s_or_b64 exec, exec, s[4:5]
	v_bfrev_b32_e32 v4, 1
	v_cmp_lt_i32_e32 vcc, -1, v28
	v_cndmask_b32_e32 v1, -1, v4, vcc
	v_xor_b32_e32 v28, v1, v28
	s_brev_b32 s6, -2
	v_cmp_ne_u32_e32 vcc, s6, v28
	v_cndmask_b32_e32 v1, v4, v28, vcc
	v_lshrrev_b32_e32 v1, s48, v1
	v_and_b32_e32 v3, s17, v1
	v_mul_lo_u32 v1, v3, 36
	v_and_b32_e32 v2, 1, v3
	v_add_co_u32_e32 v32, vcc, -1, v2
	v_addc_co_u32_e64 v38, s[4:5], 0, -1, vcc
	v_cmp_ne_u32_e32 vcc, 0, v2
	v_xor_b32_e32 v2, vcc_hi, v38
	v_lshl_add_u32 v40, v27, 2, v1
	v_mov_b32_e32 v1, 0
	v_and_b32_e32 v38, exec_hi, v2
	v_lshlrev_b32_e32 v2, 30, v3
	v_xor_b32_e32 v32, vcc_lo, v32
	v_cmp_gt_i64_e32 vcc, 0, v[1:2]
	v_not_b32_e32 v2, v2
	v_ashrrev_i32_e32 v2, 31, v2
	v_and_b32_e32 v32, exec_lo, v32
	v_xor_b32_e32 v39, vcc_hi, v2
	v_xor_b32_e32 v2, vcc_lo, v2
	v_and_b32_e32 v32, v32, v2
	v_lshlrev_b32_e32 v2, 29, v3
	v_cmp_gt_i64_e32 vcc, 0, v[1:2]
	v_not_b32_e32 v2, v2
	v_ashrrev_i32_e32 v2, 31, v2
	v_and_b32_e32 v38, v38, v39
	v_xor_b32_e32 v39, vcc_hi, v2
	v_xor_b32_e32 v2, vcc_lo, v2
	v_and_b32_e32 v32, v32, v2
	v_lshlrev_b32_e32 v2, 28, v3
	v_cmp_gt_i64_e32 vcc, 0, v[1:2]
	v_not_b32_e32 v2, v2
	v_ashrrev_i32_e32 v2, 31, v2
	v_and_b32_e32 v38, v38, v39
	;; [unrolled: 8-line block ×5, first 2 shown]
	v_xor_b32_e32 v39, vcc_hi, v2
	v_xor_b32_e32 v2, vcc_lo, v2
	v_and_b32_e32 v32, v32, v2
	v_lshlrev_b32_e32 v2, 24, v3
	v_cmp_gt_i64_e32 vcc, 0, v[1:2]
	v_not_b32_e32 v2, v2
	v_ashrrev_i32_e32 v2, 31, v2
	v_xor_b32_e32 v3, vcc_hi, v2
	v_xor_b32_e32 v2, vcc_lo, v2
	; wave barrier
	ds_read_b32 v36, v40 offset:32
	v_and_b32_e32 v38, v38, v39
	v_and_b32_e32 v2, v32, v2
	;; [unrolled: 1-line block ×3, first 2 shown]
	v_mbcnt_lo_u32_b32 v32, v2, 0
	v_mbcnt_hi_u32_b32 v38, v3, v32
	v_cmp_ne_u64_e32 vcc, 0, v[2:3]
	v_cmp_eq_u32_e64 s[4:5], 0, v38
	s_and_b64 s[10:11], vcc, s[4:5]
	; wave barrier
	s_and_saveexec_b64 s[4:5], s[10:11]
	s_cbranch_execz .LBB1846_107
; %bb.106:
	v_bcnt_u32_b32 v2, v2, 0
	v_bcnt_u32_b32 v2, v3, v2
	s_waitcnt lgkmcnt(0)
	v_add_u32_e32 v2, v36, v2
	ds_write_b32 v40, v2 offset:32
.LBB1846_107:
	s_or_b64 exec, exec, s[4:5]
	v_cmp_lt_i32_e32 vcc, -1, v24
	v_cndmask_b32_e32 v2, -1, v4, vcc
	v_xor_b32_e32 v32, v2, v24
	v_cmp_ne_u32_e32 vcc, s6, v32
	v_cndmask_b32_e32 v2, v4, v32, vcc
	v_lshrrev_b32_e32 v2, s48, v2
	v_and_b32_e32 v3, s17, v2
	v_mul_lo_u32 v2, v3, 36
	; wave barrier
	v_lshl_add_u32 v27, v27, 2, v2
	v_and_b32_e32 v2, 1, v3
	v_add_co_u32_e32 v4, vcc, -1, v2
	v_addc_co_u32_e64 v24, s[4:5], 0, -1, vcc
	v_cmp_ne_u32_e32 vcc, 0, v2
	v_xor_b32_e32 v2, vcc_hi, v24
	v_and_b32_e32 v24, exec_hi, v2
	v_lshlrev_b32_e32 v2, 30, v3
	v_xor_b32_e32 v4, vcc_lo, v4
	v_cmp_gt_i64_e32 vcc, 0, v[1:2]
	v_not_b32_e32 v2, v2
	v_ashrrev_i32_e32 v2, 31, v2
	v_and_b32_e32 v4, exec_lo, v4
	v_xor_b32_e32 v41, vcc_hi, v2
	v_xor_b32_e32 v2, vcc_lo, v2
	v_and_b32_e32 v4, v4, v2
	v_lshlrev_b32_e32 v2, 29, v3
	v_cmp_gt_i64_e32 vcc, 0, v[1:2]
	v_not_b32_e32 v2, v2
	v_ashrrev_i32_e32 v2, 31, v2
	v_and_b32_e32 v24, v24, v41
	v_xor_b32_e32 v41, vcc_hi, v2
	v_xor_b32_e32 v2, vcc_lo, v2
	v_and_b32_e32 v4, v4, v2
	v_lshlrev_b32_e32 v2, 28, v3
	v_cmp_gt_i64_e32 vcc, 0, v[1:2]
	v_not_b32_e32 v2, v2
	v_ashrrev_i32_e32 v2, 31, v2
	v_and_b32_e32 v24, v24, v41
	;; [unrolled: 8-line block ×5, first 2 shown]
	v_xor_b32_e32 v41, vcc_hi, v2
	v_xor_b32_e32 v2, vcc_lo, v2
	v_and_b32_e32 v4, v4, v2
	v_lshlrev_b32_e32 v2, 24, v3
	v_cmp_gt_i64_e32 vcc, 0, v[1:2]
	v_not_b32_e32 v1, v2
	v_ashrrev_i32_e32 v1, 31, v1
	v_xor_b32_e32 v2, vcc_hi, v1
	v_xor_b32_e32 v1, vcc_lo, v1
	ds_read_b32 v39, v27 offset:32
	v_and_b32_e32 v24, v24, v41
	v_and_b32_e32 v1, v4, v1
	;; [unrolled: 1-line block ×3, first 2 shown]
	v_mbcnt_lo_u32_b32 v3, v1, 0
	v_mbcnt_hi_u32_b32 v41, v2, v3
	v_cmp_ne_u64_e32 vcc, 0, v[1:2]
	v_cmp_eq_u32_e64 s[4:5], 0, v41
	s_and_b64 s[6:7], vcc, s[4:5]
	; wave barrier
	s_and_saveexec_b64 s[4:5], s[6:7]
	s_cbranch_execz .LBB1846_109
; %bb.108:
	v_bcnt_u32_b32 v1, v1, 0
	v_bcnt_u32_b32 v1, v2, v1
	s_waitcnt lgkmcnt(0)
	v_add_u32_e32 v1, v39, v1
	ds_write_b32 v27, v1 offset:32
.LBB1846_109:
	s_or_b64 exec, exec, s[4:5]
	; wave barrier
	s_waitcnt lgkmcnt(0)
	s_barrier
	ds_read2_b32 v[3:4], v6 offset0:8 offset1:9
	ds_read2_b32 v[1:2], v6 offset0:10 offset1:11
	ds_read_b32 v24, v6 offset:48
	s_waitcnt lgkmcnt(1)
	v_add3_u32 v42, v4, v3, v1
	s_waitcnt lgkmcnt(0)
	v_add3_u32 v24, v42, v2, v24
	v_and_b32_e32 v42, 15, v5
	v_cmp_ne_u32_e32 vcc, 0, v42
	v_mov_b32_dpp v43, v24 row_shr:1 row_mask:0xf bank_mask:0xf
	v_cndmask_b32_e32 v43, 0, v43, vcc
	v_add_u32_e32 v24, v43, v24
	v_cmp_lt_u32_e32 vcc, 1, v42
	s_nop 0
	v_mov_b32_dpp v43, v24 row_shr:2 row_mask:0xf bank_mask:0xf
	v_cndmask_b32_e32 v43, 0, v43, vcc
	v_add_u32_e32 v24, v24, v43
	v_cmp_lt_u32_e32 vcc, 3, v42
	s_nop 0
	;; [unrolled: 5-line block ×3, first 2 shown]
	v_mov_b32_dpp v43, v24 row_shr:8 row_mask:0xf bank_mask:0xf
	v_cndmask_b32_e32 v42, 0, v43, vcc
	v_add_u32_e32 v24, v24, v42
	v_bfe_i32 v43, v5, 4, 1
	v_cmp_lt_u32_e32 vcc, 31, v5
	v_mov_b32_dpp v42, v24 row_bcast:15 row_mask:0xf bank_mask:0xf
	v_and_b32_e32 v42, v43, v42
	v_add_u32_e32 v24, v24, v42
	v_lshrrev_b32_e32 v43, 6, v0
	s_nop 0
	v_mov_b32_dpp v42, v24 row_bcast:31 row_mask:0xf bank_mask:0xf
	v_cndmask_b32_e32 v42, 0, v42, vcc
	v_add_u32_e32 v42, v24, v42
	v_or_b32_e32 v24, 63, v0
	v_cmp_eq_u32_e32 vcc, v0, v24
	s_and_saveexec_b64 s[4:5], vcc
; %bb.110:
	v_lshlrev_b32_e32 v24, 2, v43
	ds_write_b32 v24, v42
; %bb.111:
	s_or_b64 exec, exec, s[4:5]
	v_cmp_gt_u32_e32 vcc, 8, v0
	v_lshlrev_b32_e32 v24, 2, v0
	s_waitcnt lgkmcnt(0)
	s_barrier
	s_and_saveexec_b64 s[4:5], vcc
	s_cbranch_execz .LBB1846_113
; %bb.112:
	ds_read_b32 v44, v24
	v_and_b32_e32 v45, 7, v5
	v_cmp_ne_u32_e32 vcc, 0, v45
	s_waitcnt lgkmcnt(0)
	v_mov_b32_dpp v46, v44 row_shr:1 row_mask:0xf bank_mask:0xf
	v_cndmask_b32_e32 v46, 0, v46, vcc
	v_add_u32_e32 v44, v46, v44
	v_cmp_lt_u32_e32 vcc, 1, v45
	s_nop 0
	v_mov_b32_dpp v46, v44 row_shr:2 row_mask:0xf bank_mask:0xf
	v_cndmask_b32_e32 v46, 0, v46, vcc
	v_add_u32_e32 v44, v44, v46
	v_cmp_lt_u32_e32 vcc, 3, v45
	s_nop 0
	v_mov_b32_dpp v46, v44 row_shr:4 row_mask:0xf bank_mask:0xf
	v_cndmask_b32_e32 v45, 0, v46, vcc
	v_add_u32_e32 v44, v44, v45
	ds_write_b32 v24, v44
.LBB1846_113:
	s_or_b64 exec, exec, s[4:5]
	v_cmp_lt_u32_e32 vcc, 63, v0
	v_mov_b32_e32 v44, 0
	s_waitcnt lgkmcnt(0)
	s_barrier
	s_and_saveexec_b64 s[4:5], vcc
; %bb.114:
	v_lshl_add_u32 v43, v43, 2, -4
	ds_read_b32 v44, v43
; %bb.115:
	s_or_b64 exec, exec, s[4:5]
	v_subrev_co_u32_e32 v43, vcc, 1, v5
	v_and_b32_e32 v45, 64, v5
	v_cmp_lt_i32_e64 s[4:5], v43, v45
	v_cndmask_b32_e64 v5, v43, v5, s[4:5]
	s_waitcnt lgkmcnt(0)
	v_add_u32_e32 v42, v44, v42
	v_lshlrev_b32_e32 v5, 2, v5
	ds_bpermute_b32 v5, v5, v42
	s_movk_i32 s4, 0xff
	s_movk_i32 s6, 0x100
	v_cmp_lt_u32_e64 s[4:5], s4, v0
	s_waitcnt lgkmcnt(0)
	v_cndmask_b32_e32 v5, v5, v44, vcc
	v_cndmask_b32_e64 v5, v5, 0, s[26:27]
	v_add_u32_e32 v3, v5, v3
	v_add_u32_e32 v4, v3, v4
	;; [unrolled: 1-line block ×4, first 2 shown]
	ds_write2_b32 v6, v5, v3 offset0:8 offset1:9
	ds_write2_b32 v6, v4, v1 offset0:10 offset1:11
	ds_write_b32 v6, v2 offset:48
	s_waitcnt lgkmcnt(0)
	s_barrier
	ds_read_b32 v45, v18 offset:32
	ds_read_b32 v18, v19 offset:32
	;; [unrolled: 1-line block ×8, first 2 shown]
	v_cmp_gt_u32_e32 vcc, s6, v0
                                        ; implicit-def: $vgpr19
                                        ; implicit-def: $vgpr25
	s_and_saveexec_b64 s[10:11], vcc
	s_cbranch_execz .LBB1846_119
; %bb.116:
	v_mul_u32_u24_e32 v1, 36, v0
	ds_read_b32 v19, v1 offset:32
	v_add_u32_e32 v2, 1, v0
	v_cmp_ne_u32_e64 s[6:7], s6, v2
	v_mov_b32_e32 v1, 0x1000
	s_and_saveexec_b64 s[12:13], s[6:7]
; %bb.117:
	v_mul_u32_u24_e32 v1, 36, v2
	ds_read_b32 v1, v1 offset:32
; %bb.118:
	s_or_b64 exec, exec, s[12:13]
	s_waitcnt lgkmcnt(0)
	v_sub_u32_e32 v25, v1, v19
.LBB1846_119:
	s_or_b64 exec, exec, s[10:11]
	v_mov_b32_e32 v2, 0
	s_waitcnt lgkmcnt(0)
	s_barrier
	s_and_saveexec_b64 s[6:7], vcc
	s_cbranch_execz .LBB1846_129
; %bb.120:
	v_lshl_add_u32 v1, s33, 8, v0
	v_lshlrev_b64 v[3:4], 2, v[1:2]
	v_mov_b32_e32 v27, s31
	v_add_co_u32_e32 v3, vcc, s30, v3
	v_addc_co_u32_e32 v4, vcc, v27, v4, vcc
	v_or_b32_e32 v1, 2.0, v25
	s_mov_b64 s[10:11], 0
	s_brev_b32 s18, -4
	s_mov_b32 s19, s33
	v_mov_b32_e32 v40, 0
	global_store_dword v[3:4], v1, off
                                        ; implicit-def: $sgpr12_sgpr13
	s_branch .LBB1846_123
.LBB1846_121:                           ;   in Loop: Header=BB1846_123 Depth=1
	s_or_b64 exec, exec, s[14:15]
.LBB1846_122:                           ;   in Loop: Header=BB1846_123 Depth=1
	s_or_b64 exec, exec, s[12:13]
	v_and_b32_e32 v5, 0x3fffffff, v1
	v_add_u32_e32 v40, v5, v40
	v_cmp_gt_i32_e64 s[12:13], -2.0, v1
	s_and_b64 s[14:15], exec, s[12:13]
	s_or_b64 s[10:11], s[14:15], s[10:11]
	s_andn2_b64 exec, exec, s[10:11]
	s_cbranch_execz .LBB1846_128
.LBB1846_123:                           ; =>This Loop Header: Depth=1
                                        ;     Child Loop BB1846_126 Depth 2
	s_or_b64 s[12:13], s[12:13], exec
	s_cmp_eq_u32 s19, 0
	s_cbranch_scc1 .LBB1846_127
; %bb.124:                              ;   in Loop: Header=BB1846_123 Depth=1
	s_add_i32 s19, s19, -1
	v_lshl_or_b32 v1, s19, 8, v0
	v_lshlrev_b64 v[5:6], 2, v[1:2]
	v_add_co_u32_e32 v5, vcc, s30, v5
	v_addc_co_u32_e32 v6, vcc, v27, v6, vcc
	global_load_dword v1, v[5:6], off glc
	s_waitcnt vmcnt(0)
	v_cmp_gt_u32_e32 vcc, 2.0, v1
	s_and_saveexec_b64 s[12:13], vcc
	s_cbranch_execz .LBB1846_122
; %bb.125:                              ;   in Loop: Header=BB1846_123 Depth=1
	s_mov_b64 s[14:15], 0
.LBB1846_126:                           ;   Parent Loop BB1846_123 Depth=1
                                        ; =>  This Inner Loop Header: Depth=2
	global_load_dword v1, v[5:6], off glc
	s_waitcnt vmcnt(0)
	v_cmp_lt_u32_e32 vcc, s18, v1
	s_or_b64 s[14:15], vcc, s[14:15]
	s_andn2_b64 exec, exec, s[14:15]
	s_cbranch_execnz .LBB1846_126
	s_branch .LBB1846_121
.LBB1846_127:                           ;   in Loop: Header=BB1846_123 Depth=1
                                        ; implicit-def: $sgpr19
	s_and_b64 s[14:15], exec, s[12:13]
	s_or_b64 s[10:11], s[14:15], s[10:11]
	s_andn2_b64 exec, exec, s[10:11]
	s_cbranch_execnz .LBB1846_123
.LBB1846_128:
	s_or_b64 exec, exec, s[10:11]
	v_add_u32_e32 v1, v40, v25
	v_or_b32_e32 v1, 0x80000000, v1
	global_store_dword v[3:4], v1, off
	global_load_dword v1, v24, s[44:45]
	v_sub_u32_e32 v2, v40, v19
	s_waitcnt vmcnt(0)
	v_add_u32_e32 v1, v2, v1
	ds_write_b32 v24, v1
.LBB1846_129:
	s_or_b64 exec, exec, s[6:7]
	v_add_u32_e32 v27, v45, v12
	s_mov_b32 s12, 16
	v_add3_u32 v30, v41, v30, v39
	v_add3_u32 v34, v38, v34, v36
	;; [unrolled: 1-line block ×7, first 2 shown]
	s_mov_b32 s20, 0
	s_mov_b64 s[10:11], -1
	s_mov_b32 s13, 0
	s_brev_b32 s14, -2
	v_bfrev_b32_e32 v3, 1
	v_mov_b32_e32 v2, 0
	v_mov_b32_e32 v4, s39
	s_movk_i32 s15, 0x200
	s_movk_i32 s18, 0x400
	;; [unrolled: 1-line block ×3, first 2 shown]
	v_mov_b32_e32 v5, v0
.LBB1846_130:                           ; =>This Inner Loop Header: Depth=1
	v_add_u32_e32 v1, s13, v27
	v_add_u32_e32 v14, s13, v23
	;; [unrolled: 1-line block ×8, first 2 shown]
	v_min_u32_e32 v1, 0x800, v1
	v_min_u32_e32 v14, 0x800, v14
	;; [unrolled: 1-line block ×8, first 2 shown]
	v_lshlrev_b32_e32 v1, 2, v1
	v_lshlrev_b32_e32 v14, 2, v14
	;; [unrolled: 1-line block ×8, first 2 shown]
	ds_write_b32 v1, v9 offset:1024
	ds_write_b32 v6, v10 offset:1024
	;; [unrolled: 1-line block ×8, first 2 shown]
	s_waitcnt lgkmcnt(0)
	s_barrier
	ds_read2st64_b32 v[14:15], v24 offset0:4 offset1:12
	ds_read2st64_b32 v[17:18], v24 offset0:20 offset1:28
	v_mov_b32_e32 v35, s20
	s_addk_i32 s13, 0xf800
	s_and_b64 vcc, exec, s[10:11]
	s_waitcnt lgkmcnt(1)
	v_cmp_ne_u32_e64 s[6:7], s14, v14
	v_cndmask_b32_e64 v1, v3, v14, s[6:7]
	v_cmp_lt_i32_e64 s[6:7], -1, v14
	v_cndmask_b32_e64 v6, v3, -1, s[6:7]
	v_cmp_ne_u32_e64 s[6:7], s14, v15
	v_cndmask_b32_e64 v12, v3, v15, s[6:7]
	v_cmp_lt_i32_e64 s[6:7], -1, v15
	v_cndmask_b32_e64 v31, v3, -1, s[6:7]
	s_waitcnt lgkmcnt(0)
	v_cmp_ne_u32_e64 s[6:7], s14, v17
	v_cndmask_b32_e64 v36, v3, v17, s[6:7]
	v_cmp_lt_i32_e64 s[6:7], -1, v17
	v_cndmask_b32_e64 v37, v3, -1, s[6:7]
	v_cmp_ne_u32_e64 s[6:7], s14, v18
	v_cndmask_b32_e64 v38, v3, v18, s[6:7]
	v_lshrrev_b32_e32 v1, s48, v1
	v_xor_b32_e32 v6, v6, v14
	v_lshrrev_b32_e32 v12, s48, v12
	v_xor_b32_e32 v31, v31, v15
	v_lshrrev_b32_e32 v14, s48, v36
	v_lshrrev_b32_e32 v15, s48, v38
	v_cmp_lt_i32_e64 s[6:7], -1, v18
	v_and_b32_e32 v1, s17, v1
	v_and_b32_e32 v12, s17, v12
	;; [unrolled: 1-line block ×4, first 2 shown]
	v_cndmask_b32_e64 v39, v3, -1, s[6:7]
	v_xor_b32_e32 v37, v37, v17
	v_lshlrev_b32_e32 v17, 2, v1
	buffer_store_dword v1, v35, s[0:3], 0 offen
	v_lshlrev_b32_e32 v1, 2, v12
	buffer_store_dword v12, v35, s[0:3], 0 offen offset:4
	v_lshlrev_b32_e32 v12, 2, v14
	buffer_store_dword v14, v35, s[0:3], 0 offen offset:8
	buffer_store_dword v15, v35, s[0:3], 0 offen offset:12
	v_xor_b32_e32 v38, v39, v18
	v_lshlrev_b32_e32 v14, 2, v15
	ds_read_b32 v15, v17
	ds_read_b32 v17, v1
	;; [unrolled: 1-line block ×4, first 2 shown]
	s_mov_b64 s[10:11], 0
	s_waitcnt lgkmcnt(3)
	v_add_u32_e32 v1, v5, v15
	v_lshlrev_b64 v[14:15], 2, v[1:2]
	s_waitcnt lgkmcnt(2)
	v_add3_u32 v1, v5, v17, s15
	v_lshlrev_b64 v[17:18], 2, v[1:2]
	v_add_co_u32_e64 v14, s[6:7], s38, v14
	s_waitcnt lgkmcnt(1)
	v_add3_u32 v1, v5, v12, s18
	v_addc_co_u32_e64 v15, s[6:7], v4, v15, s[6:7]
	v_lshlrev_b64 v[35:36], 2, v[1:2]
	global_store_dword v[14:15], v6, off
	v_add_co_u32_e64 v14, s[6:7], s38, v17
	s_waitcnt lgkmcnt(0)
	v_add3_u32 v1, v5, v39, s19
	v_addc_co_u32_e64 v15, s[6:7], v4, v18, s[6:7]
	v_lshlrev_b64 v[17:18], 2, v[1:2]
	global_store_dword v[14:15], v31, off
	v_add_co_u32_e64 v14, s[6:7], s38, v35
	v_addc_co_u32_e64 v15, s[6:7], v4, v36, s[6:7]
	global_store_dword v[14:15], v37, off
	v_add_co_u32_e64 v14, s[6:7], s38, v17
	s_mov_b32 s20, s12
	v_add_u32_e32 v5, 0x800, v5
	v_addc_co_u32_e64 v15, s[6:7], v4, v18, s[6:7]
	global_store_dword v[14:15], v38, off
	s_waitcnt vmcnt(0)
	s_barrier
	s_cbranch_vccnz .LBB1846_130
; %bb.131:
	s_lshl_b64 s[6:7], s[8:9], 3
	s_add_u32 s6, s40, s6
	s_addc_u32 s7, s41, s7
	v_lshlrev_b32_e32 v1, 3, v8
	v_mov_b32_e32 v2, s7
	v_add_co_u32_e32 v1, vcc, s6, v1
	v_addc_co_u32_e32 v2, vcc, 0, v2, vcc
	v_lshlrev_b32_e32 v3, 3, v7
	v_add_co_u32_e32 v17, vcc, v1, v3
	v_addc_co_u32_e32 v18, vcc, 0, v2, vcc
	global_load_dwordx2 v[1:2], v[17:18], off
	global_load_dwordx2 v[3:4], v[17:18], off offset:512
	global_load_dwordx2 v[5:6], v[17:18], off offset:1024
	;; [unrolled: 1-line block ×7, first 2 shown]
	v_mov_b32_e32 v18, 0
	s_mov_b32 s6, 0
	s_mov_b32 s7, 0
	v_mov_b32_e32 v22, s43
	s_movk_i32 s8, 0x200
.LBB1846_132:                           ; =>This Inner Loop Header: Depth=1
	v_add_u32_e32 v17, s7, v27
	v_add_u32_e32 v28, s7, v26
	;; [unrolled: 1-line block ×8, first 2 shown]
	v_min_u32_e32 v17, 0x400, v17
	v_min_u32_e32 v28, 0x400, v28
	v_mov_b32_e32 v39, s6
	v_min_u32_e32 v31, 0x400, v31
	v_min_u32_e32 v32, 0x400, v32
	;; [unrolled: 1-line block ×6, first 2 shown]
	v_lshlrev_b32_e32 v17, 3, v17
	v_lshlrev_b32_e32 v28, 3, v28
	;; [unrolled: 1-line block ×8, first 2 shown]
	s_waitcnt vmcnt(7)
	ds_write_b64 v17, v[1:2] offset:1024
	s_waitcnt vmcnt(6)
	ds_write_b64 v28, v[3:4] offset:1024
	;; [unrolled: 2-line block ×8, first 2 shown]
	s_waitcnt lgkmcnt(0)
	s_barrier
	buffer_load_dword v17, v39, s[0:3], 0 offen
	buffer_load_dword v28, v39, s[0:3], 0 offen offset:4
	ds_read2st64_b64 v[35:38], v21 offset0:2 offset1:10
	s_addk_i32 s7, 0xfc00
	s_add_i32 s6, s6, 8
	s_cmpk_lg_i32 s7, 0xf000
	s_waitcnt vmcnt(1)
	v_lshlrev_b32_e32 v17, 2, v17
	s_waitcnt vmcnt(0)
	v_lshlrev_b32_e32 v28, 2, v28
	ds_read_b32 v17, v17
	ds_read_b32 v28, v28
	s_waitcnt lgkmcnt(1)
	v_add_u32_e32 v17, v0, v17
	v_lshlrev_b64 v[31:32], 3, v[17:18]
	s_waitcnt lgkmcnt(0)
	v_add3_u32 v17, v0, v28, s8
	v_lshlrev_b64 v[39:40], 3, v[17:18]
	v_add_co_u32_e32 v31, vcc, s42, v31
	v_addc_co_u32_e32 v32, vcc, v22, v32, vcc
	global_store_dwordx2 v[31:32], v[35:36], off
	v_add_co_u32_e32 v31, vcc, s42, v39
	v_add_u32_e32 v0, 0x400, v0
	v_addc_co_u32_e32 v32, vcc, v22, v40, vcc
	global_store_dwordx2 v[31:32], v[37:38], off
	s_waitcnt vmcnt(0)
	s_barrier
	s_cbranch_scc1 .LBB1846_132
; %bb.133:
	s_add_i32 s16, s16, -1
	s_cmp_eq_u32 s33, s16
	s_cselect_b64 s[6:7], -1, 0
	s_xor_b64 s[4:5], s[4:5], -1
	s_and_b64 s[4:5], s[4:5], s[6:7]
	s_and_saveexec_b64 s[6:7], s[4:5]
	s_cbranch_execz .LBB1846_135
; %bb.134:
	ds_read_b32 v0, v24
	s_waitcnt lgkmcnt(0)
	v_add3_u32 v0, v19, v25, v0
	global_store_dword v24, v0, s[46:47]
.LBB1846_135:
	s_endpgm
	.section	.rodata,"a",@progbits
	.p2align	6, 0x0
	.amdhsa_kernel _ZN7rocprim17ROCPRIM_400000_NS6detail17trampoline_kernelINS0_14default_configENS1_35radix_sort_onesweep_config_selectorIflEEZZNS1_29radix_sort_onesweep_iterationIS3_Lb0EPfS7_N6thrust23THRUST_200600_302600_NS10device_ptrIlEESB_jNS0_19identity_decomposerENS1_16block_id_wrapperIjLb1EEEEE10hipError_tT1_PNSt15iterator_traitsISG_E10value_typeET2_T3_PNSH_ISM_E10value_typeET4_T5_PSR_SS_PNS1_23onesweep_lookback_stateEbbT6_jjT7_P12ihipStream_tbENKUlT_T0_SG_SL_E_clIS7_S7_SB_PlEEDaSZ_S10_SG_SL_EUlSZ_E_NS1_11comp_targetILNS1_3genE2ELNS1_11target_archE906ELNS1_3gpuE6ELNS1_3repE0EEENS1_47radix_sort_onesweep_sort_config_static_selectorELNS0_4arch9wavefront6targetE1EEEvSG_
		.amdhsa_group_segment_fixed_size 10280
		.amdhsa_private_segment_fixed_size 48
		.amdhsa_kernarg_size 344
		.amdhsa_user_sgpr_count 6
		.amdhsa_user_sgpr_private_segment_buffer 1
		.amdhsa_user_sgpr_dispatch_ptr 0
		.amdhsa_user_sgpr_queue_ptr 0
		.amdhsa_user_sgpr_kernarg_segment_ptr 1
		.amdhsa_user_sgpr_dispatch_id 0
		.amdhsa_user_sgpr_flat_scratch_init 0
		.amdhsa_user_sgpr_private_segment_size 0
		.amdhsa_uses_dynamic_stack 0
		.amdhsa_system_sgpr_private_segment_wavefront_offset 1
		.amdhsa_system_sgpr_workgroup_id_x 1
		.amdhsa_system_sgpr_workgroup_id_y 0
		.amdhsa_system_sgpr_workgroup_id_z 0
		.amdhsa_system_sgpr_workgroup_info 0
		.amdhsa_system_vgpr_workitem_id 2
		.amdhsa_next_free_vgpr 58
		.amdhsa_next_free_sgpr 60
		.amdhsa_reserve_vcc 1
		.amdhsa_reserve_flat_scratch 0
		.amdhsa_float_round_mode_32 0
		.amdhsa_float_round_mode_16_64 0
		.amdhsa_float_denorm_mode_32 3
		.amdhsa_float_denorm_mode_16_64 3
		.amdhsa_dx10_clamp 1
		.amdhsa_ieee_mode 1
		.amdhsa_fp16_overflow 0
		.amdhsa_exception_fp_ieee_invalid_op 0
		.amdhsa_exception_fp_denorm_src 0
		.amdhsa_exception_fp_ieee_div_zero 0
		.amdhsa_exception_fp_ieee_overflow 0
		.amdhsa_exception_fp_ieee_underflow 0
		.amdhsa_exception_fp_ieee_inexact 0
		.amdhsa_exception_int_div_zero 0
	.end_amdhsa_kernel
	.section	.text._ZN7rocprim17ROCPRIM_400000_NS6detail17trampoline_kernelINS0_14default_configENS1_35radix_sort_onesweep_config_selectorIflEEZZNS1_29radix_sort_onesweep_iterationIS3_Lb0EPfS7_N6thrust23THRUST_200600_302600_NS10device_ptrIlEESB_jNS0_19identity_decomposerENS1_16block_id_wrapperIjLb1EEEEE10hipError_tT1_PNSt15iterator_traitsISG_E10value_typeET2_T3_PNSH_ISM_E10value_typeET4_T5_PSR_SS_PNS1_23onesweep_lookback_stateEbbT6_jjT7_P12ihipStream_tbENKUlT_T0_SG_SL_E_clIS7_S7_SB_PlEEDaSZ_S10_SG_SL_EUlSZ_E_NS1_11comp_targetILNS1_3genE2ELNS1_11target_archE906ELNS1_3gpuE6ELNS1_3repE0EEENS1_47radix_sort_onesweep_sort_config_static_selectorELNS0_4arch9wavefront6targetE1EEEvSG_,"axG",@progbits,_ZN7rocprim17ROCPRIM_400000_NS6detail17trampoline_kernelINS0_14default_configENS1_35radix_sort_onesweep_config_selectorIflEEZZNS1_29radix_sort_onesweep_iterationIS3_Lb0EPfS7_N6thrust23THRUST_200600_302600_NS10device_ptrIlEESB_jNS0_19identity_decomposerENS1_16block_id_wrapperIjLb1EEEEE10hipError_tT1_PNSt15iterator_traitsISG_E10value_typeET2_T3_PNSH_ISM_E10value_typeET4_T5_PSR_SS_PNS1_23onesweep_lookback_stateEbbT6_jjT7_P12ihipStream_tbENKUlT_T0_SG_SL_E_clIS7_S7_SB_PlEEDaSZ_S10_SG_SL_EUlSZ_E_NS1_11comp_targetILNS1_3genE2ELNS1_11target_archE906ELNS1_3gpuE6ELNS1_3repE0EEENS1_47radix_sort_onesweep_sort_config_static_selectorELNS0_4arch9wavefront6targetE1EEEvSG_,comdat
.Lfunc_end1846:
	.size	_ZN7rocprim17ROCPRIM_400000_NS6detail17trampoline_kernelINS0_14default_configENS1_35radix_sort_onesweep_config_selectorIflEEZZNS1_29radix_sort_onesweep_iterationIS3_Lb0EPfS7_N6thrust23THRUST_200600_302600_NS10device_ptrIlEESB_jNS0_19identity_decomposerENS1_16block_id_wrapperIjLb1EEEEE10hipError_tT1_PNSt15iterator_traitsISG_E10value_typeET2_T3_PNSH_ISM_E10value_typeET4_T5_PSR_SS_PNS1_23onesweep_lookback_stateEbbT6_jjT7_P12ihipStream_tbENKUlT_T0_SG_SL_E_clIS7_S7_SB_PlEEDaSZ_S10_SG_SL_EUlSZ_E_NS1_11comp_targetILNS1_3genE2ELNS1_11target_archE906ELNS1_3gpuE6ELNS1_3repE0EEENS1_47radix_sort_onesweep_sort_config_static_selectorELNS0_4arch9wavefront6targetE1EEEvSG_, .Lfunc_end1846-_ZN7rocprim17ROCPRIM_400000_NS6detail17trampoline_kernelINS0_14default_configENS1_35radix_sort_onesweep_config_selectorIflEEZZNS1_29radix_sort_onesweep_iterationIS3_Lb0EPfS7_N6thrust23THRUST_200600_302600_NS10device_ptrIlEESB_jNS0_19identity_decomposerENS1_16block_id_wrapperIjLb1EEEEE10hipError_tT1_PNSt15iterator_traitsISG_E10value_typeET2_T3_PNSH_ISM_E10value_typeET4_T5_PSR_SS_PNS1_23onesweep_lookback_stateEbbT6_jjT7_P12ihipStream_tbENKUlT_T0_SG_SL_E_clIS7_S7_SB_PlEEDaSZ_S10_SG_SL_EUlSZ_E_NS1_11comp_targetILNS1_3genE2ELNS1_11target_archE906ELNS1_3gpuE6ELNS1_3repE0EEENS1_47radix_sort_onesweep_sort_config_static_selectorELNS0_4arch9wavefront6targetE1EEEvSG_
                                        ; -- End function
	.set _ZN7rocprim17ROCPRIM_400000_NS6detail17trampoline_kernelINS0_14default_configENS1_35radix_sort_onesweep_config_selectorIflEEZZNS1_29radix_sort_onesweep_iterationIS3_Lb0EPfS7_N6thrust23THRUST_200600_302600_NS10device_ptrIlEESB_jNS0_19identity_decomposerENS1_16block_id_wrapperIjLb1EEEEE10hipError_tT1_PNSt15iterator_traitsISG_E10value_typeET2_T3_PNSH_ISM_E10value_typeET4_T5_PSR_SS_PNS1_23onesweep_lookback_stateEbbT6_jjT7_P12ihipStream_tbENKUlT_T0_SG_SL_E_clIS7_S7_SB_PlEEDaSZ_S10_SG_SL_EUlSZ_E_NS1_11comp_targetILNS1_3genE2ELNS1_11target_archE906ELNS1_3gpuE6ELNS1_3repE0EEENS1_47radix_sort_onesweep_sort_config_static_selectorELNS0_4arch9wavefront6targetE1EEEvSG_.num_vgpr, 58
	.set _ZN7rocprim17ROCPRIM_400000_NS6detail17trampoline_kernelINS0_14default_configENS1_35radix_sort_onesweep_config_selectorIflEEZZNS1_29radix_sort_onesweep_iterationIS3_Lb0EPfS7_N6thrust23THRUST_200600_302600_NS10device_ptrIlEESB_jNS0_19identity_decomposerENS1_16block_id_wrapperIjLb1EEEEE10hipError_tT1_PNSt15iterator_traitsISG_E10value_typeET2_T3_PNSH_ISM_E10value_typeET4_T5_PSR_SS_PNS1_23onesweep_lookback_stateEbbT6_jjT7_P12ihipStream_tbENKUlT_T0_SG_SL_E_clIS7_S7_SB_PlEEDaSZ_S10_SG_SL_EUlSZ_E_NS1_11comp_targetILNS1_3genE2ELNS1_11target_archE906ELNS1_3gpuE6ELNS1_3repE0EEENS1_47radix_sort_onesweep_sort_config_static_selectorELNS0_4arch9wavefront6targetE1EEEvSG_.num_agpr, 0
	.set _ZN7rocprim17ROCPRIM_400000_NS6detail17trampoline_kernelINS0_14default_configENS1_35radix_sort_onesweep_config_selectorIflEEZZNS1_29radix_sort_onesweep_iterationIS3_Lb0EPfS7_N6thrust23THRUST_200600_302600_NS10device_ptrIlEESB_jNS0_19identity_decomposerENS1_16block_id_wrapperIjLb1EEEEE10hipError_tT1_PNSt15iterator_traitsISG_E10value_typeET2_T3_PNSH_ISM_E10value_typeET4_T5_PSR_SS_PNS1_23onesweep_lookback_stateEbbT6_jjT7_P12ihipStream_tbENKUlT_T0_SG_SL_E_clIS7_S7_SB_PlEEDaSZ_S10_SG_SL_EUlSZ_E_NS1_11comp_targetILNS1_3genE2ELNS1_11target_archE906ELNS1_3gpuE6ELNS1_3repE0EEENS1_47radix_sort_onesweep_sort_config_static_selectorELNS0_4arch9wavefront6targetE1EEEvSG_.numbered_sgpr, 60
	.set _ZN7rocprim17ROCPRIM_400000_NS6detail17trampoline_kernelINS0_14default_configENS1_35radix_sort_onesweep_config_selectorIflEEZZNS1_29radix_sort_onesweep_iterationIS3_Lb0EPfS7_N6thrust23THRUST_200600_302600_NS10device_ptrIlEESB_jNS0_19identity_decomposerENS1_16block_id_wrapperIjLb1EEEEE10hipError_tT1_PNSt15iterator_traitsISG_E10value_typeET2_T3_PNSH_ISM_E10value_typeET4_T5_PSR_SS_PNS1_23onesweep_lookback_stateEbbT6_jjT7_P12ihipStream_tbENKUlT_T0_SG_SL_E_clIS7_S7_SB_PlEEDaSZ_S10_SG_SL_EUlSZ_E_NS1_11comp_targetILNS1_3genE2ELNS1_11target_archE906ELNS1_3gpuE6ELNS1_3repE0EEENS1_47radix_sort_onesweep_sort_config_static_selectorELNS0_4arch9wavefront6targetE1EEEvSG_.num_named_barrier, 0
	.set _ZN7rocprim17ROCPRIM_400000_NS6detail17trampoline_kernelINS0_14default_configENS1_35radix_sort_onesweep_config_selectorIflEEZZNS1_29radix_sort_onesweep_iterationIS3_Lb0EPfS7_N6thrust23THRUST_200600_302600_NS10device_ptrIlEESB_jNS0_19identity_decomposerENS1_16block_id_wrapperIjLb1EEEEE10hipError_tT1_PNSt15iterator_traitsISG_E10value_typeET2_T3_PNSH_ISM_E10value_typeET4_T5_PSR_SS_PNS1_23onesweep_lookback_stateEbbT6_jjT7_P12ihipStream_tbENKUlT_T0_SG_SL_E_clIS7_S7_SB_PlEEDaSZ_S10_SG_SL_EUlSZ_E_NS1_11comp_targetILNS1_3genE2ELNS1_11target_archE906ELNS1_3gpuE6ELNS1_3repE0EEENS1_47radix_sort_onesweep_sort_config_static_selectorELNS0_4arch9wavefront6targetE1EEEvSG_.private_seg_size, 48
	.set _ZN7rocprim17ROCPRIM_400000_NS6detail17trampoline_kernelINS0_14default_configENS1_35radix_sort_onesweep_config_selectorIflEEZZNS1_29radix_sort_onesweep_iterationIS3_Lb0EPfS7_N6thrust23THRUST_200600_302600_NS10device_ptrIlEESB_jNS0_19identity_decomposerENS1_16block_id_wrapperIjLb1EEEEE10hipError_tT1_PNSt15iterator_traitsISG_E10value_typeET2_T3_PNSH_ISM_E10value_typeET4_T5_PSR_SS_PNS1_23onesweep_lookback_stateEbbT6_jjT7_P12ihipStream_tbENKUlT_T0_SG_SL_E_clIS7_S7_SB_PlEEDaSZ_S10_SG_SL_EUlSZ_E_NS1_11comp_targetILNS1_3genE2ELNS1_11target_archE906ELNS1_3gpuE6ELNS1_3repE0EEENS1_47radix_sort_onesweep_sort_config_static_selectorELNS0_4arch9wavefront6targetE1EEEvSG_.uses_vcc, 1
	.set _ZN7rocprim17ROCPRIM_400000_NS6detail17trampoline_kernelINS0_14default_configENS1_35radix_sort_onesweep_config_selectorIflEEZZNS1_29radix_sort_onesweep_iterationIS3_Lb0EPfS7_N6thrust23THRUST_200600_302600_NS10device_ptrIlEESB_jNS0_19identity_decomposerENS1_16block_id_wrapperIjLb1EEEEE10hipError_tT1_PNSt15iterator_traitsISG_E10value_typeET2_T3_PNSH_ISM_E10value_typeET4_T5_PSR_SS_PNS1_23onesweep_lookback_stateEbbT6_jjT7_P12ihipStream_tbENKUlT_T0_SG_SL_E_clIS7_S7_SB_PlEEDaSZ_S10_SG_SL_EUlSZ_E_NS1_11comp_targetILNS1_3genE2ELNS1_11target_archE906ELNS1_3gpuE6ELNS1_3repE0EEENS1_47radix_sort_onesweep_sort_config_static_selectorELNS0_4arch9wavefront6targetE1EEEvSG_.uses_flat_scratch, 0
	.set _ZN7rocprim17ROCPRIM_400000_NS6detail17trampoline_kernelINS0_14default_configENS1_35radix_sort_onesweep_config_selectorIflEEZZNS1_29radix_sort_onesweep_iterationIS3_Lb0EPfS7_N6thrust23THRUST_200600_302600_NS10device_ptrIlEESB_jNS0_19identity_decomposerENS1_16block_id_wrapperIjLb1EEEEE10hipError_tT1_PNSt15iterator_traitsISG_E10value_typeET2_T3_PNSH_ISM_E10value_typeET4_T5_PSR_SS_PNS1_23onesweep_lookback_stateEbbT6_jjT7_P12ihipStream_tbENKUlT_T0_SG_SL_E_clIS7_S7_SB_PlEEDaSZ_S10_SG_SL_EUlSZ_E_NS1_11comp_targetILNS1_3genE2ELNS1_11target_archE906ELNS1_3gpuE6ELNS1_3repE0EEENS1_47radix_sort_onesweep_sort_config_static_selectorELNS0_4arch9wavefront6targetE1EEEvSG_.has_dyn_sized_stack, 0
	.set _ZN7rocprim17ROCPRIM_400000_NS6detail17trampoline_kernelINS0_14default_configENS1_35radix_sort_onesweep_config_selectorIflEEZZNS1_29radix_sort_onesweep_iterationIS3_Lb0EPfS7_N6thrust23THRUST_200600_302600_NS10device_ptrIlEESB_jNS0_19identity_decomposerENS1_16block_id_wrapperIjLb1EEEEE10hipError_tT1_PNSt15iterator_traitsISG_E10value_typeET2_T3_PNSH_ISM_E10value_typeET4_T5_PSR_SS_PNS1_23onesweep_lookback_stateEbbT6_jjT7_P12ihipStream_tbENKUlT_T0_SG_SL_E_clIS7_S7_SB_PlEEDaSZ_S10_SG_SL_EUlSZ_E_NS1_11comp_targetILNS1_3genE2ELNS1_11target_archE906ELNS1_3gpuE6ELNS1_3repE0EEENS1_47radix_sort_onesweep_sort_config_static_selectorELNS0_4arch9wavefront6targetE1EEEvSG_.has_recursion, 0
	.set _ZN7rocprim17ROCPRIM_400000_NS6detail17trampoline_kernelINS0_14default_configENS1_35radix_sort_onesweep_config_selectorIflEEZZNS1_29radix_sort_onesweep_iterationIS3_Lb0EPfS7_N6thrust23THRUST_200600_302600_NS10device_ptrIlEESB_jNS0_19identity_decomposerENS1_16block_id_wrapperIjLb1EEEEE10hipError_tT1_PNSt15iterator_traitsISG_E10value_typeET2_T3_PNSH_ISM_E10value_typeET4_T5_PSR_SS_PNS1_23onesweep_lookback_stateEbbT6_jjT7_P12ihipStream_tbENKUlT_T0_SG_SL_E_clIS7_S7_SB_PlEEDaSZ_S10_SG_SL_EUlSZ_E_NS1_11comp_targetILNS1_3genE2ELNS1_11target_archE906ELNS1_3gpuE6ELNS1_3repE0EEENS1_47radix_sort_onesweep_sort_config_static_selectorELNS0_4arch9wavefront6targetE1EEEvSG_.has_indirect_call, 0
	.section	.AMDGPU.csdata,"",@progbits
; Kernel info:
; codeLenInByte = 12392
; TotalNumSgprs: 64
; NumVgprs: 58
; ScratchSize: 48
; MemoryBound: 0
; FloatMode: 240
; IeeeMode: 1
; LDSByteSize: 10280 bytes/workgroup (compile time only)
; SGPRBlocks: 7
; VGPRBlocks: 14
; NumSGPRsForWavesPerEU: 64
; NumVGPRsForWavesPerEU: 58
; Occupancy: 4
; WaveLimiterHint : 1
; COMPUTE_PGM_RSRC2:SCRATCH_EN: 1
; COMPUTE_PGM_RSRC2:USER_SGPR: 6
; COMPUTE_PGM_RSRC2:TRAP_HANDLER: 0
; COMPUTE_PGM_RSRC2:TGID_X_EN: 1
; COMPUTE_PGM_RSRC2:TGID_Y_EN: 0
; COMPUTE_PGM_RSRC2:TGID_Z_EN: 0
; COMPUTE_PGM_RSRC2:TIDIG_COMP_CNT: 2
	.section	.text._ZN7rocprim17ROCPRIM_400000_NS6detail17trampoline_kernelINS0_14default_configENS1_35radix_sort_onesweep_config_selectorIflEEZZNS1_29radix_sort_onesweep_iterationIS3_Lb0EPfS7_N6thrust23THRUST_200600_302600_NS10device_ptrIlEESB_jNS0_19identity_decomposerENS1_16block_id_wrapperIjLb1EEEEE10hipError_tT1_PNSt15iterator_traitsISG_E10value_typeET2_T3_PNSH_ISM_E10value_typeET4_T5_PSR_SS_PNS1_23onesweep_lookback_stateEbbT6_jjT7_P12ihipStream_tbENKUlT_T0_SG_SL_E_clIS7_S7_SB_PlEEDaSZ_S10_SG_SL_EUlSZ_E_NS1_11comp_targetILNS1_3genE4ELNS1_11target_archE910ELNS1_3gpuE8ELNS1_3repE0EEENS1_47radix_sort_onesweep_sort_config_static_selectorELNS0_4arch9wavefront6targetE1EEEvSG_,"axG",@progbits,_ZN7rocprim17ROCPRIM_400000_NS6detail17trampoline_kernelINS0_14default_configENS1_35radix_sort_onesweep_config_selectorIflEEZZNS1_29radix_sort_onesweep_iterationIS3_Lb0EPfS7_N6thrust23THRUST_200600_302600_NS10device_ptrIlEESB_jNS0_19identity_decomposerENS1_16block_id_wrapperIjLb1EEEEE10hipError_tT1_PNSt15iterator_traitsISG_E10value_typeET2_T3_PNSH_ISM_E10value_typeET4_T5_PSR_SS_PNS1_23onesweep_lookback_stateEbbT6_jjT7_P12ihipStream_tbENKUlT_T0_SG_SL_E_clIS7_S7_SB_PlEEDaSZ_S10_SG_SL_EUlSZ_E_NS1_11comp_targetILNS1_3genE4ELNS1_11target_archE910ELNS1_3gpuE8ELNS1_3repE0EEENS1_47radix_sort_onesweep_sort_config_static_selectorELNS0_4arch9wavefront6targetE1EEEvSG_,comdat
	.protected	_ZN7rocprim17ROCPRIM_400000_NS6detail17trampoline_kernelINS0_14default_configENS1_35radix_sort_onesweep_config_selectorIflEEZZNS1_29radix_sort_onesweep_iterationIS3_Lb0EPfS7_N6thrust23THRUST_200600_302600_NS10device_ptrIlEESB_jNS0_19identity_decomposerENS1_16block_id_wrapperIjLb1EEEEE10hipError_tT1_PNSt15iterator_traitsISG_E10value_typeET2_T3_PNSH_ISM_E10value_typeET4_T5_PSR_SS_PNS1_23onesweep_lookback_stateEbbT6_jjT7_P12ihipStream_tbENKUlT_T0_SG_SL_E_clIS7_S7_SB_PlEEDaSZ_S10_SG_SL_EUlSZ_E_NS1_11comp_targetILNS1_3genE4ELNS1_11target_archE910ELNS1_3gpuE8ELNS1_3repE0EEENS1_47radix_sort_onesweep_sort_config_static_selectorELNS0_4arch9wavefront6targetE1EEEvSG_ ; -- Begin function _ZN7rocprim17ROCPRIM_400000_NS6detail17trampoline_kernelINS0_14default_configENS1_35radix_sort_onesweep_config_selectorIflEEZZNS1_29radix_sort_onesweep_iterationIS3_Lb0EPfS7_N6thrust23THRUST_200600_302600_NS10device_ptrIlEESB_jNS0_19identity_decomposerENS1_16block_id_wrapperIjLb1EEEEE10hipError_tT1_PNSt15iterator_traitsISG_E10value_typeET2_T3_PNSH_ISM_E10value_typeET4_T5_PSR_SS_PNS1_23onesweep_lookback_stateEbbT6_jjT7_P12ihipStream_tbENKUlT_T0_SG_SL_E_clIS7_S7_SB_PlEEDaSZ_S10_SG_SL_EUlSZ_E_NS1_11comp_targetILNS1_3genE4ELNS1_11target_archE910ELNS1_3gpuE8ELNS1_3repE0EEENS1_47radix_sort_onesweep_sort_config_static_selectorELNS0_4arch9wavefront6targetE1EEEvSG_
	.globl	_ZN7rocprim17ROCPRIM_400000_NS6detail17trampoline_kernelINS0_14default_configENS1_35radix_sort_onesweep_config_selectorIflEEZZNS1_29radix_sort_onesweep_iterationIS3_Lb0EPfS7_N6thrust23THRUST_200600_302600_NS10device_ptrIlEESB_jNS0_19identity_decomposerENS1_16block_id_wrapperIjLb1EEEEE10hipError_tT1_PNSt15iterator_traitsISG_E10value_typeET2_T3_PNSH_ISM_E10value_typeET4_T5_PSR_SS_PNS1_23onesweep_lookback_stateEbbT6_jjT7_P12ihipStream_tbENKUlT_T0_SG_SL_E_clIS7_S7_SB_PlEEDaSZ_S10_SG_SL_EUlSZ_E_NS1_11comp_targetILNS1_3genE4ELNS1_11target_archE910ELNS1_3gpuE8ELNS1_3repE0EEENS1_47radix_sort_onesweep_sort_config_static_selectorELNS0_4arch9wavefront6targetE1EEEvSG_
	.p2align	8
	.type	_ZN7rocprim17ROCPRIM_400000_NS6detail17trampoline_kernelINS0_14default_configENS1_35radix_sort_onesweep_config_selectorIflEEZZNS1_29radix_sort_onesweep_iterationIS3_Lb0EPfS7_N6thrust23THRUST_200600_302600_NS10device_ptrIlEESB_jNS0_19identity_decomposerENS1_16block_id_wrapperIjLb1EEEEE10hipError_tT1_PNSt15iterator_traitsISG_E10value_typeET2_T3_PNSH_ISM_E10value_typeET4_T5_PSR_SS_PNS1_23onesweep_lookback_stateEbbT6_jjT7_P12ihipStream_tbENKUlT_T0_SG_SL_E_clIS7_S7_SB_PlEEDaSZ_S10_SG_SL_EUlSZ_E_NS1_11comp_targetILNS1_3genE4ELNS1_11target_archE910ELNS1_3gpuE8ELNS1_3repE0EEENS1_47radix_sort_onesweep_sort_config_static_selectorELNS0_4arch9wavefront6targetE1EEEvSG_,@function
_ZN7rocprim17ROCPRIM_400000_NS6detail17trampoline_kernelINS0_14default_configENS1_35radix_sort_onesweep_config_selectorIflEEZZNS1_29radix_sort_onesweep_iterationIS3_Lb0EPfS7_N6thrust23THRUST_200600_302600_NS10device_ptrIlEESB_jNS0_19identity_decomposerENS1_16block_id_wrapperIjLb1EEEEE10hipError_tT1_PNSt15iterator_traitsISG_E10value_typeET2_T3_PNSH_ISM_E10value_typeET4_T5_PSR_SS_PNS1_23onesweep_lookback_stateEbbT6_jjT7_P12ihipStream_tbENKUlT_T0_SG_SL_E_clIS7_S7_SB_PlEEDaSZ_S10_SG_SL_EUlSZ_E_NS1_11comp_targetILNS1_3genE4ELNS1_11target_archE910ELNS1_3gpuE8ELNS1_3repE0EEENS1_47radix_sort_onesweep_sort_config_static_selectorELNS0_4arch9wavefront6targetE1EEEvSG_: ; @_ZN7rocprim17ROCPRIM_400000_NS6detail17trampoline_kernelINS0_14default_configENS1_35radix_sort_onesweep_config_selectorIflEEZZNS1_29radix_sort_onesweep_iterationIS3_Lb0EPfS7_N6thrust23THRUST_200600_302600_NS10device_ptrIlEESB_jNS0_19identity_decomposerENS1_16block_id_wrapperIjLb1EEEEE10hipError_tT1_PNSt15iterator_traitsISG_E10value_typeET2_T3_PNSH_ISM_E10value_typeET4_T5_PSR_SS_PNS1_23onesweep_lookback_stateEbbT6_jjT7_P12ihipStream_tbENKUlT_T0_SG_SL_E_clIS7_S7_SB_PlEEDaSZ_S10_SG_SL_EUlSZ_E_NS1_11comp_targetILNS1_3genE4ELNS1_11target_archE910ELNS1_3gpuE8ELNS1_3repE0EEENS1_47radix_sort_onesweep_sort_config_static_selectorELNS0_4arch9wavefront6targetE1EEEvSG_
; %bb.0:
	.section	.rodata,"a",@progbits
	.p2align	6, 0x0
	.amdhsa_kernel _ZN7rocprim17ROCPRIM_400000_NS6detail17trampoline_kernelINS0_14default_configENS1_35radix_sort_onesweep_config_selectorIflEEZZNS1_29radix_sort_onesweep_iterationIS3_Lb0EPfS7_N6thrust23THRUST_200600_302600_NS10device_ptrIlEESB_jNS0_19identity_decomposerENS1_16block_id_wrapperIjLb1EEEEE10hipError_tT1_PNSt15iterator_traitsISG_E10value_typeET2_T3_PNSH_ISM_E10value_typeET4_T5_PSR_SS_PNS1_23onesweep_lookback_stateEbbT6_jjT7_P12ihipStream_tbENKUlT_T0_SG_SL_E_clIS7_S7_SB_PlEEDaSZ_S10_SG_SL_EUlSZ_E_NS1_11comp_targetILNS1_3genE4ELNS1_11target_archE910ELNS1_3gpuE8ELNS1_3repE0EEENS1_47radix_sort_onesweep_sort_config_static_selectorELNS0_4arch9wavefront6targetE1EEEvSG_
		.amdhsa_group_segment_fixed_size 0
		.amdhsa_private_segment_fixed_size 0
		.amdhsa_kernarg_size 88
		.amdhsa_user_sgpr_count 6
		.amdhsa_user_sgpr_private_segment_buffer 1
		.amdhsa_user_sgpr_dispatch_ptr 0
		.amdhsa_user_sgpr_queue_ptr 0
		.amdhsa_user_sgpr_kernarg_segment_ptr 1
		.amdhsa_user_sgpr_dispatch_id 0
		.amdhsa_user_sgpr_flat_scratch_init 0
		.amdhsa_user_sgpr_private_segment_size 0
		.amdhsa_uses_dynamic_stack 0
		.amdhsa_system_sgpr_private_segment_wavefront_offset 0
		.amdhsa_system_sgpr_workgroup_id_x 1
		.amdhsa_system_sgpr_workgroup_id_y 0
		.amdhsa_system_sgpr_workgroup_id_z 0
		.amdhsa_system_sgpr_workgroup_info 0
		.amdhsa_system_vgpr_workitem_id 0
		.amdhsa_next_free_vgpr 1
		.amdhsa_next_free_sgpr 0
		.amdhsa_reserve_vcc 0
		.amdhsa_reserve_flat_scratch 0
		.amdhsa_float_round_mode_32 0
		.amdhsa_float_round_mode_16_64 0
		.amdhsa_float_denorm_mode_32 3
		.amdhsa_float_denorm_mode_16_64 3
		.amdhsa_dx10_clamp 1
		.amdhsa_ieee_mode 1
		.amdhsa_fp16_overflow 0
		.amdhsa_exception_fp_ieee_invalid_op 0
		.amdhsa_exception_fp_denorm_src 0
		.amdhsa_exception_fp_ieee_div_zero 0
		.amdhsa_exception_fp_ieee_overflow 0
		.amdhsa_exception_fp_ieee_underflow 0
		.amdhsa_exception_fp_ieee_inexact 0
		.amdhsa_exception_int_div_zero 0
	.end_amdhsa_kernel
	.section	.text._ZN7rocprim17ROCPRIM_400000_NS6detail17trampoline_kernelINS0_14default_configENS1_35radix_sort_onesweep_config_selectorIflEEZZNS1_29radix_sort_onesweep_iterationIS3_Lb0EPfS7_N6thrust23THRUST_200600_302600_NS10device_ptrIlEESB_jNS0_19identity_decomposerENS1_16block_id_wrapperIjLb1EEEEE10hipError_tT1_PNSt15iterator_traitsISG_E10value_typeET2_T3_PNSH_ISM_E10value_typeET4_T5_PSR_SS_PNS1_23onesweep_lookback_stateEbbT6_jjT7_P12ihipStream_tbENKUlT_T0_SG_SL_E_clIS7_S7_SB_PlEEDaSZ_S10_SG_SL_EUlSZ_E_NS1_11comp_targetILNS1_3genE4ELNS1_11target_archE910ELNS1_3gpuE8ELNS1_3repE0EEENS1_47radix_sort_onesweep_sort_config_static_selectorELNS0_4arch9wavefront6targetE1EEEvSG_,"axG",@progbits,_ZN7rocprim17ROCPRIM_400000_NS6detail17trampoline_kernelINS0_14default_configENS1_35radix_sort_onesweep_config_selectorIflEEZZNS1_29radix_sort_onesweep_iterationIS3_Lb0EPfS7_N6thrust23THRUST_200600_302600_NS10device_ptrIlEESB_jNS0_19identity_decomposerENS1_16block_id_wrapperIjLb1EEEEE10hipError_tT1_PNSt15iterator_traitsISG_E10value_typeET2_T3_PNSH_ISM_E10value_typeET4_T5_PSR_SS_PNS1_23onesweep_lookback_stateEbbT6_jjT7_P12ihipStream_tbENKUlT_T0_SG_SL_E_clIS7_S7_SB_PlEEDaSZ_S10_SG_SL_EUlSZ_E_NS1_11comp_targetILNS1_3genE4ELNS1_11target_archE910ELNS1_3gpuE8ELNS1_3repE0EEENS1_47radix_sort_onesweep_sort_config_static_selectorELNS0_4arch9wavefront6targetE1EEEvSG_,comdat
.Lfunc_end1847:
	.size	_ZN7rocprim17ROCPRIM_400000_NS6detail17trampoline_kernelINS0_14default_configENS1_35radix_sort_onesweep_config_selectorIflEEZZNS1_29radix_sort_onesweep_iterationIS3_Lb0EPfS7_N6thrust23THRUST_200600_302600_NS10device_ptrIlEESB_jNS0_19identity_decomposerENS1_16block_id_wrapperIjLb1EEEEE10hipError_tT1_PNSt15iterator_traitsISG_E10value_typeET2_T3_PNSH_ISM_E10value_typeET4_T5_PSR_SS_PNS1_23onesweep_lookback_stateEbbT6_jjT7_P12ihipStream_tbENKUlT_T0_SG_SL_E_clIS7_S7_SB_PlEEDaSZ_S10_SG_SL_EUlSZ_E_NS1_11comp_targetILNS1_3genE4ELNS1_11target_archE910ELNS1_3gpuE8ELNS1_3repE0EEENS1_47radix_sort_onesweep_sort_config_static_selectorELNS0_4arch9wavefront6targetE1EEEvSG_, .Lfunc_end1847-_ZN7rocprim17ROCPRIM_400000_NS6detail17trampoline_kernelINS0_14default_configENS1_35radix_sort_onesweep_config_selectorIflEEZZNS1_29radix_sort_onesweep_iterationIS3_Lb0EPfS7_N6thrust23THRUST_200600_302600_NS10device_ptrIlEESB_jNS0_19identity_decomposerENS1_16block_id_wrapperIjLb1EEEEE10hipError_tT1_PNSt15iterator_traitsISG_E10value_typeET2_T3_PNSH_ISM_E10value_typeET4_T5_PSR_SS_PNS1_23onesweep_lookback_stateEbbT6_jjT7_P12ihipStream_tbENKUlT_T0_SG_SL_E_clIS7_S7_SB_PlEEDaSZ_S10_SG_SL_EUlSZ_E_NS1_11comp_targetILNS1_3genE4ELNS1_11target_archE910ELNS1_3gpuE8ELNS1_3repE0EEENS1_47radix_sort_onesweep_sort_config_static_selectorELNS0_4arch9wavefront6targetE1EEEvSG_
                                        ; -- End function
	.set _ZN7rocprim17ROCPRIM_400000_NS6detail17trampoline_kernelINS0_14default_configENS1_35radix_sort_onesweep_config_selectorIflEEZZNS1_29radix_sort_onesweep_iterationIS3_Lb0EPfS7_N6thrust23THRUST_200600_302600_NS10device_ptrIlEESB_jNS0_19identity_decomposerENS1_16block_id_wrapperIjLb1EEEEE10hipError_tT1_PNSt15iterator_traitsISG_E10value_typeET2_T3_PNSH_ISM_E10value_typeET4_T5_PSR_SS_PNS1_23onesweep_lookback_stateEbbT6_jjT7_P12ihipStream_tbENKUlT_T0_SG_SL_E_clIS7_S7_SB_PlEEDaSZ_S10_SG_SL_EUlSZ_E_NS1_11comp_targetILNS1_3genE4ELNS1_11target_archE910ELNS1_3gpuE8ELNS1_3repE0EEENS1_47radix_sort_onesweep_sort_config_static_selectorELNS0_4arch9wavefront6targetE1EEEvSG_.num_vgpr, 0
	.set _ZN7rocprim17ROCPRIM_400000_NS6detail17trampoline_kernelINS0_14default_configENS1_35radix_sort_onesweep_config_selectorIflEEZZNS1_29radix_sort_onesweep_iterationIS3_Lb0EPfS7_N6thrust23THRUST_200600_302600_NS10device_ptrIlEESB_jNS0_19identity_decomposerENS1_16block_id_wrapperIjLb1EEEEE10hipError_tT1_PNSt15iterator_traitsISG_E10value_typeET2_T3_PNSH_ISM_E10value_typeET4_T5_PSR_SS_PNS1_23onesweep_lookback_stateEbbT6_jjT7_P12ihipStream_tbENKUlT_T0_SG_SL_E_clIS7_S7_SB_PlEEDaSZ_S10_SG_SL_EUlSZ_E_NS1_11comp_targetILNS1_3genE4ELNS1_11target_archE910ELNS1_3gpuE8ELNS1_3repE0EEENS1_47radix_sort_onesweep_sort_config_static_selectorELNS0_4arch9wavefront6targetE1EEEvSG_.num_agpr, 0
	.set _ZN7rocprim17ROCPRIM_400000_NS6detail17trampoline_kernelINS0_14default_configENS1_35radix_sort_onesweep_config_selectorIflEEZZNS1_29radix_sort_onesweep_iterationIS3_Lb0EPfS7_N6thrust23THRUST_200600_302600_NS10device_ptrIlEESB_jNS0_19identity_decomposerENS1_16block_id_wrapperIjLb1EEEEE10hipError_tT1_PNSt15iterator_traitsISG_E10value_typeET2_T3_PNSH_ISM_E10value_typeET4_T5_PSR_SS_PNS1_23onesweep_lookback_stateEbbT6_jjT7_P12ihipStream_tbENKUlT_T0_SG_SL_E_clIS7_S7_SB_PlEEDaSZ_S10_SG_SL_EUlSZ_E_NS1_11comp_targetILNS1_3genE4ELNS1_11target_archE910ELNS1_3gpuE8ELNS1_3repE0EEENS1_47radix_sort_onesweep_sort_config_static_selectorELNS0_4arch9wavefront6targetE1EEEvSG_.numbered_sgpr, 0
	.set _ZN7rocprim17ROCPRIM_400000_NS6detail17trampoline_kernelINS0_14default_configENS1_35radix_sort_onesweep_config_selectorIflEEZZNS1_29radix_sort_onesweep_iterationIS3_Lb0EPfS7_N6thrust23THRUST_200600_302600_NS10device_ptrIlEESB_jNS0_19identity_decomposerENS1_16block_id_wrapperIjLb1EEEEE10hipError_tT1_PNSt15iterator_traitsISG_E10value_typeET2_T3_PNSH_ISM_E10value_typeET4_T5_PSR_SS_PNS1_23onesweep_lookback_stateEbbT6_jjT7_P12ihipStream_tbENKUlT_T0_SG_SL_E_clIS7_S7_SB_PlEEDaSZ_S10_SG_SL_EUlSZ_E_NS1_11comp_targetILNS1_3genE4ELNS1_11target_archE910ELNS1_3gpuE8ELNS1_3repE0EEENS1_47radix_sort_onesweep_sort_config_static_selectorELNS0_4arch9wavefront6targetE1EEEvSG_.num_named_barrier, 0
	.set _ZN7rocprim17ROCPRIM_400000_NS6detail17trampoline_kernelINS0_14default_configENS1_35radix_sort_onesweep_config_selectorIflEEZZNS1_29radix_sort_onesweep_iterationIS3_Lb0EPfS7_N6thrust23THRUST_200600_302600_NS10device_ptrIlEESB_jNS0_19identity_decomposerENS1_16block_id_wrapperIjLb1EEEEE10hipError_tT1_PNSt15iterator_traitsISG_E10value_typeET2_T3_PNSH_ISM_E10value_typeET4_T5_PSR_SS_PNS1_23onesweep_lookback_stateEbbT6_jjT7_P12ihipStream_tbENKUlT_T0_SG_SL_E_clIS7_S7_SB_PlEEDaSZ_S10_SG_SL_EUlSZ_E_NS1_11comp_targetILNS1_3genE4ELNS1_11target_archE910ELNS1_3gpuE8ELNS1_3repE0EEENS1_47radix_sort_onesweep_sort_config_static_selectorELNS0_4arch9wavefront6targetE1EEEvSG_.private_seg_size, 0
	.set _ZN7rocprim17ROCPRIM_400000_NS6detail17trampoline_kernelINS0_14default_configENS1_35radix_sort_onesweep_config_selectorIflEEZZNS1_29radix_sort_onesweep_iterationIS3_Lb0EPfS7_N6thrust23THRUST_200600_302600_NS10device_ptrIlEESB_jNS0_19identity_decomposerENS1_16block_id_wrapperIjLb1EEEEE10hipError_tT1_PNSt15iterator_traitsISG_E10value_typeET2_T3_PNSH_ISM_E10value_typeET4_T5_PSR_SS_PNS1_23onesweep_lookback_stateEbbT6_jjT7_P12ihipStream_tbENKUlT_T0_SG_SL_E_clIS7_S7_SB_PlEEDaSZ_S10_SG_SL_EUlSZ_E_NS1_11comp_targetILNS1_3genE4ELNS1_11target_archE910ELNS1_3gpuE8ELNS1_3repE0EEENS1_47radix_sort_onesweep_sort_config_static_selectorELNS0_4arch9wavefront6targetE1EEEvSG_.uses_vcc, 0
	.set _ZN7rocprim17ROCPRIM_400000_NS6detail17trampoline_kernelINS0_14default_configENS1_35radix_sort_onesweep_config_selectorIflEEZZNS1_29radix_sort_onesweep_iterationIS3_Lb0EPfS7_N6thrust23THRUST_200600_302600_NS10device_ptrIlEESB_jNS0_19identity_decomposerENS1_16block_id_wrapperIjLb1EEEEE10hipError_tT1_PNSt15iterator_traitsISG_E10value_typeET2_T3_PNSH_ISM_E10value_typeET4_T5_PSR_SS_PNS1_23onesweep_lookback_stateEbbT6_jjT7_P12ihipStream_tbENKUlT_T0_SG_SL_E_clIS7_S7_SB_PlEEDaSZ_S10_SG_SL_EUlSZ_E_NS1_11comp_targetILNS1_3genE4ELNS1_11target_archE910ELNS1_3gpuE8ELNS1_3repE0EEENS1_47radix_sort_onesweep_sort_config_static_selectorELNS0_4arch9wavefront6targetE1EEEvSG_.uses_flat_scratch, 0
	.set _ZN7rocprim17ROCPRIM_400000_NS6detail17trampoline_kernelINS0_14default_configENS1_35radix_sort_onesweep_config_selectorIflEEZZNS1_29radix_sort_onesweep_iterationIS3_Lb0EPfS7_N6thrust23THRUST_200600_302600_NS10device_ptrIlEESB_jNS0_19identity_decomposerENS1_16block_id_wrapperIjLb1EEEEE10hipError_tT1_PNSt15iterator_traitsISG_E10value_typeET2_T3_PNSH_ISM_E10value_typeET4_T5_PSR_SS_PNS1_23onesweep_lookback_stateEbbT6_jjT7_P12ihipStream_tbENKUlT_T0_SG_SL_E_clIS7_S7_SB_PlEEDaSZ_S10_SG_SL_EUlSZ_E_NS1_11comp_targetILNS1_3genE4ELNS1_11target_archE910ELNS1_3gpuE8ELNS1_3repE0EEENS1_47radix_sort_onesweep_sort_config_static_selectorELNS0_4arch9wavefront6targetE1EEEvSG_.has_dyn_sized_stack, 0
	.set _ZN7rocprim17ROCPRIM_400000_NS6detail17trampoline_kernelINS0_14default_configENS1_35radix_sort_onesweep_config_selectorIflEEZZNS1_29radix_sort_onesweep_iterationIS3_Lb0EPfS7_N6thrust23THRUST_200600_302600_NS10device_ptrIlEESB_jNS0_19identity_decomposerENS1_16block_id_wrapperIjLb1EEEEE10hipError_tT1_PNSt15iterator_traitsISG_E10value_typeET2_T3_PNSH_ISM_E10value_typeET4_T5_PSR_SS_PNS1_23onesweep_lookback_stateEbbT6_jjT7_P12ihipStream_tbENKUlT_T0_SG_SL_E_clIS7_S7_SB_PlEEDaSZ_S10_SG_SL_EUlSZ_E_NS1_11comp_targetILNS1_3genE4ELNS1_11target_archE910ELNS1_3gpuE8ELNS1_3repE0EEENS1_47radix_sort_onesweep_sort_config_static_selectorELNS0_4arch9wavefront6targetE1EEEvSG_.has_recursion, 0
	.set _ZN7rocprim17ROCPRIM_400000_NS6detail17trampoline_kernelINS0_14default_configENS1_35radix_sort_onesweep_config_selectorIflEEZZNS1_29radix_sort_onesweep_iterationIS3_Lb0EPfS7_N6thrust23THRUST_200600_302600_NS10device_ptrIlEESB_jNS0_19identity_decomposerENS1_16block_id_wrapperIjLb1EEEEE10hipError_tT1_PNSt15iterator_traitsISG_E10value_typeET2_T3_PNSH_ISM_E10value_typeET4_T5_PSR_SS_PNS1_23onesweep_lookback_stateEbbT6_jjT7_P12ihipStream_tbENKUlT_T0_SG_SL_E_clIS7_S7_SB_PlEEDaSZ_S10_SG_SL_EUlSZ_E_NS1_11comp_targetILNS1_3genE4ELNS1_11target_archE910ELNS1_3gpuE8ELNS1_3repE0EEENS1_47radix_sort_onesweep_sort_config_static_selectorELNS0_4arch9wavefront6targetE1EEEvSG_.has_indirect_call, 0
	.section	.AMDGPU.csdata,"",@progbits
; Kernel info:
; codeLenInByte = 0
; TotalNumSgprs: 4
; NumVgprs: 0
; ScratchSize: 0
; MemoryBound: 0
; FloatMode: 240
; IeeeMode: 1
; LDSByteSize: 0 bytes/workgroup (compile time only)
; SGPRBlocks: 0
; VGPRBlocks: 0
; NumSGPRsForWavesPerEU: 4
; NumVGPRsForWavesPerEU: 1
; Occupancy: 10
; WaveLimiterHint : 0
; COMPUTE_PGM_RSRC2:SCRATCH_EN: 0
; COMPUTE_PGM_RSRC2:USER_SGPR: 6
; COMPUTE_PGM_RSRC2:TRAP_HANDLER: 0
; COMPUTE_PGM_RSRC2:TGID_X_EN: 1
; COMPUTE_PGM_RSRC2:TGID_Y_EN: 0
; COMPUTE_PGM_RSRC2:TGID_Z_EN: 0
; COMPUTE_PGM_RSRC2:TIDIG_COMP_CNT: 0
	.section	.text._ZN7rocprim17ROCPRIM_400000_NS6detail17trampoline_kernelINS0_14default_configENS1_35radix_sort_onesweep_config_selectorIflEEZZNS1_29radix_sort_onesweep_iterationIS3_Lb0EPfS7_N6thrust23THRUST_200600_302600_NS10device_ptrIlEESB_jNS0_19identity_decomposerENS1_16block_id_wrapperIjLb1EEEEE10hipError_tT1_PNSt15iterator_traitsISG_E10value_typeET2_T3_PNSH_ISM_E10value_typeET4_T5_PSR_SS_PNS1_23onesweep_lookback_stateEbbT6_jjT7_P12ihipStream_tbENKUlT_T0_SG_SL_E_clIS7_S7_SB_PlEEDaSZ_S10_SG_SL_EUlSZ_E_NS1_11comp_targetILNS1_3genE3ELNS1_11target_archE908ELNS1_3gpuE7ELNS1_3repE0EEENS1_47radix_sort_onesweep_sort_config_static_selectorELNS0_4arch9wavefront6targetE1EEEvSG_,"axG",@progbits,_ZN7rocprim17ROCPRIM_400000_NS6detail17trampoline_kernelINS0_14default_configENS1_35radix_sort_onesweep_config_selectorIflEEZZNS1_29radix_sort_onesweep_iterationIS3_Lb0EPfS7_N6thrust23THRUST_200600_302600_NS10device_ptrIlEESB_jNS0_19identity_decomposerENS1_16block_id_wrapperIjLb1EEEEE10hipError_tT1_PNSt15iterator_traitsISG_E10value_typeET2_T3_PNSH_ISM_E10value_typeET4_T5_PSR_SS_PNS1_23onesweep_lookback_stateEbbT6_jjT7_P12ihipStream_tbENKUlT_T0_SG_SL_E_clIS7_S7_SB_PlEEDaSZ_S10_SG_SL_EUlSZ_E_NS1_11comp_targetILNS1_3genE3ELNS1_11target_archE908ELNS1_3gpuE7ELNS1_3repE0EEENS1_47radix_sort_onesweep_sort_config_static_selectorELNS0_4arch9wavefront6targetE1EEEvSG_,comdat
	.protected	_ZN7rocprim17ROCPRIM_400000_NS6detail17trampoline_kernelINS0_14default_configENS1_35radix_sort_onesweep_config_selectorIflEEZZNS1_29radix_sort_onesweep_iterationIS3_Lb0EPfS7_N6thrust23THRUST_200600_302600_NS10device_ptrIlEESB_jNS0_19identity_decomposerENS1_16block_id_wrapperIjLb1EEEEE10hipError_tT1_PNSt15iterator_traitsISG_E10value_typeET2_T3_PNSH_ISM_E10value_typeET4_T5_PSR_SS_PNS1_23onesweep_lookback_stateEbbT6_jjT7_P12ihipStream_tbENKUlT_T0_SG_SL_E_clIS7_S7_SB_PlEEDaSZ_S10_SG_SL_EUlSZ_E_NS1_11comp_targetILNS1_3genE3ELNS1_11target_archE908ELNS1_3gpuE7ELNS1_3repE0EEENS1_47radix_sort_onesweep_sort_config_static_selectorELNS0_4arch9wavefront6targetE1EEEvSG_ ; -- Begin function _ZN7rocprim17ROCPRIM_400000_NS6detail17trampoline_kernelINS0_14default_configENS1_35radix_sort_onesweep_config_selectorIflEEZZNS1_29radix_sort_onesweep_iterationIS3_Lb0EPfS7_N6thrust23THRUST_200600_302600_NS10device_ptrIlEESB_jNS0_19identity_decomposerENS1_16block_id_wrapperIjLb1EEEEE10hipError_tT1_PNSt15iterator_traitsISG_E10value_typeET2_T3_PNSH_ISM_E10value_typeET4_T5_PSR_SS_PNS1_23onesweep_lookback_stateEbbT6_jjT7_P12ihipStream_tbENKUlT_T0_SG_SL_E_clIS7_S7_SB_PlEEDaSZ_S10_SG_SL_EUlSZ_E_NS1_11comp_targetILNS1_3genE3ELNS1_11target_archE908ELNS1_3gpuE7ELNS1_3repE0EEENS1_47radix_sort_onesweep_sort_config_static_selectorELNS0_4arch9wavefront6targetE1EEEvSG_
	.globl	_ZN7rocprim17ROCPRIM_400000_NS6detail17trampoline_kernelINS0_14default_configENS1_35radix_sort_onesweep_config_selectorIflEEZZNS1_29radix_sort_onesweep_iterationIS3_Lb0EPfS7_N6thrust23THRUST_200600_302600_NS10device_ptrIlEESB_jNS0_19identity_decomposerENS1_16block_id_wrapperIjLb1EEEEE10hipError_tT1_PNSt15iterator_traitsISG_E10value_typeET2_T3_PNSH_ISM_E10value_typeET4_T5_PSR_SS_PNS1_23onesweep_lookback_stateEbbT6_jjT7_P12ihipStream_tbENKUlT_T0_SG_SL_E_clIS7_S7_SB_PlEEDaSZ_S10_SG_SL_EUlSZ_E_NS1_11comp_targetILNS1_3genE3ELNS1_11target_archE908ELNS1_3gpuE7ELNS1_3repE0EEENS1_47radix_sort_onesweep_sort_config_static_selectorELNS0_4arch9wavefront6targetE1EEEvSG_
	.p2align	8
	.type	_ZN7rocprim17ROCPRIM_400000_NS6detail17trampoline_kernelINS0_14default_configENS1_35radix_sort_onesweep_config_selectorIflEEZZNS1_29radix_sort_onesweep_iterationIS3_Lb0EPfS7_N6thrust23THRUST_200600_302600_NS10device_ptrIlEESB_jNS0_19identity_decomposerENS1_16block_id_wrapperIjLb1EEEEE10hipError_tT1_PNSt15iterator_traitsISG_E10value_typeET2_T3_PNSH_ISM_E10value_typeET4_T5_PSR_SS_PNS1_23onesweep_lookback_stateEbbT6_jjT7_P12ihipStream_tbENKUlT_T0_SG_SL_E_clIS7_S7_SB_PlEEDaSZ_S10_SG_SL_EUlSZ_E_NS1_11comp_targetILNS1_3genE3ELNS1_11target_archE908ELNS1_3gpuE7ELNS1_3repE0EEENS1_47radix_sort_onesweep_sort_config_static_selectorELNS0_4arch9wavefront6targetE1EEEvSG_,@function
_ZN7rocprim17ROCPRIM_400000_NS6detail17trampoline_kernelINS0_14default_configENS1_35radix_sort_onesweep_config_selectorIflEEZZNS1_29radix_sort_onesweep_iterationIS3_Lb0EPfS7_N6thrust23THRUST_200600_302600_NS10device_ptrIlEESB_jNS0_19identity_decomposerENS1_16block_id_wrapperIjLb1EEEEE10hipError_tT1_PNSt15iterator_traitsISG_E10value_typeET2_T3_PNSH_ISM_E10value_typeET4_T5_PSR_SS_PNS1_23onesweep_lookback_stateEbbT6_jjT7_P12ihipStream_tbENKUlT_T0_SG_SL_E_clIS7_S7_SB_PlEEDaSZ_S10_SG_SL_EUlSZ_E_NS1_11comp_targetILNS1_3genE3ELNS1_11target_archE908ELNS1_3gpuE7ELNS1_3repE0EEENS1_47radix_sort_onesweep_sort_config_static_selectorELNS0_4arch9wavefront6targetE1EEEvSG_: ; @_ZN7rocprim17ROCPRIM_400000_NS6detail17trampoline_kernelINS0_14default_configENS1_35radix_sort_onesweep_config_selectorIflEEZZNS1_29radix_sort_onesweep_iterationIS3_Lb0EPfS7_N6thrust23THRUST_200600_302600_NS10device_ptrIlEESB_jNS0_19identity_decomposerENS1_16block_id_wrapperIjLb1EEEEE10hipError_tT1_PNSt15iterator_traitsISG_E10value_typeET2_T3_PNSH_ISM_E10value_typeET4_T5_PSR_SS_PNS1_23onesweep_lookback_stateEbbT6_jjT7_P12ihipStream_tbENKUlT_T0_SG_SL_E_clIS7_S7_SB_PlEEDaSZ_S10_SG_SL_EUlSZ_E_NS1_11comp_targetILNS1_3genE3ELNS1_11target_archE908ELNS1_3gpuE7ELNS1_3repE0EEENS1_47radix_sort_onesweep_sort_config_static_selectorELNS0_4arch9wavefront6targetE1EEEvSG_
; %bb.0:
	.section	.rodata,"a",@progbits
	.p2align	6, 0x0
	.amdhsa_kernel _ZN7rocprim17ROCPRIM_400000_NS6detail17trampoline_kernelINS0_14default_configENS1_35radix_sort_onesweep_config_selectorIflEEZZNS1_29radix_sort_onesweep_iterationIS3_Lb0EPfS7_N6thrust23THRUST_200600_302600_NS10device_ptrIlEESB_jNS0_19identity_decomposerENS1_16block_id_wrapperIjLb1EEEEE10hipError_tT1_PNSt15iterator_traitsISG_E10value_typeET2_T3_PNSH_ISM_E10value_typeET4_T5_PSR_SS_PNS1_23onesweep_lookback_stateEbbT6_jjT7_P12ihipStream_tbENKUlT_T0_SG_SL_E_clIS7_S7_SB_PlEEDaSZ_S10_SG_SL_EUlSZ_E_NS1_11comp_targetILNS1_3genE3ELNS1_11target_archE908ELNS1_3gpuE7ELNS1_3repE0EEENS1_47radix_sort_onesweep_sort_config_static_selectorELNS0_4arch9wavefront6targetE1EEEvSG_
		.amdhsa_group_segment_fixed_size 0
		.amdhsa_private_segment_fixed_size 0
		.amdhsa_kernarg_size 88
		.amdhsa_user_sgpr_count 6
		.amdhsa_user_sgpr_private_segment_buffer 1
		.amdhsa_user_sgpr_dispatch_ptr 0
		.amdhsa_user_sgpr_queue_ptr 0
		.amdhsa_user_sgpr_kernarg_segment_ptr 1
		.amdhsa_user_sgpr_dispatch_id 0
		.amdhsa_user_sgpr_flat_scratch_init 0
		.amdhsa_user_sgpr_private_segment_size 0
		.amdhsa_uses_dynamic_stack 0
		.amdhsa_system_sgpr_private_segment_wavefront_offset 0
		.amdhsa_system_sgpr_workgroup_id_x 1
		.amdhsa_system_sgpr_workgroup_id_y 0
		.amdhsa_system_sgpr_workgroup_id_z 0
		.amdhsa_system_sgpr_workgroup_info 0
		.amdhsa_system_vgpr_workitem_id 0
		.amdhsa_next_free_vgpr 1
		.amdhsa_next_free_sgpr 0
		.amdhsa_reserve_vcc 0
		.amdhsa_reserve_flat_scratch 0
		.amdhsa_float_round_mode_32 0
		.amdhsa_float_round_mode_16_64 0
		.amdhsa_float_denorm_mode_32 3
		.amdhsa_float_denorm_mode_16_64 3
		.amdhsa_dx10_clamp 1
		.amdhsa_ieee_mode 1
		.amdhsa_fp16_overflow 0
		.amdhsa_exception_fp_ieee_invalid_op 0
		.amdhsa_exception_fp_denorm_src 0
		.amdhsa_exception_fp_ieee_div_zero 0
		.amdhsa_exception_fp_ieee_overflow 0
		.amdhsa_exception_fp_ieee_underflow 0
		.amdhsa_exception_fp_ieee_inexact 0
		.amdhsa_exception_int_div_zero 0
	.end_amdhsa_kernel
	.section	.text._ZN7rocprim17ROCPRIM_400000_NS6detail17trampoline_kernelINS0_14default_configENS1_35radix_sort_onesweep_config_selectorIflEEZZNS1_29radix_sort_onesweep_iterationIS3_Lb0EPfS7_N6thrust23THRUST_200600_302600_NS10device_ptrIlEESB_jNS0_19identity_decomposerENS1_16block_id_wrapperIjLb1EEEEE10hipError_tT1_PNSt15iterator_traitsISG_E10value_typeET2_T3_PNSH_ISM_E10value_typeET4_T5_PSR_SS_PNS1_23onesweep_lookback_stateEbbT6_jjT7_P12ihipStream_tbENKUlT_T0_SG_SL_E_clIS7_S7_SB_PlEEDaSZ_S10_SG_SL_EUlSZ_E_NS1_11comp_targetILNS1_3genE3ELNS1_11target_archE908ELNS1_3gpuE7ELNS1_3repE0EEENS1_47radix_sort_onesweep_sort_config_static_selectorELNS0_4arch9wavefront6targetE1EEEvSG_,"axG",@progbits,_ZN7rocprim17ROCPRIM_400000_NS6detail17trampoline_kernelINS0_14default_configENS1_35radix_sort_onesweep_config_selectorIflEEZZNS1_29radix_sort_onesweep_iterationIS3_Lb0EPfS7_N6thrust23THRUST_200600_302600_NS10device_ptrIlEESB_jNS0_19identity_decomposerENS1_16block_id_wrapperIjLb1EEEEE10hipError_tT1_PNSt15iterator_traitsISG_E10value_typeET2_T3_PNSH_ISM_E10value_typeET4_T5_PSR_SS_PNS1_23onesweep_lookback_stateEbbT6_jjT7_P12ihipStream_tbENKUlT_T0_SG_SL_E_clIS7_S7_SB_PlEEDaSZ_S10_SG_SL_EUlSZ_E_NS1_11comp_targetILNS1_3genE3ELNS1_11target_archE908ELNS1_3gpuE7ELNS1_3repE0EEENS1_47radix_sort_onesweep_sort_config_static_selectorELNS0_4arch9wavefront6targetE1EEEvSG_,comdat
.Lfunc_end1848:
	.size	_ZN7rocprim17ROCPRIM_400000_NS6detail17trampoline_kernelINS0_14default_configENS1_35radix_sort_onesweep_config_selectorIflEEZZNS1_29radix_sort_onesweep_iterationIS3_Lb0EPfS7_N6thrust23THRUST_200600_302600_NS10device_ptrIlEESB_jNS0_19identity_decomposerENS1_16block_id_wrapperIjLb1EEEEE10hipError_tT1_PNSt15iterator_traitsISG_E10value_typeET2_T3_PNSH_ISM_E10value_typeET4_T5_PSR_SS_PNS1_23onesweep_lookback_stateEbbT6_jjT7_P12ihipStream_tbENKUlT_T0_SG_SL_E_clIS7_S7_SB_PlEEDaSZ_S10_SG_SL_EUlSZ_E_NS1_11comp_targetILNS1_3genE3ELNS1_11target_archE908ELNS1_3gpuE7ELNS1_3repE0EEENS1_47radix_sort_onesweep_sort_config_static_selectorELNS0_4arch9wavefront6targetE1EEEvSG_, .Lfunc_end1848-_ZN7rocprim17ROCPRIM_400000_NS6detail17trampoline_kernelINS0_14default_configENS1_35radix_sort_onesweep_config_selectorIflEEZZNS1_29radix_sort_onesweep_iterationIS3_Lb0EPfS7_N6thrust23THRUST_200600_302600_NS10device_ptrIlEESB_jNS0_19identity_decomposerENS1_16block_id_wrapperIjLb1EEEEE10hipError_tT1_PNSt15iterator_traitsISG_E10value_typeET2_T3_PNSH_ISM_E10value_typeET4_T5_PSR_SS_PNS1_23onesweep_lookback_stateEbbT6_jjT7_P12ihipStream_tbENKUlT_T0_SG_SL_E_clIS7_S7_SB_PlEEDaSZ_S10_SG_SL_EUlSZ_E_NS1_11comp_targetILNS1_3genE3ELNS1_11target_archE908ELNS1_3gpuE7ELNS1_3repE0EEENS1_47radix_sort_onesweep_sort_config_static_selectorELNS0_4arch9wavefront6targetE1EEEvSG_
                                        ; -- End function
	.set _ZN7rocprim17ROCPRIM_400000_NS6detail17trampoline_kernelINS0_14default_configENS1_35radix_sort_onesweep_config_selectorIflEEZZNS1_29radix_sort_onesweep_iterationIS3_Lb0EPfS7_N6thrust23THRUST_200600_302600_NS10device_ptrIlEESB_jNS0_19identity_decomposerENS1_16block_id_wrapperIjLb1EEEEE10hipError_tT1_PNSt15iterator_traitsISG_E10value_typeET2_T3_PNSH_ISM_E10value_typeET4_T5_PSR_SS_PNS1_23onesweep_lookback_stateEbbT6_jjT7_P12ihipStream_tbENKUlT_T0_SG_SL_E_clIS7_S7_SB_PlEEDaSZ_S10_SG_SL_EUlSZ_E_NS1_11comp_targetILNS1_3genE3ELNS1_11target_archE908ELNS1_3gpuE7ELNS1_3repE0EEENS1_47radix_sort_onesweep_sort_config_static_selectorELNS0_4arch9wavefront6targetE1EEEvSG_.num_vgpr, 0
	.set _ZN7rocprim17ROCPRIM_400000_NS6detail17trampoline_kernelINS0_14default_configENS1_35radix_sort_onesweep_config_selectorIflEEZZNS1_29radix_sort_onesweep_iterationIS3_Lb0EPfS7_N6thrust23THRUST_200600_302600_NS10device_ptrIlEESB_jNS0_19identity_decomposerENS1_16block_id_wrapperIjLb1EEEEE10hipError_tT1_PNSt15iterator_traitsISG_E10value_typeET2_T3_PNSH_ISM_E10value_typeET4_T5_PSR_SS_PNS1_23onesweep_lookback_stateEbbT6_jjT7_P12ihipStream_tbENKUlT_T0_SG_SL_E_clIS7_S7_SB_PlEEDaSZ_S10_SG_SL_EUlSZ_E_NS1_11comp_targetILNS1_3genE3ELNS1_11target_archE908ELNS1_3gpuE7ELNS1_3repE0EEENS1_47radix_sort_onesweep_sort_config_static_selectorELNS0_4arch9wavefront6targetE1EEEvSG_.num_agpr, 0
	.set _ZN7rocprim17ROCPRIM_400000_NS6detail17trampoline_kernelINS0_14default_configENS1_35radix_sort_onesweep_config_selectorIflEEZZNS1_29radix_sort_onesweep_iterationIS3_Lb0EPfS7_N6thrust23THRUST_200600_302600_NS10device_ptrIlEESB_jNS0_19identity_decomposerENS1_16block_id_wrapperIjLb1EEEEE10hipError_tT1_PNSt15iterator_traitsISG_E10value_typeET2_T3_PNSH_ISM_E10value_typeET4_T5_PSR_SS_PNS1_23onesweep_lookback_stateEbbT6_jjT7_P12ihipStream_tbENKUlT_T0_SG_SL_E_clIS7_S7_SB_PlEEDaSZ_S10_SG_SL_EUlSZ_E_NS1_11comp_targetILNS1_3genE3ELNS1_11target_archE908ELNS1_3gpuE7ELNS1_3repE0EEENS1_47radix_sort_onesweep_sort_config_static_selectorELNS0_4arch9wavefront6targetE1EEEvSG_.numbered_sgpr, 0
	.set _ZN7rocprim17ROCPRIM_400000_NS6detail17trampoline_kernelINS0_14default_configENS1_35radix_sort_onesweep_config_selectorIflEEZZNS1_29radix_sort_onesweep_iterationIS3_Lb0EPfS7_N6thrust23THRUST_200600_302600_NS10device_ptrIlEESB_jNS0_19identity_decomposerENS1_16block_id_wrapperIjLb1EEEEE10hipError_tT1_PNSt15iterator_traitsISG_E10value_typeET2_T3_PNSH_ISM_E10value_typeET4_T5_PSR_SS_PNS1_23onesweep_lookback_stateEbbT6_jjT7_P12ihipStream_tbENKUlT_T0_SG_SL_E_clIS7_S7_SB_PlEEDaSZ_S10_SG_SL_EUlSZ_E_NS1_11comp_targetILNS1_3genE3ELNS1_11target_archE908ELNS1_3gpuE7ELNS1_3repE0EEENS1_47radix_sort_onesweep_sort_config_static_selectorELNS0_4arch9wavefront6targetE1EEEvSG_.num_named_barrier, 0
	.set _ZN7rocprim17ROCPRIM_400000_NS6detail17trampoline_kernelINS0_14default_configENS1_35radix_sort_onesweep_config_selectorIflEEZZNS1_29radix_sort_onesweep_iterationIS3_Lb0EPfS7_N6thrust23THRUST_200600_302600_NS10device_ptrIlEESB_jNS0_19identity_decomposerENS1_16block_id_wrapperIjLb1EEEEE10hipError_tT1_PNSt15iterator_traitsISG_E10value_typeET2_T3_PNSH_ISM_E10value_typeET4_T5_PSR_SS_PNS1_23onesweep_lookback_stateEbbT6_jjT7_P12ihipStream_tbENKUlT_T0_SG_SL_E_clIS7_S7_SB_PlEEDaSZ_S10_SG_SL_EUlSZ_E_NS1_11comp_targetILNS1_3genE3ELNS1_11target_archE908ELNS1_3gpuE7ELNS1_3repE0EEENS1_47radix_sort_onesweep_sort_config_static_selectorELNS0_4arch9wavefront6targetE1EEEvSG_.private_seg_size, 0
	.set _ZN7rocprim17ROCPRIM_400000_NS6detail17trampoline_kernelINS0_14default_configENS1_35radix_sort_onesweep_config_selectorIflEEZZNS1_29radix_sort_onesweep_iterationIS3_Lb0EPfS7_N6thrust23THRUST_200600_302600_NS10device_ptrIlEESB_jNS0_19identity_decomposerENS1_16block_id_wrapperIjLb1EEEEE10hipError_tT1_PNSt15iterator_traitsISG_E10value_typeET2_T3_PNSH_ISM_E10value_typeET4_T5_PSR_SS_PNS1_23onesweep_lookback_stateEbbT6_jjT7_P12ihipStream_tbENKUlT_T0_SG_SL_E_clIS7_S7_SB_PlEEDaSZ_S10_SG_SL_EUlSZ_E_NS1_11comp_targetILNS1_3genE3ELNS1_11target_archE908ELNS1_3gpuE7ELNS1_3repE0EEENS1_47radix_sort_onesweep_sort_config_static_selectorELNS0_4arch9wavefront6targetE1EEEvSG_.uses_vcc, 0
	.set _ZN7rocprim17ROCPRIM_400000_NS6detail17trampoline_kernelINS0_14default_configENS1_35radix_sort_onesweep_config_selectorIflEEZZNS1_29radix_sort_onesweep_iterationIS3_Lb0EPfS7_N6thrust23THRUST_200600_302600_NS10device_ptrIlEESB_jNS0_19identity_decomposerENS1_16block_id_wrapperIjLb1EEEEE10hipError_tT1_PNSt15iterator_traitsISG_E10value_typeET2_T3_PNSH_ISM_E10value_typeET4_T5_PSR_SS_PNS1_23onesweep_lookback_stateEbbT6_jjT7_P12ihipStream_tbENKUlT_T0_SG_SL_E_clIS7_S7_SB_PlEEDaSZ_S10_SG_SL_EUlSZ_E_NS1_11comp_targetILNS1_3genE3ELNS1_11target_archE908ELNS1_3gpuE7ELNS1_3repE0EEENS1_47radix_sort_onesweep_sort_config_static_selectorELNS0_4arch9wavefront6targetE1EEEvSG_.uses_flat_scratch, 0
	.set _ZN7rocprim17ROCPRIM_400000_NS6detail17trampoline_kernelINS0_14default_configENS1_35radix_sort_onesweep_config_selectorIflEEZZNS1_29radix_sort_onesweep_iterationIS3_Lb0EPfS7_N6thrust23THRUST_200600_302600_NS10device_ptrIlEESB_jNS0_19identity_decomposerENS1_16block_id_wrapperIjLb1EEEEE10hipError_tT1_PNSt15iterator_traitsISG_E10value_typeET2_T3_PNSH_ISM_E10value_typeET4_T5_PSR_SS_PNS1_23onesweep_lookback_stateEbbT6_jjT7_P12ihipStream_tbENKUlT_T0_SG_SL_E_clIS7_S7_SB_PlEEDaSZ_S10_SG_SL_EUlSZ_E_NS1_11comp_targetILNS1_3genE3ELNS1_11target_archE908ELNS1_3gpuE7ELNS1_3repE0EEENS1_47radix_sort_onesweep_sort_config_static_selectorELNS0_4arch9wavefront6targetE1EEEvSG_.has_dyn_sized_stack, 0
	.set _ZN7rocprim17ROCPRIM_400000_NS6detail17trampoline_kernelINS0_14default_configENS1_35radix_sort_onesweep_config_selectorIflEEZZNS1_29radix_sort_onesweep_iterationIS3_Lb0EPfS7_N6thrust23THRUST_200600_302600_NS10device_ptrIlEESB_jNS0_19identity_decomposerENS1_16block_id_wrapperIjLb1EEEEE10hipError_tT1_PNSt15iterator_traitsISG_E10value_typeET2_T3_PNSH_ISM_E10value_typeET4_T5_PSR_SS_PNS1_23onesweep_lookback_stateEbbT6_jjT7_P12ihipStream_tbENKUlT_T0_SG_SL_E_clIS7_S7_SB_PlEEDaSZ_S10_SG_SL_EUlSZ_E_NS1_11comp_targetILNS1_3genE3ELNS1_11target_archE908ELNS1_3gpuE7ELNS1_3repE0EEENS1_47radix_sort_onesweep_sort_config_static_selectorELNS0_4arch9wavefront6targetE1EEEvSG_.has_recursion, 0
	.set _ZN7rocprim17ROCPRIM_400000_NS6detail17trampoline_kernelINS0_14default_configENS1_35radix_sort_onesweep_config_selectorIflEEZZNS1_29radix_sort_onesweep_iterationIS3_Lb0EPfS7_N6thrust23THRUST_200600_302600_NS10device_ptrIlEESB_jNS0_19identity_decomposerENS1_16block_id_wrapperIjLb1EEEEE10hipError_tT1_PNSt15iterator_traitsISG_E10value_typeET2_T3_PNSH_ISM_E10value_typeET4_T5_PSR_SS_PNS1_23onesweep_lookback_stateEbbT6_jjT7_P12ihipStream_tbENKUlT_T0_SG_SL_E_clIS7_S7_SB_PlEEDaSZ_S10_SG_SL_EUlSZ_E_NS1_11comp_targetILNS1_3genE3ELNS1_11target_archE908ELNS1_3gpuE7ELNS1_3repE0EEENS1_47radix_sort_onesweep_sort_config_static_selectorELNS0_4arch9wavefront6targetE1EEEvSG_.has_indirect_call, 0
	.section	.AMDGPU.csdata,"",@progbits
; Kernel info:
; codeLenInByte = 0
; TotalNumSgprs: 4
; NumVgprs: 0
; ScratchSize: 0
; MemoryBound: 0
; FloatMode: 240
; IeeeMode: 1
; LDSByteSize: 0 bytes/workgroup (compile time only)
; SGPRBlocks: 0
; VGPRBlocks: 0
; NumSGPRsForWavesPerEU: 4
; NumVGPRsForWavesPerEU: 1
; Occupancy: 10
; WaveLimiterHint : 0
; COMPUTE_PGM_RSRC2:SCRATCH_EN: 0
; COMPUTE_PGM_RSRC2:USER_SGPR: 6
; COMPUTE_PGM_RSRC2:TRAP_HANDLER: 0
; COMPUTE_PGM_RSRC2:TGID_X_EN: 1
; COMPUTE_PGM_RSRC2:TGID_Y_EN: 0
; COMPUTE_PGM_RSRC2:TGID_Z_EN: 0
; COMPUTE_PGM_RSRC2:TIDIG_COMP_CNT: 0
	.section	.text._ZN7rocprim17ROCPRIM_400000_NS6detail17trampoline_kernelINS0_14default_configENS1_35radix_sort_onesweep_config_selectorIflEEZZNS1_29radix_sort_onesweep_iterationIS3_Lb0EPfS7_N6thrust23THRUST_200600_302600_NS10device_ptrIlEESB_jNS0_19identity_decomposerENS1_16block_id_wrapperIjLb1EEEEE10hipError_tT1_PNSt15iterator_traitsISG_E10value_typeET2_T3_PNSH_ISM_E10value_typeET4_T5_PSR_SS_PNS1_23onesweep_lookback_stateEbbT6_jjT7_P12ihipStream_tbENKUlT_T0_SG_SL_E_clIS7_S7_SB_PlEEDaSZ_S10_SG_SL_EUlSZ_E_NS1_11comp_targetILNS1_3genE10ELNS1_11target_archE1201ELNS1_3gpuE5ELNS1_3repE0EEENS1_47radix_sort_onesweep_sort_config_static_selectorELNS0_4arch9wavefront6targetE1EEEvSG_,"axG",@progbits,_ZN7rocprim17ROCPRIM_400000_NS6detail17trampoline_kernelINS0_14default_configENS1_35radix_sort_onesweep_config_selectorIflEEZZNS1_29radix_sort_onesweep_iterationIS3_Lb0EPfS7_N6thrust23THRUST_200600_302600_NS10device_ptrIlEESB_jNS0_19identity_decomposerENS1_16block_id_wrapperIjLb1EEEEE10hipError_tT1_PNSt15iterator_traitsISG_E10value_typeET2_T3_PNSH_ISM_E10value_typeET4_T5_PSR_SS_PNS1_23onesweep_lookback_stateEbbT6_jjT7_P12ihipStream_tbENKUlT_T0_SG_SL_E_clIS7_S7_SB_PlEEDaSZ_S10_SG_SL_EUlSZ_E_NS1_11comp_targetILNS1_3genE10ELNS1_11target_archE1201ELNS1_3gpuE5ELNS1_3repE0EEENS1_47radix_sort_onesweep_sort_config_static_selectorELNS0_4arch9wavefront6targetE1EEEvSG_,comdat
	.protected	_ZN7rocprim17ROCPRIM_400000_NS6detail17trampoline_kernelINS0_14default_configENS1_35radix_sort_onesweep_config_selectorIflEEZZNS1_29radix_sort_onesweep_iterationIS3_Lb0EPfS7_N6thrust23THRUST_200600_302600_NS10device_ptrIlEESB_jNS0_19identity_decomposerENS1_16block_id_wrapperIjLb1EEEEE10hipError_tT1_PNSt15iterator_traitsISG_E10value_typeET2_T3_PNSH_ISM_E10value_typeET4_T5_PSR_SS_PNS1_23onesweep_lookback_stateEbbT6_jjT7_P12ihipStream_tbENKUlT_T0_SG_SL_E_clIS7_S7_SB_PlEEDaSZ_S10_SG_SL_EUlSZ_E_NS1_11comp_targetILNS1_3genE10ELNS1_11target_archE1201ELNS1_3gpuE5ELNS1_3repE0EEENS1_47radix_sort_onesweep_sort_config_static_selectorELNS0_4arch9wavefront6targetE1EEEvSG_ ; -- Begin function _ZN7rocprim17ROCPRIM_400000_NS6detail17trampoline_kernelINS0_14default_configENS1_35radix_sort_onesweep_config_selectorIflEEZZNS1_29radix_sort_onesweep_iterationIS3_Lb0EPfS7_N6thrust23THRUST_200600_302600_NS10device_ptrIlEESB_jNS0_19identity_decomposerENS1_16block_id_wrapperIjLb1EEEEE10hipError_tT1_PNSt15iterator_traitsISG_E10value_typeET2_T3_PNSH_ISM_E10value_typeET4_T5_PSR_SS_PNS1_23onesweep_lookback_stateEbbT6_jjT7_P12ihipStream_tbENKUlT_T0_SG_SL_E_clIS7_S7_SB_PlEEDaSZ_S10_SG_SL_EUlSZ_E_NS1_11comp_targetILNS1_3genE10ELNS1_11target_archE1201ELNS1_3gpuE5ELNS1_3repE0EEENS1_47radix_sort_onesweep_sort_config_static_selectorELNS0_4arch9wavefront6targetE1EEEvSG_
	.globl	_ZN7rocprim17ROCPRIM_400000_NS6detail17trampoline_kernelINS0_14default_configENS1_35radix_sort_onesweep_config_selectorIflEEZZNS1_29radix_sort_onesweep_iterationIS3_Lb0EPfS7_N6thrust23THRUST_200600_302600_NS10device_ptrIlEESB_jNS0_19identity_decomposerENS1_16block_id_wrapperIjLb1EEEEE10hipError_tT1_PNSt15iterator_traitsISG_E10value_typeET2_T3_PNSH_ISM_E10value_typeET4_T5_PSR_SS_PNS1_23onesweep_lookback_stateEbbT6_jjT7_P12ihipStream_tbENKUlT_T0_SG_SL_E_clIS7_S7_SB_PlEEDaSZ_S10_SG_SL_EUlSZ_E_NS1_11comp_targetILNS1_3genE10ELNS1_11target_archE1201ELNS1_3gpuE5ELNS1_3repE0EEENS1_47radix_sort_onesweep_sort_config_static_selectorELNS0_4arch9wavefront6targetE1EEEvSG_
	.p2align	8
	.type	_ZN7rocprim17ROCPRIM_400000_NS6detail17trampoline_kernelINS0_14default_configENS1_35radix_sort_onesweep_config_selectorIflEEZZNS1_29radix_sort_onesweep_iterationIS3_Lb0EPfS7_N6thrust23THRUST_200600_302600_NS10device_ptrIlEESB_jNS0_19identity_decomposerENS1_16block_id_wrapperIjLb1EEEEE10hipError_tT1_PNSt15iterator_traitsISG_E10value_typeET2_T3_PNSH_ISM_E10value_typeET4_T5_PSR_SS_PNS1_23onesweep_lookback_stateEbbT6_jjT7_P12ihipStream_tbENKUlT_T0_SG_SL_E_clIS7_S7_SB_PlEEDaSZ_S10_SG_SL_EUlSZ_E_NS1_11comp_targetILNS1_3genE10ELNS1_11target_archE1201ELNS1_3gpuE5ELNS1_3repE0EEENS1_47radix_sort_onesweep_sort_config_static_selectorELNS0_4arch9wavefront6targetE1EEEvSG_,@function
_ZN7rocprim17ROCPRIM_400000_NS6detail17trampoline_kernelINS0_14default_configENS1_35radix_sort_onesweep_config_selectorIflEEZZNS1_29radix_sort_onesweep_iterationIS3_Lb0EPfS7_N6thrust23THRUST_200600_302600_NS10device_ptrIlEESB_jNS0_19identity_decomposerENS1_16block_id_wrapperIjLb1EEEEE10hipError_tT1_PNSt15iterator_traitsISG_E10value_typeET2_T3_PNSH_ISM_E10value_typeET4_T5_PSR_SS_PNS1_23onesweep_lookback_stateEbbT6_jjT7_P12ihipStream_tbENKUlT_T0_SG_SL_E_clIS7_S7_SB_PlEEDaSZ_S10_SG_SL_EUlSZ_E_NS1_11comp_targetILNS1_3genE10ELNS1_11target_archE1201ELNS1_3gpuE5ELNS1_3repE0EEENS1_47radix_sort_onesweep_sort_config_static_selectorELNS0_4arch9wavefront6targetE1EEEvSG_: ; @_ZN7rocprim17ROCPRIM_400000_NS6detail17trampoline_kernelINS0_14default_configENS1_35radix_sort_onesweep_config_selectorIflEEZZNS1_29radix_sort_onesweep_iterationIS3_Lb0EPfS7_N6thrust23THRUST_200600_302600_NS10device_ptrIlEESB_jNS0_19identity_decomposerENS1_16block_id_wrapperIjLb1EEEEE10hipError_tT1_PNSt15iterator_traitsISG_E10value_typeET2_T3_PNSH_ISM_E10value_typeET4_T5_PSR_SS_PNS1_23onesweep_lookback_stateEbbT6_jjT7_P12ihipStream_tbENKUlT_T0_SG_SL_E_clIS7_S7_SB_PlEEDaSZ_S10_SG_SL_EUlSZ_E_NS1_11comp_targetILNS1_3genE10ELNS1_11target_archE1201ELNS1_3gpuE5ELNS1_3repE0EEENS1_47radix_sort_onesweep_sort_config_static_selectorELNS0_4arch9wavefront6targetE1EEEvSG_
; %bb.0:
	.section	.rodata,"a",@progbits
	.p2align	6, 0x0
	.amdhsa_kernel _ZN7rocprim17ROCPRIM_400000_NS6detail17trampoline_kernelINS0_14default_configENS1_35radix_sort_onesweep_config_selectorIflEEZZNS1_29radix_sort_onesweep_iterationIS3_Lb0EPfS7_N6thrust23THRUST_200600_302600_NS10device_ptrIlEESB_jNS0_19identity_decomposerENS1_16block_id_wrapperIjLb1EEEEE10hipError_tT1_PNSt15iterator_traitsISG_E10value_typeET2_T3_PNSH_ISM_E10value_typeET4_T5_PSR_SS_PNS1_23onesweep_lookback_stateEbbT6_jjT7_P12ihipStream_tbENKUlT_T0_SG_SL_E_clIS7_S7_SB_PlEEDaSZ_S10_SG_SL_EUlSZ_E_NS1_11comp_targetILNS1_3genE10ELNS1_11target_archE1201ELNS1_3gpuE5ELNS1_3repE0EEENS1_47radix_sort_onesweep_sort_config_static_selectorELNS0_4arch9wavefront6targetE1EEEvSG_
		.amdhsa_group_segment_fixed_size 0
		.amdhsa_private_segment_fixed_size 0
		.amdhsa_kernarg_size 88
		.amdhsa_user_sgpr_count 6
		.amdhsa_user_sgpr_private_segment_buffer 1
		.amdhsa_user_sgpr_dispatch_ptr 0
		.amdhsa_user_sgpr_queue_ptr 0
		.amdhsa_user_sgpr_kernarg_segment_ptr 1
		.amdhsa_user_sgpr_dispatch_id 0
		.amdhsa_user_sgpr_flat_scratch_init 0
		.amdhsa_user_sgpr_private_segment_size 0
		.amdhsa_uses_dynamic_stack 0
		.amdhsa_system_sgpr_private_segment_wavefront_offset 0
		.amdhsa_system_sgpr_workgroup_id_x 1
		.amdhsa_system_sgpr_workgroup_id_y 0
		.amdhsa_system_sgpr_workgroup_id_z 0
		.amdhsa_system_sgpr_workgroup_info 0
		.amdhsa_system_vgpr_workitem_id 0
		.amdhsa_next_free_vgpr 1
		.amdhsa_next_free_sgpr 0
		.amdhsa_reserve_vcc 0
		.amdhsa_reserve_flat_scratch 0
		.amdhsa_float_round_mode_32 0
		.amdhsa_float_round_mode_16_64 0
		.amdhsa_float_denorm_mode_32 3
		.amdhsa_float_denorm_mode_16_64 3
		.amdhsa_dx10_clamp 1
		.amdhsa_ieee_mode 1
		.amdhsa_fp16_overflow 0
		.amdhsa_exception_fp_ieee_invalid_op 0
		.amdhsa_exception_fp_denorm_src 0
		.amdhsa_exception_fp_ieee_div_zero 0
		.amdhsa_exception_fp_ieee_overflow 0
		.amdhsa_exception_fp_ieee_underflow 0
		.amdhsa_exception_fp_ieee_inexact 0
		.amdhsa_exception_int_div_zero 0
	.end_amdhsa_kernel
	.section	.text._ZN7rocprim17ROCPRIM_400000_NS6detail17trampoline_kernelINS0_14default_configENS1_35radix_sort_onesweep_config_selectorIflEEZZNS1_29radix_sort_onesweep_iterationIS3_Lb0EPfS7_N6thrust23THRUST_200600_302600_NS10device_ptrIlEESB_jNS0_19identity_decomposerENS1_16block_id_wrapperIjLb1EEEEE10hipError_tT1_PNSt15iterator_traitsISG_E10value_typeET2_T3_PNSH_ISM_E10value_typeET4_T5_PSR_SS_PNS1_23onesweep_lookback_stateEbbT6_jjT7_P12ihipStream_tbENKUlT_T0_SG_SL_E_clIS7_S7_SB_PlEEDaSZ_S10_SG_SL_EUlSZ_E_NS1_11comp_targetILNS1_3genE10ELNS1_11target_archE1201ELNS1_3gpuE5ELNS1_3repE0EEENS1_47radix_sort_onesweep_sort_config_static_selectorELNS0_4arch9wavefront6targetE1EEEvSG_,"axG",@progbits,_ZN7rocprim17ROCPRIM_400000_NS6detail17trampoline_kernelINS0_14default_configENS1_35radix_sort_onesweep_config_selectorIflEEZZNS1_29radix_sort_onesweep_iterationIS3_Lb0EPfS7_N6thrust23THRUST_200600_302600_NS10device_ptrIlEESB_jNS0_19identity_decomposerENS1_16block_id_wrapperIjLb1EEEEE10hipError_tT1_PNSt15iterator_traitsISG_E10value_typeET2_T3_PNSH_ISM_E10value_typeET4_T5_PSR_SS_PNS1_23onesweep_lookback_stateEbbT6_jjT7_P12ihipStream_tbENKUlT_T0_SG_SL_E_clIS7_S7_SB_PlEEDaSZ_S10_SG_SL_EUlSZ_E_NS1_11comp_targetILNS1_3genE10ELNS1_11target_archE1201ELNS1_3gpuE5ELNS1_3repE0EEENS1_47radix_sort_onesweep_sort_config_static_selectorELNS0_4arch9wavefront6targetE1EEEvSG_,comdat
.Lfunc_end1849:
	.size	_ZN7rocprim17ROCPRIM_400000_NS6detail17trampoline_kernelINS0_14default_configENS1_35radix_sort_onesweep_config_selectorIflEEZZNS1_29radix_sort_onesweep_iterationIS3_Lb0EPfS7_N6thrust23THRUST_200600_302600_NS10device_ptrIlEESB_jNS0_19identity_decomposerENS1_16block_id_wrapperIjLb1EEEEE10hipError_tT1_PNSt15iterator_traitsISG_E10value_typeET2_T3_PNSH_ISM_E10value_typeET4_T5_PSR_SS_PNS1_23onesweep_lookback_stateEbbT6_jjT7_P12ihipStream_tbENKUlT_T0_SG_SL_E_clIS7_S7_SB_PlEEDaSZ_S10_SG_SL_EUlSZ_E_NS1_11comp_targetILNS1_3genE10ELNS1_11target_archE1201ELNS1_3gpuE5ELNS1_3repE0EEENS1_47radix_sort_onesweep_sort_config_static_selectorELNS0_4arch9wavefront6targetE1EEEvSG_, .Lfunc_end1849-_ZN7rocprim17ROCPRIM_400000_NS6detail17trampoline_kernelINS0_14default_configENS1_35radix_sort_onesweep_config_selectorIflEEZZNS1_29radix_sort_onesweep_iterationIS3_Lb0EPfS7_N6thrust23THRUST_200600_302600_NS10device_ptrIlEESB_jNS0_19identity_decomposerENS1_16block_id_wrapperIjLb1EEEEE10hipError_tT1_PNSt15iterator_traitsISG_E10value_typeET2_T3_PNSH_ISM_E10value_typeET4_T5_PSR_SS_PNS1_23onesweep_lookback_stateEbbT6_jjT7_P12ihipStream_tbENKUlT_T0_SG_SL_E_clIS7_S7_SB_PlEEDaSZ_S10_SG_SL_EUlSZ_E_NS1_11comp_targetILNS1_3genE10ELNS1_11target_archE1201ELNS1_3gpuE5ELNS1_3repE0EEENS1_47radix_sort_onesweep_sort_config_static_selectorELNS0_4arch9wavefront6targetE1EEEvSG_
                                        ; -- End function
	.set _ZN7rocprim17ROCPRIM_400000_NS6detail17trampoline_kernelINS0_14default_configENS1_35radix_sort_onesweep_config_selectorIflEEZZNS1_29radix_sort_onesweep_iterationIS3_Lb0EPfS7_N6thrust23THRUST_200600_302600_NS10device_ptrIlEESB_jNS0_19identity_decomposerENS1_16block_id_wrapperIjLb1EEEEE10hipError_tT1_PNSt15iterator_traitsISG_E10value_typeET2_T3_PNSH_ISM_E10value_typeET4_T5_PSR_SS_PNS1_23onesweep_lookback_stateEbbT6_jjT7_P12ihipStream_tbENKUlT_T0_SG_SL_E_clIS7_S7_SB_PlEEDaSZ_S10_SG_SL_EUlSZ_E_NS1_11comp_targetILNS1_3genE10ELNS1_11target_archE1201ELNS1_3gpuE5ELNS1_3repE0EEENS1_47radix_sort_onesweep_sort_config_static_selectorELNS0_4arch9wavefront6targetE1EEEvSG_.num_vgpr, 0
	.set _ZN7rocprim17ROCPRIM_400000_NS6detail17trampoline_kernelINS0_14default_configENS1_35radix_sort_onesweep_config_selectorIflEEZZNS1_29radix_sort_onesweep_iterationIS3_Lb0EPfS7_N6thrust23THRUST_200600_302600_NS10device_ptrIlEESB_jNS0_19identity_decomposerENS1_16block_id_wrapperIjLb1EEEEE10hipError_tT1_PNSt15iterator_traitsISG_E10value_typeET2_T3_PNSH_ISM_E10value_typeET4_T5_PSR_SS_PNS1_23onesweep_lookback_stateEbbT6_jjT7_P12ihipStream_tbENKUlT_T0_SG_SL_E_clIS7_S7_SB_PlEEDaSZ_S10_SG_SL_EUlSZ_E_NS1_11comp_targetILNS1_3genE10ELNS1_11target_archE1201ELNS1_3gpuE5ELNS1_3repE0EEENS1_47radix_sort_onesweep_sort_config_static_selectorELNS0_4arch9wavefront6targetE1EEEvSG_.num_agpr, 0
	.set _ZN7rocprim17ROCPRIM_400000_NS6detail17trampoline_kernelINS0_14default_configENS1_35radix_sort_onesweep_config_selectorIflEEZZNS1_29radix_sort_onesweep_iterationIS3_Lb0EPfS7_N6thrust23THRUST_200600_302600_NS10device_ptrIlEESB_jNS0_19identity_decomposerENS1_16block_id_wrapperIjLb1EEEEE10hipError_tT1_PNSt15iterator_traitsISG_E10value_typeET2_T3_PNSH_ISM_E10value_typeET4_T5_PSR_SS_PNS1_23onesweep_lookback_stateEbbT6_jjT7_P12ihipStream_tbENKUlT_T0_SG_SL_E_clIS7_S7_SB_PlEEDaSZ_S10_SG_SL_EUlSZ_E_NS1_11comp_targetILNS1_3genE10ELNS1_11target_archE1201ELNS1_3gpuE5ELNS1_3repE0EEENS1_47radix_sort_onesweep_sort_config_static_selectorELNS0_4arch9wavefront6targetE1EEEvSG_.numbered_sgpr, 0
	.set _ZN7rocprim17ROCPRIM_400000_NS6detail17trampoline_kernelINS0_14default_configENS1_35radix_sort_onesweep_config_selectorIflEEZZNS1_29radix_sort_onesweep_iterationIS3_Lb0EPfS7_N6thrust23THRUST_200600_302600_NS10device_ptrIlEESB_jNS0_19identity_decomposerENS1_16block_id_wrapperIjLb1EEEEE10hipError_tT1_PNSt15iterator_traitsISG_E10value_typeET2_T3_PNSH_ISM_E10value_typeET4_T5_PSR_SS_PNS1_23onesweep_lookback_stateEbbT6_jjT7_P12ihipStream_tbENKUlT_T0_SG_SL_E_clIS7_S7_SB_PlEEDaSZ_S10_SG_SL_EUlSZ_E_NS1_11comp_targetILNS1_3genE10ELNS1_11target_archE1201ELNS1_3gpuE5ELNS1_3repE0EEENS1_47radix_sort_onesweep_sort_config_static_selectorELNS0_4arch9wavefront6targetE1EEEvSG_.num_named_barrier, 0
	.set _ZN7rocprim17ROCPRIM_400000_NS6detail17trampoline_kernelINS0_14default_configENS1_35radix_sort_onesweep_config_selectorIflEEZZNS1_29radix_sort_onesweep_iterationIS3_Lb0EPfS7_N6thrust23THRUST_200600_302600_NS10device_ptrIlEESB_jNS0_19identity_decomposerENS1_16block_id_wrapperIjLb1EEEEE10hipError_tT1_PNSt15iterator_traitsISG_E10value_typeET2_T3_PNSH_ISM_E10value_typeET4_T5_PSR_SS_PNS1_23onesweep_lookback_stateEbbT6_jjT7_P12ihipStream_tbENKUlT_T0_SG_SL_E_clIS7_S7_SB_PlEEDaSZ_S10_SG_SL_EUlSZ_E_NS1_11comp_targetILNS1_3genE10ELNS1_11target_archE1201ELNS1_3gpuE5ELNS1_3repE0EEENS1_47radix_sort_onesweep_sort_config_static_selectorELNS0_4arch9wavefront6targetE1EEEvSG_.private_seg_size, 0
	.set _ZN7rocprim17ROCPRIM_400000_NS6detail17trampoline_kernelINS0_14default_configENS1_35radix_sort_onesweep_config_selectorIflEEZZNS1_29radix_sort_onesweep_iterationIS3_Lb0EPfS7_N6thrust23THRUST_200600_302600_NS10device_ptrIlEESB_jNS0_19identity_decomposerENS1_16block_id_wrapperIjLb1EEEEE10hipError_tT1_PNSt15iterator_traitsISG_E10value_typeET2_T3_PNSH_ISM_E10value_typeET4_T5_PSR_SS_PNS1_23onesweep_lookback_stateEbbT6_jjT7_P12ihipStream_tbENKUlT_T0_SG_SL_E_clIS7_S7_SB_PlEEDaSZ_S10_SG_SL_EUlSZ_E_NS1_11comp_targetILNS1_3genE10ELNS1_11target_archE1201ELNS1_3gpuE5ELNS1_3repE0EEENS1_47radix_sort_onesweep_sort_config_static_selectorELNS0_4arch9wavefront6targetE1EEEvSG_.uses_vcc, 0
	.set _ZN7rocprim17ROCPRIM_400000_NS6detail17trampoline_kernelINS0_14default_configENS1_35radix_sort_onesweep_config_selectorIflEEZZNS1_29radix_sort_onesweep_iterationIS3_Lb0EPfS7_N6thrust23THRUST_200600_302600_NS10device_ptrIlEESB_jNS0_19identity_decomposerENS1_16block_id_wrapperIjLb1EEEEE10hipError_tT1_PNSt15iterator_traitsISG_E10value_typeET2_T3_PNSH_ISM_E10value_typeET4_T5_PSR_SS_PNS1_23onesweep_lookback_stateEbbT6_jjT7_P12ihipStream_tbENKUlT_T0_SG_SL_E_clIS7_S7_SB_PlEEDaSZ_S10_SG_SL_EUlSZ_E_NS1_11comp_targetILNS1_3genE10ELNS1_11target_archE1201ELNS1_3gpuE5ELNS1_3repE0EEENS1_47radix_sort_onesweep_sort_config_static_selectorELNS0_4arch9wavefront6targetE1EEEvSG_.uses_flat_scratch, 0
	.set _ZN7rocprim17ROCPRIM_400000_NS6detail17trampoline_kernelINS0_14default_configENS1_35radix_sort_onesweep_config_selectorIflEEZZNS1_29radix_sort_onesweep_iterationIS3_Lb0EPfS7_N6thrust23THRUST_200600_302600_NS10device_ptrIlEESB_jNS0_19identity_decomposerENS1_16block_id_wrapperIjLb1EEEEE10hipError_tT1_PNSt15iterator_traitsISG_E10value_typeET2_T3_PNSH_ISM_E10value_typeET4_T5_PSR_SS_PNS1_23onesweep_lookback_stateEbbT6_jjT7_P12ihipStream_tbENKUlT_T0_SG_SL_E_clIS7_S7_SB_PlEEDaSZ_S10_SG_SL_EUlSZ_E_NS1_11comp_targetILNS1_3genE10ELNS1_11target_archE1201ELNS1_3gpuE5ELNS1_3repE0EEENS1_47radix_sort_onesweep_sort_config_static_selectorELNS0_4arch9wavefront6targetE1EEEvSG_.has_dyn_sized_stack, 0
	.set _ZN7rocprim17ROCPRIM_400000_NS6detail17trampoline_kernelINS0_14default_configENS1_35radix_sort_onesweep_config_selectorIflEEZZNS1_29radix_sort_onesweep_iterationIS3_Lb0EPfS7_N6thrust23THRUST_200600_302600_NS10device_ptrIlEESB_jNS0_19identity_decomposerENS1_16block_id_wrapperIjLb1EEEEE10hipError_tT1_PNSt15iterator_traitsISG_E10value_typeET2_T3_PNSH_ISM_E10value_typeET4_T5_PSR_SS_PNS1_23onesweep_lookback_stateEbbT6_jjT7_P12ihipStream_tbENKUlT_T0_SG_SL_E_clIS7_S7_SB_PlEEDaSZ_S10_SG_SL_EUlSZ_E_NS1_11comp_targetILNS1_3genE10ELNS1_11target_archE1201ELNS1_3gpuE5ELNS1_3repE0EEENS1_47radix_sort_onesweep_sort_config_static_selectorELNS0_4arch9wavefront6targetE1EEEvSG_.has_recursion, 0
	.set _ZN7rocprim17ROCPRIM_400000_NS6detail17trampoline_kernelINS0_14default_configENS1_35radix_sort_onesweep_config_selectorIflEEZZNS1_29radix_sort_onesweep_iterationIS3_Lb0EPfS7_N6thrust23THRUST_200600_302600_NS10device_ptrIlEESB_jNS0_19identity_decomposerENS1_16block_id_wrapperIjLb1EEEEE10hipError_tT1_PNSt15iterator_traitsISG_E10value_typeET2_T3_PNSH_ISM_E10value_typeET4_T5_PSR_SS_PNS1_23onesweep_lookback_stateEbbT6_jjT7_P12ihipStream_tbENKUlT_T0_SG_SL_E_clIS7_S7_SB_PlEEDaSZ_S10_SG_SL_EUlSZ_E_NS1_11comp_targetILNS1_3genE10ELNS1_11target_archE1201ELNS1_3gpuE5ELNS1_3repE0EEENS1_47radix_sort_onesweep_sort_config_static_selectorELNS0_4arch9wavefront6targetE1EEEvSG_.has_indirect_call, 0
	.section	.AMDGPU.csdata,"",@progbits
; Kernel info:
; codeLenInByte = 0
; TotalNumSgprs: 4
; NumVgprs: 0
; ScratchSize: 0
; MemoryBound: 0
; FloatMode: 240
; IeeeMode: 1
; LDSByteSize: 0 bytes/workgroup (compile time only)
; SGPRBlocks: 0
; VGPRBlocks: 0
; NumSGPRsForWavesPerEU: 4
; NumVGPRsForWavesPerEU: 1
; Occupancy: 10
; WaveLimiterHint : 0
; COMPUTE_PGM_RSRC2:SCRATCH_EN: 0
; COMPUTE_PGM_RSRC2:USER_SGPR: 6
; COMPUTE_PGM_RSRC2:TRAP_HANDLER: 0
; COMPUTE_PGM_RSRC2:TGID_X_EN: 1
; COMPUTE_PGM_RSRC2:TGID_Y_EN: 0
; COMPUTE_PGM_RSRC2:TGID_Z_EN: 0
; COMPUTE_PGM_RSRC2:TIDIG_COMP_CNT: 0
	.section	.text._ZN7rocprim17ROCPRIM_400000_NS6detail17trampoline_kernelINS0_14default_configENS1_35radix_sort_onesweep_config_selectorIflEEZZNS1_29radix_sort_onesweep_iterationIS3_Lb0EPfS7_N6thrust23THRUST_200600_302600_NS10device_ptrIlEESB_jNS0_19identity_decomposerENS1_16block_id_wrapperIjLb1EEEEE10hipError_tT1_PNSt15iterator_traitsISG_E10value_typeET2_T3_PNSH_ISM_E10value_typeET4_T5_PSR_SS_PNS1_23onesweep_lookback_stateEbbT6_jjT7_P12ihipStream_tbENKUlT_T0_SG_SL_E_clIS7_S7_SB_PlEEDaSZ_S10_SG_SL_EUlSZ_E_NS1_11comp_targetILNS1_3genE9ELNS1_11target_archE1100ELNS1_3gpuE3ELNS1_3repE0EEENS1_47radix_sort_onesweep_sort_config_static_selectorELNS0_4arch9wavefront6targetE1EEEvSG_,"axG",@progbits,_ZN7rocprim17ROCPRIM_400000_NS6detail17trampoline_kernelINS0_14default_configENS1_35radix_sort_onesweep_config_selectorIflEEZZNS1_29radix_sort_onesweep_iterationIS3_Lb0EPfS7_N6thrust23THRUST_200600_302600_NS10device_ptrIlEESB_jNS0_19identity_decomposerENS1_16block_id_wrapperIjLb1EEEEE10hipError_tT1_PNSt15iterator_traitsISG_E10value_typeET2_T3_PNSH_ISM_E10value_typeET4_T5_PSR_SS_PNS1_23onesweep_lookback_stateEbbT6_jjT7_P12ihipStream_tbENKUlT_T0_SG_SL_E_clIS7_S7_SB_PlEEDaSZ_S10_SG_SL_EUlSZ_E_NS1_11comp_targetILNS1_3genE9ELNS1_11target_archE1100ELNS1_3gpuE3ELNS1_3repE0EEENS1_47radix_sort_onesweep_sort_config_static_selectorELNS0_4arch9wavefront6targetE1EEEvSG_,comdat
	.protected	_ZN7rocprim17ROCPRIM_400000_NS6detail17trampoline_kernelINS0_14default_configENS1_35radix_sort_onesweep_config_selectorIflEEZZNS1_29radix_sort_onesweep_iterationIS3_Lb0EPfS7_N6thrust23THRUST_200600_302600_NS10device_ptrIlEESB_jNS0_19identity_decomposerENS1_16block_id_wrapperIjLb1EEEEE10hipError_tT1_PNSt15iterator_traitsISG_E10value_typeET2_T3_PNSH_ISM_E10value_typeET4_T5_PSR_SS_PNS1_23onesweep_lookback_stateEbbT6_jjT7_P12ihipStream_tbENKUlT_T0_SG_SL_E_clIS7_S7_SB_PlEEDaSZ_S10_SG_SL_EUlSZ_E_NS1_11comp_targetILNS1_3genE9ELNS1_11target_archE1100ELNS1_3gpuE3ELNS1_3repE0EEENS1_47radix_sort_onesweep_sort_config_static_selectorELNS0_4arch9wavefront6targetE1EEEvSG_ ; -- Begin function _ZN7rocprim17ROCPRIM_400000_NS6detail17trampoline_kernelINS0_14default_configENS1_35radix_sort_onesweep_config_selectorIflEEZZNS1_29radix_sort_onesweep_iterationIS3_Lb0EPfS7_N6thrust23THRUST_200600_302600_NS10device_ptrIlEESB_jNS0_19identity_decomposerENS1_16block_id_wrapperIjLb1EEEEE10hipError_tT1_PNSt15iterator_traitsISG_E10value_typeET2_T3_PNSH_ISM_E10value_typeET4_T5_PSR_SS_PNS1_23onesweep_lookback_stateEbbT6_jjT7_P12ihipStream_tbENKUlT_T0_SG_SL_E_clIS7_S7_SB_PlEEDaSZ_S10_SG_SL_EUlSZ_E_NS1_11comp_targetILNS1_3genE9ELNS1_11target_archE1100ELNS1_3gpuE3ELNS1_3repE0EEENS1_47radix_sort_onesweep_sort_config_static_selectorELNS0_4arch9wavefront6targetE1EEEvSG_
	.globl	_ZN7rocprim17ROCPRIM_400000_NS6detail17trampoline_kernelINS0_14default_configENS1_35radix_sort_onesweep_config_selectorIflEEZZNS1_29radix_sort_onesweep_iterationIS3_Lb0EPfS7_N6thrust23THRUST_200600_302600_NS10device_ptrIlEESB_jNS0_19identity_decomposerENS1_16block_id_wrapperIjLb1EEEEE10hipError_tT1_PNSt15iterator_traitsISG_E10value_typeET2_T3_PNSH_ISM_E10value_typeET4_T5_PSR_SS_PNS1_23onesweep_lookback_stateEbbT6_jjT7_P12ihipStream_tbENKUlT_T0_SG_SL_E_clIS7_S7_SB_PlEEDaSZ_S10_SG_SL_EUlSZ_E_NS1_11comp_targetILNS1_3genE9ELNS1_11target_archE1100ELNS1_3gpuE3ELNS1_3repE0EEENS1_47radix_sort_onesweep_sort_config_static_selectorELNS0_4arch9wavefront6targetE1EEEvSG_
	.p2align	8
	.type	_ZN7rocprim17ROCPRIM_400000_NS6detail17trampoline_kernelINS0_14default_configENS1_35radix_sort_onesweep_config_selectorIflEEZZNS1_29radix_sort_onesweep_iterationIS3_Lb0EPfS7_N6thrust23THRUST_200600_302600_NS10device_ptrIlEESB_jNS0_19identity_decomposerENS1_16block_id_wrapperIjLb1EEEEE10hipError_tT1_PNSt15iterator_traitsISG_E10value_typeET2_T3_PNSH_ISM_E10value_typeET4_T5_PSR_SS_PNS1_23onesweep_lookback_stateEbbT6_jjT7_P12ihipStream_tbENKUlT_T0_SG_SL_E_clIS7_S7_SB_PlEEDaSZ_S10_SG_SL_EUlSZ_E_NS1_11comp_targetILNS1_3genE9ELNS1_11target_archE1100ELNS1_3gpuE3ELNS1_3repE0EEENS1_47radix_sort_onesweep_sort_config_static_selectorELNS0_4arch9wavefront6targetE1EEEvSG_,@function
_ZN7rocprim17ROCPRIM_400000_NS6detail17trampoline_kernelINS0_14default_configENS1_35radix_sort_onesweep_config_selectorIflEEZZNS1_29radix_sort_onesweep_iterationIS3_Lb0EPfS7_N6thrust23THRUST_200600_302600_NS10device_ptrIlEESB_jNS0_19identity_decomposerENS1_16block_id_wrapperIjLb1EEEEE10hipError_tT1_PNSt15iterator_traitsISG_E10value_typeET2_T3_PNSH_ISM_E10value_typeET4_T5_PSR_SS_PNS1_23onesweep_lookback_stateEbbT6_jjT7_P12ihipStream_tbENKUlT_T0_SG_SL_E_clIS7_S7_SB_PlEEDaSZ_S10_SG_SL_EUlSZ_E_NS1_11comp_targetILNS1_3genE9ELNS1_11target_archE1100ELNS1_3gpuE3ELNS1_3repE0EEENS1_47radix_sort_onesweep_sort_config_static_selectorELNS0_4arch9wavefront6targetE1EEEvSG_: ; @_ZN7rocprim17ROCPRIM_400000_NS6detail17trampoline_kernelINS0_14default_configENS1_35radix_sort_onesweep_config_selectorIflEEZZNS1_29radix_sort_onesweep_iterationIS3_Lb0EPfS7_N6thrust23THRUST_200600_302600_NS10device_ptrIlEESB_jNS0_19identity_decomposerENS1_16block_id_wrapperIjLb1EEEEE10hipError_tT1_PNSt15iterator_traitsISG_E10value_typeET2_T3_PNSH_ISM_E10value_typeET4_T5_PSR_SS_PNS1_23onesweep_lookback_stateEbbT6_jjT7_P12ihipStream_tbENKUlT_T0_SG_SL_E_clIS7_S7_SB_PlEEDaSZ_S10_SG_SL_EUlSZ_E_NS1_11comp_targetILNS1_3genE9ELNS1_11target_archE1100ELNS1_3gpuE3ELNS1_3repE0EEENS1_47radix_sort_onesweep_sort_config_static_selectorELNS0_4arch9wavefront6targetE1EEEvSG_
; %bb.0:
	.section	.rodata,"a",@progbits
	.p2align	6, 0x0
	.amdhsa_kernel _ZN7rocprim17ROCPRIM_400000_NS6detail17trampoline_kernelINS0_14default_configENS1_35radix_sort_onesweep_config_selectorIflEEZZNS1_29radix_sort_onesweep_iterationIS3_Lb0EPfS7_N6thrust23THRUST_200600_302600_NS10device_ptrIlEESB_jNS0_19identity_decomposerENS1_16block_id_wrapperIjLb1EEEEE10hipError_tT1_PNSt15iterator_traitsISG_E10value_typeET2_T3_PNSH_ISM_E10value_typeET4_T5_PSR_SS_PNS1_23onesweep_lookback_stateEbbT6_jjT7_P12ihipStream_tbENKUlT_T0_SG_SL_E_clIS7_S7_SB_PlEEDaSZ_S10_SG_SL_EUlSZ_E_NS1_11comp_targetILNS1_3genE9ELNS1_11target_archE1100ELNS1_3gpuE3ELNS1_3repE0EEENS1_47radix_sort_onesweep_sort_config_static_selectorELNS0_4arch9wavefront6targetE1EEEvSG_
		.amdhsa_group_segment_fixed_size 0
		.amdhsa_private_segment_fixed_size 0
		.amdhsa_kernarg_size 88
		.amdhsa_user_sgpr_count 6
		.amdhsa_user_sgpr_private_segment_buffer 1
		.amdhsa_user_sgpr_dispatch_ptr 0
		.amdhsa_user_sgpr_queue_ptr 0
		.amdhsa_user_sgpr_kernarg_segment_ptr 1
		.amdhsa_user_sgpr_dispatch_id 0
		.amdhsa_user_sgpr_flat_scratch_init 0
		.amdhsa_user_sgpr_private_segment_size 0
		.amdhsa_uses_dynamic_stack 0
		.amdhsa_system_sgpr_private_segment_wavefront_offset 0
		.amdhsa_system_sgpr_workgroup_id_x 1
		.amdhsa_system_sgpr_workgroup_id_y 0
		.amdhsa_system_sgpr_workgroup_id_z 0
		.amdhsa_system_sgpr_workgroup_info 0
		.amdhsa_system_vgpr_workitem_id 0
		.amdhsa_next_free_vgpr 1
		.amdhsa_next_free_sgpr 0
		.amdhsa_reserve_vcc 0
		.amdhsa_reserve_flat_scratch 0
		.amdhsa_float_round_mode_32 0
		.amdhsa_float_round_mode_16_64 0
		.amdhsa_float_denorm_mode_32 3
		.amdhsa_float_denorm_mode_16_64 3
		.amdhsa_dx10_clamp 1
		.amdhsa_ieee_mode 1
		.amdhsa_fp16_overflow 0
		.amdhsa_exception_fp_ieee_invalid_op 0
		.amdhsa_exception_fp_denorm_src 0
		.amdhsa_exception_fp_ieee_div_zero 0
		.amdhsa_exception_fp_ieee_overflow 0
		.amdhsa_exception_fp_ieee_underflow 0
		.amdhsa_exception_fp_ieee_inexact 0
		.amdhsa_exception_int_div_zero 0
	.end_amdhsa_kernel
	.section	.text._ZN7rocprim17ROCPRIM_400000_NS6detail17trampoline_kernelINS0_14default_configENS1_35radix_sort_onesweep_config_selectorIflEEZZNS1_29radix_sort_onesweep_iterationIS3_Lb0EPfS7_N6thrust23THRUST_200600_302600_NS10device_ptrIlEESB_jNS0_19identity_decomposerENS1_16block_id_wrapperIjLb1EEEEE10hipError_tT1_PNSt15iterator_traitsISG_E10value_typeET2_T3_PNSH_ISM_E10value_typeET4_T5_PSR_SS_PNS1_23onesweep_lookback_stateEbbT6_jjT7_P12ihipStream_tbENKUlT_T0_SG_SL_E_clIS7_S7_SB_PlEEDaSZ_S10_SG_SL_EUlSZ_E_NS1_11comp_targetILNS1_3genE9ELNS1_11target_archE1100ELNS1_3gpuE3ELNS1_3repE0EEENS1_47radix_sort_onesweep_sort_config_static_selectorELNS0_4arch9wavefront6targetE1EEEvSG_,"axG",@progbits,_ZN7rocprim17ROCPRIM_400000_NS6detail17trampoline_kernelINS0_14default_configENS1_35radix_sort_onesweep_config_selectorIflEEZZNS1_29radix_sort_onesweep_iterationIS3_Lb0EPfS7_N6thrust23THRUST_200600_302600_NS10device_ptrIlEESB_jNS0_19identity_decomposerENS1_16block_id_wrapperIjLb1EEEEE10hipError_tT1_PNSt15iterator_traitsISG_E10value_typeET2_T3_PNSH_ISM_E10value_typeET4_T5_PSR_SS_PNS1_23onesweep_lookback_stateEbbT6_jjT7_P12ihipStream_tbENKUlT_T0_SG_SL_E_clIS7_S7_SB_PlEEDaSZ_S10_SG_SL_EUlSZ_E_NS1_11comp_targetILNS1_3genE9ELNS1_11target_archE1100ELNS1_3gpuE3ELNS1_3repE0EEENS1_47radix_sort_onesweep_sort_config_static_selectorELNS0_4arch9wavefront6targetE1EEEvSG_,comdat
.Lfunc_end1850:
	.size	_ZN7rocprim17ROCPRIM_400000_NS6detail17trampoline_kernelINS0_14default_configENS1_35radix_sort_onesweep_config_selectorIflEEZZNS1_29radix_sort_onesweep_iterationIS3_Lb0EPfS7_N6thrust23THRUST_200600_302600_NS10device_ptrIlEESB_jNS0_19identity_decomposerENS1_16block_id_wrapperIjLb1EEEEE10hipError_tT1_PNSt15iterator_traitsISG_E10value_typeET2_T3_PNSH_ISM_E10value_typeET4_T5_PSR_SS_PNS1_23onesweep_lookback_stateEbbT6_jjT7_P12ihipStream_tbENKUlT_T0_SG_SL_E_clIS7_S7_SB_PlEEDaSZ_S10_SG_SL_EUlSZ_E_NS1_11comp_targetILNS1_3genE9ELNS1_11target_archE1100ELNS1_3gpuE3ELNS1_3repE0EEENS1_47radix_sort_onesweep_sort_config_static_selectorELNS0_4arch9wavefront6targetE1EEEvSG_, .Lfunc_end1850-_ZN7rocprim17ROCPRIM_400000_NS6detail17trampoline_kernelINS0_14default_configENS1_35radix_sort_onesweep_config_selectorIflEEZZNS1_29radix_sort_onesweep_iterationIS3_Lb0EPfS7_N6thrust23THRUST_200600_302600_NS10device_ptrIlEESB_jNS0_19identity_decomposerENS1_16block_id_wrapperIjLb1EEEEE10hipError_tT1_PNSt15iterator_traitsISG_E10value_typeET2_T3_PNSH_ISM_E10value_typeET4_T5_PSR_SS_PNS1_23onesweep_lookback_stateEbbT6_jjT7_P12ihipStream_tbENKUlT_T0_SG_SL_E_clIS7_S7_SB_PlEEDaSZ_S10_SG_SL_EUlSZ_E_NS1_11comp_targetILNS1_3genE9ELNS1_11target_archE1100ELNS1_3gpuE3ELNS1_3repE0EEENS1_47radix_sort_onesweep_sort_config_static_selectorELNS0_4arch9wavefront6targetE1EEEvSG_
                                        ; -- End function
	.set _ZN7rocprim17ROCPRIM_400000_NS6detail17trampoline_kernelINS0_14default_configENS1_35radix_sort_onesweep_config_selectorIflEEZZNS1_29radix_sort_onesweep_iterationIS3_Lb0EPfS7_N6thrust23THRUST_200600_302600_NS10device_ptrIlEESB_jNS0_19identity_decomposerENS1_16block_id_wrapperIjLb1EEEEE10hipError_tT1_PNSt15iterator_traitsISG_E10value_typeET2_T3_PNSH_ISM_E10value_typeET4_T5_PSR_SS_PNS1_23onesweep_lookback_stateEbbT6_jjT7_P12ihipStream_tbENKUlT_T0_SG_SL_E_clIS7_S7_SB_PlEEDaSZ_S10_SG_SL_EUlSZ_E_NS1_11comp_targetILNS1_3genE9ELNS1_11target_archE1100ELNS1_3gpuE3ELNS1_3repE0EEENS1_47radix_sort_onesweep_sort_config_static_selectorELNS0_4arch9wavefront6targetE1EEEvSG_.num_vgpr, 0
	.set _ZN7rocprim17ROCPRIM_400000_NS6detail17trampoline_kernelINS0_14default_configENS1_35radix_sort_onesweep_config_selectorIflEEZZNS1_29radix_sort_onesweep_iterationIS3_Lb0EPfS7_N6thrust23THRUST_200600_302600_NS10device_ptrIlEESB_jNS0_19identity_decomposerENS1_16block_id_wrapperIjLb1EEEEE10hipError_tT1_PNSt15iterator_traitsISG_E10value_typeET2_T3_PNSH_ISM_E10value_typeET4_T5_PSR_SS_PNS1_23onesweep_lookback_stateEbbT6_jjT7_P12ihipStream_tbENKUlT_T0_SG_SL_E_clIS7_S7_SB_PlEEDaSZ_S10_SG_SL_EUlSZ_E_NS1_11comp_targetILNS1_3genE9ELNS1_11target_archE1100ELNS1_3gpuE3ELNS1_3repE0EEENS1_47radix_sort_onesweep_sort_config_static_selectorELNS0_4arch9wavefront6targetE1EEEvSG_.num_agpr, 0
	.set _ZN7rocprim17ROCPRIM_400000_NS6detail17trampoline_kernelINS0_14default_configENS1_35radix_sort_onesweep_config_selectorIflEEZZNS1_29radix_sort_onesweep_iterationIS3_Lb0EPfS7_N6thrust23THRUST_200600_302600_NS10device_ptrIlEESB_jNS0_19identity_decomposerENS1_16block_id_wrapperIjLb1EEEEE10hipError_tT1_PNSt15iterator_traitsISG_E10value_typeET2_T3_PNSH_ISM_E10value_typeET4_T5_PSR_SS_PNS1_23onesweep_lookback_stateEbbT6_jjT7_P12ihipStream_tbENKUlT_T0_SG_SL_E_clIS7_S7_SB_PlEEDaSZ_S10_SG_SL_EUlSZ_E_NS1_11comp_targetILNS1_3genE9ELNS1_11target_archE1100ELNS1_3gpuE3ELNS1_3repE0EEENS1_47radix_sort_onesweep_sort_config_static_selectorELNS0_4arch9wavefront6targetE1EEEvSG_.numbered_sgpr, 0
	.set _ZN7rocprim17ROCPRIM_400000_NS6detail17trampoline_kernelINS0_14default_configENS1_35radix_sort_onesweep_config_selectorIflEEZZNS1_29radix_sort_onesweep_iterationIS3_Lb0EPfS7_N6thrust23THRUST_200600_302600_NS10device_ptrIlEESB_jNS0_19identity_decomposerENS1_16block_id_wrapperIjLb1EEEEE10hipError_tT1_PNSt15iterator_traitsISG_E10value_typeET2_T3_PNSH_ISM_E10value_typeET4_T5_PSR_SS_PNS1_23onesweep_lookback_stateEbbT6_jjT7_P12ihipStream_tbENKUlT_T0_SG_SL_E_clIS7_S7_SB_PlEEDaSZ_S10_SG_SL_EUlSZ_E_NS1_11comp_targetILNS1_3genE9ELNS1_11target_archE1100ELNS1_3gpuE3ELNS1_3repE0EEENS1_47radix_sort_onesweep_sort_config_static_selectorELNS0_4arch9wavefront6targetE1EEEvSG_.num_named_barrier, 0
	.set _ZN7rocprim17ROCPRIM_400000_NS6detail17trampoline_kernelINS0_14default_configENS1_35radix_sort_onesweep_config_selectorIflEEZZNS1_29radix_sort_onesweep_iterationIS3_Lb0EPfS7_N6thrust23THRUST_200600_302600_NS10device_ptrIlEESB_jNS0_19identity_decomposerENS1_16block_id_wrapperIjLb1EEEEE10hipError_tT1_PNSt15iterator_traitsISG_E10value_typeET2_T3_PNSH_ISM_E10value_typeET4_T5_PSR_SS_PNS1_23onesweep_lookback_stateEbbT6_jjT7_P12ihipStream_tbENKUlT_T0_SG_SL_E_clIS7_S7_SB_PlEEDaSZ_S10_SG_SL_EUlSZ_E_NS1_11comp_targetILNS1_3genE9ELNS1_11target_archE1100ELNS1_3gpuE3ELNS1_3repE0EEENS1_47radix_sort_onesweep_sort_config_static_selectorELNS0_4arch9wavefront6targetE1EEEvSG_.private_seg_size, 0
	.set _ZN7rocprim17ROCPRIM_400000_NS6detail17trampoline_kernelINS0_14default_configENS1_35radix_sort_onesweep_config_selectorIflEEZZNS1_29radix_sort_onesweep_iterationIS3_Lb0EPfS7_N6thrust23THRUST_200600_302600_NS10device_ptrIlEESB_jNS0_19identity_decomposerENS1_16block_id_wrapperIjLb1EEEEE10hipError_tT1_PNSt15iterator_traitsISG_E10value_typeET2_T3_PNSH_ISM_E10value_typeET4_T5_PSR_SS_PNS1_23onesweep_lookback_stateEbbT6_jjT7_P12ihipStream_tbENKUlT_T0_SG_SL_E_clIS7_S7_SB_PlEEDaSZ_S10_SG_SL_EUlSZ_E_NS1_11comp_targetILNS1_3genE9ELNS1_11target_archE1100ELNS1_3gpuE3ELNS1_3repE0EEENS1_47radix_sort_onesweep_sort_config_static_selectorELNS0_4arch9wavefront6targetE1EEEvSG_.uses_vcc, 0
	.set _ZN7rocprim17ROCPRIM_400000_NS6detail17trampoline_kernelINS0_14default_configENS1_35radix_sort_onesweep_config_selectorIflEEZZNS1_29radix_sort_onesweep_iterationIS3_Lb0EPfS7_N6thrust23THRUST_200600_302600_NS10device_ptrIlEESB_jNS0_19identity_decomposerENS1_16block_id_wrapperIjLb1EEEEE10hipError_tT1_PNSt15iterator_traitsISG_E10value_typeET2_T3_PNSH_ISM_E10value_typeET4_T5_PSR_SS_PNS1_23onesweep_lookback_stateEbbT6_jjT7_P12ihipStream_tbENKUlT_T0_SG_SL_E_clIS7_S7_SB_PlEEDaSZ_S10_SG_SL_EUlSZ_E_NS1_11comp_targetILNS1_3genE9ELNS1_11target_archE1100ELNS1_3gpuE3ELNS1_3repE0EEENS1_47radix_sort_onesweep_sort_config_static_selectorELNS0_4arch9wavefront6targetE1EEEvSG_.uses_flat_scratch, 0
	.set _ZN7rocprim17ROCPRIM_400000_NS6detail17trampoline_kernelINS0_14default_configENS1_35radix_sort_onesweep_config_selectorIflEEZZNS1_29radix_sort_onesweep_iterationIS3_Lb0EPfS7_N6thrust23THRUST_200600_302600_NS10device_ptrIlEESB_jNS0_19identity_decomposerENS1_16block_id_wrapperIjLb1EEEEE10hipError_tT1_PNSt15iterator_traitsISG_E10value_typeET2_T3_PNSH_ISM_E10value_typeET4_T5_PSR_SS_PNS1_23onesweep_lookback_stateEbbT6_jjT7_P12ihipStream_tbENKUlT_T0_SG_SL_E_clIS7_S7_SB_PlEEDaSZ_S10_SG_SL_EUlSZ_E_NS1_11comp_targetILNS1_3genE9ELNS1_11target_archE1100ELNS1_3gpuE3ELNS1_3repE0EEENS1_47radix_sort_onesweep_sort_config_static_selectorELNS0_4arch9wavefront6targetE1EEEvSG_.has_dyn_sized_stack, 0
	.set _ZN7rocprim17ROCPRIM_400000_NS6detail17trampoline_kernelINS0_14default_configENS1_35radix_sort_onesweep_config_selectorIflEEZZNS1_29radix_sort_onesweep_iterationIS3_Lb0EPfS7_N6thrust23THRUST_200600_302600_NS10device_ptrIlEESB_jNS0_19identity_decomposerENS1_16block_id_wrapperIjLb1EEEEE10hipError_tT1_PNSt15iterator_traitsISG_E10value_typeET2_T3_PNSH_ISM_E10value_typeET4_T5_PSR_SS_PNS1_23onesweep_lookback_stateEbbT6_jjT7_P12ihipStream_tbENKUlT_T0_SG_SL_E_clIS7_S7_SB_PlEEDaSZ_S10_SG_SL_EUlSZ_E_NS1_11comp_targetILNS1_3genE9ELNS1_11target_archE1100ELNS1_3gpuE3ELNS1_3repE0EEENS1_47radix_sort_onesweep_sort_config_static_selectorELNS0_4arch9wavefront6targetE1EEEvSG_.has_recursion, 0
	.set _ZN7rocprim17ROCPRIM_400000_NS6detail17trampoline_kernelINS0_14default_configENS1_35radix_sort_onesweep_config_selectorIflEEZZNS1_29radix_sort_onesweep_iterationIS3_Lb0EPfS7_N6thrust23THRUST_200600_302600_NS10device_ptrIlEESB_jNS0_19identity_decomposerENS1_16block_id_wrapperIjLb1EEEEE10hipError_tT1_PNSt15iterator_traitsISG_E10value_typeET2_T3_PNSH_ISM_E10value_typeET4_T5_PSR_SS_PNS1_23onesweep_lookback_stateEbbT6_jjT7_P12ihipStream_tbENKUlT_T0_SG_SL_E_clIS7_S7_SB_PlEEDaSZ_S10_SG_SL_EUlSZ_E_NS1_11comp_targetILNS1_3genE9ELNS1_11target_archE1100ELNS1_3gpuE3ELNS1_3repE0EEENS1_47radix_sort_onesweep_sort_config_static_selectorELNS0_4arch9wavefront6targetE1EEEvSG_.has_indirect_call, 0
	.section	.AMDGPU.csdata,"",@progbits
; Kernel info:
; codeLenInByte = 0
; TotalNumSgprs: 4
; NumVgprs: 0
; ScratchSize: 0
; MemoryBound: 0
; FloatMode: 240
; IeeeMode: 1
; LDSByteSize: 0 bytes/workgroup (compile time only)
; SGPRBlocks: 0
; VGPRBlocks: 0
; NumSGPRsForWavesPerEU: 4
; NumVGPRsForWavesPerEU: 1
; Occupancy: 10
; WaveLimiterHint : 0
; COMPUTE_PGM_RSRC2:SCRATCH_EN: 0
; COMPUTE_PGM_RSRC2:USER_SGPR: 6
; COMPUTE_PGM_RSRC2:TRAP_HANDLER: 0
; COMPUTE_PGM_RSRC2:TGID_X_EN: 1
; COMPUTE_PGM_RSRC2:TGID_Y_EN: 0
; COMPUTE_PGM_RSRC2:TGID_Z_EN: 0
; COMPUTE_PGM_RSRC2:TIDIG_COMP_CNT: 0
	.section	.text._ZN7rocprim17ROCPRIM_400000_NS6detail17trampoline_kernelINS0_14default_configENS1_35radix_sort_onesweep_config_selectorIflEEZZNS1_29radix_sort_onesweep_iterationIS3_Lb0EPfS7_N6thrust23THRUST_200600_302600_NS10device_ptrIlEESB_jNS0_19identity_decomposerENS1_16block_id_wrapperIjLb1EEEEE10hipError_tT1_PNSt15iterator_traitsISG_E10value_typeET2_T3_PNSH_ISM_E10value_typeET4_T5_PSR_SS_PNS1_23onesweep_lookback_stateEbbT6_jjT7_P12ihipStream_tbENKUlT_T0_SG_SL_E_clIS7_S7_SB_PlEEDaSZ_S10_SG_SL_EUlSZ_E_NS1_11comp_targetILNS1_3genE8ELNS1_11target_archE1030ELNS1_3gpuE2ELNS1_3repE0EEENS1_47radix_sort_onesweep_sort_config_static_selectorELNS0_4arch9wavefront6targetE1EEEvSG_,"axG",@progbits,_ZN7rocprim17ROCPRIM_400000_NS6detail17trampoline_kernelINS0_14default_configENS1_35radix_sort_onesweep_config_selectorIflEEZZNS1_29radix_sort_onesweep_iterationIS3_Lb0EPfS7_N6thrust23THRUST_200600_302600_NS10device_ptrIlEESB_jNS0_19identity_decomposerENS1_16block_id_wrapperIjLb1EEEEE10hipError_tT1_PNSt15iterator_traitsISG_E10value_typeET2_T3_PNSH_ISM_E10value_typeET4_T5_PSR_SS_PNS1_23onesweep_lookback_stateEbbT6_jjT7_P12ihipStream_tbENKUlT_T0_SG_SL_E_clIS7_S7_SB_PlEEDaSZ_S10_SG_SL_EUlSZ_E_NS1_11comp_targetILNS1_3genE8ELNS1_11target_archE1030ELNS1_3gpuE2ELNS1_3repE0EEENS1_47radix_sort_onesweep_sort_config_static_selectorELNS0_4arch9wavefront6targetE1EEEvSG_,comdat
	.protected	_ZN7rocprim17ROCPRIM_400000_NS6detail17trampoline_kernelINS0_14default_configENS1_35radix_sort_onesweep_config_selectorIflEEZZNS1_29radix_sort_onesweep_iterationIS3_Lb0EPfS7_N6thrust23THRUST_200600_302600_NS10device_ptrIlEESB_jNS0_19identity_decomposerENS1_16block_id_wrapperIjLb1EEEEE10hipError_tT1_PNSt15iterator_traitsISG_E10value_typeET2_T3_PNSH_ISM_E10value_typeET4_T5_PSR_SS_PNS1_23onesweep_lookback_stateEbbT6_jjT7_P12ihipStream_tbENKUlT_T0_SG_SL_E_clIS7_S7_SB_PlEEDaSZ_S10_SG_SL_EUlSZ_E_NS1_11comp_targetILNS1_3genE8ELNS1_11target_archE1030ELNS1_3gpuE2ELNS1_3repE0EEENS1_47radix_sort_onesweep_sort_config_static_selectorELNS0_4arch9wavefront6targetE1EEEvSG_ ; -- Begin function _ZN7rocprim17ROCPRIM_400000_NS6detail17trampoline_kernelINS0_14default_configENS1_35radix_sort_onesweep_config_selectorIflEEZZNS1_29radix_sort_onesweep_iterationIS3_Lb0EPfS7_N6thrust23THRUST_200600_302600_NS10device_ptrIlEESB_jNS0_19identity_decomposerENS1_16block_id_wrapperIjLb1EEEEE10hipError_tT1_PNSt15iterator_traitsISG_E10value_typeET2_T3_PNSH_ISM_E10value_typeET4_T5_PSR_SS_PNS1_23onesweep_lookback_stateEbbT6_jjT7_P12ihipStream_tbENKUlT_T0_SG_SL_E_clIS7_S7_SB_PlEEDaSZ_S10_SG_SL_EUlSZ_E_NS1_11comp_targetILNS1_3genE8ELNS1_11target_archE1030ELNS1_3gpuE2ELNS1_3repE0EEENS1_47radix_sort_onesweep_sort_config_static_selectorELNS0_4arch9wavefront6targetE1EEEvSG_
	.globl	_ZN7rocprim17ROCPRIM_400000_NS6detail17trampoline_kernelINS0_14default_configENS1_35radix_sort_onesweep_config_selectorIflEEZZNS1_29radix_sort_onesweep_iterationIS3_Lb0EPfS7_N6thrust23THRUST_200600_302600_NS10device_ptrIlEESB_jNS0_19identity_decomposerENS1_16block_id_wrapperIjLb1EEEEE10hipError_tT1_PNSt15iterator_traitsISG_E10value_typeET2_T3_PNSH_ISM_E10value_typeET4_T5_PSR_SS_PNS1_23onesweep_lookback_stateEbbT6_jjT7_P12ihipStream_tbENKUlT_T0_SG_SL_E_clIS7_S7_SB_PlEEDaSZ_S10_SG_SL_EUlSZ_E_NS1_11comp_targetILNS1_3genE8ELNS1_11target_archE1030ELNS1_3gpuE2ELNS1_3repE0EEENS1_47radix_sort_onesweep_sort_config_static_selectorELNS0_4arch9wavefront6targetE1EEEvSG_
	.p2align	8
	.type	_ZN7rocprim17ROCPRIM_400000_NS6detail17trampoline_kernelINS0_14default_configENS1_35radix_sort_onesweep_config_selectorIflEEZZNS1_29radix_sort_onesweep_iterationIS3_Lb0EPfS7_N6thrust23THRUST_200600_302600_NS10device_ptrIlEESB_jNS0_19identity_decomposerENS1_16block_id_wrapperIjLb1EEEEE10hipError_tT1_PNSt15iterator_traitsISG_E10value_typeET2_T3_PNSH_ISM_E10value_typeET4_T5_PSR_SS_PNS1_23onesweep_lookback_stateEbbT6_jjT7_P12ihipStream_tbENKUlT_T0_SG_SL_E_clIS7_S7_SB_PlEEDaSZ_S10_SG_SL_EUlSZ_E_NS1_11comp_targetILNS1_3genE8ELNS1_11target_archE1030ELNS1_3gpuE2ELNS1_3repE0EEENS1_47radix_sort_onesweep_sort_config_static_selectorELNS0_4arch9wavefront6targetE1EEEvSG_,@function
_ZN7rocprim17ROCPRIM_400000_NS6detail17trampoline_kernelINS0_14default_configENS1_35radix_sort_onesweep_config_selectorIflEEZZNS1_29radix_sort_onesweep_iterationIS3_Lb0EPfS7_N6thrust23THRUST_200600_302600_NS10device_ptrIlEESB_jNS0_19identity_decomposerENS1_16block_id_wrapperIjLb1EEEEE10hipError_tT1_PNSt15iterator_traitsISG_E10value_typeET2_T3_PNSH_ISM_E10value_typeET4_T5_PSR_SS_PNS1_23onesweep_lookback_stateEbbT6_jjT7_P12ihipStream_tbENKUlT_T0_SG_SL_E_clIS7_S7_SB_PlEEDaSZ_S10_SG_SL_EUlSZ_E_NS1_11comp_targetILNS1_3genE8ELNS1_11target_archE1030ELNS1_3gpuE2ELNS1_3repE0EEENS1_47radix_sort_onesweep_sort_config_static_selectorELNS0_4arch9wavefront6targetE1EEEvSG_: ; @_ZN7rocprim17ROCPRIM_400000_NS6detail17trampoline_kernelINS0_14default_configENS1_35radix_sort_onesweep_config_selectorIflEEZZNS1_29radix_sort_onesweep_iterationIS3_Lb0EPfS7_N6thrust23THRUST_200600_302600_NS10device_ptrIlEESB_jNS0_19identity_decomposerENS1_16block_id_wrapperIjLb1EEEEE10hipError_tT1_PNSt15iterator_traitsISG_E10value_typeET2_T3_PNSH_ISM_E10value_typeET4_T5_PSR_SS_PNS1_23onesweep_lookback_stateEbbT6_jjT7_P12ihipStream_tbENKUlT_T0_SG_SL_E_clIS7_S7_SB_PlEEDaSZ_S10_SG_SL_EUlSZ_E_NS1_11comp_targetILNS1_3genE8ELNS1_11target_archE1030ELNS1_3gpuE2ELNS1_3repE0EEENS1_47radix_sort_onesweep_sort_config_static_selectorELNS0_4arch9wavefront6targetE1EEEvSG_
; %bb.0:
	.section	.rodata,"a",@progbits
	.p2align	6, 0x0
	.amdhsa_kernel _ZN7rocprim17ROCPRIM_400000_NS6detail17trampoline_kernelINS0_14default_configENS1_35radix_sort_onesweep_config_selectorIflEEZZNS1_29radix_sort_onesweep_iterationIS3_Lb0EPfS7_N6thrust23THRUST_200600_302600_NS10device_ptrIlEESB_jNS0_19identity_decomposerENS1_16block_id_wrapperIjLb1EEEEE10hipError_tT1_PNSt15iterator_traitsISG_E10value_typeET2_T3_PNSH_ISM_E10value_typeET4_T5_PSR_SS_PNS1_23onesweep_lookback_stateEbbT6_jjT7_P12ihipStream_tbENKUlT_T0_SG_SL_E_clIS7_S7_SB_PlEEDaSZ_S10_SG_SL_EUlSZ_E_NS1_11comp_targetILNS1_3genE8ELNS1_11target_archE1030ELNS1_3gpuE2ELNS1_3repE0EEENS1_47radix_sort_onesweep_sort_config_static_selectorELNS0_4arch9wavefront6targetE1EEEvSG_
		.amdhsa_group_segment_fixed_size 0
		.amdhsa_private_segment_fixed_size 0
		.amdhsa_kernarg_size 88
		.amdhsa_user_sgpr_count 6
		.amdhsa_user_sgpr_private_segment_buffer 1
		.amdhsa_user_sgpr_dispatch_ptr 0
		.amdhsa_user_sgpr_queue_ptr 0
		.amdhsa_user_sgpr_kernarg_segment_ptr 1
		.amdhsa_user_sgpr_dispatch_id 0
		.amdhsa_user_sgpr_flat_scratch_init 0
		.amdhsa_user_sgpr_private_segment_size 0
		.amdhsa_uses_dynamic_stack 0
		.amdhsa_system_sgpr_private_segment_wavefront_offset 0
		.amdhsa_system_sgpr_workgroup_id_x 1
		.amdhsa_system_sgpr_workgroup_id_y 0
		.amdhsa_system_sgpr_workgroup_id_z 0
		.amdhsa_system_sgpr_workgroup_info 0
		.amdhsa_system_vgpr_workitem_id 0
		.amdhsa_next_free_vgpr 1
		.amdhsa_next_free_sgpr 0
		.amdhsa_reserve_vcc 0
		.amdhsa_reserve_flat_scratch 0
		.amdhsa_float_round_mode_32 0
		.amdhsa_float_round_mode_16_64 0
		.amdhsa_float_denorm_mode_32 3
		.amdhsa_float_denorm_mode_16_64 3
		.amdhsa_dx10_clamp 1
		.amdhsa_ieee_mode 1
		.amdhsa_fp16_overflow 0
		.amdhsa_exception_fp_ieee_invalid_op 0
		.amdhsa_exception_fp_denorm_src 0
		.amdhsa_exception_fp_ieee_div_zero 0
		.amdhsa_exception_fp_ieee_overflow 0
		.amdhsa_exception_fp_ieee_underflow 0
		.amdhsa_exception_fp_ieee_inexact 0
		.amdhsa_exception_int_div_zero 0
	.end_amdhsa_kernel
	.section	.text._ZN7rocprim17ROCPRIM_400000_NS6detail17trampoline_kernelINS0_14default_configENS1_35radix_sort_onesweep_config_selectorIflEEZZNS1_29radix_sort_onesweep_iterationIS3_Lb0EPfS7_N6thrust23THRUST_200600_302600_NS10device_ptrIlEESB_jNS0_19identity_decomposerENS1_16block_id_wrapperIjLb1EEEEE10hipError_tT1_PNSt15iterator_traitsISG_E10value_typeET2_T3_PNSH_ISM_E10value_typeET4_T5_PSR_SS_PNS1_23onesweep_lookback_stateEbbT6_jjT7_P12ihipStream_tbENKUlT_T0_SG_SL_E_clIS7_S7_SB_PlEEDaSZ_S10_SG_SL_EUlSZ_E_NS1_11comp_targetILNS1_3genE8ELNS1_11target_archE1030ELNS1_3gpuE2ELNS1_3repE0EEENS1_47radix_sort_onesweep_sort_config_static_selectorELNS0_4arch9wavefront6targetE1EEEvSG_,"axG",@progbits,_ZN7rocprim17ROCPRIM_400000_NS6detail17trampoline_kernelINS0_14default_configENS1_35radix_sort_onesweep_config_selectorIflEEZZNS1_29radix_sort_onesweep_iterationIS3_Lb0EPfS7_N6thrust23THRUST_200600_302600_NS10device_ptrIlEESB_jNS0_19identity_decomposerENS1_16block_id_wrapperIjLb1EEEEE10hipError_tT1_PNSt15iterator_traitsISG_E10value_typeET2_T3_PNSH_ISM_E10value_typeET4_T5_PSR_SS_PNS1_23onesweep_lookback_stateEbbT6_jjT7_P12ihipStream_tbENKUlT_T0_SG_SL_E_clIS7_S7_SB_PlEEDaSZ_S10_SG_SL_EUlSZ_E_NS1_11comp_targetILNS1_3genE8ELNS1_11target_archE1030ELNS1_3gpuE2ELNS1_3repE0EEENS1_47radix_sort_onesweep_sort_config_static_selectorELNS0_4arch9wavefront6targetE1EEEvSG_,comdat
.Lfunc_end1851:
	.size	_ZN7rocprim17ROCPRIM_400000_NS6detail17trampoline_kernelINS0_14default_configENS1_35radix_sort_onesweep_config_selectorIflEEZZNS1_29radix_sort_onesweep_iterationIS3_Lb0EPfS7_N6thrust23THRUST_200600_302600_NS10device_ptrIlEESB_jNS0_19identity_decomposerENS1_16block_id_wrapperIjLb1EEEEE10hipError_tT1_PNSt15iterator_traitsISG_E10value_typeET2_T3_PNSH_ISM_E10value_typeET4_T5_PSR_SS_PNS1_23onesweep_lookback_stateEbbT6_jjT7_P12ihipStream_tbENKUlT_T0_SG_SL_E_clIS7_S7_SB_PlEEDaSZ_S10_SG_SL_EUlSZ_E_NS1_11comp_targetILNS1_3genE8ELNS1_11target_archE1030ELNS1_3gpuE2ELNS1_3repE0EEENS1_47radix_sort_onesweep_sort_config_static_selectorELNS0_4arch9wavefront6targetE1EEEvSG_, .Lfunc_end1851-_ZN7rocprim17ROCPRIM_400000_NS6detail17trampoline_kernelINS0_14default_configENS1_35radix_sort_onesweep_config_selectorIflEEZZNS1_29radix_sort_onesweep_iterationIS3_Lb0EPfS7_N6thrust23THRUST_200600_302600_NS10device_ptrIlEESB_jNS0_19identity_decomposerENS1_16block_id_wrapperIjLb1EEEEE10hipError_tT1_PNSt15iterator_traitsISG_E10value_typeET2_T3_PNSH_ISM_E10value_typeET4_T5_PSR_SS_PNS1_23onesweep_lookback_stateEbbT6_jjT7_P12ihipStream_tbENKUlT_T0_SG_SL_E_clIS7_S7_SB_PlEEDaSZ_S10_SG_SL_EUlSZ_E_NS1_11comp_targetILNS1_3genE8ELNS1_11target_archE1030ELNS1_3gpuE2ELNS1_3repE0EEENS1_47radix_sort_onesweep_sort_config_static_selectorELNS0_4arch9wavefront6targetE1EEEvSG_
                                        ; -- End function
	.set _ZN7rocprim17ROCPRIM_400000_NS6detail17trampoline_kernelINS0_14default_configENS1_35radix_sort_onesweep_config_selectorIflEEZZNS1_29radix_sort_onesweep_iterationIS3_Lb0EPfS7_N6thrust23THRUST_200600_302600_NS10device_ptrIlEESB_jNS0_19identity_decomposerENS1_16block_id_wrapperIjLb1EEEEE10hipError_tT1_PNSt15iterator_traitsISG_E10value_typeET2_T3_PNSH_ISM_E10value_typeET4_T5_PSR_SS_PNS1_23onesweep_lookback_stateEbbT6_jjT7_P12ihipStream_tbENKUlT_T0_SG_SL_E_clIS7_S7_SB_PlEEDaSZ_S10_SG_SL_EUlSZ_E_NS1_11comp_targetILNS1_3genE8ELNS1_11target_archE1030ELNS1_3gpuE2ELNS1_3repE0EEENS1_47radix_sort_onesweep_sort_config_static_selectorELNS0_4arch9wavefront6targetE1EEEvSG_.num_vgpr, 0
	.set _ZN7rocprim17ROCPRIM_400000_NS6detail17trampoline_kernelINS0_14default_configENS1_35radix_sort_onesweep_config_selectorIflEEZZNS1_29radix_sort_onesweep_iterationIS3_Lb0EPfS7_N6thrust23THRUST_200600_302600_NS10device_ptrIlEESB_jNS0_19identity_decomposerENS1_16block_id_wrapperIjLb1EEEEE10hipError_tT1_PNSt15iterator_traitsISG_E10value_typeET2_T3_PNSH_ISM_E10value_typeET4_T5_PSR_SS_PNS1_23onesweep_lookback_stateEbbT6_jjT7_P12ihipStream_tbENKUlT_T0_SG_SL_E_clIS7_S7_SB_PlEEDaSZ_S10_SG_SL_EUlSZ_E_NS1_11comp_targetILNS1_3genE8ELNS1_11target_archE1030ELNS1_3gpuE2ELNS1_3repE0EEENS1_47radix_sort_onesweep_sort_config_static_selectorELNS0_4arch9wavefront6targetE1EEEvSG_.num_agpr, 0
	.set _ZN7rocprim17ROCPRIM_400000_NS6detail17trampoline_kernelINS0_14default_configENS1_35radix_sort_onesweep_config_selectorIflEEZZNS1_29radix_sort_onesweep_iterationIS3_Lb0EPfS7_N6thrust23THRUST_200600_302600_NS10device_ptrIlEESB_jNS0_19identity_decomposerENS1_16block_id_wrapperIjLb1EEEEE10hipError_tT1_PNSt15iterator_traitsISG_E10value_typeET2_T3_PNSH_ISM_E10value_typeET4_T5_PSR_SS_PNS1_23onesweep_lookback_stateEbbT6_jjT7_P12ihipStream_tbENKUlT_T0_SG_SL_E_clIS7_S7_SB_PlEEDaSZ_S10_SG_SL_EUlSZ_E_NS1_11comp_targetILNS1_3genE8ELNS1_11target_archE1030ELNS1_3gpuE2ELNS1_3repE0EEENS1_47radix_sort_onesweep_sort_config_static_selectorELNS0_4arch9wavefront6targetE1EEEvSG_.numbered_sgpr, 0
	.set _ZN7rocprim17ROCPRIM_400000_NS6detail17trampoline_kernelINS0_14default_configENS1_35radix_sort_onesweep_config_selectorIflEEZZNS1_29radix_sort_onesweep_iterationIS3_Lb0EPfS7_N6thrust23THRUST_200600_302600_NS10device_ptrIlEESB_jNS0_19identity_decomposerENS1_16block_id_wrapperIjLb1EEEEE10hipError_tT1_PNSt15iterator_traitsISG_E10value_typeET2_T3_PNSH_ISM_E10value_typeET4_T5_PSR_SS_PNS1_23onesweep_lookback_stateEbbT6_jjT7_P12ihipStream_tbENKUlT_T0_SG_SL_E_clIS7_S7_SB_PlEEDaSZ_S10_SG_SL_EUlSZ_E_NS1_11comp_targetILNS1_3genE8ELNS1_11target_archE1030ELNS1_3gpuE2ELNS1_3repE0EEENS1_47radix_sort_onesweep_sort_config_static_selectorELNS0_4arch9wavefront6targetE1EEEvSG_.num_named_barrier, 0
	.set _ZN7rocprim17ROCPRIM_400000_NS6detail17trampoline_kernelINS0_14default_configENS1_35radix_sort_onesweep_config_selectorIflEEZZNS1_29radix_sort_onesweep_iterationIS3_Lb0EPfS7_N6thrust23THRUST_200600_302600_NS10device_ptrIlEESB_jNS0_19identity_decomposerENS1_16block_id_wrapperIjLb1EEEEE10hipError_tT1_PNSt15iterator_traitsISG_E10value_typeET2_T3_PNSH_ISM_E10value_typeET4_T5_PSR_SS_PNS1_23onesweep_lookback_stateEbbT6_jjT7_P12ihipStream_tbENKUlT_T0_SG_SL_E_clIS7_S7_SB_PlEEDaSZ_S10_SG_SL_EUlSZ_E_NS1_11comp_targetILNS1_3genE8ELNS1_11target_archE1030ELNS1_3gpuE2ELNS1_3repE0EEENS1_47radix_sort_onesweep_sort_config_static_selectorELNS0_4arch9wavefront6targetE1EEEvSG_.private_seg_size, 0
	.set _ZN7rocprim17ROCPRIM_400000_NS6detail17trampoline_kernelINS0_14default_configENS1_35radix_sort_onesweep_config_selectorIflEEZZNS1_29radix_sort_onesweep_iterationIS3_Lb0EPfS7_N6thrust23THRUST_200600_302600_NS10device_ptrIlEESB_jNS0_19identity_decomposerENS1_16block_id_wrapperIjLb1EEEEE10hipError_tT1_PNSt15iterator_traitsISG_E10value_typeET2_T3_PNSH_ISM_E10value_typeET4_T5_PSR_SS_PNS1_23onesweep_lookback_stateEbbT6_jjT7_P12ihipStream_tbENKUlT_T0_SG_SL_E_clIS7_S7_SB_PlEEDaSZ_S10_SG_SL_EUlSZ_E_NS1_11comp_targetILNS1_3genE8ELNS1_11target_archE1030ELNS1_3gpuE2ELNS1_3repE0EEENS1_47radix_sort_onesweep_sort_config_static_selectorELNS0_4arch9wavefront6targetE1EEEvSG_.uses_vcc, 0
	.set _ZN7rocprim17ROCPRIM_400000_NS6detail17trampoline_kernelINS0_14default_configENS1_35radix_sort_onesweep_config_selectorIflEEZZNS1_29radix_sort_onesweep_iterationIS3_Lb0EPfS7_N6thrust23THRUST_200600_302600_NS10device_ptrIlEESB_jNS0_19identity_decomposerENS1_16block_id_wrapperIjLb1EEEEE10hipError_tT1_PNSt15iterator_traitsISG_E10value_typeET2_T3_PNSH_ISM_E10value_typeET4_T5_PSR_SS_PNS1_23onesweep_lookback_stateEbbT6_jjT7_P12ihipStream_tbENKUlT_T0_SG_SL_E_clIS7_S7_SB_PlEEDaSZ_S10_SG_SL_EUlSZ_E_NS1_11comp_targetILNS1_3genE8ELNS1_11target_archE1030ELNS1_3gpuE2ELNS1_3repE0EEENS1_47radix_sort_onesweep_sort_config_static_selectorELNS0_4arch9wavefront6targetE1EEEvSG_.uses_flat_scratch, 0
	.set _ZN7rocprim17ROCPRIM_400000_NS6detail17trampoline_kernelINS0_14default_configENS1_35radix_sort_onesweep_config_selectorIflEEZZNS1_29radix_sort_onesweep_iterationIS3_Lb0EPfS7_N6thrust23THRUST_200600_302600_NS10device_ptrIlEESB_jNS0_19identity_decomposerENS1_16block_id_wrapperIjLb1EEEEE10hipError_tT1_PNSt15iterator_traitsISG_E10value_typeET2_T3_PNSH_ISM_E10value_typeET4_T5_PSR_SS_PNS1_23onesweep_lookback_stateEbbT6_jjT7_P12ihipStream_tbENKUlT_T0_SG_SL_E_clIS7_S7_SB_PlEEDaSZ_S10_SG_SL_EUlSZ_E_NS1_11comp_targetILNS1_3genE8ELNS1_11target_archE1030ELNS1_3gpuE2ELNS1_3repE0EEENS1_47radix_sort_onesweep_sort_config_static_selectorELNS0_4arch9wavefront6targetE1EEEvSG_.has_dyn_sized_stack, 0
	.set _ZN7rocprim17ROCPRIM_400000_NS6detail17trampoline_kernelINS0_14default_configENS1_35radix_sort_onesweep_config_selectorIflEEZZNS1_29radix_sort_onesweep_iterationIS3_Lb0EPfS7_N6thrust23THRUST_200600_302600_NS10device_ptrIlEESB_jNS0_19identity_decomposerENS1_16block_id_wrapperIjLb1EEEEE10hipError_tT1_PNSt15iterator_traitsISG_E10value_typeET2_T3_PNSH_ISM_E10value_typeET4_T5_PSR_SS_PNS1_23onesweep_lookback_stateEbbT6_jjT7_P12ihipStream_tbENKUlT_T0_SG_SL_E_clIS7_S7_SB_PlEEDaSZ_S10_SG_SL_EUlSZ_E_NS1_11comp_targetILNS1_3genE8ELNS1_11target_archE1030ELNS1_3gpuE2ELNS1_3repE0EEENS1_47radix_sort_onesweep_sort_config_static_selectorELNS0_4arch9wavefront6targetE1EEEvSG_.has_recursion, 0
	.set _ZN7rocprim17ROCPRIM_400000_NS6detail17trampoline_kernelINS0_14default_configENS1_35radix_sort_onesweep_config_selectorIflEEZZNS1_29radix_sort_onesweep_iterationIS3_Lb0EPfS7_N6thrust23THRUST_200600_302600_NS10device_ptrIlEESB_jNS0_19identity_decomposerENS1_16block_id_wrapperIjLb1EEEEE10hipError_tT1_PNSt15iterator_traitsISG_E10value_typeET2_T3_PNSH_ISM_E10value_typeET4_T5_PSR_SS_PNS1_23onesweep_lookback_stateEbbT6_jjT7_P12ihipStream_tbENKUlT_T0_SG_SL_E_clIS7_S7_SB_PlEEDaSZ_S10_SG_SL_EUlSZ_E_NS1_11comp_targetILNS1_3genE8ELNS1_11target_archE1030ELNS1_3gpuE2ELNS1_3repE0EEENS1_47radix_sort_onesweep_sort_config_static_selectorELNS0_4arch9wavefront6targetE1EEEvSG_.has_indirect_call, 0
	.section	.AMDGPU.csdata,"",@progbits
; Kernel info:
; codeLenInByte = 0
; TotalNumSgprs: 4
; NumVgprs: 0
; ScratchSize: 0
; MemoryBound: 0
; FloatMode: 240
; IeeeMode: 1
; LDSByteSize: 0 bytes/workgroup (compile time only)
; SGPRBlocks: 0
; VGPRBlocks: 0
; NumSGPRsForWavesPerEU: 4
; NumVGPRsForWavesPerEU: 1
; Occupancy: 10
; WaveLimiterHint : 0
; COMPUTE_PGM_RSRC2:SCRATCH_EN: 0
; COMPUTE_PGM_RSRC2:USER_SGPR: 6
; COMPUTE_PGM_RSRC2:TRAP_HANDLER: 0
; COMPUTE_PGM_RSRC2:TGID_X_EN: 1
; COMPUTE_PGM_RSRC2:TGID_Y_EN: 0
; COMPUTE_PGM_RSRC2:TGID_Z_EN: 0
; COMPUTE_PGM_RSRC2:TIDIG_COMP_CNT: 0
	.section	.text._ZN7rocprim17ROCPRIM_400000_NS6detail17trampoline_kernelINS0_14default_configENS1_35radix_sort_onesweep_config_selectorIflEEZZNS1_29radix_sort_onesweep_iterationIS3_Lb0EPfS7_N6thrust23THRUST_200600_302600_NS10device_ptrIlEESB_jNS0_19identity_decomposerENS1_16block_id_wrapperIjLb1EEEEE10hipError_tT1_PNSt15iterator_traitsISG_E10value_typeET2_T3_PNSH_ISM_E10value_typeET4_T5_PSR_SS_PNS1_23onesweep_lookback_stateEbbT6_jjT7_P12ihipStream_tbENKUlT_T0_SG_SL_E_clIS7_S7_PlSB_EEDaSZ_S10_SG_SL_EUlSZ_E_NS1_11comp_targetILNS1_3genE0ELNS1_11target_archE4294967295ELNS1_3gpuE0ELNS1_3repE0EEENS1_47radix_sort_onesweep_sort_config_static_selectorELNS0_4arch9wavefront6targetE1EEEvSG_,"axG",@progbits,_ZN7rocprim17ROCPRIM_400000_NS6detail17trampoline_kernelINS0_14default_configENS1_35radix_sort_onesweep_config_selectorIflEEZZNS1_29radix_sort_onesweep_iterationIS3_Lb0EPfS7_N6thrust23THRUST_200600_302600_NS10device_ptrIlEESB_jNS0_19identity_decomposerENS1_16block_id_wrapperIjLb1EEEEE10hipError_tT1_PNSt15iterator_traitsISG_E10value_typeET2_T3_PNSH_ISM_E10value_typeET4_T5_PSR_SS_PNS1_23onesweep_lookback_stateEbbT6_jjT7_P12ihipStream_tbENKUlT_T0_SG_SL_E_clIS7_S7_PlSB_EEDaSZ_S10_SG_SL_EUlSZ_E_NS1_11comp_targetILNS1_3genE0ELNS1_11target_archE4294967295ELNS1_3gpuE0ELNS1_3repE0EEENS1_47radix_sort_onesweep_sort_config_static_selectorELNS0_4arch9wavefront6targetE1EEEvSG_,comdat
	.protected	_ZN7rocprim17ROCPRIM_400000_NS6detail17trampoline_kernelINS0_14default_configENS1_35radix_sort_onesweep_config_selectorIflEEZZNS1_29radix_sort_onesweep_iterationIS3_Lb0EPfS7_N6thrust23THRUST_200600_302600_NS10device_ptrIlEESB_jNS0_19identity_decomposerENS1_16block_id_wrapperIjLb1EEEEE10hipError_tT1_PNSt15iterator_traitsISG_E10value_typeET2_T3_PNSH_ISM_E10value_typeET4_T5_PSR_SS_PNS1_23onesweep_lookback_stateEbbT6_jjT7_P12ihipStream_tbENKUlT_T0_SG_SL_E_clIS7_S7_PlSB_EEDaSZ_S10_SG_SL_EUlSZ_E_NS1_11comp_targetILNS1_3genE0ELNS1_11target_archE4294967295ELNS1_3gpuE0ELNS1_3repE0EEENS1_47radix_sort_onesweep_sort_config_static_selectorELNS0_4arch9wavefront6targetE1EEEvSG_ ; -- Begin function _ZN7rocprim17ROCPRIM_400000_NS6detail17trampoline_kernelINS0_14default_configENS1_35radix_sort_onesweep_config_selectorIflEEZZNS1_29radix_sort_onesweep_iterationIS3_Lb0EPfS7_N6thrust23THRUST_200600_302600_NS10device_ptrIlEESB_jNS0_19identity_decomposerENS1_16block_id_wrapperIjLb1EEEEE10hipError_tT1_PNSt15iterator_traitsISG_E10value_typeET2_T3_PNSH_ISM_E10value_typeET4_T5_PSR_SS_PNS1_23onesweep_lookback_stateEbbT6_jjT7_P12ihipStream_tbENKUlT_T0_SG_SL_E_clIS7_S7_PlSB_EEDaSZ_S10_SG_SL_EUlSZ_E_NS1_11comp_targetILNS1_3genE0ELNS1_11target_archE4294967295ELNS1_3gpuE0ELNS1_3repE0EEENS1_47radix_sort_onesweep_sort_config_static_selectorELNS0_4arch9wavefront6targetE1EEEvSG_
	.globl	_ZN7rocprim17ROCPRIM_400000_NS6detail17trampoline_kernelINS0_14default_configENS1_35radix_sort_onesweep_config_selectorIflEEZZNS1_29radix_sort_onesweep_iterationIS3_Lb0EPfS7_N6thrust23THRUST_200600_302600_NS10device_ptrIlEESB_jNS0_19identity_decomposerENS1_16block_id_wrapperIjLb1EEEEE10hipError_tT1_PNSt15iterator_traitsISG_E10value_typeET2_T3_PNSH_ISM_E10value_typeET4_T5_PSR_SS_PNS1_23onesweep_lookback_stateEbbT6_jjT7_P12ihipStream_tbENKUlT_T0_SG_SL_E_clIS7_S7_PlSB_EEDaSZ_S10_SG_SL_EUlSZ_E_NS1_11comp_targetILNS1_3genE0ELNS1_11target_archE4294967295ELNS1_3gpuE0ELNS1_3repE0EEENS1_47radix_sort_onesweep_sort_config_static_selectorELNS0_4arch9wavefront6targetE1EEEvSG_
	.p2align	8
	.type	_ZN7rocprim17ROCPRIM_400000_NS6detail17trampoline_kernelINS0_14default_configENS1_35radix_sort_onesweep_config_selectorIflEEZZNS1_29radix_sort_onesweep_iterationIS3_Lb0EPfS7_N6thrust23THRUST_200600_302600_NS10device_ptrIlEESB_jNS0_19identity_decomposerENS1_16block_id_wrapperIjLb1EEEEE10hipError_tT1_PNSt15iterator_traitsISG_E10value_typeET2_T3_PNSH_ISM_E10value_typeET4_T5_PSR_SS_PNS1_23onesweep_lookback_stateEbbT6_jjT7_P12ihipStream_tbENKUlT_T0_SG_SL_E_clIS7_S7_PlSB_EEDaSZ_S10_SG_SL_EUlSZ_E_NS1_11comp_targetILNS1_3genE0ELNS1_11target_archE4294967295ELNS1_3gpuE0ELNS1_3repE0EEENS1_47radix_sort_onesweep_sort_config_static_selectorELNS0_4arch9wavefront6targetE1EEEvSG_,@function
_ZN7rocprim17ROCPRIM_400000_NS6detail17trampoline_kernelINS0_14default_configENS1_35radix_sort_onesweep_config_selectorIflEEZZNS1_29radix_sort_onesweep_iterationIS3_Lb0EPfS7_N6thrust23THRUST_200600_302600_NS10device_ptrIlEESB_jNS0_19identity_decomposerENS1_16block_id_wrapperIjLb1EEEEE10hipError_tT1_PNSt15iterator_traitsISG_E10value_typeET2_T3_PNSH_ISM_E10value_typeET4_T5_PSR_SS_PNS1_23onesweep_lookback_stateEbbT6_jjT7_P12ihipStream_tbENKUlT_T0_SG_SL_E_clIS7_S7_PlSB_EEDaSZ_S10_SG_SL_EUlSZ_E_NS1_11comp_targetILNS1_3genE0ELNS1_11target_archE4294967295ELNS1_3gpuE0ELNS1_3repE0EEENS1_47radix_sort_onesweep_sort_config_static_selectorELNS0_4arch9wavefront6targetE1EEEvSG_: ; @_ZN7rocprim17ROCPRIM_400000_NS6detail17trampoline_kernelINS0_14default_configENS1_35radix_sort_onesweep_config_selectorIflEEZZNS1_29radix_sort_onesweep_iterationIS3_Lb0EPfS7_N6thrust23THRUST_200600_302600_NS10device_ptrIlEESB_jNS0_19identity_decomposerENS1_16block_id_wrapperIjLb1EEEEE10hipError_tT1_PNSt15iterator_traitsISG_E10value_typeET2_T3_PNSH_ISM_E10value_typeET4_T5_PSR_SS_PNS1_23onesweep_lookback_stateEbbT6_jjT7_P12ihipStream_tbENKUlT_T0_SG_SL_E_clIS7_S7_PlSB_EEDaSZ_S10_SG_SL_EUlSZ_E_NS1_11comp_targetILNS1_3genE0ELNS1_11target_archE4294967295ELNS1_3gpuE0ELNS1_3repE0EEENS1_47radix_sort_onesweep_sort_config_static_selectorELNS0_4arch9wavefront6targetE1EEEvSG_
; %bb.0:
	.section	.rodata,"a",@progbits
	.p2align	6, 0x0
	.amdhsa_kernel _ZN7rocprim17ROCPRIM_400000_NS6detail17trampoline_kernelINS0_14default_configENS1_35radix_sort_onesweep_config_selectorIflEEZZNS1_29radix_sort_onesweep_iterationIS3_Lb0EPfS7_N6thrust23THRUST_200600_302600_NS10device_ptrIlEESB_jNS0_19identity_decomposerENS1_16block_id_wrapperIjLb1EEEEE10hipError_tT1_PNSt15iterator_traitsISG_E10value_typeET2_T3_PNSH_ISM_E10value_typeET4_T5_PSR_SS_PNS1_23onesweep_lookback_stateEbbT6_jjT7_P12ihipStream_tbENKUlT_T0_SG_SL_E_clIS7_S7_PlSB_EEDaSZ_S10_SG_SL_EUlSZ_E_NS1_11comp_targetILNS1_3genE0ELNS1_11target_archE4294967295ELNS1_3gpuE0ELNS1_3repE0EEENS1_47radix_sort_onesweep_sort_config_static_selectorELNS0_4arch9wavefront6targetE1EEEvSG_
		.amdhsa_group_segment_fixed_size 0
		.amdhsa_private_segment_fixed_size 0
		.amdhsa_kernarg_size 88
		.amdhsa_user_sgpr_count 6
		.amdhsa_user_sgpr_private_segment_buffer 1
		.amdhsa_user_sgpr_dispatch_ptr 0
		.amdhsa_user_sgpr_queue_ptr 0
		.amdhsa_user_sgpr_kernarg_segment_ptr 1
		.amdhsa_user_sgpr_dispatch_id 0
		.amdhsa_user_sgpr_flat_scratch_init 0
		.amdhsa_user_sgpr_private_segment_size 0
		.amdhsa_uses_dynamic_stack 0
		.amdhsa_system_sgpr_private_segment_wavefront_offset 0
		.amdhsa_system_sgpr_workgroup_id_x 1
		.amdhsa_system_sgpr_workgroup_id_y 0
		.amdhsa_system_sgpr_workgroup_id_z 0
		.amdhsa_system_sgpr_workgroup_info 0
		.amdhsa_system_vgpr_workitem_id 0
		.amdhsa_next_free_vgpr 1
		.amdhsa_next_free_sgpr 0
		.amdhsa_reserve_vcc 0
		.amdhsa_reserve_flat_scratch 0
		.amdhsa_float_round_mode_32 0
		.amdhsa_float_round_mode_16_64 0
		.amdhsa_float_denorm_mode_32 3
		.amdhsa_float_denorm_mode_16_64 3
		.amdhsa_dx10_clamp 1
		.amdhsa_ieee_mode 1
		.amdhsa_fp16_overflow 0
		.amdhsa_exception_fp_ieee_invalid_op 0
		.amdhsa_exception_fp_denorm_src 0
		.amdhsa_exception_fp_ieee_div_zero 0
		.amdhsa_exception_fp_ieee_overflow 0
		.amdhsa_exception_fp_ieee_underflow 0
		.amdhsa_exception_fp_ieee_inexact 0
		.amdhsa_exception_int_div_zero 0
	.end_amdhsa_kernel
	.section	.text._ZN7rocprim17ROCPRIM_400000_NS6detail17trampoline_kernelINS0_14default_configENS1_35radix_sort_onesweep_config_selectorIflEEZZNS1_29radix_sort_onesweep_iterationIS3_Lb0EPfS7_N6thrust23THRUST_200600_302600_NS10device_ptrIlEESB_jNS0_19identity_decomposerENS1_16block_id_wrapperIjLb1EEEEE10hipError_tT1_PNSt15iterator_traitsISG_E10value_typeET2_T3_PNSH_ISM_E10value_typeET4_T5_PSR_SS_PNS1_23onesweep_lookback_stateEbbT6_jjT7_P12ihipStream_tbENKUlT_T0_SG_SL_E_clIS7_S7_PlSB_EEDaSZ_S10_SG_SL_EUlSZ_E_NS1_11comp_targetILNS1_3genE0ELNS1_11target_archE4294967295ELNS1_3gpuE0ELNS1_3repE0EEENS1_47radix_sort_onesweep_sort_config_static_selectorELNS0_4arch9wavefront6targetE1EEEvSG_,"axG",@progbits,_ZN7rocprim17ROCPRIM_400000_NS6detail17trampoline_kernelINS0_14default_configENS1_35radix_sort_onesweep_config_selectorIflEEZZNS1_29radix_sort_onesweep_iterationIS3_Lb0EPfS7_N6thrust23THRUST_200600_302600_NS10device_ptrIlEESB_jNS0_19identity_decomposerENS1_16block_id_wrapperIjLb1EEEEE10hipError_tT1_PNSt15iterator_traitsISG_E10value_typeET2_T3_PNSH_ISM_E10value_typeET4_T5_PSR_SS_PNS1_23onesweep_lookback_stateEbbT6_jjT7_P12ihipStream_tbENKUlT_T0_SG_SL_E_clIS7_S7_PlSB_EEDaSZ_S10_SG_SL_EUlSZ_E_NS1_11comp_targetILNS1_3genE0ELNS1_11target_archE4294967295ELNS1_3gpuE0ELNS1_3repE0EEENS1_47radix_sort_onesweep_sort_config_static_selectorELNS0_4arch9wavefront6targetE1EEEvSG_,comdat
.Lfunc_end1852:
	.size	_ZN7rocprim17ROCPRIM_400000_NS6detail17trampoline_kernelINS0_14default_configENS1_35radix_sort_onesweep_config_selectorIflEEZZNS1_29radix_sort_onesweep_iterationIS3_Lb0EPfS7_N6thrust23THRUST_200600_302600_NS10device_ptrIlEESB_jNS0_19identity_decomposerENS1_16block_id_wrapperIjLb1EEEEE10hipError_tT1_PNSt15iterator_traitsISG_E10value_typeET2_T3_PNSH_ISM_E10value_typeET4_T5_PSR_SS_PNS1_23onesweep_lookback_stateEbbT6_jjT7_P12ihipStream_tbENKUlT_T0_SG_SL_E_clIS7_S7_PlSB_EEDaSZ_S10_SG_SL_EUlSZ_E_NS1_11comp_targetILNS1_3genE0ELNS1_11target_archE4294967295ELNS1_3gpuE0ELNS1_3repE0EEENS1_47radix_sort_onesweep_sort_config_static_selectorELNS0_4arch9wavefront6targetE1EEEvSG_, .Lfunc_end1852-_ZN7rocprim17ROCPRIM_400000_NS6detail17trampoline_kernelINS0_14default_configENS1_35radix_sort_onesweep_config_selectorIflEEZZNS1_29radix_sort_onesweep_iterationIS3_Lb0EPfS7_N6thrust23THRUST_200600_302600_NS10device_ptrIlEESB_jNS0_19identity_decomposerENS1_16block_id_wrapperIjLb1EEEEE10hipError_tT1_PNSt15iterator_traitsISG_E10value_typeET2_T3_PNSH_ISM_E10value_typeET4_T5_PSR_SS_PNS1_23onesweep_lookback_stateEbbT6_jjT7_P12ihipStream_tbENKUlT_T0_SG_SL_E_clIS7_S7_PlSB_EEDaSZ_S10_SG_SL_EUlSZ_E_NS1_11comp_targetILNS1_3genE0ELNS1_11target_archE4294967295ELNS1_3gpuE0ELNS1_3repE0EEENS1_47radix_sort_onesweep_sort_config_static_selectorELNS0_4arch9wavefront6targetE1EEEvSG_
                                        ; -- End function
	.set _ZN7rocprim17ROCPRIM_400000_NS6detail17trampoline_kernelINS0_14default_configENS1_35radix_sort_onesweep_config_selectorIflEEZZNS1_29radix_sort_onesweep_iterationIS3_Lb0EPfS7_N6thrust23THRUST_200600_302600_NS10device_ptrIlEESB_jNS0_19identity_decomposerENS1_16block_id_wrapperIjLb1EEEEE10hipError_tT1_PNSt15iterator_traitsISG_E10value_typeET2_T3_PNSH_ISM_E10value_typeET4_T5_PSR_SS_PNS1_23onesweep_lookback_stateEbbT6_jjT7_P12ihipStream_tbENKUlT_T0_SG_SL_E_clIS7_S7_PlSB_EEDaSZ_S10_SG_SL_EUlSZ_E_NS1_11comp_targetILNS1_3genE0ELNS1_11target_archE4294967295ELNS1_3gpuE0ELNS1_3repE0EEENS1_47radix_sort_onesweep_sort_config_static_selectorELNS0_4arch9wavefront6targetE1EEEvSG_.num_vgpr, 0
	.set _ZN7rocprim17ROCPRIM_400000_NS6detail17trampoline_kernelINS0_14default_configENS1_35radix_sort_onesweep_config_selectorIflEEZZNS1_29radix_sort_onesweep_iterationIS3_Lb0EPfS7_N6thrust23THRUST_200600_302600_NS10device_ptrIlEESB_jNS0_19identity_decomposerENS1_16block_id_wrapperIjLb1EEEEE10hipError_tT1_PNSt15iterator_traitsISG_E10value_typeET2_T3_PNSH_ISM_E10value_typeET4_T5_PSR_SS_PNS1_23onesweep_lookback_stateEbbT6_jjT7_P12ihipStream_tbENKUlT_T0_SG_SL_E_clIS7_S7_PlSB_EEDaSZ_S10_SG_SL_EUlSZ_E_NS1_11comp_targetILNS1_3genE0ELNS1_11target_archE4294967295ELNS1_3gpuE0ELNS1_3repE0EEENS1_47radix_sort_onesweep_sort_config_static_selectorELNS0_4arch9wavefront6targetE1EEEvSG_.num_agpr, 0
	.set _ZN7rocprim17ROCPRIM_400000_NS6detail17trampoline_kernelINS0_14default_configENS1_35radix_sort_onesweep_config_selectorIflEEZZNS1_29radix_sort_onesweep_iterationIS3_Lb0EPfS7_N6thrust23THRUST_200600_302600_NS10device_ptrIlEESB_jNS0_19identity_decomposerENS1_16block_id_wrapperIjLb1EEEEE10hipError_tT1_PNSt15iterator_traitsISG_E10value_typeET2_T3_PNSH_ISM_E10value_typeET4_T5_PSR_SS_PNS1_23onesweep_lookback_stateEbbT6_jjT7_P12ihipStream_tbENKUlT_T0_SG_SL_E_clIS7_S7_PlSB_EEDaSZ_S10_SG_SL_EUlSZ_E_NS1_11comp_targetILNS1_3genE0ELNS1_11target_archE4294967295ELNS1_3gpuE0ELNS1_3repE0EEENS1_47radix_sort_onesweep_sort_config_static_selectorELNS0_4arch9wavefront6targetE1EEEvSG_.numbered_sgpr, 0
	.set _ZN7rocprim17ROCPRIM_400000_NS6detail17trampoline_kernelINS0_14default_configENS1_35radix_sort_onesweep_config_selectorIflEEZZNS1_29radix_sort_onesweep_iterationIS3_Lb0EPfS7_N6thrust23THRUST_200600_302600_NS10device_ptrIlEESB_jNS0_19identity_decomposerENS1_16block_id_wrapperIjLb1EEEEE10hipError_tT1_PNSt15iterator_traitsISG_E10value_typeET2_T3_PNSH_ISM_E10value_typeET4_T5_PSR_SS_PNS1_23onesweep_lookback_stateEbbT6_jjT7_P12ihipStream_tbENKUlT_T0_SG_SL_E_clIS7_S7_PlSB_EEDaSZ_S10_SG_SL_EUlSZ_E_NS1_11comp_targetILNS1_3genE0ELNS1_11target_archE4294967295ELNS1_3gpuE0ELNS1_3repE0EEENS1_47radix_sort_onesweep_sort_config_static_selectorELNS0_4arch9wavefront6targetE1EEEvSG_.num_named_barrier, 0
	.set _ZN7rocprim17ROCPRIM_400000_NS6detail17trampoline_kernelINS0_14default_configENS1_35radix_sort_onesweep_config_selectorIflEEZZNS1_29radix_sort_onesweep_iterationIS3_Lb0EPfS7_N6thrust23THRUST_200600_302600_NS10device_ptrIlEESB_jNS0_19identity_decomposerENS1_16block_id_wrapperIjLb1EEEEE10hipError_tT1_PNSt15iterator_traitsISG_E10value_typeET2_T3_PNSH_ISM_E10value_typeET4_T5_PSR_SS_PNS1_23onesweep_lookback_stateEbbT6_jjT7_P12ihipStream_tbENKUlT_T0_SG_SL_E_clIS7_S7_PlSB_EEDaSZ_S10_SG_SL_EUlSZ_E_NS1_11comp_targetILNS1_3genE0ELNS1_11target_archE4294967295ELNS1_3gpuE0ELNS1_3repE0EEENS1_47radix_sort_onesweep_sort_config_static_selectorELNS0_4arch9wavefront6targetE1EEEvSG_.private_seg_size, 0
	.set _ZN7rocprim17ROCPRIM_400000_NS6detail17trampoline_kernelINS0_14default_configENS1_35radix_sort_onesweep_config_selectorIflEEZZNS1_29radix_sort_onesweep_iterationIS3_Lb0EPfS7_N6thrust23THRUST_200600_302600_NS10device_ptrIlEESB_jNS0_19identity_decomposerENS1_16block_id_wrapperIjLb1EEEEE10hipError_tT1_PNSt15iterator_traitsISG_E10value_typeET2_T3_PNSH_ISM_E10value_typeET4_T5_PSR_SS_PNS1_23onesweep_lookback_stateEbbT6_jjT7_P12ihipStream_tbENKUlT_T0_SG_SL_E_clIS7_S7_PlSB_EEDaSZ_S10_SG_SL_EUlSZ_E_NS1_11comp_targetILNS1_3genE0ELNS1_11target_archE4294967295ELNS1_3gpuE0ELNS1_3repE0EEENS1_47radix_sort_onesweep_sort_config_static_selectorELNS0_4arch9wavefront6targetE1EEEvSG_.uses_vcc, 0
	.set _ZN7rocprim17ROCPRIM_400000_NS6detail17trampoline_kernelINS0_14default_configENS1_35radix_sort_onesweep_config_selectorIflEEZZNS1_29radix_sort_onesweep_iterationIS3_Lb0EPfS7_N6thrust23THRUST_200600_302600_NS10device_ptrIlEESB_jNS0_19identity_decomposerENS1_16block_id_wrapperIjLb1EEEEE10hipError_tT1_PNSt15iterator_traitsISG_E10value_typeET2_T3_PNSH_ISM_E10value_typeET4_T5_PSR_SS_PNS1_23onesweep_lookback_stateEbbT6_jjT7_P12ihipStream_tbENKUlT_T0_SG_SL_E_clIS7_S7_PlSB_EEDaSZ_S10_SG_SL_EUlSZ_E_NS1_11comp_targetILNS1_3genE0ELNS1_11target_archE4294967295ELNS1_3gpuE0ELNS1_3repE0EEENS1_47radix_sort_onesweep_sort_config_static_selectorELNS0_4arch9wavefront6targetE1EEEvSG_.uses_flat_scratch, 0
	.set _ZN7rocprim17ROCPRIM_400000_NS6detail17trampoline_kernelINS0_14default_configENS1_35radix_sort_onesweep_config_selectorIflEEZZNS1_29radix_sort_onesweep_iterationIS3_Lb0EPfS7_N6thrust23THRUST_200600_302600_NS10device_ptrIlEESB_jNS0_19identity_decomposerENS1_16block_id_wrapperIjLb1EEEEE10hipError_tT1_PNSt15iterator_traitsISG_E10value_typeET2_T3_PNSH_ISM_E10value_typeET4_T5_PSR_SS_PNS1_23onesweep_lookback_stateEbbT6_jjT7_P12ihipStream_tbENKUlT_T0_SG_SL_E_clIS7_S7_PlSB_EEDaSZ_S10_SG_SL_EUlSZ_E_NS1_11comp_targetILNS1_3genE0ELNS1_11target_archE4294967295ELNS1_3gpuE0ELNS1_3repE0EEENS1_47radix_sort_onesweep_sort_config_static_selectorELNS0_4arch9wavefront6targetE1EEEvSG_.has_dyn_sized_stack, 0
	.set _ZN7rocprim17ROCPRIM_400000_NS6detail17trampoline_kernelINS0_14default_configENS1_35radix_sort_onesweep_config_selectorIflEEZZNS1_29radix_sort_onesweep_iterationIS3_Lb0EPfS7_N6thrust23THRUST_200600_302600_NS10device_ptrIlEESB_jNS0_19identity_decomposerENS1_16block_id_wrapperIjLb1EEEEE10hipError_tT1_PNSt15iterator_traitsISG_E10value_typeET2_T3_PNSH_ISM_E10value_typeET4_T5_PSR_SS_PNS1_23onesweep_lookback_stateEbbT6_jjT7_P12ihipStream_tbENKUlT_T0_SG_SL_E_clIS7_S7_PlSB_EEDaSZ_S10_SG_SL_EUlSZ_E_NS1_11comp_targetILNS1_3genE0ELNS1_11target_archE4294967295ELNS1_3gpuE0ELNS1_3repE0EEENS1_47radix_sort_onesweep_sort_config_static_selectorELNS0_4arch9wavefront6targetE1EEEvSG_.has_recursion, 0
	.set _ZN7rocprim17ROCPRIM_400000_NS6detail17trampoline_kernelINS0_14default_configENS1_35radix_sort_onesweep_config_selectorIflEEZZNS1_29radix_sort_onesweep_iterationIS3_Lb0EPfS7_N6thrust23THRUST_200600_302600_NS10device_ptrIlEESB_jNS0_19identity_decomposerENS1_16block_id_wrapperIjLb1EEEEE10hipError_tT1_PNSt15iterator_traitsISG_E10value_typeET2_T3_PNSH_ISM_E10value_typeET4_T5_PSR_SS_PNS1_23onesweep_lookback_stateEbbT6_jjT7_P12ihipStream_tbENKUlT_T0_SG_SL_E_clIS7_S7_PlSB_EEDaSZ_S10_SG_SL_EUlSZ_E_NS1_11comp_targetILNS1_3genE0ELNS1_11target_archE4294967295ELNS1_3gpuE0ELNS1_3repE0EEENS1_47radix_sort_onesweep_sort_config_static_selectorELNS0_4arch9wavefront6targetE1EEEvSG_.has_indirect_call, 0
	.section	.AMDGPU.csdata,"",@progbits
; Kernel info:
; codeLenInByte = 0
; TotalNumSgprs: 4
; NumVgprs: 0
; ScratchSize: 0
; MemoryBound: 0
; FloatMode: 240
; IeeeMode: 1
; LDSByteSize: 0 bytes/workgroup (compile time only)
; SGPRBlocks: 0
; VGPRBlocks: 0
; NumSGPRsForWavesPerEU: 4
; NumVGPRsForWavesPerEU: 1
; Occupancy: 10
; WaveLimiterHint : 0
; COMPUTE_PGM_RSRC2:SCRATCH_EN: 0
; COMPUTE_PGM_RSRC2:USER_SGPR: 6
; COMPUTE_PGM_RSRC2:TRAP_HANDLER: 0
; COMPUTE_PGM_RSRC2:TGID_X_EN: 1
; COMPUTE_PGM_RSRC2:TGID_Y_EN: 0
; COMPUTE_PGM_RSRC2:TGID_Z_EN: 0
; COMPUTE_PGM_RSRC2:TIDIG_COMP_CNT: 0
	.section	.text._ZN7rocprim17ROCPRIM_400000_NS6detail17trampoline_kernelINS0_14default_configENS1_35radix_sort_onesweep_config_selectorIflEEZZNS1_29radix_sort_onesweep_iterationIS3_Lb0EPfS7_N6thrust23THRUST_200600_302600_NS10device_ptrIlEESB_jNS0_19identity_decomposerENS1_16block_id_wrapperIjLb1EEEEE10hipError_tT1_PNSt15iterator_traitsISG_E10value_typeET2_T3_PNSH_ISM_E10value_typeET4_T5_PSR_SS_PNS1_23onesweep_lookback_stateEbbT6_jjT7_P12ihipStream_tbENKUlT_T0_SG_SL_E_clIS7_S7_PlSB_EEDaSZ_S10_SG_SL_EUlSZ_E_NS1_11comp_targetILNS1_3genE6ELNS1_11target_archE950ELNS1_3gpuE13ELNS1_3repE0EEENS1_47radix_sort_onesweep_sort_config_static_selectorELNS0_4arch9wavefront6targetE1EEEvSG_,"axG",@progbits,_ZN7rocprim17ROCPRIM_400000_NS6detail17trampoline_kernelINS0_14default_configENS1_35radix_sort_onesweep_config_selectorIflEEZZNS1_29radix_sort_onesweep_iterationIS3_Lb0EPfS7_N6thrust23THRUST_200600_302600_NS10device_ptrIlEESB_jNS0_19identity_decomposerENS1_16block_id_wrapperIjLb1EEEEE10hipError_tT1_PNSt15iterator_traitsISG_E10value_typeET2_T3_PNSH_ISM_E10value_typeET4_T5_PSR_SS_PNS1_23onesweep_lookback_stateEbbT6_jjT7_P12ihipStream_tbENKUlT_T0_SG_SL_E_clIS7_S7_PlSB_EEDaSZ_S10_SG_SL_EUlSZ_E_NS1_11comp_targetILNS1_3genE6ELNS1_11target_archE950ELNS1_3gpuE13ELNS1_3repE0EEENS1_47radix_sort_onesweep_sort_config_static_selectorELNS0_4arch9wavefront6targetE1EEEvSG_,comdat
	.protected	_ZN7rocprim17ROCPRIM_400000_NS6detail17trampoline_kernelINS0_14default_configENS1_35radix_sort_onesweep_config_selectorIflEEZZNS1_29radix_sort_onesweep_iterationIS3_Lb0EPfS7_N6thrust23THRUST_200600_302600_NS10device_ptrIlEESB_jNS0_19identity_decomposerENS1_16block_id_wrapperIjLb1EEEEE10hipError_tT1_PNSt15iterator_traitsISG_E10value_typeET2_T3_PNSH_ISM_E10value_typeET4_T5_PSR_SS_PNS1_23onesweep_lookback_stateEbbT6_jjT7_P12ihipStream_tbENKUlT_T0_SG_SL_E_clIS7_S7_PlSB_EEDaSZ_S10_SG_SL_EUlSZ_E_NS1_11comp_targetILNS1_3genE6ELNS1_11target_archE950ELNS1_3gpuE13ELNS1_3repE0EEENS1_47radix_sort_onesweep_sort_config_static_selectorELNS0_4arch9wavefront6targetE1EEEvSG_ ; -- Begin function _ZN7rocprim17ROCPRIM_400000_NS6detail17trampoline_kernelINS0_14default_configENS1_35radix_sort_onesweep_config_selectorIflEEZZNS1_29radix_sort_onesweep_iterationIS3_Lb0EPfS7_N6thrust23THRUST_200600_302600_NS10device_ptrIlEESB_jNS0_19identity_decomposerENS1_16block_id_wrapperIjLb1EEEEE10hipError_tT1_PNSt15iterator_traitsISG_E10value_typeET2_T3_PNSH_ISM_E10value_typeET4_T5_PSR_SS_PNS1_23onesweep_lookback_stateEbbT6_jjT7_P12ihipStream_tbENKUlT_T0_SG_SL_E_clIS7_S7_PlSB_EEDaSZ_S10_SG_SL_EUlSZ_E_NS1_11comp_targetILNS1_3genE6ELNS1_11target_archE950ELNS1_3gpuE13ELNS1_3repE0EEENS1_47radix_sort_onesweep_sort_config_static_selectorELNS0_4arch9wavefront6targetE1EEEvSG_
	.globl	_ZN7rocprim17ROCPRIM_400000_NS6detail17trampoline_kernelINS0_14default_configENS1_35radix_sort_onesweep_config_selectorIflEEZZNS1_29radix_sort_onesweep_iterationIS3_Lb0EPfS7_N6thrust23THRUST_200600_302600_NS10device_ptrIlEESB_jNS0_19identity_decomposerENS1_16block_id_wrapperIjLb1EEEEE10hipError_tT1_PNSt15iterator_traitsISG_E10value_typeET2_T3_PNSH_ISM_E10value_typeET4_T5_PSR_SS_PNS1_23onesweep_lookback_stateEbbT6_jjT7_P12ihipStream_tbENKUlT_T0_SG_SL_E_clIS7_S7_PlSB_EEDaSZ_S10_SG_SL_EUlSZ_E_NS1_11comp_targetILNS1_3genE6ELNS1_11target_archE950ELNS1_3gpuE13ELNS1_3repE0EEENS1_47radix_sort_onesweep_sort_config_static_selectorELNS0_4arch9wavefront6targetE1EEEvSG_
	.p2align	8
	.type	_ZN7rocprim17ROCPRIM_400000_NS6detail17trampoline_kernelINS0_14default_configENS1_35radix_sort_onesweep_config_selectorIflEEZZNS1_29radix_sort_onesweep_iterationIS3_Lb0EPfS7_N6thrust23THRUST_200600_302600_NS10device_ptrIlEESB_jNS0_19identity_decomposerENS1_16block_id_wrapperIjLb1EEEEE10hipError_tT1_PNSt15iterator_traitsISG_E10value_typeET2_T3_PNSH_ISM_E10value_typeET4_T5_PSR_SS_PNS1_23onesweep_lookback_stateEbbT6_jjT7_P12ihipStream_tbENKUlT_T0_SG_SL_E_clIS7_S7_PlSB_EEDaSZ_S10_SG_SL_EUlSZ_E_NS1_11comp_targetILNS1_3genE6ELNS1_11target_archE950ELNS1_3gpuE13ELNS1_3repE0EEENS1_47radix_sort_onesweep_sort_config_static_selectorELNS0_4arch9wavefront6targetE1EEEvSG_,@function
_ZN7rocprim17ROCPRIM_400000_NS6detail17trampoline_kernelINS0_14default_configENS1_35radix_sort_onesweep_config_selectorIflEEZZNS1_29radix_sort_onesweep_iterationIS3_Lb0EPfS7_N6thrust23THRUST_200600_302600_NS10device_ptrIlEESB_jNS0_19identity_decomposerENS1_16block_id_wrapperIjLb1EEEEE10hipError_tT1_PNSt15iterator_traitsISG_E10value_typeET2_T3_PNSH_ISM_E10value_typeET4_T5_PSR_SS_PNS1_23onesweep_lookback_stateEbbT6_jjT7_P12ihipStream_tbENKUlT_T0_SG_SL_E_clIS7_S7_PlSB_EEDaSZ_S10_SG_SL_EUlSZ_E_NS1_11comp_targetILNS1_3genE6ELNS1_11target_archE950ELNS1_3gpuE13ELNS1_3repE0EEENS1_47radix_sort_onesweep_sort_config_static_selectorELNS0_4arch9wavefront6targetE1EEEvSG_: ; @_ZN7rocprim17ROCPRIM_400000_NS6detail17trampoline_kernelINS0_14default_configENS1_35radix_sort_onesweep_config_selectorIflEEZZNS1_29radix_sort_onesweep_iterationIS3_Lb0EPfS7_N6thrust23THRUST_200600_302600_NS10device_ptrIlEESB_jNS0_19identity_decomposerENS1_16block_id_wrapperIjLb1EEEEE10hipError_tT1_PNSt15iterator_traitsISG_E10value_typeET2_T3_PNSH_ISM_E10value_typeET4_T5_PSR_SS_PNS1_23onesweep_lookback_stateEbbT6_jjT7_P12ihipStream_tbENKUlT_T0_SG_SL_E_clIS7_S7_PlSB_EEDaSZ_S10_SG_SL_EUlSZ_E_NS1_11comp_targetILNS1_3genE6ELNS1_11target_archE950ELNS1_3gpuE13ELNS1_3repE0EEENS1_47radix_sort_onesweep_sort_config_static_selectorELNS0_4arch9wavefront6targetE1EEEvSG_
; %bb.0:
	.section	.rodata,"a",@progbits
	.p2align	6, 0x0
	.amdhsa_kernel _ZN7rocprim17ROCPRIM_400000_NS6detail17trampoline_kernelINS0_14default_configENS1_35radix_sort_onesweep_config_selectorIflEEZZNS1_29radix_sort_onesweep_iterationIS3_Lb0EPfS7_N6thrust23THRUST_200600_302600_NS10device_ptrIlEESB_jNS0_19identity_decomposerENS1_16block_id_wrapperIjLb1EEEEE10hipError_tT1_PNSt15iterator_traitsISG_E10value_typeET2_T3_PNSH_ISM_E10value_typeET4_T5_PSR_SS_PNS1_23onesweep_lookback_stateEbbT6_jjT7_P12ihipStream_tbENKUlT_T0_SG_SL_E_clIS7_S7_PlSB_EEDaSZ_S10_SG_SL_EUlSZ_E_NS1_11comp_targetILNS1_3genE6ELNS1_11target_archE950ELNS1_3gpuE13ELNS1_3repE0EEENS1_47radix_sort_onesweep_sort_config_static_selectorELNS0_4arch9wavefront6targetE1EEEvSG_
		.amdhsa_group_segment_fixed_size 0
		.amdhsa_private_segment_fixed_size 0
		.amdhsa_kernarg_size 88
		.amdhsa_user_sgpr_count 6
		.amdhsa_user_sgpr_private_segment_buffer 1
		.amdhsa_user_sgpr_dispatch_ptr 0
		.amdhsa_user_sgpr_queue_ptr 0
		.amdhsa_user_sgpr_kernarg_segment_ptr 1
		.amdhsa_user_sgpr_dispatch_id 0
		.amdhsa_user_sgpr_flat_scratch_init 0
		.amdhsa_user_sgpr_private_segment_size 0
		.amdhsa_uses_dynamic_stack 0
		.amdhsa_system_sgpr_private_segment_wavefront_offset 0
		.amdhsa_system_sgpr_workgroup_id_x 1
		.amdhsa_system_sgpr_workgroup_id_y 0
		.amdhsa_system_sgpr_workgroup_id_z 0
		.amdhsa_system_sgpr_workgroup_info 0
		.amdhsa_system_vgpr_workitem_id 0
		.amdhsa_next_free_vgpr 1
		.amdhsa_next_free_sgpr 0
		.amdhsa_reserve_vcc 0
		.amdhsa_reserve_flat_scratch 0
		.amdhsa_float_round_mode_32 0
		.amdhsa_float_round_mode_16_64 0
		.amdhsa_float_denorm_mode_32 3
		.amdhsa_float_denorm_mode_16_64 3
		.amdhsa_dx10_clamp 1
		.amdhsa_ieee_mode 1
		.amdhsa_fp16_overflow 0
		.amdhsa_exception_fp_ieee_invalid_op 0
		.amdhsa_exception_fp_denorm_src 0
		.amdhsa_exception_fp_ieee_div_zero 0
		.amdhsa_exception_fp_ieee_overflow 0
		.amdhsa_exception_fp_ieee_underflow 0
		.amdhsa_exception_fp_ieee_inexact 0
		.amdhsa_exception_int_div_zero 0
	.end_amdhsa_kernel
	.section	.text._ZN7rocprim17ROCPRIM_400000_NS6detail17trampoline_kernelINS0_14default_configENS1_35radix_sort_onesweep_config_selectorIflEEZZNS1_29radix_sort_onesweep_iterationIS3_Lb0EPfS7_N6thrust23THRUST_200600_302600_NS10device_ptrIlEESB_jNS0_19identity_decomposerENS1_16block_id_wrapperIjLb1EEEEE10hipError_tT1_PNSt15iterator_traitsISG_E10value_typeET2_T3_PNSH_ISM_E10value_typeET4_T5_PSR_SS_PNS1_23onesweep_lookback_stateEbbT6_jjT7_P12ihipStream_tbENKUlT_T0_SG_SL_E_clIS7_S7_PlSB_EEDaSZ_S10_SG_SL_EUlSZ_E_NS1_11comp_targetILNS1_3genE6ELNS1_11target_archE950ELNS1_3gpuE13ELNS1_3repE0EEENS1_47radix_sort_onesweep_sort_config_static_selectorELNS0_4arch9wavefront6targetE1EEEvSG_,"axG",@progbits,_ZN7rocprim17ROCPRIM_400000_NS6detail17trampoline_kernelINS0_14default_configENS1_35radix_sort_onesweep_config_selectorIflEEZZNS1_29radix_sort_onesweep_iterationIS3_Lb0EPfS7_N6thrust23THRUST_200600_302600_NS10device_ptrIlEESB_jNS0_19identity_decomposerENS1_16block_id_wrapperIjLb1EEEEE10hipError_tT1_PNSt15iterator_traitsISG_E10value_typeET2_T3_PNSH_ISM_E10value_typeET4_T5_PSR_SS_PNS1_23onesweep_lookback_stateEbbT6_jjT7_P12ihipStream_tbENKUlT_T0_SG_SL_E_clIS7_S7_PlSB_EEDaSZ_S10_SG_SL_EUlSZ_E_NS1_11comp_targetILNS1_3genE6ELNS1_11target_archE950ELNS1_3gpuE13ELNS1_3repE0EEENS1_47radix_sort_onesweep_sort_config_static_selectorELNS0_4arch9wavefront6targetE1EEEvSG_,comdat
.Lfunc_end1853:
	.size	_ZN7rocprim17ROCPRIM_400000_NS6detail17trampoline_kernelINS0_14default_configENS1_35radix_sort_onesweep_config_selectorIflEEZZNS1_29radix_sort_onesweep_iterationIS3_Lb0EPfS7_N6thrust23THRUST_200600_302600_NS10device_ptrIlEESB_jNS0_19identity_decomposerENS1_16block_id_wrapperIjLb1EEEEE10hipError_tT1_PNSt15iterator_traitsISG_E10value_typeET2_T3_PNSH_ISM_E10value_typeET4_T5_PSR_SS_PNS1_23onesweep_lookback_stateEbbT6_jjT7_P12ihipStream_tbENKUlT_T0_SG_SL_E_clIS7_S7_PlSB_EEDaSZ_S10_SG_SL_EUlSZ_E_NS1_11comp_targetILNS1_3genE6ELNS1_11target_archE950ELNS1_3gpuE13ELNS1_3repE0EEENS1_47radix_sort_onesweep_sort_config_static_selectorELNS0_4arch9wavefront6targetE1EEEvSG_, .Lfunc_end1853-_ZN7rocprim17ROCPRIM_400000_NS6detail17trampoline_kernelINS0_14default_configENS1_35radix_sort_onesweep_config_selectorIflEEZZNS1_29radix_sort_onesweep_iterationIS3_Lb0EPfS7_N6thrust23THRUST_200600_302600_NS10device_ptrIlEESB_jNS0_19identity_decomposerENS1_16block_id_wrapperIjLb1EEEEE10hipError_tT1_PNSt15iterator_traitsISG_E10value_typeET2_T3_PNSH_ISM_E10value_typeET4_T5_PSR_SS_PNS1_23onesweep_lookback_stateEbbT6_jjT7_P12ihipStream_tbENKUlT_T0_SG_SL_E_clIS7_S7_PlSB_EEDaSZ_S10_SG_SL_EUlSZ_E_NS1_11comp_targetILNS1_3genE6ELNS1_11target_archE950ELNS1_3gpuE13ELNS1_3repE0EEENS1_47radix_sort_onesweep_sort_config_static_selectorELNS0_4arch9wavefront6targetE1EEEvSG_
                                        ; -- End function
	.set _ZN7rocprim17ROCPRIM_400000_NS6detail17trampoline_kernelINS0_14default_configENS1_35radix_sort_onesweep_config_selectorIflEEZZNS1_29radix_sort_onesweep_iterationIS3_Lb0EPfS7_N6thrust23THRUST_200600_302600_NS10device_ptrIlEESB_jNS0_19identity_decomposerENS1_16block_id_wrapperIjLb1EEEEE10hipError_tT1_PNSt15iterator_traitsISG_E10value_typeET2_T3_PNSH_ISM_E10value_typeET4_T5_PSR_SS_PNS1_23onesweep_lookback_stateEbbT6_jjT7_P12ihipStream_tbENKUlT_T0_SG_SL_E_clIS7_S7_PlSB_EEDaSZ_S10_SG_SL_EUlSZ_E_NS1_11comp_targetILNS1_3genE6ELNS1_11target_archE950ELNS1_3gpuE13ELNS1_3repE0EEENS1_47radix_sort_onesweep_sort_config_static_selectorELNS0_4arch9wavefront6targetE1EEEvSG_.num_vgpr, 0
	.set _ZN7rocprim17ROCPRIM_400000_NS6detail17trampoline_kernelINS0_14default_configENS1_35radix_sort_onesweep_config_selectorIflEEZZNS1_29radix_sort_onesweep_iterationIS3_Lb0EPfS7_N6thrust23THRUST_200600_302600_NS10device_ptrIlEESB_jNS0_19identity_decomposerENS1_16block_id_wrapperIjLb1EEEEE10hipError_tT1_PNSt15iterator_traitsISG_E10value_typeET2_T3_PNSH_ISM_E10value_typeET4_T5_PSR_SS_PNS1_23onesweep_lookback_stateEbbT6_jjT7_P12ihipStream_tbENKUlT_T0_SG_SL_E_clIS7_S7_PlSB_EEDaSZ_S10_SG_SL_EUlSZ_E_NS1_11comp_targetILNS1_3genE6ELNS1_11target_archE950ELNS1_3gpuE13ELNS1_3repE0EEENS1_47radix_sort_onesweep_sort_config_static_selectorELNS0_4arch9wavefront6targetE1EEEvSG_.num_agpr, 0
	.set _ZN7rocprim17ROCPRIM_400000_NS6detail17trampoline_kernelINS0_14default_configENS1_35radix_sort_onesweep_config_selectorIflEEZZNS1_29radix_sort_onesweep_iterationIS3_Lb0EPfS7_N6thrust23THRUST_200600_302600_NS10device_ptrIlEESB_jNS0_19identity_decomposerENS1_16block_id_wrapperIjLb1EEEEE10hipError_tT1_PNSt15iterator_traitsISG_E10value_typeET2_T3_PNSH_ISM_E10value_typeET4_T5_PSR_SS_PNS1_23onesweep_lookback_stateEbbT6_jjT7_P12ihipStream_tbENKUlT_T0_SG_SL_E_clIS7_S7_PlSB_EEDaSZ_S10_SG_SL_EUlSZ_E_NS1_11comp_targetILNS1_3genE6ELNS1_11target_archE950ELNS1_3gpuE13ELNS1_3repE0EEENS1_47radix_sort_onesweep_sort_config_static_selectorELNS0_4arch9wavefront6targetE1EEEvSG_.numbered_sgpr, 0
	.set _ZN7rocprim17ROCPRIM_400000_NS6detail17trampoline_kernelINS0_14default_configENS1_35radix_sort_onesweep_config_selectorIflEEZZNS1_29radix_sort_onesweep_iterationIS3_Lb0EPfS7_N6thrust23THRUST_200600_302600_NS10device_ptrIlEESB_jNS0_19identity_decomposerENS1_16block_id_wrapperIjLb1EEEEE10hipError_tT1_PNSt15iterator_traitsISG_E10value_typeET2_T3_PNSH_ISM_E10value_typeET4_T5_PSR_SS_PNS1_23onesweep_lookback_stateEbbT6_jjT7_P12ihipStream_tbENKUlT_T0_SG_SL_E_clIS7_S7_PlSB_EEDaSZ_S10_SG_SL_EUlSZ_E_NS1_11comp_targetILNS1_3genE6ELNS1_11target_archE950ELNS1_3gpuE13ELNS1_3repE0EEENS1_47radix_sort_onesweep_sort_config_static_selectorELNS0_4arch9wavefront6targetE1EEEvSG_.num_named_barrier, 0
	.set _ZN7rocprim17ROCPRIM_400000_NS6detail17trampoline_kernelINS0_14default_configENS1_35radix_sort_onesweep_config_selectorIflEEZZNS1_29radix_sort_onesweep_iterationIS3_Lb0EPfS7_N6thrust23THRUST_200600_302600_NS10device_ptrIlEESB_jNS0_19identity_decomposerENS1_16block_id_wrapperIjLb1EEEEE10hipError_tT1_PNSt15iterator_traitsISG_E10value_typeET2_T3_PNSH_ISM_E10value_typeET4_T5_PSR_SS_PNS1_23onesweep_lookback_stateEbbT6_jjT7_P12ihipStream_tbENKUlT_T0_SG_SL_E_clIS7_S7_PlSB_EEDaSZ_S10_SG_SL_EUlSZ_E_NS1_11comp_targetILNS1_3genE6ELNS1_11target_archE950ELNS1_3gpuE13ELNS1_3repE0EEENS1_47radix_sort_onesweep_sort_config_static_selectorELNS0_4arch9wavefront6targetE1EEEvSG_.private_seg_size, 0
	.set _ZN7rocprim17ROCPRIM_400000_NS6detail17trampoline_kernelINS0_14default_configENS1_35radix_sort_onesweep_config_selectorIflEEZZNS1_29radix_sort_onesweep_iterationIS3_Lb0EPfS7_N6thrust23THRUST_200600_302600_NS10device_ptrIlEESB_jNS0_19identity_decomposerENS1_16block_id_wrapperIjLb1EEEEE10hipError_tT1_PNSt15iterator_traitsISG_E10value_typeET2_T3_PNSH_ISM_E10value_typeET4_T5_PSR_SS_PNS1_23onesweep_lookback_stateEbbT6_jjT7_P12ihipStream_tbENKUlT_T0_SG_SL_E_clIS7_S7_PlSB_EEDaSZ_S10_SG_SL_EUlSZ_E_NS1_11comp_targetILNS1_3genE6ELNS1_11target_archE950ELNS1_3gpuE13ELNS1_3repE0EEENS1_47radix_sort_onesweep_sort_config_static_selectorELNS0_4arch9wavefront6targetE1EEEvSG_.uses_vcc, 0
	.set _ZN7rocprim17ROCPRIM_400000_NS6detail17trampoline_kernelINS0_14default_configENS1_35radix_sort_onesweep_config_selectorIflEEZZNS1_29radix_sort_onesweep_iterationIS3_Lb0EPfS7_N6thrust23THRUST_200600_302600_NS10device_ptrIlEESB_jNS0_19identity_decomposerENS1_16block_id_wrapperIjLb1EEEEE10hipError_tT1_PNSt15iterator_traitsISG_E10value_typeET2_T3_PNSH_ISM_E10value_typeET4_T5_PSR_SS_PNS1_23onesweep_lookback_stateEbbT6_jjT7_P12ihipStream_tbENKUlT_T0_SG_SL_E_clIS7_S7_PlSB_EEDaSZ_S10_SG_SL_EUlSZ_E_NS1_11comp_targetILNS1_3genE6ELNS1_11target_archE950ELNS1_3gpuE13ELNS1_3repE0EEENS1_47radix_sort_onesweep_sort_config_static_selectorELNS0_4arch9wavefront6targetE1EEEvSG_.uses_flat_scratch, 0
	.set _ZN7rocprim17ROCPRIM_400000_NS6detail17trampoline_kernelINS0_14default_configENS1_35radix_sort_onesweep_config_selectorIflEEZZNS1_29radix_sort_onesweep_iterationIS3_Lb0EPfS7_N6thrust23THRUST_200600_302600_NS10device_ptrIlEESB_jNS0_19identity_decomposerENS1_16block_id_wrapperIjLb1EEEEE10hipError_tT1_PNSt15iterator_traitsISG_E10value_typeET2_T3_PNSH_ISM_E10value_typeET4_T5_PSR_SS_PNS1_23onesweep_lookback_stateEbbT6_jjT7_P12ihipStream_tbENKUlT_T0_SG_SL_E_clIS7_S7_PlSB_EEDaSZ_S10_SG_SL_EUlSZ_E_NS1_11comp_targetILNS1_3genE6ELNS1_11target_archE950ELNS1_3gpuE13ELNS1_3repE0EEENS1_47radix_sort_onesweep_sort_config_static_selectorELNS0_4arch9wavefront6targetE1EEEvSG_.has_dyn_sized_stack, 0
	.set _ZN7rocprim17ROCPRIM_400000_NS6detail17trampoline_kernelINS0_14default_configENS1_35radix_sort_onesweep_config_selectorIflEEZZNS1_29radix_sort_onesweep_iterationIS3_Lb0EPfS7_N6thrust23THRUST_200600_302600_NS10device_ptrIlEESB_jNS0_19identity_decomposerENS1_16block_id_wrapperIjLb1EEEEE10hipError_tT1_PNSt15iterator_traitsISG_E10value_typeET2_T3_PNSH_ISM_E10value_typeET4_T5_PSR_SS_PNS1_23onesweep_lookback_stateEbbT6_jjT7_P12ihipStream_tbENKUlT_T0_SG_SL_E_clIS7_S7_PlSB_EEDaSZ_S10_SG_SL_EUlSZ_E_NS1_11comp_targetILNS1_3genE6ELNS1_11target_archE950ELNS1_3gpuE13ELNS1_3repE0EEENS1_47radix_sort_onesweep_sort_config_static_selectorELNS0_4arch9wavefront6targetE1EEEvSG_.has_recursion, 0
	.set _ZN7rocprim17ROCPRIM_400000_NS6detail17trampoline_kernelINS0_14default_configENS1_35radix_sort_onesweep_config_selectorIflEEZZNS1_29radix_sort_onesweep_iterationIS3_Lb0EPfS7_N6thrust23THRUST_200600_302600_NS10device_ptrIlEESB_jNS0_19identity_decomposerENS1_16block_id_wrapperIjLb1EEEEE10hipError_tT1_PNSt15iterator_traitsISG_E10value_typeET2_T3_PNSH_ISM_E10value_typeET4_T5_PSR_SS_PNS1_23onesweep_lookback_stateEbbT6_jjT7_P12ihipStream_tbENKUlT_T0_SG_SL_E_clIS7_S7_PlSB_EEDaSZ_S10_SG_SL_EUlSZ_E_NS1_11comp_targetILNS1_3genE6ELNS1_11target_archE950ELNS1_3gpuE13ELNS1_3repE0EEENS1_47radix_sort_onesweep_sort_config_static_selectorELNS0_4arch9wavefront6targetE1EEEvSG_.has_indirect_call, 0
	.section	.AMDGPU.csdata,"",@progbits
; Kernel info:
; codeLenInByte = 0
; TotalNumSgprs: 4
; NumVgprs: 0
; ScratchSize: 0
; MemoryBound: 0
; FloatMode: 240
; IeeeMode: 1
; LDSByteSize: 0 bytes/workgroup (compile time only)
; SGPRBlocks: 0
; VGPRBlocks: 0
; NumSGPRsForWavesPerEU: 4
; NumVGPRsForWavesPerEU: 1
; Occupancy: 10
; WaveLimiterHint : 0
; COMPUTE_PGM_RSRC2:SCRATCH_EN: 0
; COMPUTE_PGM_RSRC2:USER_SGPR: 6
; COMPUTE_PGM_RSRC2:TRAP_HANDLER: 0
; COMPUTE_PGM_RSRC2:TGID_X_EN: 1
; COMPUTE_PGM_RSRC2:TGID_Y_EN: 0
; COMPUTE_PGM_RSRC2:TGID_Z_EN: 0
; COMPUTE_PGM_RSRC2:TIDIG_COMP_CNT: 0
	.section	.text._ZN7rocprim17ROCPRIM_400000_NS6detail17trampoline_kernelINS0_14default_configENS1_35radix_sort_onesweep_config_selectorIflEEZZNS1_29radix_sort_onesweep_iterationIS3_Lb0EPfS7_N6thrust23THRUST_200600_302600_NS10device_ptrIlEESB_jNS0_19identity_decomposerENS1_16block_id_wrapperIjLb1EEEEE10hipError_tT1_PNSt15iterator_traitsISG_E10value_typeET2_T3_PNSH_ISM_E10value_typeET4_T5_PSR_SS_PNS1_23onesweep_lookback_stateEbbT6_jjT7_P12ihipStream_tbENKUlT_T0_SG_SL_E_clIS7_S7_PlSB_EEDaSZ_S10_SG_SL_EUlSZ_E_NS1_11comp_targetILNS1_3genE5ELNS1_11target_archE942ELNS1_3gpuE9ELNS1_3repE0EEENS1_47radix_sort_onesweep_sort_config_static_selectorELNS0_4arch9wavefront6targetE1EEEvSG_,"axG",@progbits,_ZN7rocprim17ROCPRIM_400000_NS6detail17trampoline_kernelINS0_14default_configENS1_35radix_sort_onesweep_config_selectorIflEEZZNS1_29radix_sort_onesweep_iterationIS3_Lb0EPfS7_N6thrust23THRUST_200600_302600_NS10device_ptrIlEESB_jNS0_19identity_decomposerENS1_16block_id_wrapperIjLb1EEEEE10hipError_tT1_PNSt15iterator_traitsISG_E10value_typeET2_T3_PNSH_ISM_E10value_typeET4_T5_PSR_SS_PNS1_23onesweep_lookback_stateEbbT6_jjT7_P12ihipStream_tbENKUlT_T0_SG_SL_E_clIS7_S7_PlSB_EEDaSZ_S10_SG_SL_EUlSZ_E_NS1_11comp_targetILNS1_3genE5ELNS1_11target_archE942ELNS1_3gpuE9ELNS1_3repE0EEENS1_47radix_sort_onesweep_sort_config_static_selectorELNS0_4arch9wavefront6targetE1EEEvSG_,comdat
	.protected	_ZN7rocprim17ROCPRIM_400000_NS6detail17trampoline_kernelINS0_14default_configENS1_35radix_sort_onesweep_config_selectorIflEEZZNS1_29radix_sort_onesweep_iterationIS3_Lb0EPfS7_N6thrust23THRUST_200600_302600_NS10device_ptrIlEESB_jNS0_19identity_decomposerENS1_16block_id_wrapperIjLb1EEEEE10hipError_tT1_PNSt15iterator_traitsISG_E10value_typeET2_T3_PNSH_ISM_E10value_typeET4_T5_PSR_SS_PNS1_23onesweep_lookback_stateEbbT6_jjT7_P12ihipStream_tbENKUlT_T0_SG_SL_E_clIS7_S7_PlSB_EEDaSZ_S10_SG_SL_EUlSZ_E_NS1_11comp_targetILNS1_3genE5ELNS1_11target_archE942ELNS1_3gpuE9ELNS1_3repE0EEENS1_47radix_sort_onesweep_sort_config_static_selectorELNS0_4arch9wavefront6targetE1EEEvSG_ ; -- Begin function _ZN7rocprim17ROCPRIM_400000_NS6detail17trampoline_kernelINS0_14default_configENS1_35radix_sort_onesweep_config_selectorIflEEZZNS1_29radix_sort_onesweep_iterationIS3_Lb0EPfS7_N6thrust23THRUST_200600_302600_NS10device_ptrIlEESB_jNS0_19identity_decomposerENS1_16block_id_wrapperIjLb1EEEEE10hipError_tT1_PNSt15iterator_traitsISG_E10value_typeET2_T3_PNSH_ISM_E10value_typeET4_T5_PSR_SS_PNS1_23onesweep_lookback_stateEbbT6_jjT7_P12ihipStream_tbENKUlT_T0_SG_SL_E_clIS7_S7_PlSB_EEDaSZ_S10_SG_SL_EUlSZ_E_NS1_11comp_targetILNS1_3genE5ELNS1_11target_archE942ELNS1_3gpuE9ELNS1_3repE0EEENS1_47radix_sort_onesweep_sort_config_static_selectorELNS0_4arch9wavefront6targetE1EEEvSG_
	.globl	_ZN7rocprim17ROCPRIM_400000_NS6detail17trampoline_kernelINS0_14default_configENS1_35radix_sort_onesweep_config_selectorIflEEZZNS1_29radix_sort_onesweep_iterationIS3_Lb0EPfS7_N6thrust23THRUST_200600_302600_NS10device_ptrIlEESB_jNS0_19identity_decomposerENS1_16block_id_wrapperIjLb1EEEEE10hipError_tT1_PNSt15iterator_traitsISG_E10value_typeET2_T3_PNSH_ISM_E10value_typeET4_T5_PSR_SS_PNS1_23onesweep_lookback_stateEbbT6_jjT7_P12ihipStream_tbENKUlT_T0_SG_SL_E_clIS7_S7_PlSB_EEDaSZ_S10_SG_SL_EUlSZ_E_NS1_11comp_targetILNS1_3genE5ELNS1_11target_archE942ELNS1_3gpuE9ELNS1_3repE0EEENS1_47radix_sort_onesweep_sort_config_static_selectorELNS0_4arch9wavefront6targetE1EEEvSG_
	.p2align	8
	.type	_ZN7rocprim17ROCPRIM_400000_NS6detail17trampoline_kernelINS0_14default_configENS1_35radix_sort_onesweep_config_selectorIflEEZZNS1_29radix_sort_onesweep_iterationIS3_Lb0EPfS7_N6thrust23THRUST_200600_302600_NS10device_ptrIlEESB_jNS0_19identity_decomposerENS1_16block_id_wrapperIjLb1EEEEE10hipError_tT1_PNSt15iterator_traitsISG_E10value_typeET2_T3_PNSH_ISM_E10value_typeET4_T5_PSR_SS_PNS1_23onesweep_lookback_stateEbbT6_jjT7_P12ihipStream_tbENKUlT_T0_SG_SL_E_clIS7_S7_PlSB_EEDaSZ_S10_SG_SL_EUlSZ_E_NS1_11comp_targetILNS1_3genE5ELNS1_11target_archE942ELNS1_3gpuE9ELNS1_3repE0EEENS1_47radix_sort_onesweep_sort_config_static_selectorELNS0_4arch9wavefront6targetE1EEEvSG_,@function
_ZN7rocprim17ROCPRIM_400000_NS6detail17trampoline_kernelINS0_14default_configENS1_35radix_sort_onesweep_config_selectorIflEEZZNS1_29radix_sort_onesweep_iterationIS3_Lb0EPfS7_N6thrust23THRUST_200600_302600_NS10device_ptrIlEESB_jNS0_19identity_decomposerENS1_16block_id_wrapperIjLb1EEEEE10hipError_tT1_PNSt15iterator_traitsISG_E10value_typeET2_T3_PNSH_ISM_E10value_typeET4_T5_PSR_SS_PNS1_23onesweep_lookback_stateEbbT6_jjT7_P12ihipStream_tbENKUlT_T0_SG_SL_E_clIS7_S7_PlSB_EEDaSZ_S10_SG_SL_EUlSZ_E_NS1_11comp_targetILNS1_3genE5ELNS1_11target_archE942ELNS1_3gpuE9ELNS1_3repE0EEENS1_47radix_sort_onesweep_sort_config_static_selectorELNS0_4arch9wavefront6targetE1EEEvSG_: ; @_ZN7rocprim17ROCPRIM_400000_NS6detail17trampoline_kernelINS0_14default_configENS1_35radix_sort_onesweep_config_selectorIflEEZZNS1_29radix_sort_onesweep_iterationIS3_Lb0EPfS7_N6thrust23THRUST_200600_302600_NS10device_ptrIlEESB_jNS0_19identity_decomposerENS1_16block_id_wrapperIjLb1EEEEE10hipError_tT1_PNSt15iterator_traitsISG_E10value_typeET2_T3_PNSH_ISM_E10value_typeET4_T5_PSR_SS_PNS1_23onesweep_lookback_stateEbbT6_jjT7_P12ihipStream_tbENKUlT_T0_SG_SL_E_clIS7_S7_PlSB_EEDaSZ_S10_SG_SL_EUlSZ_E_NS1_11comp_targetILNS1_3genE5ELNS1_11target_archE942ELNS1_3gpuE9ELNS1_3repE0EEENS1_47radix_sort_onesweep_sort_config_static_selectorELNS0_4arch9wavefront6targetE1EEEvSG_
; %bb.0:
	.section	.rodata,"a",@progbits
	.p2align	6, 0x0
	.amdhsa_kernel _ZN7rocprim17ROCPRIM_400000_NS6detail17trampoline_kernelINS0_14default_configENS1_35radix_sort_onesweep_config_selectorIflEEZZNS1_29radix_sort_onesweep_iterationIS3_Lb0EPfS7_N6thrust23THRUST_200600_302600_NS10device_ptrIlEESB_jNS0_19identity_decomposerENS1_16block_id_wrapperIjLb1EEEEE10hipError_tT1_PNSt15iterator_traitsISG_E10value_typeET2_T3_PNSH_ISM_E10value_typeET4_T5_PSR_SS_PNS1_23onesweep_lookback_stateEbbT6_jjT7_P12ihipStream_tbENKUlT_T0_SG_SL_E_clIS7_S7_PlSB_EEDaSZ_S10_SG_SL_EUlSZ_E_NS1_11comp_targetILNS1_3genE5ELNS1_11target_archE942ELNS1_3gpuE9ELNS1_3repE0EEENS1_47radix_sort_onesweep_sort_config_static_selectorELNS0_4arch9wavefront6targetE1EEEvSG_
		.amdhsa_group_segment_fixed_size 0
		.amdhsa_private_segment_fixed_size 0
		.amdhsa_kernarg_size 88
		.amdhsa_user_sgpr_count 6
		.amdhsa_user_sgpr_private_segment_buffer 1
		.amdhsa_user_sgpr_dispatch_ptr 0
		.amdhsa_user_sgpr_queue_ptr 0
		.amdhsa_user_sgpr_kernarg_segment_ptr 1
		.amdhsa_user_sgpr_dispatch_id 0
		.amdhsa_user_sgpr_flat_scratch_init 0
		.amdhsa_user_sgpr_private_segment_size 0
		.amdhsa_uses_dynamic_stack 0
		.amdhsa_system_sgpr_private_segment_wavefront_offset 0
		.amdhsa_system_sgpr_workgroup_id_x 1
		.amdhsa_system_sgpr_workgroup_id_y 0
		.amdhsa_system_sgpr_workgroup_id_z 0
		.amdhsa_system_sgpr_workgroup_info 0
		.amdhsa_system_vgpr_workitem_id 0
		.amdhsa_next_free_vgpr 1
		.amdhsa_next_free_sgpr 0
		.amdhsa_reserve_vcc 0
		.amdhsa_reserve_flat_scratch 0
		.amdhsa_float_round_mode_32 0
		.amdhsa_float_round_mode_16_64 0
		.amdhsa_float_denorm_mode_32 3
		.amdhsa_float_denorm_mode_16_64 3
		.amdhsa_dx10_clamp 1
		.amdhsa_ieee_mode 1
		.amdhsa_fp16_overflow 0
		.amdhsa_exception_fp_ieee_invalid_op 0
		.amdhsa_exception_fp_denorm_src 0
		.amdhsa_exception_fp_ieee_div_zero 0
		.amdhsa_exception_fp_ieee_overflow 0
		.amdhsa_exception_fp_ieee_underflow 0
		.amdhsa_exception_fp_ieee_inexact 0
		.amdhsa_exception_int_div_zero 0
	.end_amdhsa_kernel
	.section	.text._ZN7rocprim17ROCPRIM_400000_NS6detail17trampoline_kernelINS0_14default_configENS1_35radix_sort_onesweep_config_selectorIflEEZZNS1_29radix_sort_onesweep_iterationIS3_Lb0EPfS7_N6thrust23THRUST_200600_302600_NS10device_ptrIlEESB_jNS0_19identity_decomposerENS1_16block_id_wrapperIjLb1EEEEE10hipError_tT1_PNSt15iterator_traitsISG_E10value_typeET2_T3_PNSH_ISM_E10value_typeET4_T5_PSR_SS_PNS1_23onesweep_lookback_stateEbbT6_jjT7_P12ihipStream_tbENKUlT_T0_SG_SL_E_clIS7_S7_PlSB_EEDaSZ_S10_SG_SL_EUlSZ_E_NS1_11comp_targetILNS1_3genE5ELNS1_11target_archE942ELNS1_3gpuE9ELNS1_3repE0EEENS1_47radix_sort_onesweep_sort_config_static_selectorELNS0_4arch9wavefront6targetE1EEEvSG_,"axG",@progbits,_ZN7rocprim17ROCPRIM_400000_NS6detail17trampoline_kernelINS0_14default_configENS1_35radix_sort_onesweep_config_selectorIflEEZZNS1_29radix_sort_onesweep_iterationIS3_Lb0EPfS7_N6thrust23THRUST_200600_302600_NS10device_ptrIlEESB_jNS0_19identity_decomposerENS1_16block_id_wrapperIjLb1EEEEE10hipError_tT1_PNSt15iterator_traitsISG_E10value_typeET2_T3_PNSH_ISM_E10value_typeET4_T5_PSR_SS_PNS1_23onesweep_lookback_stateEbbT6_jjT7_P12ihipStream_tbENKUlT_T0_SG_SL_E_clIS7_S7_PlSB_EEDaSZ_S10_SG_SL_EUlSZ_E_NS1_11comp_targetILNS1_3genE5ELNS1_11target_archE942ELNS1_3gpuE9ELNS1_3repE0EEENS1_47radix_sort_onesweep_sort_config_static_selectorELNS0_4arch9wavefront6targetE1EEEvSG_,comdat
.Lfunc_end1854:
	.size	_ZN7rocprim17ROCPRIM_400000_NS6detail17trampoline_kernelINS0_14default_configENS1_35radix_sort_onesweep_config_selectorIflEEZZNS1_29radix_sort_onesweep_iterationIS3_Lb0EPfS7_N6thrust23THRUST_200600_302600_NS10device_ptrIlEESB_jNS0_19identity_decomposerENS1_16block_id_wrapperIjLb1EEEEE10hipError_tT1_PNSt15iterator_traitsISG_E10value_typeET2_T3_PNSH_ISM_E10value_typeET4_T5_PSR_SS_PNS1_23onesweep_lookback_stateEbbT6_jjT7_P12ihipStream_tbENKUlT_T0_SG_SL_E_clIS7_S7_PlSB_EEDaSZ_S10_SG_SL_EUlSZ_E_NS1_11comp_targetILNS1_3genE5ELNS1_11target_archE942ELNS1_3gpuE9ELNS1_3repE0EEENS1_47radix_sort_onesweep_sort_config_static_selectorELNS0_4arch9wavefront6targetE1EEEvSG_, .Lfunc_end1854-_ZN7rocprim17ROCPRIM_400000_NS6detail17trampoline_kernelINS0_14default_configENS1_35radix_sort_onesweep_config_selectorIflEEZZNS1_29radix_sort_onesweep_iterationIS3_Lb0EPfS7_N6thrust23THRUST_200600_302600_NS10device_ptrIlEESB_jNS0_19identity_decomposerENS1_16block_id_wrapperIjLb1EEEEE10hipError_tT1_PNSt15iterator_traitsISG_E10value_typeET2_T3_PNSH_ISM_E10value_typeET4_T5_PSR_SS_PNS1_23onesweep_lookback_stateEbbT6_jjT7_P12ihipStream_tbENKUlT_T0_SG_SL_E_clIS7_S7_PlSB_EEDaSZ_S10_SG_SL_EUlSZ_E_NS1_11comp_targetILNS1_3genE5ELNS1_11target_archE942ELNS1_3gpuE9ELNS1_3repE0EEENS1_47radix_sort_onesweep_sort_config_static_selectorELNS0_4arch9wavefront6targetE1EEEvSG_
                                        ; -- End function
	.set _ZN7rocprim17ROCPRIM_400000_NS6detail17trampoline_kernelINS0_14default_configENS1_35radix_sort_onesweep_config_selectorIflEEZZNS1_29radix_sort_onesweep_iterationIS3_Lb0EPfS7_N6thrust23THRUST_200600_302600_NS10device_ptrIlEESB_jNS0_19identity_decomposerENS1_16block_id_wrapperIjLb1EEEEE10hipError_tT1_PNSt15iterator_traitsISG_E10value_typeET2_T3_PNSH_ISM_E10value_typeET4_T5_PSR_SS_PNS1_23onesweep_lookback_stateEbbT6_jjT7_P12ihipStream_tbENKUlT_T0_SG_SL_E_clIS7_S7_PlSB_EEDaSZ_S10_SG_SL_EUlSZ_E_NS1_11comp_targetILNS1_3genE5ELNS1_11target_archE942ELNS1_3gpuE9ELNS1_3repE0EEENS1_47radix_sort_onesweep_sort_config_static_selectorELNS0_4arch9wavefront6targetE1EEEvSG_.num_vgpr, 0
	.set _ZN7rocprim17ROCPRIM_400000_NS6detail17trampoline_kernelINS0_14default_configENS1_35radix_sort_onesweep_config_selectorIflEEZZNS1_29radix_sort_onesweep_iterationIS3_Lb0EPfS7_N6thrust23THRUST_200600_302600_NS10device_ptrIlEESB_jNS0_19identity_decomposerENS1_16block_id_wrapperIjLb1EEEEE10hipError_tT1_PNSt15iterator_traitsISG_E10value_typeET2_T3_PNSH_ISM_E10value_typeET4_T5_PSR_SS_PNS1_23onesweep_lookback_stateEbbT6_jjT7_P12ihipStream_tbENKUlT_T0_SG_SL_E_clIS7_S7_PlSB_EEDaSZ_S10_SG_SL_EUlSZ_E_NS1_11comp_targetILNS1_3genE5ELNS1_11target_archE942ELNS1_3gpuE9ELNS1_3repE0EEENS1_47radix_sort_onesweep_sort_config_static_selectorELNS0_4arch9wavefront6targetE1EEEvSG_.num_agpr, 0
	.set _ZN7rocprim17ROCPRIM_400000_NS6detail17trampoline_kernelINS0_14default_configENS1_35radix_sort_onesweep_config_selectorIflEEZZNS1_29radix_sort_onesweep_iterationIS3_Lb0EPfS7_N6thrust23THRUST_200600_302600_NS10device_ptrIlEESB_jNS0_19identity_decomposerENS1_16block_id_wrapperIjLb1EEEEE10hipError_tT1_PNSt15iterator_traitsISG_E10value_typeET2_T3_PNSH_ISM_E10value_typeET4_T5_PSR_SS_PNS1_23onesweep_lookback_stateEbbT6_jjT7_P12ihipStream_tbENKUlT_T0_SG_SL_E_clIS7_S7_PlSB_EEDaSZ_S10_SG_SL_EUlSZ_E_NS1_11comp_targetILNS1_3genE5ELNS1_11target_archE942ELNS1_3gpuE9ELNS1_3repE0EEENS1_47radix_sort_onesweep_sort_config_static_selectorELNS0_4arch9wavefront6targetE1EEEvSG_.numbered_sgpr, 0
	.set _ZN7rocprim17ROCPRIM_400000_NS6detail17trampoline_kernelINS0_14default_configENS1_35radix_sort_onesweep_config_selectorIflEEZZNS1_29radix_sort_onesweep_iterationIS3_Lb0EPfS7_N6thrust23THRUST_200600_302600_NS10device_ptrIlEESB_jNS0_19identity_decomposerENS1_16block_id_wrapperIjLb1EEEEE10hipError_tT1_PNSt15iterator_traitsISG_E10value_typeET2_T3_PNSH_ISM_E10value_typeET4_T5_PSR_SS_PNS1_23onesweep_lookback_stateEbbT6_jjT7_P12ihipStream_tbENKUlT_T0_SG_SL_E_clIS7_S7_PlSB_EEDaSZ_S10_SG_SL_EUlSZ_E_NS1_11comp_targetILNS1_3genE5ELNS1_11target_archE942ELNS1_3gpuE9ELNS1_3repE0EEENS1_47radix_sort_onesweep_sort_config_static_selectorELNS0_4arch9wavefront6targetE1EEEvSG_.num_named_barrier, 0
	.set _ZN7rocprim17ROCPRIM_400000_NS6detail17trampoline_kernelINS0_14default_configENS1_35radix_sort_onesweep_config_selectorIflEEZZNS1_29radix_sort_onesweep_iterationIS3_Lb0EPfS7_N6thrust23THRUST_200600_302600_NS10device_ptrIlEESB_jNS0_19identity_decomposerENS1_16block_id_wrapperIjLb1EEEEE10hipError_tT1_PNSt15iterator_traitsISG_E10value_typeET2_T3_PNSH_ISM_E10value_typeET4_T5_PSR_SS_PNS1_23onesweep_lookback_stateEbbT6_jjT7_P12ihipStream_tbENKUlT_T0_SG_SL_E_clIS7_S7_PlSB_EEDaSZ_S10_SG_SL_EUlSZ_E_NS1_11comp_targetILNS1_3genE5ELNS1_11target_archE942ELNS1_3gpuE9ELNS1_3repE0EEENS1_47radix_sort_onesweep_sort_config_static_selectorELNS0_4arch9wavefront6targetE1EEEvSG_.private_seg_size, 0
	.set _ZN7rocprim17ROCPRIM_400000_NS6detail17trampoline_kernelINS0_14default_configENS1_35radix_sort_onesweep_config_selectorIflEEZZNS1_29radix_sort_onesweep_iterationIS3_Lb0EPfS7_N6thrust23THRUST_200600_302600_NS10device_ptrIlEESB_jNS0_19identity_decomposerENS1_16block_id_wrapperIjLb1EEEEE10hipError_tT1_PNSt15iterator_traitsISG_E10value_typeET2_T3_PNSH_ISM_E10value_typeET4_T5_PSR_SS_PNS1_23onesweep_lookback_stateEbbT6_jjT7_P12ihipStream_tbENKUlT_T0_SG_SL_E_clIS7_S7_PlSB_EEDaSZ_S10_SG_SL_EUlSZ_E_NS1_11comp_targetILNS1_3genE5ELNS1_11target_archE942ELNS1_3gpuE9ELNS1_3repE0EEENS1_47radix_sort_onesweep_sort_config_static_selectorELNS0_4arch9wavefront6targetE1EEEvSG_.uses_vcc, 0
	.set _ZN7rocprim17ROCPRIM_400000_NS6detail17trampoline_kernelINS0_14default_configENS1_35radix_sort_onesweep_config_selectorIflEEZZNS1_29radix_sort_onesweep_iterationIS3_Lb0EPfS7_N6thrust23THRUST_200600_302600_NS10device_ptrIlEESB_jNS0_19identity_decomposerENS1_16block_id_wrapperIjLb1EEEEE10hipError_tT1_PNSt15iterator_traitsISG_E10value_typeET2_T3_PNSH_ISM_E10value_typeET4_T5_PSR_SS_PNS1_23onesweep_lookback_stateEbbT6_jjT7_P12ihipStream_tbENKUlT_T0_SG_SL_E_clIS7_S7_PlSB_EEDaSZ_S10_SG_SL_EUlSZ_E_NS1_11comp_targetILNS1_3genE5ELNS1_11target_archE942ELNS1_3gpuE9ELNS1_3repE0EEENS1_47radix_sort_onesweep_sort_config_static_selectorELNS0_4arch9wavefront6targetE1EEEvSG_.uses_flat_scratch, 0
	.set _ZN7rocprim17ROCPRIM_400000_NS6detail17trampoline_kernelINS0_14default_configENS1_35radix_sort_onesweep_config_selectorIflEEZZNS1_29radix_sort_onesweep_iterationIS3_Lb0EPfS7_N6thrust23THRUST_200600_302600_NS10device_ptrIlEESB_jNS0_19identity_decomposerENS1_16block_id_wrapperIjLb1EEEEE10hipError_tT1_PNSt15iterator_traitsISG_E10value_typeET2_T3_PNSH_ISM_E10value_typeET4_T5_PSR_SS_PNS1_23onesweep_lookback_stateEbbT6_jjT7_P12ihipStream_tbENKUlT_T0_SG_SL_E_clIS7_S7_PlSB_EEDaSZ_S10_SG_SL_EUlSZ_E_NS1_11comp_targetILNS1_3genE5ELNS1_11target_archE942ELNS1_3gpuE9ELNS1_3repE0EEENS1_47radix_sort_onesweep_sort_config_static_selectorELNS0_4arch9wavefront6targetE1EEEvSG_.has_dyn_sized_stack, 0
	.set _ZN7rocprim17ROCPRIM_400000_NS6detail17trampoline_kernelINS0_14default_configENS1_35radix_sort_onesweep_config_selectorIflEEZZNS1_29radix_sort_onesweep_iterationIS3_Lb0EPfS7_N6thrust23THRUST_200600_302600_NS10device_ptrIlEESB_jNS0_19identity_decomposerENS1_16block_id_wrapperIjLb1EEEEE10hipError_tT1_PNSt15iterator_traitsISG_E10value_typeET2_T3_PNSH_ISM_E10value_typeET4_T5_PSR_SS_PNS1_23onesweep_lookback_stateEbbT6_jjT7_P12ihipStream_tbENKUlT_T0_SG_SL_E_clIS7_S7_PlSB_EEDaSZ_S10_SG_SL_EUlSZ_E_NS1_11comp_targetILNS1_3genE5ELNS1_11target_archE942ELNS1_3gpuE9ELNS1_3repE0EEENS1_47radix_sort_onesweep_sort_config_static_selectorELNS0_4arch9wavefront6targetE1EEEvSG_.has_recursion, 0
	.set _ZN7rocprim17ROCPRIM_400000_NS6detail17trampoline_kernelINS0_14default_configENS1_35radix_sort_onesweep_config_selectorIflEEZZNS1_29radix_sort_onesweep_iterationIS3_Lb0EPfS7_N6thrust23THRUST_200600_302600_NS10device_ptrIlEESB_jNS0_19identity_decomposerENS1_16block_id_wrapperIjLb1EEEEE10hipError_tT1_PNSt15iterator_traitsISG_E10value_typeET2_T3_PNSH_ISM_E10value_typeET4_T5_PSR_SS_PNS1_23onesweep_lookback_stateEbbT6_jjT7_P12ihipStream_tbENKUlT_T0_SG_SL_E_clIS7_S7_PlSB_EEDaSZ_S10_SG_SL_EUlSZ_E_NS1_11comp_targetILNS1_3genE5ELNS1_11target_archE942ELNS1_3gpuE9ELNS1_3repE0EEENS1_47radix_sort_onesweep_sort_config_static_selectorELNS0_4arch9wavefront6targetE1EEEvSG_.has_indirect_call, 0
	.section	.AMDGPU.csdata,"",@progbits
; Kernel info:
; codeLenInByte = 0
; TotalNumSgprs: 4
; NumVgprs: 0
; ScratchSize: 0
; MemoryBound: 0
; FloatMode: 240
; IeeeMode: 1
; LDSByteSize: 0 bytes/workgroup (compile time only)
; SGPRBlocks: 0
; VGPRBlocks: 0
; NumSGPRsForWavesPerEU: 4
; NumVGPRsForWavesPerEU: 1
; Occupancy: 10
; WaveLimiterHint : 0
; COMPUTE_PGM_RSRC2:SCRATCH_EN: 0
; COMPUTE_PGM_RSRC2:USER_SGPR: 6
; COMPUTE_PGM_RSRC2:TRAP_HANDLER: 0
; COMPUTE_PGM_RSRC2:TGID_X_EN: 1
; COMPUTE_PGM_RSRC2:TGID_Y_EN: 0
; COMPUTE_PGM_RSRC2:TGID_Z_EN: 0
; COMPUTE_PGM_RSRC2:TIDIG_COMP_CNT: 0
	.section	.text._ZN7rocprim17ROCPRIM_400000_NS6detail17trampoline_kernelINS0_14default_configENS1_35radix_sort_onesweep_config_selectorIflEEZZNS1_29radix_sort_onesweep_iterationIS3_Lb0EPfS7_N6thrust23THRUST_200600_302600_NS10device_ptrIlEESB_jNS0_19identity_decomposerENS1_16block_id_wrapperIjLb1EEEEE10hipError_tT1_PNSt15iterator_traitsISG_E10value_typeET2_T3_PNSH_ISM_E10value_typeET4_T5_PSR_SS_PNS1_23onesweep_lookback_stateEbbT6_jjT7_P12ihipStream_tbENKUlT_T0_SG_SL_E_clIS7_S7_PlSB_EEDaSZ_S10_SG_SL_EUlSZ_E_NS1_11comp_targetILNS1_3genE2ELNS1_11target_archE906ELNS1_3gpuE6ELNS1_3repE0EEENS1_47radix_sort_onesweep_sort_config_static_selectorELNS0_4arch9wavefront6targetE1EEEvSG_,"axG",@progbits,_ZN7rocprim17ROCPRIM_400000_NS6detail17trampoline_kernelINS0_14default_configENS1_35radix_sort_onesweep_config_selectorIflEEZZNS1_29radix_sort_onesweep_iterationIS3_Lb0EPfS7_N6thrust23THRUST_200600_302600_NS10device_ptrIlEESB_jNS0_19identity_decomposerENS1_16block_id_wrapperIjLb1EEEEE10hipError_tT1_PNSt15iterator_traitsISG_E10value_typeET2_T3_PNSH_ISM_E10value_typeET4_T5_PSR_SS_PNS1_23onesweep_lookback_stateEbbT6_jjT7_P12ihipStream_tbENKUlT_T0_SG_SL_E_clIS7_S7_PlSB_EEDaSZ_S10_SG_SL_EUlSZ_E_NS1_11comp_targetILNS1_3genE2ELNS1_11target_archE906ELNS1_3gpuE6ELNS1_3repE0EEENS1_47radix_sort_onesweep_sort_config_static_selectorELNS0_4arch9wavefront6targetE1EEEvSG_,comdat
	.protected	_ZN7rocprim17ROCPRIM_400000_NS6detail17trampoline_kernelINS0_14default_configENS1_35radix_sort_onesweep_config_selectorIflEEZZNS1_29radix_sort_onesweep_iterationIS3_Lb0EPfS7_N6thrust23THRUST_200600_302600_NS10device_ptrIlEESB_jNS0_19identity_decomposerENS1_16block_id_wrapperIjLb1EEEEE10hipError_tT1_PNSt15iterator_traitsISG_E10value_typeET2_T3_PNSH_ISM_E10value_typeET4_T5_PSR_SS_PNS1_23onesweep_lookback_stateEbbT6_jjT7_P12ihipStream_tbENKUlT_T0_SG_SL_E_clIS7_S7_PlSB_EEDaSZ_S10_SG_SL_EUlSZ_E_NS1_11comp_targetILNS1_3genE2ELNS1_11target_archE906ELNS1_3gpuE6ELNS1_3repE0EEENS1_47radix_sort_onesweep_sort_config_static_selectorELNS0_4arch9wavefront6targetE1EEEvSG_ ; -- Begin function _ZN7rocprim17ROCPRIM_400000_NS6detail17trampoline_kernelINS0_14default_configENS1_35radix_sort_onesweep_config_selectorIflEEZZNS1_29radix_sort_onesweep_iterationIS3_Lb0EPfS7_N6thrust23THRUST_200600_302600_NS10device_ptrIlEESB_jNS0_19identity_decomposerENS1_16block_id_wrapperIjLb1EEEEE10hipError_tT1_PNSt15iterator_traitsISG_E10value_typeET2_T3_PNSH_ISM_E10value_typeET4_T5_PSR_SS_PNS1_23onesweep_lookback_stateEbbT6_jjT7_P12ihipStream_tbENKUlT_T0_SG_SL_E_clIS7_S7_PlSB_EEDaSZ_S10_SG_SL_EUlSZ_E_NS1_11comp_targetILNS1_3genE2ELNS1_11target_archE906ELNS1_3gpuE6ELNS1_3repE0EEENS1_47radix_sort_onesweep_sort_config_static_selectorELNS0_4arch9wavefront6targetE1EEEvSG_
	.globl	_ZN7rocprim17ROCPRIM_400000_NS6detail17trampoline_kernelINS0_14default_configENS1_35radix_sort_onesweep_config_selectorIflEEZZNS1_29radix_sort_onesweep_iterationIS3_Lb0EPfS7_N6thrust23THRUST_200600_302600_NS10device_ptrIlEESB_jNS0_19identity_decomposerENS1_16block_id_wrapperIjLb1EEEEE10hipError_tT1_PNSt15iterator_traitsISG_E10value_typeET2_T3_PNSH_ISM_E10value_typeET4_T5_PSR_SS_PNS1_23onesweep_lookback_stateEbbT6_jjT7_P12ihipStream_tbENKUlT_T0_SG_SL_E_clIS7_S7_PlSB_EEDaSZ_S10_SG_SL_EUlSZ_E_NS1_11comp_targetILNS1_3genE2ELNS1_11target_archE906ELNS1_3gpuE6ELNS1_3repE0EEENS1_47radix_sort_onesweep_sort_config_static_selectorELNS0_4arch9wavefront6targetE1EEEvSG_
	.p2align	8
	.type	_ZN7rocprim17ROCPRIM_400000_NS6detail17trampoline_kernelINS0_14default_configENS1_35radix_sort_onesweep_config_selectorIflEEZZNS1_29radix_sort_onesweep_iterationIS3_Lb0EPfS7_N6thrust23THRUST_200600_302600_NS10device_ptrIlEESB_jNS0_19identity_decomposerENS1_16block_id_wrapperIjLb1EEEEE10hipError_tT1_PNSt15iterator_traitsISG_E10value_typeET2_T3_PNSH_ISM_E10value_typeET4_T5_PSR_SS_PNS1_23onesweep_lookback_stateEbbT6_jjT7_P12ihipStream_tbENKUlT_T0_SG_SL_E_clIS7_S7_PlSB_EEDaSZ_S10_SG_SL_EUlSZ_E_NS1_11comp_targetILNS1_3genE2ELNS1_11target_archE906ELNS1_3gpuE6ELNS1_3repE0EEENS1_47radix_sort_onesweep_sort_config_static_selectorELNS0_4arch9wavefront6targetE1EEEvSG_,@function
_ZN7rocprim17ROCPRIM_400000_NS6detail17trampoline_kernelINS0_14default_configENS1_35radix_sort_onesweep_config_selectorIflEEZZNS1_29radix_sort_onesweep_iterationIS3_Lb0EPfS7_N6thrust23THRUST_200600_302600_NS10device_ptrIlEESB_jNS0_19identity_decomposerENS1_16block_id_wrapperIjLb1EEEEE10hipError_tT1_PNSt15iterator_traitsISG_E10value_typeET2_T3_PNSH_ISM_E10value_typeET4_T5_PSR_SS_PNS1_23onesweep_lookback_stateEbbT6_jjT7_P12ihipStream_tbENKUlT_T0_SG_SL_E_clIS7_S7_PlSB_EEDaSZ_S10_SG_SL_EUlSZ_E_NS1_11comp_targetILNS1_3genE2ELNS1_11target_archE906ELNS1_3gpuE6ELNS1_3repE0EEENS1_47radix_sort_onesweep_sort_config_static_selectorELNS0_4arch9wavefront6targetE1EEEvSG_: ; @_ZN7rocprim17ROCPRIM_400000_NS6detail17trampoline_kernelINS0_14default_configENS1_35radix_sort_onesweep_config_selectorIflEEZZNS1_29radix_sort_onesweep_iterationIS3_Lb0EPfS7_N6thrust23THRUST_200600_302600_NS10device_ptrIlEESB_jNS0_19identity_decomposerENS1_16block_id_wrapperIjLb1EEEEE10hipError_tT1_PNSt15iterator_traitsISG_E10value_typeET2_T3_PNSH_ISM_E10value_typeET4_T5_PSR_SS_PNS1_23onesweep_lookback_stateEbbT6_jjT7_P12ihipStream_tbENKUlT_T0_SG_SL_E_clIS7_S7_PlSB_EEDaSZ_S10_SG_SL_EUlSZ_E_NS1_11comp_targetILNS1_3genE2ELNS1_11target_archE906ELNS1_3gpuE6ELNS1_3repE0EEENS1_47radix_sort_onesweep_sort_config_static_selectorELNS0_4arch9wavefront6targetE1EEEvSG_
; %bb.0:
	s_load_dwordx4 s[44:47], s[4:5], 0x28
	s_load_dwordx2 s[30:31], s[4:5], 0x38
	s_load_dwordx4 s[48:51], s[4:5], 0x44
	s_add_u32 s0, s0, s7
	s_addc_u32 s1, s1, 0
	v_cmp_eq_u32_e64 s[26:27], 0, v0
	s_and_saveexec_b64 s[8:9], s[26:27]
	s_cbranch_execz .LBB1855_4
; %bb.1:
	s_mov_b64 s[12:13], exec
	v_mbcnt_lo_u32_b32 v3, s12, 0
	v_mbcnt_hi_u32_b32 v3, s13, v3
	v_cmp_eq_u32_e32 vcc, 0, v3
                                        ; implicit-def: $vgpr4
	s_and_saveexec_b64 s[10:11], vcc
	s_cbranch_execz .LBB1855_3
; %bb.2:
	s_load_dwordx2 s[14:15], s[4:5], 0x50
	s_bcnt1_i32_b64 s7, s[12:13]
	v_mov_b32_e32 v4, 0
	v_mov_b32_e32 v5, s7
	s_waitcnt lgkmcnt(0)
	global_atomic_add v4, v4, v5, s[14:15] glc
.LBB1855_3:
	s_or_b64 exec, exec, s[10:11]
	s_waitcnt vmcnt(0)
	v_readfirstlane_b32 s7, v4
	v_add_u32_e32 v3, s7, v3
	v_mov_b32_e32 v4, 0
	ds_write_b32 v4, v3 offset:10272
.LBB1855_4:
	s_or_b64 exec, exec, s[8:9]
	v_mov_b32_e32 v3, 0
	s_load_dwordx8 s[36:43], s[4:5], 0x0
	s_load_dword s7, s[4:5], 0x20
	s_waitcnt lgkmcnt(0)
	s_barrier
	ds_read_b32 v3, v3 offset:10272
	s_mov_b64 s[8:9], -1
	v_mbcnt_lo_u32_b32 v22, -1, 0
	v_lshlrev_b32_e32 v21, 3, v0
	s_waitcnt lgkmcnt(0)
	v_cmp_le_u32_e32 vcc, s50, v3
	v_readfirstlane_b32 s33, v3
	s_barrier
	s_cbranch_vccz .LBB1855_92
; %bb.5:
	s_lshl_b32 s8, s50, 12
	s_lshl_b32 s34, s33, 12
	s_mov_b32 s35, 0
	s_sub_i32 s7, s7, s8
	s_lshl_b64 s[8:9], s[34:35], 2
	v_mbcnt_hi_u32_b32 v17, -1, v22
	s_add_u32 s8, s36, s8
	v_and_b32_e32 v15, 63, v17
	s_addc_u32 s9, s37, s9
	v_lshlrev_b32_e32 v3, 2, v15
	v_and_b32_e32 v14, 0xe00, v21
	v_mov_b32_e32 v4, s9
	v_add_co_u32_e32 v3, vcc, s8, v3
	v_addc_co_u32_e32 v4, vcc, 0, v4, vcc
	v_lshlrev_b32_e32 v5, 2, v14
	v_add_co_u32_e32 v11, vcc, v3, v5
	v_or_b32_e32 v13, v15, v14
	v_bfrev_b32_e32 v3, -2
	v_addc_co_u32_e32 v12, vcc, 0, v4, vcc
	v_cmp_gt_u32_e64 s[8:9], s7, v13
	v_mov_b32_e32 v4, v3
	v_mov_b32_e32 v5, v3
	;; [unrolled: 1-line block ×7, first 2 shown]
	s_and_saveexec_b64 s[10:11], s[8:9]
	s_cbranch_execz .LBB1855_7
; %bb.6:
	global_load_dword v23, v[11:12], off
	v_mov_b32_e32 v24, v3
	v_mov_b32_e32 v25, v3
	;; [unrolled: 1-line block ×7, first 2 shown]
	s_waitcnt vmcnt(0)
	v_mov_b32_e32 v3, v23
	v_mov_b32_e32 v4, v24
	;; [unrolled: 1-line block ×8, first 2 shown]
.LBB1855_7:
	s_or_b64 exec, exec, s[10:11]
	v_or_b32_e32 v16, 64, v13
	v_cmp_gt_u32_e64 s[10:11], s7, v16
	s_and_saveexec_b64 s[12:13], s[10:11]
	s_cbranch_execz .LBB1855_9
; %bb.8:
	global_load_dword v4, v[11:12], off offset:256
.LBB1855_9:
	s_or_b64 exec, exec, s[12:13]
	v_or_b32_e32 v16, 0x80, v13
	v_cmp_gt_u32_e64 s[12:13], s7, v16
	s_and_saveexec_b64 s[14:15], s[12:13]
	s_cbranch_execz .LBB1855_11
; %bb.10:
	global_load_dword v5, v[11:12], off offset:512
.LBB1855_11:
	;; [unrolled: 8-line block ×7, first 2 shown]
	s_or_b64 exec, exec, s[24:25]
	s_load_dword s24, s[4:5], 0x64
	s_load_dword s56, s[4:5], 0x58
	s_add_u32 s25, s4, 0x58
	s_addc_u32 s28, s5, 0
	v_mov_b32_e32 v11, 0
	s_waitcnt lgkmcnt(0)
	s_lshr_b32 s29, s24, 16
	s_cmp_lt_u32 s6, s56
	s_cselect_b32 s24, 12, 18
	s_add_u32 s24, s25, s24
	s_addc_u32 s25, s28, 0
	global_load_ushort v13, v11, s[24:25]
	v_bfrev_b32_e32 v20, 1
	v_cmp_lt_i32_e32 vcc, -1, v3
	v_cndmask_b32_e32 v12, -1, v20, vcc
	s_brev_b32 s28, -2
	v_xor_b32_e32 v16, v12, v3
	v_cmp_ne_u32_e32 vcc, s28, v16
	v_cndmask_b32_e32 v3, v20, v16, vcc
	s_lshl_b32 s24, -1, s49
	v_lshrrev_b32_e32 v3, s48, v3
	s_not_b32 s57, s24
	v_and_b32_e32 v3, s57, v3
	v_and_b32_e32 v24, 1, v3
	v_add_co_u32_e32 v25, vcc, -1, v24
	v_lshlrev_b32_e32 v12, 30, v3
	v_addc_co_u32_e64 v26, s[24:25], 0, -1, vcc
	v_cmp_ne_u32_e32 vcc, 0, v24
	v_cmp_gt_i64_e64 s[24:25], 0, v[11:12]
	v_not_b32_e32 v24, v12
	v_lshlrev_b32_e32 v12, 29, v3
	v_xor_b32_e32 v26, vcc_hi, v26
	v_xor_b32_e32 v25, vcc_lo, v25
	v_ashrrev_i32_e32 v24, 31, v24
	v_cmp_gt_i64_e32 vcc, 0, v[11:12]
	v_not_b32_e32 v27, v12
	v_lshlrev_b32_e32 v12, 28, v3
	v_and_b32_e32 v26, exec_hi, v26
	v_and_b32_e32 v25, exec_lo, v25
	v_xor_b32_e32 v28, s25, v24
	v_xor_b32_e32 v24, s24, v24
	v_ashrrev_i32_e32 v27, 31, v27
	v_cmp_gt_i64_e64 s[24:25], 0, v[11:12]
	v_not_b32_e32 v29, v12
	v_lshlrev_b32_e32 v12, 27, v3
	v_and_b32_e32 v26, v26, v28
	v_and_b32_e32 v24, v25, v24
	v_xor_b32_e32 v25, vcc_hi, v27
	v_xor_b32_e32 v27, vcc_lo, v27
	v_ashrrev_i32_e32 v28, 31, v29
	v_cmp_gt_i64_e32 vcc, 0, v[11:12]
	v_not_b32_e32 v29, v12
	v_lshlrev_b32_e32 v12, 26, v3
	v_and_b32_e32 v25, v26, v25
	v_and_b32_e32 v24, v24, v27
	v_xor_b32_e32 v26, s25, v28
	v_xor_b32_e32 v27, s24, v28
	v_ashrrev_i32_e32 v28, 31, v29
	v_cmp_gt_i64_e64 s[24:25], 0, v[11:12]
	v_not_b32_e32 v29, v12
	v_lshlrev_b32_e32 v12, 25, v3
	v_mad_u32_u24 v18, v2, s29, v1
	v_and_b32_e32 v25, v25, v26
	v_and_b32_e32 v24, v24, v27
	v_xor_b32_e32 v26, vcc_hi, v28
	v_xor_b32_e32 v27, vcc_lo, v28
	v_ashrrev_i32_e32 v28, 31, v29
	v_cmp_gt_i64_e32 vcc, 0, v[11:12]
	v_not_b32_e32 v29, v12
	v_lshlrev_b32_e32 v12, 24, v3
	v_mul_lo_u32 v23, v3, 36
	v_and_b32_e32 v3, v25, v26
	v_xor_b32_e32 v25, s25, v28
	v_xor_b32_e32 v26, s24, v28
	v_cmp_gt_i64_e64 s[24:25], 0, v[11:12]
	v_not_b32_e32 v28, v12
	v_and_b32_e32 v24, v24, v27
	v_ashrrev_i32_e32 v27, 31, v29
	v_and_b32_e32 v24, v24, v26
	v_and_b32_e32 v3, v3, v25
	v_xor_b32_e32 v25, vcc_hi, v27
	v_and_b32_e32 v3, v3, v25
	v_mul_u32_u24_e32 v19, 20, v0
	ds_write2_b32 v19, v11, v11 offset0:8 offset1:9
	ds_write2_b32 v19, v11, v11 offset0:10 offset1:11
	ds_write_b32 v19, v11 offset:48
	s_waitcnt vmcnt(0) lgkmcnt(0)
	s_barrier
	; wave barrier
	v_mad_u64_u32 v[12:13], s[50:51], v18, v13, v[0:1]
	v_xor_b32_e32 v13, vcc_lo, v27
	v_and_b32_e32 v18, v24, v13
	v_lshrrev_b32_e32 v12, 4, v12
	v_and_b32_e32 v39, 0xffffffc, v12
	v_ashrrev_i32_e32 v12, 31, v28
	v_xor_b32_e32 v13, s25, v12
	v_xor_b32_e32 v12, s24, v12
	v_and_b32_e32 v12, v18, v12
	v_and_b32_e32 v13, v3, v13
	v_mbcnt_lo_u32_b32 v3, v12, 0
	v_mbcnt_hi_u32_b32 v18, v13, v3
	v_cmp_ne_u64_e32 vcc, 0, v[12:13]
	v_cmp_eq_u32_e64 s[24:25], 0, v18
	s_and_b64 s[50:51], vcc, s[24:25]
	v_add_u32_e32 v32, v39, v23
	s_and_saveexec_b64 s[24:25], s[50:51]
; %bb.22:
	v_bcnt_u32_b32 v3, v12, 0
	v_bcnt_u32_b32 v3, v13, v3
	ds_write_b32 v32, v3 offset:32
; %bb.23:
	s_or_b64 exec, exec, s[24:25]
	v_cmp_lt_i32_e32 vcc, -1, v4
	v_cndmask_b32_e32 v3, -1, v20, vcc
	v_xor_b32_e32 v13, v3, v4
	v_cmp_ne_u32_e32 vcc, s28, v13
	v_cndmask_b32_e32 v3, v20, v13, vcc
	v_lshrrev_b32_e32 v3, s48, v3
	v_and_b32_e32 v3, s57, v3
	v_mul_lo_u32 v4, v3, 36
	; wave barrier
	v_add_u32_e32 v33, v39, v4
	v_and_b32_e32 v4, 1, v3
	v_add_co_u32_e32 v12, vcc, -1, v4
	v_addc_co_u32_e64 v20, s[24:25], 0, -1, vcc
	v_cmp_ne_u32_e32 vcc, 0, v4
	v_xor_b32_e32 v12, vcc_lo, v12
	v_xor_b32_e32 v4, vcc_hi, v20
	v_and_b32_e32 v20, exec_lo, v12
	v_lshlrev_b32_e32 v12, 30, v3
	v_cmp_gt_i64_e32 vcc, 0, v[11:12]
	v_not_b32_e32 v12, v12
	v_ashrrev_i32_e32 v12, 31, v12
	v_xor_b32_e32 v24, vcc_hi, v12
	v_xor_b32_e32 v12, vcc_lo, v12
	v_and_b32_e32 v20, v20, v12
	v_lshlrev_b32_e32 v12, 29, v3
	v_cmp_gt_i64_e32 vcc, 0, v[11:12]
	v_not_b32_e32 v12, v12
	v_and_b32_e32 v4, exec_hi, v4
	v_ashrrev_i32_e32 v12, 31, v12
	v_and_b32_e32 v4, v4, v24
	v_xor_b32_e32 v24, vcc_hi, v12
	v_xor_b32_e32 v12, vcc_lo, v12
	v_and_b32_e32 v20, v20, v12
	v_lshlrev_b32_e32 v12, 28, v3
	v_cmp_gt_i64_e32 vcc, 0, v[11:12]
	v_not_b32_e32 v12, v12
	v_ashrrev_i32_e32 v12, 31, v12
	v_and_b32_e32 v4, v4, v24
	v_xor_b32_e32 v24, vcc_hi, v12
	v_xor_b32_e32 v12, vcc_lo, v12
	v_and_b32_e32 v20, v20, v12
	v_lshlrev_b32_e32 v12, 27, v3
	v_cmp_gt_i64_e32 vcc, 0, v[11:12]
	v_not_b32_e32 v12, v12
	;; [unrolled: 8-line block ×5, first 2 shown]
	v_ashrrev_i32_e32 v3, 31, v3
	v_xor_b32_e32 v11, vcc_hi, v3
	v_xor_b32_e32 v3, vcc_lo, v3
	ds_read_b32 v23, v33 offset:32
	v_and_b32_e32 v4, v4, v24
	v_and_b32_e32 v3, v20, v3
	;; [unrolled: 1-line block ×3, first 2 shown]
	v_mbcnt_lo_u32_b32 v11, v3, 0
	v_mbcnt_hi_u32_b32 v24, v4, v11
	v_cmp_ne_u64_e32 vcc, 0, v[3:4]
	v_cmp_eq_u32_e64 s[24:25], 0, v24
	s_and_b64 s[28:29], vcc, s[24:25]
	; wave barrier
	s_and_saveexec_b64 s[24:25], s[28:29]
	s_cbranch_execz .LBB1855_25
; %bb.24:
	v_bcnt_u32_b32 v3, v3, 0
	v_bcnt_u32_b32 v3, v4, v3
	s_waitcnt lgkmcnt(0)
	v_add_u32_e32 v3, v23, v3
	ds_write_b32 v33, v3 offset:32
.LBB1855_25:
	s_or_b64 exec, exec, s[24:25]
	v_bfrev_b32_e32 v20, 1
	v_cmp_lt_i32_e32 vcc, -1, v5
	v_cndmask_b32_e32 v3, -1, v20, vcc
	v_xor_b32_e32 v11, v3, v5
	s_brev_b32 s28, -2
	v_cmp_ne_u32_e32 vcc, s28, v11
	v_cndmask_b32_e32 v3, v20, v11, vcc
	v_lshrrev_b32_e32 v3, s48, v3
	v_and_b32_e32 v5, s57, v3
	v_mul_lo_u32 v3, v5, 36
	v_and_b32_e32 v4, 1, v5
	v_add_co_u32_e32 v12, vcc, -1, v4
	v_addc_co_u32_e64 v26, s[24:25], 0, -1, vcc
	v_cmp_ne_u32_e32 vcc, 0, v4
	v_xor_b32_e32 v4, vcc_hi, v26
	v_add_u32_e32 v37, v39, v3
	v_mov_b32_e32 v3, 0
	v_and_b32_e32 v26, exec_hi, v4
	v_lshlrev_b32_e32 v4, 30, v5
	v_xor_b32_e32 v12, vcc_lo, v12
	v_cmp_gt_i64_e32 vcc, 0, v[3:4]
	v_not_b32_e32 v4, v4
	v_ashrrev_i32_e32 v4, 31, v4
	v_and_b32_e32 v12, exec_lo, v12
	v_xor_b32_e32 v27, vcc_hi, v4
	v_xor_b32_e32 v4, vcc_lo, v4
	v_and_b32_e32 v12, v12, v4
	v_lshlrev_b32_e32 v4, 29, v5
	v_cmp_gt_i64_e32 vcc, 0, v[3:4]
	v_not_b32_e32 v4, v4
	v_ashrrev_i32_e32 v4, 31, v4
	v_and_b32_e32 v26, v26, v27
	v_xor_b32_e32 v27, vcc_hi, v4
	v_xor_b32_e32 v4, vcc_lo, v4
	v_and_b32_e32 v12, v12, v4
	v_lshlrev_b32_e32 v4, 28, v5
	v_cmp_gt_i64_e32 vcc, 0, v[3:4]
	v_not_b32_e32 v4, v4
	v_ashrrev_i32_e32 v4, 31, v4
	v_and_b32_e32 v26, v26, v27
	;; [unrolled: 8-line block ×5, first 2 shown]
	v_xor_b32_e32 v27, vcc_hi, v4
	v_xor_b32_e32 v4, vcc_lo, v4
	v_and_b32_e32 v12, v12, v4
	v_lshlrev_b32_e32 v4, 24, v5
	v_cmp_gt_i64_e32 vcc, 0, v[3:4]
	v_not_b32_e32 v4, v4
	v_ashrrev_i32_e32 v4, 31, v4
	v_xor_b32_e32 v5, vcc_hi, v4
	v_xor_b32_e32 v4, vcc_lo, v4
	; wave barrier
	ds_read_b32 v25, v37 offset:32
	v_and_b32_e32 v26, v26, v27
	v_and_b32_e32 v4, v12, v4
	;; [unrolled: 1-line block ×3, first 2 shown]
	v_mbcnt_lo_u32_b32 v12, v4, 0
	v_mbcnt_hi_u32_b32 v26, v5, v12
	v_cmp_ne_u64_e32 vcc, 0, v[4:5]
	v_cmp_eq_u32_e64 s[24:25], 0, v26
	s_and_b64 s[50:51], vcc, s[24:25]
	; wave barrier
	s_and_saveexec_b64 s[24:25], s[50:51]
	s_cbranch_execz .LBB1855_27
; %bb.26:
	v_bcnt_u32_b32 v4, v4, 0
	v_bcnt_u32_b32 v4, v5, v4
	s_waitcnt lgkmcnt(0)
	v_add_u32_e32 v4, v25, v4
	ds_write_b32 v37, v4 offset:32
.LBB1855_27:
	s_or_b64 exec, exec, s[24:25]
	v_cmp_lt_i32_e32 vcc, -1, v6
	v_cndmask_b32_e32 v4, -1, v20, vcc
	v_xor_b32_e32 v12, v4, v6
	v_cmp_ne_u32_e32 vcc, s28, v12
	v_cndmask_b32_e32 v4, v20, v12, vcc
	v_lshrrev_b32_e32 v4, s48, v4
	v_and_b32_e32 v5, s57, v4
	v_mul_lo_u32 v4, v5, 36
	; wave barrier
	v_add_u32_e32 v40, v39, v4
	v_and_b32_e32 v4, 1, v5
	v_add_co_u32_e32 v6, vcc, -1, v4
	v_addc_co_u32_e64 v20, s[24:25], 0, -1, vcc
	v_cmp_ne_u32_e32 vcc, 0, v4
	v_xor_b32_e32 v4, vcc_hi, v20
	v_and_b32_e32 v20, exec_hi, v4
	v_lshlrev_b32_e32 v4, 30, v5
	v_xor_b32_e32 v6, vcc_lo, v6
	v_cmp_gt_i64_e32 vcc, 0, v[3:4]
	v_not_b32_e32 v4, v4
	v_ashrrev_i32_e32 v4, 31, v4
	v_and_b32_e32 v6, exec_lo, v6
	v_xor_b32_e32 v28, vcc_hi, v4
	v_xor_b32_e32 v4, vcc_lo, v4
	v_and_b32_e32 v6, v6, v4
	v_lshlrev_b32_e32 v4, 29, v5
	v_cmp_gt_i64_e32 vcc, 0, v[3:4]
	v_not_b32_e32 v4, v4
	v_ashrrev_i32_e32 v4, 31, v4
	v_and_b32_e32 v20, v20, v28
	v_xor_b32_e32 v28, vcc_hi, v4
	v_xor_b32_e32 v4, vcc_lo, v4
	v_and_b32_e32 v6, v6, v4
	v_lshlrev_b32_e32 v4, 28, v5
	v_cmp_gt_i64_e32 vcc, 0, v[3:4]
	v_not_b32_e32 v4, v4
	v_ashrrev_i32_e32 v4, 31, v4
	v_and_b32_e32 v20, v20, v28
	;; [unrolled: 8-line block ×5, first 2 shown]
	v_xor_b32_e32 v28, vcc_hi, v4
	v_xor_b32_e32 v4, vcc_lo, v4
	v_and_b32_e32 v6, v6, v4
	v_lshlrev_b32_e32 v4, 24, v5
	v_cmp_gt_i64_e32 vcc, 0, v[3:4]
	v_not_b32_e32 v3, v4
	v_ashrrev_i32_e32 v3, 31, v3
	v_xor_b32_e32 v4, vcc_hi, v3
	v_xor_b32_e32 v3, vcc_lo, v3
	ds_read_b32 v27, v40 offset:32
	v_and_b32_e32 v20, v20, v28
	v_and_b32_e32 v3, v6, v3
	;; [unrolled: 1-line block ×3, first 2 shown]
	v_mbcnt_lo_u32_b32 v5, v3, 0
	v_mbcnt_hi_u32_b32 v28, v4, v5
	v_cmp_ne_u64_e32 vcc, 0, v[3:4]
	v_cmp_eq_u32_e64 s[24:25], 0, v28
	s_and_b64 s[28:29], vcc, s[24:25]
	; wave barrier
	s_and_saveexec_b64 s[24:25], s[28:29]
	s_cbranch_execz .LBB1855_29
; %bb.28:
	v_bcnt_u32_b32 v3, v3, 0
	v_bcnt_u32_b32 v3, v4, v3
	s_waitcnt lgkmcnt(0)
	v_add_u32_e32 v3, v27, v3
	ds_write_b32 v40, v3 offset:32
.LBB1855_29:
	s_or_b64 exec, exec, s[24:25]
	v_bfrev_b32_e32 v6, 1
	v_cmp_lt_i32_e32 vcc, -1, v7
	v_cndmask_b32_e32 v3, -1, v6, vcc
	v_xor_b32_e32 v20, v3, v7
	s_brev_b32 s28, -2
	v_cmp_ne_u32_e32 vcc, s28, v20
	v_cndmask_b32_e32 v3, v6, v20, vcc
	v_lshrrev_b32_e32 v3, s48, v3
	v_and_b32_e32 v5, s57, v3
	v_mul_lo_u32 v3, v5, 36
	v_and_b32_e32 v4, 1, v5
	v_add_co_u32_e32 v30, vcc, -1, v4
	v_addc_co_u32_e64 v31, s[24:25], 0, -1, vcc
	v_cmp_ne_u32_e32 vcc, 0, v4
	v_xor_b32_e32 v4, vcc_hi, v31
	v_add_u32_e32 v7, v39, v3
	v_mov_b32_e32 v3, 0
	v_and_b32_e32 v31, exec_hi, v4
	v_lshlrev_b32_e32 v4, 30, v5
	v_xor_b32_e32 v30, vcc_lo, v30
	v_cmp_gt_i64_e32 vcc, 0, v[3:4]
	v_not_b32_e32 v4, v4
	v_ashrrev_i32_e32 v4, 31, v4
	v_and_b32_e32 v30, exec_lo, v30
	v_xor_b32_e32 v34, vcc_hi, v4
	v_xor_b32_e32 v4, vcc_lo, v4
	v_and_b32_e32 v30, v30, v4
	v_lshlrev_b32_e32 v4, 29, v5
	v_cmp_gt_i64_e32 vcc, 0, v[3:4]
	v_not_b32_e32 v4, v4
	v_ashrrev_i32_e32 v4, 31, v4
	v_and_b32_e32 v31, v31, v34
	v_xor_b32_e32 v34, vcc_hi, v4
	v_xor_b32_e32 v4, vcc_lo, v4
	v_and_b32_e32 v30, v30, v4
	v_lshlrev_b32_e32 v4, 28, v5
	v_cmp_gt_i64_e32 vcc, 0, v[3:4]
	v_not_b32_e32 v4, v4
	v_ashrrev_i32_e32 v4, 31, v4
	v_and_b32_e32 v31, v31, v34
	;; [unrolled: 8-line block ×5, first 2 shown]
	v_xor_b32_e32 v34, vcc_hi, v4
	v_xor_b32_e32 v4, vcc_lo, v4
	v_and_b32_e32 v30, v30, v4
	v_lshlrev_b32_e32 v4, 24, v5
	v_cmp_gt_i64_e32 vcc, 0, v[3:4]
	v_not_b32_e32 v4, v4
	v_ashrrev_i32_e32 v4, 31, v4
	v_xor_b32_e32 v5, vcc_hi, v4
	v_xor_b32_e32 v4, vcc_lo, v4
	; wave barrier
	ds_read_b32 v29, v7 offset:32
	v_and_b32_e32 v31, v31, v34
	v_and_b32_e32 v4, v30, v4
	v_and_b32_e32 v5, v31, v5
	v_mbcnt_lo_u32_b32 v30, v4, 0
	v_mbcnt_hi_u32_b32 v30, v5, v30
	v_cmp_ne_u64_e32 vcc, 0, v[4:5]
	v_cmp_eq_u32_e64 s[24:25], 0, v30
	s_and_b64 s[50:51], vcc, s[24:25]
	; wave barrier
	s_and_saveexec_b64 s[24:25], s[50:51]
	s_cbranch_execz .LBB1855_31
; %bb.30:
	v_bcnt_u32_b32 v4, v4, 0
	v_bcnt_u32_b32 v4, v5, v4
	s_waitcnt lgkmcnt(0)
	v_add_u32_e32 v4, v29, v4
	ds_write_b32 v7, v4 offset:32
.LBB1855_31:
	s_or_b64 exec, exec, s[24:25]
	v_cmp_lt_i32_e32 vcc, -1, v8
	v_cndmask_b32_e32 v4, -1, v6, vcc
	v_xor_b32_e32 v35, v4, v8
	v_cmp_ne_u32_e32 vcc, s28, v35
	v_cndmask_b32_e32 v4, v6, v35, vcc
	v_lshrrev_b32_e32 v4, s48, v4
	v_and_b32_e32 v5, s57, v4
	v_mul_lo_u32 v4, v5, 36
	; wave barrier
	v_add_u32_e32 v8, v39, v4
	v_and_b32_e32 v4, 1, v5
	v_add_co_u32_e32 v6, vcc, -1, v4
	v_addc_co_u32_e64 v34, s[24:25], 0, -1, vcc
	v_cmp_ne_u32_e32 vcc, 0, v4
	v_xor_b32_e32 v4, vcc_hi, v34
	v_and_b32_e32 v34, exec_hi, v4
	v_lshlrev_b32_e32 v4, 30, v5
	v_xor_b32_e32 v6, vcc_lo, v6
	v_cmp_gt_i64_e32 vcc, 0, v[3:4]
	v_not_b32_e32 v4, v4
	v_ashrrev_i32_e32 v4, 31, v4
	v_and_b32_e32 v6, exec_lo, v6
	v_xor_b32_e32 v36, vcc_hi, v4
	v_xor_b32_e32 v4, vcc_lo, v4
	v_and_b32_e32 v6, v6, v4
	v_lshlrev_b32_e32 v4, 29, v5
	v_cmp_gt_i64_e32 vcc, 0, v[3:4]
	v_not_b32_e32 v4, v4
	v_ashrrev_i32_e32 v4, 31, v4
	v_and_b32_e32 v34, v34, v36
	v_xor_b32_e32 v36, vcc_hi, v4
	v_xor_b32_e32 v4, vcc_lo, v4
	v_and_b32_e32 v6, v6, v4
	v_lshlrev_b32_e32 v4, 28, v5
	v_cmp_gt_i64_e32 vcc, 0, v[3:4]
	v_not_b32_e32 v4, v4
	v_ashrrev_i32_e32 v4, 31, v4
	v_and_b32_e32 v34, v34, v36
	;; [unrolled: 8-line block ×5, first 2 shown]
	v_xor_b32_e32 v36, vcc_hi, v4
	v_xor_b32_e32 v4, vcc_lo, v4
	v_and_b32_e32 v6, v6, v4
	v_lshlrev_b32_e32 v4, 24, v5
	v_cmp_gt_i64_e32 vcc, 0, v[3:4]
	v_not_b32_e32 v3, v4
	v_ashrrev_i32_e32 v3, 31, v3
	v_xor_b32_e32 v4, vcc_hi, v3
	v_xor_b32_e32 v3, vcc_lo, v3
	ds_read_b32 v31, v8 offset:32
	v_and_b32_e32 v34, v34, v36
	v_and_b32_e32 v3, v6, v3
	;; [unrolled: 1-line block ×3, first 2 shown]
	v_mbcnt_lo_u32_b32 v5, v3, 0
	v_mbcnt_hi_u32_b32 v34, v4, v5
	v_cmp_ne_u64_e32 vcc, 0, v[3:4]
	v_cmp_eq_u32_e64 s[24:25], 0, v34
	s_and_b64 s[28:29], vcc, s[24:25]
	; wave barrier
	s_and_saveexec_b64 s[24:25], s[28:29]
	s_cbranch_execz .LBB1855_33
; %bb.32:
	v_bcnt_u32_b32 v3, v3, 0
	v_bcnt_u32_b32 v3, v4, v3
	s_waitcnt lgkmcnt(0)
	v_add_u32_e32 v3, v31, v3
	ds_write_b32 v8, v3 offset:32
.LBB1855_33:
	s_or_b64 exec, exec, s[24:25]
	v_bfrev_b32_e32 v6, 1
	v_cmp_lt_i32_e32 vcc, -1, v9
	v_cndmask_b32_e32 v3, -1, v6, vcc
	v_xor_b32_e32 v9, v3, v9
	s_brev_b32 s28, -2
	v_cmp_ne_u32_e32 vcc, s28, v9
	v_cndmask_b32_e32 v3, v6, v9, vcc
	v_lshrrev_b32_e32 v3, s48, v3
	v_and_b32_e32 v5, s57, v3
	v_mul_lo_u32 v3, v5, 36
	v_and_b32_e32 v4, 1, v5
	v_add_co_u32_e32 v38, vcc, -1, v4
	v_addc_co_u32_e64 v41, s[24:25], 0, -1, vcc
	v_cmp_ne_u32_e32 vcc, 0, v4
	v_xor_b32_e32 v4, vcc_hi, v41
	v_add_u32_e32 v46, v39, v3
	v_mov_b32_e32 v3, 0
	v_and_b32_e32 v41, exec_hi, v4
	v_lshlrev_b32_e32 v4, 30, v5
	v_xor_b32_e32 v38, vcc_lo, v38
	v_cmp_gt_i64_e32 vcc, 0, v[3:4]
	v_not_b32_e32 v4, v4
	v_ashrrev_i32_e32 v4, 31, v4
	v_and_b32_e32 v38, exec_lo, v38
	v_xor_b32_e32 v42, vcc_hi, v4
	v_xor_b32_e32 v4, vcc_lo, v4
	v_and_b32_e32 v38, v38, v4
	v_lshlrev_b32_e32 v4, 29, v5
	v_cmp_gt_i64_e32 vcc, 0, v[3:4]
	v_not_b32_e32 v4, v4
	v_ashrrev_i32_e32 v4, 31, v4
	v_and_b32_e32 v41, v41, v42
	v_xor_b32_e32 v42, vcc_hi, v4
	v_xor_b32_e32 v4, vcc_lo, v4
	v_and_b32_e32 v38, v38, v4
	v_lshlrev_b32_e32 v4, 28, v5
	v_cmp_gt_i64_e32 vcc, 0, v[3:4]
	v_not_b32_e32 v4, v4
	v_ashrrev_i32_e32 v4, 31, v4
	v_and_b32_e32 v41, v41, v42
	;; [unrolled: 8-line block ×5, first 2 shown]
	v_xor_b32_e32 v42, vcc_hi, v4
	v_xor_b32_e32 v4, vcc_lo, v4
	v_and_b32_e32 v38, v38, v4
	v_lshlrev_b32_e32 v4, 24, v5
	v_cmp_gt_i64_e32 vcc, 0, v[3:4]
	v_not_b32_e32 v4, v4
	v_ashrrev_i32_e32 v4, 31, v4
	v_xor_b32_e32 v5, vcc_hi, v4
	v_xor_b32_e32 v4, vcc_lo, v4
	; wave barrier
	ds_read_b32 v36, v46 offset:32
	v_and_b32_e32 v41, v41, v42
	v_and_b32_e32 v4, v38, v4
	;; [unrolled: 1-line block ×3, first 2 shown]
	v_mbcnt_lo_u32_b32 v38, v4, 0
	v_mbcnt_hi_u32_b32 v38, v5, v38
	v_cmp_ne_u64_e32 vcc, 0, v[4:5]
	v_cmp_eq_u32_e64 s[24:25], 0, v38
	s_and_b64 s[50:51], vcc, s[24:25]
	; wave barrier
	s_and_saveexec_b64 s[24:25], s[50:51]
	s_cbranch_execz .LBB1855_35
; %bb.34:
	v_bcnt_u32_b32 v4, v4, 0
	v_bcnt_u32_b32 v4, v5, v4
	s_waitcnt lgkmcnt(0)
	v_add_u32_e32 v4, v36, v4
	ds_write_b32 v46, v4 offset:32
.LBB1855_35:
	s_or_b64 exec, exec, s[24:25]
	v_cmp_lt_i32_e32 vcc, -1, v10
	v_cndmask_b32_e32 v4, -1, v6, vcc
	v_xor_b32_e32 v10, v4, v10
	v_cmp_ne_u32_e32 vcc, s28, v10
	v_cndmask_b32_e32 v4, v6, v10, vcc
	v_lshrrev_b32_e32 v4, s48, v4
	v_and_b32_e32 v5, s57, v4
	v_mul_lo_u32 v4, v5, 36
	; wave barrier
	v_add_u32_e32 v47, v39, v4
	v_and_b32_e32 v4, 1, v5
	v_add_co_u32_e32 v6, vcc, -1, v4
	v_addc_co_u32_e64 v41, s[24:25], 0, -1, vcc
	v_cmp_ne_u32_e32 vcc, 0, v4
	v_xor_b32_e32 v4, vcc_hi, v41
	v_and_b32_e32 v41, exec_hi, v4
	v_lshlrev_b32_e32 v4, 30, v5
	v_xor_b32_e32 v6, vcc_lo, v6
	v_cmp_gt_i64_e32 vcc, 0, v[3:4]
	v_not_b32_e32 v4, v4
	v_ashrrev_i32_e32 v4, 31, v4
	v_and_b32_e32 v6, exec_lo, v6
	v_xor_b32_e32 v42, vcc_hi, v4
	v_xor_b32_e32 v4, vcc_lo, v4
	v_and_b32_e32 v6, v6, v4
	v_lshlrev_b32_e32 v4, 29, v5
	v_cmp_gt_i64_e32 vcc, 0, v[3:4]
	v_not_b32_e32 v4, v4
	v_ashrrev_i32_e32 v4, 31, v4
	v_and_b32_e32 v41, v41, v42
	v_xor_b32_e32 v42, vcc_hi, v4
	v_xor_b32_e32 v4, vcc_lo, v4
	v_and_b32_e32 v6, v6, v4
	v_lshlrev_b32_e32 v4, 28, v5
	v_cmp_gt_i64_e32 vcc, 0, v[3:4]
	v_not_b32_e32 v4, v4
	v_ashrrev_i32_e32 v4, 31, v4
	v_and_b32_e32 v41, v41, v42
	;; [unrolled: 8-line block ×5, first 2 shown]
	v_xor_b32_e32 v42, vcc_hi, v4
	v_xor_b32_e32 v4, vcc_lo, v4
	v_and_b32_e32 v6, v6, v4
	v_lshlrev_b32_e32 v4, 24, v5
	v_cmp_gt_i64_e32 vcc, 0, v[3:4]
	v_not_b32_e32 v3, v4
	v_ashrrev_i32_e32 v3, 31, v3
	v_xor_b32_e32 v4, vcc_hi, v3
	v_xor_b32_e32 v3, vcc_lo, v3
	ds_read_b32 v39, v47 offset:32
	v_and_b32_e32 v41, v41, v42
	v_and_b32_e32 v3, v6, v3
	v_and_b32_e32 v4, v41, v4
	v_mbcnt_lo_u32_b32 v5, v3, 0
	v_mbcnt_hi_u32_b32 v41, v4, v5
	v_cmp_ne_u64_e32 vcc, 0, v[3:4]
	v_cmp_eq_u32_e64 s[24:25], 0, v41
	s_and_b64 s[28:29], vcc, s[24:25]
	; wave barrier
	s_and_saveexec_b64 s[24:25], s[28:29]
	s_cbranch_execz .LBB1855_37
; %bb.36:
	v_bcnt_u32_b32 v3, v3, 0
	v_bcnt_u32_b32 v3, v4, v3
	s_waitcnt lgkmcnt(0)
	v_add_u32_e32 v3, v39, v3
	ds_write_b32 v47, v3 offset:32
.LBB1855_37:
	s_or_b64 exec, exec, s[24:25]
	; wave barrier
	s_waitcnt lgkmcnt(0)
	s_barrier
	ds_read2_b32 v[5:6], v19 offset0:8 offset1:9
	ds_read2_b32 v[3:4], v19 offset0:10 offset1:11
	ds_read_b32 v42, v19 offset:48
	s_waitcnt lgkmcnt(1)
	v_add3_u32 v43, v6, v5, v3
	s_waitcnt lgkmcnt(0)
	v_add3_u32 v42, v43, v4, v42
	v_and_b32_e32 v43, 15, v17
	v_cmp_ne_u32_e32 vcc, 0, v43
	v_mov_b32_dpp v44, v42 row_shr:1 row_mask:0xf bank_mask:0xf
	v_cndmask_b32_e32 v44, 0, v44, vcc
	v_add_u32_e32 v42, v44, v42
	v_cmp_lt_u32_e32 vcc, 1, v43
	s_nop 0
	v_mov_b32_dpp v44, v42 row_shr:2 row_mask:0xf bank_mask:0xf
	v_cndmask_b32_e32 v44, 0, v44, vcc
	v_add_u32_e32 v42, v42, v44
	v_cmp_lt_u32_e32 vcc, 3, v43
	s_nop 0
	;; [unrolled: 5-line block ×3, first 2 shown]
	v_mov_b32_dpp v44, v42 row_shr:8 row_mask:0xf bank_mask:0xf
	v_cndmask_b32_e32 v43, 0, v44, vcc
	v_add_u32_e32 v42, v42, v43
	v_bfe_i32 v44, v17, 4, 1
	v_cmp_lt_u32_e32 vcc, 31, v17
	v_mov_b32_dpp v43, v42 row_bcast:15 row_mask:0xf bank_mask:0xf
	v_and_b32_e32 v43, v44, v43
	v_add_u32_e32 v42, v42, v43
	v_or_b32_e32 v44, 63, v0
	s_nop 0
	v_mov_b32_dpp v43, v42 row_bcast:31 row_mask:0xf bank_mask:0xf
	v_cndmask_b32_e32 v43, 0, v43, vcc
	v_add_u32_e32 v42, v42, v43
	v_lshrrev_b32_e32 v43, 6, v0
	v_cmp_eq_u32_e32 vcc, v0, v44
	s_and_saveexec_b64 s[24:25], vcc
; %bb.38:
	v_lshlrev_b32_e32 v44, 2, v43
	ds_write_b32 v44, v42
; %bb.39:
	s_or_b64 exec, exec, s[24:25]
	v_cmp_gt_u32_e32 vcc, 8, v0
	s_waitcnt lgkmcnt(0)
	s_barrier
	s_and_saveexec_b64 s[28:29], vcc
	s_cbranch_execz .LBB1855_41
; %bb.40:
	v_lshlrev_b32_e32 v44, 2, v0
	ds_read_b32 v45, v44
	v_and_b32_e32 v48, 7, v17
	v_cmp_ne_u32_e32 vcc, 0, v48
	v_cmp_lt_u32_e64 s[24:25], 1, v48
	s_waitcnt lgkmcnt(0)
	v_mov_b32_dpp v49, v45 row_shr:1 row_mask:0xf bank_mask:0xf
	v_cndmask_b32_e32 v49, 0, v49, vcc
	v_add_u32_e32 v45, v49, v45
	v_cmp_lt_u32_e32 vcc, 3, v48
	s_nop 0
	v_mov_b32_dpp v49, v45 row_shr:2 row_mask:0xf bank_mask:0xf
	v_cndmask_b32_e64 v49, 0, v49, s[24:25]
	v_add_u32_e32 v45, v45, v49
	s_nop 1
	v_mov_b32_dpp v49, v45 row_shr:4 row_mask:0xf bank_mask:0xf
	v_cndmask_b32_e32 v48, 0, v49, vcc
	v_add_u32_e32 v45, v45, v48
	ds_write_b32 v44, v45
.LBB1855_41:
	s_or_b64 exec, exec, s[28:29]
	v_cmp_lt_u32_e32 vcc, 63, v0
	v_mov_b32_e32 v44, 0
	s_waitcnt lgkmcnt(0)
	s_barrier
	s_and_saveexec_b64 s[24:25], vcc
; %bb.42:
	v_lshl_add_u32 v43, v43, 2, -4
	ds_read_b32 v44, v43
; %bb.43:
	s_or_b64 exec, exec, s[24:25]
	v_subrev_co_u32_e32 v43, vcc, 1, v17
	v_and_b32_e32 v45, 64, v17
	v_cmp_lt_i32_e64 s[24:25], v43, v45
	v_cndmask_b32_e64 v17, v43, v17, s[24:25]
	s_waitcnt lgkmcnt(0)
	v_add_u32_e32 v42, v44, v42
	v_lshlrev_b32_e32 v17, 2, v17
	ds_bpermute_b32 v17, v17, v42
	s_movk_i32 s24, 0xff
	s_movk_i32 s28, 0x100
	v_cmp_lt_u32_e64 s[24:25], s24, v0
	s_waitcnt lgkmcnt(0)
	v_cndmask_b32_e32 v17, v17, v44, vcc
	v_cndmask_b32_e64 v17, v17, 0, s[26:27]
	v_add_u32_e32 v5, v17, v5
	v_add_u32_e32 v6, v5, v6
	;; [unrolled: 1-line block ×4, first 2 shown]
	ds_write2_b32 v19, v17, v5 offset0:8 offset1:9
	ds_write2_b32 v19, v6, v3 offset0:10 offset1:11
	ds_write_b32 v19, v4 offset:48
	s_waitcnt lgkmcnt(0)
	s_barrier
	ds_read_b32 v17, v32 offset:32
	ds_read_b32 v42, v33 offset:32
	;; [unrolled: 1-line block ×8, first 2 shown]
	v_cmp_gt_u32_e32 vcc, s28, v0
                                        ; implicit-def: $vgpr32
                                        ; implicit-def: $vgpr33
	s_and_saveexec_b64 s[50:51], vcc
	s_cbranch_execz .LBB1855_47
; %bb.44:
	v_mul_u32_u24_e32 v3, 36, v0
	ds_read_b32 v32, v3 offset:32
	v_add_u32_e32 v4, 1, v0
	v_cmp_ne_u32_e64 s[28:29], s28, v4
	v_mov_b32_e32 v3, 0x1000
	s_and_saveexec_b64 s[52:53], s[28:29]
; %bb.45:
	v_mul_u32_u24_e32 v3, 36, v4
	ds_read_b32 v3, v3 offset:32
; %bb.46:
	s_or_b64 exec, exec, s[52:53]
	s_waitcnt lgkmcnt(0)
	v_sub_u32_e32 v33, v3, v32
.LBB1855_47:
	s_or_b64 exec, exec, s[50:51]
	v_mov_b32_e32 v4, 0
	v_lshlrev_b32_e32 v37, 2, v0
	s_waitcnt lgkmcnt(0)
	s_barrier
	s_and_saveexec_b64 s[28:29], vcc
	s_cbranch_execz .LBB1855_57
; %bb.48:
	v_lshl_add_u32 v3, s33, 8, v0
	v_lshlrev_b64 v[5:6], 2, v[3:4]
	v_mov_b32_e32 v19, s31
	v_add_co_u32_e32 v5, vcc, s30, v5
	v_addc_co_u32_e32 v6, vcc, v19, v6, vcc
	v_or_b32_e32 v3, 2.0, v33
	s_mov_b64 s[50:51], 0
	s_brev_b32 s58, -4
	s_mov_b32 s59, s33
	v_mov_b32_e32 v48, 0
	global_store_dword v[5:6], v3, off
                                        ; implicit-def: $sgpr52_sgpr53
	s_branch .LBB1855_51
.LBB1855_49:                            ;   in Loop: Header=BB1855_51 Depth=1
	s_or_b64 exec, exec, s[54:55]
.LBB1855_50:                            ;   in Loop: Header=BB1855_51 Depth=1
	s_or_b64 exec, exec, s[52:53]
	v_and_b32_e32 v7, 0x3fffffff, v3
	v_add_u32_e32 v48, v7, v48
	v_cmp_gt_i32_e64 s[52:53], -2.0, v3
	s_and_b64 s[54:55], exec, s[52:53]
	s_or_b64 s[50:51], s[54:55], s[50:51]
	s_andn2_b64 exec, exec, s[50:51]
	s_cbranch_execz .LBB1855_56
.LBB1855_51:                            ; =>This Loop Header: Depth=1
                                        ;     Child Loop BB1855_54 Depth 2
	s_or_b64 s[52:53], s[52:53], exec
	s_cmp_eq_u32 s59, 0
	s_cbranch_scc1 .LBB1855_55
; %bb.52:                               ;   in Loop: Header=BB1855_51 Depth=1
	s_add_i32 s59, s59, -1
	v_lshl_or_b32 v3, s59, 8, v0
	v_lshlrev_b64 v[7:8], 2, v[3:4]
	v_add_co_u32_e32 v7, vcc, s30, v7
	v_addc_co_u32_e32 v8, vcc, v19, v8, vcc
	global_load_dword v3, v[7:8], off glc
	s_waitcnt vmcnt(0)
	v_cmp_gt_u32_e32 vcc, 2.0, v3
	s_and_saveexec_b64 s[52:53], vcc
	s_cbranch_execz .LBB1855_50
; %bb.53:                               ;   in Loop: Header=BB1855_51 Depth=1
	s_mov_b64 s[54:55], 0
.LBB1855_54:                            ;   Parent Loop BB1855_51 Depth=1
                                        ; =>  This Inner Loop Header: Depth=2
	global_load_dword v3, v[7:8], off glc
	s_waitcnt vmcnt(0)
	v_cmp_lt_u32_e32 vcc, s58, v3
	s_or_b64 s[54:55], vcc, s[54:55]
	s_andn2_b64 exec, exec, s[54:55]
	s_cbranch_execnz .LBB1855_54
	s_branch .LBB1855_49
.LBB1855_55:                            ;   in Loop: Header=BB1855_51 Depth=1
                                        ; implicit-def: $sgpr59
	s_and_b64 s[54:55], exec, s[52:53]
	s_or_b64 s[50:51], s[54:55], s[50:51]
	s_andn2_b64 exec, exec, s[50:51]
	s_cbranch_execnz .LBB1855_51
.LBB1855_56:
	s_or_b64 exec, exec, s[50:51]
	v_add_u32_e32 v3, v48, v33
	v_or_b32_e32 v3, 0x80000000, v3
	global_store_dword v[5:6], v3, off
	global_load_dword v3, v37, s[44:45]
	v_sub_u32_e32 v4, v48, v32
	s_waitcnt vmcnt(0)
	v_add_u32_e32 v3, v4, v3
	ds_write_b32 v37, v3
.LBB1855_57:
	s_or_b64 exec, exec, s[28:29]
	v_add_u32_e32 v48, v17, v18
	v_add3_u32 v5, v24, v23, v42
	v_add3_u32 v6, v26, v25, v43
	;; [unrolled: 1-line block ×7, first 2 shown]
	s_mov_b32 s52, 16
	s_mov_b32 s59, 0
	s_mov_b64 s[28:29], -1
	s_brev_b32 s53, -2
	v_mov_b32_e32 v4, 0
	s_movk_i32 s54, 0x200
	s_movk_i32 s55, 0x400
	;; [unrolled: 1-line block ×3, first 2 shown]
	v_bfrev_b32_e32 v49, 1
	v_mov_b32_e32 v50, v48
	v_mov_b32_e32 v51, v0
	s_branch .LBB1855_59
.LBB1855_58:                            ;   in Loop: Header=BB1855_59 Depth=1
	s_or_b64 exec, exec, s[50:51]
	s_xor_b64 s[50:51], s[28:29], -1
	v_add_u32_e32 v51, 0x800, v51
	v_add_u32_e32 v19, 0xfffff800, v19
	;; [unrolled: 1-line block ×9, first 2 shown]
	s_mov_b64 s[28:29], 0
	s_and_b64 vcc, exec, s[50:51]
	s_mov_b32 s59, s52
	s_waitcnt vmcnt(0)
	s_barrier
	s_cbranch_vccnz .LBB1855_67
.LBB1855_59:                            ; =>This Inner Loop Header: Depth=1
	v_min_u32_e32 v3, 0x800, v50
	v_lshlrev_b32_e32 v3, 2, v3
	ds_write_b32 v3, v16 offset:1024
	v_min_u32_e32 v3, 0x800, v5
	v_lshlrev_b32_e32 v3, 2, v3
	ds_write_b32 v3, v13 offset:1024
	;; [unrolled: 3-line block ×7, first 2 shown]
	v_min_u32_e32 v3, 0x800, v19
	v_lshlrev_b32_e32 v3, 2, v3
	v_cmp_gt_u32_e32 vcc, s7, v51
	ds_write_b32 v3, v10 offset:1024
	s_waitcnt lgkmcnt(0)
	s_barrier
	s_and_saveexec_b64 s[50:51], vcc
	s_cbranch_execz .LBB1855_61
; %bb.60:                               ;   in Loop: Header=BB1855_59 Depth=1
	ds_read_b32 v3, v37 offset:1024
	v_mov_b32_e32 v54, s39
	v_mov_b32_e32 v56, s59
	s_waitcnt lgkmcnt(0)
	v_cmp_ne_u32_e32 vcc, s53, v3
	v_cndmask_b32_e32 v52, v49, v3, vcc
	v_lshrrev_b32_e32 v52, s48, v52
	v_and_b32_e32 v55, s57, v52
	v_lshlrev_b32_e32 v52, 2, v55
	ds_read_b32 v52, v52
	v_cmp_lt_i32_e32 vcc, -1, v3
	v_cndmask_b32_e64 v53, v49, -1, vcc
	v_xor_b32_e32 v57, v53, v3
	buffer_store_dword v55, v56, s[0:3], 0 offen
	s_waitcnt lgkmcnt(0)
	v_add_u32_e32 v3, v51, v52
	v_lshlrev_b64 v[52:53], 2, v[3:4]
	v_add_co_u32_e32 v52, vcc, s38, v52
	v_addc_co_u32_e32 v53, vcc, v54, v53, vcc
	global_store_dword v[52:53], v57, off
.LBB1855_61:                            ;   in Loop: Header=BB1855_59 Depth=1
	s_or_b64 exec, exec, s[50:51]
	v_add_u32_e32 v3, 0x200, v51
	v_cmp_gt_u32_e32 vcc, s7, v3
	s_and_saveexec_b64 s[50:51], vcc
	s_cbranch_execz .LBB1855_63
; %bb.62:                               ;   in Loop: Header=BB1855_59 Depth=1
	ds_read_b32 v3, v37 offset:3072
	v_mov_b32_e32 v54, s39
	v_mov_b32_e32 v56, s59
	s_waitcnt lgkmcnt(0)
	v_cmp_ne_u32_e32 vcc, s53, v3
	v_cndmask_b32_e32 v52, v49, v3, vcc
	v_lshrrev_b32_e32 v52, s48, v52
	v_and_b32_e32 v55, s57, v52
	v_lshlrev_b32_e32 v52, 2, v55
	ds_read_b32 v52, v52
	v_cmp_lt_i32_e32 vcc, -1, v3
	v_cndmask_b32_e64 v53, v49, -1, vcc
	v_xor_b32_e32 v57, v53, v3
	buffer_store_dword v55, v56, s[0:3], 0 offen offset:4
	s_waitcnt lgkmcnt(0)
	v_add3_u32 v3, v51, v52, s54
	v_lshlrev_b64 v[52:53], 2, v[3:4]
	v_add_co_u32_e32 v52, vcc, s38, v52
	v_addc_co_u32_e32 v53, vcc, v54, v53, vcc
	global_store_dword v[52:53], v57, off
.LBB1855_63:                            ;   in Loop: Header=BB1855_59 Depth=1
	s_or_b64 exec, exec, s[50:51]
	v_add_u32_e32 v3, 0x400, v51
	v_cmp_gt_u32_e32 vcc, s7, v3
	s_and_saveexec_b64 s[50:51], vcc
	s_cbranch_execz .LBB1855_65
; %bb.64:                               ;   in Loop: Header=BB1855_59 Depth=1
	ds_read_b32 v3, v37 offset:5120
	v_mov_b32_e32 v54, s39
	v_mov_b32_e32 v56, s59
	s_waitcnt lgkmcnt(0)
	v_cmp_ne_u32_e32 vcc, s53, v3
	v_cndmask_b32_e32 v52, v49, v3, vcc
	v_lshrrev_b32_e32 v52, s48, v52
	v_and_b32_e32 v55, s57, v52
	v_lshlrev_b32_e32 v52, 2, v55
	ds_read_b32 v52, v52
	v_cmp_lt_i32_e32 vcc, -1, v3
	v_cndmask_b32_e64 v53, v49, -1, vcc
	v_xor_b32_e32 v57, v53, v3
	buffer_store_dword v55, v56, s[0:3], 0 offen offset:8
	s_waitcnt lgkmcnt(0)
	v_add3_u32 v3, v51, v52, s55
	v_lshlrev_b64 v[52:53], 2, v[3:4]
	v_add_co_u32_e32 v52, vcc, s38, v52
	v_addc_co_u32_e32 v53, vcc, v54, v53, vcc
	global_store_dword v[52:53], v57, off
.LBB1855_65:                            ;   in Loop: Header=BB1855_59 Depth=1
	s_or_b64 exec, exec, s[50:51]
	v_add_u32_e32 v3, 0x600, v51
	v_cmp_gt_u32_e32 vcc, s7, v3
	s_and_saveexec_b64 s[50:51], vcc
	s_cbranch_execz .LBB1855_58
; %bb.66:                               ;   in Loop: Header=BB1855_59 Depth=1
	ds_read_b32 v3, v37 offset:7168
	v_mov_b32_e32 v54, s39
	v_mov_b32_e32 v56, s59
	s_waitcnt lgkmcnt(0)
	v_cmp_ne_u32_e32 vcc, s53, v3
	v_cndmask_b32_e32 v52, v49, v3, vcc
	v_lshrrev_b32_e32 v52, s48, v52
	v_and_b32_e32 v55, s57, v52
	v_lshlrev_b32_e32 v52, 2, v55
	ds_read_b32 v52, v52
	v_cmp_lt_i32_e32 vcc, -1, v3
	v_cndmask_b32_e64 v53, v49, -1, vcc
	v_xor_b32_e32 v57, v53, v3
	buffer_store_dword v55, v56, s[0:3], 0 offen offset:12
	s_waitcnt lgkmcnt(0)
	v_add3_u32 v3, v51, v52, s58
	v_lshlrev_b64 v[52:53], 2, v[3:4]
	v_add_co_u32_e32 v52, vcc, s38, v52
	v_addc_co_u32_e32 v53, vcc, v54, v53, vcc
	global_store_dword v[52:53], v57, off
	s_branch .LBB1855_58
.LBB1855_67:
	s_lshl_b64 s[28:29], s[34:35], 3
	s_add_u32 s28, s40, s28
	s_addc_u32 s29, s41, s29
	v_lshlrev_b32_e32 v3, 3, v15
	v_mov_b32_e32 v4, s29
	v_add_co_u32_e32 v3, vcc, s28, v3
	v_addc_co_u32_e32 v4, vcc, 0, v4, vcc
	v_lshlrev_b32_e32 v5, 3, v14
	v_add_co_u32_e32 v19, vcc, v3, v5
	v_addc_co_u32_e32 v20, vcc, 0, v4, vcc
                                        ; implicit-def: $vgpr3_vgpr4
	s_and_saveexec_b64 s[28:29], s[8:9]
	s_cbranch_execz .LBB1855_75
; %bb.68:
	global_load_dwordx2 v[3:4], v[19:20], off
	s_or_b64 exec, exec, s[28:29]
                                        ; implicit-def: $vgpr5_vgpr6
	s_and_saveexec_b64 s[8:9], s[10:11]
	s_cbranch_execnz .LBB1855_76
.LBB1855_69:
	s_or_b64 exec, exec, s[8:9]
                                        ; implicit-def: $vgpr7_vgpr8
	s_and_saveexec_b64 s[8:9], s[12:13]
	s_cbranch_execz .LBB1855_77
.LBB1855_70:
	global_load_dwordx2 v[7:8], v[19:20], off offset:1024
	s_or_b64 exec, exec, s[8:9]
                                        ; implicit-def: $vgpr9_vgpr10
	s_and_saveexec_b64 s[8:9], s[14:15]
	s_cbranch_execnz .LBB1855_78
.LBB1855_71:
	s_or_b64 exec, exec, s[8:9]
                                        ; implicit-def: $vgpr11_vgpr12
	s_and_saveexec_b64 s[8:9], s[16:17]
	s_cbranch_execz .LBB1855_79
.LBB1855_72:
	global_load_dwordx2 v[11:12], v[19:20], off offset:2048
	s_or_b64 exec, exec, s[8:9]
                                        ; implicit-def: $vgpr13_vgpr14
	s_and_saveexec_b64 s[8:9], s[18:19]
	s_cbranch_execnz .LBB1855_80
.LBB1855_73:
	s_or_b64 exec, exec, s[8:9]
                                        ; implicit-def: $vgpr15_vgpr16
	s_and_saveexec_b64 s[8:9], s[20:21]
	s_cbranch_execz .LBB1855_81
.LBB1855_74:
	global_load_dwordx2 v[15:16], v[19:20], off offset:3072
	s_or_b64 exec, exec, s[8:9]
                                        ; implicit-def: $vgpr17_vgpr18
	s_and_saveexec_b64 s[8:9], s[22:23]
	s_cbranch_execnz .LBB1855_82
	s_branch .LBB1855_83
.LBB1855_75:
	s_or_b64 exec, exec, s[28:29]
                                        ; implicit-def: $vgpr5_vgpr6
	s_and_saveexec_b64 s[8:9], s[10:11]
	s_cbranch_execz .LBB1855_69
.LBB1855_76:
	global_load_dwordx2 v[5:6], v[19:20], off offset:512
	s_or_b64 exec, exec, s[8:9]
                                        ; implicit-def: $vgpr7_vgpr8
	s_and_saveexec_b64 s[8:9], s[12:13]
	s_cbranch_execnz .LBB1855_70
.LBB1855_77:
	s_or_b64 exec, exec, s[8:9]
                                        ; implicit-def: $vgpr9_vgpr10
	s_and_saveexec_b64 s[8:9], s[14:15]
	s_cbranch_execz .LBB1855_71
.LBB1855_78:
	global_load_dwordx2 v[9:10], v[19:20], off offset:1536
	s_or_b64 exec, exec, s[8:9]
                                        ; implicit-def: $vgpr11_vgpr12
	s_and_saveexec_b64 s[8:9], s[16:17]
	s_cbranch_execnz .LBB1855_72
.LBB1855_79:
	s_or_b64 exec, exec, s[8:9]
                                        ; implicit-def: $vgpr13_vgpr14
	s_and_saveexec_b64 s[8:9], s[18:19]
	s_cbranch_execz .LBB1855_73
.LBB1855_80:
	global_load_dwordx2 v[13:14], v[19:20], off offset:2560
	s_or_b64 exec, exec, s[8:9]
                                        ; implicit-def: $vgpr15_vgpr16
	s_and_saveexec_b64 s[8:9], s[20:21]
	s_cbranch_execnz .LBB1855_74
.LBB1855_81:
	s_or_b64 exec, exec, s[8:9]
                                        ; implicit-def: $vgpr17_vgpr18
	s_and_saveexec_b64 s[8:9], s[22:23]
	s_cbranch_execz .LBB1855_83
.LBB1855_82:
	global_load_dwordx2 v[17:18], v[19:20], off offset:3584
.LBB1855_83:
	s_or_b64 exec, exec, s[8:9]
	v_add3_u32 v35, v41, v47, v39
	v_add3_u32 v36, v38, v46, v36
	;; [unrolled: 1-line block ×7, first 2 shown]
	s_mov_b32 s10, 0
	s_mov_b32 s11, 0
	v_mov_b32_e32 v20, 0
	s_movk_i32 s12, 0x200
	v_mov_b32_e32 v24, v0
	s_branch .LBB1855_85
.LBB1855_84:                            ;   in Loop: Header=BB1855_85 Depth=1
	s_or_b64 exec, exec, s[8:9]
	s_addk_i32 s11, 0xfc00
	s_add_i32 s10, s10, 8
	s_cmpk_eq_i32 s11, 0xf000
	v_add_u32_e32 v24, 0x400, v24
	s_waitcnt vmcnt(0)
	s_barrier
	s_cbranch_scc1 .LBB1855_89
.LBB1855_85:                            ; =>This Inner Loop Header: Depth=1
	v_add_u32_e32 v19, s11, v48
	v_min_u32_e32 v19, 0x400, v19
	v_lshlrev_b32_e32 v19, 3, v19
	s_waitcnt vmcnt(0)
	ds_write_b64 v19, v[3:4] offset:1024
	v_add_u32_e32 v19, s11, v23
	v_min_u32_e32 v19, 0x400, v19
	v_lshlrev_b32_e32 v19, 3, v19
	ds_write_b64 v19, v[5:6] offset:1024
	v_add_u32_e32 v19, s11, v25
	v_min_u32_e32 v19, 0x400, v19
	v_lshlrev_b32_e32 v19, 3, v19
	ds_write_b64 v19, v[7:8] offset:1024
	v_add_u32_e32 v19, s11, v27
	v_min_u32_e32 v19, 0x400, v19
	v_lshlrev_b32_e32 v19, 3, v19
	ds_write_b64 v19, v[9:10] offset:1024
	v_add_u32_e32 v19, s11, v29
	v_min_u32_e32 v19, 0x400, v19
	v_lshlrev_b32_e32 v19, 3, v19
	ds_write_b64 v19, v[11:12] offset:1024
	v_add_u32_e32 v19, s11, v31
	v_min_u32_e32 v19, 0x400, v19
	v_lshlrev_b32_e32 v19, 3, v19
	ds_write_b64 v19, v[13:14] offset:1024
	v_add_u32_e32 v19, s11, v36
	v_min_u32_e32 v19, 0x400, v19
	v_lshlrev_b32_e32 v19, 3, v19
	ds_write_b64 v19, v[15:16] offset:1024
	v_add_u32_e32 v19, s11, v35
	v_min_u32_e32 v19, 0x400, v19
	v_lshlrev_b32_e32 v19, 3, v19
	v_cmp_gt_u32_e32 vcc, s7, v24
	ds_write_b64 v19, v[17:18] offset:1024
	s_waitcnt lgkmcnt(0)
	s_barrier
	s_and_saveexec_b64 s[8:9], vcc
	s_cbranch_execz .LBB1855_87
; %bb.86:                               ;   in Loop: Header=BB1855_85 Depth=1
	v_mov_b32_e32 v19, s10
	buffer_load_dword v19, v19, s[0:3], 0 offen
	v_mov_b32_e32 v26, s43
	s_waitcnt vmcnt(0)
	v_lshlrev_b32_e32 v19, 2, v19
	ds_read_b32 v19, v19
	ds_read_b64 v[38:39], v21 offset:1024
	s_waitcnt lgkmcnt(1)
	v_add_u32_e32 v19, v24, v19
	v_lshlrev_b64 v[40:41], 3, v[19:20]
	v_add_co_u32_e32 v40, vcc, s42, v40
	v_addc_co_u32_e32 v41, vcc, v26, v41, vcc
	s_waitcnt lgkmcnt(0)
	global_store_dwordx2 v[40:41], v[38:39], off
.LBB1855_87:                            ;   in Loop: Header=BB1855_85 Depth=1
	s_or_b64 exec, exec, s[8:9]
	v_add_u32_e32 v19, 0x200, v24
	v_cmp_gt_u32_e32 vcc, s7, v19
	s_and_saveexec_b64 s[8:9], vcc
	s_cbranch_execz .LBB1855_84
; %bb.88:                               ;   in Loop: Header=BB1855_85 Depth=1
	v_mov_b32_e32 v19, s10
	buffer_load_dword v19, v19, s[0:3], 0 offen offset:4
	v_mov_b32_e32 v26, s43
	s_waitcnt vmcnt(0)
	v_lshlrev_b32_e32 v19, 2, v19
	ds_read_b32 v19, v19
	ds_read_b64 v[38:39], v21 offset:5120
	s_waitcnt lgkmcnt(1)
	v_add3_u32 v19, v24, v19, s12
	v_lshlrev_b64 v[40:41], 3, v[19:20]
	v_add_co_u32_e32 v40, vcc, s42, v40
	v_addc_co_u32_e32 v41, vcc, v26, v41, vcc
	s_waitcnt lgkmcnt(0)
	global_store_dwordx2 v[40:41], v[38:39], off
	s_branch .LBB1855_84
.LBB1855_89:
	s_add_i32 s56, s56, -1
	s_cmp_eq_u32 s33, s56
	s_cselect_b64 s[8:9], -1, 0
	s_xor_b64 s[10:11], s[24:25], -1
	s_and_b64 s[10:11], s[10:11], s[8:9]
	s_and_saveexec_b64 s[8:9], s[10:11]
	s_cbranch_execz .LBB1855_91
; %bb.90:
	ds_read_b32 v3, v37
	s_waitcnt lgkmcnt(0)
	v_add3_u32 v3, v32, v33, v3
	global_store_dword v37, v3, s[46:47]
.LBB1855_91:
	s_or_b64 exec, exec, s[8:9]
	s_mov_b64 s[8:9], 0
.LBB1855_92:
	s_and_b64 vcc, exec, s[8:9]
	s_cbranch_vccz .LBB1855_135
; %bb.93:
	s_lshl_b32 s8, s33, 12
	s_mov_b32 s9, 0
	s_lshl_b64 s[10:11], s[8:9], 2
	v_mbcnt_hi_u32_b32 v5, -1, v22
	s_add_u32 s7, s36, s10
	v_and_b32_e32 v8, 63, v5
	s_addc_u32 s10, s37, s11
	v_lshlrev_b32_e32 v3, 2, v8
	v_and_b32_e32 v7, 0xe00, v21
	v_mov_b32_e32 v4, s10
	v_add_co_u32_e32 v3, vcc, s7, v3
	v_addc_co_u32_e32 v4, vcc, 0, v4, vcc
	v_lshlrev_b32_e32 v6, 2, v7
	v_add_co_u32_e32 v14, vcc, v3, v6
	v_addc_co_u32_e32 v15, vcc, 0, v4, vcc
	global_load_dword v4, v[14:15], off
	s_load_dword s16, s[4:5], 0x58
	s_load_dword s7, s[4:5], 0x64
	s_add_u32 s4, s4, 0x58
	s_addc_u32 s5, s5, 0
	v_mov_b32_e32 v3, 0
	v_bfrev_b32_e32 v11, 1
	s_waitcnt lgkmcnt(0)
	s_lshr_b32 s11, s7, 16
	s_cmp_lt_u32 s6, s16
	s_cselect_b32 s6, 12, 18
	s_add_u32 s4, s4, s6
	s_addc_u32 s5, s5, 0
	global_load_ushort v6, v3, s[4:5]
	global_load_dword v10, v[14:15], off offset:256
	global_load_dword v17, v[14:15], off offset:512
	;; [unrolled: 1-line block ×7, first 2 shown]
	s_brev_b32 s10, -2
	s_lshl_b32 s4, -1, s49
	s_not_b32 s17, s4
	v_mad_u32_u24 v1, v2, s11, v1
	s_waitcnt vmcnt(8)
	v_cmp_lt_i32_e32 vcc, -1, v4
	v_cndmask_b32_e32 v9, -1, v11, vcc
	v_xor_b32_e32 v9, v9, v4
	v_cmp_ne_u32_e32 vcc, s10, v9
	v_cndmask_b32_e32 v4, v11, v9, vcc
	v_lshrrev_b32_e32 v4, s48, v4
	v_and_b32_e32 v12, s17, v4
	v_and_b32_e32 v14, 1, v12
	v_lshlrev_b32_e32 v4, 30, v12
	v_cmp_ne_u32_e32 vcc, 0, v14
	v_add_co_u32_e64 v14, s[6:7], -1, v14
	v_cmp_gt_i64_e64 s[4:5], 0, v[3:4]
	v_addc_co_u32_e64 v15, s[6:7], 0, -1, s[6:7]
	v_not_b32_e32 v18, v4
	v_lshlrev_b32_e32 v4, 29, v12
	v_xor_b32_e32 v15, vcc_hi, v15
	v_ashrrev_i32_e32 v18, 31, v18
	v_xor_b32_e32 v14, vcc_lo, v14
	v_cmp_gt_i64_e32 vcc, 0, v[3:4]
	v_not_b32_e32 v19, v4
	v_lshlrev_b32_e32 v4, 28, v12
	v_and_b32_e32 v15, exec_hi, v15
	v_xor_b32_e32 v20, s5, v18
	v_and_b32_e32 v14, exec_lo, v14
	v_xor_b32_e32 v18, s4, v18
	v_ashrrev_i32_e32 v19, 31, v19
	v_cmp_gt_i64_e64 s[4:5], 0, v[3:4]
	v_not_b32_e32 v23, v4
	v_lshlrev_b32_e32 v4, 27, v12
	v_and_b32_e32 v15, v15, v20
	v_and_b32_e32 v14, v14, v18
	v_xor_b32_e32 v18, vcc_hi, v19
	v_xor_b32_e32 v19, vcc_lo, v19
	v_ashrrev_i32_e32 v20, 31, v23
	v_cmp_gt_i64_e32 vcc, 0, v[3:4]
	v_not_b32_e32 v23, v4
	v_lshlrev_b32_e32 v4, 26, v12
	v_and_b32_e32 v15, v15, v18
	v_and_b32_e32 v14, v14, v19
	v_xor_b32_e32 v18, s5, v20
	v_xor_b32_e32 v19, s4, v20
	v_ashrrev_i32_e32 v20, 31, v23
	v_cmp_gt_i64_e64 s[4:5], 0, v[3:4]
	v_not_b32_e32 v23, v4
	v_lshlrev_b32_e32 v4, 25, v12
	v_and_b32_e32 v15, v15, v18
	v_and_b32_e32 v14, v14, v19
	v_xor_b32_e32 v18, vcc_hi, v20
	v_xor_b32_e32 v19, vcc_lo, v20
	v_ashrrev_i32_e32 v20, 31, v23
	v_cmp_gt_i64_e32 vcc, 0, v[3:4]
	v_not_b32_e32 v4, v4
	v_and_b32_e32 v15, v15, v18
	v_and_b32_e32 v14, v14, v19
	v_xor_b32_e32 v18, s5, v20
	v_xor_b32_e32 v19, s4, v20
	v_ashrrev_i32_e32 v4, 31, v4
	v_and_b32_e32 v15, v15, v18
	v_and_b32_e32 v14, v14, v19
	v_xor_b32_e32 v18, vcc_hi, v4
	v_xor_b32_e32 v4, vcc_lo, v4
	v_and_b32_e32 v19, v14, v4
	v_lshlrev_b32_e32 v4, 24, v12
	v_cmp_gt_i64_e32 vcc, 0, v[3:4]
	v_not_b32_e32 v4, v4
	v_and_b32_e32 v18, v15, v18
	v_ashrrev_i32_e32 v4, 31, v4
	s_waitcnt vmcnt(7)
	v_mad_u64_u32 v[14:15], s[4:5], v1, v6, v[0:1]
	v_xor_b32_e32 v20, vcc_hi, v4
	v_xor_b32_e32 v1, vcc_lo, v4
	v_mul_lo_u32 v4, v12, 36
	v_and_b32_e32 v1, v19, v1
	v_lshrrev_b32_e32 v27, 6, v14
	v_and_b32_e32 v2, v18, v20
	v_lshl_add_u32 v18, v27, 2, v4
	v_mbcnt_lo_u32_b32 v4, v1, 0
	v_mbcnt_hi_u32_b32 v12, v2, v4
	v_cmp_ne_u64_e32 vcc, 0, v[1:2]
	v_cmp_eq_u32_e64 s[4:5], 0, v12
	v_mul_u32_u24_e32 v6, 20, v0
	s_and_b64 s[6:7], vcc, s[4:5]
	ds_write2_b32 v6, v3, v3 offset0:8 offset1:9
	ds_write2_b32 v6, v3, v3 offset0:10 offset1:11
	ds_write_b32 v6, v3 offset:48
	s_waitcnt vmcnt(0) lgkmcnt(0)
	s_barrier
	; wave barrier
	s_and_saveexec_b64 s[4:5], s[6:7]
; %bb.94:
	v_bcnt_u32_b32 v1, v1, 0
	v_bcnt_u32_b32 v1, v2, v1
	ds_write_b32 v18, v1 offset:32
; %bb.95:
	s_or_b64 exec, exec, s[4:5]
	v_cmp_lt_i32_e32 vcc, -1, v10
	v_cndmask_b32_e32 v1, -1, v11, vcc
	v_xor_b32_e32 v10, v1, v10
	v_cmp_ne_u32_e32 vcc, s10, v10
	v_cndmask_b32_e32 v1, v11, v10, vcc
	v_lshrrev_b32_e32 v1, s48, v1
	v_and_b32_e32 v1, s17, v1
	v_mul_lo_u32 v2, v1, 36
	; wave barrier
	v_lshl_add_u32 v19, v27, 2, v2
	v_and_b32_e32 v2, 1, v1
	v_add_co_u32_e32 v4, vcc, -1, v2
	v_addc_co_u32_e64 v11, s[4:5], 0, -1, vcc
	v_cmp_ne_u32_e32 vcc, 0, v2
	v_xor_b32_e32 v4, vcc_lo, v4
	v_xor_b32_e32 v2, vcc_hi, v11
	v_and_b32_e32 v11, exec_lo, v4
	v_lshlrev_b32_e32 v4, 30, v1
	v_cmp_gt_i64_e32 vcc, 0, v[3:4]
	v_not_b32_e32 v4, v4
	v_ashrrev_i32_e32 v4, 31, v4
	v_xor_b32_e32 v15, vcc_hi, v4
	v_xor_b32_e32 v4, vcc_lo, v4
	v_and_b32_e32 v11, v11, v4
	v_lshlrev_b32_e32 v4, 29, v1
	v_cmp_gt_i64_e32 vcc, 0, v[3:4]
	v_not_b32_e32 v4, v4
	v_and_b32_e32 v2, exec_hi, v2
	v_ashrrev_i32_e32 v4, 31, v4
	v_and_b32_e32 v2, v2, v15
	v_xor_b32_e32 v15, vcc_hi, v4
	v_xor_b32_e32 v4, vcc_lo, v4
	v_and_b32_e32 v11, v11, v4
	v_lshlrev_b32_e32 v4, 28, v1
	v_cmp_gt_i64_e32 vcc, 0, v[3:4]
	v_not_b32_e32 v4, v4
	v_ashrrev_i32_e32 v4, 31, v4
	v_and_b32_e32 v2, v2, v15
	v_xor_b32_e32 v15, vcc_hi, v4
	v_xor_b32_e32 v4, vcc_lo, v4
	v_and_b32_e32 v11, v11, v4
	v_lshlrev_b32_e32 v4, 27, v1
	v_cmp_gt_i64_e32 vcc, 0, v[3:4]
	v_not_b32_e32 v4, v4
	;; [unrolled: 8-line block ×5, first 2 shown]
	v_ashrrev_i32_e32 v1, 31, v1
	v_xor_b32_e32 v3, vcc_hi, v1
	v_xor_b32_e32 v1, vcc_lo, v1
	ds_read_b32 v14, v19 offset:32
	v_and_b32_e32 v2, v2, v15
	v_and_b32_e32 v1, v11, v1
	;; [unrolled: 1-line block ×3, first 2 shown]
	v_mbcnt_lo_u32_b32 v3, v1, 0
	v_mbcnt_hi_u32_b32 v15, v2, v3
	v_cmp_ne_u64_e32 vcc, 0, v[1:2]
	v_cmp_eq_u32_e64 s[4:5], 0, v15
	s_and_b64 s[6:7], vcc, s[4:5]
	; wave barrier
	s_and_saveexec_b64 s[4:5], s[6:7]
	s_cbranch_execz .LBB1855_97
; %bb.96:
	v_bcnt_u32_b32 v1, v1, 0
	v_bcnt_u32_b32 v1, v2, v1
	s_waitcnt lgkmcnt(0)
	v_add_u32_e32 v1, v14, v1
	ds_write_b32 v19, v1 offset:32
.LBB1855_97:
	s_or_b64 exec, exec, s[4:5]
	v_bfrev_b32_e32 v4, 1
	v_cmp_lt_i32_e32 vcc, -1, v17
	v_cndmask_b32_e32 v1, -1, v4, vcc
	v_xor_b32_e32 v11, v1, v17
	s_brev_b32 s6, -2
	v_cmp_ne_u32_e32 vcc, s6, v11
	v_cndmask_b32_e32 v1, v4, v11, vcc
	v_lshrrev_b32_e32 v1, s48, v1
	v_and_b32_e32 v3, s17, v1
	v_mul_lo_u32 v1, v3, 36
	v_and_b32_e32 v2, 1, v3
	v_add_co_u32_e32 v20, vcc, -1, v2
	v_addc_co_u32_e64 v23, s[4:5], 0, -1, vcc
	v_cmp_ne_u32_e32 vcc, 0, v2
	v_xor_b32_e32 v2, vcc_hi, v23
	v_lshl_add_u32 v25, v27, 2, v1
	v_mov_b32_e32 v1, 0
	v_and_b32_e32 v23, exec_hi, v2
	v_lshlrev_b32_e32 v2, 30, v3
	v_xor_b32_e32 v20, vcc_lo, v20
	v_cmp_gt_i64_e32 vcc, 0, v[1:2]
	v_not_b32_e32 v2, v2
	v_ashrrev_i32_e32 v2, 31, v2
	v_and_b32_e32 v20, exec_lo, v20
	v_xor_b32_e32 v26, vcc_hi, v2
	v_xor_b32_e32 v2, vcc_lo, v2
	v_and_b32_e32 v20, v20, v2
	v_lshlrev_b32_e32 v2, 29, v3
	v_cmp_gt_i64_e32 vcc, 0, v[1:2]
	v_not_b32_e32 v2, v2
	v_ashrrev_i32_e32 v2, 31, v2
	v_and_b32_e32 v23, v23, v26
	v_xor_b32_e32 v26, vcc_hi, v2
	v_xor_b32_e32 v2, vcc_lo, v2
	v_and_b32_e32 v20, v20, v2
	v_lshlrev_b32_e32 v2, 28, v3
	v_cmp_gt_i64_e32 vcc, 0, v[1:2]
	v_not_b32_e32 v2, v2
	v_ashrrev_i32_e32 v2, 31, v2
	v_and_b32_e32 v23, v23, v26
	v_xor_b32_e32 v26, vcc_hi, v2
	v_xor_b32_e32 v2, vcc_lo, v2
	v_and_b32_e32 v20, v20, v2
	v_lshlrev_b32_e32 v2, 27, v3
	v_cmp_gt_i64_e32 vcc, 0, v[1:2]
	v_not_b32_e32 v2, v2
	v_ashrrev_i32_e32 v2, 31, v2
	v_and_b32_e32 v23, v23, v26
	v_xor_b32_e32 v26, vcc_hi, v2
	v_xor_b32_e32 v2, vcc_lo, v2
	v_and_b32_e32 v20, v20, v2
	v_lshlrev_b32_e32 v2, 26, v3
	v_cmp_gt_i64_e32 vcc, 0, v[1:2]
	v_not_b32_e32 v2, v2
	v_ashrrev_i32_e32 v2, 31, v2
	v_and_b32_e32 v23, v23, v26
	v_xor_b32_e32 v26, vcc_hi, v2
	v_xor_b32_e32 v2, vcc_lo, v2
	v_and_b32_e32 v20, v20, v2
	v_lshlrev_b32_e32 v2, 25, v3
	v_cmp_gt_i64_e32 vcc, 0, v[1:2]
	v_not_b32_e32 v2, v2
	v_ashrrev_i32_e32 v2, 31, v2
	v_and_b32_e32 v23, v23, v26
	v_xor_b32_e32 v26, vcc_hi, v2
	v_xor_b32_e32 v2, vcc_lo, v2
	v_and_b32_e32 v20, v20, v2
	v_lshlrev_b32_e32 v2, 24, v3
	v_cmp_gt_i64_e32 vcc, 0, v[1:2]
	v_not_b32_e32 v2, v2
	v_ashrrev_i32_e32 v2, 31, v2
	v_xor_b32_e32 v3, vcc_hi, v2
	v_xor_b32_e32 v2, vcc_lo, v2
	; wave barrier
	ds_read_b32 v17, v25 offset:32
	v_and_b32_e32 v23, v23, v26
	v_and_b32_e32 v2, v20, v2
	;; [unrolled: 1-line block ×3, first 2 shown]
	v_mbcnt_lo_u32_b32 v20, v2, 0
	v_mbcnt_hi_u32_b32 v20, v3, v20
	v_cmp_ne_u64_e32 vcc, 0, v[2:3]
	v_cmp_eq_u32_e64 s[4:5], 0, v20
	s_and_b64 s[10:11], vcc, s[4:5]
	; wave barrier
	s_and_saveexec_b64 s[4:5], s[10:11]
	s_cbranch_execz .LBB1855_99
; %bb.98:
	v_bcnt_u32_b32 v2, v2, 0
	v_bcnt_u32_b32 v2, v3, v2
	s_waitcnt lgkmcnt(0)
	v_add_u32_e32 v2, v17, v2
	ds_write_b32 v25, v2 offset:32
.LBB1855_99:
	s_or_b64 exec, exec, s[4:5]
	v_cmp_lt_i32_e32 vcc, -1, v13
	v_cndmask_b32_e32 v2, -1, v4, vcc
	v_xor_b32_e32 v13, v2, v13
	v_cmp_ne_u32_e32 vcc, s6, v13
	v_cndmask_b32_e32 v2, v4, v13, vcc
	v_lshrrev_b32_e32 v2, s48, v2
	v_and_b32_e32 v3, s17, v2
	v_mul_lo_u32 v2, v3, 36
	; wave barrier
	v_lshl_add_u32 v30, v27, 2, v2
	v_and_b32_e32 v2, 1, v3
	v_add_co_u32_e32 v4, vcc, -1, v2
	v_addc_co_u32_e64 v26, s[4:5], 0, -1, vcc
	v_cmp_ne_u32_e32 vcc, 0, v2
	v_xor_b32_e32 v2, vcc_hi, v26
	v_and_b32_e32 v26, exec_hi, v2
	v_lshlrev_b32_e32 v2, 30, v3
	v_xor_b32_e32 v4, vcc_lo, v4
	v_cmp_gt_i64_e32 vcc, 0, v[1:2]
	v_not_b32_e32 v2, v2
	v_ashrrev_i32_e32 v2, 31, v2
	v_and_b32_e32 v4, exec_lo, v4
	v_xor_b32_e32 v29, vcc_hi, v2
	v_xor_b32_e32 v2, vcc_lo, v2
	v_and_b32_e32 v4, v4, v2
	v_lshlrev_b32_e32 v2, 29, v3
	v_cmp_gt_i64_e32 vcc, 0, v[1:2]
	v_not_b32_e32 v2, v2
	v_ashrrev_i32_e32 v2, 31, v2
	v_and_b32_e32 v26, v26, v29
	v_xor_b32_e32 v29, vcc_hi, v2
	v_xor_b32_e32 v2, vcc_lo, v2
	v_and_b32_e32 v4, v4, v2
	v_lshlrev_b32_e32 v2, 28, v3
	v_cmp_gt_i64_e32 vcc, 0, v[1:2]
	v_not_b32_e32 v2, v2
	v_ashrrev_i32_e32 v2, 31, v2
	v_and_b32_e32 v26, v26, v29
	;; [unrolled: 8-line block ×5, first 2 shown]
	v_xor_b32_e32 v29, vcc_hi, v2
	v_xor_b32_e32 v2, vcc_lo, v2
	v_and_b32_e32 v4, v4, v2
	v_lshlrev_b32_e32 v2, 24, v3
	v_cmp_gt_i64_e32 vcc, 0, v[1:2]
	v_not_b32_e32 v1, v2
	v_ashrrev_i32_e32 v1, 31, v1
	v_xor_b32_e32 v2, vcc_hi, v1
	v_xor_b32_e32 v1, vcc_lo, v1
	ds_read_b32 v23, v30 offset:32
	v_and_b32_e32 v26, v26, v29
	v_and_b32_e32 v1, v4, v1
	;; [unrolled: 1-line block ×3, first 2 shown]
	v_mbcnt_lo_u32_b32 v3, v1, 0
	v_mbcnt_hi_u32_b32 v26, v2, v3
	v_cmp_ne_u64_e32 vcc, 0, v[1:2]
	v_cmp_eq_u32_e64 s[4:5], 0, v26
	s_and_b64 s[6:7], vcc, s[4:5]
	; wave barrier
	s_and_saveexec_b64 s[4:5], s[6:7]
	s_cbranch_execz .LBB1855_101
; %bb.100:
	v_bcnt_u32_b32 v1, v1, 0
	v_bcnt_u32_b32 v1, v2, v1
	s_waitcnt lgkmcnt(0)
	v_add_u32_e32 v1, v23, v1
	ds_write_b32 v30, v1 offset:32
.LBB1855_101:
	s_or_b64 exec, exec, s[4:5]
	v_bfrev_b32_e32 v4, 1
	v_cmp_lt_i32_e32 vcc, -1, v16
	v_cndmask_b32_e32 v1, -1, v4, vcc
	v_xor_b32_e32 v16, v1, v16
	s_brev_b32 s6, -2
	v_cmp_ne_u32_e32 vcc, s6, v16
	v_cndmask_b32_e32 v1, v4, v16, vcc
	v_lshrrev_b32_e32 v1, s48, v1
	v_and_b32_e32 v3, s17, v1
	v_mul_lo_u32 v1, v3, 36
	v_and_b32_e32 v2, 1, v3
	v_add_co_u32_e32 v31, vcc, -1, v2
	v_addc_co_u32_e64 v32, s[4:5], 0, -1, vcc
	v_cmp_ne_u32_e32 vcc, 0, v2
	v_xor_b32_e32 v2, vcc_hi, v32
	v_lshl_add_u32 v34, v27, 2, v1
	v_mov_b32_e32 v1, 0
	v_and_b32_e32 v32, exec_hi, v2
	v_lshlrev_b32_e32 v2, 30, v3
	v_xor_b32_e32 v31, vcc_lo, v31
	v_cmp_gt_i64_e32 vcc, 0, v[1:2]
	v_not_b32_e32 v2, v2
	v_ashrrev_i32_e32 v2, 31, v2
	v_and_b32_e32 v31, exec_lo, v31
	v_xor_b32_e32 v33, vcc_hi, v2
	v_xor_b32_e32 v2, vcc_lo, v2
	v_and_b32_e32 v31, v31, v2
	v_lshlrev_b32_e32 v2, 29, v3
	v_cmp_gt_i64_e32 vcc, 0, v[1:2]
	v_not_b32_e32 v2, v2
	v_ashrrev_i32_e32 v2, 31, v2
	v_and_b32_e32 v32, v32, v33
	v_xor_b32_e32 v33, vcc_hi, v2
	v_xor_b32_e32 v2, vcc_lo, v2
	v_and_b32_e32 v31, v31, v2
	v_lshlrev_b32_e32 v2, 28, v3
	v_cmp_gt_i64_e32 vcc, 0, v[1:2]
	v_not_b32_e32 v2, v2
	v_ashrrev_i32_e32 v2, 31, v2
	v_and_b32_e32 v32, v32, v33
	;; [unrolled: 8-line block ×5, first 2 shown]
	v_xor_b32_e32 v33, vcc_hi, v2
	v_xor_b32_e32 v2, vcc_lo, v2
	v_and_b32_e32 v31, v31, v2
	v_lshlrev_b32_e32 v2, 24, v3
	v_cmp_gt_i64_e32 vcc, 0, v[1:2]
	v_not_b32_e32 v2, v2
	v_ashrrev_i32_e32 v2, 31, v2
	v_xor_b32_e32 v3, vcc_hi, v2
	v_xor_b32_e32 v2, vcc_lo, v2
	; wave barrier
	ds_read_b32 v29, v34 offset:32
	v_and_b32_e32 v32, v32, v33
	v_and_b32_e32 v2, v31, v2
	;; [unrolled: 1-line block ×3, first 2 shown]
	v_mbcnt_lo_u32_b32 v31, v2, 0
	v_mbcnt_hi_u32_b32 v31, v3, v31
	v_cmp_ne_u64_e32 vcc, 0, v[2:3]
	v_cmp_eq_u32_e64 s[4:5], 0, v31
	s_and_b64 s[10:11], vcc, s[4:5]
	; wave barrier
	s_and_saveexec_b64 s[4:5], s[10:11]
	s_cbranch_execz .LBB1855_103
; %bb.102:
	v_bcnt_u32_b32 v2, v2, 0
	v_bcnt_u32_b32 v2, v3, v2
	s_waitcnt lgkmcnt(0)
	v_add_u32_e32 v2, v29, v2
	ds_write_b32 v34, v2 offset:32
.LBB1855_103:
	s_or_b64 exec, exec, s[4:5]
	v_cmp_lt_i32_e32 vcc, -1, v22
	v_cndmask_b32_e32 v2, -1, v4, vcc
	v_xor_b32_e32 v22, v2, v22
	v_cmp_ne_u32_e32 vcc, s6, v22
	v_cndmask_b32_e32 v2, v4, v22, vcc
	v_lshrrev_b32_e32 v2, s48, v2
	v_and_b32_e32 v3, s17, v2
	v_mul_lo_u32 v2, v3, 36
	; wave barrier
	v_lshl_add_u32 v37, v27, 2, v2
	v_and_b32_e32 v2, 1, v3
	v_add_co_u32_e32 v4, vcc, -1, v2
	v_addc_co_u32_e64 v32, s[4:5], 0, -1, vcc
	v_cmp_ne_u32_e32 vcc, 0, v2
	v_xor_b32_e32 v2, vcc_hi, v32
	v_and_b32_e32 v32, exec_hi, v2
	v_lshlrev_b32_e32 v2, 30, v3
	v_xor_b32_e32 v4, vcc_lo, v4
	v_cmp_gt_i64_e32 vcc, 0, v[1:2]
	v_not_b32_e32 v2, v2
	v_ashrrev_i32_e32 v2, 31, v2
	v_and_b32_e32 v4, exec_lo, v4
	v_xor_b32_e32 v35, vcc_hi, v2
	v_xor_b32_e32 v2, vcc_lo, v2
	v_and_b32_e32 v4, v4, v2
	v_lshlrev_b32_e32 v2, 29, v3
	v_cmp_gt_i64_e32 vcc, 0, v[1:2]
	v_not_b32_e32 v2, v2
	v_ashrrev_i32_e32 v2, 31, v2
	v_and_b32_e32 v32, v32, v35
	v_xor_b32_e32 v35, vcc_hi, v2
	v_xor_b32_e32 v2, vcc_lo, v2
	v_and_b32_e32 v4, v4, v2
	v_lshlrev_b32_e32 v2, 28, v3
	v_cmp_gt_i64_e32 vcc, 0, v[1:2]
	v_not_b32_e32 v2, v2
	v_ashrrev_i32_e32 v2, 31, v2
	v_and_b32_e32 v32, v32, v35
	v_xor_b32_e32 v35, vcc_hi, v2
	v_xor_b32_e32 v2, vcc_lo, v2
	v_and_b32_e32 v4, v4, v2
	v_lshlrev_b32_e32 v2, 27, v3
	v_cmp_gt_i64_e32 vcc, 0, v[1:2]
	v_not_b32_e32 v2, v2
	v_ashrrev_i32_e32 v2, 31, v2
	v_and_b32_e32 v32, v32, v35
	v_xor_b32_e32 v35, vcc_hi, v2
	v_xor_b32_e32 v2, vcc_lo, v2
	v_and_b32_e32 v4, v4, v2
	v_lshlrev_b32_e32 v2, 26, v3
	v_cmp_gt_i64_e32 vcc, 0, v[1:2]
	v_not_b32_e32 v2, v2
	v_ashrrev_i32_e32 v2, 31, v2
	v_and_b32_e32 v32, v32, v35
	v_xor_b32_e32 v35, vcc_hi, v2
	v_xor_b32_e32 v2, vcc_lo, v2
	v_and_b32_e32 v4, v4, v2
	v_lshlrev_b32_e32 v2, 25, v3
	v_cmp_gt_i64_e32 vcc, 0, v[1:2]
	v_not_b32_e32 v2, v2
	v_ashrrev_i32_e32 v2, 31, v2
	v_and_b32_e32 v32, v32, v35
	v_xor_b32_e32 v35, vcc_hi, v2
	v_xor_b32_e32 v2, vcc_lo, v2
	v_and_b32_e32 v4, v4, v2
	v_lshlrev_b32_e32 v2, 24, v3
	v_cmp_gt_i64_e32 vcc, 0, v[1:2]
	v_not_b32_e32 v1, v2
	v_ashrrev_i32_e32 v1, 31, v1
	v_xor_b32_e32 v2, vcc_hi, v1
	v_xor_b32_e32 v1, vcc_lo, v1
	ds_read_b32 v33, v37 offset:32
	v_and_b32_e32 v32, v32, v35
	v_and_b32_e32 v1, v4, v1
	;; [unrolled: 1-line block ×3, first 2 shown]
	v_mbcnt_lo_u32_b32 v3, v1, 0
	v_mbcnt_hi_u32_b32 v35, v2, v3
	v_cmp_ne_u64_e32 vcc, 0, v[1:2]
	v_cmp_eq_u32_e64 s[4:5], 0, v35
	s_and_b64 s[6:7], vcc, s[4:5]
	; wave barrier
	s_and_saveexec_b64 s[4:5], s[6:7]
	s_cbranch_execz .LBB1855_105
; %bb.104:
	v_bcnt_u32_b32 v1, v1, 0
	v_bcnt_u32_b32 v1, v2, v1
	s_waitcnt lgkmcnt(0)
	v_add_u32_e32 v1, v33, v1
	ds_write_b32 v37, v1 offset:32
.LBB1855_105:
	s_or_b64 exec, exec, s[4:5]
	v_bfrev_b32_e32 v4, 1
	v_cmp_lt_i32_e32 vcc, -1, v28
	v_cndmask_b32_e32 v1, -1, v4, vcc
	v_xor_b32_e32 v28, v1, v28
	s_brev_b32 s6, -2
	v_cmp_ne_u32_e32 vcc, s6, v28
	v_cndmask_b32_e32 v1, v4, v28, vcc
	v_lshrrev_b32_e32 v1, s48, v1
	v_and_b32_e32 v3, s17, v1
	v_mul_lo_u32 v1, v3, 36
	v_and_b32_e32 v2, 1, v3
	v_add_co_u32_e32 v32, vcc, -1, v2
	v_addc_co_u32_e64 v38, s[4:5], 0, -1, vcc
	v_cmp_ne_u32_e32 vcc, 0, v2
	v_xor_b32_e32 v2, vcc_hi, v38
	v_lshl_add_u32 v40, v27, 2, v1
	v_mov_b32_e32 v1, 0
	v_and_b32_e32 v38, exec_hi, v2
	v_lshlrev_b32_e32 v2, 30, v3
	v_xor_b32_e32 v32, vcc_lo, v32
	v_cmp_gt_i64_e32 vcc, 0, v[1:2]
	v_not_b32_e32 v2, v2
	v_ashrrev_i32_e32 v2, 31, v2
	v_and_b32_e32 v32, exec_lo, v32
	v_xor_b32_e32 v39, vcc_hi, v2
	v_xor_b32_e32 v2, vcc_lo, v2
	v_and_b32_e32 v32, v32, v2
	v_lshlrev_b32_e32 v2, 29, v3
	v_cmp_gt_i64_e32 vcc, 0, v[1:2]
	v_not_b32_e32 v2, v2
	v_ashrrev_i32_e32 v2, 31, v2
	v_and_b32_e32 v38, v38, v39
	v_xor_b32_e32 v39, vcc_hi, v2
	v_xor_b32_e32 v2, vcc_lo, v2
	v_and_b32_e32 v32, v32, v2
	v_lshlrev_b32_e32 v2, 28, v3
	v_cmp_gt_i64_e32 vcc, 0, v[1:2]
	v_not_b32_e32 v2, v2
	v_ashrrev_i32_e32 v2, 31, v2
	v_and_b32_e32 v38, v38, v39
	;; [unrolled: 8-line block ×5, first 2 shown]
	v_xor_b32_e32 v39, vcc_hi, v2
	v_xor_b32_e32 v2, vcc_lo, v2
	v_and_b32_e32 v32, v32, v2
	v_lshlrev_b32_e32 v2, 24, v3
	v_cmp_gt_i64_e32 vcc, 0, v[1:2]
	v_not_b32_e32 v2, v2
	v_ashrrev_i32_e32 v2, 31, v2
	v_xor_b32_e32 v3, vcc_hi, v2
	v_xor_b32_e32 v2, vcc_lo, v2
	; wave barrier
	ds_read_b32 v36, v40 offset:32
	v_and_b32_e32 v38, v38, v39
	v_and_b32_e32 v2, v32, v2
	;; [unrolled: 1-line block ×3, first 2 shown]
	v_mbcnt_lo_u32_b32 v32, v2, 0
	v_mbcnt_hi_u32_b32 v38, v3, v32
	v_cmp_ne_u64_e32 vcc, 0, v[2:3]
	v_cmp_eq_u32_e64 s[4:5], 0, v38
	s_and_b64 s[10:11], vcc, s[4:5]
	; wave barrier
	s_and_saveexec_b64 s[4:5], s[10:11]
	s_cbranch_execz .LBB1855_107
; %bb.106:
	v_bcnt_u32_b32 v2, v2, 0
	v_bcnt_u32_b32 v2, v3, v2
	s_waitcnt lgkmcnt(0)
	v_add_u32_e32 v2, v36, v2
	ds_write_b32 v40, v2 offset:32
.LBB1855_107:
	s_or_b64 exec, exec, s[4:5]
	v_cmp_lt_i32_e32 vcc, -1, v24
	v_cndmask_b32_e32 v2, -1, v4, vcc
	v_xor_b32_e32 v32, v2, v24
	v_cmp_ne_u32_e32 vcc, s6, v32
	v_cndmask_b32_e32 v2, v4, v32, vcc
	v_lshrrev_b32_e32 v2, s48, v2
	v_and_b32_e32 v3, s17, v2
	v_mul_lo_u32 v2, v3, 36
	; wave barrier
	v_lshl_add_u32 v27, v27, 2, v2
	v_and_b32_e32 v2, 1, v3
	v_add_co_u32_e32 v4, vcc, -1, v2
	v_addc_co_u32_e64 v24, s[4:5], 0, -1, vcc
	v_cmp_ne_u32_e32 vcc, 0, v2
	v_xor_b32_e32 v2, vcc_hi, v24
	v_and_b32_e32 v24, exec_hi, v2
	v_lshlrev_b32_e32 v2, 30, v3
	v_xor_b32_e32 v4, vcc_lo, v4
	v_cmp_gt_i64_e32 vcc, 0, v[1:2]
	v_not_b32_e32 v2, v2
	v_ashrrev_i32_e32 v2, 31, v2
	v_and_b32_e32 v4, exec_lo, v4
	v_xor_b32_e32 v41, vcc_hi, v2
	v_xor_b32_e32 v2, vcc_lo, v2
	v_and_b32_e32 v4, v4, v2
	v_lshlrev_b32_e32 v2, 29, v3
	v_cmp_gt_i64_e32 vcc, 0, v[1:2]
	v_not_b32_e32 v2, v2
	v_ashrrev_i32_e32 v2, 31, v2
	v_and_b32_e32 v24, v24, v41
	v_xor_b32_e32 v41, vcc_hi, v2
	v_xor_b32_e32 v2, vcc_lo, v2
	v_and_b32_e32 v4, v4, v2
	v_lshlrev_b32_e32 v2, 28, v3
	v_cmp_gt_i64_e32 vcc, 0, v[1:2]
	v_not_b32_e32 v2, v2
	v_ashrrev_i32_e32 v2, 31, v2
	v_and_b32_e32 v24, v24, v41
	;; [unrolled: 8-line block ×5, first 2 shown]
	v_xor_b32_e32 v41, vcc_hi, v2
	v_xor_b32_e32 v2, vcc_lo, v2
	v_and_b32_e32 v4, v4, v2
	v_lshlrev_b32_e32 v2, 24, v3
	v_cmp_gt_i64_e32 vcc, 0, v[1:2]
	v_not_b32_e32 v1, v2
	v_ashrrev_i32_e32 v1, 31, v1
	v_xor_b32_e32 v2, vcc_hi, v1
	v_xor_b32_e32 v1, vcc_lo, v1
	ds_read_b32 v39, v27 offset:32
	v_and_b32_e32 v24, v24, v41
	v_and_b32_e32 v1, v4, v1
	;; [unrolled: 1-line block ×3, first 2 shown]
	v_mbcnt_lo_u32_b32 v3, v1, 0
	v_mbcnt_hi_u32_b32 v41, v2, v3
	v_cmp_ne_u64_e32 vcc, 0, v[1:2]
	v_cmp_eq_u32_e64 s[4:5], 0, v41
	s_and_b64 s[6:7], vcc, s[4:5]
	; wave barrier
	s_and_saveexec_b64 s[4:5], s[6:7]
	s_cbranch_execz .LBB1855_109
; %bb.108:
	v_bcnt_u32_b32 v1, v1, 0
	v_bcnt_u32_b32 v1, v2, v1
	s_waitcnt lgkmcnt(0)
	v_add_u32_e32 v1, v39, v1
	ds_write_b32 v27, v1 offset:32
.LBB1855_109:
	s_or_b64 exec, exec, s[4:5]
	; wave barrier
	s_waitcnt lgkmcnt(0)
	s_barrier
	ds_read2_b32 v[3:4], v6 offset0:8 offset1:9
	ds_read2_b32 v[1:2], v6 offset0:10 offset1:11
	ds_read_b32 v24, v6 offset:48
	s_waitcnt lgkmcnt(1)
	v_add3_u32 v42, v4, v3, v1
	s_waitcnt lgkmcnt(0)
	v_add3_u32 v24, v42, v2, v24
	v_and_b32_e32 v42, 15, v5
	v_cmp_ne_u32_e32 vcc, 0, v42
	v_mov_b32_dpp v43, v24 row_shr:1 row_mask:0xf bank_mask:0xf
	v_cndmask_b32_e32 v43, 0, v43, vcc
	v_add_u32_e32 v24, v43, v24
	v_cmp_lt_u32_e32 vcc, 1, v42
	s_nop 0
	v_mov_b32_dpp v43, v24 row_shr:2 row_mask:0xf bank_mask:0xf
	v_cndmask_b32_e32 v43, 0, v43, vcc
	v_add_u32_e32 v24, v24, v43
	v_cmp_lt_u32_e32 vcc, 3, v42
	s_nop 0
	;; [unrolled: 5-line block ×3, first 2 shown]
	v_mov_b32_dpp v43, v24 row_shr:8 row_mask:0xf bank_mask:0xf
	v_cndmask_b32_e32 v42, 0, v43, vcc
	v_add_u32_e32 v24, v24, v42
	v_bfe_i32 v43, v5, 4, 1
	v_cmp_lt_u32_e32 vcc, 31, v5
	v_mov_b32_dpp v42, v24 row_bcast:15 row_mask:0xf bank_mask:0xf
	v_and_b32_e32 v42, v43, v42
	v_add_u32_e32 v24, v24, v42
	v_lshrrev_b32_e32 v43, 6, v0
	s_nop 0
	v_mov_b32_dpp v42, v24 row_bcast:31 row_mask:0xf bank_mask:0xf
	v_cndmask_b32_e32 v42, 0, v42, vcc
	v_add_u32_e32 v42, v24, v42
	v_or_b32_e32 v24, 63, v0
	v_cmp_eq_u32_e32 vcc, v0, v24
	s_and_saveexec_b64 s[4:5], vcc
; %bb.110:
	v_lshlrev_b32_e32 v24, 2, v43
	ds_write_b32 v24, v42
; %bb.111:
	s_or_b64 exec, exec, s[4:5]
	v_cmp_gt_u32_e32 vcc, 8, v0
	v_lshlrev_b32_e32 v24, 2, v0
	s_waitcnt lgkmcnt(0)
	s_barrier
	s_and_saveexec_b64 s[4:5], vcc
	s_cbranch_execz .LBB1855_113
; %bb.112:
	ds_read_b32 v44, v24
	v_and_b32_e32 v45, 7, v5
	v_cmp_ne_u32_e32 vcc, 0, v45
	s_waitcnt lgkmcnt(0)
	v_mov_b32_dpp v46, v44 row_shr:1 row_mask:0xf bank_mask:0xf
	v_cndmask_b32_e32 v46, 0, v46, vcc
	v_add_u32_e32 v44, v46, v44
	v_cmp_lt_u32_e32 vcc, 1, v45
	s_nop 0
	v_mov_b32_dpp v46, v44 row_shr:2 row_mask:0xf bank_mask:0xf
	v_cndmask_b32_e32 v46, 0, v46, vcc
	v_add_u32_e32 v44, v44, v46
	v_cmp_lt_u32_e32 vcc, 3, v45
	s_nop 0
	v_mov_b32_dpp v46, v44 row_shr:4 row_mask:0xf bank_mask:0xf
	v_cndmask_b32_e32 v45, 0, v46, vcc
	v_add_u32_e32 v44, v44, v45
	ds_write_b32 v24, v44
.LBB1855_113:
	s_or_b64 exec, exec, s[4:5]
	v_cmp_lt_u32_e32 vcc, 63, v0
	v_mov_b32_e32 v44, 0
	s_waitcnt lgkmcnt(0)
	s_barrier
	s_and_saveexec_b64 s[4:5], vcc
; %bb.114:
	v_lshl_add_u32 v43, v43, 2, -4
	ds_read_b32 v44, v43
; %bb.115:
	s_or_b64 exec, exec, s[4:5]
	v_subrev_co_u32_e32 v43, vcc, 1, v5
	v_and_b32_e32 v45, 64, v5
	v_cmp_lt_i32_e64 s[4:5], v43, v45
	v_cndmask_b32_e64 v5, v43, v5, s[4:5]
	s_waitcnt lgkmcnt(0)
	v_add_u32_e32 v42, v44, v42
	v_lshlrev_b32_e32 v5, 2, v5
	ds_bpermute_b32 v5, v5, v42
	s_movk_i32 s4, 0xff
	s_movk_i32 s6, 0x100
	v_cmp_lt_u32_e64 s[4:5], s4, v0
	s_waitcnt lgkmcnt(0)
	v_cndmask_b32_e32 v5, v5, v44, vcc
	v_cndmask_b32_e64 v5, v5, 0, s[26:27]
	v_add_u32_e32 v3, v5, v3
	v_add_u32_e32 v4, v3, v4
	;; [unrolled: 1-line block ×4, first 2 shown]
	ds_write2_b32 v6, v5, v3 offset0:8 offset1:9
	ds_write2_b32 v6, v4, v1 offset0:10 offset1:11
	ds_write_b32 v6, v2 offset:48
	s_waitcnt lgkmcnt(0)
	s_barrier
	ds_read_b32 v45, v18 offset:32
	ds_read_b32 v18, v19 offset:32
	;; [unrolled: 1-line block ×8, first 2 shown]
	v_cmp_gt_u32_e32 vcc, s6, v0
                                        ; implicit-def: $vgpr19
                                        ; implicit-def: $vgpr25
	s_and_saveexec_b64 s[10:11], vcc
	s_cbranch_execz .LBB1855_119
; %bb.116:
	v_mul_u32_u24_e32 v1, 36, v0
	ds_read_b32 v19, v1 offset:32
	v_add_u32_e32 v2, 1, v0
	v_cmp_ne_u32_e64 s[6:7], s6, v2
	v_mov_b32_e32 v1, 0x1000
	s_and_saveexec_b64 s[12:13], s[6:7]
; %bb.117:
	v_mul_u32_u24_e32 v1, 36, v2
	ds_read_b32 v1, v1 offset:32
; %bb.118:
	s_or_b64 exec, exec, s[12:13]
	s_waitcnt lgkmcnt(0)
	v_sub_u32_e32 v25, v1, v19
.LBB1855_119:
	s_or_b64 exec, exec, s[10:11]
	v_mov_b32_e32 v2, 0
	s_waitcnt lgkmcnt(0)
	s_barrier
	s_and_saveexec_b64 s[6:7], vcc
	s_cbranch_execz .LBB1855_129
; %bb.120:
	v_lshl_add_u32 v1, s33, 8, v0
	v_lshlrev_b64 v[3:4], 2, v[1:2]
	v_mov_b32_e32 v27, s31
	v_add_co_u32_e32 v3, vcc, s30, v3
	v_addc_co_u32_e32 v4, vcc, v27, v4, vcc
	v_or_b32_e32 v1, 2.0, v25
	s_mov_b64 s[10:11], 0
	s_brev_b32 s18, -4
	s_mov_b32 s19, s33
	v_mov_b32_e32 v40, 0
	global_store_dword v[3:4], v1, off
                                        ; implicit-def: $sgpr12_sgpr13
	s_branch .LBB1855_123
.LBB1855_121:                           ;   in Loop: Header=BB1855_123 Depth=1
	s_or_b64 exec, exec, s[14:15]
.LBB1855_122:                           ;   in Loop: Header=BB1855_123 Depth=1
	s_or_b64 exec, exec, s[12:13]
	v_and_b32_e32 v5, 0x3fffffff, v1
	v_add_u32_e32 v40, v5, v40
	v_cmp_gt_i32_e64 s[12:13], -2.0, v1
	s_and_b64 s[14:15], exec, s[12:13]
	s_or_b64 s[10:11], s[14:15], s[10:11]
	s_andn2_b64 exec, exec, s[10:11]
	s_cbranch_execz .LBB1855_128
.LBB1855_123:                           ; =>This Loop Header: Depth=1
                                        ;     Child Loop BB1855_126 Depth 2
	s_or_b64 s[12:13], s[12:13], exec
	s_cmp_eq_u32 s19, 0
	s_cbranch_scc1 .LBB1855_127
; %bb.124:                              ;   in Loop: Header=BB1855_123 Depth=1
	s_add_i32 s19, s19, -1
	v_lshl_or_b32 v1, s19, 8, v0
	v_lshlrev_b64 v[5:6], 2, v[1:2]
	v_add_co_u32_e32 v5, vcc, s30, v5
	v_addc_co_u32_e32 v6, vcc, v27, v6, vcc
	global_load_dword v1, v[5:6], off glc
	s_waitcnt vmcnt(0)
	v_cmp_gt_u32_e32 vcc, 2.0, v1
	s_and_saveexec_b64 s[12:13], vcc
	s_cbranch_execz .LBB1855_122
; %bb.125:                              ;   in Loop: Header=BB1855_123 Depth=1
	s_mov_b64 s[14:15], 0
.LBB1855_126:                           ;   Parent Loop BB1855_123 Depth=1
                                        ; =>  This Inner Loop Header: Depth=2
	global_load_dword v1, v[5:6], off glc
	s_waitcnt vmcnt(0)
	v_cmp_lt_u32_e32 vcc, s18, v1
	s_or_b64 s[14:15], vcc, s[14:15]
	s_andn2_b64 exec, exec, s[14:15]
	s_cbranch_execnz .LBB1855_126
	s_branch .LBB1855_121
.LBB1855_127:                           ;   in Loop: Header=BB1855_123 Depth=1
                                        ; implicit-def: $sgpr19
	s_and_b64 s[14:15], exec, s[12:13]
	s_or_b64 s[10:11], s[14:15], s[10:11]
	s_andn2_b64 exec, exec, s[10:11]
	s_cbranch_execnz .LBB1855_123
.LBB1855_128:
	s_or_b64 exec, exec, s[10:11]
	v_add_u32_e32 v1, v40, v25
	v_or_b32_e32 v1, 0x80000000, v1
	global_store_dword v[3:4], v1, off
	global_load_dword v1, v24, s[44:45]
	v_sub_u32_e32 v2, v40, v19
	s_waitcnt vmcnt(0)
	v_add_u32_e32 v1, v2, v1
	ds_write_b32 v24, v1
.LBB1855_129:
	s_or_b64 exec, exec, s[6:7]
	v_add_u32_e32 v27, v45, v12
	s_mov_b32 s12, 16
	v_add3_u32 v30, v41, v30, v39
	v_add3_u32 v34, v38, v34, v36
	;; [unrolled: 1-line block ×7, first 2 shown]
	s_mov_b32 s20, 0
	s_mov_b64 s[10:11], -1
	s_mov_b32 s13, 0
	s_brev_b32 s14, -2
	v_bfrev_b32_e32 v3, 1
	v_mov_b32_e32 v2, 0
	v_mov_b32_e32 v4, s39
	s_movk_i32 s15, 0x200
	s_movk_i32 s18, 0x400
	;; [unrolled: 1-line block ×3, first 2 shown]
	v_mov_b32_e32 v5, v0
.LBB1855_130:                           ; =>This Inner Loop Header: Depth=1
	v_add_u32_e32 v1, s13, v27
	v_add_u32_e32 v14, s13, v23
	;; [unrolled: 1-line block ×8, first 2 shown]
	v_min_u32_e32 v1, 0x800, v1
	v_min_u32_e32 v14, 0x800, v14
	;; [unrolled: 1-line block ×8, first 2 shown]
	v_lshlrev_b32_e32 v1, 2, v1
	v_lshlrev_b32_e32 v14, 2, v14
	;; [unrolled: 1-line block ×8, first 2 shown]
	ds_write_b32 v1, v9 offset:1024
	ds_write_b32 v6, v10 offset:1024
	;; [unrolled: 1-line block ×8, first 2 shown]
	s_waitcnt lgkmcnt(0)
	s_barrier
	ds_read2st64_b32 v[14:15], v24 offset0:4 offset1:12
	ds_read2st64_b32 v[17:18], v24 offset0:20 offset1:28
	v_mov_b32_e32 v35, s20
	s_addk_i32 s13, 0xf800
	s_and_b64 vcc, exec, s[10:11]
	s_waitcnt lgkmcnt(1)
	v_cmp_ne_u32_e64 s[6:7], s14, v14
	v_cndmask_b32_e64 v1, v3, v14, s[6:7]
	v_cmp_lt_i32_e64 s[6:7], -1, v14
	v_cndmask_b32_e64 v6, v3, -1, s[6:7]
	v_cmp_ne_u32_e64 s[6:7], s14, v15
	v_cndmask_b32_e64 v12, v3, v15, s[6:7]
	v_cmp_lt_i32_e64 s[6:7], -1, v15
	v_cndmask_b32_e64 v31, v3, -1, s[6:7]
	s_waitcnt lgkmcnt(0)
	v_cmp_ne_u32_e64 s[6:7], s14, v17
	v_cndmask_b32_e64 v36, v3, v17, s[6:7]
	v_cmp_lt_i32_e64 s[6:7], -1, v17
	v_cndmask_b32_e64 v37, v3, -1, s[6:7]
	v_cmp_ne_u32_e64 s[6:7], s14, v18
	v_cndmask_b32_e64 v38, v3, v18, s[6:7]
	v_lshrrev_b32_e32 v1, s48, v1
	v_xor_b32_e32 v6, v6, v14
	v_lshrrev_b32_e32 v12, s48, v12
	v_xor_b32_e32 v31, v31, v15
	v_lshrrev_b32_e32 v14, s48, v36
	v_lshrrev_b32_e32 v15, s48, v38
	v_cmp_lt_i32_e64 s[6:7], -1, v18
	v_and_b32_e32 v1, s17, v1
	v_and_b32_e32 v12, s17, v12
	;; [unrolled: 1-line block ×4, first 2 shown]
	v_cndmask_b32_e64 v39, v3, -1, s[6:7]
	v_xor_b32_e32 v37, v37, v17
	v_lshlrev_b32_e32 v17, 2, v1
	buffer_store_dword v1, v35, s[0:3], 0 offen
	v_lshlrev_b32_e32 v1, 2, v12
	buffer_store_dword v12, v35, s[0:3], 0 offen offset:4
	v_lshlrev_b32_e32 v12, 2, v14
	buffer_store_dword v14, v35, s[0:3], 0 offen offset:8
	buffer_store_dword v15, v35, s[0:3], 0 offen offset:12
	v_xor_b32_e32 v38, v39, v18
	v_lshlrev_b32_e32 v14, 2, v15
	ds_read_b32 v15, v17
	ds_read_b32 v17, v1
	;; [unrolled: 1-line block ×4, first 2 shown]
	s_mov_b64 s[10:11], 0
	s_waitcnt lgkmcnt(3)
	v_add_u32_e32 v1, v5, v15
	v_lshlrev_b64 v[14:15], 2, v[1:2]
	s_waitcnt lgkmcnt(2)
	v_add3_u32 v1, v5, v17, s15
	v_lshlrev_b64 v[17:18], 2, v[1:2]
	v_add_co_u32_e64 v14, s[6:7], s38, v14
	s_waitcnt lgkmcnt(1)
	v_add3_u32 v1, v5, v12, s18
	v_addc_co_u32_e64 v15, s[6:7], v4, v15, s[6:7]
	v_lshlrev_b64 v[35:36], 2, v[1:2]
	global_store_dword v[14:15], v6, off
	v_add_co_u32_e64 v14, s[6:7], s38, v17
	s_waitcnt lgkmcnt(0)
	v_add3_u32 v1, v5, v39, s19
	v_addc_co_u32_e64 v15, s[6:7], v4, v18, s[6:7]
	v_lshlrev_b64 v[17:18], 2, v[1:2]
	global_store_dword v[14:15], v31, off
	v_add_co_u32_e64 v14, s[6:7], s38, v35
	v_addc_co_u32_e64 v15, s[6:7], v4, v36, s[6:7]
	global_store_dword v[14:15], v37, off
	v_add_co_u32_e64 v14, s[6:7], s38, v17
	s_mov_b32 s20, s12
	v_add_u32_e32 v5, 0x800, v5
	v_addc_co_u32_e64 v15, s[6:7], v4, v18, s[6:7]
	global_store_dword v[14:15], v38, off
	s_waitcnt vmcnt(0)
	s_barrier
	s_cbranch_vccnz .LBB1855_130
; %bb.131:
	s_lshl_b64 s[6:7], s[8:9], 3
	s_add_u32 s6, s40, s6
	s_addc_u32 s7, s41, s7
	v_lshlrev_b32_e32 v1, 3, v8
	v_mov_b32_e32 v2, s7
	v_add_co_u32_e32 v1, vcc, s6, v1
	v_addc_co_u32_e32 v2, vcc, 0, v2, vcc
	v_lshlrev_b32_e32 v3, 3, v7
	v_add_co_u32_e32 v17, vcc, v1, v3
	v_addc_co_u32_e32 v18, vcc, 0, v2, vcc
	global_load_dwordx2 v[1:2], v[17:18], off
	global_load_dwordx2 v[3:4], v[17:18], off offset:512
	global_load_dwordx2 v[5:6], v[17:18], off offset:1024
	;; [unrolled: 1-line block ×7, first 2 shown]
	v_mov_b32_e32 v18, 0
	s_mov_b32 s6, 0
	s_mov_b32 s7, 0
	v_mov_b32_e32 v22, s43
	s_movk_i32 s8, 0x200
.LBB1855_132:                           ; =>This Inner Loop Header: Depth=1
	v_add_u32_e32 v17, s7, v27
	v_add_u32_e32 v28, s7, v26
	;; [unrolled: 1-line block ×8, first 2 shown]
	v_min_u32_e32 v17, 0x400, v17
	v_min_u32_e32 v28, 0x400, v28
	v_mov_b32_e32 v39, s6
	v_min_u32_e32 v31, 0x400, v31
	v_min_u32_e32 v32, 0x400, v32
	;; [unrolled: 1-line block ×6, first 2 shown]
	v_lshlrev_b32_e32 v17, 3, v17
	v_lshlrev_b32_e32 v28, 3, v28
	v_lshlrev_b32_e32 v31, 3, v31
	v_lshlrev_b32_e32 v32, 3, v32
	v_lshlrev_b32_e32 v35, 3, v35
	v_lshlrev_b32_e32 v36, 3, v36
	v_lshlrev_b32_e32 v37, 3, v37
	v_lshlrev_b32_e32 v38, 3, v38
	s_waitcnt vmcnt(7)
	ds_write_b64 v17, v[1:2] offset:1024
	s_waitcnt vmcnt(6)
	ds_write_b64 v28, v[3:4] offset:1024
	;; [unrolled: 2-line block ×8, first 2 shown]
	s_waitcnt lgkmcnt(0)
	s_barrier
	buffer_load_dword v17, v39, s[0:3], 0 offen
	buffer_load_dword v28, v39, s[0:3], 0 offen offset:4
	ds_read2st64_b64 v[35:38], v21 offset0:2 offset1:10
	s_addk_i32 s7, 0xfc00
	s_add_i32 s6, s6, 8
	s_cmpk_lg_i32 s7, 0xf000
	s_waitcnt vmcnt(1)
	v_lshlrev_b32_e32 v17, 2, v17
	s_waitcnt vmcnt(0)
	v_lshlrev_b32_e32 v28, 2, v28
	ds_read_b32 v17, v17
	ds_read_b32 v28, v28
	s_waitcnt lgkmcnt(1)
	v_add_u32_e32 v17, v0, v17
	v_lshlrev_b64 v[31:32], 3, v[17:18]
	s_waitcnt lgkmcnt(0)
	v_add3_u32 v17, v0, v28, s8
	v_lshlrev_b64 v[39:40], 3, v[17:18]
	v_add_co_u32_e32 v31, vcc, s42, v31
	v_addc_co_u32_e32 v32, vcc, v22, v32, vcc
	global_store_dwordx2 v[31:32], v[35:36], off
	v_add_co_u32_e32 v31, vcc, s42, v39
	v_add_u32_e32 v0, 0x400, v0
	v_addc_co_u32_e32 v32, vcc, v22, v40, vcc
	global_store_dwordx2 v[31:32], v[37:38], off
	s_waitcnt vmcnt(0)
	s_barrier
	s_cbranch_scc1 .LBB1855_132
; %bb.133:
	s_add_i32 s16, s16, -1
	s_cmp_eq_u32 s33, s16
	s_cselect_b64 s[6:7], -1, 0
	s_xor_b64 s[4:5], s[4:5], -1
	s_and_b64 s[4:5], s[4:5], s[6:7]
	s_and_saveexec_b64 s[6:7], s[4:5]
	s_cbranch_execz .LBB1855_135
; %bb.134:
	ds_read_b32 v0, v24
	s_waitcnt lgkmcnt(0)
	v_add3_u32 v0, v19, v25, v0
	global_store_dword v24, v0, s[46:47]
.LBB1855_135:
	s_endpgm
	.section	.rodata,"a",@progbits
	.p2align	6, 0x0
	.amdhsa_kernel _ZN7rocprim17ROCPRIM_400000_NS6detail17trampoline_kernelINS0_14default_configENS1_35radix_sort_onesweep_config_selectorIflEEZZNS1_29radix_sort_onesweep_iterationIS3_Lb0EPfS7_N6thrust23THRUST_200600_302600_NS10device_ptrIlEESB_jNS0_19identity_decomposerENS1_16block_id_wrapperIjLb1EEEEE10hipError_tT1_PNSt15iterator_traitsISG_E10value_typeET2_T3_PNSH_ISM_E10value_typeET4_T5_PSR_SS_PNS1_23onesweep_lookback_stateEbbT6_jjT7_P12ihipStream_tbENKUlT_T0_SG_SL_E_clIS7_S7_PlSB_EEDaSZ_S10_SG_SL_EUlSZ_E_NS1_11comp_targetILNS1_3genE2ELNS1_11target_archE906ELNS1_3gpuE6ELNS1_3repE0EEENS1_47radix_sort_onesweep_sort_config_static_selectorELNS0_4arch9wavefront6targetE1EEEvSG_
		.amdhsa_group_segment_fixed_size 10280
		.amdhsa_private_segment_fixed_size 48
		.amdhsa_kernarg_size 344
		.amdhsa_user_sgpr_count 6
		.amdhsa_user_sgpr_private_segment_buffer 1
		.amdhsa_user_sgpr_dispatch_ptr 0
		.amdhsa_user_sgpr_queue_ptr 0
		.amdhsa_user_sgpr_kernarg_segment_ptr 1
		.amdhsa_user_sgpr_dispatch_id 0
		.amdhsa_user_sgpr_flat_scratch_init 0
		.amdhsa_user_sgpr_private_segment_size 0
		.amdhsa_uses_dynamic_stack 0
		.amdhsa_system_sgpr_private_segment_wavefront_offset 1
		.amdhsa_system_sgpr_workgroup_id_x 1
		.amdhsa_system_sgpr_workgroup_id_y 0
		.amdhsa_system_sgpr_workgroup_id_z 0
		.amdhsa_system_sgpr_workgroup_info 0
		.amdhsa_system_vgpr_workitem_id 2
		.amdhsa_next_free_vgpr 58
		.amdhsa_next_free_sgpr 60
		.amdhsa_reserve_vcc 1
		.amdhsa_reserve_flat_scratch 0
		.amdhsa_float_round_mode_32 0
		.amdhsa_float_round_mode_16_64 0
		.amdhsa_float_denorm_mode_32 3
		.amdhsa_float_denorm_mode_16_64 3
		.amdhsa_dx10_clamp 1
		.amdhsa_ieee_mode 1
		.amdhsa_fp16_overflow 0
		.amdhsa_exception_fp_ieee_invalid_op 0
		.amdhsa_exception_fp_denorm_src 0
		.amdhsa_exception_fp_ieee_div_zero 0
		.amdhsa_exception_fp_ieee_overflow 0
		.amdhsa_exception_fp_ieee_underflow 0
		.amdhsa_exception_fp_ieee_inexact 0
		.amdhsa_exception_int_div_zero 0
	.end_amdhsa_kernel
	.section	.text._ZN7rocprim17ROCPRIM_400000_NS6detail17trampoline_kernelINS0_14default_configENS1_35radix_sort_onesweep_config_selectorIflEEZZNS1_29radix_sort_onesweep_iterationIS3_Lb0EPfS7_N6thrust23THRUST_200600_302600_NS10device_ptrIlEESB_jNS0_19identity_decomposerENS1_16block_id_wrapperIjLb1EEEEE10hipError_tT1_PNSt15iterator_traitsISG_E10value_typeET2_T3_PNSH_ISM_E10value_typeET4_T5_PSR_SS_PNS1_23onesweep_lookback_stateEbbT6_jjT7_P12ihipStream_tbENKUlT_T0_SG_SL_E_clIS7_S7_PlSB_EEDaSZ_S10_SG_SL_EUlSZ_E_NS1_11comp_targetILNS1_3genE2ELNS1_11target_archE906ELNS1_3gpuE6ELNS1_3repE0EEENS1_47radix_sort_onesweep_sort_config_static_selectorELNS0_4arch9wavefront6targetE1EEEvSG_,"axG",@progbits,_ZN7rocprim17ROCPRIM_400000_NS6detail17trampoline_kernelINS0_14default_configENS1_35radix_sort_onesweep_config_selectorIflEEZZNS1_29radix_sort_onesweep_iterationIS3_Lb0EPfS7_N6thrust23THRUST_200600_302600_NS10device_ptrIlEESB_jNS0_19identity_decomposerENS1_16block_id_wrapperIjLb1EEEEE10hipError_tT1_PNSt15iterator_traitsISG_E10value_typeET2_T3_PNSH_ISM_E10value_typeET4_T5_PSR_SS_PNS1_23onesweep_lookback_stateEbbT6_jjT7_P12ihipStream_tbENKUlT_T0_SG_SL_E_clIS7_S7_PlSB_EEDaSZ_S10_SG_SL_EUlSZ_E_NS1_11comp_targetILNS1_3genE2ELNS1_11target_archE906ELNS1_3gpuE6ELNS1_3repE0EEENS1_47radix_sort_onesweep_sort_config_static_selectorELNS0_4arch9wavefront6targetE1EEEvSG_,comdat
.Lfunc_end1855:
	.size	_ZN7rocprim17ROCPRIM_400000_NS6detail17trampoline_kernelINS0_14default_configENS1_35radix_sort_onesweep_config_selectorIflEEZZNS1_29radix_sort_onesweep_iterationIS3_Lb0EPfS7_N6thrust23THRUST_200600_302600_NS10device_ptrIlEESB_jNS0_19identity_decomposerENS1_16block_id_wrapperIjLb1EEEEE10hipError_tT1_PNSt15iterator_traitsISG_E10value_typeET2_T3_PNSH_ISM_E10value_typeET4_T5_PSR_SS_PNS1_23onesweep_lookback_stateEbbT6_jjT7_P12ihipStream_tbENKUlT_T0_SG_SL_E_clIS7_S7_PlSB_EEDaSZ_S10_SG_SL_EUlSZ_E_NS1_11comp_targetILNS1_3genE2ELNS1_11target_archE906ELNS1_3gpuE6ELNS1_3repE0EEENS1_47radix_sort_onesweep_sort_config_static_selectorELNS0_4arch9wavefront6targetE1EEEvSG_, .Lfunc_end1855-_ZN7rocprim17ROCPRIM_400000_NS6detail17trampoline_kernelINS0_14default_configENS1_35radix_sort_onesweep_config_selectorIflEEZZNS1_29radix_sort_onesweep_iterationIS3_Lb0EPfS7_N6thrust23THRUST_200600_302600_NS10device_ptrIlEESB_jNS0_19identity_decomposerENS1_16block_id_wrapperIjLb1EEEEE10hipError_tT1_PNSt15iterator_traitsISG_E10value_typeET2_T3_PNSH_ISM_E10value_typeET4_T5_PSR_SS_PNS1_23onesweep_lookback_stateEbbT6_jjT7_P12ihipStream_tbENKUlT_T0_SG_SL_E_clIS7_S7_PlSB_EEDaSZ_S10_SG_SL_EUlSZ_E_NS1_11comp_targetILNS1_3genE2ELNS1_11target_archE906ELNS1_3gpuE6ELNS1_3repE0EEENS1_47radix_sort_onesweep_sort_config_static_selectorELNS0_4arch9wavefront6targetE1EEEvSG_
                                        ; -- End function
	.set _ZN7rocprim17ROCPRIM_400000_NS6detail17trampoline_kernelINS0_14default_configENS1_35radix_sort_onesweep_config_selectorIflEEZZNS1_29radix_sort_onesweep_iterationIS3_Lb0EPfS7_N6thrust23THRUST_200600_302600_NS10device_ptrIlEESB_jNS0_19identity_decomposerENS1_16block_id_wrapperIjLb1EEEEE10hipError_tT1_PNSt15iterator_traitsISG_E10value_typeET2_T3_PNSH_ISM_E10value_typeET4_T5_PSR_SS_PNS1_23onesweep_lookback_stateEbbT6_jjT7_P12ihipStream_tbENKUlT_T0_SG_SL_E_clIS7_S7_PlSB_EEDaSZ_S10_SG_SL_EUlSZ_E_NS1_11comp_targetILNS1_3genE2ELNS1_11target_archE906ELNS1_3gpuE6ELNS1_3repE0EEENS1_47radix_sort_onesweep_sort_config_static_selectorELNS0_4arch9wavefront6targetE1EEEvSG_.num_vgpr, 58
	.set _ZN7rocprim17ROCPRIM_400000_NS6detail17trampoline_kernelINS0_14default_configENS1_35radix_sort_onesweep_config_selectorIflEEZZNS1_29radix_sort_onesweep_iterationIS3_Lb0EPfS7_N6thrust23THRUST_200600_302600_NS10device_ptrIlEESB_jNS0_19identity_decomposerENS1_16block_id_wrapperIjLb1EEEEE10hipError_tT1_PNSt15iterator_traitsISG_E10value_typeET2_T3_PNSH_ISM_E10value_typeET4_T5_PSR_SS_PNS1_23onesweep_lookback_stateEbbT6_jjT7_P12ihipStream_tbENKUlT_T0_SG_SL_E_clIS7_S7_PlSB_EEDaSZ_S10_SG_SL_EUlSZ_E_NS1_11comp_targetILNS1_3genE2ELNS1_11target_archE906ELNS1_3gpuE6ELNS1_3repE0EEENS1_47radix_sort_onesweep_sort_config_static_selectorELNS0_4arch9wavefront6targetE1EEEvSG_.num_agpr, 0
	.set _ZN7rocprim17ROCPRIM_400000_NS6detail17trampoline_kernelINS0_14default_configENS1_35radix_sort_onesweep_config_selectorIflEEZZNS1_29radix_sort_onesweep_iterationIS3_Lb0EPfS7_N6thrust23THRUST_200600_302600_NS10device_ptrIlEESB_jNS0_19identity_decomposerENS1_16block_id_wrapperIjLb1EEEEE10hipError_tT1_PNSt15iterator_traitsISG_E10value_typeET2_T3_PNSH_ISM_E10value_typeET4_T5_PSR_SS_PNS1_23onesweep_lookback_stateEbbT6_jjT7_P12ihipStream_tbENKUlT_T0_SG_SL_E_clIS7_S7_PlSB_EEDaSZ_S10_SG_SL_EUlSZ_E_NS1_11comp_targetILNS1_3genE2ELNS1_11target_archE906ELNS1_3gpuE6ELNS1_3repE0EEENS1_47radix_sort_onesweep_sort_config_static_selectorELNS0_4arch9wavefront6targetE1EEEvSG_.numbered_sgpr, 60
	.set _ZN7rocprim17ROCPRIM_400000_NS6detail17trampoline_kernelINS0_14default_configENS1_35radix_sort_onesweep_config_selectorIflEEZZNS1_29radix_sort_onesweep_iterationIS3_Lb0EPfS7_N6thrust23THRUST_200600_302600_NS10device_ptrIlEESB_jNS0_19identity_decomposerENS1_16block_id_wrapperIjLb1EEEEE10hipError_tT1_PNSt15iterator_traitsISG_E10value_typeET2_T3_PNSH_ISM_E10value_typeET4_T5_PSR_SS_PNS1_23onesweep_lookback_stateEbbT6_jjT7_P12ihipStream_tbENKUlT_T0_SG_SL_E_clIS7_S7_PlSB_EEDaSZ_S10_SG_SL_EUlSZ_E_NS1_11comp_targetILNS1_3genE2ELNS1_11target_archE906ELNS1_3gpuE6ELNS1_3repE0EEENS1_47radix_sort_onesweep_sort_config_static_selectorELNS0_4arch9wavefront6targetE1EEEvSG_.num_named_barrier, 0
	.set _ZN7rocprim17ROCPRIM_400000_NS6detail17trampoline_kernelINS0_14default_configENS1_35radix_sort_onesweep_config_selectorIflEEZZNS1_29radix_sort_onesweep_iterationIS3_Lb0EPfS7_N6thrust23THRUST_200600_302600_NS10device_ptrIlEESB_jNS0_19identity_decomposerENS1_16block_id_wrapperIjLb1EEEEE10hipError_tT1_PNSt15iterator_traitsISG_E10value_typeET2_T3_PNSH_ISM_E10value_typeET4_T5_PSR_SS_PNS1_23onesweep_lookback_stateEbbT6_jjT7_P12ihipStream_tbENKUlT_T0_SG_SL_E_clIS7_S7_PlSB_EEDaSZ_S10_SG_SL_EUlSZ_E_NS1_11comp_targetILNS1_3genE2ELNS1_11target_archE906ELNS1_3gpuE6ELNS1_3repE0EEENS1_47radix_sort_onesweep_sort_config_static_selectorELNS0_4arch9wavefront6targetE1EEEvSG_.private_seg_size, 48
	.set _ZN7rocprim17ROCPRIM_400000_NS6detail17trampoline_kernelINS0_14default_configENS1_35radix_sort_onesweep_config_selectorIflEEZZNS1_29radix_sort_onesweep_iterationIS3_Lb0EPfS7_N6thrust23THRUST_200600_302600_NS10device_ptrIlEESB_jNS0_19identity_decomposerENS1_16block_id_wrapperIjLb1EEEEE10hipError_tT1_PNSt15iterator_traitsISG_E10value_typeET2_T3_PNSH_ISM_E10value_typeET4_T5_PSR_SS_PNS1_23onesweep_lookback_stateEbbT6_jjT7_P12ihipStream_tbENKUlT_T0_SG_SL_E_clIS7_S7_PlSB_EEDaSZ_S10_SG_SL_EUlSZ_E_NS1_11comp_targetILNS1_3genE2ELNS1_11target_archE906ELNS1_3gpuE6ELNS1_3repE0EEENS1_47radix_sort_onesweep_sort_config_static_selectorELNS0_4arch9wavefront6targetE1EEEvSG_.uses_vcc, 1
	.set _ZN7rocprim17ROCPRIM_400000_NS6detail17trampoline_kernelINS0_14default_configENS1_35radix_sort_onesweep_config_selectorIflEEZZNS1_29radix_sort_onesweep_iterationIS3_Lb0EPfS7_N6thrust23THRUST_200600_302600_NS10device_ptrIlEESB_jNS0_19identity_decomposerENS1_16block_id_wrapperIjLb1EEEEE10hipError_tT1_PNSt15iterator_traitsISG_E10value_typeET2_T3_PNSH_ISM_E10value_typeET4_T5_PSR_SS_PNS1_23onesweep_lookback_stateEbbT6_jjT7_P12ihipStream_tbENKUlT_T0_SG_SL_E_clIS7_S7_PlSB_EEDaSZ_S10_SG_SL_EUlSZ_E_NS1_11comp_targetILNS1_3genE2ELNS1_11target_archE906ELNS1_3gpuE6ELNS1_3repE0EEENS1_47radix_sort_onesweep_sort_config_static_selectorELNS0_4arch9wavefront6targetE1EEEvSG_.uses_flat_scratch, 0
	.set _ZN7rocprim17ROCPRIM_400000_NS6detail17trampoline_kernelINS0_14default_configENS1_35radix_sort_onesweep_config_selectorIflEEZZNS1_29radix_sort_onesweep_iterationIS3_Lb0EPfS7_N6thrust23THRUST_200600_302600_NS10device_ptrIlEESB_jNS0_19identity_decomposerENS1_16block_id_wrapperIjLb1EEEEE10hipError_tT1_PNSt15iterator_traitsISG_E10value_typeET2_T3_PNSH_ISM_E10value_typeET4_T5_PSR_SS_PNS1_23onesweep_lookback_stateEbbT6_jjT7_P12ihipStream_tbENKUlT_T0_SG_SL_E_clIS7_S7_PlSB_EEDaSZ_S10_SG_SL_EUlSZ_E_NS1_11comp_targetILNS1_3genE2ELNS1_11target_archE906ELNS1_3gpuE6ELNS1_3repE0EEENS1_47radix_sort_onesweep_sort_config_static_selectorELNS0_4arch9wavefront6targetE1EEEvSG_.has_dyn_sized_stack, 0
	.set _ZN7rocprim17ROCPRIM_400000_NS6detail17trampoline_kernelINS0_14default_configENS1_35radix_sort_onesweep_config_selectorIflEEZZNS1_29radix_sort_onesweep_iterationIS3_Lb0EPfS7_N6thrust23THRUST_200600_302600_NS10device_ptrIlEESB_jNS0_19identity_decomposerENS1_16block_id_wrapperIjLb1EEEEE10hipError_tT1_PNSt15iterator_traitsISG_E10value_typeET2_T3_PNSH_ISM_E10value_typeET4_T5_PSR_SS_PNS1_23onesweep_lookback_stateEbbT6_jjT7_P12ihipStream_tbENKUlT_T0_SG_SL_E_clIS7_S7_PlSB_EEDaSZ_S10_SG_SL_EUlSZ_E_NS1_11comp_targetILNS1_3genE2ELNS1_11target_archE906ELNS1_3gpuE6ELNS1_3repE0EEENS1_47radix_sort_onesweep_sort_config_static_selectorELNS0_4arch9wavefront6targetE1EEEvSG_.has_recursion, 0
	.set _ZN7rocprim17ROCPRIM_400000_NS6detail17trampoline_kernelINS0_14default_configENS1_35radix_sort_onesweep_config_selectorIflEEZZNS1_29radix_sort_onesweep_iterationIS3_Lb0EPfS7_N6thrust23THRUST_200600_302600_NS10device_ptrIlEESB_jNS0_19identity_decomposerENS1_16block_id_wrapperIjLb1EEEEE10hipError_tT1_PNSt15iterator_traitsISG_E10value_typeET2_T3_PNSH_ISM_E10value_typeET4_T5_PSR_SS_PNS1_23onesweep_lookback_stateEbbT6_jjT7_P12ihipStream_tbENKUlT_T0_SG_SL_E_clIS7_S7_PlSB_EEDaSZ_S10_SG_SL_EUlSZ_E_NS1_11comp_targetILNS1_3genE2ELNS1_11target_archE906ELNS1_3gpuE6ELNS1_3repE0EEENS1_47radix_sort_onesweep_sort_config_static_selectorELNS0_4arch9wavefront6targetE1EEEvSG_.has_indirect_call, 0
	.section	.AMDGPU.csdata,"",@progbits
; Kernel info:
; codeLenInByte = 12392
; TotalNumSgprs: 64
; NumVgprs: 58
; ScratchSize: 48
; MemoryBound: 0
; FloatMode: 240
; IeeeMode: 1
; LDSByteSize: 10280 bytes/workgroup (compile time only)
; SGPRBlocks: 7
; VGPRBlocks: 14
; NumSGPRsForWavesPerEU: 64
; NumVGPRsForWavesPerEU: 58
; Occupancy: 4
; WaveLimiterHint : 1
; COMPUTE_PGM_RSRC2:SCRATCH_EN: 1
; COMPUTE_PGM_RSRC2:USER_SGPR: 6
; COMPUTE_PGM_RSRC2:TRAP_HANDLER: 0
; COMPUTE_PGM_RSRC2:TGID_X_EN: 1
; COMPUTE_PGM_RSRC2:TGID_Y_EN: 0
; COMPUTE_PGM_RSRC2:TGID_Z_EN: 0
; COMPUTE_PGM_RSRC2:TIDIG_COMP_CNT: 2
	.section	.text._ZN7rocprim17ROCPRIM_400000_NS6detail17trampoline_kernelINS0_14default_configENS1_35radix_sort_onesweep_config_selectorIflEEZZNS1_29radix_sort_onesweep_iterationIS3_Lb0EPfS7_N6thrust23THRUST_200600_302600_NS10device_ptrIlEESB_jNS0_19identity_decomposerENS1_16block_id_wrapperIjLb1EEEEE10hipError_tT1_PNSt15iterator_traitsISG_E10value_typeET2_T3_PNSH_ISM_E10value_typeET4_T5_PSR_SS_PNS1_23onesweep_lookback_stateEbbT6_jjT7_P12ihipStream_tbENKUlT_T0_SG_SL_E_clIS7_S7_PlSB_EEDaSZ_S10_SG_SL_EUlSZ_E_NS1_11comp_targetILNS1_3genE4ELNS1_11target_archE910ELNS1_3gpuE8ELNS1_3repE0EEENS1_47radix_sort_onesweep_sort_config_static_selectorELNS0_4arch9wavefront6targetE1EEEvSG_,"axG",@progbits,_ZN7rocprim17ROCPRIM_400000_NS6detail17trampoline_kernelINS0_14default_configENS1_35radix_sort_onesweep_config_selectorIflEEZZNS1_29radix_sort_onesweep_iterationIS3_Lb0EPfS7_N6thrust23THRUST_200600_302600_NS10device_ptrIlEESB_jNS0_19identity_decomposerENS1_16block_id_wrapperIjLb1EEEEE10hipError_tT1_PNSt15iterator_traitsISG_E10value_typeET2_T3_PNSH_ISM_E10value_typeET4_T5_PSR_SS_PNS1_23onesweep_lookback_stateEbbT6_jjT7_P12ihipStream_tbENKUlT_T0_SG_SL_E_clIS7_S7_PlSB_EEDaSZ_S10_SG_SL_EUlSZ_E_NS1_11comp_targetILNS1_3genE4ELNS1_11target_archE910ELNS1_3gpuE8ELNS1_3repE0EEENS1_47radix_sort_onesweep_sort_config_static_selectorELNS0_4arch9wavefront6targetE1EEEvSG_,comdat
	.protected	_ZN7rocprim17ROCPRIM_400000_NS6detail17trampoline_kernelINS0_14default_configENS1_35radix_sort_onesweep_config_selectorIflEEZZNS1_29radix_sort_onesweep_iterationIS3_Lb0EPfS7_N6thrust23THRUST_200600_302600_NS10device_ptrIlEESB_jNS0_19identity_decomposerENS1_16block_id_wrapperIjLb1EEEEE10hipError_tT1_PNSt15iterator_traitsISG_E10value_typeET2_T3_PNSH_ISM_E10value_typeET4_T5_PSR_SS_PNS1_23onesweep_lookback_stateEbbT6_jjT7_P12ihipStream_tbENKUlT_T0_SG_SL_E_clIS7_S7_PlSB_EEDaSZ_S10_SG_SL_EUlSZ_E_NS1_11comp_targetILNS1_3genE4ELNS1_11target_archE910ELNS1_3gpuE8ELNS1_3repE0EEENS1_47radix_sort_onesweep_sort_config_static_selectorELNS0_4arch9wavefront6targetE1EEEvSG_ ; -- Begin function _ZN7rocprim17ROCPRIM_400000_NS6detail17trampoline_kernelINS0_14default_configENS1_35radix_sort_onesweep_config_selectorIflEEZZNS1_29radix_sort_onesweep_iterationIS3_Lb0EPfS7_N6thrust23THRUST_200600_302600_NS10device_ptrIlEESB_jNS0_19identity_decomposerENS1_16block_id_wrapperIjLb1EEEEE10hipError_tT1_PNSt15iterator_traitsISG_E10value_typeET2_T3_PNSH_ISM_E10value_typeET4_T5_PSR_SS_PNS1_23onesweep_lookback_stateEbbT6_jjT7_P12ihipStream_tbENKUlT_T0_SG_SL_E_clIS7_S7_PlSB_EEDaSZ_S10_SG_SL_EUlSZ_E_NS1_11comp_targetILNS1_3genE4ELNS1_11target_archE910ELNS1_3gpuE8ELNS1_3repE0EEENS1_47radix_sort_onesweep_sort_config_static_selectorELNS0_4arch9wavefront6targetE1EEEvSG_
	.globl	_ZN7rocprim17ROCPRIM_400000_NS6detail17trampoline_kernelINS0_14default_configENS1_35radix_sort_onesweep_config_selectorIflEEZZNS1_29radix_sort_onesweep_iterationIS3_Lb0EPfS7_N6thrust23THRUST_200600_302600_NS10device_ptrIlEESB_jNS0_19identity_decomposerENS1_16block_id_wrapperIjLb1EEEEE10hipError_tT1_PNSt15iterator_traitsISG_E10value_typeET2_T3_PNSH_ISM_E10value_typeET4_T5_PSR_SS_PNS1_23onesweep_lookback_stateEbbT6_jjT7_P12ihipStream_tbENKUlT_T0_SG_SL_E_clIS7_S7_PlSB_EEDaSZ_S10_SG_SL_EUlSZ_E_NS1_11comp_targetILNS1_3genE4ELNS1_11target_archE910ELNS1_3gpuE8ELNS1_3repE0EEENS1_47radix_sort_onesweep_sort_config_static_selectorELNS0_4arch9wavefront6targetE1EEEvSG_
	.p2align	8
	.type	_ZN7rocprim17ROCPRIM_400000_NS6detail17trampoline_kernelINS0_14default_configENS1_35radix_sort_onesweep_config_selectorIflEEZZNS1_29radix_sort_onesweep_iterationIS3_Lb0EPfS7_N6thrust23THRUST_200600_302600_NS10device_ptrIlEESB_jNS0_19identity_decomposerENS1_16block_id_wrapperIjLb1EEEEE10hipError_tT1_PNSt15iterator_traitsISG_E10value_typeET2_T3_PNSH_ISM_E10value_typeET4_T5_PSR_SS_PNS1_23onesweep_lookback_stateEbbT6_jjT7_P12ihipStream_tbENKUlT_T0_SG_SL_E_clIS7_S7_PlSB_EEDaSZ_S10_SG_SL_EUlSZ_E_NS1_11comp_targetILNS1_3genE4ELNS1_11target_archE910ELNS1_3gpuE8ELNS1_3repE0EEENS1_47radix_sort_onesweep_sort_config_static_selectorELNS0_4arch9wavefront6targetE1EEEvSG_,@function
_ZN7rocprim17ROCPRIM_400000_NS6detail17trampoline_kernelINS0_14default_configENS1_35radix_sort_onesweep_config_selectorIflEEZZNS1_29radix_sort_onesweep_iterationIS3_Lb0EPfS7_N6thrust23THRUST_200600_302600_NS10device_ptrIlEESB_jNS0_19identity_decomposerENS1_16block_id_wrapperIjLb1EEEEE10hipError_tT1_PNSt15iterator_traitsISG_E10value_typeET2_T3_PNSH_ISM_E10value_typeET4_T5_PSR_SS_PNS1_23onesweep_lookback_stateEbbT6_jjT7_P12ihipStream_tbENKUlT_T0_SG_SL_E_clIS7_S7_PlSB_EEDaSZ_S10_SG_SL_EUlSZ_E_NS1_11comp_targetILNS1_3genE4ELNS1_11target_archE910ELNS1_3gpuE8ELNS1_3repE0EEENS1_47radix_sort_onesweep_sort_config_static_selectorELNS0_4arch9wavefront6targetE1EEEvSG_: ; @_ZN7rocprim17ROCPRIM_400000_NS6detail17trampoline_kernelINS0_14default_configENS1_35radix_sort_onesweep_config_selectorIflEEZZNS1_29radix_sort_onesweep_iterationIS3_Lb0EPfS7_N6thrust23THRUST_200600_302600_NS10device_ptrIlEESB_jNS0_19identity_decomposerENS1_16block_id_wrapperIjLb1EEEEE10hipError_tT1_PNSt15iterator_traitsISG_E10value_typeET2_T3_PNSH_ISM_E10value_typeET4_T5_PSR_SS_PNS1_23onesweep_lookback_stateEbbT6_jjT7_P12ihipStream_tbENKUlT_T0_SG_SL_E_clIS7_S7_PlSB_EEDaSZ_S10_SG_SL_EUlSZ_E_NS1_11comp_targetILNS1_3genE4ELNS1_11target_archE910ELNS1_3gpuE8ELNS1_3repE0EEENS1_47radix_sort_onesweep_sort_config_static_selectorELNS0_4arch9wavefront6targetE1EEEvSG_
; %bb.0:
	.section	.rodata,"a",@progbits
	.p2align	6, 0x0
	.amdhsa_kernel _ZN7rocprim17ROCPRIM_400000_NS6detail17trampoline_kernelINS0_14default_configENS1_35radix_sort_onesweep_config_selectorIflEEZZNS1_29radix_sort_onesweep_iterationIS3_Lb0EPfS7_N6thrust23THRUST_200600_302600_NS10device_ptrIlEESB_jNS0_19identity_decomposerENS1_16block_id_wrapperIjLb1EEEEE10hipError_tT1_PNSt15iterator_traitsISG_E10value_typeET2_T3_PNSH_ISM_E10value_typeET4_T5_PSR_SS_PNS1_23onesweep_lookback_stateEbbT6_jjT7_P12ihipStream_tbENKUlT_T0_SG_SL_E_clIS7_S7_PlSB_EEDaSZ_S10_SG_SL_EUlSZ_E_NS1_11comp_targetILNS1_3genE4ELNS1_11target_archE910ELNS1_3gpuE8ELNS1_3repE0EEENS1_47radix_sort_onesweep_sort_config_static_selectorELNS0_4arch9wavefront6targetE1EEEvSG_
		.amdhsa_group_segment_fixed_size 0
		.amdhsa_private_segment_fixed_size 0
		.amdhsa_kernarg_size 88
		.amdhsa_user_sgpr_count 6
		.amdhsa_user_sgpr_private_segment_buffer 1
		.amdhsa_user_sgpr_dispatch_ptr 0
		.amdhsa_user_sgpr_queue_ptr 0
		.amdhsa_user_sgpr_kernarg_segment_ptr 1
		.amdhsa_user_sgpr_dispatch_id 0
		.amdhsa_user_sgpr_flat_scratch_init 0
		.amdhsa_user_sgpr_private_segment_size 0
		.amdhsa_uses_dynamic_stack 0
		.amdhsa_system_sgpr_private_segment_wavefront_offset 0
		.amdhsa_system_sgpr_workgroup_id_x 1
		.amdhsa_system_sgpr_workgroup_id_y 0
		.amdhsa_system_sgpr_workgroup_id_z 0
		.amdhsa_system_sgpr_workgroup_info 0
		.amdhsa_system_vgpr_workitem_id 0
		.amdhsa_next_free_vgpr 1
		.amdhsa_next_free_sgpr 0
		.amdhsa_reserve_vcc 0
		.amdhsa_reserve_flat_scratch 0
		.amdhsa_float_round_mode_32 0
		.amdhsa_float_round_mode_16_64 0
		.amdhsa_float_denorm_mode_32 3
		.amdhsa_float_denorm_mode_16_64 3
		.amdhsa_dx10_clamp 1
		.amdhsa_ieee_mode 1
		.amdhsa_fp16_overflow 0
		.amdhsa_exception_fp_ieee_invalid_op 0
		.amdhsa_exception_fp_denorm_src 0
		.amdhsa_exception_fp_ieee_div_zero 0
		.amdhsa_exception_fp_ieee_overflow 0
		.amdhsa_exception_fp_ieee_underflow 0
		.amdhsa_exception_fp_ieee_inexact 0
		.amdhsa_exception_int_div_zero 0
	.end_amdhsa_kernel
	.section	.text._ZN7rocprim17ROCPRIM_400000_NS6detail17trampoline_kernelINS0_14default_configENS1_35radix_sort_onesweep_config_selectorIflEEZZNS1_29radix_sort_onesweep_iterationIS3_Lb0EPfS7_N6thrust23THRUST_200600_302600_NS10device_ptrIlEESB_jNS0_19identity_decomposerENS1_16block_id_wrapperIjLb1EEEEE10hipError_tT1_PNSt15iterator_traitsISG_E10value_typeET2_T3_PNSH_ISM_E10value_typeET4_T5_PSR_SS_PNS1_23onesweep_lookback_stateEbbT6_jjT7_P12ihipStream_tbENKUlT_T0_SG_SL_E_clIS7_S7_PlSB_EEDaSZ_S10_SG_SL_EUlSZ_E_NS1_11comp_targetILNS1_3genE4ELNS1_11target_archE910ELNS1_3gpuE8ELNS1_3repE0EEENS1_47radix_sort_onesweep_sort_config_static_selectorELNS0_4arch9wavefront6targetE1EEEvSG_,"axG",@progbits,_ZN7rocprim17ROCPRIM_400000_NS6detail17trampoline_kernelINS0_14default_configENS1_35radix_sort_onesweep_config_selectorIflEEZZNS1_29radix_sort_onesweep_iterationIS3_Lb0EPfS7_N6thrust23THRUST_200600_302600_NS10device_ptrIlEESB_jNS0_19identity_decomposerENS1_16block_id_wrapperIjLb1EEEEE10hipError_tT1_PNSt15iterator_traitsISG_E10value_typeET2_T3_PNSH_ISM_E10value_typeET4_T5_PSR_SS_PNS1_23onesweep_lookback_stateEbbT6_jjT7_P12ihipStream_tbENKUlT_T0_SG_SL_E_clIS7_S7_PlSB_EEDaSZ_S10_SG_SL_EUlSZ_E_NS1_11comp_targetILNS1_3genE4ELNS1_11target_archE910ELNS1_3gpuE8ELNS1_3repE0EEENS1_47radix_sort_onesweep_sort_config_static_selectorELNS0_4arch9wavefront6targetE1EEEvSG_,comdat
.Lfunc_end1856:
	.size	_ZN7rocprim17ROCPRIM_400000_NS6detail17trampoline_kernelINS0_14default_configENS1_35radix_sort_onesweep_config_selectorIflEEZZNS1_29radix_sort_onesweep_iterationIS3_Lb0EPfS7_N6thrust23THRUST_200600_302600_NS10device_ptrIlEESB_jNS0_19identity_decomposerENS1_16block_id_wrapperIjLb1EEEEE10hipError_tT1_PNSt15iterator_traitsISG_E10value_typeET2_T3_PNSH_ISM_E10value_typeET4_T5_PSR_SS_PNS1_23onesweep_lookback_stateEbbT6_jjT7_P12ihipStream_tbENKUlT_T0_SG_SL_E_clIS7_S7_PlSB_EEDaSZ_S10_SG_SL_EUlSZ_E_NS1_11comp_targetILNS1_3genE4ELNS1_11target_archE910ELNS1_3gpuE8ELNS1_3repE0EEENS1_47radix_sort_onesweep_sort_config_static_selectorELNS0_4arch9wavefront6targetE1EEEvSG_, .Lfunc_end1856-_ZN7rocprim17ROCPRIM_400000_NS6detail17trampoline_kernelINS0_14default_configENS1_35radix_sort_onesweep_config_selectorIflEEZZNS1_29radix_sort_onesweep_iterationIS3_Lb0EPfS7_N6thrust23THRUST_200600_302600_NS10device_ptrIlEESB_jNS0_19identity_decomposerENS1_16block_id_wrapperIjLb1EEEEE10hipError_tT1_PNSt15iterator_traitsISG_E10value_typeET2_T3_PNSH_ISM_E10value_typeET4_T5_PSR_SS_PNS1_23onesweep_lookback_stateEbbT6_jjT7_P12ihipStream_tbENKUlT_T0_SG_SL_E_clIS7_S7_PlSB_EEDaSZ_S10_SG_SL_EUlSZ_E_NS1_11comp_targetILNS1_3genE4ELNS1_11target_archE910ELNS1_3gpuE8ELNS1_3repE0EEENS1_47radix_sort_onesweep_sort_config_static_selectorELNS0_4arch9wavefront6targetE1EEEvSG_
                                        ; -- End function
	.set _ZN7rocprim17ROCPRIM_400000_NS6detail17trampoline_kernelINS0_14default_configENS1_35radix_sort_onesweep_config_selectorIflEEZZNS1_29radix_sort_onesweep_iterationIS3_Lb0EPfS7_N6thrust23THRUST_200600_302600_NS10device_ptrIlEESB_jNS0_19identity_decomposerENS1_16block_id_wrapperIjLb1EEEEE10hipError_tT1_PNSt15iterator_traitsISG_E10value_typeET2_T3_PNSH_ISM_E10value_typeET4_T5_PSR_SS_PNS1_23onesweep_lookback_stateEbbT6_jjT7_P12ihipStream_tbENKUlT_T0_SG_SL_E_clIS7_S7_PlSB_EEDaSZ_S10_SG_SL_EUlSZ_E_NS1_11comp_targetILNS1_3genE4ELNS1_11target_archE910ELNS1_3gpuE8ELNS1_3repE0EEENS1_47radix_sort_onesweep_sort_config_static_selectorELNS0_4arch9wavefront6targetE1EEEvSG_.num_vgpr, 0
	.set _ZN7rocprim17ROCPRIM_400000_NS6detail17trampoline_kernelINS0_14default_configENS1_35radix_sort_onesweep_config_selectorIflEEZZNS1_29radix_sort_onesweep_iterationIS3_Lb0EPfS7_N6thrust23THRUST_200600_302600_NS10device_ptrIlEESB_jNS0_19identity_decomposerENS1_16block_id_wrapperIjLb1EEEEE10hipError_tT1_PNSt15iterator_traitsISG_E10value_typeET2_T3_PNSH_ISM_E10value_typeET4_T5_PSR_SS_PNS1_23onesweep_lookback_stateEbbT6_jjT7_P12ihipStream_tbENKUlT_T0_SG_SL_E_clIS7_S7_PlSB_EEDaSZ_S10_SG_SL_EUlSZ_E_NS1_11comp_targetILNS1_3genE4ELNS1_11target_archE910ELNS1_3gpuE8ELNS1_3repE0EEENS1_47radix_sort_onesweep_sort_config_static_selectorELNS0_4arch9wavefront6targetE1EEEvSG_.num_agpr, 0
	.set _ZN7rocprim17ROCPRIM_400000_NS6detail17trampoline_kernelINS0_14default_configENS1_35radix_sort_onesweep_config_selectorIflEEZZNS1_29radix_sort_onesweep_iterationIS3_Lb0EPfS7_N6thrust23THRUST_200600_302600_NS10device_ptrIlEESB_jNS0_19identity_decomposerENS1_16block_id_wrapperIjLb1EEEEE10hipError_tT1_PNSt15iterator_traitsISG_E10value_typeET2_T3_PNSH_ISM_E10value_typeET4_T5_PSR_SS_PNS1_23onesweep_lookback_stateEbbT6_jjT7_P12ihipStream_tbENKUlT_T0_SG_SL_E_clIS7_S7_PlSB_EEDaSZ_S10_SG_SL_EUlSZ_E_NS1_11comp_targetILNS1_3genE4ELNS1_11target_archE910ELNS1_3gpuE8ELNS1_3repE0EEENS1_47radix_sort_onesweep_sort_config_static_selectorELNS0_4arch9wavefront6targetE1EEEvSG_.numbered_sgpr, 0
	.set _ZN7rocprim17ROCPRIM_400000_NS6detail17trampoline_kernelINS0_14default_configENS1_35radix_sort_onesweep_config_selectorIflEEZZNS1_29radix_sort_onesweep_iterationIS3_Lb0EPfS7_N6thrust23THRUST_200600_302600_NS10device_ptrIlEESB_jNS0_19identity_decomposerENS1_16block_id_wrapperIjLb1EEEEE10hipError_tT1_PNSt15iterator_traitsISG_E10value_typeET2_T3_PNSH_ISM_E10value_typeET4_T5_PSR_SS_PNS1_23onesweep_lookback_stateEbbT6_jjT7_P12ihipStream_tbENKUlT_T0_SG_SL_E_clIS7_S7_PlSB_EEDaSZ_S10_SG_SL_EUlSZ_E_NS1_11comp_targetILNS1_3genE4ELNS1_11target_archE910ELNS1_3gpuE8ELNS1_3repE0EEENS1_47radix_sort_onesweep_sort_config_static_selectorELNS0_4arch9wavefront6targetE1EEEvSG_.num_named_barrier, 0
	.set _ZN7rocprim17ROCPRIM_400000_NS6detail17trampoline_kernelINS0_14default_configENS1_35radix_sort_onesweep_config_selectorIflEEZZNS1_29radix_sort_onesweep_iterationIS3_Lb0EPfS7_N6thrust23THRUST_200600_302600_NS10device_ptrIlEESB_jNS0_19identity_decomposerENS1_16block_id_wrapperIjLb1EEEEE10hipError_tT1_PNSt15iterator_traitsISG_E10value_typeET2_T3_PNSH_ISM_E10value_typeET4_T5_PSR_SS_PNS1_23onesweep_lookback_stateEbbT6_jjT7_P12ihipStream_tbENKUlT_T0_SG_SL_E_clIS7_S7_PlSB_EEDaSZ_S10_SG_SL_EUlSZ_E_NS1_11comp_targetILNS1_3genE4ELNS1_11target_archE910ELNS1_3gpuE8ELNS1_3repE0EEENS1_47radix_sort_onesweep_sort_config_static_selectorELNS0_4arch9wavefront6targetE1EEEvSG_.private_seg_size, 0
	.set _ZN7rocprim17ROCPRIM_400000_NS6detail17trampoline_kernelINS0_14default_configENS1_35radix_sort_onesweep_config_selectorIflEEZZNS1_29radix_sort_onesweep_iterationIS3_Lb0EPfS7_N6thrust23THRUST_200600_302600_NS10device_ptrIlEESB_jNS0_19identity_decomposerENS1_16block_id_wrapperIjLb1EEEEE10hipError_tT1_PNSt15iterator_traitsISG_E10value_typeET2_T3_PNSH_ISM_E10value_typeET4_T5_PSR_SS_PNS1_23onesweep_lookback_stateEbbT6_jjT7_P12ihipStream_tbENKUlT_T0_SG_SL_E_clIS7_S7_PlSB_EEDaSZ_S10_SG_SL_EUlSZ_E_NS1_11comp_targetILNS1_3genE4ELNS1_11target_archE910ELNS1_3gpuE8ELNS1_3repE0EEENS1_47radix_sort_onesweep_sort_config_static_selectorELNS0_4arch9wavefront6targetE1EEEvSG_.uses_vcc, 0
	.set _ZN7rocprim17ROCPRIM_400000_NS6detail17trampoline_kernelINS0_14default_configENS1_35radix_sort_onesweep_config_selectorIflEEZZNS1_29radix_sort_onesweep_iterationIS3_Lb0EPfS7_N6thrust23THRUST_200600_302600_NS10device_ptrIlEESB_jNS0_19identity_decomposerENS1_16block_id_wrapperIjLb1EEEEE10hipError_tT1_PNSt15iterator_traitsISG_E10value_typeET2_T3_PNSH_ISM_E10value_typeET4_T5_PSR_SS_PNS1_23onesweep_lookback_stateEbbT6_jjT7_P12ihipStream_tbENKUlT_T0_SG_SL_E_clIS7_S7_PlSB_EEDaSZ_S10_SG_SL_EUlSZ_E_NS1_11comp_targetILNS1_3genE4ELNS1_11target_archE910ELNS1_3gpuE8ELNS1_3repE0EEENS1_47radix_sort_onesweep_sort_config_static_selectorELNS0_4arch9wavefront6targetE1EEEvSG_.uses_flat_scratch, 0
	.set _ZN7rocprim17ROCPRIM_400000_NS6detail17trampoline_kernelINS0_14default_configENS1_35radix_sort_onesweep_config_selectorIflEEZZNS1_29radix_sort_onesweep_iterationIS3_Lb0EPfS7_N6thrust23THRUST_200600_302600_NS10device_ptrIlEESB_jNS0_19identity_decomposerENS1_16block_id_wrapperIjLb1EEEEE10hipError_tT1_PNSt15iterator_traitsISG_E10value_typeET2_T3_PNSH_ISM_E10value_typeET4_T5_PSR_SS_PNS1_23onesweep_lookback_stateEbbT6_jjT7_P12ihipStream_tbENKUlT_T0_SG_SL_E_clIS7_S7_PlSB_EEDaSZ_S10_SG_SL_EUlSZ_E_NS1_11comp_targetILNS1_3genE4ELNS1_11target_archE910ELNS1_3gpuE8ELNS1_3repE0EEENS1_47radix_sort_onesweep_sort_config_static_selectorELNS0_4arch9wavefront6targetE1EEEvSG_.has_dyn_sized_stack, 0
	.set _ZN7rocprim17ROCPRIM_400000_NS6detail17trampoline_kernelINS0_14default_configENS1_35radix_sort_onesweep_config_selectorIflEEZZNS1_29radix_sort_onesweep_iterationIS3_Lb0EPfS7_N6thrust23THRUST_200600_302600_NS10device_ptrIlEESB_jNS0_19identity_decomposerENS1_16block_id_wrapperIjLb1EEEEE10hipError_tT1_PNSt15iterator_traitsISG_E10value_typeET2_T3_PNSH_ISM_E10value_typeET4_T5_PSR_SS_PNS1_23onesweep_lookback_stateEbbT6_jjT7_P12ihipStream_tbENKUlT_T0_SG_SL_E_clIS7_S7_PlSB_EEDaSZ_S10_SG_SL_EUlSZ_E_NS1_11comp_targetILNS1_3genE4ELNS1_11target_archE910ELNS1_3gpuE8ELNS1_3repE0EEENS1_47radix_sort_onesweep_sort_config_static_selectorELNS0_4arch9wavefront6targetE1EEEvSG_.has_recursion, 0
	.set _ZN7rocprim17ROCPRIM_400000_NS6detail17trampoline_kernelINS0_14default_configENS1_35radix_sort_onesweep_config_selectorIflEEZZNS1_29radix_sort_onesweep_iterationIS3_Lb0EPfS7_N6thrust23THRUST_200600_302600_NS10device_ptrIlEESB_jNS0_19identity_decomposerENS1_16block_id_wrapperIjLb1EEEEE10hipError_tT1_PNSt15iterator_traitsISG_E10value_typeET2_T3_PNSH_ISM_E10value_typeET4_T5_PSR_SS_PNS1_23onesweep_lookback_stateEbbT6_jjT7_P12ihipStream_tbENKUlT_T0_SG_SL_E_clIS7_S7_PlSB_EEDaSZ_S10_SG_SL_EUlSZ_E_NS1_11comp_targetILNS1_3genE4ELNS1_11target_archE910ELNS1_3gpuE8ELNS1_3repE0EEENS1_47radix_sort_onesweep_sort_config_static_selectorELNS0_4arch9wavefront6targetE1EEEvSG_.has_indirect_call, 0
	.section	.AMDGPU.csdata,"",@progbits
; Kernel info:
; codeLenInByte = 0
; TotalNumSgprs: 4
; NumVgprs: 0
; ScratchSize: 0
; MemoryBound: 0
; FloatMode: 240
; IeeeMode: 1
; LDSByteSize: 0 bytes/workgroup (compile time only)
; SGPRBlocks: 0
; VGPRBlocks: 0
; NumSGPRsForWavesPerEU: 4
; NumVGPRsForWavesPerEU: 1
; Occupancy: 10
; WaveLimiterHint : 0
; COMPUTE_PGM_RSRC2:SCRATCH_EN: 0
; COMPUTE_PGM_RSRC2:USER_SGPR: 6
; COMPUTE_PGM_RSRC2:TRAP_HANDLER: 0
; COMPUTE_PGM_RSRC2:TGID_X_EN: 1
; COMPUTE_PGM_RSRC2:TGID_Y_EN: 0
; COMPUTE_PGM_RSRC2:TGID_Z_EN: 0
; COMPUTE_PGM_RSRC2:TIDIG_COMP_CNT: 0
	.section	.text._ZN7rocprim17ROCPRIM_400000_NS6detail17trampoline_kernelINS0_14default_configENS1_35radix_sort_onesweep_config_selectorIflEEZZNS1_29radix_sort_onesweep_iterationIS3_Lb0EPfS7_N6thrust23THRUST_200600_302600_NS10device_ptrIlEESB_jNS0_19identity_decomposerENS1_16block_id_wrapperIjLb1EEEEE10hipError_tT1_PNSt15iterator_traitsISG_E10value_typeET2_T3_PNSH_ISM_E10value_typeET4_T5_PSR_SS_PNS1_23onesweep_lookback_stateEbbT6_jjT7_P12ihipStream_tbENKUlT_T0_SG_SL_E_clIS7_S7_PlSB_EEDaSZ_S10_SG_SL_EUlSZ_E_NS1_11comp_targetILNS1_3genE3ELNS1_11target_archE908ELNS1_3gpuE7ELNS1_3repE0EEENS1_47radix_sort_onesweep_sort_config_static_selectorELNS0_4arch9wavefront6targetE1EEEvSG_,"axG",@progbits,_ZN7rocprim17ROCPRIM_400000_NS6detail17trampoline_kernelINS0_14default_configENS1_35radix_sort_onesweep_config_selectorIflEEZZNS1_29radix_sort_onesweep_iterationIS3_Lb0EPfS7_N6thrust23THRUST_200600_302600_NS10device_ptrIlEESB_jNS0_19identity_decomposerENS1_16block_id_wrapperIjLb1EEEEE10hipError_tT1_PNSt15iterator_traitsISG_E10value_typeET2_T3_PNSH_ISM_E10value_typeET4_T5_PSR_SS_PNS1_23onesweep_lookback_stateEbbT6_jjT7_P12ihipStream_tbENKUlT_T0_SG_SL_E_clIS7_S7_PlSB_EEDaSZ_S10_SG_SL_EUlSZ_E_NS1_11comp_targetILNS1_3genE3ELNS1_11target_archE908ELNS1_3gpuE7ELNS1_3repE0EEENS1_47radix_sort_onesweep_sort_config_static_selectorELNS0_4arch9wavefront6targetE1EEEvSG_,comdat
	.protected	_ZN7rocprim17ROCPRIM_400000_NS6detail17trampoline_kernelINS0_14default_configENS1_35radix_sort_onesweep_config_selectorIflEEZZNS1_29radix_sort_onesweep_iterationIS3_Lb0EPfS7_N6thrust23THRUST_200600_302600_NS10device_ptrIlEESB_jNS0_19identity_decomposerENS1_16block_id_wrapperIjLb1EEEEE10hipError_tT1_PNSt15iterator_traitsISG_E10value_typeET2_T3_PNSH_ISM_E10value_typeET4_T5_PSR_SS_PNS1_23onesweep_lookback_stateEbbT6_jjT7_P12ihipStream_tbENKUlT_T0_SG_SL_E_clIS7_S7_PlSB_EEDaSZ_S10_SG_SL_EUlSZ_E_NS1_11comp_targetILNS1_3genE3ELNS1_11target_archE908ELNS1_3gpuE7ELNS1_3repE0EEENS1_47radix_sort_onesweep_sort_config_static_selectorELNS0_4arch9wavefront6targetE1EEEvSG_ ; -- Begin function _ZN7rocprim17ROCPRIM_400000_NS6detail17trampoline_kernelINS0_14default_configENS1_35radix_sort_onesweep_config_selectorIflEEZZNS1_29radix_sort_onesweep_iterationIS3_Lb0EPfS7_N6thrust23THRUST_200600_302600_NS10device_ptrIlEESB_jNS0_19identity_decomposerENS1_16block_id_wrapperIjLb1EEEEE10hipError_tT1_PNSt15iterator_traitsISG_E10value_typeET2_T3_PNSH_ISM_E10value_typeET4_T5_PSR_SS_PNS1_23onesweep_lookback_stateEbbT6_jjT7_P12ihipStream_tbENKUlT_T0_SG_SL_E_clIS7_S7_PlSB_EEDaSZ_S10_SG_SL_EUlSZ_E_NS1_11comp_targetILNS1_3genE3ELNS1_11target_archE908ELNS1_3gpuE7ELNS1_3repE0EEENS1_47radix_sort_onesweep_sort_config_static_selectorELNS0_4arch9wavefront6targetE1EEEvSG_
	.globl	_ZN7rocprim17ROCPRIM_400000_NS6detail17trampoline_kernelINS0_14default_configENS1_35radix_sort_onesweep_config_selectorIflEEZZNS1_29radix_sort_onesweep_iterationIS3_Lb0EPfS7_N6thrust23THRUST_200600_302600_NS10device_ptrIlEESB_jNS0_19identity_decomposerENS1_16block_id_wrapperIjLb1EEEEE10hipError_tT1_PNSt15iterator_traitsISG_E10value_typeET2_T3_PNSH_ISM_E10value_typeET4_T5_PSR_SS_PNS1_23onesweep_lookback_stateEbbT6_jjT7_P12ihipStream_tbENKUlT_T0_SG_SL_E_clIS7_S7_PlSB_EEDaSZ_S10_SG_SL_EUlSZ_E_NS1_11comp_targetILNS1_3genE3ELNS1_11target_archE908ELNS1_3gpuE7ELNS1_3repE0EEENS1_47radix_sort_onesweep_sort_config_static_selectorELNS0_4arch9wavefront6targetE1EEEvSG_
	.p2align	8
	.type	_ZN7rocprim17ROCPRIM_400000_NS6detail17trampoline_kernelINS0_14default_configENS1_35radix_sort_onesweep_config_selectorIflEEZZNS1_29radix_sort_onesweep_iterationIS3_Lb0EPfS7_N6thrust23THRUST_200600_302600_NS10device_ptrIlEESB_jNS0_19identity_decomposerENS1_16block_id_wrapperIjLb1EEEEE10hipError_tT1_PNSt15iterator_traitsISG_E10value_typeET2_T3_PNSH_ISM_E10value_typeET4_T5_PSR_SS_PNS1_23onesweep_lookback_stateEbbT6_jjT7_P12ihipStream_tbENKUlT_T0_SG_SL_E_clIS7_S7_PlSB_EEDaSZ_S10_SG_SL_EUlSZ_E_NS1_11comp_targetILNS1_3genE3ELNS1_11target_archE908ELNS1_3gpuE7ELNS1_3repE0EEENS1_47radix_sort_onesweep_sort_config_static_selectorELNS0_4arch9wavefront6targetE1EEEvSG_,@function
_ZN7rocprim17ROCPRIM_400000_NS6detail17trampoline_kernelINS0_14default_configENS1_35radix_sort_onesweep_config_selectorIflEEZZNS1_29radix_sort_onesweep_iterationIS3_Lb0EPfS7_N6thrust23THRUST_200600_302600_NS10device_ptrIlEESB_jNS0_19identity_decomposerENS1_16block_id_wrapperIjLb1EEEEE10hipError_tT1_PNSt15iterator_traitsISG_E10value_typeET2_T3_PNSH_ISM_E10value_typeET4_T5_PSR_SS_PNS1_23onesweep_lookback_stateEbbT6_jjT7_P12ihipStream_tbENKUlT_T0_SG_SL_E_clIS7_S7_PlSB_EEDaSZ_S10_SG_SL_EUlSZ_E_NS1_11comp_targetILNS1_3genE3ELNS1_11target_archE908ELNS1_3gpuE7ELNS1_3repE0EEENS1_47radix_sort_onesweep_sort_config_static_selectorELNS0_4arch9wavefront6targetE1EEEvSG_: ; @_ZN7rocprim17ROCPRIM_400000_NS6detail17trampoline_kernelINS0_14default_configENS1_35radix_sort_onesweep_config_selectorIflEEZZNS1_29radix_sort_onesweep_iterationIS3_Lb0EPfS7_N6thrust23THRUST_200600_302600_NS10device_ptrIlEESB_jNS0_19identity_decomposerENS1_16block_id_wrapperIjLb1EEEEE10hipError_tT1_PNSt15iterator_traitsISG_E10value_typeET2_T3_PNSH_ISM_E10value_typeET4_T5_PSR_SS_PNS1_23onesweep_lookback_stateEbbT6_jjT7_P12ihipStream_tbENKUlT_T0_SG_SL_E_clIS7_S7_PlSB_EEDaSZ_S10_SG_SL_EUlSZ_E_NS1_11comp_targetILNS1_3genE3ELNS1_11target_archE908ELNS1_3gpuE7ELNS1_3repE0EEENS1_47radix_sort_onesweep_sort_config_static_selectorELNS0_4arch9wavefront6targetE1EEEvSG_
; %bb.0:
	.section	.rodata,"a",@progbits
	.p2align	6, 0x0
	.amdhsa_kernel _ZN7rocprim17ROCPRIM_400000_NS6detail17trampoline_kernelINS0_14default_configENS1_35radix_sort_onesweep_config_selectorIflEEZZNS1_29radix_sort_onesweep_iterationIS3_Lb0EPfS7_N6thrust23THRUST_200600_302600_NS10device_ptrIlEESB_jNS0_19identity_decomposerENS1_16block_id_wrapperIjLb1EEEEE10hipError_tT1_PNSt15iterator_traitsISG_E10value_typeET2_T3_PNSH_ISM_E10value_typeET4_T5_PSR_SS_PNS1_23onesweep_lookback_stateEbbT6_jjT7_P12ihipStream_tbENKUlT_T0_SG_SL_E_clIS7_S7_PlSB_EEDaSZ_S10_SG_SL_EUlSZ_E_NS1_11comp_targetILNS1_3genE3ELNS1_11target_archE908ELNS1_3gpuE7ELNS1_3repE0EEENS1_47radix_sort_onesweep_sort_config_static_selectorELNS0_4arch9wavefront6targetE1EEEvSG_
		.amdhsa_group_segment_fixed_size 0
		.amdhsa_private_segment_fixed_size 0
		.amdhsa_kernarg_size 88
		.amdhsa_user_sgpr_count 6
		.amdhsa_user_sgpr_private_segment_buffer 1
		.amdhsa_user_sgpr_dispatch_ptr 0
		.amdhsa_user_sgpr_queue_ptr 0
		.amdhsa_user_sgpr_kernarg_segment_ptr 1
		.amdhsa_user_sgpr_dispatch_id 0
		.amdhsa_user_sgpr_flat_scratch_init 0
		.amdhsa_user_sgpr_private_segment_size 0
		.amdhsa_uses_dynamic_stack 0
		.amdhsa_system_sgpr_private_segment_wavefront_offset 0
		.amdhsa_system_sgpr_workgroup_id_x 1
		.amdhsa_system_sgpr_workgroup_id_y 0
		.amdhsa_system_sgpr_workgroup_id_z 0
		.amdhsa_system_sgpr_workgroup_info 0
		.amdhsa_system_vgpr_workitem_id 0
		.amdhsa_next_free_vgpr 1
		.amdhsa_next_free_sgpr 0
		.amdhsa_reserve_vcc 0
		.amdhsa_reserve_flat_scratch 0
		.amdhsa_float_round_mode_32 0
		.amdhsa_float_round_mode_16_64 0
		.amdhsa_float_denorm_mode_32 3
		.amdhsa_float_denorm_mode_16_64 3
		.amdhsa_dx10_clamp 1
		.amdhsa_ieee_mode 1
		.amdhsa_fp16_overflow 0
		.amdhsa_exception_fp_ieee_invalid_op 0
		.amdhsa_exception_fp_denorm_src 0
		.amdhsa_exception_fp_ieee_div_zero 0
		.amdhsa_exception_fp_ieee_overflow 0
		.amdhsa_exception_fp_ieee_underflow 0
		.amdhsa_exception_fp_ieee_inexact 0
		.amdhsa_exception_int_div_zero 0
	.end_amdhsa_kernel
	.section	.text._ZN7rocprim17ROCPRIM_400000_NS6detail17trampoline_kernelINS0_14default_configENS1_35radix_sort_onesweep_config_selectorIflEEZZNS1_29radix_sort_onesweep_iterationIS3_Lb0EPfS7_N6thrust23THRUST_200600_302600_NS10device_ptrIlEESB_jNS0_19identity_decomposerENS1_16block_id_wrapperIjLb1EEEEE10hipError_tT1_PNSt15iterator_traitsISG_E10value_typeET2_T3_PNSH_ISM_E10value_typeET4_T5_PSR_SS_PNS1_23onesweep_lookback_stateEbbT6_jjT7_P12ihipStream_tbENKUlT_T0_SG_SL_E_clIS7_S7_PlSB_EEDaSZ_S10_SG_SL_EUlSZ_E_NS1_11comp_targetILNS1_3genE3ELNS1_11target_archE908ELNS1_3gpuE7ELNS1_3repE0EEENS1_47radix_sort_onesweep_sort_config_static_selectorELNS0_4arch9wavefront6targetE1EEEvSG_,"axG",@progbits,_ZN7rocprim17ROCPRIM_400000_NS6detail17trampoline_kernelINS0_14default_configENS1_35radix_sort_onesweep_config_selectorIflEEZZNS1_29radix_sort_onesweep_iterationIS3_Lb0EPfS7_N6thrust23THRUST_200600_302600_NS10device_ptrIlEESB_jNS0_19identity_decomposerENS1_16block_id_wrapperIjLb1EEEEE10hipError_tT1_PNSt15iterator_traitsISG_E10value_typeET2_T3_PNSH_ISM_E10value_typeET4_T5_PSR_SS_PNS1_23onesweep_lookback_stateEbbT6_jjT7_P12ihipStream_tbENKUlT_T0_SG_SL_E_clIS7_S7_PlSB_EEDaSZ_S10_SG_SL_EUlSZ_E_NS1_11comp_targetILNS1_3genE3ELNS1_11target_archE908ELNS1_3gpuE7ELNS1_3repE0EEENS1_47radix_sort_onesweep_sort_config_static_selectorELNS0_4arch9wavefront6targetE1EEEvSG_,comdat
.Lfunc_end1857:
	.size	_ZN7rocprim17ROCPRIM_400000_NS6detail17trampoline_kernelINS0_14default_configENS1_35radix_sort_onesweep_config_selectorIflEEZZNS1_29radix_sort_onesweep_iterationIS3_Lb0EPfS7_N6thrust23THRUST_200600_302600_NS10device_ptrIlEESB_jNS0_19identity_decomposerENS1_16block_id_wrapperIjLb1EEEEE10hipError_tT1_PNSt15iterator_traitsISG_E10value_typeET2_T3_PNSH_ISM_E10value_typeET4_T5_PSR_SS_PNS1_23onesweep_lookback_stateEbbT6_jjT7_P12ihipStream_tbENKUlT_T0_SG_SL_E_clIS7_S7_PlSB_EEDaSZ_S10_SG_SL_EUlSZ_E_NS1_11comp_targetILNS1_3genE3ELNS1_11target_archE908ELNS1_3gpuE7ELNS1_3repE0EEENS1_47radix_sort_onesweep_sort_config_static_selectorELNS0_4arch9wavefront6targetE1EEEvSG_, .Lfunc_end1857-_ZN7rocprim17ROCPRIM_400000_NS6detail17trampoline_kernelINS0_14default_configENS1_35radix_sort_onesweep_config_selectorIflEEZZNS1_29radix_sort_onesweep_iterationIS3_Lb0EPfS7_N6thrust23THRUST_200600_302600_NS10device_ptrIlEESB_jNS0_19identity_decomposerENS1_16block_id_wrapperIjLb1EEEEE10hipError_tT1_PNSt15iterator_traitsISG_E10value_typeET2_T3_PNSH_ISM_E10value_typeET4_T5_PSR_SS_PNS1_23onesweep_lookback_stateEbbT6_jjT7_P12ihipStream_tbENKUlT_T0_SG_SL_E_clIS7_S7_PlSB_EEDaSZ_S10_SG_SL_EUlSZ_E_NS1_11comp_targetILNS1_3genE3ELNS1_11target_archE908ELNS1_3gpuE7ELNS1_3repE0EEENS1_47radix_sort_onesweep_sort_config_static_selectorELNS0_4arch9wavefront6targetE1EEEvSG_
                                        ; -- End function
	.set _ZN7rocprim17ROCPRIM_400000_NS6detail17trampoline_kernelINS0_14default_configENS1_35radix_sort_onesweep_config_selectorIflEEZZNS1_29radix_sort_onesweep_iterationIS3_Lb0EPfS7_N6thrust23THRUST_200600_302600_NS10device_ptrIlEESB_jNS0_19identity_decomposerENS1_16block_id_wrapperIjLb1EEEEE10hipError_tT1_PNSt15iterator_traitsISG_E10value_typeET2_T3_PNSH_ISM_E10value_typeET4_T5_PSR_SS_PNS1_23onesweep_lookback_stateEbbT6_jjT7_P12ihipStream_tbENKUlT_T0_SG_SL_E_clIS7_S7_PlSB_EEDaSZ_S10_SG_SL_EUlSZ_E_NS1_11comp_targetILNS1_3genE3ELNS1_11target_archE908ELNS1_3gpuE7ELNS1_3repE0EEENS1_47radix_sort_onesweep_sort_config_static_selectorELNS0_4arch9wavefront6targetE1EEEvSG_.num_vgpr, 0
	.set _ZN7rocprim17ROCPRIM_400000_NS6detail17trampoline_kernelINS0_14default_configENS1_35radix_sort_onesweep_config_selectorIflEEZZNS1_29radix_sort_onesweep_iterationIS3_Lb0EPfS7_N6thrust23THRUST_200600_302600_NS10device_ptrIlEESB_jNS0_19identity_decomposerENS1_16block_id_wrapperIjLb1EEEEE10hipError_tT1_PNSt15iterator_traitsISG_E10value_typeET2_T3_PNSH_ISM_E10value_typeET4_T5_PSR_SS_PNS1_23onesweep_lookback_stateEbbT6_jjT7_P12ihipStream_tbENKUlT_T0_SG_SL_E_clIS7_S7_PlSB_EEDaSZ_S10_SG_SL_EUlSZ_E_NS1_11comp_targetILNS1_3genE3ELNS1_11target_archE908ELNS1_3gpuE7ELNS1_3repE0EEENS1_47radix_sort_onesweep_sort_config_static_selectorELNS0_4arch9wavefront6targetE1EEEvSG_.num_agpr, 0
	.set _ZN7rocprim17ROCPRIM_400000_NS6detail17trampoline_kernelINS0_14default_configENS1_35radix_sort_onesweep_config_selectorIflEEZZNS1_29radix_sort_onesweep_iterationIS3_Lb0EPfS7_N6thrust23THRUST_200600_302600_NS10device_ptrIlEESB_jNS0_19identity_decomposerENS1_16block_id_wrapperIjLb1EEEEE10hipError_tT1_PNSt15iterator_traitsISG_E10value_typeET2_T3_PNSH_ISM_E10value_typeET4_T5_PSR_SS_PNS1_23onesweep_lookback_stateEbbT6_jjT7_P12ihipStream_tbENKUlT_T0_SG_SL_E_clIS7_S7_PlSB_EEDaSZ_S10_SG_SL_EUlSZ_E_NS1_11comp_targetILNS1_3genE3ELNS1_11target_archE908ELNS1_3gpuE7ELNS1_3repE0EEENS1_47radix_sort_onesweep_sort_config_static_selectorELNS0_4arch9wavefront6targetE1EEEvSG_.numbered_sgpr, 0
	.set _ZN7rocprim17ROCPRIM_400000_NS6detail17trampoline_kernelINS0_14default_configENS1_35radix_sort_onesweep_config_selectorIflEEZZNS1_29radix_sort_onesweep_iterationIS3_Lb0EPfS7_N6thrust23THRUST_200600_302600_NS10device_ptrIlEESB_jNS0_19identity_decomposerENS1_16block_id_wrapperIjLb1EEEEE10hipError_tT1_PNSt15iterator_traitsISG_E10value_typeET2_T3_PNSH_ISM_E10value_typeET4_T5_PSR_SS_PNS1_23onesweep_lookback_stateEbbT6_jjT7_P12ihipStream_tbENKUlT_T0_SG_SL_E_clIS7_S7_PlSB_EEDaSZ_S10_SG_SL_EUlSZ_E_NS1_11comp_targetILNS1_3genE3ELNS1_11target_archE908ELNS1_3gpuE7ELNS1_3repE0EEENS1_47radix_sort_onesweep_sort_config_static_selectorELNS0_4arch9wavefront6targetE1EEEvSG_.num_named_barrier, 0
	.set _ZN7rocprim17ROCPRIM_400000_NS6detail17trampoline_kernelINS0_14default_configENS1_35radix_sort_onesweep_config_selectorIflEEZZNS1_29radix_sort_onesweep_iterationIS3_Lb0EPfS7_N6thrust23THRUST_200600_302600_NS10device_ptrIlEESB_jNS0_19identity_decomposerENS1_16block_id_wrapperIjLb1EEEEE10hipError_tT1_PNSt15iterator_traitsISG_E10value_typeET2_T3_PNSH_ISM_E10value_typeET4_T5_PSR_SS_PNS1_23onesweep_lookback_stateEbbT6_jjT7_P12ihipStream_tbENKUlT_T0_SG_SL_E_clIS7_S7_PlSB_EEDaSZ_S10_SG_SL_EUlSZ_E_NS1_11comp_targetILNS1_3genE3ELNS1_11target_archE908ELNS1_3gpuE7ELNS1_3repE0EEENS1_47radix_sort_onesweep_sort_config_static_selectorELNS0_4arch9wavefront6targetE1EEEvSG_.private_seg_size, 0
	.set _ZN7rocprim17ROCPRIM_400000_NS6detail17trampoline_kernelINS0_14default_configENS1_35radix_sort_onesweep_config_selectorIflEEZZNS1_29radix_sort_onesweep_iterationIS3_Lb0EPfS7_N6thrust23THRUST_200600_302600_NS10device_ptrIlEESB_jNS0_19identity_decomposerENS1_16block_id_wrapperIjLb1EEEEE10hipError_tT1_PNSt15iterator_traitsISG_E10value_typeET2_T3_PNSH_ISM_E10value_typeET4_T5_PSR_SS_PNS1_23onesweep_lookback_stateEbbT6_jjT7_P12ihipStream_tbENKUlT_T0_SG_SL_E_clIS7_S7_PlSB_EEDaSZ_S10_SG_SL_EUlSZ_E_NS1_11comp_targetILNS1_3genE3ELNS1_11target_archE908ELNS1_3gpuE7ELNS1_3repE0EEENS1_47radix_sort_onesweep_sort_config_static_selectorELNS0_4arch9wavefront6targetE1EEEvSG_.uses_vcc, 0
	.set _ZN7rocprim17ROCPRIM_400000_NS6detail17trampoline_kernelINS0_14default_configENS1_35radix_sort_onesweep_config_selectorIflEEZZNS1_29radix_sort_onesweep_iterationIS3_Lb0EPfS7_N6thrust23THRUST_200600_302600_NS10device_ptrIlEESB_jNS0_19identity_decomposerENS1_16block_id_wrapperIjLb1EEEEE10hipError_tT1_PNSt15iterator_traitsISG_E10value_typeET2_T3_PNSH_ISM_E10value_typeET4_T5_PSR_SS_PNS1_23onesweep_lookback_stateEbbT6_jjT7_P12ihipStream_tbENKUlT_T0_SG_SL_E_clIS7_S7_PlSB_EEDaSZ_S10_SG_SL_EUlSZ_E_NS1_11comp_targetILNS1_3genE3ELNS1_11target_archE908ELNS1_3gpuE7ELNS1_3repE0EEENS1_47radix_sort_onesweep_sort_config_static_selectorELNS0_4arch9wavefront6targetE1EEEvSG_.uses_flat_scratch, 0
	.set _ZN7rocprim17ROCPRIM_400000_NS6detail17trampoline_kernelINS0_14default_configENS1_35radix_sort_onesweep_config_selectorIflEEZZNS1_29radix_sort_onesweep_iterationIS3_Lb0EPfS7_N6thrust23THRUST_200600_302600_NS10device_ptrIlEESB_jNS0_19identity_decomposerENS1_16block_id_wrapperIjLb1EEEEE10hipError_tT1_PNSt15iterator_traitsISG_E10value_typeET2_T3_PNSH_ISM_E10value_typeET4_T5_PSR_SS_PNS1_23onesweep_lookback_stateEbbT6_jjT7_P12ihipStream_tbENKUlT_T0_SG_SL_E_clIS7_S7_PlSB_EEDaSZ_S10_SG_SL_EUlSZ_E_NS1_11comp_targetILNS1_3genE3ELNS1_11target_archE908ELNS1_3gpuE7ELNS1_3repE0EEENS1_47radix_sort_onesweep_sort_config_static_selectorELNS0_4arch9wavefront6targetE1EEEvSG_.has_dyn_sized_stack, 0
	.set _ZN7rocprim17ROCPRIM_400000_NS6detail17trampoline_kernelINS0_14default_configENS1_35radix_sort_onesweep_config_selectorIflEEZZNS1_29radix_sort_onesweep_iterationIS3_Lb0EPfS7_N6thrust23THRUST_200600_302600_NS10device_ptrIlEESB_jNS0_19identity_decomposerENS1_16block_id_wrapperIjLb1EEEEE10hipError_tT1_PNSt15iterator_traitsISG_E10value_typeET2_T3_PNSH_ISM_E10value_typeET4_T5_PSR_SS_PNS1_23onesweep_lookback_stateEbbT6_jjT7_P12ihipStream_tbENKUlT_T0_SG_SL_E_clIS7_S7_PlSB_EEDaSZ_S10_SG_SL_EUlSZ_E_NS1_11comp_targetILNS1_3genE3ELNS1_11target_archE908ELNS1_3gpuE7ELNS1_3repE0EEENS1_47radix_sort_onesweep_sort_config_static_selectorELNS0_4arch9wavefront6targetE1EEEvSG_.has_recursion, 0
	.set _ZN7rocprim17ROCPRIM_400000_NS6detail17trampoline_kernelINS0_14default_configENS1_35radix_sort_onesweep_config_selectorIflEEZZNS1_29radix_sort_onesweep_iterationIS3_Lb0EPfS7_N6thrust23THRUST_200600_302600_NS10device_ptrIlEESB_jNS0_19identity_decomposerENS1_16block_id_wrapperIjLb1EEEEE10hipError_tT1_PNSt15iterator_traitsISG_E10value_typeET2_T3_PNSH_ISM_E10value_typeET4_T5_PSR_SS_PNS1_23onesweep_lookback_stateEbbT6_jjT7_P12ihipStream_tbENKUlT_T0_SG_SL_E_clIS7_S7_PlSB_EEDaSZ_S10_SG_SL_EUlSZ_E_NS1_11comp_targetILNS1_3genE3ELNS1_11target_archE908ELNS1_3gpuE7ELNS1_3repE0EEENS1_47radix_sort_onesweep_sort_config_static_selectorELNS0_4arch9wavefront6targetE1EEEvSG_.has_indirect_call, 0
	.section	.AMDGPU.csdata,"",@progbits
; Kernel info:
; codeLenInByte = 0
; TotalNumSgprs: 4
; NumVgprs: 0
; ScratchSize: 0
; MemoryBound: 0
; FloatMode: 240
; IeeeMode: 1
; LDSByteSize: 0 bytes/workgroup (compile time only)
; SGPRBlocks: 0
; VGPRBlocks: 0
; NumSGPRsForWavesPerEU: 4
; NumVGPRsForWavesPerEU: 1
; Occupancy: 10
; WaveLimiterHint : 0
; COMPUTE_PGM_RSRC2:SCRATCH_EN: 0
; COMPUTE_PGM_RSRC2:USER_SGPR: 6
; COMPUTE_PGM_RSRC2:TRAP_HANDLER: 0
; COMPUTE_PGM_RSRC2:TGID_X_EN: 1
; COMPUTE_PGM_RSRC2:TGID_Y_EN: 0
; COMPUTE_PGM_RSRC2:TGID_Z_EN: 0
; COMPUTE_PGM_RSRC2:TIDIG_COMP_CNT: 0
	.section	.text._ZN7rocprim17ROCPRIM_400000_NS6detail17trampoline_kernelINS0_14default_configENS1_35radix_sort_onesweep_config_selectorIflEEZZNS1_29radix_sort_onesweep_iterationIS3_Lb0EPfS7_N6thrust23THRUST_200600_302600_NS10device_ptrIlEESB_jNS0_19identity_decomposerENS1_16block_id_wrapperIjLb1EEEEE10hipError_tT1_PNSt15iterator_traitsISG_E10value_typeET2_T3_PNSH_ISM_E10value_typeET4_T5_PSR_SS_PNS1_23onesweep_lookback_stateEbbT6_jjT7_P12ihipStream_tbENKUlT_T0_SG_SL_E_clIS7_S7_PlSB_EEDaSZ_S10_SG_SL_EUlSZ_E_NS1_11comp_targetILNS1_3genE10ELNS1_11target_archE1201ELNS1_3gpuE5ELNS1_3repE0EEENS1_47radix_sort_onesweep_sort_config_static_selectorELNS0_4arch9wavefront6targetE1EEEvSG_,"axG",@progbits,_ZN7rocprim17ROCPRIM_400000_NS6detail17trampoline_kernelINS0_14default_configENS1_35radix_sort_onesweep_config_selectorIflEEZZNS1_29radix_sort_onesweep_iterationIS3_Lb0EPfS7_N6thrust23THRUST_200600_302600_NS10device_ptrIlEESB_jNS0_19identity_decomposerENS1_16block_id_wrapperIjLb1EEEEE10hipError_tT1_PNSt15iterator_traitsISG_E10value_typeET2_T3_PNSH_ISM_E10value_typeET4_T5_PSR_SS_PNS1_23onesweep_lookback_stateEbbT6_jjT7_P12ihipStream_tbENKUlT_T0_SG_SL_E_clIS7_S7_PlSB_EEDaSZ_S10_SG_SL_EUlSZ_E_NS1_11comp_targetILNS1_3genE10ELNS1_11target_archE1201ELNS1_3gpuE5ELNS1_3repE0EEENS1_47radix_sort_onesweep_sort_config_static_selectorELNS0_4arch9wavefront6targetE1EEEvSG_,comdat
	.protected	_ZN7rocprim17ROCPRIM_400000_NS6detail17trampoline_kernelINS0_14default_configENS1_35radix_sort_onesweep_config_selectorIflEEZZNS1_29radix_sort_onesweep_iterationIS3_Lb0EPfS7_N6thrust23THRUST_200600_302600_NS10device_ptrIlEESB_jNS0_19identity_decomposerENS1_16block_id_wrapperIjLb1EEEEE10hipError_tT1_PNSt15iterator_traitsISG_E10value_typeET2_T3_PNSH_ISM_E10value_typeET4_T5_PSR_SS_PNS1_23onesweep_lookback_stateEbbT6_jjT7_P12ihipStream_tbENKUlT_T0_SG_SL_E_clIS7_S7_PlSB_EEDaSZ_S10_SG_SL_EUlSZ_E_NS1_11comp_targetILNS1_3genE10ELNS1_11target_archE1201ELNS1_3gpuE5ELNS1_3repE0EEENS1_47radix_sort_onesweep_sort_config_static_selectorELNS0_4arch9wavefront6targetE1EEEvSG_ ; -- Begin function _ZN7rocprim17ROCPRIM_400000_NS6detail17trampoline_kernelINS0_14default_configENS1_35radix_sort_onesweep_config_selectorIflEEZZNS1_29radix_sort_onesweep_iterationIS3_Lb0EPfS7_N6thrust23THRUST_200600_302600_NS10device_ptrIlEESB_jNS0_19identity_decomposerENS1_16block_id_wrapperIjLb1EEEEE10hipError_tT1_PNSt15iterator_traitsISG_E10value_typeET2_T3_PNSH_ISM_E10value_typeET4_T5_PSR_SS_PNS1_23onesweep_lookback_stateEbbT6_jjT7_P12ihipStream_tbENKUlT_T0_SG_SL_E_clIS7_S7_PlSB_EEDaSZ_S10_SG_SL_EUlSZ_E_NS1_11comp_targetILNS1_3genE10ELNS1_11target_archE1201ELNS1_3gpuE5ELNS1_3repE0EEENS1_47radix_sort_onesweep_sort_config_static_selectorELNS0_4arch9wavefront6targetE1EEEvSG_
	.globl	_ZN7rocprim17ROCPRIM_400000_NS6detail17trampoline_kernelINS0_14default_configENS1_35radix_sort_onesweep_config_selectorIflEEZZNS1_29radix_sort_onesweep_iterationIS3_Lb0EPfS7_N6thrust23THRUST_200600_302600_NS10device_ptrIlEESB_jNS0_19identity_decomposerENS1_16block_id_wrapperIjLb1EEEEE10hipError_tT1_PNSt15iterator_traitsISG_E10value_typeET2_T3_PNSH_ISM_E10value_typeET4_T5_PSR_SS_PNS1_23onesweep_lookback_stateEbbT6_jjT7_P12ihipStream_tbENKUlT_T0_SG_SL_E_clIS7_S7_PlSB_EEDaSZ_S10_SG_SL_EUlSZ_E_NS1_11comp_targetILNS1_3genE10ELNS1_11target_archE1201ELNS1_3gpuE5ELNS1_3repE0EEENS1_47radix_sort_onesweep_sort_config_static_selectorELNS0_4arch9wavefront6targetE1EEEvSG_
	.p2align	8
	.type	_ZN7rocprim17ROCPRIM_400000_NS6detail17trampoline_kernelINS0_14default_configENS1_35radix_sort_onesweep_config_selectorIflEEZZNS1_29radix_sort_onesweep_iterationIS3_Lb0EPfS7_N6thrust23THRUST_200600_302600_NS10device_ptrIlEESB_jNS0_19identity_decomposerENS1_16block_id_wrapperIjLb1EEEEE10hipError_tT1_PNSt15iterator_traitsISG_E10value_typeET2_T3_PNSH_ISM_E10value_typeET4_T5_PSR_SS_PNS1_23onesweep_lookback_stateEbbT6_jjT7_P12ihipStream_tbENKUlT_T0_SG_SL_E_clIS7_S7_PlSB_EEDaSZ_S10_SG_SL_EUlSZ_E_NS1_11comp_targetILNS1_3genE10ELNS1_11target_archE1201ELNS1_3gpuE5ELNS1_3repE0EEENS1_47radix_sort_onesweep_sort_config_static_selectorELNS0_4arch9wavefront6targetE1EEEvSG_,@function
_ZN7rocprim17ROCPRIM_400000_NS6detail17trampoline_kernelINS0_14default_configENS1_35radix_sort_onesweep_config_selectorIflEEZZNS1_29radix_sort_onesweep_iterationIS3_Lb0EPfS7_N6thrust23THRUST_200600_302600_NS10device_ptrIlEESB_jNS0_19identity_decomposerENS1_16block_id_wrapperIjLb1EEEEE10hipError_tT1_PNSt15iterator_traitsISG_E10value_typeET2_T3_PNSH_ISM_E10value_typeET4_T5_PSR_SS_PNS1_23onesweep_lookback_stateEbbT6_jjT7_P12ihipStream_tbENKUlT_T0_SG_SL_E_clIS7_S7_PlSB_EEDaSZ_S10_SG_SL_EUlSZ_E_NS1_11comp_targetILNS1_3genE10ELNS1_11target_archE1201ELNS1_3gpuE5ELNS1_3repE0EEENS1_47radix_sort_onesweep_sort_config_static_selectorELNS0_4arch9wavefront6targetE1EEEvSG_: ; @_ZN7rocprim17ROCPRIM_400000_NS6detail17trampoline_kernelINS0_14default_configENS1_35radix_sort_onesweep_config_selectorIflEEZZNS1_29radix_sort_onesweep_iterationIS3_Lb0EPfS7_N6thrust23THRUST_200600_302600_NS10device_ptrIlEESB_jNS0_19identity_decomposerENS1_16block_id_wrapperIjLb1EEEEE10hipError_tT1_PNSt15iterator_traitsISG_E10value_typeET2_T3_PNSH_ISM_E10value_typeET4_T5_PSR_SS_PNS1_23onesweep_lookback_stateEbbT6_jjT7_P12ihipStream_tbENKUlT_T0_SG_SL_E_clIS7_S7_PlSB_EEDaSZ_S10_SG_SL_EUlSZ_E_NS1_11comp_targetILNS1_3genE10ELNS1_11target_archE1201ELNS1_3gpuE5ELNS1_3repE0EEENS1_47radix_sort_onesweep_sort_config_static_selectorELNS0_4arch9wavefront6targetE1EEEvSG_
; %bb.0:
	.section	.rodata,"a",@progbits
	.p2align	6, 0x0
	.amdhsa_kernel _ZN7rocprim17ROCPRIM_400000_NS6detail17trampoline_kernelINS0_14default_configENS1_35radix_sort_onesweep_config_selectorIflEEZZNS1_29radix_sort_onesweep_iterationIS3_Lb0EPfS7_N6thrust23THRUST_200600_302600_NS10device_ptrIlEESB_jNS0_19identity_decomposerENS1_16block_id_wrapperIjLb1EEEEE10hipError_tT1_PNSt15iterator_traitsISG_E10value_typeET2_T3_PNSH_ISM_E10value_typeET4_T5_PSR_SS_PNS1_23onesweep_lookback_stateEbbT6_jjT7_P12ihipStream_tbENKUlT_T0_SG_SL_E_clIS7_S7_PlSB_EEDaSZ_S10_SG_SL_EUlSZ_E_NS1_11comp_targetILNS1_3genE10ELNS1_11target_archE1201ELNS1_3gpuE5ELNS1_3repE0EEENS1_47radix_sort_onesweep_sort_config_static_selectorELNS0_4arch9wavefront6targetE1EEEvSG_
		.amdhsa_group_segment_fixed_size 0
		.amdhsa_private_segment_fixed_size 0
		.amdhsa_kernarg_size 88
		.amdhsa_user_sgpr_count 6
		.amdhsa_user_sgpr_private_segment_buffer 1
		.amdhsa_user_sgpr_dispatch_ptr 0
		.amdhsa_user_sgpr_queue_ptr 0
		.amdhsa_user_sgpr_kernarg_segment_ptr 1
		.amdhsa_user_sgpr_dispatch_id 0
		.amdhsa_user_sgpr_flat_scratch_init 0
		.amdhsa_user_sgpr_private_segment_size 0
		.amdhsa_uses_dynamic_stack 0
		.amdhsa_system_sgpr_private_segment_wavefront_offset 0
		.amdhsa_system_sgpr_workgroup_id_x 1
		.amdhsa_system_sgpr_workgroup_id_y 0
		.amdhsa_system_sgpr_workgroup_id_z 0
		.amdhsa_system_sgpr_workgroup_info 0
		.amdhsa_system_vgpr_workitem_id 0
		.amdhsa_next_free_vgpr 1
		.amdhsa_next_free_sgpr 0
		.amdhsa_reserve_vcc 0
		.amdhsa_reserve_flat_scratch 0
		.amdhsa_float_round_mode_32 0
		.amdhsa_float_round_mode_16_64 0
		.amdhsa_float_denorm_mode_32 3
		.amdhsa_float_denorm_mode_16_64 3
		.amdhsa_dx10_clamp 1
		.amdhsa_ieee_mode 1
		.amdhsa_fp16_overflow 0
		.amdhsa_exception_fp_ieee_invalid_op 0
		.amdhsa_exception_fp_denorm_src 0
		.amdhsa_exception_fp_ieee_div_zero 0
		.amdhsa_exception_fp_ieee_overflow 0
		.amdhsa_exception_fp_ieee_underflow 0
		.amdhsa_exception_fp_ieee_inexact 0
		.amdhsa_exception_int_div_zero 0
	.end_amdhsa_kernel
	.section	.text._ZN7rocprim17ROCPRIM_400000_NS6detail17trampoline_kernelINS0_14default_configENS1_35radix_sort_onesweep_config_selectorIflEEZZNS1_29radix_sort_onesweep_iterationIS3_Lb0EPfS7_N6thrust23THRUST_200600_302600_NS10device_ptrIlEESB_jNS0_19identity_decomposerENS1_16block_id_wrapperIjLb1EEEEE10hipError_tT1_PNSt15iterator_traitsISG_E10value_typeET2_T3_PNSH_ISM_E10value_typeET4_T5_PSR_SS_PNS1_23onesweep_lookback_stateEbbT6_jjT7_P12ihipStream_tbENKUlT_T0_SG_SL_E_clIS7_S7_PlSB_EEDaSZ_S10_SG_SL_EUlSZ_E_NS1_11comp_targetILNS1_3genE10ELNS1_11target_archE1201ELNS1_3gpuE5ELNS1_3repE0EEENS1_47radix_sort_onesweep_sort_config_static_selectorELNS0_4arch9wavefront6targetE1EEEvSG_,"axG",@progbits,_ZN7rocprim17ROCPRIM_400000_NS6detail17trampoline_kernelINS0_14default_configENS1_35radix_sort_onesweep_config_selectorIflEEZZNS1_29radix_sort_onesweep_iterationIS3_Lb0EPfS7_N6thrust23THRUST_200600_302600_NS10device_ptrIlEESB_jNS0_19identity_decomposerENS1_16block_id_wrapperIjLb1EEEEE10hipError_tT1_PNSt15iterator_traitsISG_E10value_typeET2_T3_PNSH_ISM_E10value_typeET4_T5_PSR_SS_PNS1_23onesweep_lookback_stateEbbT6_jjT7_P12ihipStream_tbENKUlT_T0_SG_SL_E_clIS7_S7_PlSB_EEDaSZ_S10_SG_SL_EUlSZ_E_NS1_11comp_targetILNS1_3genE10ELNS1_11target_archE1201ELNS1_3gpuE5ELNS1_3repE0EEENS1_47radix_sort_onesweep_sort_config_static_selectorELNS0_4arch9wavefront6targetE1EEEvSG_,comdat
.Lfunc_end1858:
	.size	_ZN7rocprim17ROCPRIM_400000_NS6detail17trampoline_kernelINS0_14default_configENS1_35radix_sort_onesweep_config_selectorIflEEZZNS1_29radix_sort_onesweep_iterationIS3_Lb0EPfS7_N6thrust23THRUST_200600_302600_NS10device_ptrIlEESB_jNS0_19identity_decomposerENS1_16block_id_wrapperIjLb1EEEEE10hipError_tT1_PNSt15iterator_traitsISG_E10value_typeET2_T3_PNSH_ISM_E10value_typeET4_T5_PSR_SS_PNS1_23onesweep_lookback_stateEbbT6_jjT7_P12ihipStream_tbENKUlT_T0_SG_SL_E_clIS7_S7_PlSB_EEDaSZ_S10_SG_SL_EUlSZ_E_NS1_11comp_targetILNS1_3genE10ELNS1_11target_archE1201ELNS1_3gpuE5ELNS1_3repE0EEENS1_47radix_sort_onesweep_sort_config_static_selectorELNS0_4arch9wavefront6targetE1EEEvSG_, .Lfunc_end1858-_ZN7rocprim17ROCPRIM_400000_NS6detail17trampoline_kernelINS0_14default_configENS1_35radix_sort_onesweep_config_selectorIflEEZZNS1_29radix_sort_onesweep_iterationIS3_Lb0EPfS7_N6thrust23THRUST_200600_302600_NS10device_ptrIlEESB_jNS0_19identity_decomposerENS1_16block_id_wrapperIjLb1EEEEE10hipError_tT1_PNSt15iterator_traitsISG_E10value_typeET2_T3_PNSH_ISM_E10value_typeET4_T5_PSR_SS_PNS1_23onesweep_lookback_stateEbbT6_jjT7_P12ihipStream_tbENKUlT_T0_SG_SL_E_clIS7_S7_PlSB_EEDaSZ_S10_SG_SL_EUlSZ_E_NS1_11comp_targetILNS1_3genE10ELNS1_11target_archE1201ELNS1_3gpuE5ELNS1_3repE0EEENS1_47radix_sort_onesweep_sort_config_static_selectorELNS0_4arch9wavefront6targetE1EEEvSG_
                                        ; -- End function
	.set _ZN7rocprim17ROCPRIM_400000_NS6detail17trampoline_kernelINS0_14default_configENS1_35radix_sort_onesweep_config_selectorIflEEZZNS1_29radix_sort_onesweep_iterationIS3_Lb0EPfS7_N6thrust23THRUST_200600_302600_NS10device_ptrIlEESB_jNS0_19identity_decomposerENS1_16block_id_wrapperIjLb1EEEEE10hipError_tT1_PNSt15iterator_traitsISG_E10value_typeET2_T3_PNSH_ISM_E10value_typeET4_T5_PSR_SS_PNS1_23onesweep_lookback_stateEbbT6_jjT7_P12ihipStream_tbENKUlT_T0_SG_SL_E_clIS7_S7_PlSB_EEDaSZ_S10_SG_SL_EUlSZ_E_NS1_11comp_targetILNS1_3genE10ELNS1_11target_archE1201ELNS1_3gpuE5ELNS1_3repE0EEENS1_47radix_sort_onesweep_sort_config_static_selectorELNS0_4arch9wavefront6targetE1EEEvSG_.num_vgpr, 0
	.set _ZN7rocprim17ROCPRIM_400000_NS6detail17trampoline_kernelINS0_14default_configENS1_35radix_sort_onesweep_config_selectorIflEEZZNS1_29radix_sort_onesweep_iterationIS3_Lb0EPfS7_N6thrust23THRUST_200600_302600_NS10device_ptrIlEESB_jNS0_19identity_decomposerENS1_16block_id_wrapperIjLb1EEEEE10hipError_tT1_PNSt15iterator_traitsISG_E10value_typeET2_T3_PNSH_ISM_E10value_typeET4_T5_PSR_SS_PNS1_23onesweep_lookback_stateEbbT6_jjT7_P12ihipStream_tbENKUlT_T0_SG_SL_E_clIS7_S7_PlSB_EEDaSZ_S10_SG_SL_EUlSZ_E_NS1_11comp_targetILNS1_3genE10ELNS1_11target_archE1201ELNS1_3gpuE5ELNS1_3repE0EEENS1_47radix_sort_onesweep_sort_config_static_selectorELNS0_4arch9wavefront6targetE1EEEvSG_.num_agpr, 0
	.set _ZN7rocprim17ROCPRIM_400000_NS6detail17trampoline_kernelINS0_14default_configENS1_35radix_sort_onesweep_config_selectorIflEEZZNS1_29radix_sort_onesweep_iterationIS3_Lb0EPfS7_N6thrust23THRUST_200600_302600_NS10device_ptrIlEESB_jNS0_19identity_decomposerENS1_16block_id_wrapperIjLb1EEEEE10hipError_tT1_PNSt15iterator_traitsISG_E10value_typeET2_T3_PNSH_ISM_E10value_typeET4_T5_PSR_SS_PNS1_23onesweep_lookback_stateEbbT6_jjT7_P12ihipStream_tbENKUlT_T0_SG_SL_E_clIS7_S7_PlSB_EEDaSZ_S10_SG_SL_EUlSZ_E_NS1_11comp_targetILNS1_3genE10ELNS1_11target_archE1201ELNS1_3gpuE5ELNS1_3repE0EEENS1_47radix_sort_onesweep_sort_config_static_selectorELNS0_4arch9wavefront6targetE1EEEvSG_.numbered_sgpr, 0
	.set _ZN7rocprim17ROCPRIM_400000_NS6detail17trampoline_kernelINS0_14default_configENS1_35radix_sort_onesweep_config_selectorIflEEZZNS1_29radix_sort_onesweep_iterationIS3_Lb0EPfS7_N6thrust23THRUST_200600_302600_NS10device_ptrIlEESB_jNS0_19identity_decomposerENS1_16block_id_wrapperIjLb1EEEEE10hipError_tT1_PNSt15iterator_traitsISG_E10value_typeET2_T3_PNSH_ISM_E10value_typeET4_T5_PSR_SS_PNS1_23onesweep_lookback_stateEbbT6_jjT7_P12ihipStream_tbENKUlT_T0_SG_SL_E_clIS7_S7_PlSB_EEDaSZ_S10_SG_SL_EUlSZ_E_NS1_11comp_targetILNS1_3genE10ELNS1_11target_archE1201ELNS1_3gpuE5ELNS1_3repE0EEENS1_47radix_sort_onesweep_sort_config_static_selectorELNS0_4arch9wavefront6targetE1EEEvSG_.num_named_barrier, 0
	.set _ZN7rocprim17ROCPRIM_400000_NS6detail17trampoline_kernelINS0_14default_configENS1_35radix_sort_onesweep_config_selectorIflEEZZNS1_29radix_sort_onesweep_iterationIS3_Lb0EPfS7_N6thrust23THRUST_200600_302600_NS10device_ptrIlEESB_jNS0_19identity_decomposerENS1_16block_id_wrapperIjLb1EEEEE10hipError_tT1_PNSt15iterator_traitsISG_E10value_typeET2_T3_PNSH_ISM_E10value_typeET4_T5_PSR_SS_PNS1_23onesweep_lookback_stateEbbT6_jjT7_P12ihipStream_tbENKUlT_T0_SG_SL_E_clIS7_S7_PlSB_EEDaSZ_S10_SG_SL_EUlSZ_E_NS1_11comp_targetILNS1_3genE10ELNS1_11target_archE1201ELNS1_3gpuE5ELNS1_3repE0EEENS1_47radix_sort_onesweep_sort_config_static_selectorELNS0_4arch9wavefront6targetE1EEEvSG_.private_seg_size, 0
	.set _ZN7rocprim17ROCPRIM_400000_NS6detail17trampoline_kernelINS0_14default_configENS1_35radix_sort_onesweep_config_selectorIflEEZZNS1_29radix_sort_onesweep_iterationIS3_Lb0EPfS7_N6thrust23THRUST_200600_302600_NS10device_ptrIlEESB_jNS0_19identity_decomposerENS1_16block_id_wrapperIjLb1EEEEE10hipError_tT1_PNSt15iterator_traitsISG_E10value_typeET2_T3_PNSH_ISM_E10value_typeET4_T5_PSR_SS_PNS1_23onesweep_lookback_stateEbbT6_jjT7_P12ihipStream_tbENKUlT_T0_SG_SL_E_clIS7_S7_PlSB_EEDaSZ_S10_SG_SL_EUlSZ_E_NS1_11comp_targetILNS1_3genE10ELNS1_11target_archE1201ELNS1_3gpuE5ELNS1_3repE0EEENS1_47radix_sort_onesweep_sort_config_static_selectorELNS0_4arch9wavefront6targetE1EEEvSG_.uses_vcc, 0
	.set _ZN7rocprim17ROCPRIM_400000_NS6detail17trampoline_kernelINS0_14default_configENS1_35radix_sort_onesweep_config_selectorIflEEZZNS1_29radix_sort_onesweep_iterationIS3_Lb0EPfS7_N6thrust23THRUST_200600_302600_NS10device_ptrIlEESB_jNS0_19identity_decomposerENS1_16block_id_wrapperIjLb1EEEEE10hipError_tT1_PNSt15iterator_traitsISG_E10value_typeET2_T3_PNSH_ISM_E10value_typeET4_T5_PSR_SS_PNS1_23onesweep_lookback_stateEbbT6_jjT7_P12ihipStream_tbENKUlT_T0_SG_SL_E_clIS7_S7_PlSB_EEDaSZ_S10_SG_SL_EUlSZ_E_NS1_11comp_targetILNS1_3genE10ELNS1_11target_archE1201ELNS1_3gpuE5ELNS1_3repE0EEENS1_47radix_sort_onesweep_sort_config_static_selectorELNS0_4arch9wavefront6targetE1EEEvSG_.uses_flat_scratch, 0
	.set _ZN7rocprim17ROCPRIM_400000_NS6detail17trampoline_kernelINS0_14default_configENS1_35radix_sort_onesweep_config_selectorIflEEZZNS1_29radix_sort_onesweep_iterationIS3_Lb0EPfS7_N6thrust23THRUST_200600_302600_NS10device_ptrIlEESB_jNS0_19identity_decomposerENS1_16block_id_wrapperIjLb1EEEEE10hipError_tT1_PNSt15iterator_traitsISG_E10value_typeET2_T3_PNSH_ISM_E10value_typeET4_T5_PSR_SS_PNS1_23onesweep_lookback_stateEbbT6_jjT7_P12ihipStream_tbENKUlT_T0_SG_SL_E_clIS7_S7_PlSB_EEDaSZ_S10_SG_SL_EUlSZ_E_NS1_11comp_targetILNS1_3genE10ELNS1_11target_archE1201ELNS1_3gpuE5ELNS1_3repE0EEENS1_47radix_sort_onesweep_sort_config_static_selectorELNS0_4arch9wavefront6targetE1EEEvSG_.has_dyn_sized_stack, 0
	.set _ZN7rocprim17ROCPRIM_400000_NS6detail17trampoline_kernelINS0_14default_configENS1_35radix_sort_onesweep_config_selectorIflEEZZNS1_29radix_sort_onesweep_iterationIS3_Lb0EPfS7_N6thrust23THRUST_200600_302600_NS10device_ptrIlEESB_jNS0_19identity_decomposerENS1_16block_id_wrapperIjLb1EEEEE10hipError_tT1_PNSt15iterator_traitsISG_E10value_typeET2_T3_PNSH_ISM_E10value_typeET4_T5_PSR_SS_PNS1_23onesweep_lookback_stateEbbT6_jjT7_P12ihipStream_tbENKUlT_T0_SG_SL_E_clIS7_S7_PlSB_EEDaSZ_S10_SG_SL_EUlSZ_E_NS1_11comp_targetILNS1_3genE10ELNS1_11target_archE1201ELNS1_3gpuE5ELNS1_3repE0EEENS1_47radix_sort_onesweep_sort_config_static_selectorELNS0_4arch9wavefront6targetE1EEEvSG_.has_recursion, 0
	.set _ZN7rocprim17ROCPRIM_400000_NS6detail17trampoline_kernelINS0_14default_configENS1_35radix_sort_onesweep_config_selectorIflEEZZNS1_29radix_sort_onesweep_iterationIS3_Lb0EPfS7_N6thrust23THRUST_200600_302600_NS10device_ptrIlEESB_jNS0_19identity_decomposerENS1_16block_id_wrapperIjLb1EEEEE10hipError_tT1_PNSt15iterator_traitsISG_E10value_typeET2_T3_PNSH_ISM_E10value_typeET4_T5_PSR_SS_PNS1_23onesweep_lookback_stateEbbT6_jjT7_P12ihipStream_tbENKUlT_T0_SG_SL_E_clIS7_S7_PlSB_EEDaSZ_S10_SG_SL_EUlSZ_E_NS1_11comp_targetILNS1_3genE10ELNS1_11target_archE1201ELNS1_3gpuE5ELNS1_3repE0EEENS1_47radix_sort_onesweep_sort_config_static_selectorELNS0_4arch9wavefront6targetE1EEEvSG_.has_indirect_call, 0
	.section	.AMDGPU.csdata,"",@progbits
; Kernel info:
; codeLenInByte = 0
; TotalNumSgprs: 4
; NumVgprs: 0
; ScratchSize: 0
; MemoryBound: 0
; FloatMode: 240
; IeeeMode: 1
; LDSByteSize: 0 bytes/workgroup (compile time only)
; SGPRBlocks: 0
; VGPRBlocks: 0
; NumSGPRsForWavesPerEU: 4
; NumVGPRsForWavesPerEU: 1
; Occupancy: 10
; WaveLimiterHint : 0
; COMPUTE_PGM_RSRC2:SCRATCH_EN: 0
; COMPUTE_PGM_RSRC2:USER_SGPR: 6
; COMPUTE_PGM_RSRC2:TRAP_HANDLER: 0
; COMPUTE_PGM_RSRC2:TGID_X_EN: 1
; COMPUTE_PGM_RSRC2:TGID_Y_EN: 0
; COMPUTE_PGM_RSRC2:TGID_Z_EN: 0
; COMPUTE_PGM_RSRC2:TIDIG_COMP_CNT: 0
	.section	.text._ZN7rocprim17ROCPRIM_400000_NS6detail17trampoline_kernelINS0_14default_configENS1_35radix_sort_onesweep_config_selectorIflEEZZNS1_29radix_sort_onesweep_iterationIS3_Lb0EPfS7_N6thrust23THRUST_200600_302600_NS10device_ptrIlEESB_jNS0_19identity_decomposerENS1_16block_id_wrapperIjLb1EEEEE10hipError_tT1_PNSt15iterator_traitsISG_E10value_typeET2_T3_PNSH_ISM_E10value_typeET4_T5_PSR_SS_PNS1_23onesweep_lookback_stateEbbT6_jjT7_P12ihipStream_tbENKUlT_T0_SG_SL_E_clIS7_S7_PlSB_EEDaSZ_S10_SG_SL_EUlSZ_E_NS1_11comp_targetILNS1_3genE9ELNS1_11target_archE1100ELNS1_3gpuE3ELNS1_3repE0EEENS1_47radix_sort_onesweep_sort_config_static_selectorELNS0_4arch9wavefront6targetE1EEEvSG_,"axG",@progbits,_ZN7rocprim17ROCPRIM_400000_NS6detail17trampoline_kernelINS0_14default_configENS1_35radix_sort_onesweep_config_selectorIflEEZZNS1_29radix_sort_onesweep_iterationIS3_Lb0EPfS7_N6thrust23THRUST_200600_302600_NS10device_ptrIlEESB_jNS0_19identity_decomposerENS1_16block_id_wrapperIjLb1EEEEE10hipError_tT1_PNSt15iterator_traitsISG_E10value_typeET2_T3_PNSH_ISM_E10value_typeET4_T5_PSR_SS_PNS1_23onesweep_lookback_stateEbbT6_jjT7_P12ihipStream_tbENKUlT_T0_SG_SL_E_clIS7_S7_PlSB_EEDaSZ_S10_SG_SL_EUlSZ_E_NS1_11comp_targetILNS1_3genE9ELNS1_11target_archE1100ELNS1_3gpuE3ELNS1_3repE0EEENS1_47radix_sort_onesweep_sort_config_static_selectorELNS0_4arch9wavefront6targetE1EEEvSG_,comdat
	.protected	_ZN7rocprim17ROCPRIM_400000_NS6detail17trampoline_kernelINS0_14default_configENS1_35radix_sort_onesweep_config_selectorIflEEZZNS1_29radix_sort_onesweep_iterationIS3_Lb0EPfS7_N6thrust23THRUST_200600_302600_NS10device_ptrIlEESB_jNS0_19identity_decomposerENS1_16block_id_wrapperIjLb1EEEEE10hipError_tT1_PNSt15iterator_traitsISG_E10value_typeET2_T3_PNSH_ISM_E10value_typeET4_T5_PSR_SS_PNS1_23onesweep_lookback_stateEbbT6_jjT7_P12ihipStream_tbENKUlT_T0_SG_SL_E_clIS7_S7_PlSB_EEDaSZ_S10_SG_SL_EUlSZ_E_NS1_11comp_targetILNS1_3genE9ELNS1_11target_archE1100ELNS1_3gpuE3ELNS1_3repE0EEENS1_47radix_sort_onesweep_sort_config_static_selectorELNS0_4arch9wavefront6targetE1EEEvSG_ ; -- Begin function _ZN7rocprim17ROCPRIM_400000_NS6detail17trampoline_kernelINS0_14default_configENS1_35radix_sort_onesweep_config_selectorIflEEZZNS1_29radix_sort_onesweep_iterationIS3_Lb0EPfS7_N6thrust23THRUST_200600_302600_NS10device_ptrIlEESB_jNS0_19identity_decomposerENS1_16block_id_wrapperIjLb1EEEEE10hipError_tT1_PNSt15iterator_traitsISG_E10value_typeET2_T3_PNSH_ISM_E10value_typeET4_T5_PSR_SS_PNS1_23onesweep_lookback_stateEbbT6_jjT7_P12ihipStream_tbENKUlT_T0_SG_SL_E_clIS7_S7_PlSB_EEDaSZ_S10_SG_SL_EUlSZ_E_NS1_11comp_targetILNS1_3genE9ELNS1_11target_archE1100ELNS1_3gpuE3ELNS1_3repE0EEENS1_47radix_sort_onesweep_sort_config_static_selectorELNS0_4arch9wavefront6targetE1EEEvSG_
	.globl	_ZN7rocprim17ROCPRIM_400000_NS6detail17trampoline_kernelINS0_14default_configENS1_35radix_sort_onesweep_config_selectorIflEEZZNS1_29radix_sort_onesweep_iterationIS3_Lb0EPfS7_N6thrust23THRUST_200600_302600_NS10device_ptrIlEESB_jNS0_19identity_decomposerENS1_16block_id_wrapperIjLb1EEEEE10hipError_tT1_PNSt15iterator_traitsISG_E10value_typeET2_T3_PNSH_ISM_E10value_typeET4_T5_PSR_SS_PNS1_23onesweep_lookback_stateEbbT6_jjT7_P12ihipStream_tbENKUlT_T0_SG_SL_E_clIS7_S7_PlSB_EEDaSZ_S10_SG_SL_EUlSZ_E_NS1_11comp_targetILNS1_3genE9ELNS1_11target_archE1100ELNS1_3gpuE3ELNS1_3repE0EEENS1_47radix_sort_onesweep_sort_config_static_selectorELNS0_4arch9wavefront6targetE1EEEvSG_
	.p2align	8
	.type	_ZN7rocprim17ROCPRIM_400000_NS6detail17trampoline_kernelINS0_14default_configENS1_35radix_sort_onesweep_config_selectorIflEEZZNS1_29radix_sort_onesweep_iterationIS3_Lb0EPfS7_N6thrust23THRUST_200600_302600_NS10device_ptrIlEESB_jNS0_19identity_decomposerENS1_16block_id_wrapperIjLb1EEEEE10hipError_tT1_PNSt15iterator_traitsISG_E10value_typeET2_T3_PNSH_ISM_E10value_typeET4_T5_PSR_SS_PNS1_23onesweep_lookback_stateEbbT6_jjT7_P12ihipStream_tbENKUlT_T0_SG_SL_E_clIS7_S7_PlSB_EEDaSZ_S10_SG_SL_EUlSZ_E_NS1_11comp_targetILNS1_3genE9ELNS1_11target_archE1100ELNS1_3gpuE3ELNS1_3repE0EEENS1_47radix_sort_onesweep_sort_config_static_selectorELNS0_4arch9wavefront6targetE1EEEvSG_,@function
_ZN7rocprim17ROCPRIM_400000_NS6detail17trampoline_kernelINS0_14default_configENS1_35radix_sort_onesweep_config_selectorIflEEZZNS1_29radix_sort_onesweep_iterationIS3_Lb0EPfS7_N6thrust23THRUST_200600_302600_NS10device_ptrIlEESB_jNS0_19identity_decomposerENS1_16block_id_wrapperIjLb1EEEEE10hipError_tT1_PNSt15iterator_traitsISG_E10value_typeET2_T3_PNSH_ISM_E10value_typeET4_T5_PSR_SS_PNS1_23onesweep_lookback_stateEbbT6_jjT7_P12ihipStream_tbENKUlT_T0_SG_SL_E_clIS7_S7_PlSB_EEDaSZ_S10_SG_SL_EUlSZ_E_NS1_11comp_targetILNS1_3genE9ELNS1_11target_archE1100ELNS1_3gpuE3ELNS1_3repE0EEENS1_47radix_sort_onesweep_sort_config_static_selectorELNS0_4arch9wavefront6targetE1EEEvSG_: ; @_ZN7rocprim17ROCPRIM_400000_NS6detail17trampoline_kernelINS0_14default_configENS1_35radix_sort_onesweep_config_selectorIflEEZZNS1_29radix_sort_onesweep_iterationIS3_Lb0EPfS7_N6thrust23THRUST_200600_302600_NS10device_ptrIlEESB_jNS0_19identity_decomposerENS1_16block_id_wrapperIjLb1EEEEE10hipError_tT1_PNSt15iterator_traitsISG_E10value_typeET2_T3_PNSH_ISM_E10value_typeET4_T5_PSR_SS_PNS1_23onesweep_lookback_stateEbbT6_jjT7_P12ihipStream_tbENKUlT_T0_SG_SL_E_clIS7_S7_PlSB_EEDaSZ_S10_SG_SL_EUlSZ_E_NS1_11comp_targetILNS1_3genE9ELNS1_11target_archE1100ELNS1_3gpuE3ELNS1_3repE0EEENS1_47radix_sort_onesweep_sort_config_static_selectorELNS0_4arch9wavefront6targetE1EEEvSG_
; %bb.0:
	.section	.rodata,"a",@progbits
	.p2align	6, 0x0
	.amdhsa_kernel _ZN7rocprim17ROCPRIM_400000_NS6detail17trampoline_kernelINS0_14default_configENS1_35radix_sort_onesweep_config_selectorIflEEZZNS1_29radix_sort_onesweep_iterationIS3_Lb0EPfS7_N6thrust23THRUST_200600_302600_NS10device_ptrIlEESB_jNS0_19identity_decomposerENS1_16block_id_wrapperIjLb1EEEEE10hipError_tT1_PNSt15iterator_traitsISG_E10value_typeET2_T3_PNSH_ISM_E10value_typeET4_T5_PSR_SS_PNS1_23onesweep_lookback_stateEbbT6_jjT7_P12ihipStream_tbENKUlT_T0_SG_SL_E_clIS7_S7_PlSB_EEDaSZ_S10_SG_SL_EUlSZ_E_NS1_11comp_targetILNS1_3genE9ELNS1_11target_archE1100ELNS1_3gpuE3ELNS1_3repE0EEENS1_47radix_sort_onesweep_sort_config_static_selectorELNS0_4arch9wavefront6targetE1EEEvSG_
		.amdhsa_group_segment_fixed_size 0
		.amdhsa_private_segment_fixed_size 0
		.amdhsa_kernarg_size 88
		.amdhsa_user_sgpr_count 6
		.amdhsa_user_sgpr_private_segment_buffer 1
		.amdhsa_user_sgpr_dispatch_ptr 0
		.amdhsa_user_sgpr_queue_ptr 0
		.amdhsa_user_sgpr_kernarg_segment_ptr 1
		.amdhsa_user_sgpr_dispatch_id 0
		.amdhsa_user_sgpr_flat_scratch_init 0
		.amdhsa_user_sgpr_private_segment_size 0
		.amdhsa_uses_dynamic_stack 0
		.amdhsa_system_sgpr_private_segment_wavefront_offset 0
		.amdhsa_system_sgpr_workgroup_id_x 1
		.amdhsa_system_sgpr_workgroup_id_y 0
		.amdhsa_system_sgpr_workgroup_id_z 0
		.amdhsa_system_sgpr_workgroup_info 0
		.amdhsa_system_vgpr_workitem_id 0
		.amdhsa_next_free_vgpr 1
		.amdhsa_next_free_sgpr 0
		.amdhsa_reserve_vcc 0
		.amdhsa_reserve_flat_scratch 0
		.amdhsa_float_round_mode_32 0
		.amdhsa_float_round_mode_16_64 0
		.amdhsa_float_denorm_mode_32 3
		.amdhsa_float_denorm_mode_16_64 3
		.amdhsa_dx10_clamp 1
		.amdhsa_ieee_mode 1
		.amdhsa_fp16_overflow 0
		.amdhsa_exception_fp_ieee_invalid_op 0
		.amdhsa_exception_fp_denorm_src 0
		.amdhsa_exception_fp_ieee_div_zero 0
		.amdhsa_exception_fp_ieee_overflow 0
		.amdhsa_exception_fp_ieee_underflow 0
		.amdhsa_exception_fp_ieee_inexact 0
		.amdhsa_exception_int_div_zero 0
	.end_amdhsa_kernel
	.section	.text._ZN7rocprim17ROCPRIM_400000_NS6detail17trampoline_kernelINS0_14default_configENS1_35radix_sort_onesweep_config_selectorIflEEZZNS1_29radix_sort_onesweep_iterationIS3_Lb0EPfS7_N6thrust23THRUST_200600_302600_NS10device_ptrIlEESB_jNS0_19identity_decomposerENS1_16block_id_wrapperIjLb1EEEEE10hipError_tT1_PNSt15iterator_traitsISG_E10value_typeET2_T3_PNSH_ISM_E10value_typeET4_T5_PSR_SS_PNS1_23onesweep_lookback_stateEbbT6_jjT7_P12ihipStream_tbENKUlT_T0_SG_SL_E_clIS7_S7_PlSB_EEDaSZ_S10_SG_SL_EUlSZ_E_NS1_11comp_targetILNS1_3genE9ELNS1_11target_archE1100ELNS1_3gpuE3ELNS1_3repE0EEENS1_47radix_sort_onesweep_sort_config_static_selectorELNS0_4arch9wavefront6targetE1EEEvSG_,"axG",@progbits,_ZN7rocprim17ROCPRIM_400000_NS6detail17trampoline_kernelINS0_14default_configENS1_35radix_sort_onesweep_config_selectorIflEEZZNS1_29radix_sort_onesweep_iterationIS3_Lb0EPfS7_N6thrust23THRUST_200600_302600_NS10device_ptrIlEESB_jNS0_19identity_decomposerENS1_16block_id_wrapperIjLb1EEEEE10hipError_tT1_PNSt15iterator_traitsISG_E10value_typeET2_T3_PNSH_ISM_E10value_typeET4_T5_PSR_SS_PNS1_23onesweep_lookback_stateEbbT6_jjT7_P12ihipStream_tbENKUlT_T0_SG_SL_E_clIS7_S7_PlSB_EEDaSZ_S10_SG_SL_EUlSZ_E_NS1_11comp_targetILNS1_3genE9ELNS1_11target_archE1100ELNS1_3gpuE3ELNS1_3repE0EEENS1_47radix_sort_onesweep_sort_config_static_selectorELNS0_4arch9wavefront6targetE1EEEvSG_,comdat
.Lfunc_end1859:
	.size	_ZN7rocprim17ROCPRIM_400000_NS6detail17trampoline_kernelINS0_14default_configENS1_35radix_sort_onesweep_config_selectorIflEEZZNS1_29radix_sort_onesweep_iterationIS3_Lb0EPfS7_N6thrust23THRUST_200600_302600_NS10device_ptrIlEESB_jNS0_19identity_decomposerENS1_16block_id_wrapperIjLb1EEEEE10hipError_tT1_PNSt15iterator_traitsISG_E10value_typeET2_T3_PNSH_ISM_E10value_typeET4_T5_PSR_SS_PNS1_23onesweep_lookback_stateEbbT6_jjT7_P12ihipStream_tbENKUlT_T0_SG_SL_E_clIS7_S7_PlSB_EEDaSZ_S10_SG_SL_EUlSZ_E_NS1_11comp_targetILNS1_3genE9ELNS1_11target_archE1100ELNS1_3gpuE3ELNS1_3repE0EEENS1_47radix_sort_onesweep_sort_config_static_selectorELNS0_4arch9wavefront6targetE1EEEvSG_, .Lfunc_end1859-_ZN7rocprim17ROCPRIM_400000_NS6detail17trampoline_kernelINS0_14default_configENS1_35radix_sort_onesweep_config_selectorIflEEZZNS1_29radix_sort_onesweep_iterationIS3_Lb0EPfS7_N6thrust23THRUST_200600_302600_NS10device_ptrIlEESB_jNS0_19identity_decomposerENS1_16block_id_wrapperIjLb1EEEEE10hipError_tT1_PNSt15iterator_traitsISG_E10value_typeET2_T3_PNSH_ISM_E10value_typeET4_T5_PSR_SS_PNS1_23onesweep_lookback_stateEbbT6_jjT7_P12ihipStream_tbENKUlT_T0_SG_SL_E_clIS7_S7_PlSB_EEDaSZ_S10_SG_SL_EUlSZ_E_NS1_11comp_targetILNS1_3genE9ELNS1_11target_archE1100ELNS1_3gpuE3ELNS1_3repE0EEENS1_47radix_sort_onesweep_sort_config_static_selectorELNS0_4arch9wavefront6targetE1EEEvSG_
                                        ; -- End function
	.set _ZN7rocprim17ROCPRIM_400000_NS6detail17trampoline_kernelINS0_14default_configENS1_35radix_sort_onesweep_config_selectorIflEEZZNS1_29radix_sort_onesweep_iterationIS3_Lb0EPfS7_N6thrust23THRUST_200600_302600_NS10device_ptrIlEESB_jNS0_19identity_decomposerENS1_16block_id_wrapperIjLb1EEEEE10hipError_tT1_PNSt15iterator_traitsISG_E10value_typeET2_T3_PNSH_ISM_E10value_typeET4_T5_PSR_SS_PNS1_23onesweep_lookback_stateEbbT6_jjT7_P12ihipStream_tbENKUlT_T0_SG_SL_E_clIS7_S7_PlSB_EEDaSZ_S10_SG_SL_EUlSZ_E_NS1_11comp_targetILNS1_3genE9ELNS1_11target_archE1100ELNS1_3gpuE3ELNS1_3repE0EEENS1_47radix_sort_onesweep_sort_config_static_selectorELNS0_4arch9wavefront6targetE1EEEvSG_.num_vgpr, 0
	.set _ZN7rocprim17ROCPRIM_400000_NS6detail17trampoline_kernelINS0_14default_configENS1_35radix_sort_onesweep_config_selectorIflEEZZNS1_29radix_sort_onesweep_iterationIS3_Lb0EPfS7_N6thrust23THRUST_200600_302600_NS10device_ptrIlEESB_jNS0_19identity_decomposerENS1_16block_id_wrapperIjLb1EEEEE10hipError_tT1_PNSt15iterator_traitsISG_E10value_typeET2_T3_PNSH_ISM_E10value_typeET4_T5_PSR_SS_PNS1_23onesweep_lookback_stateEbbT6_jjT7_P12ihipStream_tbENKUlT_T0_SG_SL_E_clIS7_S7_PlSB_EEDaSZ_S10_SG_SL_EUlSZ_E_NS1_11comp_targetILNS1_3genE9ELNS1_11target_archE1100ELNS1_3gpuE3ELNS1_3repE0EEENS1_47radix_sort_onesweep_sort_config_static_selectorELNS0_4arch9wavefront6targetE1EEEvSG_.num_agpr, 0
	.set _ZN7rocprim17ROCPRIM_400000_NS6detail17trampoline_kernelINS0_14default_configENS1_35radix_sort_onesweep_config_selectorIflEEZZNS1_29radix_sort_onesweep_iterationIS3_Lb0EPfS7_N6thrust23THRUST_200600_302600_NS10device_ptrIlEESB_jNS0_19identity_decomposerENS1_16block_id_wrapperIjLb1EEEEE10hipError_tT1_PNSt15iterator_traitsISG_E10value_typeET2_T3_PNSH_ISM_E10value_typeET4_T5_PSR_SS_PNS1_23onesweep_lookback_stateEbbT6_jjT7_P12ihipStream_tbENKUlT_T0_SG_SL_E_clIS7_S7_PlSB_EEDaSZ_S10_SG_SL_EUlSZ_E_NS1_11comp_targetILNS1_3genE9ELNS1_11target_archE1100ELNS1_3gpuE3ELNS1_3repE0EEENS1_47radix_sort_onesweep_sort_config_static_selectorELNS0_4arch9wavefront6targetE1EEEvSG_.numbered_sgpr, 0
	.set _ZN7rocprim17ROCPRIM_400000_NS6detail17trampoline_kernelINS0_14default_configENS1_35radix_sort_onesweep_config_selectorIflEEZZNS1_29radix_sort_onesweep_iterationIS3_Lb0EPfS7_N6thrust23THRUST_200600_302600_NS10device_ptrIlEESB_jNS0_19identity_decomposerENS1_16block_id_wrapperIjLb1EEEEE10hipError_tT1_PNSt15iterator_traitsISG_E10value_typeET2_T3_PNSH_ISM_E10value_typeET4_T5_PSR_SS_PNS1_23onesweep_lookback_stateEbbT6_jjT7_P12ihipStream_tbENKUlT_T0_SG_SL_E_clIS7_S7_PlSB_EEDaSZ_S10_SG_SL_EUlSZ_E_NS1_11comp_targetILNS1_3genE9ELNS1_11target_archE1100ELNS1_3gpuE3ELNS1_3repE0EEENS1_47radix_sort_onesweep_sort_config_static_selectorELNS0_4arch9wavefront6targetE1EEEvSG_.num_named_barrier, 0
	.set _ZN7rocprim17ROCPRIM_400000_NS6detail17trampoline_kernelINS0_14default_configENS1_35radix_sort_onesweep_config_selectorIflEEZZNS1_29radix_sort_onesweep_iterationIS3_Lb0EPfS7_N6thrust23THRUST_200600_302600_NS10device_ptrIlEESB_jNS0_19identity_decomposerENS1_16block_id_wrapperIjLb1EEEEE10hipError_tT1_PNSt15iterator_traitsISG_E10value_typeET2_T3_PNSH_ISM_E10value_typeET4_T5_PSR_SS_PNS1_23onesweep_lookback_stateEbbT6_jjT7_P12ihipStream_tbENKUlT_T0_SG_SL_E_clIS7_S7_PlSB_EEDaSZ_S10_SG_SL_EUlSZ_E_NS1_11comp_targetILNS1_3genE9ELNS1_11target_archE1100ELNS1_3gpuE3ELNS1_3repE0EEENS1_47radix_sort_onesweep_sort_config_static_selectorELNS0_4arch9wavefront6targetE1EEEvSG_.private_seg_size, 0
	.set _ZN7rocprim17ROCPRIM_400000_NS6detail17trampoline_kernelINS0_14default_configENS1_35radix_sort_onesweep_config_selectorIflEEZZNS1_29radix_sort_onesweep_iterationIS3_Lb0EPfS7_N6thrust23THRUST_200600_302600_NS10device_ptrIlEESB_jNS0_19identity_decomposerENS1_16block_id_wrapperIjLb1EEEEE10hipError_tT1_PNSt15iterator_traitsISG_E10value_typeET2_T3_PNSH_ISM_E10value_typeET4_T5_PSR_SS_PNS1_23onesweep_lookback_stateEbbT6_jjT7_P12ihipStream_tbENKUlT_T0_SG_SL_E_clIS7_S7_PlSB_EEDaSZ_S10_SG_SL_EUlSZ_E_NS1_11comp_targetILNS1_3genE9ELNS1_11target_archE1100ELNS1_3gpuE3ELNS1_3repE0EEENS1_47radix_sort_onesweep_sort_config_static_selectorELNS0_4arch9wavefront6targetE1EEEvSG_.uses_vcc, 0
	.set _ZN7rocprim17ROCPRIM_400000_NS6detail17trampoline_kernelINS0_14default_configENS1_35radix_sort_onesweep_config_selectorIflEEZZNS1_29radix_sort_onesweep_iterationIS3_Lb0EPfS7_N6thrust23THRUST_200600_302600_NS10device_ptrIlEESB_jNS0_19identity_decomposerENS1_16block_id_wrapperIjLb1EEEEE10hipError_tT1_PNSt15iterator_traitsISG_E10value_typeET2_T3_PNSH_ISM_E10value_typeET4_T5_PSR_SS_PNS1_23onesweep_lookback_stateEbbT6_jjT7_P12ihipStream_tbENKUlT_T0_SG_SL_E_clIS7_S7_PlSB_EEDaSZ_S10_SG_SL_EUlSZ_E_NS1_11comp_targetILNS1_3genE9ELNS1_11target_archE1100ELNS1_3gpuE3ELNS1_3repE0EEENS1_47radix_sort_onesweep_sort_config_static_selectorELNS0_4arch9wavefront6targetE1EEEvSG_.uses_flat_scratch, 0
	.set _ZN7rocprim17ROCPRIM_400000_NS6detail17trampoline_kernelINS0_14default_configENS1_35radix_sort_onesweep_config_selectorIflEEZZNS1_29radix_sort_onesweep_iterationIS3_Lb0EPfS7_N6thrust23THRUST_200600_302600_NS10device_ptrIlEESB_jNS0_19identity_decomposerENS1_16block_id_wrapperIjLb1EEEEE10hipError_tT1_PNSt15iterator_traitsISG_E10value_typeET2_T3_PNSH_ISM_E10value_typeET4_T5_PSR_SS_PNS1_23onesweep_lookback_stateEbbT6_jjT7_P12ihipStream_tbENKUlT_T0_SG_SL_E_clIS7_S7_PlSB_EEDaSZ_S10_SG_SL_EUlSZ_E_NS1_11comp_targetILNS1_3genE9ELNS1_11target_archE1100ELNS1_3gpuE3ELNS1_3repE0EEENS1_47radix_sort_onesweep_sort_config_static_selectorELNS0_4arch9wavefront6targetE1EEEvSG_.has_dyn_sized_stack, 0
	.set _ZN7rocprim17ROCPRIM_400000_NS6detail17trampoline_kernelINS0_14default_configENS1_35radix_sort_onesweep_config_selectorIflEEZZNS1_29radix_sort_onesweep_iterationIS3_Lb0EPfS7_N6thrust23THRUST_200600_302600_NS10device_ptrIlEESB_jNS0_19identity_decomposerENS1_16block_id_wrapperIjLb1EEEEE10hipError_tT1_PNSt15iterator_traitsISG_E10value_typeET2_T3_PNSH_ISM_E10value_typeET4_T5_PSR_SS_PNS1_23onesweep_lookback_stateEbbT6_jjT7_P12ihipStream_tbENKUlT_T0_SG_SL_E_clIS7_S7_PlSB_EEDaSZ_S10_SG_SL_EUlSZ_E_NS1_11comp_targetILNS1_3genE9ELNS1_11target_archE1100ELNS1_3gpuE3ELNS1_3repE0EEENS1_47radix_sort_onesweep_sort_config_static_selectorELNS0_4arch9wavefront6targetE1EEEvSG_.has_recursion, 0
	.set _ZN7rocprim17ROCPRIM_400000_NS6detail17trampoline_kernelINS0_14default_configENS1_35radix_sort_onesweep_config_selectorIflEEZZNS1_29radix_sort_onesweep_iterationIS3_Lb0EPfS7_N6thrust23THRUST_200600_302600_NS10device_ptrIlEESB_jNS0_19identity_decomposerENS1_16block_id_wrapperIjLb1EEEEE10hipError_tT1_PNSt15iterator_traitsISG_E10value_typeET2_T3_PNSH_ISM_E10value_typeET4_T5_PSR_SS_PNS1_23onesweep_lookback_stateEbbT6_jjT7_P12ihipStream_tbENKUlT_T0_SG_SL_E_clIS7_S7_PlSB_EEDaSZ_S10_SG_SL_EUlSZ_E_NS1_11comp_targetILNS1_3genE9ELNS1_11target_archE1100ELNS1_3gpuE3ELNS1_3repE0EEENS1_47radix_sort_onesweep_sort_config_static_selectorELNS0_4arch9wavefront6targetE1EEEvSG_.has_indirect_call, 0
	.section	.AMDGPU.csdata,"",@progbits
; Kernel info:
; codeLenInByte = 0
; TotalNumSgprs: 4
; NumVgprs: 0
; ScratchSize: 0
; MemoryBound: 0
; FloatMode: 240
; IeeeMode: 1
; LDSByteSize: 0 bytes/workgroup (compile time only)
; SGPRBlocks: 0
; VGPRBlocks: 0
; NumSGPRsForWavesPerEU: 4
; NumVGPRsForWavesPerEU: 1
; Occupancy: 10
; WaveLimiterHint : 0
; COMPUTE_PGM_RSRC2:SCRATCH_EN: 0
; COMPUTE_PGM_RSRC2:USER_SGPR: 6
; COMPUTE_PGM_RSRC2:TRAP_HANDLER: 0
; COMPUTE_PGM_RSRC2:TGID_X_EN: 1
; COMPUTE_PGM_RSRC2:TGID_Y_EN: 0
; COMPUTE_PGM_RSRC2:TGID_Z_EN: 0
; COMPUTE_PGM_RSRC2:TIDIG_COMP_CNT: 0
	.section	.text._ZN7rocprim17ROCPRIM_400000_NS6detail17trampoline_kernelINS0_14default_configENS1_35radix_sort_onesweep_config_selectorIflEEZZNS1_29radix_sort_onesweep_iterationIS3_Lb0EPfS7_N6thrust23THRUST_200600_302600_NS10device_ptrIlEESB_jNS0_19identity_decomposerENS1_16block_id_wrapperIjLb1EEEEE10hipError_tT1_PNSt15iterator_traitsISG_E10value_typeET2_T3_PNSH_ISM_E10value_typeET4_T5_PSR_SS_PNS1_23onesweep_lookback_stateEbbT6_jjT7_P12ihipStream_tbENKUlT_T0_SG_SL_E_clIS7_S7_PlSB_EEDaSZ_S10_SG_SL_EUlSZ_E_NS1_11comp_targetILNS1_3genE8ELNS1_11target_archE1030ELNS1_3gpuE2ELNS1_3repE0EEENS1_47radix_sort_onesweep_sort_config_static_selectorELNS0_4arch9wavefront6targetE1EEEvSG_,"axG",@progbits,_ZN7rocprim17ROCPRIM_400000_NS6detail17trampoline_kernelINS0_14default_configENS1_35radix_sort_onesweep_config_selectorIflEEZZNS1_29radix_sort_onesweep_iterationIS3_Lb0EPfS7_N6thrust23THRUST_200600_302600_NS10device_ptrIlEESB_jNS0_19identity_decomposerENS1_16block_id_wrapperIjLb1EEEEE10hipError_tT1_PNSt15iterator_traitsISG_E10value_typeET2_T3_PNSH_ISM_E10value_typeET4_T5_PSR_SS_PNS1_23onesweep_lookback_stateEbbT6_jjT7_P12ihipStream_tbENKUlT_T0_SG_SL_E_clIS7_S7_PlSB_EEDaSZ_S10_SG_SL_EUlSZ_E_NS1_11comp_targetILNS1_3genE8ELNS1_11target_archE1030ELNS1_3gpuE2ELNS1_3repE0EEENS1_47radix_sort_onesweep_sort_config_static_selectorELNS0_4arch9wavefront6targetE1EEEvSG_,comdat
	.protected	_ZN7rocprim17ROCPRIM_400000_NS6detail17trampoline_kernelINS0_14default_configENS1_35radix_sort_onesweep_config_selectorIflEEZZNS1_29radix_sort_onesweep_iterationIS3_Lb0EPfS7_N6thrust23THRUST_200600_302600_NS10device_ptrIlEESB_jNS0_19identity_decomposerENS1_16block_id_wrapperIjLb1EEEEE10hipError_tT1_PNSt15iterator_traitsISG_E10value_typeET2_T3_PNSH_ISM_E10value_typeET4_T5_PSR_SS_PNS1_23onesweep_lookback_stateEbbT6_jjT7_P12ihipStream_tbENKUlT_T0_SG_SL_E_clIS7_S7_PlSB_EEDaSZ_S10_SG_SL_EUlSZ_E_NS1_11comp_targetILNS1_3genE8ELNS1_11target_archE1030ELNS1_3gpuE2ELNS1_3repE0EEENS1_47radix_sort_onesweep_sort_config_static_selectorELNS0_4arch9wavefront6targetE1EEEvSG_ ; -- Begin function _ZN7rocprim17ROCPRIM_400000_NS6detail17trampoline_kernelINS0_14default_configENS1_35radix_sort_onesweep_config_selectorIflEEZZNS1_29radix_sort_onesweep_iterationIS3_Lb0EPfS7_N6thrust23THRUST_200600_302600_NS10device_ptrIlEESB_jNS0_19identity_decomposerENS1_16block_id_wrapperIjLb1EEEEE10hipError_tT1_PNSt15iterator_traitsISG_E10value_typeET2_T3_PNSH_ISM_E10value_typeET4_T5_PSR_SS_PNS1_23onesweep_lookback_stateEbbT6_jjT7_P12ihipStream_tbENKUlT_T0_SG_SL_E_clIS7_S7_PlSB_EEDaSZ_S10_SG_SL_EUlSZ_E_NS1_11comp_targetILNS1_3genE8ELNS1_11target_archE1030ELNS1_3gpuE2ELNS1_3repE0EEENS1_47radix_sort_onesweep_sort_config_static_selectorELNS0_4arch9wavefront6targetE1EEEvSG_
	.globl	_ZN7rocprim17ROCPRIM_400000_NS6detail17trampoline_kernelINS0_14default_configENS1_35radix_sort_onesweep_config_selectorIflEEZZNS1_29radix_sort_onesweep_iterationIS3_Lb0EPfS7_N6thrust23THRUST_200600_302600_NS10device_ptrIlEESB_jNS0_19identity_decomposerENS1_16block_id_wrapperIjLb1EEEEE10hipError_tT1_PNSt15iterator_traitsISG_E10value_typeET2_T3_PNSH_ISM_E10value_typeET4_T5_PSR_SS_PNS1_23onesweep_lookback_stateEbbT6_jjT7_P12ihipStream_tbENKUlT_T0_SG_SL_E_clIS7_S7_PlSB_EEDaSZ_S10_SG_SL_EUlSZ_E_NS1_11comp_targetILNS1_3genE8ELNS1_11target_archE1030ELNS1_3gpuE2ELNS1_3repE0EEENS1_47radix_sort_onesweep_sort_config_static_selectorELNS0_4arch9wavefront6targetE1EEEvSG_
	.p2align	8
	.type	_ZN7rocprim17ROCPRIM_400000_NS6detail17trampoline_kernelINS0_14default_configENS1_35radix_sort_onesweep_config_selectorIflEEZZNS1_29radix_sort_onesweep_iterationIS3_Lb0EPfS7_N6thrust23THRUST_200600_302600_NS10device_ptrIlEESB_jNS0_19identity_decomposerENS1_16block_id_wrapperIjLb1EEEEE10hipError_tT1_PNSt15iterator_traitsISG_E10value_typeET2_T3_PNSH_ISM_E10value_typeET4_T5_PSR_SS_PNS1_23onesweep_lookback_stateEbbT6_jjT7_P12ihipStream_tbENKUlT_T0_SG_SL_E_clIS7_S7_PlSB_EEDaSZ_S10_SG_SL_EUlSZ_E_NS1_11comp_targetILNS1_3genE8ELNS1_11target_archE1030ELNS1_3gpuE2ELNS1_3repE0EEENS1_47radix_sort_onesweep_sort_config_static_selectorELNS0_4arch9wavefront6targetE1EEEvSG_,@function
_ZN7rocprim17ROCPRIM_400000_NS6detail17trampoline_kernelINS0_14default_configENS1_35radix_sort_onesweep_config_selectorIflEEZZNS1_29radix_sort_onesweep_iterationIS3_Lb0EPfS7_N6thrust23THRUST_200600_302600_NS10device_ptrIlEESB_jNS0_19identity_decomposerENS1_16block_id_wrapperIjLb1EEEEE10hipError_tT1_PNSt15iterator_traitsISG_E10value_typeET2_T3_PNSH_ISM_E10value_typeET4_T5_PSR_SS_PNS1_23onesweep_lookback_stateEbbT6_jjT7_P12ihipStream_tbENKUlT_T0_SG_SL_E_clIS7_S7_PlSB_EEDaSZ_S10_SG_SL_EUlSZ_E_NS1_11comp_targetILNS1_3genE8ELNS1_11target_archE1030ELNS1_3gpuE2ELNS1_3repE0EEENS1_47radix_sort_onesweep_sort_config_static_selectorELNS0_4arch9wavefront6targetE1EEEvSG_: ; @_ZN7rocprim17ROCPRIM_400000_NS6detail17trampoline_kernelINS0_14default_configENS1_35radix_sort_onesweep_config_selectorIflEEZZNS1_29radix_sort_onesweep_iterationIS3_Lb0EPfS7_N6thrust23THRUST_200600_302600_NS10device_ptrIlEESB_jNS0_19identity_decomposerENS1_16block_id_wrapperIjLb1EEEEE10hipError_tT1_PNSt15iterator_traitsISG_E10value_typeET2_T3_PNSH_ISM_E10value_typeET4_T5_PSR_SS_PNS1_23onesweep_lookback_stateEbbT6_jjT7_P12ihipStream_tbENKUlT_T0_SG_SL_E_clIS7_S7_PlSB_EEDaSZ_S10_SG_SL_EUlSZ_E_NS1_11comp_targetILNS1_3genE8ELNS1_11target_archE1030ELNS1_3gpuE2ELNS1_3repE0EEENS1_47radix_sort_onesweep_sort_config_static_selectorELNS0_4arch9wavefront6targetE1EEEvSG_
; %bb.0:
	.section	.rodata,"a",@progbits
	.p2align	6, 0x0
	.amdhsa_kernel _ZN7rocprim17ROCPRIM_400000_NS6detail17trampoline_kernelINS0_14default_configENS1_35radix_sort_onesweep_config_selectorIflEEZZNS1_29radix_sort_onesweep_iterationIS3_Lb0EPfS7_N6thrust23THRUST_200600_302600_NS10device_ptrIlEESB_jNS0_19identity_decomposerENS1_16block_id_wrapperIjLb1EEEEE10hipError_tT1_PNSt15iterator_traitsISG_E10value_typeET2_T3_PNSH_ISM_E10value_typeET4_T5_PSR_SS_PNS1_23onesweep_lookback_stateEbbT6_jjT7_P12ihipStream_tbENKUlT_T0_SG_SL_E_clIS7_S7_PlSB_EEDaSZ_S10_SG_SL_EUlSZ_E_NS1_11comp_targetILNS1_3genE8ELNS1_11target_archE1030ELNS1_3gpuE2ELNS1_3repE0EEENS1_47radix_sort_onesweep_sort_config_static_selectorELNS0_4arch9wavefront6targetE1EEEvSG_
		.amdhsa_group_segment_fixed_size 0
		.amdhsa_private_segment_fixed_size 0
		.amdhsa_kernarg_size 88
		.amdhsa_user_sgpr_count 6
		.amdhsa_user_sgpr_private_segment_buffer 1
		.amdhsa_user_sgpr_dispatch_ptr 0
		.amdhsa_user_sgpr_queue_ptr 0
		.amdhsa_user_sgpr_kernarg_segment_ptr 1
		.amdhsa_user_sgpr_dispatch_id 0
		.amdhsa_user_sgpr_flat_scratch_init 0
		.amdhsa_user_sgpr_private_segment_size 0
		.amdhsa_uses_dynamic_stack 0
		.amdhsa_system_sgpr_private_segment_wavefront_offset 0
		.amdhsa_system_sgpr_workgroup_id_x 1
		.amdhsa_system_sgpr_workgroup_id_y 0
		.amdhsa_system_sgpr_workgroup_id_z 0
		.amdhsa_system_sgpr_workgroup_info 0
		.amdhsa_system_vgpr_workitem_id 0
		.amdhsa_next_free_vgpr 1
		.amdhsa_next_free_sgpr 0
		.amdhsa_reserve_vcc 0
		.amdhsa_reserve_flat_scratch 0
		.amdhsa_float_round_mode_32 0
		.amdhsa_float_round_mode_16_64 0
		.amdhsa_float_denorm_mode_32 3
		.amdhsa_float_denorm_mode_16_64 3
		.amdhsa_dx10_clamp 1
		.amdhsa_ieee_mode 1
		.amdhsa_fp16_overflow 0
		.amdhsa_exception_fp_ieee_invalid_op 0
		.amdhsa_exception_fp_denorm_src 0
		.amdhsa_exception_fp_ieee_div_zero 0
		.amdhsa_exception_fp_ieee_overflow 0
		.amdhsa_exception_fp_ieee_underflow 0
		.amdhsa_exception_fp_ieee_inexact 0
		.amdhsa_exception_int_div_zero 0
	.end_amdhsa_kernel
	.section	.text._ZN7rocprim17ROCPRIM_400000_NS6detail17trampoline_kernelINS0_14default_configENS1_35radix_sort_onesweep_config_selectorIflEEZZNS1_29radix_sort_onesweep_iterationIS3_Lb0EPfS7_N6thrust23THRUST_200600_302600_NS10device_ptrIlEESB_jNS0_19identity_decomposerENS1_16block_id_wrapperIjLb1EEEEE10hipError_tT1_PNSt15iterator_traitsISG_E10value_typeET2_T3_PNSH_ISM_E10value_typeET4_T5_PSR_SS_PNS1_23onesweep_lookback_stateEbbT6_jjT7_P12ihipStream_tbENKUlT_T0_SG_SL_E_clIS7_S7_PlSB_EEDaSZ_S10_SG_SL_EUlSZ_E_NS1_11comp_targetILNS1_3genE8ELNS1_11target_archE1030ELNS1_3gpuE2ELNS1_3repE0EEENS1_47radix_sort_onesweep_sort_config_static_selectorELNS0_4arch9wavefront6targetE1EEEvSG_,"axG",@progbits,_ZN7rocprim17ROCPRIM_400000_NS6detail17trampoline_kernelINS0_14default_configENS1_35radix_sort_onesweep_config_selectorIflEEZZNS1_29radix_sort_onesweep_iterationIS3_Lb0EPfS7_N6thrust23THRUST_200600_302600_NS10device_ptrIlEESB_jNS0_19identity_decomposerENS1_16block_id_wrapperIjLb1EEEEE10hipError_tT1_PNSt15iterator_traitsISG_E10value_typeET2_T3_PNSH_ISM_E10value_typeET4_T5_PSR_SS_PNS1_23onesweep_lookback_stateEbbT6_jjT7_P12ihipStream_tbENKUlT_T0_SG_SL_E_clIS7_S7_PlSB_EEDaSZ_S10_SG_SL_EUlSZ_E_NS1_11comp_targetILNS1_3genE8ELNS1_11target_archE1030ELNS1_3gpuE2ELNS1_3repE0EEENS1_47radix_sort_onesweep_sort_config_static_selectorELNS0_4arch9wavefront6targetE1EEEvSG_,comdat
.Lfunc_end1860:
	.size	_ZN7rocprim17ROCPRIM_400000_NS6detail17trampoline_kernelINS0_14default_configENS1_35radix_sort_onesweep_config_selectorIflEEZZNS1_29radix_sort_onesweep_iterationIS3_Lb0EPfS7_N6thrust23THRUST_200600_302600_NS10device_ptrIlEESB_jNS0_19identity_decomposerENS1_16block_id_wrapperIjLb1EEEEE10hipError_tT1_PNSt15iterator_traitsISG_E10value_typeET2_T3_PNSH_ISM_E10value_typeET4_T5_PSR_SS_PNS1_23onesweep_lookback_stateEbbT6_jjT7_P12ihipStream_tbENKUlT_T0_SG_SL_E_clIS7_S7_PlSB_EEDaSZ_S10_SG_SL_EUlSZ_E_NS1_11comp_targetILNS1_3genE8ELNS1_11target_archE1030ELNS1_3gpuE2ELNS1_3repE0EEENS1_47radix_sort_onesweep_sort_config_static_selectorELNS0_4arch9wavefront6targetE1EEEvSG_, .Lfunc_end1860-_ZN7rocprim17ROCPRIM_400000_NS6detail17trampoline_kernelINS0_14default_configENS1_35radix_sort_onesweep_config_selectorIflEEZZNS1_29radix_sort_onesweep_iterationIS3_Lb0EPfS7_N6thrust23THRUST_200600_302600_NS10device_ptrIlEESB_jNS0_19identity_decomposerENS1_16block_id_wrapperIjLb1EEEEE10hipError_tT1_PNSt15iterator_traitsISG_E10value_typeET2_T3_PNSH_ISM_E10value_typeET4_T5_PSR_SS_PNS1_23onesweep_lookback_stateEbbT6_jjT7_P12ihipStream_tbENKUlT_T0_SG_SL_E_clIS7_S7_PlSB_EEDaSZ_S10_SG_SL_EUlSZ_E_NS1_11comp_targetILNS1_3genE8ELNS1_11target_archE1030ELNS1_3gpuE2ELNS1_3repE0EEENS1_47radix_sort_onesweep_sort_config_static_selectorELNS0_4arch9wavefront6targetE1EEEvSG_
                                        ; -- End function
	.set _ZN7rocprim17ROCPRIM_400000_NS6detail17trampoline_kernelINS0_14default_configENS1_35radix_sort_onesweep_config_selectorIflEEZZNS1_29radix_sort_onesweep_iterationIS3_Lb0EPfS7_N6thrust23THRUST_200600_302600_NS10device_ptrIlEESB_jNS0_19identity_decomposerENS1_16block_id_wrapperIjLb1EEEEE10hipError_tT1_PNSt15iterator_traitsISG_E10value_typeET2_T3_PNSH_ISM_E10value_typeET4_T5_PSR_SS_PNS1_23onesweep_lookback_stateEbbT6_jjT7_P12ihipStream_tbENKUlT_T0_SG_SL_E_clIS7_S7_PlSB_EEDaSZ_S10_SG_SL_EUlSZ_E_NS1_11comp_targetILNS1_3genE8ELNS1_11target_archE1030ELNS1_3gpuE2ELNS1_3repE0EEENS1_47radix_sort_onesweep_sort_config_static_selectorELNS0_4arch9wavefront6targetE1EEEvSG_.num_vgpr, 0
	.set _ZN7rocprim17ROCPRIM_400000_NS6detail17trampoline_kernelINS0_14default_configENS1_35radix_sort_onesweep_config_selectorIflEEZZNS1_29radix_sort_onesweep_iterationIS3_Lb0EPfS7_N6thrust23THRUST_200600_302600_NS10device_ptrIlEESB_jNS0_19identity_decomposerENS1_16block_id_wrapperIjLb1EEEEE10hipError_tT1_PNSt15iterator_traitsISG_E10value_typeET2_T3_PNSH_ISM_E10value_typeET4_T5_PSR_SS_PNS1_23onesweep_lookback_stateEbbT6_jjT7_P12ihipStream_tbENKUlT_T0_SG_SL_E_clIS7_S7_PlSB_EEDaSZ_S10_SG_SL_EUlSZ_E_NS1_11comp_targetILNS1_3genE8ELNS1_11target_archE1030ELNS1_3gpuE2ELNS1_3repE0EEENS1_47radix_sort_onesweep_sort_config_static_selectorELNS0_4arch9wavefront6targetE1EEEvSG_.num_agpr, 0
	.set _ZN7rocprim17ROCPRIM_400000_NS6detail17trampoline_kernelINS0_14default_configENS1_35radix_sort_onesweep_config_selectorIflEEZZNS1_29radix_sort_onesweep_iterationIS3_Lb0EPfS7_N6thrust23THRUST_200600_302600_NS10device_ptrIlEESB_jNS0_19identity_decomposerENS1_16block_id_wrapperIjLb1EEEEE10hipError_tT1_PNSt15iterator_traitsISG_E10value_typeET2_T3_PNSH_ISM_E10value_typeET4_T5_PSR_SS_PNS1_23onesweep_lookback_stateEbbT6_jjT7_P12ihipStream_tbENKUlT_T0_SG_SL_E_clIS7_S7_PlSB_EEDaSZ_S10_SG_SL_EUlSZ_E_NS1_11comp_targetILNS1_3genE8ELNS1_11target_archE1030ELNS1_3gpuE2ELNS1_3repE0EEENS1_47radix_sort_onesweep_sort_config_static_selectorELNS0_4arch9wavefront6targetE1EEEvSG_.numbered_sgpr, 0
	.set _ZN7rocprim17ROCPRIM_400000_NS6detail17trampoline_kernelINS0_14default_configENS1_35radix_sort_onesweep_config_selectorIflEEZZNS1_29radix_sort_onesweep_iterationIS3_Lb0EPfS7_N6thrust23THRUST_200600_302600_NS10device_ptrIlEESB_jNS0_19identity_decomposerENS1_16block_id_wrapperIjLb1EEEEE10hipError_tT1_PNSt15iterator_traitsISG_E10value_typeET2_T3_PNSH_ISM_E10value_typeET4_T5_PSR_SS_PNS1_23onesweep_lookback_stateEbbT6_jjT7_P12ihipStream_tbENKUlT_T0_SG_SL_E_clIS7_S7_PlSB_EEDaSZ_S10_SG_SL_EUlSZ_E_NS1_11comp_targetILNS1_3genE8ELNS1_11target_archE1030ELNS1_3gpuE2ELNS1_3repE0EEENS1_47radix_sort_onesweep_sort_config_static_selectorELNS0_4arch9wavefront6targetE1EEEvSG_.num_named_barrier, 0
	.set _ZN7rocprim17ROCPRIM_400000_NS6detail17trampoline_kernelINS0_14default_configENS1_35radix_sort_onesweep_config_selectorIflEEZZNS1_29radix_sort_onesweep_iterationIS3_Lb0EPfS7_N6thrust23THRUST_200600_302600_NS10device_ptrIlEESB_jNS0_19identity_decomposerENS1_16block_id_wrapperIjLb1EEEEE10hipError_tT1_PNSt15iterator_traitsISG_E10value_typeET2_T3_PNSH_ISM_E10value_typeET4_T5_PSR_SS_PNS1_23onesweep_lookback_stateEbbT6_jjT7_P12ihipStream_tbENKUlT_T0_SG_SL_E_clIS7_S7_PlSB_EEDaSZ_S10_SG_SL_EUlSZ_E_NS1_11comp_targetILNS1_3genE8ELNS1_11target_archE1030ELNS1_3gpuE2ELNS1_3repE0EEENS1_47radix_sort_onesweep_sort_config_static_selectorELNS0_4arch9wavefront6targetE1EEEvSG_.private_seg_size, 0
	.set _ZN7rocprim17ROCPRIM_400000_NS6detail17trampoline_kernelINS0_14default_configENS1_35radix_sort_onesweep_config_selectorIflEEZZNS1_29radix_sort_onesweep_iterationIS3_Lb0EPfS7_N6thrust23THRUST_200600_302600_NS10device_ptrIlEESB_jNS0_19identity_decomposerENS1_16block_id_wrapperIjLb1EEEEE10hipError_tT1_PNSt15iterator_traitsISG_E10value_typeET2_T3_PNSH_ISM_E10value_typeET4_T5_PSR_SS_PNS1_23onesweep_lookback_stateEbbT6_jjT7_P12ihipStream_tbENKUlT_T0_SG_SL_E_clIS7_S7_PlSB_EEDaSZ_S10_SG_SL_EUlSZ_E_NS1_11comp_targetILNS1_3genE8ELNS1_11target_archE1030ELNS1_3gpuE2ELNS1_3repE0EEENS1_47radix_sort_onesweep_sort_config_static_selectorELNS0_4arch9wavefront6targetE1EEEvSG_.uses_vcc, 0
	.set _ZN7rocprim17ROCPRIM_400000_NS6detail17trampoline_kernelINS0_14default_configENS1_35radix_sort_onesweep_config_selectorIflEEZZNS1_29radix_sort_onesweep_iterationIS3_Lb0EPfS7_N6thrust23THRUST_200600_302600_NS10device_ptrIlEESB_jNS0_19identity_decomposerENS1_16block_id_wrapperIjLb1EEEEE10hipError_tT1_PNSt15iterator_traitsISG_E10value_typeET2_T3_PNSH_ISM_E10value_typeET4_T5_PSR_SS_PNS1_23onesweep_lookback_stateEbbT6_jjT7_P12ihipStream_tbENKUlT_T0_SG_SL_E_clIS7_S7_PlSB_EEDaSZ_S10_SG_SL_EUlSZ_E_NS1_11comp_targetILNS1_3genE8ELNS1_11target_archE1030ELNS1_3gpuE2ELNS1_3repE0EEENS1_47radix_sort_onesweep_sort_config_static_selectorELNS0_4arch9wavefront6targetE1EEEvSG_.uses_flat_scratch, 0
	.set _ZN7rocprim17ROCPRIM_400000_NS6detail17trampoline_kernelINS0_14default_configENS1_35radix_sort_onesweep_config_selectorIflEEZZNS1_29radix_sort_onesweep_iterationIS3_Lb0EPfS7_N6thrust23THRUST_200600_302600_NS10device_ptrIlEESB_jNS0_19identity_decomposerENS1_16block_id_wrapperIjLb1EEEEE10hipError_tT1_PNSt15iterator_traitsISG_E10value_typeET2_T3_PNSH_ISM_E10value_typeET4_T5_PSR_SS_PNS1_23onesweep_lookback_stateEbbT6_jjT7_P12ihipStream_tbENKUlT_T0_SG_SL_E_clIS7_S7_PlSB_EEDaSZ_S10_SG_SL_EUlSZ_E_NS1_11comp_targetILNS1_3genE8ELNS1_11target_archE1030ELNS1_3gpuE2ELNS1_3repE0EEENS1_47radix_sort_onesweep_sort_config_static_selectorELNS0_4arch9wavefront6targetE1EEEvSG_.has_dyn_sized_stack, 0
	.set _ZN7rocprim17ROCPRIM_400000_NS6detail17trampoline_kernelINS0_14default_configENS1_35radix_sort_onesweep_config_selectorIflEEZZNS1_29radix_sort_onesweep_iterationIS3_Lb0EPfS7_N6thrust23THRUST_200600_302600_NS10device_ptrIlEESB_jNS0_19identity_decomposerENS1_16block_id_wrapperIjLb1EEEEE10hipError_tT1_PNSt15iterator_traitsISG_E10value_typeET2_T3_PNSH_ISM_E10value_typeET4_T5_PSR_SS_PNS1_23onesweep_lookback_stateEbbT6_jjT7_P12ihipStream_tbENKUlT_T0_SG_SL_E_clIS7_S7_PlSB_EEDaSZ_S10_SG_SL_EUlSZ_E_NS1_11comp_targetILNS1_3genE8ELNS1_11target_archE1030ELNS1_3gpuE2ELNS1_3repE0EEENS1_47radix_sort_onesweep_sort_config_static_selectorELNS0_4arch9wavefront6targetE1EEEvSG_.has_recursion, 0
	.set _ZN7rocprim17ROCPRIM_400000_NS6detail17trampoline_kernelINS0_14default_configENS1_35radix_sort_onesweep_config_selectorIflEEZZNS1_29radix_sort_onesweep_iterationIS3_Lb0EPfS7_N6thrust23THRUST_200600_302600_NS10device_ptrIlEESB_jNS0_19identity_decomposerENS1_16block_id_wrapperIjLb1EEEEE10hipError_tT1_PNSt15iterator_traitsISG_E10value_typeET2_T3_PNSH_ISM_E10value_typeET4_T5_PSR_SS_PNS1_23onesweep_lookback_stateEbbT6_jjT7_P12ihipStream_tbENKUlT_T0_SG_SL_E_clIS7_S7_PlSB_EEDaSZ_S10_SG_SL_EUlSZ_E_NS1_11comp_targetILNS1_3genE8ELNS1_11target_archE1030ELNS1_3gpuE2ELNS1_3repE0EEENS1_47radix_sort_onesweep_sort_config_static_selectorELNS0_4arch9wavefront6targetE1EEEvSG_.has_indirect_call, 0
	.section	.AMDGPU.csdata,"",@progbits
; Kernel info:
; codeLenInByte = 0
; TotalNumSgprs: 4
; NumVgprs: 0
; ScratchSize: 0
; MemoryBound: 0
; FloatMode: 240
; IeeeMode: 1
; LDSByteSize: 0 bytes/workgroup (compile time only)
; SGPRBlocks: 0
; VGPRBlocks: 0
; NumSGPRsForWavesPerEU: 4
; NumVGPRsForWavesPerEU: 1
; Occupancy: 10
; WaveLimiterHint : 0
; COMPUTE_PGM_RSRC2:SCRATCH_EN: 0
; COMPUTE_PGM_RSRC2:USER_SGPR: 6
; COMPUTE_PGM_RSRC2:TRAP_HANDLER: 0
; COMPUTE_PGM_RSRC2:TGID_X_EN: 1
; COMPUTE_PGM_RSRC2:TGID_Y_EN: 0
; COMPUTE_PGM_RSRC2:TGID_Z_EN: 0
; COMPUTE_PGM_RSRC2:TIDIG_COMP_CNT: 0
	.section	.text._ZN7rocprim17ROCPRIM_400000_NS6detail17trampoline_kernelINS0_14default_configENS1_35radix_sort_onesweep_config_selectorIflEEZZNS1_29radix_sort_onesweep_iterationIS3_Lb0EPfS7_N6thrust23THRUST_200600_302600_NS10device_ptrIlEESB_jNS0_19identity_decomposerENS1_16block_id_wrapperIjLb0EEEEE10hipError_tT1_PNSt15iterator_traitsISG_E10value_typeET2_T3_PNSH_ISM_E10value_typeET4_T5_PSR_SS_PNS1_23onesweep_lookback_stateEbbT6_jjT7_P12ihipStream_tbENKUlT_T0_SG_SL_E_clIS7_S7_SB_SB_EEDaSZ_S10_SG_SL_EUlSZ_E_NS1_11comp_targetILNS1_3genE0ELNS1_11target_archE4294967295ELNS1_3gpuE0ELNS1_3repE0EEENS1_47radix_sort_onesweep_sort_config_static_selectorELNS0_4arch9wavefront6targetE1EEEvSG_,"axG",@progbits,_ZN7rocprim17ROCPRIM_400000_NS6detail17trampoline_kernelINS0_14default_configENS1_35radix_sort_onesweep_config_selectorIflEEZZNS1_29radix_sort_onesweep_iterationIS3_Lb0EPfS7_N6thrust23THRUST_200600_302600_NS10device_ptrIlEESB_jNS0_19identity_decomposerENS1_16block_id_wrapperIjLb0EEEEE10hipError_tT1_PNSt15iterator_traitsISG_E10value_typeET2_T3_PNSH_ISM_E10value_typeET4_T5_PSR_SS_PNS1_23onesweep_lookback_stateEbbT6_jjT7_P12ihipStream_tbENKUlT_T0_SG_SL_E_clIS7_S7_SB_SB_EEDaSZ_S10_SG_SL_EUlSZ_E_NS1_11comp_targetILNS1_3genE0ELNS1_11target_archE4294967295ELNS1_3gpuE0ELNS1_3repE0EEENS1_47radix_sort_onesweep_sort_config_static_selectorELNS0_4arch9wavefront6targetE1EEEvSG_,comdat
	.protected	_ZN7rocprim17ROCPRIM_400000_NS6detail17trampoline_kernelINS0_14default_configENS1_35radix_sort_onesweep_config_selectorIflEEZZNS1_29radix_sort_onesweep_iterationIS3_Lb0EPfS7_N6thrust23THRUST_200600_302600_NS10device_ptrIlEESB_jNS0_19identity_decomposerENS1_16block_id_wrapperIjLb0EEEEE10hipError_tT1_PNSt15iterator_traitsISG_E10value_typeET2_T3_PNSH_ISM_E10value_typeET4_T5_PSR_SS_PNS1_23onesweep_lookback_stateEbbT6_jjT7_P12ihipStream_tbENKUlT_T0_SG_SL_E_clIS7_S7_SB_SB_EEDaSZ_S10_SG_SL_EUlSZ_E_NS1_11comp_targetILNS1_3genE0ELNS1_11target_archE4294967295ELNS1_3gpuE0ELNS1_3repE0EEENS1_47radix_sort_onesweep_sort_config_static_selectorELNS0_4arch9wavefront6targetE1EEEvSG_ ; -- Begin function _ZN7rocprim17ROCPRIM_400000_NS6detail17trampoline_kernelINS0_14default_configENS1_35radix_sort_onesweep_config_selectorIflEEZZNS1_29radix_sort_onesweep_iterationIS3_Lb0EPfS7_N6thrust23THRUST_200600_302600_NS10device_ptrIlEESB_jNS0_19identity_decomposerENS1_16block_id_wrapperIjLb0EEEEE10hipError_tT1_PNSt15iterator_traitsISG_E10value_typeET2_T3_PNSH_ISM_E10value_typeET4_T5_PSR_SS_PNS1_23onesweep_lookback_stateEbbT6_jjT7_P12ihipStream_tbENKUlT_T0_SG_SL_E_clIS7_S7_SB_SB_EEDaSZ_S10_SG_SL_EUlSZ_E_NS1_11comp_targetILNS1_3genE0ELNS1_11target_archE4294967295ELNS1_3gpuE0ELNS1_3repE0EEENS1_47radix_sort_onesweep_sort_config_static_selectorELNS0_4arch9wavefront6targetE1EEEvSG_
	.globl	_ZN7rocprim17ROCPRIM_400000_NS6detail17trampoline_kernelINS0_14default_configENS1_35radix_sort_onesweep_config_selectorIflEEZZNS1_29radix_sort_onesweep_iterationIS3_Lb0EPfS7_N6thrust23THRUST_200600_302600_NS10device_ptrIlEESB_jNS0_19identity_decomposerENS1_16block_id_wrapperIjLb0EEEEE10hipError_tT1_PNSt15iterator_traitsISG_E10value_typeET2_T3_PNSH_ISM_E10value_typeET4_T5_PSR_SS_PNS1_23onesweep_lookback_stateEbbT6_jjT7_P12ihipStream_tbENKUlT_T0_SG_SL_E_clIS7_S7_SB_SB_EEDaSZ_S10_SG_SL_EUlSZ_E_NS1_11comp_targetILNS1_3genE0ELNS1_11target_archE4294967295ELNS1_3gpuE0ELNS1_3repE0EEENS1_47radix_sort_onesweep_sort_config_static_selectorELNS0_4arch9wavefront6targetE1EEEvSG_
	.p2align	8
	.type	_ZN7rocprim17ROCPRIM_400000_NS6detail17trampoline_kernelINS0_14default_configENS1_35radix_sort_onesweep_config_selectorIflEEZZNS1_29radix_sort_onesweep_iterationIS3_Lb0EPfS7_N6thrust23THRUST_200600_302600_NS10device_ptrIlEESB_jNS0_19identity_decomposerENS1_16block_id_wrapperIjLb0EEEEE10hipError_tT1_PNSt15iterator_traitsISG_E10value_typeET2_T3_PNSH_ISM_E10value_typeET4_T5_PSR_SS_PNS1_23onesweep_lookback_stateEbbT6_jjT7_P12ihipStream_tbENKUlT_T0_SG_SL_E_clIS7_S7_SB_SB_EEDaSZ_S10_SG_SL_EUlSZ_E_NS1_11comp_targetILNS1_3genE0ELNS1_11target_archE4294967295ELNS1_3gpuE0ELNS1_3repE0EEENS1_47radix_sort_onesweep_sort_config_static_selectorELNS0_4arch9wavefront6targetE1EEEvSG_,@function
_ZN7rocprim17ROCPRIM_400000_NS6detail17trampoline_kernelINS0_14default_configENS1_35radix_sort_onesweep_config_selectorIflEEZZNS1_29radix_sort_onesweep_iterationIS3_Lb0EPfS7_N6thrust23THRUST_200600_302600_NS10device_ptrIlEESB_jNS0_19identity_decomposerENS1_16block_id_wrapperIjLb0EEEEE10hipError_tT1_PNSt15iterator_traitsISG_E10value_typeET2_T3_PNSH_ISM_E10value_typeET4_T5_PSR_SS_PNS1_23onesweep_lookback_stateEbbT6_jjT7_P12ihipStream_tbENKUlT_T0_SG_SL_E_clIS7_S7_SB_SB_EEDaSZ_S10_SG_SL_EUlSZ_E_NS1_11comp_targetILNS1_3genE0ELNS1_11target_archE4294967295ELNS1_3gpuE0ELNS1_3repE0EEENS1_47radix_sort_onesweep_sort_config_static_selectorELNS0_4arch9wavefront6targetE1EEEvSG_: ; @_ZN7rocprim17ROCPRIM_400000_NS6detail17trampoline_kernelINS0_14default_configENS1_35radix_sort_onesweep_config_selectorIflEEZZNS1_29radix_sort_onesweep_iterationIS3_Lb0EPfS7_N6thrust23THRUST_200600_302600_NS10device_ptrIlEESB_jNS0_19identity_decomposerENS1_16block_id_wrapperIjLb0EEEEE10hipError_tT1_PNSt15iterator_traitsISG_E10value_typeET2_T3_PNSH_ISM_E10value_typeET4_T5_PSR_SS_PNS1_23onesweep_lookback_stateEbbT6_jjT7_P12ihipStream_tbENKUlT_T0_SG_SL_E_clIS7_S7_SB_SB_EEDaSZ_S10_SG_SL_EUlSZ_E_NS1_11comp_targetILNS1_3genE0ELNS1_11target_archE4294967295ELNS1_3gpuE0ELNS1_3repE0EEENS1_47radix_sort_onesweep_sort_config_static_selectorELNS0_4arch9wavefront6targetE1EEEvSG_
; %bb.0:
	.section	.rodata,"a",@progbits
	.p2align	6, 0x0
	.amdhsa_kernel _ZN7rocprim17ROCPRIM_400000_NS6detail17trampoline_kernelINS0_14default_configENS1_35radix_sort_onesweep_config_selectorIflEEZZNS1_29radix_sort_onesweep_iterationIS3_Lb0EPfS7_N6thrust23THRUST_200600_302600_NS10device_ptrIlEESB_jNS0_19identity_decomposerENS1_16block_id_wrapperIjLb0EEEEE10hipError_tT1_PNSt15iterator_traitsISG_E10value_typeET2_T3_PNSH_ISM_E10value_typeET4_T5_PSR_SS_PNS1_23onesweep_lookback_stateEbbT6_jjT7_P12ihipStream_tbENKUlT_T0_SG_SL_E_clIS7_S7_SB_SB_EEDaSZ_S10_SG_SL_EUlSZ_E_NS1_11comp_targetILNS1_3genE0ELNS1_11target_archE4294967295ELNS1_3gpuE0ELNS1_3repE0EEENS1_47radix_sort_onesweep_sort_config_static_selectorELNS0_4arch9wavefront6targetE1EEEvSG_
		.amdhsa_group_segment_fixed_size 0
		.amdhsa_private_segment_fixed_size 0
		.amdhsa_kernarg_size 88
		.amdhsa_user_sgpr_count 6
		.amdhsa_user_sgpr_private_segment_buffer 1
		.amdhsa_user_sgpr_dispatch_ptr 0
		.amdhsa_user_sgpr_queue_ptr 0
		.amdhsa_user_sgpr_kernarg_segment_ptr 1
		.amdhsa_user_sgpr_dispatch_id 0
		.amdhsa_user_sgpr_flat_scratch_init 0
		.amdhsa_user_sgpr_private_segment_size 0
		.amdhsa_uses_dynamic_stack 0
		.amdhsa_system_sgpr_private_segment_wavefront_offset 0
		.amdhsa_system_sgpr_workgroup_id_x 1
		.amdhsa_system_sgpr_workgroup_id_y 0
		.amdhsa_system_sgpr_workgroup_id_z 0
		.amdhsa_system_sgpr_workgroup_info 0
		.amdhsa_system_vgpr_workitem_id 0
		.amdhsa_next_free_vgpr 1
		.amdhsa_next_free_sgpr 0
		.amdhsa_reserve_vcc 0
		.amdhsa_reserve_flat_scratch 0
		.amdhsa_float_round_mode_32 0
		.amdhsa_float_round_mode_16_64 0
		.amdhsa_float_denorm_mode_32 3
		.amdhsa_float_denorm_mode_16_64 3
		.amdhsa_dx10_clamp 1
		.amdhsa_ieee_mode 1
		.amdhsa_fp16_overflow 0
		.amdhsa_exception_fp_ieee_invalid_op 0
		.amdhsa_exception_fp_denorm_src 0
		.amdhsa_exception_fp_ieee_div_zero 0
		.amdhsa_exception_fp_ieee_overflow 0
		.amdhsa_exception_fp_ieee_underflow 0
		.amdhsa_exception_fp_ieee_inexact 0
		.amdhsa_exception_int_div_zero 0
	.end_amdhsa_kernel
	.section	.text._ZN7rocprim17ROCPRIM_400000_NS6detail17trampoline_kernelINS0_14default_configENS1_35radix_sort_onesweep_config_selectorIflEEZZNS1_29radix_sort_onesweep_iterationIS3_Lb0EPfS7_N6thrust23THRUST_200600_302600_NS10device_ptrIlEESB_jNS0_19identity_decomposerENS1_16block_id_wrapperIjLb0EEEEE10hipError_tT1_PNSt15iterator_traitsISG_E10value_typeET2_T3_PNSH_ISM_E10value_typeET4_T5_PSR_SS_PNS1_23onesweep_lookback_stateEbbT6_jjT7_P12ihipStream_tbENKUlT_T0_SG_SL_E_clIS7_S7_SB_SB_EEDaSZ_S10_SG_SL_EUlSZ_E_NS1_11comp_targetILNS1_3genE0ELNS1_11target_archE4294967295ELNS1_3gpuE0ELNS1_3repE0EEENS1_47radix_sort_onesweep_sort_config_static_selectorELNS0_4arch9wavefront6targetE1EEEvSG_,"axG",@progbits,_ZN7rocprim17ROCPRIM_400000_NS6detail17trampoline_kernelINS0_14default_configENS1_35radix_sort_onesweep_config_selectorIflEEZZNS1_29radix_sort_onesweep_iterationIS3_Lb0EPfS7_N6thrust23THRUST_200600_302600_NS10device_ptrIlEESB_jNS0_19identity_decomposerENS1_16block_id_wrapperIjLb0EEEEE10hipError_tT1_PNSt15iterator_traitsISG_E10value_typeET2_T3_PNSH_ISM_E10value_typeET4_T5_PSR_SS_PNS1_23onesweep_lookback_stateEbbT6_jjT7_P12ihipStream_tbENKUlT_T0_SG_SL_E_clIS7_S7_SB_SB_EEDaSZ_S10_SG_SL_EUlSZ_E_NS1_11comp_targetILNS1_3genE0ELNS1_11target_archE4294967295ELNS1_3gpuE0ELNS1_3repE0EEENS1_47radix_sort_onesweep_sort_config_static_selectorELNS0_4arch9wavefront6targetE1EEEvSG_,comdat
.Lfunc_end1861:
	.size	_ZN7rocprim17ROCPRIM_400000_NS6detail17trampoline_kernelINS0_14default_configENS1_35radix_sort_onesweep_config_selectorIflEEZZNS1_29radix_sort_onesweep_iterationIS3_Lb0EPfS7_N6thrust23THRUST_200600_302600_NS10device_ptrIlEESB_jNS0_19identity_decomposerENS1_16block_id_wrapperIjLb0EEEEE10hipError_tT1_PNSt15iterator_traitsISG_E10value_typeET2_T3_PNSH_ISM_E10value_typeET4_T5_PSR_SS_PNS1_23onesweep_lookback_stateEbbT6_jjT7_P12ihipStream_tbENKUlT_T0_SG_SL_E_clIS7_S7_SB_SB_EEDaSZ_S10_SG_SL_EUlSZ_E_NS1_11comp_targetILNS1_3genE0ELNS1_11target_archE4294967295ELNS1_3gpuE0ELNS1_3repE0EEENS1_47radix_sort_onesweep_sort_config_static_selectorELNS0_4arch9wavefront6targetE1EEEvSG_, .Lfunc_end1861-_ZN7rocprim17ROCPRIM_400000_NS6detail17trampoline_kernelINS0_14default_configENS1_35radix_sort_onesweep_config_selectorIflEEZZNS1_29radix_sort_onesweep_iterationIS3_Lb0EPfS7_N6thrust23THRUST_200600_302600_NS10device_ptrIlEESB_jNS0_19identity_decomposerENS1_16block_id_wrapperIjLb0EEEEE10hipError_tT1_PNSt15iterator_traitsISG_E10value_typeET2_T3_PNSH_ISM_E10value_typeET4_T5_PSR_SS_PNS1_23onesweep_lookback_stateEbbT6_jjT7_P12ihipStream_tbENKUlT_T0_SG_SL_E_clIS7_S7_SB_SB_EEDaSZ_S10_SG_SL_EUlSZ_E_NS1_11comp_targetILNS1_3genE0ELNS1_11target_archE4294967295ELNS1_3gpuE0ELNS1_3repE0EEENS1_47radix_sort_onesweep_sort_config_static_selectorELNS0_4arch9wavefront6targetE1EEEvSG_
                                        ; -- End function
	.set _ZN7rocprim17ROCPRIM_400000_NS6detail17trampoline_kernelINS0_14default_configENS1_35radix_sort_onesweep_config_selectorIflEEZZNS1_29radix_sort_onesweep_iterationIS3_Lb0EPfS7_N6thrust23THRUST_200600_302600_NS10device_ptrIlEESB_jNS0_19identity_decomposerENS1_16block_id_wrapperIjLb0EEEEE10hipError_tT1_PNSt15iterator_traitsISG_E10value_typeET2_T3_PNSH_ISM_E10value_typeET4_T5_PSR_SS_PNS1_23onesweep_lookback_stateEbbT6_jjT7_P12ihipStream_tbENKUlT_T0_SG_SL_E_clIS7_S7_SB_SB_EEDaSZ_S10_SG_SL_EUlSZ_E_NS1_11comp_targetILNS1_3genE0ELNS1_11target_archE4294967295ELNS1_3gpuE0ELNS1_3repE0EEENS1_47radix_sort_onesweep_sort_config_static_selectorELNS0_4arch9wavefront6targetE1EEEvSG_.num_vgpr, 0
	.set _ZN7rocprim17ROCPRIM_400000_NS6detail17trampoline_kernelINS0_14default_configENS1_35radix_sort_onesweep_config_selectorIflEEZZNS1_29radix_sort_onesweep_iterationIS3_Lb0EPfS7_N6thrust23THRUST_200600_302600_NS10device_ptrIlEESB_jNS0_19identity_decomposerENS1_16block_id_wrapperIjLb0EEEEE10hipError_tT1_PNSt15iterator_traitsISG_E10value_typeET2_T3_PNSH_ISM_E10value_typeET4_T5_PSR_SS_PNS1_23onesweep_lookback_stateEbbT6_jjT7_P12ihipStream_tbENKUlT_T0_SG_SL_E_clIS7_S7_SB_SB_EEDaSZ_S10_SG_SL_EUlSZ_E_NS1_11comp_targetILNS1_3genE0ELNS1_11target_archE4294967295ELNS1_3gpuE0ELNS1_3repE0EEENS1_47radix_sort_onesweep_sort_config_static_selectorELNS0_4arch9wavefront6targetE1EEEvSG_.num_agpr, 0
	.set _ZN7rocprim17ROCPRIM_400000_NS6detail17trampoline_kernelINS0_14default_configENS1_35radix_sort_onesweep_config_selectorIflEEZZNS1_29radix_sort_onesweep_iterationIS3_Lb0EPfS7_N6thrust23THRUST_200600_302600_NS10device_ptrIlEESB_jNS0_19identity_decomposerENS1_16block_id_wrapperIjLb0EEEEE10hipError_tT1_PNSt15iterator_traitsISG_E10value_typeET2_T3_PNSH_ISM_E10value_typeET4_T5_PSR_SS_PNS1_23onesweep_lookback_stateEbbT6_jjT7_P12ihipStream_tbENKUlT_T0_SG_SL_E_clIS7_S7_SB_SB_EEDaSZ_S10_SG_SL_EUlSZ_E_NS1_11comp_targetILNS1_3genE0ELNS1_11target_archE4294967295ELNS1_3gpuE0ELNS1_3repE0EEENS1_47radix_sort_onesweep_sort_config_static_selectorELNS0_4arch9wavefront6targetE1EEEvSG_.numbered_sgpr, 0
	.set _ZN7rocprim17ROCPRIM_400000_NS6detail17trampoline_kernelINS0_14default_configENS1_35radix_sort_onesweep_config_selectorIflEEZZNS1_29radix_sort_onesweep_iterationIS3_Lb0EPfS7_N6thrust23THRUST_200600_302600_NS10device_ptrIlEESB_jNS0_19identity_decomposerENS1_16block_id_wrapperIjLb0EEEEE10hipError_tT1_PNSt15iterator_traitsISG_E10value_typeET2_T3_PNSH_ISM_E10value_typeET4_T5_PSR_SS_PNS1_23onesweep_lookback_stateEbbT6_jjT7_P12ihipStream_tbENKUlT_T0_SG_SL_E_clIS7_S7_SB_SB_EEDaSZ_S10_SG_SL_EUlSZ_E_NS1_11comp_targetILNS1_3genE0ELNS1_11target_archE4294967295ELNS1_3gpuE0ELNS1_3repE0EEENS1_47radix_sort_onesweep_sort_config_static_selectorELNS0_4arch9wavefront6targetE1EEEvSG_.num_named_barrier, 0
	.set _ZN7rocprim17ROCPRIM_400000_NS6detail17trampoline_kernelINS0_14default_configENS1_35radix_sort_onesweep_config_selectorIflEEZZNS1_29radix_sort_onesweep_iterationIS3_Lb0EPfS7_N6thrust23THRUST_200600_302600_NS10device_ptrIlEESB_jNS0_19identity_decomposerENS1_16block_id_wrapperIjLb0EEEEE10hipError_tT1_PNSt15iterator_traitsISG_E10value_typeET2_T3_PNSH_ISM_E10value_typeET4_T5_PSR_SS_PNS1_23onesweep_lookback_stateEbbT6_jjT7_P12ihipStream_tbENKUlT_T0_SG_SL_E_clIS7_S7_SB_SB_EEDaSZ_S10_SG_SL_EUlSZ_E_NS1_11comp_targetILNS1_3genE0ELNS1_11target_archE4294967295ELNS1_3gpuE0ELNS1_3repE0EEENS1_47radix_sort_onesweep_sort_config_static_selectorELNS0_4arch9wavefront6targetE1EEEvSG_.private_seg_size, 0
	.set _ZN7rocprim17ROCPRIM_400000_NS6detail17trampoline_kernelINS0_14default_configENS1_35radix_sort_onesweep_config_selectorIflEEZZNS1_29radix_sort_onesweep_iterationIS3_Lb0EPfS7_N6thrust23THRUST_200600_302600_NS10device_ptrIlEESB_jNS0_19identity_decomposerENS1_16block_id_wrapperIjLb0EEEEE10hipError_tT1_PNSt15iterator_traitsISG_E10value_typeET2_T3_PNSH_ISM_E10value_typeET4_T5_PSR_SS_PNS1_23onesweep_lookback_stateEbbT6_jjT7_P12ihipStream_tbENKUlT_T0_SG_SL_E_clIS7_S7_SB_SB_EEDaSZ_S10_SG_SL_EUlSZ_E_NS1_11comp_targetILNS1_3genE0ELNS1_11target_archE4294967295ELNS1_3gpuE0ELNS1_3repE0EEENS1_47radix_sort_onesweep_sort_config_static_selectorELNS0_4arch9wavefront6targetE1EEEvSG_.uses_vcc, 0
	.set _ZN7rocprim17ROCPRIM_400000_NS6detail17trampoline_kernelINS0_14default_configENS1_35radix_sort_onesweep_config_selectorIflEEZZNS1_29radix_sort_onesweep_iterationIS3_Lb0EPfS7_N6thrust23THRUST_200600_302600_NS10device_ptrIlEESB_jNS0_19identity_decomposerENS1_16block_id_wrapperIjLb0EEEEE10hipError_tT1_PNSt15iterator_traitsISG_E10value_typeET2_T3_PNSH_ISM_E10value_typeET4_T5_PSR_SS_PNS1_23onesweep_lookback_stateEbbT6_jjT7_P12ihipStream_tbENKUlT_T0_SG_SL_E_clIS7_S7_SB_SB_EEDaSZ_S10_SG_SL_EUlSZ_E_NS1_11comp_targetILNS1_3genE0ELNS1_11target_archE4294967295ELNS1_3gpuE0ELNS1_3repE0EEENS1_47radix_sort_onesweep_sort_config_static_selectorELNS0_4arch9wavefront6targetE1EEEvSG_.uses_flat_scratch, 0
	.set _ZN7rocprim17ROCPRIM_400000_NS6detail17trampoline_kernelINS0_14default_configENS1_35radix_sort_onesweep_config_selectorIflEEZZNS1_29radix_sort_onesweep_iterationIS3_Lb0EPfS7_N6thrust23THRUST_200600_302600_NS10device_ptrIlEESB_jNS0_19identity_decomposerENS1_16block_id_wrapperIjLb0EEEEE10hipError_tT1_PNSt15iterator_traitsISG_E10value_typeET2_T3_PNSH_ISM_E10value_typeET4_T5_PSR_SS_PNS1_23onesweep_lookback_stateEbbT6_jjT7_P12ihipStream_tbENKUlT_T0_SG_SL_E_clIS7_S7_SB_SB_EEDaSZ_S10_SG_SL_EUlSZ_E_NS1_11comp_targetILNS1_3genE0ELNS1_11target_archE4294967295ELNS1_3gpuE0ELNS1_3repE0EEENS1_47radix_sort_onesweep_sort_config_static_selectorELNS0_4arch9wavefront6targetE1EEEvSG_.has_dyn_sized_stack, 0
	.set _ZN7rocprim17ROCPRIM_400000_NS6detail17trampoline_kernelINS0_14default_configENS1_35radix_sort_onesweep_config_selectorIflEEZZNS1_29radix_sort_onesweep_iterationIS3_Lb0EPfS7_N6thrust23THRUST_200600_302600_NS10device_ptrIlEESB_jNS0_19identity_decomposerENS1_16block_id_wrapperIjLb0EEEEE10hipError_tT1_PNSt15iterator_traitsISG_E10value_typeET2_T3_PNSH_ISM_E10value_typeET4_T5_PSR_SS_PNS1_23onesweep_lookback_stateEbbT6_jjT7_P12ihipStream_tbENKUlT_T0_SG_SL_E_clIS7_S7_SB_SB_EEDaSZ_S10_SG_SL_EUlSZ_E_NS1_11comp_targetILNS1_3genE0ELNS1_11target_archE4294967295ELNS1_3gpuE0ELNS1_3repE0EEENS1_47radix_sort_onesweep_sort_config_static_selectorELNS0_4arch9wavefront6targetE1EEEvSG_.has_recursion, 0
	.set _ZN7rocprim17ROCPRIM_400000_NS6detail17trampoline_kernelINS0_14default_configENS1_35radix_sort_onesweep_config_selectorIflEEZZNS1_29radix_sort_onesweep_iterationIS3_Lb0EPfS7_N6thrust23THRUST_200600_302600_NS10device_ptrIlEESB_jNS0_19identity_decomposerENS1_16block_id_wrapperIjLb0EEEEE10hipError_tT1_PNSt15iterator_traitsISG_E10value_typeET2_T3_PNSH_ISM_E10value_typeET4_T5_PSR_SS_PNS1_23onesweep_lookback_stateEbbT6_jjT7_P12ihipStream_tbENKUlT_T0_SG_SL_E_clIS7_S7_SB_SB_EEDaSZ_S10_SG_SL_EUlSZ_E_NS1_11comp_targetILNS1_3genE0ELNS1_11target_archE4294967295ELNS1_3gpuE0ELNS1_3repE0EEENS1_47radix_sort_onesweep_sort_config_static_selectorELNS0_4arch9wavefront6targetE1EEEvSG_.has_indirect_call, 0
	.section	.AMDGPU.csdata,"",@progbits
; Kernel info:
; codeLenInByte = 0
; TotalNumSgprs: 4
; NumVgprs: 0
; ScratchSize: 0
; MemoryBound: 0
; FloatMode: 240
; IeeeMode: 1
; LDSByteSize: 0 bytes/workgroup (compile time only)
; SGPRBlocks: 0
; VGPRBlocks: 0
; NumSGPRsForWavesPerEU: 4
; NumVGPRsForWavesPerEU: 1
; Occupancy: 10
; WaveLimiterHint : 0
; COMPUTE_PGM_RSRC2:SCRATCH_EN: 0
; COMPUTE_PGM_RSRC2:USER_SGPR: 6
; COMPUTE_PGM_RSRC2:TRAP_HANDLER: 0
; COMPUTE_PGM_RSRC2:TGID_X_EN: 1
; COMPUTE_PGM_RSRC2:TGID_Y_EN: 0
; COMPUTE_PGM_RSRC2:TGID_Z_EN: 0
; COMPUTE_PGM_RSRC2:TIDIG_COMP_CNT: 0
	.section	.text._ZN7rocprim17ROCPRIM_400000_NS6detail17trampoline_kernelINS0_14default_configENS1_35radix_sort_onesweep_config_selectorIflEEZZNS1_29radix_sort_onesweep_iterationIS3_Lb0EPfS7_N6thrust23THRUST_200600_302600_NS10device_ptrIlEESB_jNS0_19identity_decomposerENS1_16block_id_wrapperIjLb0EEEEE10hipError_tT1_PNSt15iterator_traitsISG_E10value_typeET2_T3_PNSH_ISM_E10value_typeET4_T5_PSR_SS_PNS1_23onesweep_lookback_stateEbbT6_jjT7_P12ihipStream_tbENKUlT_T0_SG_SL_E_clIS7_S7_SB_SB_EEDaSZ_S10_SG_SL_EUlSZ_E_NS1_11comp_targetILNS1_3genE6ELNS1_11target_archE950ELNS1_3gpuE13ELNS1_3repE0EEENS1_47radix_sort_onesweep_sort_config_static_selectorELNS0_4arch9wavefront6targetE1EEEvSG_,"axG",@progbits,_ZN7rocprim17ROCPRIM_400000_NS6detail17trampoline_kernelINS0_14default_configENS1_35radix_sort_onesweep_config_selectorIflEEZZNS1_29radix_sort_onesweep_iterationIS3_Lb0EPfS7_N6thrust23THRUST_200600_302600_NS10device_ptrIlEESB_jNS0_19identity_decomposerENS1_16block_id_wrapperIjLb0EEEEE10hipError_tT1_PNSt15iterator_traitsISG_E10value_typeET2_T3_PNSH_ISM_E10value_typeET4_T5_PSR_SS_PNS1_23onesweep_lookback_stateEbbT6_jjT7_P12ihipStream_tbENKUlT_T0_SG_SL_E_clIS7_S7_SB_SB_EEDaSZ_S10_SG_SL_EUlSZ_E_NS1_11comp_targetILNS1_3genE6ELNS1_11target_archE950ELNS1_3gpuE13ELNS1_3repE0EEENS1_47radix_sort_onesweep_sort_config_static_selectorELNS0_4arch9wavefront6targetE1EEEvSG_,comdat
	.protected	_ZN7rocprim17ROCPRIM_400000_NS6detail17trampoline_kernelINS0_14default_configENS1_35radix_sort_onesweep_config_selectorIflEEZZNS1_29radix_sort_onesweep_iterationIS3_Lb0EPfS7_N6thrust23THRUST_200600_302600_NS10device_ptrIlEESB_jNS0_19identity_decomposerENS1_16block_id_wrapperIjLb0EEEEE10hipError_tT1_PNSt15iterator_traitsISG_E10value_typeET2_T3_PNSH_ISM_E10value_typeET4_T5_PSR_SS_PNS1_23onesweep_lookback_stateEbbT6_jjT7_P12ihipStream_tbENKUlT_T0_SG_SL_E_clIS7_S7_SB_SB_EEDaSZ_S10_SG_SL_EUlSZ_E_NS1_11comp_targetILNS1_3genE6ELNS1_11target_archE950ELNS1_3gpuE13ELNS1_3repE0EEENS1_47radix_sort_onesweep_sort_config_static_selectorELNS0_4arch9wavefront6targetE1EEEvSG_ ; -- Begin function _ZN7rocprim17ROCPRIM_400000_NS6detail17trampoline_kernelINS0_14default_configENS1_35radix_sort_onesweep_config_selectorIflEEZZNS1_29radix_sort_onesweep_iterationIS3_Lb0EPfS7_N6thrust23THRUST_200600_302600_NS10device_ptrIlEESB_jNS0_19identity_decomposerENS1_16block_id_wrapperIjLb0EEEEE10hipError_tT1_PNSt15iterator_traitsISG_E10value_typeET2_T3_PNSH_ISM_E10value_typeET4_T5_PSR_SS_PNS1_23onesweep_lookback_stateEbbT6_jjT7_P12ihipStream_tbENKUlT_T0_SG_SL_E_clIS7_S7_SB_SB_EEDaSZ_S10_SG_SL_EUlSZ_E_NS1_11comp_targetILNS1_3genE6ELNS1_11target_archE950ELNS1_3gpuE13ELNS1_3repE0EEENS1_47radix_sort_onesweep_sort_config_static_selectorELNS0_4arch9wavefront6targetE1EEEvSG_
	.globl	_ZN7rocprim17ROCPRIM_400000_NS6detail17trampoline_kernelINS0_14default_configENS1_35radix_sort_onesweep_config_selectorIflEEZZNS1_29radix_sort_onesweep_iterationIS3_Lb0EPfS7_N6thrust23THRUST_200600_302600_NS10device_ptrIlEESB_jNS0_19identity_decomposerENS1_16block_id_wrapperIjLb0EEEEE10hipError_tT1_PNSt15iterator_traitsISG_E10value_typeET2_T3_PNSH_ISM_E10value_typeET4_T5_PSR_SS_PNS1_23onesweep_lookback_stateEbbT6_jjT7_P12ihipStream_tbENKUlT_T0_SG_SL_E_clIS7_S7_SB_SB_EEDaSZ_S10_SG_SL_EUlSZ_E_NS1_11comp_targetILNS1_3genE6ELNS1_11target_archE950ELNS1_3gpuE13ELNS1_3repE0EEENS1_47radix_sort_onesweep_sort_config_static_selectorELNS0_4arch9wavefront6targetE1EEEvSG_
	.p2align	8
	.type	_ZN7rocprim17ROCPRIM_400000_NS6detail17trampoline_kernelINS0_14default_configENS1_35radix_sort_onesweep_config_selectorIflEEZZNS1_29radix_sort_onesweep_iterationIS3_Lb0EPfS7_N6thrust23THRUST_200600_302600_NS10device_ptrIlEESB_jNS0_19identity_decomposerENS1_16block_id_wrapperIjLb0EEEEE10hipError_tT1_PNSt15iterator_traitsISG_E10value_typeET2_T3_PNSH_ISM_E10value_typeET4_T5_PSR_SS_PNS1_23onesweep_lookback_stateEbbT6_jjT7_P12ihipStream_tbENKUlT_T0_SG_SL_E_clIS7_S7_SB_SB_EEDaSZ_S10_SG_SL_EUlSZ_E_NS1_11comp_targetILNS1_3genE6ELNS1_11target_archE950ELNS1_3gpuE13ELNS1_3repE0EEENS1_47radix_sort_onesweep_sort_config_static_selectorELNS0_4arch9wavefront6targetE1EEEvSG_,@function
_ZN7rocprim17ROCPRIM_400000_NS6detail17trampoline_kernelINS0_14default_configENS1_35radix_sort_onesweep_config_selectorIflEEZZNS1_29radix_sort_onesweep_iterationIS3_Lb0EPfS7_N6thrust23THRUST_200600_302600_NS10device_ptrIlEESB_jNS0_19identity_decomposerENS1_16block_id_wrapperIjLb0EEEEE10hipError_tT1_PNSt15iterator_traitsISG_E10value_typeET2_T3_PNSH_ISM_E10value_typeET4_T5_PSR_SS_PNS1_23onesweep_lookback_stateEbbT6_jjT7_P12ihipStream_tbENKUlT_T0_SG_SL_E_clIS7_S7_SB_SB_EEDaSZ_S10_SG_SL_EUlSZ_E_NS1_11comp_targetILNS1_3genE6ELNS1_11target_archE950ELNS1_3gpuE13ELNS1_3repE0EEENS1_47radix_sort_onesweep_sort_config_static_selectorELNS0_4arch9wavefront6targetE1EEEvSG_: ; @_ZN7rocprim17ROCPRIM_400000_NS6detail17trampoline_kernelINS0_14default_configENS1_35radix_sort_onesweep_config_selectorIflEEZZNS1_29radix_sort_onesweep_iterationIS3_Lb0EPfS7_N6thrust23THRUST_200600_302600_NS10device_ptrIlEESB_jNS0_19identity_decomposerENS1_16block_id_wrapperIjLb0EEEEE10hipError_tT1_PNSt15iterator_traitsISG_E10value_typeET2_T3_PNSH_ISM_E10value_typeET4_T5_PSR_SS_PNS1_23onesweep_lookback_stateEbbT6_jjT7_P12ihipStream_tbENKUlT_T0_SG_SL_E_clIS7_S7_SB_SB_EEDaSZ_S10_SG_SL_EUlSZ_E_NS1_11comp_targetILNS1_3genE6ELNS1_11target_archE950ELNS1_3gpuE13ELNS1_3repE0EEENS1_47radix_sort_onesweep_sort_config_static_selectorELNS0_4arch9wavefront6targetE1EEEvSG_
; %bb.0:
	.section	.rodata,"a",@progbits
	.p2align	6, 0x0
	.amdhsa_kernel _ZN7rocprim17ROCPRIM_400000_NS6detail17trampoline_kernelINS0_14default_configENS1_35radix_sort_onesweep_config_selectorIflEEZZNS1_29radix_sort_onesweep_iterationIS3_Lb0EPfS7_N6thrust23THRUST_200600_302600_NS10device_ptrIlEESB_jNS0_19identity_decomposerENS1_16block_id_wrapperIjLb0EEEEE10hipError_tT1_PNSt15iterator_traitsISG_E10value_typeET2_T3_PNSH_ISM_E10value_typeET4_T5_PSR_SS_PNS1_23onesweep_lookback_stateEbbT6_jjT7_P12ihipStream_tbENKUlT_T0_SG_SL_E_clIS7_S7_SB_SB_EEDaSZ_S10_SG_SL_EUlSZ_E_NS1_11comp_targetILNS1_3genE6ELNS1_11target_archE950ELNS1_3gpuE13ELNS1_3repE0EEENS1_47radix_sort_onesweep_sort_config_static_selectorELNS0_4arch9wavefront6targetE1EEEvSG_
		.amdhsa_group_segment_fixed_size 0
		.amdhsa_private_segment_fixed_size 0
		.amdhsa_kernarg_size 88
		.amdhsa_user_sgpr_count 6
		.amdhsa_user_sgpr_private_segment_buffer 1
		.amdhsa_user_sgpr_dispatch_ptr 0
		.amdhsa_user_sgpr_queue_ptr 0
		.amdhsa_user_sgpr_kernarg_segment_ptr 1
		.amdhsa_user_sgpr_dispatch_id 0
		.amdhsa_user_sgpr_flat_scratch_init 0
		.amdhsa_user_sgpr_private_segment_size 0
		.amdhsa_uses_dynamic_stack 0
		.amdhsa_system_sgpr_private_segment_wavefront_offset 0
		.amdhsa_system_sgpr_workgroup_id_x 1
		.amdhsa_system_sgpr_workgroup_id_y 0
		.amdhsa_system_sgpr_workgroup_id_z 0
		.amdhsa_system_sgpr_workgroup_info 0
		.amdhsa_system_vgpr_workitem_id 0
		.amdhsa_next_free_vgpr 1
		.amdhsa_next_free_sgpr 0
		.amdhsa_reserve_vcc 0
		.amdhsa_reserve_flat_scratch 0
		.amdhsa_float_round_mode_32 0
		.amdhsa_float_round_mode_16_64 0
		.amdhsa_float_denorm_mode_32 3
		.amdhsa_float_denorm_mode_16_64 3
		.amdhsa_dx10_clamp 1
		.amdhsa_ieee_mode 1
		.amdhsa_fp16_overflow 0
		.amdhsa_exception_fp_ieee_invalid_op 0
		.amdhsa_exception_fp_denorm_src 0
		.amdhsa_exception_fp_ieee_div_zero 0
		.amdhsa_exception_fp_ieee_overflow 0
		.amdhsa_exception_fp_ieee_underflow 0
		.amdhsa_exception_fp_ieee_inexact 0
		.amdhsa_exception_int_div_zero 0
	.end_amdhsa_kernel
	.section	.text._ZN7rocprim17ROCPRIM_400000_NS6detail17trampoline_kernelINS0_14default_configENS1_35radix_sort_onesweep_config_selectorIflEEZZNS1_29radix_sort_onesweep_iterationIS3_Lb0EPfS7_N6thrust23THRUST_200600_302600_NS10device_ptrIlEESB_jNS0_19identity_decomposerENS1_16block_id_wrapperIjLb0EEEEE10hipError_tT1_PNSt15iterator_traitsISG_E10value_typeET2_T3_PNSH_ISM_E10value_typeET4_T5_PSR_SS_PNS1_23onesweep_lookback_stateEbbT6_jjT7_P12ihipStream_tbENKUlT_T0_SG_SL_E_clIS7_S7_SB_SB_EEDaSZ_S10_SG_SL_EUlSZ_E_NS1_11comp_targetILNS1_3genE6ELNS1_11target_archE950ELNS1_3gpuE13ELNS1_3repE0EEENS1_47radix_sort_onesweep_sort_config_static_selectorELNS0_4arch9wavefront6targetE1EEEvSG_,"axG",@progbits,_ZN7rocprim17ROCPRIM_400000_NS6detail17trampoline_kernelINS0_14default_configENS1_35radix_sort_onesweep_config_selectorIflEEZZNS1_29radix_sort_onesweep_iterationIS3_Lb0EPfS7_N6thrust23THRUST_200600_302600_NS10device_ptrIlEESB_jNS0_19identity_decomposerENS1_16block_id_wrapperIjLb0EEEEE10hipError_tT1_PNSt15iterator_traitsISG_E10value_typeET2_T3_PNSH_ISM_E10value_typeET4_T5_PSR_SS_PNS1_23onesweep_lookback_stateEbbT6_jjT7_P12ihipStream_tbENKUlT_T0_SG_SL_E_clIS7_S7_SB_SB_EEDaSZ_S10_SG_SL_EUlSZ_E_NS1_11comp_targetILNS1_3genE6ELNS1_11target_archE950ELNS1_3gpuE13ELNS1_3repE0EEENS1_47radix_sort_onesweep_sort_config_static_selectorELNS0_4arch9wavefront6targetE1EEEvSG_,comdat
.Lfunc_end1862:
	.size	_ZN7rocprim17ROCPRIM_400000_NS6detail17trampoline_kernelINS0_14default_configENS1_35radix_sort_onesweep_config_selectorIflEEZZNS1_29radix_sort_onesweep_iterationIS3_Lb0EPfS7_N6thrust23THRUST_200600_302600_NS10device_ptrIlEESB_jNS0_19identity_decomposerENS1_16block_id_wrapperIjLb0EEEEE10hipError_tT1_PNSt15iterator_traitsISG_E10value_typeET2_T3_PNSH_ISM_E10value_typeET4_T5_PSR_SS_PNS1_23onesweep_lookback_stateEbbT6_jjT7_P12ihipStream_tbENKUlT_T0_SG_SL_E_clIS7_S7_SB_SB_EEDaSZ_S10_SG_SL_EUlSZ_E_NS1_11comp_targetILNS1_3genE6ELNS1_11target_archE950ELNS1_3gpuE13ELNS1_3repE0EEENS1_47radix_sort_onesweep_sort_config_static_selectorELNS0_4arch9wavefront6targetE1EEEvSG_, .Lfunc_end1862-_ZN7rocprim17ROCPRIM_400000_NS6detail17trampoline_kernelINS0_14default_configENS1_35radix_sort_onesweep_config_selectorIflEEZZNS1_29radix_sort_onesweep_iterationIS3_Lb0EPfS7_N6thrust23THRUST_200600_302600_NS10device_ptrIlEESB_jNS0_19identity_decomposerENS1_16block_id_wrapperIjLb0EEEEE10hipError_tT1_PNSt15iterator_traitsISG_E10value_typeET2_T3_PNSH_ISM_E10value_typeET4_T5_PSR_SS_PNS1_23onesweep_lookback_stateEbbT6_jjT7_P12ihipStream_tbENKUlT_T0_SG_SL_E_clIS7_S7_SB_SB_EEDaSZ_S10_SG_SL_EUlSZ_E_NS1_11comp_targetILNS1_3genE6ELNS1_11target_archE950ELNS1_3gpuE13ELNS1_3repE0EEENS1_47radix_sort_onesweep_sort_config_static_selectorELNS0_4arch9wavefront6targetE1EEEvSG_
                                        ; -- End function
	.set _ZN7rocprim17ROCPRIM_400000_NS6detail17trampoline_kernelINS0_14default_configENS1_35radix_sort_onesweep_config_selectorIflEEZZNS1_29radix_sort_onesweep_iterationIS3_Lb0EPfS7_N6thrust23THRUST_200600_302600_NS10device_ptrIlEESB_jNS0_19identity_decomposerENS1_16block_id_wrapperIjLb0EEEEE10hipError_tT1_PNSt15iterator_traitsISG_E10value_typeET2_T3_PNSH_ISM_E10value_typeET4_T5_PSR_SS_PNS1_23onesweep_lookback_stateEbbT6_jjT7_P12ihipStream_tbENKUlT_T0_SG_SL_E_clIS7_S7_SB_SB_EEDaSZ_S10_SG_SL_EUlSZ_E_NS1_11comp_targetILNS1_3genE6ELNS1_11target_archE950ELNS1_3gpuE13ELNS1_3repE0EEENS1_47radix_sort_onesweep_sort_config_static_selectorELNS0_4arch9wavefront6targetE1EEEvSG_.num_vgpr, 0
	.set _ZN7rocprim17ROCPRIM_400000_NS6detail17trampoline_kernelINS0_14default_configENS1_35radix_sort_onesweep_config_selectorIflEEZZNS1_29radix_sort_onesweep_iterationIS3_Lb0EPfS7_N6thrust23THRUST_200600_302600_NS10device_ptrIlEESB_jNS0_19identity_decomposerENS1_16block_id_wrapperIjLb0EEEEE10hipError_tT1_PNSt15iterator_traitsISG_E10value_typeET2_T3_PNSH_ISM_E10value_typeET4_T5_PSR_SS_PNS1_23onesweep_lookback_stateEbbT6_jjT7_P12ihipStream_tbENKUlT_T0_SG_SL_E_clIS7_S7_SB_SB_EEDaSZ_S10_SG_SL_EUlSZ_E_NS1_11comp_targetILNS1_3genE6ELNS1_11target_archE950ELNS1_3gpuE13ELNS1_3repE0EEENS1_47radix_sort_onesweep_sort_config_static_selectorELNS0_4arch9wavefront6targetE1EEEvSG_.num_agpr, 0
	.set _ZN7rocprim17ROCPRIM_400000_NS6detail17trampoline_kernelINS0_14default_configENS1_35radix_sort_onesweep_config_selectorIflEEZZNS1_29radix_sort_onesweep_iterationIS3_Lb0EPfS7_N6thrust23THRUST_200600_302600_NS10device_ptrIlEESB_jNS0_19identity_decomposerENS1_16block_id_wrapperIjLb0EEEEE10hipError_tT1_PNSt15iterator_traitsISG_E10value_typeET2_T3_PNSH_ISM_E10value_typeET4_T5_PSR_SS_PNS1_23onesweep_lookback_stateEbbT6_jjT7_P12ihipStream_tbENKUlT_T0_SG_SL_E_clIS7_S7_SB_SB_EEDaSZ_S10_SG_SL_EUlSZ_E_NS1_11comp_targetILNS1_3genE6ELNS1_11target_archE950ELNS1_3gpuE13ELNS1_3repE0EEENS1_47radix_sort_onesweep_sort_config_static_selectorELNS0_4arch9wavefront6targetE1EEEvSG_.numbered_sgpr, 0
	.set _ZN7rocprim17ROCPRIM_400000_NS6detail17trampoline_kernelINS0_14default_configENS1_35radix_sort_onesweep_config_selectorIflEEZZNS1_29radix_sort_onesweep_iterationIS3_Lb0EPfS7_N6thrust23THRUST_200600_302600_NS10device_ptrIlEESB_jNS0_19identity_decomposerENS1_16block_id_wrapperIjLb0EEEEE10hipError_tT1_PNSt15iterator_traitsISG_E10value_typeET2_T3_PNSH_ISM_E10value_typeET4_T5_PSR_SS_PNS1_23onesweep_lookback_stateEbbT6_jjT7_P12ihipStream_tbENKUlT_T0_SG_SL_E_clIS7_S7_SB_SB_EEDaSZ_S10_SG_SL_EUlSZ_E_NS1_11comp_targetILNS1_3genE6ELNS1_11target_archE950ELNS1_3gpuE13ELNS1_3repE0EEENS1_47radix_sort_onesweep_sort_config_static_selectorELNS0_4arch9wavefront6targetE1EEEvSG_.num_named_barrier, 0
	.set _ZN7rocprim17ROCPRIM_400000_NS6detail17trampoline_kernelINS0_14default_configENS1_35radix_sort_onesweep_config_selectorIflEEZZNS1_29radix_sort_onesweep_iterationIS3_Lb0EPfS7_N6thrust23THRUST_200600_302600_NS10device_ptrIlEESB_jNS0_19identity_decomposerENS1_16block_id_wrapperIjLb0EEEEE10hipError_tT1_PNSt15iterator_traitsISG_E10value_typeET2_T3_PNSH_ISM_E10value_typeET4_T5_PSR_SS_PNS1_23onesweep_lookback_stateEbbT6_jjT7_P12ihipStream_tbENKUlT_T0_SG_SL_E_clIS7_S7_SB_SB_EEDaSZ_S10_SG_SL_EUlSZ_E_NS1_11comp_targetILNS1_3genE6ELNS1_11target_archE950ELNS1_3gpuE13ELNS1_3repE0EEENS1_47radix_sort_onesweep_sort_config_static_selectorELNS0_4arch9wavefront6targetE1EEEvSG_.private_seg_size, 0
	.set _ZN7rocprim17ROCPRIM_400000_NS6detail17trampoline_kernelINS0_14default_configENS1_35radix_sort_onesweep_config_selectorIflEEZZNS1_29radix_sort_onesweep_iterationIS3_Lb0EPfS7_N6thrust23THRUST_200600_302600_NS10device_ptrIlEESB_jNS0_19identity_decomposerENS1_16block_id_wrapperIjLb0EEEEE10hipError_tT1_PNSt15iterator_traitsISG_E10value_typeET2_T3_PNSH_ISM_E10value_typeET4_T5_PSR_SS_PNS1_23onesweep_lookback_stateEbbT6_jjT7_P12ihipStream_tbENKUlT_T0_SG_SL_E_clIS7_S7_SB_SB_EEDaSZ_S10_SG_SL_EUlSZ_E_NS1_11comp_targetILNS1_3genE6ELNS1_11target_archE950ELNS1_3gpuE13ELNS1_3repE0EEENS1_47radix_sort_onesweep_sort_config_static_selectorELNS0_4arch9wavefront6targetE1EEEvSG_.uses_vcc, 0
	.set _ZN7rocprim17ROCPRIM_400000_NS6detail17trampoline_kernelINS0_14default_configENS1_35radix_sort_onesweep_config_selectorIflEEZZNS1_29radix_sort_onesweep_iterationIS3_Lb0EPfS7_N6thrust23THRUST_200600_302600_NS10device_ptrIlEESB_jNS0_19identity_decomposerENS1_16block_id_wrapperIjLb0EEEEE10hipError_tT1_PNSt15iterator_traitsISG_E10value_typeET2_T3_PNSH_ISM_E10value_typeET4_T5_PSR_SS_PNS1_23onesweep_lookback_stateEbbT6_jjT7_P12ihipStream_tbENKUlT_T0_SG_SL_E_clIS7_S7_SB_SB_EEDaSZ_S10_SG_SL_EUlSZ_E_NS1_11comp_targetILNS1_3genE6ELNS1_11target_archE950ELNS1_3gpuE13ELNS1_3repE0EEENS1_47radix_sort_onesweep_sort_config_static_selectorELNS0_4arch9wavefront6targetE1EEEvSG_.uses_flat_scratch, 0
	.set _ZN7rocprim17ROCPRIM_400000_NS6detail17trampoline_kernelINS0_14default_configENS1_35radix_sort_onesweep_config_selectorIflEEZZNS1_29radix_sort_onesweep_iterationIS3_Lb0EPfS7_N6thrust23THRUST_200600_302600_NS10device_ptrIlEESB_jNS0_19identity_decomposerENS1_16block_id_wrapperIjLb0EEEEE10hipError_tT1_PNSt15iterator_traitsISG_E10value_typeET2_T3_PNSH_ISM_E10value_typeET4_T5_PSR_SS_PNS1_23onesweep_lookback_stateEbbT6_jjT7_P12ihipStream_tbENKUlT_T0_SG_SL_E_clIS7_S7_SB_SB_EEDaSZ_S10_SG_SL_EUlSZ_E_NS1_11comp_targetILNS1_3genE6ELNS1_11target_archE950ELNS1_3gpuE13ELNS1_3repE0EEENS1_47radix_sort_onesweep_sort_config_static_selectorELNS0_4arch9wavefront6targetE1EEEvSG_.has_dyn_sized_stack, 0
	.set _ZN7rocprim17ROCPRIM_400000_NS6detail17trampoline_kernelINS0_14default_configENS1_35radix_sort_onesweep_config_selectorIflEEZZNS1_29radix_sort_onesweep_iterationIS3_Lb0EPfS7_N6thrust23THRUST_200600_302600_NS10device_ptrIlEESB_jNS0_19identity_decomposerENS1_16block_id_wrapperIjLb0EEEEE10hipError_tT1_PNSt15iterator_traitsISG_E10value_typeET2_T3_PNSH_ISM_E10value_typeET4_T5_PSR_SS_PNS1_23onesweep_lookback_stateEbbT6_jjT7_P12ihipStream_tbENKUlT_T0_SG_SL_E_clIS7_S7_SB_SB_EEDaSZ_S10_SG_SL_EUlSZ_E_NS1_11comp_targetILNS1_3genE6ELNS1_11target_archE950ELNS1_3gpuE13ELNS1_3repE0EEENS1_47radix_sort_onesweep_sort_config_static_selectorELNS0_4arch9wavefront6targetE1EEEvSG_.has_recursion, 0
	.set _ZN7rocprim17ROCPRIM_400000_NS6detail17trampoline_kernelINS0_14default_configENS1_35radix_sort_onesweep_config_selectorIflEEZZNS1_29radix_sort_onesweep_iterationIS3_Lb0EPfS7_N6thrust23THRUST_200600_302600_NS10device_ptrIlEESB_jNS0_19identity_decomposerENS1_16block_id_wrapperIjLb0EEEEE10hipError_tT1_PNSt15iterator_traitsISG_E10value_typeET2_T3_PNSH_ISM_E10value_typeET4_T5_PSR_SS_PNS1_23onesweep_lookback_stateEbbT6_jjT7_P12ihipStream_tbENKUlT_T0_SG_SL_E_clIS7_S7_SB_SB_EEDaSZ_S10_SG_SL_EUlSZ_E_NS1_11comp_targetILNS1_3genE6ELNS1_11target_archE950ELNS1_3gpuE13ELNS1_3repE0EEENS1_47radix_sort_onesweep_sort_config_static_selectorELNS0_4arch9wavefront6targetE1EEEvSG_.has_indirect_call, 0
	.section	.AMDGPU.csdata,"",@progbits
; Kernel info:
; codeLenInByte = 0
; TotalNumSgprs: 4
; NumVgprs: 0
; ScratchSize: 0
; MemoryBound: 0
; FloatMode: 240
; IeeeMode: 1
; LDSByteSize: 0 bytes/workgroup (compile time only)
; SGPRBlocks: 0
; VGPRBlocks: 0
; NumSGPRsForWavesPerEU: 4
; NumVGPRsForWavesPerEU: 1
; Occupancy: 10
; WaveLimiterHint : 0
; COMPUTE_PGM_RSRC2:SCRATCH_EN: 0
; COMPUTE_PGM_RSRC2:USER_SGPR: 6
; COMPUTE_PGM_RSRC2:TRAP_HANDLER: 0
; COMPUTE_PGM_RSRC2:TGID_X_EN: 1
; COMPUTE_PGM_RSRC2:TGID_Y_EN: 0
; COMPUTE_PGM_RSRC2:TGID_Z_EN: 0
; COMPUTE_PGM_RSRC2:TIDIG_COMP_CNT: 0
	.section	.text._ZN7rocprim17ROCPRIM_400000_NS6detail17trampoline_kernelINS0_14default_configENS1_35radix_sort_onesweep_config_selectorIflEEZZNS1_29radix_sort_onesweep_iterationIS3_Lb0EPfS7_N6thrust23THRUST_200600_302600_NS10device_ptrIlEESB_jNS0_19identity_decomposerENS1_16block_id_wrapperIjLb0EEEEE10hipError_tT1_PNSt15iterator_traitsISG_E10value_typeET2_T3_PNSH_ISM_E10value_typeET4_T5_PSR_SS_PNS1_23onesweep_lookback_stateEbbT6_jjT7_P12ihipStream_tbENKUlT_T0_SG_SL_E_clIS7_S7_SB_SB_EEDaSZ_S10_SG_SL_EUlSZ_E_NS1_11comp_targetILNS1_3genE5ELNS1_11target_archE942ELNS1_3gpuE9ELNS1_3repE0EEENS1_47radix_sort_onesweep_sort_config_static_selectorELNS0_4arch9wavefront6targetE1EEEvSG_,"axG",@progbits,_ZN7rocprim17ROCPRIM_400000_NS6detail17trampoline_kernelINS0_14default_configENS1_35radix_sort_onesweep_config_selectorIflEEZZNS1_29radix_sort_onesweep_iterationIS3_Lb0EPfS7_N6thrust23THRUST_200600_302600_NS10device_ptrIlEESB_jNS0_19identity_decomposerENS1_16block_id_wrapperIjLb0EEEEE10hipError_tT1_PNSt15iterator_traitsISG_E10value_typeET2_T3_PNSH_ISM_E10value_typeET4_T5_PSR_SS_PNS1_23onesweep_lookback_stateEbbT6_jjT7_P12ihipStream_tbENKUlT_T0_SG_SL_E_clIS7_S7_SB_SB_EEDaSZ_S10_SG_SL_EUlSZ_E_NS1_11comp_targetILNS1_3genE5ELNS1_11target_archE942ELNS1_3gpuE9ELNS1_3repE0EEENS1_47radix_sort_onesweep_sort_config_static_selectorELNS0_4arch9wavefront6targetE1EEEvSG_,comdat
	.protected	_ZN7rocprim17ROCPRIM_400000_NS6detail17trampoline_kernelINS0_14default_configENS1_35radix_sort_onesweep_config_selectorIflEEZZNS1_29radix_sort_onesweep_iterationIS3_Lb0EPfS7_N6thrust23THRUST_200600_302600_NS10device_ptrIlEESB_jNS0_19identity_decomposerENS1_16block_id_wrapperIjLb0EEEEE10hipError_tT1_PNSt15iterator_traitsISG_E10value_typeET2_T3_PNSH_ISM_E10value_typeET4_T5_PSR_SS_PNS1_23onesweep_lookback_stateEbbT6_jjT7_P12ihipStream_tbENKUlT_T0_SG_SL_E_clIS7_S7_SB_SB_EEDaSZ_S10_SG_SL_EUlSZ_E_NS1_11comp_targetILNS1_3genE5ELNS1_11target_archE942ELNS1_3gpuE9ELNS1_3repE0EEENS1_47radix_sort_onesweep_sort_config_static_selectorELNS0_4arch9wavefront6targetE1EEEvSG_ ; -- Begin function _ZN7rocprim17ROCPRIM_400000_NS6detail17trampoline_kernelINS0_14default_configENS1_35radix_sort_onesweep_config_selectorIflEEZZNS1_29radix_sort_onesweep_iterationIS3_Lb0EPfS7_N6thrust23THRUST_200600_302600_NS10device_ptrIlEESB_jNS0_19identity_decomposerENS1_16block_id_wrapperIjLb0EEEEE10hipError_tT1_PNSt15iterator_traitsISG_E10value_typeET2_T3_PNSH_ISM_E10value_typeET4_T5_PSR_SS_PNS1_23onesweep_lookback_stateEbbT6_jjT7_P12ihipStream_tbENKUlT_T0_SG_SL_E_clIS7_S7_SB_SB_EEDaSZ_S10_SG_SL_EUlSZ_E_NS1_11comp_targetILNS1_3genE5ELNS1_11target_archE942ELNS1_3gpuE9ELNS1_3repE0EEENS1_47radix_sort_onesweep_sort_config_static_selectorELNS0_4arch9wavefront6targetE1EEEvSG_
	.globl	_ZN7rocprim17ROCPRIM_400000_NS6detail17trampoline_kernelINS0_14default_configENS1_35radix_sort_onesweep_config_selectorIflEEZZNS1_29radix_sort_onesweep_iterationIS3_Lb0EPfS7_N6thrust23THRUST_200600_302600_NS10device_ptrIlEESB_jNS0_19identity_decomposerENS1_16block_id_wrapperIjLb0EEEEE10hipError_tT1_PNSt15iterator_traitsISG_E10value_typeET2_T3_PNSH_ISM_E10value_typeET4_T5_PSR_SS_PNS1_23onesweep_lookback_stateEbbT6_jjT7_P12ihipStream_tbENKUlT_T0_SG_SL_E_clIS7_S7_SB_SB_EEDaSZ_S10_SG_SL_EUlSZ_E_NS1_11comp_targetILNS1_3genE5ELNS1_11target_archE942ELNS1_3gpuE9ELNS1_3repE0EEENS1_47radix_sort_onesweep_sort_config_static_selectorELNS0_4arch9wavefront6targetE1EEEvSG_
	.p2align	8
	.type	_ZN7rocprim17ROCPRIM_400000_NS6detail17trampoline_kernelINS0_14default_configENS1_35radix_sort_onesweep_config_selectorIflEEZZNS1_29radix_sort_onesweep_iterationIS3_Lb0EPfS7_N6thrust23THRUST_200600_302600_NS10device_ptrIlEESB_jNS0_19identity_decomposerENS1_16block_id_wrapperIjLb0EEEEE10hipError_tT1_PNSt15iterator_traitsISG_E10value_typeET2_T3_PNSH_ISM_E10value_typeET4_T5_PSR_SS_PNS1_23onesweep_lookback_stateEbbT6_jjT7_P12ihipStream_tbENKUlT_T0_SG_SL_E_clIS7_S7_SB_SB_EEDaSZ_S10_SG_SL_EUlSZ_E_NS1_11comp_targetILNS1_3genE5ELNS1_11target_archE942ELNS1_3gpuE9ELNS1_3repE0EEENS1_47radix_sort_onesweep_sort_config_static_selectorELNS0_4arch9wavefront6targetE1EEEvSG_,@function
_ZN7rocprim17ROCPRIM_400000_NS6detail17trampoline_kernelINS0_14default_configENS1_35radix_sort_onesweep_config_selectorIflEEZZNS1_29radix_sort_onesweep_iterationIS3_Lb0EPfS7_N6thrust23THRUST_200600_302600_NS10device_ptrIlEESB_jNS0_19identity_decomposerENS1_16block_id_wrapperIjLb0EEEEE10hipError_tT1_PNSt15iterator_traitsISG_E10value_typeET2_T3_PNSH_ISM_E10value_typeET4_T5_PSR_SS_PNS1_23onesweep_lookback_stateEbbT6_jjT7_P12ihipStream_tbENKUlT_T0_SG_SL_E_clIS7_S7_SB_SB_EEDaSZ_S10_SG_SL_EUlSZ_E_NS1_11comp_targetILNS1_3genE5ELNS1_11target_archE942ELNS1_3gpuE9ELNS1_3repE0EEENS1_47radix_sort_onesweep_sort_config_static_selectorELNS0_4arch9wavefront6targetE1EEEvSG_: ; @_ZN7rocprim17ROCPRIM_400000_NS6detail17trampoline_kernelINS0_14default_configENS1_35radix_sort_onesweep_config_selectorIflEEZZNS1_29radix_sort_onesweep_iterationIS3_Lb0EPfS7_N6thrust23THRUST_200600_302600_NS10device_ptrIlEESB_jNS0_19identity_decomposerENS1_16block_id_wrapperIjLb0EEEEE10hipError_tT1_PNSt15iterator_traitsISG_E10value_typeET2_T3_PNSH_ISM_E10value_typeET4_T5_PSR_SS_PNS1_23onesweep_lookback_stateEbbT6_jjT7_P12ihipStream_tbENKUlT_T0_SG_SL_E_clIS7_S7_SB_SB_EEDaSZ_S10_SG_SL_EUlSZ_E_NS1_11comp_targetILNS1_3genE5ELNS1_11target_archE942ELNS1_3gpuE9ELNS1_3repE0EEENS1_47radix_sort_onesweep_sort_config_static_selectorELNS0_4arch9wavefront6targetE1EEEvSG_
; %bb.0:
	.section	.rodata,"a",@progbits
	.p2align	6, 0x0
	.amdhsa_kernel _ZN7rocprim17ROCPRIM_400000_NS6detail17trampoline_kernelINS0_14default_configENS1_35radix_sort_onesweep_config_selectorIflEEZZNS1_29radix_sort_onesweep_iterationIS3_Lb0EPfS7_N6thrust23THRUST_200600_302600_NS10device_ptrIlEESB_jNS0_19identity_decomposerENS1_16block_id_wrapperIjLb0EEEEE10hipError_tT1_PNSt15iterator_traitsISG_E10value_typeET2_T3_PNSH_ISM_E10value_typeET4_T5_PSR_SS_PNS1_23onesweep_lookback_stateEbbT6_jjT7_P12ihipStream_tbENKUlT_T0_SG_SL_E_clIS7_S7_SB_SB_EEDaSZ_S10_SG_SL_EUlSZ_E_NS1_11comp_targetILNS1_3genE5ELNS1_11target_archE942ELNS1_3gpuE9ELNS1_3repE0EEENS1_47radix_sort_onesweep_sort_config_static_selectorELNS0_4arch9wavefront6targetE1EEEvSG_
		.amdhsa_group_segment_fixed_size 0
		.amdhsa_private_segment_fixed_size 0
		.amdhsa_kernarg_size 88
		.amdhsa_user_sgpr_count 6
		.amdhsa_user_sgpr_private_segment_buffer 1
		.amdhsa_user_sgpr_dispatch_ptr 0
		.amdhsa_user_sgpr_queue_ptr 0
		.amdhsa_user_sgpr_kernarg_segment_ptr 1
		.amdhsa_user_sgpr_dispatch_id 0
		.amdhsa_user_sgpr_flat_scratch_init 0
		.amdhsa_user_sgpr_private_segment_size 0
		.amdhsa_uses_dynamic_stack 0
		.amdhsa_system_sgpr_private_segment_wavefront_offset 0
		.amdhsa_system_sgpr_workgroup_id_x 1
		.amdhsa_system_sgpr_workgroup_id_y 0
		.amdhsa_system_sgpr_workgroup_id_z 0
		.amdhsa_system_sgpr_workgroup_info 0
		.amdhsa_system_vgpr_workitem_id 0
		.amdhsa_next_free_vgpr 1
		.amdhsa_next_free_sgpr 0
		.amdhsa_reserve_vcc 0
		.amdhsa_reserve_flat_scratch 0
		.amdhsa_float_round_mode_32 0
		.amdhsa_float_round_mode_16_64 0
		.amdhsa_float_denorm_mode_32 3
		.amdhsa_float_denorm_mode_16_64 3
		.amdhsa_dx10_clamp 1
		.amdhsa_ieee_mode 1
		.amdhsa_fp16_overflow 0
		.amdhsa_exception_fp_ieee_invalid_op 0
		.amdhsa_exception_fp_denorm_src 0
		.amdhsa_exception_fp_ieee_div_zero 0
		.amdhsa_exception_fp_ieee_overflow 0
		.amdhsa_exception_fp_ieee_underflow 0
		.amdhsa_exception_fp_ieee_inexact 0
		.amdhsa_exception_int_div_zero 0
	.end_amdhsa_kernel
	.section	.text._ZN7rocprim17ROCPRIM_400000_NS6detail17trampoline_kernelINS0_14default_configENS1_35radix_sort_onesweep_config_selectorIflEEZZNS1_29radix_sort_onesweep_iterationIS3_Lb0EPfS7_N6thrust23THRUST_200600_302600_NS10device_ptrIlEESB_jNS0_19identity_decomposerENS1_16block_id_wrapperIjLb0EEEEE10hipError_tT1_PNSt15iterator_traitsISG_E10value_typeET2_T3_PNSH_ISM_E10value_typeET4_T5_PSR_SS_PNS1_23onesweep_lookback_stateEbbT6_jjT7_P12ihipStream_tbENKUlT_T0_SG_SL_E_clIS7_S7_SB_SB_EEDaSZ_S10_SG_SL_EUlSZ_E_NS1_11comp_targetILNS1_3genE5ELNS1_11target_archE942ELNS1_3gpuE9ELNS1_3repE0EEENS1_47radix_sort_onesweep_sort_config_static_selectorELNS0_4arch9wavefront6targetE1EEEvSG_,"axG",@progbits,_ZN7rocprim17ROCPRIM_400000_NS6detail17trampoline_kernelINS0_14default_configENS1_35radix_sort_onesweep_config_selectorIflEEZZNS1_29radix_sort_onesweep_iterationIS3_Lb0EPfS7_N6thrust23THRUST_200600_302600_NS10device_ptrIlEESB_jNS0_19identity_decomposerENS1_16block_id_wrapperIjLb0EEEEE10hipError_tT1_PNSt15iterator_traitsISG_E10value_typeET2_T3_PNSH_ISM_E10value_typeET4_T5_PSR_SS_PNS1_23onesweep_lookback_stateEbbT6_jjT7_P12ihipStream_tbENKUlT_T0_SG_SL_E_clIS7_S7_SB_SB_EEDaSZ_S10_SG_SL_EUlSZ_E_NS1_11comp_targetILNS1_3genE5ELNS1_11target_archE942ELNS1_3gpuE9ELNS1_3repE0EEENS1_47radix_sort_onesweep_sort_config_static_selectorELNS0_4arch9wavefront6targetE1EEEvSG_,comdat
.Lfunc_end1863:
	.size	_ZN7rocprim17ROCPRIM_400000_NS6detail17trampoline_kernelINS0_14default_configENS1_35radix_sort_onesweep_config_selectorIflEEZZNS1_29radix_sort_onesweep_iterationIS3_Lb0EPfS7_N6thrust23THRUST_200600_302600_NS10device_ptrIlEESB_jNS0_19identity_decomposerENS1_16block_id_wrapperIjLb0EEEEE10hipError_tT1_PNSt15iterator_traitsISG_E10value_typeET2_T3_PNSH_ISM_E10value_typeET4_T5_PSR_SS_PNS1_23onesweep_lookback_stateEbbT6_jjT7_P12ihipStream_tbENKUlT_T0_SG_SL_E_clIS7_S7_SB_SB_EEDaSZ_S10_SG_SL_EUlSZ_E_NS1_11comp_targetILNS1_3genE5ELNS1_11target_archE942ELNS1_3gpuE9ELNS1_3repE0EEENS1_47radix_sort_onesweep_sort_config_static_selectorELNS0_4arch9wavefront6targetE1EEEvSG_, .Lfunc_end1863-_ZN7rocprim17ROCPRIM_400000_NS6detail17trampoline_kernelINS0_14default_configENS1_35radix_sort_onesweep_config_selectorIflEEZZNS1_29radix_sort_onesweep_iterationIS3_Lb0EPfS7_N6thrust23THRUST_200600_302600_NS10device_ptrIlEESB_jNS0_19identity_decomposerENS1_16block_id_wrapperIjLb0EEEEE10hipError_tT1_PNSt15iterator_traitsISG_E10value_typeET2_T3_PNSH_ISM_E10value_typeET4_T5_PSR_SS_PNS1_23onesweep_lookback_stateEbbT6_jjT7_P12ihipStream_tbENKUlT_T0_SG_SL_E_clIS7_S7_SB_SB_EEDaSZ_S10_SG_SL_EUlSZ_E_NS1_11comp_targetILNS1_3genE5ELNS1_11target_archE942ELNS1_3gpuE9ELNS1_3repE0EEENS1_47radix_sort_onesweep_sort_config_static_selectorELNS0_4arch9wavefront6targetE1EEEvSG_
                                        ; -- End function
	.set _ZN7rocprim17ROCPRIM_400000_NS6detail17trampoline_kernelINS0_14default_configENS1_35radix_sort_onesweep_config_selectorIflEEZZNS1_29radix_sort_onesweep_iterationIS3_Lb0EPfS7_N6thrust23THRUST_200600_302600_NS10device_ptrIlEESB_jNS0_19identity_decomposerENS1_16block_id_wrapperIjLb0EEEEE10hipError_tT1_PNSt15iterator_traitsISG_E10value_typeET2_T3_PNSH_ISM_E10value_typeET4_T5_PSR_SS_PNS1_23onesweep_lookback_stateEbbT6_jjT7_P12ihipStream_tbENKUlT_T0_SG_SL_E_clIS7_S7_SB_SB_EEDaSZ_S10_SG_SL_EUlSZ_E_NS1_11comp_targetILNS1_3genE5ELNS1_11target_archE942ELNS1_3gpuE9ELNS1_3repE0EEENS1_47radix_sort_onesweep_sort_config_static_selectorELNS0_4arch9wavefront6targetE1EEEvSG_.num_vgpr, 0
	.set _ZN7rocprim17ROCPRIM_400000_NS6detail17trampoline_kernelINS0_14default_configENS1_35radix_sort_onesweep_config_selectorIflEEZZNS1_29radix_sort_onesweep_iterationIS3_Lb0EPfS7_N6thrust23THRUST_200600_302600_NS10device_ptrIlEESB_jNS0_19identity_decomposerENS1_16block_id_wrapperIjLb0EEEEE10hipError_tT1_PNSt15iterator_traitsISG_E10value_typeET2_T3_PNSH_ISM_E10value_typeET4_T5_PSR_SS_PNS1_23onesweep_lookback_stateEbbT6_jjT7_P12ihipStream_tbENKUlT_T0_SG_SL_E_clIS7_S7_SB_SB_EEDaSZ_S10_SG_SL_EUlSZ_E_NS1_11comp_targetILNS1_3genE5ELNS1_11target_archE942ELNS1_3gpuE9ELNS1_3repE0EEENS1_47radix_sort_onesweep_sort_config_static_selectorELNS0_4arch9wavefront6targetE1EEEvSG_.num_agpr, 0
	.set _ZN7rocprim17ROCPRIM_400000_NS6detail17trampoline_kernelINS0_14default_configENS1_35radix_sort_onesweep_config_selectorIflEEZZNS1_29radix_sort_onesweep_iterationIS3_Lb0EPfS7_N6thrust23THRUST_200600_302600_NS10device_ptrIlEESB_jNS0_19identity_decomposerENS1_16block_id_wrapperIjLb0EEEEE10hipError_tT1_PNSt15iterator_traitsISG_E10value_typeET2_T3_PNSH_ISM_E10value_typeET4_T5_PSR_SS_PNS1_23onesweep_lookback_stateEbbT6_jjT7_P12ihipStream_tbENKUlT_T0_SG_SL_E_clIS7_S7_SB_SB_EEDaSZ_S10_SG_SL_EUlSZ_E_NS1_11comp_targetILNS1_3genE5ELNS1_11target_archE942ELNS1_3gpuE9ELNS1_3repE0EEENS1_47radix_sort_onesweep_sort_config_static_selectorELNS0_4arch9wavefront6targetE1EEEvSG_.numbered_sgpr, 0
	.set _ZN7rocprim17ROCPRIM_400000_NS6detail17trampoline_kernelINS0_14default_configENS1_35radix_sort_onesweep_config_selectorIflEEZZNS1_29radix_sort_onesweep_iterationIS3_Lb0EPfS7_N6thrust23THRUST_200600_302600_NS10device_ptrIlEESB_jNS0_19identity_decomposerENS1_16block_id_wrapperIjLb0EEEEE10hipError_tT1_PNSt15iterator_traitsISG_E10value_typeET2_T3_PNSH_ISM_E10value_typeET4_T5_PSR_SS_PNS1_23onesweep_lookback_stateEbbT6_jjT7_P12ihipStream_tbENKUlT_T0_SG_SL_E_clIS7_S7_SB_SB_EEDaSZ_S10_SG_SL_EUlSZ_E_NS1_11comp_targetILNS1_3genE5ELNS1_11target_archE942ELNS1_3gpuE9ELNS1_3repE0EEENS1_47radix_sort_onesweep_sort_config_static_selectorELNS0_4arch9wavefront6targetE1EEEvSG_.num_named_barrier, 0
	.set _ZN7rocprim17ROCPRIM_400000_NS6detail17trampoline_kernelINS0_14default_configENS1_35radix_sort_onesweep_config_selectorIflEEZZNS1_29radix_sort_onesweep_iterationIS3_Lb0EPfS7_N6thrust23THRUST_200600_302600_NS10device_ptrIlEESB_jNS0_19identity_decomposerENS1_16block_id_wrapperIjLb0EEEEE10hipError_tT1_PNSt15iterator_traitsISG_E10value_typeET2_T3_PNSH_ISM_E10value_typeET4_T5_PSR_SS_PNS1_23onesweep_lookback_stateEbbT6_jjT7_P12ihipStream_tbENKUlT_T0_SG_SL_E_clIS7_S7_SB_SB_EEDaSZ_S10_SG_SL_EUlSZ_E_NS1_11comp_targetILNS1_3genE5ELNS1_11target_archE942ELNS1_3gpuE9ELNS1_3repE0EEENS1_47radix_sort_onesweep_sort_config_static_selectorELNS0_4arch9wavefront6targetE1EEEvSG_.private_seg_size, 0
	.set _ZN7rocprim17ROCPRIM_400000_NS6detail17trampoline_kernelINS0_14default_configENS1_35radix_sort_onesweep_config_selectorIflEEZZNS1_29radix_sort_onesweep_iterationIS3_Lb0EPfS7_N6thrust23THRUST_200600_302600_NS10device_ptrIlEESB_jNS0_19identity_decomposerENS1_16block_id_wrapperIjLb0EEEEE10hipError_tT1_PNSt15iterator_traitsISG_E10value_typeET2_T3_PNSH_ISM_E10value_typeET4_T5_PSR_SS_PNS1_23onesweep_lookback_stateEbbT6_jjT7_P12ihipStream_tbENKUlT_T0_SG_SL_E_clIS7_S7_SB_SB_EEDaSZ_S10_SG_SL_EUlSZ_E_NS1_11comp_targetILNS1_3genE5ELNS1_11target_archE942ELNS1_3gpuE9ELNS1_3repE0EEENS1_47radix_sort_onesweep_sort_config_static_selectorELNS0_4arch9wavefront6targetE1EEEvSG_.uses_vcc, 0
	.set _ZN7rocprim17ROCPRIM_400000_NS6detail17trampoline_kernelINS0_14default_configENS1_35radix_sort_onesweep_config_selectorIflEEZZNS1_29radix_sort_onesweep_iterationIS3_Lb0EPfS7_N6thrust23THRUST_200600_302600_NS10device_ptrIlEESB_jNS0_19identity_decomposerENS1_16block_id_wrapperIjLb0EEEEE10hipError_tT1_PNSt15iterator_traitsISG_E10value_typeET2_T3_PNSH_ISM_E10value_typeET4_T5_PSR_SS_PNS1_23onesweep_lookback_stateEbbT6_jjT7_P12ihipStream_tbENKUlT_T0_SG_SL_E_clIS7_S7_SB_SB_EEDaSZ_S10_SG_SL_EUlSZ_E_NS1_11comp_targetILNS1_3genE5ELNS1_11target_archE942ELNS1_3gpuE9ELNS1_3repE0EEENS1_47radix_sort_onesweep_sort_config_static_selectorELNS0_4arch9wavefront6targetE1EEEvSG_.uses_flat_scratch, 0
	.set _ZN7rocprim17ROCPRIM_400000_NS6detail17trampoline_kernelINS0_14default_configENS1_35radix_sort_onesweep_config_selectorIflEEZZNS1_29radix_sort_onesweep_iterationIS3_Lb0EPfS7_N6thrust23THRUST_200600_302600_NS10device_ptrIlEESB_jNS0_19identity_decomposerENS1_16block_id_wrapperIjLb0EEEEE10hipError_tT1_PNSt15iterator_traitsISG_E10value_typeET2_T3_PNSH_ISM_E10value_typeET4_T5_PSR_SS_PNS1_23onesweep_lookback_stateEbbT6_jjT7_P12ihipStream_tbENKUlT_T0_SG_SL_E_clIS7_S7_SB_SB_EEDaSZ_S10_SG_SL_EUlSZ_E_NS1_11comp_targetILNS1_3genE5ELNS1_11target_archE942ELNS1_3gpuE9ELNS1_3repE0EEENS1_47radix_sort_onesweep_sort_config_static_selectorELNS0_4arch9wavefront6targetE1EEEvSG_.has_dyn_sized_stack, 0
	.set _ZN7rocprim17ROCPRIM_400000_NS6detail17trampoline_kernelINS0_14default_configENS1_35radix_sort_onesweep_config_selectorIflEEZZNS1_29radix_sort_onesweep_iterationIS3_Lb0EPfS7_N6thrust23THRUST_200600_302600_NS10device_ptrIlEESB_jNS0_19identity_decomposerENS1_16block_id_wrapperIjLb0EEEEE10hipError_tT1_PNSt15iterator_traitsISG_E10value_typeET2_T3_PNSH_ISM_E10value_typeET4_T5_PSR_SS_PNS1_23onesweep_lookback_stateEbbT6_jjT7_P12ihipStream_tbENKUlT_T0_SG_SL_E_clIS7_S7_SB_SB_EEDaSZ_S10_SG_SL_EUlSZ_E_NS1_11comp_targetILNS1_3genE5ELNS1_11target_archE942ELNS1_3gpuE9ELNS1_3repE0EEENS1_47radix_sort_onesweep_sort_config_static_selectorELNS0_4arch9wavefront6targetE1EEEvSG_.has_recursion, 0
	.set _ZN7rocprim17ROCPRIM_400000_NS6detail17trampoline_kernelINS0_14default_configENS1_35radix_sort_onesweep_config_selectorIflEEZZNS1_29radix_sort_onesweep_iterationIS3_Lb0EPfS7_N6thrust23THRUST_200600_302600_NS10device_ptrIlEESB_jNS0_19identity_decomposerENS1_16block_id_wrapperIjLb0EEEEE10hipError_tT1_PNSt15iterator_traitsISG_E10value_typeET2_T3_PNSH_ISM_E10value_typeET4_T5_PSR_SS_PNS1_23onesweep_lookback_stateEbbT6_jjT7_P12ihipStream_tbENKUlT_T0_SG_SL_E_clIS7_S7_SB_SB_EEDaSZ_S10_SG_SL_EUlSZ_E_NS1_11comp_targetILNS1_3genE5ELNS1_11target_archE942ELNS1_3gpuE9ELNS1_3repE0EEENS1_47radix_sort_onesweep_sort_config_static_selectorELNS0_4arch9wavefront6targetE1EEEvSG_.has_indirect_call, 0
	.section	.AMDGPU.csdata,"",@progbits
; Kernel info:
; codeLenInByte = 0
; TotalNumSgprs: 4
; NumVgprs: 0
; ScratchSize: 0
; MemoryBound: 0
; FloatMode: 240
; IeeeMode: 1
; LDSByteSize: 0 bytes/workgroup (compile time only)
; SGPRBlocks: 0
; VGPRBlocks: 0
; NumSGPRsForWavesPerEU: 4
; NumVGPRsForWavesPerEU: 1
; Occupancy: 10
; WaveLimiterHint : 0
; COMPUTE_PGM_RSRC2:SCRATCH_EN: 0
; COMPUTE_PGM_RSRC2:USER_SGPR: 6
; COMPUTE_PGM_RSRC2:TRAP_HANDLER: 0
; COMPUTE_PGM_RSRC2:TGID_X_EN: 1
; COMPUTE_PGM_RSRC2:TGID_Y_EN: 0
; COMPUTE_PGM_RSRC2:TGID_Z_EN: 0
; COMPUTE_PGM_RSRC2:TIDIG_COMP_CNT: 0
	.section	.text._ZN7rocprim17ROCPRIM_400000_NS6detail17trampoline_kernelINS0_14default_configENS1_35radix_sort_onesweep_config_selectorIflEEZZNS1_29radix_sort_onesweep_iterationIS3_Lb0EPfS7_N6thrust23THRUST_200600_302600_NS10device_ptrIlEESB_jNS0_19identity_decomposerENS1_16block_id_wrapperIjLb0EEEEE10hipError_tT1_PNSt15iterator_traitsISG_E10value_typeET2_T3_PNSH_ISM_E10value_typeET4_T5_PSR_SS_PNS1_23onesweep_lookback_stateEbbT6_jjT7_P12ihipStream_tbENKUlT_T0_SG_SL_E_clIS7_S7_SB_SB_EEDaSZ_S10_SG_SL_EUlSZ_E_NS1_11comp_targetILNS1_3genE2ELNS1_11target_archE906ELNS1_3gpuE6ELNS1_3repE0EEENS1_47radix_sort_onesweep_sort_config_static_selectorELNS0_4arch9wavefront6targetE1EEEvSG_,"axG",@progbits,_ZN7rocprim17ROCPRIM_400000_NS6detail17trampoline_kernelINS0_14default_configENS1_35radix_sort_onesweep_config_selectorIflEEZZNS1_29radix_sort_onesweep_iterationIS3_Lb0EPfS7_N6thrust23THRUST_200600_302600_NS10device_ptrIlEESB_jNS0_19identity_decomposerENS1_16block_id_wrapperIjLb0EEEEE10hipError_tT1_PNSt15iterator_traitsISG_E10value_typeET2_T3_PNSH_ISM_E10value_typeET4_T5_PSR_SS_PNS1_23onesweep_lookback_stateEbbT6_jjT7_P12ihipStream_tbENKUlT_T0_SG_SL_E_clIS7_S7_SB_SB_EEDaSZ_S10_SG_SL_EUlSZ_E_NS1_11comp_targetILNS1_3genE2ELNS1_11target_archE906ELNS1_3gpuE6ELNS1_3repE0EEENS1_47radix_sort_onesweep_sort_config_static_selectorELNS0_4arch9wavefront6targetE1EEEvSG_,comdat
	.protected	_ZN7rocprim17ROCPRIM_400000_NS6detail17trampoline_kernelINS0_14default_configENS1_35radix_sort_onesweep_config_selectorIflEEZZNS1_29radix_sort_onesweep_iterationIS3_Lb0EPfS7_N6thrust23THRUST_200600_302600_NS10device_ptrIlEESB_jNS0_19identity_decomposerENS1_16block_id_wrapperIjLb0EEEEE10hipError_tT1_PNSt15iterator_traitsISG_E10value_typeET2_T3_PNSH_ISM_E10value_typeET4_T5_PSR_SS_PNS1_23onesweep_lookback_stateEbbT6_jjT7_P12ihipStream_tbENKUlT_T0_SG_SL_E_clIS7_S7_SB_SB_EEDaSZ_S10_SG_SL_EUlSZ_E_NS1_11comp_targetILNS1_3genE2ELNS1_11target_archE906ELNS1_3gpuE6ELNS1_3repE0EEENS1_47radix_sort_onesweep_sort_config_static_selectorELNS0_4arch9wavefront6targetE1EEEvSG_ ; -- Begin function _ZN7rocprim17ROCPRIM_400000_NS6detail17trampoline_kernelINS0_14default_configENS1_35radix_sort_onesweep_config_selectorIflEEZZNS1_29radix_sort_onesweep_iterationIS3_Lb0EPfS7_N6thrust23THRUST_200600_302600_NS10device_ptrIlEESB_jNS0_19identity_decomposerENS1_16block_id_wrapperIjLb0EEEEE10hipError_tT1_PNSt15iterator_traitsISG_E10value_typeET2_T3_PNSH_ISM_E10value_typeET4_T5_PSR_SS_PNS1_23onesweep_lookback_stateEbbT6_jjT7_P12ihipStream_tbENKUlT_T0_SG_SL_E_clIS7_S7_SB_SB_EEDaSZ_S10_SG_SL_EUlSZ_E_NS1_11comp_targetILNS1_3genE2ELNS1_11target_archE906ELNS1_3gpuE6ELNS1_3repE0EEENS1_47radix_sort_onesweep_sort_config_static_selectorELNS0_4arch9wavefront6targetE1EEEvSG_
	.globl	_ZN7rocprim17ROCPRIM_400000_NS6detail17trampoline_kernelINS0_14default_configENS1_35radix_sort_onesweep_config_selectorIflEEZZNS1_29radix_sort_onesweep_iterationIS3_Lb0EPfS7_N6thrust23THRUST_200600_302600_NS10device_ptrIlEESB_jNS0_19identity_decomposerENS1_16block_id_wrapperIjLb0EEEEE10hipError_tT1_PNSt15iterator_traitsISG_E10value_typeET2_T3_PNSH_ISM_E10value_typeET4_T5_PSR_SS_PNS1_23onesweep_lookback_stateEbbT6_jjT7_P12ihipStream_tbENKUlT_T0_SG_SL_E_clIS7_S7_SB_SB_EEDaSZ_S10_SG_SL_EUlSZ_E_NS1_11comp_targetILNS1_3genE2ELNS1_11target_archE906ELNS1_3gpuE6ELNS1_3repE0EEENS1_47radix_sort_onesweep_sort_config_static_selectorELNS0_4arch9wavefront6targetE1EEEvSG_
	.p2align	8
	.type	_ZN7rocprim17ROCPRIM_400000_NS6detail17trampoline_kernelINS0_14default_configENS1_35radix_sort_onesweep_config_selectorIflEEZZNS1_29radix_sort_onesweep_iterationIS3_Lb0EPfS7_N6thrust23THRUST_200600_302600_NS10device_ptrIlEESB_jNS0_19identity_decomposerENS1_16block_id_wrapperIjLb0EEEEE10hipError_tT1_PNSt15iterator_traitsISG_E10value_typeET2_T3_PNSH_ISM_E10value_typeET4_T5_PSR_SS_PNS1_23onesweep_lookback_stateEbbT6_jjT7_P12ihipStream_tbENKUlT_T0_SG_SL_E_clIS7_S7_SB_SB_EEDaSZ_S10_SG_SL_EUlSZ_E_NS1_11comp_targetILNS1_3genE2ELNS1_11target_archE906ELNS1_3gpuE6ELNS1_3repE0EEENS1_47radix_sort_onesweep_sort_config_static_selectorELNS0_4arch9wavefront6targetE1EEEvSG_,@function
_ZN7rocprim17ROCPRIM_400000_NS6detail17trampoline_kernelINS0_14default_configENS1_35radix_sort_onesweep_config_selectorIflEEZZNS1_29radix_sort_onesweep_iterationIS3_Lb0EPfS7_N6thrust23THRUST_200600_302600_NS10device_ptrIlEESB_jNS0_19identity_decomposerENS1_16block_id_wrapperIjLb0EEEEE10hipError_tT1_PNSt15iterator_traitsISG_E10value_typeET2_T3_PNSH_ISM_E10value_typeET4_T5_PSR_SS_PNS1_23onesweep_lookback_stateEbbT6_jjT7_P12ihipStream_tbENKUlT_T0_SG_SL_E_clIS7_S7_SB_SB_EEDaSZ_S10_SG_SL_EUlSZ_E_NS1_11comp_targetILNS1_3genE2ELNS1_11target_archE906ELNS1_3gpuE6ELNS1_3repE0EEENS1_47radix_sort_onesweep_sort_config_static_selectorELNS0_4arch9wavefront6targetE1EEEvSG_: ; @_ZN7rocprim17ROCPRIM_400000_NS6detail17trampoline_kernelINS0_14default_configENS1_35radix_sort_onesweep_config_selectorIflEEZZNS1_29radix_sort_onesweep_iterationIS3_Lb0EPfS7_N6thrust23THRUST_200600_302600_NS10device_ptrIlEESB_jNS0_19identity_decomposerENS1_16block_id_wrapperIjLb0EEEEE10hipError_tT1_PNSt15iterator_traitsISG_E10value_typeET2_T3_PNSH_ISM_E10value_typeET4_T5_PSR_SS_PNS1_23onesweep_lookback_stateEbbT6_jjT7_P12ihipStream_tbENKUlT_T0_SG_SL_E_clIS7_S7_SB_SB_EEDaSZ_S10_SG_SL_EUlSZ_E_NS1_11comp_targetILNS1_3genE2ELNS1_11target_archE906ELNS1_3gpuE6ELNS1_3repE0EEENS1_47radix_sort_onesweep_sort_config_static_selectorELNS0_4arch9wavefront6targetE1EEEvSG_
; %bb.0:
	s_add_u32 s0, s0, s7
	s_load_dwordx4 s[44:47], s[4:5], 0x44
	s_load_dwordx8 s[36:43], s[4:5], 0x0
	s_load_dwordx4 s[28:31], s[4:5], 0x28
	s_load_dwordx2 s[34:35], s[4:5], 0x38
	s_addc_u32 s1, s1, 0
	s_mov_b64 s[8:9], -1
	s_waitcnt lgkmcnt(0)
	s_cmp_ge_u32 s6, s46
	v_mbcnt_lo_u32_b32 v22, -1, 0
	v_lshlrev_b32_e32 v21, 3, v0
	s_cbranch_scc0 .LBB1864_88
; %bb.1:
	s_load_dword s7, s[4:5], 0x20
	s_lshl_b32 s10, s46, 12
	s_lshl_b32 s46, s6, 12
	s_mov_b32 s47, 0
	s_lshl_b64 s[8:9], s[46:47], 2
	s_waitcnt lgkmcnt(0)
	s_sub_i32 s7, s7, s10
	v_mbcnt_hi_u32_b32 v17, -1, v22
	s_add_u32 s8, s36, s8
	v_and_b32_e32 v15, 63, v17
	s_addc_u32 s9, s37, s9
	v_lshlrev_b32_e32 v3, 2, v15
	v_and_b32_e32 v14, 0xe00, v21
	v_mov_b32_e32 v4, s9
	v_add_co_u32_e32 v3, vcc, s8, v3
	v_addc_co_u32_e32 v4, vcc, 0, v4, vcc
	v_lshlrev_b32_e32 v5, 2, v14
	v_add_co_u32_e32 v11, vcc, v3, v5
	v_or_b32_e32 v13, v15, v14
	v_bfrev_b32_e32 v3, -2
	v_addc_co_u32_e32 v12, vcc, 0, v4, vcc
	v_cmp_gt_u32_e64 s[24:25], s7, v13
	v_mov_b32_e32 v4, v3
	v_mov_b32_e32 v5, v3
	;; [unrolled: 1-line block ×7, first 2 shown]
	s_and_saveexec_b64 s[8:9], s[24:25]
	s_cbranch_execz .LBB1864_3
; %bb.2:
	global_load_dword v23, v[11:12], off
	v_mov_b32_e32 v24, v3
	v_mov_b32_e32 v25, v3
	;; [unrolled: 1-line block ×7, first 2 shown]
	s_waitcnt vmcnt(0)
	v_mov_b32_e32 v3, v23
	v_mov_b32_e32 v4, v24
	;; [unrolled: 1-line block ×8, first 2 shown]
.LBB1864_3:
	s_or_b64 exec, exec, s[8:9]
	v_or_b32_e32 v16, 64, v13
	v_cmp_gt_u32_e64 s[8:9], s7, v16
	s_and_saveexec_b64 s[10:11], s[8:9]
	s_cbranch_execz .LBB1864_5
; %bb.4:
	global_load_dword v4, v[11:12], off offset:256
.LBB1864_5:
	s_or_b64 exec, exec, s[10:11]
	v_or_b32_e32 v16, 0x80, v13
	v_cmp_gt_u32_e64 s[10:11], s7, v16
	s_and_saveexec_b64 s[12:13], s[10:11]
	s_cbranch_execz .LBB1864_7
; %bb.6:
	global_load_dword v5, v[11:12], off offset:512
.LBB1864_7:
	;; [unrolled: 8-line block ×7, first 2 shown]
	s_or_b64 exec, exec, s[22:23]
	s_load_dword s22, s[4:5], 0x64
	s_load_dword s33, s[4:5], 0x58
	s_add_u32 s23, s4, 0x58
	s_addc_u32 s26, s5, 0
	v_mov_b32_e32 v11, 0
	s_waitcnt lgkmcnt(0)
	s_lshr_b32 s27, s22, 16
	s_cmp_lt_u32 s6, s33
	s_cselect_b32 s22, 12, 18
	s_add_u32 s22, s23, s22
	s_addc_u32 s23, s26, 0
	global_load_ushort v13, v11, s[22:23]
	v_bfrev_b32_e32 v20, 1
	v_cmp_lt_i32_e32 vcc, -1, v3
	v_cndmask_b32_e32 v12, -1, v20, vcc
	s_brev_b32 s26, -2
	v_xor_b32_e32 v16, v12, v3
	v_cmp_ne_u32_e32 vcc, s26, v16
	v_cndmask_b32_e32 v3, v20, v16, vcc
	s_lshl_b32 s22, -1, s45
	v_lshrrev_b32_e32 v3, s44, v3
	s_not_b32 s54, s22
	v_and_b32_e32 v3, s54, v3
	v_and_b32_e32 v24, 1, v3
	v_add_co_u32_e32 v25, vcc, -1, v24
	v_lshlrev_b32_e32 v12, 30, v3
	v_addc_co_u32_e64 v26, s[22:23], 0, -1, vcc
	v_cmp_ne_u32_e32 vcc, 0, v24
	v_cmp_gt_i64_e64 s[22:23], 0, v[11:12]
	v_not_b32_e32 v24, v12
	v_lshlrev_b32_e32 v12, 29, v3
	v_xor_b32_e32 v26, vcc_hi, v26
	v_xor_b32_e32 v25, vcc_lo, v25
	v_ashrrev_i32_e32 v24, 31, v24
	v_cmp_gt_i64_e32 vcc, 0, v[11:12]
	v_not_b32_e32 v27, v12
	v_lshlrev_b32_e32 v12, 28, v3
	v_and_b32_e32 v26, exec_hi, v26
	v_and_b32_e32 v25, exec_lo, v25
	v_xor_b32_e32 v28, s23, v24
	v_xor_b32_e32 v24, s22, v24
	v_ashrrev_i32_e32 v27, 31, v27
	v_cmp_gt_i64_e64 s[22:23], 0, v[11:12]
	v_not_b32_e32 v29, v12
	v_lshlrev_b32_e32 v12, 27, v3
	v_and_b32_e32 v26, v26, v28
	v_and_b32_e32 v24, v25, v24
	v_xor_b32_e32 v25, vcc_hi, v27
	v_xor_b32_e32 v27, vcc_lo, v27
	v_ashrrev_i32_e32 v28, 31, v29
	v_cmp_gt_i64_e32 vcc, 0, v[11:12]
	v_not_b32_e32 v29, v12
	v_lshlrev_b32_e32 v12, 26, v3
	v_and_b32_e32 v25, v26, v25
	v_and_b32_e32 v24, v24, v27
	v_xor_b32_e32 v26, s23, v28
	v_xor_b32_e32 v27, s22, v28
	v_ashrrev_i32_e32 v28, 31, v29
	v_cmp_gt_i64_e64 s[22:23], 0, v[11:12]
	v_not_b32_e32 v29, v12
	v_lshlrev_b32_e32 v12, 25, v3
	v_mad_u32_u24 v18, v2, s27, v1
	v_and_b32_e32 v25, v25, v26
	v_and_b32_e32 v24, v24, v27
	v_xor_b32_e32 v26, vcc_hi, v28
	v_xor_b32_e32 v27, vcc_lo, v28
	v_ashrrev_i32_e32 v28, 31, v29
	v_cmp_gt_i64_e32 vcc, 0, v[11:12]
	v_not_b32_e32 v29, v12
	v_lshlrev_b32_e32 v12, 24, v3
	v_mul_lo_u32 v23, v3, 36
	v_and_b32_e32 v3, v25, v26
	v_xor_b32_e32 v25, s23, v28
	v_xor_b32_e32 v26, s22, v28
	v_cmp_gt_i64_e64 s[22:23], 0, v[11:12]
	v_not_b32_e32 v28, v12
	v_and_b32_e32 v24, v24, v27
	v_ashrrev_i32_e32 v27, 31, v29
	v_and_b32_e32 v24, v24, v26
	v_and_b32_e32 v3, v3, v25
	v_xor_b32_e32 v25, vcc_hi, v27
	v_and_b32_e32 v3, v3, v25
	v_mul_u32_u24_e32 v19, 20, v0
	ds_write2_b32 v19, v11, v11 offset0:8 offset1:9
	ds_write2_b32 v19, v11, v11 offset0:10 offset1:11
	ds_write_b32 v19, v11 offset:48
	s_waitcnt vmcnt(0) lgkmcnt(0)
	s_barrier
	; wave barrier
	v_mad_u64_u32 v[12:13], s[48:49], v18, v13, v[0:1]
	v_xor_b32_e32 v13, vcc_lo, v27
	v_and_b32_e32 v18, v24, v13
	v_lshrrev_b32_e32 v12, 4, v12
	v_and_b32_e32 v39, 0xffffffc, v12
	v_ashrrev_i32_e32 v12, 31, v28
	v_xor_b32_e32 v13, s23, v12
	v_xor_b32_e32 v12, s22, v12
	v_and_b32_e32 v12, v18, v12
	v_and_b32_e32 v13, v3, v13
	v_mbcnt_lo_u32_b32 v3, v12, 0
	v_mbcnt_hi_u32_b32 v18, v13, v3
	v_cmp_ne_u64_e32 vcc, 0, v[12:13]
	v_cmp_eq_u32_e64 s[22:23], 0, v18
	s_and_b64 s[48:49], vcc, s[22:23]
	v_add_u32_e32 v32, v39, v23
	s_and_saveexec_b64 s[22:23], s[48:49]
; %bb.18:
	v_bcnt_u32_b32 v3, v12, 0
	v_bcnt_u32_b32 v3, v13, v3
	ds_write_b32 v32, v3 offset:32
; %bb.19:
	s_or_b64 exec, exec, s[22:23]
	v_cmp_lt_i32_e32 vcc, -1, v4
	v_cndmask_b32_e32 v3, -1, v20, vcc
	v_xor_b32_e32 v13, v3, v4
	v_cmp_ne_u32_e32 vcc, s26, v13
	v_cndmask_b32_e32 v3, v20, v13, vcc
	v_lshrrev_b32_e32 v3, s44, v3
	v_and_b32_e32 v3, s54, v3
	v_mul_lo_u32 v4, v3, 36
	; wave barrier
	v_add_u32_e32 v33, v39, v4
	v_and_b32_e32 v4, 1, v3
	v_add_co_u32_e32 v12, vcc, -1, v4
	v_addc_co_u32_e64 v20, s[22:23], 0, -1, vcc
	v_cmp_ne_u32_e32 vcc, 0, v4
	v_xor_b32_e32 v12, vcc_lo, v12
	v_xor_b32_e32 v4, vcc_hi, v20
	v_and_b32_e32 v20, exec_lo, v12
	v_lshlrev_b32_e32 v12, 30, v3
	v_cmp_gt_i64_e32 vcc, 0, v[11:12]
	v_not_b32_e32 v12, v12
	v_ashrrev_i32_e32 v12, 31, v12
	v_xor_b32_e32 v24, vcc_hi, v12
	v_xor_b32_e32 v12, vcc_lo, v12
	v_and_b32_e32 v20, v20, v12
	v_lshlrev_b32_e32 v12, 29, v3
	v_cmp_gt_i64_e32 vcc, 0, v[11:12]
	v_not_b32_e32 v12, v12
	v_and_b32_e32 v4, exec_hi, v4
	v_ashrrev_i32_e32 v12, 31, v12
	v_and_b32_e32 v4, v4, v24
	v_xor_b32_e32 v24, vcc_hi, v12
	v_xor_b32_e32 v12, vcc_lo, v12
	v_and_b32_e32 v20, v20, v12
	v_lshlrev_b32_e32 v12, 28, v3
	v_cmp_gt_i64_e32 vcc, 0, v[11:12]
	v_not_b32_e32 v12, v12
	v_ashrrev_i32_e32 v12, 31, v12
	v_and_b32_e32 v4, v4, v24
	v_xor_b32_e32 v24, vcc_hi, v12
	v_xor_b32_e32 v12, vcc_lo, v12
	v_and_b32_e32 v20, v20, v12
	v_lshlrev_b32_e32 v12, 27, v3
	v_cmp_gt_i64_e32 vcc, 0, v[11:12]
	v_not_b32_e32 v12, v12
	;; [unrolled: 8-line block ×5, first 2 shown]
	v_ashrrev_i32_e32 v3, 31, v3
	v_xor_b32_e32 v11, vcc_hi, v3
	v_xor_b32_e32 v3, vcc_lo, v3
	ds_read_b32 v23, v33 offset:32
	v_and_b32_e32 v4, v4, v24
	v_and_b32_e32 v3, v20, v3
	;; [unrolled: 1-line block ×3, first 2 shown]
	v_mbcnt_lo_u32_b32 v11, v3, 0
	v_mbcnt_hi_u32_b32 v24, v4, v11
	v_cmp_ne_u64_e32 vcc, 0, v[3:4]
	v_cmp_eq_u32_e64 s[22:23], 0, v24
	s_and_b64 s[26:27], vcc, s[22:23]
	; wave barrier
	s_and_saveexec_b64 s[22:23], s[26:27]
	s_cbranch_execz .LBB1864_21
; %bb.20:
	v_bcnt_u32_b32 v3, v3, 0
	v_bcnt_u32_b32 v3, v4, v3
	s_waitcnt lgkmcnt(0)
	v_add_u32_e32 v3, v23, v3
	ds_write_b32 v33, v3 offset:32
.LBB1864_21:
	s_or_b64 exec, exec, s[22:23]
	v_bfrev_b32_e32 v20, 1
	v_cmp_lt_i32_e32 vcc, -1, v5
	v_cndmask_b32_e32 v3, -1, v20, vcc
	v_xor_b32_e32 v11, v3, v5
	s_brev_b32 s26, -2
	v_cmp_ne_u32_e32 vcc, s26, v11
	v_cndmask_b32_e32 v3, v20, v11, vcc
	v_lshrrev_b32_e32 v3, s44, v3
	v_and_b32_e32 v5, s54, v3
	v_mul_lo_u32 v3, v5, 36
	v_and_b32_e32 v4, 1, v5
	v_add_co_u32_e32 v12, vcc, -1, v4
	v_addc_co_u32_e64 v26, s[22:23], 0, -1, vcc
	v_cmp_ne_u32_e32 vcc, 0, v4
	v_xor_b32_e32 v4, vcc_hi, v26
	v_add_u32_e32 v37, v39, v3
	v_mov_b32_e32 v3, 0
	v_and_b32_e32 v26, exec_hi, v4
	v_lshlrev_b32_e32 v4, 30, v5
	v_xor_b32_e32 v12, vcc_lo, v12
	v_cmp_gt_i64_e32 vcc, 0, v[3:4]
	v_not_b32_e32 v4, v4
	v_ashrrev_i32_e32 v4, 31, v4
	v_and_b32_e32 v12, exec_lo, v12
	v_xor_b32_e32 v27, vcc_hi, v4
	v_xor_b32_e32 v4, vcc_lo, v4
	v_and_b32_e32 v12, v12, v4
	v_lshlrev_b32_e32 v4, 29, v5
	v_cmp_gt_i64_e32 vcc, 0, v[3:4]
	v_not_b32_e32 v4, v4
	v_ashrrev_i32_e32 v4, 31, v4
	v_and_b32_e32 v26, v26, v27
	v_xor_b32_e32 v27, vcc_hi, v4
	v_xor_b32_e32 v4, vcc_lo, v4
	v_and_b32_e32 v12, v12, v4
	v_lshlrev_b32_e32 v4, 28, v5
	v_cmp_gt_i64_e32 vcc, 0, v[3:4]
	v_not_b32_e32 v4, v4
	v_ashrrev_i32_e32 v4, 31, v4
	v_and_b32_e32 v26, v26, v27
	;; [unrolled: 8-line block ×5, first 2 shown]
	v_xor_b32_e32 v27, vcc_hi, v4
	v_xor_b32_e32 v4, vcc_lo, v4
	v_and_b32_e32 v12, v12, v4
	v_lshlrev_b32_e32 v4, 24, v5
	v_cmp_gt_i64_e32 vcc, 0, v[3:4]
	v_not_b32_e32 v4, v4
	v_ashrrev_i32_e32 v4, 31, v4
	v_xor_b32_e32 v5, vcc_hi, v4
	v_xor_b32_e32 v4, vcc_lo, v4
	; wave barrier
	ds_read_b32 v25, v37 offset:32
	v_and_b32_e32 v26, v26, v27
	v_and_b32_e32 v4, v12, v4
	;; [unrolled: 1-line block ×3, first 2 shown]
	v_mbcnt_lo_u32_b32 v12, v4, 0
	v_mbcnt_hi_u32_b32 v26, v5, v12
	v_cmp_ne_u64_e32 vcc, 0, v[4:5]
	v_cmp_eq_u32_e64 s[22:23], 0, v26
	s_and_b64 s[48:49], vcc, s[22:23]
	; wave barrier
	s_and_saveexec_b64 s[22:23], s[48:49]
	s_cbranch_execz .LBB1864_23
; %bb.22:
	v_bcnt_u32_b32 v4, v4, 0
	v_bcnt_u32_b32 v4, v5, v4
	s_waitcnt lgkmcnt(0)
	v_add_u32_e32 v4, v25, v4
	ds_write_b32 v37, v4 offset:32
.LBB1864_23:
	s_or_b64 exec, exec, s[22:23]
	v_cmp_lt_i32_e32 vcc, -1, v6
	v_cndmask_b32_e32 v4, -1, v20, vcc
	v_xor_b32_e32 v12, v4, v6
	v_cmp_ne_u32_e32 vcc, s26, v12
	v_cndmask_b32_e32 v4, v20, v12, vcc
	v_lshrrev_b32_e32 v4, s44, v4
	v_and_b32_e32 v5, s54, v4
	v_mul_lo_u32 v4, v5, 36
	; wave barrier
	v_add_u32_e32 v40, v39, v4
	v_and_b32_e32 v4, 1, v5
	v_add_co_u32_e32 v6, vcc, -1, v4
	v_addc_co_u32_e64 v20, s[22:23], 0, -1, vcc
	v_cmp_ne_u32_e32 vcc, 0, v4
	v_xor_b32_e32 v4, vcc_hi, v20
	v_and_b32_e32 v20, exec_hi, v4
	v_lshlrev_b32_e32 v4, 30, v5
	v_xor_b32_e32 v6, vcc_lo, v6
	v_cmp_gt_i64_e32 vcc, 0, v[3:4]
	v_not_b32_e32 v4, v4
	v_ashrrev_i32_e32 v4, 31, v4
	v_and_b32_e32 v6, exec_lo, v6
	v_xor_b32_e32 v28, vcc_hi, v4
	v_xor_b32_e32 v4, vcc_lo, v4
	v_and_b32_e32 v6, v6, v4
	v_lshlrev_b32_e32 v4, 29, v5
	v_cmp_gt_i64_e32 vcc, 0, v[3:4]
	v_not_b32_e32 v4, v4
	v_ashrrev_i32_e32 v4, 31, v4
	v_and_b32_e32 v20, v20, v28
	v_xor_b32_e32 v28, vcc_hi, v4
	v_xor_b32_e32 v4, vcc_lo, v4
	v_and_b32_e32 v6, v6, v4
	v_lshlrev_b32_e32 v4, 28, v5
	v_cmp_gt_i64_e32 vcc, 0, v[3:4]
	v_not_b32_e32 v4, v4
	v_ashrrev_i32_e32 v4, 31, v4
	v_and_b32_e32 v20, v20, v28
	;; [unrolled: 8-line block ×5, first 2 shown]
	v_xor_b32_e32 v28, vcc_hi, v4
	v_xor_b32_e32 v4, vcc_lo, v4
	v_and_b32_e32 v6, v6, v4
	v_lshlrev_b32_e32 v4, 24, v5
	v_cmp_gt_i64_e32 vcc, 0, v[3:4]
	v_not_b32_e32 v3, v4
	v_ashrrev_i32_e32 v3, 31, v3
	v_xor_b32_e32 v4, vcc_hi, v3
	v_xor_b32_e32 v3, vcc_lo, v3
	ds_read_b32 v27, v40 offset:32
	v_and_b32_e32 v20, v20, v28
	v_and_b32_e32 v3, v6, v3
	;; [unrolled: 1-line block ×3, first 2 shown]
	v_mbcnt_lo_u32_b32 v5, v3, 0
	v_mbcnt_hi_u32_b32 v28, v4, v5
	v_cmp_ne_u64_e32 vcc, 0, v[3:4]
	v_cmp_eq_u32_e64 s[22:23], 0, v28
	s_and_b64 s[26:27], vcc, s[22:23]
	; wave barrier
	s_and_saveexec_b64 s[22:23], s[26:27]
	s_cbranch_execz .LBB1864_25
; %bb.24:
	v_bcnt_u32_b32 v3, v3, 0
	v_bcnt_u32_b32 v3, v4, v3
	s_waitcnt lgkmcnt(0)
	v_add_u32_e32 v3, v27, v3
	ds_write_b32 v40, v3 offset:32
.LBB1864_25:
	s_or_b64 exec, exec, s[22:23]
	v_bfrev_b32_e32 v6, 1
	v_cmp_lt_i32_e32 vcc, -1, v7
	v_cndmask_b32_e32 v3, -1, v6, vcc
	v_xor_b32_e32 v20, v3, v7
	s_brev_b32 s26, -2
	v_cmp_ne_u32_e32 vcc, s26, v20
	v_cndmask_b32_e32 v3, v6, v20, vcc
	v_lshrrev_b32_e32 v3, s44, v3
	v_and_b32_e32 v5, s54, v3
	v_mul_lo_u32 v3, v5, 36
	v_and_b32_e32 v4, 1, v5
	v_add_co_u32_e32 v30, vcc, -1, v4
	v_addc_co_u32_e64 v31, s[22:23], 0, -1, vcc
	v_cmp_ne_u32_e32 vcc, 0, v4
	v_xor_b32_e32 v4, vcc_hi, v31
	v_add_u32_e32 v7, v39, v3
	v_mov_b32_e32 v3, 0
	v_and_b32_e32 v31, exec_hi, v4
	v_lshlrev_b32_e32 v4, 30, v5
	v_xor_b32_e32 v30, vcc_lo, v30
	v_cmp_gt_i64_e32 vcc, 0, v[3:4]
	v_not_b32_e32 v4, v4
	v_ashrrev_i32_e32 v4, 31, v4
	v_and_b32_e32 v30, exec_lo, v30
	v_xor_b32_e32 v34, vcc_hi, v4
	v_xor_b32_e32 v4, vcc_lo, v4
	v_and_b32_e32 v30, v30, v4
	v_lshlrev_b32_e32 v4, 29, v5
	v_cmp_gt_i64_e32 vcc, 0, v[3:4]
	v_not_b32_e32 v4, v4
	v_ashrrev_i32_e32 v4, 31, v4
	v_and_b32_e32 v31, v31, v34
	v_xor_b32_e32 v34, vcc_hi, v4
	v_xor_b32_e32 v4, vcc_lo, v4
	v_and_b32_e32 v30, v30, v4
	v_lshlrev_b32_e32 v4, 28, v5
	v_cmp_gt_i64_e32 vcc, 0, v[3:4]
	v_not_b32_e32 v4, v4
	v_ashrrev_i32_e32 v4, 31, v4
	v_and_b32_e32 v31, v31, v34
	;; [unrolled: 8-line block ×5, first 2 shown]
	v_xor_b32_e32 v34, vcc_hi, v4
	v_xor_b32_e32 v4, vcc_lo, v4
	v_and_b32_e32 v30, v30, v4
	v_lshlrev_b32_e32 v4, 24, v5
	v_cmp_gt_i64_e32 vcc, 0, v[3:4]
	v_not_b32_e32 v4, v4
	v_ashrrev_i32_e32 v4, 31, v4
	v_xor_b32_e32 v5, vcc_hi, v4
	v_xor_b32_e32 v4, vcc_lo, v4
	; wave barrier
	ds_read_b32 v29, v7 offset:32
	v_and_b32_e32 v31, v31, v34
	v_and_b32_e32 v4, v30, v4
	v_and_b32_e32 v5, v31, v5
	v_mbcnt_lo_u32_b32 v30, v4, 0
	v_mbcnt_hi_u32_b32 v30, v5, v30
	v_cmp_ne_u64_e32 vcc, 0, v[4:5]
	v_cmp_eq_u32_e64 s[22:23], 0, v30
	s_and_b64 s[48:49], vcc, s[22:23]
	; wave barrier
	s_and_saveexec_b64 s[22:23], s[48:49]
	s_cbranch_execz .LBB1864_27
; %bb.26:
	v_bcnt_u32_b32 v4, v4, 0
	v_bcnt_u32_b32 v4, v5, v4
	s_waitcnt lgkmcnt(0)
	v_add_u32_e32 v4, v29, v4
	ds_write_b32 v7, v4 offset:32
.LBB1864_27:
	s_or_b64 exec, exec, s[22:23]
	v_cmp_lt_i32_e32 vcc, -1, v8
	v_cndmask_b32_e32 v4, -1, v6, vcc
	v_xor_b32_e32 v35, v4, v8
	v_cmp_ne_u32_e32 vcc, s26, v35
	v_cndmask_b32_e32 v4, v6, v35, vcc
	v_lshrrev_b32_e32 v4, s44, v4
	v_and_b32_e32 v5, s54, v4
	v_mul_lo_u32 v4, v5, 36
	; wave barrier
	v_add_u32_e32 v8, v39, v4
	v_and_b32_e32 v4, 1, v5
	v_add_co_u32_e32 v6, vcc, -1, v4
	v_addc_co_u32_e64 v34, s[22:23], 0, -1, vcc
	v_cmp_ne_u32_e32 vcc, 0, v4
	v_xor_b32_e32 v4, vcc_hi, v34
	v_and_b32_e32 v34, exec_hi, v4
	v_lshlrev_b32_e32 v4, 30, v5
	v_xor_b32_e32 v6, vcc_lo, v6
	v_cmp_gt_i64_e32 vcc, 0, v[3:4]
	v_not_b32_e32 v4, v4
	v_ashrrev_i32_e32 v4, 31, v4
	v_and_b32_e32 v6, exec_lo, v6
	v_xor_b32_e32 v36, vcc_hi, v4
	v_xor_b32_e32 v4, vcc_lo, v4
	v_and_b32_e32 v6, v6, v4
	v_lshlrev_b32_e32 v4, 29, v5
	v_cmp_gt_i64_e32 vcc, 0, v[3:4]
	v_not_b32_e32 v4, v4
	v_ashrrev_i32_e32 v4, 31, v4
	v_and_b32_e32 v34, v34, v36
	v_xor_b32_e32 v36, vcc_hi, v4
	v_xor_b32_e32 v4, vcc_lo, v4
	v_and_b32_e32 v6, v6, v4
	v_lshlrev_b32_e32 v4, 28, v5
	v_cmp_gt_i64_e32 vcc, 0, v[3:4]
	v_not_b32_e32 v4, v4
	v_ashrrev_i32_e32 v4, 31, v4
	v_and_b32_e32 v34, v34, v36
	;; [unrolled: 8-line block ×5, first 2 shown]
	v_xor_b32_e32 v36, vcc_hi, v4
	v_xor_b32_e32 v4, vcc_lo, v4
	v_and_b32_e32 v6, v6, v4
	v_lshlrev_b32_e32 v4, 24, v5
	v_cmp_gt_i64_e32 vcc, 0, v[3:4]
	v_not_b32_e32 v3, v4
	v_ashrrev_i32_e32 v3, 31, v3
	v_xor_b32_e32 v4, vcc_hi, v3
	v_xor_b32_e32 v3, vcc_lo, v3
	ds_read_b32 v31, v8 offset:32
	v_and_b32_e32 v34, v34, v36
	v_and_b32_e32 v3, v6, v3
	;; [unrolled: 1-line block ×3, first 2 shown]
	v_mbcnt_lo_u32_b32 v5, v3, 0
	v_mbcnt_hi_u32_b32 v34, v4, v5
	v_cmp_ne_u64_e32 vcc, 0, v[3:4]
	v_cmp_eq_u32_e64 s[22:23], 0, v34
	s_and_b64 s[26:27], vcc, s[22:23]
	; wave barrier
	s_and_saveexec_b64 s[22:23], s[26:27]
	s_cbranch_execz .LBB1864_29
; %bb.28:
	v_bcnt_u32_b32 v3, v3, 0
	v_bcnt_u32_b32 v3, v4, v3
	s_waitcnt lgkmcnt(0)
	v_add_u32_e32 v3, v31, v3
	ds_write_b32 v8, v3 offset:32
.LBB1864_29:
	s_or_b64 exec, exec, s[22:23]
	v_bfrev_b32_e32 v6, 1
	v_cmp_lt_i32_e32 vcc, -1, v9
	v_cndmask_b32_e32 v3, -1, v6, vcc
	v_xor_b32_e32 v9, v3, v9
	s_brev_b32 s26, -2
	v_cmp_ne_u32_e32 vcc, s26, v9
	v_cndmask_b32_e32 v3, v6, v9, vcc
	v_lshrrev_b32_e32 v3, s44, v3
	v_and_b32_e32 v5, s54, v3
	v_mul_lo_u32 v3, v5, 36
	v_and_b32_e32 v4, 1, v5
	v_add_co_u32_e32 v38, vcc, -1, v4
	v_addc_co_u32_e64 v41, s[22:23], 0, -1, vcc
	v_cmp_ne_u32_e32 vcc, 0, v4
	v_xor_b32_e32 v4, vcc_hi, v41
	v_add_u32_e32 v46, v39, v3
	v_mov_b32_e32 v3, 0
	v_and_b32_e32 v41, exec_hi, v4
	v_lshlrev_b32_e32 v4, 30, v5
	v_xor_b32_e32 v38, vcc_lo, v38
	v_cmp_gt_i64_e32 vcc, 0, v[3:4]
	v_not_b32_e32 v4, v4
	v_ashrrev_i32_e32 v4, 31, v4
	v_and_b32_e32 v38, exec_lo, v38
	v_xor_b32_e32 v42, vcc_hi, v4
	v_xor_b32_e32 v4, vcc_lo, v4
	v_and_b32_e32 v38, v38, v4
	v_lshlrev_b32_e32 v4, 29, v5
	v_cmp_gt_i64_e32 vcc, 0, v[3:4]
	v_not_b32_e32 v4, v4
	v_ashrrev_i32_e32 v4, 31, v4
	v_and_b32_e32 v41, v41, v42
	v_xor_b32_e32 v42, vcc_hi, v4
	v_xor_b32_e32 v4, vcc_lo, v4
	v_and_b32_e32 v38, v38, v4
	v_lshlrev_b32_e32 v4, 28, v5
	v_cmp_gt_i64_e32 vcc, 0, v[3:4]
	v_not_b32_e32 v4, v4
	v_ashrrev_i32_e32 v4, 31, v4
	v_and_b32_e32 v41, v41, v42
	;; [unrolled: 8-line block ×5, first 2 shown]
	v_xor_b32_e32 v42, vcc_hi, v4
	v_xor_b32_e32 v4, vcc_lo, v4
	v_and_b32_e32 v38, v38, v4
	v_lshlrev_b32_e32 v4, 24, v5
	v_cmp_gt_i64_e32 vcc, 0, v[3:4]
	v_not_b32_e32 v4, v4
	v_ashrrev_i32_e32 v4, 31, v4
	v_xor_b32_e32 v5, vcc_hi, v4
	v_xor_b32_e32 v4, vcc_lo, v4
	; wave barrier
	ds_read_b32 v36, v46 offset:32
	v_and_b32_e32 v41, v41, v42
	v_and_b32_e32 v4, v38, v4
	;; [unrolled: 1-line block ×3, first 2 shown]
	v_mbcnt_lo_u32_b32 v38, v4, 0
	v_mbcnt_hi_u32_b32 v38, v5, v38
	v_cmp_ne_u64_e32 vcc, 0, v[4:5]
	v_cmp_eq_u32_e64 s[22:23], 0, v38
	s_and_b64 s[48:49], vcc, s[22:23]
	; wave barrier
	s_and_saveexec_b64 s[22:23], s[48:49]
	s_cbranch_execz .LBB1864_31
; %bb.30:
	v_bcnt_u32_b32 v4, v4, 0
	v_bcnt_u32_b32 v4, v5, v4
	s_waitcnt lgkmcnt(0)
	v_add_u32_e32 v4, v36, v4
	ds_write_b32 v46, v4 offset:32
.LBB1864_31:
	s_or_b64 exec, exec, s[22:23]
	v_cmp_lt_i32_e32 vcc, -1, v10
	v_cndmask_b32_e32 v4, -1, v6, vcc
	v_xor_b32_e32 v10, v4, v10
	v_cmp_ne_u32_e32 vcc, s26, v10
	v_cndmask_b32_e32 v4, v6, v10, vcc
	v_lshrrev_b32_e32 v4, s44, v4
	v_and_b32_e32 v5, s54, v4
	v_mul_lo_u32 v4, v5, 36
	; wave barrier
	v_add_u32_e32 v47, v39, v4
	v_and_b32_e32 v4, 1, v5
	v_add_co_u32_e32 v6, vcc, -1, v4
	v_addc_co_u32_e64 v41, s[22:23], 0, -1, vcc
	v_cmp_ne_u32_e32 vcc, 0, v4
	v_xor_b32_e32 v4, vcc_hi, v41
	v_and_b32_e32 v41, exec_hi, v4
	v_lshlrev_b32_e32 v4, 30, v5
	v_xor_b32_e32 v6, vcc_lo, v6
	v_cmp_gt_i64_e32 vcc, 0, v[3:4]
	v_not_b32_e32 v4, v4
	v_ashrrev_i32_e32 v4, 31, v4
	v_and_b32_e32 v6, exec_lo, v6
	v_xor_b32_e32 v42, vcc_hi, v4
	v_xor_b32_e32 v4, vcc_lo, v4
	v_and_b32_e32 v6, v6, v4
	v_lshlrev_b32_e32 v4, 29, v5
	v_cmp_gt_i64_e32 vcc, 0, v[3:4]
	v_not_b32_e32 v4, v4
	v_ashrrev_i32_e32 v4, 31, v4
	v_and_b32_e32 v41, v41, v42
	v_xor_b32_e32 v42, vcc_hi, v4
	v_xor_b32_e32 v4, vcc_lo, v4
	v_and_b32_e32 v6, v6, v4
	v_lshlrev_b32_e32 v4, 28, v5
	v_cmp_gt_i64_e32 vcc, 0, v[3:4]
	v_not_b32_e32 v4, v4
	v_ashrrev_i32_e32 v4, 31, v4
	v_and_b32_e32 v41, v41, v42
	;; [unrolled: 8-line block ×5, first 2 shown]
	v_xor_b32_e32 v42, vcc_hi, v4
	v_xor_b32_e32 v4, vcc_lo, v4
	v_and_b32_e32 v6, v6, v4
	v_lshlrev_b32_e32 v4, 24, v5
	v_cmp_gt_i64_e32 vcc, 0, v[3:4]
	v_not_b32_e32 v3, v4
	v_ashrrev_i32_e32 v3, 31, v3
	v_xor_b32_e32 v4, vcc_hi, v3
	v_xor_b32_e32 v3, vcc_lo, v3
	ds_read_b32 v39, v47 offset:32
	v_and_b32_e32 v41, v41, v42
	v_and_b32_e32 v3, v6, v3
	;; [unrolled: 1-line block ×3, first 2 shown]
	v_mbcnt_lo_u32_b32 v5, v3, 0
	v_mbcnt_hi_u32_b32 v41, v4, v5
	v_cmp_ne_u64_e32 vcc, 0, v[3:4]
	v_cmp_eq_u32_e64 s[22:23], 0, v41
	s_and_b64 s[26:27], vcc, s[22:23]
	; wave barrier
	s_and_saveexec_b64 s[22:23], s[26:27]
	s_cbranch_execz .LBB1864_33
; %bb.32:
	v_bcnt_u32_b32 v3, v3, 0
	v_bcnt_u32_b32 v3, v4, v3
	s_waitcnt lgkmcnt(0)
	v_add_u32_e32 v3, v39, v3
	ds_write_b32 v47, v3 offset:32
.LBB1864_33:
	s_or_b64 exec, exec, s[22:23]
	; wave barrier
	s_waitcnt lgkmcnt(0)
	s_barrier
	ds_read2_b32 v[5:6], v19 offset0:8 offset1:9
	ds_read2_b32 v[3:4], v19 offset0:10 offset1:11
	ds_read_b32 v42, v19 offset:48
	s_waitcnt lgkmcnt(1)
	v_add3_u32 v43, v6, v5, v3
	s_waitcnt lgkmcnt(0)
	v_add3_u32 v42, v43, v4, v42
	v_and_b32_e32 v43, 15, v17
	v_cmp_ne_u32_e32 vcc, 0, v43
	v_mov_b32_dpp v44, v42 row_shr:1 row_mask:0xf bank_mask:0xf
	v_cndmask_b32_e32 v44, 0, v44, vcc
	v_add_u32_e32 v42, v44, v42
	v_cmp_lt_u32_e32 vcc, 1, v43
	s_nop 0
	v_mov_b32_dpp v44, v42 row_shr:2 row_mask:0xf bank_mask:0xf
	v_cndmask_b32_e32 v44, 0, v44, vcc
	v_add_u32_e32 v42, v42, v44
	v_cmp_lt_u32_e32 vcc, 3, v43
	s_nop 0
	;; [unrolled: 5-line block ×3, first 2 shown]
	v_mov_b32_dpp v44, v42 row_shr:8 row_mask:0xf bank_mask:0xf
	v_cndmask_b32_e32 v43, 0, v44, vcc
	v_add_u32_e32 v42, v42, v43
	v_bfe_i32 v44, v17, 4, 1
	v_cmp_lt_u32_e32 vcc, 31, v17
	v_mov_b32_dpp v43, v42 row_bcast:15 row_mask:0xf bank_mask:0xf
	v_and_b32_e32 v43, v44, v43
	v_add_u32_e32 v42, v42, v43
	v_or_b32_e32 v44, 63, v0
	s_nop 0
	v_mov_b32_dpp v43, v42 row_bcast:31 row_mask:0xf bank_mask:0xf
	v_cndmask_b32_e32 v43, 0, v43, vcc
	v_add_u32_e32 v42, v42, v43
	v_lshrrev_b32_e32 v43, 6, v0
	v_cmp_eq_u32_e32 vcc, v0, v44
	s_and_saveexec_b64 s[22:23], vcc
; %bb.34:
	v_lshlrev_b32_e32 v44, 2, v43
	ds_write_b32 v44, v42
; %bb.35:
	s_or_b64 exec, exec, s[22:23]
	v_cmp_gt_u32_e32 vcc, 8, v0
	s_waitcnt lgkmcnt(0)
	s_barrier
	s_and_saveexec_b64 s[26:27], vcc
	s_cbranch_execz .LBB1864_37
; %bb.36:
	v_lshlrev_b32_e32 v44, 2, v0
	ds_read_b32 v45, v44
	v_and_b32_e32 v48, 7, v17
	v_cmp_ne_u32_e32 vcc, 0, v48
	v_cmp_lt_u32_e64 s[22:23], 1, v48
	s_waitcnt lgkmcnt(0)
	v_mov_b32_dpp v49, v45 row_shr:1 row_mask:0xf bank_mask:0xf
	v_cndmask_b32_e32 v49, 0, v49, vcc
	v_add_u32_e32 v45, v49, v45
	v_cmp_lt_u32_e32 vcc, 3, v48
	s_nop 0
	v_mov_b32_dpp v49, v45 row_shr:2 row_mask:0xf bank_mask:0xf
	v_cndmask_b32_e64 v49, 0, v49, s[22:23]
	v_add_u32_e32 v45, v45, v49
	s_nop 1
	v_mov_b32_dpp v49, v45 row_shr:4 row_mask:0xf bank_mask:0xf
	v_cndmask_b32_e32 v48, 0, v49, vcc
	v_add_u32_e32 v45, v45, v48
	ds_write_b32 v44, v45
.LBB1864_37:
	s_or_b64 exec, exec, s[26:27]
	v_cmp_lt_u32_e32 vcc, 63, v0
	v_mov_b32_e32 v44, 0
	s_waitcnt lgkmcnt(0)
	s_barrier
	s_and_saveexec_b64 s[22:23], vcc
; %bb.38:
	v_lshl_add_u32 v43, v43, 2, -4
	ds_read_b32 v44, v43
; %bb.39:
	s_or_b64 exec, exec, s[22:23]
	v_subrev_co_u32_e32 v43, vcc, 1, v17
	v_and_b32_e32 v45, 64, v17
	v_cmp_lt_i32_e64 s[22:23], v43, v45
	v_cndmask_b32_e64 v17, v43, v17, s[22:23]
	s_waitcnt lgkmcnt(0)
	v_add_u32_e32 v42, v44, v42
	v_lshlrev_b32_e32 v17, 2, v17
	ds_bpermute_b32 v17, v17, v42
	s_movk_i32 s22, 0xff
	s_movk_i32 s26, 0x100
	v_cmp_lt_u32_e64 s[22:23], s22, v0
	s_waitcnt lgkmcnt(0)
	v_cndmask_b32_e32 v17, v17, v44, vcc
	v_cmp_ne_u32_e32 vcc, 0, v0
	v_cndmask_b32_e32 v17, 0, v17, vcc
	v_add_u32_e32 v5, v17, v5
	v_add_u32_e32 v6, v5, v6
	;; [unrolled: 1-line block ×4, first 2 shown]
	ds_write2_b32 v19, v17, v5 offset0:8 offset1:9
	ds_write2_b32 v19, v6, v3 offset0:10 offset1:11
	ds_write_b32 v19, v4 offset:48
	s_waitcnt lgkmcnt(0)
	s_barrier
	ds_read_b32 v17, v32 offset:32
	ds_read_b32 v42, v33 offset:32
	;; [unrolled: 1-line block ×8, first 2 shown]
	v_cmp_gt_u32_e32 vcc, s26, v0
                                        ; implicit-def: $vgpr32
                                        ; implicit-def: $vgpr33
	s_and_saveexec_b64 s[48:49], vcc
	s_cbranch_execz .LBB1864_43
; %bb.40:
	v_mul_u32_u24_e32 v3, 36, v0
	ds_read_b32 v32, v3 offset:32
	v_add_u32_e32 v4, 1, v0
	v_cmp_ne_u32_e64 s[26:27], s26, v4
	v_mov_b32_e32 v3, 0x1000
	s_and_saveexec_b64 s[50:51], s[26:27]
; %bb.41:
	v_mul_u32_u24_e32 v3, 36, v4
	ds_read_b32 v3, v3 offset:32
; %bb.42:
	s_or_b64 exec, exec, s[50:51]
	s_waitcnt lgkmcnt(0)
	v_sub_u32_e32 v33, v3, v32
.LBB1864_43:
	s_or_b64 exec, exec, s[48:49]
	v_mov_b32_e32 v4, 0
	v_lshlrev_b32_e32 v37, 2, v0
	s_waitcnt lgkmcnt(0)
	s_barrier
	s_and_saveexec_b64 s[26:27], vcc
	s_cbranch_execz .LBB1864_53
; %bb.44:
	v_lshl_add_u32 v3, s6, 8, v0
	v_lshlrev_b64 v[5:6], 2, v[3:4]
	v_mov_b32_e32 v19, s35
	v_add_co_u32_e32 v5, vcc, s34, v5
	v_addc_co_u32_e32 v6, vcc, v19, v6, vcc
	v_or_b32_e32 v3, 2.0, v33
	s_mov_b64 s[48:49], 0
	s_brev_b32 s55, -4
	s_mov_b32 s56, s6
	v_mov_b32_e32 v48, 0
	global_store_dword v[5:6], v3, off
                                        ; implicit-def: $sgpr50_sgpr51
	s_branch .LBB1864_47
.LBB1864_45:                            ;   in Loop: Header=BB1864_47 Depth=1
	s_or_b64 exec, exec, s[52:53]
.LBB1864_46:                            ;   in Loop: Header=BB1864_47 Depth=1
	s_or_b64 exec, exec, s[50:51]
	v_and_b32_e32 v7, 0x3fffffff, v3
	v_add_u32_e32 v48, v7, v48
	v_cmp_gt_i32_e64 s[50:51], -2.0, v3
	s_and_b64 s[52:53], exec, s[50:51]
	s_or_b64 s[48:49], s[52:53], s[48:49]
	s_andn2_b64 exec, exec, s[48:49]
	s_cbranch_execz .LBB1864_52
.LBB1864_47:                            ; =>This Loop Header: Depth=1
                                        ;     Child Loop BB1864_50 Depth 2
	s_or_b64 s[50:51], s[50:51], exec
	s_cmp_eq_u32 s56, 0
	s_cbranch_scc1 .LBB1864_51
; %bb.48:                               ;   in Loop: Header=BB1864_47 Depth=1
	s_add_i32 s56, s56, -1
	v_lshl_or_b32 v3, s56, 8, v0
	v_lshlrev_b64 v[7:8], 2, v[3:4]
	v_add_co_u32_e32 v7, vcc, s34, v7
	v_addc_co_u32_e32 v8, vcc, v19, v8, vcc
	global_load_dword v3, v[7:8], off glc
	s_waitcnt vmcnt(0)
	v_cmp_gt_u32_e32 vcc, 2.0, v3
	s_and_saveexec_b64 s[50:51], vcc
	s_cbranch_execz .LBB1864_46
; %bb.49:                               ;   in Loop: Header=BB1864_47 Depth=1
	s_mov_b64 s[52:53], 0
.LBB1864_50:                            ;   Parent Loop BB1864_47 Depth=1
                                        ; =>  This Inner Loop Header: Depth=2
	global_load_dword v3, v[7:8], off glc
	s_waitcnt vmcnt(0)
	v_cmp_lt_u32_e32 vcc, s55, v3
	s_or_b64 s[52:53], vcc, s[52:53]
	s_andn2_b64 exec, exec, s[52:53]
	s_cbranch_execnz .LBB1864_50
	s_branch .LBB1864_45
.LBB1864_51:                            ;   in Loop: Header=BB1864_47 Depth=1
                                        ; implicit-def: $sgpr56
	s_and_b64 s[52:53], exec, s[50:51]
	s_or_b64 s[48:49], s[52:53], s[48:49]
	s_andn2_b64 exec, exec, s[48:49]
	s_cbranch_execnz .LBB1864_47
.LBB1864_52:
	s_or_b64 exec, exec, s[48:49]
	v_add_u32_e32 v3, v48, v33
	v_or_b32_e32 v3, 0x80000000, v3
	global_store_dword v[5:6], v3, off
	global_load_dword v3, v37, s[28:29]
	v_sub_u32_e32 v4, v48, v32
	s_waitcnt vmcnt(0)
	v_add_u32_e32 v3, v4, v3
	ds_write_b32 v37, v3
.LBB1864_53:
	s_or_b64 exec, exec, s[26:27]
	v_add_u32_e32 v48, v17, v18
	v_add3_u32 v5, v24, v23, v42
	v_add3_u32 v6, v26, v25, v43
	;; [unrolled: 1-line block ×7, first 2 shown]
	s_mov_b32 s50, 16
	s_mov_b32 s56, 0
	s_mov_b64 s[26:27], -1
	s_brev_b32 s51, -2
	v_mov_b32_e32 v4, 0
	s_movk_i32 s52, 0x200
	s_movk_i32 s53, 0x400
	;; [unrolled: 1-line block ×3, first 2 shown]
	v_bfrev_b32_e32 v49, 1
	v_mov_b32_e32 v50, v48
	v_mov_b32_e32 v51, v0
	s_branch .LBB1864_55
.LBB1864_54:                            ;   in Loop: Header=BB1864_55 Depth=1
	s_or_b64 exec, exec, s[48:49]
	s_xor_b64 s[48:49], s[26:27], -1
	v_add_u32_e32 v51, 0x800, v51
	v_add_u32_e32 v19, 0xfffff800, v19
	;; [unrolled: 1-line block ×9, first 2 shown]
	s_mov_b64 s[26:27], 0
	s_and_b64 vcc, exec, s[48:49]
	s_mov_b32 s56, s50
	s_waitcnt vmcnt(0)
	s_barrier
	s_cbranch_vccnz .LBB1864_63
.LBB1864_55:                            ; =>This Inner Loop Header: Depth=1
	v_min_u32_e32 v3, 0x800, v50
	v_lshlrev_b32_e32 v3, 2, v3
	ds_write_b32 v3, v16 offset:1024
	v_min_u32_e32 v3, 0x800, v5
	v_lshlrev_b32_e32 v3, 2, v3
	ds_write_b32 v3, v13 offset:1024
	;; [unrolled: 3-line block ×7, first 2 shown]
	v_min_u32_e32 v3, 0x800, v19
	v_lshlrev_b32_e32 v3, 2, v3
	v_cmp_gt_u32_e32 vcc, s7, v51
	ds_write_b32 v3, v10 offset:1024
	s_waitcnt lgkmcnt(0)
	s_barrier
	s_and_saveexec_b64 s[48:49], vcc
	s_cbranch_execz .LBB1864_57
; %bb.56:                               ;   in Loop: Header=BB1864_55 Depth=1
	ds_read_b32 v3, v37 offset:1024
	v_mov_b32_e32 v54, s39
	v_mov_b32_e32 v56, s56
	s_waitcnt lgkmcnt(0)
	v_cmp_ne_u32_e32 vcc, s51, v3
	v_cndmask_b32_e32 v52, v49, v3, vcc
	v_lshrrev_b32_e32 v52, s44, v52
	v_and_b32_e32 v55, s54, v52
	v_lshlrev_b32_e32 v52, 2, v55
	ds_read_b32 v52, v52
	v_cmp_lt_i32_e32 vcc, -1, v3
	v_cndmask_b32_e64 v53, v49, -1, vcc
	v_xor_b32_e32 v57, v53, v3
	buffer_store_dword v55, v56, s[0:3], 0 offen
	s_waitcnt lgkmcnt(0)
	v_add_u32_e32 v3, v51, v52
	v_lshlrev_b64 v[52:53], 2, v[3:4]
	v_add_co_u32_e32 v52, vcc, s38, v52
	v_addc_co_u32_e32 v53, vcc, v54, v53, vcc
	global_store_dword v[52:53], v57, off
.LBB1864_57:                            ;   in Loop: Header=BB1864_55 Depth=1
	s_or_b64 exec, exec, s[48:49]
	v_add_u32_e32 v3, 0x200, v51
	v_cmp_gt_u32_e32 vcc, s7, v3
	s_and_saveexec_b64 s[48:49], vcc
	s_cbranch_execz .LBB1864_59
; %bb.58:                               ;   in Loop: Header=BB1864_55 Depth=1
	ds_read_b32 v3, v37 offset:3072
	v_mov_b32_e32 v54, s39
	v_mov_b32_e32 v56, s56
	s_waitcnt lgkmcnt(0)
	v_cmp_ne_u32_e32 vcc, s51, v3
	v_cndmask_b32_e32 v52, v49, v3, vcc
	v_lshrrev_b32_e32 v52, s44, v52
	v_and_b32_e32 v55, s54, v52
	v_lshlrev_b32_e32 v52, 2, v55
	ds_read_b32 v52, v52
	v_cmp_lt_i32_e32 vcc, -1, v3
	v_cndmask_b32_e64 v53, v49, -1, vcc
	v_xor_b32_e32 v57, v53, v3
	buffer_store_dword v55, v56, s[0:3], 0 offen offset:4
	s_waitcnt lgkmcnt(0)
	v_add3_u32 v3, v51, v52, s52
	v_lshlrev_b64 v[52:53], 2, v[3:4]
	v_add_co_u32_e32 v52, vcc, s38, v52
	v_addc_co_u32_e32 v53, vcc, v54, v53, vcc
	global_store_dword v[52:53], v57, off
.LBB1864_59:                            ;   in Loop: Header=BB1864_55 Depth=1
	s_or_b64 exec, exec, s[48:49]
	v_add_u32_e32 v3, 0x400, v51
	v_cmp_gt_u32_e32 vcc, s7, v3
	s_and_saveexec_b64 s[48:49], vcc
	s_cbranch_execz .LBB1864_61
; %bb.60:                               ;   in Loop: Header=BB1864_55 Depth=1
	ds_read_b32 v3, v37 offset:5120
	v_mov_b32_e32 v54, s39
	v_mov_b32_e32 v56, s56
	s_waitcnt lgkmcnt(0)
	v_cmp_ne_u32_e32 vcc, s51, v3
	v_cndmask_b32_e32 v52, v49, v3, vcc
	v_lshrrev_b32_e32 v52, s44, v52
	v_and_b32_e32 v55, s54, v52
	v_lshlrev_b32_e32 v52, 2, v55
	ds_read_b32 v52, v52
	v_cmp_lt_i32_e32 vcc, -1, v3
	v_cndmask_b32_e64 v53, v49, -1, vcc
	v_xor_b32_e32 v57, v53, v3
	buffer_store_dword v55, v56, s[0:3], 0 offen offset:8
	s_waitcnt lgkmcnt(0)
	v_add3_u32 v3, v51, v52, s53
	v_lshlrev_b64 v[52:53], 2, v[3:4]
	v_add_co_u32_e32 v52, vcc, s38, v52
	v_addc_co_u32_e32 v53, vcc, v54, v53, vcc
	global_store_dword v[52:53], v57, off
.LBB1864_61:                            ;   in Loop: Header=BB1864_55 Depth=1
	s_or_b64 exec, exec, s[48:49]
	v_add_u32_e32 v3, 0x600, v51
	v_cmp_gt_u32_e32 vcc, s7, v3
	s_and_saveexec_b64 s[48:49], vcc
	s_cbranch_execz .LBB1864_54
; %bb.62:                               ;   in Loop: Header=BB1864_55 Depth=1
	ds_read_b32 v3, v37 offset:7168
	v_mov_b32_e32 v54, s39
	v_mov_b32_e32 v56, s56
	s_waitcnt lgkmcnt(0)
	v_cmp_ne_u32_e32 vcc, s51, v3
	v_cndmask_b32_e32 v52, v49, v3, vcc
	v_lshrrev_b32_e32 v52, s44, v52
	v_and_b32_e32 v55, s54, v52
	v_lshlrev_b32_e32 v52, 2, v55
	ds_read_b32 v52, v52
	v_cmp_lt_i32_e32 vcc, -1, v3
	v_cndmask_b32_e64 v53, v49, -1, vcc
	v_xor_b32_e32 v57, v53, v3
	buffer_store_dword v55, v56, s[0:3], 0 offen offset:12
	s_waitcnt lgkmcnt(0)
	v_add3_u32 v3, v51, v52, s55
	v_lshlrev_b64 v[52:53], 2, v[3:4]
	v_add_co_u32_e32 v52, vcc, s38, v52
	v_addc_co_u32_e32 v53, vcc, v54, v53, vcc
	global_store_dword v[52:53], v57, off
	s_branch .LBB1864_54
.LBB1864_63:
	s_lshl_b64 s[26:27], s[46:47], 3
	s_add_u32 s26, s40, s26
	s_addc_u32 s27, s41, s27
	v_lshlrev_b32_e32 v3, 3, v15
	v_mov_b32_e32 v4, s27
	v_add_co_u32_e32 v3, vcc, s26, v3
	v_addc_co_u32_e32 v4, vcc, 0, v4, vcc
	v_lshlrev_b32_e32 v5, 3, v14
	v_add_co_u32_e32 v19, vcc, v3, v5
	v_addc_co_u32_e32 v20, vcc, 0, v4, vcc
                                        ; implicit-def: $vgpr3_vgpr4
	s_and_saveexec_b64 s[26:27], s[24:25]
	s_cbranch_execz .LBB1864_71
; %bb.64:
	global_load_dwordx2 v[3:4], v[19:20], off
	s_or_b64 exec, exec, s[26:27]
                                        ; implicit-def: $vgpr5_vgpr6
	s_and_saveexec_b64 s[24:25], s[8:9]
	s_cbranch_execnz .LBB1864_72
.LBB1864_65:
	s_or_b64 exec, exec, s[24:25]
                                        ; implicit-def: $vgpr7_vgpr8
	s_and_saveexec_b64 s[8:9], s[10:11]
	s_cbranch_execz .LBB1864_73
.LBB1864_66:
	global_load_dwordx2 v[7:8], v[19:20], off offset:1024
	s_or_b64 exec, exec, s[8:9]
                                        ; implicit-def: $vgpr9_vgpr10
	s_and_saveexec_b64 s[8:9], s[12:13]
	s_cbranch_execnz .LBB1864_74
.LBB1864_67:
	s_or_b64 exec, exec, s[8:9]
                                        ; implicit-def: $vgpr11_vgpr12
	s_and_saveexec_b64 s[8:9], s[14:15]
	s_cbranch_execz .LBB1864_75
.LBB1864_68:
	global_load_dwordx2 v[11:12], v[19:20], off offset:2048
	s_or_b64 exec, exec, s[8:9]
                                        ; implicit-def: $vgpr13_vgpr14
	s_and_saveexec_b64 s[8:9], s[16:17]
	s_cbranch_execnz .LBB1864_76
.LBB1864_69:
	s_or_b64 exec, exec, s[8:9]
                                        ; implicit-def: $vgpr15_vgpr16
	s_and_saveexec_b64 s[8:9], s[18:19]
	s_cbranch_execz .LBB1864_77
.LBB1864_70:
	global_load_dwordx2 v[15:16], v[19:20], off offset:3072
	s_or_b64 exec, exec, s[8:9]
                                        ; implicit-def: $vgpr17_vgpr18
	s_and_saveexec_b64 s[8:9], s[20:21]
	s_cbranch_execnz .LBB1864_78
	s_branch .LBB1864_79
.LBB1864_71:
	s_or_b64 exec, exec, s[26:27]
                                        ; implicit-def: $vgpr5_vgpr6
	s_and_saveexec_b64 s[24:25], s[8:9]
	s_cbranch_execz .LBB1864_65
.LBB1864_72:
	global_load_dwordx2 v[5:6], v[19:20], off offset:512
	s_or_b64 exec, exec, s[24:25]
                                        ; implicit-def: $vgpr7_vgpr8
	s_and_saveexec_b64 s[8:9], s[10:11]
	s_cbranch_execnz .LBB1864_66
.LBB1864_73:
	s_or_b64 exec, exec, s[8:9]
                                        ; implicit-def: $vgpr9_vgpr10
	s_and_saveexec_b64 s[8:9], s[12:13]
	s_cbranch_execz .LBB1864_67
.LBB1864_74:
	global_load_dwordx2 v[9:10], v[19:20], off offset:1536
	s_or_b64 exec, exec, s[8:9]
                                        ; implicit-def: $vgpr11_vgpr12
	s_and_saveexec_b64 s[8:9], s[14:15]
	s_cbranch_execnz .LBB1864_68
.LBB1864_75:
	s_or_b64 exec, exec, s[8:9]
                                        ; implicit-def: $vgpr13_vgpr14
	s_and_saveexec_b64 s[8:9], s[16:17]
	s_cbranch_execz .LBB1864_69
.LBB1864_76:
	global_load_dwordx2 v[13:14], v[19:20], off offset:2560
	s_or_b64 exec, exec, s[8:9]
                                        ; implicit-def: $vgpr15_vgpr16
	s_and_saveexec_b64 s[8:9], s[18:19]
	s_cbranch_execnz .LBB1864_70
.LBB1864_77:
	s_or_b64 exec, exec, s[8:9]
                                        ; implicit-def: $vgpr17_vgpr18
	s_and_saveexec_b64 s[8:9], s[20:21]
	s_cbranch_execz .LBB1864_79
.LBB1864_78:
	global_load_dwordx2 v[17:18], v[19:20], off offset:3584
.LBB1864_79:
	s_or_b64 exec, exec, s[8:9]
	v_add3_u32 v35, v41, v47, v39
	v_add3_u32 v36, v38, v46, v36
	;; [unrolled: 1-line block ×7, first 2 shown]
	s_mov_b32 s10, 0
	s_mov_b32 s11, 0
	v_mov_b32_e32 v20, 0
	s_movk_i32 s12, 0x200
	v_mov_b32_e32 v24, v0
	s_branch .LBB1864_81
.LBB1864_80:                            ;   in Loop: Header=BB1864_81 Depth=1
	s_or_b64 exec, exec, s[8:9]
	s_addk_i32 s11, 0xfc00
	s_add_i32 s10, s10, 8
	s_cmpk_eq_i32 s11, 0xf000
	v_add_u32_e32 v24, 0x400, v24
	s_waitcnt vmcnt(0)
	s_barrier
	s_cbranch_scc1 .LBB1864_85
.LBB1864_81:                            ; =>This Inner Loop Header: Depth=1
	v_add_u32_e32 v19, s11, v48
	v_min_u32_e32 v19, 0x400, v19
	v_lshlrev_b32_e32 v19, 3, v19
	s_waitcnt vmcnt(0)
	ds_write_b64 v19, v[3:4] offset:1024
	v_add_u32_e32 v19, s11, v23
	v_min_u32_e32 v19, 0x400, v19
	v_lshlrev_b32_e32 v19, 3, v19
	ds_write_b64 v19, v[5:6] offset:1024
	v_add_u32_e32 v19, s11, v25
	v_min_u32_e32 v19, 0x400, v19
	v_lshlrev_b32_e32 v19, 3, v19
	;; [unrolled: 4-line block ×7, first 2 shown]
	v_cmp_gt_u32_e32 vcc, s7, v24
	ds_write_b64 v19, v[17:18] offset:1024
	s_waitcnt lgkmcnt(0)
	s_barrier
	s_and_saveexec_b64 s[8:9], vcc
	s_cbranch_execz .LBB1864_83
; %bb.82:                               ;   in Loop: Header=BB1864_81 Depth=1
	v_mov_b32_e32 v19, s10
	buffer_load_dword v19, v19, s[0:3], 0 offen
	v_mov_b32_e32 v26, s43
	s_waitcnt vmcnt(0)
	v_lshlrev_b32_e32 v19, 2, v19
	ds_read_b32 v19, v19
	ds_read_b64 v[38:39], v21 offset:1024
	s_waitcnt lgkmcnt(1)
	v_add_u32_e32 v19, v24, v19
	v_lshlrev_b64 v[40:41], 3, v[19:20]
	v_add_co_u32_e32 v40, vcc, s42, v40
	v_addc_co_u32_e32 v41, vcc, v26, v41, vcc
	s_waitcnt lgkmcnt(0)
	global_store_dwordx2 v[40:41], v[38:39], off
.LBB1864_83:                            ;   in Loop: Header=BB1864_81 Depth=1
	s_or_b64 exec, exec, s[8:9]
	v_add_u32_e32 v19, 0x200, v24
	v_cmp_gt_u32_e32 vcc, s7, v19
	s_and_saveexec_b64 s[8:9], vcc
	s_cbranch_execz .LBB1864_80
; %bb.84:                               ;   in Loop: Header=BB1864_81 Depth=1
	v_mov_b32_e32 v19, s10
	buffer_load_dword v19, v19, s[0:3], 0 offen offset:4
	v_mov_b32_e32 v26, s43
	s_waitcnt vmcnt(0)
	v_lshlrev_b32_e32 v19, 2, v19
	ds_read_b32 v19, v19
	ds_read_b64 v[38:39], v21 offset:5120
	s_waitcnt lgkmcnt(1)
	v_add3_u32 v19, v24, v19, s12
	v_lshlrev_b64 v[40:41], 3, v[19:20]
	v_add_co_u32_e32 v40, vcc, s42, v40
	v_addc_co_u32_e32 v41, vcc, v26, v41, vcc
	s_waitcnt lgkmcnt(0)
	global_store_dwordx2 v[40:41], v[38:39], off
	s_branch .LBB1864_80
.LBB1864_85:
	s_add_i32 s33, s33, -1
	s_cmp_eq_u32 s6, s33
	s_cselect_b64 s[8:9], -1, 0
	s_xor_b64 s[10:11], s[22:23], -1
	s_and_b64 s[10:11], s[10:11], s[8:9]
	s_and_saveexec_b64 s[8:9], s[10:11]
	s_cbranch_execz .LBB1864_87
; %bb.86:
	ds_read_b32 v3, v37
	s_waitcnt lgkmcnt(0)
	v_add3_u32 v3, v32, v33, v3
	global_store_dword v37, v3, s[30:31]
.LBB1864_87:
	s_or_b64 exec, exec, s[8:9]
	s_mov_b64 s[8:9], 0
.LBB1864_88:
	s_and_b64 vcc, exec, s[8:9]
	s_cbranch_vccz .LBB1864_131
; %bb.89:
	s_lshl_b32 s10, s6, 12
	s_mov_b32 s11, 0
	s_lshl_b64 s[8:9], s[10:11], 2
	v_mbcnt_hi_u32_b32 v5, -1, v22
	s_add_u32 s7, s36, s8
	v_and_b32_e32 v8, 63, v5
	s_addc_u32 s8, s37, s9
	v_lshlrev_b32_e32 v3, 2, v8
	v_and_b32_e32 v7, 0xe00, v21
	v_mov_b32_e32 v4, s8
	v_add_co_u32_e32 v3, vcc, s7, v3
	v_addc_co_u32_e32 v4, vcc, 0, v4, vcc
	v_lshlrev_b32_e32 v6, 2, v7
	v_add_co_u32_e32 v14, vcc, v3, v6
	v_addc_co_u32_e32 v15, vcc, 0, v4, vcc
	global_load_dword v4, v[14:15], off
	s_load_dword s7, s[4:5], 0x58
	s_load_dword s8, s[4:5], 0x64
	s_add_u32 s4, s4, 0x58
	s_addc_u32 s5, s5, 0
	v_mov_b32_e32 v3, 0
	v_bfrev_b32_e32 v11, 1
	s_waitcnt lgkmcnt(0)
	s_lshr_b32 s13, s8, 16
	s_cmp_lt_u32 s6, s7
	s_cselect_b32 s8, 12, 18
	s_add_u32 s4, s4, s8
	s_addc_u32 s5, s5, 0
	global_load_ushort v6, v3, s[4:5]
	global_load_dword v10, v[14:15], off offset:256
	global_load_dword v17, v[14:15], off offset:512
	;; [unrolled: 1-line block ×7, first 2 shown]
	s_brev_b32 s12, -2
	s_lshl_b32 s4, -1, s45
	s_not_b32 s18, s4
	v_mad_u32_u24 v1, v2, s13, v1
	s_waitcnt vmcnt(8)
	v_cmp_lt_i32_e32 vcc, -1, v4
	v_cndmask_b32_e32 v9, -1, v11, vcc
	v_xor_b32_e32 v9, v9, v4
	v_cmp_ne_u32_e32 vcc, s12, v9
	v_cndmask_b32_e32 v4, v11, v9, vcc
	v_lshrrev_b32_e32 v4, s44, v4
	v_and_b32_e32 v12, s18, v4
	v_and_b32_e32 v14, 1, v12
	v_lshlrev_b32_e32 v4, 30, v12
	v_cmp_ne_u32_e32 vcc, 0, v14
	v_add_co_u32_e64 v14, s[8:9], -1, v14
	v_cmp_gt_i64_e64 s[4:5], 0, v[3:4]
	v_addc_co_u32_e64 v15, s[8:9], 0, -1, s[8:9]
	v_not_b32_e32 v18, v4
	v_lshlrev_b32_e32 v4, 29, v12
	v_xor_b32_e32 v15, vcc_hi, v15
	v_ashrrev_i32_e32 v18, 31, v18
	v_xor_b32_e32 v14, vcc_lo, v14
	v_cmp_gt_i64_e32 vcc, 0, v[3:4]
	v_not_b32_e32 v19, v4
	v_lshlrev_b32_e32 v4, 28, v12
	v_and_b32_e32 v15, exec_hi, v15
	v_xor_b32_e32 v20, s5, v18
	v_and_b32_e32 v14, exec_lo, v14
	v_xor_b32_e32 v18, s4, v18
	v_ashrrev_i32_e32 v19, 31, v19
	v_cmp_gt_i64_e64 s[4:5], 0, v[3:4]
	v_not_b32_e32 v23, v4
	v_lshlrev_b32_e32 v4, 27, v12
	v_and_b32_e32 v15, v15, v20
	v_and_b32_e32 v14, v14, v18
	v_xor_b32_e32 v18, vcc_hi, v19
	v_xor_b32_e32 v19, vcc_lo, v19
	v_ashrrev_i32_e32 v20, 31, v23
	v_cmp_gt_i64_e32 vcc, 0, v[3:4]
	v_not_b32_e32 v23, v4
	v_lshlrev_b32_e32 v4, 26, v12
	v_and_b32_e32 v15, v15, v18
	v_and_b32_e32 v14, v14, v19
	v_xor_b32_e32 v18, s5, v20
	v_xor_b32_e32 v19, s4, v20
	v_ashrrev_i32_e32 v20, 31, v23
	v_cmp_gt_i64_e64 s[4:5], 0, v[3:4]
	v_not_b32_e32 v23, v4
	v_lshlrev_b32_e32 v4, 25, v12
	v_and_b32_e32 v15, v15, v18
	v_and_b32_e32 v14, v14, v19
	v_xor_b32_e32 v18, vcc_hi, v20
	v_xor_b32_e32 v19, vcc_lo, v20
	v_ashrrev_i32_e32 v20, 31, v23
	v_cmp_gt_i64_e32 vcc, 0, v[3:4]
	v_not_b32_e32 v4, v4
	v_and_b32_e32 v15, v15, v18
	v_and_b32_e32 v14, v14, v19
	v_xor_b32_e32 v18, s5, v20
	v_xor_b32_e32 v19, s4, v20
	v_ashrrev_i32_e32 v4, 31, v4
	v_and_b32_e32 v15, v15, v18
	v_and_b32_e32 v14, v14, v19
	v_xor_b32_e32 v18, vcc_hi, v4
	v_xor_b32_e32 v4, vcc_lo, v4
	v_and_b32_e32 v19, v14, v4
	v_lshlrev_b32_e32 v4, 24, v12
	v_cmp_gt_i64_e32 vcc, 0, v[3:4]
	v_not_b32_e32 v4, v4
	v_and_b32_e32 v18, v15, v18
	v_ashrrev_i32_e32 v4, 31, v4
	s_waitcnt vmcnt(7)
	v_mad_u64_u32 v[14:15], s[4:5], v1, v6, v[0:1]
	v_xor_b32_e32 v20, vcc_hi, v4
	v_xor_b32_e32 v1, vcc_lo, v4
	v_mul_lo_u32 v4, v12, 36
	v_and_b32_e32 v1, v19, v1
	v_lshrrev_b32_e32 v28, 6, v14
	v_and_b32_e32 v2, v18, v20
	v_lshl_add_u32 v18, v28, 2, v4
	v_mbcnt_lo_u32_b32 v4, v1, 0
	v_mbcnt_hi_u32_b32 v12, v2, v4
	v_cmp_ne_u64_e32 vcc, 0, v[1:2]
	v_cmp_eq_u32_e64 s[4:5], 0, v12
	v_mul_u32_u24_e32 v6, 20, v0
	s_and_b64 s[8:9], vcc, s[4:5]
	ds_write2_b32 v6, v3, v3 offset0:8 offset1:9
	ds_write2_b32 v6, v3, v3 offset0:10 offset1:11
	ds_write_b32 v6, v3 offset:48
	s_waitcnt vmcnt(0) lgkmcnt(0)
	s_barrier
	; wave barrier
	s_and_saveexec_b64 s[4:5], s[8:9]
; %bb.90:
	v_bcnt_u32_b32 v1, v1, 0
	v_bcnt_u32_b32 v1, v2, v1
	ds_write_b32 v18, v1 offset:32
; %bb.91:
	s_or_b64 exec, exec, s[4:5]
	v_cmp_lt_i32_e32 vcc, -1, v10
	v_cndmask_b32_e32 v1, -1, v11, vcc
	v_xor_b32_e32 v10, v1, v10
	v_cmp_ne_u32_e32 vcc, s12, v10
	v_cndmask_b32_e32 v1, v11, v10, vcc
	v_lshrrev_b32_e32 v1, s44, v1
	v_and_b32_e32 v1, s18, v1
	v_mul_lo_u32 v2, v1, 36
	; wave barrier
	v_lshl_add_u32 v19, v28, 2, v2
	v_and_b32_e32 v2, 1, v1
	v_add_co_u32_e32 v4, vcc, -1, v2
	v_addc_co_u32_e64 v11, s[4:5], 0, -1, vcc
	v_cmp_ne_u32_e32 vcc, 0, v2
	v_xor_b32_e32 v4, vcc_lo, v4
	v_xor_b32_e32 v2, vcc_hi, v11
	v_and_b32_e32 v11, exec_lo, v4
	v_lshlrev_b32_e32 v4, 30, v1
	v_cmp_gt_i64_e32 vcc, 0, v[3:4]
	v_not_b32_e32 v4, v4
	v_ashrrev_i32_e32 v4, 31, v4
	v_xor_b32_e32 v15, vcc_hi, v4
	v_xor_b32_e32 v4, vcc_lo, v4
	v_and_b32_e32 v11, v11, v4
	v_lshlrev_b32_e32 v4, 29, v1
	v_cmp_gt_i64_e32 vcc, 0, v[3:4]
	v_not_b32_e32 v4, v4
	v_and_b32_e32 v2, exec_hi, v2
	v_ashrrev_i32_e32 v4, 31, v4
	v_and_b32_e32 v2, v2, v15
	v_xor_b32_e32 v15, vcc_hi, v4
	v_xor_b32_e32 v4, vcc_lo, v4
	v_and_b32_e32 v11, v11, v4
	v_lshlrev_b32_e32 v4, 28, v1
	v_cmp_gt_i64_e32 vcc, 0, v[3:4]
	v_not_b32_e32 v4, v4
	v_ashrrev_i32_e32 v4, 31, v4
	v_and_b32_e32 v2, v2, v15
	v_xor_b32_e32 v15, vcc_hi, v4
	v_xor_b32_e32 v4, vcc_lo, v4
	v_and_b32_e32 v11, v11, v4
	v_lshlrev_b32_e32 v4, 27, v1
	v_cmp_gt_i64_e32 vcc, 0, v[3:4]
	v_not_b32_e32 v4, v4
	;; [unrolled: 8-line block ×5, first 2 shown]
	v_ashrrev_i32_e32 v1, 31, v1
	v_xor_b32_e32 v3, vcc_hi, v1
	v_xor_b32_e32 v1, vcc_lo, v1
	ds_read_b32 v14, v19 offset:32
	v_and_b32_e32 v2, v2, v15
	v_and_b32_e32 v1, v11, v1
	;; [unrolled: 1-line block ×3, first 2 shown]
	v_mbcnt_lo_u32_b32 v3, v1, 0
	v_mbcnt_hi_u32_b32 v15, v2, v3
	v_cmp_ne_u64_e32 vcc, 0, v[1:2]
	v_cmp_eq_u32_e64 s[4:5], 0, v15
	s_and_b64 s[8:9], vcc, s[4:5]
	; wave barrier
	s_and_saveexec_b64 s[4:5], s[8:9]
	s_cbranch_execz .LBB1864_93
; %bb.92:
	v_bcnt_u32_b32 v1, v1, 0
	v_bcnt_u32_b32 v1, v2, v1
	s_waitcnt lgkmcnt(0)
	v_add_u32_e32 v1, v14, v1
	ds_write_b32 v19, v1 offset:32
.LBB1864_93:
	s_or_b64 exec, exec, s[4:5]
	v_bfrev_b32_e32 v4, 1
	v_cmp_lt_i32_e32 vcc, -1, v17
	v_cndmask_b32_e32 v1, -1, v4, vcc
	v_xor_b32_e32 v11, v1, v17
	s_brev_b32 s8, -2
	v_cmp_ne_u32_e32 vcc, s8, v11
	v_cndmask_b32_e32 v1, v4, v11, vcc
	v_lshrrev_b32_e32 v1, s44, v1
	v_and_b32_e32 v3, s18, v1
	v_mul_lo_u32 v1, v3, 36
	v_and_b32_e32 v2, 1, v3
	v_add_co_u32_e32 v20, vcc, -1, v2
	v_addc_co_u32_e64 v23, s[4:5], 0, -1, vcc
	v_cmp_ne_u32_e32 vcc, 0, v2
	v_xor_b32_e32 v2, vcc_hi, v23
	v_lshl_add_u32 v25, v28, 2, v1
	v_mov_b32_e32 v1, 0
	v_and_b32_e32 v23, exec_hi, v2
	v_lshlrev_b32_e32 v2, 30, v3
	v_xor_b32_e32 v20, vcc_lo, v20
	v_cmp_gt_i64_e32 vcc, 0, v[1:2]
	v_not_b32_e32 v2, v2
	v_ashrrev_i32_e32 v2, 31, v2
	v_and_b32_e32 v20, exec_lo, v20
	v_xor_b32_e32 v26, vcc_hi, v2
	v_xor_b32_e32 v2, vcc_lo, v2
	v_and_b32_e32 v20, v20, v2
	v_lshlrev_b32_e32 v2, 29, v3
	v_cmp_gt_i64_e32 vcc, 0, v[1:2]
	v_not_b32_e32 v2, v2
	v_ashrrev_i32_e32 v2, 31, v2
	v_and_b32_e32 v23, v23, v26
	v_xor_b32_e32 v26, vcc_hi, v2
	v_xor_b32_e32 v2, vcc_lo, v2
	v_and_b32_e32 v20, v20, v2
	v_lshlrev_b32_e32 v2, 28, v3
	v_cmp_gt_i64_e32 vcc, 0, v[1:2]
	v_not_b32_e32 v2, v2
	v_ashrrev_i32_e32 v2, 31, v2
	v_and_b32_e32 v23, v23, v26
	;; [unrolled: 8-line block ×5, first 2 shown]
	v_xor_b32_e32 v26, vcc_hi, v2
	v_xor_b32_e32 v2, vcc_lo, v2
	v_and_b32_e32 v20, v20, v2
	v_lshlrev_b32_e32 v2, 24, v3
	v_cmp_gt_i64_e32 vcc, 0, v[1:2]
	v_not_b32_e32 v2, v2
	v_ashrrev_i32_e32 v2, 31, v2
	v_xor_b32_e32 v3, vcc_hi, v2
	v_xor_b32_e32 v2, vcc_lo, v2
	; wave barrier
	ds_read_b32 v17, v25 offset:32
	v_and_b32_e32 v23, v23, v26
	v_and_b32_e32 v2, v20, v2
	;; [unrolled: 1-line block ×3, first 2 shown]
	v_mbcnt_lo_u32_b32 v20, v2, 0
	v_mbcnt_hi_u32_b32 v20, v3, v20
	v_cmp_ne_u64_e32 vcc, 0, v[2:3]
	v_cmp_eq_u32_e64 s[4:5], 0, v20
	s_and_b64 s[12:13], vcc, s[4:5]
	; wave barrier
	s_and_saveexec_b64 s[4:5], s[12:13]
	s_cbranch_execz .LBB1864_95
; %bb.94:
	v_bcnt_u32_b32 v2, v2, 0
	v_bcnt_u32_b32 v2, v3, v2
	s_waitcnt lgkmcnt(0)
	v_add_u32_e32 v2, v17, v2
	ds_write_b32 v25, v2 offset:32
.LBB1864_95:
	s_or_b64 exec, exec, s[4:5]
	v_cmp_lt_i32_e32 vcc, -1, v13
	v_cndmask_b32_e32 v2, -1, v4, vcc
	v_xor_b32_e32 v13, v2, v13
	v_cmp_ne_u32_e32 vcc, s8, v13
	v_cndmask_b32_e32 v2, v4, v13, vcc
	v_lshrrev_b32_e32 v2, s44, v2
	v_and_b32_e32 v3, s18, v2
	v_mul_lo_u32 v2, v3, 36
	; wave barrier
	v_lshl_add_u32 v30, v28, 2, v2
	v_and_b32_e32 v2, 1, v3
	v_add_co_u32_e32 v4, vcc, -1, v2
	v_addc_co_u32_e64 v26, s[4:5], 0, -1, vcc
	v_cmp_ne_u32_e32 vcc, 0, v2
	v_xor_b32_e32 v2, vcc_hi, v26
	v_and_b32_e32 v26, exec_hi, v2
	v_lshlrev_b32_e32 v2, 30, v3
	v_xor_b32_e32 v4, vcc_lo, v4
	v_cmp_gt_i64_e32 vcc, 0, v[1:2]
	v_not_b32_e32 v2, v2
	v_ashrrev_i32_e32 v2, 31, v2
	v_and_b32_e32 v4, exec_lo, v4
	v_xor_b32_e32 v29, vcc_hi, v2
	v_xor_b32_e32 v2, vcc_lo, v2
	v_and_b32_e32 v4, v4, v2
	v_lshlrev_b32_e32 v2, 29, v3
	v_cmp_gt_i64_e32 vcc, 0, v[1:2]
	v_not_b32_e32 v2, v2
	v_ashrrev_i32_e32 v2, 31, v2
	v_and_b32_e32 v26, v26, v29
	v_xor_b32_e32 v29, vcc_hi, v2
	v_xor_b32_e32 v2, vcc_lo, v2
	v_and_b32_e32 v4, v4, v2
	v_lshlrev_b32_e32 v2, 28, v3
	v_cmp_gt_i64_e32 vcc, 0, v[1:2]
	v_not_b32_e32 v2, v2
	v_ashrrev_i32_e32 v2, 31, v2
	v_and_b32_e32 v26, v26, v29
	;; [unrolled: 8-line block ×5, first 2 shown]
	v_xor_b32_e32 v29, vcc_hi, v2
	v_xor_b32_e32 v2, vcc_lo, v2
	v_and_b32_e32 v4, v4, v2
	v_lshlrev_b32_e32 v2, 24, v3
	v_cmp_gt_i64_e32 vcc, 0, v[1:2]
	v_not_b32_e32 v1, v2
	v_ashrrev_i32_e32 v1, 31, v1
	v_xor_b32_e32 v2, vcc_hi, v1
	v_xor_b32_e32 v1, vcc_lo, v1
	ds_read_b32 v23, v30 offset:32
	v_and_b32_e32 v26, v26, v29
	v_and_b32_e32 v1, v4, v1
	;; [unrolled: 1-line block ×3, first 2 shown]
	v_mbcnt_lo_u32_b32 v3, v1, 0
	v_mbcnt_hi_u32_b32 v26, v2, v3
	v_cmp_ne_u64_e32 vcc, 0, v[1:2]
	v_cmp_eq_u32_e64 s[4:5], 0, v26
	s_and_b64 s[8:9], vcc, s[4:5]
	; wave barrier
	s_and_saveexec_b64 s[4:5], s[8:9]
	s_cbranch_execz .LBB1864_97
; %bb.96:
	v_bcnt_u32_b32 v1, v1, 0
	v_bcnt_u32_b32 v1, v2, v1
	s_waitcnt lgkmcnt(0)
	v_add_u32_e32 v1, v23, v1
	ds_write_b32 v30, v1 offset:32
.LBB1864_97:
	s_or_b64 exec, exec, s[4:5]
	v_bfrev_b32_e32 v4, 1
	v_cmp_lt_i32_e32 vcc, -1, v16
	v_cndmask_b32_e32 v1, -1, v4, vcc
	v_xor_b32_e32 v16, v1, v16
	s_brev_b32 s8, -2
	v_cmp_ne_u32_e32 vcc, s8, v16
	v_cndmask_b32_e32 v1, v4, v16, vcc
	v_lshrrev_b32_e32 v1, s44, v1
	v_and_b32_e32 v3, s18, v1
	v_mul_lo_u32 v1, v3, 36
	v_and_b32_e32 v2, 1, v3
	v_add_co_u32_e32 v31, vcc, -1, v2
	v_addc_co_u32_e64 v32, s[4:5], 0, -1, vcc
	v_cmp_ne_u32_e32 vcc, 0, v2
	v_xor_b32_e32 v2, vcc_hi, v32
	v_lshl_add_u32 v34, v28, 2, v1
	v_mov_b32_e32 v1, 0
	v_and_b32_e32 v32, exec_hi, v2
	v_lshlrev_b32_e32 v2, 30, v3
	v_xor_b32_e32 v31, vcc_lo, v31
	v_cmp_gt_i64_e32 vcc, 0, v[1:2]
	v_not_b32_e32 v2, v2
	v_ashrrev_i32_e32 v2, 31, v2
	v_and_b32_e32 v31, exec_lo, v31
	v_xor_b32_e32 v33, vcc_hi, v2
	v_xor_b32_e32 v2, vcc_lo, v2
	v_and_b32_e32 v31, v31, v2
	v_lshlrev_b32_e32 v2, 29, v3
	v_cmp_gt_i64_e32 vcc, 0, v[1:2]
	v_not_b32_e32 v2, v2
	v_ashrrev_i32_e32 v2, 31, v2
	v_and_b32_e32 v32, v32, v33
	v_xor_b32_e32 v33, vcc_hi, v2
	v_xor_b32_e32 v2, vcc_lo, v2
	v_and_b32_e32 v31, v31, v2
	v_lshlrev_b32_e32 v2, 28, v3
	v_cmp_gt_i64_e32 vcc, 0, v[1:2]
	v_not_b32_e32 v2, v2
	v_ashrrev_i32_e32 v2, 31, v2
	v_and_b32_e32 v32, v32, v33
	;; [unrolled: 8-line block ×5, first 2 shown]
	v_xor_b32_e32 v33, vcc_hi, v2
	v_xor_b32_e32 v2, vcc_lo, v2
	v_and_b32_e32 v31, v31, v2
	v_lshlrev_b32_e32 v2, 24, v3
	v_cmp_gt_i64_e32 vcc, 0, v[1:2]
	v_not_b32_e32 v2, v2
	v_ashrrev_i32_e32 v2, 31, v2
	v_xor_b32_e32 v3, vcc_hi, v2
	v_xor_b32_e32 v2, vcc_lo, v2
	; wave barrier
	ds_read_b32 v29, v34 offset:32
	v_and_b32_e32 v32, v32, v33
	v_and_b32_e32 v2, v31, v2
	;; [unrolled: 1-line block ×3, first 2 shown]
	v_mbcnt_lo_u32_b32 v31, v2, 0
	v_mbcnt_hi_u32_b32 v31, v3, v31
	v_cmp_ne_u64_e32 vcc, 0, v[2:3]
	v_cmp_eq_u32_e64 s[4:5], 0, v31
	s_and_b64 s[12:13], vcc, s[4:5]
	; wave barrier
	s_and_saveexec_b64 s[4:5], s[12:13]
	s_cbranch_execz .LBB1864_99
; %bb.98:
	v_bcnt_u32_b32 v2, v2, 0
	v_bcnt_u32_b32 v2, v3, v2
	s_waitcnt lgkmcnt(0)
	v_add_u32_e32 v2, v29, v2
	ds_write_b32 v34, v2 offset:32
.LBB1864_99:
	s_or_b64 exec, exec, s[4:5]
	v_cmp_lt_i32_e32 vcc, -1, v22
	v_cndmask_b32_e32 v2, -1, v4, vcc
	v_xor_b32_e32 v22, v2, v22
	v_cmp_ne_u32_e32 vcc, s8, v22
	v_cndmask_b32_e32 v2, v4, v22, vcc
	v_lshrrev_b32_e32 v2, s44, v2
	v_and_b32_e32 v3, s18, v2
	v_mul_lo_u32 v2, v3, 36
	; wave barrier
	v_lshl_add_u32 v37, v28, 2, v2
	v_and_b32_e32 v2, 1, v3
	v_add_co_u32_e32 v4, vcc, -1, v2
	v_addc_co_u32_e64 v32, s[4:5], 0, -1, vcc
	v_cmp_ne_u32_e32 vcc, 0, v2
	v_xor_b32_e32 v2, vcc_hi, v32
	v_and_b32_e32 v32, exec_hi, v2
	v_lshlrev_b32_e32 v2, 30, v3
	v_xor_b32_e32 v4, vcc_lo, v4
	v_cmp_gt_i64_e32 vcc, 0, v[1:2]
	v_not_b32_e32 v2, v2
	v_ashrrev_i32_e32 v2, 31, v2
	v_and_b32_e32 v4, exec_lo, v4
	v_xor_b32_e32 v35, vcc_hi, v2
	v_xor_b32_e32 v2, vcc_lo, v2
	v_and_b32_e32 v4, v4, v2
	v_lshlrev_b32_e32 v2, 29, v3
	v_cmp_gt_i64_e32 vcc, 0, v[1:2]
	v_not_b32_e32 v2, v2
	v_ashrrev_i32_e32 v2, 31, v2
	v_and_b32_e32 v32, v32, v35
	v_xor_b32_e32 v35, vcc_hi, v2
	v_xor_b32_e32 v2, vcc_lo, v2
	v_and_b32_e32 v4, v4, v2
	v_lshlrev_b32_e32 v2, 28, v3
	v_cmp_gt_i64_e32 vcc, 0, v[1:2]
	v_not_b32_e32 v2, v2
	v_ashrrev_i32_e32 v2, 31, v2
	v_and_b32_e32 v32, v32, v35
	v_xor_b32_e32 v35, vcc_hi, v2
	v_xor_b32_e32 v2, vcc_lo, v2
	v_and_b32_e32 v4, v4, v2
	v_lshlrev_b32_e32 v2, 27, v3
	v_cmp_gt_i64_e32 vcc, 0, v[1:2]
	v_not_b32_e32 v2, v2
	v_ashrrev_i32_e32 v2, 31, v2
	v_and_b32_e32 v32, v32, v35
	v_xor_b32_e32 v35, vcc_hi, v2
	v_xor_b32_e32 v2, vcc_lo, v2
	v_and_b32_e32 v4, v4, v2
	v_lshlrev_b32_e32 v2, 26, v3
	v_cmp_gt_i64_e32 vcc, 0, v[1:2]
	v_not_b32_e32 v2, v2
	v_ashrrev_i32_e32 v2, 31, v2
	v_and_b32_e32 v32, v32, v35
	v_xor_b32_e32 v35, vcc_hi, v2
	v_xor_b32_e32 v2, vcc_lo, v2
	v_and_b32_e32 v4, v4, v2
	v_lshlrev_b32_e32 v2, 25, v3
	v_cmp_gt_i64_e32 vcc, 0, v[1:2]
	v_not_b32_e32 v2, v2
	v_ashrrev_i32_e32 v2, 31, v2
	v_and_b32_e32 v32, v32, v35
	v_xor_b32_e32 v35, vcc_hi, v2
	v_xor_b32_e32 v2, vcc_lo, v2
	v_and_b32_e32 v4, v4, v2
	v_lshlrev_b32_e32 v2, 24, v3
	v_cmp_gt_i64_e32 vcc, 0, v[1:2]
	v_not_b32_e32 v1, v2
	v_ashrrev_i32_e32 v1, 31, v1
	v_xor_b32_e32 v2, vcc_hi, v1
	v_xor_b32_e32 v1, vcc_lo, v1
	ds_read_b32 v33, v37 offset:32
	v_and_b32_e32 v32, v32, v35
	v_and_b32_e32 v1, v4, v1
	;; [unrolled: 1-line block ×3, first 2 shown]
	v_mbcnt_lo_u32_b32 v3, v1, 0
	v_mbcnt_hi_u32_b32 v35, v2, v3
	v_cmp_ne_u64_e32 vcc, 0, v[1:2]
	v_cmp_eq_u32_e64 s[4:5], 0, v35
	s_and_b64 s[8:9], vcc, s[4:5]
	; wave barrier
	s_and_saveexec_b64 s[4:5], s[8:9]
	s_cbranch_execz .LBB1864_101
; %bb.100:
	v_bcnt_u32_b32 v1, v1, 0
	v_bcnt_u32_b32 v1, v2, v1
	s_waitcnt lgkmcnt(0)
	v_add_u32_e32 v1, v33, v1
	ds_write_b32 v37, v1 offset:32
.LBB1864_101:
	s_or_b64 exec, exec, s[4:5]
	v_bfrev_b32_e32 v4, 1
	v_cmp_lt_i32_e32 vcc, -1, v27
	v_cndmask_b32_e32 v1, -1, v4, vcc
	v_xor_b32_e32 v27, v1, v27
	s_brev_b32 s8, -2
	v_cmp_ne_u32_e32 vcc, s8, v27
	v_cndmask_b32_e32 v1, v4, v27, vcc
	v_lshrrev_b32_e32 v1, s44, v1
	v_and_b32_e32 v3, s18, v1
	v_mul_lo_u32 v1, v3, 36
	v_and_b32_e32 v2, 1, v3
	v_add_co_u32_e32 v32, vcc, -1, v2
	v_addc_co_u32_e64 v38, s[4:5], 0, -1, vcc
	v_cmp_ne_u32_e32 vcc, 0, v2
	v_xor_b32_e32 v2, vcc_hi, v38
	v_lshl_add_u32 v40, v28, 2, v1
	v_mov_b32_e32 v1, 0
	v_and_b32_e32 v38, exec_hi, v2
	v_lshlrev_b32_e32 v2, 30, v3
	v_xor_b32_e32 v32, vcc_lo, v32
	v_cmp_gt_i64_e32 vcc, 0, v[1:2]
	v_not_b32_e32 v2, v2
	v_ashrrev_i32_e32 v2, 31, v2
	v_and_b32_e32 v32, exec_lo, v32
	v_xor_b32_e32 v39, vcc_hi, v2
	v_xor_b32_e32 v2, vcc_lo, v2
	v_and_b32_e32 v32, v32, v2
	v_lshlrev_b32_e32 v2, 29, v3
	v_cmp_gt_i64_e32 vcc, 0, v[1:2]
	v_not_b32_e32 v2, v2
	v_ashrrev_i32_e32 v2, 31, v2
	v_and_b32_e32 v38, v38, v39
	v_xor_b32_e32 v39, vcc_hi, v2
	v_xor_b32_e32 v2, vcc_lo, v2
	v_and_b32_e32 v32, v32, v2
	v_lshlrev_b32_e32 v2, 28, v3
	v_cmp_gt_i64_e32 vcc, 0, v[1:2]
	v_not_b32_e32 v2, v2
	v_ashrrev_i32_e32 v2, 31, v2
	v_and_b32_e32 v38, v38, v39
	;; [unrolled: 8-line block ×5, first 2 shown]
	v_xor_b32_e32 v39, vcc_hi, v2
	v_xor_b32_e32 v2, vcc_lo, v2
	v_and_b32_e32 v32, v32, v2
	v_lshlrev_b32_e32 v2, 24, v3
	v_cmp_gt_i64_e32 vcc, 0, v[1:2]
	v_not_b32_e32 v2, v2
	v_ashrrev_i32_e32 v2, 31, v2
	v_xor_b32_e32 v3, vcc_hi, v2
	v_xor_b32_e32 v2, vcc_lo, v2
	; wave barrier
	ds_read_b32 v36, v40 offset:32
	v_and_b32_e32 v38, v38, v39
	v_and_b32_e32 v2, v32, v2
	;; [unrolled: 1-line block ×3, first 2 shown]
	v_mbcnt_lo_u32_b32 v32, v2, 0
	v_mbcnt_hi_u32_b32 v38, v3, v32
	v_cmp_ne_u64_e32 vcc, 0, v[2:3]
	v_cmp_eq_u32_e64 s[4:5], 0, v38
	s_and_b64 s[12:13], vcc, s[4:5]
	; wave barrier
	s_and_saveexec_b64 s[4:5], s[12:13]
	s_cbranch_execz .LBB1864_103
; %bb.102:
	v_bcnt_u32_b32 v2, v2, 0
	v_bcnt_u32_b32 v2, v3, v2
	s_waitcnt lgkmcnt(0)
	v_add_u32_e32 v2, v36, v2
	ds_write_b32 v40, v2 offset:32
.LBB1864_103:
	s_or_b64 exec, exec, s[4:5]
	v_cmp_lt_i32_e32 vcc, -1, v24
	v_cndmask_b32_e32 v2, -1, v4, vcc
	v_xor_b32_e32 v32, v2, v24
	v_cmp_ne_u32_e32 vcc, s8, v32
	v_cndmask_b32_e32 v2, v4, v32, vcc
	v_lshrrev_b32_e32 v2, s44, v2
	v_and_b32_e32 v3, s18, v2
	v_mul_lo_u32 v2, v3, 36
	; wave barrier
	v_lshl_add_u32 v28, v28, 2, v2
	v_and_b32_e32 v2, 1, v3
	v_add_co_u32_e32 v4, vcc, -1, v2
	v_addc_co_u32_e64 v24, s[4:5], 0, -1, vcc
	v_cmp_ne_u32_e32 vcc, 0, v2
	v_xor_b32_e32 v2, vcc_hi, v24
	v_and_b32_e32 v24, exec_hi, v2
	v_lshlrev_b32_e32 v2, 30, v3
	v_xor_b32_e32 v4, vcc_lo, v4
	v_cmp_gt_i64_e32 vcc, 0, v[1:2]
	v_not_b32_e32 v2, v2
	v_ashrrev_i32_e32 v2, 31, v2
	v_and_b32_e32 v4, exec_lo, v4
	v_xor_b32_e32 v41, vcc_hi, v2
	v_xor_b32_e32 v2, vcc_lo, v2
	v_and_b32_e32 v4, v4, v2
	v_lshlrev_b32_e32 v2, 29, v3
	v_cmp_gt_i64_e32 vcc, 0, v[1:2]
	v_not_b32_e32 v2, v2
	v_ashrrev_i32_e32 v2, 31, v2
	v_and_b32_e32 v24, v24, v41
	v_xor_b32_e32 v41, vcc_hi, v2
	v_xor_b32_e32 v2, vcc_lo, v2
	v_and_b32_e32 v4, v4, v2
	v_lshlrev_b32_e32 v2, 28, v3
	v_cmp_gt_i64_e32 vcc, 0, v[1:2]
	v_not_b32_e32 v2, v2
	v_ashrrev_i32_e32 v2, 31, v2
	v_and_b32_e32 v24, v24, v41
	;; [unrolled: 8-line block ×5, first 2 shown]
	v_xor_b32_e32 v41, vcc_hi, v2
	v_xor_b32_e32 v2, vcc_lo, v2
	v_and_b32_e32 v4, v4, v2
	v_lshlrev_b32_e32 v2, 24, v3
	v_cmp_gt_i64_e32 vcc, 0, v[1:2]
	v_not_b32_e32 v1, v2
	v_ashrrev_i32_e32 v1, 31, v1
	v_xor_b32_e32 v2, vcc_hi, v1
	v_xor_b32_e32 v1, vcc_lo, v1
	ds_read_b32 v39, v28 offset:32
	v_and_b32_e32 v24, v24, v41
	v_and_b32_e32 v1, v4, v1
	;; [unrolled: 1-line block ×3, first 2 shown]
	v_mbcnt_lo_u32_b32 v3, v1, 0
	v_mbcnt_hi_u32_b32 v41, v2, v3
	v_cmp_ne_u64_e32 vcc, 0, v[1:2]
	v_cmp_eq_u32_e64 s[4:5], 0, v41
	s_and_b64 s[8:9], vcc, s[4:5]
	; wave barrier
	s_and_saveexec_b64 s[4:5], s[8:9]
	s_cbranch_execz .LBB1864_105
; %bb.104:
	v_bcnt_u32_b32 v1, v1, 0
	v_bcnt_u32_b32 v1, v2, v1
	s_waitcnt lgkmcnt(0)
	v_add_u32_e32 v1, v39, v1
	ds_write_b32 v28, v1 offset:32
.LBB1864_105:
	s_or_b64 exec, exec, s[4:5]
	; wave barrier
	s_waitcnt lgkmcnt(0)
	s_barrier
	ds_read2_b32 v[3:4], v6 offset0:8 offset1:9
	ds_read2_b32 v[1:2], v6 offset0:10 offset1:11
	ds_read_b32 v24, v6 offset:48
	s_waitcnt lgkmcnt(1)
	v_add3_u32 v42, v4, v3, v1
	s_waitcnt lgkmcnt(0)
	v_add3_u32 v24, v42, v2, v24
	v_and_b32_e32 v42, 15, v5
	v_cmp_ne_u32_e32 vcc, 0, v42
	v_mov_b32_dpp v43, v24 row_shr:1 row_mask:0xf bank_mask:0xf
	v_cndmask_b32_e32 v43, 0, v43, vcc
	v_add_u32_e32 v24, v43, v24
	v_cmp_lt_u32_e32 vcc, 1, v42
	s_nop 0
	v_mov_b32_dpp v43, v24 row_shr:2 row_mask:0xf bank_mask:0xf
	v_cndmask_b32_e32 v43, 0, v43, vcc
	v_add_u32_e32 v24, v24, v43
	v_cmp_lt_u32_e32 vcc, 3, v42
	s_nop 0
	;; [unrolled: 5-line block ×3, first 2 shown]
	v_mov_b32_dpp v43, v24 row_shr:8 row_mask:0xf bank_mask:0xf
	v_cndmask_b32_e32 v42, 0, v43, vcc
	v_add_u32_e32 v24, v24, v42
	v_bfe_i32 v43, v5, 4, 1
	v_cmp_lt_u32_e32 vcc, 31, v5
	v_mov_b32_dpp v42, v24 row_bcast:15 row_mask:0xf bank_mask:0xf
	v_and_b32_e32 v42, v43, v42
	v_add_u32_e32 v24, v24, v42
	v_lshrrev_b32_e32 v43, 6, v0
	s_nop 0
	v_mov_b32_dpp v42, v24 row_bcast:31 row_mask:0xf bank_mask:0xf
	v_cndmask_b32_e32 v42, 0, v42, vcc
	v_add_u32_e32 v42, v24, v42
	v_or_b32_e32 v24, 63, v0
	v_cmp_eq_u32_e32 vcc, v0, v24
	s_and_saveexec_b64 s[4:5], vcc
; %bb.106:
	v_lshlrev_b32_e32 v24, 2, v43
	ds_write_b32 v24, v42
; %bb.107:
	s_or_b64 exec, exec, s[4:5]
	v_cmp_gt_u32_e32 vcc, 8, v0
	v_lshlrev_b32_e32 v24, 2, v0
	s_waitcnt lgkmcnt(0)
	s_barrier
	s_and_saveexec_b64 s[4:5], vcc
	s_cbranch_execz .LBB1864_109
; %bb.108:
	ds_read_b32 v44, v24
	v_and_b32_e32 v45, 7, v5
	v_cmp_ne_u32_e32 vcc, 0, v45
	s_waitcnt lgkmcnt(0)
	v_mov_b32_dpp v46, v44 row_shr:1 row_mask:0xf bank_mask:0xf
	v_cndmask_b32_e32 v46, 0, v46, vcc
	v_add_u32_e32 v44, v46, v44
	v_cmp_lt_u32_e32 vcc, 1, v45
	s_nop 0
	v_mov_b32_dpp v46, v44 row_shr:2 row_mask:0xf bank_mask:0xf
	v_cndmask_b32_e32 v46, 0, v46, vcc
	v_add_u32_e32 v44, v44, v46
	v_cmp_lt_u32_e32 vcc, 3, v45
	s_nop 0
	v_mov_b32_dpp v46, v44 row_shr:4 row_mask:0xf bank_mask:0xf
	v_cndmask_b32_e32 v45, 0, v46, vcc
	v_add_u32_e32 v44, v44, v45
	ds_write_b32 v24, v44
.LBB1864_109:
	s_or_b64 exec, exec, s[4:5]
	v_cmp_lt_u32_e32 vcc, 63, v0
	v_mov_b32_e32 v44, 0
	s_waitcnt lgkmcnt(0)
	s_barrier
	s_and_saveexec_b64 s[4:5], vcc
; %bb.110:
	v_lshl_add_u32 v43, v43, 2, -4
	ds_read_b32 v44, v43
; %bb.111:
	s_or_b64 exec, exec, s[4:5]
	v_subrev_co_u32_e32 v43, vcc, 1, v5
	v_and_b32_e32 v45, 64, v5
	v_cmp_lt_i32_e64 s[4:5], v43, v45
	v_cndmask_b32_e64 v5, v43, v5, s[4:5]
	s_waitcnt lgkmcnt(0)
	v_add_u32_e32 v42, v44, v42
	v_lshlrev_b32_e32 v5, 2, v5
	ds_bpermute_b32 v5, v5, v42
	s_movk_i32 s4, 0xff
	s_movk_i32 s8, 0x100
	v_cmp_lt_u32_e64 s[4:5], s4, v0
	s_waitcnt lgkmcnt(0)
	v_cndmask_b32_e32 v5, v5, v44, vcc
	v_cmp_ne_u32_e32 vcc, 0, v0
	v_cndmask_b32_e32 v5, 0, v5, vcc
	v_add_u32_e32 v3, v5, v3
	v_add_u32_e32 v4, v3, v4
	;; [unrolled: 1-line block ×4, first 2 shown]
	ds_write2_b32 v6, v5, v3 offset0:8 offset1:9
	ds_write2_b32 v6, v4, v1 offset0:10 offset1:11
	ds_write_b32 v6, v2 offset:48
	s_waitcnt lgkmcnt(0)
	s_barrier
	ds_read_b32 v45, v18 offset:32
	ds_read_b32 v18, v19 offset:32
	;; [unrolled: 1-line block ×8, first 2 shown]
	v_cmp_gt_u32_e32 vcc, s8, v0
                                        ; implicit-def: $vgpr19
                                        ; implicit-def: $vgpr25
	s_and_saveexec_b64 s[12:13], vcc
	s_cbranch_execz .LBB1864_115
; %bb.112:
	v_mul_u32_u24_e32 v1, 36, v0
	ds_read_b32 v19, v1 offset:32
	v_add_u32_e32 v2, 1, v0
	v_cmp_ne_u32_e64 s[8:9], s8, v2
	v_mov_b32_e32 v1, 0x1000
	s_and_saveexec_b64 s[14:15], s[8:9]
; %bb.113:
	v_mul_u32_u24_e32 v1, 36, v2
	ds_read_b32 v1, v1 offset:32
; %bb.114:
	s_or_b64 exec, exec, s[14:15]
	s_waitcnt lgkmcnt(0)
	v_sub_u32_e32 v25, v1, v19
.LBB1864_115:
	s_or_b64 exec, exec, s[12:13]
	v_mov_b32_e32 v2, 0
	s_waitcnt lgkmcnt(0)
	s_barrier
	s_and_saveexec_b64 s[8:9], vcc
	s_cbranch_execz .LBB1864_125
; %bb.116:
	v_lshl_add_u32 v1, s6, 8, v0
	v_lshlrev_b64 v[3:4], 2, v[1:2]
	v_mov_b32_e32 v28, s35
	v_add_co_u32_e32 v3, vcc, s34, v3
	v_addc_co_u32_e32 v4, vcc, v28, v4, vcc
	v_or_b32_e32 v1, 2.0, v25
	s_mov_b64 s[12:13], 0
	s_brev_b32 s19, -4
	s_mov_b32 s20, s6
	v_mov_b32_e32 v40, 0
	global_store_dword v[3:4], v1, off
                                        ; implicit-def: $sgpr14_sgpr15
	s_branch .LBB1864_119
.LBB1864_117:                           ;   in Loop: Header=BB1864_119 Depth=1
	s_or_b64 exec, exec, s[16:17]
.LBB1864_118:                           ;   in Loop: Header=BB1864_119 Depth=1
	s_or_b64 exec, exec, s[14:15]
	v_and_b32_e32 v5, 0x3fffffff, v1
	v_add_u32_e32 v40, v5, v40
	v_cmp_gt_i32_e64 s[14:15], -2.0, v1
	s_and_b64 s[16:17], exec, s[14:15]
	s_or_b64 s[12:13], s[16:17], s[12:13]
	s_andn2_b64 exec, exec, s[12:13]
	s_cbranch_execz .LBB1864_124
.LBB1864_119:                           ; =>This Loop Header: Depth=1
                                        ;     Child Loop BB1864_122 Depth 2
	s_or_b64 s[14:15], s[14:15], exec
	s_cmp_eq_u32 s20, 0
	s_cbranch_scc1 .LBB1864_123
; %bb.120:                              ;   in Loop: Header=BB1864_119 Depth=1
	s_add_i32 s20, s20, -1
	v_lshl_or_b32 v1, s20, 8, v0
	v_lshlrev_b64 v[5:6], 2, v[1:2]
	v_add_co_u32_e32 v5, vcc, s34, v5
	v_addc_co_u32_e32 v6, vcc, v28, v6, vcc
	global_load_dword v1, v[5:6], off glc
	s_waitcnt vmcnt(0)
	v_cmp_gt_u32_e32 vcc, 2.0, v1
	s_and_saveexec_b64 s[14:15], vcc
	s_cbranch_execz .LBB1864_118
; %bb.121:                              ;   in Loop: Header=BB1864_119 Depth=1
	s_mov_b64 s[16:17], 0
.LBB1864_122:                           ;   Parent Loop BB1864_119 Depth=1
                                        ; =>  This Inner Loop Header: Depth=2
	global_load_dword v1, v[5:6], off glc
	s_waitcnt vmcnt(0)
	v_cmp_lt_u32_e32 vcc, s19, v1
	s_or_b64 s[16:17], vcc, s[16:17]
	s_andn2_b64 exec, exec, s[16:17]
	s_cbranch_execnz .LBB1864_122
	s_branch .LBB1864_117
.LBB1864_123:                           ;   in Loop: Header=BB1864_119 Depth=1
                                        ; implicit-def: $sgpr20
	s_and_b64 s[16:17], exec, s[14:15]
	s_or_b64 s[12:13], s[16:17], s[12:13]
	s_andn2_b64 exec, exec, s[12:13]
	s_cbranch_execnz .LBB1864_119
.LBB1864_124:
	s_or_b64 exec, exec, s[12:13]
	v_add_u32_e32 v1, v40, v25
	v_or_b32_e32 v1, 0x80000000, v1
	global_store_dword v[3:4], v1, off
	global_load_dword v1, v24, s[28:29]
	v_sub_u32_e32 v2, v40, v19
	s_waitcnt vmcnt(0)
	v_add_u32_e32 v1, v2, v1
	ds_write_b32 v24, v1
.LBB1864_125:
	s_or_b64 exec, exec, s[8:9]
	v_add_u32_e32 v28, v45, v12
	s_mov_b32 s14, 16
	v_add3_u32 v30, v41, v30, v39
	v_add3_u32 v34, v38, v34, v36
	;; [unrolled: 1-line block ×7, first 2 shown]
	s_mov_b32 s21, 0
	s_mov_b64 s[12:13], -1
	s_mov_b32 s15, 0
	s_brev_b32 s16, -2
	v_bfrev_b32_e32 v3, 1
	v_mov_b32_e32 v2, 0
	v_mov_b32_e32 v4, s39
	s_movk_i32 s17, 0x200
	s_movk_i32 s19, 0x400
	;; [unrolled: 1-line block ×3, first 2 shown]
	v_mov_b32_e32 v5, v0
.LBB1864_126:                           ; =>This Inner Loop Header: Depth=1
	v_add_u32_e32 v1, s15, v28
	v_add_u32_e32 v14, s15, v23
	;; [unrolled: 1-line block ×8, first 2 shown]
	v_min_u32_e32 v1, 0x800, v1
	v_min_u32_e32 v14, 0x800, v14
	;; [unrolled: 1-line block ×8, first 2 shown]
	v_lshlrev_b32_e32 v1, 2, v1
	v_lshlrev_b32_e32 v14, 2, v14
	;; [unrolled: 1-line block ×8, first 2 shown]
	ds_write_b32 v1, v9 offset:1024
	ds_write_b32 v6, v10 offset:1024
	;; [unrolled: 1-line block ×8, first 2 shown]
	s_waitcnt lgkmcnt(0)
	s_barrier
	ds_read2st64_b32 v[14:15], v24 offset0:4 offset1:12
	ds_read2st64_b32 v[17:18], v24 offset0:20 offset1:28
	v_mov_b32_e32 v35, s21
	s_addk_i32 s15, 0xf800
	s_and_b64 vcc, exec, s[12:13]
	s_waitcnt lgkmcnt(1)
	v_cmp_ne_u32_e64 s[8:9], s16, v14
	v_cndmask_b32_e64 v1, v3, v14, s[8:9]
	v_cmp_lt_i32_e64 s[8:9], -1, v14
	v_cndmask_b32_e64 v6, v3, -1, s[8:9]
	v_cmp_ne_u32_e64 s[8:9], s16, v15
	v_cndmask_b32_e64 v12, v3, v15, s[8:9]
	v_cmp_lt_i32_e64 s[8:9], -1, v15
	v_cndmask_b32_e64 v31, v3, -1, s[8:9]
	s_waitcnt lgkmcnt(0)
	v_cmp_ne_u32_e64 s[8:9], s16, v17
	v_cndmask_b32_e64 v36, v3, v17, s[8:9]
	v_cmp_lt_i32_e64 s[8:9], -1, v17
	v_cndmask_b32_e64 v37, v3, -1, s[8:9]
	v_cmp_ne_u32_e64 s[8:9], s16, v18
	v_cndmask_b32_e64 v38, v3, v18, s[8:9]
	v_lshrrev_b32_e32 v1, s44, v1
	v_xor_b32_e32 v6, v6, v14
	v_lshrrev_b32_e32 v12, s44, v12
	v_xor_b32_e32 v31, v31, v15
	v_lshrrev_b32_e32 v14, s44, v36
	v_lshrrev_b32_e32 v15, s44, v38
	v_cmp_lt_i32_e64 s[8:9], -1, v18
	v_and_b32_e32 v1, s18, v1
	v_and_b32_e32 v12, s18, v12
	;; [unrolled: 1-line block ×4, first 2 shown]
	v_cndmask_b32_e64 v39, v3, -1, s[8:9]
	v_xor_b32_e32 v37, v37, v17
	v_lshlrev_b32_e32 v17, 2, v1
	buffer_store_dword v1, v35, s[0:3], 0 offen
	v_lshlrev_b32_e32 v1, 2, v12
	buffer_store_dword v12, v35, s[0:3], 0 offen offset:4
	v_lshlrev_b32_e32 v12, 2, v14
	buffer_store_dword v14, v35, s[0:3], 0 offen offset:8
	buffer_store_dword v15, v35, s[0:3], 0 offen offset:12
	v_xor_b32_e32 v38, v39, v18
	v_lshlrev_b32_e32 v14, 2, v15
	ds_read_b32 v15, v17
	ds_read_b32 v17, v1
	;; [unrolled: 1-line block ×4, first 2 shown]
	s_mov_b64 s[12:13], 0
	s_waitcnt lgkmcnt(3)
	v_add_u32_e32 v1, v5, v15
	v_lshlrev_b64 v[14:15], 2, v[1:2]
	s_waitcnt lgkmcnt(2)
	v_add3_u32 v1, v5, v17, s17
	v_lshlrev_b64 v[17:18], 2, v[1:2]
	v_add_co_u32_e64 v14, s[8:9], s38, v14
	s_waitcnt lgkmcnt(1)
	v_add3_u32 v1, v5, v12, s19
	v_addc_co_u32_e64 v15, s[8:9], v4, v15, s[8:9]
	v_lshlrev_b64 v[35:36], 2, v[1:2]
	global_store_dword v[14:15], v6, off
	v_add_co_u32_e64 v14, s[8:9], s38, v17
	s_waitcnt lgkmcnt(0)
	v_add3_u32 v1, v5, v39, s20
	v_addc_co_u32_e64 v15, s[8:9], v4, v18, s[8:9]
	v_lshlrev_b64 v[17:18], 2, v[1:2]
	global_store_dword v[14:15], v31, off
	v_add_co_u32_e64 v14, s[8:9], s38, v35
	v_addc_co_u32_e64 v15, s[8:9], v4, v36, s[8:9]
	global_store_dword v[14:15], v37, off
	v_add_co_u32_e64 v14, s[8:9], s38, v17
	s_mov_b32 s21, s14
	v_add_u32_e32 v5, 0x800, v5
	v_addc_co_u32_e64 v15, s[8:9], v4, v18, s[8:9]
	global_store_dword v[14:15], v38, off
	s_waitcnt vmcnt(0)
	s_barrier
	s_cbranch_vccnz .LBB1864_126
; %bb.127:
	s_lshl_b64 s[8:9], s[10:11], 3
	s_add_u32 s8, s40, s8
	s_addc_u32 s9, s41, s9
	v_lshlrev_b32_e32 v1, 3, v8
	v_mov_b32_e32 v2, s9
	v_add_co_u32_e32 v1, vcc, s8, v1
	v_addc_co_u32_e32 v2, vcc, 0, v2, vcc
	v_lshlrev_b32_e32 v3, 3, v7
	v_add_co_u32_e32 v17, vcc, v1, v3
	v_addc_co_u32_e32 v18, vcc, 0, v2, vcc
	global_load_dwordx2 v[1:2], v[17:18], off
	global_load_dwordx2 v[3:4], v[17:18], off offset:512
	global_load_dwordx2 v[5:6], v[17:18], off offset:1024
	;; [unrolled: 1-line block ×7, first 2 shown]
	v_mov_b32_e32 v18, 0
	s_mov_b32 s8, 0
	s_mov_b32 s9, 0
	v_mov_b32_e32 v22, s43
	s_movk_i32 s10, 0x200
.LBB1864_128:                           ; =>This Inner Loop Header: Depth=1
	v_add_u32_e32 v17, s9, v28
	v_add_u32_e32 v27, s9, v26
	;; [unrolled: 1-line block ×8, first 2 shown]
	v_min_u32_e32 v17, 0x400, v17
	v_min_u32_e32 v27, 0x400, v27
	v_mov_b32_e32 v39, s8
	v_min_u32_e32 v31, 0x400, v31
	v_min_u32_e32 v32, 0x400, v32
	;; [unrolled: 1-line block ×6, first 2 shown]
	v_lshlrev_b32_e32 v17, 3, v17
	v_lshlrev_b32_e32 v27, 3, v27
	;; [unrolled: 1-line block ×8, first 2 shown]
	s_waitcnt vmcnt(7)
	ds_write_b64 v17, v[1:2] offset:1024
	s_waitcnt vmcnt(6)
	ds_write_b64 v27, v[3:4] offset:1024
	;; [unrolled: 2-line block ×8, first 2 shown]
	s_waitcnt lgkmcnt(0)
	s_barrier
	buffer_load_dword v17, v39, s[0:3], 0 offen
	buffer_load_dword v27, v39, s[0:3], 0 offen offset:4
	ds_read2st64_b64 v[35:38], v21 offset0:2 offset1:10
	s_addk_i32 s9, 0xfc00
	s_add_i32 s8, s8, 8
	s_cmpk_lg_i32 s9, 0xf000
	s_waitcnt vmcnt(1)
	v_lshlrev_b32_e32 v17, 2, v17
	s_waitcnt vmcnt(0)
	v_lshlrev_b32_e32 v27, 2, v27
	ds_read_b32 v17, v17
	ds_read_b32 v27, v27
	s_waitcnt lgkmcnt(1)
	v_add_u32_e32 v17, v0, v17
	v_lshlrev_b64 v[31:32], 3, v[17:18]
	s_waitcnt lgkmcnt(0)
	v_add3_u32 v17, v0, v27, s10
	v_lshlrev_b64 v[39:40], 3, v[17:18]
	v_add_co_u32_e32 v31, vcc, s42, v31
	v_addc_co_u32_e32 v32, vcc, v22, v32, vcc
	global_store_dwordx2 v[31:32], v[35:36], off
	v_add_co_u32_e32 v31, vcc, s42, v39
	v_add_u32_e32 v0, 0x400, v0
	v_addc_co_u32_e32 v32, vcc, v22, v40, vcc
	global_store_dwordx2 v[31:32], v[37:38], off
	s_waitcnt vmcnt(0)
	s_barrier
	s_cbranch_scc1 .LBB1864_128
; %bb.129:
	s_add_i32 s7, s7, -1
	s_cmp_eq_u32 s6, s7
	s_cselect_b64 s[6:7], -1, 0
	s_xor_b64 s[4:5], s[4:5], -1
	s_and_b64 s[4:5], s[4:5], s[6:7]
	s_and_saveexec_b64 s[6:7], s[4:5]
	s_cbranch_execz .LBB1864_131
; %bb.130:
	ds_read_b32 v0, v24
	s_waitcnt lgkmcnt(0)
	v_add3_u32 v0, v19, v25, v0
	global_store_dword v24, v0, s[30:31]
.LBB1864_131:
	s_endpgm
	.section	.rodata,"a",@progbits
	.p2align	6, 0x0
	.amdhsa_kernel _ZN7rocprim17ROCPRIM_400000_NS6detail17trampoline_kernelINS0_14default_configENS1_35radix_sort_onesweep_config_selectorIflEEZZNS1_29radix_sort_onesweep_iterationIS3_Lb0EPfS7_N6thrust23THRUST_200600_302600_NS10device_ptrIlEESB_jNS0_19identity_decomposerENS1_16block_id_wrapperIjLb0EEEEE10hipError_tT1_PNSt15iterator_traitsISG_E10value_typeET2_T3_PNSH_ISM_E10value_typeET4_T5_PSR_SS_PNS1_23onesweep_lookback_stateEbbT6_jjT7_P12ihipStream_tbENKUlT_T0_SG_SL_E_clIS7_S7_SB_SB_EEDaSZ_S10_SG_SL_EUlSZ_E_NS1_11comp_targetILNS1_3genE2ELNS1_11target_archE906ELNS1_3gpuE6ELNS1_3repE0EEENS1_47radix_sort_onesweep_sort_config_static_selectorELNS0_4arch9wavefront6targetE1EEEvSG_
		.amdhsa_group_segment_fixed_size 10280
		.amdhsa_private_segment_fixed_size 48
		.amdhsa_kernarg_size 344
		.amdhsa_user_sgpr_count 6
		.amdhsa_user_sgpr_private_segment_buffer 1
		.amdhsa_user_sgpr_dispatch_ptr 0
		.amdhsa_user_sgpr_queue_ptr 0
		.amdhsa_user_sgpr_kernarg_segment_ptr 1
		.amdhsa_user_sgpr_dispatch_id 0
		.amdhsa_user_sgpr_flat_scratch_init 0
		.amdhsa_user_sgpr_private_segment_size 0
		.amdhsa_uses_dynamic_stack 0
		.amdhsa_system_sgpr_private_segment_wavefront_offset 1
		.amdhsa_system_sgpr_workgroup_id_x 1
		.amdhsa_system_sgpr_workgroup_id_y 0
		.amdhsa_system_sgpr_workgroup_id_z 0
		.amdhsa_system_sgpr_workgroup_info 0
		.amdhsa_system_vgpr_workitem_id 2
		.amdhsa_next_free_vgpr 58
		.amdhsa_next_free_sgpr 57
		.amdhsa_reserve_vcc 1
		.amdhsa_reserve_flat_scratch 0
		.amdhsa_float_round_mode_32 0
		.amdhsa_float_round_mode_16_64 0
		.amdhsa_float_denorm_mode_32 3
		.amdhsa_float_denorm_mode_16_64 3
		.amdhsa_dx10_clamp 1
		.amdhsa_ieee_mode 1
		.amdhsa_fp16_overflow 0
		.amdhsa_exception_fp_ieee_invalid_op 0
		.amdhsa_exception_fp_denorm_src 0
		.amdhsa_exception_fp_ieee_div_zero 0
		.amdhsa_exception_fp_ieee_overflow 0
		.amdhsa_exception_fp_ieee_underflow 0
		.amdhsa_exception_fp_ieee_inexact 0
		.amdhsa_exception_int_div_zero 0
	.end_amdhsa_kernel
	.section	.text._ZN7rocprim17ROCPRIM_400000_NS6detail17trampoline_kernelINS0_14default_configENS1_35radix_sort_onesweep_config_selectorIflEEZZNS1_29radix_sort_onesweep_iterationIS3_Lb0EPfS7_N6thrust23THRUST_200600_302600_NS10device_ptrIlEESB_jNS0_19identity_decomposerENS1_16block_id_wrapperIjLb0EEEEE10hipError_tT1_PNSt15iterator_traitsISG_E10value_typeET2_T3_PNSH_ISM_E10value_typeET4_T5_PSR_SS_PNS1_23onesweep_lookback_stateEbbT6_jjT7_P12ihipStream_tbENKUlT_T0_SG_SL_E_clIS7_S7_SB_SB_EEDaSZ_S10_SG_SL_EUlSZ_E_NS1_11comp_targetILNS1_3genE2ELNS1_11target_archE906ELNS1_3gpuE6ELNS1_3repE0EEENS1_47radix_sort_onesweep_sort_config_static_selectorELNS0_4arch9wavefront6targetE1EEEvSG_,"axG",@progbits,_ZN7rocprim17ROCPRIM_400000_NS6detail17trampoline_kernelINS0_14default_configENS1_35radix_sort_onesweep_config_selectorIflEEZZNS1_29radix_sort_onesweep_iterationIS3_Lb0EPfS7_N6thrust23THRUST_200600_302600_NS10device_ptrIlEESB_jNS0_19identity_decomposerENS1_16block_id_wrapperIjLb0EEEEE10hipError_tT1_PNSt15iterator_traitsISG_E10value_typeET2_T3_PNSH_ISM_E10value_typeET4_T5_PSR_SS_PNS1_23onesweep_lookback_stateEbbT6_jjT7_P12ihipStream_tbENKUlT_T0_SG_SL_E_clIS7_S7_SB_SB_EEDaSZ_S10_SG_SL_EUlSZ_E_NS1_11comp_targetILNS1_3genE2ELNS1_11target_archE906ELNS1_3gpuE6ELNS1_3repE0EEENS1_47radix_sort_onesweep_sort_config_static_selectorELNS0_4arch9wavefront6targetE1EEEvSG_,comdat
.Lfunc_end1864:
	.size	_ZN7rocprim17ROCPRIM_400000_NS6detail17trampoline_kernelINS0_14default_configENS1_35radix_sort_onesweep_config_selectorIflEEZZNS1_29radix_sort_onesweep_iterationIS3_Lb0EPfS7_N6thrust23THRUST_200600_302600_NS10device_ptrIlEESB_jNS0_19identity_decomposerENS1_16block_id_wrapperIjLb0EEEEE10hipError_tT1_PNSt15iterator_traitsISG_E10value_typeET2_T3_PNSH_ISM_E10value_typeET4_T5_PSR_SS_PNS1_23onesweep_lookback_stateEbbT6_jjT7_P12ihipStream_tbENKUlT_T0_SG_SL_E_clIS7_S7_SB_SB_EEDaSZ_S10_SG_SL_EUlSZ_E_NS1_11comp_targetILNS1_3genE2ELNS1_11target_archE906ELNS1_3gpuE6ELNS1_3repE0EEENS1_47radix_sort_onesweep_sort_config_static_selectorELNS0_4arch9wavefront6targetE1EEEvSG_, .Lfunc_end1864-_ZN7rocprim17ROCPRIM_400000_NS6detail17trampoline_kernelINS0_14default_configENS1_35radix_sort_onesweep_config_selectorIflEEZZNS1_29radix_sort_onesweep_iterationIS3_Lb0EPfS7_N6thrust23THRUST_200600_302600_NS10device_ptrIlEESB_jNS0_19identity_decomposerENS1_16block_id_wrapperIjLb0EEEEE10hipError_tT1_PNSt15iterator_traitsISG_E10value_typeET2_T3_PNSH_ISM_E10value_typeET4_T5_PSR_SS_PNS1_23onesweep_lookback_stateEbbT6_jjT7_P12ihipStream_tbENKUlT_T0_SG_SL_E_clIS7_S7_SB_SB_EEDaSZ_S10_SG_SL_EUlSZ_E_NS1_11comp_targetILNS1_3genE2ELNS1_11target_archE906ELNS1_3gpuE6ELNS1_3repE0EEENS1_47radix_sort_onesweep_sort_config_static_selectorELNS0_4arch9wavefront6targetE1EEEvSG_
                                        ; -- End function
	.set _ZN7rocprim17ROCPRIM_400000_NS6detail17trampoline_kernelINS0_14default_configENS1_35radix_sort_onesweep_config_selectorIflEEZZNS1_29radix_sort_onesweep_iterationIS3_Lb0EPfS7_N6thrust23THRUST_200600_302600_NS10device_ptrIlEESB_jNS0_19identity_decomposerENS1_16block_id_wrapperIjLb0EEEEE10hipError_tT1_PNSt15iterator_traitsISG_E10value_typeET2_T3_PNSH_ISM_E10value_typeET4_T5_PSR_SS_PNS1_23onesweep_lookback_stateEbbT6_jjT7_P12ihipStream_tbENKUlT_T0_SG_SL_E_clIS7_S7_SB_SB_EEDaSZ_S10_SG_SL_EUlSZ_E_NS1_11comp_targetILNS1_3genE2ELNS1_11target_archE906ELNS1_3gpuE6ELNS1_3repE0EEENS1_47radix_sort_onesweep_sort_config_static_selectorELNS0_4arch9wavefront6targetE1EEEvSG_.num_vgpr, 58
	.set _ZN7rocprim17ROCPRIM_400000_NS6detail17trampoline_kernelINS0_14default_configENS1_35radix_sort_onesweep_config_selectorIflEEZZNS1_29radix_sort_onesweep_iterationIS3_Lb0EPfS7_N6thrust23THRUST_200600_302600_NS10device_ptrIlEESB_jNS0_19identity_decomposerENS1_16block_id_wrapperIjLb0EEEEE10hipError_tT1_PNSt15iterator_traitsISG_E10value_typeET2_T3_PNSH_ISM_E10value_typeET4_T5_PSR_SS_PNS1_23onesweep_lookback_stateEbbT6_jjT7_P12ihipStream_tbENKUlT_T0_SG_SL_E_clIS7_S7_SB_SB_EEDaSZ_S10_SG_SL_EUlSZ_E_NS1_11comp_targetILNS1_3genE2ELNS1_11target_archE906ELNS1_3gpuE6ELNS1_3repE0EEENS1_47radix_sort_onesweep_sort_config_static_selectorELNS0_4arch9wavefront6targetE1EEEvSG_.num_agpr, 0
	.set _ZN7rocprim17ROCPRIM_400000_NS6detail17trampoline_kernelINS0_14default_configENS1_35radix_sort_onesweep_config_selectorIflEEZZNS1_29radix_sort_onesweep_iterationIS3_Lb0EPfS7_N6thrust23THRUST_200600_302600_NS10device_ptrIlEESB_jNS0_19identity_decomposerENS1_16block_id_wrapperIjLb0EEEEE10hipError_tT1_PNSt15iterator_traitsISG_E10value_typeET2_T3_PNSH_ISM_E10value_typeET4_T5_PSR_SS_PNS1_23onesweep_lookback_stateEbbT6_jjT7_P12ihipStream_tbENKUlT_T0_SG_SL_E_clIS7_S7_SB_SB_EEDaSZ_S10_SG_SL_EUlSZ_E_NS1_11comp_targetILNS1_3genE2ELNS1_11target_archE906ELNS1_3gpuE6ELNS1_3repE0EEENS1_47radix_sort_onesweep_sort_config_static_selectorELNS0_4arch9wavefront6targetE1EEEvSG_.numbered_sgpr, 57
	.set _ZN7rocprim17ROCPRIM_400000_NS6detail17trampoline_kernelINS0_14default_configENS1_35radix_sort_onesweep_config_selectorIflEEZZNS1_29radix_sort_onesweep_iterationIS3_Lb0EPfS7_N6thrust23THRUST_200600_302600_NS10device_ptrIlEESB_jNS0_19identity_decomposerENS1_16block_id_wrapperIjLb0EEEEE10hipError_tT1_PNSt15iterator_traitsISG_E10value_typeET2_T3_PNSH_ISM_E10value_typeET4_T5_PSR_SS_PNS1_23onesweep_lookback_stateEbbT6_jjT7_P12ihipStream_tbENKUlT_T0_SG_SL_E_clIS7_S7_SB_SB_EEDaSZ_S10_SG_SL_EUlSZ_E_NS1_11comp_targetILNS1_3genE2ELNS1_11target_archE906ELNS1_3gpuE6ELNS1_3repE0EEENS1_47radix_sort_onesweep_sort_config_static_selectorELNS0_4arch9wavefront6targetE1EEEvSG_.num_named_barrier, 0
	.set _ZN7rocprim17ROCPRIM_400000_NS6detail17trampoline_kernelINS0_14default_configENS1_35radix_sort_onesweep_config_selectorIflEEZZNS1_29radix_sort_onesweep_iterationIS3_Lb0EPfS7_N6thrust23THRUST_200600_302600_NS10device_ptrIlEESB_jNS0_19identity_decomposerENS1_16block_id_wrapperIjLb0EEEEE10hipError_tT1_PNSt15iterator_traitsISG_E10value_typeET2_T3_PNSH_ISM_E10value_typeET4_T5_PSR_SS_PNS1_23onesweep_lookback_stateEbbT6_jjT7_P12ihipStream_tbENKUlT_T0_SG_SL_E_clIS7_S7_SB_SB_EEDaSZ_S10_SG_SL_EUlSZ_E_NS1_11comp_targetILNS1_3genE2ELNS1_11target_archE906ELNS1_3gpuE6ELNS1_3repE0EEENS1_47radix_sort_onesweep_sort_config_static_selectorELNS0_4arch9wavefront6targetE1EEEvSG_.private_seg_size, 48
	.set _ZN7rocprim17ROCPRIM_400000_NS6detail17trampoline_kernelINS0_14default_configENS1_35radix_sort_onesweep_config_selectorIflEEZZNS1_29radix_sort_onesweep_iterationIS3_Lb0EPfS7_N6thrust23THRUST_200600_302600_NS10device_ptrIlEESB_jNS0_19identity_decomposerENS1_16block_id_wrapperIjLb0EEEEE10hipError_tT1_PNSt15iterator_traitsISG_E10value_typeET2_T3_PNSH_ISM_E10value_typeET4_T5_PSR_SS_PNS1_23onesweep_lookback_stateEbbT6_jjT7_P12ihipStream_tbENKUlT_T0_SG_SL_E_clIS7_S7_SB_SB_EEDaSZ_S10_SG_SL_EUlSZ_E_NS1_11comp_targetILNS1_3genE2ELNS1_11target_archE906ELNS1_3gpuE6ELNS1_3repE0EEENS1_47radix_sort_onesweep_sort_config_static_selectorELNS0_4arch9wavefront6targetE1EEEvSG_.uses_vcc, 1
	.set _ZN7rocprim17ROCPRIM_400000_NS6detail17trampoline_kernelINS0_14default_configENS1_35radix_sort_onesweep_config_selectorIflEEZZNS1_29radix_sort_onesweep_iterationIS3_Lb0EPfS7_N6thrust23THRUST_200600_302600_NS10device_ptrIlEESB_jNS0_19identity_decomposerENS1_16block_id_wrapperIjLb0EEEEE10hipError_tT1_PNSt15iterator_traitsISG_E10value_typeET2_T3_PNSH_ISM_E10value_typeET4_T5_PSR_SS_PNS1_23onesweep_lookback_stateEbbT6_jjT7_P12ihipStream_tbENKUlT_T0_SG_SL_E_clIS7_S7_SB_SB_EEDaSZ_S10_SG_SL_EUlSZ_E_NS1_11comp_targetILNS1_3genE2ELNS1_11target_archE906ELNS1_3gpuE6ELNS1_3repE0EEENS1_47radix_sort_onesweep_sort_config_static_selectorELNS0_4arch9wavefront6targetE1EEEvSG_.uses_flat_scratch, 0
	.set _ZN7rocprim17ROCPRIM_400000_NS6detail17trampoline_kernelINS0_14default_configENS1_35radix_sort_onesweep_config_selectorIflEEZZNS1_29radix_sort_onesweep_iterationIS3_Lb0EPfS7_N6thrust23THRUST_200600_302600_NS10device_ptrIlEESB_jNS0_19identity_decomposerENS1_16block_id_wrapperIjLb0EEEEE10hipError_tT1_PNSt15iterator_traitsISG_E10value_typeET2_T3_PNSH_ISM_E10value_typeET4_T5_PSR_SS_PNS1_23onesweep_lookback_stateEbbT6_jjT7_P12ihipStream_tbENKUlT_T0_SG_SL_E_clIS7_S7_SB_SB_EEDaSZ_S10_SG_SL_EUlSZ_E_NS1_11comp_targetILNS1_3genE2ELNS1_11target_archE906ELNS1_3gpuE6ELNS1_3repE0EEENS1_47radix_sort_onesweep_sort_config_static_selectorELNS0_4arch9wavefront6targetE1EEEvSG_.has_dyn_sized_stack, 0
	.set _ZN7rocprim17ROCPRIM_400000_NS6detail17trampoline_kernelINS0_14default_configENS1_35radix_sort_onesweep_config_selectorIflEEZZNS1_29radix_sort_onesweep_iterationIS3_Lb0EPfS7_N6thrust23THRUST_200600_302600_NS10device_ptrIlEESB_jNS0_19identity_decomposerENS1_16block_id_wrapperIjLb0EEEEE10hipError_tT1_PNSt15iterator_traitsISG_E10value_typeET2_T3_PNSH_ISM_E10value_typeET4_T5_PSR_SS_PNS1_23onesweep_lookback_stateEbbT6_jjT7_P12ihipStream_tbENKUlT_T0_SG_SL_E_clIS7_S7_SB_SB_EEDaSZ_S10_SG_SL_EUlSZ_E_NS1_11comp_targetILNS1_3genE2ELNS1_11target_archE906ELNS1_3gpuE6ELNS1_3repE0EEENS1_47radix_sort_onesweep_sort_config_static_selectorELNS0_4arch9wavefront6targetE1EEEvSG_.has_recursion, 0
	.set _ZN7rocprim17ROCPRIM_400000_NS6detail17trampoline_kernelINS0_14default_configENS1_35radix_sort_onesweep_config_selectorIflEEZZNS1_29radix_sort_onesweep_iterationIS3_Lb0EPfS7_N6thrust23THRUST_200600_302600_NS10device_ptrIlEESB_jNS0_19identity_decomposerENS1_16block_id_wrapperIjLb0EEEEE10hipError_tT1_PNSt15iterator_traitsISG_E10value_typeET2_T3_PNSH_ISM_E10value_typeET4_T5_PSR_SS_PNS1_23onesweep_lookback_stateEbbT6_jjT7_P12ihipStream_tbENKUlT_T0_SG_SL_E_clIS7_S7_SB_SB_EEDaSZ_S10_SG_SL_EUlSZ_E_NS1_11comp_targetILNS1_3genE2ELNS1_11target_archE906ELNS1_3gpuE6ELNS1_3repE0EEENS1_47radix_sort_onesweep_sort_config_static_selectorELNS0_4arch9wavefront6targetE1EEEvSG_.has_indirect_call, 0
	.section	.AMDGPU.csdata,"",@progbits
; Kernel info:
; codeLenInByte = 12256
; TotalNumSgprs: 61
; NumVgprs: 58
; ScratchSize: 48
; MemoryBound: 0
; FloatMode: 240
; IeeeMode: 1
; LDSByteSize: 10280 bytes/workgroup (compile time only)
; SGPRBlocks: 7
; VGPRBlocks: 14
; NumSGPRsForWavesPerEU: 61
; NumVGPRsForWavesPerEU: 58
; Occupancy: 4
; WaveLimiterHint : 1
; COMPUTE_PGM_RSRC2:SCRATCH_EN: 1
; COMPUTE_PGM_RSRC2:USER_SGPR: 6
; COMPUTE_PGM_RSRC2:TRAP_HANDLER: 0
; COMPUTE_PGM_RSRC2:TGID_X_EN: 1
; COMPUTE_PGM_RSRC2:TGID_Y_EN: 0
; COMPUTE_PGM_RSRC2:TGID_Z_EN: 0
; COMPUTE_PGM_RSRC2:TIDIG_COMP_CNT: 2
	.section	.text._ZN7rocprim17ROCPRIM_400000_NS6detail17trampoline_kernelINS0_14default_configENS1_35radix_sort_onesweep_config_selectorIflEEZZNS1_29radix_sort_onesweep_iterationIS3_Lb0EPfS7_N6thrust23THRUST_200600_302600_NS10device_ptrIlEESB_jNS0_19identity_decomposerENS1_16block_id_wrapperIjLb0EEEEE10hipError_tT1_PNSt15iterator_traitsISG_E10value_typeET2_T3_PNSH_ISM_E10value_typeET4_T5_PSR_SS_PNS1_23onesweep_lookback_stateEbbT6_jjT7_P12ihipStream_tbENKUlT_T0_SG_SL_E_clIS7_S7_SB_SB_EEDaSZ_S10_SG_SL_EUlSZ_E_NS1_11comp_targetILNS1_3genE4ELNS1_11target_archE910ELNS1_3gpuE8ELNS1_3repE0EEENS1_47radix_sort_onesweep_sort_config_static_selectorELNS0_4arch9wavefront6targetE1EEEvSG_,"axG",@progbits,_ZN7rocprim17ROCPRIM_400000_NS6detail17trampoline_kernelINS0_14default_configENS1_35radix_sort_onesweep_config_selectorIflEEZZNS1_29radix_sort_onesweep_iterationIS3_Lb0EPfS7_N6thrust23THRUST_200600_302600_NS10device_ptrIlEESB_jNS0_19identity_decomposerENS1_16block_id_wrapperIjLb0EEEEE10hipError_tT1_PNSt15iterator_traitsISG_E10value_typeET2_T3_PNSH_ISM_E10value_typeET4_T5_PSR_SS_PNS1_23onesweep_lookback_stateEbbT6_jjT7_P12ihipStream_tbENKUlT_T0_SG_SL_E_clIS7_S7_SB_SB_EEDaSZ_S10_SG_SL_EUlSZ_E_NS1_11comp_targetILNS1_3genE4ELNS1_11target_archE910ELNS1_3gpuE8ELNS1_3repE0EEENS1_47radix_sort_onesweep_sort_config_static_selectorELNS0_4arch9wavefront6targetE1EEEvSG_,comdat
	.protected	_ZN7rocprim17ROCPRIM_400000_NS6detail17trampoline_kernelINS0_14default_configENS1_35radix_sort_onesweep_config_selectorIflEEZZNS1_29radix_sort_onesweep_iterationIS3_Lb0EPfS7_N6thrust23THRUST_200600_302600_NS10device_ptrIlEESB_jNS0_19identity_decomposerENS1_16block_id_wrapperIjLb0EEEEE10hipError_tT1_PNSt15iterator_traitsISG_E10value_typeET2_T3_PNSH_ISM_E10value_typeET4_T5_PSR_SS_PNS1_23onesweep_lookback_stateEbbT6_jjT7_P12ihipStream_tbENKUlT_T0_SG_SL_E_clIS7_S7_SB_SB_EEDaSZ_S10_SG_SL_EUlSZ_E_NS1_11comp_targetILNS1_3genE4ELNS1_11target_archE910ELNS1_3gpuE8ELNS1_3repE0EEENS1_47radix_sort_onesweep_sort_config_static_selectorELNS0_4arch9wavefront6targetE1EEEvSG_ ; -- Begin function _ZN7rocprim17ROCPRIM_400000_NS6detail17trampoline_kernelINS0_14default_configENS1_35radix_sort_onesweep_config_selectorIflEEZZNS1_29radix_sort_onesweep_iterationIS3_Lb0EPfS7_N6thrust23THRUST_200600_302600_NS10device_ptrIlEESB_jNS0_19identity_decomposerENS1_16block_id_wrapperIjLb0EEEEE10hipError_tT1_PNSt15iterator_traitsISG_E10value_typeET2_T3_PNSH_ISM_E10value_typeET4_T5_PSR_SS_PNS1_23onesweep_lookback_stateEbbT6_jjT7_P12ihipStream_tbENKUlT_T0_SG_SL_E_clIS7_S7_SB_SB_EEDaSZ_S10_SG_SL_EUlSZ_E_NS1_11comp_targetILNS1_3genE4ELNS1_11target_archE910ELNS1_3gpuE8ELNS1_3repE0EEENS1_47radix_sort_onesweep_sort_config_static_selectorELNS0_4arch9wavefront6targetE1EEEvSG_
	.globl	_ZN7rocprim17ROCPRIM_400000_NS6detail17trampoline_kernelINS0_14default_configENS1_35radix_sort_onesweep_config_selectorIflEEZZNS1_29radix_sort_onesweep_iterationIS3_Lb0EPfS7_N6thrust23THRUST_200600_302600_NS10device_ptrIlEESB_jNS0_19identity_decomposerENS1_16block_id_wrapperIjLb0EEEEE10hipError_tT1_PNSt15iterator_traitsISG_E10value_typeET2_T3_PNSH_ISM_E10value_typeET4_T5_PSR_SS_PNS1_23onesweep_lookback_stateEbbT6_jjT7_P12ihipStream_tbENKUlT_T0_SG_SL_E_clIS7_S7_SB_SB_EEDaSZ_S10_SG_SL_EUlSZ_E_NS1_11comp_targetILNS1_3genE4ELNS1_11target_archE910ELNS1_3gpuE8ELNS1_3repE0EEENS1_47radix_sort_onesweep_sort_config_static_selectorELNS0_4arch9wavefront6targetE1EEEvSG_
	.p2align	8
	.type	_ZN7rocprim17ROCPRIM_400000_NS6detail17trampoline_kernelINS0_14default_configENS1_35radix_sort_onesweep_config_selectorIflEEZZNS1_29radix_sort_onesweep_iterationIS3_Lb0EPfS7_N6thrust23THRUST_200600_302600_NS10device_ptrIlEESB_jNS0_19identity_decomposerENS1_16block_id_wrapperIjLb0EEEEE10hipError_tT1_PNSt15iterator_traitsISG_E10value_typeET2_T3_PNSH_ISM_E10value_typeET4_T5_PSR_SS_PNS1_23onesweep_lookback_stateEbbT6_jjT7_P12ihipStream_tbENKUlT_T0_SG_SL_E_clIS7_S7_SB_SB_EEDaSZ_S10_SG_SL_EUlSZ_E_NS1_11comp_targetILNS1_3genE4ELNS1_11target_archE910ELNS1_3gpuE8ELNS1_3repE0EEENS1_47radix_sort_onesweep_sort_config_static_selectorELNS0_4arch9wavefront6targetE1EEEvSG_,@function
_ZN7rocprim17ROCPRIM_400000_NS6detail17trampoline_kernelINS0_14default_configENS1_35radix_sort_onesweep_config_selectorIflEEZZNS1_29radix_sort_onesweep_iterationIS3_Lb0EPfS7_N6thrust23THRUST_200600_302600_NS10device_ptrIlEESB_jNS0_19identity_decomposerENS1_16block_id_wrapperIjLb0EEEEE10hipError_tT1_PNSt15iterator_traitsISG_E10value_typeET2_T3_PNSH_ISM_E10value_typeET4_T5_PSR_SS_PNS1_23onesweep_lookback_stateEbbT6_jjT7_P12ihipStream_tbENKUlT_T0_SG_SL_E_clIS7_S7_SB_SB_EEDaSZ_S10_SG_SL_EUlSZ_E_NS1_11comp_targetILNS1_3genE4ELNS1_11target_archE910ELNS1_3gpuE8ELNS1_3repE0EEENS1_47radix_sort_onesweep_sort_config_static_selectorELNS0_4arch9wavefront6targetE1EEEvSG_: ; @_ZN7rocprim17ROCPRIM_400000_NS6detail17trampoline_kernelINS0_14default_configENS1_35radix_sort_onesweep_config_selectorIflEEZZNS1_29radix_sort_onesweep_iterationIS3_Lb0EPfS7_N6thrust23THRUST_200600_302600_NS10device_ptrIlEESB_jNS0_19identity_decomposerENS1_16block_id_wrapperIjLb0EEEEE10hipError_tT1_PNSt15iterator_traitsISG_E10value_typeET2_T3_PNSH_ISM_E10value_typeET4_T5_PSR_SS_PNS1_23onesweep_lookback_stateEbbT6_jjT7_P12ihipStream_tbENKUlT_T0_SG_SL_E_clIS7_S7_SB_SB_EEDaSZ_S10_SG_SL_EUlSZ_E_NS1_11comp_targetILNS1_3genE4ELNS1_11target_archE910ELNS1_3gpuE8ELNS1_3repE0EEENS1_47radix_sort_onesweep_sort_config_static_selectorELNS0_4arch9wavefront6targetE1EEEvSG_
; %bb.0:
	.section	.rodata,"a",@progbits
	.p2align	6, 0x0
	.amdhsa_kernel _ZN7rocprim17ROCPRIM_400000_NS6detail17trampoline_kernelINS0_14default_configENS1_35radix_sort_onesweep_config_selectorIflEEZZNS1_29radix_sort_onesweep_iterationIS3_Lb0EPfS7_N6thrust23THRUST_200600_302600_NS10device_ptrIlEESB_jNS0_19identity_decomposerENS1_16block_id_wrapperIjLb0EEEEE10hipError_tT1_PNSt15iterator_traitsISG_E10value_typeET2_T3_PNSH_ISM_E10value_typeET4_T5_PSR_SS_PNS1_23onesweep_lookback_stateEbbT6_jjT7_P12ihipStream_tbENKUlT_T0_SG_SL_E_clIS7_S7_SB_SB_EEDaSZ_S10_SG_SL_EUlSZ_E_NS1_11comp_targetILNS1_3genE4ELNS1_11target_archE910ELNS1_3gpuE8ELNS1_3repE0EEENS1_47radix_sort_onesweep_sort_config_static_selectorELNS0_4arch9wavefront6targetE1EEEvSG_
		.amdhsa_group_segment_fixed_size 0
		.amdhsa_private_segment_fixed_size 0
		.amdhsa_kernarg_size 88
		.amdhsa_user_sgpr_count 6
		.amdhsa_user_sgpr_private_segment_buffer 1
		.amdhsa_user_sgpr_dispatch_ptr 0
		.amdhsa_user_sgpr_queue_ptr 0
		.amdhsa_user_sgpr_kernarg_segment_ptr 1
		.amdhsa_user_sgpr_dispatch_id 0
		.amdhsa_user_sgpr_flat_scratch_init 0
		.amdhsa_user_sgpr_private_segment_size 0
		.amdhsa_uses_dynamic_stack 0
		.amdhsa_system_sgpr_private_segment_wavefront_offset 0
		.amdhsa_system_sgpr_workgroup_id_x 1
		.amdhsa_system_sgpr_workgroup_id_y 0
		.amdhsa_system_sgpr_workgroup_id_z 0
		.amdhsa_system_sgpr_workgroup_info 0
		.amdhsa_system_vgpr_workitem_id 0
		.amdhsa_next_free_vgpr 1
		.amdhsa_next_free_sgpr 0
		.amdhsa_reserve_vcc 0
		.amdhsa_reserve_flat_scratch 0
		.amdhsa_float_round_mode_32 0
		.amdhsa_float_round_mode_16_64 0
		.amdhsa_float_denorm_mode_32 3
		.amdhsa_float_denorm_mode_16_64 3
		.amdhsa_dx10_clamp 1
		.amdhsa_ieee_mode 1
		.amdhsa_fp16_overflow 0
		.amdhsa_exception_fp_ieee_invalid_op 0
		.amdhsa_exception_fp_denorm_src 0
		.amdhsa_exception_fp_ieee_div_zero 0
		.amdhsa_exception_fp_ieee_overflow 0
		.amdhsa_exception_fp_ieee_underflow 0
		.amdhsa_exception_fp_ieee_inexact 0
		.amdhsa_exception_int_div_zero 0
	.end_amdhsa_kernel
	.section	.text._ZN7rocprim17ROCPRIM_400000_NS6detail17trampoline_kernelINS0_14default_configENS1_35radix_sort_onesweep_config_selectorIflEEZZNS1_29radix_sort_onesweep_iterationIS3_Lb0EPfS7_N6thrust23THRUST_200600_302600_NS10device_ptrIlEESB_jNS0_19identity_decomposerENS1_16block_id_wrapperIjLb0EEEEE10hipError_tT1_PNSt15iterator_traitsISG_E10value_typeET2_T3_PNSH_ISM_E10value_typeET4_T5_PSR_SS_PNS1_23onesweep_lookback_stateEbbT6_jjT7_P12ihipStream_tbENKUlT_T0_SG_SL_E_clIS7_S7_SB_SB_EEDaSZ_S10_SG_SL_EUlSZ_E_NS1_11comp_targetILNS1_3genE4ELNS1_11target_archE910ELNS1_3gpuE8ELNS1_3repE0EEENS1_47radix_sort_onesweep_sort_config_static_selectorELNS0_4arch9wavefront6targetE1EEEvSG_,"axG",@progbits,_ZN7rocprim17ROCPRIM_400000_NS6detail17trampoline_kernelINS0_14default_configENS1_35radix_sort_onesweep_config_selectorIflEEZZNS1_29radix_sort_onesweep_iterationIS3_Lb0EPfS7_N6thrust23THRUST_200600_302600_NS10device_ptrIlEESB_jNS0_19identity_decomposerENS1_16block_id_wrapperIjLb0EEEEE10hipError_tT1_PNSt15iterator_traitsISG_E10value_typeET2_T3_PNSH_ISM_E10value_typeET4_T5_PSR_SS_PNS1_23onesweep_lookback_stateEbbT6_jjT7_P12ihipStream_tbENKUlT_T0_SG_SL_E_clIS7_S7_SB_SB_EEDaSZ_S10_SG_SL_EUlSZ_E_NS1_11comp_targetILNS1_3genE4ELNS1_11target_archE910ELNS1_3gpuE8ELNS1_3repE0EEENS1_47radix_sort_onesweep_sort_config_static_selectorELNS0_4arch9wavefront6targetE1EEEvSG_,comdat
.Lfunc_end1865:
	.size	_ZN7rocprim17ROCPRIM_400000_NS6detail17trampoline_kernelINS0_14default_configENS1_35radix_sort_onesweep_config_selectorIflEEZZNS1_29radix_sort_onesweep_iterationIS3_Lb0EPfS7_N6thrust23THRUST_200600_302600_NS10device_ptrIlEESB_jNS0_19identity_decomposerENS1_16block_id_wrapperIjLb0EEEEE10hipError_tT1_PNSt15iterator_traitsISG_E10value_typeET2_T3_PNSH_ISM_E10value_typeET4_T5_PSR_SS_PNS1_23onesweep_lookback_stateEbbT6_jjT7_P12ihipStream_tbENKUlT_T0_SG_SL_E_clIS7_S7_SB_SB_EEDaSZ_S10_SG_SL_EUlSZ_E_NS1_11comp_targetILNS1_3genE4ELNS1_11target_archE910ELNS1_3gpuE8ELNS1_3repE0EEENS1_47radix_sort_onesweep_sort_config_static_selectorELNS0_4arch9wavefront6targetE1EEEvSG_, .Lfunc_end1865-_ZN7rocprim17ROCPRIM_400000_NS6detail17trampoline_kernelINS0_14default_configENS1_35radix_sort_onesweep_config_selectorIflEEZZNS1_29radix_sort_onesweep_iterationIS3_Lb0EPfS7_N6thrust23THRUST_200600_302600_NS10device_ptrIlEESB_jNS0_19identity_decomposerENS1_16block_id_wrapperIjLb0EEEEE10hipError_tT1_PNSt15iterator_traitsISG_E10value_typeET2_T3_PNSH_ISM_E10value_typeET4_T5_PSR_SS_PNS1_23onesweep_lookback_stateEbbT6_jjT7_P12ihipStream_tbENKUlT_T0_SG_SL_E_clIS7_S7_SB_SB_EEDaSZ_S10_SG_SL_EUlSZ_E_NS1_11comp_targetILNS1_3genE4ELNS1_11target_archE910ELNS1_3gpuE8ELNS1_3repE0EEENS1_47radix_sort_onesweep_sort_config_static_selectorELNS0_4arch9wavefront6targetE1EEEvSG_
                                        ; -- End function
	.set _ZN7rocprim17ROCPRIM_400000_NS6detail17trampoline_kernelINS0_14default_configENS1_35radix_sort_onesweep_config_selectorIflEEZZNS1_29radix_sort_onesweep_iterationIS3_Lb0EPfS7_N6thrust23THRUST_200600_302600_NS10device_ptrIlEESB_jNS0_19identity_decomposerENS1_16block_id_wrapperIjLb0EEEEE10hipError_tT1_PNSt15iterator_traitsISG_E10value_typeET2_T3_PNSH_ISM_E10value_typeET4_T5_PSR_SS_PNS1_23onesweep_lookback_stateEbbT6_jjT7_P12ihipStream_tbENKUlT_T0_SG_SL_E_clIS7_S7_SB_SB_EEDaSZ_S10_SG_SL_EUlSZ_E_NS1_11comp_targetILNS1_3genE4ELNS1_11target_archE910ELNS1_3gpuE8ELNS1_3repE0EEENS1_47radix_sort_onesweep_sort_config_static_selectorELNS0_4arch9wavefront6targetE1EEEvSG_.num_vgpr, 0
	.set _ZN7rocprim17ROCPRIM_400000_NS6detail17trampoline_kernelINS0_14default_configENS1_35radix_sort_onesweep_config_selectorIflEEZZNS1_29radix_sort_onesweep_iterationIS3_Lb0EPfS7_N6thrust23THRUST_200600_302600_NS10device_ptrIlEESB_jNS0_19identity_decomposerENS1_16block_id_wrapperIjLb0EEEEE10hipError_tT1_PNSt15iterator_traitsISG_E10value_typeET2_T3_PNSH_ISM_E10value_typeET4_T5_PSR_SS_PNS1_23onesweep_lookback_stateEbbT6_jjT7_P12ihipStream_tbENKUlT_T0_SG_SL_E_clIS7_S7_SB_SB_EEDaSZ_S10_SG_SL_EUlSZ_E_NS1_11comp_targetILNS1_3genE4ELNS1_11target_archE910ELNS1_3gpuE8ELNS1_3repE0EEENS1_47radix_sort_onesweep_sort_config_static_selectorELNS0_4arch9wavefront6targetE1EEEvSG_.num_agpr, 0
	.set _ZN7rocprim17ROCPRIM_400000_NS6detail17trampoline_kernelINS0_14default_configENS1_35radix_sort_onesweep_config_selectorIflEEZZNS1_29radix_sort_onesweep_iterationIS3_Lb0EPfS7_N6thrust23THRUST_200600_302600_NS10device_ptrIlEESB_jNS0_19identity_decomposerENS1_16block_id_wrapperIjLb0EEEEE10hipError_tT1_PNSt15iterator_traitsISG_E10value_typeET2_T3_PNSH_ISM_E10value_typeET4_T5_PSR_SS_PNS1_23onesweep_lookback_stateEbbT6_jjT7_P12ihipStream_tbENKUlT_T0_SG_SL_E_clIS7_S7_SB_SB_EEDaSZ_S10_SG_SL_EUlSZ_E_NS1_11comp_targetILNS1_3genE4ELNS1_11target_archE910ELNS1_3gpuE8ELNS1_3repE0EEENS1_47radix_sort_onesweep_sort_config_static_selectorELNS0_4arch9wavefront6targetE1EEEvSG_.numbered_sgpr, 0
	.set _ZN7rocprim17ROCPRIM_400000_NS6detail17trampoline_kernelINS0_14default_configENS1_35radix_sort_onesweep_config_selectorIflEEZZNS1_29radix_sort_onesweep_iterationIS3_Lb0EPfS7_N6thrust23THRUST_200600_302600_NS10device_ptrIlEESB_jNS0_19identity_decomposerENS1_16block_id_wrapperIjLb0EEEEE10hipError_tT1_PNSt15iterator_traitsISG_E10value_typeET2_T3_PNSH_ISM_E10value_typeET4_T5_PSR_SS_PNS1_23onesweep_lookback_stateEbbT6_jjT7_P12ihipStream_tbENKUlT_T0_SG_SL_E_clIS7_S7_SB_SB_EEDaSZ_S10_SG_SL_EUlSZ_E_NS1_11comp_targetILNS1_3genE4ELNS1_11target_archE910ELNS1_3gpuE8ELNS1_3repE0EEENS1_47radix_sort_onesweep_sort_config_static_selectorELNS0_4arch9wavefront6targetE1EEEvSG_.num_named_barrier, 0
	.set _ZN7rocprim17ROCPRIM_400000_NS6detail17trampoline_kernelINS0_14default_configENS1_35radix_sort_onesweep_config_selectorIflEEZZNS1_29radix_sort_onesweep_iterationIS3_Lb0EPfS7_N6thrust23THRUST_200600_302600_NS10device_ptrIlEESB_jNS0_19identity_decomposerENS1_16block_id_wrapperIjLb0EEEEE10hipError_tT1_PNSt15iterator_traitsISG_E10value_typeET2_T3_PNSH_ISM_E10value_typeET4_T5_PSR_SS_PNS1_23onesweep_lookback_stateEbbT6_jjT7_P12ihipStream_tbENKUlT_T0_SG_SL_E_clIS7_S7_SB_SB_EEDaSZ_S10_SG_SL_EUlSZ_E_NS1_11comp_targetILNS1_3genE4ELNS1_11target_archE910ELNS1_3gpuE8ELNS1_3repE0EEENS1_47radix_sort_onesweep_sort_config_static_selectorELNS0_4arch9wavefront6targetE1EEEvSG_.private_seg_size, 0
	.set _ZN7rocprim17ROCPRIM_400000_NS6detail17trampoline_kernelINS0_14default_configENS1_35radix_sort_onesweep_config_selectorIflEEZZNS1_29radix_sort_onesweep_iterationIS3_Lb0EPfS7_N6thrust23THRUST_200600_302600_NS10device_ptrIlEESB_jNS0_19identity_decomposerENS1_16block_id_wrapperIjLb0EEEEE10hipError_tT1_PNSt15iterator_traitsISG_E10value_typeET2_T3_PNSH_ISM_E10value_typeET4_T5_PSR_SS_PNS1_23onesweep_lookback_stateEbbT6_jjT7_P12ihipStream_tbENKUlT_T0_SG_SL_E_clIS7_S7_SB_SB_EEDaSZ_S10_SG_SL_EUlSZ_E_NS1_11comp_targetILNS1_3genE4ELNS1_11target_archE910ELNS1_3gpuE8ELNS1_3repE0EEENS1_47radix_sort_onesweep_sort_config_static_selectorELNS0_4arch9wavefront6targetE1EEEvSG_.uses_vcc, 0
	.set _ZN7rocprim17ROCPRIM_400000_NS6detail17trampoline_kernelINS0_14default_configENS1_35radix_sort_onesweep_config_selectorIflEEZZNS1_29radix_sort_onesweep_iterationIS3_Lb0EPfS7_N6thrust23THRUST_200600_302600_NS10device_ptrIlEESB_jNS0_19identity_decomposerENS1_16block_id_wrapperIjLb0EEEEE10hipError_tT1_PNSt15iterator_traitsISG_E10value_typeET2_T3_PNSH_ISM_E10value_typeET4_T5_PSR_SS_PNS1_23onesweep_lookback_stateEbbT6_jjT7_P12ihipStream_tbENKUlT_T0_SG_SL_E_clIS7_S7_SB_SB_EEDaSZ_S10_SG_SL_EUlSZ_E_NS1_11comp_targetILNS1_3genE4ELNS1_11target_archE910ELNS1_3gpuE8ELNS1_3repE0EEENS1_47radix_sort_onesweep_sort_config_static_selectorELNS0_4arch9wavefront6targetE1EEEvSG_.uses_flat_scratch, 0
	.set _ZN7rocprim17ROCPRIM_400000_NS6detail17trampoline_kernelINS0_14default_configENS1_35radix_sort_onesweep_config_selectorIflEEZZNS1_29radix_sort_onesweep_iterationIS3_Lb0EPfS7_N6thrust23THRUST_200600_302600_NS10device_ptrIlEESB_jNS0_19identity_decomposerENS1_16block_id_wrapperIjLb0EEEEE10hipError_tT1_PNSt15iterator_traitsISG_E10value_typeET2_T3_PNSH_ISM_E10value_typeET4_T5_PSR_SS_PNS1_23onesweep_lookback_stateEbbT6_jjT7_P12ihipStream_tbENKUlT_T0_SG_SL_E_clIS7_S7_SB_SB_EEDaSZ_S10_SG_SL_EUlSZ_E_NS1_11comp_targetILNS1_3genE4ELNS1_11target_archE910ELNS1_3gpuE8ELNS1_3repE0EEENS1_47radix_sort_onesweep_sort_config_static_selectorELNS0_4arch9wavefront6targetE1EEEvSG_.has_dyn_sized_stack, 0
	.set _ZN7rocprim17ROCPRIM_400000_NS6detail17trampoline_kernelINS0_14default_configENS1_35radix_sort_onesweep_config_selectorIflEEZZNS1_29radix_sort_onesweep_iterationIS3_Lb0EPfS7_N6thrust23THRUST_200600_302600_NS10device_ptrIlEESB_jNS0_19identity_decomposerENS1_16block_id_wrapperIjLb0EEEEE10hipError_tT1_PNSt15iterator_traitsISG_E10value_typeET2_T3_PNSH_ISM_E10value_typeET4_T5_PSR_SS_PNS1_23onesweep_lookback_stateEbbT6_jjT7_P12ihipStream_tbENKUlT_T0_SG_SL_E_clIS7_S7_SB_SB_EEDaSZ_S10_SG_SL_EUlSZ_E_NS1_11comp_targetILNS1_3genE4ELNS1_11target_archE910ELNS1_3gpuE8ELNS1_3repE0EEENS1_47radix_sort_onesweep_sort_config_static_selectorELNS0_4arch9wavefront6targetE1EEEvSG_.has_recursion, 0
	.set _ZN7rocprim17ROCPRIM_400000_NS6detail17trampoline_kernelINS0_14default_configENS1_35radix_sort_onesweep_config_selectorIflEEZZNS1_29radix_sort_onesweep_iterationIS3_Lb0EPfS7_N6thrust23THRUST_200600_302600_NS10device_ptrIlEESB_jNS0_19identity_decomposerENS1_16block_id_wrapperIjLb0EEEEE10hipError_tT1_PNSt15iterator_traitsISG_E10value_typeET2_T3_PNSH_ISM_E10value_typeET4_T5_PSR_SS_PNS1_23onesweep_lookback_stateEbbT6_jjT7_P12ihipStream_tbENKUlT_T0_SG_SL_E_clIS7_S7_SB_SB_EEDaSZ_S10_SG_SL_EUlSZ_E_NS1_11comp_targetILNS1_3genE4ELNS1_11target_archE910ELNS1_3gpuE8ELNS1_3repE0EEENS1_47radix_sort_onesweep_sort_config_static_selectorELNS0_4arch9wavefront6targetE1EEEvSG_.has_indirect_call, 0
	.section	.AMDGPU.csdata,"",@progbits
; Kernel info:
; codeLenInByte = 0
; TotalNumSgprs: 4
; NumVgprs: 0
; ScratchSize: 0
; MemoryBound: 0
; FloatMode: 240
; IeeeMode: 1
; LDSByteSize: 0 bytes/workgroup (compile time only)
; SGPRBlocks: 0
; VGPRBlocks: 0
; NumSGPRsForWavesPerEU: 4
; NumVGPRsForWavesPerEU: 1
; Occupancy: 10
; WaveLimiterHint : 0
; COMPUTE_PGM_RSRC2:SCRATCH_EN: 0
; COMPUTE_PGM_RSRC2:USER_SGPR: 6
; COMPUTE_PGM_RSRC2:TRAP_HANDLER: 0
; COMPUTE_PGM_RSRC2:TGID_X_EN: 1
; COMPUTE_PGM_RSRC2:TGID_Y_EN: 0
; COMPUTE_PGM_RSRC2:TGID_Z_EN: 0
; COMPUTE_PGM_RSRC2:TIDIG_COMP_CNT: 0
	.section	.text._ZN7rocprim17ROCPRIM_400000_NS6detail17trampoline_kernelINS0_14default_configENS1_35radix_sort_onesweep_config_selectorIflEEZZNS1_29radix_sort_onesweep_iterationIS3_Lb0EPfS7_N6thrust23THRUST_200600_302600_NS10device_ptrIlEESB_jNS0_19identity_decomposerENS1_16block_id_wrapperIjLb0EEEEE10hipError_tT1_PNSt15iterator_traitsISG_E10value_typeET2_T3_PNSH_ISM_E10value_typeET4_T5_PSR_SS_PNS1_23onesweep_lookback_stateEbbT6_jjT7_P12ihipStream_tbENKUlT_T0_SG_SL_E_clIS7_S7_SB_SB_EEDaSZ_S10_SG_SL_EUlSZ_E_NS1_11comp_targetILNS1_3genE3ELNS1_11target_archE908ELNS1_3gpuE7ELNS1_3repE0EEENS1_47radix_sort_onesweep_sort_config_static_selectorELNS0_4arch9wavefront6targetE1EEEvSG_,"axG",@progbits,_ZN7rocprim17ROCPRIM_400000_NS6detail17trampoline_kernelINS0_14default_configENS1_35radix_sort_onesweep_config_selectorIflEEZZNS1_29radix_sort_onesweep_iterationIS3_Lb0EPfS7_N6thrust23THRUST_200600_302600_NS10device_ptrIlEESB_jNS0_19identity_decomposerENS1_16block_id_wrapperIjLb0EEEEE10hipError_tT1_PNSt15iterator_traitsISG_E10value_typeET2_T3_PNSH_ISM_E10value_typeET4_T5_PSR_SS_PNS1_23onesweep_lookback_stateEbbT6_jjT7_P12ihipStream_tbENKUlT_T0_SG_SL_E_clIS7_S7_SB_SB_EEDaSZ_S10_SG_SL_EUlSZ_E_NS1_11comp_targetILNS1_3genE3ELNS1_11target_archE908ELNS1_3gpuE7ELNS1_3repE0EEENS1_47radix_sort_onesweep_sort_config_static_selectorELNS0_4arch9wavefront6targetE1EEEvSG_,comdat
	.protected	_ZN7rocprim17ROCPRIM_400000_NS6detail17trampoline_kernelINS0_14default_configENS1_35radix_sort_onesweep_config_selectorIflEEZZNS1_29radix_sort_onesweep_iterationIS3_Lb0EPfS7_N6thrust23THRUST_200600_302600_NS10device_ptrIlEESB_jNS0_19identity_decomposerENS1_16block_id_wrapperIjLb0EEEEE10hipError_tT1_PNSt15iterator_traitsISG_E10value_typeET2_T3_PNSH_ISM_E10value_typeET4_T5_PSR_SS_PNS1_23onesweep_lookback_stateEbbT6_jjT7_P12ihipStream_tbENKUlT_T0_SG_SL_E_clIS7_S7_SB_SB_EEDaSZ_S10_SG_SL_EUlSZ_E_NS1_11comp_targetILNS1_3genE3ELNS1_11target_archE908ELNS1_3gpuE7ELNS1_3repE0EEENS1_47radix_sort_onesweep_sort_config_static_selectorELNS0_4arch9wavefront6targetE1EEEvSG_ ; -- Begin function _ZN7rocprim17ROCPRIM_400000_NS6detail17trampoline_kernelINS0_14default_configENS1_35radix_sort_onesweep_config_selectorIflEEZZNS1_29radix_sort_onesweep_iterationIS3_Lb0EPfS7_N6thrust23THRUST_200600_302600_NS10device_ptrIlEESB_jNS0_19identity_decomposerENS1_16block_id_wrapperIjLb0EEEEE10hipError_tT1_PNSt15iterator_traitsISG_E10value_typeET2_T3_PNSH_ISM_E10value_typeET4_T5_PSR_SS_PNS1_23onesweep_lookback_stateEbbT6_jjT7_P12ihipStream_tbENKUlT_T0_SG_SL_E_clIS7_S7_SB_SB_EEDaSZ_S10_SG_SL_EUlSZ_E_NS1_11comp_targetILNS1_3genE3ELNS1_11target_archE908ELNS1_3gpuE7ELNS1_3repE0EEENS1_47radix_sort_onesweep_sort_config_static_selectorELNS0_4arch9wavefront6targetE1EEEvSG_
	.globl	_ZN7rocprim17ROCPRIM_400000_NS6detail17trampoline_kernelINS0_14default_configENS1_35radix_sort_onesweep_config_selectorIflEEZZNS1_29radix_sort_onesweep_iterationIS3_Lb0EPfS7_N6thrust23THRUST_200600_302600_NS10device_ptrIlEESB_jNS0_19identity_decomposerENS1_16block_id_wrapperIjLb0EEEEE10hipError_tT1_PNSt15iterator_traitsISG_E10value_typeET2_T3_PNSH_ISM_E10value_typeET4_T5_PSR_SS_PNS1_23onesweep_lookback_stateEbbT6_jjT7_P12ihipStream_tbENKUlT_T0_SG_SL_E_clIS7_S7_SB_SB_EEDaSZ_S10_SG_SL_EUlSZ_E_NS1_11comp_targetILNS1_3genE3ELNS1_11target_archE908ELNS1_3gpuE7ELNS1_3repE0EEENS1_47radix_sort_onesweep_sort_config_static_selectorELNS0_4arch9wavefront6targetE1EEEvSG_
	.p2align	8
	.type	_ZN7rocprim17ROCPRIM_400000_NS6detail17trampoline_kernelINS0_14default_configENS1_35radix_sort_onesweep_config_selectorIflEEZZNS1_29radix_sort_onesweep_iterationIS3_Lb0EPfS7_N6thrust23THRUST_200600_302600_NS10device_ptrIlEESB_jNS0_19identity_decomposerENS1_16block_id_wrapperIjLb0EEEEE10hipError_tT1_PNSt15iterator_traitsISG_E10value_typeET2_T3_PNSH_ISM_E10value_typeET4_T5_PSR_SS_PNS1_23onesweep_lookback_stateEbbT6_jjT7_P12ihipStream_tbENKUlT_T0_SG_SL_E_clIS7_S7_SB_SB_EEDaSZ_S10_SG_SL_EUlSZ_E_NS1_11comp_targetILNS1_3genE3ELNS1_11target_archE908ELNS1_3gpuE7ELNS1_3repE0EEENS1_47radix_sort_onesweep_sort_config_static_selectorELNS0_4arch9wavefront6targetE1EEEvSG_,@function
_ZN7rocprim17ROCPRIM_400000_NS6detail17trampoline_kernelINS0_14default_configENS1_35radix_sort_onesweep_config_selectorIflEEZZNS1_29radix_sort_onesweep_iterationIS3_Lb0EPfS7_N6thrust23THRUST_200600_302600_NS10device_ptrIlEESB_jNS0_19identity_decomposerENS1_16block_id_wrapperIjLb0EEEEE10hipError_tT1_PNSt15iterator_traitsISG_E10value_typeET2_T3_PNSH_ISM_E10value_typeET4_T5_PSR_SS_PNS1_23onesweep_lookback_stateEbbT6_jjT7_P12ihipStream_tbENKUlT_T0_SG_SL_E_clIS7_S7_SB_SB_EEDaSZ_S10_SG_SL_EUlSZ_E_NS1_11comp_targetILNS1_3genE3ELNS1_11target_archE908ELNS1_3gpuE7ELNS1_3repE0EEENS1_47radix_sort_onesweep_sort_config_static_selectorELNS0_4arch9wavefront6targetE1EEEvSG_: ; @_ZN7rocprim17ROCPRIM_400000_NS6detail17trampoline_kernelINS0_14default_configENS1_35radix_sort_onesweep_config_selectorIflEEZZNS1_29radix_sort_onesweep_iterationIS3_Lb0EPfS7_N6thrust23THRUST_200600_302600_NS10device_ptrIlEESB_jNS0_19identity_decomposerENS1_16block_id_wrapperIjLb0EEEEE10hipError_tT1_PNSt15iterator_traitsISG_E10value_typeET2_T3_PNSH_ISM_E10value_typeET4_T5_PSR_SS_PNS1_23onesweep_lookback_stateEbbT6_jjT7_P12ihipStream_tbENKUlT_T0_SG_SL_E_clIS7_S7_SB_SB_EEDaSZ_S10_SG_SL_EUlSZ_E_NS1_11comp_targetILNS1_3genE3ELNS1_11target_archE908ELNS1_3gpuE7ELNS1_3repE0EEENS1_47radix_sort_onesweep_sort_config_static_selectorELNS0_4arch9wavefront6targetE1EEEvSG_
; %bb.0:
	.section	.rodata,"a",@progbits
	.p2align	6, 0x0
	.amdhsa_kernel _ZN7rocprim17ROCPRIM_400000_NS6detail17trampoline_kernelINS0_14default_configENS1_35radix_sort_onesweep_config_selectorIflEEZZNS1_29radix_sort_onesweep_iterationIS3_Lb0EPfS7_N6thrust23THRUST_200600_302600_NS10device_ptrIlEESB_jNS0_19identity_decomposerENS1_16block_id_wrapperIjLb0EEEEE10hipError_tT1_PNSt15iterator_traitsISG_E10value_typeET2_T3_PNSH_ISM_E10value_typeET4_T5_PSR_SS_PNS1_23onesweep_lookback_stateEbbT6_jjT7_P12ihipStream_tbENKUlT_T0_SG_SL_E_clIS7_S7_SB_SB_EEDaSZ_S10_SG_SL_EUlSZ_E_NS1_11comp_targetILNS1_3genE3ELNS1_11target_archE908ELNS1_3gpuE7ELNS1_3repE0EEENS1_47radix_sort_onesweep_sort_config_static_selectorELNS0_4arch9wavefront6targetE1EEEvSG_
		.amdhsa_group_segment_fixed_size 0
		.amdhsa_private_segment_fixed_size 0
		.amdhsa_kernarg_size 88
		.amdhsa_user_sgpr_count 6
		.amdhsa_user_sgpr_private_segment_buffer 1
		.amdhsa_user_sgpr_dispatch_ptr 0
		.amdhsa_user_sgpr_queue_ptr 0
		.amdhsa_user_sgpr_kernarg_segment_ptr 1
		.amdhsa_user_sgpr_dispatch_id 0
		.amdhsa_user_sgpr_flat_scratch_init 0
		.amdhsa_user_sgpr_private_segment_size 0
		.amdhsa_uses_dynamic_stack 0
		.amdhsa_system_sgpr_private_segment_wavefront_offset 0
		.amdhsa_system_sgpr_workgroup_id_x 1
		.amdhsa_system_sgpr_workgroup_id_y 0
		.amdhsa_system_sgpr_workgroup_id_z 0
		.amdhsa_system_sgpr_workgroup_info 0
		.amdhsa_system_vgpr_workitem_id 0
		.amdhsa_next_free_vgpr 1
		.amdhsa_next_free_sgpr 0
		.amdhsa_reserve_vcc 0
		.amdhsa_reserve_flat_scratch 0
		.amdhsa_float_round_mode_32 0
		.amdhsa_float_round_mode_16_64 0
		.amdhsa_float_denorm_mode_32 3
		.amdhsa_float_denorm_mode_16_64 3
		.amdhsa_dx10_clamp 1
		.amdhsa_ieee_mode 1
		.amdhsa_fp16_overflow 0
		.amdhsa_exception_fp_ieee_invalid_op 0
		.amdhsa_exception_fp_denorm_src 0
		.amdhsa_exception_fp_ieee_div_zero 0
		.amdhsa_exception_fp_ieee_overflow 0
		.amdhsa_exception_fp_ieee_underflow 0
		.amdhsa_exception_fp_ieee_inexact 0
		.amdhsa_exception_int_div_zero 0
	.end_amdhsa_kernel
	.section	.text._ZN7rocprim17ROCPRIM_400000_NS6detail17trampoline_kernelINS0_14default_configENS1_35radix_sort_onesweep_config_selectorIflEEZZNS1_29radix_sort_onesweep_iterationIS3_Lb0EPfS7_N6thrust23THRUST_200600_302600_NS10device_ptrIlEESB_jNS0_19identity_decomposerENS1_16block_id_wrapperIjLb0EEEEE10hipError_tT1_PNSt15iterator_traitsISG_E10value_typeET2_T3_PNSH_ISM_E10value_typeET4_T5_PSR_SS_PNS1_23onesweep_lookback_stateEbbT6_jjT7_P12ihipStream_tbENKUlT_T0_SG_SL_E_clIS7_S7_SB_SB_EEDaSZ_S10_SG_SL_EUlSZ_E_NS1_11comp_targetILNS1_3genE3ELNS1_11target_archE908ELNS1_3gpuE7ELNS1_3repE0EEENS1_47radix_sort_onesweep_sort_config_static_selectorELNS0_4arch9wavefront6targetE1EEEvSG_,"axG",@progbits,_ZN7rocprim17ROCPRIM_400000_NS6detail17trampoline_kernelINS0_14default_configENS1_35radix_sort_onesweep_config_selectorIflEEZZNS1_29radix_sort_onesweep_iterationIS3_Lb0EPfS7_N6thrust23THRUST_200600_302600_NS10device_ptrIlEESB_jNS0_19identity_decomposerENS1_16block_id_wrapperIjLb0EEEEE10hipError_tT1_PNSt15iterator_traitsISG_E10value_typeET2_T3_PNSH_ISM_E10value_typeET4_T5_PSR_SS_PNS1_23onesweep_lookback_stateEbbT6_jjT7_P12ihipStream_tbENKUlT_T0_SG_SL_E_clIS7_S7_SB_SB_EEDaSZ_S10_SG_SL_EUlSZ_E_NS1_11comp_targetILNS1_3genE3ELNS1_11target_archE908ELNS1_3gpuE7ELNS1_3repE0EEENS1_47radix_sort_onesweep_sort_config_static_selectorELNS0_4arch9wavefront6targetE1EEEvSG_,comdat
.Lfunc_end1866:
	.size	_ZN7rocprim17ROCPRIM_400000_NS6detail17trampoline_kernelINS0_14default_configENS1_35radix_sort_onesweep_config_selectorIflEEZZNS1_29radix_sort_onesweep_iterationIS3_Lb0EPfS7_N6thrust23THRUST_200600_302600_NS10device_ptrIlEESB_jNS0_19identity_decomposerENS1_16block_id_wrapperIjLb0EEEEE10hipError_tT1_PNSt15iterator_traitsISG_E10value_typeET2_T3_PNSH_ISM_E10value_typeET4_T5_PSR_SS_PNS1_23onesweep_lookback_stateEbbT6_jjT7_P12ihipStream_tbENKUlT_T0_SG_SL_E_clIS7_S7_SB_SB_EEDaSZ_S10_SG_SL_EUlSZ_E_NS1_11comp_targetILNS1_3genE3ELNS1_11target_archE908ELNS1_3gpuE7ELNS1_3repE0EEENS1_47radix_sort_onesweep_sort_config_static_selectorELNS0_4arch9wavefront6targetE1EEEvSG_, .Lfunc_end1866-_ZN7rocprim17ROCPRIM_400000_NS6detail17trampoline_kernelINS0_14default_configENS1_35radix_sort_onesweep_config_selectorIflEEZZNS1_29radix_sort_onesweep_iterationIS3_Lb0EPfS7_N6thrust23THRUST_200600_302600_NS10device_ptrIlEESB_jNS0_19identity_decomposerENS1_16block_id_wrapperIjLb0EEEEE10hipError_tT1_PNSt15iterator_traitsISG_E10value_typeET2_T3_PNSH_ISM_E10value_typeET4_T5_PSR_SS_PNS1_23onesweep_lookback_stateEbbT6_jjT7_P12ihipStream_tbENKUlT_T0_SG_SL_E_clIS7_S7_SB_SB_EEDaSZ_S10_SG_SL_EUlSZ_E_NS1_11comp_targetILNS1_3genE3ELNS1_11target_archE908ELNS1_3gpuE7ELNS1_3repE0EEENS1_47radix_sort_onesweep_sort_config_static_selectorELNS0_4arch9wavefront6targetE1EEEvSG_
                                        ; -- End function
	.set _ZN7rocprim17ROCPRIM_400000_NS6detail17trampoline_kernelINS0_14default_configENS1_35radix_sort_onesweep_config_selectorIflEEZZNS1_29radix_sort_onesweep_iterationIS3_Lb0EPfS7_N6thrust23THRUST_200600_302600_NS10device_ptrIlEESB_jNS0_19identity_decomposerENS1_16block_id_wrapperIjLb0EEEEE10hipError_tT1_PNSt15iterator_traitsISG_E10value_typeET2_T3_PNSH_ISM_E10value_typeET4_T5_PSR_SS_PNS1_23onesweep_lookback_stateEbbT6_jjT7_P12ihipStream_tbENKUlT_T0_SG_SL_E_clIS7_S7_SB_SB_EEDaSZ_S10_SG_SL_EUlSZ_E_NS1_11comp_targetILNS1_3genE3ELNS1_11target_archE908ELNS1_3gpuE7ELNS1_3repE0EEENS1_47radix_sort_onesweep_sort_config_static_selectorELNS0_4arch9wavefront6targetE1EEEvSG_.num_vgpr, 0
	.set _ZN7rocprim17ROCPRIM_400000_NS6detail17trampoline_kernelINS0_14default_configENS1_35radix_sort_onesweep_config_selectorIflEEZZNS1_29radix_sort_onesweep_iterationIS3_Lb0EPfS7_N6thrust23THRUST_200600_302600_NS10device_ptrIlEESB_jNS0_19identity_decomposerENS1_16block_id_wrapperIjLb0EEEEE10hipError_tT1_PNSt15iterator_traitsISG_E10value_typeET2_T3_PNSH_ISM_E10value_typeET4_T5_PSR_SS_PNS1_23onesweep_lookback_stateEbbT6_jjT7_P12ihipStream_tbENKUlT_T0_SG_SL_E_clIS7_S7_SB_SB_EEDaSZ_S10_SG_SL_EUlSZ_E_NS1_11comp_targetILNS1_3genE3ELNS1_11target_archE908ELNS1_3gpuE7ELNS1_3repE0EEENS1_47radix_sort_onesweep_sort_config_static_selectorELNS0_4arch9wavefront6targetE1EEEvSG_.num_agpr, 0
	.set _ZN7rocprim17ROCPRIM_400000_NS6detail17trampoline_kernelINS0_14default_configENS1_35radix_sort_onesweep_config_selectorIflEEZZNS1_29radix_sort_onesweep_iterationIS3_Lb0EPfS7_N6thrust23THRUST_200600_302600_NS10device_ptrIlEESB_jNS0_19identity_decomposerENS1_16block_id_wrapperIjLb0EEEEE10hipError_tT1_PNSt15iterator_traitsISG_E10value_typeET2_T3_PNSH_ISM_E10value_typeET4_T5_PSR_SS_PNS1_23onesweep_lookback_stateEbbT6_jjT7_P12ihipStream_tbENKUlT_T0_SG_SL_E_clIS7_S7_SB_SB_EEDaSZ_S10_SG_SL_EUlSZ_E_NS1_11comp_targetILNS1_3genE3ELNS1_11target_archE908ELNS1_3gpuE7ELNS1_3repE0EEENS1_47radix_sort_onesweep_sort_config_static_selectorELNS0_4arch9wavefront6targetE1EEEvSG_.numbered_sgpr, 0
	.set _ZN7rocprim17ROCPRIM_400000_NS6detail17trampoline_kernelINS0_14default_configENS1_35radix_sort_onesweep_config_selectorIflEEZZNS1_29radix_sort_onesweep_iterationIS3_Lb0EPfS7_N6thrust23THRUST_200600_302600_NS10device_ptrIlEESB_jNS0_19identity_decomposerENS1_16block_id_wrapperIjLb0EEEEE10hipError_tT1_PNSt15iterator_traitsISG_E10value_typeET2_T3_PNSH_ISM_E10value_typeET4_T5_PSR_SS_PNS1_23onesweep_lookback_stateEbbT6_jjT7_P12ihipStream_tbENKUlT_T0_SG_SL_E_clIS7_S7_SB_SB_EEDaSZ_S10_SG_SL_EUlSZ_E_NS1_11comp_targetILNS1_3genE3ELNS1_11target_archE908ELNS1_3gpuE7ELNS1_3repE0EEENS1_47radix_sort_onesweep_sort_config_static_selectorELNS0_4arch9wavefront6targetE1EEEvSG_.num_named_barrier, 0
	.set _ZN7rocprim17ROCPRIM_400000_NS6detail17trampoline_kernelINS0_14default_configENS1_35radix_sort_onesweep_config_selectorIflEEZZNS1_29radix_sort_onesweep_iterationIS3_Lb0EPfS7_N6thrust23THRUST_200600_302600_NS10device_ptrIlEESB_jNS0_19identity_decomposerENS1_16block_id_wrapperIjLb0EEEEE10hipError_tT1_PNSt15iterator_traitsISG_E10value_typeET2_T3_PNSH_ISM_E10value_typeET4_T5_PSR_SS_PNS1_23onesweep_lookback_stateEbbT6_jjT7_P12ihipStream_tbENKUlT_T0_SG_SL_E_clIS7_S7_SB_SB_EEDaSZ_S10_SG_SL_EUlSZ_E_NS1_11comp_targetILNS1_3genE3ELNS1_11target_archE908ELNS1_3gpuE7ELNS1_3repE0EEENS1_47radix_sort_onesweep_sort_config_static_selectorELNS0_4arch9wavefront6targetE1EEEvSG_.private_seg_size, 0
	.set _ZN7rocprim17ROCPRIM_400000_NS6detail17trampoline_kernelINS0_14default_configENS1_35radix_sort_onesweep_config_selectorIflEEZZNS1_29radix_sort_onesweep_iterationIS3_Lb0EPfS7_N6thrust23THRUST_200600_302600_NS10device_ptrIlEESB_jNS0_19identity_decomposerENS1_16block_id_wrapperIjLb0EEEEE10hipError_tT1_PNSt15iterator_traitsISG_E10value_typeET2_T3_PNSH_ISM_E10value_typeET4_T5_PSR_SS_PNS1_23onesweep_lookback_stateEbbT6_jjT7_P12ihipStream_tbENKUlT_T0_SG_SL_E_clIS7_S7_SB_SB_EEDaSZ_S10_SG_SL_EUlSZ_E_NS1_11comp_targetILNS1_3genE3ELNS1_11target_archE908ELNS1_3gpuE7ELNS1_3repE0EEENS1_47radix_sort_onesweep_sort_config_static_selectorELNS0_4arch9wavefront6targetE1EEEvSG_.uses_vcc, 0
	.set _ZN7rocprim17ROCPRIM_400000_NS6detail17trampoline_kernelINS0_14default_configENS1_35radix_sort_onesweep_config_selectorIflEEZZNS1_29radix_sort_onesweep_iterationIS3_Lb0EPfS7_N6thrust23THRUST_200600_302600_NS10device_ptrIlEESB_jNS0_19identity_decomposerENS1_16block_id_wrapperIjLb0EEEEE10hipError_tT1_PNSt15iterator_traitsISG_E10value_typeET2_T3_PNSH_ISM_E10value_typeET4_T5_PSR_SS_PNS1_23onesweep_lookback_stateEbbT6_jjT7_P12ihipStream_tbENKUlT_T0_SG_SL_E_clIS7_S7_SB_SB_EEDaSZ_S10_SG_SL_EUlSZ_E_NS1_11comp_targetILNS1_3genE3ELNS1_11target_archE908ELNS1_3gpuE7ELNS1_3repE0EEENS1_47radix_sort_onesweep_sort_config_static_selectorELNS0_4arch9wavefront6targetE1EEEvSG_.uses_flat_scratch, 0
	.set _ZN7rocprim17ROCPRIM_400000_NS6detail17trampoline_kernelINS0_14default_configENS1_35radix_sort_onesweep_config_selectorIflEEZZNS1_29radix_sort_onesweep_iterationIS3_Lb0EPfS7_N6thrust23THRUST_200600_302600_NS10device_ptrIlEESB_jNS0_19identity_decomposerENS1_16block_id_wrapperIjLb0EEEEE10hipError_tT1_PNSt15iterator_traitsISG_E10value_typeET2_T3_PNSH_ISM_E10value_typeET4_T5_PSR_SS_PNS1_23onesweep_lookback_stateEbbT6_jjT7_P12ihipStream_tbENKUlT_T0_SG_SL_E_clIS7_S7_SB_SB_EEDaSZ_S10_SG_SL_EUlSZ_E_NS1_11comp_targetILNS1_3genE3ELNS1_11target_archE908ELNS1_3gpuE7ELNS1_3repE0EEENS1_47radix_sort_onesweep_sort_config_static_selectorELNS0_4arch9wavefront6targetE1EEEvSG_.has_dyn_sized_stack, 0
	.set _ZN7rocprim17ROCPRIM_400000_NS6detail17trampoline_kernelINS0_14default_configENS1_35radix_sort_onesweep_config_selectorIflEEZZNS1_29radix_sort_onesweep_iterationIS3_Lb0EPfS7_N6thrust23THRUST_200600_302600_NS10device_ptrIlEESB_jNS0_19identity_decomposerENS1_16block_id_wrapperIjLb0EEEEE10hipError_tT1_PNSt15iterator_traitsISG_E10value_typeET2_T3_PNSH_ISM_E10value_typeET4_T5_PSR_SS_PNS1_23onesweep_lookback_stateEbbT6_jjT7_P12ihipStream_tbENKUlT_T0_SG_SL_E_clIS7_S7_SB_SB_EEDaSZ_S10_SG_SL_EUlSZ_E_NS1_11comp_targetILNS1_3genE3ELNS1_11target_archE908ELNS1_3gpuE7ELNS1_3repE0EEENS1_47radix_sort_onesweep_sort_config_static_selectorELNS0_4arch9wavefront6targetE1EEEvSG_.has_recursion, 0
	.set _ZN7rocprim17ROCPRIM_400000_NS6detail17trampoline_kernelINS0_14default_configENS1_35radix_sort_onesweep_config_selectorIflEEZZNS1_29radix_sort_onesweep_iterationIS3_Lb0EPfS7_N6thrust23THRUST_200600_302600_NS10device_ptrIlEESB_jNS0_19identity_decomposerENS1_16block_id_wrapperIjLb0EEEEE10hipError_tT1_PNSt15iterator_traitsISG_E10value_typeET2_T3_PNSH_ISM_E10value_typeET4_T5_PSR_SS_PNS1_23onesweep_lookback_stateEbbT6_jjT7_P12ihipStream_tbENKUlT_T0_SG_SL_E_clIS7_S7_SB_SB_EEDaSZ_S10_SG_SL_EUlSZ_E_NS1_11comp_targetILNS1_3genE3ELNS1_11target_archE908ELNS1_3gpuE7ELNS1_3repE0EEENS1_47radix_sort_onesweep_sort_config_static_selectorELNS0_4arch9wavefront6targetE1EEEvSG_.has_indirect_call, 0
	.section	.AMDGPU.csdata,"",@progbits
; Kernel info:
; codeLenInByte = 0
; TotalNumSgprs: 4
; NumVgprs: 0
; ScratchSize: 0
; MemoryBound: 0
; FloatMode: 240
; IeeeMode: 1
; LDSByteSize: 0 bytes/workgroup (compile time only)
; SGPRBlocks: 0
; VGPRBlocks: 0
; NumSGPRsForWavesPerEU: 4
; NumVGPRsForWavesPerEU: 1
; Occupancy: 10
; WaveLimiterHint : 0
; COMPUTE_PGM_RSRC2:SCRATCH_EN: 0
; COMPUTE_PGM_RSRC2:USER_SGPR: 6
; COMPUTE_PGM_RSRC2:TRAP_HANDLER: 0
; COMPUTE_PGM_RSRC2:TGID_X_EN: 1
; COMPUTE_PGM_RSRC2:TGID_Y_EN: 0
; COMPUTE_PGM_RSRC2:TGID_Z_EN: 0
; COMPUTE_PGM_RSRC2:TIDIG_COMP_CNT: 0
	.section	.text._ZN7rocprim17ROCPRIM_400000_NS6detail17trampoline_kernelINS0_14default_configENS1_35radix_sort_onesweep_config_selectorIflEEZZNS1_29radix_sort_onesweep_iterationIS3_Lb0EPfS7_N6thrust23THRUST_200600_302600_NS10device_ptrIlEESB_jNS0_19identity_decomposerENS1_16block_id_wrapperIjLb0EEEEE10hipError_tT1_PNSt15iterator_traitsISG_E10value_typeET2_T3_PNSH_ISM_E10value_typeET4_T5_PSR_SS_PNS1_23onesweep_lookback_stateEbbT6_jjT7_P12ihipStream_tbENKUlT_T0_SG_SL_E_clIS7_S7_SB_SB_EEDaSZ_S10_SG_SL_EUlSZ_E_NS1_11comp_targetILNS1_3genE10ELNS1_11target_archE1201ELNS1_3gpuE5ELNS1_3repE0EEENS1_47radix_sort_onesweep_sort_config_static_selectorELNS0_4arch9wavefront6targetE1EEEvSG_,"axG",@progbits,_ZN7rocprim17ROCPRIM_400000_NS6detail17trampoline_kernelINS0_14default_configENS1_35radix_sort_onesweep_config_selectorIflEEZZNS1_29radix_sort_onesweep_iterationIS3_Lb0EPfS7_N6thrust23THRUST_200600_302600_NS10device_ptrIlEESB_jNS0_19identity_decomposerENS1_16block_id_wrapperIjLb0EEEEE10hipError_tT1_PNSt15iterator_traitsISG_E10value_typeET2_T3_PNSH_ISM_E10value_typeET4_T5_PSR_SS_PNS1_23onesweep_lookback_stateEbbT6_jjT7_P12ihipStream_tbENKUlT_T0_SG_SL_E_clIS7_S7_SB_SB_EEDaSZ_S10_SG_SL_EUlSZ_E_NS1_11comp_targetILNS1_3genE10ELNS1_11target_archE1201ELNS1_3gpuE5ELNS1_3repE0EEENS1_47radix_sort_onesweep_sort_config_static_selectorELNS0_4arch9wavefront6targetE1EEEvSG_,comdat
	.protected	_ZN7rocprim17ROCPRIM_400000_NS6detail17trampoline_kernelINS0_14default_configENS1_35radix_sort_onesweep_config_selectorIflEEZZNS1_29radix_sort_onesweep_iterationIS3_Lb0EPfS7_N6thrust23THRUST_200600_302600_NS10device_ptrIlEESB_jNS0_19identity_decomposerENS1_16block_id_wrapperIjLb0EEEEE10hipError_tT1_PNSt15iterator_traitsISG_E10value_typeET2_T3_PNSH_ISM_E10value_typeET4_T5_PSR_SS_PNS1_23onesweep_lookback_stateEbbT6_jjT7_P12ihipStream_tbENKUlT_T0_SG_SL_E_clIS7_S7_SB_SB_EEDaSZ_S10_SG_SL_EUlSZ_E_NS1_11comp_targetILNS1_3genE10ELNS1_11target_archE1201ELNS1_3gpuE5ELNS1_3repE0EEENS1_47radix_sort_onesweep_sort_config_static_selectorELNS0_4arch9wavefront6targetE1EEEvSG_ ; -- Begin function _ZN7rocprim17ROCPRIM_400000_NS6detail17trampoline_kernelINS0_14default_configENS1_35radix_sort_onesweep_config_selectorIflEEZZNS1_29radix_sort_onesweep_iterationIS3_Lb0EPfS7_N6thrust23THRUST_200600_302600_NS10device_ptrIlEESB_jNS0_19identity_decomposerENS1_16block_id_wrapperIjLb0EEEEE10hipError_tT1_PNSt15iterator_traitsISG_E10value_typeET2_T3_PNSH_ISM_E10value_typeET4_T5_PSR_SS_PNS1_23onesweep_lookback_stateEbbT6_jjT7_P12ihipStream_tbENKUlT_T0_SG_SL_E_clIS7_S7_SB_SB_EEDaSZ_S10_SG_SL_EUlSZ_E_NS1_11comp_targetILNS1_3genE10ELNS1_11target_archE1201ELNS1_3gpuE5ELNS1_3repE0EEENS1_47radix_sort_onesweep_sort_config_static_selectorELNS0_4arch9wavefront6targetE1EEEvSG_
	.globl	_ZN7rocprim17ROCPRIM_400000_NS6detail17trampoline_kernelINS0_14default_configENS1_35radix_sort_onesweep_config_selectorIflEEZZNS1_29radix_sort_onesweep_iterationIS3_Lb0EPfS7_N6thrust23THRUST_200600_302600_NS10device_ptrIlEESB_jNS0_19identity_decomposerENS1_16block_id_wrapperIjLb0EEEEE10hipError_tT1_PNSt15iterator_traitsISG_E10value_typeET2_T3_PNSH_ISM_E10value_typeET4_T5_PSR_SS_PNS1_23onesweep_lookback_stateEbbT6_jjT7_P12ihipStream_tbENKUlT_T0_SG_SL_E_clIS7_S7_SB_SB_EEDaSZ_S10_SG_SL_EUlSZ_E_NS1_11comp_targetILNS1_3genE10ELNS1_11target_archE1201ELNS1_3gpuE5ELNS1_3repE0EEENS1_47radix_sort_onesweep_sort_config_static_selectorELNS0_4arch9wavefront6targetE1EEEvSG_
	.p2align	8
	.type	_ZN7rocprim17ROCPRIM_400000_NS6detail17trampoline_kernelINS0_14default_configENS1_35radix_sort_onesweep_config_selectorIflEEZZNS1_29radix_sort_onesweep_iterationIS3_Lb0EPfS7_N6thrust23THRUST_200600_302600_NS10device_ptrIlEESB_jNS0_19identity_decomposerENS1_16block_id_wrapperIjLb0EEEEE10hipError_tT1_PNSt15iterator_traitsISG_E10value_typeET2_T3_PNSH_ISM_E10value_typeET4_T5_PSR_SS_PNS1_23onesweep_lookback_stateEbbT6_jjT7_P12ihipStream_tbENKUlT_T0_SG_SL_E_clIS7_S7_SB_SB_EEDaSZ_S10_SG_SL_EUlSZ_E_NS1_11comp_targetILNS1_3genE10ELNS1_11target_archE1201ELNS1_3gpuE5ELNS1_3repE0EEENS1_47radix_sort_onesweep_sort_config_static_selectorELNS0_4arch9wavefront6targetE1EEEvSG_,@function
_ZN7rocprim17ROCPRIM_400000_NS6detail17trampoline_kernelINS0_14default_configENS1_35radix_sort_onesweep_config_selectorIflEEZZNS1_29radix_sort_onesweep_iterationIS3_Lb0EPfS7_N6thrust23THRUST_200600_302600_NS10device_ptrIlEESB_jNS0_19identity_decomposerENS1_16block_id_wrapperIjLb0EEEEE10hipError_tT1_PNSt15iterator_traitsISG_E10value_typeET2_T3_PNSH_ISM_E10value_typeET4_T5_PSR_SS_PNS1_23onesweep_lookback_stateEbbT6_jjT7_P12ihipStream_tbENKUlT_T0_SG_SL_E_clIS7_S7_SB_SB_EEDaSZ_S10_SG_SL_EUlSZ_E_NS1_11comp_targetILNS1_3genE10ELNS1_11target_archE1201ELNS1_3gpuE5ELNS1_3repE0EEENS1_47radix_sort_onesweep_sort_config_static_selectorELNS0_4arch9wavefront6targetE1EEEvSG_: ; @_ZN7rocprim17ROCPRIM_400000_NS6detail17trampoline_kernelINS0_14default_configENS1_35radix_sort_onesweep_config_selectorIflEEZZNS1_29radix_sort_onesweep_iterationIS3_Lb0EPfS7_N6thrust23THRUST_200600_302600_NS10device_ptrIlEESB_jNS0_19identity_decomposerENS1_16block_id_wrapperIjLb0EEEEE10hipError_tT1_PNSt15iterator_traitsISG_E10value_typeET2_T3_PNSH_ISM_E10value_typeET4_T5_PSR_SS_PNS1_23onesweep_lookback_stateEbbT6_jjT7_P12ihipStream_tbENKUlT_T0_SG_SL_E_clIS7_S7_SB_SB_EEDaSZ_S10_SG_SL_EUlSZ_E_NS1_11comp_targetILNS1_3genE10ELNS1_11target_archE1201ELNS1_3gpuE5ELNS1_3repE0EEENS1_47radix_sort_onesweep_sort_config_static_selectorELNS0_4arch9wavefront6targetE1EEEvSG_
; %bb.0:
	.section	.rodata,"a",@progbits
	.p2align	6, 0x0
	.amdhsa_kernel _ZN7rocprim17ROCPRIM_400000_NS6detail17trampoline_kernelINS0_14default_configENS1_35radix_sort_onesweep_config_selectorIflEEZZNS1_29radix_sort_onesweep_iterationIS3_Lb0EPfS7_N6thrust23THRUST_200600_302600_NS10device_ptrIlEESB_jNS0_19identity_decomposerENS1_16block_id_wrapperIjLb0EEEEE10hipError_tT1_PNSt15iterator_traitsISG_E10value_typeET2_T3_PNSH_ISM_E10value_typeET4_T5_PSR_SS_PNS1_23onesweep_lookback_stateEbbT6_jjT7_P12ihipStream_tbENKUlT_T0_SG_SL_E_clIS7_S7_SB_SB_EEDaSZ_S10_SG_SL_EUlSZ_E_NS1_11comp_targetILNS1_3genE10ELNS1_11target_archE1201ELNS1_3gpuE5ELNS1_3repE0EEENS1_47radix_sort_onesweep_sort_config_static_selectorELNS0_4arch9wavefront6targetE1EEEvSG_
		.amdhsa_group_segment_fixed_size 0
		.amdhsa_private_segment_fixed_size 0
		.amdhsa_kernarg_size 88
		.amdhsa_user_sgpr_count 6
		.amdhsa_user_sgpr_private_segment_buffer 1
		.amdhsa_user_sgpr_dispatch_ptr 0
		.amdhsa_user_sgpr_queue_ptr 0
		.amdhsa_user_sgpr_kernarg_segment_ptr 1
		.amdhsa_user_sgpr_dispatch_id 0
		.amdhsa_user_sgpr_flat_scratch_init 0
		.amdhsa_user_sgpr_private_segment_size 0
		.amdhsa_uses_dynamic_stack 0
		.amdhsa_system_sgpr_private_segment_wavefront_offset 0
		.amdhsa_system_sgpr_workgroup_id_x 1
		.amdhsa_system_sgpr_workgroup_id_y 0
		.amdhsa_system_sgpr_workgroup_id_z 0
		.amdhsa_system_sgpr_workgroup_info 0
		.amdhsa_system_vgpr_workitem_id 0
		.amdhsa_next_free_vgpr 1
		.amdhsa_next_free_sgpr 0
		.amdhsa_reserve_vcc 0
		.amdhsa_reserve_flat_scratch 0
		.amdhsa_float_round_mode_32 0
		.amdhsa_float_round_mode_16_64 0
		.amdhsa_float_denorm_mode_32 3
		.amdhsa_float_denorm_mode_16_64 3
		.amdhsa_dx10_clamp 1
		.amdhsa_ieee_mode 1
		.amdhsa_fp16_overflow 0
		.amdhsa_exception_fp_ieee_invalid_op 0
		.amdhsa_exception_fp_denorm_src 0
		.amdhsa_exception_fp_ieee_div_zero 0
		.amdhsa_exception_fp_ieee_overflow 0
		.amdhsa_exception_fp_ieee_underflow 0
		.amdhsa_exception_fp_ieee_inexact 0
		.amdhsa_exception_int_div_zero 0
	.end_amdhsa_kernel
	.section	.text._ZN7rocprim17ROCPRIM_400000_NS6detail17trampoline_kernelINS0_14default_configENS1_35radix_sort_onesweep_config_selectorIflEEZZNS1_29radix_sort_onesweep_iterationIS3_Lb0EPfS7_N6thrust23THRUST_200600_302600_NS10device_ptrIlEESB_jNS0_19identity_decomposerENS1_16block_id_wrapperIjLb0EEEEE10hipError_tT1_PNSt15iterator_traitsISG_E10value_typeET2_T3_PNSH_ISM_E10value_typeET4_T5_PSR_SS_PNS1_23onesweep_lookback_stateEbbT6_jjT7_P12ihipStream_tbENKUlT_T0_SG_SL_E_clIS7_S7_SB_SB_EEDaSZ_S10_SG_SL_EUlSZ_E_NS1_11comp_targetILNS1_3genE10ELNS1_11target_archE1201ELNS1_3gpuE5ELNS1_3repE0EEENS1_47radix_sort_onesweep_sort_config_static_selectorELNS0_4arch9wavefront6targetE1EEEvSG_,"axG",@progbits,_ZN7rocprim17ROCPRIM_400000_NS6detail17trampoline_kernelINS0_14default_configENS1_35radix_sort_onesweep_config_selectorIflEEZZNS1_29radix_sort_onesweep_iterationIS3_Lb0EPfS7_N6thrust23THRUST_200600_302600_NS10device_ptrIlEESB_jNS0_19identity_decomposerENS1_16block_id_wrapperIjLb0EEEEE10hipError_tT1_PNSt15iterator_traitsISG_E10value_typeET2_T3_PNSH_ISM_E10value_typeET4_T5_PSR_SS_PNS1_23onesweep_lookback_stateEbbT6_jjT7_P12ihipStream_tbENKUlT_T0_SG_SL_E_clIS7_S7_SB_SB_EEDaSZ_S10_SG_SL_EUlSZ_E_NS1_11comp_targetILNS1_3genE10ELNS1_11target_archE1201ELNS1_3gpuE5ELNS1_3repE0EEENS1_47radix_sort_onesweep_sort_config_static_selectorELNS0_4arch9wavefront6targetE1EEEvSG_,comdat
.Lfunc_end1867:
	.size	_ZN7rocprim17ROCPRIM_400000_NS6detail17trampoline_kernelINS0_14default_configENS1_35radix_sort_onesweep_config_selectorIflEEZZNS1_29radix_sort_onesweep_iterationIS3_Lb0EPfS7_N6thrust23THRUST_200600_302600_NS10device_ptrIlEESB_jNS0_19identity_decomposerENS1_16block_id_wrapperIjLb0EEEEE10hipError_tT1_PNSt15iterator_traitsISG_E10value_typeET2_T3_PNSH_ISM_E10value_typeET4_T5_PSR_SS_PNS1_23onesweep_lookback_stateEbbT6_jjT7_P12ihipStream_tbENKUlT_T0_SG_SL_E_clIS7_S7_SB_SB_EEDaSZ_S10_SG_SL_EUlSZ_E_NS1_11comp_targetILNS1_3genE10ELNS1_11target_archE1201ELNS1_3gpuE5ELNS1_3repE0EEENS1_47radix_sort_onesweep_sort_config_static_selectorELNS0_4arch9wavefront6targetE1EEEvSG_, .Lfunc_end1867-_ZN7rocprim17ROCPRIM_400000_NS6detail17trampoline_kernelINS0_14default_configENS1_35radix_sort_onesweep_config_selectorIflEEZZNS1_29radix_sort_onesweep_iterationIS3_Lb0EPfS7_N6thrust23THRUST_200600_302600_NS10device_ptrIlEESB_jNS0_19identity_decomposerENS1_16block_id_wrapperIjLb0EEEEE10hipError_tT1_PNSt15iterator_traitsISG_E10value_typeET2_T3_PNSH_ISM_E10value_typeET4_T5_PSR_SS_PNS1_23onesweep_lookback_stateEbbT6_jjT7_P12ihipStream_tbENKUlT_T0_SG_SL_E_clIS7_S7_SB_SB_EEDaSZ_S10_SG_SL_EUlSZ_E_NS1_11comp_targetILNS1_3genE10ELNS1_11target_archE1201ELNS1_3gpuE5ELNS1_3repE0EEENS1_47radix_sort_onesweep_sort_config_static_selectorELNS0_4arch9wavefront6targetE1EEEvSG_
                                        ; -- End function
	.set _ZN7rocprim17ROCPRIM_400000_NS6detail17trampoline_kernelINS0_14default_configENS1_35radix_sort_onesweep_config_selectorIflEEZZNS1_29radix_sort_onesweep_iterationIS3_Lb0EPfS7_N6thrust23THRUST_200600_302600_NS10device_ptrIlEESB_jNS0_19identity_decomposerENS1_16block_id_wrapperIjLb0EEEEE10hipError_tT1_PNSt15iterator_traitsISG_E10value_typeET2_T3_PNSH_ISM_E10value_typeET4_T5_PSR_SS_PNS1_23onesweep_lookback_stateEbbT6_jjT7_P12ihipStream_tbENKUlT_T0_SG_SL_E_clIS7_S7_SB_SB_EEDaSZ_S10_SG_SL_EUlSZ_E_NS1_11comp_targetILNS1_3genE10ELNS1_11target_archE1201ELNS1_3gpuE5ELNS1_3repE0EEENS1_47radix_sort_onesweep_sort_config_static_selectorELNS0_4arch9wavefront6targetE1EEEvSG_.num_vgpr, 0
	.set _ZN7rocprim17ROCPRIM_400000_NS6detail17trampoline_kernelINS0_14default_configENS1_35radix_sort_onesweep_config_selectorIflEEZZNS1_29radix_sort_onesweep_iterationIS3_Lb0EPfS7_N6thrust23THRUST_200600_302600_NS10device_ptrIlEESB_jNS0_19identity_decomposerENS1_16block_id_wrapperIjLb0EEEEE10hipError_tT1_PNSt15iterator_traitsISG_E10value_typeET2_T3_PNSH_ISM_E10value_typeET4_T5_PSR_SS_PNS1_23onesweep_lookback_stateEbbT6_jjT7_P12ihipStream_tbENKUlT_T0_SG_SL_E_clIS7_S7_SB_SB_EEDaSZ_S10_SG_SL_EUlSZ_E_NS1_11comp_targetILNS1_3genE10ELNS1_11target_archE1201ELNS1_3gpuE5ELNS1_3repE0EEENS1_47radix_sort_onesweep_sort_config_static_selectorELNS0_4arch9wavefront6targetE1EEEvSG_.num_agpr, 0
	.set _ZN7rocprim17ROCPRIM_400000_NS6detail17trampoline_kernelINS0_14default_configENS1_35radix_sort_onesweep_config_selectorIflEEZZNS1_29radix_sort_onesweep_iterationIS3_Lb0EPfS7_N6thrust23THRUST_200600_302600_NS10device_ptrIlEESB_jNS0_19identity_decomposerENS1_16block_id_wrapperIjLb0EEEEE10hipError_tT1_PNSt15iterator_traitsISG_E10value_typeET2_T3_PNSH_ISM_E10value_typeET4_T5_PSR_SS_PNS1_23onesweep_lookback_stateEbbT6_jjT7_P12ihipStream_tbENKUlT_T0_SG_SL_E_clIS7_S7_SB_SB_EEDaSZ_S10_SG_SL_EUlSZ_E_NS1_11comp_targetILNS1_3genE10ELNS1_11target_archE1201ELNS1_3gpuE5ELNS1_3repE0EEENS1_47radix_sort_onesweep_sort_config_static_selectorELNS0_4arch9wavefront6targetE1EEEvSG_.numbered_sgpr, 0
	.set _ZN7rocprim17ROCPRIM_400000_NS6detail17trampoline_kernelINS0_14default_configENS1_35radix_sort_onesweep_config_selectorIflEEZZNS1_29radix_sort_onesweep_iterationIS3_Lb0EPfS7_N6thrust23THRUST_200600_302600_NS10device_ptrIlEESB_jNS0_19identity_decomposerENS1_16block_id_wrapperIjLb0EEEEE10hipError_tT1_PNSt15iterator_traitsISG_E10value_typeET2_T3_PNSH_ISM_E10value_typeET4_T5_PSR_SS_PNS1_23onesweep_lookback_stateEbbT6_jjT7_P12ihipStream_tbENKUlT_T0_SG_SL_E_clIS7_S7_SB_SB_EEDaSZ_S10_SG_SL_EUlSZ_E_NS1_11comp_targetILNS1_3genE10ELNS1_11target_archE1201ELNS1_3gpuE5ELNS1_3repE0EEENS1_47radix_sort_onesweep_sort_config_static_selectorELNS0_4arch9wavefront6targetE1EEEvSG_.num_named_barrier, 0
	.set _ZN7rocprim17ROCPRIM_400000_NS6detail17trampoline_kernelINS0_14default_configENS1_35radix_sort_onesweep_config_selectorIflEEZZNS1_29radix_sort_onesweep_iterationIS3_Lb0EPfS7_N6thrust23THRUST_200600_302600_NS10device_ptrIlEESB_jNS0_19identity_decomposerENS1_16block_id_wrapperIjLb0EEEEE10hipError_tT1_PNSt15iterator_traitsISG_E10value_typeET2_T3_PNSH_ISM_E10value_typeET4_T5_PSR_SS_PNS1_23onesweep_lookback_stateEbbT6_jjT7_P12ihipStream_tbENKUlT_T0_SG_SL_E_clIS7_S7_SB_SB_EEDaSZ_S10_SG_SL_EUlSZ_E_NS1_11comp_targetILNS1_3genE10ELNS1_11target_archE1201ELNS1_3gpuE5ELNS1_3repE0EEENS1_47radix_sort_onesweep_sort_config_static_selectorELNS0_4arch9wavefront6targetE1EEEvSG_.private_seg_size, 0
	.set _ZN7rocprim17ROCPRIM_400000_NS6detail17trampoline_kernelINS0_14default_configENS1_35radix_sort_onesweep_config_selectorIflEEZZNS1_29radix_sort_onesweep_iterationIS3_Lb0EPfS7_N6thrust23THRUST_200600_302600_NS10device_ptrIlEESB_jNS0_19identity_decomposerENS1_16block_id_wrapperIjLb0EEEEE10hipError_tT1_PNSt15iterator_traitsISG_E10value_typeET2_T3_PNSH_ISM_E10value_typeET4_T5_PSR_SS_PNS1_23onesweep_lookback_stateEbbT6_jjT7_P12ihipStream_tbENKUlT_T0_SG_SL_E_clIS7_S7_SB_SB_EEDaSZ_S10_SG_SL_EUlSZ_E_NS1_11comp_targetILNS1_3genE10ELNS1_11target_archE1201ELNS1_3gpuE5ELNS1_3repE0EEENS1_47radix_sort_onesweep_sort_config_static_selectorELNS0_4arch9wavefront6targetE1EEEvSG_.uses_vcc, 0
	.set _ZN7rocprim17ROCPRIM_400000_NS6detail17trampoline_kernelINS0_14default_configENS1_35radix_sort_onesweep_config_selectorIflEEZZNS1_29radix_sort_onesweep_iterationIS3_Lb0EPfS7_N6thrust23THRUST_200600_302600_NS10device_ptrIlEESB_jNS0_19identity_decomposerENS1_16block_id_wrapperIjLb0EEEEE10hipError_tT1_PNSt15iterator_traitsISG_E10value_typeET2_T3_PNSH_ISM_E10value_typeET4_T5_PSR_SS_PNS1_23onesweep_lookback_stateEbbT6_jjT7_P12ihipStream_tbENKUlT_T0_SG_SL_E_clIS7_S7_SB_SB_EEDaSZ_S10_SG_SL_EUlSZ_E_NS1_11comp_targetILNS1_3genE10ELNS1_11target_archE1201ELNS1_3gpuE5ELNS1_3repE0EEENS1_47radix_sort_onesweep_sort_config_static_selectorELNS0_4arch9wavefront6targetE1EEEvSG_.uses_flat_scratch, 0
	.set _ZN7rocprim17ROCPRIM_400000_NS6detail17trampoline_kernelINS0_14default_configENS1_35radix_sort_onesweep_config_selectorIflEEZZNS1_29radix_sort_onesweep_iterationIS3_Lb0EPfS7_N6thrust23THRUST_200600_302600_NS10device_ptrIlEESB_jNS0_19identity_decomposerENS1_16block_id_wrapperIjLb0EEEEE10hipError_tT1_PNSt15iterator_traitsISG_E10value_typeET2_T3_PNSH_ISM_E10value_typeET4_T5_PSR_SS_PNS1_23onesweep_lookback_stateEbbT6_jjT7_P12ihipStream_tbENKUlT_T0_SG_SL_E_clIS7_S7_SB_SB_EEDaSZ_S10_SG_SL_EUlSZ_E_NS1_11comp_targetILNS1_3genE10ELNS1_11target_archE1201ELNS1_3gpuE5ELNS1_3repE0EEENS1_47radix_sort_onesweep_sort_config_static_selectorELNS0_4arch9wavefront6targetE1EEEvSG_.has_dyn_sized_stack, 0
	.set _ZN7rocprim17ROCPRIM_400000_NS6detail17trampoline_kernelINS0_14default_configENS1_35radix_sort_onesweep_config_selectorIflEEZZNS1_29radix_sort_onesweep_iterationIS3_Lb0EPfS7_N6thrust23THRUST_200600_302600_NS10device_ptrIlEESB_jNS0_19identity_decomposerENS1_16block_id_wrapperIjLb0EEEEE10hipError_tT1_PNSt15iterator_traitsISG_E10value_typeET2_T3_PNSH_ISM_E10value_typeET4_T5_PSR_SS_PNS1_23onesweep_lookback_stateEbbT6_jjT7_P12ihipStream_tbENKUlT_T0_SG_SL_E_clIS7_S7_SB_SB_EEDaSZ_S10_SG_SL_EUlSZ_E_NS1_11comp_targetILNS1_3genE10ELNS1_11target_archE1201ELNS1_3gpuE5ELNS1_3repE0EEENS1_47radix_sort_onesweep_sort_config_static_selectorELNS0_4arch9wavefront6targetE1EEEvSG_.has_recursion, 0
	.set _ZN7rocprim17ROCPRIM_400000_NS6detail17trampoline_kernelINS0_14default_configENS1_35radix_sort_onesweep_config_selectorIflEEZZNS1_29radix_sort_onesweep_iterationIS3_Lb0EPfS7_N6thrust23THRUST_200600_302600_NS10device_ptrIlEESB_jNS0_19identity_decomposerENS1_16block_id_wrapperIjLb0EEEEE10hipError_tT1_PNSt15iterator_traitsISG_E10value_typeET2_T3_PNSH_ISM_E10value_typeET4_T5_PSR_SS_PNS1_23onesweep_lookback_stateEbbT6_jjT7_P12ihipStream_tbENKUlT_T0_SG_SL_E_clIS7_S7_SB_SB_EEDaSZ_S10_SG_SL_EUlSZ_E_NS1_11comp_targetILNS1_3genE10ELNS1_11target_archE1201ELNS1_3gpuE5ELNS1_3repE0EEENS1_47radix_sort_onesweep_sort_config_static_selectorELNS0_4arch9wavefront6targetE1EEEvSG_.has_indirect_call, 0
	.section	.AMDGPU.csdata,"",@progbits
; Kernel info:
; codeLenInByte = 0
; TotalNumSgprs: 4
; NumVgprs: 0
; ScratchSize: 0
; MemoryBound: 0
; FloatMode: 240
; IeeeMode: 1
; LDSByteSize: 0 bytes/workgroup (compile time only)
; SGPRBlocks: 0
; VGPRBlocks: 0
; NumSGPRsForWavesPerEU: 4
; NumVGPRsForWavesPerEU: 1
; Occupancy: 10
; WaveLimiterHint : 0
; COMPUTE_PGM_RSRC2:SCRATCH_EN: 0
; COMPUTE_PGM_RSRC2:USER_SGPR: 6
; COMPUTE_PGM_RSRC2:TRAP_HANDLER: 0
; COMPUTE_PGM_RSRC2:TGID_X_EN: 1
; COMPUTE_PGM_RSRC2:TGID_Y_EN: 0
; COMPUTE_PGM_RSRC2:TGID_Z_EN: 0
; COMPUTE_PGM_RSRC2:TIDIG_COMP_CNT: 0
	.section	.text._ZN7rocprim17ROCPRIM_400000_NS6detail17trampoline_kernelINS0_14default_configENS1_35radix_sort_onesweep_config_selectorIflEEZZNS1_29radix_sort_onesweep_iterationIS3_Lb0EPfS7_N6thrust23THRUST_200600_302600_NS10device_ptrIlEESB_jNS0_19identity_decomposerENS1_16block_id_wrapperIjLb0EEEEE10hipError_tT1_PNSt15iterator_traitsISG_E10value_typeET2_T3_PNSH_ISM_E10value_typeET4_T5_PSR_SS_PNS1_23onesweep_lookback_stateEbbT6_jjT7_P12ihipStream_tbENKUlT_T0_SG_SL_E_clIS7_S7_SB_SB_EEDaSZ_S10_SG_SL_EUlSZ_E_NS1_11comp_targetILNS1_3genE9ELNS1_11target_archE1100ELNS1_3gpuE3ELNS1_3repE0EEENS1_47radix_sort_onesweep_sort_config_static_selectorELNS0_4arch9wavefront6targetE1EEEvSG_,"axG",@progbits,_ZN7rocprim17ROCPRIM_400000_NS6detail17trampoline_kernelINS0_14default_configENS1_35radix_sort_onesweep_config_selectorIflEEZZNS1_29radix_sort_onesweep_iterationIS3_Lb0EPfS7_N6thrust23THRUST_200600_302600_NS10device_ptrIlEESB_jNS0_19identity_decomposerENS1_16block_id_wrapperIjLb0EEEEE10hipError_tT1_PNSt15iterator_traitsISG_E10value_typeET2_T3_PNSH_ISM_E10value_typeET4_T5_PSR_SS_PNS1_23onesweep_lookback_stateEbbT6_jjT7_P12ihipStream_tbENKUlT_T0_SG_SL_E_clIS7_S7_SB_SB_EEDaSZ_S10_SG_SL_EUlSZ_E_NS1_11comp_targetILNS1_3genE9ELNS1_11target_archE1100ELNS1_3gpuE3ELNS1_3repE0EEENS1_47radix_sort_onesweep_sort_config_static_selectorELNS0_4arch9wavefront6targetE1EEEvSG_,comdat
	.protected	_ZN7rocprim17ROCPRIM_400000_NS6detail17trampoline_kernelINS0_14default_configENS1_35radix_sort_onesweep_config_selectorIflEEZZNS1_29radix_sort_onesweep_iterationIS3_Lb0EPfS7_N6thrust23THRUST_200600_302600_NS10device_ptrIlEESB_jNS0_19identity_decomposerENS1_16block_id_wrapperIjLb0EEEEE10hipError_tT1_PNSt15iterator_traitsISG_E10value_typeET2_T3_PNSH_ISM_E10value_typeET4_T5_PSR_SS_PNS1_23onesweep_lookback_stateEbbT6_jjT7_P12ihipStream_tbENKUlT_T0_SG_SL_E_clIS7_S7_SB_SB_EEDaSZ_S10_SG_SL_EUlSZ_E_NS1_11comp_targetILNS1_3genE9ELNS1_11target_archE1100ELNS1_3gpuE3ELNS1_3repE0EEENS1_47radix_sort_onesweep_sort_config_static_selectorELNS0_4arch9wavefront6targetE1EEEvSG_ ; -- Begin function _ZN7rocprim17ROCPRIM_400000_NS6detail17trampoline_kernelINS0_14default_configENS1_35radix_sort_onesweep_config_selectorIflEEZZNS1_29radix_sort_onesweep_iterationIS3_Lb0EPfS7_N6thrust23THRUST_200600_302600_NS10device_ptrIlEESB_jNS0_19identity_decomposerENS1_16block_id_wrapperIjLb0EEEEE10hipError_tT1_PNSt15iterator_traitsISG_E10value_typeET2_T3_PNSH_ISM_E10value_typeET4_T5_PSR_SS_PNS1_23onesweep_lookback_stateEbbT6_jjT7_P12ihipStream_tbENKUlT_T0_SG_SL_E_clIS7_S7_SB_SB_EEDaSZ_S10_SG_SL_EUlSZ_E_NS1_11comp_targetILNS1_3genE9ELNS1_11target_archE1100ELNS1_3gpuE3ELNS1_3repE0EEENS1_47radix_sort_onesweep_sort_config_static_selectorELNS0_4arch9wavefront6targetE1EEEvSG_
	.globl	_ZN7rocprim17ROCPRIM_400000_NS6detail17trampoline_kernelINS0_14default_configENS1_35radix_sort_onesweep_config_selectorIflEEZZNS1_29radix_sort_onesweep_iterationIS3_Lb0EPfS7_N6thrust23THRUST_200600_302600_NS10device_ptrIlEESB_jNS0_19identity_decomposerENS1_16block_id_wrapperIjLb0EEEEE10hipError_tT1_PNSt15iterator_traitsISG_E10value_typeET2_T3_PNSH_ISM_E10value_typeET4_T5_PSR_SS_PNS1_23onesweep_lookback_stateEbbT6_jjT7_P12ihipStream_tbENKUlT_T0_SG_SL_E_clIS7_S7_SB_SB_EEDaSZ_S10_SG_SL_EUlSZ_E_NS1_11comp_targetILNS1_3genE9ELNS1_11target_archE1100ELNS1_3gpuE3ELNS1_3repE0EEENS1_47radix_sort_onesweep_sort_config_static_selectorELNS0_4arch9wavefront6targetE1EEEvSG_
	.p2align	8
	.type	_ZN7rocprim17ROCPRIM_400000_NS6detail17trampoline_kernelINS0_14default_configENS1_35radix_sort_onesweep_config_selectorIflEEZZNS1_29radix_sort_onesweep_iterationIS3_Lb0EPfS7_N6thrust23THRUST_200600_302600_NS10device_ptrIlEESB_jNS0_19identity_decomposerENS1_16block_id_wrapperIjLb0EEEEE10hipError_tT1_PNSt15iterator_traitsISG_E10value_typeET2_T3_PNSH_ISM_E10value_typeET4_T5_PSR_SS_PNS1_23onesweep_lookback_stateEbbT6_jjT7_P12ihipStream_tbENKUlT_T0_SG_SL_E_clIS7_S7_SB_SB_EEDaSZ_S10_SG_SL_EUlSZ_E_NS1_11comp_targetILNS1_3genE9ELNS1_11target_archE1100ELNS1_3gpuE3ELNS1_3repE0EEENS1_47radix_sort_onesweep_sort_config_static_selectorELNS0_4arch9wavefront6targetE1EEEvSG_,@function
_ZN7rocprim17ROCPRIM_400000_NS6detail17trampoline_kernelINS0_14default_configENS1_35radix_sort_onesweep_config_selectorIflEEZZNS1_29radix_sort_onesweep_iterationIS3_Lb0EPfS7_N6thrust23THRUST_200600_302600_NS10device_ptrIlEESB_jNS0_19identity_decomposerENS1_16block_id_wrapperIjLb0EEEEE10hipError_tT1_PNSt15iterator_traitsISG_E10value_typeET2_T3_PNSH_ISM_E10value_typeET4_T5_PSR_SS_PNS1_23onesweep_lookback_stateEbbT6_jjT7_P12ihipStream_tbENKUlT_T0_SG_SL_E_clIS7_S7_SB_SB_EEDaSZ_S10_SG_SL_EUlSZ_E_NS1_11comp_targetILNS1_3genE9ELNS1_11target_archE1100ELNS1_3gpuE3ELNS1_3repE0EEENS1_47radix_sort_onesweep_sort_config_static_selectorELNS0_4arch9wavefront6targetE1EEEvSG_: ; @_ZN7rocprim17ROCPRIM_400000_NS6detail17trampoline_kernelINS0_14default_configENS1_35radix_sort_onesweep_config_selectorIflEEZZNS1_29radix_sort_onesweep_iterationIS3_Lb0EPfS7_N6thrust23THRUST_200600_302600_NS10device_ptrIlEESB_jNS0_19identity_decomposerENS1_16block_id_wrapperIjLb0EEEEE10hipError_tT1_PNSt15iterator_traitsISG_E10value_typeET2_T3_PNSH_ISM_E10value_typeET4_T5_PSR_SS_PNS1_23onesweep_lookback_stateEbbT6_jjT7_P12ihipStream_tbENKUlT_T0_SG_SL_E_clIS7_S7_SB_SB_EEDaSZ_S10_SG_SL_EUlSZ_E_NS1_11comp_targetILNS1_3genE9ELNS1_11target_archE1100ELNS1_3gpuE3ELNS1_3repE0EEENS1_47radix_sort_onesweep_sort_config_static_selectorELNS0_4arch9wavefront6targetE1EEEvSG_
; %bb.0:
	.section	.rodata,"a",@progbits
	.p2align	6, 0x0
	.amdhsa_kernel _ZN7rocprim17ROCPRIM_400000_NS6detail17trampoline_kernelINS0_14default_configENS1_35radix_sort_onesweep_config_selectorIflEEZZNS1_29radix_sort_onesweep_iterationIS3_Lb0EPfS7_N6thrust23THRUST_200600_302600_NS10device_ptrIlEESB_jNS0_19identity_decomposerENS1_16block_id_wrapperIjLb0EEEEE10hipError_tT1_PNSt15iterator_traitsISG_E10value_typeET2_T3_PNSH_ISM_E10value_typeET4_T5_PSR_SS_PNS1_23onesweep_lookback_stateEbbT6_jjT7_P12ihipStream_tbENKUlT_T0_SG_SL_E_clIS7_S7_SB_SB_EEDaSZ_S10_SG_SL_EUlSZ_E_NS1_11comp_targetILNS1_3genE9ELNS1_11target_archE1100ELNS1_3gpuE3ELNS1_3repE0EEENS1_47radix_sort_onesweep_sort_config_static_selectorELNS0_4arch9wavefront6targetE1EEEvSG_
		.amdhsa_group_segment_fixed_size 0
		.amdhsa_private_segment_fixed_size 0
		.amdhsa_kernarg_size 88
		.amdhsa_user_sgpr_count 6
		.amdhsa_user_sgpr_private_segment_buffer 1
		.amdhsa_user_sgpr_dispatch_ptr 0
		.amdhsa_user_sgpr_queue_ptr 0
		.amdhsa_user_sgpr_kernarg_segment_ptr 1
		.amdhsa_user_sgpr_dispatch_id 0
		.amdhsa_user_sgpr_flat_scratch_init 0
		.amdhsa_user_sgpr_private_segment_size 0
		.amdhsa_uses_dynamic_stack 0
		.amdhsa_system_sgpr_private_segment_wavefront_offset 0
		.amdhsa_system_sgpr_workgroup_id_x 1
		.amdhsa_system_sgpr_workgroup_id_y 0
		.amdhsa_system_sgpr_workgroup_id_z 0
		.amdhsa_system_sgpr_workgroup_info 0
		.amdhsa_system_vgpr_workitem_id 0
		.amdhsa_next_free_vgpr 1
		.amdhsa_next_free_sgpr 0
		.amdhsa_reserve_vcc 0
		.amdhsa_reserve_flat_scratch 0
		.amdhsa_float_round_mode_32 0
		.amdhsa_float_round_mode_16_64 0
		.amdhsa_float_denorm_mode_32 3
		.amdhsa_float_denorm_mode_16_64 3
		.amdhsa_dx10_clamp 1
		.amdhsa_ieee_mode 1
		.amdhsa_fp16_overflow 0
		.amdhsa_exception_fp_ieee_invalid_op 0
		.amdhsa_exception_fp_denorm_src 0
		.amdhsa_exception_fp_ieee_div_zero 0
		.amdhsa_exception_fp_ieee_overflow 0
		.amdhsa_exception_fp_ieee_underflow 0
		.amdhsa_exception_fp_ieee_inexact 0
		.amdhsa_exception_int_div_zero 0
	.end_amdhsa_kernel
	.section	.text._ZN7rocprim17ROCPRIM_400000_NS6detail17trampoline_kernelINS0_14default_configENS1_35radix_sort_onesweep_config_selectorIflEEZZNS1_29radix_sort_onesweep_iterationIS3_Lb0EPfS7_N6thrust23THRUST_200600_302600_NS10device_ptrIlEESB_jNS0_19identity_decomposerENS1_16block_id_wrapperIjLb0EEEEE10hipError_tT1_PNSt15iterator_traitsISG_E10value_typeET2_T3_PNSH_ISM_E10value_typeET4_T5_PSR_SS_PNS1_23onesweep_lookback_stateEbbT6_jjT7_P12ihipStream_tbENKUlT_T0_SG_SL_E_clIS7_S7_SB_SB_EEDaSZ_S10_SG_SL_EUlSZ_E_NS1_11comp_targetILNS1_3genE9ELNS1_11target_archE1100ELNS1_3gpuE3ELNS1_3repE0EEENS1_47radix_sort_onesweep_sort_config_static_selectorELNS0_4arch9wavefront6targetE1EEEvSG_,"axG",@progbits,_ZN7rocprim17ROCPRIM_400000_NS6detail17trampoline_kernelINS0_14default_configENS1_35radix_sort_onesweep_config_selectorIflEEZZNS1_29radix_sort_onesweep_iterationIS3_Lb0EPfS7_N6thrust23THRUST_200600_302600_NS10device_ptrIlEESB_jNS0_19identity_decomposerENS1_16block_id_wrapperIjLb0EEEEE10hipError_tT1_PNSt15iterator_traitsISG_E10value_typeET2_T3_PNSH_ISM_E10value_typeET4_T5_PSR_SS_PNS1_23onesweep_lookback_stateEbbT6_jjT7_P12ihipStream_tbENKUlT_T0_SG_SL_E_clIS7_S7_SB_SB_EEDaSZ_S10_SG_SL_EUlSZ_E_NS1_11comp_targetILNS1_3genE9ELNS1_11target_archE1100ELNS1_3gpuE3ELNS1_3repE0EEENS1_47radix_sort_onesweep_sort_config_static_selectorELNS0_4arch9wavefront6targetE1EEEvSG_,comdat
.Lfunc_end1868:
	.size	_ZN7rocprim17ROCPRIM_400000_NS6detail17trampoline_kernelINS0_14default_configENS1_35radix_sort_onesweep_config_selectorIflEEZZNS1_29radix_sort_onesweep_iterationIS3_Lb0EPfS7_N6thrust23THRUST_200600_302600_NS10device_ptrIlEESB_jNS0_19identity_decomposerENS1_16block_id_wrapperIjLb0EEEEE10hipError_tT1_PNSt15iterator_traitsISG_E10value_typeET2_T3_PNSH_ISM_E10value_typeET4_T5_PSR_SS_PNS1_23onesweep_lookback_stateEbbT6_jjT7_P12ihipStream_tbENKUlT_T0_SG_SL_E_clIS7_S7_SB_SB_EEDaSZ_S10_SG_SL_EUlSZ_E_NS1_11comp_targetILNS1_3genE9ELNS1_11target_archE1100ELNS1_3gpuE3ELNS1_3repE0EEENS1_47radix_sort_onesweep_sort_config_static_selectorELNS0_4arch9wavefront6targetE1EEEvSG_, .Lfunc_end1868-_ZN7rocprim17ROCPRIM_400000_NS6detail17trampoline_kernelINS0_14default_configENS1_35radix_sort_onesweep_config_selectorIflEEZZNS1_29radix_sort_onesweep_iterationIS3_Lb0EPfS7_N6thrust23THRUST_200600_302600_NS10device_ptrIlEESB_jNS0_19identity_decomposerENS1_16block_id_wrapperIjLb0EEEEE10hipError_tT1_PNSt15iterator_traitsISG_E10value_typeET2_T3_PNSH_ISM_E10value_typeET4_T5_PSR_SS_PNS1_23onesweep_lookback_stateEbbT6_jjT7_P12ihipStream_tbENKUlT_T0_SG_SL_E_clIS7_S7_SB_SB_EEDaSZ_S10_SG_SL_EUlSZ_E_NS1_11comp_targetILNS1_3genE9ELNS1_11target_archE1100ELNS1_3gpuE3ELNS1_3repE0EEENS1_47radix_sort_onesweep_sort_config_static_selectorELNS0_4arch9wavefront6targetE1EEEvSG_
                                        ; -- End function
	.set _ZN7rocprim17ROCPRIM_400000_NS6detail17trampoline_kernelINS0_14default_configENS1_35radix_sort_onesweep_config_selectorIflEEZZNS1_29radix_sort_onesweep_iterationIS3_Lb0EPfS7_N6thrust23THRUST_200600_302600_NS10device_ptrIlEESB_jNS0_19identity_decomposerENS1_16block_id_wrapperIjLb0EEEEE10hipError_tT1_PNSt15iterator_traitsISG_E10value_typeET2_T3_PNSH_ISM_E10value_typeET4_T5_PSR_SS_PNS1_23onesweep_lookback_stateEbbT6_jjT7_P12ihipStream_tbENKUlT_T0_SG_SL_E_clIS7_S7_SB_SB_EEDaSZ_S10_SG_SL_EUlSZ_E_NS1_11comp_targetILNS1_3genE9ELNS1_11target_archE1100ELNS1_3gpuE3ELNS1_3repE0EEENS1_47radix_sort_onesweep_sort_config_static_selectorELNS0_4arch9wavefront6targetE1EEEvSG_.num_vgpr, 0
	.set _ZN7rocprim17ROCPRIM_400000_NS6detail17trampoline_kernelINS0_14default_configENS1_35radix_sort_onesweep_config_selectorIflEEZZNS1_29radix_sort_onesweep_iterationIS3_Lb0EPfS7_N6thrust23THRUST_200600_302600_NS10device_ptrIlEESB_jNS0_19identity_decomposerENS1_16block_id_wrapperIjLb0EEEEE10hipError_tT1_PNSt15iterator_traitsISG_E10value_typeET2_T3_PNSH_ISM_E10value_typeET4_T5_PSR_SS_PNS1_23onesweep_lookback_stateEbbT6_jjT7_P12ihipStream_tbENKUlT_T0_SG_SL_E_clIS7_S7_SB_SB_EEDaSZ_S10_SG_SL_EUlSZ_E_NS1_11comp_targetILNS1_3genE9ELNS1_11target_archE1100ELNS1_3gpuE3ELNS1_3repE0EEENS1_47radix_sort_onesweep_sort_config_static_selectorELNS0_4arch9wavefront6targetE1EEEvSG_.num_agpr, 0
	.set _ZN7rocprim17ROCPRIM_400000_NS6detail17trampoline_kernelINS0_14default_configENS1_35radix_sort_onesweep_config_selectorIflEEZZNS1_29radix_sort_onesweep_iterationIS3_Lb0EPfS7_N6thrust23THRUST_200600_302600_NS10device_ptrIlEESB_jNS0_19identity_decomposerENS1_16block_id_wrapperIjLb0EEEEE10hipError_tT1_PNSt15iterator_traitsISG_E10value_typeET2_T3_PNSH_ISM_E10value_typeET4_T5_PSR_SS_PNS1_23onesweep_lookback_stateEbbT6_jjT7_P12ihipStream_tbENKUlT_T0_SG_SL_E_clIS7_S7_SB_SB_EEDaSZ_S10_SG_SL_EUlSZ_E_NS1_11comp_targetILNS1_3genE9ELNS1_11target_archE1100ELNS1_3gpuE3ELNS1_3repE0EEENS1_47radix_sort_onesweep_sort_config_static_selectorELNS0_4arch9wavefront6targetE1EEEvSG_.numbered_sgpr, 0
	.set _ZN7rocprim17ROCPRIM_400000_NS6detail17trampoline_kernelINS0_14default_configENS1_35radix_sort_onesweep_config_selectorIflEEZZNS1_29radix_sort_onesweep_iterationIS3_Lb0EPfS7_N6thrust23THRUST_200600_302600_NS10device_ptrIlEESB_jNS0_19identity_decomposerENS1_16block_id_wrapperIjLb0EEEEE10hipError_tT1_PNSt15iterator_traitsISG_E10value_typeET2_T3_PNSH_ISM_E10value_typeET4_T5_PSR_SS_PNS1_23onesweep_lookback_stateEbbT6_jjT7_P12ihipStream_tbENKUlT_T0_SG_SL_E_clIS7_S7_SB_SB_EEDaSZ_S10_SG_SL_EUlSZ_E_NS1_11comp_targetILNS1_3genE9ELNS1_11target_archE1100ELNS1_3gpuE3ELNS1_3repE0EEENS1_47radix_sort_onesweep_sort_config_static_selectorELNS0_4arch9wavefront6targetE1EEEvSG_.num_named_barrier, 0
	.set _ZN7rocprim17ROCPRIM_400000_NS6detail17trampoline_kernelINS0_14default_configENS1_35radix_sort_onesweep_config_selectorIflEEZZNS1_29radix_sort_onesweep_iterationIS3_Lb0EPfS7_N6thrust23THRUST_200600_302600_NS10device_ptrIlEESB_jNS0_19identity_decomposerENS1_16block_id_wrapperIjLb0EEEEE10hipError_tT1_PNSt15iterator_traitsISG_E10value_typeET2_T3_PNSH_ISM_E10value_typeET4_T5_PSR_SS_PNS1_23onesweep_lookback_stateEbbT6_jjT7_P12ihipStream_tbENKUlT_T0_SG_SL_E_clIS7_S7_SB_SB_EEDaSZ_S10_SG_SL_EUlSZ_E_NS1_11comp_targetILNS1_3genE9ELNS1_11target_archE1100ELNS1_3gpuE3ELNS1_3repE0EEENS1_47radix_sort_onesweep_sort_config_static_selectorELNS0_4arch9wavefront6targetE1EEEvSG_.private_seg_size, 0
	.set _ZN7rocprim17ROCPRIM_400000_NS6detail17trampoline_kernelINS0_14default_configENS1_35radix_sort_onesweep_config_selectorIflEEZZNS1_29radix_sort_onesweep_iterationIS3_Lb0EPfS7_N6thrust23THRUST_200600_302600_NS10device_ptrIlEESB_jNS0_19identity_decomposerENS1_16block_id_wrapperIjLb0EEEEE10hipError_tT1_PNSt15iterator_traitsISG_E10value_typeET2_T3_PNSH_ISM_E10value_typeET4_T5_PSR_SS_PNS1_23onesweep_lookback_stateEbbT6_jjT7_P12ihipStream_tbENKUlT_T0_SG_SL_E_clIS7_S7_SB_SB_EEDaSZ_S10_SG_SL_EUlSZ_E_NS1_11comp_targetILNS1_3genE9ELNS1_11target_archE1100ELNS1_3gpuE3ELNS1_3repE0EEENS1_47radix_sort_onesweep_sort_config_static_selectorELNS0_4arch9wavefront6targetE1EEEvSG_.uses_vcc, 0
	.set _ZN7rocprim17ROCPRIM_400000_NS6detail17trampoline_kernelINS0_14default_configENS1_35radix_sort_onesweep_config_selectorIflEEZZNS1_29radix_sort_onesweep_iterationIS3_Lb0EPfS7_N6thrust23THRUST_200600_302600_NS10device_ptrIlEESB_jNS0_19identity_decomposerENS1_16block_id_wrapperIjLb0EEEEE10hipError_tT1_PNSt15iterator_traitsISG_E10value_typeET2_T3_PNSH_ISM_E10value_typeET4_T5_PSR_SS_PNS1_23onesweep_lookback_stateEbbT6_jjT7_P12ihipStream_tbENKUlT_T0_SG_SL_E_clIS7_S7_SB_SB_EEDaSZ_S10_SG_SL_EUlSZ_E_NS1_11comp_targetILNS1_3genE9ELNS1_11target_archE1100ELNS1_3gpuE3ELNS1_3repE0EEENS1_47radix_sort_onesweep_sort_config_static_selectorELNS0_4arch9wavefront6targetE1EEEvSG_.uses_flat_scratch, 0
	.set _ZN7rocprim17ROCPRIM_400000_NS6detail17trampoline_kernelINS0_14default_configENS1_35radix_sort_onesweep_config_selectorIflEEZZNS1_29radix_sort_onesweep_iterationIS3_Lb0EPfS7_N6thrust23THRUST_200600_302600_NS10device_ptrIlEESB_jNS0_19identity_decomposerENS1_16block_id_wrapperIjLb0EEEEE10hipError_tT1_PNSt15iterator_traitsISG_E10value_typeET2_T3_PNSH_ISM_E10value_typeET4_T5_PSR_SS_PNS1_23onesweep_lookback_stateEbbT6_jjT7_P12ihipStream_tbENKUlT_T0_SG_SL_E_clIS7_S7_SB_SB_EEDaSZ_S10_SG_SL_EUlSZ_E_NS1_11comp_targetILNS1_3genE9ELNS1_11target_archE1100ELNS1_3gpuE3ELNS1_3repE0EEENS1_47radix_sort_onesweep_sort_config_static_selectorELNS0_4arch9wavefront6targetE1EEEvSG_.has_dyn_sized_stack, 0
	.set _ZN7rocprim17ROCPRIM_400000_NS6detail17trampoline_kernelINS0_14default_configENS1_35radix_sort_onesweep_config_selectorIflEEZZNS1_29radix_sort_onesweep_iterationIS3_Lb0EPfS7_N6thrust23THRUST_200600_302600_NS10device_ptrIlEESB_jNS0_19identity_decomposerENS1_16block_id_wrapperIjLb0EEEEE10hipError_tT1_PNSt15iterator_traitsISG_E10value_typeET2_T3_PNSH_ISM_E10value_typeET4_T5_PSR_SS_PNS1_23onesweep_lookback_stateEbbT6_jjT7_P12ihipStream_tbENKUlT_T0_SG_SL_E_clIS7_S7_SB_SB_EEDaSZ_S10_SG_SL_EUlSZ_E_NS1_11comp_targetILNS1_3genE9ELNS1_11target_archE1100ELNS1_3gpuE3ELNS1_3repE0EEENS1_47radix_sort_onesweep_sort_config_static_selectorELNS0_4arch9wavefront6targetE1EEEvSG_.has_recursion, 0
	.set _ZN7rocprim17ROCPRIM_400000_NS6detail17trampoline_kernelINS0_14default_configENS1_35radix_sort_onesweep_config_selectorIflEEZZNS1_29radix_sort_onesweep_iterationIS3_Lb0EPfS7_N6thrust23THRUST_200600_302600_NS10device_ptrIlEESB_jNS0_19identity_decomposerENS1_16block_id_wrapperIjLb0EEEEE10hipError_tT1_PNSt15iterator_traitsISG_E10value_typeET2_T3_PNSH_ISM_E10value_typeET4_T5_PSR_SS_PNS1_23onesweep_lookback_stateEbbT6_jjT7_P12ihipStream_tbENKUlT_T0_SG_SL_E_clIS7_S7_SB_SB_EEDaSZ_S10_SG_SL_EUlSZ_E_NS1_11comp_targetILNS1_3genE9ELNS1_11target_archE1100ELNS1_3gpuE3ELNS1_3repE0EEENS1_47radix_sort_onesweep_sort_config_static_selectorELNS0_4arch9wavefront6targetE1EEEvSG_.has_indirect_call, 0
	.section	.AMDGPU.csdata,"",@progbits
; Kernel info:
; codeLenInByte = 0
; TotalNumSgprs: 4
; NumVgprs: 0
; ScratchSize: 0
; MemoryBound: 0
; FloatMode: 240
; IeeeMode: 1
; LDSByteSize: 0 bytes/workgroup (compile time only)
; SGPRBlocks: 0
; VGPRBlocks: 0
; NumSGPRsForWavesPerEU: 4
; NumVGPRsForWavesPerEU: 1
; Occupancy: 10
; WaveLimiterHint : 0
; COMPUTE_PGM_RSRC2:SCRATCH_EN: 0
; COMPUTE_PGM_RSRC2:USER_SGPR: 6
; COMPUTE_PGM_RSRC2:TRAP_HANDLER: 0
; COMPUTE_PGM_RSRC2:TGID_X_EN: 1
; COMPUTE_PGM_RSRC2:TGID_Y_EN: 0
; COMPUTE_PGM_RSRC2:TGID_Z_EN: 0
; COMPUTE_PGM_RSRC2:TIDIG_COMP_CNT: 0
	.section	.text._ZN7rocprim17ROCPRIM_400000_NS6detail17trampoline_kernelINS0_14default_configENS1_35radix_sort_onesweep_config_selectorIflEEZZNS1_29radix_sort_onesweep_iterationIS3_Lb0EPfS7_N6thrust23THRUST_200600_302600_NS10device_ptrIlEESB_jNS0_19identity_decomposerENS1_16block_id_wrapperIjLb0EEEEE10hipError_tT1_PNSt15iterator_traitsISG_E10value_typeET2_T3_PNSH_ISM_E10value_typeET4_T5_PSR_SS_PNS1_23onesweep_lookback_stateEbbT6_jjT7_P12ihipStream_tbENKUlT_T0_SG_SL_E_clIS7_S7_SB_SB_EEDaSZ_S10_SG_SL_EUlSZ_E_NS1_11comp_targetILNS1_3genE8ELNS1_11target_archE1030ELNS1_3gpuE2ELNS1_3repE0EEENS1_47radix_sort_onesweep_sort_config_static_selectorELNS0_4arch9wavefront6targetE1EEEvSG_,"axG",@progbits,_ZN7rocprim17ROCPRIM_400000_NS6detail17trampoline_kernelINS0_14default_configENS1_35radix_sort_onesweep_config_selectorIflEEZZNS1_29radix_sort_onesweep_iterationIS3_Lb0EPfS7_N6thrust23THRUST_200600_302600_NS10device_ptrIlEESB_jNS0_19identity_decomposerENS1_16block_id_wrapperIjLb0EEEEE10hipError_tT1_PNSt15iterator_traitsISG_E10value_typeET2_T3_PNSH_ISM_E10value_typeET4_T5_PSR_SS_PNS1_23onesweep_lookback_stateEbbT6_jjT7_P12ihipStream_tbENKUlT_T0_SG_SL_E_clIS7_S7_SB_SB_EEDaSZ_S10_SG_SL_EUlSZ_E_NS1_11comp_targetILNS1_3genE8ELNS1_11target_archE1030ELNS1_3gpuE2ELNS1_3repE0EEENS1_47radix_sort_onesweep_sort_config_static_selectorELNS0_4arch9wavefront6targetE1EEEvSG_,comdat
	.protected	_ZN7rocprim17ROCPRIM_400000_NS6detail17trampoline_kernelINS0_14default_configENS1_35radix_sort_onesweep_config_selectorIflEEZZNS1_29radix_sort_onesweep_iterationIS3_Lb0EPfS7_N6thrust23THRUST_200600_302600_NS10device_ptrIlEESB_jNS0_19identity_decomposerENS1_16block_id_wrapperIjLb0EEEEE10hipError_tT1_PNSt15iterator_traitsISG_E10value_typeET2_T3_PNSH_ISM_E10value_typeET4_T5_PSR_SS_PNS1_23onesweep_lookback_stateEbbT6_jjT7_P12ihipStream_tbENKUlT_T0_SG_SL_E_clIS7_S7_SB_SB_EEDaSZ_S10_SG_SL_EUlSZ_E_NS1_11comp_targetILNS1_3genE8ELNS1_11target_archE1030ELNS1_3gpuE2ELNS1_3repE0EEENS1_47radix_sort_onesweep_sort_config_static_selectorELNS0_4arch9wavefront6targetE1EEEvSG_ ; -- Begin function _ZN7rocprim17ROCPRIM_400000_NS6detail17trampoline_kernelINS0_14default_configENS1_35radix_sort_onesweep_config_selectorIflEEZZNS1_29radix_sort_onesweep_iterationIS3_Lb0EPfS7_N6thrust23THRUST_200600_302600_NS10device_ptrIlEESB_jNS0_19identity_decomposerENS1_16block_id_wrapperIjLb0EEEEE10hipError_tT1_PNSt15iterator_traitsISG_E10value_typeET2_T3_PNSH_ISM_E10value_typeET4_T5_PSR_SS_PNS1_23onesweep_lookback_stateEbbT6_jjT7_P12ihipStream_tbENKUlT_T0_SG_SL_E_clIS7_S7_SB_SB_EEDaSZ_S10_SG_SL_EUlSZ_E_NS1_11comp_targetILNS1_3genE8ELNS1_11target_archE1030ELNS1_3gpuE2ELNS1_3repE0EEENS1_47radix_sort_onesweep_sort_config_static_selectorELNS0_4arch9wavefront6targetE1EEEvSG_
	.globl	_ZN7rocprim17ROCPRIM_400000_NS6detail17trampoline_kernelINS0_14default_configENS1_35radix_sort_onesweep_config_selectorIflEEZZNS1_29radix_sort_onesweep_iterationIS3_Lb0EPfS7_N6thrust23THRUST_200600_302600_NS10device_ptrIlEESB_jNS0_19identity_decomposerENS1_16block_id_wrapperIjLb0EEEEE10hipError_tT1_PNSt15iterator_traitsISG_E10value_typeET2_T3_PNSH_ISM_E10value_typeET4_T5_PSR_SS_PNS1_23onesweep_lookback_stateEbbT6_jjT7_P12ihipStream_tbENKUlT_T0_SG_SL_E_clIS7_S7_SB_SB_EEDaSZ_S10_SG_SL_EUlSZ_E_NS1_11comp_targetILNS1_3genE8ELNS1_11target_archE1030ELNS1_3gpuE2ELNS1_3repE0EEENS1_47radix_sort_onesweep_sort_config_static_selectorELNS0_4arch9wavefront6targetE1EEEvSG_
	.p2align	8
	.type	_ZN7rocprim17ROCPRIM_400000_NS6detail17trampoline_kernelINS0_14default_configENS1_35radix_sort_onesweep_config_selectorIflEEZZNS1_29radix_sort_onesweep_iterationIS3_Lb0EPfS7_N6thrust23THRUST_200600_302600_NS10device_ptrIlEESB_jNS0_19identity_decomposerENS1_16block_id_wrapperIjLb0EEEEE10hipError_tT1_PNSt15iterator_traitsISG_E10value_typeET2_T3_PNSH_ISM_E10value_typeET4_T5_PSR_SS_PNS1_23onesweep_lookback_stateEbbT6_jjT7_P12ihipStream_tbENKUlT_T0_SG_SL_E_clIS7_S7_SB_SB_EEDaSZ_S10_SG_SL_EUlSZ_E_NS1_11comp_targetILNS1_3genE8ELNS1_11target_archE1030ELNS1_3gpuE2ELNS1_3repE0EEENS1_47radix_sort_onesweep_sort_config_static_selectorELNS0_4arch9wavefront6targetE1EEEvSG_,@function
_ZN7rocprim17ROCPRIM_400000_NS6detail17trampoline_kernelINS0_14default_configENS1_35radix_sort_onesweep_config_selectorIflEEZZNS1_29radix_sort_onesweep_iterationIS3_Lb0EPfS7_N6thrust23THRUST_200600_302600_NS10device_ptrIlEESB_jNS0_19identity_decomposerENS1_16block_id_wrapperIjLb0EEEEE10hipError_tT1_PNSt15iterator_traitsISG_E10value_typeET2_T3_PNSH_ISM_E10value_typeET4_T5_PSR_SS_PNS1_23onesweep_lookback_stateEbbT6_jjT7_P12ihipStream_tbENKUlT_T0_SG_SL_E_clIS7_S7_SB_SB_EEDaSZ_S10_SG_SL_EUlSZ_E_NS1_11comp_targetILNS1_3genE8ELNS1_11target_archE1030ELNS1_3gpuE2ELNS1_3repE0EEENS1_47radix_sort_onesweep_sort_config_static_selectorELNS0_4arch9wavefront6targetE1EEEvSG_: ; @_ZN7rocprim17ROCPRIM_400000_NS6detail17trampoline_kernelINS0_14default_configENS1_35radix_sort_onesweep_config_selectorIflEEZZNS1_29radix_sort_onesweep_iterationIS3_Lb0EPfS7_N6thrust23THRUST_200600_302600_NS10device_ptrIlEESB_jNS0_19identity_decomposerENS1_16block_id_wrapperIjLb0EEEEE10hipError_tT1_PNSt15iterator_traitsISG_E10value_typeET2_T3_PNSH_ISM_E10value_typeET4_T5_PSR_SS_PNS1_23onesweep_lookback_stateEbbT6_jjT7_P12ihipStream_tbENKUlT_T0_SG_SL_E_clIS7_S7_SB_SB_EEDaSZ_S10_SG_SL_EUlSZ_E_NS1_11comp_targetILNS1_3genE8ELNS1_11target_archE1030ELNS1_3gpuE2ELNS1_3repE0EEENS1_47radix_sort_onesweep_sort_config_static_selectorELNS0_4arch9wavefront6targetE1EEEvSG_
; %bb.0:
	.section	.rodata,"a",@progbits
	.p2align	6, 0x0
	.amdhsa_kernel _ZN7rocprim17ROCPRIM_400000_NS6detail17trampoline_kernelINS0_14default_configENS1_35radix_sort_onesweep_config_selectorIflEEZZNS1_29radix_sort_onesweep_iterationIS3_Lb0EPfS7_N6thrust23THRUST_200600_302600_NS10device_ptrIlEESB_jNS0_19identity_decomposerENS1_16block_id_wrapperIjLb0EEEEE10hipError_tT1_PNSt15iterator_traitsISG_E10value_typeET2_T3_PNSH_ISM_E10value_typeET4_T5_PSR_SS_PNS1_23onesweep_lookback_stateEbbT6_jjT7_P12ihipStream_tbENKUlT_T0_SG_SL_E_clIS7_S7_SB_SB_EEDaSZ_S10_SG_SL_EUlSZ_E_NS1_11comp_targetILNS1_3genE8ELNS1_11target_archE1030ELNS1_3gpuE2ELNS1_3repE0EEENS1_47radix_sort_onesweep_sort_config_static_selectorELNS0_4arch9wavefront6targetE1EEEvSG_
		.amdhsa_group_segment_fixed_size 0
		.amdhsa_private_segment_fixed_size 0
		.amdhsa_kernarg_size 88
		.amdhsa_user_sgpr_count 6
		.amdhsa_user_sgpr_private_segment_buffer 1
		.amdhsa_user_sgpr_dispatch_ptr 0
		.amdhsa_user_sgpr_queue_ptr 0
		.amdhsa_user_sgpr_kernarg_segment_ptr 1
		.amdhsa_user_sgpr_dispatch_id 0
		.amdhsa_user_sgpr_flat_scratch_init 0
		.amdhsa_user_sgpr_private_segment_size 0
		.amdhsa_uses_dynamic_stack 0
		.amdhsa_system_sgpr_private_segment_wavefront_offset 0
		.amdhsa_system_sgpr_workgroup_id_x 1
		.amdhsa_system_sgpr_workgroup_id_y 0
		.amdhsa_system_sgpr_workgroup_id_z 0
		.amdhsa_system_sgpr_workgroup_info 0
		.amdhsa_system_vgpr_workitem_id 0
		.amdhsa_next_free_vgpr 1
		.amdhsa_next_free_sgpr 0
		.amdhsa_reserve_vcc 0
		.amdhsa_reserve_flat_scratch 0
		.amdhsa_float_round_mode_32 0
		.amdhsa_float_round_mode_16_64 0
		.amdhsa_float_denorm_mode_32 3
		.amdhsa_float_denorm_mode_16_64 3
		.amdhsa_dx10_clamp 1
		.amdhsa_ieee_mode 1
		.amdhsa_fp16_overflow 0
		.amdhsa_exception_fp_ieee_invalid_op 0
		.amdhsa_exception_fp_denorm_src 0
		.amdhsa_exception_fp_ieee_div_zero 0
		.amdhsa_exception_fp_ieee_overflow 0
		.amdhsa_exception_fp_ieee_underflow 0
		.amdhsa_exception_fp_ieee_inexact 0
		.amdhsa_exception_int_div_zero 0
	.end_amdhsa_kernel
	.section	.text._ZN7rocprim17ROCPRIM_400000_NS6detail17trampoline_kernelINS0_14default_configENS1_35radix_sort_onesweep_config_selectorIflEEZZNS1_29radix_sort_onesweep_iterationIS3_Lb0EPfS7_N6thrust23THRUST_200600_302600_NS10device_ptrIlEESB_jNS0_19identity_decomposerENS1_16block_id_wrapperIjLb0EEEEE10hipError_tT1_PNSt15iterator_traitsISG_E10value_typeET2_T3_PNSH_ISM_E10value_typeET4_T5_PSR_SS_PNS1_23onesweep_lookback_stateEbbT6_jjT7_P12ihipStream_tbENKUlT_T0_SG_SL_E_clIS7_S7_SB_SB_EEDaSZ_S10_SG_SL_EUlSZ_E_NS1_11comp_targetILNS1_3genE8ELNS1_11target_archE1030ELNS1_3gpuE2ELNS1_3repE0EEENS1_47radix_sort_onesweep_sort_config_static_selectorELNS0_4arch9wavefront6targetE1EEEvSG_,"axG",@progbits,_ZN7rocprim17ROCPRIM_400000_NS6detail17trampoline_kernelINS0_14default_configENS1_35radix_sort_onesweep_config_selectorIflEEZZNS1_29radix_sort_onesweep_iterationIS3_Lb0EPfS7_N6thrust23THRUST_200600_302600_NS10device_ptrIlEESB_jNS0_19identity_decomposerENS1_16block_id_wrapperIjLb0EEEEE10hipError_tT1_PNSt15iterator_traitsISG_E10value_typeET2_T3_PNSH_ISM_E10value_typeET4_T5_PSR_SS_PNS1_23onesweep_lookback_stateEbbT6_jjT7_P12ihipStream_tbENKUlT_T0_SG_SL_E_clIS7_S7_SB_SB_EEDaSZ_S10_SG_SL_EUlSZ_E_NS1_11comp_targetILNS1_3genE8ELNS1_11target_archE1030ELNS1_3gpuE2ELNS1_3repE0EEENS1_47radix_sort_onesweep_sort_config_static_selectorELNS0_4arch9wavefront6targetE1EEEvSG_,comdat
.Lfunc_end1869:
	.size	_ZN7rocprim17ROCPRIM_400000_NS6detail17trampoline_kernelINS0_14default_configENS1_35radix_sort_onesweep_config_selectorIflEEZZNS1_29radix_sort_onesweep_iterationIS3_Lb0EPfS7_N6thrust23THRUST_200600_302600_NS10device_ptrIlEESB_jNS0_19identity_decomposerENS1_16block_id_wrapperIjLb0EEEEE10hipError_tT1_PNSt15iterator_traitsISG_E10value_typeET2_T3_PNSH_ISM_E10value_typeET4_T5_PSR_SS_PNS1_23onesweep_lookback_stateEbbT6_jjT7_P12ihipStream_tbENKUlT_T0_SG_SL_E_clIS7_S7_SB_SB_EEDaSZ_S10_SG_SL_EUlSZ_E_NS1_11comp_targetILNS1_3genE8ELNS1_11target_archE1030ELNS1_3gpuE2ELNS1_3repE0EEENS1_47radix_sort_onesweep_sort_config_static_selectorELNS0_4arch9wavefront6targetE1EEEvSG_, .Lfunc_end1869-_ZN7rocprim17ROCPRIM_400000_NS6detail17trampoline_kernelINS0_14default_configENS1_35radix_sort_onesweep_config_selectorIflEEZZNS1_29radix_sort_onesweep_iterationIS3_Lb0EPfS7_N6thrust23THRUST_200600_302600_NS10device_ptrIlEESB_jNS0_19identity_decomposerENS1_16block_id_wrapperIjLb0EEEEE10hipError_tT1_PNSt15iterator_traitsISG_E10value_typeET2_T3_PNSH_ISM_E10value_typeET4_T5_PSR_SS_PNS1_23onesweep_lookback_stateEbbT6_jjT7_P12ihipStream_tbENKUlT_T0_SG_SL_E_clIS7_S7_SB_SB_EEDaSZ_S10_SG_SL_EUlSZ_E_NS1_11comp_targetILNS1_3genE8ELNS1_11target_archE1030ELNS1_3gpuE2ELNS1_3repE0EEENS1_47radix_sort_onesweep_sort_config_static_selectorELNS0_4arch9wavefront6targetE1EEEvSG_
                                        ; -- End function
	.set _ZN7rocprim17ROCPRIM_400000_NS6detail17trampoline_kernelINS0_14default_configENS1_35radix_sort_onesweep_config_selectorIflEEZZNS1_29radix_sort_onesweep_iterationIS3_Lb0EPfS7_N6thrust23THRUST_200600_302600_NS10device_ptrIlEESB_jNS0_19identity_decomposerENS1_16block_id_wrapperIjLb0EEEEE10hipError_tT1_PNSt15iterator_traitsISG_E10value_typeET2_T3_PNSH_ISM_E10value_typeET4_T5_PSR_SS_PNS1_23onesweep_lookback_stateEbbT6_jjT7_P12ihipStream_tbENKUlT_T0_SG_SL_E_clIS7_S7_SB_SB_EEDaSZ_S10_SG_SL_EUlSZ_E_NS1_11comp_targetILNS1_3genE8ELNS1_11target_archE1030ELNS1_3gpuE2ELNS1_3repE0EEENS1_47radix_sort_onesweep_sort_config_static_selectorELNS0_4arch9wavefront6targetE1EEEvSG_.num_vgpr, 0
	.set _ZN7rocprim17ROCPRIM_400000_NS6detail17trampoline_kernelINS0_14default_configENS1_35radix_sort_onesweep_config_selectorIflEEZZNS1_29radix_sort_onesweep_iterationIS3_Lb0EPfS7_N6thrust23THRUST_200600_302600_NS10device_ptrIlEESB_jNS0_19identity_decomposerENS1_16block_id_wrapperIjLb0EEEEE10hipError_tT1_PNSt15iterator_traitsISG_E10value_typeET2_T3_PNSH_ISM_E10value_typeET4_T5_PSR_SS_PNS1_23onesweep_lookback_stateEbbT6_jjT7_P12ihipStream_tbENKUlT_T0_SG_SL_E_clIS7_S7_SB_SB_EEDaSZ_S10_SG_SL_EUlSZ_E_NS1_11comp_targetILNS1_3genE8ELNS1_11target_archE1030ELNS1_3gpuE2ELNS1_3repE0EEENS1_47radix_sort_onesweep_sort_config_static_selectorELNS0_4arch9wavefront6targetE1EEEvSG_.num_agpr, 0
	.set _ZN7rocprim17ROCPRIM_400000_NS6detail17trampoline_kernelINS0_14default_configENS1_35radix_sort_onesweep_config_selectorIflEEZZNS1_29radix_sort_onesweep_iterationIS3_Lb0EPfS7_N6thrust23THRUST_200600_302600_NS10device_ptrIlEESB_jNS0_19identity_decomposerENS1_16block_id_wrapperIjLb0EEEEE10hipError_tT1_PNSt15iterator_traitsISG_E10value_typeET2_T3_PNSH_ISM_E10value_typeET4_T5_PSR_SS_PNS1_23onesweep_lookback_stateEbbT6_jjT7_P12ihipStream_tbENKUlT_T0_SG_SL_E_clIS7_S7_SB_SB_EEDaSZ_S10_SG_SL_EUlSZ_E_NS1_11comp_targetILNS1_3genE8ELNS1_11target_archE1030ELNS1_3gpuE2ELNS1_3repE0EEENS1_47radix_sort_onesweep_sort_config_static_selectorELNS0_4arch9wavefront6targetE1EEEvSG_.numbered_sgpr, 0
	.set _ZN7rocprim17ROCPRIM_400000_NS6detail17trampoline_kernelINS0_14default_configENS1_35radix_sort_onesweep_config_selectorIflEEZZNS1_29radix_sort_onesweep_iterationIS3_Lb0EPfS7_N6thrust23THRUST_200600_302600_NS10device_ptrIlEESB_jNS0_19identity_decomposerENS1_16block_id_wrapperIjLb0EEEEE10hipError_tT1_PNSt15iterator_traitsISG_E10value_typeET2_T3_PNSH_ISM_E10value_typeET4_T5_PSR_SS_PNS1_23onesweep_lookback_stateEbbT6_jjT7_P12ihipStream_tbENKUlT_T0_SG_SL_E_clIS7_S7_SB_SB_EEDaSZ_S10_SG_SL_EUlSZ_E_NS1_11comp_targetILNS1_3genE8ELNS1_11target_archE1030ELNS1_3gpuE2ELNS1_3repE0EEENS1_47radix_sort_onesweep_sort_config_static_selectorELNS0_4arch9wavefront6targetE1EEEvSG_.num_named_barrier, 0
	.set _ZN7rocprim17ROCPRIM_400000_NS6detail17trampoline_kernelINS0_14default_configENS1_35radix_sort_onesweep_config_selectorIflEEZZNS1_29radix_sort_onesweep_iterationIS3_Lb0EPfS7_N6thrust23THRUST_200600_302600_NS10device_ptrIlEESB_jNS0_19identity_decomposerENS1_16block_id_wrapperIjLb0EEEEE10hipError_tT1_PNSt15iterator_traitsISG_E10value_typeET2_T3_PNSH_ISM_E10value_typeET4_T5_PSR_SS_PNS1_23onesweep_lookback_stateEbbT6_jjT7_P12ihipStream_tbENKUlT_T0_SG_SL_E_clIS7_S7_SB_SB_EEDaSZ_S10_SG_SL_EUlSZ_E_NS1_11comp_targetILNS1_3genE8ELNS1_11target_archE1030ELNS1_3gpuE2ELNS1_3repE0EEENS1_47radix_sort_onesweep_sort_config_static_selectorELNS0_4arch9wavefront6targetE1EEEvSG_.private_seg_size, 0
	.set _ZN7rocprim17ROCPRIM_400000_NS6detail17trampoline_kernelINS0_14default_configENS1_35radix_sort_onesweep_config_selectorIflEEZZNS1_29radix_sort_onesweep_iterationIS3_Lb0EPfS7_N6thrust23THRUST_200600_302600_NS10device_ptrIlEESB_jNS0_19identity_decomposerENS1_16block_id_wrapperIjLb0EEEEE10hipError_tT1_PNSt15iterator_traitsISG_E10value_typeET2_T3_PNSH_ISM_E10value_typeET4_T5_PSR_SS_PNS1_23onesweep_lookback_stateEbbT6_jjT7_P12ihipStream_tbENKUlT_T0_SG_SL_E_clIS7_S7_SB_SB_EEDaSZ_S10_SG_SL_EUlSZ_E_NS1_11comp_targetILNS1_3genE8ELNS1_11target_archE1030ELNS1_3gpuE2ELNS1_3repE0EEENS1_47radix_sort_onesweep_sort_config_static_selectorELNS0_4arch9wavefront6targetE1EEEvSG_.uses_vcc, 0
	.set _ZN7rocprim17ROCPRIM_400000_NS6detail17trampoline_kernelINS0_14default_configENS1_35radix_sort_onesweep_config_selectorIflEEZZNS1_29radix_sort_onesweep_iterationIS3_Lb0EPfS7_N6thrust23THRUST_200600_302600_NS10device_ptrIlEESB_jNS0_19identity_decomposerENS1_16block_id_wrapperIjLb0EEEEE10hipError_tT1_PNSt15iterator_traitsISG_E10value_typeET2_T3_PNSH_ISM_E10value_typeET4_T5_PSR_SS_PNS1_23onesweep_lookback_stateEbbT6_jjT7_P12ihipStream_tbENKUlT_T0_SG_SL_E_clIS7_S7_SB_SB_EEDaSZ_S10_SG_SL_EUlSZ_E_NS1_11comp_targetILNS1_3genE8ELNS1_11target_archE1030ELNS1_3gpuE2ELNS1_3repE0EEENS1_47radix_sort_onesweep_sort_config_static_selectorELNS0_4arch9wavefront6targetE1EEEvSG_.uses_flat_scratch, 0
	.set _ZN7rocprim17ROCPRIM_400000_NS6detail17trampoline_kernelINS0_14default_configENS1_35radix_sort_onesweep_config_selectorIflEEZZNS1_29radix_sort_onesweep_iterationIS3_Lb0EPfS7_N6thrust23THRUST_200600_302600_NS10device_ptrIlEESB_jNS0_19identity_decomposerENS1_16block_id_wrapperIjLb0EEEEE10hipError_tT1_PNSt15iterator_traitsISG_E10value_typeET2_T3_PNSH_ISM_E10value_typeET4_T5_PSR_SS_PNS1_23onesweep_lookback_stateEbbT6_jjT7_P12ihipStream_tbENKUlT_T0_SG_SL_E_clIS7_S7_SB_SB_EEDaSZ_S10_SG_SL_EUlSZ_E_NS1_11comp_targetILNS1_3genE8ELNS1_11target_archE1030ELNS1_3gpuE2ELNS1_3repE0EEENS1_47radix_sort_onesweep_sort_config_static_selectorELNS0_4arch9wavefront6targetE1EEEvSG_.has_dyn_sized_stack, 0
	.set _ZN7rocprim17ROCPRIM_400000_NS6detail17trampoline_kernelINS0_14default_configENS1_35radix_sort_onesweep_config_selectorIflEEZZNS1_29radix_sort_onesweep_iterationIS3_Lb0EPfS7_N6thrust23THRUST_200600_302600_NS10device_ptrIlEESB_jNS0_19identity_decomposerENS1_16block_id_wrapperIjLb0EEEEE10hipError_tT1_PNSt15iterator_traitsISG_E10value_typeET2_T3_PNSH_ISM_E10value_typeET4_T5_PSR_SS_PNS1_23onesweep_lookback_stateEbbT6_jjT7_P12ihipStream_tbENKUlT_T0_SG_SL_E_clIS7_S7_SB_SB_EEDaSZ_S10_SG_SL_EUlSZ_E_NS1_11comp_targetILNS1_3genE8ELNS1_11target_archE1030ELNS1_3gpuE2ELNS1_3repE0EEENS1_47radix_sort_onesweep_sort_config_static_selectorELNS0_4arch9wavefront6targetE1EEEvSG_.has_recursion, 0
	.set _ZN7rocprim17ROCPRIM_400000_NS6detail17trampoline_kernelINS0_14default_configENS1_35radix_sort_onesweep_config_selectorIflEEZZNS1_29radix_sort_onesweep_iterationIS3_Lb0EPfS7_N6thrust23THRUST_200600_302600_NS10device_ptrIlEESB_jNS0_19identity_decomposerENS1_16block_id_wrapperIjLb0EEEEE10hipError_tT1_PNSt15iterator_traitsISG_E10value_typeET2_T3_PNSH_ISM_E10value_typeET4_T5_PSR_SS_PNS1_23onesweep_lookback_stateEbbT6_jjT7_P12ihipStream_tbENKUlT_T0_SG_SL_E_clIS7_S7_SB_SB_EEDaSZ_S10_SG_SL_EUlSZ_E_NS1_11comp_targetILNS1_3genE8ELNS1_11target_archE1030ELNS1_3gpuE2ELNS1_3repE0EEENS1_47radix_sort_onesweep_sort_config_static_selectorELNS0_4arch9wavefront6targetE1EEEvSG_.has_indirect_call, 0
	.section	.AMDGPU.csdata,"",@progbits
; Kernel info:
; codeLenInByte = 0
; TotalNumSgprs: 4
; NumVgprs: 0
; ScratchSize: 0
; MemoryBound: 0
; FloatMode: 240
; IeeeMode: 1
; LDSByteSize: 0 bytes/workgroup (compile time only)
; SGPRBlocks: 0
; VGPRBlocks: 0
; NumSGPRsForWavesPerEU: 4
; NumVGPRsForWavesPerEU: 1
; Occupancy: 10
; WaveLimiterHint : 0
; COMPUTE_PGM_RSRC2:SCRATCH_EN: 0
; COMPUTE_PGM_RSRC2:USER_SGPR: 6
; COMPUTE_PGM_RSRC2:TRAP_HANDLER: 0
; COMPUTE_PGM_RSRC2:TGID_X_EN: 1
; COMPUTE_PGM_RSRC2:TGID_Y_EN: 0
; COMPUTE_PGM_RSRC2:TGID_Z_EN: 0
; COMPUTE_PGM_RSRC2:TIDIG_COMP_CNT: 0
	.section	.text._ZN7rocprim17ROCPRIM_400000_NS6detail17trampoline_kernelINS0_14default_configENS1_35radix_sort_onesweep_config_selectorIflEEZZNS1_29radix_sort_onesweep_iterationIS3_Lb0EPfS7_N6thrust23THRUST_200600_302600_NS10device_ptrIlEESB_jNS0_19identity_decomposerENS1_16block_id_wrapperIjLb0EEEEE10hipError_tT1_PNSt15iterator_traitsISG_E10value_typeET2_T3_PNSH_ISM_E10value_typeET4_T5_PSR_SS_PNS1_23onesweep_lookback_stateEbbT6_jjT7_P12ihipStream_tbENKUlT_T0_SG_SL_E_clIS7_S7_SB_PlEEDaSZ_S10_SG_SL_EUlSZ_E_NS1_11comp_targetILNS1_3genE0ELNS1_11target_archE4294967295ELNS1_3gpuE0ELNS1_3repE0EEENS1_47radix_sort_onesweep_sort_config_static_selectorELNS0_4arch9wavefront6targetE1EEEvSG_,"axG",@progbits,_ZN7rocprim17ROCPRIM_400000_NS6detail17trampoline_kernelINS0_14default_configENS1_35radix_sort_onesweep_config_selectorIflEEZZNS1_29radix_sort_onesweep_iterationIS3_Lb0EPfS7_N6thrust23THRUST_200600_302600_NS10device_ptrIlEESB_jNS0_19identity_decomposerENS1_16block_id_wrapperIjLb0EEEEE10hipError_tT1_PNSt15iterator_traitsISG_E10value_typeET2_T3_PNSH_ISM_E10value_typeET4_T5_PSR_SS_PNS1_23onesweep_lookback_stateEbbT6_jjT7_P12ihipStream_tbENKUlT_T0_SG_SL_E_clIS7_S7_SB_PlEEDaSZ_S10_SG_SL_EUlSZ_E_NS1_11comp_targetILNS1_3genE0ELNS1_11target_archE4294967295ELNS1_3gpuE0ELNS1_3repE0EEENS1_47radix_sort_onesweep_sort_config_static_selectorELNS0_4arch9wavefront6targetE1EEEvSG_,comdat
	.protected	_ZN7rocprim17ROCPRIM_400000_NS6detail17trampoline_kernelINS0_14default_configENS1_35radix_sort_onesweep_config_selectorIflEEZZNS1_29radix_sort_onesweep_iterationIS3_Lb0EPfS7_N6thrust23THRUST_200600_302600_NS10device_ptrIlEESB_jNS0_19identity_decomposerENS1_16block_id_wrapperIjLb0EEEEE10hipError_tT1_PNSt15iterator_traitsISG_E10value_typeET2_T3_PNSH_ISM_E10value_typeET4_T5_PSR_SS_PNS1_23onesweep_lookback_stateEbbT6_jjT7_P12ihipStream_tbENKUlT_T0_SG_SL_E_clIS7_S7_SB_PlEEDaSZ_S10_SG_SL_EUlSZ_E_NS1_11comp_targetILNS1_3genE0ELNS1_11target_archE4294967295ELNS1_3gpuE0ELNS1_3repE0EEENS1_47radix_sort_onesweep_sort_config_static_selectorELNS0_4arch9wavefront6targetE1EEEvSG_ ; -- Begin function _ZN7rocprim17ROCPRIM_400000_NS6detail17trampoline_kernelINS0_14default_configENS1_35radix_sort_onesweep_config_selectorIflEEZZNS1_29radix_sort_onesweep_iterationIS3_Lb0EPfS7_N6thrust23THRUST_200600_302600_NS10device_ptrIlEESB_jNS0_19identity_decomposerENS1_16block_id_wrapperIjLb0EEEEE10hipError_tT1_PNSt15iterator_traitsISG_E10value_typeET2_T3_PNSH_ISM_E10value_typeET4_T5_PSR_SS_PNS1_23onesweep_lookback_stateEbbT6_jjT7_P12ihipStream_tbENKUlT_T0_SG_SL_E_clIS7_S7_SB_PlEEDaSZ_S10_SG_SL_EUlSZ_E_NS1_11comp_targetILNS1_3genE0ELNS1_11target_archE4294967295ELNS1_3gpuE0ELNS1_3repE0EEENS1_47radix_sort_onesweep_sort_config_static_selectorELNS0_4arch9wavefront6targetE1EEEvSG_
	.globl	_ZN7rocprim17ROCPRIM_400000_NS6detail17trampoline_kernelINS0_14default_configENS1_35radix_sort_onesweep_config_selectorIflEEZZNS1_29radix_sort_onesweep_iterationIS3_Lb0EPfS7_N6thrust23THRUST_200600_302600_NS10device_ptrIlEESB_jNS0_19identity_decomposerENS1_16block_id_wrapperIjLb0EEEEE10hipError_tT1_PNSt15iterator_traitsISG_E10value_typeET2_T3_PNSH_ISM_E10value_typeET4_T5_PSR_SS_PNS1_23onesweep_lookback_stateEbbT6_jjT7_P12ihipStream_tbENKUlT_T0_SG_SL_E_clIS7_S7_SB_PlEEDaSZ_S10_SG_SL_EUlSZ_E_NS1_11comp_targetILNS1_3genE0ELNS1_11target_archE4294967295ELNS1_3gpuE0ELNS1_3repE0EEENS1_47radix_sort_onesweep_sort_config_static_selectorELNS0_4arch9wavefront6targetE1EEEvSG_
	.p2align	8
	.type	_ZN7rocprim17ROCPRIM_400000_NS6detail17trampoline_kernelINS0_14default_configENS1_35radix_sort_onesweep_config_selectorIflEEZZNS1_29radix_sort_onesweep_iterationIS3_Lb0EPfS7_N6thrust23THRUST_200600_302600_NS10device_ptrIlEESB_jNS0_19identity_decomposerENS1_16block_id_wrapperIjLb0EEEEE10hipError_tT1_PNSt15iterator_traitsISG_E10value_typeET2_T3_PNSH_ISM_E10value_typeET4_T5_PSR_SS_PNS1_23onesweep_lookback_stateEbbT6_jjT7_P12ihipStream_tbENKUlT_T0_SG_SL_E_clIS7_S7_SB_PlEEDaSZ_S10_SG_SL_EUlSZ_E_NS1_11comp_targetILNS1_3genE0ELNS1_11target_archE4294967295ELNS1_3gpuE0ELNS1_3repE0EEENS1_47radix_sort_onesweep_sort_config_static_selectorELNS0_4arch9wavefront6targetE1EEEvSG_,@function
_ZN7rocprim17ROCPRIM_400000_NS6detail17trampoline_kernelINS0_14default_configENS1_35radix_sort_onesweep_config_selectorIflEEZZNS1_29radix_sort_onesweep_iterationIS3_Lb0EPfS7_N6thrust23THRUST_200600_302600_NS10device_ptrIlEESB_jNS0_19identity_decomposerENS1_16block_id_wrapperIjLb0EEEEE10hipError_tT1_PNSt15iterator_traitsISG_E10value_typeET2_T3_PNSH_ISM_E10value_typeET4_T5_PSR_SS_PNS1_23onesweep_lookback_stateEbbT6_jjT7_P12ihipStream_tbENKUlT_T0_SG_SL_E_clIS7_S7_SB_PlEEDaSZ_S10_SG_SL_EUlSZ_E_NS1_11comp_targetILNS1_3genE0ELNS1_11target_archE4294967295ELNS1_3gpuE0ELNS1_3repE0EEENS1_47radix_sort_onesweep_sort_config_static_selectorELNS0_4arch9wavefront6targetE1EEEvSG_: ; @_ZN7rocprim17ROCPRIM_400000_NS6detail17trampoline_kernelINS0_14default_configENS1_35radix_sort_onesweep_config_selectorIflEEZZNS1_29radix_sort_onesweep_iterationIS3_Lb0EPfS7_N6thrust23THRUST_200600_302600_NS10device_ptrIlEESB_jNS0_19identity_decomposerENS1_16block_id_wrapperIjLb0EEEEE10hipError_tT1_PNSt15iterator_traitsISG_E10value_typeET2_T3_PNSH_ISM_E10value_typeET4_T5_PSR_SS_PNS1_23onesweep_lookback_stateEbbT6_jjT7_P12ihipStream_tbENKUlT_T0_SG_SL_E_clIS7_S7_SB_PlEEDaSZ_S10_SG_SL_EUlSZ_E_NS1_11comp_targetILNS1_3genE0ELNS1_11target_archE4294967295ELNS1_3gpuE0ELNS1_3repE0EEENS1_47radix_sort_onesweep_sort_config_static_selectorELNS0_4arch9wavefront6targetE1EEEvSG_
; %bb.0:
	.section	.rodata,"a",@progbits
	.p2align	6, 0x0
	.amdhsa_kernel _ZN7rocprim17ROCPRIM_400000_NS6detail17trampoline_kernelINS0_14default_configENS1_35radix_sort_onesweep_config_selectorIflEEZZNS1_29radix_sort_onesweep_iterationIS3_Lb0EPfS7_N6thrust23THRUST_200600_302600_NS10device_ptrIlEESB_jNS0_19identity_decomposerENS1_16block_id_wrapperIjLb0EEEEE10hipError_tT1_PNSt15iterator_traitsISG_E10value_typeET2_T3_PNSH_ISM_E10value_typeET4_T5_PSR_SS_PNS1_23onesweep_lookback_stateEbbT6_jjT7_P12ihipStream_tbENKUlT_T0_SG_SL_E_clIS7_S7_SB_PlEEDaSZ_S10_SG_SL_EUlSZ_E_NS1_11comp_targetILNS1_3genE0ELNS1_11target_archE4294967295ELNS1_3gpuE0ELNS1_3repE0EEENS1_47radix_sort_onesweep_sort_config_static_selectorELNS0_4arch9wavefront6targetE1EEEvSG_
		.amdhsa_group_segment_fixed_size 0
		.amdhsa_private_segment_fixed_size 0
		.amdhsa_kernarg_size 88
		.amdhsa_user_sgpr_count 6
		.amdhsa_user_sgpr_private_segment_buffer 1
		.amdhsa_user_sgpr_dispatch_ptr 0
		.amdhsa_user_sgpr_queue_ptr 0
		.amdhsa_user_sgpr_kernarg_segment_ptr 1
		.amdhsa_user_sgpr_dispatch_id 0
		.amdhsa_user_sgpr_flat_scratch_init 0
		.amdhsa_user_sgpr_private_segment_size 0
		.amdhsa_uses_dynamic_stack 0
		.amdhsa_system_sgpr_private_segment_wavefront_offset 0
		.amdhsa_system_sgpr_workgroup_id_x 1
		.amdhsa_system_sgpr_workgroup_id_y 0
		.amdhsa_system_sgpr_workgroup_id_z 0
		.amdhsa_system_sgpr_workgroup_info 0
		.amdhsa_system_vgpr_workitem_id 0
		.amdhsa_next_free_vgpr 1
		.amdhsa_next_free_sgpr 0
		.amdhsa_reserve_vcc 0
		.amdhsa_reserve_flat_scratch 0
		.amdhsa_float_round_mode_32 0
		.amdhsa_float_round_mode_16_64 0
		.amdhsa_float_denorm_mode_32 3
		.amdhsa_float_denorm_mode_16_64 3
		.amdhsa_dx10_clamp 1
		.amdhsa_ieee_mode 1
		.amdhsa_fp16_overflow 0
		.amdhsa_exception_fp_ieee_invalid_op 0
		.amdhsa_exception_fp_denorm_src 0
		.amdhsa_exception_fp_ieee_div_zero 0
		.amdhsa_exception_fp_ieee_overflow 0
		.amdhsa_exception_fp_ieee_underflow 0
		.amdhsa_exception_fp_ieee_inexact 0
		.amdhsa_exception_int_div_zero 0
	.end_amdhsa_kernel
	.section	.text._ZN7rocprim17ROCPRIM_400000_NS6detail17trampoline_kernelINS0_14default_configENS1_35radix_sort_onesweep_config_selectorIflEEZZNS1_29radix_sort_onesweep_iterationIS3_Lb0EPfS7_N6thrust23THRUST_200600_302600_NS10device_ptrIlEESB_jNS0_19identity_decomposerENS1_16block_id_wrapperIjLb0EEEEE10hipError_tT1_PNSt15iterator_traitsISG_E10value_typeET2_T3_PNSH_ISM_E10value_typeET4_T5_PSR_SS_PNS1_23onesweep_lookback_stateEbbT6_jjT7_P12ihipStream_tbENKUlT_T0_SG_SL_E_clIS7_S7_SB_PlEEDaSZ_S10_SG_SL_EUlSZ_E_NS1_11comp_targetILNS1_3genE0ELNS1_11target_archE4294967295ELNS1_3gpuE0ELNS1_3repE0EEENS1_47radix_sort_onesweep_sort_config_static_selectorELNS0_4arch9wavefront6targetE1EEEvSG_,"axG",@progbits,_ZN7rocprim17ROCPRIM_400000_NS6detail17trampoline_kernelINS0_14default_configENS1_35radix_sort_onesweep_config_selectorIflEEZZNS1_29radix_sort_onesweep_iterationIS3_Lb0EPfS7_N6thrust23THRUST_200600_302600_NS10device_ptrIlEESB_jNS0_19identity_decomposerENS1_16block_id_wrapperIjLb0EEEEE10hipError_tT1_PNSt15iterator_traitsISG_E10value_typeET2_T3_PNSH_ISM_E10value_typeET4_T5_PSR_SS_PNS1_23onesweep_lookback_stateEbbT6_jjT7_P12ihipStream_tbENKUlT_T0_SG_SL_E_clIS7_S7_SB_PlEEDaSZ_S10_SG_SL_EUlSZ_E_NS1_11comp_targetILNS1_3genE0ELNS1_11target_archE4294967295ELNS1_3gpuE0ELNS1_3repE0EEENS1_47radix_sort_onesweep_sort_config_static_selectorELNS0_4arch9wavefront6targetE1EEEvSG_,comdat
.Lfunc_end1870:
	.size	_ZN7rocprim17ROCPRIM_400000_NS6detail17trampoline_kernelINS0_14default_configENS1_35radix_sort_onesweep_config_selectorIflEEZZNS1_29radix_sort_onesweep_iterationIS3_Lb0EPfS7_N6thrust23THRUST_200600_302600_NS10device_ptrIlEESB_jNS0_19identity_decomposerENS1_16block_id_wrapperIjLb0EEEEE10hipError_tT1_PNSt15iterator_traitsISG_E10value_typeET2_T3_PNSH_ISM_E10value_typeET4_T5_PSR_SS_PNS1_23onesweep_lookback_stateEbbT6_jjT7_P12ihipStream_tbENKUlT_T0_SG_SL_E_clIS7_S7_SB_PlEEDaSZ_S10_SG_SL_EUlSZ_E_NS1_11comp_targetILNS1_3genE0ELNS1_11target_archE4294967295ELNS1_3gpuE0ELNS1_3repE0EEENS1_47radix_sort_onesweep_sort_config_static_selectorELNS0_4arch9wavefront6targetE1EEEvSG_, .Lfunc_end1870-_ZN7rocprim17ROCPRIM_400000_NS6detail17trampoline_kernelINS0_14default_configENS1_35radix_sort_onesweep_config_selectorIflEEZZNS1_29radix_sort_onesweep_iterationIS3_Lb0EPfS7_N6thrust23THRUST_200600_302600_NS10device_ptrIlEESB_jNS0_19identity_decomposerENS1_16block_id_wrapperIjLb0EEEEE10hipError_tT1_PNSt15iterator_traitsISG_E10value_typeET2_T3_PNSH_ISM_E10value_typeET4_T5_PSR_SS_PNS1_23onesweep_lookback_stateEbbT6_jjT7_P12ihipStream_tbENKUlT_T0_SG_SL_E_clIS7_S7_SB_PlEEDaSZ_S10_SG_SL_EUlSZ_E_NS1_11comp_targetILNS1_3genE0ELNS1_11target_archE4294967295ELNS1_3gpuE0ELNS1_3repE0EEENS1_47radix_sort_onesweep_sort_config_static_selectorELNS0_4arch9wavefront6targetE1EEEvSG_
                                        ; -- End function
	.set _ZN7rocprim17ROCPRIM_400000_NS6detail17trampoline_kernelINS0_14default_configENS1_35radix_sort_onesweep_config_selectorIflEEZZNS1_29radix_sort_onesweep_iterationIS3_Lb0EPfS7_N6thrust23THRUST_200600_302600_NS10device_ptrIlEESB_jNS0_19identity_decomposerENS1_16block_id_wrapperIjLb0EEEEE10hipError_tT1_PNSt15iterator_traitsISG_E10value_typeET2_T3_PNSH_ISM_E10value_typeET4_T5_PSR_SS_PNS1_23onesweep_lookback_stateEbbT6_jjT7_P12ihipStream_tbENKUlT_T0_SG_SL_E_clIS7_S7_SB_PlEEDaSZ_S10_SG_SL_EUlSZ_E_NS1_11comp_targetILNS1_3genE0ELNS1_11target_archE4294967295ELNS1_3gpuE0ELNS1_3repE0EEENS1_47radix_sort_onesweep_sort_config_static_selectorELNS0_4arch9wavefront6targetE1EEEvSG_.num_vgpr, 0
	.set _ZN7rocprim17ROCPRIM_400000_NS6detail17trampoline_kernelINS0_14default_configENS1_35radix_sort_onesweep_config_selectorIflEEZZNS1_29radix_sort_onesweep_iterationIS3_Lb0EPfS7_N6thrust23THRUST_200600_302600_NS10device_ptrIlEESB_jNS0_19identity_decomposerENS1_16block_id_wrapperIjLb0EEEEE10hipError_tT1_PNSt15iterator_traitsISG_E10value_typeET2_T3_PNSH_ISM_E10value_typeET4_T5_PSR_SS_PNS1_23onesweep_lookback_stateEbbT6_jjT7_P12ihipStream_tbENKUlT_T0_SG_SL_E_clIS7_S7_SB_PlEEDaSZ_S10_SG_SL_EUlSZ_E_NS1_11comp_targetILNS1_3genE0ELNS1_11target_archE4294967295ELNS1_3gpuE0ELNS1_3repE0EEENS1_47radix_sort_onesweep_sort_config_static_selectorELNS0_4arch9wavefront6targetE1EEEvSG_.num_agpr, 0
	.set _ZN7rocprim17ROCPRIM_400000_NS6detail17trampoline_kernelINS0_14default_configENS1_35radix_sort_onesweep_config_selectorIflEEZZNS1_29radix_sort_onesweep_iterationIS3_Lb0EPfS7_N6thrust23THRUST_200600_302600_NS10device_ptrIlEESB_jNS0_19identity_decomposerENS1_16block_id_wrapperIjLb0EEEEE10hipError_tT1_PNSt15iterator_traitsISG_E10value_typeET2_T3_PNSH_ISM_E10value_typeET4_T5_PSR_SS_PNS1_23onesweep_lookback_stateEbbT6_jjT7_P12ihipStream_tbENKUlT_T0_SG_SL_E_clIS7_S7_SB_PlEEDaSZ_S10_SG_SL_EUlSZ_E_NS1_11comp_targetILNS1_3genE0ELNS1_11target_archE4294967295ELNS1_3gpuE0ELNS1_3repE0EEENS1_47radix_sort_onesweep_sort_config_static_selectorELNS0_4arch9wavefront6targetE1EEEvSG_.numbered_sgpr, 0
	.set _ZN7rocprim17ROCPRIM_400000_NS6detail17trampoline_kernelINS0_14default_configENS1_35radix_sort_onesweep_config_selectorIflEEZZNS1_29radix_sort_onesweep_iterationIS3_Lb0EPfS7_N6thrust23THRUST_200600_302600_NS10device_ptrIlEESB_jNS0_19identity_decomposerENS1_16block_id_wrapperIjLb0EEEEE10hipError_tT1_PNSt15iterator_traitsISG_E10value_typeET2_T3_PNSH_ISM_E10value_typeET4_T5_PSR_SS_PNS1_23onesweep_lookback_stateEbbT6_jjT7_P12ihipStream_tbENKUlT_T0_SG_SL_E_clIS7_S7_SB_PlEEDaSZ_S10_SG_SL_EUlSZ_E_NS1_11comp_targetILNS1_3genE0ELNS1_11target_archE4294967295ELNS1_3gpuE0ELNS1_3repE0EEENS1_47radix_sort_onesweep_sort_config_static_selectorELNS0_4arch9wavefront6targetE1EEEvSG_.num_named_barrier, 0
	.set _ZN7rocprim17ROCPRIM_400000_NS6detail17trampoline_kernelINS0_14default_configENS1_35radix_sort_onesweep_config_selectorIflEEZZNS1_29radix_sort_onesweep_iterationIS3_Lb0EPfS7_N6thrust23THRUST_200600_302600_NS10device_ptrIlEESB_jNS0_19identity_decomposerENS1_16block_id_wrapperIjLb0EEEEE10hipError_tT1_PNSt15iterator_traitsISG_E10value_typeET2_T3_PNSH_ISM_E10value_typeET4_T5_PSR_SS_PNS1_23onesweep_lookback_stateEbbT6_jjT7_P12ihipStream_tbENKUlT_T0_SG_SL_E_clIS7_S7_SB_PlEEDaSZ_S10_SG_SL_EUlSZ_E_NS1_11comp_targetILNS1_3genE0ELNS1_11target_archE4294967295ELNS1_3gpuE0ELNS1_3repE0EEENS1_47radix_sort_onesweep_sort_config_static_selectorELNS0_4arch9wavefront6targetE1EEEvSG_.private_seg_size, 0
	.set _ZN7rocprim17ROCPRIM_400000_NS6detail17trampoline_kernelINS0_14default_configENS1_35radix_sort_onesweep_config_selectorIflEEZZNS1_29radix_sort_onesweep_iterationIS3_Lb0EPfS7_N6thrust23THRUST_200600_302600_NS10device_ptrIlEESB_jNS0_19identity_decomposerENS1_16block_id_wrapperIjLb0EEEEE10hipError_tT1_PNSt15iterator_traitsISG_E10value_typeET2_T3_PNSH_ISM_E10value_typeET4_T5_PSR_SS_PNS1_23onesweep_lookback_stateEbbT6_jjT7_P12ihipStream_tbENKUlT_T0_SG_SL_E_clIS7_S7_SB_PlEEDaSZ_S10_SG_SL_EUlSZ_E_NS1_11comp_targetILNS1_3genE0ELNS1_11target_archE4294967295ELNS1_3gpuE0ELNS1_3repE0EEENS1_47radix_sort_onesweep_sort_config_static_selectorELNS0_4arch9wavefront6targetE1EEEvSG_.uses_vcc, 0
	.set _ZN7rocprim17ROCPRIM_400000_NS6detail17trampoline_kernelINS0_14default_configENS1_35radix_sort_onesweep_config_selectorIflEEZZNS1_29radix_sort_onesweep_iterationIS3_Lb0EPfS7_N6thrust23THRUST_200600_302600_NS10device_ptrIlEESB_jNS0_19identity_decomposerENS1_16block_id_wrapperIjLb0EEEEE10hipError_tT1_PNSt15iterator_traitsISG_E10value_typeET2_T3_PNSH_ISM_E10value_typeET4_T5_PSR_SS_PNS1_23onesweep_lookback_stateEbbT6_jjT7_P12ihipStream_tbENKUlT_T0_SG_SL_E_clIS7_S7_SB_PlEEDaSZ_S10_SG_SL_EUlSZ_E_NS1_11comp_targetILNS1_3genE0ELNS1_11target_archE4294967295ELNS1_3gpuE0ELNS1_3repE0EEENS1_47radix_sort_onesweep_sort_config_static_selectorELNS0_4arch9wavefront6targetE1EEEvSG_.uses_flat_scratch, 0
	.set _ZN7rocprim17ROCPRIM_400000_NS6detail17trampoline_kernelINS0_14default_configENS1_35radix_sort_onesweep_config_selectorIflEEZZNS1_29radix_sort_onesweep_iterationIS3_Lb0EPfS7_N6thrust23THRUST_200600_302600_NS10device_ptrIlEESB_jNS0_19identity_decomposerENS1_16block_id_wrapperIjLb0EEEEE10hipError_tT1_PNSt15iterator_traitsISG_E10value_typeET2_T3_PNSH_ISM_E10value_typeET4_T5_PSR_SS_PNS1_23onesweep_lookback_stateEbbT6_jjT7_P12ihipStream_tbENKUlT_T0_SG_SL_E_clIS7_S7_SB_PlEEDaSZ_S10_SG_SL_EUlSZ_E_NS1_11comp_targetILNS1_3genE0ELNS1_11target_archE4294967295ELNS1_3gpuE0ELNS1_3repE0EEENS1_47radix_sort_onesweep_sort_config_static_selectorELNS0_4arch9wavefront6targetE1EEEvSG_.has_dyn_sized_stack, 0
	.set _ZN7rocprim17ROCPRIM_400000_NS6detail17trampoline_kernelINS0_14default_configENS1_35radix_sort_onesweep_config_selectorIflEEZZNS1_29radix_sort_onesweep_iterationIS3_Lb0EPfS7_N6thrust23THRUST_200600_302600_NS10device_ptrIlEESB_jNS0_19identity_decomposerENS1_16block_id_wrapperIjLb0EEEEE10hipError_tT1_PNSt15iterator_traitsISG_E10value_typeET2_T3_PNSH_ISM_E10value_typeET4_T5_PSR_SS_PNS1_23onesweep_lookback_stateEbbT6_jjT7_P12ihipStream_tbENKUlT_T0_SG_SL_E_clIS7_S7_SB_PlEEDaSZ_S10_SG_SL_EUlSZ_E_NS1_11comp_targetILNS1_3genE0ELNS1_11target_archE4294967295ELNS1_3gpuE0ELNS1_3repE0EEENS1_47radix_sort_onesweep_sort_config_static_selectorELNS0_4arch9wavefront6targetE1EEEvSG_.has_recursion, 0
	.set _ZN7rocprim17ROCPRIM_400000_NS6detail17trampoline_kernelINS0_14default_configENS1_35radix_sort_onesweep_config_selectorIflEEZZNS1_29radix_sort_onesweep_iterationIS3_Lb0EPfS7_N6thrust23THRUST_200600_302600_NS10device_ptrIlEESB_jNS0_19identity_decomposerENS1_16block_id_wrapperIjLb0EEEEE10hipError_tT1_PNSt15iterator_traitsISG_E10value_typeET2_T3_PNSH_ISM_E10value_typeET4_T5_PSR_SS_PNS1_23onesweep_lookback_stateEbbT6_jjT7_P12ihipStream_tbENKUlT_T0_SG_SL_E_clIS7_S7_SB_PlEEDaSZ_S10_SG_SL_EUlSZ_E_NS1_11comp_targetILNS1_3genE0ELNS1_11target_archE4294967295ELNS1_3gpuE0ELNS1_3repE0EEENS1_47radix_sort_onesweep_sort_config_static_selectorELNS0_4arch9wavefront6targetE1EEEvSG_.has_indirect_call, 0
	.section	.AMDGPU.csdata,"",@progbits
; Kernel info:
; codeLenInByte = 0
; TotalNumSgprs: 4
; NumVgprs: 0
; ScratchSize: 0
; MemoryBound: 0
; FloatMode: 240
; IeeeMode: 1
; LDSByteSize: 0 bytes/workgroup (compile time only)
; SGPRBlocks: 0
; VGPRBlocks: 0
; NumSGPRsForWavesPerEU: 4
; NumVGPRsForWavesPerEU: 1
; Occupancy: 10
; WaveLimiterHint : 0
; COMPUTE_PGM_RSRC2:SCRATCH_EN: 0
; COMPUTE_PGM_RSRC2:USER_SGPR: 6
; COMPUTE_PGM_RSRC2:TRAP_HANDLER: 0
; COMPUTE_PGM_RSRC2:TGID_X_EN: 1
; COMPUTE_PGM_RSRC2:TGID_Y_EN: 0
; COMPUTE_PGM_RSRC2:TGID_Z_EN: 0
; COMPUTE_PGM_RSRC2:TIDIG_COMP_CNT: 0
	.section	.text._ZN7rocprim17ROCPRIM_400000_NS6detail17trampoline_kernelINS0_14default_configENS1_35radix_sort_onesweep_config_selectorIflEEZZNS1_29radix_sort_onesweep_iterationIS3_Lb0EPfS7_N6thrust23THRUST_200600_302600_NS10device_ptrIlEESB_jNS0_19identity_decomposerENS1_16block_id_wrapperIjLb0EEEEE10hipError_tT1_PNSt15iterator_traitsISG_E10value_typeET2_T3_PNSH_ISM_E10value_typeET4_T5_PSR_SS_PNS1_23onesweep_lookback_stateEbbT6_jjT7_P12ihipStream_tbENKUlT_T0_SG_SL_E_clIS7_S7_SB_PlEEDaSZ_S10_SG_SL_EUlSZ_E_NS1_11comp_targetILNS1_3genE6ELNS1_11target_archE950ELNS1_3gpuE13ELNS1_3repE0EEENS1_47radix_sort_onesweep_sort_config_static_selectorELNS0_4arch9wavefront6targetE1EEEvSG_,"axG",@progbits,_ZN7rocprim17ROCPRIM_400000_NS6detail17trampoline_kernelINS0_14default_configENS1_35radix_sort_onesweep_config_selectorIflEEZZNS1_29radix_sort_onesweep_iterationIS3_Lb0EPfS7_N6thrust23THRUST_200600_302600_NS10device_ptrIlEESB_jNS0_19identity_decomposerENS1_16block_id_wrapperIjLb0EEEEE10hipError_tT1_PNSt15iterator_traitsISG_E10value_typeET2_T3_PNSH_ISM_E10value_typeET4_T5_PSR_SS_PNS1_23onesweep_lookback_stateEbbT6_jjT7_P12ihipStream_tbENKUlT_T0_SG_SL_E_clIS7_S7_SB_PlEEDaSZ_S10_SG_SL_EUlSZ_E_NS1_11comp_targetILNS1_3genE6ELNS1_11target_archE950ELNS1_3gpuE13ELNS1_3repE0EEENS1_47radix_sort_onesweep_sort_config_static_selectorELNS0_4arch9wavefront6targetE1EEEvSG_,comdat
	.protected	_ZN7rocprim17ROCPRIM_400000_NS6detail17trampoline_kernelINS0_14default_configENS1_35radix_sort_onesweep_config_selectorIflEEZZNS1_29radix_sort_onesweep_iterationIS3_Lb0EPfS7_N6thrust23THRUST_200600_302600_NS10device_ptrIlEESB_jNS0_19identity_decomposerENS1_16block_id_wrapperIjLb0EEEEE10hipError_tT1_PNSt15iterator_traitsISG_E10value_typeET2_T3_PNSH_ISM_E10value_typeET4_T5_PSR_SS_PNS1_23onesweep_lookback_stateEbbT6_jjT7_P12ihipStream_tbENKUlT_T0_SG_SL_E_clIS7_S7_SB_PlEEDaSZ_S10_SG_SL_EUlSZ_E_NS1_11comp_targetILNS1_3genE6ELNS1_11target_archE950ELNS1_3gpuE13ELNS1_3repE0EEENS1_47radix_sort_onesweep_sort_config_static_selectorELNS0_4arch9wavefront6targetE1EEEvSG_ ; -- Begin function _ZN7rocprim17ROCPRIM_400000_NS6detail17trampoline_kernelINS0_14default_configENS1_35radix_sort_onesweep_config_selectorIflEEZZNS1_29radix_sort_onesweep_iterationIS3_Lb0EPfS7_N6thrust23THRUST_200600_302600_NS10device_ptrIlEESB_jNS0_19identity_decomposerENS1_16block_id_wrapperIjLb0EEEEE10hipError_tT1_PNSt15iterator_traitsISG_E10value_typeET2_T3_PNSH_ISM_E10value_typeET4_T5_PSR_SS_PNS1_23onesweep_lookback_stateEbbT6_jjT7_P12ihipStream_tbENKUlT_T0_SG_SL_E_clIS7_S7_SB_PlEEDaSZ_S10_SG_SL_EUlSZ_E_NS1_11comp_targetILNS1_3genE6ELNS1_11target_archE950ELNS1_3gpuE13ELNS1_3repE0EEENS1_47radix_sort_onesweep_sort_config_static_selectorELNS0_4arch9wavefront6targetE1EEEvSG_
	.globl	_ZN7rocprim17ROCPRIM_400000_NS6detail17trampoline_kernelINS0_14default_configENS1_35radix_sort_onesweep_config_selectorIflEEZZNS1_29radix_sort_onesweep_iterationIS3_Lb0EPfS7_N6thrust23THRUST_200600_302600_NS10device_ptrIlEESB_jNS0_19identity_decomposerENS1_16block_id_wrapperIjLb0EEEEE10hipError_tT1_PNSt15iterator_traitsISG_E10value_typeET2_T3_PNSH_ISM_E10value_typeET4_T5_PSR_SS_PNS1_23onesweep_lookback_stateEbbT6_jjT7_P12ihipStream_tbENKUlT_T0_SG_SL_E_clIS7_S7_SB_PlEEDaSZ_S10_SG_SL_EUlSZ_E_NS1_11comp_targetILNS1_3genE6ELNS1_11target_archE950ELNS1_3gpuE13ELNS1_3repE0EEENS1_47radix_sort_onesweep_sort_config_static_selectorELNS0_4arch9wavefront6targetE1EEEvSG_
	.p2align	8
	.type	_ZN7rocprim17ROCPRIM_400000_NS6detail17trampoline_kernelINS0_14default_configENS1_35radix_sort_onesweep_config_selectorIflEEZZNS1_29radix_sort_onesweep_iterationIS3_Lb0EPfS7_N6thrust23THRUST_200600_302600_NS10device_ptrIlEESB_jNS0_19identity_decomposerENS1_16block_id_wrapperIjLb0EEEEE10hipError_tT1_PNSt15iterator_traitsISG_E10value_typeET2_T3_PNSH_ISM_E10value_typeET4_T5_PSR_SS_PNS1_23onesweep_lookback_stateEbbT6_jjT7_P12ihipStream_tbENKUlT_T0_SG_SL_E_clIS7_S7_SB_PlEEDaSZ_S10_SG_SL_EUlSZ_E_NS1_11comp_targetILNS1_3genE6ELNS1_11target_archE950ELNS1_3gpuE13ELNS1_3repE0EEENS1_47radix_sort_onesweep_sort_config_static_selectorELNS0_4arch9wavefront6targetE1EEEvSG_,@function
_ZN7rocprim17ROCPRIM_400000_NS6detail17trampoline_kernelINS0_14default_configENS1_35radix_sort_onesweep_config_selectorIflEEZZNS1_29radix_sort_onesweep_iterationIS3_Lb0EPfS7_N6thrust23THRUST_200600_302600_NS10device_ptrIlEESB_jNS0_19identity_decomposerENS1_16block_id_wrapperIjLb0EEEEE10hipError_tT1_PNSt15iterator_traitsISG_E10value_typeET2_T3_PNSH_ISM_E10value_typeET4_T5_PSR_SS_PNS1_23onesweep_lookback_stateEbbT6_jjT7_P12ihipStream_tbENKUlT_T0_SG_SL_E_clIS7_S7_SB_PlEEDaSZ_S10_SG_SL_EUlSZ_E_NS1_11comp_targetILNS1_3genE6ELNS1_11target_archE950ELNS1_3gpuE13ELNS1_3repE0EEENS1_47radix_sort_onesweep_sort_config_static_selectorELNS0_4arch9wavefront6targetE1EEEvSG_: ; @_ZN7rocprim17ROCPRIM_400000_NS6detail17trampoline_kernelINS0_14default_configENS1_35radix_sort_onesweep_config_selectorIflEEZZNS1_29radix_sort_onesweep_iterationIS3_Lb0EPfS7_N6thrust23THRUST_200600_302600_NS10device_ptrIlEESB_jNS0_19identity_decomposerENS1_16block_id_wrapperIjLb0EEEEE10hipError_tT1_PNSt15iterator_traitsISG_E10value_typeET2_T3_PNSH_ISM_E10value_typeET4_T5_PSR_SS_PNS1_23onesweep_lookback_stateEbbT6_jjT7_P12ihipStream_tbENKUlT_T0_SG_SL_E_clIS7_S7_SB_PlEEDaSZ_S10_SG_SL_EUlSZ_E_NS1_11comp_targetILNS1_3genE6ELNS1_11target_archE950ELNS1_3gpuE13ELNS1_3repE0EEENS1_47radix_sort_onesweep_sort_config_static_selectorELNS0_4arch9wavefront6targetE1EEEvSG_
; %bb.0:
	.section	.rodata,"a",@progbits
	.p2align	6, 0x0
	.amdhsa_kernel _ZN7rocprim17ROCPRIM_400000_NS6detail17trampoline_kernelINS0_14default_configENS1_35radix_sort_onesweep_config_selectorIflEEZZNS1_29radix_sort_onesweep_iterationIS3_Lb0EPfS7_N6thrust23THRUST_200600_302600_NS10device_ptrIlEESB_jNS0_19identity_decomposerENS1_16block_id_wrapperIjLb0EEEEE10hipError_tT1_PNSt15iterator_traitsISG_E10value_typeET2_T3_PNSH_ISM_E10value_typeET4_T5_PSR_SS_PNS1_23onesweep_lookback_stateEbbT6_jjT7_P12ihipStream_tbENKUlT_T0_SG_SL_E_clIS7_S7_SB_PlEEDaSZ_S10_SG_SL_EUlSZ_E_NS1_11comp_targetILNS1_3genE6ELNS1_11target_archE950ELNS1_3gpuE13ELNS1_3repE0EEENS1_47radix_sort_onesweep_sort_config_static_selectorELNS0_4arch9wavefront6targetE1EEEvSG_
		.amdhsa_group_segment_fixed_size 0
		.amdhsa_private_segment_fixed_size 0
		.amdhsa_kernarg_size 88
		.amdhsa_user_sgpr_count 6
		.amdhsa_user_sgpr_private_segment_buffer 1
		.amdhsa_user_sgpr_dispatch_ptr 0
		.amdhsa_user_sgpr_queue_ptr 0
		.amdhsa_user_sgpr_kernarg_segment_ptr 1
		.amdhsa_user_sgpr_dispatch_id 0
		.amdhsa_user_sgpr_flat_scratch_init 0
		.amdhsa_user_sgpr_private_segment_size 0
		.amdhsa_uses_dynamic_stack 0
		.amdhsa_system_sgpr_private_segment_wavefront_offset 0
		.amdhsa_system_sgpr_workgroup_id_x 1
		.amdhsa_system_sgpr_workgroup_id_y 0
		.amdhsa_system_sgpr_workgroup_id_z 0
		.amdhsa_system_sgpr_workgroup_info 0
		.amdhsa_system_vgpr_workitem_id 0
		.amdhsa_next_free_vgpr 1
		.amdhsa_next_free_sgpr 0
		.amdhsa_reserve_vcc 0
		.amdhsa_reserve_flat_scratch 0
		.amdhsa_float_round_mode_32 0
		.amdhsa_float_round_mode_16_64 0
		.amdhsa_float_denorm_mode_32 3
		.amdhsa_float_denorm_mode_16_64 3
		.amdhsa_dx10_clamp 1
		.amdhsa_ieee_mode 1
		.amdhsa_fp16_overflow 0
		.amdhsa_exception_fp_ieee_invalid_op 0
		.amdhsa_exception_fp_denorm_src 0
		.amdhsa_exception_fp_ieee_div_zero 0
		.amdhsa_exception_fp_ieee_overflow 0
		.amdhsa_exception_fp_ieee_underflow 0
		.amdhsa_exception_fp_ieee_inexact 0
		.amdhsa_exception_int_div_zero 0
	.end_amdhsa_kernel
	.section	.text._ZN7rocprim17ROCPRIM_400000_NS6detail17trampoline_kernelINS0_14default_configENS1_35radix_sort_onesweep_config_selectorIflEEZZNS1_29radix_sort_onesweep_iterationIS3_Lb0EPfS7_N6thrust23THRUST_200600_302600_NS10device_ptrIlEESB_jNS0_19identity_decomposerENS1_16block_id_wrapperIjLb0EEEEE10hipError_tT1_PNSt15iterator_traitsISG_E10value_typeET2_T3_PNSH_ISM_E10value_typeET4_T5_PSR_SS_PNS1_23onesweep_lookback_stateEbbT6_jjT7_P12ihipStream_tbENKUlT_T0_SG_SL_E_clIS7_S7_SB_PlEEDaSZ_S10_SG_SL_EUlSZ_E_NS1_11comp_targetILNS1_3genE6ELNS1_11target_archE950ELNS1_3gpuE13ELNS1_3repE0EEENS1_47radix_sort_onesweep_sort_config_static_selectorELNS0_4arch9wavefront6targetE1EEEvSG_,"axG",@progbits,_ZN7rocprim17ROCPRIM_400000_NS6detail17trampoline_kernelINS0_14default_configENS1_35radix_sort_onesweep_config_selectorIflEEZZNS1_29radix_sort_onesweep_iterationIS3_Lb0EPfS7_N6thrust23THRUST_200600_302600_NS10device_ptrIlEESB_jNS0_19identity_decomposerENS1_16block_id_wrapperIjLb0EEEEE10hipError_tT1_PNSt15iterator_traitsISG_E10value_typeET2_T3_PNSH_ISM_E10value_typeET4_T5_PSR_SS_PNS1_23onesweep_lookback_stateEbbT6_jjT7_P12ihipStream_tbENKUlT_T0_SG_SL_E_clIS7_S7_SB_PlEEDaSZ_S10_SG_SL_EUlSZ_E_NS1_11comp_targetILNS1_3genE6ELNS1_11target_archE950ELNS1_3gpuE13ELNS1_3repE0EEENS1_47radix_sort_onesweep_sort_config_static_selectorELNS0_4arch9wavefront6targetE1EEEvSG_,comdat
.Lfunc_end1871:
	.size	_ZN7rocprim17ROCPRIM_400000_NS6detail17trampoline_kernelINS0_14default_configENS1_35radix_sort_onesweep_config_selectorIflEEZZNS1_29radix_sort_onesweep_iterationIS3_Lb0EPfS7_N6thrust23THRUST_200600_302600_NS10device_ptrIlEESB_jNS0_19identity_decomposerENS1_16block_id_wrapperIjLb0EEEEE10hipError_tT1_PNSt15iterator_traitsISG_E10value_typeET2_T3_PNSH_ISM_E10value_typeET4_T5_PSR_SS_PNS1_23onesweep_lookback_stateEbbT6_jjT7_P12ihipStream_tbENKUlT_T0_SG_SL_E_clIS7_S7_SB_PlEEDaSZ_S10_SG_SL_EUlSZ_E_NS1_11comp_targetILNS1_3genE6ELNS1_11target_archE950ELNS1_3gpuE13ELNS1_3repE0EEENS1_47radix_sort_onesweep_sort_config_static_selectorELNS0_4arch9wavefront6targetE1EEEvSG_, .Lfunc_end1871-_ZN7rocprim17ROCPRIM_400000_NS6detail17trampoline_kernelINS0_14default_configENS1_35radix_sort_onesweep_config_selectorIflEEZZNS1_29radix_sort_onesweep_iterationIS3_Lb0EPfS7_N6thrust23THRUST_200600_302600_NS10device_ptrIlEESB_jNS0_19identity_decomposerENS1_16block_id_wrapperIjLb0EEEEE10hipError_tT1_PNSt15iterator_traitsISG_E10value_typeET2_T3_PNSH_ISM_E10value_typeET4_T5_PSR_SS_PNS1_23onesweep_lookback_stateEbbT6_jjT7_P12ihipStream_tbENKUlT_T0_SG_SL_E_clIS7_S7_SB_PlEEDaSZ_S10_SG_SL_EUlSZ_E_NS1_11comp_targetILNS1_3genE6ELNS1_11target_archE950ELNS1_3gpuE13ELNS1_3repE0EEENS1_47radix_sort_onesweep_sort_config_static_selectorELNS0_4arch9wavefront6targetE1EEEvSG_
                                        ; -- End function
	.set _ZN7rocprim17ROCPRIM_400000_NS6detail17trampoline_kernelINS0_14default_configENS1_35radix_sort_onesweep_config_selectorIflEEZZNS1_29radix_sort_onesweep_iterationIS3_Lb0EPfS7_N6thrust23THRUST_200600_302600_NS10device_ptrIlEESB_jNS0_19identity_decomposerENS1_16block_id_wrapperIjLb0EEEEE10hipError_tT1_PNSt15iterator_traitsISG_E10value_typeET2_T3_PNSH_ISM_E10value_typeET4_T5_PSR_SS_PNS1_23onesweep_lookback_stateEbbT6_jjT7_P12ihipStream_tbENKUlT_T0_SG_SL_E_clIS7_S7_SB_PlEEDaSZ_S10_SG_SL_EUlSZ_E_NS1_11comp_targetILNS1_3genE6ELNS1_11target_archE950ELNS1_3gpuE13ELNS1_3repE0EEENS1_47radix_sort_onesweep_sort_config_static_selectorELNS0_4arch9wavefront6targetE1EEEvSG_.num_vgpr, 0
	.set _ZN7rocprim17ROCPRIM_400000_NS6detail17trampoline_kernelINS0_14default_configENS1_35radix_sort_onesweep_config_selectorIflEEZZNS1_29radix_sort_onesweep_iterationIS3_Lb0EPfS7_N6thrust23THRUST_200600_302600_NS10device_ptrIlEESB_jNS0_19identity_decomposerENS1_16block_id_wrapperIjLb0EEEEE10hipError_tT1_PNSt15iterator_traitsISG_E10value_typeET2_T3_PNSH_ISM_E10value_typeET4_T5_PSR_SS_PNS1_23onesweep_lookback_stateEbbT6_jjT7_P12ihipStream_tbENKUlT_T0_SG_SL_E_clIS7_S7_SB_PlEEDaSZ_S10_SG_SL_EUlSZ_E_NS1_11comp_targetILNS1_3genE6ELNS1_11target_archE950ELNS1_3gpuE13ELNS1_3repE0EEENS1_47radix_sort_onesweep_sort_config_static_selectorELNS0_4arch9wavefront6targetE1EEEvSG_.num_agpr, 0
	.set _ZN7rocprim17ROCPRIM_400000_NS6detail17trampoline_kernelINS0_14default_configENS1_35radix_sort_onesweep_config_selectorIflEEZZNS1_29radix_sort_onesweep_iterationIS3_Lb0EPfS7_N6thrust23THRUST_200600_302600_NS10device_ptrIlEESB_jNS0_19identity_decomposerENS1_16block_id_wrapperIjLb0EEEEE10hipError_tT1_PNSt15iterator_traitsISG_E10value_typeET2_T3_PNSH_ISM_E10value_typeET4_T5_PSR_SS_PNS1_23onesweep_lookback_stateEbbT6_jjT7_P12ihipStream_tbENKUlT_T0_SG_SL_E_clIS7_S7_SB_PlEEDaSZ_S10_SG_SL_EUlSZ_E_NS1_11comp_targetILNS1_3genE6ELNS1_11target_archE950ELNS1_3gpuE13ELNS1_3repE0EEENS1_47radix_sort_onesweep_sort_config_static_selectorELNS0_4arch9wavefront6targetE1EEEvSG_.numbered_sgpr, 0
	.set _ZN7rocprim17ROCPRIM_400000_NS6detail17trampoline_kernelINS0_14default_configENS1_35radix_sort_onesweep_config_selectorIflEEZZNS1_29radix_sort_onesweep_iterationIS3_Lb0EPfS7_N6thrust23THRUST_200600_302600_NS10device_ptrIlEESB_jNS0_19identity_decomposerENS1_16block_id_wrapperIjLb0EEEEE10hipError_tT1_PNSt15iterator_traitsISG_E10value_typeET2_T3_PNSH_ISM_E10value_typeET4_T5_PSR_SS_PNS1_23onesweep_lookback_stateEbbT6_jjT7_P12ihipStream_tbENKUlT_T0_SG_SL_E_clIS7_S7_SB_PlEEDaSZ_S10_SG_SL_EUlSZ_E_NS1_11comp_targetILNS1_3genE6ELNS1_11target_archE950ELNS1_3gpuE13ELNS1_3repE0EEENS1_47radix_sort_onesweep_sort_config_static_selectorELNS0_4arch9wavefront6targetE1EEEvSG_.num_named_barrier, 0
	.set _ZN7rocprim17ROCPRIM_400000_NS6detail17trampoline_kernelINS0_14default_configENS1_35radix_sort_onesweep_config_selectorIflEEZZNS1_29radix_sort_onesweep_iterationIS3_Lb0EPfS7_N6thrust23THRUST_200600_302600_NS10device_ptrIlEESB_jNS0_19identity_decomposerENS1_16block_id_wrapperIjLb0EEEEE10hipError_tT1_PNSt15iterator_traitsISG_E10value_typeET2_T3_PNSH_ISM_E10value_typeET4_T5_PSR_SS_PNS1_23onesweep_lookback_stateEbbT6_jjT7_P12ihipStream_tbENKUlT_T0_SG_SL_E_clIS7_S7_SB_PlEEDaSZ_S10_SG_SL_EUlSZ_E_NS1_11comp_targetILNS1_3genE6ELNS1_11target_archE950ELNS1_3gpuE13ELNS1_3repE0EEENS1_47radix_sort_onesweep_sort_config_static_selectorELNS0_4arch9wavefront6targetE1EEEvSG_.private_seg_size, 0
	.set _ZN7rocprim17ROCPRIM_400000_NS6detail17trampoline_kernelINS0_14default_configENS1_35radix_sort_onesweep_config_selectorIflEEZZNS1_29radix_sort_onesweep_iterationIS3_Lb0EPfS7_N6thrust23THRUST_200600_302600_NS10device_ptrIlEESB_jNS0_19identity_decomposerENS1_16block_id_wrapperIjLb0EEEEE10hipError_tT1_PNSt15iterator_traitsISG_E10value_typeET2_T3_PNSH_ISM_E10value_typeET4_T5_PSR_SS_PNS1_23onesweep_lookback_stateEbbT6_jjT7_P12ihipStream_tbENKUlT_T0_SG_SL_E_clIS7_S7_SB_PlEEDaSZ_S10_SG_SL_EUlSZ_E_NS1_11comp_targetILNS1_3genE6ELNS1_11target_archE950ELNS1_3gpuE13ELNS1_3repE0EEENS1_47radix_sort_onesweep_sort_config_static_selectorELNS0_4arch9wavefront6targetE1EEEvSG_.uses_vcc, 0
	.set _ZN7rocprim17ROCPRIM_400000_NS6detail17trampoline_kernelINS0_14default_configENS1_35radix_sort_onesweep_config_selectorIflEEZZNS1_29radix_sort_onesweep_iterationIS3_Lb0EPfS7_N6thrust23THRUST_200600_302600_NS10device_ptrIlEESB_jNS0_19identity_decomposerENS1_16block_id_wrapperIjLb0EEEEE10hipError_tT1_PNSt15iterator_traitsISG_E10value_typeET2_T3_PNSH_ISM_E10value_typeET4_T5_PSR_SS_PNS1_23onesweep_lookback_stateEbbT6_jjT7_P12ihipStream_tbENKUlT_T0_SG_SL_E_clIS7_S7_SB_PlEEDaSZ_S10_SG_SL_EUlSZ_E_NS1_11comp_targetILNS1_3genE6ELNS1_11target_archE950ELNS1_3gpuE13ELNS1_3repE0EEENS1_47radix_sort_onesweep_sort_config_static_selectorELNS0_4arch9wavefront6targetE1EEEvSG_.uses_flat_scratch, 0
	.set _ZN7rocprim17ROCPRIM_400000_NS6detail17trampoline_kernelINS0_14default_configENS1_35radix_sort_onesweep_config_selectorIflEEZZNS1_29radix_sort_onesweep_iterationIS3_Lb0EPfS7_N6thrust23THRUST_200600_302600_NS10device_ptrIlEESB_jNS0_19identity_decomposerENS1_16block_id_wrapperIjLb0EEEEE10hipError_tT1_PNSt15iterator_traitsISG_E10value_typeET2_T3_PNSH_ISM_E10value_typeET4_T5_PSR_SS_PNS1_23onesweep_lookback_stateEbbT6_jjT7_P12ihipStream_tbENKUlT_T0_SG_SL_E_clIS7_S7_SB_PlEEDaSZ_S10_SG_SL_EUlSZ_E_NS1_11comp_targetILNS1_3genE6ELNS1_11target_archE950ELNS1_3gpuE13ELNS1_3repE0EEENS1_47radix_sort_onesweep_sort_config_static_selectorELNS0_4arch9wavefront6targetE1EEEvSG_.has_dyn_sized_stack, 0
	.set _ZN7rocprim17ROCPRIM_400000_NS6detail17trampoline_kernelINS0_14default_configENS1_35radix_sort_onesweep_config_selectorIflEEZZNS1_29radix_sort_onesweep_iterationIS3_Lb0EPfS7_N6thrust23THRUST_200600_302600_NS10device_ptrIlEESB_jNS0_19identity_decomposerENS1_16block_id_wrapperIjLb0EEEEE10hipError_tT1_PNSt15iterator_traitsISG_E10value_typeET2_T3_PNSH_ISM_E10value_typeET4_T5_PSR_SS_PNS1_23onesweep_lookback_stateEbbT6_jjT7_P12ihipStream_tbENKUlT_T0_SG_SL_E_clIS7_S7_SB_PlEEDaSZ_S10_SG_SL_EUlSZ_E_NS1_11comp_targetILNS1_3genE6ELNS1_11target_archE950ELNS1_3gpuE13ELNS1_3repE0EEENS1_47radix_sort_onesweep_sort_config_static_selectorELNS0_4arch9wavefront6targetE1EEEvSG_.has_recursion, 0
	.set _ZN7rocprim17ROCPRIM_400000_NS6detail17trampoline_kernelINS0_14default_configENS1_35radix_sort_onesweep_config_selectorIflEEZZNS1_29radix_sort_onesweep_iterationIS3_Lb0EPfS7_N6thrust23THRUST_200600_302600_NS10device_ptrIlEESB_jNS0_19identity_decomposerENS1_16block_id_wrapperIjLb0EEEEE10hipError_tT1_PNSt15iterator_traitsISG_E10value_typeET2_T3_PNSH_ISM_E10value_typeET4_T5_PSR_SS_PNS1_23onesweep_lookback_stateEbbT6_jjT7_P12ihipStream_tbENKUlT_T0_SG_SL_E_clIS7_S7_SB_PlEEDaSZ_S10_SG_SL_EUlSZ_E_NS1_11comp_targetILNS1_3genE6ELNS1_11target_archE950ELNS1_3gpuE13ELNS1_3repE0EEENS1_47radix_sort_onesweep_sort_config_static_selectorELNS0_4arch9wavefront6targetE1EEEvSG_.has_indirect_call, 0
	.section	.AMDGPU.csdata,"",@progbits
; Kernel info:
; codeLenInByte = 0
; TotalNumSgprs: 4
; NumVgprs: 0
; ScratchSize: 0
; MemoryBound: 0
; FloatMode: 240
; IeeeMode: 1
; LDSByteSize: 0 bytes/workgroup (compile time only)
; SGPRBlocks: 0
; VGPRBlocks: 0
; NumSGPRsForWavesPerEU: 4
; NumVGPRsForWavesPerEU: 1
; Occupancy: 10
; WaveLimiterHint : 0
; COMPUTE_PGM_RSRC2:SCRATCH_EN: 0
; COMPUTE_PGM_RSRC2:USER_SGPR: 6
; COMPUTE_PGM_RSRC2:TRAP_HANDLER: 0
; COMPUTE_PGM_RSRC2:TGID_X_EN: 1
; COMPUTE_PGM_RSRC2:TGID_Y_EN: 0
; COMPUTE_PGM_RSRC2:TGID_Z_EN: 0
; COMPUTE_PGM_RSRC2:TIDIG_COMP_CNT: 0
	.section	.text._ZN7rocprim17ROCPRIM_400000_NS6detail17trampoline_kernelINS0_14default_configENS1_35radix_sort_onesweep_config_selectorIflEEZZNS1_29radix_sort_onesweep_iterationIS3_Lb0EPfS7_N6thrust23THRUST_200600_302600_NS10device_ptrIlEESB_jNS0_19identity_decomposerENS1_16block_id_wrapperIjLb0EEEEE10hipError_tT1_PNSt15iterator_traitsISG_E10value_typeET2_T3_PNSH_ISM_E10value_typeET4_T5_PSR_SS_PNS1_23onesweep_lookback_stateEbbT6_jjT7_P12ihipStream_tbENKUlT_T0_SG_SL_E_clIS7_S7_SB_PlEEDaSZ_S10_SG_SL_EUlSZ_E_NS1_11comp_targetILNS1_3genE5ELNS1_11target_archE942ELNS1_3gpuE9ELNS1_3repE0EEENS1_47radix_sort_onesweep_sort_config_static_selectorELNS0_4arch9wavefront6targetE1EEEvSG_,"axG",@progbits,_ZN7rocprim17ROCPRIM_400000_NS6detail17trampoline_kernelINS0_14default_configENS1_35radix_sort_onesweep_config_selectorIflEEZZNS1_29radix_sort_onesweep_iterationIS3_Lb0EPfS7_N6thrust23THRUST_200600_302600_NS10device_ptrIlEESB_jNS0_19identity_decomposerENS1_16block_id_wrapperIjLb0EEEEE10hipError_tT1_PNSt15iterator_traitsISG_E10value_typeET2_T3_PNSH_ISM_E10value_typeET4_T5_PSR_SS_PNS1_23onesweep_lookback_stateEbbT6_jjT7_P12ihipStream_tbENKUlT_T0_SG_SL_E_clIS7_S7_SB_PlEEDaSZ_S10_SG_SL_EUlSZ_E_NS1_11comp_targetILNS1_3genE5ELNS1_11target_archE942ELNS1_3gpuE9ELNS1_3repE0EEENS1_47radix_sort_onesweep_sort_config_static_selectorELNS0_4arch9wavefront6targetE1EEEvSG_,comdat
	.protected	_ZN7rocprim17ROCPRIM_400000_NS6detail17trampoline_kernelINS0_14default_configENS1_35radix_sort_onesweep_config_selectorIflEEZZNS1_29radix_sort_onesweep_iterationIS3_Lb0EPfS7_N6thrust23THRUST_200600_302600_NS10device_ptrIlEESB_jNS0_19identity_decomposerENS1_16block_id_wrapperIjLb0EEEEE10hipError_tT1_PNSt15iterator_traitsISG_E10value_typeET2_T3_PNSH_ISM_E10value_typeET4_T5_PSR_SS_PNS1_23onesweep_lookback_stateEbbT6_jjT7_P12ihipStream_tbENKUlT_T0_SG_SL_E_clIS7_S7_SB_PlEEDaSZ_S10_SG_SL_EUlSZ_E_NS1_11comp_targetILNS1_3genE5ELNS1_11target_archE942ELNS1_3gpuE9ELNS1_3repE0EEENS1_47radix_sort_onesweep_sort_config_static_selectorELNS0_4arch9wavefront6targetE1EEEvSG_ ; -- Begin function _ZN7rocprim17ROCPRIM_400000_NS6detail17trampoline_kernelINS0_14default_configENS1_35radix_sort_onesweep_config_selectorIflEEZZNS1_29radix_sort_onesweep_iterationIS3_Lb0EPfS7_N6thrust23THRUST_200600_302600_NS10device_ptrIlEESB_jNS0_19identity_decomposerENS1_16block_id_wrapperIjLb0EEEEE10hipError_tT1_PNSt15iterator_traitsISG_E10value_typeET2_T3_PNSH_ISM_E10value_typeET4_T5_PSR_SS_PNS1_23onesweep_lookback_stateEbbT6_jjT7_P12ihipStream_tbENKUlT_T0_SG_SL_E_clIS7_S7_SB_PlEEDaSZ_S10_SG_SL_EUlSZ_E_NS1_11comp_targetILNS1_3genE5ELNS1_11target_archE942ELNS1_3gpuE9ELNS1_3repE0EEENS1_47radix_sort_onesweep_sort_config_static_selectorELNS0_4arch9wavefront6targetE1EEEvSG_
	.globl	_ZN7rocprim17ROCPRIM_400000_NS6detail17trampoline_kernelINS0_14default_configENS1_35radix_sort_onesweep_config_selectorIflEEZZNS1_29radix_sort_onesweep_iterationIS3_Lb0EPfS7_N6thrust23THRUST_200600_302600_NS10device_ptrIlEESB_jNS0_19identity_decomposerENS1_16block_id_wrapperIjLb0EEEEE10hipError_tT1_PNSt15iterator_traitsISG_E10value_typeET2_T3_PNSH_ISM_E10value_typeET4_T5_PSR_SS_PNS1_23onesweep_lookback_stateEbbT6_jjT7_P12ihipStream_tbENKUlT_T0_SG_SL_E_clIS7_S7_SB_PlEEDaSZ_S10_SG_SL_EUlSZ_E_NS1_11comp_targetILNS1_3genE5ELNS1_11target_archE942ELNS1_3gpuE9ELNS1_3repE0EEENS1_47radix_sort_onesweep_sort_config_static_selectorELNS0_4arch9wavefront6targetE1EEEvSG_
	.p2align	8
	.type	_ZN7rocprim17ROCPRIM_400000_NS6detail17trampoline_kernelINS0_14default_configENS1_35radix_sort_onesweep_config_selectorIflEEZZNS1_29radix_sort_onesweep_iterationIS3_Lb0EPfS7_N6thrust23THRUST_200600_302600_NS10device_ptrIlEESB_jNS0_19identity_decomposerENS1_16block_id_wrapperIjLb0EEEEE10hipError_tT1_PNSt15iterator_traitsISG_E10value_typeET2_T3_PNSH_ISM_E10value_typeET4_T5_PSR_SS_PNS1_23onesweep_lookback_stateEbbT6_jjT7_P12ihipStream_tbENKUlT_T0_SG_SL_E_clIS7_S7_SB_PlEEDaSZ_S10_SG_SL_EUlSZ_E_NS1_11comp_targetILNS1_3genE5ELNS1_11target_archE942ELNS1_3gpuE9ELNS1_3repE0EEENS1_47radix_sort_onesweep_sort_config_static_selectorELNS0_4arch9wavefront6targetE1EEEvSG_,@function
_ZN7rocprim17ROCPRIM_400000_NS6detail17trampoline_kernelINS0_14default_configENS1_35radix_sort_onesweep_config_selectorIflEEZZNS1_29radix_sort_onesweep_iterationIS3_Lb0EPfS7_N6thrust23THRUST_200600_302600_NS10device_ptrIlEESB_jNS0_19identity_decomposerENS1_16block_id_wrapperIjLb0EEEEE10hipError_tT1_PNSt15iterator_traitsISG_E10value_typeET2_T3_PNSH_ISM_E10value_typeET4_T5_PSR_SS_PNS1_23onesweep_lookback_stateEbbT6_jjT7_P12ihipStream_tbENKUlT_T0_SG_SL_E_clIS7_S7_SB_PlEEDaSZ_S10_SG_SL_EUlSZ_E_NS1_11comp_targetILNS1_3genE5ELNS1_11target_archE942ELNS1_3gpuE9ELNS1_3repE0EEENS1_47radix_sort_onesweep_sort_config_static_selectorELNS0_4arch9wavefront6targetE1EEEvSG_: ; @_ZN7rocprim17ROCPRIM_400000_NS6detail17trampoline_kernelINS0_14default_configENS1_35radix_sort_onesweep_config_selectorIflEEZZNS1_29radix_sort_onesweep_iterationIS3_Lb0EPfS7_N6thrust23THRUST_200600_302600_NS10device_ptrIlEESB_jNS0_19identity_decomposerENS1_16block_id_wrapperIjLb0EEEEE10hipError_tT1_PNSt15iterator_traitsISG_E10value_typeET2_T3_PNSH_ISM_E10value_typeET4_T5_PSR_SS_PNS1_23onesweep_lookback_stateEbbT6_jjT7_P12ihipStream_tbENKUlT_T0_SG_SL_E_clIS7_S7_SB_PlEEDaSZ_S10_SG_SL_EUlSZ_E_NS1_11comp_targetILNS1_3genE5ELNS1_11target_archE942ELNS1_3gpuE9ELNS1_3repE0EEENS1_47radix_sort_onesweep_sort_config_static_selectorELNS0_4arch9wavefront6targetE1EEEvSG_
; %bb.0:
	.section	.rodata,"a",@progbits
	.p2align	6, 0x0
	.amdhsa_kernel _ZN7rocprim17ROCPRIM_400000_NS6detail17trampoline_kernelINS0_14default_configENS1_35radix_sort_onesweep_config_selectorIflEEZZNS1_29radix_sort_onesweep_iterationIS3_Lb0EPfS7_N6thrust23THRUST_200600_302600_NS10device_ptrIlEESB_jNS0_19identity_decomposerENS1_16block_id_wrapperIjLb0EEEEE10hipError_tT1_PNSt15iterator_traitsISG_E10value_typeET2_T3_PNSH_ISM_E10value_typeET4_T5_PSR_SS_PNS1_23onesweep_lookback_stateEbbT6_jjT7_P12ihipStream_tbENKUlT_T0_SG_SL_E_clIS7_S7_SB_PlEEDaSZ_S10_SG_SL_EUlSZ_E_NS1_11comp_targetILNS1_3genE5ELNS1_11target_archE942ELNS1_3gpuE9ELNS1_3repE0EEENS1_47radix_sort_onesweep_sort_config_static_selectorELNS0_4arch9wavefront6targetE1EEEvSG_
		.amdhsa_group_segment_fixed_size 0
		.amdhsa_private_segment_fixed_size 0
		.amdhsa_kernarg_size 88
		.amdhsa_user_sgpr_count 6
		.amdhsa_user_sgpr_private_segment_buffer 1
		.amdhsa_user_sgpr_dispatch_ptr 0
		.amdhsa_user_sgpr_queue_ptr 0
		.amdhsa_user_sgpr_kernarg_segment_ptr 1
		.amdhsa_user_sgpr_dispatch_id 0
		.amdhsa_user_sgpr_flat_scratch_init 0
		.amdhsa_user_sgpr_private_segment_size 0
		.amdhsa_uses_dynamic_stack 0
		.amdhsa_system_sgpr_private_segment_wavefront_offset 0
		.amdhsa_system_sgpr_workgroup_id_x 1
		.amdhsa_system_sgpr_workgroup_id_y 0
		.amdhsa_system_sgpr_workgroup_id_z 0
		.amdhsa_system_sgpr_workgroup_info 0
		.amdhsa_system_vgpr_workitem_id 0
		.amdhsa_next_free_vgpr 1
		.amdhsa_next_free_sgpr 0
		.amdhsa_reserve_vcc 0
		.amdhsa_reserve_flat_scratch 0
		.amdhsa_float_round_mode_32 0
		.amdhsa_float_round_mode_16_64 0
		.amdhsa_float_denorm_mode_32 3
		.amdhsa_float_denorm_mode_16_64 3
		.amdhsa_dx10_clamp 1
		.amdhsa_ieee_mode 1
		.amdhsa_fp16_overflow 0
		.amdhsa_exception_fp_ieee_invalid_op 0
		.amdhsa_exception_fp_denorm_src 0
		.amdhsa_exception_fp_ieee_div_zero 0
		.amdhsa_exception_fp_ieee_overflow 0
		.amdhsa_exception_fp_ieee_underflow 0
		.amdhsa_exception_fp_ieee_inexact 0
		.amdhsa_exception_int_div_zero 0
	.end_amdhsa_kernel
	.section	.text._ZN7rocprim17ROCPRIM_400000_NS6detail17trampoline_kernelINS0_14default_configENS1_35radix_sort_onesweep_config_selectorIflEEZZNS1_29radix_sort_onesweep_iterationIS3_Lb0EPfS7_N6thrust23THRUST_200600_302600_NS10device_ptrIlEESB_jNS0_19identity_decomposerENS1_16block_id_wrapperIjLb0EEEEE10hipError_tT1_PNSt15iterator_traitsISG_E10value_typeET2_T3_PNSH_ISM_E10value_typeET4_T5_PSR_SS_PNS1_23onesweep_lookback_stateEbbT6_jjT7_P12ihipStream_tbENKUlT_T0_SG_SL_E_clIS7_S7_SB_PlEEDaSZ_S10_SG_SL_EUlSZ_E_NS1_11comp_targetILNS1_3genE5ELNS1_11target_archE942ELNS1_3gpuE9ELNS1_3repE0EEENS1_47radix_sort_onesweep_sort_config_static_selectorELNS0_4arch9wavefront6targetE1EEEvSG_,"axG",@progbits,_ZN7rocprim17ROCPRIM_400000_NS6detail17trampoline_kernelINS0_14default_configENS1_35radix_sort_onesweep_config_selectorIflEEZZNS1_29radix_sort_onesweep_iterationIS3_Lb0EPfS7_N6thrust23THRUST_200600_302600_NS10device_ptrIlEESB_jNS0_19identity_decomposerENS1_16block_id_wrapperIjLb0EEEEE10hipError_tT1_PNSt15iterator_traitsISG_E10value_typeET2_T3_PNSH_ISM_E10value_typeET4_T5_PSR_SS_PNS1_23onesweep_lookback_stateEbbT6_jjT7_P12ihipStream_tbENKUlT_T0_SG_SL_E_clIS7_S7_SB_PlEEDaSZ_S10_SG_SL_EUlSZ_E_NS1_11comp_targetILNS1_3genE5ELNS1_11target_archE942ELNS1_3gpuE9ELNS1_3repE0EEENS1_47radix_sort_onesweep_sort_config_static_selectorELNS0_4arch9wavefront6targetE1EEEvSG_,comdat
.Lfunc_end1872:
	.size	_ZN7rocprim17ROCPRIM_400000_NS6detail17trampoline_kernelINS0_14default_configENS1_35radix_sort_onesweep_config_selectorIflEEZZNS1_29radix_sort_onesweep_iterationIS3_Lb0EPfS7_N6thrust23THRUST_200600_302600_NS10device_ptrIlEESB_jNS0_19identity_decomposerENS1_16block_id_wrapperIjLb0EEEEE10hipError_tT1_PNSt15iterator_traitsISG_E10value_typeET2_T3_PNSH_ISM_E10value_typeET4_T5_PSR_SS_PNS1_23onesweep_lookback_stateEbbT6_jjT7_P12ihipStream_tbENKUlT_T0_SG_SL_E_clIS7_S7_SB_PlEEDaSZ_S10_SG_SL_EUlSZ_E_NS1_11comp_targetILNS1_3genE5ELNS1_11target_archE942ELNS1_3gpuE9ELNS1_3repE0EEENS1_47radix_sort_onesweep_sort_config_static_selectorELNS0_4arch9wavefront6targetE1EEEvSG_, .Lfunc_end1872-_ZN7rocprim17ROCPRIM_400000_NS6detail17trampoline_kernelINS0_14default_configENS1_35radix_sort_onesweep_config_selectorIflEEZZNS1_29radix_sort_onesweep_iterationIS3_Lb0EPfS7_N6thrust23THRUST_200600_302600_NS10device_ptrIlEESB_jNS0_19identity_decomposerENS1_16block_id_wrapperIjLb0EEEEE10hipError_tT1_PNSt15iterator_traitsISG_E10value_typeET2_T3_PNSH_ISM_E10value_typeET4_T5_PSR_SS_PNS1_23onesweep_lookback_stateEbbT6_jjT7_P12ihipStream_tbENKUlT_T0_SG_SL_E_clIS7_S7_SB_PlEEDaSZ_S10_SG_SL_EUlSZ_E_NS1_11comp_targetILNS1_3genE5ELNS1_11target_archE942ELNS1_3gpuE9ELNS1_3repE0EEENS1_47radix_sort_onesweep_sort_config_static_selectorELNS0_4arch9wavefront6targetE1EEEvSG_
                                        ; -- End function
	.set _ZN7rocprim17ROCPRIM_400000_NS6detail17trampoline_kernelINS0_14default_configENS1_35radix_sort_onesweep_config_selectorIflEEZZNS1_29radix_sort_onesweep_iterationIS3_Lb0EPfS7_N6thrust23THRUST_200600_302600_NS10device_ptrIlEESB_jNS0_19identity_decomposerENS1_16block_id_wrapperIjLb0EEEEE10hipError_tT1_PNSt15iterator_traitsISG_E10value_typeET2_T3_PNSH_ISM_E10value_typeET4_T5_PSR_SS_PNS1_23onesweep_lookback_stateEbbT6_jjT7_P12ihipStream_tbENKUlT_T0_SG_SL_E_clIS7_S7_SB_PlEEDaSZ_S10_SG_SL_EUlSZ_E_NS1_11comp_targetILNS1_3genE5ELNS1_11target_archE942ELNS1_3gpuE9ELNS1_3repE0EEENS1_47radix_sort_onesweep_sort_config_static_selectorELNS0_4arch9wavefront6targetE1EEEvSG_.num_vgpr, 0
	.set _ZN7rocprim17ROCPRIM_400000_NS6detail17trampoline_kernelINS0_14default_configENS1_35radix_sort_onesweep_config_selectorIflEEZZNS1_29radix_sort_onesweep_iterationIS3_Lb0EPfS7_N6thrust23THRUST_200600_302600_NS10device_ptrIlEESB_jNS0_19identity_decomposerENS1_16block_id_wrapperIjLb0EEEEE10hipError_tT1_PNSt15iterator_traitsISG_E10value_typeET2_T3_PNSH_ISM_E10value_typeET4_T5_PSR_SS_PNS1_23onesweep_lookback_stateEbbT6_jjT7_P12ihipStream_tbENKUlT_T0_SG_SL_E_clIS7_S7_SB_PlEEDaSZ_S10_SG_SL_EUlSZ_E_NS1_11comp_targetILNS1_3genE5ELNS1_11target_archE942ELNS1_3gpuE9ELNS1_3repE0EEENS1_47radix_sort_onesweep_sort_config_static_selectorELNS0_4arch9wavefront6targetE1EEEvSG_.num_agpr, 0
	.set _ZN7rocprim17ROCPRIM_400000_NS6detail17trampoline_kernelINS0_14default_configENS1_35radix_sort_onesweep_config_selectorIflEEZZNS1_29radix_sort_onesweep_iterationIS3_Lb0EPfS7_N6thrust23THRUST_200600_302600_NS10device_ptrIlEESB_jNS0_19identity_decomposerENS1_16block_id_wrapperIjLb0EEEEE10hipError_tT1_PNSt15iterator_traitsISG_E10value_typeET2_T3_PNSH_ISM_E10value_typeET4_T5_PSR_SS_PNS1_23onesweep_lookback_stateEbbT6_jjT7_P12ihipStream_tbENKUlT_T0_SG_SL_E_clIS7_S7_SB_PlEEDaSZ_S10_SG_SL_EUlSZ_E_NS1_11comp_targetILNS1_3genE5ELNS1_11target_archE942ELNS1_3gpuE9ELNS1_3repE0EEENS1_47radix_sort_onesweep_sort_config_static_selectorELNS0_4arch9wavefront6targetE1EEEvSG_.numbered_sgpr, 0
	.set _ZN7rocprim17ROCPRIM_400000_NS6detail17trampoline_kernelINS0_14default_configENS1_35radix_sort_onesweep_config_selectorIflEEZZNS1_29radix_sort_onesweep_iterationIS3_Lb0EPfS7_N6thrust23THRUST_200600_302600_NS10device_ptrIlEESB_jNS0_19identity_decomposerENS1_16block_id_wrapperIjLb0EEEEE10hipError_tT1_PNSt15iterator_traitsISG_E10value_typeET2_T3_PNSH_ISM_E10value_typeET4_T5_PSR_SS_PNS1_23onesweep_lookback_stateEbbT6_jjT7_P12ihipStream_tbENKUlT_T0_SG_SL_E_clIS7_S7_SB_PlEEDaSZ_S10_SG_SL_EUlSZ_E_NS1_11comp_targetILNS1_3genE5ELNS1_11target_archE942ELNS1_3gpuE9ELNS1_3repE0EEENS1_47radix_sort_onesweep_sort_config_static_selectorELNS0_4arch9wavefront6targetE1EEEvSG_.num_named_barrier, 0
	.set _ZN7rocprim17ROCPRIM_400000_NS6detail17trampoline_kernelINS0_14default_configENS1_35radix_sort_onesweep_config_selectorIflEEZZNS1_29radix_sort_onesweep_iterationIS3_Lb0EPfS7_N6thrust23THRUST_200600_302600_NS10device_ptrIlEESB_jNS0_19identity_decomposerENS1_16block_id_wrapperIjLb0EEEEE10hipError_tT1_PNSt15iterator_traitsISG_E10value_typeET2_T3_PNSH_ISM_E10value_typeET4_T5_PSR_SS_PNS1_23onesweep_lookback_stateEbbT6_jjT7_P12ihipStream_tbENKUlT_T0_SG_SL_E_clIS7_S7_SB_PlEEDaSZ_S10_SG_SL_EUlSZ_E_NS1_11comp_targetILNS1_3genE5ELNS1_11target_archE942ELNS1_3gpuE9ELNS1_3repE0EEENS1_47radix_sort_onesweep_sort_config_static_selectorELNS0_4arch9wavefront6targetE1EEEvSG_.private_seg_size, 0
	.set _ZN7rocprim17ROCPRIM_400000_NS6detail17trampoline_kernelINS0_14default_configENS1_35radix_sort_onesweep_config_selectorIflEEZZNS1_29radix_sort_onesweep_iterationIS3_Lb0EPfS7_N6thrust23THRUST_200600_302600_NS10device_ptrIlEESB_jNS0_19identity_decomposerENS1_16block_id_wrapperIjLb0EEEEE10hipError_tT1_PNSt15iterator_traitsISG_E10value_typeET2_T3_PNSH_ISM_E10value_typeET4_T5_PSR_SS_PNS1_23onesweep_lookback_stateEbbT6_jjT7_P12ihipStream_tbENKUlT_T0_SG_SL_E_clIS7_S7_SB_PlEEDaSZ_S10_SG_SL_EUlSZ_E_NS1_11comp_targetILNS1_3genE5ELNS1_11target_archE942ELNS1_3gpuE9ELNS1_3repE0EEENS1_47radix_sort_onesweep_sort_config_static_selectorELNS0_4arch9wavefront6targetE1EEEvSG_.uses_vcc, 0
	.set _ZN7rocprim17ROCPRIM_400000_NS6detail17trampoline_kernelINS0_14default_configENS1_35radix_sort_onesweep_config_selectorIflEEZZNS1_29radix_sort_onesweep_iterationIS3_Lb0EPfS7_N6thrust23THRUST_200600_302600_NS10device_ptrIlEESB_jNS0_19identity_decomposerENS1_16block_id_wrapperIjLb0EEEEE10hipError_tT1_PNSt15iterator_traitsISG_E10value_typeET2_T3_PNSH_ISM_E10value_typeET4_T5_PSR_SS_PNS1_23onesweep_lookback_stateEbbT6_jjT7_P12ihipStream_tbENKUlT_T0_SG_SL_E_clIS7_S7_SB_PlEEDaSZ_S10_SG_SL_EUlSZ_E_NS1_11comp_targetILNS1_3genE5ELNS1_11target_archE942ELNS1_3gpuE9ELNS1_3repE0EEENS1_47radix_sort_onesweep_sort_config_static_selectorELNS0_4arch9wavefront6targetE1EEEvSG_.uses_flat_scratch, 0
	.set _ZN7rocprim17ROCPRIM_400000_NS6detail17trampoline_kernelINS0_14default_configENS1_35radix_sort_onesweep_config_selectorIflEEZZNS1_29radix_sort_onesweep_iterationIS3_Lb0EPfS7_N6thrust23THRUST_200600_302600_NS10device_ptrIlEESB_jNS0_19identity_decomposerENS1_16block_id_wrapperIjLb0EEEEE10hipError_tT1_PNSt15iterator_traitsISG_E10value_typeET2_T3_PNSH_ISM_E10value_typeET4_T5_PSR_SS_PNS1_23onesweep_lookback_stateEbbT6_jjT7_P12ihipStream_tbENKUlT_T0_SG_SL_E_clIS7_S7_SB_PlEEDaSZ_S10_SG_SL_EUlSZ_E_NS1_11comp_targetILNS1_3genE5ELNS1_11target_archE942ELNS1_3gpuE9ELNS1_3repE0EEENS1_47radix_sort_onesweep_sort_config_static_selectorELNS0_4arch9wavefront6targetE1EEEvSG_.has_dyn_sized_stack, 0
	.set _ZN7rocprim17ROCPRIM_400000_NS6detail17trampoline_kernelINS0_14default_configENS1_35radix_sort_onesweep_config_selectorIflEEZZNS1_29radix_sort_onesweep_iterationIS3_Lb0EPfS7_N6thrust23THRUST_200600_302600_NS10device_ptrIlEESB_jNS0_19identity_decomposerENS1_16block_id_wrapperIjLb0EEEEE10hipError_tT1_PNSt15iterator_traitsISG_E10value_typeET2_T3_PNSH_ISM_E10value_typeET4_T5_PSR_SS_PNS1_23onesweep_lookback_stateEbbT6_jjT7_P12ihipStream_tbENKUlT_T0_SG_SL_E_clIS7_S7_SB_PlEEDaSZ_S10_SG_SL_EUlSZ_E_NS1_11comp_targetILNS1_3genE5ELNS1_11target_archE942ELNS1_3gpuE9ELNS1_3repE0EEENS1_47radix_sort_onesweep_sort_config_static_selectorELNS0_4arch9wavefront6targetE1EEEvSG_.has_recursion, 0
	.set _ZN7rocprim17ROCPRIM_400000_NS6detail17trampoline_kernelINS0_14default_configENS1_35radix_sort_onesweep_config_selectorIflEEZZNS1_29radix_sort_onesweep_iterationIS3_Lb0EPfS7_N6thrust23THRUST_200600_302600_NS10device_ptrIlEESB_jNS0_19identity_decomposerENS1_16block_id_wrapperIjLb0EEEEE10hipError_tT1_PNSt15iterator_traitsISG_E10value_typeET2_T3_PNSH_ISM_E10value_typeET4_T5_PSR_SS_PNS1_23onesweep_lookback_stateEbbT6_jjT7_P12ihipStream_tbENKUlT_T0_SG_SL_E_clIS7_S7_SB_PlEEDaSZ_S10_SG_SL_EUlSZ_E_NS1_11comp_targetILNS1_3genE5ELNS1_11target_archE942ELNS1_3gpuE9ELNS1_3repE0EEENS1_47radix_sort_onesweep_sort_config_static_selectorELNS0_4arch9wavefront6targetE1EEEvSG_.has_indirect_call, 0
	.section	.AMDGPU.csdata,"",@progbits
; Kernel info:
; codeLenInByte = 0
; TotalNumSgprs: 4
; NumVgprs: 0
; ScratchSize: 0
; MemoryBound: 0
; FloatMode: 240
; IeeeMode: 1
; LDSByteSize: 0 bytes/workgroup (compile time only)
; SGPRBlocks: 0
; VGPRBlocks: 0
; NumSGPRsForWavesPerEU: 4
; NumVGPRsForWavesPerEU: 1
; Occupancy: 10
; WaveLimiterHint : 0
; COMPUTE_PGM_RSRC2:SCRATCH_EN: 0
; COMPUTE_PGM_RSRC2:USER_SGPR: 6
; COMPUTE_PGM_RSRC2:TRAP_HANDLER: 0
; COMPUTE_PGM_RSRC2:TGID_X_EN: 1
; COMPUTE_PGM_RSRC2:TGID_Y_EN: 0
; COMPUTE_PGM_RSRC2:TGID_Z_EN: 0
; COMPUTE_PGM_RSRC2:TIDIG_COMP_CNT: 0
	.section	.text._ZN7rocprim17ROCPRIM_400000_NS6detail17trampoline_kernelINS0_14default_configENS1_35radix_sort_onesweep_config_selectorIflEEZZNS1_29radix_sort_onesweep_iterationIS3_Lb0EPfS7_N6thrust23THRUST_200600_302600_NS10device_ptrIlEESB_jNS0_19identity_decomposerENS1_16block_id_wrapperIjLb0EEEEE10hipError_tT1_PNSt15iterator_traitsISG_E10value_typeET2_T3_PNSH_ISM_E10value_typeET4_T5_PSR_SS_PNS1_23onesweep_lookback_stateEbbT6_jjT7_P12ihipStream_tbENKUlT_T0_SG_SL_E_clIS7_S7_SB_PlEEDaSZ_S10_SG_SL_EUlSZ_E_NS1_11comp_targetILNS1_3genE2ELNS1_11target_archE906ELNS1_3gpuE6ELNS1_3repE0EEENS1_47radix_sort_onesweep_sort_config_static_selectorELNS0_4arch9wavefront6targetE1EEEvSG_,"axG",@progbits,_ZN7rocprim17ROCPRIM_400000_NS6detail17trampoline_kernelINS0_14default_configENS1_35radix_sort_onesweep_config_selectorIflEEZZNS1_29radix_sort_onesweep_iterationIS3_Lb0EPfS7_N6thrust23THRUST_200600_302600_NS10device_ptrIlEESB_jNS0_19identity_decomposerENS1_16block_id_wrapperIjLb0EEEEE10hipError_tT1_PNSt15iterator_traitsISG_E10value_typeET2_T3_PNSH_ISM_E10value_typeET4_T5_PSR_SS_PNS1_23onesweep_lookback_stateEbbT6_jjT7_P12ihipStream_tbENKUlT_T0_SG_SL_E_clIS7_S7_SB_PlEEDaSZ_S10_SG_SL_EUlSZ_E_NS1_11comp_targetILNS1_3genE2ELNS1_11target_archE906ELNS1_3gpuE6ELNS1_3repE0EEENS1_47radix_sort_onesweep_sort_config_static_selectorELNS0_4arch9wavefront6targetE1EEEvSG_,comdat
	.protected	_ZN7rocprim17ROCPRIM_400000_NS6detail17trampoline_kernelINS0_14default_configENS1_35radix_sort_onesweep_config_selectorIflEEZZNS1_29radix_sort_onesweep_iterationIS3_Lb0EPfS7_N6thrust23THRUST_200600_302600_NS10device_ptrIlEESB_jNS0_19identity_decomposerENS1_16block_id_wrapperIjLb0EEEEE10hipError_tT1_PNSt15iterator_traitsISG_E10value_typeET2_T3_PNSH_ISM_E10value_typeET4_T5_PSR_SS_PNS1_23onesweep_lookback_stateEbbT6_jjT7_P12ihipStream_tbENKUlT_T0_SG_SL_E_clIS7_S7_SB_PlEEDaSZ_S10_SG_SL_EUlSZ_E_NS1_11comp_targetILNS1_3genE2ELNS1_11target_archE906ELNS1_3gpuE6ELNS1_3repE0EEENS1_47radix_sort_onesweep_sort_config_static_selectorELNS0_4arch9wavefront6targetE1EEEvSG_ ; -- Begin function _ZN7rocprim17ROCPRIM_400000_NS6detail17trampoline_kernelINS0_14default_configENS1_35radix_sort_onesweep_config_selectorIflEEZZNS1_29radix_sort_onesweep_iterationIS3_Lb0EPfS7_N6thrust23THRUST_200600_302600_NS10device_ptrIlEESB_jNS0_19identity_decomposerENS1_16block_id_wrapperIjLb0EEEEE10hipError_tT1_PNSt15iterator_traitsISG_E10value_typeET2_T3_PNSH_ISM_E10value_typeET4_T5_PSR_SS_PNS1_23onesweep_lookback_stateEbbT6_jjT7_P12ihipStream_tbENKUlT_T0_SG_SL_E_clIS7_S7_SB_PlEEDaSZ_S10_SG_SL_EUlSZ_E_NS1_11comp_targetILNS1_3genE2ELNS1_11target_archE906ELNS1_3gpuE6ELNS1_3repE0EEENS1_47radix_sort_onesweep_sort_config_static_selectorELNS0_4arch9wavefront6targetE1EEEvSG_
	.globl	_ZN7rocprim17ROCPRIM_400000_NS6detail17trampoline_kernelINS0_14default_configENS1_35radix_sort_onesweep_config_selectorIflEEZZNS1_29radix_sort_onesweep_iterationIS3_Lb0EPfS7_N6thrust23THRUST_200600_302600_NS10device_ptrIlEESB_jNS0_19identity_decomposerENS1_16block_id_wrapperIjLb0EEEEE10hipError_tT1_PNSt15iterator_traitsISG_E10value_typeET2_T3_PNSH_ISM_E10value_typeET4_T5_PSR_SS_PNS1_23onesweep_lookback_stateEbbT6_jjT7_P12ihipStream_tbENKUlT_T0_SG_SL_E_clIS7_S7_SB_PlEEDaSZ_S10_SG_SL_EUlSZ_E_NS1_11comp_targetILNS1_3genE2ELNS1_11target_archE906ELNS1_3gpuE6ELNS1_3repE0EEENS1_47radix_sort_onesweep_sort_config_static_selectorELNS0_4arch9wavefront6targetE1EEEvSG_
	.p2align	8
	.type	_ZN7rocprim17ROCPRIM_400000_NS6detail17trampoline_kernelINS0_14default_configENS1_35radix_sort_onesweep_config_selectorIflEEZZNS1_29radix_sort_onesweep_iterationIS3_Lb0EPfS7_N6thrust23THRUST_200600_302600_NS10device_ptrIlEESB_jNS0_19identity_decomposerENS1_16block_id_wrapperIjLb0EEEEE10hipError_tT1_PNSt15iterator_traitsISG_E10value_typeET2_T3_PNSH_ISM_E10value_typeET4_T5_PSR_SS_PNS1_23onesweep_lookback_stateEbbT6_jjT7_P12ihipStream_tbENKUlT_T0_SG_SL_E_clIS7_S7_SB_PlEEDaSZ_S10_SG_SL_EUlSZ_E_NS1_11comp_targetILNS1_3genE2ELNS1_11target_archE906ELNS1_3gpuE6ELNS1_3repE0EEENS1_47radix_sort_onesweep_sort_config_static_selectorELNS0_4arch9wavefront6targetE1EEEvSG_,@function
_ZN7rocprim17ROCPRIM_400000_NS6detail17trampoline_kernelINS0_14default_configENS1_35radix_sort_onesweep_config_selectorIflEEZZNS1_29radix_sort_onesweep_iterationIS3_Lb0EPfS7_N6thrust23THRUST_200600_302600_NS10device_ptrIlEESB_jNS0_19identity_decomposerENS1_16block_id_wrapperIjLb0EEEEE10hipError_tT1_PNSt15iterator_traitsISG_E10value_typeET2_T3_PNSH_ISM_E10value_typeET4_T5_PSR_SS_PNS1_23onesweep_lookback_stateEbbT6_jjT7_P12ihipStream_tbENKUlT_T0_SG_SL_E_clIS7_S7_SB_PlEEDaSZ_S10_SG_SL_EUlSZ_E_NS1_11comp_targetILNS1_3genE2ELNS1_11target_archE906ELNS1_3gpuE6ELNS1_3repE0EEENS1_47radix_sort_onesweep_sort_config_static_selectorELNS0_4arch9wavefront6targetE1EEEvSG_: ; @_ZN7rocprim17ROCPRIM_400000_NS6detail17trampoline_kernelINS0_14default_configENS1_35radix_sort_onesweep_config_selectorIflEEZZNS1_29radix_sort_onesweep_iterationIS3_Lb0EPfS7_N6thrust23THRUST_200600_302600_NS10device_ptrIlEESB_jNS0_19identity_decomposerENS1_16block_id_wrapperIjLb0EEEEE10hipError_tT1_PNSt15iterator_traitsISG_E10value_typeET2_T3_PNSH_ISM_E10value_typeET4_T5_PSR_SS_PNS1_23onesweep_lookback_stateEbbT6_jjT7_P12ihipStream_tbENKUlT_T0_SG_SL_E_clIS7_S7_SB_PlEEDaSZ_S10_SG_SL_EUlSZ_E_NS1_11comp_targetILNS1_3genE2ELNS1_11target_archE906ELNS1_3gpuE6ELNS1_3repE0EEENS1_47radix_sort_onesweep_sort_config_static_selectorELNS0_4arch9wavefront6targetE1EEEvSG_
; %bb.0:
	s_add_u32 s0, s0, s7
	s_load_dwordx4 s[44:47], s[4:5], 0x44
	s_load_dwordx8 s[36:43], s[4:5], 0x0
	s_load_dwordx4 s[28:31], s[4:5], 0x28
	s_load_dwordx2 s[34:35], s[4:5], 0x38
	s_addc_u32 s1, s1, 0
	s_mov_b64 s[8:9], -1
	s_waitcnt lgkmcnt(0)
	s_cmp_ge_u32 s6, s46
	v_mbcnt_lo_u32_b32 v22, -1, 0
	v_lshlrev_b32_e32 v21, 3, v0
	s_cbranch_scc0 .LBB1873_88
; %bb.1:
	s_load_dword s7, s[4:5], 0x20
	s_lshl_b32 s10, s46, 12
	s_lshl_b32 s46, s6, 12
	s_mov_b32 s47, 0
	s_lshl_b64 s[8:9], s[46:47], 2
	s_waitcnt lgkmcnt(0)
	s_sub_i32 s7, s7, s10
	v_mbcnt_hi_u32_b32 v17, -1, v22
	s_add_u32 s8, s36, s8
	v_and_b32_e32 v15, 63, v17
	s_addc_u32 s9, s37, s9
	v_lshlrev_b32_e32 v3, 2, v15
	v_and_b32_e32 v14, 0xe00, v21
	v_mov_b32_e32 v4, s9
	v_add_co_u32_e32 v3, vcc, s8, v3
	v_addc_co_u32_e32 v4, vcc, 0, v4, vcc
	v_lshlrev_b32_e32 v5, 2, v14
	v_add_co_u32_e32 v11, vcc, v3, v5
	v_or_b32_e32 v13, v15, v14
	v_bfrev_b32_e32 v3, -2
	v_addc_co_u32_e32 v12, vcc, 0, v4, vcc
	v_cmp_gt_u32_e64 s[24:25], s7, v13
	v_mov_b32_e32 v4, v3
	v_mov_b32_e32 v5, v3
	;; [unrolled: 1-line block ×7, first 2 shown]
	s_and_saveexec_b64 s[8:9], s[24:25]
	s_cbranch_execz .LBB1873_3
; %bb.2:
	global_load_dword v23, v[11:12], off
	v_mov_b32_e32 v24, v3
	v_mov_b32_e32 v25, v3
	;; [unrolled: 1-line block ×7, first 2 shown]
	s_waitcnt vmcnt(0)
	v_mov_b32_e32 v3, v23
	v_mov_b32_e32 v4, v24
	;; [unrolled: 1-line block ×8, first 2 shown]
.LBB1873_3:
	s_or_b64 exec, exec, s[8:9]
	v_or_b32_e32 v16, 64, v13
	v_cmp_gt_u32_e64 s[8:9], s7, v16
	s_and_saveexec_b64 s[10:11], s[8:9]
	s_cbranch_execz .LBB1873_5
; %bb.4:
	global_load_dword v4, v[11:12], off offset:256
.LBB1873_5:
	s_or_b64 exec, exec, s[10:11]
	v_or_b32_e32 v16, 0x80, v13
	v_cmp_gt_u32_e64 s[10:11], s7, v16
	s_and_saveexec_b64 s[12:13], s[10:11]
	s_cbranch_execz .LBB1873_7
; %bb.6:
	global_load_dword v5, v[11:12], off offset:512
.LBB1873_7:
	;; [unrolled: 8-line block ×7, first 2 shown]
	s_or_b64 exec, exec, s[22:23]
	s_load_dword s22, s[4:5], 0x64
	s_load_dword s33, s[4:5], 0x58
	s_add_u32 s23, s4, 0x58
	s_addc_u32 s26, s5, 0
	v_mov_b32_e32 v11, 0
	s_waitcnt lgkmcnt(0)
	s_lshr_b32 s27, s22, 16
	s_cmp_lt_u32 s6, s33
	s_cselect_b32 s22, 12, 18
	s_add_u32 s22, s23, s22
	s_addc_u32 s23, s26, 0
	global_load_ushort v13, v11, s[22:23]
	v_bfrev_b32_e32 v20, 1
	v_cmp_lt_i32_e32 vcc, -1, v3
	v_cndmask_b32_e32 v12, -1, v20, vcc
	s_brev_b32 s26, -2
	v_xor_b32_e32 v16, v12, v3
	v_cmp_ne_u32_e32 vcc, s26, v16
	v_cndmask_b32_e32 v3, v20, v16, vcc
	s_lshl_b32 s22, -1, s45
	v_lshrrev_b32_e32 v3, s44, v3
	s_not_b32 s54, s22
	v_and_b32_e32 v3, s54, v3
	v_and_b32_e32 v24, 1, v3
	v_add_co_u32_e32 v25, vcc, -1, v24
	v_lshlrev_b32_e32 v12, 30, v3
	v_addc_co_u32_e64 v26, s[22:23], 0, -1, vcc
	v_cmp_ne_u32_e32 vcc, 0, v24
	v_cmp_gt_i64_e64 s[22:23], 0, v[11:12]
	v_not_b32_e32 v24, v12
	v_lshlrev_b32_e32 v12, 29, v3
	v_xor_b32_e32 v26, vcc_hi, v26
	v_xor_b32_e32 v25, vcc_lo, v25
	v_ashrrev_i32_e32 v24, 31, v24
	v_cmp_gt_i64_e32 vcc, 0, v[11:12]
	v_not_b32_e32 v27, v12
	v_lshlrev_b32_e32 v12, 28, v3
	v_and_b32_e32 v26, exec_hi, v26
	v_and_b32_e32 v25, exec_lo, v25
	v_xor_b32_e32 v28, s23, v24
	v_xor_b32_e32 v24, s22, v24
	v_ashrrev_i32_e32 v27, 31, v27
	v_cmp_gt_i64_e64 s[22:23], 0, v[11:12]
	v_not_b32_e32 v29, v12
	v_lshlrev_b32_e32 v12, 27, v3
	v_and_b32_e32 v26, v26, v28
	v_and_b32_e32 v24, v25, v24
	v_xor_b32_e32 v25, vcc_hi, v27
	v_xor_b32_e32 v27, vcc_lo, v27
	v_ashrrev_i32_e32 v28, 31, v29
	v_cmp_gt_i64_e32 vcc, 0, v[11:12]
	v_not_b32_e32 v29, v12
	v_lshlrev_b32_e32 v12, 26, v3
	v_and_b32_e32 v25, v26, v25
	v_and_b32_e32 v24, v24, v27
	v_xor_b32_e32 v26, s23, v28
	v_xor_b32_e32 v27, s22, v28
	v_ashrrev_i32_e32 v28, 31, v29
	v_cmp_gt_i64_e64 s[22:23], 0, v[11:12]
	v_not_b32_e32 v29, v12
	v_lshlrev_b32_e32 v12, 25, v3
	v_mad_u32_u24 v18, v2, s27, v1
	v_and_b32_e32 v25, v25, v26
	v_and_b32_e32 v24, v24, v27
	v_xor_b32_e32 v26, vcc_hi, v28
	v_xor_b32_e32 v27, vcc_lo, v28
	v_ashrrev_i32_e32 v28, 31, v29
	v_cmp_gt_i64_e32 vcc, 0, v[11:12]
	v_not_b32_e32 v29, v12
	v_lshlrev_b32_e32 v12, 24, v3
	v_mul_lo_u32 v23, v3, 36
	v_and_b32_e32 v3, v25, v26
	v_xor_b32_e32 v25, s23, v28
	v_xor_b32_e32 v26, s22, v28
	v_cmp_gt_i64_e64 s[22:23], 0, v[11:12]
	v_not_b32_e32 v28, v12
	v_and_b32_e32 v24, v24, v27
	v_ashrrev_i32_e32 v27, 31, v29
	v_and_b32_e32 v24, v24, v26
	v_and_b32_e32 v3, v3, v25
	v_xor_b32_e32 v25, vcc_hi, v27
	v_and_b32_e32 v3, v3, v25
	v_mul_u32_u24_e32 v19, 20, v0
	ds_write2_b32 v19, v11, v11 offset0:8 offset1:9
	ds_write2_b32 v19, v11, v11 offset0:10 offset1:11
	ds_write_b32 v19, v11 offset:48
	s_waitcnt vmcnt(0) lgkmcnt(0)
	s_barrier
	; wave barrier
	v_mad_u64_u32 v[12:13], s[48:49], v18, v13, v[0:1]
	v_xor_b32_e32 v13, vcc_lo, v27
	v_and_b32_e32 v18, v24, v13
	v_lshrrev_b32_e32 v12, 4, v12
	v_and_b32_e32 v39, 0xffffffc, v12
	v_ashrrev_i32_e32 v12, 31, v28
	v_xor_b32_e32 v13, s23, v12
	v_xor_b32_e32 v12, s22, v12
	v_and_b32_e32 v12, v18, v12
	v_and_b32_e32 v13, v3, v13
	v_mbcnt_lo_u32_b32 v3, v12, 0
	v_mbcnt_hi_u32_b32 v18, v13, v3
	v_cmp_ne_u64_e32 vcc, 0, v[12:13]
	v_cmp_eq_u32_e64 s[22:23], 0, v18
	s_and_b64 s[48:49], vcc, s[22:23]
	v_add_u32_e32 v32, v39, v23
	s_and_saveexec_b64 s[22:23], s[48:49]
; %bb.18:
	v_bcnt_u32_b32 v3, v12, 0
	v_bcnt_u32_b32 v3, v13, v3
	ds_write_b32 v32, v3 offset:32
; %bb.19:
	s_or_b64 exec, exec, s[22:23]
	v_cmp_lt_i32_e32 vcc, -1, v4
	v_cndmask_b32_e32 v3, -1, v20, vcc
	v_xor_b32_e32 v13, v3, v4
	v_cmp_ne_u32_e32 vcc, s26, v13
	v_cndmask_b32_e32 v3, v20, v13, vcc
	v_lshrrev_b32_e32 v3, s44, v3
	v_and_b32_e32 v3, s54, v3
	v_mul_lo_u32 v4, v3, 36
	; wave barrier
	v_add_u32_e32 v33, v39, v4
	v_and_b32_e32 v4, 1, v3
	v_add_co_u32_e32 v12, vcc, -1, v4
	v_addc_co_u32_e64 v20, s[22:23], 0, -1, vcc
	v_cmp_ne_u32_e32 vcc, 0, v4
	v_xor_b32_e32 v12, vcc_lo, v12
	v_xor_b32_e32 v4, vcc_hi, v20
	v_and_b32_e32 v20, exec_lo, v12
	v_lshlrev_b32_e32 v12, 30, v3
	v_cmp_gt_i64_e32 vcc, 0, v[11:12]
	v_not_b32_e32 v12, v12
	v_ashrrev_i32_e32 v12, 31, v12
	v_xor_b32_e32 v24, vcc_hi, v12
	v_xor_b32_e32 v12, vcc_lo, v12
	v_and_b32_e32 v20, v20, v12
	v_lshlrev_b32_e32 v12, 29, v3
	v_cmp_gt_i64_e32 vcc, 0, v[11:12]
	v_not_b32_e32 v12, v12
	v_and_b32_e32 v4, exec_hi, v4
	v_ashrrev_i32_e32 v12, 31, v12
	v_and_b32_e32 v4, v4, v24
	v_xor_b32_e32 v24, vcc_hi, v12
	v_xor_b32_e32 v12, vcc_lo, v12
	v_and_b32_e32 v20, v20, v12
	v_lshlrev_b32_e32 v12, 28, v3
	v_cmp_gt_i64_e32 vcc, 0, v[11:12]
	v_not_b32_e32 v12, v12
	v_ashrrev_i32_e32 v12, 31, v12
	v_and_b32_e32 v4, v4, v24
	v_xor_b32_e32 v24, vcc_hi, v12
	v_xor_b32_e32 v12, vcc_lo, v12
	v_and_b32_e32 v20, v20, v12
	v_lshlrev_b32_e32 v12, 27, v3
	v_cmp_gt_i64_e32 vcc, 0, v[11:12]
	v_not_b32_e32 v12, v12
	;; [unrolled: 8-line block ×5, first 2 shown]
	v_ashrrev_i32_e32 v3, 31, v3
	v_xor_b32_e32 v11, vcc_hi, v3
	v_xor_b32_e32 v3, vcc_lo, v3
	ds_read_b32 v23, v33 offset:32
	v_and_b32_e32 v4, v4, v24
	v_and_b32_e32 v3, v20, v3
	;; [unrolled: 1-line block ×3, first 2 shown]
	v_mbcnt_lo_u32_b32 v11, v3, 0
	v_mbcnt_hi_u32_b32 v24, v4, v11
	v_cmp_ne_u64_e32 vcc, 0, v[3:4]
	v_cmp_eq_u32_e64 s[22:23], 0, v24
	s_and_b64 s[26:27], vcc, s[22:23]
	; wave barrier
	s_and_saveexec_b64 s[22:23], s[26:27]
	s_cbranch_execz .LBB1873_21
; %bb.20:
	v_bcnt_u32_b32 v3, v3, 0
	v_bcnt_u32_b32 v3, v4, v3
	s_waitcnt lgkmcnt(0)
	v_add_u32_e32 v3, v23, v3
	ds_write_b32 v33, v3 offset:32
.LBB1873_21:
	s_or_b64 exec, exec, s[22:23]
	v_bfrev_b32_e32 v20, 1
	v_cmp_lt_i32_e32 vcc, -1, v5
	v_cndmask_b32_e32 v3, -1, v20, vcc
	v_xor_b32_e32 v11, v3, v5
	s_brev_b32 s26, -2
	v_cmp_ne_u32_e32 vcc, s26, v11
	v_cndmask_b32_e32 v3, v20, v11, vcc
	v_lshrrev_b32_e32 v3, s44, v3
	v_and_b32_e32 v5, s54, v3
	v_mul_lo_u32 v3, v5, 36
	v_and_b32_e32 v4, 1, v5
	v_add_co_u32_e32 v12, vcc, -1, v4
	v_addc_co_u32_e64 v26, s[22:23], 0, -1, vcc
	v_cmp_ne_u32_e32 vcc, 0, v4
	v_xor_b32_e32 v4, vcc_hi, v26
	v_add_u32_e32 v37, v39, v3
	v_mov_b32_e32 v3, 0
	v_and_b32_e32 v26, exec_hi, v4
	v_lshlrev_b32_e32 v4, 30, v5
	v_xor_b32_e32 v12, vcc_lo, v12
	v_cmp_gt_i64_e32 vcc, 0, v[3:4]
	v_not_b32_e32 v4, v4
	v_ashrrev_i32_e32 v4, 31, v4
	v_and_b32_e32 v12, exec_lo, v12
	v_xor_b32_e32 v27, vcc_hi, v4
	v_xor_b32_e32 v4, vcc_lo, v4
	v_and_b32_e32 v12, v12, v4
	v_lshlrev_b32_e32 v4, 29, v5
	v_cmp_gt_i64_e32 vcc, 0, v[3:4]
	v_not_b32_e32 v4, v4
	v_ashrrev_i32_e32 v4, 31, v4
	v_and_b32_e32 v26, v26, v27
	v_xor_b32_e32 v27, vcc_hi, v4
	v_xor_b32_e32 v4, vcc_lo, v4
	v_and_b32_e32 v12, v12, v4
	v_lshlrev_b32_e32 v4, 28, v5
	v_cmp_gt_i64_e32 vcc, 0, v[3:4]
	v_not_b32_e32 v4, v4
	v_ashrrev_i32_e32 v4, 31, v4
	v_and_b32_e32 v26, v26, v27
	;; [unrolled: 8-line block ×5, first 2 shown]
	v_xor_b32_e32 v27, vcc_hi, v4
	v_xor_b32_e32 v4, vcc_lo, v4
	v_and_b32_e32 v12, v12, v4
	v_lshlrev_b32_e32 v4, 24, v5
	v_cmp_gt_i64_e32 vcc, 0, v[3:4]
	v_not_b32_e32 v4, v4
	v_ashrrev_i32_e32 v4, 31, v4
	v_xor_b32_e32 v5, vcc_hi, v4
	v_xor_b32_e32 v4, vcc_lo, v4
	; wave barrier
	ds_read_b32 v25, v37 offset:32
	v_and_b32_e32 v26, v26, v27
	v_and_b32_e32 v4, v12, v4
	;; [unrolled: 1-line block ×3, first 2 shown]
	v_mbcnt_lo_u32_b32 v12, v4, 0
	v_mbcnt_hi_u32_b32 v26, v5, v12
	v_cmp_ne_u64_e32 vcc, 0, v[4:5]
	v_cmp_eq_u32_e64 s[22:23], 0, v26
	s_and_b64 s[48:49], vcc, s[22:23]
	; wave barrier
	s_and_saveexec_b64 s[22:23], s[48:49]
	s_cbranch_execz .LBB1873_23
; %bb.22:
	v_bcnt_u32_b32 v4, v4, 0
	v_bcnt_u32_b32 v4, v5, v4
	s_waitcnt lgkmcnt(0)
	v_add_u32_e32 v4, v25, v4
	ds_write_b32 v37, v4 offset:32
.LBB1873_23:
	s_or_b64 exec, exec, s[22:23]
	v_cmp_lt_i32_e32 vcc, -1, v6
	v_cndmask_b32_e32 v4, -1, v20, vcc
	v_xor_b32_e32 v12, v4, v6
	v_cmp_ne_u32_e32 vcc, s26, v12
	v_cndmask_b32_e32 v4, v20, v12, vcc
	v_lshrrev_b32_e32 v4, s44, v4
	v_and_b32_e32 v5, s54, v4
	v_mul_lo_u32 v4, v5, 36
	; wave barrier
	v_add_u32_e32 v40, v39, v4
	v_and_b32_e32 v4, 1, v5
	v_add_co_u32_e32 v6, vcc, -1, v4
	v_addc_co_u32_e64 v20, s[22:23], 0, -1, vcc
	v_cmp_ne_u32_e32 vcc, 0, v4
	v_xor_b32_e32 v4, vcc_hi, v20
	v_and_b32_e32 v20, exec_hi, v4
	v_lshlrev_b32_e32 v4, 30, v5
	v_xor_b32_e32 v6, vcc_lo, v6
	v_cmp_gt_i64_e32 vcc, 0, v[3:4]
	v_not_b32_e32 v4, v4
	v_ashrrev_i32_e32 v4, 31, v4
	v_and_b32_e32 v6, exec_lo, v6
	v_xor_b32_e32 v28, vcc_hi, v4
	v_xor_b32_e32 v4, vcc_lo, v4
	v_and_b32_e32 v6, v6, v4
	v_lshlrev_b32_e32 v4, 29, v5
	v_cmp_gt_i64_e32 vcc, 0, v[3:4]
	v_not_b32_e32 v4, v4
	v_ashrrev_i32_e32 v4, 31, v4
	v_and_b32_e32 v20, v20, v28
	v_xor_b32_e32 v28, vcc_hi, v4
	v_xor_b32_e32 v4, vcc_lo, v4
	v_and_b32_e32 v6, v6, v4
	v_lshlrev_b32_e32 v4, 28, v5
	v_cmp_gt_i64_e32 vcc, 0, v[3:4]
	v_not_b32_e32 v4, v4
	v_ashrrev_i32_e32 v4, 31, v4
	v_and_b32_e32 v20, v20, v28
	;; [unrolled: 8-line block ×5, first 2 shown]
	v_xor_b32_e32 v28, vcc_hi, v4
	v_xor_b32_e32 v4, vcc_lo, v4
	v_and_b32_e32 v6, v6, v4
	v_lshlrev_b32_e32 v4, 24, v5
	v_cmp_gt_i64_e32 vcc, 0, v[3:4]
	v_not_b32_e32 v3, v4
	v_ashrrev_i32_e32 v3, 31, v3
	v_xor_b32_e32 v4, vcc_hi, v3
	v_xor_b32_e32 v3, vcc_lo, v3
	ds_read_b32 v27, v40 offset:32
	v_and_b32_e32 v20, v20, v28
	v_and_b32_e32 v3, v6, v3
	;; [unrolled: 1-line block ×3, first 2 shown]
	v_mbcnt_lo_u32_b32 v5, v3, 0
	v_mbcnt_hi_u32_b32 v28, v4, v5
	v_cmp_ne_u64_e32 vcc, 0, v[3:4]
	v_cmp_eq_u32_e64 s[22:23], 0, v28
	s_and_b64 s[26:27], vcc, s[22:23]
	; wave barrier
	s_and_saveexec_b64 s[22:23], s[26:27]
	s_cbranch_execz .LBB1873_25
; %bb.24:
	v_bcnt_u32_b32 v3, v3, 0
	v_bcnt_u32_b32 v3, v4, v3
	s_waitcnt lgkmcnt(0)
	v_add_u32_e32 v3, v27, v3
	ds_write_b32 v40, v3 offset:32
.LBB1873_25:
	s_or_b64 exec, exec, s[22:23]
	v_bfrev_b32_e32 v6, 1
	v_cmp_lt_i32_e32 vcc, -1, v7
	v_cndmask_b32_e32 v3, -1, v6, vcc
	v_xor_b32_e32 v20, v3, v7
	s_brev_b32 s26, -2
	v_cmp_ne_u32_e32 vcc, s26, v20
	v_cndmask_b32_e32 v3, v6, v20, vcc
	v_lshrrev_b32_e32 v3, s44, v3
	v_and_b32_e32 v5, s54, v3
	v_mul_lo_u32 v3, v5, 36
	v_and_b32_e32 v4, 1, v5
	v_add_co_u32_e32 v30, vcc, -1, v4
	v_addc_co_u32_e64 v31, s[22:23], 0, -1, vcc
	v_cmp_ne_u32_e32 vcc, 0, v4
	v_xor_b32_e32 v4, vcc_hi, v31
	v_add_u32_e32 v7, v39, v3
	v_mov_b32_e32 v3, 0
	v_and_b32_e32 v31, exec_hi, v4
	v_lshlrev_b32_e32 v4, 30, v5
	v_xor_b32_e32 v30, vcc_lo, v30
	v_cmp_gt_i64_e32 vcc, 0, v[3:4]
	v_not_b32_e32 v4, v4
	v_ashrrev_i32_e32 v4, 31, v4
	v_and_b32_e32 v30, exec_lo, v30
	v_xor_b32_e32 v34, vcc_hi, v4
	v_xor_b32_e32 v4, vcc_lo, v4
	v_and_b32_e32 v30, v30, v4
	v_lshlrev_b32_e32 v4, 29, v5
	v_cmp_gt_i64_e32 vcc, 0, v[3:4]
	v_not_b32_e32 v4, v4
	v_ashrrev_i32_e32 v4, 31, v4
	v_and_b32_e32 v31, v31, v34
	v_xor_b32_e32 v34, vcc_hi, v4
	v_xor_b32_e32 v4, vcc_lo, v4
	v_and_b32_e32 v30, v30, v4
	v_lshlrev_b32_e32 v4, 28, v5
	v_cmp_gt_i64_e32 vcc, 0, v[3:4]
	v_not_b32_e32 v4, v4
	v_ashrrev_i32_e32 v4, 31, v4
	v_and_b32_e32 v31, v31, v34
	;; [unrolled: 8-line block ×5, first 2 shown]
	v_xor_b32_e32 v34, vcc_hi, v4
	v_xor_b32_e32 v4, vcc_lo, v4
	v_and_b32_e32 v30, v30, v4
	v_lshlrev_b32_e32 v4, 24, v5
	v_cmp_gt_i64_e32 vcc, 0, v[3:4]
	v_not_b32_e32 v4, v4
	v_ashrrev_i32_e32 v4, 31, v4
	v_xor_b32_e32 v5, vcc_hi, v4
	v_xor_b32_e32 v4, vcc_lo, v4
	; wave barrier
	ds_read_b32 v29, v7 offset:32
	v_and_b32_e32 v31, v31, v34
	v_and_b32_e32 v4, v30, v4
	;; [unrolled: 1-line block ×3, first 2 shown]
	v_mbcnt_lo_u32_b32 v30, v4, 0
	v_mbcnt_hi_u32_b32 v30, v5, v30
	v_cmp_ne_u64_e32 vcc, 0, v[4:5]
	v_cmp_eq_u32_e64 s[22:23], 0, v30
	s_and_b64 s[48:49], vcc, s[22:23]
	; wave barrier
	s_and_saveexec_b64 s[22:23], s[48:49]
	s_cbranch_execz .LBB1873_27
; %bb.26:
	v_bcnt_u32_b32 v4, v4, 0
	v_bcnt_u32_b32 v4, v5, v4
	s_waitcnt lgkmcnt(0)
	v_add_u32_e32 v4, v29, v4
	ds_write_b32 v7, v4 offset:32
.LBB1873_27:
	s_or_b64 exec, exec, s[22:23]
	v_cmp_lt_i32_e32 vcc, -1, v8
	v_cndmask_b32_e32 v4, -1, v6, vcc
	v_xor_b32_e32 v35, v4, v8
	v_cmp_ne_u32_e32 vcc, s26, v35
	v_cndmask_b32_e32 v4, v6, v35, vcc
	v_lshrrev_b32_e32 v4, s44, v4
	v_and_b32_e32 v5, s54, v4
	v_mul_lo_u32 v4, v5, 36
	; wave barrier
	v_add_u32_e32 v8, v39, v4
	v_and_b32_e32 v4, 1, v5
	v_add_co_u32_e32 v6, vcc, -1, v4
	v_addc_co_u32_e64 v34, s[22:23], 0, -1, vcc
	v_cmp_ne_u32_e32 vcc, 0, v4
	v_xor_b32_e32 v4, vcc_hi, v34
	v_and_b32_e32 v34, exec_hi, v4
	v_lshlrev_b32_e32 v4, 30, v5
	v_xor_b32_e32 v6, vcc_lo, v6
	v_cmp_gt_i64_e32 vcc, 0, v[3:4]
	v_not_b32_e32 v4, v4
	v_ashrrev_i32_e32 v4, 31, v4
	v_and_b32_e32 v6, exec_lo, v6
	v_xor_b32_e32 v36, vcc_hi, v4
	v_xor_b32_e32 v4, vcc_lo, v4
	v_and_b32_e32 v6, v6, v4
	v_lshlrev_b32_e32 v4, 29, v5
	v_cmp_gt_i64_e32 vcc, 0, v[3:4]
	v_not_b32_e32 v4, v4
	v_ashrrev_i32_e32 v4, 31, v4
	v_and_b32_e32 v34, v34, v36
	v_xor_b32_e32 v36, vcc_hi, v4
	v_xor_b32_e32 v4, vcc_lo, v4
	v_and_b32_e32 v6, v6, v4
	v_lshlrev_b32_e32 v4, 28, v5
	v_cmp_gt_i64_e32 vcc, 0, v[3:4]
	v_not_b32_e32 v4, v4
	v_ashrrev_i32_e32 v4, 31, v4
	v_and_b32_e32 v34, v34, v36
	;; [unrolled: 8-line block ×5, first 2 shown]
	v_xor_b32_e32 v36, vcc_hi, v4
	v_xor_b32_e32 v4, vcc_lo, v4
	v_and_b32_e32 v6, v6, v4
	v_lshlrev_b32_e32 v4, 24, v5
	v_cmp_gt_i64_e32 vcc, 0, v[3:4]
	v_not_b32_e32 v3, v4
	v_ashrrev_i32_e32 v3, 31, v3
	v_xor_b32_e32 v4, vcc_hi, v3
	v_xor_b32_e32 v3, vcc_lo, v3
	ds_read_b32 v31, v8 offset:32
	v_and_b32_e32 v34, v34, v36
	v_and_b32_e32 v3, v6, v3
	;; [unrolled: 1-line block ×3, first 2 shown]
	v_mbcnt_lo_u32_b32 v5, v3, 0
	v_mbcnt_hi_u32_b32 v34, v4, v5
	v_cmp_ne_u64_e32 vcc, 0, v[3:4]
	v_cmp_eq_u32_e64 s[22:23], 0, v34
	s_and_b64 s[26:27], vcc, s[22:23]
	; wave barrier
	s_and_saveexec_b64 s[22:23], s[26:27]
	s_cbranch_execz .LBB1873_29
; %bb.28:
	v_bcnt_u32_b32 v3, v3, 0
	v_bcnt_u32_b32 v3, v4, v3
	s_waitcnt lgkmcnt(0)
	v_add_u32_e32 v3, v31, v3
	ds_write_b32 v8, v3 offset:32
.LBB1873_29:
	s_or_b64 exec, exec, s[22:23]
	v_bfrev_b32_e32 v6, 1
	v_cmp_lt_i32_e32 vcc, -1, v9
	v_cndmask_b32_e32 v3, -1, v6, vcc
	v_xor_b32_e32 v9, v3, v9
	s_brev_b32 s26, -2
	v_cmp_ne_u32_e32 vcc, s26, v9
	v_cndmask_b32_e32 v3, v6, v9, vcc
	v_lshrrev_b32_e32 v3, s44, v3
	v_and_b32_e32 v5, s54, v3
	v_mul_lo_u32 v3, v5, 36
	v_and_b32_e32 v4, 1, v5
	v_add_co_u32_e32 v38, vcc, -1, v4
	v_addc_co_u32_e64 v41, s[22:23], 0, -1, vcc
	v_cmp_ne_u32_e32 vcc, 0, v4
	v_xor_b32_e32 v4, vcc_hi, v41
	v_add_u32_e32 v46, v39, v3
	v_mov_b32_e32 v3, 0
	v_and_b32_e32 v41, exec_hi, v4
	v_lshlrev_b32_e32 v4, 30, v5
	v_xor_b32_e32 v38, vcc_lo, v38
	v_cmp_gt_i64_e32 vcc, 0, v[3:4]
	v_not_b32_e32 v4, v4
	v_ashrrev_i32_e32 v4, 31, v4
	v_and_b32_e32 v38, exec_lo, v38
	v_xor_b32_e32 v42, vcc_hi, v4
	v_xor_b32_e32 v4, vcc_lo, v4
	v_and_b32_e32 v38, v38, v4
	v_lshlrev_b32_e32 v4, 29, v5
	v_cmp_gt_i64_e32 vcc, 0, v[3:4]
	v_not_b32_e32 v4, v4
	v_ashrrev_i32_e32 v4, 31, v4
	v_and_b32_e32 v41, v41, v42
	v_xor_b32_e32 v42, vcc_hi, v4
	v_xor_b32_e32 v4, vcc_lo, v4
	v_and_b32_e32 v38, v38, v4
	v_lshlrev_b32_e32 v4, 28, v5
	v_cmp_gt_i64_e32 vcc, 0, v[3:4]
	v_not_b32_e32 v4, v4
	v_ashrrev_i32_e32 v4, 31, v4
	v_and_b32_e32 v41, v41, v42
	v_xor_b32_e32 v42, vcc_hi, v4
	v_xor_b32_e32 v4, vcc_lo, v4
	v_and_b32_e32 v38, v38, v4
	v_lshlrev_b32_e32 v4, 27, v5
	v_cmp_gt_i64_e32 vcc, 0, v[3:4]
	v_not_b32_e32 v4, v4
	v_ashrrev_i32_e32 v4, 31, v4
	v_and_b32_e32 v41, v41, v42
	v_xor_b32_e32 v42, vcc_hi, v4
	v_xor_b32_e32 v4, vcc_lo, v4
	v_and_b32_e32 v38, v38, v4
	v_lshlrev_b32_e32 v4, 26, v5
	v_cmp_gt_i64_e32 vcc, 0, v[3:4]
	v_not_b32_e32 v4, v4
	v_ashrrev_i32_e32 v4, 31, v4
	v_and_b32_e32 v41, v41, v42
	v_xor_b32_e32 v42, vcc_hi, v4
	v_xor_b32_e32 v4, vcc_lo, v4
	v_and_b32_e32 v38, v38, v4
	v_lshlrev_b32_e32 v4, 25, v5
	v_cmp_gt_i64_e32 vcc, 0, v[3:4]
	v_not_b32_e32 v4, v4
	v_ashrrev_i32_e32 v4, 31, v4
	v_and_b32_e32 v41, v41, v42
	v_xor_b32_e32 v42, vcc_hi, v4
	v_xor_b32_e32 v4, vcc_lo, v4
	v_and_b32_e32 v38, v38, v4
	v_lshlrev_b32_e32 v4, 24, v5
	v_cmp_gt_i64_e32 vcc, 0, v[3:4]
	v_not_b32_e32 v4, v4
	v_ashrrev_i32_e32 v4, 31, v4
	v_xor_b32_e32 v5, vcc_hi, v4
	v_xor_b32_e32 v4, vcc_lo, v4
	; wave barrier
	ds_read_b32 v36, v46 offset:32
	v_and_b32_e32 v41, v41, v42
	v_and_b32_e32 v4, v38, v4
	;; [unrolled: 1-line block ×3, first 2 shown]
	v_mbcnt_lo_u32_b32 v38, v4, 0
	v_mbcnt_hi_u32_b32 v38, v5, v38
	v_cmp_ne_u64_e32 vcc, 0, v[4:5]
	v_cmp_eq_u32_e64 s[22:23], 0, v38
	s_and_b64 s[48:49], vcc, s[22:23]
	; wave barrier
	s_and_saveexec_b64 s[22:23], s[48:49]
	s_cbranch_execz .LBB1873_31
; %bb.30:
	v_bcnt_u32_b32 v4, v4, 0
	v_bcnt_u32_b32 v4, v5, v4
	s_waitcnt lgkmcnt(0)
	v_add_u32_e32 v4, v36, v4
	ds_write_b32 v46, v4 offset:32
.LBB1873_31:
	s_or_b64 exec, exec, s[22:23]
	v_cmp_lt_i32_e32 vcc, -1, v10
	v_cndmask_b32_e32 v4, -1, v6, vcc
	v_xor_b32_e32 v10, v4, v10
	v_cmp_ne_u32_e32 vcc, s26, v10
	v_cndmask_b32_e32 v4, v6, v10, vcc
	v_lshrrev_b32_e32 v4, s44, v4
	v_and_b32_e32 v5, s54, v4
	v_mul_lo_u32 v4, v5, 36
	; wave barrier
	v_add_u32_e32 v47, v39, v4
	v_and_b32_e32 v4, 1, v5
	v_add_co_u32_e32 v6, vcc, -1, v4
	v_addc_co_u32_e64 v41, s[22:23], 0, -1, vcc
	v_cmp_ne_u32_e32 vcc, 0, v4
	v_xor_b32_e32 v4, vcc_hi, v41
	v_and_b32_e32 v41, exec_hi, v4
	v_lshlrev_b32_e32 v4, 30, v5
	v_xor_b32_e32 v6, vcc_lo, v6
	v_cmp_gt_i64_e32 vcc, 0, v[3:4]
	v_not_b32_e32 v4, v4
	v_ashrrev_i32_e32 v4, 31, v4
	v_and_b32_e32 v6, exec_lo, v6
	v_xor_b32_e32 v42, vcc_hi, v4
	v_xor_b32_e32 v4, vcc_lo, v4
	v_and_b32_e32 v6, v6, v4
	v_lshlrev_b32_e32 v4, 29, v5
	v_cmp_gt_i64_e32 vcc, 0, v[3:4]
	v_not_b32_e32 v4, v4
	v_ashrrev_i32_e32 v4, 31, v4
	v_and_b32_e32 v41, v41, v42
	v_xor_b32_e32 v42, vcc_hi, v4
	v_xor_b32_e32 v4, vcc_lo, v4
	v_and_b32_e32 v6, v6, v4
	v_lshlrev_b32_e32 v4, 28, v5
	v_cmp_gt_i64_e32 vcc, 0, v[3:4]
	v_not_b32_e32 v4, v4
	v_ashrrev_i32_e32 v4, 31, v4
	v_and_b32_e32 v41, v41, v42
	v_xor_b32_e32 v42, vcc_hi, v4
	v_xor_b32_e32 v4, vcc_lo, v4
	v_and_b32_e32 v6, v6, v4
	v_lshlrev_b32_e32 v4, 27, v5
	v_cmp_gt_i64_e32 vcc, 0, v[3:4]
	v_not_b32_e32 v4, v4
	v_ashrrev_i32_e32 v4, 31, v4
	v_and_b32_e32 v41, v41, v42
	v_xor_b32_e32 v42, vcc_hi, v4
	v_xor_b32_e32 v4, vcc_lo, v4
	v_and_b32_e32 v6, v6, v4
	v_lshlrev_b32_e32 v4, 26, v5
	v_cmp_gt_i64_e32 vcc, 0, v[3:4]
	v_not_b32_e32 v4, v4
	v_ashrrev_i32_e32 v4, 31, v4
	v_and_b32_e32 v41, v41, v42
	v_xor_b32_e32 v42, vcc_hi, v4
	v_xor_b32_e32 v4, vcc_lo, v4
	v_and_b32_e32 v6, v6, v4
	v_lshlrev_b32_e32 v4, 25, v5
	v_cmp_gt_i64_e32 vcc, 0, v[3:4]
	v_not_b32_e32 v4, v4
	v_ashrrev_i32_e32 v4, 31, v4
	v_and_b32_e32 v41, v41, v42
	v_xor_b32_e32 v42, vcc_hi, v4
	v_xor_b32_e32 v4, vcc_lo, v4
	v_and_b32_e32 v6, v6, v4
	v_lshlrev_b32_e32 v4, 24, v5
	v_cmp_gt_i64_e32 vcc, 0, v[3:4]
	v_not_b32_e32 v3, v4
	v_ashrrev_i32_e32 v3, 31, v3
	v_xor_b32_e32 v4, vcc_hi, v3
	v_xor_b32_e32 v3, vcc_lo, v3
	ds_read_b32 v39, v47 offset:32
	v_and_b32_e32 v41, v41, v42
	v_and_b32_e32 v3, v6, v3
	;; [unrolled: 1-line block ×3, first 2 shown]
	v_mbcnt_lo_u32_b32 v5, v3, 0
	v_mbcnt_hi_u32_b32 v41, v4, v5
	v_cmp_ne_u64_e32 vcc, 0, v[3:4]
	v_cmp_eq_u32_e64 s[22:23], 0, v41
	s_and_b64 s[26:27], vcc, s[22:23]
	; wave barrier
	s_and_saveexec_b64 s[22:23], s[26:27]
	s_cbranch_execz .LBB1873_33
; %bb.32:
	v_bcnt_u32_b32 v3, v3, 0
	v_bcnt_u32_b32 v3, v4, v3
	s_waitcnt lgkmcnt(0)
	v_add_u32_e32 v3, v39, v3
	ds_write_b32 v47, v3 offset:32
.LBB1873_33:
	s_or_b64 exec, exec, s[22:23]
	; wave barrier
	s_waitcnt lgkmcnt(0)
	s_barrier
	ds_read2_b32 v[5:6], v19 offset0:8 offset1:9
	ds_read2_b32 v[3:4], v19 offset0:10 offset1:11
	ds_read_b32 v42, v19 offset:48
	s_waitcnt lgkmcnt(1)
	v_add3_u32 v43, v6, v5, v3
	s_waitcnt lgkmcnt(0)
	v_add3_u32 v42, v43, v4, v42
	v_and_b32_e32 v43, 15, v17
	v_cmp_ne_u32_e32 vcc, 0, v43
	v_mov_b32_dpp v44, v42 row_shr:1 row_mask:0xf bank_mask:0xf
	v_cndmask_b32_e32 v44, 0, v44, vcc
	v_add_u32_e32 v42, v44, v42
	v_cmp_lt_u32_e32 vcc, 1, v43
	s_nop 0
	v_mov_b32_dpp v44, v42 row_shr:2 row_mask:0xf bank_mask:0xf
	v_cndmask_b32_e32 v44, 0, v44, vcc
	v_add_u32_e32 v42, v42, v44
	v_cmp_lt_u32_e32 vcc, 3, v43
	s_nop 0
	;; [unrolled: 5-line block ×3, first 2 shown]
	v_mov_b32_dpp v44, v42 row_shr:8 row_mask:0xf bank_mask:0xf
	v_cndmask_b32_e32 v43, 0, v44, vcc
	v_add_u32_e32 v42, v42, v43
	v_bfe_i32 v44, v17, 4, 1
	v_cmp_lt_u32_e32 vcc, 31, v17
	v_mov_b32_dpp v43, v42 row_bcast:15 row_mask:0xf bank_mask:0xf
	v_and_b32_e32 v43, v44, v43
	v_add_u32_e32 v42, v42, v43
	v_or_b32_e32 v44, 63, v0
	s_nop 0
	v_mov_b32_dpp v43, v42 row_bcast:31 row_mask:0xf bank_mask:0xf
	v_cndmask_b32_e32 v43, 0, v43, vcc
	v_add_u32_e32 v42, v42, v43
	v_lshrrev_b32_e32 v43, 6, v0
	v_cmp_eq_u32_e32 vcc, v0, v44
	s_and_saveexec_b64 s[22:23], vcc
; %bb.34:
	v_lshlrev_b32_e32 v44, 2, v43
	ds_write_b32 v44, v42
; %bb.35:
	s_or_b64 exec, exec, s[22:23]
	v_cmp_gt_u32_e32 vcc, 8, v0
	s_waitcnt lgkmcnt(0)
	s_barrier
	s_and_saveexec_b64 s[26:27], vcc
	s_cbranch_execz .LBB1873_37
; %bb.36:
	v_lshlrev_b32_e32 v44, 2, v0
	ds_read_b32 v45, v44
	v_and_b32_e32 v48, 7, v17
	v_cmp_ne_u32_e32 vcc, 0, v48
	v_cmp_lt_u32_e64 s[22:23], 1, v48
	s_waitcnt lgkmcnt(0)
	v_mov_b32_dpp v49, v45 row_shr:1 row_mask:0xf bank_mask:0xf
	v_cndmask_b32_e32 v49, 0, v49, vcc
	v_add_u32_e32 v45, v49, v45
	v_cmp_lt_u32_e32 vcc, 3, v48
	s_nop 0
	v_mov_b32_dpp v49, v45 row_shr:2 row_mask:0xf bank_mask:0xf
	v_cndmask_b32_e64 v49, 0, v49, s[22:23]
	v_add_u32_e32 v45, v45, v49
	s_nop 1
	v_mov_b32_dpp v49, v45 row_shr:4 row_mask:0xf bank_mask:0xf
	v_cndmask_b32_e32 v48, 0, v49, vcc
	v_add_u32_e32 v45, v45, v48
	ds_write_b32 v44, v45
.LBB1873_37:
	s_or_b64 exec, exec, s[26:27]
	v_cmp_lt_u32_e32 vcc, 63, v0
	v_mov_b32_e32 v44, 0
	s_waitcnt lgkmcnt(0)
	s_barrier
	s_and_saveexec_b64 s[22:23], vcc
; %bb.38:
	v_lshl_add_u32 v43, v43, 2, -4
	ds_read_b32 v44, v43
; %bb.39:
	s_or_b64 exec, exec, s[22:23]
	v_subrev_co_u32_e32 v43, vcc, 1, v17
	v_and_b32_e32 v45, 64, v17
	v_cmp_lt_i32_e64 s[22:23], v43, v45
	v_cndmask_b32_e64 v17, v43, v17, s[22:23]
	s_waitcnt lgkmcnt(0)
	v_add_u32_e32 v42, v44, v42
	v_lshlrev_b32_e32 v17, 2, v17
	ds_bpermute_b32 v17, v17, v42
	s_movk_i32 s22, 0xff
	s_movk_i32 s26, 0x100
	v_cmp_lt_u32_e64 s[22:23], s22, v0
	s_waitcnt lgkmcnt(0)
	v_cndmask_b32_e32 v17, v17, v44, vcc
	v_cmp_ne_u32_e32 vcc, 0, v0
	v_cndmask_b32_e32 v17, 0, v17, vcc
	v_add_u32_e32 v5, v17, v5
	v_add_u32_e32 v6, v5, v6
	;; [unrolled: 1-line block ×4, first 2 shown]
	ds_write2_b32 v19, v17, v5 offset0:8 offset1:9
	ds_write2_b32 v19, v6, v3 offset0:10 offset1:11
	ds_write_b32 v19, v4 offset:48
	s_waitcnt lgkmcnt(0)
	s_barrier
	ds_read_b32 v17, v32 offset:32
	ds_read_b32 v42, v33 offset:32
	;; [unrolled: 1-line block ×8, first 2 shown]
	v_cmp_gt_u32_e32 vcc, s26, v0
                                        ; implicit-def: $vgpr32
                                        ; implicit-def: $vgpr33
	s_and_saveexec_b64 s[48:49], vcc
	s_cbranch_execz .LBB1873_43
; %bb.40:
	v_mul_u32_u24_e32 v3, 36, v0
	ds_read_b32 v32, v3 offset:32
	v_add_u32_e32 v4, 1, v0
	v_cmp_ne_u32_e64 s[26:27], s26, v4
	v_mov_b32_e32 v3, 0x1000
	s_and_saveexec_b64 s[50:51], s[26:27]
; %bb.41:
	v_mul_u32_u24_e32 v3, 36, v4
	ds_read_b32 v3, v3 offset:32
; %bb.42:
	s_or_b64 exec, exec, s[50:51]
	s_waitcnt lgkmcnt(0)
	v_sub_u32_e32 v33, v3, v32
.LBB1873_43:
	s_or_b64 exec, exec, s[48:49]
	v_mov_b32_e32 v4, 0
	v_lshlrev_b32_e32 v37, 2, v0
	s_waitcnt lgkmcnt(0)
	s_barrier
	s_and_saveexec_b64 s[26:27], vcc
	s_cbranch_execz .LBB1873_53
; %bb.44:
	v_lshl_add_u32 v3, s6, 8, v0
	v_lshlrev_b64 v[5:6], 2, v[3:4]
	v_mov_b32_e32 v19, s35
	v_add_co_u32_e32 v5, vcc, s34, v5
	v_addc_co_u32_e32 v6, vcc, v19, v6, vcc
	v_or_b32_e32 v3, 2.0, v33
	s_mov_b64 s[48:49], 0
	s_brev_b32 s55, -4
	s_mov_b32 s56, s6
	v_mov_b32_e32 v48, 0
	global_store_dword v[5:6], v3, off
                                        ; implicit-def: $sgpr50_sgpr51
	s_branch .LBB1873_47
.LBB1873_45:                            ;   in Loop: Header=BB1873_47 Depth=1
	s_or_b64 exec, exec, s[52:53]
.LBB1873_46:                            ;   in Loop: Header=BB1873_47 Depth=1
	s_or_b64 exec, exec, s[50:51]
	v_and_b32_e32 v7, 0x3fffffff, v3
	v_add_u32_e32 v48, v7, v48
	v_cmp_gt_i32_e64 s[50:51], -2.0, v3
	s_and_b64 s[52:53], exec, s[50:51]
	s_or_b64 s[48:49], s[52:53], s[48:49]
	s_andn2_b64 exec, exec, s[48:49]
	s_cbranch_execz .LBB1873_52
.LBB1873_47:                            ; =>This Loop Header: Depth=1
                                        ;     Child Loop BB1873_50 Depth 2
	s_or_b64 s[50:51], s[50:51], exec
	s_cmp_eq_u32 s56, 0
	s_cbranch_scc1 .LBB1873_51
; %bb.48:                               ;   in Loop: Header=BB1873_47 Depth=1
	s_add_i32 s56, s56, -1
	v_lshl_or_b32 v3, s56, 8, v0
	v_lshlrev_b64 v[7:8], 2, v[3:4]
	v_add_co_u32_e32 v7, vcc, s34, v7
	v_addc_co_u32_e32 v8, vcc, v19, v8, vcc
	global_load_dword v3, v[7:8], off glc
	s_waitcnt vmcnt(0)
	v_cmp_gt_u32_e32 vcc, 2.0, v3
	s_and_saveexec_b64 s[50:51], vcc
	s_cbranch_execz .LBB1873_46
; %bb.49:                               ;   in Loop: Header=BB1873_47 Depth=1
	s_mov_b64 s[52:53], 0
.LBB1873_50:                            ;   Parent Loop BB1873_47 Depth=1
                                        ; =>  This Inner Loop Header: Depth=2
	global_load_dword v3, v[7:8], off glc
	s_waitcnt vmcnt(0)
	v_cmp_lt_u32_e32 vcc, s55, v3
	s_or_b64 s[52:53], vcc, s[52:53]
	s_andn2_b64 exec, exec, s[52:53]
	s_cbranch_execnz .LBB1873_50
	s_branch .LBB1873_45
.LBB1873_51:                            ;   in Loop: Header=BB1873_47 Depth=1
                                        ; implicit-def: $sgpr56
	s_and_b64 s[52:53], exec, s[50:51]
	s_or_b64 s[48:49], s[52:53], s[48:49]
	s_andn2_b64 exec, exec, s[48:49]
	s_cbranch_execnz .LBB1873_47
.LBB1873_52:
	s_or_b64 exec, exec, s[48:49]
	v_add_u32_e32 v3, v48, v33
	v_or_b32_e32 v3, 0x80000000, v3
	global_store_dword v[5:6], v3, off
	global_load_dword v3, v37, s[28:29]
	v_sub_u32_e32 v4, v48, v32
	s_waitcnt vmcnt(0)
	v_add_u32_e32 v3, v4, v3
	ds_write_b32 v37, v3
.LBB1873_53:
	s_or_b64 exec, exec, s[26:27]
	v_add_u32_e32 v48, v17, v18
	v_add3_u32 v5, v24, v23, v42
	v_add3_u32 v6, v26, v25, v43
	;; [unrolled: 1-line block ×7, first 2 shown]
	s_mov_b32 s50, 16
	s_mov_b32 s56, 0
	s_mov_b64 s[26:27], -1
	s_brev_b32 s51, -2
	v_mov_b32_e32 v4, 0
	s_movk_i32 s52, 0x200
	s_movk_i32 s53, 0x400
	;; [unrolled: 1-line block ×3, first 2 shown]
	v_bfrev_b32_e32 v49, 1
	v_mov_b32_e32 v50, v48
	v_mov_b32_e32 v51, v0
	s_branch .LBB1873_55
.LBB1873_54:                            ;   in Loop: Header=BB1873_55 Depth=1
	s_or_b64 exec, exec, s[48:49]
	s_xor_b64 s[48:49], s[26:27], -1
	v_add_u32_e32 v51, 0x800, v51
	v_add_u32_e32 v19, 0xfffff800, v19
	;; [unrolled: 1-line block ×9, first 2 shown]
	s_mov_b64 s[26:27], 0
	s_and_b64 vcc, exec, s[48:49]
	s_mov_b32 s56, s50
	s_waitcnt vmcnt(0)
	s_barrier
	s_cbranch_vccnz .LBB1873_63
.LBB1873_55:                            ; =>This Inner Loop Header: Depth=1
	v_min_u32_e32 v3, 0x800, v50
	v_lshlrev_b32_e32 v3, 2, v3
	ds_write_b32 v3, v16 offset:1024
	v_min_u32_e32 v3, 0x800, v5
	v_lshlrev_b32_e32 v3, 2, v3
	ds_write_b32 v3, v13 offset:1024
	;; [unrolled: 3-line block ×7, first 2 shown]
	v_min_u32_e32 v3, 0x800, v19
	v_lshlrev_b32_e32 v3, 2, v3
	v_cmp_gt_u32_e32 vcc, s7, v51
	ds_write_b32 v3, v10 offset:1024
	s_waitcnt lgkmcnt(0)
	s_barrier
	s_and_saveexec_b64 s[48:49], vcc
	s_cbranch_execz .LBB1873_57
; %bb.56:                               ;   in Loop: Header=BB1873_55 Depth=1
	ds_read_b32 v3, v37 offset:1024
	v_mov_b32_e32 v54, s39
	v_mov_b32_e32 v56, s56
	s_waitcnt lgkmcnt(0)
	v_cmp_ne_u32_e32 vcc, s51, v3
	v_cndmask_b32_e32 v52, v49, v3, vcc
	v_lshrrev_b32_e32 v52, s44, v52
	v_and_b32_e32 v55, s54, v52
	v_lshlrev_b32_e32 v52, 2, v55
	ds_read_b32 v52, v52
	v_cmp_lt_i32_e32 vcc, -1, v3
	v_cndmask_b32_e64 v53, v49, -1, vcc
	v_xor_b32_e32 v57, v53, v3
	buffer_store_dword v55, v56, s[0:3], 0 offen
	s_waitcnt lgkmcnt(0)
	v_add_u32_e32 v3, v51, v52
	v_lshlrev_b64 v[52:53], 2, v[3:4]
	v_add_co_u32_e32 v52, vcc, s38, v52
	v_addc_co_u32_e32 v53, vcc, v54, v53, vcc
	global_store_dword v[52:53], v57, off
.LBB1873_57:                            ;   in Loop: Header=BB1873_55 Depth=1
	s_or_b64 exec, exec, s[48:49]
	v_add_u32_e32 v3, 0x200, v51
	v_cmp_gt_u32_e32 vcc, s7, v3
	s_and_saveexec_b64 s[48:49], vcc
	s_cbranch_execz .LBB1873_59
; %bb.58:                               ;   in Loop: Header=BB1873_55 Depth=1
	ds_read_b32 v3, v37 offset:3072
	v_mov_b32_e32 v54, s39
	v_mov_b32_e32 v56, s56
	s_waitcnt lgkmcnt(0)
	v_cmp_ne_u32_e32 vcc, s51, v3
	v_cndmask_b32_e32 v52, v49, v3, vcc
	v_lshrrev_b32_e32 v52, s44, v52
	v_and_b32_e32 v55, s54, v52
	v_lshlrev_b32_e32 v52, 2, v55
	ds_read_b32 v52, v52
	v_cmp_lt_i32_e32 vcc, -1, v3
	v_cndmask_b32_e64 v53, v49, -1, vcc
	v_xor_b32_e32 v57, v53, v3
	buffer_store_dword v55, v56, s[0:3], 0 offen offset:4
	s_waitcnt lgkmcnt(0)
	v_add3_u32 v3, v51, v52, s52
	v_lshlrev_b64 v[52:53], 2, v[3:4]
	v_add_co_u32_e32 v52, vcc, s38, v52
	v_addc_co_u32_e32 v53, vcc, v54, v53, vcc
	global_store_dword v[52:53], v57, off
.LBB1873_59:                            ;   in Loop: Header=BB1873_55 Depth=1
	s_or_b64 exec, exec, s[48:49]
	v_add_u32_e32 v3, 0x400, v51
	v_cmp_gt_u32_e32 vcc, s7, v3
	s_and_saveexec_b64 s[48:49], vcc
	s_cbranch_execz .LBB1873_61
; %bb.60:                               ;   in Loop: Header=BB1873_55 Depth=1
	ds_read_b32 v3, v37 offset:5120
	v_mov_b32_e32 v54, s39
	v_mov_b32_e32 v56, s56
	s_waitcnt lgkmcnt(0)
	v_cmp_ne_u32_e32 vcc, s51, v3
	v_cndmask_b32_e32 v52, v49, v3, vcc
	v_lshrrev_b32_e32 v52, s44, v52
	v_and_b32_e32 v55, s54, v52
	v_lshlrev_b32_e32 v52, 2, v55
	ds_read_b32 v52, v52
	v_cmp_lt_i32_e32 vcc, -1, v3
	v_cndmask_b32_e64 v53, v49, -1, vcc
	v_xor_b32_e32 v57, v53, v3
	buffer_store_dword v55, v56, s[0:3], 0 offen offset:8
	s_waitcnt lgkmcnt(0)
	v_add3_u32 v3, v51, v52, s53
	v_lshlrev_b64 v[52:53], 2, v[3:4]
	v_add_co_u32_e32 v52, vcc, s38, v52
	v_addc_co_u32_e32 v53, vcc, v54, v53, vcc
	global_store_dword v[52:53], v57, off
.LBB1873_61:                            ;   in Loop: Header=BB1873_55 Depth=1
	s_or_b64 exec, exec, s[48:49]
	v_add_u32_e32 v3, 0x600, v51
	v_cmp_gt_u32_e32 vcc, s7, v3
	s_and_saveexec_b64 s[48:49], vcc
	s_cbranch_execz .LBB1873_54
; %bb.62:                               ;   in Loop: Header=BB1873_55 Depth=1
	ds_read_b32 v3, v37 offset:7168
	v_mov_b32_e32 v54, s39
	v_mov_b32_e32 v56, s56
	s_waitcnt lgkmcnt(0)
	v_cmp_ne_u32_e32 vcc, s51, v3
	v_cndmask_b32_e32 v52, v49, v3, vcc
	v_lshrrev_b32_e32 v52, s44, v52
	v_and_b32_e32 v55, s54, v52
	v_lshlrev_b32_e32 v52, 2, v55
	ds_read_b32 v52, v52
	v_cmp_lt_i32_e32 vcc, -1, v3
	v_cndmask_b32_e64 v53, v49, -1, vcc
	v_xor_b32_e32 v57, v53, v3
	buffer_store_dword v55, v56, s[0:3], 0 offen offset:12
	s_waitcnt lgkmcnt(0)
	v_add3_u32 v3, v51, v52, s55
	v_lshlrev_b64 v[52:53], 2, v[3:4]
	v_add_co_u32_e32 v52, vcc, s38, v52
	v_addc_co_u32_e32 v53, vcc, v54, v53, vcc
	global_store_dword v[52:53], v57, off
	s_branch .LBB1873_54
.LBB1873_63:
	s_lshl_b64 s[26:27], s[46:47], 3
	s_add_u32 s26, s40, s26
	s_addc_u32 s27, s41, s27
	v_lshlrev_b32_e32 v3, 3, v15
	v_mov_b32_e32 v4, s27
	v_add_co_u32_e32 v3, vcc, s26, v3
	v_addc_co_u32_e32 v4, vcc, 0, v4, vcc
	v_lshlrev_b32_e32 v5, 3, v14
	v_add_co_u32_e32 v19, vcc, v3, v5
	v_addc_co_u32_e32 v20, vcc, 0, v4, vcc
                                        ; implicit-def: $vgpr3_vgpr4
	s_and_saveexec_b64 s[26:27], s[24:25]
	s_cbranch_execz .LBB1873_71
; %bb.64:
	global_load_dwordx2 v[3:4], v[19:20], off
	s_or_b64 exec, exec, s[26:27]
                                        ; implicit-def: $vgpr5_vgpr6
	s_and_saveexec_b64 s[24:25], s[8:9]
	s_cbranch_execnz .LBB1873_72
.LBB1873_65:
	s_or_b64 exec, exec, s[24:25]
                                        ; implicit-def: $vgpr7_vgpr8
	s_and_saveexec_b64 s[8:9], s[10:11]
	s_cbranch_execz .LBB1873_73
.LBB1873_66:
	global_load_dwordx2 v[7:8], v[19:20], off offset:1024
	s_or_b64 exec, exec, s[8:9]
                                        ; implicit-def: $vgpr9_vgpr10
	s_and_saveexec_b64 s[8:9], s[12:13]
	s_cbranch_execnz .LBB1873_74
.LBB1873_67:
	s_or_b64 exec, exec, s[8:9]
                                        ; implicit-def: $vgpr11_vgpr12
	s_and_saveexec_b64 s[8:9], s[14:15]
	s_cbranch_execz .LBB1873_75
.LBB1873_68:
	global_load_dwordx2 v[11:12], v[19:20], off offset:2048
	s_or_b64 exec, exec, s[8:9]
                                        ; implicit-def: $vgpr13_vgpr14
	s_and_saveexec_b64 s[8:9], s[16:17]
	s_cbranch_execnz .LBB1873_76
.LBB1873_69:
	s_or_b64 exec, exec, s[8:9]
                                        ; implicit-def: $vgpr15_vgpr16
	s_and_saveexec_b64 s[8:9], s[18:19]
	s_cbranch_execz .LBB1873_77
.LBB1873_70:
	global_load_dwordx2 v[15:16], v[19:20], off offset:3072
	s_or_b64 exec, exec, s[8:9]
                                        ; implicit-def: $vgpr17_vgpr18
	s_and_saveexec_b64 s[8:9], s[20:21]
	s_cbranch_execnz .LBB1873_78
	s_branch .LBB1873_79
.LBB1873_71:
	s_or_b64 exec, exec, s[26:27]
                                        ; implicit-def: $vgpr5_vgpr6
	s_and_saveexec_b64 s[24:25], s[8:9]
	s_cbranch_execz .LBB1873_65
.LBB1873_72:
	global_load_dwordx2 v[5:6], v[19:20], off offset:512
	s_or_b64 exec, exec, s[24:25]
                                        ; implicit-def: $vgpr7_vgpr8
	s_and_saveexec_b64 s[8:9], s[10:11]
	s_cbranch_execnz .LBB1873_66
.LBB1873_73:
	s_or_b64 exec, exec, s[8:9]
                                        ; implicit-def: $vgpr9_vgpr10
	s_and_saveexec_b64 s[8:9], s[12:13]
	s_cbranch_execz .LBB1873_67
.LBB1873_74:
	global_load_dwordx2 v[9:10], v[19:20], off offset:1536
	s_or_b64 exec, exec, s[8:9]
                                        ; implicit-def: $vgpr11_vgpr12
	s_and_saveexec_b64 s[8:9], s[14:15]
	s_cbranch_execnz .LBB1873_68
.LBB1873_75:
	s_or_b64 exec, exec, s[8:9]
                                        ; implicit-def: $vgpr13_vgpr14
	s_and_saveexec_b64 s[8:9], s[16:17]
	s_cbranch_execz .LBB1873_69
.LBB1873_76:
	global_load_dwordx2 v[13:14], v[19:20], off offset:2560
	s_or_b64 exec, exec, s[8:9]
                                        ; implicit-def: $vgpr15_vgpr16
	s_and_saveexec_b64 s[8:9], s[18:19]
	s_cbranch_execnz .LBB1873_70
.LBB1873_77:
	s_or_b64 exec, exec, s[8:9]
                                        ; implicit-def: $vgpr17_vgpr18
	s_and_saveexec_b64 s[8:9], s[20:21]
	s_cbranch_execz .LBB1873_79
.LBB1873_78:
	global_load_dwordx2 v[17:18], v[19:20], off offset:3584
.LBB1873_79:
	s_or_b64 exec, exec, s[8:9]
	v_add3_u32 v35, v41, v47, v39
	v_add3_u32 v36, v38, v46, v36
	v_add3_u32 v31, v34, v45, v31
	v_add3_u32 v29, v30, v44, v29
	v_add3_u32 v27, v28, v40, v27
	v_add3_u32 v25, v26, v43, v25
	v_add3_u32 v23, v24, v42, v23
	s_mov_b32 s10, 0
	s_mov_b32 s11, 0
	v_mov_b32_e32 v20, 0
	s_movk_i32 s12, 0x200
	v_mov_b32_e32 v24, v0
	s_branch .LBB1873_81
.LBB1873_80:                            ;   in Loop: Header=BB1873_81 Depth=1
	s_or_b64 exec, exec, s[8:9]
	s_addk_i32 s11, 0xfc00
	s_add_i32 s10, s10, 8
	s_cmpk_eq_i32 s11, 0xf000
	v_add_u32_e32 v24, 0x400, v24
	s_waitcnt vmcnt(0)
	s_barrier
	s_cbranch_scc1 .LBB1873_85
.LBB1873_81:                            ; =>This Inner Loop Header: Depth=1
	v_add_u32_e32 v19, s11, v48
	v_min_u32_e32 v19, 0x400, v19
	v_lshlrev_b32_e32 v19, 3, v19
	s_waitcnt vmcnt(0)
	ds_write_b64 v19, v[3:4] offset:1024
	v_add_u32_e32 v19, s11, v23
	v_min_u32_e32 v19, 0x400, v19
	v_lshlrev_b32_e32 v19, 3, v19
	ds_write_b64 v19, v[5:6] offset:1024
	v_add_u32_e32 v19, s11, v25
	v_min_u32_e32 v19, 0x400, v19
	v_lshlrev_b32_e32 v19, 3, v19
	;; [unrolled: 4-line block ×7, first 2 shown]
	v_cmp_gt_u32_e32 vcc, s7, v24
	ds_write_b64 v19, v[17:18] offset:1024
	s_waitcnt lgkmcnt(0)
	s_barrier
	s_and_saveexec_b64 s[8:9], vcc
	s_cbranch_execz .LBB1873_83
; %bb.82:                               ;   in Loop: Header=BB1873_81 Depth=1
	v_mov_b32_e32 v19, s10
	buffer_load_dword v19, v19, s[0:3], 0 offen
	v_mov_b32_e32 v26, s43
	s_waitcnt vmcnt(0)
	v_lshlrev_b32_e32 v19, 2, v19
	ds_read_b32 v19, v19
	ds_read_b64 v[38:39], v21 offset:1024
	s_waitcnt lgkmcnt(1)
	v_add_u32_e32 v19, v24, v19
	v_lshlrev_b64 v[40:41], 3, v[19:20]
	v_add_co_u32_e32 v40, vcc, s42, v40
	v_addc_co_u32_e32 v41, vcc, v26, v41, vcc
	s_waitcnt lgkmcnt(0)
	global_store_dwordx2 v[40:41], v[38:39], off
.LBB1873_83:                            ;   in Loop: Header=BB1873_81 Depth=1
	s_or_b64 exec, exec, s[8:9]
	v_add_u32_e32 v19, 0x200, v24
	v_cmp_gt_u32_e32 vcc, s7, v19
	s_and_saveexec_b64 s[8:9], vcc
	s_cbranch_execz .LBB1873_80
; %bb.84:                               ;   in Loop: Header=BB1873_81 Depth=1
	v_mov_b32_e32 v19, s10
	buffer_load_dword v19, v19, s[0:3], 0 offen offset:4
	v_mov_b32_e32 v26, s43
	s_waitcnt vmcnt(0)
	v_lshlrev_b32_e32 v19, 2, v19
	ds_read_b32 v19, v19
	ds_read_b64 v[38:39], v21 offset:5120
	s_waitcnt lgkmcnt(1)
	v_add3_u32 v19, v24, v19, s12
	v_lshlrev_b64 v[40:41], 3, v[19:20]
	v_add_co_u32_e32 v40, vcc, s42, v40
	v_addc_co_u32_e32 v41, vcc, v26, v41, vcc
	s_waitcnt lgkmcnt(0)
	global_store_dwordx2 v[40:41], v[38:39], off
	s_branch .LBB1873_80
.LBB1873_85:
	s_add_i32 s33, s33, -1
	s_cmp_eq_u32 s6, s33
	s_cselect_b64 s[8:9], -1, 0
	s_xor_b64 s[10:11], s[22:23], -1
	s_and_b64 s[10:11], s[10:11], s[8:9]
	s_and_saveexec_b64 s[8:9], s[10:11]
	s_cbranch_execz .LBB1873_87
; %bb.86:
	ds_read_b32 v3, v37
	s_waitcnt lgkmcnt(0)
	v_add3_u32 v3, v32, v33, v3
	global_store_dword v37, v3, s[30:31]
.LBB1873_87:
	s_or_b64 exec, exec, s[8:9]
	s_mov_b64 s[8:9], 0
.LBB1873_88:
	s_and_b64 vcc, exec, s[8:9]
	s_cbranch_vccz .LBB1873_131
; %bb.89:
	s_lshl_b32 s10, s6, 12
	s_mov_b32 s11, 0
	s_lshl_b64 s[8:9], s[10:11], 2
	v_mbcnt_hi_u32_b32 v5, -1, v22
	s_add_u32 s7, s36, s8
	v_and_b32_e32 v8, 63, v5
	s_addc_u32 s8, s37, s9
	v_lshlrev_b32_e32 v3, 2, v8
	v_and_b32_e32 v7, 0xe00, v21
	v_mov_b32_e32 v4, s8
	v_add_co_u32_e32 v3, vcc, s7, v3
	v_addc_co_u32_e32 v4, vcc, 0, v4, vcc
	v_lshlrev_b32_e32 v6, 2, v7
	v_add_co_u32_e32 v14, vcc, v3, v6
	v_addc_co_u32_e32 v15, vcc, 0, v4, vcc
	global_load_dword v4, v[14:15], off
	s_load_dword s7, s[4:5], 0x58
	s_load_dword s8, s[4:5], 0x64
	s_add_u32 s4, s4, 0x58
	s_addc_u32 s5, s5, 0
	v_mov_b32_e32 v3, 0
	v_bfrev_b32_e32 v11, 1
	s_waitcnt lgkmcnt(0)
	s_lshr_b32 s13, s8, 16
	s_cmp_lt_u32 s6, s7
	s_cselect_b32 s8, 12, 18
	s_add_u32 s4, s4, s8
	s_addc_u32 s5, s5, 0
	global_load_ushort v6, v3, s[4:5]
	global_load_dword v10, v[14:15], off offset:256
	global_load_dword v17, v[14:15], off offset:512
	;; [unrolled: 1-line block ×7, first 2 shown]
	s_brev_b32 s12, -2
	s_lshl_b32 s4, -1, s45
	s_not_b32 s18, s4
	v_mad_u32_u24 v1, v2, s13, v1
	s_waitcnt vmcnt(8)
	v_cmp_lt_i32_e32 vcc, -1, v4
	v_cndmask_b32_e32 v9, -1, v11, vcc
	v_xor_b32_e32 v9, v9, v4
	v_cmp_ne_u32_e32 vcc, s12, v9
	v_cndmask_b32_e32 v4, v11, v9, vcc
	v_lshrrev_b32_e32 v4, s44, v4
	v_and_b32_e32 v12, s18, v4
	v_and_b32_e32 v14, 1, v12
	v_lshlrev_b32_e32 v4, 30, v12
	v_cmp_ne_u32_e32 vcc, 0, v14
	v_add_co_u32_e64 v14, s[8:9], -1, v14
	v_cmp_gt_i64_e64 s[4:5], 0, v[3:4]
	v_addc_co_u32_e64 v15, s[8:9], 0, -1, s[8:9]
	v_not_b32_e32 v18, v4
	v_lshlrev_b32_e32 v4, 29, v12
	v_xor_b32_e32 v15, vcc_hi, v15
	v_ashrrev_i32_e32 v18, 31, v18
	v_xor_b32_e32 v14, vcc_lo, v14
	v_cmp_gt_i64_e32 vcc, 0, v[3:4]
	v_not_b32_e32 v19, v4
	v_lshlrev_b32_e32 v4, 28, v12
	v_and_b32_e32 v15, exec_hi, v15
	v_xor_b32_e32 v20, s5, v18
	v_and_b32_e32 v14, exec_lo, v14
	v_xor_b32_e32 v18, s4, v18
	v_ashrrev_i32_e32 v19, 31, v19
	v_cmp_gt_i64_e64 s[4:5], 0, v[3:4]
	v_not_b32_e32 v23, v4
	v_lshlrev_b32_e32 v4, 27, v12
	v_and_b32_e32 v15, v15, v20
	v_and_b32_e32 v14, v14, v18
	v_xor_b32_e32 v18, vcc_hi, v19
	v_xor_b32_e32 v19, vcc_lo, v19
	v_ashrrev_i32_e32 v20, 31, v23
	v_cmp_gt_i64_e32 vcc, 0, v[3:4]
	v_not_b32_e32 v23, v4
	v_lshlrev_b32_e32 v4, 26, v12
	v_and_b32_e32 v15, v15, v18
	v_and_b32_e32 v14, v14, v19
	v_xor_b32_e32 v18, s5, v20
	v_xor_b32_e32 v19, s4, v20
	v_ashrrev_i32_e32 v20, 31, v23
	v_cmp_gt_i64_e64 s[4:5], 0, v[3:4]
	v_not_b32_e32 v23, v4
	v_lshlrev_b32_e32 v4, 25, v12
	v_and_b32_e32 v15, v15, v18
	v_and_b32_e32 v14, v14, v19
	v_xor_b32_e32 v18, vcc_hi, v20
	v_xor_b32_e32 v19, vcc_lo, v20
	v_ashrrev_i32_e32 v20, 31, v23
	v_cmp_gt_i64_e32 vcc, 0, v[3:4]
	v_not_b32_e32 v4, v4
	v_and_b32_e32 v15, v15, v18
	v_and_b32_e32 v14, v14, v19
	v_xor_b32_e32 v18, s5, v20
	v_xor_b32_e32 v19, s4, v20
	v_ashrrev_i32_e32 v4, 31, v4
	v_and_b32_e32 v15, v15, v18
	v_and_b32_e32 v14, v14, v19
	v_xor_b32_e32 v18, vcc_hi, v4
	v_xor_b32_e32 v4, vcc_lo, v4
	v_and_b32_e32 v19, v14, v4
	v_lshlrev_b32_e32 v4, 24, v12
	v_cmp_gt_i64_e32 vcc, 0, v[3:4]
	v_not_b32_e32 v4, v4
	v_and_b32_e32 v18, v15, v18
	v_ashrrev_i32_e32 v4, 31, v4
	s_waitcnt vmcnt(7)
	v_mad_u64_u32 v[14:15], s[4:5], v1, v6, v[0:1]
	v_xor_b32_e32 v20, vcc_hi, v4
	v_xor_b32_e32 v1, vcc_lo, v4
	v_mul_lo_u32 v4, v12, 36
	v_and_b32_e32 v1, v19, v1
	v_lshrrev_b32_e32 v28, 6, v14
	v_and_b32_e32 v2, v18, v20
	v_lshl_add_u32 v18, v28, 2, v4
	v_mbcnt_lo_u32_b32 v4, v1, 0
	v_mbcnt_hi_u32_b32 v12, v2, v4
	v_cmp_ne_u64_e32 vcc, 0, v[1:2]
	v_cmp_eq_u32_e64 s[4:5], 0, v12
	v_mul_u32_u24_e32 v6, 20, v0
	s_and_b64 s[8:9], vcc, s[4:5]
	ds_write2_b32 v6, v3, v3 offset0:8 offset1:9
	ds_write2_b32 v6, v3, v3 offset0:10 offset1:11
	ds_write_b32 v6, v3 offset:48
	s_waitcnt vmcnt(0) lgkmcnt(0)
	s_barrier
	; wave barrier
	s_and_saveexec_b64 s[4:5], s[8:9]
; %bb.90:
	v_bcnt_u32_b32 v1, v1, 0
	v_bcnt_u32_b32 v1, v2, v1
	ds_write_b32 v18, v1 offset:32
; %bb.91:
	s_or_b64 exec, exec, s[4:5]
	v_cmp_lt_i32_e32 vcc, -1, v10
	v_cndmask_b32_e32 v1, -1, v11, vcc
	v_xor_b32_e32 v10, v1, v10
	v_cmp_ne_u32_e32 vcc, s12, v10
	v_cndmask_b32_e32 v1, v11, v10, vcc
	v_lshrrev_b32_e32 v1, s44, v1
	v_and_b32_e32 v1, s18, v1
	v_mul_lo_u32 v2, v1, 36
	; wave barrier
	v_lshl_add_u32 v19, v28, 2, v2
	v_and_b32_e32 v2, 1, v1
	v_add_co_u32_e32 v4, vcc, -1, v2
	v_addc_co_u32_e64 v11, s[4:5], 0, -1, vcc
	v_cmp_ne_u32_e32 vcc, 0, v2
	v_xor_b32_e32 v4, vcc_lo, v4
	v_xor_b32_e32 v2, vcc_hi, v11
	v_and_b32_e32 v11, exec_lo, v4
	v_lshlrev_b32_e32 v4, 30, v1
	v_cmp_gt_i64_e32 vcc, 0, v[3:4]
	v_not_b32_e32 v4, v4
	v_ashrrev_i32_e32 v4, 31, v4
	v_xor_b32_e32 v15, vcc_hi, v4
	v_xor_b32_e32 v4, vcc_lo, v4
	v_and_b32_e32 v11, v11, v4
	v_lshlrev_b32_e32 v4, 29, v1
	v_cmp_gt_i64_e32 vcc, 0, v[3:4]
	v_not_b32_e32 v4, v4
	v_and_b32_e32 v2, exec_hi, v2
	v_ashrrev_i32_e32 v4, 31, v4
	v_and_b32_e32 v2, v2, v15
	v_xor_b32_e32 v15, vcc_hi, v4
	v_xor_b32_e32 v4, vcc_lo, v4
	v_and_b32_e32 v11, v11, v4
	v_lshlrev_b32_e32 v4, 28, v1
	v_cmp_gt_i64_e32 vcc, 0, v[3:4]
	v_not_b32_e32 v4, v4
	v_ashrrev_i32_e32 v4, 31, v4
	v_and_b32_e32 v2, v2, v15
	v_xor_b32_e32 v15, vcc_hi, v4
	v_xor_b32_e32 v4, vcc_lo, v4
	v_and_b32_e32 v11, v11, v4
	v_lshlrev_b32_e32 v4, 27, v1
	v_cmp_gt_i64_e32 vcc, 0, v[3:4]
	v_not_b32_e32 v4, v4
	;; [unrolled: 8-line block ×5, first 2 shown]
	v_ashrrev_i32_e32 v1, 31, v1
	v_xor_b32_e32 v3, vcc_hi, v1
	v_xor_b32_e32 v1, vcc_lo, v1
	ds_read_b32 v14, v19 offset:32
	v_and_b32_e32 v2, v2, v15
	v_and_b32_e32 v1, v11, v1
	;; [unrolled: 1-line block ×3, first 2 shown]
	v_mbcnt_lo_u32_b32 v3, v1, 0
	v_mbcnt_hi_u32_b32 v15, v2, v3
	v_cmp_ne_u64_e32 vcc, 0, v[1:2]
	v_cmp_eq_u32_e64 s[4:5], 0, v15
	s_and_b64 s[8:9], vcc, s[4:5]
	; wave barrier
	s_and_saveexec_b64 s[4:5], s[8:9]
	s_cbranch_execz .LBB1873_93
; %bb.92:
	v_bcnt_u32_b32 v1, v1, 0
	v_bcnt_u32_b32 v1, v2, v1
	s_waitcnt lgkmcnt(0)
	v_add_u32_e32 v1, v14, v1
	ds_write_b32 v19, v1 offset:32
.LBB1873_93:
	s_or_b64 exec, exec, s[4:5]
	v_bfrev_b32_e32 v4, 1
	v_cmp_lt_i32_e32 vcc, -1, v17
	v_cndmask_b32_e32 v1, -1, v4, vcc
	v_xor_b32_e32 v11, v1, v17
	s_brev_b32 s8, -2
	v_cmp_ne_u32_e32 vcc, s8, v11
	v_cndmask_b32_e32 v1, v4, v11, vcc
	v_lshrrev_b32_e32 v1, s44, v1
	v_and_b32_e32 v3, s18, v1
	v_mul_lo_u32 v1, v3, 36
	v_and_b32_e32 v2, 1, v3
	v_add_co_u32_e32 v20, vcc, -1, v2
	v_addc_co_u32_e64 v23, s[4:5], 0, -1, vcc
	v_cmp_ne_u32_e32 vcc, 0, v2
	v_xor_b32_e32 v2, vcc_hi, v23
	v_lshl_add_u32 v25, v28, 2, v1
	v_mov_b32_e32 v1, 0
	v_and_b32_e32 v23, exec_hi, v2
	v_lshlrev_b32_e32 v2, 30, v3
	v_xor_b32_e32 v20, vcc_lo, v20
	v_cmp_gt_i64_e32 vcc, 0, v[1:2]
	v_not_b32_e32 v2, v2
	v_ashrrev_i32_e32 v2, 31, v2
	v_and_b32_e32 v20, exec_lo, v20
	v_xor_b32_e32 v26, vcc_hi, v2
	v_xor_b32_e32 v2, vcc_lo, v2
	v_and_b32_e32 v20, v20, v2
	v_lshlrev_b32_e32 v2, 29, v3
	v_cmp_gt_i64_e32 vcc, 0, v[1:2]
	v_not_b32_e32 v2, v2
	v_ashrrev_i32_e32 v2, 31, v2
	v_and_b32_e32 v23, v23, v26
	v_xor_b32_e32 v26, vcc_hi, v2
	v_xor_b32_e32 v2, vcc_lo, v2
	v_and_b32_e32 v20, v20, v2
	v_lshlrev_b32_e32 v2, 28, v3
	v_cmp_gt_i64_e32 vcc, 0, v[1:2]
	v_not_b32_e32 v2, v2
	v_ashrrev_i32_e32 v2, 31, v2
	v_and_b32_e32 v23, v23, v26
	;; [unrolled: 8-line block ×5, first 2 shown]
	v_xor_b32_e32 v26, vcc_hi, v2
	v_xor_b32_e32 v2, vcc_lo, v2
	v_and_b32_e32 v20, v20, v2
	v_lshlrev_b32_e32 v2, 24, v3
	v_cmp_gt_i64_e32 vcc, 0, v[1:2]
	v_not_b32_e32 v2, v2
	v_ashrrev_i32_e32 v2, 31, v2
	v_xor_b32_e32 v3, vcc_hi, v2
	v_xor_b32_e32 v2, vcc_lo, v2
	; wave barrier
	ds_read_b32 v17, v25 offset:32
	v_and_b32_e32 v23, v23, v26
	v_and_b32_e32 v2, v20, v2
	v_and_b32_e32 v3, v23, v3
	v_mbcnt_lo_u32_b32 v20, v2, 0
	v_mbcnt_hi_u32_b32 v20, v3, v20
	v_cmp_ne_u64_e32 vcc, 0, v[2:3]
	v_cmp_eq_u32_e64 s[4:5], 0, v20
	s_and_b64 s[12:13], vcc, s[4:5]
	; wave barrier
	s_and_saveexec_b64 s[4:5], s[12:13]
	s_cbranch_execz .LBB1873_95
; %bb.94:
	v_bcnt_u32_b32 v2, v2, 0
	v_bcnt_u32_b32 v2, v3, v2
	s_waitcnt lgkmcnt(0)
	v_add_u32_e32 v2, v17, v2
	ds_write_b32 v25, v2 offset:32
.LBB1873_95:
	s_or_b64 exec, exec, s[4:5]
	v_cmp_lt_i32_e32 vcc, -1, v13
	v_cndmask_b32_e32 v2, -1, v4, vcc
	v_xor_b32_e32 v13, v2, v13
	v_cmp_ne_u32_e32 vcc, s8, v13
	v_cndmask_b32_e32 v2, v4, v13, vcc
	v_lshrrev_b32_e32 v2, s44, v2
	v_and_b32_e32 v3, s18, v2
	v_mul_lo_u32 v2, v3, 36
	; wave barrier
	v_lshl_add_u32 v30, v28, 2, v2
	v_and_b32_e32 v2, 1, v3
	v_add_co_u32_e32 v4, vcc, -1, v2
	v_addc_co_u32_e64 v26, s[4:5], 0, -1, vcc
	v_cmp_ne_u32_e32 vcc, 0, v2
	v_xor_b32_e32 v2, vcc_hi, v26
	v_and_b32_e32 v26, exec_hi, v2
	v_lshlrev_b32_e32 v2, 30, v3
	v_xor_b32_e32 v4, vcc_lo, v4
	v_cmp_gt_i64_e32 vcc, 0, v[1:2]
	v_not_b32_e32 v2, v2
	v_ashrrev_i32_e32 v2, 31, v2
	v_and_b32_e32 v4, exec_lo, v4
	v_xor_b32_e32 v29, vcc_hi, v2
	v_xor_b32_e32 v2, vcc_lo, v2
	v_and_b32_e32 v4, v4, v2
	v_lshlrev_b32_e32 v2, 29, v3
	v_cmp_gt_i64_e32 vcc, 0, v[1:2]
	v_not_b32_e32 v2, v2
	v_ashrrev_i32_e32 v2, 31, v2
	v_and_b32_e32 v26, v26, v29
	v_xor_b32_e32 v29, vcc_hi, v2
	v_xor_b32_e32 v2, vcc_lo, v2
	v_and_b32_e32 v4, v4, v2
	v_lshlrev_b32_e32 v2, 28, v3
	v_cmp_gt_i64_e32 vcc, 0, v[1:2]
	v_not_b32_e32 v2, v2
	v_ashrrev_i32_e32 v2, 31, v2
	v_and_b32_e32 v26, v26, v29
	;; [unrolled: 8-line block ×5, first 2 shown]
	v_xor_b32_e32 v29, vcc_hi, v2
	v_xor_b32_e32 v2, vcc_lo, v2
	v_and_b32_e32 v4, v4, v2
	v_lshlrev_b32_e32 v2, 24, v3
	v_cmp_gt_i64_e32 vcc, 0, v[1:2]
	v_not_b32_e32 v1, v2
	v_ashrrev_i32_e32 v1, 31, v1
	v_xor_b32_e32 v2, vcc_hi, v1
	v_xor_b32_e32 v1, vcc_lo, v1
	ds_read_b32 v23, v30 offset:32
	v_and_b32_e32 v26, v26, v29
	v_and_b32_e32 v1, v4, v1
	;; [unrolled: 1-line block ×3, first 2 shown]
	v_mbcnt_lo_u32_b32 v3, v1, 0
	v_mbcnt_hi_u32_b32 v26, v2, v3
	v_cmp_ne_u64_e32 vcc, 0, v[1:2]
	v_cmp_eq_u32_e64 s[4:5], 0, v26
	s_and_b64 s[8:9], vcc, s[4:5]
	; wave barrier
	s_and_saveexec_b64 s[4:5], s[8:9]
	s_cbranch_execz .LBB1873_97
; %bb.96:
	v_bcnt_u32_b32 v1, v1, 0
	v_bcnt_u32_b32 v1, v2, v1
	s_waitcnt lgkmcnt(0)
	v_add_u32_e32 v1, v23, v1
	ds_write_b32 v30, v1 offset:32
.LBB1873_97:
	s_or_b64 exec, exec, s[4:5]
	v_bfrev_b32_e32 v4, 1
	v_cmp_lt_i32_e32 vcc, -1, v16
	v_cndmask_b32_e32 v1, -1, v4, vcc
	v_xor_b32_e32 v16, v1, v16
	s_brev_b32 s8, -2
	v_cmp_ne_u32_e32 vcc, s8, v16
	v_cndmask_b32_e32 v1, v4, v16, vcc
	v_lshrrev_b32_e32 v1, s44, v1
	v_and_b32_e32 v3, s18, v1
	v_mul_lo_u32 v1, v3, 36
	v_and_b32_e32 v2, 1, v3
	v_add_co_u32_e32 v31, vcc, -1, v2
	v_addc_co_u32_e64 v32, s[4:5], 0, -1, vcc
	v_cmp_ne_u32_e32 vcc, 0, v2
	v_xor_b32_e32 v2, vcc_hi, v32
	v_lshl_add_u32 v34, v28, 2, v1
	v_mov_b32_e32 v1, 0
	v_and_b32_e32 v32, exec_hi, v2
	v_lshlrev_b32_e32 v2, 30, v3
	v_xor_b32_e32 v31, vcc_lo, v31
	v_cmp_gt_i64_e32 vcc, 0, v[1:2]
	v_not_b32_e32 v2, v2
	v_ashrrev_i32_e32 v2, 31, v2
	v_and_b32_e32 v31, exec_lo, v31
	v_xor_b32_e32 v33, vcc_hi, v2
	v_xor_b32_e32 v2, vcc_lo, v2
	v_and_b32_e32 v31, v31, v2
	v_lshlrev_b32_e32 v2, 29, v3
	v_cmp_gt_i64_e32 vcc, 0, v[1:2]
	v_not_b32_e32 v2, v2
	v_ashrrev_i32_e32 v2, 31, v2
	v_and_b32_e32 v32, v32, v33
	v_xor_b32_e32 v33, vcc_hi, v2
	v_xor_b32_e32 v2, vcc_lo, v2
	v_and_b32_e32 v31, v31, v2
	v_lshlrev_b32_e32 v2, 28, v3
	v_cmp_gt_i64_e32 vcc, 0, v[1:2]
	v_not_b32_e32 v2, v2
	v_ashrrev_i32_e32 v2, 31, v2
	v_and_b32_e32 v32, v32, v33
	v_xor_b32_e32 v33, vcc_hi, v2
	v_xor_b32_e32 v2, vcc_lo, v2
	v_and_b32_e32 v31, v31, v2
	v_lshlrev_b32_e32 v2, 27, v3
	v_cmp_gt_i64_e32 vcc, 0, v[1:2]
	v_not_b32_e32 v2, v2
	v_ashrrev_i32_e32 v2, 31, v2
	v_and_b32_e32 v32, v32, v33
	v_xor_b32_e32 v33, vcc_hi, v2
	v_xor_b32_e32 v2, vcc_lo, v2
	v_and_b32_e32 v31, v31, v2
	v_lshlrev_b32_e32 v2, 26, v3
	v_cmp_gt_i64_e32 vcc, 0, v[1:2]
	v_not_b32_e32 v2, v2
	v_ashrrev_i32_e32 v2, 31, v2
	v_and_b32_e32 v32, v32, v33
	v_xor_b32_e32 v33, vcc_hi, v2
	v_xor_b32_e32 v2, vcc_lo, v2
	v_and_b32_e32 v31, v31, v2
	v_lshlrev_b32_e32 v2, 25, v3
	v_cmp_gt_i64_e32 vcc, 0, v[1:2]
	v_not_b32_e32 v2, v2
	v_ashrrev_i32_e32 v2, 31, v2
	v_and_b32_e32 v32, v32, v33
	v_xor_b32_e32 v33, vcc_hi, v2
	v_xor_b32_e32 v2, vcc_lo, v2
	v_and_b32_e32 v31, v31, v2
	v_lshlrev_b32_e32 v2, 24, v3
	v_cmp_gt_i64_e32 vcc, 0, v[1:2]
	v_not_b32_e32 v2, v2
	v_ashrrev_i32_e32 v2, 31, v2
	v_xor_b32_e32 v3, vcc_hi, v2
	v_xor_b32_e32 v2, vcc_lo, v2
	; wave barrier
	ds_read_b32 v29, v34 offset:32
	v_and_b32_e32 v32, v32, v33
	v_and_b32_e32 v2, v31, v2
	;; [unrolled: 1-line block ×3, first 2 shown]
	v_mbcnt_lo_u32_b32 v31, v2, 0
	v_mbcnt_hi_u32_b32 v31, v3, v31
	v_cmp_ne_u64_e32 vcc, 0, v[2:3]
	v_cmp_eq_u32_e64 s[4:5], 0, v31
	s_and_b64 s[12:13], vcc, s[4:5]
	; wave barrier
	s_and_saveexec_b64 s[4:5], s[12:13]
	s_cbranch_execz .LBB1873_99
; %bb.98:
	v_bcnt_u32_b32 v2, v2, 0
	v_bcnt_u32_b32 v2, v3, v2
	s_waitcnt lgkmcnt(0)
	v_add_u32_e32 v2, v29, v2
	ds_write_b32 v34, v2 offset:32
.LBB1873_99:
	s_or_b64 exec, exec, s[4:5]
	v_cmp_lt_i32_e32 vcc, -1, v22
	v_cndmask_b32_e32 v2, -1, v4, vcc
	v_xor_b32_e32 v22, v2, v22
	v_cmp_ne_u32_e32 vcc, s8, v22
	v_cndmask_b32_e32 v2, v4, v22, vcc
	v_lshrrev_b32_e32 v2, s44, v2
	v_and_b32_e32 v3, s18, v2
	v_mul_lo_u32 v2, v3, 36
	; wave barrier
	v_lshl_add_u32 v37, v28, 2, v2
	v_and_b32_e32 v2, 1, v3
	v_add_co_u32_e32 v4, vcc, -1, v2
	v_addc_co_u32_e64 v32, s[4:5], 0, -1, vcc
	v_cmp_ne_u32_e32 vcc, 0, v2
	v_xor_b32_e32 v2, vcc_hi, v32
	v_and_b32_e32 v32, exec_hi, v2
	v_lshlrev_b32_e32 v2, 30, v3
	v_xor_b32_e32 v4, vcc_lo, v4
	v_cmp_gt_i64_e32 vcc, 0, v[1:2]
	v_not_b32_e32 v2, v2
	v_ashrrev_i32_e32 v2, 31, v2
	v_and_b32_e32 v4, exec_lo, v4
	v_xor_b32_e32 v35, vcc_hi, v2
	v_xor_b32_e32 v2, vcc_lo, v2
	v_and_b32_e32 v4, v4, v2
	v_lshlrev_b32_e32 v2, 29, v3
	v_cmp_gt_i64_e32 vcc, 0, v[1:2]
	v_not_b32_e32 v2, v2
	v_ashrrev_i32_e32 v2, 31, v2
	v_and_b32_e32 v32, v32, v35
	v_xor_b32_e32 v35, vcc_hi, v2
	v_xor_b32_e32 v2, vcc_lo, v2
	v_and_b32_e32 v4, v4, v2
	v_lshlrev_b32_e32 v2, 28, v3
	v_cmp_gt_i64_e32 vcc, 0, v[1:2]
	v_not_b32_e32 v2, v2
	v_ashrrev_i32_e32 v2, 31, v2
	v_and_b32_e32 v32, v32, v35
	v_xor_b32_e32 v35, vcc_hi, v2
	v_xor_b32_e32 v2, vcc_lo, v2
	v_and_b32_e32 v4, v4, v2
	v_lshlrev_b32_e32 v2, 27, v3
	v_cmp_gt_i64_e32 vcc, 0, v[1:2]
	v_not_b32_e32 v2, v2
	v_ashrrev_i32_e32 v2, 31, v2
	v_and_b32_e32 v32, v32, v35
	v_xor_b32_e32 v35, vcc_hi, v2
	v_xor_b32_e32 v2, vcc_lo, v2
	v_and_b32_e32 v4, v4, v2
	v_lshlrev_b32_e32 v2, 26, v3
	v_cmp_gt_i64_e32 vcc, 0, v[1:2]
	v_not_b32_e32 v2, v2
	v_ashrrev_i32_e32 v2, 31, v2
	v_and_b32_e32 v32, v32, v35
	v_xor_b32_e32 v35, vcc_hi, v2
	v_xor_b32_e32 v2, vcc_lo, v2
	v_and_b32_e32 v4, v4, v2
	v_lshlrev_b32_e32 v2, 25, v3
	v_cmp_gt_i64_e32 vcc, 0, v[1:2]
	v_not_b32_e32 v2, v2
	v_ashrrev_i32_e32 v2, 31, v2
	v_and_b32_e32 v32, v32, v35
	v_xor_b32_e32 v35, vcc_hi, v2
	v_xor_b32_e32 v2, vcc_lo, v2
	v_and_b32_e32 v4, v4, v2
	v_lshlrev_b32_e32 v2, 24, v3
	v_cmp_gt_i64_e32 vcc, 0, v[1:2]
	v_not_b32_e32 v1, v2
	v_ashrrev_i32_e32 v1, 31, v1
	v_xor_b32_e32 v2, vcc_hi, v1
	v_xor_b32_e32 v1, vcc_lo, v1
	ds_read_b32 v33, v37 offset:32
	v_and_b32_e32 v32, v32, v35
	v_and_b32_e32 v1, v4, v1
	;; [unrolled: 1-line block ×3, first 2 shown]
	v_mbcnt_lo_u32_b32 v3, v1, 0
	v_mbcnt_hi_u32_b32 v35, v2, v3
	v_cmp_ne_u64_e32 vcc, 0, v[1:2]
	v_cmp_eq_u32_e64 s[4:5], 0, v35
	s_and_b64 s[8:9], vcc, s[4:5]
	; wave barrier
	s_and_saveexec_b64 s[4:5], s[8:9]
	s_cbranch_execz .LBB1873_101
; %bb.100:
	v_bcnt_u32_b32 v1, v1, 0
	v_bcnt_u32_b32 v1, v2, v1
	s_waitcnt lgkmcnt(0)
	v_add_u32_e32 v1, v33, v1
	ds_write_b32 v37, v1 offset:32
.LBB1873_101:
	s_or_b64 exec, exec, s[4:5]
	v_bfrev_b32_e32 v4, 1
	v_cmp_lt_i32_e32 vcc, -1, v27
	v_cndmask_b32_e32 v1, -1, v4, vcc
	v_xor_b32_e32 v27, v1, v27
	s_brev_b32 s8, -2
	v_cmp_ne_u32_e32 vcc, s8, v27
	v_cndmask_b32_e32 v1, v4, v27, vcc
	v_lshrrev_b32_e32 v1, s44, v1
	v_and_b32_e32 v3, s18, v1
	v_mul_lo_u32 v1, v3, 36
	v_and_b32_e32 v2, 1, v3
	v_add_co_u32_e32 v32, vcc, -1, v2
	v_addc_co_u32_e64 v38, s[4:5], 0, -1, vcc
	v_cmp_ne_u32_e32 vcc, 0, v2
	v_xor_b32_e32 v2, vcc_hi, v38
	v_lshl_add_u32 v40, v28, 2, v1
	v_mov_b32_e32 v1, 0
	v_and_b32_e32 v38, exec_hi, v2
	v_lshlrev_b32_e32 v2, 30, v3
	v_xor_b32_e32 v32, vcc_lo, v32
	v_cmp_gt_i64_e32 vcc, 0, v[1:2]
	v_not_b32_e32 v2, v2
	v_ashrrev_i32_e32 v2, 31, v2
	v_and_b32_e32 v32, exec_lo, v32
	v_xor_b32_e32 v39, vcc_hi, v2
	v_xor_b32_e32 v2, vcc_lo, v2
	v_and_b32_e32 v32, v32, v2
	v_lshlrev_b32_e32 v2, 29, v3
	v_cmp_gt_i64_e32 vcc, 0, v[1:2]
	v_not_b32_e32 v2, v2
	v_ashrrev_i32_e32 v2, 31, v2
	v_and_b32_e32 v38, v38, v39
	v_xor_b32_e32 v39, vcc_hi, v2
	v_xor_b32_e32 v2, vcc_lo, v2
	v_and_b32_e32 v32, v32, v2
	v_lshlrev_b32_e32 v2, 28, v3
	v_cmp_gt_i64_e32 vcc, 0, v[1:2]
	v_not_b32_e32 v2, v2
	v_ashrrev_i32_e32 v2, 31, v2
	v_and_b32_e32 v38, v38, v39
	;; [unrolled: 8-line block ×5, first 2 shown]
	v_xor_b32_e32 v39, vcc_hi, v2
	v_xor_b32_e32 v2, vcc_lo, v2
	v_and_b32_e32 v32, v32, v2
	v_lshlrev_b32_e32 v2, 24, v3
	v_cmp_gt_i64_e32 vcc, 0, v[1:2]
	v_not_b32_e32 v2, v2
	v_ashrrev_i32_e32 v2, 31, v2
	v_xor_b32_e32 v3, vcc_hi, v2
	v_xor_b32_e32 v2, vcc_lo, v2
	; wave barrier
	ds_read_b32 v36, v40 offset:32
	v_and_b32_e32 v38, v38, v39
	v_and_b32_e32 v2, v32, v2
	v_and_b32_e32 v3, v38, v3
	v_mbcnt_lo_u32_b32 v32, v2, 0
	v_mbcnt_hi_u32_b32 v38, v3, v32
	v_cmp_ne_u64_e32 vcc, 0, v[2:3]
	v_cmp_eq_u32_e64 s[4:5], 0, v38
	s_and_b64 s[12:13], vcc, s[4:5]
	; wave barrier
	s_and_saveexec_b64 s[4:5], s[12:13]
	s_cbranch_execz .LBB1873_103
; %bb.102:
	v_bcnt_u32_b32 v2, v2, 0
	v_bcnt_u32_b32 v2, v3, v2
	s_waitcnt lgkmcnt(0)
	v_add_u32_e32 v2, v36, v2
	ds_write_b32 v40, v2 offset:32
.LBB1873_103:
	s_or_b64 exec, exec, s[4:5]
	v_cmp_lt_i32_e32 vcc, -1, v24
	v_cndmask_b32_e32 v2, -1, v4, vcc
	v_xor_b32_e32 v32, v2, v24
	v_cmp_ne_u32_e32 vcc, s8, v32
	v_cndmask_b32_e32 v2, v4, v32, vcc
	v_lshrrev_b32_e32 v2, s44, v2
	v_and_b32_e32 v3, s18, v2
	v_mul_lo_u32 v2, v3, 36
	; wave barrier
	v_lshl_add_u32 v28, v28, 2, v2
	v_and_b32_e32 v2, 1, v3
	v_add_co_u32_e32 v4, vcc, -1, v2
	v_addc_co_u32_e64 v24, s[4:5], 0, -1, vcc
	v_cmp_ne_u32_e32 vcc, 0, v2
	v_xor_b32_e32 v2, vcc_hi, v24
	v_and_b32_e32 v24, exec_hi, v2
	v_lshlrev_b32_e32 v2, 30, v3
	v_xor_b32_e32 v4, vcc_lo, v4
	v_cmp_gt_i64_e32 vcc, 0, v[1:2]
	v_not_b32_e32 v2, v2
	v_ashrrev_i32_e32 v2, 31, v2
	v_and_b32_e32 v4, exec_lo, v4
	v_xor_b32_e32 v41, vcc_hi, v2
	v_xor_b32_e32 v2, vcc_lo, v2
	v_and_b32_e32 v4, v4, v2
	v_lshlrev_b32_e32 v2, 29, v3
	v_cmp_gt_i64_e32 vcc, 0, v[1:2]
	v_not_b32_e32 v2, v2
	v_ashrrev_i32_e32 v2, 31, v2
	v_and_b32_e32 v24, v24, v41
	v_xor_b32_e32 v41, vcc_hi, v2
	v_xor_b32_e32 v2, vcc_lo, v2
	v_and_b32_e32 v4, v4, v2
	v_lshlrev_b32_e32 v2, 28, v3
	v_cmp_gt_i64_e32 vcc, 0, v[1:2]
	v_not_b32_e32 v2, v2
	v_ashrrev_i32_e32 v2, 31, v2
	v_and_b32_e32 v24, v24, v41
	;; [unrolled: 8-line block ×5, first 2 shown]
	v_xor_b32_e32 v41, vcc_hi, v2
	v_xor_b32_e32 v2, vcc_lo, v2
	v_and_b32_e32 v4, v4, v2
	v_lshlrev_b32_e32 v2, 24, v3
	v_cmp_gt_i64_e32 vcc, 0, v[1:2]
	v_not_b32_e32 v1, v2
	v_ashrrev_i32_e32 v1, 31, v1
	v_xor_b32_e32 v2, vcc_hi, v1
	v_xor_b32_e32 v1, vcc_lo, v1
	ds_read_b32 v39, v28 offset:32
	v_and_b32_e32 v24, v24, v41
	v_and_b32_e32 v1, v4, v1
	;; [unrolled: 1-line block ×3, first 2 shown]
	v_mbcnt_lo_u32_b32 v3, v1, 0
	v_mbcnt_hi_u32_b32 v41, v2, v3
	v_cmp_ne_u64_e32 vcc, 0, v[1:2]
	v_cmp_eq_u32_e64 s[4:5], 0, v41
	s_and_b64 s[8:9], vcc, s[4:5]
	; wave barrier
	s_and_saveexec_b64 s[4:5], s[8:9]
	s_cbranch_execz .LBB1873_105
; %bb.104:
	v_bcnt_u32_b32 v1, v1, 0
	v_bcnt_u32_b32 v1, v2, v1
	s_waitcnt lgkmcnt(0)
	v_add_u32_e32 v1, v39, v1
	ds_write_b32 v28, v1 offset:32
.LBB1873_105:
	s_or_b64 exec, exec, s[4:5]
	; wave barrier
	s_waitcnt lgkmcnt(0)
	s_barrier
	ds_read2_b32 v[3:4], v6 offset0:8 offset1:9
	ds_read2_b32 v[1:2], v6 offset0:10 offset1:11
	ds_read_b32 v24, v6 offset:48
	s_waitcnt lgkmcnt(1)
	v_add3_u32 v42, v4, v3, v1
	s_waitcnt lgkmcnt(0)
	v_add3_u32 v24, v42, v2, v24
	v_and_b32_e32 v42, 15, v5
	v_cmp_ne_u32_e32 vcc, 0, v42
	v_mov_b32_dpp v43, v24 row_shr:1 row_mask:0xf bank_mask:0xf
	v_cndmask_b32_e32 v43, 0, v43, vcc
	v_add_u32_e32 v24, v43, v24
	v_cmp_lt_u32_e32 vcc, 1, v42
	s_nop 0
	v_mov_b32_dpp v43, v24 row_shr:2 row_mask:0xf bank_mask:0xf
	v_cndmask_b32_e32 v43, 0, v43, vcc
	v_add_u32_e32 v24, v24, v43
	v_cmp_lt_u32_e32 vcc, 3, v42
	s_nop 0
	;; [unrolled: 5-line block ×3, first 2 shown]
	v_mov_b32_dpp v43, v24 row_shr:8 row_mask:0xf bank_mask:0xf
	v_cndmask_b32_e32 v42, 0, v43, vcc
	v_add_u32_e32 v24, v24, v42
	v_bfe_i32 v43, v5, 4, 1
	v_cmp_lt_u32_e32 vcc, 31, v5
	v_mov_b32_dpp v42, v24 row_bcast:15 row_mask:0xf bank_mask:0xf
	v_and_b32_e32 v42, v43, v42
	v_add_u32_e32 v24, v24, v42
	v_lshrrev_b32_e32 v43, 6, v0
	s_nop 0
	v_mov_b32_dpp v42, v24 row_bcast:31 row_mask:0xf bank_mask:0xf
	v_cndmask_b32_e32 v42, 0, v42, vcc
	v_add_u32_e32 v42, v24, v42
	v_or_b32_e32 v24, 63, v0
	v_cmp_eq_u32_e32 vcc, v0, v24
	s_and_saveexec_b64 s[4:5], vcc
; %bb.106:
	v_lshlrev_b32_e32 v24, 2, v43
	ds_write_b32 v24, v42
; %bb.107:
	s_or_b64 exec, exec, s[4:5]
	v_cmp_gt_u32_e32 vcc, 8, v0
	v_lshlrev_b32_e32 v24, 2, v0
	s_waitcnt lgkmcnt(0)
	s_barrier
	s_and_saveexec_b64 s[4:5], vcc
	s_cbranch_execz .LBB1873_109
; %bb.108:
	ds_read_b32 v44, v24
	v_and_b32_e32 v45, 7, v5
	v_cmp_ne_u32_e32 vcc, 0, v45
	s_waitcnt lgkmcnt(0)
	v_mov_b32_dpp v46, v44 row_shr:1 row_mask:0xf bank_mask:0xf
	v_cndmask_b32_e32 v46, 0, v46, vcc
	v_add_u32_e32 v44, v46, v44
	v_cmp_lt_u32_e32 vcc, 1, v45
	s_nop 0
	v_mov_b32_dpp v46, v44 row_shr:2 row_mask:0xf bank_mask:0xf
	v_cndmask_b32_e32 v46, 0, v46, vcc
	v_add_u32_e32 v44, v44, v46
	v_cmp_lt_u32_e32 vcc, 3, v45
	s_nop 0
	v_mov_b32_dpp v46, v44 row_shr:4 row_mask:0xf bank_mask:0xf
	v_cndmask_b32_e32 v45, 0, v46, vcc
	v_add_u32_e32 v44, v44, v45
	ds_write_b32 v24, v44
.LBB1873_109:
	s_or_b64 exec, exec, s[4:5]
	v_cmp_lt_u32_e32 vcc, 63, v0
	v_mov_b32_e32 v44, 0
	s_waitcnt lgkmcnt(0)
	s_barrier
	s_and_saveexec_b64 s[4:5], vcc
; %bb.110:
	v_lshl_add_u32 v43, v43, 2, -4
	ds_read_b32 v44, v43
; %bb.111:
	s_or_b64 exec, exec, s[4:5]
	v_subrev_co_u32_e32 v43, vcc, 1, v5
	v_and_b32_e32 v45, 64, v5
	v_cmp_lt_i32_e64 s[4:5], v43, v45
	v_cndmask_b32_e64 v5, v43, v5, s[4:5]
	s_waitcnt lgkmcnt(0)
	v_add_u32_e32 v42, v44, v42
	v_lshlrev_b32_e32 v5, 2, v5
	ds_bpermute_b32 v5, v5, v42
	s_movk_i32 s4, 0xff
	s_movk_i32 s8, 0x100
	v_cmp_lt_u32_e64 s[4:5], s4, v0
	s_waitcnt lgkmcnt(0)
	v_cndmask_b32_e32 v5, v5, v44, vcc
	v_cmp_ne_u32_e32 vcc, 0, v0
	v_cndmask_b32_e32 v5, 0, v5, vcc
	v_add_u32_e32 v3, v5, v3
	v_add_u32_e32 v4, v3, v4
	;; [unrolled: 1-line block ×4, first 2 shown]
	ds_write2_b32 v6, v5, v3 offset0:8 offset1:9
	ds_write2_b32 v6, v4, v1 offset0:10 offset1:11
	ds_write_b32 v6, v2 offset:48
	s_waitcnt lgkmcnt(0)
	s_barrier
	ds_read_b32 v45, v18 offset:32
	ds_read_b32 v18, v19 offset:32
	;; [unrolled: 1-line block ×8, first 2 shown]
	v_cmp_gt_u32_e32 vcc, s8, v0
                                        ; implicit-def: $vgpr19
                                        ; implicit-def: $vgpr25
	s_and_saveexec_b64 s[12:13], vcc
	s_cbranch_execz .LBB1873_115
; %bb.112:
	v_mul_u32_u24_e32 v1, 36, v0
	ds_read_b32 v19, v1 offset:32
	v_add_u32_e32 v2, 1, v0
	v_cmp_ne_u32_e64 s[8:9], s8, v2
	v_mov_b32_e32 v1, 0x1000
	s_and_saveexec_b64 s[14:15], s[8:9]
; %bb.113:
	v_mul_u32_u24_e32 v1, 36, v2
	ds_read_b32 v1, v1 offset:32
; %bb.114:
	s_or_b64 exec, exec, s[14:15]
	s_waitcnt lgkmcnt(0)
	v_sub_u32_e32 v25, v1, v19
.LBB1873_115:
	s_or_b64 exec, exec, s[12:13]
	v_mov_b32_e32 v2, 0
	s_waitcnt lgkmcnt(0)
	s_barrier
	s_and_saveexec_b64 s[8:9], vcc
	s_cbranch_execz .LBB1873_125
; %bb.116:
	v_lshl_add_u32 v1, s6, 8, v0
	v_lshlrev_b64 v[3:4], 2, v[1:2]
	v_mov_b32_e32 v28, s35
	v_add_co_u32_e32 v3, vcc, s34, v3
	v_addc_co_u32_e32 v4, vcc, v28, v4, vcc
	v_or_b32_e32 v1, 2.0, v25
	s_mov_b64 s[12:13], 0
	s_brev_b32 s19, -4
	s_mov_b32 s20, s6
	v_mov_b32_e32 v40, 0
	global_store_dword v[3:4], v1, off
                                        ; implicit-def: $sgpr14_sgpr15
	s_branch .LBB1873_119
.LBB1873_117:                           ;   in Loop: Header=BB1873_119 Depth=1
	s_or_b64 exec, exec, s[16:17]
.LBB1873_118:                           ;   in Loop: Header=BB1873_119 Depth=1
	s_or_b64 exec, exec, s[14:15]
	v_and_b32_e32 v5, 0x3fffffff, v1
	v_add_u32_e32 v40, v5, v40
	v_cmp_gt_i32_e64 s[14:15], -2.0, v1
	s_and_b64 s[16:17], exec, s[14:15]
	s_or_b64 s[12:13], s[16:17], s[12:13]
	s_andn2_b64 exec, exec, s[12:13]
	s_cbranch_execz .LBB1873_124
.LBB1873_119:                           ; =>This Loop Header: Depth=1
                                        ;     Child Loop BB1873_122 Depth 2
	s_or_b64 s[14:15], s[14:15], exec
	s_cmp_eq_u32 s20, 0
	s_cbranch_scc1 .LBB1873_123
; %bb.120:                              ;   in Loop: Header=BB1873_119 Depth=1
	s_add_i32 s20, s20, -1
	v_lshl_or_b32 v1, s20, 8, v0
	v_lshlrev_b64 v[5:6], 2, v[1:2]
	v_add_co_u32_e32 v5, vcc, s34, v5
	v_addc_co_u32_e32 v6, vcc, v28, v6, vcc
	global_load_dword v1, v[5:6], off glc
	s_waitcnt vmcnt(0)
	v_cmp_gt_u32_e32 vcc, 2.0, v1
	s_and_saveexec_b64 s[14:15], vcc
	s_cbranch_execz .LBB1873_118
; %bb.121:                              ;   in Loop: Header=BB1873_119 Depth=1
	s_mov_b64 s[16:17], 0
.LBB1873_122:                           ;   Parent Loop BB1873_119 Depth=1
                                        ; =>  This Inner Loop Header: Depth=2
	global_load_dword v1, v[5:6], off glc
	s_waitcnt vmcnt(0)
	v_cmp_lt_u32_e32 vcc, s19, v1
	s_or_b64 s[16:17], vcc, s[16:17]
	s_andn2_b64 exec, exec, s[16:17]
	s_cbranch_execnz .LBB1873_122
	s_branch .LBB1873_117
.LBB1873_123:                           ;   in Loop: Header=BB1873_119 Depth=1
                                        ; implicit-def: $sgpr20
	s_and_b64 s[16:17], exec, s[14:15]
	s_or_b64 s[12:13], s[16:17], s[12:13]
	s_andn2_b64 exec, exec, s[12:13]
	s_cbranch_execnz .LBB1873_119
.LBB1873_124:
	s_or_b64 exec, exec, s[12:13]
	v_add_u32_e32 v1, v40, v25
	v_or_b32_e32 v1, 0x80000000, v1
	global_store_dword v[3:4], v1, off
	global_load_dword v1, v24, s[28:29]
	v_sub_u32_e32 v2, v40, v19
	s_waitcnt vmcnt(0)
	v_add_u32_e32 v1, v2, v1
	ds_write_b32 v24, v1
.LBB1873_125:
	s_or_b64 exec, exec, s[8:9]
	v_add_u32_e32 v28, v45, v12
	s_mov_b32 s14, 16
	v_add3_u32 v30, v41, v30, v39
	v_add3_u32 v34, v38, v34, v36
	;; [unrolled: 1-line block ×7, first 2 shown]
	s_mov_b32 s21, 0
	s_mov_b64 s[12:13], -1
	s_mov_b32 s15, 0
	s_brev_b32 s16, -2
	v_bfrev_b32_e32 v3, 1
	v_mov_b32_e32 v2, 0
	v_mov_b32_e32 v4, s39
	s_movk_i32 s17, 0x200
	s_movk_i32 s19, 0x400
	;; [unrolled: 1-line block ×3, first 2 shown]
	v_mov_b32_e32 v5, v0
.LBB1873_126:                           ; =>This Inner Loop Header: Depth=1
	v_add_u32_e32 v1, s15, v28
	v_add_u32_e32 v14, s15, v23
	;; [unrolled: 1-line block ×8, first 2 shown]
	v_min_u32_e32 v1, 0x800, v1
	v_min_u32_e32 v14, 0x800, v14
	;; [unrolled: 1-line block ×8, first 2 shown]
	v_lshlrev_b32_e32 v1, 2, v1
	v_lshlrev_b32_e32 v14, 2, v14
	;; [unrolled: 1-line block ×8, first 2 shown]
	ds_write_b32 v1, v9 offset:1024
	ds_write_b32 v6, v10 offset:1024
	ds_write_b32 v12, v11 offset:1024
	ds_write_b32 v14, v13 offset:1024
	ds_write_b32 v15, v16 offset:1024
	ds_write_b32 v17, v22 offset:1024
	ds_write_b32 v18, v27 offset:1024
	ds_write_b32 v31, v32 offset:1024
	s_waitcnt lgkmcnt(0)
	s_barrier
	ds_read2st64_b32 v[14:15], v24 offset0:4 offset1:12
	ds_read2st64_b32 v[17:18], v24 offset0:20 offset1:28
	v_mov_b32_e32 v35, s21
	s_addk_i32 s15, 0xf800
	s_and_b64 vcc, exec, s[12:13]
	s_waitcnt lgkmcnt(1)
	v_cmp_ne_u32_e64 s[8:9], s16, v14
	v_cndmask_b32_e64 v1, v3, v14, s[8:9]
	v_cmp_lt_i32_e64 s[8:9], -1, v14
	v_cndmask_b32_e64 v6, v3, -1, s[8:9]
	v_cmp_ne_u32_e64 s[8:9], s16, v15
	v_cndmask_b32_e64 v12, v3, v15, s[8:9]
	v_cmp_lt_i32_e64 s[8:9], -1, v15
	v_cndmask_b32_e64 v31, v3, -1, s[8:9]
	s_waitcnt lgkmcnt(0)
	v_cmp_ne_u32_e64 s[8:9], s16, v17
	v_cndmask_b32_e64 v36, v3, v17, s[8:9]
	v_cmp_lt_i32_e64 s[8:9], -1, v17
	v_cndmask_b32_e64 v37, v3, -1, s[8:9]
	v_cmp_ne_u32_e64 s[8:9], s16, v18
	v_cndmask_b32_e64 v38, v3, v18, s[8:9]
	v_lshrrev_b32_e32 v1, s44, v1
	v_xor_b32_e32 v6, v6, v14
	v_lshrrev_b32_e32 v12, s44, v12
	v_xor_b32_e32 v31, v31, v15
	v_lshrrev_b32_e32 v14, s44, v36
	v_lshrrev_b32_e32 v15, s44, v38
	v_cmp_lt_i32_e64 s[8:9], -1, v18
	v_and_b32_e32 v1, s18, v1
	v_and_b32_e32 v12, s18, v12
	;; [unrolled: 1-line block ×4, first 2 shown]
	v_cndmask_b32_e64 v39, v3, -1, s[8:9]
	v_xor_b32_e32 v37, v37, v17
	v_lshlrev_b32_e32 v17, 2, v1
	buffer_store_dword v1, v35, s[0:3], 0 offen
	v_lshlrev_b32_e32 v1, 2, v12
	buffer_store_dword v12, v35, s[0:3], 0 offen offset:4
	v_lshlrev_b32_e32 v12, 2, v14
	buffer_store_dword v14, v35, s[0:3], 0 offen offset:8
	buffer_store_dword v15, v35, s[0:3], 0 offen offset:12
	v_xor_b32_e32 v38, v39, v18
	v_lshlrev_b32_e32 v14, 2, v15
	ds_read_b32 v15, v17
	ds_read_b32 v17, v1
	;; [unrolled: 1-line block ×4, first 2 shown]
	s_mov_b64 s[12:13], 0
	s_waitcnt lgkmcnt(3)
	v_add_u32_e32 v1, v5, v15
	v_lshlrev_b64 v[14:15], 2, v[1:2]
	s_waitcnt lgkmcnt(2)
	v_add3_u32 v1, v5, v17, s17
	v_lshlrev_b64 v[17:18], 2, v[1:2]
	v_add_co_u32_e64 v14, s[8:9], s38, v14
	s_waitcnt lgkmcnt(1)
	v_add3_u32 v1, v5, v12, s19
	v_addc_co_u32_e64 v15, s[8:9], v4, v15, s[8:9]
	v_lshlrev_b64 v[35:36], 2, v[1:2]
	global_store_dword v[14:15], v6, off
	v_add_co_u32_e64 v14, s[8:9], s38, v17
	s_waitcnt lgkmcnt(0)
	v_add3_u32 v1, v5, v39, s20
	v_addc_co_u32_e64 v15, s[8:9], v4, v18, s[8:9]
	v_lshlrev_b64 v[17:18], 2, v[1:2]
	global_store_dword v[14:15], v31, off
	v_add_co_u32_e64 v14, s[8:9], s38, v35
	v_addc_co_u32_e64 v15, s[8:9], v4, v36, s[8:9]
	global_store_dword v[14:15], v37, off
	v_add_co_u32_e64 v14, s[8:9], s38, v17
	s_mov_b32 s21, s14
	v_add_u32_e32 v5, 0x800, v5
	v_addc_co_u32_e64 v15, s[8:9], v4, v18, s[8:9]
	global_store_dword v[14:15], v38, off
	s_waitcnt vmcnt(0)
	s_barrier
	s_cbranch_vccnz .LBB1873_126
; %bb.127:
	s_lshl_b64 s[8:9], s[10:11], 3
	s_add_u32 s8, s40, s8
	s_addc_u32 s9, s41, s9
	v_lshlrev_b32_e32 v1, 3, v8
	v_mov_b32_e32 v2, s9
	v_add_co_u32_e32 v1, vcc, s8, v1
	v_addc_co_u32_e32 v2, vcc, 0, v2, vcc
	v_lshlrev_b32_e32 v3, 3, v7
	v_add_co_u32_e32 v17, vcc, v1, v3
	v_addc_co_u32_e32 v18, vcc, 0, v2, vcc
	global_load_dwordx2 v[1:2], v[17:18], off
	global_load_dwordx2 v[3:4], v[17:18], off offset:512
	global_load_dwordx2 v[5:6], v[17:18], off offset:1024
	;; [unrolled: 1-line block ×7, first 2 shown]
	v_mov_b32_e32 v18, 0
	s_mov_b32 s8, 0
	s_mov_b32 s9, 0
	v_mov_b32_e32 v22, s43
	s_movk_i32 s10, 0x200
.LBB1873_128:                           ; =>This Inner Loop Header: Depth=1
	v_add_u32_e32 v17, s9, v28
	v_add_u32_e32 v27, s9, v26
	;; [unrolled: 1-line block ×8, first 2 shown]
	v_min_u32_e32 v17, 0x400, v17
	v_min_u32_e32 v27, 0x400, v27
	v_mov_b32_e32 v39, s8
	v_min_u32_e32 v31, 0x400, v31
	v_min_u32_e32 v32, 0x400, v32
	;; [unrolled: 1-line block ×6, first 2 shown]
	v_lshlrev_b32_e32 v17, 3, v17
	v_lshlrev_b32_e32 v27, 3, v27
	v_lshlrev_b32_e32 v31, 3, v31
	v_lshlrev_b32_e32 v32, 3, v32
	v_lshlrev_b32_e32 v35, 3, v35
	v_lshlrev_b32_e32 v36, 3, v36
	v_lshlrev_b32_e32 v37, 3, v37
	v_lshlrev_b32_e32 v38, 3, v38
	s_waitcnt vmcnt(7)
	ds_write_b64 v17, v[1:2] offset:1024
	s_waitcnt vmcnt(6)
	ds_write_b64 v27, v[3:4] offset:1024
	;; [unrolled: 2-line block ×8, first 2 shown]
	s_waitcnt lgkmcnt(0)
	s_barrier
	buffer_load_dword v17, v39, s[0:3], 0 offen
	buffer_load_dword v27, v39, s[0:3], 0 offen offset:4
	ds_read2st64_b64 v[35:38], v21 offset0:2 offset1:10
	s_addk_i32 s9, 0xfc00
	s_add_i32 s8, s8, 8
	s_cmpk_lg_i32 s9, 0xf000
	s_waitcnt vmcnt(1)
	v_lshlrev_b32_e32 v17, 2, v17
	s_waitcnt vmcnt(0)
	v_lshlrev_b32_e32 v27, 2, v27
	ds_read_b32 v17, v17
	ds_read_b32 v27, v27
	s_waitcnt lgkmcnt(1)
	v_add_u32_e32 v17, v0, v17
	v_lshlrev_b64 v[31:32], 3, v[17:18]
	s_waitcnt lgkmcnt(0)
	v_add3_u32 v17, v0, v27, s10
	v_lshlrev_b64 v[39:40], 3, v[17:18]
	v_add_co_u32_e32 v31, vcc, s42, v31
	v_addc_co_u32_e32 v32, vcc, v22, v32, vcc
	global_store_dwordx2 v[31:32], v[35:36], off
	v_add_co_u32_e32 v31, vcc, s42, v39
	v_add_u32_e32 v0, 0x400, v0
	v_addc_co_u32_e32 v32, vcc, v22, v40, vcc
	global_store_dwordx2 v[31:32], v[37:38], off
	s_waitcnt vmcnt(0)
	s_barrier
	s_cbranch_scc1 .LBB1873_128
; %bb.129:
	s_add_i32 s7, s7, -1
	s_cmp_eq_u32 s6, s7
	s_cselect_b64 s[6:7], -1, 0
	s_xor_b64 s[4:5], s[4:5], -1
	s_and_b64 s[4:5], s[4:5], s[6:7]
	s_and_saveexec_b64 s[6:7], s[4:5]
	s_cbranch_execz .LBB1873_131
; %bb.130:
	ds_read_b32 v0, v24
	s_waitcnt lgkmcnt(0)
	v_add3_u32 v0, v19, v25, v0
	global_store_dword v24, v0, s[30:31]
.LBB1873_131:
	s_endpgm
	.section	.rodata,"a",@progbits
	.p2align	6, 0x0
	.amdhsa_kernel _ZN7rocprim17ROCPRIM_400000_NS6detail17trampoline_kernelINS0_14default_configENS1_35radix_sort_onesweep_config_selectorIflEEZZNS1_29radix_sort_onesweep_iterationIS3_Lb0EPfS7_N6thrust23THRUST_200600_302600_NS10device_ptrIlEESB_jNS0_19identity_decomposerENS1_16block_id_wrapperIjLb0EEEEE10hipError_tT1_PNSt15iterator_traitsISG_E10value_typeET2_T3_PNSH_ISM_E10value_typeET4_T5_PSR_SS_PNS1_23onesweep_lookback_stateEbbT6_jjT7_P12ihipStream_tbENKUlT_T0_SG_SL_E_clIS7_S7_SB_PlEEDaSZ_S10_SG_SL_EUlSZ_E_NS1_11comp_targetILNS1_3genE2ELNS1_11target_archE906ELNS1_3gpuE6ELNS1_3repE0EEENS1_47radix_sort_onesweep_sort_config_static_selectorELNS0_4arch9wavefront6targetE1EEEvSG_
		.amdhsa_group_segment_fixed_size 10280
		.amdhsa_private_segment_fixed_size 48
		.amdhsa_kernarg_size 344
		.amdhsa_user_sgpr_count 6
		.amdhsa_user_sgpr_private_segment_buffer 1
		.amdhsa_user_sgpr_dispatch_ptr 0
		.amdhsa_user_sgpr_queue_ptr 0
		.amdhsa_user_sgpr_kernarg_segment_ptr 1
		.amdhsa_user_sgpr_dispatch_id 0
		.amdhsa_user_sgpr_flat_scratch_init 0
		.amdhsa_user_sgpr_private_segment_size 0
		.amdhsa_uses_dynamic_stack 0
		.amdhsa_system_sgpr_private_segment_wavefront_offset 1
		.amdhsa_system_sgpr_workgroup_id_x 1
		.amdhsa_system_sgpr_workgroup_id_y 0
		.amdhsa_system_sgpr_workgroup_id_z 0
		.amdhsa_system_sgpr_workgroup_info 0
		.amdhsa_system_vgpr_workitem_id 2
		.amdhsa_next_free_vgpr 58
		.amdhsa_next_free_sgpr 57
		.amdhsa_reserve_vcc 1
		.amdhsa_reserve_flat_scratch 0
		.amdhsa_float_round_mode_32 0
		.amdhsa_float_round_mode_16_64 0
		.amdhsa_float_denorm_mode_32 3
		.amdhsa_float_denorm_mode_16_64 3
		.amdhsa_dx10_clamp 1
		.amdhsa_ieee_mode 1
		.amdhsa_fp16_overflow 0
		.amdhsa_exception_fp_ieee_invalid_op 0
		.amdhsa_exception_fp_denorm_src 0
		.amdhsa_exception_fp_ieee_div_zero 0
		.amdhsa_exception_fp_ieee_overflow 0
		.amdhsa_exception_fp_ieee_underflow 0
		.amdhsa_exception_fp_ieee_inexact 0
		.amdhsa_exception_int_div_zero 0
	.end_amdhsa_kernel
	.section	.text._ZN7rocprim17ROCPRIM_400000_NS6detail17trampoline_kernelINS0_14default_configENS1_35radix_sort_onesweep_config_selectorIflEEZZNS1_29radix_sort_onesweep_iterationIS3_Lb0EPfS7_N6thrust23THRUST_200600_302600_NS10device_ptrIlEESB_jNS0_19identity_decomposerENS1_16block_id_wrapperIjLb0EEEEE10hipError_tT1_PNSt15iterator_traitsISG_E10value_typeET2_T3_PNSH_ISM_E10value_typeET4_T5_PSR_SS_PNS1_23onesweep_lookback_stateEbbT6_jjT7_P12ihipStream_tbENKUlT_T0_SG_SL_E_clIS7_S7_SB_PlEEDaSZ_S10_SG_SL_EUlSZ_E_NS1_11comp_targetILNS1_3genE2ELNS1_11target_archE906ELNS1_3gpuE6ELNS1_3repE0EEENS1_47radix_sort_onesweep_sort_config_static_selectorELNS0_4arch9wavefront6targetE1EEEvSG_,"axG",@progbits,_ZN7rocprim17ROCPRIM_400000_NS6detail17trampoline_kernelINS0_14default_configENS1_35radix_sort_onesweep_config_selectorIflEEZZNS1_29radix_sort_onesweep_iterationIS3_Lb0EPfS7_N6thrust23THRUST_200600_302600_NS10device_ptrIlEESB_jNS0_19identity_decomposerENS1_16block_id_wrapperIjLb0EEEEE10hipError_tT1_PNSt15iterator_traitsISG_E10value_typeET2_T3_PNSH_ISM_E10value_typeET4_T5_PSR_SS_PNS1_23onesweep_lookback_stateEbbT6_jjT7_P12ihipStream_tbENKUlT_T0_SG_SL_E_clIS7_S7_SB_PlEEDaSZ_S10_SG_SL_EUlSZ_E_NS1_11comp_targetILNS1_3genE2ELNS1_11target_archE906ELNS1_3gpuE6ELNS1_3repE0EEENS1_47radix_sort_onesweep_sort_config_static_selectorELNS0_4arch9wavefront6targetE1EEEvSG_,comdat
.Lfunc_end1873:
	.size	_ZN7rocprim17ROCPRIM_400000_NS6detail17trampoline_kernelINS0_14default_configENS1_35radix_sort_onesweep_config_selectorIflEEZZNS1_29radix_sort_onesweep_iterationIS3_Lb0EPfS7_N6thrust23THRUST_200600_302600_NS10device_ptrIlEESB_jNS0_19identity_decomposerENS1_16block_id_wrapperIjLb0EEEEE10hipError_tT1_PNSt15iterator_traitsISG_E10value_typeET2_T3_PNSH_ISM_E10value_typeET4_T5_PSR_SS_PNS1_23onesweep_lookback_stateEbbT6_jjT7_P12ihipStream_tbENKUlT_T0_SG_SL_E_clIS7_S7_SB_PlEEDaSZ_S10_SG_SL_EUlSZ_E_NS1_11comp_targetILNS1_3genE2ELNS1_11target_archE906ELNS1_3gpuE6ELNS1_3repE0EEENS1_47radix_sort_onesweep_sort_config_static_selectorELNS0_4arch9wavefront6targetE1EEEvSG_, .Lfunc_end1873-_ZN7rocprim17ROCPRIM_400000_NS6detail17trampoline_kernelINS0_14default_configENS1_35radix_sort_onesweep_config_selectorIflEEZZNS1_29radix_sort_onesweep_iterationIS3_Lb0EPfS7_N6thrust23THRUST_200600_302600_NS10device_ptrIlEESB_jNS0_19identity_decomposerENS1_16block_id_wrapperIjLb0EEEEE10hipError_tT1_PNSt15iterator_traitsISG_E10value_typeET2_T3_PNSH_ISM_E10value_typeET4_T5_PSR_SS_PNS1_23onesweep_lookback_stateEbbT6_jjT7_P12ihipStream_tbENKUlT_T0_SG_SL_E_clIS7_S7_SB_PlEEDaSZ_S10_SG_SL_EUlSZ_E_NS1_11comp_targetILNS1_3genE2ELNS1_11target_archE906ELNS1_3gpuE6ELNS1_3repE0EEENS1_47radix_sort_onesweep_sort_config_static_selectorELNS0_4arch9wavefront6targetE1EEEvSG_
                                        ; -- End function
	.set _ZN7rocprim17ROCPRIM_400000_NS6detail17trampoline_kernelINS0_14default_configENS1_35radix_sort_onesweep_config_selectorIflEEZZNS1_29radix_sort_onesweep_iterationIS3_Lb0EPfS7_N6thrust23THRUST_200600_302600_NS10device_ptrIlEESB_jNS0_19identity_decomposerENS1_16block_id_wrapperIjLb0EEEEE10hipError_tT1_PNSt15iterator_traitsISG_E10value_typeET2_T3_PNSH_ISM_E10value_typeET4_T5_PSR_SS_PNS1_23onesweep_lookback_stateEbbT6_jjT7_P12ihipStream_tbENKUlT_T0_SG_SL_E_clIS7_S7_SB_PlEEDaSZ_S10_SG_SL_EUlSZ_E_NS1_11comp_targetILNS1_3genE2ELNS1_11target_archE906ELNS1_3gpuE6ELNS1_3repE0EEENS1_47radix_sort_onesweep_sort_config_static_selectorELNS0_4arch9wavefront6targetE1EEEvSG_.num_vgpr, 58
	.set _ZN7rocprim17ROCPRIM_400000_NS6detail17trampoline_kernelINS0_14default_configENS1_35radix_sort_onesweep_config_selectorIflEEZZNS1_29radix_sort_onesweep_iterationIS3_Lb0EPfS7_N6thrust23THRUST_200600_302600_NS10device_ptrIlEESB_jNS0_19identity_decomposerENS1_16block_id_wrapperIjLb0EEEEE10hipError_tT1_PNSt15iterator_traitsISG_E10value_typeET2_T3_PNSH_ISM_E10value_typeET4_T5_PSR_SS_PNS1_23onesweep_lookback_stateEbbT6_jjT7_P12ihipStream_tbENKUlT_T0_SG_SL_E_clIS7_S7_SB_PlEEDaSZ_S10_SG_SL_EUlSZ_E_NS1_11comp_targetILNS1_3genE2ELNS1_11target_archE906ELNS1_3gpuE6ELNS1_3repE0EEENS1_47radix_sort_onesweep_sort_config_static_selectorELNS0_4arch9wavefront6targetE1EEEvSG_.num_agpr, 0
	.set _ZN7rocprim17ROCPRIM_400000_NS6detail17trampoline_kernelINS0_14default_configENS1_35radix_sort_onesweep_config_selectorIflEEZZNS1_29radix_sort_onesweep_iterationIS3_Lb0EPfS7_N6thrust23THRUST_200600_302600_NS10device_ptrIlEESB_jNS0_19identity_decomposerENS1_16block_id_wrapperIjLb0EEEEE10hipError_tT1_PNSt15iterator_traitsISG_E10value_typeET2_T3_PNSH_ISM_E10value_typeET4_T5_PSR_SS_PNS1_23onesweep_lookback_stateEbbT6_jjT7_P12ihipStream_tbENKUlT_T0_SG_SL_E_clIS7_S7_SB_PlEEDaSZ_S10_SG_SL_EUlSZ_E_NS1_11comp_targetILNS1_3genE2ELNS1_11target_archE906ELNS1_3gpuE6ELNS1_3repE0EEENS1_47radix_sort_onesweep_sort_config_static_selectorELNS0_4arch9wavefront6targetE1EEEvSG_.numbered_sgpr, 57
	.set _ZN7rocprim17ROCPRIM_400000_NS6detail17trampoline_kernelINS0_14default_configENS1_35radix_sort_onesweep_config_selectorIflEEZZNS1_29radix_sort_onesweep_iterationIS3_Lb0EPfS7_N6thrust23THRUST_200600_302600_NS10device_ptrIlEESB_jNS0_19identity_decomposerENS1_16block_id_wrapperIjLb0EEEEE10hipError_tT1_PNSt15iterator_traitsISG_E10value_typeET2_T3_PNSH_ISM_E10value_typeET4_T5_PSR_SS_PNS1_23onesweep_lookback_stateEbbT6_jjT7_P12ihipStream_tbENKUlT_T0_SG_SL_E_clIS7_S7_SB_PlEEDaSZ_S10_SG_SL_EUlSZ_E_NS1_11comp_targetILNS1_3genE2ELNS1_11target_archE906ELNS1_3gpuE6ELNS1_3repE0EEENS1_47radix_sort_onesweep_sort_config_static_selectorELNS0_4arch9wavefront6targetE1EEEvSG_.num_named_barrier, 0
	.set _ZN7rocprim17ROCPRIM_400000_NS6detail17trampoline_kernelINS0_14default_configENS1_35radix_sort_onesweep_config_selectorIflEEZZNS1_29radix_sort_onesweep_iterationIS3_Lb0EPfS7_N6thrust23THRUST_200600_302600_NS10device_ptrIlEESB_jNS0_19identity_decomposerENS1_16block_id_wrapperIjLb0EEEEE10hipError_tT1_PNSt15iterator_traitsISG_E10value_typeET2_T3_PNSH_ISM_E10value_typeET4_T5_PSR_SS_PNS1_23onesweep_lookback_stateEbbT6_jjT7_P12ihipStream_tbENKUlT_T0_SG_SL_E_clIS7_S7_SB_PlEEDaSZ_S10_SG_SL_EUlSZ_E_NS1_11comp_targetILNS1_3genE2ELNS1_11target_archE906ELNS1_3gpuE6ELNS1_3repE0EEENS1_47radix_sort_onesweep_sort_config_static_selectorELNS0_4arch9wavefront6targetE1EEEvSG_.private_seg_size, 48
	.set _ZN7rocprim17ROCPRIM_400000_NS6detail17trampoline_kernelINS0_14default_configENS1_35radix_sort_onesweep_config_selectorIflEEZZNS1_29radix_sort_onesweep_iterationIS3_Lb0EPfS7_N6thrust23THRUST_200600_302600_NS10device_ptrIlEESB_jNS0_19identity_decomposerENS1_16block_id_wrapperIjLb0EEEEE10hipError_tT1_PNSt15iterator_traitsISG_E10value_typeET2_T3_PNSH_ISM_E10value_typeET4_T5_PSR_SS_PNS1_23onesweep_lookback_stateEbbT6_jjT7_P12ihipStream_tbENKUlT_T0_SG_SL_E_clIS7_S7_SB_PlEEDaSZ_S10_SG_SL_EUlSZ_E_NS1_11comp_targetILNS1_3genE2ELNS1_11target_archE906ELNS1_3gpuE6ELNS1_3repE0EEENS1_47radix_sort_onesweep_sort_config_static_selectorELNS0_4arch9wavefront6targetE1EEEvSG_.uses_vcc, 1
	.set _ZN7rocprim17ROCPRIM_400000_NS6detail17trampoline_kernelINS0_14default_configENS1_35radix_sort_onesweep_config_selectorIflEEZZNS1_29radix_sort_onesweep_iterationIS3_Lb0EPfS7_N6thrust23THRUST_200600_302600_NS10device_ptrIlEESB_jNS0_19identity_decomposerENS1_16block_id_wrapperIjLb0EEEEE10hipError_tT1_PNSt15iterator_traitsISG_E10value_typeET2_T3_PNSH_ISM_E10value_typeET4_T5_PSR_SS_PNS1_23onesweep_lookback_stateEbbT6_jjT7_P12ihipStream_tbENKUlT_T0_SG_SL_E_clIS7_S7_SB_PlEEDaSZ_S10_SG_SL_EUlSZ_E_NS1_11comp_targetILNS1_3genE2ELNS1_11target_archE906ELNS1_3gpuE6ELNS1_3repE0EEENS1_47radix_sort_onesweep_sort_config_static_selectorELNS0_4arch9wavefront6targetE1EEEvSG_.uses_flat_scratch, 0
	.set _ZN7rocprim17ROCPRIM_400000_NS6detail17trampoline_kernelINS0_14default_configENS1_35radix_sort_onesweep_config_selectorIflEEZZNS1_29radix_sort_onesweep_iterationIS3_Lb0EPfS7_N6thrust23THRUST_200600_302600_NS10device_ptrIlEESB_jNS0_19identity_decomposerENS1_16block_id_wrapperIjLb0EEEEE10hipError_tT1_PNSt15iterator_traitsISG_E10value_typeET2_T3_PNSH_ISM_E10value_typeET4_T5_PSR_SS_PNS1_23onesweep_lookback_stateEbbT6_jjT7_P12ihipStream_tbENKUlT_T0_SG_SL_E_clIS7_S7_SB_PlEEDaSZ_S10_SG_SL_EUlSZ_E_NS1_11comp_targetILNS1_3genE2ELNS1_11target_archE906ELNS1_3gpuE6ELNS1_3repE0EEENS1_47radix_sort_onesweep_sort_config_static_selectorELNS0_4arch9wavefront6targetE1EEEvSG_.has_dyn_sized_stack, 0
	.set _ZN7rocprim17ROCPRIM_400000_NS6detail17trampoline_kernelINS0_14default_configENS1_35radix_sort_onesweep_config_selectorIflEEZZNS1_29radix_sort_onesweep_iterationIS3_Lb0EPfS7_N6thrust23THRUST_200600_302600_NS10device_ptrIlEESB_jNS0_19identity_decomposerENS1_16block_id_wrapperIjLb0EEEEE10hipError_tT1_PNSt15iterator_traitsISG_E10value_typeET2_T3_PNSH_ISM_E10value_typeET4_T5_PSR_SS_PNS1_23onesweep_lookback_stateEbbT6_jjT7_P12ihipStream_tbENKUlT_T0_SG_SL_E_clIS7_S7_SB_PlEEDaSZ_S10_SG_SL_EUlSZ_E_NS1_11comp_targetILNS1_3genE2ELNS1_11target_archE906ELNS1_3gpuE6ELNS1_3repE0EEENS1_47radix_sort_onesweep_sort_config_static_selectorELNS0_4arch9wavefront6targetE1EEEvSG_.has_recursion, 0
	.set _ZN7rocprim17ROCPRIM_400000_NS6detail17trampoline_kernelINS0_14default_configENS1_35radix_sort_onesweep_config_selectorIflEEZZNS1_29radix_sort_onesweep_iterationIS3_Lb0EPfS7_N6thrust23THRUST_200600_302600_NS10device_ptrIlEESB_jNS0_19identity_decomposerENS1_16block_id_wrapperIjLb0EEEEE10hipError_tT1_PNSt15iterator_traitsISG_E10value_typeET2_T3_PNSH_ISM_E10value_typeET4_T5_PSR_SS_PNS1_23onesweep_lookback_stateEbbT6_jjT7_P12ihipStream_tbENKUlT_T0_SG_SL_E_clIS7_S7_SB_PlEEDaSZ_S10_SG_SL_EUlSZ_E_NS1_11comp_targetILNS1_3genE2ELNS1_11target_archE906ELNS1_3gpuE6ELNS1_3repE0EEENS1_47radix_sort_onesweep_sort_config_static_selectorELNS0_4arch9wavefront6targetE1EEEvSG_.has_indirect_call, 0
	.section	.AMDGPU.csdata,"",@progbits
; Kernel info:
; codeLenInByte = 12256
; TotalNumSgprs: 61
; NumVgprs: 58
; ScratchSize: 48
; MemoryBound: 0
; FloatMode: 240
; IeeeMode: 1
; LDSByteSize: 10280 bytes/workgroup (compile time only)
; SGPRBlocks: 7
; VGPRBlocks: 14
; NumSGPRsForWavesPerEU: 61
; NumVGPRsForWavesPerEU: 58
; Occupancy: 4
; WaveLimiterHint : 1
; COMPUTE_PGM_RSRC2:SCRATCH_EN: 1
; COMPUTE_PGM_RSRC2:USER_SGPR: 6
; COMPUTE_PGM_RSRC2:TRAP_HANDLER: 0
; COMPUTE_PGM_RSRC2:TGID_X_EN: 1
; COMPUTE_PGM_RSRC2:TGID_Y_EN: 0
; COMPUTE_PGM_RSRC2:TGID_Z_EN: 0
; COMPUTE_PGM_RSRC2:TIDIG_COMP_CNT: 2
	.section	.text._ZN7rocprim17ROCPRIM_400000_NS6detail17trampoline_kernelINS0_14default_configENS1_35radix_sort_onesweep_config_selectorIflEEZZNS1_29radix_sort_onesweep_iterationIS3_Lb0EPfS7_N6thrust23THRUST_200600_302600_NS10device_ptrIlEESB_jNS0_19identity_decomposerENS1_16block_id_wrapperIjLb0EEEEE10hipError_tT1_PNSt15iterator_traitsISG_E10value_typeET2_T3_PNSH_ISM_E10value_typeET4_T5_PSR_SS_PNS1_23onesweep_lookback_stateEbbT6_jjT7_P12ihipStream_tbENKUlT_T0_SG_SL_E_clIS7_S7_SB_PlEEDaSZ_S10_SG_SL_EUlSZ_E_NS1_11comp_targetILNS1_3genE4ELNS1_11target_archE910ELNS1_3gpuE8ELNS1_3repE0EEENS1_47radix_sort_onesweep_sort_config_static_selectorELNS0_4arch9wavefront6targetE1EEEvSG_,"axG",@progbits,_ZN7rocprim17ROCPRIM_400000_NS6detail17trampoline_kernelINS0_14default_configENS1_35radix_sort_onesweep_config_selectorIflEEZZNS1_29radix_sort_onesweep_iterationIS3_Lb0EPfS7_N6thrust23THRUST_200600_302600_NS10device_ptrIlEESB_jNS0_19identity_decomposerENS1_16block_id_wrapperIjLb0EEEEE10hipError_tT1_PNSt15iterator_traitsISG_E10value_typeET2_T3_PNSH_ISM_E10value_typeET4_T5_PSR_SS_PNS1_23onesweep_lookback_stateEbbT6_jjT7_P12ihipStream_tbENKUlT_T0_SG_SL_E_clIS7_S7_SB_PlEEDaSZ_S10_SG_SL_EUlSZ_E_NS1_11comp_targetILNS1_3genE4ELNS1_11target_archE910ELNS1_3gpuE8ELNS1_3repE0EEENS1_47radix_sort_onesweep_sort_config_static_selectorELNS0_4arch9wavefront6targetE1EEEvSG_,comdat
	.protected	_ZN7rocprim17ROCPRIM_400000_NS6detail17trampoline_kernelINS0_14default_configENS1_35radix_sort_onesweep_config_selectorIflEEZZNS1_29radix_sort_onesweep_iterationIS3_Lb0EPfS7_N6thrust23THRUST_200600_302600_NS10device_ptrIlEESB_jNS0_19identity_decomposerENS1_16block_id_wrapperIjLb0EEEEE10hipError_tT1_PNSt15iterator_traitsISG_E10value_typeET2_T3_PNSH_ISM_E10value_typeET4_T5_PSR_SS_PNS1_23onesweep_lookback_stateEbbT6_jjT7_P12ihipStream_tbENKUlT_T0_SG_SL_E_clIS7_S7_SB_PlEEDaSZ_S10_SG_SL_EUlSZ_E_NS1_11comp_targetILNS1_3genE4ELNS1_11target_archE910ELNS1_3gpuE8ELNS1_3repE0EEENS1_47radix_sort_onesweep_sort_config_static_selectorELNS0_4arch9wavefront6targetE1EEEvSG_ ; -- Begin function _ZN7rocprim17ROCPRIM_400000_NS6detail17trampoline_kernelINS0_14default_configENS1_35radix_sort_onesweep_config_selectorIflEEZZNS1_29radix_sort_onesweep_iterationIS3_Lb0EPfS7_N6thrust23THRUST_200600_302600_NS10device_ptrIlEESB_jNS0_19identity_decomposerENS1_16block_id_wrapperIjLb0EEEEE10hipError_tT1_PNSt15iterator_traitsISG_E10value_typeET2_T3_PNSH_ISM_E10value_typeET4_T5_PSR_SS_PNS1_23onesweep_lookback_stateEbbT6_jjT7_P12ihipStream_tbENKUlT_T0_SG_SL_E_clIS7_S7_SB_PlEEDaSZ_S10_SG_SL_EUlSZ_E_NS1_11comp_targetILNS1_3genE4ELNS1_11target_archE910ELNS1_3gpuE8ELNS1_3repE0EEENS1_47radix_sort_onesweep_sort_config_static_selectorELNS0_4arch9wavefront6targetE1EEEvSG_
	.globl	_ZN7rocprim17ROCPRIM_400000_NS6detail17trampoline_kernelINS0_14default_configENS1_35radix_sort_onesweep_config_selectorIflEEZZNS1_29radix_sort_onesweep_iterationIS3_Lb0EPfS7_N6thrust23THRUST_200600_302600_NS10device_ptrIlEESB_jNS0_19identity_decomposerENS1_16block_id_wrapperIjLb0EEEEE10hipError_tT1_PNSt15iterator_traitsISG_E10value_typeET2_T3_PNSH_ISM_E10value_typeET4_T5_PSR_SS_PNS1_23onesweep_lookback_stateEbbT6_jjT7_P12ihipStream_tbENKUlT_T0_SG_SL_E_clIS7_S7_SB_PlEEDaSZ_S10_SG_SL_EUlSZ_E_NS1_11comp_targetILNS1_3genE4ELNS1_11target_archE910ELNS1_3gpuE8ELNS1_3repE0EEENS1_47radix_sort_onesweep_sort_config_static_selectorELNS0_4arch9wavefront6targetE1EEEvSG_
	.p2align	8
	.type	_ZN7rocprim17ROCPRIM_400000_NS6detail17trampoline_kernelINS0_14default_configENS1_35radix_sort_onesweep_config_selectorIflEEZZNS1_29radix_sort_onesweep_iterationIS3_Lb0EPfS7_N6thrust23THRUST_200600_302600_NS10device_ptrIlEESB_jNS0_19identity_decomposerENS1_16block_id_wrapperIjLb0EEEEE10hipError_tT1_PNSt15iterator_traitsISG_E10value_typeET2_T3_PNSH_ISM_E10value_typeET4_T5_PSR_SS_PNS1_23onesweep_lookback_stateEbbT6_jjT7_P12ihipStream_tbENKUlT_T0_SG_SL_E_clIS7_S7_SB_PlEEDaSZ_S10_SG_SL_EUlSZ_E_NS1_11comp_targetILNS1_3genE4ELNS1_11target_archE910ELNS1_3gpuE8ELNS1_3repE0EEENS1_47radix_sort_onesweep_sort_config_static_selectorELNS0_4arch9wavefront6targetE1EEEvSG_,@function
_ZN7rocprim17ROCPRIM_400000_NS6detail17trampoline_kernelINS0_14default_configENS1_35radix_sort_onesweep_config_selectorIflEEZZNS1_29radix_sort_onesweep_iterationIS3_Lb0EPfS7_N6thrust23THRUST_200600_302600_NS10device_ptrIlEESB_jNS0_19identity_decomposerENS1_16block_id_wrapperIjLb0EEEEE10hipError_tT1_PNSt15iterator_traitsISG_E10value_typeET2_T3_PNSH_ISM_E10value_typeET4_T5_PSR_SS_PNS1_23onesweep_lookback_stateEbbT6_jjT7_P12ihipStream_tbENKUlT_T0_SG_SL_E_clIS7_S7_SB_PlEEDaSZ_S10_SG_SL_EUlSZ_E_NS1_11comp_targetILNS1_3genE4ELNS1_11target_archE910ELNS1_3gpuE8ELNS1_3repE0EEENS1_47radix_sort_onesweep_sort_config_static_selectorELNS0_4arch9wavefront6targetE1EEEvSG_: ; @_ZN7rocprim17ROCPRIM_400000_NS6detail17trampoline_kernelINS0_14default_configENS1_35radix_sort_onesweep_config_selectorIflEEZZNS1_29radix_sort_onesweep_iterationIS3_Lb0EPfS7_N6thrust23THRUST_200600_302600_NS10device_ptrIlEESB_jNS0_19identity_decomposerENS1_16block_id_wrapperIjLb0EEEEE10hipError_tT1_PNSt15iterator_traitsISG_E10value_typeET2_T3_PNSH_ISM_E10value_typeET4_T5_PSR_SS_PNS1_23onesweep_lookback_stateEbbT6_jjT7_P12ihipStream_tbENKUlT_T0_SG_SL_E_clIS7_S7_SB_PlEEDaSZ_S10_SG_SL_EUlSZ_E_NS1_11comp_targetILNS1_3genE4ELNS1_11target_archE910ELNS1_3gpuE8ELNS1_3repE0EEENS1_47radix_sort_onesweep_sort_config_static_selectorELNS0_4arch9wavefront6targetE1EEEvSG_
; %bb.0:
	.section	.rodata,"a",@progbits
	.p2align	6, 0x0
	.amdhsa_kernel _ZN7rocprim17ROCPRIM_400000_NS6detail17trampoline_kernelINS0_14default_configENS1_35radix_sort_onesweep_config_selectorIflEEZZNS1_29radix_sort_onesweep_iterationIS3_Lb0EPfS7_N6thrust23THRUST_200600_302600_NS10device_ptrIlEESB_jNS0_19identity_decomposerENS1_16block_id_wrapperIjLb0EEEEE10hipError_tT1_PNSt15iterator_traitsISG_E10value_typeET2_T3_PNSH_ISM_E10value_typeET4_T5_PSR_SS_PNS1_23onesweep_lookback_stateEbbT6_jjT7_P12ihipStream_tbENKUlT_T0_SG_SL_E_clIS7_S7_SB_PlEEDaSZ_S10_SG_SL_EUlSZ_E_NS1_11comp_targetILNS1_3genE4ELNS1_11target_archE910ELNS1_3gpuE8ELNS1_3repE0EEENS1_47radix_sort_onesweep_sort_config_static_selectorELNS0_4arch9wavefront6targetE1EEEvSG_
		.amdhsa_group_segment_fixed_size 0
		.amdhsa_private_segment_fixed_size 0
		.amdhsa_kernarg_size 88
		.amdhsa_user_sgpr_count 6
		.amdhsa_user_sgpr_private_segment_buffer 1
		.amdhsa_user_sgpr_dispatch_ptr 0
		.amdhsa_user_sgpr_queue_ptr 0
		.amdhsa_user_sgpr_kernarg_segment_ptr 1
		.amdhsa_user_sgpr_dispatch_id 0
		.amdhsa_user_sgpr_flat_scratch_init 0
		.amdhsa_user_sgpr_private_segment_size 0
		.amdhsa_uses_dynamic_stack 0
		.amdhsa_system_sgpr_private_segment_wavefront_offset 0
		.amdhsa_system_sgpr_workgroup_id_x 1
		.amdhsa_system_sgpr_workgroup_id_y 0
		.amdhsa_system_sgpr_workgroup_id_z 0
		.amdhsa_system_sgpr_workgroup_info 0
		.amdhsa_system_vgpr_workitem_id 0
		.amdhsa_next_free_vgpr 1
		.amdhsa_next_free_sgpr 0
		.amdhsa_reserve_vcc 0
		.amdhsa_reserve_flat_scratch 0
		.amdhsa_float_round_mode_32 0
		.amdhsa_float_round_mode_16_64 0
		.amdhsa_float_denorm_mode_32 3
		.amdhsa_float_denorm_mode_16_64 3
		.amdhsa_dx10_clamp 1
		.amdhsa_ieee_mode 1
		.amdhsa_fp16_overflow 0
		.amdhsa_exception_fp_ieee_invalid_op 0
		.amdhsa_exception_fp_denorm_src 0
		.amdhsa_exception_fp_ieee_div_zero 0
		.amdhsa_exception_fp_ieee_overflow 0
		.amdhsa_exception_fp_ieee_underflow 0
		.amdhsa_exception_fp_ieee_inexact 0
		.amdhsa_exception_int_div_zero 0
	.end_amdhsa_kernel
	.section	.text._ZN7rocprim17ROCPRIM_400000_NS6detail17trampoline_kernelINS0_14default_configENS1_35radix_sort_onesweep_config_selectorIflEEZZNS1_29radix_sort_onesweep_iterationIS3_Lb0EPfS7_N6thrust23THRUST_200600_302600_NS10device_ptrIlEESB_jNS0_19identity_decomposerENS1_16block_id_wrapperIjLb0EEEEE10hipError_tT1_PNSt15iterator_traitsISG_E10value_typeET2_T3_PNSH_ISM_E10value_typeET4_T5_PSR_SS_PNS1_23onesweep_lookback_stateEbbT6_jjT7_P12ihipStream_tbENKUlT_T0_SG_SL_E_clIS7_S7_SB_PlEEDaSZ_S10_SG_SL_EUlSZ_E_NS1_11comp_targetILNS1_3genE4ELNS1_11target_archE910ELNS1_3gpuE8ELNS1_3repE0EEENS1_47radix_sort_onesweep_sort_config_static_selectorELNS0_4arch9wavefront6targetE1EEEvSG_,"axG",@progbits,_ZN7rocprim17ROCPRIM_400000_NS6detail17trampoline_kernelINS0_14default_configENS1_35radix_sort_onesweep_config_selectorIflEEZZNS1_29radix_sort_onesweep_iterationIS3_Lb0EPfS7_N6thrust23THRUST_200600_302600_NS10device_ptrIlEESB_jNS0_19identity_decomposerENS1_16block_id_wrapperIjLb0EEEEE10hipError_tT1_PNSt15iterator_traitsISG_E10value_typeET2_T3_PNSH_ISM_E10value_typeET4_T5_PSR_SS_PNS1_23onesweep_lookback_stateEbbT6_jjT7_P12ihipStream_tbENKUlT_T0_SG_SL_E_clIS7_S7_SB_PlEEDaSZ_S10_SG_SL_EUlSZ_E_NS1_11comp_targetILNS1_3genE4ELNS1_11target_archE910ELNS1_3gpuE8ELNS1_3repE0EEENS1_47radix_sort_onesweep_sort_config_static_selectorELNS0_4arch9wavefront6targetE1EEEvSG_,comdat
.Lfunc_end1874:
	.size	_ZN7rocprim17ROCPRIM_400000_NS6detail17trampoline_kernelINS0_14default_configENS1_35radix_sort_onesweep_config_selectorIflEEZZNS1_29radix_sort_onesweep_iterationIS3_Lb0EPfS7_N6thrust23THRUST_200600_302600_NS10device_ptrIlEESB_jNS0_19identity_decomposerENS1_16block_id_wrapperIjLb0EEEEE10hipError_tT1_PNSt15iterator_traitsISG_E10value_typeET2_T3_PNSH_ISM_E10value_typeET4_T5_PSR_SS_PNS1_23onesweep_lookback_stateEbbT6_jjT7_P12ihipStream_tbENKUlT_T0_SG_SL_E_clIS7_S7_SB_PlEEDaSZ_S10_SG_SL_EUlSZ_E_NS1_11comp_targetILNS1_3genE4ELNS1_11target_archE910ELNS1_3gpuE8ELNS1_3repE0EEENS1_47radix_sort_onesweep_sort_config_static_selectorELNS0_4arch9wavefront6targetE1EEEvSG_, .Lfunc_end1874-_ZN7rocprim17ROCPRIM_400000_NS6detail17trampoline_kernelINS0_14default_configENS1_35radix_sort_onesweep_config_selectorIflEEZZNS1_29radix_sort_onesweep_iterationIS3_Lb0EPfS7_N6thrust23THRUST_200600_302600_NS10device_ptrIlEESB_jNS0_19identity_decomposerENS1_16block_id_wrapperIjLb0EEEEE10hipError_tT1_PNSt15iterator_traitsISG_E10value_typeET2_T3_PNSH_ISM_E10value_typeET4_T5_PSR_SS_PNS1_23onesweep_lookback_stateEbbT6_jjT7_P12ihipStream_tbENKUlT_T0_SG_SL_E_clIS7_S7_SB_PlEEDaSZ_S10_SG_SL_EUlSZ_E_NS1_11comp_targetILNS1_3genE4ELNS1_11target_archE910ELNS1_3gpuE8ELNS1_3repE0EEENS1_47radix_sort_onesweep_sort_config_static_selectorELNS0_4arch9wavefront6targetE1EEEvSG_
                                        ; -- End function
	.set _ZN7rocprim17ROCPRIM_400000_NS6detail17trampoline_kernelINS0_14default_configENS1_35radix_sort_onesweep_config_selectorIflEEZZNS1_29radix_sort_onesweep_iterationIS3_Lb0EPfS7_N6thrust23THRUST_200600_302600_NS10device_ptrIlEESB_jNS0_19identity_decomposerENS1_16block_id_wrapperIjLb0EEEEE10hipError_tT1_PNSt15iterator_traitsISG_E10value_typeET2_T3_PNSH_ISM_E10value_typeET4_T5_PSR_SS_PNS1_23onesweep_lookback_stateEbbT6_jjT7_P12ihipStream_tbENKUlT_T0_SG_SL_E_clIS7_S7_SB_PlEEDaSZ_S10_SG_SL_EUlSZ_E_NS1_11comp_targetILNS1_3genE4ELNS1_11target_archE910ELNS1_3gpuE8ELNS1_3repE0EEENS1_47radix_sort_onesweep_sort_config_static_selectorELNS0_4arch9wavefront6targetE1EEEvSG_.num_vgpr, 0
	.set _ZN7rocprim17ROCPRIM_400000_NS6detail17trampoline_kernelINS0_14default_configENS1_35radix_sort_onesweep_config_selectorIflEEZZNS1_29radix_sort_onesweep_iterationIS3_Lb0EPfS7_N6thrust23THRUST_200600_302600_NS10device_ptrIlEESB_jNS0_19identity_decomposerENS1_16block_id_wrapperIjLb0EEEEE10hipError_tT1_PNSt15iterator_traitsISG_E10value_typeET2_T3_PNSH_ISM_E10value_typeET4_T5_PSR_SS_PNS1_23onesweep_lookback_stateEbbT6_jjT7_P12ihipStream_tbENKUlT_T0_SG_SL_E_clIS7_S7_SB_PlEEDaSZ_S10_SG_SL_EUlSZ_E_NS1_11comp_targetILNS1_3genE4ELNS1_11target_archE910ELNS1_3gpuE8ELNS1_3repE0EEENS1_47radix_sort_onesweep_sort_config_static_selectorELNS0_4arch9wavefront6targetE1EEEvSG_.num_agpr, 0
	.set _ZN7rocprim17ROCPRIM_400000_NS6detail17trampoline_kernelINS0_14default_configENS1_35radix_sort_onesweep_config_selectorIflEEZZNS1_29radix_sort_onesweep_iterationIS3_Lb0EPfS7_N6thrust23THRUST_200600_302600_NS10device_ptrIlEESB_jNS0_19identity_decomposerENS1_16block_id_wrapperIjLb0EEEEE10hipError_tT1_PNSt15iterator_traitsISG_E10value_typeET2_T3_PNSH_ISM_E10value_typeET4_T5_PSR_SS_PNS1_23onesweep_lookback_stateEbbT6_jjT7_P12ihipStream_tbENKUlT_T0_SG_SL_E_clIS7_S7_SB_PlEEDaSZ_S10_SG_SL_EUlSZ_E_NS1_11comp_targetILNS1_3genE4ELNS1_11target_archE910ELNS1_3gpuE8ELNS1_3repE0EEENS1_47radix_sort_onesweep_sort_config_static_selectorELNS0_4arch9wavefront6targetE1EEEvSG_.numbered_sgpr, 0
	.set _ZN7rocprim17ROCPRIM_400000_NS6detail17trampoline_kernelINS0_14default_configENS1_35radix_sort_onesweep_config_selectorIflEEZZNS1_29radix_sort_onesweep_iterationIS3_Lb0EPfS7_N6thrust23THRUST_200600_302600_NS10device_ptrIlEESB_jNS0_19identity_decomposerENS1_16block_id_wrapperIjLb0EEEEE10hipError_tT1_PNSt15iterator_traitsISG_E10value_typeET2_T3_PNSH_ISM_E10value_typeET4_T5_PSR_SS_PNS1_23onesweep_lookback_stateEbbT6_jjT7_P12ihipStream_tbENKUlT_T0_SG_SL_E_clIS7_S7_SB_PlEEDaSZ_S10_SG_SL_EUlSZ_E_NS1_11comp_targetILNS1_3genE4ELNS1_11target_archE910ELNS1_3gpuE8ELNS1_3repE0EEENS1_47radix_sort_onesweep_sort_config_static_selectorELNS0_4arch9wavefront6targetE1EEEvSG_.num_named_barrier, 0
	.set _ZN7rocprim17ROCPRIM_400000_NS6detail17trampoline_kernelINS0_14default_configENS1_35radix_sort_onesweep_config_selectorIflEEZZNS1_29radix_sort_onesweep_iterationIS3_Lb0EPfS7_N6thrust23THRUST_200600_302600_NS10device_ptrIlEESB_jNS0_19identity_decomposerENS1_16block_id_wrapperIjLb0EEEEE10hipError_tT1_PNSt15iterator_traitsISG_E10value_typeET2_T3_PNSH_ISM_E10value_typeET4_T5_PSR_SS_PNS1_23onesweep_lookback_stateEbbT6_jjT7_P12ihipStream_tbENKUlT_T0_SG_SL_E_clIS7_S7_SB_PlEEDaSZ_S10_SG_SL_EUlSZ_E_NS1_11comp_targetILNS1_3genE4ELNS1_11target_archE910ELNS1_3gpuE8ELNS1_3repE0EEENS1_47radix_sort_onesweep_sort_config_static_selectorELNS0_4arch9wavefront6targetE1EEEvSG_.private_seg_size, 0
	.set _ZN7rocprim17ROCPRIM_400000_NS6detail17trampoline_kernelINS0_14default_configENS1_35radix_sort_onesweep_config_selectorIflEEZZNS1_29radix_sort_onesweep_iterationIS3_Lb0EPfS7_N6thrust23THRUST_200600_302600_NS10device_ptrIlEESB_jNS0_19identity_decomposerENS1_16block_id_wrapperIjLb0EEEEE10hipError_tT1_PNSt15iterator_traitsISG_E10value_typeET2_T3_PNSH_ISM_E10value_typeET4_T5_PSR_SS_PNS1_23onesweep_lookback_stateEbbT6_jjT7_P12ihipStream_tbENKUlT_T0_SG_SL_E_clIS7_S7_SB_PlEEDaSZ_S10_SG_SL_EUlSZ_E_NS1_11comp_targetILNS1_3genE4ELNS1_11target_archE910ELNS1_3gpuE8ELNS1_3repE0EEENS1_47radix_sort_onesweep_sort_config_static_selectorELNS0_4arch9wavefront6targetE1EEEvSG_.uses_vcc, 0
	.set _ZN7rocprim17ROCPRIM_400000_NS6detail17trampoline_kernelINS0_14default_configENS1_35radix_sort_onesweep_config_selectorIflEEZZNS1_29radix_sort_onesweep_iterationIS3_Lb0EPfS7_N6thrust23THRUST_200600_302600_NS10device_ptrIlEESB_jNS0_19identity_decomposerENS1_16block_id_wrapperIjLb0EEEEE10hipError_tT1_PNSt15iterator_traitsISG_E10value_typeET2_T3_PNSH_ISM_E10value_typeET4_T5_PSR_SS_PNS1_23onesweep_lookback_stateEbbT6_jjT7_P12ihipStream_tbENKUlT_T0_SG_SL_E_clIS7_S7_SB_PlEEDaSZ_S10_SG_SL_EUlSZ_E_NS1_11comp_targetILNS1_3genE4ELNS1_11target_archE910ELNS1_3gpuE8ELNS1_3repE0EEENS1_47radix_sort_onesweep_sort_config_static_selectorELNS0_4arch9wavefront6targetE1EEEvSG_.uses_flat_scratch, 0
	.set _ZN7rocprim17ROCPRIM_400000_NS6detail17trampoline_kernelINS0_14default_configENS1_35radix_sort_onesweep_config_selectorIflEEZZNS1_29radix_sort_onesweep_iterationIS3_Lb0EPfS7_N6thrust23THRUST_200600_302600_NS10device_ptrIlEESB_jNS0_19identity_decomposerENS1_16block_id_wrapperIjLb0EEEEE10hipError_tT1_PNSt15iterator_traitsISG_E10value_typeET2_T3_PNSH_ISM_E10value_typeET4_T5_PSR_SS_PNS1_23onesweep_lookback_stateEbbT6_jjT7_P12ihipStream_tbENKUlT_T0_SG_SL_E_clIS7_S7_SB_PlEEDaSZ_S10_SG_SL_EUlSZ_E_NS1_11comp_targetILNS1_3genE4ELNS1_11target_archE910ELNS1_3gpuE8ELNS1_3repE0EEENS1_47radix_sort_onesweep_sort_config_static_selectorELNS0_4arch9wavefront6targetE1EEEvSG_.has_dyn_sized_stack, 0
	.set _ZN7rocprim17ROCPRIM_400000_NS6detail17trampoline_kernelINS0_14default_configENS1_35radix_sort_onesweep_config_selectorIflEEZZNS1_29radix_sort_onesweep_iterationIS3_Lb0EPfS7_N6thrust23THRUST_200600_302600_NS10device_ptrIlEESB_jNS0_19identity_decomposerENS1_16block_id_wrapperIjLb0EEEEE10hipError_tT1_PNSt15iterator_traitsISG_E10value_typeET2_T3_PNSH_ISM_E10value_typeET4_T5_PSR_SS_PNS1_23onesweep_lookback_stateEbbT6_jjT7_P12ihipStream_tbENKUlT_T0_SG_SL_E_clIS7_S7_SB_PlEEDaSZ_S10_SG_SL_EUlSZ_E_NS1_11comp_targetILNS1_3genE4ELNS1_11target_archE910ELNS1_3gpuE8ELNS1_3repE0EEENS1_47radix_sort_onesweep_sort_config_static_selectorELNS0_4arch9wavefront6targetE1EEEvSG_.has_recursion, 0
	.set _ZN7rocprim17ROCPRIM_400000_NS6detail17trampoline_kernelINS0_14default_configENS1_35radix_sort_onesweep_config_selectorIflEEZZNS1_29radix_sort_onesweep_iterationIS3_Lb0EPfS7_N6thrust23THRUST_200600_302600_NS10device_ptrIlEESB_jNS0_19identity_decomposerENS1_16block_id_wrapperIjLb0EEEEE10hipError_tT1_PNSt15iterator_traitsISG_E10value_typeET2_T3_PNSH_ISM_E10value_typeET4_T5_PSR_SS_PNS1_23onesweep_lookback_stateEbbT6_jjT7_P12ihipStream_tbENKUlT_T0_SG_SL_E_clIS7_S7_SB_PlEEDaSZ_S10_SG_SL_EUlSZ_E_NS1_11comp_targetILNS1_3genE4ELNS1_11target_archE910ELNS1_3gpuE8ELNS1_3repE0EEENS1_47radix_sort_onesweep_sort_config_static_selectorELNS0_4arch9wavefront6targetE1EEEvSG_.has_indirect_call, 0
	.section	.AMDGPU.csdata,"",@progbits
; Kernel info:
; codeLenInByte = 0
; TotalNumSgprs: 4
; NumVgprs: 0
; ScratchSize: 0
; MemoryBound: 0
; FloatMode: 240
; IeeeMode: 1
; LDSByteSize: 0 bytes/workgroup (compile time only)
; SGPRBlocks: 0
; VGPRBlocks: 0
; NumSGPRsForWavesPerEU: 4
; NumVGPRsForWavesPerEU: 1
; Occupancy: 10
; WaveLimiterHint : 0
; COMPUTE_PGM_RSRC2:SCRATCH_EN: 0
; COMPUTE_PGM_RSRC2:USER_SGPR: 6
; COMPUTE_PGM_RSRC2:TRAP_HANDLER: 0
; COMPUTE_PGM_RSRC2:TGID_X_EN: 1
; COMPUTE_PGM_RSRC2:TGID_Y_EN: 0
; COMPUTE_PGM_RSRC2:TGID_Z_EN: 0
; COMPUTE_PGM_RSRC2:TIDIG_COMP_CNT: 0
	.section	.text._ZN7rocprim17ROCPRIM_400000_NS6detail17trampoline_kernelINS0_14default_configENS1_35radix_sort_onesweep_config_selectorIflEEZZNS1_29radix_sort_onesweep_iterationIS3_Lb0EPfS7_N6thrust23THRUST_200600_302600_NS10device_ptrIlEESB_jNS0_19identity_decomposerENS1_16block_id_wrapperIjLb0EEEEE10hipError_tT1_PNSt15iterator_traitsISG_E10value_typeET2_T3_PNSH_ISM_E10value_typeET4_T5_PSR_SS_PNS1_23onesweep_lookback_stateEbbT6_jjT7_P12ihipStream_tbENKUlT_T0_SG_SL_E_clIS7_S7_SB_PlEEDaSZ_S10_SG_SL_EUlSZ_E_NS1_11comp_targetILNS1_3genE3ELNS1_11target_archE908ELNS1_3gpuE7ELNS1_3repE0EEENS1_47radix_sort_onesweep_sort_config_static_selectorELNS0_4arch9wavefront6targetE1EEEvSG_,"axG",@progbits,_ZN7rocprim17ROCPRIM_400000_NS6detail17trampoline_kernelINS0_14default_configENS1_35radix_sort_onesweep_config_selectorIflEEZZNS1_29radix_sort_onesweep_iterationIS3_Lb0EPfS7_N6thrust23THRUST_200600_302600_NS10device_ptrIlEESB_jNS0_19identity_decomposerENS1_16block_id_wrapperIjLb0EEEEE10hipError_tT1_PNSt15iterator_traitsISG_E10value_typeET2_T3_PNSH_ISM_E10value_typeET4_T5_PSR_SS_PNS1_23onesweep_lookback_stateEbbT6_jjT7_P12ihipStream_tbENKUlT_T0_SG_SL_E_clIS7_S7_SB_PlEEDaSZ_S10_SG_SL_EUlSZ_E_NS1_11comp_targetILNS1_3genE3ELNS1_11target_archE908ELNS1_3gpuE7ELNS1_3repE0EEENS1_47radix_sort_onesweep_sort_config_static_selectorELNS0_4arch9wavefront6targetE1EEEvSG_,comdat
	.protected	_ZN7rocprim17ROCPRIM_400000_NS6detail17trampoline_kernelINS0_14default_configENS1_35radix_sort_onesweep_config_selectorIflEEZZNS1_29radix_sort_onesweep_iterationIS3_Lb0EPfS7_N6thrust23THRUST_200600_302600_NS10device_ptrIlEESB_jNS0_19identity_decomposerENS1_16block_id_wrapperIjLb0EEEEE10hipError_tT1_PNSt15iterator_traitsISG_E10value_typeET2_T3_PNSH_ISM_E10value_typeET4_T5_PSR_SS_PNS1_23onesweep_lookback_stateEbbT6_jjT7_P12ihipStream_tbENKUlT_T0_SG_SL_E_clIS7_S7_SB_PlEEDaSZ_S10_SG_SL_EUlSZ_E_NS1_11comp_targetILNS1_3genE3ELNS1_11target_archE908ELNS1_3gpuE7ELNS1_3repE0EEENS1_47radix_sort_onesweep_sort_config_static_selectorELNS0_4arch9wavefront6targetE1EEEvSG_ ; -- Begin function _ZN7rocprim17ROCPRIM_400000_NS6detail17trampoline_kernelINS0_14default_configENS1_35radix_sort_onesweep_config_selectorIflEEZZNS1_29radix_sort_onesweep_iterationIS3_Lb0EPfS7_N6thrust23THRUST_200600_302600_NS10device_ptrIlEESB_jNS0_19identity_decomposerENS1_16block_id_wrapperIjLb0EEEEE10hipError_tT1_PNSt15iterator_traitsISG_E10value_typeET2_T3_PNSH_ISM_E10value_typeET4_T5_PSR_SS_PNS1_23onesweep_lookback_stateEbbT6_jjT7_P12ihipStream_tbENKUlT_T0_SG_SL_E_clIS7_S7_SB_PlEEDaSZ_S10_SG_SL_EUlSZ_E_NS1_11comp_targetILNS1_3genE3ELNS1_11target_archE908ELNS1_3gpuE7ELNS1_3repE0EEENS1_47radix_sort_onesweep_sort_config_static_selectorELNS0_4arch9wavefront6targetE1EEEvSG_
	.globl	_ZN7rocprim17ROCPRIM_400000_NS6detail17trampoline_kernelINS0_14default_configENS1_35radix_sort_onesweep_config_selectorIflEEZZNS1_29radix_sort_onesweep_iterationIS3_Lb0EPfS7_N6thrust23THRUST_200600_302600_NS10device_ptrIlEESB_jNS0_19identity_decomposerENS1_16block_id_wrapperIjLb0EEEEE10hipError_tT1_PNSt15iterator_traitsISG_E10value_typeET2_T3_PNSH_ISM_E10value_typeET4_T5_PSR_SS_PNS1_23onesweep_lookback_stateEbbT6_jjT7_P12ihipStream_tbENKUlT_T0_SG_SL_E_clIS7_S7_SB_PlEEDaSZ_S10_SG_SL_EUlSZ_E_NS1_11comp_targetILNS1_3genE3ELNS1_11target_archE908ELNS1_3gpuE7ELNS1_3repE0EEENS1_47radix_sort_onesweep_sort_config_static_selectorELNS0_4arch9wavefront6targetE1EEEvSG_
	.p2align	8
	.type	_ZN7rocprim17ROCPRIM_400000_NS6detail17trampoline_kernelINS0_14default_configENS1_35radix_sort_onesweep_config_selectorIflEEZZNS1_29radix_sort_onesweep_iterationIS3_Lb0EPfS7_N6thrust23THRUST_200600_302600_NS10device_ptrIlEESB_jNS0_19identity_decomposerENS1_16block_id_wrapperIjLb0EEEEE10hipError_tT1_PNSt15iterator_traitsISG_E10value_typeET2_T3_PNSH_ISM_E10value_typeET4_T5_PSR_SS_PNS1_23onesweep_lookback_stateEbbT6_jjT7_P12ihipStream_tbENKUlT_T0_SG_SL_E_clIS7_S7_SB_PlEEDaSZ_S10_SG_SL_EUlSZ_E_NS1_11comp_targetILNS1_3genE3ELNS1_11target_archE908ELNS1_3gpuE7ELNS1_3repE0EEENS1_47radix_sort_onesweep_sort_config_static_selectorELNS0_4arch9wavefront6targetE1EEEvSG_,@function
_ZN7rocprim17ROCPRIM_400000_NS6detail17trampoline_kernelINS0_14default_configENS1_35radix_sort_onesweep_config_selectorIflEEZZNS1_29radix_sort_onesweep_iterationIS3_Lb0EPfS7_N6thrust23THRUST_200600_302600_NS10device_ptrIlEESB_jNS0_19identity_decomposerENS1_16block_id_wrapperIjLb0EEEEE10hipError_tT1_PNSt15iterator_traitsISG_E10value_typeET2_T3_PNSH_ISM_E10value_typeET4_T5_PSR_SS_PNS1_23onesweep_lookback_stateEbbT6_jjT7_P12ihipStream_tbENKUlT_T0_SG_SL_E_clIS7_S7_SB_PlEEDaSZ_S10_SG_SL_EUlSZ_E_NS1_11comp_targetILNS1_3genE3ELNS1_11target_archE908ELNS1_3gpuE7ELNS1_3repE0EEENS1_47radix_sort_onesweep_sort_config_static_selectorELNS0_4arch9wavefront6targetE1EEEvSG_: ; @_ZN7rocprim17ROCPRIM_400000_NS6detail17trampoline_kernelINS0_14default_configENS1_35radix_sort_onesweep_config_selectorIflEEZZNS1_29radix_sort_onesweep_iterationIS3_Lb0EPfS7_N6thrust23THRUST_200600_302600_NS10device_ptrIlEESB_jNS0_19identity_decomposerENS1_16block_id_wrapperIjLb0EEEEE10hipError_tT1_PNSt15iterator_traitsISG_E10value_typeET2_T3_PNSH_ISM_E10value_typeET4_T5_PSR_SS_PNS1_23onesweep_lookback_stateEbbT6_jjT7_P12ihipStream_tbENKUlT_T0_SG_SL_E_clIS7_S7_SB_PlEEDaSZ_S10_SG_SL_EUlSZ_E_NS1_11comp_targetILNS1_3genE3ELNS1_11target_archE908ELNS1_3gpuE7ELNS1_3repE0EEENS1_47radix_sort_onesweep_sort_config_static_selectorELNS0_4arch9wavefront6targetE1EEEvSG_
; %bb.0:
	.section	.rodata,"a",@progbits
	.p2align	6, 0x0
	.amdhsa_kernel _ZN7rocprim17ROCPRIM_400000_NS6detail17trampoline_kernelINS0_14default_configENS1_35radix_sort_onesweep_config_selectorIflEEZZNS1_29radix_sort_onesweep_iterationIS3_Lb0EPfS7_N6thrust23THRUST_200600_302600_NS10device_ptrIlEESB_jNS0_19identity_decomposerENS1_16block_id_wrapperIjLb0EEEEE10hipError_tT1_PNSt15iterator_traitsISG_E10value_typeET2_T3_PNSH_ISM_E10value_typeET4_T5_PSR_SS_PNS1_23onesweep_lookback_stateEbbT6_jjT7_P12ihipStream_tbENKUlT_T0_SG_SL_E_clIS7_S7_SB_PlEEDaSZ_S10_SG_SL_EUlSZ_E_NS1_11comp_targetILNS1_3genE3ELNS1_11target_archE908ELNS1_3gpuE7ELNS1_3repE0EEENS1_47radix_sort_onesweep_sort_config_static_selectorELNS0_4arch9wavefront6targetE1EEEvSG_
		.amdhsa_group_segment_fixed_size 0
		.amdhsa_private_segment_fixed_size 0
		.amdhsa_kernarg_size 88
		.amdhsa_user_sgpr_count 6
		.amdhsa_user_sgpr_private_segment_buffer 1
		.amdhsa_user_sgpr_dispatch_ptr 0
		.amdhsa_user_sgpr_queue_ptr 0
		.amdhsa_user_sgpr_kernarg_segment_ptr 1
		.amdhsa_user_sgpr_dispatch_id 0
		.amdhsa_user_sgpr_flat_scratch_init 0
		.amdhsa_user_sgpr_private_segment_size 0
		.amdhsa_uses_dynamic_stack 0
		.amdhsa_system_sgpr_private_segment_wavefront_offset 0
		.amdhsa_system_sgpr_workgroup_id_x 1
		.amdhsa_system_sgpr_workgroup_id_y 0
		.amdhsa_system_sgpr_workgroup_id_z 0
		.amdhsa_system_sgpr_workgroup_info 0
		.amdhsa_system_vgpr_workitem_id 0
		.amdhsa_next_free_vgpr 1
		.amdhsa_next_free_sgpr 0
		.amdhsa_reserve_vcc 0
		.amdhsa_reserve_flat_scratch 0
		.amdhsa_float_round_mode_32 0
		.amdhsa_float_round_mode_16_64 0
		.amdhsa_float_denorm_mode_32 3
		.amdhsa_float_denorm_mode_16_64 3
		.amdhsa_dx10_clamp 1
		.amdhsa_ieee_mode 1
		.amdhsa_fp16_overflow 0
		.amdhsa_exception_fp_ieee_invalid_op 0
		.amdhsa_exception_fp_denorm_src 0
		.amdhsa_exception_fp_ieee_div_zero 0
		.amdhsa_exception_fp_ieee_overflow 0
		.amdhsa_exception_fp_ieee_underflow 0
		.amdhsa_exception_fp_ieee_inexact 0
		.amdhsa_exception_int_div_zero 0
	.end_amdhsa_kernel
	.section	.text._ZN7rocprim17ROCPRIM_400000_NS6detail17trampoline_kernelINS0_14default_configENS1_35radix_sort_onesweep_config_selectorIflEEZZNS1_29radix_sort_onesweep_iterationIS3_Lb0EPfS7_N6thrust23THRUST_200600_302600_NS10device_ptrIlEESB_jNS0_19identity_decomposerENS1_16block_id_wrapperIjLb0EEEEE10hipError_tT1_PNSt15iterator_traitsISG_E10value_typeET2_T3_PNSH_ISM_E10value_typeET4_T5_PSR_SS_PNS1_23onesweep_lookback_stateEbbT6_jjT7_P12ihipStream_tbENKUlT_T0_SG_SL_E_clIS7_S7_SB_PlEEDaSZ_S10_SG_SL_EUlSZ_E_NS1_11comp_targetILNS1_3genE3ELNS1_11target_archE908ELNS1_3gpuE7ELNS1_3repE0EEENS1_47radix_sort_onesweep_sort_config_static_selectorELNS0_4arch9wavefront6targetE1EEEvSG_,"axG",@progbits,_ZN7rocprim17ROCPRIM_400000_NS6detail17trampoline_kernelINS0_14default_configENS1_35radix_sort_onesweep_config_selectorIflEEZZNS1_29radix_sort_onesweep_iterationIS3_Lb0EPfS7_N6thrust23THRUST_200600_302600_NS10device_ptrIlEESB_jNS0_19identity_decomposerENS1_16block_id_wrapperIjLb0EEEEE10hipError_tT1_PNSt15iterator_traitsISG_E10value_typeET2_T3_PNSH_ISM_E10value_typeET4_T5_PSR_SS_PNS1_23onesweep_lookback_stateEbbT6_jjT7_P12ihipStream_tbENKUlT_T0_SG_SL_E_clIS7_S7_SB_PlEEDaSZ_S10_SG_SL_EUlSZ_E_NS1_11comp_targetILNS1_3genE3ELNS1_11target_archE908ELNS1_3gpuE7ELNS1_3repE0EEENS1_47radix_sort_onesweep_sort_config_static_selectorELNS0_4arch9wavefront6targetE1EEEvSG_,comdat
.Lfunc_end1875:
	.size	_ZN7rocprim17ROCPRIM_400000_NS6detail17trampoline_kernelINS0_14default_configENS1_35radix_sort_onesweep_config_selectorIflEEZZNS1_29radix_sort_onesweep_iterationIS3_Lb0EPfS7_N6thrust23THRUST_200600_302600_NS10device_ptrIlEESB_jNS0_19identity_decomposerENS1_16block_id_wrapperIjLb0EEEEE10hipError_tT1_PNSt15iterator_traitsISG_E10value_typeET2_T3_PNSH_ISM_E10value_typeET4_T5_PSR_SS_PNS1_23onesweep_lookback_stateEbbT6_jjT7_P12ihipStream_tbENKUlT_T0_SG_SL_E_clIS7_S7_SB_PlEEDaSZ_S10_SG_SL_EUlSZ_E_NS1_11comp_targetILNS1_3genE3ELNS1_11target_archE908ELNS1_3gpuE7ELNS1_3repE0EEENS1_47radix_sort_onesweep_sort_config_static_selectorELNS0_4arch9wavefront6targetE1EEEvSG_, .Lfunc_end1875-_ZN7rocprim17ROCPRIM_400000_NS6detail17trampoline_kernelINS0_14default_configENS1_35radix_sort_onesweep_config_selectorIflEEZZNS1_29radix_sort_onesweep_iterationIS3_Lb0EPfS7_N6thrust23THRUST_200600_302600_NS10device_ptrIlEESB_jNS0_19identity_decomposerENS1_16block_id_wrapperIjLb0EEEEE10hipError_tT1_PNSt15iterator_traitsISG_E10value_typeET2_T3_PNSH_ISM_E10value_typeET4_T5_PSR_SS_PNS1_23onesweep_lookback_stateEbbT6_jjT7_P12ihipStream_tbENKUlT_T0_SG_SL_E_clIS7_S7_SB_PlEEDaSZ_S10_SG_SL_EUlSZ_E_NS1_11comp_targetILNS1_3genE3ELNS1_11target_archE908ELNS1_3gpuE7ELNS1_3repE0EEENS1_47radix_sort_onesweep_sort_config_static_selectorELNS0_4arch9wavefront6targetE1EEEvSG_
                                        ; -- End function
	.set _ZN7rocprim17ROCPRIM_400000_NS6detail17trampoline_kernelINS0_14default_configENS1_35radix_sort_onesweep_config_selectorIflEEZZNS1_29radix_sort_onesweep_iterationIS3_Lb0EPfS7_N6thrust23THRUST_200600_302600_NS10device_ptrIlEESB_jNS0_19identity_decomposerENS1_16block_id_wrapperIjLb0EEEEE10hipError_tT1_PNSt15iterator_traitsISG_E10value_typeET2_T3_PNSH_ISM_E10value_typeET4_T5_PSR_SS_PNS1_23onesweep_lookback_stateEbbT6_jjT7_P12ihipStream_tbENKUlT_T0_SG_SL_E_clIS7_S7_SB_PlEEDaSZ_S10_SG_SL_EUlSZ_E_NS1_11comp_targetILNS1_3genE3ELNS1_11target_archE908ELNS1_3gpuE7ELNS1_3repE0EEENS1_47radix_sort_onesweep_sort_config_static_selectorELNS0_4arch9wavefront6targetE1EEEvSG_.num_vgpr, 0
	.set _ZN7rocprim17ROCPRIM_400000_NS6detail17trampoline_kernelINS0_14default_configENS1_35radix_sort_onesweep_config_selectorIflEEZZNS1_29radix_sort_onesweep_iterationIS3_Lb0EPfS7_N6thrust23THRUST_200600_302600_NS10device_ptrIlEESB_jNS0_19identity_decomposerENS1_16block_id_wrapperIjLb0EEEEE10hipError_tT1_PNSt15iterator_traitsISG_E10value_typeET2_T3_PNSH_ISM_E10value_typeET4_T5_PSR_SS_PNS1_23onesweep_lookback_stateEbbT6_jjT7_P12ihipStream_tbENKUlT_T0_SG_SL_E_clIS7_S7_SB_PlEEDaSZ_S10_SG_SL_EUlSZ_E_NS1_11comp_targetILNS1_3genE3ELNS1_11target_archE908ELNS1_3gpuE7ELNS1_3repE0EEENS1_47radix_sort_onesweep_sort_config_static_selectorELNS0_4arch9wavefront6targetE1EEEvSG_.num_agpr, 0
	.set _ZN7rocprim17ROCPRIM_400000_NS6detail17trampoline_kernelINS0_14default_configENS1_35radix_sort_onesweep_config_selectorIflEEZZNS1_29radix_sort_onesweep_iterationIS3_Lb0EPfS7_N6thrust23THRUST_200600_302600_NS10device_ptrIlEESB_jNS0_19identity_decomposerENS1_16block_id_wrapperIjLb0EEEEE10hipError_tT1_PNSt15iterator_traitsISG_E10value_typeET2_T3_PNSH_ISM_E10value_typeET4_T5_PSR_SS_PNS1_23onesweep_lookback_stateEbbT6_jjT7_P12ihipStream_tbENKUlT_T0_SG_SL_E_clIS7_S7_SB_PlEEDaSZ_S10_SG_SL_EUlSZ_E_NS1_11comp_targetILNS1_3genE3ELNS1_11target_archE908ELNS1_3gpuE7ELNS1_3repE0EEENS1_47radix_sort_onesweep_sort_config_static_selectorELNS0_4arch9wavefront6targetE1EEEvSG_.numbered_sgpr, 0
	.set _ZN7rocprim17ROCPRIM_400000_NS6detail17trampoline_kernelINS0_14default_configENS1_35radix_sort_onesweep_config_selectorIflEEZZNS1_29radix_sort_onesweep_iterationIS3_Lb0EPfS7_N6thrust23THRUST_200600_302600_NS10device_ptrIlEESB_jNS0_19identity_decomposerENS1_16block_id_wrapperIjLb0EEEEE10hipError_tT1_PNSt15iterator_traitsISG_E10value_typeET2_T3_PNSH_ISM_E10value_typeET4_T5_PSR_SS_PNS1_23onesweep_lookback_stateEbbT6_jjT7_P12ihipStream_tbENKUlT_T0_SG_SL_E_clIS7_S7_SB_PlEEDaSZ_S10_SG_SL_EUlSZ_E_NS1_11comp_targetILNS1_3genE3ELNS1_11target_archE908ELNS1_3gpuE7ELNS1_3repE0EEENS1_47radix_sort_onesweep_sort_config_static_selectorELNS0_4arch9wavefront6targetE1EEEvSG_.num_named_barrier, 0
	.set _ZN7rocprim17ROCPRIM_400000_NS6detail17trampoline_kernelINS0_14default_configENS1_35radix_sort_onesweep_config_selectorIflEEZZNS1_29radix_sort_onesweep_iterationIS3_Lb0EPfS7_N6thrust23THRUST_200600_302600_NS10device_ptrIlEESB_jNS0_19identity_decomposerENS1_16block_id_wrapperIjLb0EEEEE10hipError_tT1_PNSt15iterator_traitsISG_E10value_typeET2_T3_PNSH_ISM_E10value_typeET4_T5_PSR_SS_PNS1_23onesweep_lookback_stateEbbT6_jjT7_P12ihipStream_tbENKUlT_T0_SG_SL_E_clIS7_S7_SB_PlEEDaSZ_S10_SG_SL_EUlSZ_E_NS1_11comp_targetILNS1_3genE3ELNS1_11target_archE908ELNS1_3gpuE7ELNS1_3repE0EEENS1_47radix_sort_onesweep_sort_config_static_selectorELNS0_4arch9wavefront6targetE1EEEvSG_.private_seg_size, 0
	.set _ZN7rocprim17ROCPRIM_400000_NS6detail17trampoline_kernelINS0_14default_configENS1_35radix_sort_onesweep_config_selectorIflEEZZNS1_29radix_sort_onesweep_iterationIS3_Lb0EPfS7_N6thrust23THRUST_200600_302600_NS10device_ptrIlEESB_jNS0_19identity_decomposerENS1_16block_id_wrapperIjLb0EEEEE10hipError_tT1_PNSt15iterator_traitsISG_E10value_typeET2_T3_PNSH_ISM_E10value_typeET4_T5_PSR_SS_PNS1_23onesweep_lookback_stateEbbT6_jjT7_P12ihipStream_tbENKUlT_T0_SG_SL_E_clIS7_S7_SB_PlEEDaSZ_S10_SG_SL_EUlSZ_E_NS1_11comp_targetILNS1_3genE3ELNS1_11target_archE908ELNS1_3gpuE7ELNS1_3repE0EEENS1_47radix_sort_onesweep_sort_config_static_selectorELNS0_4arch9wavefront6targetE1EEEvSG_.uses_vcc, 0
	.set _ZN7rocprim17ROCPRIM_400000_NS6detail17trampoline_kernelINS0_14default_configENS1_35radix_sort_onesweep_config_selectorIflEEZZNS1_29radix_sort_onesweep_iterationIS3_Lb0EPfS7_N6thrust23THRUST_200600_302600_NS10device_ptrIlEESB_jNS0_19identity_decomposerENS1_16block_id_wrapperIjLb0EEEEE10hipError_tT1_PNSt15iterator_traitsISG_E10value_typeET2_T3_PNSH_ISM_E10value_typeET4_T5_PSR_SS_PNS1_23onesweep_lookback_stateEbbT6_jjT7_P12ihipStream_tbENKUlT_T0_SG_SL_E_clIS7_S7_SB_PlEEDaSZ_S10_SG_SL_EUlSZ_E_NS1_11comp_targetILNS1_3genE3ELNS1_11target_archE908ELNS1_3gpuE7ELNS1_3repE0EEENS1_47radix_sort_onesweep_sort_config_static_selectorELNS0_4arch9wavefront6targetE1EEEvSG_.uses_flat_scratch, 0
	.set _ZN7rocprim17ROCPRIM_400000_NS6detail17trampoline_kernelINS0_14default_configENS1_35radix_sort_onesweep_config_selectorIflEEZZNS1_29radix_sort_onesweep_iterationIS3_Lb0EPfS7_N6thrust23THRUST_200600_302600_NS10device_ptrIlEESB_jNS0_19identity_decomposerENS1_16block_id_wrapperIjLb0EEEEE10hipError_tT1_PNSt15iterator_traitsISG_E10value_typeET2_T3_PNSH_ISM_E10value_typeET4_T5_PSR_SS_PNS1_23onesweep_lookback_stateEbbT6_jjT7_P12ihipStream_tbENKUlT_T0_SG_SL_E_clIS7_S7_SB_PlEEDaSZ_S10_SG_SL_EUlSZ_E_NS1_11comp_targetILNS1_3genE3ELNS1_11target_archE908ELNS1_3gpuE7ELNS1_3repE0EEENS1_47radix_sort_onesweep_sort_config_static_selectorELNS0_4arch9wavefront6targetE1EEEvSG_.has_dyn_sized_stack, 0
	.set _ZN7rocprim17ROCPRIM_400000_NS6detail17trampoline_kernelINS0_14default_configENS1_35radix_sort_onesweep_config_selectorIflEEZZNS1_29radix_sort_onesweep_iterationIS3_Lb0EPfS7_N6thrust23THRUST_200600_302600_NS10device_ptrIlEESB_jNS0_19identity_decomposerENS1_16block_id_wrapperIjLb0EEEEE10hipError_tT1_PNSt15iterator_traitsISG_E10value_typeET2_T3_PNSH_ISM_E10value_typeET4_T5_PSR_SS_PNS1_23onesweep_lookback_stateEbbT6_jjT7_P12ihipStream_tbENKUlT_T0_SG_SL_E_clIS7_S7_SB_PlEEDaSZ_S10_SG_SL_EUlSZ_E_NS1_11comp_targetILNS1_3genE3ELNS1_11target_archE908ELNS1_3gpuE7ELNS1_3repE0EEENS1_47radix_sort_onesweep_sort_config_static_selectorELNS0_4arch9wavefront6targetE1EEEvSG_.has_recursion, 0
	.set _ZN7rocprim17ROCPRIM_400000_NS6detail17trampoline_kernelINS0_14default_configENS1_35radix_sort_onesweep_config_selectorIflEEZZNS1_29radix_sort_onesweep_iterationIS3_Lb0EPfS7_N6thrust23THRUST_200600_302600_NS10device_ptrIlEESB_jNS0_19identity_decomposerENS1_16block_id_wrapperIjLb0EEEEE10hipError_tT1_PNSt15iterator_traitsISG_E10value_typeET2_T3_PNSH_ISM_E10value_typeET4_T5_PSR_SS_PNS1_23onesweep_lookback_stateEbbT6_jjT7_P12ihipStream_tbENKUlT_T0_SG_SL_E_clIS7_S7_SB_PlEEDaSZ_S10_SG_SL_EUlSZ_E_NS1_11comp_targetILNS1_3genE3ELNS1_11target_archE908ELNS1_3gpuE7ELNS1_3repE0EEENS1_47radix_sort_onesweep_sort_config_static_selectorELNS0_4arch9wavefront6targetE1EEEvSG_.has_indirect_call, 0
	.section	.AMDGPU.csdata,"",@progbits
; Kernel info:
; codeLenInByte = 0
; TotalNumSgprs: 4
; NumVgprs: 0
; ScratchSize: 0
; MemoryBound: 0
; FloatMode: 240
; IeeeMode: 1
; LDSByteSize: 0 bytes/workgroup (compile time only)
; SGPRBlocks: 0
; VGPRBlocks: 0
; NumSGPRsForWavesPerEU: 4
; NumVGPRsForWavesPerEU: 1
; Occupancy: 10
; WaveLimiterHint : 0
; COMPUTE_PGM_RSRC2:SCRATCH_EN: 0
; COMPUTE_PGM_RSRC2:USER_SGPR: 6
; COMPUTE_PGM_RSRC2:TRAP_HANDLER: 0
; COMPUTE_PGM_RSRC2:TGID_X_EN: 1
; COMPUTE_PGM_RSRC2:TGID_Y_EN: 0
; COMPUTE_PGM_RSRC2:TGID_Z_EN: 0
; COMPUTE_PGM_RSRC2:TIDIG_COMP_CNT: 0
	.section	.text._ZN7rocprim17ROCPRIM_400000_NS6detail17trampoline_kernelINS0_14default_configENS1_35radix_sort_onesweep_config_selectorIflEEZZNS1_29radix_sort_onesweep_iterationIS3_Lb0EPfS7_N6thrust23THRUST_200600_302600_NS10device_ptrIlEESB_jNS0_19identity_decomposerENS1_16block_id_wrapperIjLb0EEEEE10hipError_tT1_PNSt15iterator_traitsISG_E10value_typeET2_T3_PNSH_ISM_E10value_typeET4_T5_PSR_SS_PNS1_23onesweep_lookback_stateEbbT6_jjT7_P12ihipStream_tbENKUlT_T0_SG_SL_E_clIS7_S7_SB_PlEEDaSZ_S10_SG_SL_EUlSZ_E_NS1_11comp_targetILNS1_3genE10ELNS1_11target_archE1201ELNS1_3gpuE5ELNS1_3repE0EEENS1_47radix_sort_onesweep_sort_config_static_selectorELNS0_4arch9wavefront6targetE1EEEvSG_,"axG",@progbits,_ZN7rocprim17ROCPRIM_400000_NS6detail17trampoline_kernelINS0_14default_configENS1_35radix_sort_onesweep_config_selectorIflEEZZNS1_29radix_sort_onesweep_iterationIS3_Lb0EPfS7_N6thrust23THRUST_200600_302600_NS10device_ptrIlEESB_jNS0_19identity_decomposerENS1_16block_id_wrapperIjLb0EEEEE10hipError_tT1_PNSt15iterator_traitsISG_E10value_typeET2_T3_PNSH_ISM_E10value_typeET4_T5_PSR_SS_PNS1_23onesweep_lookback_stateEbbT6_jjT7_P12ihipStream_tbENKUlT_T0_SG_SL_E_clIS7_S7_SB_PlEEDaSZ_S10_SG_SL_EUlSZ_E_NS1_11comp_targetILNS1_3genE10ELNS1_11target_archE1201ELNS1_3gpuE5ELNS1_3repE0EEENS1_47radix_sort_onesweep_sort_config_static_selectorELNS0_4arch9wavefront6targetE1EEEvSG_,comdat
	.protected	_ZN7rocprim17ROCPRIM_400000_NS6detail17trampoline_kernelINS0_14default_configENS1_35radix_sort_onesweep_config_selectorIflEEZZNS1_29radix_sort_onesweep_iterationIS3_Lb0EPfS7_N6thrust23THRUST_200600_302600_NS10device_ptrIlEESB_jNS0_19identity_decomposerENS1_16block_id_wrapperIjLb0EEEEE10hipError_tT1_PNSt15iterator_traitsISG_E10value_typeET2_T3_PNSH_ISM_E10value_typeET4_T5_PSR_SS_PNS1_23onesweep_lookback_stateEbbT6_jjT7_P12ihipStream_tbENKUlT_T0_SG_SL_E_clIS7_S7_SB_PlEEDaSZ_S10_SG_SL_EUlSZ_E_NS1_11comp_targetILNS1_3genE10ELNS1_11target_archE1201ELNS1_3gpuE5ELNS1_3repE0EEENS1_47radix_sort_onesweep_sort_config_static_selectorELNS0_4arch9wavefront6targetE1EEEvSG_ ; -- Begin function _ZN7rocprim17ROCPRIM_400000_NS6detail17trampoline_kernelINS0_14default_configENS1_35radix_sort_onesweep_config_selectorIflEEZZNS1_29radix_sort_onesweep_iterationIS3_Lb0EPfS7_N6thrust23THRUST_200600_302600_NS10device_ptrIlEESB_jNS0_19identity_decomposerENS1_16block_id_wrapperIjLb0EEEEE10hipError_tT1_PNSt15iterator_traitsISG_E10value_typeET2_T3_PNSH_ISM_E10value_typeET4_T5_PSR_SS_PNS1_23onesweep_lookback_stateEbbT6_jjT7_P12ihipStream_tbENKUlT_T0_SG_SL_E_clIS7_S7_SB_PlEEDaSZ_S10_SG_SL_EUlSZ_E_NS1_11comp_targetILNS1_3genE10ELNS1_11target_archE1201ELNS1_3gpuE5ELNS1_3repE0EEENS1_47radix_sort_onesweep_sort_config_static_selectorELNS0_4arch9wavefront6targetE1EEEvSG_
	.globl	_ZN7rocprim17ROCPRIM_400000_NS6detail17trampoline_kernelINS0_14default_configENS1_35radix_sort_onesweep_config_selectorIflEEZZNS1_29radix_sort_onesweep_iterationIS3_Lb0EPfS7_N6thrust23THRUST_200600_302600_NS10device_ptrIlEESB_jNS0_19identity_decomposerENS1_16block_id_wrapperIjLb0EEEEE10hipError_tT1_PNSt15iterator_traitsISG_E10value_typeET2_T3_PNSH_ISM_E10value_typeET4_T5_PSR_SS_PNS1_23onesweep_lookback_stateEbbT6_jjT7_P12ihipStream_tbENKUlT_T0_SG_SL_E_clIS7_S7_SB_PlEEDaSZ_S10_SG_SL_EUlSZ_E_NS1_11comp_targetILNS1_3genE10ELNS1_11target_archE1201ELNS1_3gpuE5ELNS1_3repE0EEENS1_47radix_sort_onesweep_sort_config_static_selectorELNS0_4arch9wavefront6targetE1EEEvSG_
	.p2align	8
	.type	_ZN7rocprim17ROCPRIM_400000_NS6detail17trampoline_kernelINS0_14default_configENS1_35radix_sort_onesweep_config_selectorIflEEZZNS1_29radix_sort_onesweep_iterationIS3_Lb0EPfS7_N6thrust23THRUST_200600_302600_NS10device_ptrIlEESB_jNS0_19identity_decomposerENS1_16block_id_wrapperIjLb0EEEEE10hipError_tT1_PNSt15iterator_traitsISG_E10value_typeET2_T3_PNSH_ISM_E10value_typeET4_T5_PSR_SS_PNS1_23onesweep_lookback_stateEbbT6_jjT7_P12ihipStream_tbENKUlT_T0_SG_SL_E_clIS7_S7_SB_PlEEDaSZ_S10_SG_SL_EUlSZ_E_NS1_11comp_targetILNS1_3genE10ELNS1_11target_archE1201ELNS1_3gpuE5ELNS1_3repE0EEENS1_47radix_sort_onesweep_sort_config_static_selectorELNS0_4arch9wavefront6targetE1EEEvSG_,@function
_ZN7rocprim17ROCPRIM_400000_NS6detail17trampoline_kernelINS0_14default_configENS1_35radix_sort_onesweep_config_selectorIflEEZZNS1_29radix_sort_onesweep_iterationIS3_Lb0EPfS7_N6thrust23THRUST_200600_302600_NS10device_ptrIlEESB_jNS0_19identity_decomposerENS1_16block_id_wrapperIjLb0EEEEE10hipError_tT1_PNSt15iterator_traitsISG_E10value_typeET2_T3_PNSH_ISM_E10value_typeET4_T5_PSR_SS_PNS1_23onesweep_lookback_stateEbbT6_jjT7_P12ihipStream_tbENKUlT_T0_SG_SL_E_clIS7_S7_SB_PlEEDaSZ_S10_SG_SL_EUlSZ_E_NS1_11comp_targetILNS1_3genE10ELNS1_11target_archE1201ELNS1_3gpuE5ELNS1_3repE0EEENS1_47radix_sort_onesweep_sort_config_static_selectorELNS0_4arch9wavefront6targetE1EEEvSG_: ; @_ZN7rocprim17ROCPRIM_400000_NS6detail17trampoline_kernelINS0_14default_configENS1_35radix_sort_onesweep_config_selectorIflEEZZNS1_29radix_sort_onesweep_iterationIS3_Lb0EPfS7_N6thrust23THRUST_200600_302600_NS10device_ptrIlEESB_jNS0_19identity_decomposerENS1_16block_id_wrapperIjLb0EEEEE10hipError_tT1_PNSt15iterator_traitsISG_E10value_typeET2_T3_PNSH_ISM_E10value_typeET4_T5_PSR_SS_PNS1_23onesweep_lookback_stateEbbT6_jjT7_P12ihipStream_tbENKUlT_T0_SG_SL_E_clIS7_S7_SB_PlEEDaSZ_S10_SG_SL_EUlSZ_E_NS1_11comp_targetILNS1_3genE10ELNS1_11target_archE1201ELNS1_3gpuE5ELNS1_3repE0EEENS1_47radix_sort_onesweep_sort_config_static_selectorELNS0_4arch9wavefront6targetE1EEEvSG_
; %bb.0:
	.section	.rodata,"a",@progbits
	.p2align	6, 0x0
	.amdhsa_kernel _ZN7rocprim17ROCPRIM_400000_NS6detail17trampoline_kernelINS0_14default_configENS1_35radix_sort_onesweep_config_selectorIflEEZZNS1_29radix_sort_onesweep_iterationIS3_Lb0EPfS7_N6thrust23THRUST_200600_302600_NS10device_ptrIlEESB_jNS0_19identity_decomposerENS1_16block_id_wrapperIjLb0EEEEE10hipError_tT1_PNSt15iterator_traitsISG_E10value_typeET2_T3_PNSH_ISM_E10value_typeET4_T5_PSR_SS_PNS1_23onesweep_lookback_stateEbbT6_jjT7_P12ihipStream_tbENKUlT_T0_SG_SL_E_clIS7_S7_SB_PlEEDaSZ_S10_SG_SL_EUlSZ_E_NS1_11comp_targetILNS1_3genE10ELNS1_11target_archE1201ELNS1_3gpuE5ELNS1_3repE0EEENS1_47radix_sort_onesweep_sort_config_static_selectorELNS0_4arch9wavefront6targetE1EEEvSG_
		.amdhsa_group_segment_fixed_size 0
		.amdhsa_private_segment_fixed_size 0
		.amdhsa_kernarg_size 88
		.amdhsa_user_sgpr_count 6
		.amdhsa_user_sgpr_private_segment_buffer 1
		.amdhsa_user_sgpr_dispatch_ptr 0
		.amdhsa_user_sgpr_queue_ptr 0
		.amdhsa_user_sgpr_kernarg_segment_ptr 1
		.amdhsa_user_sgpr_dispatch_id 0
		.amdhsa_user_sgpr_flat_scratch_init 0
		.amdhsa_user_sgpr_private_segment_size 0
		.amdhsa_uses_dynamic_stack 0
		.amdhsa_system_sgpr_private_segment_wavefront_offset 0
		.amdhsa_system_sgpr_workgroup_id_x 1
		.amdhsa_system_sgpr_workgroup_id_y 0
		.amdhsa_system_sgpr_workgroup_id_z 0
		.amdhsa_system_sgpr_workgroup_info 0
		.amdhsa_system_vgpr_workitem_id 0
		.amdhsa_next_free_vgpr 1
		.amdhsa_next_free_sgpr 0
		.amdhsa_reserve_vcc 0
		.amdhsa_reserve_flat_scratch 0
		.amdhsa_float_round_mode_32 0
		.amdhsa_float_round_mode_16_64 0
		.amdhsa_float_denorm_mode_32 3
		.amdhsa_float_denorm_mode_16_64 3
		.amdhsa_dx10_clamp 1
		.amdhsa_ieee_mode 1
		.amdhsa_fp16_overflow 0
		.amdhsa_exception_fp_ieee_invalid_op 0
		.amdhsa_exception_fp_denorm_src 0
		.amdhsa_exception_fp_ieee_div_zero 0
		.amdhsa_exception_fp_ieee_overflow 0
		.amdhsa_exception_fp_ieee_underflow 0
		.amdhsa_exception_fp_ieee_inexact 0
		.amdhsa_exception_int_div_zero 0
	.end_amdhsa_kernel
	.section	.text._ZN7rocprim17ROCPRIM_400000_NS6detail17trampoline_kernelINS0_14default_configENS1_35radix_sort_onesweep_config_selectorIflEEZZNS1_29radix_sort_onesweep_iterationIS3_Lb0EPfS7_N6thrust23THRUST_200600_302600_NS10device_ptrIlEESB_jNS0_19identity_decomposerENS1_16block_id_wrapperIjLb0EEEEE10hipError_tT1_PNSt15iterator_traitsISG_E10value_typeET2_T3_PNSH_ISM_E10value_typeET4_T5_PSR_SS_PNS1_23onesweep_lookback_stateEbbT6_jjT7_P12ihipStream_tbENKUlT_T0_SG_SL_E_clIS7_S7_SB_PlEEDaSZ_S10_SG_SL_EUlSZ_E_NS1_11comp_targetILNS1_3genE10ELNS1_11target_archE1201ELNS1_3gpuE5ELNS1_3repE0EEENS1_47radix_sort_onesweep_sort_config_static_selectorELNS0_4arch9wavefront6targetE1EEEvSG_,"axG",@progbits,_ZN7rocprim17ROCPRIM_400000_NS6detail17trampoline_kernelINS0_14default_configENS1_35radix_sort_onesweep_config_selectorIflEEZZNS1_29radix_sort_onesweep_iterationIS3_Lb0EPfS7_N6thrust23THRUST_200600_302600_NS10device_ptrIlEESB_jNS0_19identity_decomposerENS1_16block_id_wrapperIjLb0EEEEE10hipError_tT1_PNSt15iterator_traitsISG_E10value_typeET2_T3_PNSH_ISM_E10value_typeET4_T5_PSR_SS_PNS1_23onesweep_lookback_stateEbbT6_jjT7_P12ihipStream_tbENKUlT_T0_SG_SL_E_clIS7_S7_SB_PlEEDaSZ_S10_SG_SL_EUlSZ_E_NS1_11comp_targetILNS1_3genE10ELNS1_11target_archE1201ELNS1_3gpuE5ELNS1_3repE0EEENS1_47radix_sort_onesweep_sort_config_static_selectorELNS0_4arch9wavefront6targetE1EEEvSG_,comdat
.Lfunc_end1876:
	.size	_ZN7rocprim17ROCPRIM_400000_NS6detail17trampoline_kernelINS0_14default_configENS1_35radix_sort_onesweep_config_selectorIflEEZZNS1_29radix_sort_onesweep_iterationIS3_Lb0EPfS7_N6thrust23THRUST_200600_302600_NS10device_ptrIlEESB_jNS0_19identity_decomposerENS1_16block_id_wrapperIjLb0EEEEE10hipError_tT1_PNSt15iterator_traitsISG_E10value_typeET2_T3_PNSH_ISM_E10value_typeET4_T5_PSR_SS_PNS1_23onesweep_lookback_stateEbbT6_jjT7_P12ihipStream_tbENKUlT_T0_SG_SL_E_clIS7_S7_SB_PlEEDaSZ_S10_SG_SL_EUlSZ_E_NS1_11comp_targetILNS1_3genE10ELNS1_11target_archE1201ELNS1_3gpuE5ELNS1_3repE0EEENS1_47radix_sort_onesweep_sort_config_static_selectorELNS0_4arch9wavefront6targetE1EEEvSG_, .Lfunc_end1876-_ZN7rocprim17ROCPRIM_400000_NS6detail17trampoline_kernelINS0_14default_configENS1_35radix_sort_onesweep_config_selectorIflEEZZNS1_29radix_sort_onesweep_iterationIS3_Lb0EPfS7_N6thrust23THRUST_200600_302600_NS10device_ptrIlEESB_jNS0_19identity_decomposerENS1_16block_id_wrapperIjLb0EEEEE10hipError_tT1_PNSt15iterator_traitsISG_E10value_typeET2_T3_PNSH_ISM_E10value_typeET4_T5_PSR_SS_PNS1_23onesweep_lookback_stateEbbT6_jjT7_P12ihipStream_tbENKUlT_T0_SG_SL_E_clIS7_S7_SB_PlEEDaSZ_S10_SG_SL_EUlSZ_E_NS1_11comp_targetILNS1_3genE10ELNS1_11target_archE1201ELNS1_3gpuE5ELNS1_3repE0EEENS1_47radix_sort_onesweep_sort_config_static_selectorELNS0_4arch9wavefront6targetE1EEEvSG_
                                        ; -- End function
	.set _ZN7rocprim17ROCPRIM_400000_NS6detail17trampoline_kernelINS0_14default_configENS1_35radix_sort_onesweep_config_selectorIflEEZZNS1_29radix_sort_onesweep_iterationIS3_Lb0EPfS7_N6thrust23THRUST_200600_302600_NS10device_ptrIlEESB_jNS0_19identity_decomposerENS1_16block_id_wrapperIjLb0EEEEE10hipError_tT1_PNSt15iterator_traitsISG_E10value_typeET2_T3_PNSH_ISM_E10value_typeET4_T5_PSR_SS_PNS1_23onesweep_lookback_stateEbbT6_jjT7_P12ihipStream_tbENKUlT_T0_SG_SL_E_clIS7_S7_SB_PlEEDaSZ_S10_SG_SL_EUlSZ_E_NS1_11comp_targetILNS1_3genE10ELNS1_11target_archE1201ELNS1_3gpuE5ELNS1_3repE0EEENS1_47radix_sort_onesweep_sort_config_static_selectorELNS0_4arch9wavefront6targetE1EEEvSG_.num_vgpr, 0
	.set _ZN7rocprim17ROCPRIM_400000_NS6detail17trampoline_kernelINS0_14default_configENS1_35radix_sort_onesweep_config_selectorIflEEZZNS1_29radix_sort_onesweep_iterationIS3_Lb0EPfS7_N6thrust23THRUST_200600_302600_NS10device_ptrIlEESB_jNS0_19identity_decomposerENS1_16block_id_wrapperIjLb0EEEEE10hipError_tT1_PNSt15iterator_traitsISG_E10value_typeET2_T3_PNSH_ISM_E10value_typeET4_T5_PSR_SS_PNS1_23onesweep_lookback_stateEbbT6_jjT7_P12ihipStream_tbENKUlT_T0_SG_SL_E_clIS7_S7_SB_PlEEDaSZ_S10_SG_SL_EUlSZ_E_NS1_11comp_targetILNS1_3genE10ELNS1_11target_archE1201ELNS1_3gpuE5ELNS1_3repE0EEENS1_47radix_sort_onesweep_sort_config_static_selectorELNS0_4arch9wavefront6targetE1EEEvSG_.num_agpr, 0
	.set _ZN7rocprim17ROCPRIM_400000_NS6detail17trampoline_kernelINS0_14default_configENS1_35radix_sort_onesweep_config_selectorIflEEZZNS1_29radix_sort_onesweep_iterationIS3_Lb0EPfS7_N6thrust23THRUST_200600_302600_NS10device_ptrIlEESB_jNS0_19identity_decomposerENS1_16block_id_wrapperIjLb0EEEEE10hipError_tT1_PNSt15iterator_traitsISG_E10value_typeET2_T3_PNSH_ISM_E10value_typeET4_T5_PSR_SS_PNS1_23onesweep_lookback_stateEbbT6_jjT7_P12ihipStream_tbENKUlT_T0_SG_SL_E_clIS7_S7_SB_PlEEDaSZ_S10_SG_SL_EUlSZ_E_NS1_11comp_targetILNS1_3genE10ELNS1_11target_archE1201ELNS1_3gpuE5ELNS1_3repE0EEENS1_47radix_sort_onesweep_sort_config_static_selectorELNS0_4arch9wavefront6targetE1EEEvSG_.numbered_sgpr, 0
	.set _ZN7rocprim17ROCPRIM_400000_NS6detail17trampoline_kernelINS0_14default_configENS1_35radix_sort_onesweep_config_selectorIflEEZZNS1_29radix_sort_onesweep_iterationIS3_Lb0EPfS7_N6thrust23THRUST_200600_302600_NS10device_ptrIlEESB_jNS0_19identity_decomposerENS1_16block_id_wrapperIjLb0EEEEE10hipError_tT1_PNSt15iterator_traitsISG_E10value_typeET2_T3_PNSH_ISM_E10value_typeET4_T5_PSR_SS_PNS1_23onesweep_lookback_stateEbbT6_jjT7_P12ihipStream_tbENKUlT_T0_SG_SL_E_clIS7_S7_SB_PlEEDaSZ_S10_SG_SL_EUlSZ_E_NS1_11comp_targetILNS1_3genE10ELNS1_11target_archE1201ELNS1_3gpuE5ELNS1_3repE0EEENS1_47radix_sort_onesweep_sort_config_static_selectorELNS0_4arch9wavefront6targetE1EEEvSG_.num_named_barrier, 0
	.set _ZN7rocprim17ROCPRIM_400000_NS6detail17trampoline_kernelINS0_14default_configENS1_35radix_sort_onesweep_config_selectorIflEEZZNS1_29radix_sort_onesweep_iterationIS3_Lb0EPfS7_N6thrust23THRUST_200600_302600_NS10device_ptrIlEESB_jNS0_19identity_decomposerENS1_16block_id_wrapperIjLb0EEEEE10hipError_tT1_PNSt15iterator_traitsISG_E10value_typeET2_T3_PNSH_ISM_E10value_typeET4_T5_PSR_SS_PNS1_23onesweep_lookback_stateEbbT6_jjT7_P12ihipStream_tbENKUlT_T0_SG_SL_E_clIS7_S7_SB_PlEEDaSZ_S10_SG_SL_EUlSZ_E_NS1_11comp_targetILNS1_3genE10ELNS1_11target_archE1201ELNS1_3gpuE5ELNS1_3repE0EEENS1_47radix_sort_onesweep_sort_config_static_selectorELNS0_4arch9wavefront6targetE1EEEvSG_.private_seg_size, 0
	.set _ZN7rocprim17ROCPRIM_400000_NS6detail17trampoline_kernelINS0_14default_configENS1_35radix_sort_onesweep_config_selectorIflEEZZNS1_29radix_sort_onesweep_iterationIS3_Lb0EPfS7_N6thrust23THRUST_200600_302600_NS10device_ptrIlEESB_jNS0_19identity_decomposerENS1_16block_id_wrapperIjLb0EEEEE10hipError_tT1_PNSt15iterator_traitsISG_E10value_typeET2_T3_PNSH_ISM_E10value_typeET4_T5_PSR_SS_PNS1_23onesweep_lookback_stateEbbT6_jjT7_P12ihipStream_tbENKUlT_T0_SG_SL_E_clIS7_S7_SB_PlEEDaSZ_S10_SG_SL_EUlSZ_E_NS1_11comp_targetILNS1_3genE10ELNS1_11target_archE1201ELNS1_3gpuE5ELNS1_3repE0EEENS1_47radix_sort_onesweep_sort_config_static_selectorELNS0_4arch9wavefront6targetE1EEEvSG_.uses_vcc, 0
	.set _ZN7rocprim17ROCPRIM_400000_NS6detail17trampoline_kernelINS0_14default_configENS1_35radix_sort_onesweep_config_selectorIflEEZZNS1_29radix_sort_onesweep_iterationIS3_Lb0EPfS7_N6thrust23THRUST_200600_302600_NS10device_ptrIlEESB_jNS0_19identity_decomposerENS1_16block_id_wrapperIjLb0EEEEE10hipError_tT1_PNSt15iterator_traitsISG_E10value_typeET2_T3_PNSH_ISM_E10value_typeET4_T5_PSR_SS_PNS1_23onesweep_lookback_stateEbbT6_jjT7_P12ihipStream_tbENKUlT_T0_SG_SL_E_clIS7_S7_SB_PlEEDaSZ_S10_SG_SL_EUlSZ_E_NS1_11comp_targetILNS1_3genE10ELNS1_11target_archE1201ELNS1_3gpuE5ELNS1_3repE0EEENS1_47radix_sort_onesweep_sort_config_static_selectorELNS0_4arch9wavefront6targetE1EEEvSG_.uses_flat_scratch, 0
	.set _ZN7rocprim17ROCPRIM_400000_NS6detail17trampoline_kernelINS0_14default_configENS1_35radix_sort_onesweep_config_selectorIflEEZZNS1_29radix_sort_onesweep_iterationIS3_Lb0EPfS7_N6thrust23THRUST_200600_302600_NS10device_ptrIlEESB_jNS0_19identity_decomposerENS1_16block_id_wrapperIjLb0EEEEE10hipError_tT1_PNSt15iterator_traitsISG_E10value_typeET2_T3_PNSH_ISM_E10value_typeET4_T5_PSR_SS_PNS1_23onesweep_lookback_stateEbbT6_jjT7_P12ihipStream_tbENKUlT_T0_SG_SL_E_clIS7_S7_SB_PlEEDaSZ_S10_SG_SL_EUlSZ_E_NS1_11comp_targetILNS1_3genE10ELNS1_11target_archE1201ELNS1_3gpuE5ELNS1_3repE0EEENS1_47radix_sort_onesweep_sort_config_static_selectorELNS0_4arch9wavefront6targetE1EEEvSG_.has_dyn_sized_stack, 0
	.set _ZN7rocprim17ROCPRIM_400000_NS6detail17trampoline_kernelINS0_14default_configENS1_35radix_sort_onesweep_config_selectorIflEEZZNS1_29radix_sort_onesweep_iterationIS3_Lb0EPfS7_N6thrust23THRUST_200600_302600_NS10device_ptrIlEESB_jNS0_19identity_decomposerENS1_16block_id_wrapperIjLb0EEEEE10hipError_tT1_PNSt15iterator_traitsISG_E10value_typeET2_T3_PNSH_ISM_E10value_typeET4_T5_PSR_SS_PNS1_23onesweep_lookback_stateEbbT6_jjT7_P12ihipStream_tbENKUlT_T0_SG_SL_E_clIS7_S7_SB_PlEEDaSZ_S10_SG_SL_EUlSZ_E_NS1_11comp_targetILNS1_3genE10ELNS1_11target_archE1201ELNS1_3gpuE5ELNS1_3repE0EEENS1_47radix_sort_onesweep_sort_config_static_selectorELNS0_4arch9wavefront6targetE1EEEvSG_.has_recursion, 0
	.set _ZN7rocprim17ROCPRIM_400000_NS6detail17trampoline_kernelINS0_14default_configENS1_35radix_sort_onesweep_config_selectorIflEEZZNS1_29radix_sort_onesweep_iterationIS3_Lb0EPfS7_N6thrust23THRUST_200600_302600_NS10device_ptrIlEESB_jNS0_19identity_decomposerENS1_16block_id_wrapperIjLb0EEEEE10hipError_tT1_PNSt15iterator_traitsISG_E10value_typeET2_T3_PNSH_ISM_E10value_typeET4_T5_PSR_SS_PNS1_23onesweep_lookback_stateEbbT6_jjT7_P12ihipStream_tbENKUlT_T0_SG_SL_E_clIS7_S7_SB_PlEEDaSZ_S10_SG_SL_EUlSZ_E_NS1_11comp_targetILNS1_3genE10ELNS1_11target_archE1201ELNS1_3gpuE5ELNS1_3repE0EEENS1_47radix_sort_onesweep_sort_config_static_selectorELNS0_4arch9wavefront6targetE1EEEvSG_.has_indirect_call, 0
	.section	.AMDGPU.csdata,"",@progbits
; Kernel info:
; codeLenInByte = 0
; TotalNumSgprs: 4
; NumVgprs: 0
; ScratchSize: 0
; MemoryBound: 0
; FloatMode: 240
; IeeeMode: 1
; LDSByteSize: 0 bytes/workgroup (compile time only)
; SGPRBlocks: 0
; VGPRBlocks: 0
; NumSGPRsForWavesPerEU: 4
; NumVGPRsForWavesPerEU: 1
; Occupancy: 10
; WaveLimiterHint : 0
; COMPUTE_PGM_RSRC2:SCRATCH_EN: 0
; COMPUTE_PGM_RSRC2:USER_SGPR: 6
; COMPUTE_PGM_RSRC2:TRAP_HANDLER: 0
; COMPUTE_PGM_RSRC2:TGID_X_EN: 1
; COMPUTE_PGM_RSRC2:TGID_Y_EN: 0
; COMPUTE_PGM_RSRC2:TGID_Z_EN: 0
; COMPUTE_PGM_RSRC2:TIDIG_COMP_CNT: 0
	.section	.text._ZN7rocprim17ROCPRIM_400000_NS6detail17trampoline_kernelINS0_14default_configENS1_35radix_sort_onesweep_config_selectorIflEEZZNS1_29radix_sort_onesweep_iterationIS3_Lb0EPfS7_N6thrust23THRUST_200600_302600_NS10device_ptrIlEESB_jNS0_19identity_decomposerENS1_16block_id_wrapperIjLb0EEEEE10hipError_tT1_PNSt15iterator_traitsISG_E10value_typeET2_T3_PNSH_ISM_E10value_typeET4_T5_PSR_SS_PNS1_23onesweep_lookback_stateEbbT6_jjT7_P12ihipStream_tbENKUlT_T0_SG_SL_E_clIS7_S7_SB_PlEEDaSZ_S10_SG_SL_EUlSZ_E_NS1_11comp_targetILNS1_3genE9ELNS1_11target_archE1100ELNS1_3gpuE3ELNS1_3repE0EEENS1_47radix_sort_onesweep_sort_config_static_selectorELNS0_4arch9wavefront6targetE1EEEvSG_,"axG",@progbits,_ZN7rocprim17ROCPRIM_400000_NS6detail17trampoline_kernelINS0_14default_configENS1_35radix_sort_onesweep_config_selectorIflEEZZNS1_29radix_sort_onesweep_iterationIS3_Lb0EPfS7_N6thrust23THRUST_200600_302600_NS10device_ptrIlEESB_jNS0_19identity_decomposerENS1_16block_id_wrapperIjLb0EEEEE10hipError_tT1_PNSt15iterator_traitsISG_E10value_typeET2_T3_PNSH_ISM_E10value_typeET4_T5_PSR_SS_PNS1_23onesweep_lookback_stateEbbT6_jjT7_P12ihipStream_tbENKUlT_T0_SG_SL_E_clIS7_S7_SB_PlEEDaSZ_S10_SG_SL_EUlSZ_E_NS1_11comp_targetILNS1_3genE9ELNS1_11target_archE1100ELNS1_3gpuE3ELNS1_3repE0EEENS1_47radix_sort_onesweep_sort_config_static_selectorELNS0_4arch9wavefront6targetE1EEEvSG_,comdat
	.protected	_ZN7rocprim17ROCPRIM_400000_NS6detail17trampoline_kernelINS0_14default_configENS1_35radix_sort_onesweep_config_selectorIflEEZZNS1_29radix_sort_onesweep_iterationIS3_Lb0EPfS7_N6thrust23THRUST_200600_302600_NS10device_ptrIlEESB_jNS0_19identity_decomposerENS1_16block_id_wrapperIjLb0EEEEE10hipError_tT1_PNSt15iterator_traitsISG_E10value_typeET2_T3_PNSH_ISM_E10value_typeET4_T5_PSR_SS_PNS1_23onesweep_lookback_stateEbbT6_jjT7_P12ihipStream_tbENKUlT_T0_SG_SL_E_clIS7_S7_SB_PlEEDaSZ_S10_SG_SL_EUlSZ_E_NS1_11comp_targetILNS1_3genE9ELNS1_11target_archE1100ELNS1_3gpuE3ELNS1_3repE0EEENS1_47radix_sort_onesweep_sort_config_static_selectorELNS0_4arch9wavefront6targetE1EEEvSG_ ; -- Begin function _ZN7rocprim17ROCPRIM_400000_NS6detail17trampoline_kernelINS0_14default_configENS1_35radix_sort_onesweep_config_selectorIflEEZZNS1_29radix_sort_onesweep_iterationIS3_Lb0EPfS7_N6thrust23THRUST_200600_302600_NS10device_ptrIlEESB_jNS0_19identity_decomposerENS1_16block_id_wrapperIjLb0EEEEE10hipError_tT1_PNSt15iterator_traitsISG_E10value_typeET2_T3_PNSH_ISM_E10value_typeET4_T5_PSR_SS_PNS1_23onesweep_lookback_stateEbbT6_jjT7_P12ihipStream_tbENKUlT_T0_SG_SL_E_clIS7_S7_SB_PlEEDaSZ_S10_SG_SL_EUlSZ_E_NS1_11comp_targetILNS1_3genE9ELNS1_11target_archE1100ELNS1_3gpuE3ELNS1_3repE0EEENS1_47radix_sort_onesweep_sort_config_static_selectorELNS0_4arch9wavefront6targetE1EEEvSG_
	.globl	_ZN7rocprim17ROCPRIM_400000_NS6detail17trampoline_kernelINS0_14default_configENS1_35radix_sort_onesweep_config_selectorIflEEZZNS1_29radix_sort_onesweep_iterationIS3_Lb0EPfS7_N6thrust23THRUST_200600_302600_NS10device_ptrIlEESB_jNS0_19identity_decomposerENS1_16block_id_wrapperIjLb0EEEEE10hipError_tT1_PNSt15iterator_traitsISG_E10value_typeET2_T3_PNSH_ISM_E10value_typeET4_T5_PSR_SS_PNS1_23onesweep_lookback_stateEbbT6_jjT7_P12ihipStream_tbENKUlT_T0_SG_SL_E_clIS7_S7_SB_PlEEDaSZ_S10_SG_SL_EUlSZ_E_NS1_11comp_targetILNS1_3genE9ELNS1_11target_archE1100ELNS1_3gpuE3ELNS1_3repE0EEENS1_47radix_sort_onesweep_sort_config_static_selectorELNS0_4arch9wavefront6targetE1EEEvSG_
	.p2align	8
	.type	_ZN7rocprim17ROCPRIM_400000_NS6detail17trampoline_kernelINS0_14default_configENS1_35radix_sort_onesweep_config_selectorIflEEZZNS1_29radix_sort_onesweep_iterationIS3_Lb0EPfS7_N6thrust23THRUST_200600_302600_NS10device_ptrIlEESB_jNS0_19identity_decomposerENS1_16block_id_wrapperIjLb0EEEEE10hipError_tT1_PNSt15iterator_traitsISG_E10value_typeET2_T3_PNSH_ISM_E10value_typeET4_T5_PSR_SS_PNS1_23onesweep_lookback_stateEbbT6_jjT7_P12ihipStream_tbENKUlT_T0_SG_SL_E_clIS7_S7_SB_PlEEDaSZ_S10_SG_SL_EUlSZ_E_NS1_11comp_targetILNS1_3genE9ELNS1_11target_archE1100ELNS1_3gpuE3ELNS1_3repE0EEENS1_47radix_sort_onesweep_sort_config_static_selectorELNS0_4arch9wavefront6targetE1EEEvSG_,@function
_ZN7rocprim17ROCPRIM_400000_NS6detail17trampoline_kernelINS0_14default_configENS1_35radix_sort_onesweep_config_selectorIflEEZZNS1_29radix_sort_onesweep_iterationIS3_Lb0EPfS7_N6thrust23THRUST_200600_302600_NS10device_ptrIlEESB_jNS0_19identity_decomposerENS1_16block_id_wrapperIjLb0EEEEE10hipError_tT1_PNSt15iterator_traitsISG_E10value_typeET2_T3_PNSH_ISM_E10value_typeET4_T5_PSR_SS_PNS1_23onesweep_lookback_stateEbbT6_jjT7_P12ihipStream_tbENKUlT_T0_SG_SL_E_clIS7_S7_SB_PlEEDaSZ_S10_SG_SL_EUlSZ_E_NS1_11comp_targetILNS1_3genE9ELNS1_11target_archE1100ELNS1_3gpuE3ELNS1_3repE0EEENS1_47radix_sort_onesweep_sort_config_static_selectorELNS0_4arch9wavefront6targetE1EEEvSG_: ; @_ZN7rocprim17ROCPRIM_400000_NS6detail17trampoline_kernelINS0_14default_configENS1_35radix_sort_onesweep_config_selectorIflEEZZNS1_29radix_sort_onesweep_iterationIS3_Lb0EPfS7_N6thrust23THRUST_200600_302600_NS10device_ptrIlEESB_jNS0_19identity_decomposerENS1_16block_id_wrapperIjLb0EEEEE10hipError_tT1_PNSt15iterator_traitsISG_E10value_typeET2_T3_PNSH_ISM_E10value_typeET4_T5_PSR_SS_PNS1_23onesweep_lookback_stateEbbT6_jjT7_P12ihipStream_tbENKUlT_T0_SG_SL_E_clIS7_S7_SB_PlEEDaSZ_S10_SG_SL_EUlSZ_E_NS1_11comp_targetILNS1_3genE9ELNS1_11target_archE1100ELNS1_3gpuE3ELNS1_3repE0EEENS1_47radix_sort_onesweep_sort_config_static_selectorELNS0_4arch9wavefront6targetE1EEEvSG_
; %bb.0:
	.section	.rodata,"a",@progbits
	.p2align	6, 0x0
	.amdhsa_kernel _ZN7rocprim17ROCPRIM_400000_NS6detail17trampoline_kernelINS0_14default_configENS1_35radix_sort_onesweep_config_selectorIflEEZZNS1_29radix_sort_onesweep_iterationIS3_Lb0EPfS7_N6thrust23THRUST_200600_302600_NS10device_ptrIlEESB_jNS0_19identity_decomposerENS1_16block_id_wrapperIjLb0EEEEE10hipError_tT1_PNSt15iterator_traitsISG_E10value_typeET2_T3_PNSH_ISM_E10value_typeET4_T5_PSR_SS_PNS1_23onesweep_lookback_stateEbbT6_jjT7_P12ihipStream_tbENKUlT_T0_SG_SL_E_clIS7_S7_SB_PlEEDaSZ_S10_SG_SL_EUlSZ_E_NS1_11comp_targetILNS1_3genE9ELNS1_11target_archE1100ELNS1_3gpuE3ELNS1_3repE0EEENS1_47radix_sort_onesweep_sort_config_static_selectorELNS0_4arch9wavefront6targetE1EEEvSG_
		.amdhsa_group_segment_fixed_size 0
		.amdhsa_private_segment_fixed_size 0
		.amdhsa_kernarg_size 88
		.amdhsa_user_sgpr_count 6
		.amdhsa_user_sgpr_private_segment_buffer 1
		.amdhsa_user_sgpr_dispatch_ptr 0
		.amdhsa_user_sgpr_queue_ptr 0
		.amdhsa_user_sgpr_kernarg_segment_ptr 1
		.amdhsa_user_sgpr_dispatch_id 0
		.amdhsa_user_sgpr_flat_scratch_init 0
		.amdhsa_user_sgpr_private_segment_size 0
		.amdhsa_uses_dynamic_stack 0
		.amdhsa_system_sgpr_private_segment_wavefront_offset 0
		.amdhsa_system_sgpr_workgroup_id_x 1
		.amdhsa_system_sgpr_workgroup_id_y 0
		.amdhsa_system_sgpr_workgroup_id_z 0
		.amdhsa_system_sgpr_workgroup_info 0
		.amdhsa_system_vgpr_workitem_id 0
		.amdhsa_next_free_vgpr 1
		.amdhsa_next_free_sgpr 0
		.amdhsa_reserve_vcc 0
		.amdhsa_reserve_flat_scratch 0
		.amdhsa_float_round_mode_32 0
		.amdhsa_float_round_mode_16_64 0
		.amdhsa_float_denorm_mode_32 3
		.amdhsa_float_denorm_mode_16_64 3
		.amdhsa_dx10_clamp 1
		.amdhsa_ieee_mode 1
		.amdhsa_fp16_overflow 0
		.amdhsa_exception_fp_ieee_invalid_op 0
		.amdhsa_exception_fp_denorm_src 0
		.amdhsa_exception_fp_ieee_div_zero 0
		.amdhsa_exception_fp_ieee_overflow 0
		.amdhsa_exception_fp_ieee_underflow 0
		.amdhsa_exception_fp_ieee_inexact 0
		.amdhsa_exception_int_div_zero 0
	.end_amdhsa_kernel
	.section	.text._ZN7rocprim17ROCPRIM_400000_NS6detail17trampoline_kernelINS0_14default_configENS1_35radix_sort_onesweep_config_selectorIflEEZZNS1_29radix_sort_onesweep_iterationIS3_Lb0EPfS7_N6thrust23THRUST_200600_302600_NS10device_ptrIlEESB_jNS0_19identity_decomposerENS1_16block_id_wrapperIjLb0EEEEE10hipError_tT1_PNSt15iterator_traitsISG_E10value_typeET2_T3_PNSH_ISM_E10value_typeET4_T5_PSR_SS_PNS1_23onesweep_lookback_stateEbbT6_jjT7_P12ihipStream_tbENKUlT_T0_SG_SL_E_clIS7_S7_SB_PlEEDaSZ_S10_SG_SL_EUlSZ_E_NS1_11comp_targetILNS1_3genE9ELNS1_11target_archE1100ELNS1_3gpuE3ELNS1_3repE0EEENS1_47radix_sort_onesweep_sort_config_static_selectorELNS0_4arch9wavefront6targetE1EEEvSG_,"axG",@progbits,_ZN7rocprim17ROCPRIM_400000_NS6detail17trampoline_kernelINS0_14default_configENS1_35radix_sort_onesweep_config_selectorIflEEZZNS1_29radix_sort_onesweep_iterationIS3_Lb0EPfS7_N6thrust23THRUST_200600_302600_NS10device_ptrIlEESB_jNS0_19identity_decomposerENS1_16block_id_wrapperIjLb0EEEEE10hipError_tT1_PNSt15iterator_traitsISG_E10value_typeET2_T3_PNSH_ISM_E10value_typeET4_T5_PSR_SS_PNS1_23onesweep_lookback_stateEbbT6_jjT7_P12ihipStream_tbENKUlT_T0_SG_SL_E_clIS7_S7_SB_PlEEDaSZ_S10_SG_SL_EUlSZ_E_NS1_11comp_targetILNS1_3genE9ELNS1_11target_archE1100ELNS1_3gpuE3ELNS1_3repE0EEENS1_47radix_sort_onesweep_sort_config_static_selectorELNS0_4arch9wavefront6targetE1EEEvSG_,comdat
.Lfunc_end1877:
	.size	_ZN7rocprim17ROCPRIM_400000_NS6detail17trampoline_kernelINS0_14default_configENS1_35radix_sort_onesweep_config_selectorIflEEZZNS1_29radix_sort_onesweep_iterationIS3_Lb0EPfS7_N6thrust23THRUST_200600_302600_NS10device_ptrIlEESB_jNS0_19identity_decomposerENS1_16block_id_wrapperIjLb0EEEEE10hipError_tT1_PNSt15iterator_traitsISG_E10value_typeET2_T3_PNSH_ISM_E10value_typeET4_T5_PSR_SS_PNS1_23onesweep_lookback_stateEbbT6_jjT7_P12ihipStream_tbENKUlT_T0_SG_SL_E_clIS7_S7_SB_PlEEDaSZ_S10_SG_SL_EUlSZ_E_NS1_11comp_targetILNS1_3genE9ELNS1_11target_archE1100ELNS1_3gpuE3ELNS1_3repE0EEENS1_47radix_sort_onesweep_sort_config_static_selectorELNS0_4arch9wavefront6targetE1EEEvSG_, .Lfunc_end1877-_ZN7rocprim17ROCPRIM_400000_NS6detail17trampoline_kernelINS0_14default_configENS1_35radix_sort_onesweep_config_selectorIflEEZZNS1_29radix_sort_onesweep_iterationIS3_Lb0EPfS7_N6thrust23THRUST_200600_302600_NS10device_ptrIlEESB_jNS0_19identity_decomposerENS1_16block_id_wrapperIjLb0EEEEE10hipError_tT1_PNSt15iterator_traitsISG_E10value_typeET2_T3_PNSH_ISM_E10value_typeET4_T5_PSR_SS_PNS1_23onesweep_lookback_stateEbbT6_jjT7_P12ihipStream_tbENKUlT_T0_SG_SL_E_clIS7_S7_SB_PlEEDaSZ_S10_SG_SL_EUlSZ_E_NS1_11comp_targetILNS1_3genE9ELNS1_11target_archE1100ELNS1_3gpuE3ELNS1_3repE0EEENS1_47radix_sort_onesweep_sort_config_static_selectorELNS0_4arch9wavefront6targetE1EEEvSG_
                                        ; -- End function
	.set _ZN7rocprim17ROCPRIM_400000_NS6detail17trampoline_kernelINS0_14default_configENS1_35radix_sort_onesweep_config_selectorIflEEZZNS1_29radix_sort_onesweep_iterationIS3_Lb0EPfS7_N6thrust23THRUST_200600_302600_NS10device_ptrIlEESB_jNS0_19identity_decomposerENS1_16block_id_wrapperIjLb0EEEEE10hipError_tT1_PNSt15iterator_traitsISG_E10value_typeET2_T3_PNSH_ISM_E10value_typeET4_T5_PSR_SS_PNS1_23onesweep_lookback_stateEbbT6_jjT7_P12ihipStream_tbENKUlT_T0_SG_SL_E_clIS7_S7_SB_PlEEDaSZ_S10_SG_SL_EUlSZ_E_NS1_11comp_targetILNS1_3genE9ELNS1_11target_archE1100ELNS1_3gpuE3ELNS1_3repE0EEENS1_47radix_sort_onesweep_sort_config_static_selectorELNS0_4arch9wavefront6targetE1EEEvSG_.num_vgpr, 0
	.set _ZN7rocprim17ROCPRIM_400000_NS6detail17trampoline_kernelINS0_14default_configENS1_35radix_sort_onesweep_config_selectorIflEEZZNS1_29radix_sort_onesweep_iterationIS3_Lb0EPfS7_N6thrust23THRUST_200600_302600_NS10device_ptrIlEESB_jNS0_19identity_decomposerENS1_16block_id_wrapperIjLb0EEEEE10hipError_tT1_PNSt15iterator_traitsISG_E10value_typeET2_T3_PNSH_ISM_E10value_typeET4_T5_PSR_SS_PNS1_23onesweep_lookback_stateEbbT6_jjT7_P12ihipStream_tbENKUlT_T0_SG_SL_E_clIS7_S7_SB_PlEEDaSZ_S10_SG_SL_EUlSZ_E_NS1_11comp_targetILNS1_3genE9ELNS1_11target_archE1100ELNS1_3gpuE3ELNS1_3repE0EEENS1_47radix_sort_onesweep_sort_config_static_selectorELNS0_4arch9wavefront6targetE1EEEvSG_.num_agpr, 0
	.set _ZN7rocprim17ROCPRIM_400000_NS6detail17trampoline_kernelINS0_14default_configENS1_35radix_sort_onesweep_config_selectorIflEEZZNS1_29radix_sort_onesweep_iterationIS3_Lb0EPfS7_N6thrust23THRUST_200600_302600_NS10device_ptrIlEESB_jNS0_19identity_decomposerENS1_16block_id_wrapperIjLb0EEEEE10hipError_tT1_PNSt15iterator_traitsISG_E10value_typeET2_T3_PNSH_ISM_E10value_typeET4_T5_PSR_SS_PNS1_23onesweep_lookback_stateEbbT6_jjT7_P12ihipStream_tbENKUlT_T0_SG_SL_E_clIS7_S7_SB_PlEEDaSZ_S10_SG_SL_EUlSZ_E_NS1_11comp_targetILNS1_3genE9ELNS1_11target_archE1100ELNS1_3gpuE3ELNS1_3repE0EEENS1_47radix_sort_onesweep_sort_config_static_selectorELNS0_4arch9wavefront6targetE1EEEvSG_.numbered_sgpr, 0
	.set _ZN7rocprim17ROCPRIM_400000_NS6detail17trampoline_kernelINS0_14default_configENS1_35radix_sort_onesweep_config_selectorIflEEZZNS1_29radix_sort_onesweep_iterationIS3_Lb0EPfS7_N6thrust23THRUST_200600_302600_NS10device_ptrIlEESB_jNS0_19identity_decomposerENS1_16block_id_wrapperIjLb0EEEEE10hipError_tT1_PNSt15iterator_traitsISG_E10value_typeET2_T3_PNSH_ISM_E10value_typeET4_T5_PSR_SS_PNS1_23onesweep_lookback_stateEbbT6_jjT7_P12ihipStream_tbENKUlT_T0_SG_SL_E_clIS7_S7_SB_PlEEDaSZ_S10_SG_SL_EUlSZ_E_NS1_11comp_targetILNS1_3genE9ELNS1_11target_archE1100ELNS1_3gpuE3ELNS1_3repE0EEENS1_47radix_sort_onesweep_sort_config_static_selectorELNS0_4arch9wavefront6targetE1EEEvSG_.num_named_barrier, 0
	.set _ZN7rocprim17ROCPRIM_400000_NS6detail17trampoline_kernelINS0_14default_configENS1_35radix_sort_onesweep_config_selectorIflEEZZNS1_29radix_sort_onesweep_iterationIS3_Lb0EPfS7_N6thrust23THRUST_200600_302600_NS10device_ptrIlEESB_jNS0_19identity_decomposerENS1_16block_id_wrapperIjLb0EEEEE10hipError_tT1_PNSt15iterator_traitsISG_E10value_typeET2_T3_PNSH_ISM_E10value_typeET4_T5_PSR_SS_PNS1_23onesweep_lookback_stateEbbT6_jjT7_P12ihipStream_tbENKUlT_T0_SG_SL_E_clIS7_S7_SB_PlEEDaSZ_S10_SG_SL_EUlSZ_E_NS1_11comp_targetILNS1_3genE9ELNS1_11target_archE1100ELNS1_3gpuE3ELNS1_3repE0EEENS1_47radix_sort_onesweep_sort_config_static_selectorELNS0_4arch9wavefront6targetE1EEEvSG_.private_seg_size, 0
	.set _ZN7rocprim17ROCPRIM_400000_NS6detail17trampoline_kernelINS0_14default_configENS1_35radix_sort_onesweep_config_selectorIflEEZZNS1_29radix_sort_onesweep_iterationIS3_Lb0EPfS7_N6thrust23THRUST_200600_302600_NS10device_ptrIlEESB_jNS0_19identity_decomposerENS1_16block_id_wrapperIjLb0EEEEE10hipError_tT1_PNSt15iterator_traitsISG_E10value_typeET2_T3_PNSH_ISM_E10value_typeET4_T5_PSR_SS_PNS1_23onesweep_lookback_stateEbbT6_jjT7_P12ihipStream_tbENKUlT_T0_SG_SL_E_clIS7_S7_SB_PlEEDaSZ_S10_SG_SL_EUlSZ_E_NS1_11comp_targetILNS1_3genE9ELNS1_11target_archE1100ELNS1_3gpuE3ELNS1_3repE0EEENS1_47radix_sort_onesweep_sort_config_static_selectorELNS0_4arch9wavefront6targetE1EEEvSG_.uses_vcc, 0
	.set _ZN7rocprim17ROCPRIM_400000_NS6detail17trampoline_kernelINS0_14default_configENS1_35radix_sort_onesweep_config_selectorIflEEZZNS1_29radix_sort_onesweep_iterationIS3_Lb0EPfS7_N6thrust23THRUST_200600_302600_NS10device_ptrIlEESB_jNS0_19identity_decomposerENS1_16block_id_wrapperIjLb0EEEEE10hipError_tT1_PNSt15iterator_traitsISG_E10value_typeET2_T3_PNSH_ISM_E10value_typeET4_T5_PSR_SS_PNS1_23onesweep_lookback_stateEbbT6_jjT7_P12ihipStream_tbENKUlT_T0_SG_SL_E_clIS7_S7_SB_PlEEDaSZ_S10_SG_SL_EUlSZ_E_NS1_11comp_targetILNS1_3genE9ELNS1_11target_archE1100ELNS1_3gpuE3ELNS1_3repE0EEENS1_47radix_sort_onesweep_sort_config_static_selectorELNS0_4arch9wavefront6targetE1EEEvSG_.uses_flat_scratch, 0
	.set _ZN7rocprim17ROCPRIM_400000_NS6detail17trampoline_kernelINS0_14default_configENS1_35radix_sort_onesweep_config_selectorIflEEZZNS1_29radix_sort_onesweep_iterationIS3_Lb0EPfS7_N6thrust23THRUST_200600_302600_NS10device_ptrIlEESB_jNS0_19identity_decomposerENS1_16block_id_wrapperIjLb0EEEEE10hipError_tT1_PNSt15iterator_traitsISG_E10value_typeET2_T3_PNSH_ISM_E10value_typeET4_T5_PSR_SS_PNS1_23onesweep_lookback_stateEbbT6_jjT7_P12ihipStream_tbENKUlT_T0_SG_SL_E_clIS7_S7_SB_PlEEDaSZ_S10_SG_SL_EUlSZ_E_NS1_11comp_targetILNS1_3genE9ELNS1_11target_archE1100ELNS1_3gpuE3ELNS1_3repE0EEENS1_47radix_sort_onesweep_sort_config_static_selectorELNS0_4arch9wavefront6targetE1EEEvSG_.has_dyn_sized_stack, 0
	.set _ZN7rocprim17ROCPRIM_400000_NS6detail17trampoline_kernelINS0_14default_configENS1_35radix_sort_onesweep_config_selectorIflEEZZNS1_29radix_sort_onesweep_iterationIS3_Lb0EPfS7_N6thrust23THRUST_200600_302600_NS10device_ptrIlEESB_jNS0_19identity_decomposerENS1_16block_id_wrapperIjLb0EEEEE10hipError_tT1_PNSt15iterator_traitsISG_E10value_typeET2_T3_PNSH_ISM_E10value_typeET4_T5_PSR_SS_PNS1_23onesweep_lookback_stateEbbT6_jjT7_P12ihipStream_tbENKUlT_T0_SG_SL_E_clIS7_S7_SB_PlEEDaSZ_S10_SG_SL_EUlSZ_E_NS1_11comp_targetILNS1_3genE9ELNS1_11target_archE1100ELNS1_3gpuE3ELNS1_3repE0EEENS1_47radix_sort_onesweep_sort_config_static_selectorELNS0_4arch9wavefront6targetE1EEEvSG_.has_recursion, 0
	.set _ZN7rocprim17ROCPRIM_400000_NS6detail17trampoline_kernelINS0_14default_configENS1_35radix_sort_onesweep_config_selectorIflEEZZNS1_29radix_sort_onesweep_iterationIS3_Lb0EPfS7_N6thrust23THRUST_200600_302600_NS10device_ptrIlEESB_jNS0_19identity_decomposerENS1_16block_id_wrapperIjLb0EEEEE10hipError_tT1_PNSt15iterator_traitsISG_E10value_typeET2_T3_PNSH_ISM_E10value_typeET4_T5_PSR_SS_PNS1_23onesweep_lookback_stateEbbT6_jjT7_P12ihipStream_tbENKUlT_T0_SG_SL_E_clIS7_S7_SB_PlEEDaSZ_S10_SG_SL_EUlSZ_E_NS1_11comp_targetILNS1_3genE9ELNS1_11target_archE1100ELNS1_3gpuE3ELNS1_3repE0EEENS1_47radix_sort_onesweep_sort_config_static_selectorELNS0_4arch9wavefront6targetE1EEEvSG_.has_indirect_call, 0
	.section	.AMDGPU.csdata,"",@progbits
; Kernel info:
; codeLenInByte = 0
; TotalNumSgprs: 4
; NumVgprs: 0
; ScratchSize: 0
; MemoryBound: 0
; FloatMode: 240
; IeeeMode: 1
; LDSByteSize: 0 bytes/workgroup (compile time only)
; SGPRBlocks: 0
; VGPRBlocks: 0
; NumSGPRsForWavesPerEU: 4
; NumVGPRsForWavesPerEU: 1
; Occupancy: 10
; WaveLimiterHint : 0
; COMPUTE_PGM_RSRC2:SCRATCH_EN: 0
; COMPUTE_PGM_RSRC2:USER_SGPR: 6
; COMPUTE_PGM_RSRC2:TRAP_HANDLER: 0
; COMPUTE_PGM_RSRC2:TGID_X_EN: 1
; COMPUTE_PGM_RSRC2:TGID_Y_EN: 0
; COMPUTE_PGM_RSRC2:TGID_Z_EN: 0
; COMPUTE_PGM_RSRC2:TIDIG_COMP_CNT: 0
	.section	.text._ZN7rocprim17ROCPRIM_400000_NS6detail17trampoline_kernelINS0_14default_configENS1_35radix_sort_onesweep_config_selectorIflEEZZNS1_29radix_sort_onesweep_iterationIS3_Lb0EPfS7_N6thrust23THRUST_200600_302600_NS10device_ptrIlEESB_jNS0_19identity_decomposerENS1_16block_id_wrapperIjLb0EEEEE10hipError_tT1_PNSt15iterator_traitsISG_E10value_typeET2_T3_PNSH_ISM_E10value_typeET4_T5_PSR_SS_PNS1_23onesweep_lookback_stateEbbT6_jjT7_P12ihipStream_tbENKUlT_T0_SG_SL_E_clIS7_S7_SB_PlEEDaSZ_S10_SG_SL_EUlSZ_E_NS1_11comp_targetILNS1_3genE8ELNS1_11target_archE1030ELNS1_3gpuE2ELNS1_3repE0EEENS1_47radix_sort_onesweep_sort_config_static_selectorELNS0_4arch9wavefront6targetE1EEEvSG_,"axG",@progbits,_ZN7rocprim17ROCPRIM_400000_NS6detail17trampoline_kernelINS0_14default_configENS1_35radix_sort_onesweep_config_selectorIflEEZZNS1_29radix_sort_onesweep_iterationIS3_Lb0EPfS7_N6thrust23THRUST_200600_302600_NS10device_ptrIlEESB_jNS0_19identity_decomposerENS1_16block_id_wrapperIjLb0EEEEE10hipError_tT1_PNSt15iterator_traitsISG_E10value_typeET2_T3_PNSH_ISM_E10value_typeET4_T5_PSR_SS_PNS1_23onesweep_lookback_stateEbbT6_jjT7_P12ihipStream_tbENKUlT_T0_SG_SL_E_clIS7_S7_SB_PlEEDaSZ_S10_SG_SL_EUlSZ_E_NS1_11comp_targetILNS1_3genE8ELNS1_11target_archE1030ELNS1_3gpuE2ELNS1_3repE0EEENS1_47radix_sort_onesweep_sort_config_static_selectorELNS0_4arch9wavefront6targetE1EEEvSG_,comdat
	.protected	_ZN7rocprim17ROCPRIM_400000_NS6detail17trampoline_kernelINS0_14default_configENS1_35radix_sort_onesweep_config_selectorIflEEZZNS1_29radix_sort_onesweep_iterationIS3_Lb0EPfS7_N6thrust23THRUST_200600_302600_NS10device_ptrIlEESB_jNS0_19identity_decomposerENS1_16block_id_wrapperIjLb0EEEEE10hipError_tT1_PNSt15iterator_traitsISG_E10value_typeET2_T3_PNSH_ISM_E10value_typeET4_T5_PSR_SS_PNS1_23onesweep_lookback_stateEbbT6_jjT7_P12ihipStream_tbENKUlT_T0_SG_SL_E_clIS7_S7_SB_PlEEDaSZ_S10_SG_SL_EUlSZ_E_NS1_11comp_targetILNS1_3genE8ELNS1_11target_archE1030ELNS1_3gpuE2ELNS1_3repE0EEENS1_47radix_sort_onesweep_sort_config_static_selectorELNS0_4arch9wavefront6targetE1EEEvSG_ ; -- Begin function _ZN7rocprim17ROCPRIM_400000_NS6detail17trampoline_kernelINS0_14default_configENS1_35radix_sort_onesweep_config_selectorIflEEZZNS1_29radix_sort_onesweep_iterationIS3_Lb0EPfS7_N6thrust23THRUST_200600_302600_NS10device_ptrIlEESB_jNS0_19identity_decomposerENS1_16block_id_wrapperIjLb0EEEEE10hipError_tT1_PNSt15iterator_traitsISG_E10value_typeET2_T3_PNSH_ISM_E10value_typeET4_T5_PSR_SS_PNS1_23onesweep_lookback_stateEbbT6_jjT7_P12ihipStream_tbENKUlT_T0_SG_SL_E_clIS7_S7_SB_PlEEDaSZ_S10_SG_SL_EUlSZ_E_NS1_11comp_targetILNS1_3genE8ELNS1_11target_archE1030ELNS1_3gpuE2ELNS1_3repE0EEENS1_47radix_sort_onesweep_sort_config_static_selectorELNS0_4arch9wavefront6targetE1EEEvSG_
	.globl	_ZN7rocprim17ROCPRIM_400000_NS6detail17trampoline_kernelINS0_14default_configENS1_35radix_sort_onesweep_config_selectorIflEEZZNS1_29radix_sort_onesweep_iterationIS3_Lb0EPfS7_N6thrust23THRUST_200600_302600_NS10device_ptrIlEESB_jNS0_19identity_decomposerENS1_16block_id_wrapperIjLb0EEEEE10hipError_tT1_PNSt15iterator_traitsISG_E10value_typeET2_T3_PNSH_ISM_E10value_typeET4_T5_PSR_SS_PNS1_23onesweep_lookback_stateEbbT6_jjT7_P12ihipStream_tbENKUlT_T0_SG_SL_E_clIS7_S7_SB_PlEEDaSZ_S10_SG_SL_EUlSZ_E_NS1_11comp_targetILNS1_3genE8ELNS1_11target_archE1030ELNS1_3gpuE2ELNS1_3repE0EEENS1_47radix_sort_onesweep_sort_config_static_selectorELNS0_4arch9wavefront6targetE1EEEvSG_
	.p2align	8
	.type	_ZN7rocprim17ROCPRIM_400000_NS6detail17trampoline_kernelINS0_14default_configENS1_35radix_sort_onesweep_config_selectorIflEEZZNS1_29radix_sort_onesweep_iterationIS3_Lb0EPfS7_N6thrust23THRUST_200600_302600_NS10device_ptrIlEESB_jNS0_19identity_decomposerENS1_16block_id_wrapperIjLb0EEEEE10hipError_tT1_PNSt15iterator_traitsISG_E10value_typeET2_T3_PNSH_ISM_E10value_typeET4_T5_PSR_SS_PNS1_23onesweep_lookback_stateEbbT6_jjT7_P12ihipStream_tbENKUlT_T0_SG_SL_E_clIS7_S7_SB_PlEEDaSZ_S10_SG_SL_EUlSZ_E_NS1_11comp_targetILNS1_3genE8ELNS1_11target_archE1030ELNS1_3gpuE2ELNS1_3repE0EEENS1_47radix_sort_onesweep_sort_config_static_selectorELNS0_4arch9wavefront6targetE1EEEvSG_,@function
_ZN7rocprim17ROCPRIM_400000_NS6detail17trampoline_kernelINS0_14default_configENS1_35radix_sort_onesweep_config_selectorIflEEZZNS1_29radix_sort_onesweep_iterationIS3_Lb0EPfS7_N6thrust23THRUST_200600_302600_NS10device_ptrIlEESB_jNS0_19identity_decomposerENS1_16block_id_wrapperIjLb0EEEEE10hipError_tT1_PNSt15iterator_traitsISG_E10value_typeET2_T3_PNSH_ISM_E10value_typeET4_T5_PSR_SS_PNS1_23onesweep_lookback_stateEbbT6_jjT7_P12ihipStream_tbENKUlT_T0_SG_SL_E_clIS7_S7_SB_PlEEDaSZ_S10_SG_SL_EUlSZ_E_NS1_11comp_targetILNS1_3genE8ELNS1_11target_archE1030ELNS1_3gpuE2ELNS1_3repE0EEENS1_47radix_sort_onesweep_sort_config_static_selectorELNS0_4arch9wavefront6targetE1EEEvSG_: ; @_ZN7rocprim17ROCPRIM_400000_NS6detail17trampoline_kernelINS0_14default_configENS1_35radix_sort_onesweep_config_selectorIflEEZZNS1_29radix_sort_onesweep_iterationIS3_Lb0EPfS7_N6thrust23THRUST_200600_302600_NS10device_ptrIlEESB_jNS0_19identity_decomposerENS1_16block_id_wrapperIjLb0EEEEE10hipError_tT1_PNSt15iterator_traitsISG_E10value_typeET2_T3_PNSH_ISM_E10value_typeET4_T5_PSR_SS_PNS1_23onesweep_lookback_stateEbbT6_jjT7_P12ihipStream_tbENKUlT_T0_SG_SL_E_clIS7_S7_SB_PlEEDaSZ_S10_SG_SL_EUlSZ_E_NS1_11comp_targetILNS1_3genE8ELNS1_11target_archE1030ELNS1_3gpuE2ELNS1_3repE0EEENS1_47radix_sort_onesweep_sort_config_static_selectorELNS0_4arch9wavefront6targetE1EEEvSG_
; %bb.0:
	.section	.rodata,"a",@progbits
	.p2align	6, 0x0
	.amdhsa_kernel _ZN7rocprim17ROCPRIM_400000_NS6detail17trampoline_kernelINS0_14default_configENS1_35radix_sort_onesweep_config_selectorIflEEZZNS1_29radix_sort_onesweep_iterationIS3_Lb0EPfS7_N6thrust23THRUST_200600_302600_NS10device_ptrIlEESB_jNS0_19identity_decomposerENS1_16block_id_wrapperIjLb0EEEEE10hipError_tT1_PNSt15iterator_traitsISG_E10value_typeET2_T3_PNSH_ISM_E10value_typeET4_T5_PSR_SS_PNS1_23onesweep_lookback_stateEbbT6_jjT7_P12ihipStream_tbENKUlT_T0_SG_SL_E_clIS7_S7_SB_PlEEDaSZ_S10_SG_SL_EUlSZ_E_NS1_11comp_targetILNS1_3genE8ELNS1_11target_archE1030ELNS1_3gpuE2ELNS1_3repE0EEENS1_47radix_sort_onesweep_sort_config_static_selectorELNS0_4arch9wavefront6targetE1EEEvSG_
		.amdhsa_group_segment_fixed_size 0
		.amdhsa_private_segment_fixed_size 0
		.amdhsa_kernarg_size 88
		.amdhsa_user_sgpr_count 6
		.amdhsa_user_sgpr_private_segment_buffer 1
		.amdhsa_user_sgpr_dispatch_ptr 0
		.amdhsa_user_sgpr_queue_ptr 0
		.amdhsa_user_sgpr_kernarg_segment_ptr 1
		.amdhsa_user_sgpr_dispatch_id 0
		.amdhsa_user_sgpr_flat_scratch_init 0
		.amdhsa_user_sgpr_private_segment_size 0
		.amdhsa_uses_dynamic_stack 0
		.amdhsa_system_sgpr_private_segment_wavefront_offset 0
		.amdhsa_system_sgpr_workgroup_id_x 1
		.amdhsa_system_sgpr_workgroup_id_y 0
		.amdhsa_system_sgpr_workgroup_id_z 0
		.amdhsa_system_sgpr_workgroup_info 0
		.amdhsa_system_vgpr_workitem_id 0
		.amdhsa_next_free_vgpr 1
		.amdhsa_next_free_sgpr 0
		.amdhsa_reserve_vcc 0
		.amdhsa_reserve_flat_scratch 0
		.amdhsa_float_round_mode_32 0
		.amdhsa_float_round_mode_16_64 0
		.amdhsa_float_denorm_mode_32 3
		.amdhsa_float_denorm_mode_16_64 3
		.amdhsa_dx10_clamp 1
		.amdhsa_ieee_mode 1
		.amdhsa_fp16_overflow 0
		.amdhsa_exception_fp_ieee_invalid_op 0
		.amdhsa_exception_fp_denorm_src 0
		.amdhsa_exception_fp_ieee_div_zero 0
		.amdhsa_exception_fp_ieee_overflow 0
		.amdhsa_exception_fp_ieee_underflow 0
		.amdhsa_exception_fp_ieee_inexact 0
		.amdhsa_exception_int_div_zero 0
	.end_amdhsa_kernel
	.section	.text._ZN7rocprim17ROCPRIM_400000_NS6detail17trampoline_kernelINS0_14default_configENS1_35radix_sort_onesweep_config_selectorIflEEZZNS1_29radix_sort_onesweep_iterationIS3_Lb0EPfS7_N6thrust23THRUST_200600_302600_NS10device_ptrIlEESB_jNS0_19identity_decomposerENS1_16block_id_wrapperIjLb0EEEEE10hipError_tT1_PNSt15iterator_traitsISG_E10value_typeET2_T3_PNSH_ISM_E10value_typeET4_T5_PSR_SS_PNS1_23onesweep_lookback_stateEbbT6_jjT7_P12ihipStream_tbENKUlT_T0_SG_SL_E_clIS7_S7_SB_PlEEDaSZ_S10_SG_SL_EUlSZ_E_NS1_11comp_targetILNS1_3genE8ELNS1_11target_archE1030ELNS1_3gpuE2ELNS1_3repE0EEENS1_47radix_sort_onesweep_sort_config_static_selectorELNS0_4arch9wavefront6targetE1EEEvSG_,"axG",@progbits,_ZN7rocprim17ROCPRIM_400000_NS6detail17trampoline_kernelINS0_14default_configENS1_35radix_sort_onesweep_config_selectorIflEEZZNS1_29radix_sort_onesweep_iterationIS3_Lb0EPfS7_N6thrust23THRUST_200600_302600_NS10device_ptrIlEESB_jNS0_19identity_decomposerENS1_16block_id_wrapperIjLb0EEEEE10hipError_tT1_PNSt15iterator_traitsISG_E10value_typeET2_T3_PNSH_ISM_E10value_typeET4_T5_PSR_SS_PNS1_23onesweep_lookback_stateEbbT6_jjT7_P12ihipStream_tbENKUlT_T0_SG_SL_E_clIS7_S7_SB_PlEEDaSZ_S10_SG_SL_EUlSZ_E_NS1_11comp_targetILNS1_3genE8ELNS1_11target_archE1030ELNS1_3gpuE2ELNS1_3repE0EEENS1_47radix_sort_onesweep_sort_config_static_selectorELNS0_4arch9wavefront6targetE1EEEvSG_,comdat
.Lfunc_end1878:
	.size	_ZN7rocprim17ROCPRIM_400000_NS6detail17trampoline_kernelINS0_14default_configENS1_35radix_sort_onesweep_config_selectorIflEEZZNS1_29radix_sort_onesweep_iterationIS3_Lb0EPfS7_N6thrust23THRUST_200600_302600_NS10device_ptrIlEESB_jNS0_19identity_decomposerENS1_16block_id_wrapperIjLb0EEEEE10hipError_tT1_PNSt15iterator_traitsISG_E10value_typeET2_T3_PNSH_ISM_E10value_typeET4_T5_PSR_SS_PNS1_23onesweep_lookback_stateEbbT6_jjT7_P12ihipStream_tbENKUlT_T0_SG_SL_E_clIS7_S7_SB_PlEEDaSZ_S10_SG_SL_EUlSZ_E_NS1_11comp_targetILNS1_3genE8ELNS1_11target_archE1030ELNS1_3gpuE2ELNS1_3repE0EEENS1_47radix_sort_onesweep_sort_config_static_selectorELNS0_4arch9wavefront6targetE1EEEvSG_, .Lfunc_end1878-_ZN7rocprim17ROCPRIM_400000_NS6detail17trampoline_kernelINS0_14default_configENS1_35radix_sort_onesweep_config_selectorIflEEZZNS1_29radix_sort_onesweep_iterationIS3_Lb0EPfS7_N6thrust23THRUST_200600_302600_NS10device_ptrIlEESB_jNS0_19identity_decomposerENS1_16block_id_wrapperIjLb0EEEEE10hipError_tT1_PNSt15iterator_traitsISG_E10value_typeET2_T3_PNSH_ISM_E10value_typeET4_T5_PSR_SS_PNS1_23onesweep_lookback_stateEbbT6_jjT7_P12ihipStream_tbENKUlT_T0_SG_SL_E_clIS7_S7_SB_PlEEDaSZ_S10_SG_SL_EUlSZ_E_NS1_11comp_targetILNS1_3genE8ELNS1_11target_archE1030ELNS1_3gpuE2ELNS1_3repE0EEENS1_47radix_sort_onesweep_sort_config_static_selectorELNS0_4arch9wavefront6targetE1EEEvSG_
                                        ; -- End function
	.set _ZN7rocprim17ROCPRIM_400000_NS6detail17trampoline_kernelINS0_14default_configENS1_35radix_sort_onesweep_config_selectorIflEEZZNS1_29radix_sort_onesweep_iterationIS3_Lb0EPfS7_N6thrust23THRUST_200600_302600_NS10device_ptrIlEESB_jNS0_19identity_decomposerENS1_16block_id_wrapperIjLb0EEEEE10hipError_tT1_PNSt15iterator_traitsISG_E10value_typeET2_T3_PNSH_ISM_E10value_typeET4_T5_PSR_SS_PNS1_23onesweep_lookback_stateEbbT6_jjT7_P12ihipStream_tbENKUlT_T0_SG_SL_E_clIS7_S7_SB_PlEEDaSZ_S10_SG_SL_EUlSZ_E_NS1_11comp_targetILNS1_3genE8ELNS1_11target_archE1030ELNS1_3gpuE2ELNS1_3repE0EEENS1_47radix_sort_onesweep_sort_config_static_selectorELNS0_4arch9wavefront6targetE1EEEvSG_.num_vgpr, 0
	.set _ZN7rocprim17ROCPRIM_400000_NS6detail17trampoline_kernelINS0_14default_configENS1_35radix_sort_onesweep_config_selectorIflEEZZNS1_29radix_sort_onesweep_iterationIS3_Lb0EPfS7_N6thrust23THRUST_200600_302600_NS10device_ptrIlEESB_jNS0_19identity_decomposerENS1_16block_id_wrapperIjLb0EEEEE10hipError_tT1_PNSt15iterator_traitsISG_E10value_typeET2_T3_PNSH_ISM_E10value_typeET4_T5_PSR_SS_PNS1_23onesweep_lookback_stateEbbT6_jjT7_P12ihipStream_tbENKUlT_T0_SG_SL_E_clIS7_S7_SB_PlEEDaSZ_S10_SG_SL_EUlSZ_E_NS1_11comp_targetILNS1_3genE8ELNS1_11target_archE1030ELNS1_3gpuE2ELNS1_3repE0EEENS1_47radix_sort_onesweep_sort_config_static_selectorELNS0_4arch9wavefront6targetE1EEEvSG_.num_agpr, 0
	.set _ZN7rocprim17ROCPRIM_400000_NS6detail17trampoline_kernelINS0_14default_configENS1_35radix_sort_onesweep_config_selectorIflEEZZNS1_29radix_sort_onesweep_iterationIS3_Lb0EPfS7_N6thrust23THRUST_200600_302600_NS10device_ptrIlEESB_jNS0_19identity_decomposerENS1_16block_id_wrapperIjLb0EEEEE10hipError_tT1_PNSt15iterator_traitsISG_E10value_typeET2_T3_PNSH_ISM_E10value_typeET4_T5_PSR_SS_PNS1_23onesweep_lookback_stateEbbT6_jjT7_P12ihipStream_tbENKUlT_T0_SG_SL_E_clIS7_S7_SB_PlEEDaSZ_S10_SG_SL_EUlSZ_E_NS1_11comp_targetILNS1_3genE8ELNS1_11target_archE1030ELNS1_3gpuE2ELNS1_3repE0EEENS1_47radix_sort_onesweep_sort_config_static_selectorELNS0_4arch9wavefront6targetE1EEEvSG_.numbered_sgpr, 0
	.set _ZN7rocprim17ROCPRIM_400000_NS6detail17trampoline_kernelINS0_14default_configENS1_35radix_sort_onesweep_config_selectorIflEEZZNS1_29radix_sort_onesweep_iterationIS3_Lb0EPfS7_N6thrust23THRUST_200600_302600_NS10device_ptrIlEESB_jNS0_19identity_decomposerENS1_16block_id_wrapperIjLb0EEEEE10hipError_tT1_PNSt15iterator_traitsISG_E10value_typeET2_T3_PNSH_ISM_E10value_typeET4_T5_PSR_SS_PNS1_23onesweep_lookback_stateEbbT6_jjT7_P12ihipStream_tbENKUlT_T0_SG_SL_E_clIS7_S7_SB_PlEEDaSZ_S10_SG_SL_EUlSZ_E_NS1_11comp_targetILNS1_3genE8ELNS1_11target_archE1030ELNS1_3gpuE2ELNS1_3repE0EEENS1_47radix_sort_onesweep_sort_config_static_selectorELNS0_4arch9wavefront6targetE1EEEvSG_.num_named_barrier, 0
	.set _ZN7rocprim17ROCPRIM_400000_NS6detail17trampoline_kernelINS0_14default_configENS1_35radix_sort_onesweep_config_selectorIflEEZZNS1_29radix_sort_onesweep_iterationIS3_Lb0EPfS7_N6thrust23THRUST_200600_302600_NS10device_ptrIlEESB_jNS0_19identity_decomposerENS1_16block_id_wrapperIjLb0EEEEE10hipError_tT1_PNSt15iterator_traitsISG_E10value_typeET2_T3_PNSH_ISM_E10value_typeET4_T5_PSR_SS_PNS1_23onesweep_lookback_stateEbbT6_jjT7_P12ihipStream_tbENKUlT_T0_SG_SL_E_clIS7_S7_SB_PlEEDaSZ_S10_SG_SL_EUlSZ_E_NS1_11comp_targetILNS1_3genE8ELNS1_11target_archE1030ELNS1_3gpuE2ELNS1_3repE0EEENS1_47radix_sort_onesweep_sort_config_static_selectorELNS0_4arch9wavefront6targetE1EEEvSG_.private_seg_size, 0
	.set _ZN7rocprim17ROCPRIM_400000_NS6detail17trampoline_kernelINS0_14default_configENS1_35radix_sort_onesweep_config_selectorIflEEZZNS1_29radix_sort_onesweep_iterationIS3_Lb0EPfS7_N6thrust23THRUST_200600_302600_NS10device_ptrIlEESB_jNS0_19identity_decomposerENS1_16block_id_wrapperIjLb0EEEEE10hipError_tT1_PNSt15iterator_traitsISG_E10value_typeET2_T3_PNSH_ISM_E10value_typeET4_T5_PSR_SS_PNS1_23onesweep_lookback_stateEbbT6_jjT7_P12ihipStream_tbENKUlT_T0_SG_SL_E_clIS7_S7_SB_PlEEDaSZ_S10_SG_SL_EUlSZ_E_NS1_11comp_targetILNS1_3genE8ELNS1_11target_archE1030ELNS1_3gpuE2ELNS1_3repE0EEENS1_47radix_sort_onesweep_sort_config_static_selectorELNS0_4arch9wavefront6targetE1EEEvSG_.uses_vcc, 0
	.set _ZN7rocprim17ROCPRIM_400000_NS6detail17trampoline_kernelINS0_14default_configENS1_35radix_sort_onesweep_config_selectorIflEEZZNS1_29radix_sort_onesweep_iterationIS3_Lb0EPfS7_N6thrust23THRUST_200600_302600_NS10device_ptrIlEESB_jNS0_19identity_decomposerENS1_16block_id_wrapperIjLb0EEEEE10hipError_tT1_PNSt15iterator_traitsISG_E10value_typeET2_T3_PNSH_ISM_E10value_typeET4_T5_PSR_SS_PNS1_23onesweep_lookback_stateEbbT6_jjT7_P12ihipStream_tbENKUlT_T0_SG_SL_E_clIS7_S7_SB_PlEEDaSZ_S10_SG_SL_EUlSZ_E_NS1_11comp_targetILNS1_3genE8ELNS1_11target_archE1030ELNS1_3gpuE2ELNS1_3repE0EEENS1_47radix_sort_onesweep_sort_config_static_selectorELNS0_4arch9wavefront6targetE1EEEvSG_.uses_flat_scratch, 0
	.set _ZN7rocprim17ROCPRIM_400000_NS6detail17trampoline_kernelINS0_14default_configENS1_35radix_sort_onesweep_config_selectorIflEEZZNS1_29radix_sort_onesweep_iterationIS3_Lb0EPfS7_N6thrust23THRUST_200600_302600_NS10device_ptrIlEESB_jNS0_19identity_decomposerENS1_16block_id_wrapperIjLb0EEEEE10hipError_tT1_PNSt15iterator_traitsISG_E10value_typeET2_T3_PNSH_ISM_E10value_typeET4_T5_PSR_SS_PNS1_23onesweep_lookback_stateEbbT6_jjT7_P12ihipStream_tbENKUlT_T0_SG_SL_E_clIS7_S7_SB_PlEEDaSZ_S10_SG_SL_EUlSZ_E_NS1_11comp_targetILNS1_3genE8ELNS1_11target_archE1030ELNS1_3gpuE2ELNS1_3repE0EEENS1_47radix_sort_onesweep_sort_config_static_selectorELNS0_4arch9wavefront6targetE1EEEvSG_.has_dyn_sized_stack, 0
	.set _ZN7rocprim17ROCPRIM_400000_NS6detail17trampoline_kernelINS0_14default_configENS1_35radix_sort_onesweep_config_selectorIflEEZZNS1_29radix_sort_onesweep_iterationIS3_Lb0EPfS7_N6thrust23THRUST_200600_302600_NS10device_ptrIlEESB_jNS0_19identity_decomposerENS1_16block_id_wrapperIjLb0EEEEE10hipError_tT1_PNSt15iterator_traitsISG_E10value_typeET2_T3_PNSH_ISM_E10value_typeET4_T5_PSR_SS_PNS1_23onesweep_lookback_stateEbbT6_jjT7_P12ihipStream_tbENKUlT_T0_SG_SL_E_clIS7_S7_SB_PlEEDaSZ_S10_SG_SL_EUlSZ_E_NS1_11comp_targetILNS1_3genE8ELNS1_11target_archE1030ELNS1_3gpuE2ELNS1_3repE0EEENS1_47radix_sort_onesweep_sort_config_static_selectorELNS0_4arch9wavefront6targetE1EEEvSG_.has_recursion, 0
	.set _ZN7rocprim17ROCPRIM_400000_NS6detail17trampoline_kernelINS0_14default_configENS1_35radix_sort_onesweep_config_selectorIflEEZZNS1_29radix_sort_onesweep_iterationIS3_Lb0EPfS7_N6thrust23THRUST_200600_302600_NS10device_ptrIlEESB_jNS0_19identity_decomposerENS1_16block_id_wrapperIjLb0EEEEE10hipError_tT1_PNSt15iterator_traitsISG_E10value_typeET2_T3_PNSH_ISM_E10value_typeET4_T5_PSR_SS_PNS1_23onesweep_lookback_stateEbbT6_jjT7_P12ihipStream_tbENKUlT_T0_SG_SL_E_clIS7_S7_SB_PlEEDaSZ_S10_SG_SL_EUlSZ_E_NS1_11comp_targetILNS1_3genE8ELNS1_11target_archE1030ELNS1_3gpuE2ELNS1_3repE0EEENS1_47radix_sort_onesweep_sort_config_static_selectorELNS0_4arch9wavefront6targetE1EEEvSG_.has_indirect_call, 0
	.section	.AMDGPU.csdata,"",@progbits
; Kernel info:
; codeLenInByte = 0
; TotalNumSgprs: 4
; NumVgprs: 0
; ScratchSize: 0
; MemoryBound: 0
; FloatMode: 240
; IeeeMode: 1
; LDSByteSize: 0 bytes/workgroup (compile time only)
; SGPRBlocks: 0
; VGPRBlocks: 0
; NumSGPRsForWavesPerEU: 4
; NumVGPRsForWavesPerEU: 1
; Occupancy: 10
; WaveLimiterHint : 0
; COMPUTE_PGM_RSRC2:SCRATCH_EN: 0
; COMPUTE_PGM_RSRC2:USER_SGPR: 6
; COMPUTE_PGM_RSRC2:TRAP_HANDLER: 0
; COMPUTE_PGM_RSRC2:TGID_X_EN: 1
; COMPUTE_PGM_RSRC2:TGID_Y_EN: 0
; COMPUTE_PGM_RSRC2:TGID_Z_EN: 0
; COMPUTE_PGM_RSRC2:TIDIG_COMP_CNT: 0
	.section	.text._ZN7rocprim17ROCPRIM_400000_NS6detail17trampoline_kernelINS0_14default_configENS1_35radix_sort_onesweep_config_selectorIflEEZZNS1_29radix_sort_onesweep_iterationIS3_Lb0EPfS7_N6thrust23THRUST_200600_302600_NS10device_ptrIlEESB_jNS0_19identity_decomposerENS1_16block_id_wrapperIjLb0EEEEE10hipError_tT1_PNSt15iterator_traitsISG_E10value_typeET2_T3_PNSH_ISM_E10value_typeET4_T5_PSR_SS_PNS1_23onesweep_lookback_stateEbbT6_jjT7_P12ihipStream_tbENKUlT_T0_SG_SL_E_clIS7_S7_PlSB_EEDaSZ_S10_SG_SL_EUlSZ_E_NS1_11comp_targetILNS1_3genE0ELNS1_11target_archE4294967295ELNS1_3gpuE0ELNS1_3repE0EEENS1_47radix_sort_onesweep_sort_config_static_selectorELNS0_4arch9wavefront6targetE1EEEvSG_,"axG",@progbits,_ZN7rocprim17ROCPRIM_400000_NS6detail17trampoline_kernelINS0_14default_configENS1_35radix_sort_onesweep_config_selectorIflEEZZNS1_29radix_sort_onesweep_iterationIS3_Lb0EPfS7_N6thrust23THRUST_200600_302600_NS10device_ptrIlEESB_jNS0_19identity_decomposerENS1_16block_id_wrapperIjLb0EEEEE10hipError_tT1_PNSt15iterator_traitsISG_E10value_typeET2_T3_PNSH_ISM_E10value_typeET4_T5_PSR_SS_PNS1_23onesweep_lookback_stateEbbT6_jjT7_P12ihipStream_tbENKUlT_T0_SG_SL_E_clIS7_S7_PlSB_EEDaSZ_S10_SG_SL_EUlSZ_E_NS1_11comp_targetILNS1_3genE0ELNS1_11target_archE4294967295ELNS1_3gpuE0ELNS1_3repE0EEENS1_47radix_sort_onesweep_sort_config_static_selectorELNS0_4arch9wavefront6targetE1EEEvSG_,comdat
	.protected	_ZN7rocprim17ROCPRIM_400000_NS6detail17trampoline_kernelINS0_14default_configENS1_35radix_sort_onesweep_config_selectorIflEEZZNS1_29radix_sort_onesweep_iterationIS3_Lb0EPfS7_N6thrust23THRUST_200600_302600_NS10device_ptrIlEESB_jNS0_19identity_decomposerENS1_16block_id_wrapperIjLb0EEEEE10hipError_tT1_PNSt15iterator_traitsISG_E10value_typeET2_T3_PNSH_ISM_E10value_typeET4_T5_PSR_SS_PNS1_23onesweep_lookback_stateEbbT6_jjT7_P12ihipStream_tbENKUlT_T0_SG_SL_E_clIS7_S7_PlSB_EEDaSZ_S10_SG_SL_EUlSZ_E_NS1_11comp_targetILNS1_3genE0ELNS1_11target_archE4294967295ELNS1_3gpuE0ELNS1_3repE0EEENS1_47radix_sort_onesweep_sort_config_static_selectorELNS0_4arch9wavefront6targetE1EEEvSG_ ; -- Begin function _ZN7rocprim17ROCPRIM_400000_NS6detail17trampoline_kernelINS0_14default_configENS1_35radix_sort_onesweep_config_selectorIflEEZZNS1_29radix_sort_onesweep_iterationIS3_Lb0EPfS7_N6thrust23THRUST_200600_302600_NS10device_ptrIlEESB_jNS0_19identity_decomposerENS1_16block_id_wrapperIjLb0EEEEE10hipError_tT1_PNSt15iterator_traitsISG_E10value_typeET2_T3_PNSH_ISM_E10value_typeET4_T5_PSR_SS_PNS1_23onesweep_lookback_stateEbbT6_jjT7_P12ihipStream_tbENKUlT_T0_SG_SL_E_clIS7_S7_PlSB_EEDaSZ_S10_SG_SL_EUlSZ_E_NS1_11comp_targetILNS1_3genE0ELNS1_11target_archE4294967295ELNS1_3gpuE0ELNS1_3repE0EEENS1_47radix_sort_onesweep_sort_config_static_selectorELNS0_4arch9wavefront6targetE1EEEvSG_
	.globl	_ZN7rocprim17ROCPRIM_400000_NS6detail17trampoline_kernelINS0_14default_configENS1_35radix_sort_onesweep_config_selectorIflEEZZNS1_29radix_sort_onesweep_iterationIS3_Lb0EPfS7_N6thrust23THRUST_200600_302600_NS10device_ptrIlEESB_jNS0_19identity_decomposerENS1_16block_id_wrapperIjLb0EEEEE10hipError_tT1_PNSt15iterator_traitsISG_E10value_typeET2_T3_PNSH_ISM_E10value_typeET4_T5_PSR_SS_PNS1_23onesweep_lookback_stateEbbT6_jjT7_P12ihipStream_tbENKUlT_T0_SG_SL_E_clIS7_S7_PlSB_EEDaSZ_S10_SG_SL_EUlSZ_E_NS1_11comp_targetILNS1_3genE0ELNS1_11target_archE4294967295ELNS1_3gpuE0ELNS1_3repE0EEENS1_47radix_sort_onesweep_sort_config_static_selectorELNS0_4arch9wavefront6targetE1EEEvSG_
	.p2align	8
	.type	_ZN7rocprim17ROCPRIM_400000_NS6detail17trampoline_kernelINS0_14default_configENS1_35radix_sort_onesweep_config_selectorIflEEZZNS1_29radix_sort_onesweep_iterationIS3_Lb0EPfS7_N6thrust23THRUST_200600_302600_NS10device_ptrIlEESB_jNS0_19identity_decomposerENS1_16block_id_wrapperIjLb0EEEEE10hipError_tT1_PNSt15iterator_traitsISG_E10value_typeET2_T3_PNSH_ISM_E10value_typeET4_T5_PSR_SS_PNS1_23onesweep_lookback_stateEbbT6_jjT7_P12ihipStream_tbENKUlT_T0_SG_SL_E_clIS7_S7_PlSB_EEDaSZ_S10_SG_SL_EUlSZ_E_NS1_11comp_targetILNS1_3genE0ELNS1_11target_archE4294967295ELNS1_3gpuE0ELNS1_3repE0EEENS1_47radix_sort_onesweep_sort_config_static_selectorELNS0_4arch9wavefront6targetE1EEEvSG_,@function
_ZN7rocprim17ROCPRIM_400000_NS6detail17trampoline_kernelINS0_14default_configENS1_35radix_sort_onesweep_config_selectorIflEEZZNS1_29radix_sort_onesweep_iterationIS3_Lb0EPfS7_N6thrust23THRUST_200600_302600_NS10device_ptrIlEESB_jNS0_19identity_decomposerENS1_16block_id_wrapperIjLb0EEEEE10hipError_tT1_PNSt15iterator_traitsISG_E10value_typeET2_T3_PNSH_ISM_E10value_typeET4_T5_PSR_SS_PNS1_23onesweep_lookback_stateEbbT6_jjT7_P12ihipStream_tbENKUlT_T0_SG_SL_E_clIS7_S7_PlSB_EEDaSZ_S10_SG_SL_EUlSZ_E_NS1_11comp_targetILNS1_3genE0ELNS1_11target_archE4294967295ELNS1_3gpuE0ELNS1_3repE0EEENS1_47radix_sort_onesweep_sort_config_static_selectorELNS0_4arch9wavefront6targetE1EEEvSG_: ; @_ZN7rocprim17ROCPRIM_400000_NS6detail17trampoline_kernelINS0_14default_configENS1_35radix_sort_onesweep_config_selectorIflEEZZNS1_29radix_sort_onesweep_iterationIS3_Lb0EPfS7_N6thrust23THRUST_200600_302600_NS10device_ptrIlEESB_jNS0_19identity_decomposerENS1_16block_id_wrapperIjLb0EEEEE10hipError_tT1_PNSt15iterator_traitsISG_E10value_typeET2_T3_PNSH_ISM_E10value_typeET4_T5_PSR_SS_PNS1_23onesweep_lookback_stateEbbT6_jjT7_P12ihipStream_tbENKUlT_T0_SG_SL_E_clIS7_S7_PlSB_EEDaSZ_S10_SG_SL_EUlSZ_E_NS1_11comp_targetILNS1_3genE0ELNS1_11target_archE4294967295ELNS1_3gpuE0ELNS1_3repE0EEENS1_47radix_sort_onesweep_sort_config_static_selectorELNS0_4arch9wavefront6targetE1EEEvSG_
; %bb.0:
	.section	.rodata,"a",@progbits
	.p2align	6, 0x0
	.amdhsa_kernel _ZN7rocprim17ROCPRIM_400000_NS6detail17trampoline_kernelINS0_14default_configENS1_35radix_sort_onesweep_config_selectorIflEEZZNS1_29radix_sort_onesweep_iterationIS3_Lb0EPfS7_N6thrust23THRUST_200600_302600_NS10device_ptrIlEESB_jNS0_19identity_decomposerENS1_16block_id_wrapperIjLb0EEEEE10hipError_tT1_PNSt15iterator_traitsISG_E10value_typeET2_T3_PNSH_ISM_E10value_typeET4_T5_PSR_SS_PNS1_23onesweep_lookback_stateEbbT6_jjT7_P12ihipStream_tbENKUlT_T0_SG_SL_E_clIS7_S7_PlSB_EEDaSZ_S10_SG_SL_EUlSZ_E_NS1_11comp_targetILNS1_3genE0ELNS1_11target_archE4294967295ELNS1_3gpuE0ELNS1_3repE0EEENS1_47radix_sort_onesweep_sort_config_static_selectorELNS0_4arch9wavefront6targetE1EEEvSG_
		.amdhsa_group_segment_fixed_size 0
		.amdhsa_private_segment_fixed_size 0
		.amdhsa_kernarg_size 88
		.amdhsa_user_sgpr_count 6
		.amdhsa_user_sgpr_private_segment_buffer 1
		.amdhsa_user_sgpr_dispatch_ptr 0
		.amdhsa_user_sgpr_queue_ptr 0
		.amdhsa_user_sgpr_kernarg_segment_ptr 1
		.amdhsa_user_sgpr_dispatch_id 0
		.amdhsa_user_sgpr_flat_scratch_init 0
		.amdhsa_user_sgpr_private_segment_size 0
		.amdhsa_uses_dynamic_stack 0
		.amdhsa_system_sgpr_private_segment_wavefront_offset 0
		.amdhsa_system_sgpr_workgroup_id_x 1
		.amdhsa_system_sgpr_workgroup_id_y 0
		.amdhsa_system_sgpr_workgroup_id_z 0
		.amdhsa_system_sgpr_workgroup_info 0
		.amdhsa_system_vgpr_workitem_id 0
		.amdhsa_next_free_vgpr 1
		.amdhsa_next_free_sgpr 0
		.amdhsa_reserve_vcc 0
		.amdhsa_reserve_flat_scratch 0
		.amdhsa_float_round_mode_32 0
		.amdhsa_float_round_mode_16_64 0
		.amdhsa_float_denorm_mode_32 3
		.amdhsa_float_denorm_mode_16_64 3
		.amdhsa_dx10_clamp 1
		.amdhsa_ieee_mode 1
		.amdhsa_fp16_overflow 0
		.amdhsa_exception_fp_ieee_invalid_op 0
		.amdhsa_exception_fp_denorm_src 0
		.amdhsa_exception_fp_ieee_div_zero 0
		.amdhsa_exception_fp_ieee_overflow 0
		.amdhsa_exception_fp_ieee_underflow 0
		.amdhsa_exception_fp_ieee_inexact 0
		.amdhsa_exception_int_div_zero 0
	.end_amdhsa_kernel
	.section	.text._ZN7rocprim17ROCPRIM_400000_NS6detail17trampoline_kernelINS0_14default_configENS1_35radix_sort_onesweep_config_selectorIflEEZZNS1_29radix_sort_onesweep_iterationIS3_Lb0EPfS7_N6thrust23THRUST_200600_302600_NS10device_ptrIlEESB_jNS0_19identity_decomposerENS1_16block_id_wrapperIjLb0EEEEE10hipError_tT1_PNSt15iterator_traitsISG_E10value_typeET2_T3_PNSH_ISM_E10value_typeET4_T5_PSR_SS_PNS1_23onesweep_lookback_stateEbbT6_jjT7_P12ihipStream_tbENKUlT_T0_SG_SL_E_clIS7_S7_PlSB_EEDaSZ_S10_SG_SL_EUlSZ_E_NS1_11comp_targetILNS1_3genE0ELNS1_11target_archE4294967295ELNS1_3gpuE0ELNS1_3repE0EEENS1_47radix_sort_onesweep_sort_config_static_selectorELNS0_4arch9wavefront6targetE1EEEvSG_,"axG",@progbits,_ZN7rocprim17ROCPRIM_400000_NS6detail17trampoline_kernelINS0_14default_configENS1_35radix_sort_onesweep_config_selectorIflEEZZNS1_29radix_sort_onesweep_iterationIS3_Lb0EPfS7_N6thrust23THRUST_200600_302600_NS10device_ptrIlEESB_jNS0_19identity_decomposerENS1_16block_id_wrapperIjLb0EEEEE10hipError_tT1_PNSt15iterator_traitsISG_E10value_typeET2_T3_PNSH_ISM_E10value_typeET4_T5_PSR_SS_PNS1_23onesweep_lookback_stateEbbT6_jjT7_P12ihipStream_tbENKUlT_T0_SG_SL_E_clIS7_S7_PlSB_EEDaSZ_S10_SG_SL_EUlSZ_E_NS1_11comp_targetILNS1_3genE0ELNS1_11target_archE4294967295ELNS1_3gpuE0ELNS1_3repE0EEENS1_47radix_sort_onesweep_sort_config_static_selectorELNS0_4arch9wavefront6targetE1EEEvSG_,comdat
.Lfunc_end1879:
	.size	_ZN7rocprim17ROCPRIM_400000_NS6detail17trampoline_kernelINS0_14default_configENS1_35radix_sort_onesweep_config_selectorIflEEZZNS1_29radix_sort_onesweep_iterationIS3_Lb0EPfS7_N6thrust23THRUST_200600_302600_NS10device_ptrIlEESB_jNS0_19identity_decomposerENS1_16block_id_wrapperIjLb0EEEEE10hipError_tT1_PNSt15iterator_traitsISG_E10value_typeET2_T3_PNSH_ISM_E10value_typeET4_T5_PSR_SS_PNS1_23onesweep_lookback_stateEbbT6_jjT7_P12ihipStream_tbENKUlT_T0_SG_SL_E_clIS7_S7_PlSB_EEDaSZ_S10_SG_SL_EUlSZ_E_NS1_11comp_targetILNS1_3genE0ELNS1_11target_archE4294967295ELNS1_3gpuE0ELNS1_3repE0EEENS1_47radix_sort_onesweep_sort_config_static_selectorELNS0_4arch9wavefront6targetE1EEEvSG_, .Lfunc_end1879-_ZN7rocprim17ROCPRIM_400000_NS6detail17trampoline_kernelINS0_14default_configENS1_35radix_sort_onesweep_config_selectorIflEEZZNS1_29radix_sort_onesweep_iterationIS3_Lb0EPfS7_N6thrust23THRUST_200600_302600_NS10device_ptrIlEESB_jNS0_19identity_decomposerENS1_16block_id_wrapperIjLb0EEEEE10hipError_tT1_PNSt15iterator_traitsISG_E10value_typeET2_T3_PNSH_ISM_E10value_typeET4_T5_PSR_SS_PNS1_23onesweep_lookback_stateEbbT6_jjT7_P12ihipStream_tbENKUlT_T0_SG_SL_E_clIS7_S7_PlSB_EEDaSZ_S10_SG_SL_EUlSZ_E_NS1_11comp_targetILNS1_3genE0ELNS1_11target_archE4294967295ELNS1_3gpuE0ELNS1_3repE0EEENS1_47radix_sort_onesweep_sort_config_static_selectorELNS0_4arch9wavefront6targetE1EEEvSG_
                                        ; -- End function
	.set _ZN7rocprim17ROCPRIM_400000_NS6detail17trampoline_kernelINS0_14default_configENS1_35radix_sort_onesweep_config_selectorIflEEZZNS1_29radix_sort_onesweep_iterationIS3_Lb0EPfS7_N6thrust23THRUST_200600_302600_NS10device_ptrIlEESB_jNS0_19identity_decomposerENS1_16block_id_wrapperIjLb0EEEEE10hipError_tT1_PNSt15iterator_traitsISG_E10value_typeET2_T3_PNSH_ISM_E10value_typeET4_T5_PSR_SS_PNS1_23onesweep_lookback_stateEbbT6_jjT7_P12ihipStream_tbENKUlT_T0_SG_SL_E_clIS7_S7_PlSB_EEDaSZ_S10_SG_SL_EUlSZ_E_NS1_11comp_targetILNS1_3genE0ELNS1_11target_archE4294967295ELNS1_3gpuE0ELNS1_3repE0EEENS1_47radix_sort_onesweep_sort_config_static_selectorELNS0_4arch9wavefront6targetE1EEEvSG_.num_vgpr, 0
	.set _ZN7rocprim17ROCPRIM_400000_NS6detail17trampoline_kernelINS0_14default_configENS1_35radix_sort_onesweep_config_selectorIflEEZZNS1_29radix_sort_onesweep_iterationIS3_Lb0EPfS7_N6thrust23THRUST_200600_302600_NS10device_ptrIlEESB_jNS0_19identity_decomposerENS1_16block_id_wrapperIjLb0EEEEE10hipError_tT1_PNSt15iterator_traitsISG_E10value_typeET2_T3_PNSH_ISM_E10value_typeET4_T5_PSR_SS_PNS1_23onesweep_lookback_stateEbbT6_jjT7_P12ihipStream_tbENKUlT_T0_SG_SL_E_clIS7_S7_PlSB_EEDaSZ_S10_SG_SL_EUlSZ_E_NS1_11comp_targetILNS1_3genE0ELNS1_11target_archE4294967295ELNS1_3gpuE0ELNS1_3repE0EEENS1_47radix_sort_onesweep_sort_config_static_selectorELNS0_4arch9wavefront6targetE1EEEvSG_.num_agpr, 0
	.set _ZN7rocprim17ROCPRIM_400000_NS6detail17trampoline_kernelINS0_14default_configENS1_35radix_sort_onesweep_config_selectorIflEEZZNS1_29radix_sort_onesweep_iterationIS3_Lb0EPfS7_N6thrust23THRUST_200600_302600_NS10device_ptrIlEESB_jNS0_19identity_decomposerENS1_16block_id_wrapperIjLb0EEEEE10hipError_tT1_PNSt15iterator_traitsISG_E10value_typeET2_T3_PNSH_ISM_E10value_typeET4_T5_PSR_SS_PNS1_23onesweep_lookback_stateEbbT6_jjT7_P12ihipStream_tbENKUlT_T0_SG_SL_E_clIS7_S7_PlSB_EEDaSZ_S10_SG_SL_EUlSZ_E_NS1_11comp_targetILNS1_3genE0ELNS1_11target_archE4294967295ELNS1_3gpuE0ELNS1_3repE0EEENS1_47radix_sort_onesweep_sort_config_static_selectorELNS0_4arch9wavefront6targetE1EEEvSG_.numbered_sgpr, 0
	.set _ZN7rocprim17ROCPRIM_400000_NS6detail17trampoline_kernelINS0_14default_configENS1_35radix_sort_onesweep_config_selectorIflEEZZNS1_29radix_sort_onesweep_iterationIS3_Lb0EPfS7_N6thrust23THRUST_200600_302600_NS10device_ptrIlEESB_jNS0_19identity_decomposerENS1_16block_id_wrapperIjLb0EEEEE10hipError_tT1_PNSt15iterator_traitsISG_E10value_typeET2_T3_PNSH_ISM_E10value_typeET4_T5_PSR_SS_PNS1_23onesweep_lookback_stateEbbT6_jjT7_P12ihipStream_tbENKUlT_T0_SG_SL_E_clIS7_S7_PlSB_EEDaSZ_S10_SG_SL_EUlSZ_E_NS1_11comp_targetILNS1_3genE0ELNS1_11target_archE4294967295ELNS1_3gpuE0ELNS1_3repE0EEENS1_47radix_sort_onesweep_sort_config_static_selectorELNS0_4arch9wavefront6targetE1EEEvSG_.num_named_barrier, 0
	.set _ZN7rocprim17ROCPRIM_400000_NS6detail17trampoline_kernelINS0_14default_configENS1_35radix_sort_onesweep_config_selectorIflEEZZNS1_29radix_sort_onesweep_iterationIS3_Lb0EPfS7_N6thrust23THRUST_200600_302600_NS10device_ptrIlEESB_jNS0_19identity_decomposerENS1_16block_id_wrapperIjLb0EEEEE10hipError_tT1_PNSt15iterator_traitsISG_E10value_typeET2_T3_PNSH_ISM_E10value_typeET4_T5_PSR_SS_PNS1_23onesweep_lookback_stateEbbT6_jjT7_P12ihipStream_tbENKUlT_T0_SG_SL_E_clIS7_S7_PlSB_EEDaSZ_S10_SG_SL_EUlSZ_E_NS1_11comp_targetILNS1_3genE0ELNS1_11target_archE4294967295ELNS1_3gpuE0ELNS1_3repE0EEENS1_47radix_sort_onesweep_sort_config_static_selectorELNS0_4arch9wavefront6targetE1EEEvSG_.private_seg_size, 0
	.set _ZN7rocprim17ROCPRIM_400000_NS6detail17trampoline_kernelINS0_14default_configENS1_35radix_sort_onesweep_config_selectorIflEEZZNS1_29radix_sort_onesweep_iterationIS3_Lb0EPfS7_N6thrust23THRUST_200600_302600_NS10device_ptrIlEESB_jNS0_19identity_decomposerENS1_16block_id_wrapperIjLb0EEEEE10hipError_tT1_PNSt15iterator_traitsISG_E10value_typeET2_T3_PNSH_ISM_E10value_typeET4_T5_PSR_SS_PNS1_23onesweep_lookback_stateEbbT6_jjT7_P12ihipStream_tbENKUlT_T0_SG_SL_E_clIS7_S7_PlSB_EEDaSZ_S10_SG_SL_EUlSZ_E_NS1_11comp_targetILNS1_3genE0ELNS1_11target_archE4294967295ELNS1_3gpuE0ELNS1_3repE0EEENS1_47radix_sort_onesweep_sort_config_static_selectorELNS0_4arch9wavefront6targetE1EEEvSG_.uses_vcc, 0
	.set _ZN7rocprim17ROCPRIM_400000_NS6detail17trampoline_kernelINS0_14default_configENS1_35radix_sort_onesweep_config_selectorIflEEZZNS1_29radix_sort_onesweep_iterationIS3_Lb0EPfS7_N6thrust23THRUST_200600_302600_NS10device_ptrIlEESB_jNS0_19identity_decomposerENS1_16block_id_wrapperIjLb0EEEEE10hipError_tT1_PNSt15iterator_traitsISG_E10value_typeET2_T3_PNSH_ISM_E10value_typeET4_T5_PSR_SS_PNS1_23onesweep_lookback_stateEbbT6_jjT7_P12ihipStream_tbENKUlT_T0_SG_SL_E_clIS7_S7_PlSB_EEDaSZ_S10_SG_SL_EUlSZ_E_NS1_11comp_targetILNS1_3genE0ELNS1_11target_archE4294967295ELNS1_3gpuE0ELNS1_3repE0EEENS1_47radix_sort_onesweep_sort_config_static_selectorELNS0_4arch9wavefront6targetE1EEEvSG_.uses_flat_scratch, 0
	.set _ZN7rocprim17ROCPRIM_400000_NS6detail17trampoline_kernelINS0_14default_configENS1_35radix_sort_onesweep_config_selectorIflEEZZNS1_29radix_sort_onesweep_iterationIS3_Lb0EPfS7_N6thrust23THRUST_200600_302600_NS10device_ptrIlEESB_jNS0_19identity_decomposerENS1_16block_id_wrapperIjLb0EEEEE10hipError_tT1_PNSt15iterator_traitsISG_E10value_typeET2_T3_PNSH_ISM_E10value_typeET4_T5_PSR_SS_PNS1_23onesweep_lookback_stateEbbT6_jjT7_P12ihipStream_tbENKUlT_T0_SG_SL_E_clIS7_S7_PlSB_EEDaSZ_S10_SG_SL_EUlSZ_E_NS1_11comp_targetILNS1_3genE0ELNS1_11target_archE4294967295ELNS1_3gpuE0ELNS1_3repE0EEENS1_47radix_sort_onesweep_sort_config_static_selectorELNS0_4arch9wavefront6targetE1EEEvSG_.has_dyn_sized_stack, 0
	.set _ZN7rocprim17ROCPRIM_400000_NS6detail17trampoline_kernelINS0_14default_configENS1_35radix_sort_onesweep_config_selectorIflEEZZNS1_29radix_sort_onesweep_iterationIS3_Lb0EPfS7_N6thrust23THRUST_200600_302600_NS10device_ptrIlEESB_jNS0_19identity_decomposerENS1_16block_id_wrapperIjLb0EEEEE10hipError_tT1_PNSt15iterator_traitsISG_E10value_typeET2_T3_PNSH_ISM_E10value_typeET4_T5_PSR_SS_PNS1_23onesweep_lookback_stateEbbT6_jjT7_P12ihipStream_tbENKUlT_T0_SG_SL_E_clIS7_S7_PlSB_EEDaSZ_S10_SG_SL_EUlSZ_E_NS1_11comp_targetILNS1_3genE0ELNS1_11target_archE4294967295ELNS1_3gpuE0ELNS1_3repE0EEENS1_47radix_sort_onesweep_sort_config_static_selectorELNS0_4arch9wavefront6targetE1EEEvSG_.has_recursion, 0
	.set _ZN7rocprim17ROCPRIM_400000_NS6detail17trampoline_kernelINS0_14default_configENS1_35radix_sort_onesweep_config_selectorIflEEZZNS1_29radix_sort_onesweep_iterationIS3_Lb0EPfS7_N6thrust23THRUST_200600_302600_NS10device_ptrIlEESB_jNS0_19identity_decomposerENS1_16block_id_wrapperIjLb0EEEEE10hipError_tT1_PNSt15iterator_traitsISG_E10value_typeET2_T3_PNSH_ISM_E10value_typeET4_T5_PSR_SS_PNS1_23onesweep_lookback_stateEbbT6_jjT7_P12ihipStream_tbENKUlT_T0_SG_SL_E_clIS7_S7_PlSB_EEDaSZ_S10_SG_SL_EUlSZ_E_NS1_11comp_targetILNS1_3genE0ELNS1_11target_archE4294967295ELNS1_3gpuE0ELNS1_3repE0EEENS1_47radix_sort_onesweep_sort_config_static_selectorELNS0_4arch9wavefront6targetE1EEEvSG_.has_indirect_call, 0
	.section	.AMDGPU.csdata,"",@progbits
; Kernel info:
; codeLenInByte = 0
; TotalNumSgprs: 4
; NumVgprs: 0
; ScratchSize: 0
; MemoryBound: 0
; FloatMode: 240
; IeeeMode: 1
; LDSByteSize: 0 bytes/workgroup (compile time only)
; SGPRBlocks: 0
; VGPRBlocks: 0
; NumSGPRsForWavesPerEU: 4
; NumVGPRsForWavesPerEU: 1
; Occupancy: 10
; WaveLimiterHint : 0
; COMPUTE_PGM_RSRC2:SCRATCH_EN: 0
; COMPUTE_PGM_RSRC2:USER_SGPR: 6
; COMPUTE_PGM_RSRC2:TRAP_HANDLER: 0
; COMPUTE_PGM_RSRC2:TGID_X_EN: 1
; COMPUTE_PGM_RSRC2:TGID_Y_EN: 0
; COMPUTE_PGM_RSRC2:TGID_Z_EN: 0
; COMPUTE_PGM_RSRC2:TIDIG_COMP_CNT: 0
	.section	.text._ZN7rocprim17ROCPRIM_400000_NS6detail17trampoline_kernelINS0_14default_configENS1_35radix_sort_onesweep_config_selectorIflEEZZNS1_29radix_sort_onesweep_iterationIS3_Lb0EPfS7_N6thrust23THRUST_200600_302600_NS10device_ptrIlEESB_jNS0_19identity_decomposerENS1_16block_id_wrapperIjLb0EEEEE10hipError_tT1_PNSt15iterator_traitsISG_E10value_typeET2_T3_PNSH_ISM_E10value_typeET4_T5_PSR_SS_PNS1_23onesweep_lookback_stateEbbT6_jjT7_P12ihipStream_tbENKUlT_T0_SG_SL_E_clIS7_S7_PlSB_EEDaSZ_S10_SG_SL_EUlSZ_E_NS1_11comp_targetILNS1_3genE6ELNS1_11target_archE950ELNS1_3gpuE13ELNS1_3repE0EEENS1_47radix_sort_onesweep_sort_config_static_selectorELNS0_4arch9wavefront6targetE1EEEvSG_,"axG",@progbits,_ZN7rocprim17ROCPRIM_400000_NS6detail17trampoline_kernelINS0_14default_configENS1_35radix_sort_onesweep_config_selectorIflEEZZNS1_29radix_sort_onesweep_iterationIS3_Lb0EPfS7_N6thrust23THRUST_200600_302600_NS10device_ptrIlEESB_jNS0_19identity_decomposerENS1_16block_id_wrapperIjLb0EEEEE10hipError_tT1_PNSt15iterator_traitsISG_E10value_typeET2_T3_PNSH_ISM_E10value_typeET4_T5_PSR_SS_PNS1_23onesweep_lookback_stateEbbT6_jjT7_P12ihipStream_tbENKUlT_T0_SG_SL_E_clIS7_S7_PlSB_EEDaSZ_S10_SG_SL_EUlSZ_E_NS1_11comp_targetILNS1_3genE6ELNS1_11target_archE950ELNS1_3gpuE13ELNS1_3repE0EEENS1_47radix_sort_onesweep_sort_config_static_selectorELNS0_4arch9wavefront6targetE1EEEvSG_,comdat
	.protected	_ZN7rocprim17ROCPRIM_400000_NS6detail17trampoline_kernelINS0_14default_configENS1_35radix_sort_onesweep_config_selectorIflEEZZNS1_29radix_sort_onesweep_iterationIS3_Lb0EPfS7_N6thrust23THRUST_200600_302600_NS10device_ptrIlEESB_jNS0_19identity_decomposerENS1_16block_id_wrapperIjLb0EEEEE10hipError_tT1_PNSt15iterator_traitsISG_E10value_typeET2_T3_PNSH_ISM_E10value_typeET4_T5_PSR_SS_PNS1_23onesweep_lookback_stateEbbT6_jjT7_P12ihipStream_tbENKUlT_T0_SG_SL_E_clIS7_S7_PlSB_EEDaSZ_S10_SG_SL_EUlSZ_E_NS1_11comp_targetILNS1_3genE6ELNS1_11target_archE950ELNS1_3gpuE13ELNS1_3repE0EEENS1_47radix_sort_onesweep_sort_config_static_selectorELNS0_4arch9wavefront6targetE1EEEvSG_ ; -- Begin function _ZN7rocprim17ROCPRIM_400000_NS6detail17trampoline_kernelINS0_14default_configENS1_35radix_sort_onesweep_config_selectorIflEEZZNS1_29radix_sort_onesweep_iterationIS3_Lb0EPfS7_N6thrust23THRUST_200600_302600_NS10device_ptrIlEESB_jNS0_19identity_decomposerENS1_16block_id_wrapperIjLb0EEEEE10hipError_tT1_PNSt15iterator_traitsISG_E10value_typeET2_T3_PNSH_ISM_E10value_typeET4_T5_PSR_SS_PNS1_23onesweep_lookback_stateEbbT6_jjT7_P12ihipStream_tbENKUlT_T0_SG_SL_E_clIS7_S7_PlSB_EEDaSZ_S10_SG_SL_EUlSZ_E_NS1_11comp_targetILNS1_3genE6ELNS1_11target_archE950ELNS1_3gpuE13ELNS1_3repE0EEENS1_47radix_sort_onesweep_sort_config_static_selectorELNS0_4arch9wavefront6targetE1EEEvSG_
	.globl	_ZN7rocprim17ROCPRIM_400000_NS6detail17trampoline_kernelINS0_14default_configENS1_35radix_sort_onesweep_config_selectorIflEEZZNS1_29radix_sort_onesweep_iterationIS3_Lb0EPfS7_N6thrust23THRUST_200600_302600_NS10device_ptrIlEESB_jNS0_19identity_decomposerENS1_16block_id_wrapperIjLb0EEEEE10hipError_tT1_PNSt15iterator_traitsISG_E10value_typeET2_T3_PNSH_ISM_E10value_typeET4_T5_PSR_SS_PNS1_23onesweep_lookback_stateEbbT6_jjT7_P12ihipStream_tbENKUlT_T0_SG_SL_E_clIS7_S7_PlSB_EEDaSZ_S10_SG_SL_EUlSZ_E_NS1_11comp_targetILNS1_3genE6ELNS1_11target_archE950ELNS1_3gpuE13ELNS1_3repE0EEENS1_47radix_sort_onesweep_sort_config_static_selectorELNS0_4arch9wavefront6targetE1EEEvSG_
	.p2align	8
	.type	_ZN7rocprim17ROCPRIM_400000_NS6detail17trampoline_kernelINS0_14default_configENS1_35radix_sort_onesweep_config_selectorIflEEZZNS1_29radix_sort_onesweep_iterationIS3_Lb0EPfS7_N6thrust23THRUST_200600_302600_NS10device_ptrIlEESB_jNS0_19identity_decomposerENS1_16block_id_wrapperIjLb0EEEEE10hipError_tT1_PNSt15iterator_traitsISG_E10value_typeET2_T3_PNSH_ISM_E10value_typeET4_T5_PSR_SS_PNS1_23onesweep_lookback_stateEbbT6_jjT7_P12ihipStream_tbENKUlT_T0_SG_SL_E_clIS7_S7_PlSB_EEDaSZ_S10_SG_SL_EUlSZ_E_NS1_11comp_targetILNS1_3genE6ELNS1_11target_archE950ELNS1_3gpuE13ELNS1_3repE0EEENS1_47radix_sort_onesweep_sort_config_static_selectorELNS0_4arch9wavefront6targetE1EEEvSG_,@function
_ZN7rocprim17ROCPRIM_400000_NS6detail17trampoline_kernelINS0_14default_configENS1_35radix_sort_onesweep_config_selectorIflEEZZNS1_29radix_sort_onesweep_iterationIS3_Lb0EPfS7_N6thrust23THRUST_200600_302600_NS10device_ptrIlEESB_jNS0_19identity_decomposerENS1_16block_id_wrapperIjLb0EEEEE10hipError_tT1_PNSt15iterator_traitsISG_E10value_typeET2_T3_PNSH_ISM_E10value_typeET4_T5_PSR_SS_PNS1_23onesweep_lookback_stateEbbT6_jjT7_P12ihipStream_tbENKUlT_T0_SG_SL_E_clIS7_S7_PlSB_EEDaSZ_S10_SG_SL_EUlSZ_E_NS1_11comp_targetILNS1_3genE6ELNS1_11target_archE950ELNS1_3gpuE13ELNS1_3repE0EEENS1_47radix_sort_onesweep_sort_config_static_selectorELNS0_4arch9wavefront6targetE1EEEvSG_: ; @_ZN7rocprim17ROCPRIM_400000_NS6detail17trampoline_kernelINS0_14default_configENS1_35radix_sort_onesweep_config_selectorIflEEZZNS1_29radix_sort_onesweep_iterationIS3_Lb0EPfS7_N6thrust23THRUST_200600_302600_NS10device_ptrIlEESB_jNS0_19identity_decomposerENS1_16block_id_wrapperIjLb0EEEEE10hipError_tT1_PNSt15iterator_traitsISG_E10value_typeET2_T3_PNSH_ISM_E10value_typeET4_T5_PSR_SS_PNS1_23onesweep_lookback_stateEbbT6_jjT7_P12ihipStream_tbENKUlT_T0_SG_SL_E_clIS7_S7_PlSB_EEDaSZ_S10_SG_SL_EUlSZ_E_NS1_11comp_targetILNS1_3genE6ELNS1_11target_archE950ELNS1_3gpuE13ELNS1_3repE0EEENS1_47radix_sort_onesweep_sort_config_static_selectorELNS0_4arch9wavefront6targetE1EEEvSG_
; %bb.0:
	.section	.rodata,"a",@progbits
	.p2align	6, 0x0
	.amdhsa_kernel _ZN7rocprim17ROCPRIM_400000_NS6detail17trampoline_kernelINS0_14default_configENS1_35radix_sort_onesweep_config_selectorIflEEZZNS1_29radix_sort_onesweep_iterationIS3_Lb0EPfS7_N6thrust23THRUST_200600_302600_NS10device_ptrIlEESB_jNS0_19identity_decomposerENS1_16block_id_wrapperIjLb0EEEEE10hipError_tT1_PNSt15iterator_traitsISG_E10value_typeET2_T3_PNSH_ISM_E10value_typeET4_T5_PSR_SS_PNS1_23onesweep_lookback_stateEbbT6_jjT7_P12ihipStream_tbENKUlT_T0_SG_SL_E_clIS7_S7_PlSB_EEDaSZ_S10_SG_SL_EUlSZ_E_NS1_11comp_targetILNS1_3genE6ELNS1_11target_archE950ELNS1_3gpuE13ELNS1_3repE0EEENS1_47radix_sort_onesweep_sort_config_static_selectorELNS0_4arch9wavefront6targetE1EEEvSG_
		.amdhsa_group_segment_fixed_size 0
		.amdhsa_private_segment_fixed_size 0
		.amdhsa_kernarg_size 88
		.amdhsa_user_sgpr_count 6
		.amdhsa_user_sgpr_private_segment_buffer 1
		.amdhsa_user_sgpr_dispatch_ptr 0
		.amdhsa_user_sgpr_queue_ptr 0
		.amdhsa_user_sgpr_kernarg_segment_ptr 1
		.amdhsa_user_sgpr_dispatch_id 0
		.amdhsa_user_sgpr_flat_scratch_init 0
		.amdhsa_user_sgpr_private_segment_size 0
		.amdhsa_uses_dynamic_stack 0
		.amdhsa_system_sgpr_private_segment_wavefront_offset 0
		.amdhsa_system_sgpr_workgroup_id_x 1
		.amdhsa_system_sgpr_workgroup_id_y 0
		.amdhsa_system_sgpr_workgroup_id_z 0
		.amdhsa_system_sgpr_workgroup_info 0
		.amdhsa_system_vgpr_workitem_id 0
		.amdhsa_next_free_vgpr 1
		.amdhsa_next_free_sgpr 0
		.amdhsa_reserve_vcc 0
		.amdhsa_reserve_flat_scratch 0
		.amdhsa_float_round_mode_32 0
		.amdhsa_float_round_mode_16_64 0
		.amdhsa_float_denorm_mode_32 3
		.amdhsa_float_denorm_mode_16_64 3
		.amdhsa_dx10_clamp 1
		.amdhsa_ieee_mode 1
		.amdhsa_fp16_overflow 0
		.amdhsa_exception_fp_ieee_invalid_op 0
		.amdhsa_exception_fp_denorm_src 0
		.amdhsa_exception_fp_ieee_div_zero 0
		.amdhsa_exception_fp_ieee_overflow 0
		.amdhsa_exception_fp_ieee_underflow 0
		.amdhsa_exception_fp_ieee_inexact 0
		.amdhsa_exception_int_div_zero 0
	.end_amdhsa_kernel
	.section	.text._ZN7rocprim17ROCPRIM_400000_NS6detail17trampoline_kernelINS0_14default_configENS1_35radix_sort_onesweep_config_selectorIflEEZZNS1_29radix_sort_onesweep_iterationIS3_Lb0EPfS7_N6thrust23THRUST_200600_302600_NS10device_ptrIlEESB_jNS0_19identity_decomposerENS1_16block_id_wrapperIjLb0EEEEE10hipError_tT1_PNSt15iterator_traitsISG_E10value_typeET2_T3_PNSH_ISM_E10value_typeET4_T5_PSR_SS_PNS1_23onesweep_lookback_stateEbbT6_jjT7_P12ihipStream_tbENKUlT_T0_SG_SL_E_clIS7_S7_PlSB_EEDaSZ_S10_SG_SL_EUlSZ_E_NS1_11comp_targetILNS1_3genE6ELNS1_11target_archE950ELNS1_3gpuE13ELNS1_3repE0EEENS1_47radix_sort_onesweep_sort_config_static_selectorELNS0_4arch9wavefront6targetE1EEEvSG_,"axG",@progbits,_ZN7rocprim17ROCPRIM_400000_NS6detail17trampoline_kernelINS0_14default_configENS1_35radix_sort_onesweep_config_selectorIflEEZZNS1_29radix_sort_onesweep_iterationIS3_Lb0EPfS7_N6thrust23THRUST_200600_302600_NS10device_ptrIlEESB_jNS0_19identity_decomposerENS1_16block_id_wrapperIjLb0EEEEE10hipError_tT1_PNSt15iterator_traitsISG_E10value_typeET2_T3_PNSH_ISM_E10value_typeET4_T5_PSR_SS_PNS1_23onesweep_lookback_stateEbbT6_jjT7_P12ihipStream_tbENKUlT_T0_SG_SL_E_clIS7_S7_PlSB_EEDaSZ_S10_SG_SL_EUlSZ_E_NS1_11comp_targetILNS1_3genE6ELNS1_11target_archE950ELNS1_3gpuE13ELNS1_3repE0EEENS1_47radix_sort_onesweep_sort_config_static_selectorELNS0_4arch9wavefront6targetE1EEEvSG_,comdat
.Lfunc_end1880:
	.size	_ZN7rocprim17ROCPRIM_400000_NS6detail17trampoline_kernelINS0_14default_configENS1_35radix_sort_onesweep_config_selectorIflEEZZNS1_29radix_sort_onesweep_iterationIS3_Lb0EPfS7_N6thrust23THRUST_200600_302600_NS10device_ptrIlEESB_jNS0_19identity_decomposerENS1_16block_id_wrapperIjLb0EEEEE10hipError_tT1_PNSt15iterator_traitsISG_E10value_typeET2_T3_PNSH_ISM_E10value_typeET4_T5_PSR_SS_PNS1_23onesweep_lookback_stateEbbT6_jjT7_P12ihipStream_tbENKUlT_T0_SG_SL_E_clIS7_S7_PlSB_EEDaSZ_S10_SG_SL_EUlSZ_E_NS1_11comp_targetILNS1_3genE6ELNS1_11target_archE950ELNS1_3gpuE13ELNS1_3repE0EEENS1_47radix_sort_onesweep_sort_config_static_selectorELNS0_4arch9wavefront6targetE1EEEvSG_, .Lfunc_end1880-_ZN7rocprim17ROCPRIM_400000_NS6detail17trampoline_kernelINS0_14default_configENS1_35radix_sort_onesweep_config_selectorIflEEZZNS1_29radix_sort_onesweep_iterationIS3_Lb0EPfS7_N6thrust23THRUST_200600_302600_NS10device_ptrIlEESB_jNS0_19identity_decomposerENS1_16block_id_wrapperIjLb0EEEEE10hipError_tT1_PNSt15iterator_traitsISG_E10value_typeET2_T3_PNSH_ISM_E10value_typeET4_T5_PSR_SS_PNS1_23onesweep_lookback_stateEbbT6_jjT7_P12ihipStream_tbENKUlT_T0_SG_SL_E_clIS7_S7_PlSB_EEDaSZ_S10_SG_SL_EUlSZ_E_NS1_11comp_targetILNS1_3genE6ELNS1_11target_archE950ELNS1_3gpuE13ELNS1_3repE0EEENS1_47radix_sort_onesweep_sort_config_static_selectorELNS0_4arch9wavefront6targetE1EEEvSG_
                                        ; -- End function
	.set _ZN7rocprim17ROCPRIM_400000_NS6detail17trampoline_kernelINS0_14default_configENS1_35radix_sort_onesweep_config_selectorIflEEZZNS1_29radix_sort_onesweep_iterationIS3_Lb0EPfS7_N6thrust23THRUST_200600_302600_NS10device_ptrIlEESB_jNS0_19identity_decomposerENS1_16block_id_wrapperIjLb0EEEEE10hipError_tT1_PNSt15iterator_traitsISG_E10value_typeET2_T3_PNSH_ISM_E10value_typeET4_T5_PSR_SS_PNS1_23onesweep_lookback_stateEbbT6_jjT7_P12ihipStream_tbENKUlT_T0_SG_SL_E_clIS7_S7_PlSB_EEDaSZ_S10_SG_SL_EUlSZ_E_NS1_11comp_targetILNS1_3genE6ELNS1_11target_archE950ELNS1_3gpuE13ELNS1_3repE0EEENS1_47radix_sort_onesweep_sort_config_static_selectorELNS0_4arch9wavefront6targetE1EEEvSG_.num_vgpr, 0
	.set _ZN7rocprim17ROCPRIM_400000_NS6detail17trampoline_kernelINS0_14default_configENS1_35radix_sort_onesweep_config_selectorIflEEZZNS1_29radix_sort_onesweep_iterationIS3_Lb0EPfS7_N6thrust23THRUST_200600_302600_NS10device_ptrIlEESB_jNS0_19identity_decomposerENS1_16block_id_wrapperIjLb0EEEEE10hipError_tT1_PNSt15iterator_traitsISG_E10value_typeET2_T3_PNSH_ISM_E10value_typeET4_T5_PSR_SS_PNS1_23onesweep_lookback_stateEbbT6_jjT7_P12ihipStream_tbENKUlT_T0_SG_SL_E_clIS7_S7_PlSB_EEDaSZ_S10_SG_SL_EUlSZ_E_NS1_11comp_targetILNS1_3genE6ELNS1_11target_archE950ELNS1_3gpuE13ELNS1_3repE0EEENS1_47radix_sort_onesweep_sort_config_static_selectorELNS0_4arch9wavefront6targetE1EEEvSG_.num_agpr, 0
	.set _ZN7rocprim17ROCPRIM_400000_NS6detail17trampoline_kernelINS0_14default_configENS1_35radix_sort_onesweep_config_selectorIflEEZZNS1_29radix_sort_onesweep_iterationIS3_Lb0EPfS7_N6thrust23THRUST_200600_302600_NS10device_ptrIlEESB_jNS0_19identity_decomposerENS1_16block_id_wrapperIjLb0EEEEE10hipError_tT1_PNSt15iterator_traitsISG_E10value_typeET2_T3_PNSH_ISM_E10value_typeET4_T5_PSR_SS_PNS1_23onesweep_lookback_stateEbbT6_jjT7_P12ihipStream_tbENKUlT_T0_SG_SL_E_clIS7_S7_PlSB_EEDaSZ_S10_SG_SL_EUlSZ_E_NS1_11comp_targetILNS1_3genE6ELNS1_11target_archE950ELNS1_3gpuE13ELNS1_3repE0EEENS1_47radix_sort_onesweep_sort_config_static_selectorELNS0_4arch9wavefront6targetE1EEEvSG_.numbered_sgpr, 0
	.set _ZN7rocprim17ROCPRIM_400000_NS6detail17trampoline_kernelINS0_14default_configENS1_35radix_sort_onesweep_config_selectorIflEEZZNS1_29radix_sort_onesweep_iterationIS3_Lb0EPfS7_N6thrust23THRUST_200600_302600_NS10device_ptrIlEESB_jNS0_19identity_decomposerENS1_16block_id_wrapperIjLb0EEEEE10hipError_tT1_PNSt15iterator_traitsISG_E10value_typeET2_T3_PNSH_ISM_E10value_typeET4_T5_PSR_SS_PNS1_23onesweep_lookback_stateEbbT6_jjT7_P12ihipStream_tbENKUlT_T0_SG_SL_E_clIS7_S7_PlSB_EEDaSZ_S10_SG_SL_EUlSZ_E_NS1_11comp_targetILNS1_3genE6ELNS1_11target_archE950ELNS1_3gpuE13ELNS1_3repE0EEENS1_47radix_sort_onesweep_sort_config_static_selectorELNS0_4arch9wavefront6targetE1EEEvSG_.num_named_barrier, 0
	.set _ZN7rocprim17ROCPRIM_400000_NS6detail17trampoline_kernelINS0_14default_configENS1_35radix_sort_onesweep_config_selectorIflEEZZNS1_29radix_sort_onesweep_iterationIS3_Lb0EPfS7_N6thrust23THRUST_200600_302600_NS10device_ptrIlEESB_jNS0_19identity_decomposerENS1_16block_id_wrapperIjLb0EEEEE10hipError_tT1_PNSt15iterator_traitsISG_E10value_typeET2_T3_PNSH_ISM_E10value_typeET4_T5_PSR_SS_PNS1_23onesweep_lookback_stateEbbT6_jjT7_P12ihipStream_tbENKUlT_T0_SG_SL_E_clIS7_S7_PlSB_EEDaSZ_S10_SG_SL_EUlSZ_E_NS1_11comp_targetILNS1_3genE6ELNS1_11target_archE950ELNS1_3gpuE13ELNS1_3repE0EEENS1_47radix_sort_onesweep_sort_config_static_selectorELNS0_4arch9wavefront6targetE1EEEvSG_.private_seg_size, 0
	.set _ZN7rocprim17ROCPRIM_400000_NS6detail17trampoline_kernelINS0_14default_configENS1_35radix_sort_onesweep_config_selectorIflEEZZNS1_29radix_sort_onesweep_iterationIS3_Lb0EPfS7_N6thrust23THRUST_200600_302600_NS10device_ptrIlEESB_jNS0_19identity_decomposerENS1_16block_id_wrapperIjLb0EEEEE10hipError_tT1_PNSt15iterator_traitsISG_E10value_typeET2_T3_PNSH_ISM_E10value_typeET4_T5_PSR_SS_PNS1_23onesweep_lookback_stateEbbT6_jjT7_P12ihipStream_tbENKUlT_T0_SG_SL_E_clIS7_S7_PlSB_EEDaSZ_S10_SG_SL_EUlSZ_E_NS1_11comp_targetILNS1_3genE6ELNS1_11target_archE950ELNS1_3gpuE13ELNS1_3repE0EEENS1_47radix_sort_onesweep_sort_config_static_selectorELNS0_4arch9wavefront6targetE1EEEvSG_.uses_vcc, 0
	.set _ZN7rocprim17ROCPRIM_400000_NS6detail17trampoline_kernelINS0_14default_configENS1_35radix_sort_onesweep_config_selectorIflEEZZNS1_29radix_sort_onesweep_iterationIS3_Lb0EPfS7_N6thrust23THRUST_200600_302600_NS10device_ptrIlEESB_jNS0_19identity_decomposerENS1_16block_id_wrapperIjLb0EEEEE10hipError_tT1_PNSt15iterator_traitsISG_E10value_typeET2_T3_PNSH_ISM_E10value_typeET4_T5_PSR_SS_PNS1_23onesweep_lookback_stateEbbT6_jjT7_P12ihipStream_tbENKUlT_T0_SG_SL_E_clIS7_S7_PlSB_EEDaSZ_S10_SG_SL_EUlSZ_E_NS1_11comp_targetILNS1_3genE6ELNS1_11target_archE950ELNS1_3gpuE13ELNS1_3repE0EEENS1_47radix_sort_onesweep_sort_config_static_selectorELNS0_4arch9wavefront6targetE1EEEvSG_.uses_flat_scratch, 0
	.set _ZN7rocprim17ROCPRIM_400000_NS6detail17trampoline_kernelINS0_14default_configENS1_35radix_sort_onesweep_config_selectorIflEEZZNS1_29radix_sort_onesweep_iterationIS3_Lb0EPfS7_N6thrust23THRUST_200600_302600_NS10device_ptrIlEESB_jNS0_19identity_decomposerENS1_16block_id_wrapperIjLb0EEEEE10hipError_tT1_PNSt15iterator_traitsISG_E10value_typeET2_T3_PNSH_ISM_E10value_typeET4_T5_PSR_SS_PNS1_23onesweep_lookback_stateEbbT6_jjT7_P12ihipStream_tbENKUlT_T0_SG_SL_E_clIS7_S7_PlSB_EEDaSZ_S10_SG_SL_EUlSZ_E_NS1_11comp_targetILNS1_3genE6ELNS1_11target_archE950ELNS1_3gpuE13ELNS1_3repE0EEENS1_47radix_sort_onesweep_sort_config_static_selectorELNS0_4arch9wavefront6targetE1EEEvSG_.has_dyn_sized_stack, 0
	.set _ZN7rocprim17ROCPRIM_400000_NS6detail17trampoline_kernelINS0_14default_configENS1_35radix_sort_onesweep_config_selectorIflEEZZNS1_29radix_sort_onesweep_iterationIS3_Lb0EPfS7_N6thrust23THRUST_200600_302600_NS10device_ptrIlEESB_jNS0_19identity_decomposerENS1_16block_id_wrapperIjLb0EEEEE10hipError_tT1_PNSt15iterator_traitsISG_E10value_typeET2_T3_PNSH_ISM_E10value_typeET4_T5_PSR_SS_PNS1_23onesweep_lookback_stateEbbT6_jjT7_P12ihipStream_tbENKUlT_T0_SG_SL_E_clIS7_S7_PlSB_EEDaSZ_S10_SG_SL_EUlSZ_E_NS1_11comp_targetILNS1_3genE6ELNS1_11target_archE950ELNS1_3gpuE13ELNS1_3repE0EEENS1_47radix_sort_onesweep_sort_config_static_selectorELNS0_4arch9wavefront6targetE1EEEvSG_.has_recursion, 0
	.set _ZN7rocprim17ROCPRIM_400000_NS6detail17trampoline_kernelINS0_14default_configENS1_35radix_sort_onesweep_config_selectorIflEEZZNS1_29radix_sort_onesweep_iterationIS3_Lb0EPfS7_N6thrust23THRUST_200600_302600_NS10device_ptrIlEESB_jNS0_19identity_decomposerENS1_16block_id_wrapperIjLb0EEEEE10hipError_tT1_PNSt15iterator_traitsISG_E10value_typeET2_T3_PNSH_ISM_E10value_typeET4_T5_PSR_SS_PNS1_23onesweep_lookback_stateEbbT6_jjT7_P12ihipStream_tbENKUlT_T0_SG_SL_E_clIS7_S7_PlSB_EEDaSZ_S10_SG_SL_EUlSZ_E_NS1_11comp_targetILNS1_3genE6ELNS1_11target_archE950ELNS1_3gpuE13ELNS1_3repE0EEENS1_47radix_sort_onesweep_sort_config_static_selectorELNS0_4arch9wavefront6targetE1EEEvSG_.has_indirect_call, 0
	.section	.AMDGPU.csdata,"",@progbits
; Kernel info:
; codeLenInByte = 0
; TotalNumSgprs: 4
; NumVgprs: 0
; ScratchSize: 0
; MemoryBound: 0
; FloatMode: 240
; IeeeMode: 1
; LDSByteSize: 0 bytes/workgroup (compile time only)
; SGPRBlocks: 0
; VGPRBlocks: 0
; NumSGPRsForWavesPerEU: 4
; NumVGPRsForWavesPerEU: 1
; Occupancy: 10
; WaveLimiterHint : 0
; COMPUTE_PGM_RSRC2:SCRATCH_EN: 0
; COMPUTE_PGM_RSRC2:USER_SGPR: 6
; COMPUTE_PGM_RSRC2:TRAP_HANDLER: 0
; COMPUTE_PGM_RSRC2:TGID_X_EN: 1
; COMPUTE_PGM_RSRC2:TGID_Y_EN: 0
; COMPUTE_PGM_RSRC2:TGID_Z_EN: 0
; COMPUTE_PGM_RSRC2:TIDIG_COMP_CNT: 0
	.section	.text._ZN7rocprim17ROCPRIM_400000_NS6detail17trampoline_kernelINS0_14default_configENS1_35radix_sort_onesweep_config_selectorIflEEZZNS1_29radix_sort_onesweep_iterationIS3_Lb0EPfS7_N6thrust23THRUST_200600_302600_NS10device_ptrIlEESB_jNS0_19identity_decomposerENS1_16block_id_wrapperIjLb0EEEEE10hipError_tT1_PNSt15iterator_traitsISG_E10value_typeET2_T3_PNSH_ISM_E10value_typeET4_T5_PSR_SS_PNS1_23onesweep_lookback_stateEbbT6_jjT7_P12ihipStream_tbENKUlT_T0_SG_SL_E_clIS7_S7_PlSB_EEDaSZ_S10_SG_SL_EUlSZ_E_NS1_11comp_targetILNS1_3genE5ELNS1_11target_archE942ELNS1_3gpuE9ELNS1_3repE0EEENS1_47radix_sort_onesweep_sort_config_static_selectorELNS0_4arch9wavefront6targetE1EEEvSG_,"axG",@progbits,_ZN7rocprim17ROCPRIM_400000_NS6detail17trampoline_kernelINS0_14default_configENS1_35radix_sort_onesweep_config_selectorIflEEZZNS1_29radix_sort_onesweep_iterationIS3_Lb0EPfS7_N6thrust23THRUST_200600_302600_NS10device_ptrIlEESB_jNS0_19identity_decomposerENS1_16block_id_wrapperIjLb0EEEEE10hipError_tT1_PNSt15iterator_traitsISG_E10value_typeET2_T3_PNSH_ISM_E10value_typeET4_T5_PSR_SS_PNS1_23onesweep_lookback_stateEbbT6_jjT7_P12ihipStream_tbENKUlT_T0_SG_SL_E_clIS7_S7_PlSB_EEDaSZ_S10_SG_SL_EUlSZ_E_NS1_11comp_targetILNS1_3genE5ELNS1_11target_archE942ELNS1_3gpuE9ELNS1_3repE0EEENS1_47radix_sort_onesweep_sort_config_static_selectorELNS0_4arch9wavefront6targetE1EEEvSG_,comdat
	.protected	_ZN7rocprim17ROCPRIM_400000_NS6detail17trampoline_kernelINS0_14default_configENS1_35radix_sort_onesweep_config_selectorIflEEZZNS1_29radix_sort_onesweep_iterationIS3_Lb0EPfS7_N6thrust23THRUST_200600_302600_NS10device_ptrIlEESB_jNS0_19identity_decomposerENS1_16block_id_wrapperIjLb0EEEEE10hipError_tT1_PNSt15iterator_traitsISG_E10value_typeET2_T3_PNSH_ISM_E10value_typeET4_T5_PSR_SS_PNS1_23onesweep_lookback_stateEbbT6_jjT7_P12ihipStream_tbENKUlT_T0_SG_SL_E_clIS7_S7_PlSB_EEDaSZ_S10_SG_SL_EUlSZ_E_NS1_11comp_targetILNS1_3genE5ELNS1_11target_archE942ELNS1_3gpuE9ELNS1_3repE0EEENS1_47radix_sort_onesweep_sort_config_static_selectorELNS0_4arch9wavefront6targetE1EEEvSG_ ; -- Begin function _ZN7rocprim17ROCPRIM_400000_NS6detail17trampoline_kernelINS0_14default_configENS1_35radix_sort_onesweep_config_selectorIflEEZZNS1_29radix_sort_onesweep_iterationIS3_Lb0EPfS7_N6thrust23THRUST_200600_302600_NS10device_ptrIlEESB_jNS0_19identity_decomposerENS1_16block_id_wrapperIjLb0EEEEE10hipError_tT1_PNSt15iterator_traitsISG_E10value_typeET2_T3_PNSH_ISM_E10value_typeET4_T5_PSR_SS_PNS1_23onesweep_lookback_stateEbbT6_jjT7_P12ihipStream_tbENKUlT_T0_SG_SL_E_clIS7_S7_PlSB_EEDaSZ_S10_SG_SL_EUlSZ_E_NS1_11comp_targetILNS1_3genE5ELNS1_11target_archE942ELNS1_3gpuE9ELNS1_3repE0EEENS1_47radix_sort_onesweep_sort_config_static_selectorELNS0_4arch9wavefront6targetE1EEEvSG_
	.globl	_ZN7rocprim17ROCPRIM_400000_NS6detail17trampoline_kernelINS0_14default_configENS1_35radix_sort_onesweep_config_selectorIflEEZZNS1_29radix_sort_onesweep_iterationIS3_Lb0EPfS7_N6thrust23THRUST_200600_302600_NS10device_ptrIlEESB_jNS0_19identity_decomposerENS1_16block_id_wrapperIjLb0EEEEE10hipError_tT1_PNSt15iterator_traitsISG_E10value_typeET2_T3_PNSH_ISM_E10value_typeET4_T5_PSR_SS_PNS1_23onesweep_lookback_stateEbbT6_jjT7_P12ihipStream_tbENKUlT_T0_SG_SL_E_clIS7_S7_PlSB_EEDaSZ_S10_SG_SL_EUlSZ_E_NS1_11comp_targetILNS1_3genE5ELNS1_11target_archE942ELNS1_3gpuE9ELNS1_3repE0EEENS1_47radix_sort_onesweep_sort_config_static_selectorELNS0_4arch9wavefront6targetE1EEEvSG_
	.p2align	8
	.type	_ZN7rocprim17ROCPRIM_400000_NS6detail17trampoline_kernelINS0_14default_configENS1_35radix_sort_onesweep_config_selectorIflEEZZNS1_29radix_sort_onesweep_iterationIS3_Lb0EPfS7_N6thrust23THRUST_200600_302600_NS10device_ptrIlEESB_jNS0_19identity_decomposerENS1_16block_id_wrapperIjLb0EEEEE10hipError_tT1_PNSt15iterator_traitsISG_E10value_typeET2_T3_PNSH_ISM_E10value_typeET4_T5_PSR_SS_PNS1_23onesweep_lookback_stateEbbT6_jjT7_P12ihipStream_tbENKUlT_T0_SG_SL_E_clIS7_S7_PlSB_EEDaSZ_S10_SG_SL_EUlSZ_E_NS1_11comp_targetILNS1_3genE5ELNS1_11target_archE942ELNS1_3gpuE9ELNS1_3repE0EEENS1_47radix_sort_onesweep_sort_config_static_selectorELNS0_4arch9wavefront6targetE1EEEvSG_,@function
_ZN7rocprim17ROCPRIM_400000_NS6detail17trampoline_kernelINS0_14default_configENS1_35radix_sort_onesweep_config_selectorIflEEZZNS1_29radix_sort_onesweep_iterationIS3_Lb0EPfS7_N6thrust23THRUST_200600_302600_NS10device_ptrIlEESB_jNS0_19identity_decomposerENS1_16block_id_wrapperIjLb0EEEEE10hipError_tT1_PNSt15iterator_traitsISG_E10value_typeET2_T3_PNSH_ISM_E10value_typeET4_T5_PSR_SS_PNS1_23onesweep_lookback_stateEbbT6_jjT7_P12ihipStream_tbENKUlT_T0_SG_SL_E_clIS7_S7_PlSB_EEDaSZ_S10_SG_SL_EUlSZ_E_NS1_11comp_targetILNS1_3genE5ELNS1_11target_archE942ELNS1_3gpuE9ELNS1_3repE0EEENS1_47radix_sort_onesweep_sort_config_static_selectorELNS0_4arch9wavefront6targetE1EEEvSG_: ; @_ZN7rocprim17ROCPRIM_400000_NS6detail17trampoline_kernelINS0_14default_configENS1_35radix_sort_onesweep_config_selectorIflEEZZNS1_29radix_sort_onesweep_iterationIS3_Lb0EPfS7_N6thrust23THRUST_200600_302600_NS10device_ptrIlEESB_jNS0_19identity_decomposerENS1_16block_id_wrapperIjLb0EEEEE10hipError_tT1_PNSt15iterator_traitsISG_E10value_typeET2_T3_PNSH_ISM_E10value_typeET4_T5_PSR_SS_PNS1_23onesweep_lookback_stateEbbT6_jjT7_P12ihipStream_tbENKUlT_T0_SG_SL_E_clIS7_S7_PlSB_EEDaSZ_S10_SG_SL_EUlSZ_E_NS1_11comp_targetILNS1_3genE5ELNS1_11target_archE942ELNS1_3gpuE9ELNS1_3repE0EEENS1_47radix_sort_onesweep_sort_config_static_selectorELNS0_4arch9wavefront6targetE1EEEvSG_
; %bb.0:
	.section	.rodata,"a",@progbits
	.p2align	6, 0x0
	.amdhsa_kernel _ZN7rocprim17ROCPRIM_400000_NS6detail17trampoline_kernelINS0_14default_configENS1_35radix_sort_onesweep_config_selectorIflEEZZNS1_29radix_sort_onesweep_iterationIS3_Lb0EPfS7_N6thrust23THRUST_200600_302600_NS10device_ptrIlEESB_jNS0_19identity_decomposerENS1_16block_id_wrapperIjLb0EEEEE10hipError_tT1_PNSt15iterator_traitsISG_E10value_typeET2_T3_PNSH_ISM_E10value_typeET4_T5_PSR_SS_PNS1_23onesweep_lookback_stateEbbT6_jjT7_P12ihipStream_tbENKUlT_T0_SG_SL_E_clIS7_S7_PlSB_EEDaSZ_S10_SG_SL_EUlSZ_E_NS1_11comp_targetILNS1_3genE5ELNS1_11target_archE942ELNS1_3gpuE9ELNS1_3repE0EEENS1_47radix_sort_onesweep_sort_config_static_selectorELNS0_4arch9wavefront6targetE1EEEvSG_
		.amdhsa_group_segment_fixed_size 0
		.amdhsa_private_segment_fixed_size 0
		.amdhsa_kernarg_size 88
		.amdhsa_user_sgpr_count 6
		.amdhsa_user_sgpr_private_segment_buffer 1
		.amdhsa_user_sgpr_dispatch_ptr 0
		.amdhsa_user_sgpr_queue_ptr 0
		.amdhsa_user_sgpr_kernarg_segment_ptr 1
		.amdhsa_user_sgpr_dispatch_id 0
		.amdhsa_user_sgpr_flat_scratch_init 0
		.amdhsa_user_sgpr_private_segment_size 0
		.amdhsa_uses_dynamic_stack 0
		.amdhsa_system_sgpr_private_segment_wavefront_offset 0
		.amdhsa_system_sgpr_workgroup_id_x 1
		.amdhsa_system_sgpr_workgroup_id_y 0
		.amdhsa_system_sgpr_workgroup_id_z 0
		.amdhsa_system_sgpr_workgroup_info 0
		.amdhsa_system_vgpr_workitem_id 0
		.amdhsa_next_free_vgpr 1
		.amdhsa_next_free_sgpr 0
		.amdhsa_reserve_vcc 0
		.amdhsa_reserve_flat_scratch 0
		.amdhsa_float_round_mode_32 0
		.amdhsa_float_round_mode_16_64 0
		.amdhsa_float_denorm_mode_32 3
		.amdhsa_float_denorm_mode_16_64 3
		.amdhsa_dx10_clamp 1
		.amdhsa_ieee_mode 1
		.amdhsa_fp16_overflow 0
		.amdhsa_exception_fp_ieee_invalid_op 0
		.amdhsa_exception_fp_denorm_src 0
		.amdhsa_exception_fp_ieee_div_zero 0
		.amdhsa_exception_fp_ieee_overflow 0
		.amdhsa_exception_fp_ieee_underflow 0
		.amdhsa_exception_fp_ieee_inexact 0
		.amdhsa_exception_int_div_zero 0
	.end_amdhsa_kernel
	.section	.text._ZN7rocprim17ROCPRIM_400000_NS6detail17trampoline_kernelINS0_14default_configENS1_35radix_sort_onesweep_config_selectorIflEEZZNS1_29radix_sort_onesweep_iterationIS3_Lb0EPfS7_N6thrust23THRUST_200600_302600_NS10device_ptrIlEESB_jNS0_19identity_decomposerENS1_16block_id_wrapperIjLb0EEEEE10hipError_tT1_PNSt15iterator_traitsISG_E10value_typeET2_T3_PNSH_ISM_E10value_typeET4_T5_PSR_SS_PNS1_23onesweep_lookback_stateEbbT6_jjT7_P12ihipStream_tbENKUlT_T0_SG_SL_E_clIS7_S7_PlSB_EEDaSZ_S10_SG_SL_EUlSZ_E_NS1_11comp_targetILNS1_3genE5ELNS1_11target_archE942ELNS1_3gpuE9ELNS1_3repE0EEENS1_47radix_sort_onesweep_sort_config_static_selectorELNS0_4arch9wavefront6targetE1EEEvSG_,"axG",@progbits,_ZN7rocprim17ROCPRIM_400000_NS6detail17trampoline_kernelINS0_14default_configENS1_35radix_sort_onesweep_config_selectorIflEEZZNS1_29radix_sort_onesweep_iterationIS3_Lb0EPfS7_N6thrust23THRUST_200600_302600_NS10device_ptrIlEESB_jNS0_19identity_decomposerENS1_16block_id_wrapperIjLb0EEEEE10hipError_tT1_PNSt15iterator_traitsISG_E10value_typeET2_T3_PNSH_ISM_E10value_typeET4_T5_PSR_SS_PNS1_23onesweep_lookback_stateEbbT6_jjT7_P12ihipStream_tbENKUlT_T0_SG_SL_E_clIS7_S7_PlSB_EEDaSZ_S10_SG_SL_EUlSZ_E_NS1_11comp_targetILNS1_3genE5ELNS1_11target_archE942ELNS1_3gpuE9ELNS1_3repE0EEENS1_47radix_sort_onesweep_sort_config_static_selectorELNS0_4arch9wavefront6targetE1EEEvSG_,comdat
.Lfunc_end1881:
	.size	_ZN7rocprim17ROCPRIM_400000_NS6detail17trampoline_kernelINS0_14default_configENS1_35radix_sort_onesweep_config_selectorIflEEZZNS1_29radix_sort_onesweep_iterationIS3_Lb0EPfS7_N6thrust23THRUST_200600_302600_NS10device_ptrIlEESB_jNS0_19identity_decomposerENS1_16block_id_wrapperIjLb0EEEEE10hipError_tT1_PNSt15iterator_traitsISG_E10value_typeET2_T3_PNSH_ISM_E10value_typeET4_T5_PSR_SS_PNS1_23onesweep_lookback_stateEbbT6_jjT7_P12ihipStream_tbENKUlT_T0_SG_SL_E_clIS7_S7_PlSB_EEDaSZ_S10_SG_SL_EUlSZ_E_NS1_11comp_targetILNS1_3genE5ELNS1_11target_archE942ELNS1_3gpuE9ELNS1_3repE0EEENS1_47radix_sort_onesweep_sort_config_static_selectorELNS0_4arch9wavefront6targetE1EEEvSG_, .Lfunc_end1881-_ZN7rocprim17ROCPRIM_400000_NS6detail17trampoline_kernelINS0_14default_configENS1_35radix_sort_onesweep_config_selectorIflEEZZNS1_29radix_sort_onesweep_iterationIS3_Lb0EPfS7_N6thrust23THRUST_200600_302600_NS10device_ptrIlEESB_jNS0_19identity_decomposerENS1_16block_id_wrapperIjLb0EEEEE10hipError_tT1_PNSt15iterator_traitsISG_E10value_typeET2_T3_PNSH_ISM_E10value_typeET4_T5_PSR_SS_PNS1_23onesweep_lookback_stateEbbT6_jjT7_P12ihipStream_tbENKUlT_T0_SG_SL_E_clIS7_S7_PlSB_EEDaSZ_S10_SG_SL_EUlSZ_E_NS1_11comp_targetILNS1_3genE5ELNS1_11target_archE942ELNS1_3gpuE9ELNS1_3repE0EEENS1_47radix_sort_onesweep_sort_config_static_selectorELNS0_4arch9wavefront6targetE1EEEvSG_
                                        ; -- End function
	.set _ZN7rocprim17ROCPRIM_400000_NS6detail17trampoline_kernelINS0_14default_configENS1_35radix_sort_onesweep_config_selectorIflEEZZNS1_29radix_sort_onesweep_iterationIS3_Lb0EPfS7_N6thrust23THRUST_200600_302600_NS10device_ptrIlEESB_jNS0_19identity_decomposerENS1_16block_id_wrapperIjLb0EEEEE10hipError_tT1_PNSt15iterator_traitsISG_E10value_typeET2_T3_PNSH_ISM_E10value_typeET4_T5_PSR_SS_PNS1_23onesweep_lookback_stateEbbT6_jjT7_P12ihipStream_tbENKUlT_T0_SG_SL_E_clIS7_S7_PlSB_EEDaSZ_S10_SG_SL_EUlSZ_E_NS1_11comp_targetILNS1_3genE5ELNS1_11target_archE942ELNS1_3gpuE9ELNS1_3repE0EEENS1_47radix_sort_onesweep_sort_config_static_selectorELNS0_4arch9wavefront6targetE1EEEvSG_.num_vgpr, 0
	.set _ZN7rocprim17ROCPRIM_400000_NS6detail17trampoline_kernelINS0_14default_configENS1_35radix_sort_onesweep_config_selectorIflEEZZNS1_29radix_sort_onesweep_iterationIS3_Lb0EPfS7_N6thrust23THRUST_200600_302600_NS10device_ptrIlEESB_jNS0_19identity_decomposerENS1_16block_id_wrapperIjLb0EEEEE10hipError_tT1_PNSt15iterator_traitsISG_E10value_typeET2_T3_PNSH_ISM_E10value_typeET4_T5_PSR_SS_PNS1_23onesweep_lookback_stateEbbT6_jjT7_P12ihipStream_tbENKUlT_T0_SG_SL_E_clIS7_S7_PlSB_EEDaSZ_S10_SG_SL_EUlSZ_E_NS1_11comp_targetILNS1_3genE5ELNS1_11target_archE942ELNS1_3gpuE9ELNS1_3repE0EEENS1_47radix_sort_onesweep_sort_config_static_selectorELNS0_4arch9wavefront6targetE1EEEvSG_.num_agpr, 0
	.set _ZN7rocprim17ROCPRIM_400000_NS6detail17trampoline_kernelINS0_14default_configENS1_35radix_sort_onesweep_config_selectorIflEEZZNS1_29radix_sort_onesweep_iterationIS3_Lb0EPfS7_N6thrust23THRUST_200600_302600_NS10device_ptrIlEESB_jNS0_19identity_decomposerENS1_16block_id_wrapperIjLb0EEEEE10hipError_tT1_PNSt15iterator_traitsISG_E10value_typeET2_T3_PNSH_ISM_E10value_typeET4_T5_PSR_SS_PNS1_23onesweep_lookback_stateEbbT6_jjT7_P12ihipStream_tbENKUlT_T0_SG_SL_E_clIS7_S7_PlSB_EEDaSZ_S10_SG_SL_EUlSZ_E_NS1_11comp_targetILNS1_3genE5ELNS1_11target_archE942ELNS1_3gpuE9ELNS1_3repE0EEENS1_47radix_sort_onesweep_sort_config_static_selectorELNS0_4arch9wavefront6targetE1EEEvSG_.numbered_sgpr, 0
	.set _ZN7rocprim17ROCPRIM_400000_NS6detail17trampoline_kernelINS0_14default_configENS1_35radix_sort_onesweep_config_selectorIflEEZZNS1_29radix_sort_onesweep_iterationIS3_Lb0EPfS7_N6thrust23THRUST_200600_302600_NS10device_ptrIlEESB_jNS0_19identity_decomposerENS1_16block_id_wrapperIjLb0EEEEE10hipError_tT1_PNSt15iterator_traitsISG_E10value_typeET2_T3_PNSH_ISM_E10value_typeET4_T5_PSR_SS_PNS1_23onesweep_lookback_stateEbbT6_jjT7_P12ihipStream_tbENKUlT_T0_SG_SL_E_clIS7_S7_PlSB_EEDaSZ_S10_SG_SL_EUlSZ_E_NS1_11comp_targetILNS1_3genE5ELNS1_11target_archE942ELNS1_3gpuE9ELNS1_3repE0EEENS1_47radix_sort_onesweep_sort_config_static_selectorELNS0_4arch9wavefront6targetE1EEEvSG_.num_named_barrier, 0
	.set _ZN7rocprim17ROCPRIM_400000_NS6detail17trampoline_kernelINS0_14default_configENS1_35radix_sort_onesweep_config_selectorIflEEZZNS1_29radix_sort_onesweep_iterationIS3_Lb0EPfS7_N6thrust23THRUST_200600_302600_NS10device_ptrIlEESB_jNS0_19identity_decomposerENS1_16block_id_wrapperIjLb0EEEEE10hipError_tT1_PNSt15iterator_traitsISG_E10value_typeET2_T3_PNSH_ISM_E10value_typeET4_T5_PSR_SS_PNS1_23onesweep_lookback_stateEbbT6_jjT7_P12ihipStream_tbENKUlT_T0_SG_SL_E_clIS7_S7_PlSB_EEDaSZ_S10_SG_SL_EUlSZ_E_NS1_11comp_targetILNS1_3genE5ELNS1_11target_archE942ELNS1_3gpuE9ELNS1_3repE0EEENS1_47radix_sort_onesweep_sort_config_static_selectorELNS0_4arch9wavefront6targetE1EEEvSG_.private_seg_size, 0
	.set _ZN7rocprim17ROCPRIM_400000_NS6detail17trampoline_kernelINS0_14default_configENS1_35radix_sort_onesweep_config_selectorIflEEZZNS1_29radix_sort_onesweep_iterationIS3_Lb0EPfS7_N6thrust23THRUST_200600_302600_NS10device_ptrIlEESB_jNS0_19identity_decomposerENS1_16block_id_wrapperIjLb0EEEEE10hipError_tT1_PNSt15iterator_traitsISG_E10value_typeET2_T3_PNSH_ISM_E10value_typeET4_T5_PSR_SS_PNS1_23onesweep_lookback_stateEbbT6_jjT7_P12ihipStream_tbENKUlT_T0_SG_SL_E_clIS7_S7_PlSB_EEDaSZ_S10_SG_SL_EUlSZ_E_NS1_11comp_targetILNS1_3genE5ELNS1_11target_archE942ELNS1_3gpuE9ELNS1_3repE0EEENS1_47radix_sort_onesweep_sort_config_static_selectorELNS0_4arch9wavefront6targetE1EEEvSG_.uses_vcc, 0
	.set _ZN7rocprim17ROCPRIM_400000_NS6detail17trampoline_kernelINS0_14default_configENS1_35radix_sort_onesweep_config_selectorIflEEZZNS1_29radix_sort_onesweep_iterationIS3_Lb0EPfS7_N6thrust23THRUST_200600_302600_NS10device_ptrIlEESB_jNS0_19identity_decomposerENS1_16block_id_wrapperIjLb0EEEEE10hipError_tT1_PNSt15iterator_traitsISG_E10value_typeET2_T3_PNSH_ISM_E10value_typeET4_T5_PSR_SS_PNS1_23onesweep_lookback_stateEbbT6_jjT7_P12ihipStream_tbENKUlT_T0_SG_SL_E_clIS7_S7_PlSB_EEDaSZ_S10_SG_SL_EUlSZ_E_NS1_11comp_targetILNS1_3genE5ELNS1_11target_archE942ELNS1_3gpuE9ELNS1_3repE0EEENS1_47radix_sort_onesweep_sort_config_static_selectorELNS0_4arch9wavefront6targetE1EEEvSG_.uses_flat_scratch, 0
	.set _ZN7rocprim17ROCPRIM_400000_NS6detail17trampoline_kernelINS0_14default_configENS1_35radix_sort_onesweep_config_selectorIflEEZZNS1_29radix_sort_onesweep_iterationIS3_Lb0EPfS7_N6thrust23THRUST_200600_302600_NS10device_ptrIlEESB_jNS0_19identity_decomposerENS1_16block_id_wrapperIjLb0EEEEE10hipError_tT1_PNSt15iterator_traitsISG_E10value_typeET2_T3_PNSH_ISM_E10value_typeET4_T5_PSR_SS_PNS1_23onesweep_lookback_stateEbbT6_jjT7_P12ihipStream_tbENKUlT_T0_SG_SL_E_clIS7_S7_PlSB_EEDaSZ_S10_SG_SL_EUlSZ_E_NS1_11comp_targetILNS1_3genE5ELNS1_11target_archE942ELNS1_3gpuE9ELNS1_3repE0EEENS1_47radix_sort_onesweep_sort_config_static_selectorELNS0_4arch9wavefront6targetE1EEEvSG_.has_dyn_sized_stack, 0
	.set _ZN7rocprim17ROCPRIM_400000_NS6detail17trampoline_kernelINS0_14default_configENS1_35radix_sort_onesweep_config_selectorIflEEZZNS1_29radix_sort_onesweep_iterationIS3_Lb0EPfS7_N6thrust23THRUST_200600_302600_NS10device_ptrIlEESB_jNS0_19identity_decomposerENS1_16block_id_wrapperIjLb0EEEEE10hipError_tT1_PNSt15iterator_traitsISG_E10value_typeET2_T3_PNSH_ISM_E10value_typeET4_T5_PSR_SS_PNS1_23onesweep_lookback_stateEbbT6_jjT7_P12ihipStream_tbENKUlT_T0_SG_SL_E_clIS7_S7_PlSB_EEDaSZ_S10_SG_SL_EUlSZ_E_NS1_11comp_targetILNS1_3genE5ELNS1_11target_archE942ELNS1_3gpuE9ELNS1_3repE0EEENS1_47radix_sort_onesweep_sort_config_static_selectorELNS0_4arch9wavefront6targetE1EEEvSG_.has_recursion, 0
	.set _ZN7rocprim17ROCPRIM_400000_NS6detail17trampoline_kernelINS0_14default_configENS1_35radix_sort_onesweep_config_selectorIflEEZZNS1_29radix_sort_onesweep_iterationIS3_Lb0EPfS7_N6thrust23THRUST_200600_302600_NS10device_ptrIlEESB_jNS0_19identity_decomposerENS1_16block_id_wrapperIjLb0EEEEE10hipError_tT1_PNSt15iterator_traitsISG_E10value_typeET2_T3_PNSH_ISM_E10value_typeET4_T5_PSR_SS_PNS1_23onesweep_lookback_stateEbbT6_jjT7_P12ihipStream_tbENKUlT_T0_SG_SL_E_clIS7_S7_PlSB_EEDaSZ_S10_SG_SL_EUlSZ_E_NS1_11comp_targetILNS1_3genE5ELNS1_11target_archE942ELNS1_3gpuE9ELNS1_3repE0EEENS1_47radix_sort_onesweep_sort_config_static_selectorELNS0_4arch9wavefront6targetE1EEEvSG_.has_indirect_call, 0
	.section	.AMDGPU.csdata,"",@progbits
; Kernel info:
; codeLenInByte = 0
; TotalNumSgprs: 4
; NumVgprs: 0
; ScratchSize: 0
; MemoryBound: 0
; FloatMode: 240
; IeeeMode: 1
; LDSByteSize: 0 bytes/workgroup (compile time only)
; SGPRBlocks: 0
; VGPRBlocks: 0
; NumSGPRsForWavesPerEU: 4
; NumVGPRsForWavesPerEU: 1
; Occupancy: 10
; WaveLimiterHint : 0
; COMPUTE_PGM_RSRC2:SCRATCH_EN: 0
; COMPUTE_PGM_RSRC2:USER_SGPR: 6
; COMPUTE_PGM_RSRC2:TRAP_HANDLER: 0
; COMPUTE_PGM_RSRC2:TGID_X_EN: 1
; COMPUTE_PGM_RSRC2:TGID_Y_EN: 0
; COMPUTE_PGM_RSRC2:TGID_Z_EN: 0
; COMPUTE_PGM_RSRC2:TIDIG_COMP_CNT: 0
	.section	.text._ZN7rocprim17ROCPRIM_400000_NS6detail17trampoline_kernelINS0_14default_configENS1_35radix_sort_onesweep_config_selectorIflEEZZNS1_29radix_sort_onesweep_iterationIS3_Lb0EPfS7_N6thrust23THRUST_200600_302600_NS10device_ptrIlEESB_jNS0_19identity_decomposerENS1_16block_id_wrapperIjLb0EEEEE10hipError_tT1_PNSt15iterator_traitsISG_E10value_typeET2_T3_PNSH_ISM_E10value_typeET4_T5_PSR_SS_PNS1_23onesweep_lookback_stateEbbT6_jjT7_P12ihipStream_tbENKUlT_T0_SG_SL_E_clIS7_S7_PlSB_EEDaSZ_S10_SG_SL_EUlSZ_E_NS1_11comp_targetILNS1_3genE2ELNS1_11target_archE906ELNS1_3gpuE6ELNS1_3repE0EEENS1_47radix_sort_onesweep_sort_config_static_selectorELNS0_4arch9wavefront6targetE1EEEvSG_,"axG",@progbits,_ZN7rocprim17ROCPRIM_400000_NS6detail17trampoline_kernelINS0_14default_configENS1_35radix_sort_onesweep_config_selectorIflEEZZNS1_29radix_sort_onesweep_iterationIS3_Lb0EPfS7_N6thrust23THRUST_200600_302600_NS10device_ptrIlEESB_jNS0_19identity_decomposerENS1_16block_id_wrapperIjLb0EEEEE10hipError_tT1_PNSt15iterator_traitsISG_E10value_typeET2_T3_PNSH_ISM_E10value_typeET4_T5_PSR_SS_PNS1_23onesweep_lookback_stateEbbT6_jjT7_P12ihipStream_tbENKUlT_T0_SG_SL_E_clIS7_S7_PlSB_EEDaSZ_S10_SG_SL_EUlSZ_E_NS1_11comp_targetILNS1_3genE2ELNS1_11target_archE906ELNS1_3gpuE6ELNS1_3repE0EEENS1_47radix_sort_onesweep_sort_config_static_selectorELNS0_4arch9wavefront6targetE1EEEvSG_,comdat
	.protected	_ZN7rocprim17ROCPRIM_400000_NS6detail17trampoline_kernelINS0_14default_configENS1_35radix_sort_onesweep_config_selectorIflEEZZNS1_29radix_sort_onesweep_iterationIS3_Lb0EPfS7_N6thrust23THRUST_200600_302600_NS10device_ptrIlEESB_jNS0_19identity_decomposerENS1_16block_id_wrapperIjLb0EEEEE10hipError_tT1_PNSt15iterator_traitsISG_E10value_typeET2_T3_PNSH_ISM_E10value_typeET4_T5_PSR_SS_PNS1_23onesweep_lookback_stateEbbT6_jjT7_P12ihipStream_tbENKUlT_T0_SG_SL_E_clIS7_S7_PlSB_EEDaSZ_S10_SG_SL_EUlSZ_E_NS1_11comp_targetILNS1_3genE2ELNS1_11target_archE906ELNS1_3gpuE6ELNS1_3repE0EEENS1_47radix_sort_onesweep_sort_config_static_selectorELNS0_4arch9wavefront6targetE1EEEvSG_ ; -- Begin function _ZN7rocprim17ROCPRIM_400000_NS6detail17trampoline_kernelINS0_14default_configENS1_35radix_sort_onesweep_config_selectorIflEEZZNS1_29radix_sort_onesweep_iterationIS3_Lb0EPfS7_N6thrust23THRUST_200600_302600_NS10device_ptrIlEESB_jNS0_19identity_decomposerENS1_16block_id_wrapperIjLb0EEEEE10hipError_tT1_PNSt15iterator_traitsISG_E10value_typeET2_T3_PNSH_ISM_E10value_typeET4_T5_PSR_SS_PNS1_23onesweep_lookback_stateEbbT6_jjT7_P12ihipStream_tbENKUlT_T0_SG_SL_E_clIS7_S7_PlSB_EEDaSZ_S10_SG_SL_EUlSZ_E_NS1_11comp_targetILNS1_3genE2ELNS1_11target_archE906ELNS1_3gpuE6ELNS1_3repE0EEENS1_47radix_sort_onesweep_sort_config_static_selectorELNS0_4arch9wavefront6targetE1EEEvSG_
	.globl	_ZN7rocprim17ROCPRIM_400000_NS6detail17trampoline_kernelINS0_14default_configENS1_35radix_sort_onesweep_config_selectorIflEEZZNS1_29radix_sort_onesweep_iterationIS3_Lb0EPfS7_N6thrust23THRUST_200600_302600_NS10device_ptrIlEESB_jNS0_19identity_decomposerENS1_16block_id_wrapperIjLb0EEEEE10hipError_tT1_PNSt15iterator_traitsISG_E10value_typeET2_T3_PNSH_ISM_E10value_typeET4_T5_PSR_SS_PNS1_23onesweep_lookback_stateEbbT6_jjT7_P12ihipStream_tbENKUlT_T0_SG_SL_E_clIS7_S7_PlSB_EEDaSZ_S10_SG_SL_EUlSZ_E_NS1_11comp_targetILNS1_3genE2ELNS1_11target_archE906ELNS1_3gpuE6ELNS1_3repE0EEENS1_47radix_sort_onesweep_sort_config_static_selectorELNS0_4arch9wavefront6targetE1EEEvSG_
	.p2align	8
	.type	_ZN7rocprim17ROCPRIM_400000_NS6detail17trampoline_kernelINS0_14default_configENS1_35radix_sort_onesweep_config_selectorIflEEZZNS1_29radix_sort_onesweep_iterationIS3_Lb0EPfS7_N6thrust23THRUST_200600_302600_NS10device_ptrIlEESB_jNS0_19identity_decomposerENS1_16block_id_wrapperIjLb0EEEEE10hipError_tT1_PNSt15iterator_traitsISG_E10value_typeET2_T3_PNSH_ISM_E10value_typeET4_T5_PSR_SS_PNS1_23onesweep_lookback_stateEbbT6_jjT7_P12ihipStream_tbENKUlT_T0_SG_SL_E_clIS7_S7_PlSB_EEDaSZ_S10_SG_SL_EUlSZ_E_NS1_11comp_targetILNS1_3genE2ELNS1_11target_archE906ELNS1_3gpuE6ELNS1_3repE0EEENS1_47radix_sort_onesweep_sort_config_static_selectorELNS0_4arch9wavefront6targetE1EEEvSG_,@function
_ZN7rocprim17ROCPRIM_400000_NS6detail17trampoline_kernelINS0_14default_configENS1_35radix_sort_onesweep_config_selectorIflEEZZNS1_29radix_sort_onesweep_iterationIS3_Lb0EPfS7_N6thrust23THRUST_200600_302600_NS10device_ptrIlEESB_jNS0_19identity_decomposerENS1_16block_id_wrapperIjLb0EEEEE10hipError_tT1_PNSt15iterator_traitsISG_E10value_typeET2_T3_PNSH_ISM_E10value_typeET4_T5_PSR_SS_PNS1_23onesweep_lookback_stateEbbT6_jjT7_P12ihipStream_tbENKUlT_T0_SG_SL_E_clIS7_S7_PlSB_EEDaSZ_S10_SG_SL_EUlSZ_E_NS1_11comp_targetILNS1_3genE2ELNS1_11target_archE906ELNS1_3gpuE6ELNS1_3repE0EEENS1_47radix_sort_onesweep_sort_config_static_selectorELNS0_4arch9wavefront6targetE1EEEvSG_: ; @_ZN7rocprim17ROCPRIM_400000_NS6detail17trampoline_kernelINS0_14default_configENS1_35radix_sort_onesweep_config_selectorIflEEZZNS1_29radix_sort_onesweep_iterationIS3_Lb0EPfS7_N6thrust23THRUST_200600_302600_NS10device_ptrIlEESB_jNS0_19identity_decomposerENS1_16block_id_wrapperIjLb0EEEEE10hipError_tT1_PNSt15iterator_traitsISG_E10value_typeET2_T3_PNSH_ISM_E10value_typeET4_T5_PSR_SS_PNS1_23onesweep_lookback_stateEbbT6_jjT7_P12ihipStream_tbENKUlT_T0_SG_SL_E_clIS7_S7_PlSB_EEDaSZ_S10_SG_SL_EUlSZ_E_NS1_11comp_targetILNS1_3genE2ELNS1_11target_archE906ELNS1_3gpuE6ELNS1_3repE0EEENS1_47radix_sort_onesweep_sort_config_static_selectorELNS0_4arch9wavefront6targetE1EEEvSG_
; %bb.0:
	s_add_u32 s0, s0, s7
	s_load_dwordx4 s[44:47], s[4:5], 0x44
	s_load_dwordx8 s[36:43], s[4:5], 0x0
	s_load_dwordx4 s[28:31], s[4:5], 0x28
	s_load_dwordx2 s[34:35], s[4:5], 0x38
	s_addc_u32 s1, s1, 0
	s_mov_b64 s[8:9], -1
	s_waitcnt lgkmcnt(0)
	s_cmp_ge_u32 s6, s46
	v_mbcnt_lo_u32_b32 v22, -1, 0
	v_lshlrev_b32_e32 v21, 3, v0
	s_cbranch_scc0 .LBB1882_88
; %bb.1:
	s_load_dword s7, s[4:5], 0x20
	s_lshl_b32 s10, s46, 12
	s_lshl_b32 s46, s6, 12
	s_mov_b32 s47, 0
	s_lshl_b64 s[8:9], s[46:47], 2
	s_waitcnt lgkmcnt(0)
	s_sub_i32 s7, s7, s10
	v_mbcnt_hi_u32_b32 v17, -1, v22
	s_add_u32 s8, s36, s8
	v_and_b32_e32 v15, 63, v17
	s_addc_u32 s9, s37, s9
	v_lshlrev_b32_e32 v3, 2, v15
	v_and_b32_e32 v14, 0xe00, v21
	v_mov_b32_e32 v4, s9
	v_add_co_u32_e32 v3, vcc, s8, v3
	v_addc_co_u32_e32 v4, vcc, 0, v4, vcc
	v_lshlrev_b32_e32 v5, 2, v14
	v_add_co_u32_e32 v11, vcc, v3, v5
	v_or_b32_e32 v13, v15, v14
	v_bfrev_b32_e32 v3, -2
	v_addc_co_u32_e32 v12, vcc, 0, v4, vcc
	v_cmp_gt_u32_e64 s[24:25], s7, v13
	v_mov_b32_e32 v4, v3
	v_mov_b32_e32 v5, v3
	;; [unrolled: 1-line block ×7, first 2 shown]
	s_and_saveexec_b64 s[8:9], s[24:25]
	s_cbranch_execz .LBB1882_3
; %bb.2:
	global_load_dword v23, v[11:12], off
	v_mov_b32_e32 v24, v3
	v_mov_b32_e32 v25, v3
	;; [unrolled: 1-line block ×7, first 2 shown]
	s_waitcnt vmcnt(0)
	v_mov_b32_e32 v3, v23
	v_mov_b32_e32 v4, v24
	;; [unrolled: 1-line block ×8, first 2 shown]
.LBB1882_3:
	s_or_b64 exec, exec, s[8:9]
	v_or_b32_e32 v16, 64, v13
	v_cmp_gt_u32_e64 s[8:9], s7, v16
	s_and_saveexec_b64 s[10:11], s[8:9]
	s_cbranch_execz .LBB1882_5
; %bb.4:
	global_load_dword v4, v[11:12], off offset:256
.LBB1882_5:
	s_or_b64 exec, exec, s[10:11]
	v_or_b32_e32 v16, 0x80, v13
	v_cmp_gt_u32_e64 s[10:11], s7, v16
	s_and_saveexec_b64 s[12:13], s[10:11]
	s_cbranch_execz .LBB1882_7
; %bb.6:
	global_load_dword v5, v[11:12], off offset:512
.LBB1882_7:
	;; [unrolled: 8-line block ×7, first 2 shown]
	s_or_b64 exec, exec, s[22:23]
	s_load_dword s22, s[4:5], 0x64
	s_load_dword s33, s[4:5], 0x58
	s_add_u32 s23, s4, 0x58
	s_addc_u32 s26, s5, 0
	v_mov_b32_e32 v11, 0
	s_waitcnt lgkmcnt(0)
	s_lshr_b32 s27, s22, 16
	s_cmp_lt_u32 s6, s33
	s_cselect_b32 s22, 12, 18
	s_add_u32 s22, s23, s22
	s_addc_u32 s23, s26, 0
	global_load_ushort v13, v11, s[22:23]
	v_bfrev_b32_e32 v20, 1
	v_cmp_lt_i32_e32 vcc, -1, v3
	v_cndmask_b32_e32 v12, -1, v20, vcc
	s_brev_b32 s26, -2
	v_xor_b32_e32 v16, v12, v3
	v_cmp_ne_u32_e32 vcc, s26, v16
	v_cndmask_b32_e32 v3, v20, v16, vcc
	s_lshl_b32 s22, -1, s45
	v_lshrrev_b32_e32 v3, s44, v3
	s_not_b32 s54, s22
	v_and_b32_e32 v3, s54, v3
	v_and_b32_e32 v24, 1, v3
	v_add_co_u32_e32 v25, vcc, -1, v24
	v_lshlrev_b32_e32 v12, 30, v3
	v_addc_co_u32_e64 v26, s[22:23], 0, -1, vcc
	v_cmp_ne_u32_e32 vcc, 0, v24
	v_cmp_gt_i64_e64 s[22:23], 0, v[11:12]
	v_not_b32_e32 v24, v12
	v_lshlrev_b32_e32 v12, 29, v3
	v_xor_b32_e32 v26, vcc_hi, v26
	v_xor_b32_e32 v25, vcc_lo, v25
	v_ashrrev_i32_e32 v24, 31, v24
	v_cmp_gt_i64_e32 vcc, 0, v[11:12]
	v_not_b32_e32 v27, v12
	v_lshlrev_b32_e32 v12, 28, v3
	v_and_b32_e32 v26, exec_hi, v26
	v_and_b32_e32 v25, exec_lo, v25
	v_xor_b32_e32 v28, s23, v24
	v_xor_b32_e32 v24, s22, v24
	v_ashrrev_i32_e32 v27, 31, v27
	v_cmp_gt_i64_e64 s[22:23], 0, v[11:12]
	v_not_b32_e32 v29, v12
	v_lshlrev_b32_e32 v12, 27, v3
	v_and_b32_e32 v26, v26, v28
	v_and_b32_e32 v24, v25, v24
	v_xor_b32_e32 v25, vcc_hi, v27
	v_xor_b32_e32 v27, vcc_lo, v27
	v_ashrrev_i32_e32 v28, 31, v29
	v_cmp_gt_i64_e32 vcc, 0, v[11:12]
	v_not_b32_e32 v29, v12
	v_lshlrev_b32_e32 v12, 26, v3
	v_and_b32_e32 v25, v26, v25
	v_and_b32_e32 v24, v24, v27
	v_xor_b32_e32 v26, s23, v28
	v_xor_b32_e32 v27, s22, v28
	v_ashrrev_i32_e32 v28, 31, v29
	v_cmp_gt_i64_e64 s[22:23], 0, v[11:12]
	v_not_b32_e32 v29, v12
	v_lshlrev_b32_e32 v12, 25, v3
	v_mad_u32_u24 v18, v2, s27, v1
	v_and_b32_e32 v25, v25, v26
	v_and_b32_e32 v24, v24, v27
	v_xor_b32_e32 v26, vcc_hi, v28
	v_xor_b32_e32 v27, vcc_lo, v28
	v_ashrrev_i32_e32 v28, 31, v29
	v_cmp_gt_i64_e32 vcc, 0, v[11:12]
	v_not_b32_e32 v29, v12
	v_lshlrev_b32_e32 v12, 24, v3
	v_mul_lo_u32 v23, v3, 36
	v_and_b32_e32 v3, v25, v26
	v_xor_b32_e32 v25, s23, v28
	v_xor_b32_e32 v26, s22, v28
	v_cmp_gt_i64_e64 s[22:23], 0, v[11:12]
	v_not_b32_e32 v28, v12
	v_and_b32_e32 v24, v24, v27
	v_ashrrev_i32_e32 v27, 31, v29
	v_and_b32_e32 v24, v24, v26
	v_and_b32_e32 v3, v3, v25
	v_xor_b32_e32 v25, vcc_hi, v27
	v_and_b32_e32 v3, v3, v25
	v_mul_u32_u24_e32 v19, 20, v0
	ds_write2_b32 v19, v11, v11 offset0:8 offset1:9
	ds_write2_b32 v19, v11, v11 offset0:10 offset1:11
	ds_write_b32 v19, v11 offset:48
	s_waitcnt vmcnt(0) lgkmcnt(0)
	s_barrier
	; wave barrier
	v_mad_u64_u32 v[12:13], s[48:49], v18, v13, v[0:1]
	v_xor_b32_e32 v13, vcc_lo, v27
	v_and_b32_e32 v18, v24, v13
	v_lshrrev_b32_e32 v12, 4, v12
	v_and_b32_e32 v39, 0xffffffc, v12
	v_ashrrev_i32_e32 v12, 31, v28
	v_xor_b32_e32 v13, s23, v12
	v_xor_b32_e32 v12, s22, v12
	v_and_b32_e32 v12, v18, v12
	v_and_b32_e32 v13, v3, v13
	v_mbcnt_lo_u32_b32 v3, v12, 0
	v_mbcnt_hi_u32_b32 v18, v13, v3
	v_cmp_ne_u64_e32 vcc, 0, v[12:13]
	v_cmp_eq_u32_e64 s[22:23], 0, v18
	s_and_b64 s[48:49], vcc, s[22:23]
	v_add_u32_e32 v32, v39, v23
	s_and_saveexec_b64 s[22:23], s[48:49]
; %bb.18:
	v_bcnt_u32_b32 v3, v12, 0
	v_bcnt_u32_b32 v3, v13, v3
	ds_write_b32 v32, v3 offset:32
; %bb.19:
	s_or_b64 exec, exec, s[22:23]
	v_cmp_lt_i32_e32 vcc, -1, v4
	v_cndmask_b32_e32 v3, -1, v20, vcc
	v_xor_b32_e32 v13, v3, v4
	v_cmp_ne_u32_e32 vcc, s26, v13
	v_cndmask_b32_e32 v3, v20, v13, vcc
	v_lshrrev_b32_e32 v3, s44, v3
	v_and_b32_e32 v3, s54, v3
	v_mul_lo_u32 v4, v3, 36
	; wave barrier
	v_add_u32_e32 v33, v39, v4
	v_and_b32_e32 v4, 1, v3
	v_add_co_u32_e32 v12, vcc, -1, v4
	v_addc_co_u32_e64 v20, s[22:23], 0, -1, vcc
	v_cmp_ne_u32_e32 vcc, 0, v4
	v_xor_b32_e32 v12, vcc_lo, v12
	v_xor_b32_e32 v4, vcc_hi, v20
	v_and_b32_e32 v20, exec_lo, v12
	v_lshlrev_b32_e32 v12, 30, v3
	v_cmp_gt_i64_e32 vcc, 0, v[11:12]
	v_not_b32_e32 v12, v12
	v_ashrrev_i32_e32 v12, 31, v12
	v_xor_b32_e32 v24, vcc_hi, v12
	v_xor_b32_e32 v12, vcc_lo, v12
	v_and_b32_e32 v20, v20, v12
	v_lshlrev_b32_e32 v12, 29, v3
	v_cmp_gt_i64_e32 vcc, 0, v[11:12]
	v_not_b32_e32 v12, v12
	v_and_b32_e32 v4, exec_hi, v4
	v_ashrrev_i32_e32 v12, 31, v12
	v_and_b32_e32 v4, v4, v24
	v_xor_b32_e32 v24, vcc_hi, v12
	v_xor_b32_e32 v12, vcc_lo, v12
	v_and_b32_e32 v20, v20, v12
	v_lshlrev_b32_e32 v12, 28, v3
	v_cmp_gt_i64_e32 vcc, 0, v[11:12]
	v_not_b32_e32 v12, v12
	v_ashrrev_i32_e32 v12, 31, v12
	v_and_b32_e32 v4, v4, v24
	v_xor_b32_e32 v24, vcc_hi, v12
	v_xor_b32_e32 v12, vcc_lo, v12
	v_and_b32_e32 v20, v20, v12
	v_lshlrev_b32_e32 v12, 27, v3
	v_cmp_gt_i64_e32 vcc, 0, v[11:12]
	v_not_b32_e32 v12, v12
	;; [unrolled: 8-line block ×5, first 2 shown]
	v_ashrrev_i32_e32 v3, 31, v3
	v_xor_b32_e32 v11, vcc_hi, v3
	v_xor_b32_e32 v3, vcc_lo, v3
	ds_read_b32 v23, v33 offset:32
	v_and_b32_e32 v4, v4, v24
	v_and_b32_e32 v3, v20, v3
	;; [unrolled: 1-line block ×3, first 2 shown]
	v_mbcnt_lo_u32_b32 v11, v3, 0
	v_mbcnt_hi_u32_b32 v24, v4, v11
	v_cmp_ne_u64_e32 vcc, 0, v[3:4]
	v_cmp_eq_u32_e64 s[22:23], 0, v24
	s_and_b64 s[26:27], vcc, s[22:23]
	; wave barrier
	s_and_saveexec_b64 s[22:23], s[26:27]
	s_cbranch_execz .LBB1882_21
; %bb.20:
	v_bcnt_u32_b32 v3, v3, 0
	v_bcnt_u32_b32 v3, v4, v3
	s_waitcnt lgkmcnt(0)
	v_add_u32_e32 v3, v23, v3
	ds_write_b32 v33, v3 offset:32
.LBB1882_21:
	s_or_b64 exec, exec, s[22:23]
	v_bfrev_b32_e32 v20, 1
	v_cmp_lt_i32_e32 vcc, -1, v5
	v_cndmask_b32_e32 v3, -1, v20, vcc
	v_xor_b32_e32 v11, v3, v5
	s_brev_b32 s26, -2
	v_cmp_ne_u32_e32 vcc, s26, v11
	v_cndmask_b32_e32 v3, v20, v11, vcc
	v_lshrrev_b32_e32 v3, s44, v3
	v_and_b32_e32 v5, s54, v3
	v_mul_lo_u32 v3, v5, 36
	v_and_b32_e32 v4, 1, v5
	v_add_co_u32_e32 v12, vcc, -1, v4
	v_addc_co_u32_e64 v26, s[22:23], 0, -1, vcc
	v_cmp_ne_u32_e32 vcc, 0, v4
	v_xor_b32_e32 v4, vcc_hi, v26
	v_add_u32_e32 v37, v39, v3
	v_mov_b32_e32 v3, 0
	v_and_b32_e32 v26, exec_hi, v4
	v_lshlrev_b32_e32 v4, 30, v5
	v_xor_b32_e32 v12, vcc_lo, v12
	v_cmp_gt_i64_e32 vcc, 0, v[3:4]
	v_not_b32_e32 v4, v4
	v_ashrrev_i32_e32 v4, 31, v4
	v_and_b32_e32 v12, exec_lo, v12
	v_xor_b32_e32 v27, vcc_hi, v4
	v_xor_b32_e32 v4, vcc_lo, v4
	v_and_b32_e32 v12, v12, v4
	v_lshlrev_b32_e32 v4, 29, v5
	v_cmp_gt_i64_e32 vcc, 0, v[3:4]
	v_not_b32_e32 v4, v4
	v_ashrrev_i32_e32 v4, 31, v4
	v_and_b32_e32 v26, v26, v27
	v_xor_b32_e32 v27, vcc_hi, v4
	v_xor_b32_e32 v4, vcc_lo, v4
	v_and_b32_e32 v12, v12, v4
	v_lshlrev_b32_e32 v4, 28, v5
	v_cmp_gt_i64_e32 vcc, 0, v[3:4]
	v_not_b32_e32 v4, v4
	v_ashrrev_i32_e32 v4, 31, v4
	v_and_b32_e32 v26, v26, v27
	v_xor_b32_e32 v27, vcc_hi, v4
	v_xor_b32_e32 v4, vcc_lo, v4
	v_and_b32_e32 v12, v12, v4
	v_lshlrev_b32_e32 v4, 27, v5
	v_cmp_gt_i64_e32 vcc, 0, v[3:4]
	v_not_b32_e32 v4, v4
	v_ashrrev_i32_e32 v4, 31, v4
	v_and_b32_e32 v26, v26, v27
	v_xor_b32_e32 v27, vcc_hi, v4
	v_xor_b32_e32 v4, vcc_lo, v4
	v_and_b32_e32 v12, v12, v4
	v_lshlrev_b32_e32 v4, 26, v5
	v_cmp_gt_i64_e32 vcc, 0, v[3:4]
	v_not_b32_e32 v4, v4
	v_ashrrev_i32_e32 v4, 31, v4
	v_and_b32_e32 v26, v26, v27
	v_xor_b32_e32 v27, vcc_hi, v4
	v_xor_b32_e32 v4, vcc_lo, v4
	v_and_b32_e32 v12, v12, v4
	v_lshlrev_b32_e32 v4, 25, v5
	v_cmp_gt_i64_e32 vcc, 0, v[3:4]
	v_not_b32_e32 v4, v4
	v_ashrrev_i32_e32 v4, 31, v4
	v_and_b32_e32 v26, v26, v27
	v_xor_b32_e32 v27, vcc_hi, v4
	v_xor_b32_e32 v4, vcc_lo, v4
	v_and_b32_e32 v12, v12, v4
	v_lshlrev_b32_e32 v4, 24, v5
	v_cmp_gt_i64_e32 vcc, 0, v[3:4]
	v_not_b32_e32 v4, v4
	v_ashrrev_i32_e32 v4, 31, v4
	v_xor_b32_e32 v5, vcc_hi, v4
	v_xor_b32_e32 v4, vcc_lo, v4
	; wave barrier
	ds_read_b32 v25, v37 offset:32
	v_and_b32_e32 v26, v26, v27
	v_and_b32_e32 v4, v12, v4
	;; [unrolled: 1-line block ×3, first 2 shown]
	v_mbcnt_lo_u32_b32 v12, v4, 0
	v_mbcnt_hi_u32_b32 v26, v5, v12
	v_cmp_ne_u64_e32 vcc, 0, v[4:5]
	v_cmp_eq_u32_e64 s[22:23], 0, v26
	s_and_b64 s[48:49], vcc, s[22:23]
	; wave barrier
	s_and_saveexec_b64 s[22:23], s[48:49]
	s_cbranch_execz .LBB1882_23
; %bb.22:
	v_bcnt_u32_b32 v4, v4, 0
	v_bcnt_u32_b32 v4, v5, v4
	s_waitcnt lgkmcnt(0)
	v_add_u32_e32 v4, v25, v4
	ds_write_b32 v37, v4 offset:32
.LBB1882_23:
	s_or_b64 exec, exec, s[22:23]
	v_cmp_lt_i32_e32 vcc, -1, v6
	v_cndmask_b32_e32 v4, -1, v20, vcc
	v_xor_b32_e32 v12, v4, v6
	v_cmp_ne_u32_e32 vcc, s26, v12
	v_cndmask_b32_e32 v4, v20, v12, vcc
	v_lshrrev_b32_e32 v4, s44, v4
	v_and_b32_e32 v5, s54, v4
	v_mul_lo_u32 v4, v5, 36
	; wave barrier
	v_add_u32_e32 v40, v39, v4
	v_and_b32_e32 v4, 1, v5
	v_add_co_u32_e32 v6, vcc, -1, v4
	v_addc_co_u32_e64 v20, s[22:23], 0, -1, vcc
	v_cmp_ne_u32_e32 vcc, 0, v4
	v_xor_b32_e32 v4, vcc_hi, v20
	v_and_b32_e32 v20, exec_hi, v4
	v_lshlrev_b32_e32 v4, 30, v5
	v_xor_b32_e32 v6, vcc_lo, v6
	v_cmp_gt_i64_e32 vcc, 0, v[3:4]
	v_not_b32_e32 v4, v4
	v_ashrrev_i32_e32 v4, 31, v4
	v_and_b32_e32 v6, exec_lo, v6
	v_xor_b32_e32 v28, vcc_hi, v4
	v_xor_b32_e32 v4, vcc_lo, v4
	v_and_b32_e32 v6, v6, v4
	v_lshlrev_b32_e32 v4, 29, v5
	v_cmp_gt_i64_e32 vcc, 0, v[3:4]
	v_not_b32_e32 v4, v4
	v_ashrrev_i32_e32 v4, 31, v4
	v_and_b32_e32 v20, v20, v28
	v_xor_b32_e32 v28, vcc_hi, v4
	v_xor_b32_e32 v4, vcc_lo, v4
	v_and_b32_e32 v6, v6, v4
	v_lshlrev_b32_e32 v4, 28, v5
	v_cmp_gt_i64_e32 vcc, 0, v[3:4]
	v_not_b32_e32 v4, v4
	v_ashrrev_i32_e32 v4, 31, v4
	v_and_b32_e32 v20, v20, v28
	;; [unrolled: 8-line block ×5, first 2 shown]
	v_xor_b32_e32 v28, vcc_hi, v4
	v_xor_b32_e32 v4, vcc_lo, v4
	v_and_b32_e32 v6, v6, v4
	v_lshlrev_b32_e32 v4, 24, v5
	v_cmp_gt_i64_e32 vcc, 0, v[3:4]
	v_not_b32_e32 v3, v4
	v_ashrrev_i32_e32 v3, 31, v3
	v_xor_b32_e32 v4, vcc_hi, v3
	v_xor_b32_e32 v3, vcc_lo, v3
	ds_read_b32 v27, v40 offset:32
	v_and_b32_e32 v20, v20, v28
	v_and_b32_e32 v3, v6, v3
	;; [unrolled: 1-line block ×3, first 2 shown]
	v_mbcnt_lo_u32_b32 v5, v3, 0
	v_mbcnt_hi_u32_b32 v28, v4, v5
	v_cmp_ne_u64_e32 vcc, 0, v[3:4]
	v_cmp_eq_u32_e64 s[22:23], 0, v28
	s_and_b64 s[26:27], vcc, s[22:23]
	; wave barrier
	s_and_saveexec_b64 s[22:23], s[26:27]
	s_cbranch_execz .LBB1882_25
; %bb.24:
	v_bcnt_u32_b32 v3, v3, 0
	v_bcnt_u32_b32 v3, v4, v3
	s_waitcnt lgkmcnt(0)
	v_add_u32_e32 v3, v27, v3
	ds_write_b32 v40, v3 offset:32
.LBB1882_25:
	s_or_b64 exec, exec, s[22:23]
	v_bfrev_b32_e32 v6, 1
	v_cmp_lt_i32_e32 vcc, -1, v7
	v_cndmask_b32_e32 v3, -1, v6, vcc
	v_xor_b32_e32 v20, v3, v7
	s_brev_b32 s26, -2
	v_cmp_ne_u32_e32 vcc, s26, v20
	v_cndmask_b32_e32 v3, v6, v20, vcc
	v_lshrrev_b32_e32 v3, s44, v3
	v_and_b32_e32 v5, s54, v3
	v_mul_lo_u32 v3, v5, 36
	v_and_b32_e32 v4, 1, v5
	v_add_co_u32_e32 v30, vcc, -1, v4
	v_addc_co_u32_e64 v31, s[22:23], 0, -1, vcc
	v_cmp_ne_u32_e32 vcc, 0, v4
	v_xor_b32_e32 v4, vcc_hi, v31
	v_add_u32_e32 v7, v39, v3
	v_mov_b32_e32 v3, 0
	v_and_b32_e32 v31, exec_hi, v4
	v_lshlrev_b32_e32 v4, 30, v5
	v_xor_b32_e32 v30, vcc_lo, v30
	v_cmp_gt_i64_e32 vcc, 0, v[3:4]
	v_not_b32_e32 v4, v4
	v_ashrrev_i32_e32 v4, 31, v4
	v_and_b32_e32 v30, exec_lo, v30
	v_xor_b32_e32 v34, vcc_hi, v4
	v_xor_b32_e32 v4, vcc_lo, v4
	v_and_b32_e32 v30, v30, v4
	v_lshlrev_b32_e32 v4, 29, v5
	v_cmp_gt_i64_e32 vcc, 0, v[3:4]
	v_not_b32_e32 v4, v4
	v_ashrrev_i32_e32 v4, 31, v4
	v_and_b32_e32 v31, v31, v34
	v_xor_b32_e32 v34, vcc_hi, v4
	v_xor_b32_e32 v4, vcc_lo, v4
	v_and_b32_e32 v30, v30, v4
	v_lshlrev_b32_e32 v4, 28, v5
	v_cmp_gt_i64_e32 vcc, 0, v[3:4]
	v_not_b32_e32 v4, v4
	v_ashrrev_i32_e32 v4, 31, v4
	v_and_b32_e32 v31, v31, v34
	;; [unrolled: 8-line block ×5, first 2 shown]
	v_xor_b32_e32 v34, vcc_hi, v4
	v_xor_b32_e32 v4, vcc_lo, v4
	v_and_b32_e32 v30, v30, v4
	v_lshlrev_b32_e32 v4, 24, v5
	v_cmp_gt_i64_e32 vcc, 0, v[3:4]
	v_not_b32_e32 v4, v4
	v_ashrrev_i32_e32 v4, 31, v4
	v_xor_b32_e32 v5, vcc_hi, v4
	v_xor_b32_e32 v4, vcc_lo, v4
	; wave barrier
	ds_read_b32 v29, v7 offset:32
	v_and_b32_e32 v31, v31, v34
	v_and_b32_e32 v4, v30, v4
	;; [unrolled: 1-line block ×3, first 2 shown]
	v_mbcnt_lo_u32_b32 v30, v4, 0
	v_mbcnt_hi_u32_b32 v30, v5, v30
	v_cmp_ne_u64_e32 vcc, 0, v[4:5]
	v_cmp_eq_u32_e64 s[22:23], 0, v30
	s_and_b64 s[48:49], vcc, s[22:23]
	; wave barrier
	s_and_saveexec_b64 s[22:23], s[48:49]
	s_cbranch_execz .LBB1882_27
; %bb.26:
	v_bcnt_u32_b32 v4, v4, 0
	v_bcnt_u32_b32 v4, v5, v4
	s_waitcnt lgkmcnt(0)
	v_add_u32_e32 v4, v29, v4
	ds_write_b32 v7, v4 offset:32
.LBB1882_27:
	s_or_b64 exec, exec, s[22:23]
	v_cmp_lt_i32_e32 vcc, -1, v8
	v_cndmask_b32_e32 v4, -1, v6, vcc
	v_xor_b32_e32 v35, v4, v8
	v_cmp_ne_u32_e32 vcc, s26, v35
	v_cndmask_b32_e32 v4, v6, v35, vcc
	v_lshrrev_b32_e32 v4, s44, v4
	v_and_b32_e32 v5, s54, v4
	v_mul_lo_u32 v4, v5, 36
	; wave barrier
	v_add_u32_e32 v8, v39, v4
	v_and_b32_e32 v4, 1, v5
	v_add_co_u32_e32 v6, vcc, -1, v4
	v_addc_co_u32_e64 v34, s[22:23], 0, -1, vcc
	v_cmp_ne_u32_e32 vcc, 0, v4
	v_xor_b32_e32 v4, vcc_hi, v34
	v_and_b32_e32 v34, exec_hi, v4
	v_lshlrev_b32_e32 v4, 30, v5
	v_xor_b32_e32 v6, vcc_lo, v6
	v_cmp_gt_i64_e32 vcc, 0, v[3:4]
	v_not_b32_e32 v4, v4
	v_ashrrev_i32_e32 v4, 31, v4
	v_and_b32_e32 v6, exec_lo, v6
	v_xor_b32_e32 v36, vcc_hi, v4
	v_xor_b32_e32 v4, vcc_lo, v4
	v_and_b32_e32 v6, v6, v4
	v_lshlrev_b32_e32 v4, 29, v5
	v_cmp_gt_i64_e32 vcc, 0, v[3:4]
	v_not_b32_e32 v4, v4
	v_ashrrev_i32_e32 v4, 31, v4
	v_and_b32_e32 v34, v34, v36
	v_xor_b32_e32 v36, vcc_hi, v4
	v_xor_b32_e32 v4, vcc_lo, v4
	v_and_b32_e32 v6, v6, v4
	v_lshlrev_b32_e32 v4, 28, v5
	v_cmp_gt_i64_e32 vcc, 0, v[3:4]
	v_not_b32_e32 v4, v4
	v_ashrrev_i32_e32 v4, 31, v4
	v_and_b32_e32 v34, v34, v36
	;; [unrolled: 8-line block ×5, first 2 shown]
	v_xor_b32_e32 v36, vcc_hi, v4
	v_xor_b32_e32 v4, vcc_lo, v4
	v_and_b32_e32 v6, v6, v4
	v_lshlrev_b32_e32 v4, 24, v5
	v_cmp_gt_i64_e32 vcc, 0, v[3:4]
	v_not_b32_e32 v3, v4
	v_ashrrev_i32_e32 v3, 31, v3
	v_xor_b32_e32 v4, vcc_hi, v3
	v_xor_b32_e32 v3, vcc_lo, v3
	ds_read_b32 v31, v8 offset:32
	v_and_b32_e32 v34, v34, v36
	v_and_b32_e32 v3, v6, v3
	;; [unrolled: 1-line block ×3, first 2 shown]
	v_mbcnt_lo_u32_b32 v5, v3, 0
	v_mbcnt_hi_u32_b32 v34, v4, v5
	v_cmp_ne_u64_e32 vcc, 0, v[3:4]
	v_cmp_eq_u32_e64 s[22:23], 0, v34
	s_and_b64 s[26:27], vcc, s[22:23]
	; wave barrier
	s_and_saveexec_b64 s[22:23], s[26:27]
	s_cbranch_execz .LBB1882_29
; %bb.28:
	v_bcnt_u32_b32 v3, v3, 0
	v_bcnt_u32_b32 v3, v4, v3
	s_waitcnt lgkmcnt(0)
	v_add_u32_e32 v3, v31, v3
	ds_write_b32 v8, v3 offset:32
.LBB1882_29:
	s_or_b64 exec, exec, s[22:23]
	v_bfrev_b32_e32 v6, 1
	v_cmp_lt_i32_e32 vcc, -1, v9
	v_cndmask_b32_e32 v3, -1, v6, vcc
	v_xor_b32_e32 v9, v3, v9
	s_brev_b32 s26, -2
	v_cmp_ne_u32_e32 vcc, s26, v9
	v_cndmask_b32_e32 v3, v6, v9, vcc
	v_lshrrev_b32_e32 v3, s44, v3
	v_and_b32_e32 v5, s54, v3
	v_mul_lo_u32 v3, v5, 36
	v_and_b32_e32 v4, 1, v5
	v_add_co_u32_e32 v38, vcc, -1, v4
	v_addc_co_u32_e64 v41, s[22:23], 0, -1, vcc
	v_cmp_ne_u32_e32 vcc, 0, v4
	v_xor_b32_e32 v4, vcc_hi, v41
	v_add_u32_e32 v46, v39, v3
	v_mov_b32_e32 v3, 0
	v_and_b32_e32 v41, exec_hi, v4
	v_lshlrev_b32_e32 v4, 30, v5
	v_xor_b32_e32 v38, vcc_lo, v38
	v_cmp_gt_i64_e32 vcc, 0, v[3:4]
	v_not_b32_e32 v4, v4
	v_ashrrev_i32_e32 v4, 31, v4
	v_and_b32_e32 v38, exec_lo, v38
	v_xor_b32_e32 v42, vcc_hi, v4
	v_xor_b32_e32 v4, vcc_lo, v4
	v_and_b32_e32 v38, v38, v4
	v_lshlrev_b32_e32 v4, 29, v5
	v_cmp_gt_i64_e32 vcc, 0, v[3:4]
	v_not_b32_e32 v4, v4
	v_ashrrev_i32_e32 v4, 31, v4
	v_and_b32_e32 v41, v41, v42
	v_xor_b32_e32 v42, vcc_hi, v4
	v_xor_b32_e32 v4, vcc_lo, v4
	v_and_b32_e32 v38, v38, v4
	v_lshlrev_b32_e32 v4, 28, v5
	v_cmp_gt_i64_e32 vcc, 0, v[3:4]
	v_not_b32_e32 v4, v4
	v_ashrrev_i32_e32 v4, 31, v4
	v_and_b32_e32 v41, v41, v42
	;; [unrolled: 8-line block ×5, first 2 shown]
	v_xor_b32_e32 v42, vcc_hi, v4
	v_xor_b32_e32 v4, vcc_lo, v4
	v_and_b32_e32 v38, v38, v4
	v_lshlrev_b32_e32 v4, 24, v5
	v_cmp_gt_i64_e32 vcc, 0, v[3:4]
	v_not_b32_e32 v4, v4
	v_ashrrev_i32_e32 v4, 31, v4
	v_xor_b32_e32 v5, vcc_hi, v4
	v_xor_b32_e32 v4, vcc_lo, v4
	; wave barrier
	ds_read_b32 v36, v46 offset:32
	v_and_b32_e32 v41, v41, v42
	v_and_b32_e32 v4, v38, v4
	;; [unrolled: 1-line block ×3, first 2 shown]
	v_mbcnt_lo_u32_b32 v38, v4, 0
	v_mbcnt_hi_u32_b32 v38, v5, v38
	v_cmp_ne_u64_e32 vcc, 0, v[4:5]
	v_cmp_eq_u32_e64 s[22:23], 0, v38
	s_and_b64 s[48:49], vcc, s[22:23]
	; wave barrier
	s_and_saveexec_b64 s[22:23], s[48:49]
	s_cbranch_execz .LBB1882_31
; %bb.30:
	v_bcnt_u32_b32 v4, v4, 0
	v_bcnt_u32_b32 v4, v5, v4
	s_waitcnt lgkmcnt(0)
	v_add_u32_e32 v4, v36, v4
	ds_write_b32 v46, v4 offset:32
.LBB1882_31:
	s_or_b64 exec, exec, s[22:23]
	v_cmp_lt_i32_e32 vcc, -1, v10
	v_cndmask_b32_e32 v4, -1, v6, vcc
	v_xor_b32_e32 v10, v4, v10
	v_cmp_ne_u32_e32 vcc, s26, v10
	v_cndmask_b32_e32 v4, v6, v10, vcc
	v_lshrrev_b32_e32 v4, s44, v4
	v_and_b32_e32 v5, s54, v4
	v_mul_lo_u32 v4, v5, 36
	; wave barrier
	v_add_u32_e32 v47, v39, v4
	v_and_b32_e32 v4, 1, v5
	v_add_co_u32_e32 v6, vcc, -1, v4
	v_addc_co_u32_e64 v41, s[22:23], 0, -1, vcc
	v_cmp_ne_u32_e32 vcc, 0, v4
	v_xor_b32_e32 v4, vcc_hi, v41
	v_and_b32_e32 v41, exec_hi, v4
	v_lshlrev_b32_e32 v4, 30, v5
	v_xor_b32_e32 v6, vcc_lo, v6
	v_cmp_gt_i64_e32 vcc, 0, v[3:4]
	v_not_b32_e32 v4, v4
	v_ashrrev_i32_e32 v4, 31, v4
	v_and_b32_e32 v6, exec_lo, v6
	v_xor_b32_e32 v42, vcc_hi, v4
	v_xor_b32_e32 v4, vcc_lo, v4
	v_and_b32_e32 v6, v6, v4
	v_lshlrev_b32_e32 v4, 29, v5
	v_cmp_gt_i64_e32 vcc, 0, v[3:4]
	v_not_b32_e32 v4, v4
	v_ashrrev_i32_e32 v4, 31, v4
	v_and_b32_e32 v41, v41, v42
	v_xor_b32_e32 v42, vcc_hi, v4
	v_xor_b32_e32 v4, vcc_lo, v4
	v_and_b32_e32 v6, v6, v4
	v_lshlrev_b32_e32 v4, 28, v5
	v_cmp_gt_i64_e32 vcc, 0, v[3:4]
	v_not_b32_e32 v4, v4
	v_ashrrev_i32_e32 v4, 31, v4
	v_and_b32_e32 v41, v41, v42
	;; [unrolled: 8-line block ×5, first 2 shown]
	v_xor_b32_e32 v42, vcc_hi, v4
	v_xor_b32_e32 v4, vcc_lo, v4
	v_and_b32_e32 v6, v6, v4
	v_lshlrev_b32_e32 v4, 24, v5
	v_cmp_gt_i64_e32 vcc, 0, v[3:4]
	v_not_b32_e32 v3, v4
	v_ashrrev_i32_e32 v3, 31, v3
	v_xor_b32_e32 v4, vcc_hi, v3
	v_xor_b32_e32 v3, vcc_lo, v3
	ds_read_b32 v39, v47 offset:32
	v_and_b32_e32 v41, v41, v42
	v_and_b32_e32 v3, v6, v3
	;; [unrolled: 1-line block ×3, first 2 shown]
	v_mbcnt_lo_u32_b32 v5, v3, 0
	v_mbcnt_hi_u32_b32 v41, v4, v5
	v_cmp_ne_u64_e32 vcc, 0, v[3:4]
	v_cmp_eq_u32_e64 s[22:23], 0, v41
	s_and_b64 s[26:27], vcc, s[22:23]
	; wave barrier
	s_and_saveexec_b64 s[22:23], s[26:27]
	s_cbranch_execz .LBB1882_33
; %bb.32:
	v_bcnt_u32_b32 v3, v3, 0
	v_bcnt_u32_b32 v3, v4, v3
	s_waitcnt lgkmcnt(0)
	v_add_u32_e32 v3, v39, v3
	ds_write_b32 v47, v3 offset:32
.LBB1882_33:
	s_or_b64 exec, exec, s[22:23]
	; wave barrier
	s_waitcnt lgkmcnt(0)
	s_barrier
	ds_read2_b32 v[5:6], v19 offset0:8 offset1:9
	ds_read2_b32 v[3:4], v19 offset0:10 offset1:11
	ds_read_b32 v42, v19 offset:48
	s_waitcnt lgkmcnt(1)
	v_add3_u32 v43, v6, v5, v3
	s_waitcnt lgkmcnt(0)
	v_add3_u32 v42, v43, v4, v42
	v_and_b32_e32 v43, 15, v17
	v_cmp_ne_u32_e32 vcc, 0, v43
	v_mov_b32_dpp v44, v42 row_shr:1 row_mask:0xf bank_mask:0xf
	v_cndmask_b32_e32 v44, 0, v44, vcc
	v_add_u32_e32 v42, v44, v42
	v_cmp_lt_u32_e32 vcc, 1, v43
	s_nop 0
	v_mov_b32_dpp v44, v42 row_shr:2 row_mask:0xf bank_mask:0xf
	v_cndmask_b32_e32 v44, 0, v44, vcc
	v_add_u32_e32 v42, v42, v44
	v_cmp_lt_u32_e32 vcc, 3, v43
	s_nop 0
	;; [unrolled: 5-line block ×3, first 2 shown]
	v_mov_b32_dpp v44, v42 row_shr:8 row_mask:0xf bank_mask:0xf
	v_cndmask_b32_e32 v43, 0, v44, vcc
	v_add_u32_e32 v42, v42, v43
	v_bfe_i32 v44, v17, 4, 1
	v_cmp_lt_u32_e32 vcc, 31, v17
	v_mov_b32_dpp v43, v42 row_bcast:15 row_mask:0xf bank_mask:0xf
	v_and_b32_e32 v43, v44, v43
	v_add_u32_e32 v42, v42, v43
	v_or_b32_e32 v44, 63, v0
	s_nop 0
	v_mov_b32_dpp v43, v42 row_bcast:31 row_mask:0xf bank_mask:0xf
	v_cndmask_b32_e32 v43, 0, v43, vcc
	v_add_u32_e32 v42, v42, v43
	v_lshrrev_b32_e32 v43, 6, v0
	v_cmp_eq_u32_e32 vcc, v0, v44
	s_and_saveexec_b64 s[22:23], vcc
; %bb.34:
	v_lshlrev_b32_e32 v44, 2, v43
	ds_write_b32 v44, v42
; %bb.35:
	s_or_b64 exec, exec, s[22:23]
	v_cmp_gt_u32_e32 vcc, 8, v0
	s_waitcnt lgkmcnt(0)
	s_barrier
	s_and_saveexec_b64 s[26:27], vcc
	s_cbranch_execz .LBB1882_37
; %bb.36:
	v_lshlrev_b32_e32 v44, 2, v0
	ds_read_b32 v45, v44
	v_and_b32_e32 v48, 7, v17
	v_cmp_ne_u32_e32 vcc, 0, v48
	v_cmp_lt_u32_e64 s[22:23], 1, v48
	s_waitcnt lgkmcnt(0)
	v_mov_b32_dpp v49, v45 row_shr:1 row_mask:0xf bank_mask:0xf
	v_cndmask_b32_e32 v49, 0, v49, vcc
	v_add_u32_e32 v45, v49, v45
	v_cmp_lt_u32_e32 vcc, 3, v48
	s_nop 0
	v_mov_b32_dpp v49, v45 row_shr:2 row_mask:0xf bank_mask:0xf
	v_cndmask_b32_e64 v49, 0, v49, s[22:23]
	v_add_u32_e32 v45, v45, v49
	s_nop 1
	v_mov_b32_dpp v49, v45 row_shr:4 row_mask:0xf bank_mask:0xf
	v_cndmask_b32_e32 v48, 0, v49, vcc
	v_add_u32_e32 v45, v45, v48
	ds_write_b32 v44, v45
.LBB1882_37:
	s_or_b64 exec, exec, s[26:27]
	v_cmp_lt_u32_e32 vcc, 63, v0
	v_mov_b32_e32 v44, 0
	s_waitcnt lgkmcnt(0)
	s_barrier
	s_and_saveexec_b64 s[22:23], vcc
; %bb.38:
	v_lshl_add_u32 v43, v43, 2, -4
	ds_read_b32 v44, v43
; %bb.39:
	s_or_b64 exec, exec, s[22:23]
	v_subrev_co_u32_e32 v43, vcc, 1, v17
	v_and_b32_e32 v45, 64, v17
	v_cmp_lt_i32_e64 s[22:23], v43, v45
	v_cndmask_b32_e64 v17, v43, v17, s[22:23]
	s_waitcnt lgkmcnt(0)
	v_add_u32_e32 v42, v44, v42
	v_lshlrev_b32_e32 v17, 2, v17
	ds_bpermute_b32 v17, v17, v42
	s_movk_i32 s22, 0xff
	s_movk_i32 s26, 0x100
	v_cmp_lt_u32_e64 s[22:23], s22, v0
	s_waitcnt lgkmcnt(0)
	v_cndmask_b32_e32 v17, v17, v44, vcc
	v_cmp_ne_u32_e32 vcc, 0, v0
	v_cndmask_b32_e32 v17, 0, v17, vcc
	v_add_u32_e32 v5, v17, v5
	v_add_u32_e32 v6, v5, v6
	;; [unrolled: 1-line block ×4, first 2 shown]
	ds_write2_b32 v19, v17, v5 offset0:8 offset1:9
	ds_write2_b32 v19, v6, v3 offset0:10 offset1:11
	ds_write_b32 v19, v4 offset:48
	s_waitcnt lgkmcnt(0)
	s_barrier
	ds_read_b32 v17, v32 offset:32
	ds_read_b32 v42, v33 offset:32
	;; [unrolled: 1-line block ×8, first 2 shown]
	v_cmp_gt_u32_e32 vcc, s26, v0
                                        ; implicit-def: $vgpr32
                                        ; implicit-def: $vgpr33
	s_and_saveexec_b64 s[48:49], vcc
	s_cbranch_execz .LBB1882_43
; %bb.40:
	v_mul_u32_u24_e32 v3, 36, v0
	ds_read_b32 v32, v3 offset:32
	v_add_u32_e32 v4, 1, v0
	v_cmp_ne_u32_e64 s[26:27], s26, v4
	v_mov_b32_e32 v3, 0x1000
	s_and_saveexec_b64 s[50:51], s[26:27]
; %bb.41:
	v_mul_u32_u24_e32 v3, 36, v4
	ds_read_b32 v3, v3 offset:32
; %bb.42:
	s_or_b64 exec, exec, s[50:51]
	s_waitcnt lgkmcnt(0)
	v_sub_u32_e32 v33, v3, v32
.LBB1882_43:
	s_or_b64 exec, exec, s[48:49]
	v_mov_b32_e32 v4, 0
	v_lshlrev_b32_e32 v37, 2, v0
	s_waitcnt lgkmcnt(0)
	s_barrier
	s_and_saveexec_b64 s[26:27], vcc
	s_cbranch_execz .LBB1882_53
; %bb.44:
	v_lshl_add_u32 v3, s6, 8, v0
	v_lshlrev_b64 v[5:6], 2, v[3:4]
	v_mov_b32_e32 v19, s35
	v_add_co_u32_e32 v5, vcc, s34, v5
	v_addc_co_u32_e32 v6, vcc, v19, v6, vcc
	v_or_b32_e32 v3, 2.0, v33
	s_mov_b64 s[48:49], 0
	s_brev_b32 s55, -4
	s_mov_b32 s56, s6
	v_mov_b32_e32 v48, 0
	global_store_dword v[5:6], v3, off
                                        ; implicit-def: $sgpr50_sgpr51
	s_branch .LBB1882_47
.LBB1882_45:                            ;   in Loop: Header=BB1882_47 Depth=1
	s_or_b64 exec, exec, s[52:53]
.LBB1882_46:                            ;   in Loop: Header=BB1882_47 Depth=1
	s_or_b64 exec, exec, s[50:51]
	v_and_b32_e32 v7, 0x3fffffff, v3
	v_add_u32_e32 v48, v7, v48
	v_cmp_gt_i32_e64 s[50:51], -2.0, v3
	s_and_b64 s[52:53], exec, s[50:51]
	s_or_b64 s[48:49], s[52:53], s[48:49]
	s_andn2_b64 exec, exec, s[48:49]
	s_cbranch_execz .LBB1882_52
.LBB1882_47:                            ; =>This Loop Header: Depth=1
                                        ;     Child Loop BB1882_50 Depth 2
	s_or_b64 s[50:51], s[50:51], exec
	s_cmp_eq_u32 s56, 0
	s_cbranch_scc1 .LBB1882_51
; %bb.48:                               ;   in Loop: Header=BB1882_47 Depth=1
	s_add_i32 s56, s56, -1
	v_lshl_or_b32 v3, s56, 8, v0
	v_lshlrev_b64 v[7:8], 2, v[3:4]
	v_add_co_u32_e32 v7, vcc, s34, v7
	v_addc_co_u32_e32 v8, vcc, v19, v8, vcc
	global_load_dword v3, v[7:8], off glc
	s_waitcnt vmcnt(0)
	v_cmp_gt_u32_e32 vcc, 2.0, v3
	s_and_saveexec_b64 s[50:51], vcc
	s_cbranch_execz .LBB1882_46
; %bb.49:                               ;   in Loop: Header=BB1882_47 Depth=1
	s_mov_b64 s[52:53], 0
.LBB1882_50:                            ;   Parent Loop BB1882_47 Depth=1
                                        ; =>  This Inner Loop Header: Depth=2
	global_load_dword v3, v[7:8], off glc
	s_waitcnt vmcnt(0)
	v_cmp_lt_u32_e32 vcc, s55, v3
	s_or_b64 s[52:53], vcc, s[52:53]
	s_andn2_b64 exec, exec, s[52:53]
	s_cbranch_execnz .LBB1882_50
	s_branch .LBB1882_45
.LBB1882_51:                            ;   in Loop: Header=BB1882_47 Depth=1
                                        ; implicit-def: $sgpr56
	s_and_b64 s[52:53], exec, s[50:51]
	s_or_b64 s[48:49], s[52:53], s[48:49]
	s_andn2_b64 exec, exec, s[48:49]
	s_cbranch_execnz .LBB1882_47
.LBB1882_52:
	s_or_b64 exec, exec, s[48:49]
	v_add_u32_e32 v3, v48, v33
	v_or_b32_e32 v3, 0x80000000, v3
	global_store_dword v[5:6], v3, off
	global_load_dword v3, v37, s[28:29]
	v_sub_u32_e32 v4, v48, v32
	s_waitcnt vmcnt(0)
	v_add_u32_e32 v3, v4, v3
	ds_write_b32 v37, v3
.LBB1882_53:
	s_or_b64 exec, exec, s[26:27]
	v_add_u32_e32 v48, v17, v18
	v_add3_u32 v5, v24, v23, v42
	v_add3_u32 v6, v26, v25, v43
	v_add3_u32 v7, v28, v27, v40
	v_add3_u32 v8, v30, v29, v44
	v_add3_u32 v17, v34, v31, v45
	v_add3_u32 v18, v38, v36, v46
	v_add3_u32 v19, v41, v39, v47
	s_mov_b32 s50, 16
	s_mov_b32 s56, 0
	s_mov_b64 s[26:27], -1
	s_brev_b32 s51, -2
	v_mov_b32_e32 v4, 0
	s_movk_i32 s52, 0x200
	s_movk_i32 s53, 0x400
	s_movk_i32 s55, 0x600
	v_bfrev_b32_e32 v49, 1
	v_mov_b32_e32 v50, v48
	v_mov_b32_e32 v51, v0
	s_branch .LBB1882_55
.LBB1882_54:                            ;   in Loop: Header=BB1882_55 Depth=1
	s_or_b64 exec, exec, s[48:49]
	s_xor_b64 s[48:49], s[26:27], -1
	v_add_u32_e32 v51, 0x800, v51
	v_add_u32_e32 v19, 0xfffff800, v19
	;; [unrolled: 1-line block ×9, first 2 shown]
	s_mov_b64 s[26:27], 0
	s_and_b64 vcc, exec, s[48:49]
	s_mov_b32 s56, s50
	s_waitcnt vmcnt(0)
	s_barrier
	s_cbranch_vccnz .LBB1882_63
.LBB1882_55:                            ; =>This Inner Loop Header: Depth=1
	v_min_u32_e32 v3, 0x800, v50
	v_lshlrev_b32_e32 v3, 2, v3
	ds_write_b32 v3, v16 offset:1024
	v_min_u32_e32 v3, 0x800, v5
	v_lshlrev_b32_e32 v3, 2, v3
	ds_write_b32 v3, v13 offset:1024
	;; [unrolled: 3-line block ×7, first 2 shown]
	v_min_u32_e32 v3, 0x800, v19
	v_lshlrev_b32_e32 v3, 2, v3
	v_cmp_gt_u32_e32 vcc, s7, v51
	ds_write_b32 v3, v10 offset:1024
	s_waitcnt lgkmcnt(0)
	s_barrier
	s_and_saveexec_b64 s[48:49], vcc
	s_cbranch_execz .LBB1882_57
; %bb.56:                               ;   in Loop: Header=BB1882_55 Depth=1
	ds_read_b32 v3, v37 offset:1024
	v_mov_b32_e32 v54, s39
	v_mov_b32_e32 v56, s56
	s_waitcnt lgkmcnt(0)
	v_cmp_ne_u32_e32 vcc, s51, v3
	v_cndmask_b32_e32 v52, v49, v3, vcc
	v_lshrrev_b32_e32 v52, s44, v52
	v_and_b32_e32 v55, s54, v52
	v_lshlrev_b32_e32 v52, 2, v55
	ds_read_b32 v52, v52
	v_cmp_lt_i32_e32 vcc, -1, v3
	v_cndmask_b32_e64 v53, v49, -1, vcc
	v_xor_b32_e32 v57, v53, v3
	buffer_store_dword v55, v56, s[0:3], 0 offen
	s_waitcnt lgkmcnt(0)
	v_add_u32_e32 v3, v51, v52
	v_lshlrev_b64 v[52:53], 2, v[3:4]
	v_add_co_u32_e32 v52, vcc, s38, v52
	v_addc_co_u32_e32 v53, vcc, v54, v53, vcc
	global_store_dword v[52:53], v57, off
.LBB1882_57:                            ;   in Loop: Header=BB1882_55 Depth=1
	s_or_b64 exec, exec, s[48:49]
	v_add_u32_e32 v3, 0x200, v51
	v_cmp_gt_u32_e32 vcc, s7, v3
	s_and_saveexec_b64 s[48:49], vcc
	s_cbranch_execz .LBB1882_59
; %bb.58:                               ;   in Loop: Header=BB1882_55 Depth=1
	ds_read_b32 v3, v37 offset:3072
	v_mov_b32_e32 v54, s39
	v_mov_b32_e32 v56, s56
	s_waitcnt lgkmcnt(0)
	v_cmp_ne_u32_e32 vcc, s51, v3
	v_cndmask_b32_e32 v52, v49, v3, vcc
	v_lshrrev_b32_e32 v52, s44, v52
	v_and_b32_e32 v55, s54, v52
	v_lshlrev_b32_e32 v52, 2, v55
	ds_read_b32 v52, v52
	v_cmp_lt_i32_e32 vcc, -1, v3
	v_cndmask_b32_e64 v53, v49, -1, vcc
	v_xor_b32_e32 v57, v53, v3
	buffer_store_dword v55, v56, s[0:3], 0 offen offset:4
	s_waitcnt lgkmcnt(0)
	v_add3_u32 v3, v51, v52, s52
	v_lshlrev_b64 v[52:53], 2, v[3:4]
	v_add_co_u32_e32 v52, vcc, s38, v52
	v_addc_co_u32_e32 v53, vcc, v54, v53, vcc
	global_store_dword v[52:53], v57, off
.LBB1882_59:                            ;   in Loop: Header=BB1882_55 Depth=1
	s_or_b64 exec, exec, s[48:49]
	v_add_u32_e32 v3, 0x400, v51
	v_cmp_gt_u32_e32 vcc, s7, v3
	s_and_saveexec_b64 s[48:49], vcc
	s_cbranch_execz .LBB1882_61
; %bb.60:                               ;   in Loop: Header=BB1882_55 Depth=1
	ds_read_b32 v3, v37 offset:5120
	v_mov_b32_e32 v54, s39
	v_mov_b32_e32 v56, s56
	s_waitcnt lgkmcnt(0)
	v_cmp_ne_u32_e32 vcc, s51, v3
	v_cndmask_b32_e32 v52, v49, v3, vcc
	v_lshrrev_b32_e32 v52, s44, v52
	v_and_b32_e32 v55, s54, v52
	v_lshlrev_b32_e32 v52, 2, v55
	ds_read_b32 v52, v52
	v_cmp_lt_i32_e32 vcc, -1, v3
	v_cndmask_b32_e64 v53, v49, -1, vcc
	v_xor_b32_e32 v57, v53, v3
	buffer_store_dword v55, v56, s[0:3], 0 offen offset:8
	s_waitcnt lgkmcnt(0)
	v_add3_u32 v3, v51, v52, s53
	v_lshlrev_b64 v[52:53], 2, v[3:4]
	v_add_co_u32_e32 v52, vcc, s38, v52
	v_addc_co_u32_e32 v53, vcc, v54, v53, vcc
	global_store_dword v[52:53], v57, off
.LBB1882_61:                            ;   in Loop: Header=BB1882_55 Depth=1
	s_or_b64 exec, exec, s[48:49]
	v_add_u32_e32 v3, 0x600, v51
	v_cmp_gt_u32_e32 vcc, s7, v3
	s_and_saveexec_b64 s[48:49], vcc
	s_cbranch_execz .LBB1882_54
; %bb.62:                               ;   in Loop: Header=BB1882_55 Depth=1
	ds_read_b32 v3, v37 offset:7168
	v_mov_b32_e32 v54, s39
	v_mov_b32_e32 v56, s56
	s_waitcnt lgkmcnt(0)
	v_cmp_ne_u32_e32 vcc, s51, v3
	v_cndmask_b32_e32 v52, v49, v3, vcc
	v_lshrrev_b32_e32 v52, s44, v52
	v_and_b32_e32 v55, s54, v52
	v_lshlrev_b32_e32 v52, 2, v55
	ds_read_b32 v52, v52
	v_cmp_lt_i32_e32 vcc, -1, v3
	v_cndmask_b32_e64 v53, v49, -1, vcc
	v_xor_b32_e32 v57, v53, v3
	buffer_store_dword v55, v56, s[0:3], 0 offen offset:12
	s_waitcnt lgkmcnt(0)
	v_add3_u32 v3, v51, v52, s55
	v_lshlrev_b64 v[52:53], 2, v[3:4]
	v_add_co_u32_e32 v52, vcc, s38, v52
	v_addc_co_u32_e32 v53, vcc, v54, v53, vcc
	global_store_dword v[52:53], v57, off
	s_branch .LBB1882_54
.LBB1882_63:
	s_lshl_b64 s[26:27], s[46:47], 3
	s_add_u32 s26, s40, s26
	s_addc_u32 s27, s41, s27
	v_lshlrev_b32_e32 v3, 3, v15
	v_mov_b32_e32 v4, s27
	v_add_co_u32_e32 v3, vcc, s26, v3
	v_addc_co_u32_e32 v4, vcc, 0, v4, vcc
	v_lshlrev_b32_e32 v5, 3, v14
	v_add_co_u32_e32 v19, vcc, v3, v5
	v_addc_co_u32_e32 v20, vcc, 0, v4, vcc
                                        ; implicit-def: $vgpr3_vgpr4
	s_and_saveexec_b64 s[26:27], s[24:25]
	s_cbranch_execz .LBB1882_71
; %bb.64:
	global_load_dwordx2 v[3:4], v[19:20], off
	s_or_b64 exec, exec, s[26:27]
                                        ; implicit-def: $vgpr5_vgpr6
	s_and_saveexec_b64 s[24:25], s[8:9]
	s_cbranch_execnz .LBB1882_72
.LBB1882_65:
	s_or_b64 exec, exec, s[24:25]
                                        ; implicit-def: $vgpr7_vgpr8
	s_and_saveexec_b64 s[8:9], s[10:11]
	s_cbranch_execz .LBB1882_73
.LBB1882_66:
	global_load_dwordx2 v[7:8], v[19:20], off offset:1024
	s_or_b64 exec, exec, s[8:9]
                                        ; implicit-def: $vgpr9_vgpr10
	s_and_saveexec_b64 s[8:9], s[12:13]
	s_cbranch_execnz .LBB1882_74
.LBB1882_67:
	s_or_b64 exec, exec, s[8:9]
                                        ; implicit-def: $vgpr11_vgpr12
	s_and_saveexec_b64 s[8:9], s[14:15]
	s_cbranch_execz .LBB1882_75
.LBB1882_68:
	global_load_dwordx2 v[11:12], v[19:20], off offset:2048
	s_or_b64 exec, exec, s[8:9]
                                        ; implicit-def: $vgpr13_vgpr14
	s_and_saveexec_b64 s[8:9], s[16:17]
	s_cbranch_execnz .LBB1882_76
.LBB1882_69:
	s_or_b64 exec, exec, s[8:9]
                                        ; implicit-def: $vgpr15_vgpr16
	s_and_saveexec_b64 s[8:9], s[18:19]
	s_cbranch_execz .LBB1882_77
.LBB1882_70:
	global_load_dwordx2 v[15:16], v[19:20], off offset:3072
	s_or_b64 exec, exec, s[8:9]
                                        ; implicit-def: $vgpr17_vgpr18
	s_and_saveexec_b64 s[8:9], s[20:21]
	s_cbranch_execnz .LBB1882_78
	s_branch .LBB1882_79
.LBB1882_71:
	s_or_b64 exec, exec, s[26:27]
                                        ; implicit-def: $vgpr5_vgpr6
	s_and_saveexec_b64 s[24:25], s[8:9]
	s_cbranch_execz .LBB1882_65
.LBB1882_72:
	global_load_dwordx2 v[5:6], v[19:20], off offset:512
	s_or_b64 exec, exec, s[24:25]
                                        ; implicit-def: $vgpr7_vgpr8
	s_and_saveexec_b64 s[8:9], s[10:11]
	s_cbranch_execnz .LBB1882_66
.LBB1882_73:
	s_or_b64 exec, exec, s[8:9]
                                        ; implicit-def: $vgpr9_vgpr10
	s_and_saveexec_b64 s[8:9], s[12:13]
	s_cbranch_execz .LBB1882_67
.LBB1882_74:
	global_load_dwordx2 v[9:10], v[19:20], off offset:1536
	s_or_b64 exec, exec, s[8:9]
                                        ; implicit-def: $vgpr11_vgpr12
	s_and_saveexec_b64 s[8:9], s[14:15]
	s_cbranch_execnz .LBB1882_68
.LBB1882_75:
	s_or_b64 exec, exec, s[8:9]
                                        ; implicit-def: $vgpr13_vgpr14
	s_and_saveexec_b64 s[8:9], s[16:17]
	s_cbranch_execz .LBB1882_69
.LBB1882_76:
	global_load_dwordx2 v[13:14], v[19:20], off offset:2560
	s_or_b64 exec, exec, s[8:9]
                                        ; implicit-def: $vgpr15_vgpr16
	s_and_saveexec_b64 s[8:9], s[18:19]
	s_cbranch_execnz .LBB1882_70
.LBB1882_77:
	s_or_b64 exec, exec, s[8:9]
                                        ; implicit-def: $vgpr17_vgpr18
	s_and_saveexec_b64 s[8:9], s[20:21]
	s_cbranch_execz .LBB1882_79
.LBB1882_78:
	global_load_dwordx2 v[17:18], v[19:20], off offset:3584
.LBB1882_79:
	s_or_b64 exec, exec, s[8:9]
	v_add3_u32 v35, v41, v47, v39
	v_add3_u32 v36, v38, v46, v36
	;; [unrolled: 1-line block ×7, first 2 shown]
	s_mov_b32 s10, 0
	s_mov_b32 s11, 0
	v_mov_b32_e32 v20, 0
	s_movk_i32 s12, 0x200
	v_mov_b32_e32 v24, v0
	s_branch .LBB1882_81
.LBB1882_80:                            ;   in Loop: Header=BB1882_81 Depth=1
	s_or_b64 exec, exec, s[8:9]
	s_addk_i32 s11, 0xfc00
	s_add_i32 s10, s10, 8
	s_cmpk_eq_i32 s11, 0xf000
	v_add_u32_e32 v24, 0x400, v24
	s_waitcnt vmcnt(0)
	s_barrier
	s_cbranch_scc1 .LBB1882_85
.LBB1882_81:                            ; =>This Inner Loop Header: Depth=1
	v_add_u32_e32 v19, s11, v48
	v_min_u32_e32 v19, 0x400, v19
	v_lshlrev_b32_e32 v19, 3, v19
	s_waitcnt vmcnt(0)
	ds_write_b64 v19, v[3:4] offset:1024
	v_add_u32_e32 v19, s11, v23
	v_min_u32_e32 v19, 0x400, v19
	v_lshlrev_b32_e32 v19, 3, v19
	ds_write_b64 v19, v[5:6] offset:1024
	v_add_u32_e32 v19, s11, v25
	v_min_u32_e32 v19, 0x400, v19
	v_lshlrev_b32_e32 v19, 3, v19
	;; [unrolled: 4-line block ×7, first 2 shown]
	v_cmp_gt_u32_e32 vcc, s7, v24
	ds_write_b64 v19, v[17:18] offset:1024
	s_waitcnt lgkmcnt(0)
	s_barrier
	s_and_saveexec_b64 s[8:9], vcc
	s_cbranch_execz .LBB1882_83
; %bb.82:                               ;   in Loop: Header=BB1882_81 Depth=1
	v_mov_b32_e32 v19, s10
	buffer_load_dword v19, v19, s[0:3], 0 offen
	v_mov_b32_e32 v26, s43
	s_waitcnt vmcnt(0)
	v_lshlrev_b32_e32 v19, 2, v19
	ds_read_b32 v19, v19
	ds_read_b64 v[38:39], v21 offset:1024
	s_waitcnt lgkmcnt(1)
	v_add_u32_e32 v19, v24, v19
	v_lshlrev_b64 v[40:41], 3, v[19:20]
	v_add_co_u32_e32 v40, vcc, s42, v40
	v_addc_co_u32_e32 v41, vcc, v26, v41, vcc
	s_waitcnt lgkmcnt(0)
	global_store_dwordx2 v[40:41], v[38:39], off
.LBB1882_83:                            ;   in Loop: Header=BB1882_81 Depth=1
	s_or_b64 exec, exec, s[8:9]
	v_add_u32_e32 v19, 0x200, v24
	v_cmp_gt_u32_e32 vcc, s7, v19
	s_and_saveexec_b64 s[8:9], vcc
	s_cbranch_execz .LBB1882_80
; %bb.84:                               ;   in Loop: Header=BB1882_81 Depth=1
	v_mov_b32_e32 v19, s10
	buffer_load_dword v19, v19, s[0:3], 0 offen offset:4
	v_mov_b32_e32 v26, s43
	s_waitcnt vmcnt(0)
	v_lshlrev_b32_e32 v19, 2, v19
	ds_read_b32 v19, v19
	ds_read_b64 v[38:39], v21 offset:5120
	s_waitcnt lgkmcnt(1)
	v_add3_u32 v19, v24, v19, s12
	v_lshlrev_b64 v[40:41], 3, v[19:20]
	v_add_co_u32_e32 v40, vcc, s42, v40
	v_addc_co_u32_e32 v41, vcc, v26, v41, vcc
	s_waitcnt lgkmcnt(0)
	global_store_dwordx2 v[40:41], v[38:39], off
	s_branch .LBB1882_80
.LBB1882_85:
	s_add_i32 s33, s33, -1
	s_cmp_eq_u32 s6, s33
	s_cselect_b64 s[8:9], -1, 0
	s_xor_b64 s[10:11], s[22:23], -1
	s_and_b64 s[10:11], s[10:11], s[8:9]
	s_and_saveexec_b64 s[8:9], s[10:11]
	s_cbranch_execz .LBB1882_87
; %bb.86:
	ds_read_b32 v3, v37
	s_waitcnt lgkmcnt(0)
	v_add3_u32 v3, v32, v33, v3
	global_store_dword v37, v3, s[30:31]
.LBB1882_87:
	s_or_b64 exec, exec, s[8:9]
	s_mov_b64 s[8:9], 0
.LBB1882_88:
	s_and_b64 vcc, exec, s[8:9]
	s_cbranch_vccz .LBB1882_131
; %bb.89:
	s_lshl_b32 s10, s6, 12
	s_mov_b32 s11, 0
	s_lshl_b64 s[8:9], s[10:11], 2
	v_mbcnt_hi_u32_b32 v5, -1, v22
	s_add_u32 s7, s36, s8
	v_and_b32_e32 v8, 63, v5
	s_addc_u32 s8, s37, s9
	v_lshlrev_b32_e32 v3, 2, v8
	v_and_b32_e32 v7, 0xe00, v21
	v_mov_b32_e32 v4, s8
	v_add_co_u32_e32 v3, vcc, s7, v3
	v_addc_co_u32_e32 v4, vcc, 0, v4, vcc
	v_lshlrev_b32_e32 v6, 2, v7
	v_add_co_u32_e32 v14, vcc, v3, v6
	v_addc_co_u32_e32 v15, vcc, 0, v4, vcc
	global_load_dword v4, v[14:15], off
	s_load_dword s7, s[4:5], 0x58
	s_load_dword s8, s[4:5], 0x64
	s_add_u32 s4, s4, 0x58
	s_addc_u32 s5, s5, 0
	v_mov_b32_e32 v3, 0
	v_bfrev_b32_e32 v11, 1
	s_waitcnt lgkmcnt(0)
	s_lshr_b32 s13, s8, 16
	s_cmp_lt_u32 s6, s7
	s_cselect_b32 s8, 12, 18
	s_add_u32 s4, s4, s8
	s_addc_u32 s5, s5, 0
	global_load_ushort v6, v3, s[4:5]
	global_load_dword v10, v[14:15], off offset:256
	global_load_dword v17, v[14:15], off offset:512
	;; [unrolled: 1-line block ×7, first 2 shown]
	s_brev_b32 s12, -2
	s_lshl_b32 s4, -1, s45
	s_not_b32 s18, s4
	v_mad_u32_u24 v1, v2, s13, v1
	s_waitcnt vmcnt(8)
	v_cmp_lt_i32_e32 vcc, -1, v4
	v_cndmask_b32_e32 v9, -1, v11, vcc
	v_xor_b32_e32 v9, v9, v4
	v_cmp_ne_u32_e32 vcc, s12, v9
	v_cndmask_b32_e32 v4, v11, v9, vcc
	v_lshrrev_b32_e32 v4, s44, v4
	v_and_b32_e32 v12, s18, v4
	v_and_b32_e32 v14, 1, v12
	v_lshlrev_b32_e32 v4, 30, v12
	v_cmp_ne_u32_e32 vcc, 0, v14
	v_add_co_u32_e64 v14, s[8:9], -1, v14
	v_cmp_gt_i64_e64 s[4:5], 0, v[3:4]
	v_addc_co_u32_e64 v15, s[8:9], 0, -1, s[8:9]
	v_not_b32_e32 v18, v4
	v_lshlrev_b32_e32 v4, 29, v12
	v_xor_b32_e32 v15, vcc_hi, v15
	v_ashrrev_i32_e32 v18, 31, v18
	v_xor_b32_e32 v14, vcc_lo, v14
	v_cmp_gt_i64_e32 vcc, 0, v[3:4]
	v_not_b32_e32 v19, v4
	v_lshlrev_b32_e32 v4, 28, v12
	v_and_b32_e32 v15, exec_hi, v15
	v_xor_b32_e32 v20, s5, v18
	v_and_b32_e32 v14, exec_lo, v14
	v_xor_b32_e32 v18, s4, v18
	v_ashrrev_i32_e32 v19, 31, v19
	v_cmp_gt_i64_e64 s[4:5], 0, v[3:4]
	v_not_b32_e32 v23, v4
	v_lshlrev_b32_e32 v4, 27, v12
	v_and_b32_e32 v15, v15, v20
	v_and_b32_e32 v14, v14, v18
	v_xor_b32_e32 v18, vcc_hi, v19
	v_xor_b32_e32 v19, vcc_lo, v19
	v_ashrrev_i32_e32 v20, 31, v23
	v_cmp_gt_i64_e32 vcc, 0, v[3:4]
	v_not_b32_e32 v23, v4
	v_lshlrev_b32_e32 v4, 26, v12
	v_and_b32_e32 v15, v15, v18
	v_and_b32_e32 v14, v14, v19
	v_xor_b32_e32 v18, s5, v20
	v_xor_b32_e32 v19, s4, v20
	v_ashrrev_i32_e32 v20, 31, v23
	v_cmp_gt_i64_e64 s[4:5], 0, v[3:4]
	v_not_b32_e32 v23, v4
	v_lshlrev_b32_e32 v4, 25, v12
	v_and_b32_e32 v15, v15, v18
	v_and_b32_e32 v14, v14, v19
	v_xor_b32_e32 v18, vcc_hi, v20
	v_xor_b32_e32 v19, vcc_lo, v20
	v_ashrrev_i32_e32 v20, 31, v23
	v_cmp_gt_i64_e32 vcc, 0, v[3:4]
	v_not_b32_e32 v4, v4
	v_and_b32_e32 v15, v15, v18
	v_and_b32_e32 v14, v14, v19
	v_xor_b32_e32 v18, s5, v20
	v_xor_b32_e32 v19, s4, v20
	v_ashrrev_i32_e32 v4, 31, v4
	v_and_b32_e32 v15, v15, v18
	v_and_b32_e32 v14, v14, v19
	v_xor_b32_e32 v18, vcc_hi, v4
	v_xor_b32_e32 v4, vcc_lo, v4
	v_and_b32_e32 v19, v14, v4
	v_lshlrev_b32_e32 v4, 24, v12
	v_cmp_gt_i64_e32 vcc, 0, v[3:4]
	v_not_b32_e32 v4, v4
	v_and_b32_e32 v18, v15, v18
	v_ashrrev_i32_e32 v4, 31, v4
	s_waitcnt vmcnt(7)
	v_mad_u64_u32 v[14:15], s[4:5], v1, v6, v[0:1]
	v_xor_b32_e32 v20, vcc_hi, v4
	v_xor_b32_e32 v1, vcc_lo, v4
	v_mul_lo_u32 v4, v12, 36
	v_and_b32_e32 v1, v19, v1
	v_lshrrev_b32_e32 v28, 6, v14
	v_and_b32_e32 v2, v18, v20
	v_lshl_add_u32 v18, v28, 2, v4
	v_mbcnt_lo_u32_b32 v4, v1, 0
	v_mbcnt_hi_u32_b32 v12, v2, v4
	v_cmp_ne_u64_e32 vcc, 0, v[1:2]
	v_cmp_eq_u32_e64 s[4:5], 0, v12
	v_mul_u32_u24_e32 v6, 20, v0
	s_and_b64 s[8:9], vcc, s[4:5]
	ds_write2_b32 v6, v3, v3 offset0:8 offset1:9
	ds_write2_b32 v6, v3, v3 offset0:10 offset1:11
	ds_write_b32 v6, v3 offset:48
	s_waitcnt vmcnt(0) lgkmcnt(0)
	s_barrier
	; wave barrier
	s_and_saveexec_b64 s[4:5], s[8:9]
; %bb.90:
	v_bcnt_u32_b32 v1, v1, 0
	v_bcnt_u32_b32 v1, v2, v1
	ds_write_b32 v18, v1 offset:32
; %bb.91:
	s_or_b64 exec, exec, s[4:5]
	v_cmp_lt_i32_e32 vcc, -1, v10
	v_cndmask_b32_e32 v1, -1, v11, vcc
	v_xor_b32_e32 v10, v1, v10
	v_cmp_ne_u32_e32 vcc, s12, v10
	v_cndmask_b32_e32 v1, v11, v10, vcc
	v_lshrrev_b32_e32 v1, s44, v1
	v_and_b32_e32 v1, s18, v1
	v_mul_lo_u32 v2, v1, 36
	; wave barrier
	v_lshl_add_u32 v19, v28, 2, v2
	v_and_b32_e32 v2, 1, v1
	v_add_co_u32_e32 v4, vcc, -1, v2
	v_addc_co_u32_e64 v11, s[4:5], 0, -1, vcc
	v_cmp_ne_u32_e32 vcc, 0, v2
	v_xor_b32_e32 v4, vcc_lo, v4
	v_xor_b32_e32 v2, vcc_hi, v11
	v_and_b32_e32 v11, exec_lo, v4
	v_lshlrev_b32_e32 v4, 30, v1
	v_cmp_gt_i64_e32 vcc, 0, v[3:4]
	v_not_b32_e32 v4, v4
	v_ashrrev_i32_e32 v4, 31, v4
	v_xor_b32_e32 v15, vcc_hi, v4
	v_xor_b32_e32 v4, vcc_lo, v4
	v_and_b32_e32 v11, v11, v4
	v_lshlrev_b32_e32 v4, 29, v1
	v_cmp_gt_i64_e32 vcc, 0, v[3:4]
	v_not_b32_e32 v4, v4
	v_and_b32_e32 v2, exec_hi, v2
	v_ashrrev_i32_e32 v4, 31, v4
	v_and_b32_e32 v2, v2, v15
	v_xor_b32_e32 v15, vcc_hi, v4
	v_xor_b32_e32 v4, vcc_lo, v4
	v_and_b32_e32 v11, v11, v4
	v_lshlrev_b32_e32 v4, 28, v1
	v_cmp_gt_i64_e32 vcc, 0, v[3:4]
	v_not_b32_e32 v4, v4
	v_ashrrev_i32_e32 v4, 31, v4
	v_and_b32_e32 v2, v2, v15
	v_xor_b32_e32 v15, vcc_hi, v4
	v_xor_b32_e32 v4, vcc_lo, v4
	v_and_b32_e32 v11, v11, v4
	v_lshlrev_b32_e32 v4, 27, v1
	v_cmp_gt_i64_e32 vcc, 0, v[3:4]
	v_not_b32_e32 v4, v4
	;; [unrolled: 8-line block ×5, first 2 shown]
	v_ashrrev_i32_e32 v1, 31, v1
	v_xor_b32_e32 v3, vcc_hi, v1
	v_xor_b32_e32 v1, vcc_lo, v1
	ds_read_b32 v14, v19 offset:32
	v_and_b32_e32 v2, v2, v15
	v_and_b32_e32 v1, v11, v1
	;; [unrolled: 1-line block ×3, first 2 shown]
	v_mbcnt_lo_u32_b32 v3, v1, 0
	v_mbcnt_hi_u32_b32 v15, v2, v3
	v_cmp_ne_u64_e32 vcc, 0, v[1:2]
	v_cmp_eq_u32_e64 s[4:5], 0, v15
	s_and_b64 s[8:9], vcc, s[4:5]
	; wave barrier
	s_and_saveexec_b64 s[4:5], s[8:9]
	s_cbranch_execz .LBB1882_93
; %bb.92:
	v_bcnt_u32_b32 v1, v1, 0
	v_bcnt_u32_b32 v1, v2, v1
	s_waitcnt lgkmcnt(0)
	v_add_u32_e32 v1, v14, v1
	ds_write_b32 v19, v1 offset:32
.LBB1882_93:
	s_or_b64 exec, exec, s[4:5]
	v_bfrev_b32_e32 v4, 1
	v_cmp_lt_i32_e32 vcc, -1, v17
	v_cndmask_b32_e32 v1, -1, v4, vcc
	v_xor_b32_e32 v11, v1, v17
	s_brev_b32 s8, -2
	v_cmp_ne_u32_e32 vcc, s8, v11
	v_cndmask_b32_e32 v1, v4, v11, vcc
	v_lshrrev_b32_e32 v1, s44, v1
	v_and_b32_e32 v3, s18, v1
	v_mul_lo_u32 v1, v3, 36
	v_and_b32_e32 v2, 1, v3
	v_add_co_u32_e32 v20, vcc, -1, v2
	v_addc_co_u32_e64 v23, s[4:5], 0, -1, vcc
	v_cmp_ne_u32_e32 vcc, 0, v2
	v_xor_b32_e32 v2, vcc_hi, v23
	v_lshl_add_u32 v25, v28, 2, v1
	v_mov_b32_e32 v1, 0
	v_and_b32_e32 v23, exec_hi, v2
	v_lshlrev_b32_e32 v2, 30, v3
	v_xor_b32_e32 v20, vcc_lo, v20
	v_cmp_gt_i64_e32 vcc, 0, v[1:2]
	v_not_b32_e32 v2, v2
	v_ashrrev_i32_e32 v2, 31, v2
	v_and_b32_e32 v20, exec_lo, v20
	v_xor_b32_e32 v26, vcc_hi, v2
	v_xor_b32_e32 v2, vcc_lo, v2
	v_and_b32_e32 v20, v20, v2
	v_lshlrev_b32_e32 v2, 29, v3
	v_cmp_gt_i64_e32 vcc, 0, v[1:2]
	v_not_b32_e32 v2, v2
	v_ashrrev_i32_e32 v2, 31, v2
	v_and_b32_e32 v23, v23, v26
	v_xor_b32_e32 v26, vcc_hi, v2
	v_xor_b32_e32 v2, vcc_lo, v2
	v_and_b32_e32 v20, v20, v2
	v_lshlrev_b32_e32 v2, 28, v3
	v_cmp_gt_i64_e32 vcc, 0, v[1:2]
	v_not_b32_e32 v2, v2
	v_ashrrev_i32_e32 v2, 31, v2
	v_and_b32_e32 v23, v23, v26
	;; [unrolled: 8-line block ×5, first 2 shown]
	v_xor_b32_e32 v26, vcc_hi, v2
	v_xor_b32_e32 v2, vcc_lo, v2
	v_and_b32_e32 v20, v20, v2
	v_lshlrev_b32_e32 v2, 24, v3
	v_cmp_gt_i64_e32 vcc, 0, v[1:2]
	v_not_b32_e32 v2, v2
	v_ashrrev_i32_e32 v2, 31, v2
	v_xor_b32_e32 v3, vcc_hi, v2
	v_xor_b32_e32 v2, vcc_lo, v2
	; wave barrier
	ds_read_b32 v17, v25 offset:32
	v_and_b32_e32 v23, v23, v26
	v_and_b32_e32 v2, v20, v2
	v_and_b32_e32 v3, v23, v3
	v_mbcnt_lo_u32_b32 v20, v2, 0
	v_mbcnt_hi_u32_b32 v20, v3, v20
	v_cmp_ne_u64_e32 vcc, 0, v[2:3]
	v_cmp_eq_u32_e64 s[4:5], 0, v20
	s_and_b64 s[12:13], vcc, s[4:5]
	; wave barrier
	s_and_saveexec_b64 s[4:5], s[12:13]
	s_cbranch_execz .LBB1882_95
; %bb.94:
	v_bcnt_u32_b32 v2, v2, 0
	v_bcnt_u32_b32 v2, v3, v2
	s_waitcnt lgkmcnt(0)
	v_add_u32_e32 v2, v17, v2
	ds_write_b32 v25, v2 offset:32
.LBB1882_95:
	s_or_b64 exec, exec, s[4:5]
	v_cmp_lt_i32_e32 vcc, -1, v13
	v_cndmask_b32_e32 v2, -1, v4, vcc
	v_xor_b32_e32 v13, v2, v13
	v_cmp_ne_u32_e32 vcc, s8, v13
	v_cndmask_b32_e32 v2, v4, v13, vcc
	v_lshrrev_b32_e32 v2, s44, v2
	v_and_b32_e32 v3, s18, v2
	v_mul_lo_u32 v2, v3, 36
	; wave barrier
	v_lshl_add_u32 v30, v28, 2, v2
	v_and_b32_e32 v2, 1, v3
	v_add_co_u32_e32 v4, vcc, -1, v2
	v_addc_co_u32_e64 v26, s[4:5], 0, -1, vcc
	v_cmp_ne_u32_e32 vcc, 0, v2
	v_xor_b32_e32 v2, vcc_hi, v26
	v_and_b32_e32 v26, exec_hi, v2
	v_lshlrev_b32_e32 v2, 30, v3
	v_xor_b32_e32 v4, vcc_lo, v4
	v_cmp_gt_i64_e32 vcc, 0, v[1:2]
	v_not_b32_e32 v2, v2
	v_ashrrev_i32_e32 v2, 31, v2
	v_and_b32_e32 v4, exec_lo, v4
	v_xor_b32_e32 v29, vcc_hi, v2
	v_xor_b32_e32 v2, vcc_lo, v2
	v_and_b32_e32 v4, v4, v2
	v_lshlrev_b32_e32 v2, 29, v3
	v_cmp_gt_i64_e32 vcc, 0, v[1:2]
	v_not_b32_e32 v2, v2
	v_ashrrev_i32_e32 v2, 31, v2
	v_and_b32_e32 v26, v26, v29
	v_xor_b32_e32 v29, vcc_hi, v2
	v_xor_b32_e32 v2, vcc_lo, v2
	v_and_b32_e32 v4, v4, v2
	v_lshlrev_b32_e32 v2, 28, v3
	v_cmp_gt_i64_e32 vcc, 0, v[1:2]
	v_not_b32_e32 v2, v2
	v_ashrrev_i32_e32 v2, 31, v2
	v_and_b32_e32 v26, v26, v29
	;; [unrolled: 8-line block ×5, first 2 shown]
	v_xor_b32_e32 v29, vcc_hi, v2
	v_xor_b32_e32 v2, vcc_lo, v2
	v_and_b32_e32 v4, v4, v2
	v_lshlrev_b32_e32 v2, 24, v3
	v_cmp_gt_i64_e32 vcc, 0, v[1:2]
	v_not_b32_e32 v1, v2
	v_ashrrev_i32_e32 v1, 31, v1
	v_xor_b32_e32 v2, vcc_hi, v1
	v_xor_b32_e32 v1, vcc_lo, v1
	ds_read_b32 v23, v30 offset:32
	v_and_b32_e32 v26, v26, v29
	v_and_b32_e32 v1, v4, v1
	;; [unrolled: 1-line block ×3, first 2 shown]
	v_mbcnt_lo_u32_b32 v3, v1, 0
	v_mbcnt_hi_u32_b32 v26, v2, v3
	v_cmp_ne_u64_e32 vcc, 0, v[1:2]
	v_cmp_eq_u32_e64 s[4:5], 0, v26
	s_and_b64 s[8:9], vcc, s[4:5]
	; wave barrier
	s_and_saveexec_b64 s[4:5], s[8:9]
	s_cbranch_execz .LBB1882_97
; %bb.96:
	v_bcnt_u32_b32 v1, v1, 0
	v_bcnt_u32_b32 v1, v2, v1
	s_waitcnt lgkmcnt(0)
	v_add_u32_e32 v1, v23, v1
	ds_write_b32 v30, v1 offset:32
.LBB1882_97:
	s_or_b64 exec, exec, s[4:5]
	v_bfrev_b32_e32 v4, 1
	v_cmp_lt_i32_e32 vcc, -1, v16
	v_cndmask_b32_e32 v1, -1, v4, vcc
	v_xor_b32_e32 v16, v1, v16
	s_brev_b32 s8, -2
	v_cmp_ne_u32_e32 vcc, s8, v16
	v_cndmask_b32_e32 v1, v4, v16, vcc
	v_lshrrev_b32_e32 v1, s44, v1
	v_and_b32_e32 v3, s18, v1
	v_mul_lo_u32 v1, v3, 36
	v_and_b32_e32 v2, 1, v3
	v_add_co_u32_e32 v31, vcc, -1, v2
	v_addc_co_u32_e64 v32, s[4:5], 0, -1, vcc
	v_cmp_ne_u32_e32 vcc, 0, v2
	v_xor_b32_e32 v2, vcc_hi, v32
	v_lshl_add_u32 v34, v28, 2, v1
	v_mov_b32_e32 v1, 0
	v_and_b32_e32 v32, exec_hi, v2
	v_lshlrev_b32_e32 v2, 30, v3
	v_xor_b32_e32 v31, vcc_lo, v31
	v_cmp_gt_i64_e32 vcc, 0, v[1:2]
	v_not_b32_e32 v2, v2
	v_ashrrev_i32_e32 v2, 31, v2
	v_and_b32_e32 v31, exec_lo, v31
	v_xor_b32_e32 v33, vcc_hi, v2
	v_xor_b32_e32 v2, vcc_lo, v2
	v_and_b32_e32 v31, v31, v2
	v_lshlrev_b32_e32 v2, 29, v3
	v_cmp_gt_i64_e32 vcc, 0, v[1:2]
	v_not_b32_e32 v2, v2
	v_ashrrev_i32_e32 v2, 31, v2
	v_and_b32_e32 v32, v32, v33
	v_xor_b32_e32 v33, vcc_hi, v2
	v_xor_b32_e32 v2, vcc_lo, v2
	v_and_b32_e32 v31, v31, v2
	v_lshlrev_b32_e32 v2, 28, v3
	v_cmp_gt_i64_e32 vcc, 0, v[1:2]
	v_not_b32_e32 v2, v2
	v_ashrrev_i32_e32 v2, 31, v2
	v_and_b32_e32 v32, v32, v33
	;; [unrolled: 8-line block ×5, first 2 shown]
	v_xor_b32_e32 v33, vcc_hi, v2
	v_xor_b32_e32 v2, vcc_lo, v2
	v_and_b32_e32 v31, v31, v2
	v_lshlrev_b32_e32 v2, 24, v3
	v_cmp_gt_i64_e32 vcc, 0, v[1:2]
	v_not_b32_e32 v2, v2
	v_ashrrev_i32_e32 v2, 31, v2
	v_xor_b32_e32 v3, vcc_hi, v2
	v_xor_b32_e32 v2, vcc_lo, v2
	; wave barrier
	ds_read_b32 v29, v34 offset:32
	v_and_b32_e32 v32, v32, v33
	v_and_b32_e32 v2, v31, v2
	;; [unrolled: 1-line block ×3, first 2 shown]
	v_mbcnt_lo_u32_b32 v31, v2, 0
	v_mbcnt_hi_u32_b32 v31, v3, v31
	v_cmp_ne_u64_e32 vcc, 0, v[2:3]
	v_cmp_eq_u32_e64 s[4:5], 0, v31
	s_and_b64 s[12:13], vcc, s[4:5]
	; wave barrier
	s_and_saveexec_b64 s[4:5], s[12:13]
	s_cbranch_execz .LBB1882_99
; %bb.98:
	v_bcnt_u32_b32 v2, v2, 0
	v_bcnt_u32_b32 v2, v3, v2
	s_waitcnt lgkmcnt(0)
	v_add_u32_e32 v2, v29, v2
	ds_write_b32 v34, v2 offset:32
.LBB1882_99:
	s_or_b64 exec, exec, s[4:5]
	v_cmp_lt_i32_e32 vcc, -1, v22
	v_cndmask_b32_e32 v2, -1, v4, vcc
	v_xor_b32_e32 v22, v2, v22
	v_cmp_ne_u32_e32 vcc, s8, v22
	v_cndmask_b32_e32 v2, v4, v22, vcc
	v_lshrrev_b32_e32 v2, s44, v2
	v_and_b32_e32 v3, s18, v2
	v_mul_lo_u32 v2, v3, 36
	; wave barrier
	v_lshl_add_u32 v37, v28, 2, v2
	v_and_b32_e32 v2, 1, v3
	v_add_co_u32_e32 v4, vcc, -1, v2
	v_addc_co_u32_e64 v32, s[4:5], 0, -1, vcc
	v_cmp_ne_u32_e32 vcc, 0, v2
	v_xor_b32_e32 v2, vcc_hi, v32
	v_and_b32_e32 v32, exec_hi, v2
	v_lshlrev_b32_e32 v2, 30, v3
	v_xor_b32_e32 v4, vcc_lo, v4
	v_cmp_gt_i64_e32 vcc, 0, v[1:2]
	v_not_b32_e32 v2, v2
	v_ashrrev_i32_e32 v2, 31, v2
	v_and_b32_e32 v4, exec_lo, v4
	v_xor_b32_e32 v35, vcc_hi, v2
	v_xor_b32_e32 v2, vcc_lo, v2
	v_and_b32_e32 v4, v4, v2
	v_lshlrev_b32_e32 v2, 29, v3
	v_cmp_gt_i64_e32 vcc, 0, v[1:2]
	v_not_b32_e32 v2, v2
	v_ashrrev_i32_e32 v2, 31, v2
	v_and_b32_e32 v32, v32, v35
	v_xor_b32_e32 v35, vcc_hi, v2
	v_xor_b32_e32 v2, vcc_lo, v2
	v_and_b32_e32 v4, v4, v2
	v_lshlrev_b32_e32 v2, 28, v3
	v_cmp_gt_i64_e32 vcc, 0, v[1:2]
	v_not_b32_e32 v2, v2
	v_ashrrev_i32_e32 v2, 31, v2
	v_and_b32_e32 v32, v32, v35
	;; [unrolled: 8-line block ×5, first 2 shown]
	v_xor_b32_e32 v35, vcc_hi, v2
	v_xor_b32_e32 v2, vcc_lo, v2
	v_and_b32_e32 v4, v4, v2
	v_lshlrev_b32_e32 v2, 24, v3
	v_cmp_gt_i64_e32 vcc, 0, v[1:2]
	v_not_b32_e32 v1, v2
	v_ashrrev_i32_e32 v1, 31, v1
	v_xor_b32_e32 v2, vcc_hi, v1
	v_xor_b32_e32 v1, vcc_lo, v1
	ds_read_b32 v33, v37 offset:32
	v_and_b32_e32 v32, v32, v35
	v_and_b32_e32 v1, v4, v1
	;; [unrolled: 1-line block ×3, first 2 shown]
	v_mbcnt_lo_u32_b32 v3, v1, 0
	v_mbcnt_hi_u32_b32 v35, v2, v3
	v_cmp_ne_u64_e32 vcc, 0, v[1:2]
	v_cmp_eq_u32_e64 s[4:5], 0, v35
	s_and_b64 s[8:9], vcc, s[4:5]
	; wave barrier
	s_and_saveexec_b64 s[4:5], s[8:9]
	s_cbranch_execz .LBB1882_101
; %bb.100:
	v_bcnt_u32_b32 v1, v1, 0
	v_bcnt_u32_b32 v1, v2, v1
	s_waitcnt lgkmcnt(0)
	v_add_u32_e32 v1, v33, v1
	ds_write_b32 v37, v1 offset:32
.LBB1882_101:
	s_or_b64 exec, exec, s[4:5]
	v_bfrev_b32_e32 v4, 1
	v_cmp_lt_i32_e32 vcc, -1, v27
	v_cndmask_b32_e32 v1, -1, v4, vcc
	v_xor_b32_e32 v27, v1, v27
	s_brev_b32 s8, -2
	v_cmp_ne_u32_e32 vcc, s8, v27
	v_cndmask_b32_e32 v1, v4, v27, vcc
	v_lshrrev_b32_e32 v1, s44, v1
	v_and_b32_e32 v3, s18, v1
	v_mul_lo_u32 v1, v3, 36
	v_and_b32_e32 v2, 1, v3
	v_add_co_u32_e32 v32, vcc, -1, v2
	v_addc_co_u32_e64 v38, s[4:5], 0, -1, vcc
	v_cmp_ne_u32_e32 vcc, 0, v2
	v_xor_b32_e32 v2, vcc_hi, v38
	v_lshl_add_u32 v40, v28, 2, v1
	v_mov_b32_e32 v1, 0
	v_and_b32_e32 v38, exec_hi, v2
	v_lshlrev_b32_e32 v2, 30, v3
	v_xor_b32_e32 v32, vcc_lo, v32
	v_cmp_gt_i64_e32 vcc, 0, v[1:2]
	v_not_b32_e32 v2, v2
	v_ashrrev_i32_e32 v2, 31, v2
	v_and_b32_e32 v32, exec_lo, v32
	v_xor_b32_e32 v39, vcc_hi, v2
	v_xor_b32_e32 v2, vcc_lo, v2
	v_and_b32_e32 v32, v32, v2
	v_lshlrev_b32_e32 v2, 29, v3
	v_cmp_gt_i64_e32 vcc, 0, v[1:2]
	v_not_b32_e32 v2, v2
	v_ashrrev_i32_e32 v2, 31, v2
	v_and_b32_e32 v38, v38, v39
	v_xor_b32_e32 v39, vcc_hi, v2
	v_xor_b32_e32 v2, vcc_lo, v2
	v_and_b32_e32 v32, v32, v2
	v_lshlrev_b32_e32 v2, 28, v3
	v_cmp_gt_i64_e32 vcc, 0, v[1:2]
	v_not_b32_e32 v2, v2
	v_ashrrev_i32_e32 v2, 31, v2
	v_and_b32_e32 v38, v38, v39
	;; [unrolled: 8-line block ×5, first 2 shown]
	v_xor_b32_e32 v39, vcc_hi, v2
	v_xor_b32_e32 v2, vcc_lo, v2
	v_and_b32_e32 v32, v32, v2
	v_lshlrev_b32_e32 v2, 24, v3
	v_cmp_gt_i64_e32 vcc, 0, v[1:2]
	v_not_b32_e32 v2, v2
	v_ashrrev_i32_e32 v2, 31, v2
	v_xor_b32_e32 v3, vcc_hi, v2
	v_xor_b32_e32 v2, vcc_lo, v2
	; wave barrier
	ds_read_b32 v36, v40 offset:32
	v_and_b32_e32 v38, v38, v39
	v_and_b32_e32 v2, v32, v2
	;; [unrolled: 1-line block ×3, first 2 shown]
	v_mbcnt_lo_u32_b32 v32, v2, 0
	v_mbcnt_hi_u32_b32 v38, v3, v32
	v_cmp_ne_u64_e32 vcc, 0, v[2:3]
	v_cmp_eq_u32_e64 s[4:5], 0, v38
	s_and_b64 s[12:13], vcc, s[4:5]
	; wave barrier
	s_and_saveexec_b64 s[4:5], s[12:13]
	s_cbranch_execz .LBB1882_103
; %bb.102:
	v_bcnt_u32_b32 v2, v2, 0
	v_bcnt_u32_b32 v2, v3, v2
	s_waitcnt lgkmcnt(0)
	v_add_u32_e32 v2, v36, v2
	ds_write_b32 v40, v2 offset:32
.LBB1882_103:
	s_or_b64 exec, exec, s[4:5]
	v_cmp_lt_i32_e32 vcc, -1, v24
	v_cndmask_b32_e32 v2, -1, v4, vcc
	v_xor_b32_e32 v32, v2, v24
	v_cmp_ne_u32_e32 vcc, s8, v32
	v_cndmask_b32_e32 v2, v4, v32, vcc
	v_lshrrev_b32_e32 v2, s44, v2
	v_and_b32_e32 v3, s18, v2
	v_mul_lo_u32 v2, v3, 36
	; wave barrier
	v_lshl_add_u32 v28, v28, 2, v2
	v_and_b32_e32 v2, 1, v3
	v_add_co_u32_e32 v4, vcc, -1, v2
	v_addc_co_u32_e64 v24, s[4:5], 0, -1, vcc
	v_cmp_ne_u32_e32 vcc, 0, v2
	v_xor_b32_e32 v2, vcc_hi, v24
	v_and_b32_e32 v24, exec_hi, v2
	v_lshlrev_b32_e32 v2, 30, v3
	v_xor_b32_e32 v4, vcc_lo, v4
	v_cmp_gt_i64_e32 vcc, 0, v[1:2]
	v_not_b32_e32 v2, v2
	v_ashrrev_i32_e32 v2, 31, v2
	v_and_b32_e32 v4, exec_lo, v4
	v_xor_b32_e32 v41, vcc_hi, v2
	v_xor_b32_e32 v2, vcc_lo, v2
	v_and_b32_e32 v4, v4, v2
	v_lshlrev_b32_e32 v2, 29, v3
	v_cmp_gt_i64_e32 vcc, 0, v[1:2]
	v_not_b32_e32 v2, v2
	v_ashrrev_i32_e32 v2, 31, v2
	v_and_b32_e32 v24, v24, v41
	v_xor_b32_e32 v41, vcc_hi, v2
	v_xor_b32_e32 v2, vcc_lo, v2
	v_and_b32_e32 v4, v4, v2
	v_lshlrev_b32_e32 v2, 28, v3
	v_cmp_gt_i64_e32 vcc, 0, v[1:2]
	v_not_b32_e32 v2, v2
	v_ashrrev_i32_e32 v2, 31, v2
	v_and_b32_e32 v24, v24, v41
	;; [unrolled: 8-line block ×5, first 2 shown]
	v_xor_b32_e32 v41, vcc_hi, v2
	v_xor_b32_e32 v2, vcc_lo, v2
	v_and_b32_e32 v4, v4, v2
	v_lshlrev_b32_e32 v2, 24, v3
	v_cmp_gt_i64_e32 vcc, 0, v[1:2]
	v_not_b32_e32 v1, v2
	v_ashrrev_i32_e32 v1, 31, v1
	v_xor_b32_e32 v2, vcc_hi, v1
	v_xor_b32_e32 v1, vcc_lo, v1
	ds_read_b32 v39, v28 offset:32
	v_and_b32_e32 v24, v24, v41
	v_and_b32_e32 v1, v4, v1
	;; [unrolled: 1-line block ×3, first 2 shown]
	v_mbcnt_lo_u32_b32 v3, v1, 0
	v_mbcnt_hi_u32_b32 v41, v2, v3
	v_cmp_ne_u64_e32 vcc, 0, v[1:2]
	v_cmp_eq_u32_e64 s[4:5], 0, v41
	s_and_b64 s[8:9], vcc, s[4:5]
	; wave barrier
	s_and_saveexec_b64 s[4:5], s[8:9]
	s_cbranch_execz .LBB1882_105
; %bb.104:
	v_bcnt_u32_b32 v1, v1, 0
	v_bcnt_u32_b32 v1, v2, v1
	s_waitcnt lgkmcnt(0)
	v_add_u32_e32 v1, v39, v1
	ds_write_b32 v28, v1 offset:32
.LBB1882_105:
	s_or_b64 exec, exec, s[4:5]
	; wave barrier
	s_waitcnt lgkmcnt(0)
	s_barrier
	ds_read2_b32 v[3:4], v6 offset0:8 offset1:9
	ds_read2_b32 v[1:2], v6 offset0:10 offset1:11
	ds_read_b32 v24, v6 offset:48
	s_waitcnt lgkmcnt(1)
	v_add3_u32 v42, v4, v3, v1
	s_waitcnt lgkmcnt(0)
	v_add3_u32 v24, v42, v2, v24
	v_and_b32_e32 v42, 15, v5
	v_cmp_ne_u32_e32 vcc, 0, v42
	v_mov_b32_dpp v43, v24 row_shr:1 row_mask:0xf bank_mask:0xf
	v_cndmask_b32_e32 v43, 0, v43, vcc
	v_add_u32_e32 v24, v43, v24
	v_cmp_lt_u32_e32 vcc, 1, v42
	s_nop 0
	v_mov_b32_dpp v43, v24 row_shr:2 row_mask:0xf bank_mask:0xf
	v_cndmask_b32_e32 v43, 0, v43, vcc
	v_add_u32_e32 v24, v24, v43
	v_cmp_lt_u32_e32 vcc, 3, v42
	s_nop 0
	;; [unrolled: 5-line block ×3, first 2 shown]
	v_mov_b32_dpp v43, v24 row_shr:8 row_mask:0xf bank_mask:0xf
	v_cndmask_b32_e32 v42, 0, v43, vcc
	v_add_u32_e32 v24, v24, v42
	v_bfe_i32 v43, v5, 4, 1
	v_cmp_lt_u32_e32 vcc, 31, v5
	v_mov_b32_dpp v42, v24 row_bcast:15 row_mask:0xf bank_mask:0xf
	v_and_b32_e32 v42, v43, v42
	v_add_u32_e32 v24, v24, v42
	v_lshrrev_b32_e32 v43, 6, v0
	s_nop 0
	v_mov_b32_dpp v42, v24 row_bcast:31 row_mask:0xf bank_mask:0xf
	v_cndmask_b32_e32 v42, 0, v42, vcc
	v_add_u32_e32 v42, v24, v42
	v_or_b32_e32 v24, 63, v0
	v_cmp_eq_u32_e32 vcc, v0, v24
	s_and_saveexec_b64 s[4:5], vcc
; %bb.106:
	v_lshlrev_b32_e32 v24, 2, v43
	ds_write_b32 v24, v42
; %bb.107:
	s_or_b64 exec, exec, s[4:5]
	v_cmp_gt_u32_e32 vcc, 8, v0
	v_lshlrev_b32_e32 v24, 2, v0
	s_waitcnt lgkmcnt(0)
	s_barrier
	s_and_saveexec_b64 s[4:5], vcc
	s_cbranch_execz .LBB1882_109
; %bb.108:
	ds_read_b32 v44, v24
	v_and_b32_e32 v45, 7, v5
	v_cmp_ne_u32_e32 vcc, 0, v45
	s_waitcnt lgkmcnt(0)
	v_mov_b32_dpp v46, v44 row_shr:1 row_mask:0xf bank_mask:0xf
	v_cndmask_b32_e32 v46, 0, v46, vcc
	v_add_u32_e32 v44, v46, v44
	v_cmp_lt_u32_e32 vcc, 1, v45
	s_nop 0
	v_mov_b32_dpp v46, v44 row_shr:2 row_mask:0xf bank_mask:0xf
	v_cndmask_b32_e32 v46, 0, v46, vcc
	v_add_u32_e32 v44, v44, v46
	v_cmp_lt_u32_e32 vcc, 3, v45
	s_nop 0
	v_mov_b32_dpp v46, v44 row_shr:4 row_mask:0xf bank_mask:0xf
	v_cndmask_b32_e32 v45, 0, v46, vcc
	v_add_u32_e32 v44, v44, v45
	ds_write_b32 v24, v44
.LBB1882_109:
	s_or_b64 exec, exec, s[4:5]
	v_cmp_lt_u32_e32 vcc, 63, v0
	v_mov_b32_e32 v44, 0
	s_waitcnt lgkmcnt(0)
	s_barrier
	s_and_saveexec_b64 s[4:5], vcc
; %bb.110:
	v_lshl_add_u32 v43, v43, 2, -4
	ds_read_b32 v44, v43
; %bb.111:
	s_or_b64 exec, exec, s[4:5]
	v_subrev_co_u32_e32 v43, vcc, 1, v5
	v_and_b32_e32 v45, 64, v5
	v_cmp_lt_i32_e64 s[4:5], v43, v45
	v_cndmask_b32_e64 v5, v43, v5, s[4:5]
	s_waitcnt lgkmcnt(0)
	v_add_u32_e32 v42, v44, v42
	v_lshlrev_b32_e32 v5, 2, v5
	ds_bpermute_b32 v5, v5, v42
	s_movk_i32 s4, 0xff
	s_movk_i32 s8, 0x100
	v_cmp_lt_u32_e64 s[4:5], s4, v0
	s_waitcnt lgkmcnt(0)
	v_cndmask_b32_e32 v5, v5, v44, vcc
	v_cmp_ne_u32_e32 vcc, 0, v0
	v_cndmask_b32_e32 v5, 0, v5, vcc
	v_add_u32_e32 v3, v5, v3
	v_add_u32_e32 v4, v3, v4
	;; [unrolled: 1-line block ×4, first 2 shown]
	ds_write2_b32 v6, v5, v3 offset0:8 offset1:9
	ds_write2_b32 v6, v4, v1 offset0:10 offset1:11
	ds_write_b32 v6, v2 offset:48
	s_waitcnt lgkmcnt(0)
	s_barrier
	ds_read_b32 v45, v18 offset:32
	ds_read_b32 v18, v19 offset:32
	;; [unrolled: 1-line block ×8, first 2 shown]
	v_cmp_gt_u32_e32 vcc, s8, v0
                                        ; implicit-def: $vgpr19
                                        ; implicit-def: $vgpr25
	s_and_saveexec_b64 s[12:13], vcc
	s_cbranch_execz .LBB1882_115
; %bb.112:
	v_mul_u32_u24_e32 v1, 36, v0
	ds_read_b32 v19, v1 offset:32
	v_add_u32_e32 v2, 1, v0
	v_cmp_ne_u32_e64 s[8:9], s8, v2
	v_mov_b32_e32 v1, 0x1000
	s_and_saveexec_b64 s[14:15], s[8:9]
; %bb.113:
	v_mul_u32_u24_e32 v1, 36, v2
	ds_read_b32 v1, v1 offset:32
; %bb.114:
	s_or_b64 exec, exec, s[14:15]
	s_waitcnt lgkmcnt(0)
	v_sub_u32_e32 v25, v1, v19
.LBB1882_115:
	s_or_b64 exec, exec, s[12:13]
	v_mov_b32_e32 v2, 0
	s_waitcnt lgkmcnt(0)
	s_barrier
	s_and_saveexec_b64 s[8:9], vcc
	s_cbranch_execz .LBB1882_125
; %bb.116:
	v_lshl_add_u32 v1, s6, 8, v0
	v_lshlrev_b64 v[3:4], 2, v[1:2]
	v_mov_b32_e32 v28, s35
	v_add_co_u32_e32 v3, vcc, s34, v3
	v_addc_co_u32_e32 v4, vcc, v28, v4, vcc
	v_or_b32_e32 v1, 2.0, v25
	s_mov_b64 s[12:13], 0
	s_brev_b32 s19, -4
	s_mov_b32 s20, s6
	v_mov_b32_e32 v40, 0
	global_store_dword v[3:4], v1, off
                                        ; implicit-def: $sgpr14_sgpr15
	s_branch .LBB1882_119
.LBB1882_117:                           ;   in Loop: Header=BB1882_119 Depth=1
	s_or_b64 exec, exec, s[16:17]
.LBB1882_118:                           ;   in Loop: Header=BB1882_119 Depth=1
	s_or_b64 exec, exec, s[14:15]
	v_and_b32_e32 v5, 0x3fffffff, v1
	v_add_u32_e32 v40, v5, v40
	v_cmp_gt_i32_e64 s[14:15], -2.0, v1
	s_and_b64 s[16:17], exec, s[14:15]
	s_or_b64 s[12:13], s[16:17], s[12:13]
	s_andn2_b64 exec, exec, s[12:13]
	s_cbranch_execz .LBB1882_124
.LBB1882_119:                           ; =>This Loop Header: Depth=1
                                        ;     Child Loop BB1882_122 Depth 2
	s_or_b64 s[14:15], s[14:15], exec
	s_cmp_eq_u32 s20, 0
	s_cbranch_scc1 .LBB1882_123
; %bb.120:                              ;   in Loop: Header=BB1882_119 Depth=1
	s_add_i32 s20, s20, -1
	v_lshl_or_b32 v1, s20, 8, v0
	v_lshlrev_b64 v[5:6], 2, v[1:2]
	v_add_co_u32_e32 v5, vcc, s34, v5
	v_addc_co_u32_e32 v6, vcc, v28, v6, vcc
	global_load_dword v1, v[5:6], off glc
	s_waitcnt vmcnt(0)
	v_cmp_gt_u32_e32 vcc, 2.0, v1
	s_and_saveexec_b64 s[14:15], vcc
	s_cbranch_execz .LBB1882_118
; %bb.121:                              ;   in Loop: Header=BB1882_119 Depth=1
	s_mov_b64 s[16:17], 0
.LBB1882_122:                           ;   Parent Loop BB1882_119 Depth=1
                                        ; =>  This Inner Loop Header: Depth=2
	global_load_dword v1, v[5:6], off glc
	s_waitcnt vmcnt(0)
	v_cmp_lt_u32_e32 vcc, s19, v1
	s_or_b64 s[16:17], vcc, s[16:17]
	s_andn2_b64 exec, exec, s[16:17]
	s_cbranch_execnz .LBB1882_122
	s_branch .LBB1882_117
.LBB1882_123:                           ;   in Loop: Header=BB1882_119 Depth=1
                                        ; implicit-def: $sgpr20
	s_and_b64 s[16:17], exec, s[14:15]
	s_or_b64 s[12:13], s[16:17], s[12:13]
	s_andn2_b64 exec, exec, s[12:13]
	s_cbranch_execnz .LBB1882_119
.LBB1882_124:
	s_or_b64 exec, exec, s[12:13]
	v_add_u32_e32 v1, v40, v25
	v_or_b32_e32 v1, 0x80000000, v1
	global_store_dword v[3:4], v1, off
	global_load_dword v1, v24, s[28:29]
	v_sub_u32_e32 v2, v40, v19
	s_waitcnt vmcnt(0)
	v_add_u32_e32 v1, v2, v1
	ds_write_b32 v24, v1
.LBB1882_125:
	s_or_b64 exec, exec, s[8:9]
	v_add_u32_e32 v28, v45, v12
	s_mov_b32 s14, 16
	v_add3_u32 v30, v41, v30, v39
	v_add3_u32 v34, v38, v34, v36
	;; [unrolled: 1-line block ×7, first 2 shown]
	s_mov_b32 s21, 0
	s_mov_b64 s[12:13], -1
	s_mov_b32 s15, 0
	s_brev_b32 s16, -2
	v_bfrev_b32_e32 v3, 1
	v_mov_b32_e32 v2, 0
	v_mov_b32_e32 v4, s39
	s_movk_i32 s17, 0x200
	s_movk_i32 s19, 0x400
	;; [unrolled: 1-line block ×3, first 2 shown]
	v_mov_b32_e32 v5, v0
.LBB1882_126:                           ; =>This Inner Loop Header: Depth=1
	v_add_u32_e32 v1, s15, v28
	v_add_u32_e32 v14, s15, v23
	;; [unrolled: 1-line block ×8, first 2 shown]
	v_min_u32_e32 v1, 0x800, v1
	v_min_u32_e32 v14, 0x800, v14
	;; [unrolled: 1-line block ×8, first 2 shown]
	v_lshlrev_b32_e32 v1, 2, v1
	v_lshlrev_b32_e32 v14, 2, v14
	;; [unrolled: 1-line block ×8, first 2 shown]
	ds_write_b32 v1, v9 offset:1024
	ds_write_b32 v6, v10 offset:1024
	;; [unrolled: 1-line block ×8, first 2 shown]
	s_waitcnt lgkmcnt(0)
	s_barrier
	ds_read2st64_b32 v[14:15], v24 offset0:4 offset1:12
	ds_read2st64_b32 v[17:18], v24 offset0:20 offset1:28
	v_mov_b32_e32 v35, s21
	s_addk_i32 s15, 0xf800
	s_and_b64 vcc, exec, s[12:13]
	s_waitcnt lgkmcnt(1)
	v_cmp_ne_u32_e64 s[8:9], s16, v14
	v_cndmask_b32_e64 v1, v3, v14, s[8:9]
	v_cmp_lt_i32_e64 s[8:9], -1, v14
	v_cndmask_b32_e64 v6, v3, -1, s[8:9]
	v_cmp_ne_u32_e64 s[8:9], s16, v15
	v_cndmask_b32_e64 v12, v3, v15, s[8:9]
	v_cmp_lt_i32_e64 s[8:9], -1, v15
	v_cndmask_b32_e64 v31, v3, -1, s[8:9]
	s_waitcnt lgkmcnt(0)
	v_cmp_ne_u32_e64 s[8:9], s16, v17
	v_cndmask_b32_e64 v36, v3, v17, s[8:9]
	v_cmp_lt_i32_e64 s[8:9], -1, v17
	v_cndmask_b32_e64 v37, v3, -1, s[8:9]
	v_cmp_ne_u32_e64 s[8:9], s16, v18
	v_cndmask_b32_e64 v38, v3, v18, s[8:9]
	v_lshrrev_b32_e32 v1, s44, v1
	v_xor_b32_e32 v6, v6, v14
	v_lshrrev_b32_e32 v12, s44, v12
	v_xor_b32_e32 v31, v31, v15
	v_lshrrev_b32_e32 v14, s44, v36
	v_lshrrev_b32_e32 v15, s44, v38
	v_cmp_lt_i32_e64 s[8:9], -1, v18
	v_and_b32_e32 v1, s18, v1
	v_and_b32_e32 v12, s18, v12
	;; [unrolled: 1-line block ×4, first 2 shown]
	v_cndmask_b32_e64 v39, v3, -1, s[8:9]
	v_xor_b32_e32 v37, v37, v17
	v_lshlrev_b32_e32 v17, 2, v1
	buffer_store_dword v1, v35, s[0:3], 0 offen
	v_lshlrev_b32_e32 v1, 2, v12
	buffer_store_dword v12, v35, s[0:3], 0 offen offset:4
	v_lshlrev_b32_e32 v12, 2, v14
	buffer_store_dword v14, v35, s[0:3], 0 offen offset:8
	buffer_store_dword v15, v35, s[0:3], 0 offen offset:12
	v_xor_b32_e32 v38, v39, v18
	v_lshlrev_b32_e32 v14, 2, v15
	ds_read_b32 v15, v17
	ds_read_b32 v17, v1
	;; [unrolled: 1-line block ×4, first 2 shown]
	s_mov_b64 s[12:13], 0
	s_waitcnt lgkmcnt(3)
	v_add_u32_e32 v1, v5, v15
	v_lshlrev_b64 v[14:15], 2, v[1:2]
	s_waitcnt lgkmcnt(2)
	v_add3_u32 v1, v5, v17, s17
	v_lshlrev_b64 v[17:18], 2, v[1:2]
	v_add_co_u32_e64 v14, s[8:9], s38, v14
	s_waitcnt lgkmcnt(1)
	v_add3_u32 v1, v5, v12, s19
	v_addc_co_u32_e64 v15, s[8:9], v4, v15, s[8:9]
	v_lshlrev_b64 v[35:36], 2, v[1:2]
	global_store_dword v[14:15], v6, off
	v_add_co_u32_e64 v14, s[8:9], s38, v17
	s_waitcnt lgkmcnt(0)
	v_add3_u32 v1, v5, v39, s20
	v_addc_co_u32_e64 v15, s[8:9], v4, v18, s[8:9]
	v_lshlrev_b64 v[17:18], 2, v[1:2]
	global_store_dword v[14:15], v31, off
	v_add_co_u32_e64 v14, s[8:9], s38, v35
	v_addc_co_u32_e64 v15, s[8:9], v4, v36, s[8:9]
	global_store_dword v[14:15], v37, off
	v_add_co_u32_e64 v14, s[8:9], s38, v17
	s_mov_b32 s21, s14
	v_add_u32_e32 v5, 0x800, v5
	v_addc_co_u32_e64 v15, s[8:9], v4, v18, s[8:9]
	global_store_dword v[14:15], v38, off
	s_waitcnt vmcnt(0)
	s_barrier
	s_cbranch_vccnz .LBB1882_126
; %bb.127:
	s_lshl_b64 s[8:9], s[10:11], 3
	s_add_u32 s8, s40, s8
	s_addc_u32 s9, s41, s9
	v_lshlrev_b32_e32 v1, 3, v8
	v_mov_b32_e32 v2, s9
	v_add_co_u32_e32 v1, vcc, s8, v1
	v_addc_co_u32_e32 v2, vcc, 0, v2, vcc
	v_lshlrev_b32_e32 v3, 3, v7
	v_add_co_u32_e32 v17, vcc, v1, v3
	v_addc_co_u32_e32 v18, vcc, 0, v2, vcc
	global_load_dwordx2 v[1:2], v[17:18], off
	global_load_dwordx2 v[3:4], v[17:18], off offset:512
	global_load_dwordx2 v[5:6], v[17:18], off offset:1024
	;; [unrolled: 1-line block ×7, first 2 shown]
	v_mov_b32_e32 v18, 0
	s_mov_b32 s8, 0
	s_mov_b32 s9, 0
	v_mov_b32_e32 v22, s43
	s_movk_i32 s10, 0x200
.LBB1882_128:                           ; =>This Inner Loop Header: Depth=1
	v_add_u32_e32 v17, s9, v28
	v_add_u32_e32 v27, s9, v26
	;; [unrolled: 1-line block ×8, first 2 shown]
	v_min_u32_e32 v17, 0x400, v17
	v_min_u32_e32 v27, 0x400, v27
	v_mov_b32_e32 v39, s8
	v_min_u32_e32 v31, 0x400, v31
	v_min_u32_e32 v32, 0x400, v32
	;; [unrolled: 1-line block ×6, first 2 shown]
	v_lshlrev_b32_e32 v17, 3, v17
	v_lshlrev_b32_e32 v27, 3, v27
	;; [unrolled: 1-line block ×8, first 2 shown]
	s_waitcnt vmcnt(7)
	ds_write_b64 v17, v[1:2] offset:1024
	s_waitcnt vmcnt(6)
	ds_write_b64 v27, v[3:4] offset:1024
	;; [unrolled: 2-line block ×8, first 2 shown]
	s_waitcnt lgkmcnt(0)
	s_barrier
	buffer_load_dword v17, v39, s[0:3], 0 offen
	buffer_load_dword v27, v39, s[0:3], 0 offen offset:4
	ds_read2st64_b64 v[35:38], v21 offset0:2 offset1:10
	s_addk_i32 s9, 0xfc00
	s_add_i32 s8, s8, 8
	s_cmpk_lg_i32 s9, 0xf000
	s_waitcnt vmcnt(1)
	v_lshlrev_b32_e32 v17, 2, v17
	s_waitcnt vmcnt(0)
	v_lshlrev_b32_e32 v27, 2, v27
	ds_read_b32 v17, v17
	ds_read_b32 v27, v27
	s_waitcnt lgkmcnt(1)
	v_add_u32_e32 v17, v0, v17
	v_lshlrev_b64 v[31:32], 3, v[17:18]
	s_waitcnt lgkmcnt(0)
	v_add3_u32 v17, v0, v27, s10
	v_lshlrev_b64 v[39:40], 3, v[17:18]
	v_add_co_u32_e32 v31, vcc, s42, v31
	v_addc_co_u32_e32 v32, vcc, v22, v32, vcc
	global_store_dwordx2 v[31:32], v[35:36], off
	v_add_co_u32_e32 v31, vcc, s42, v39
	v_add_u32_e32 v0, 0x400, v0
	v_addc_co_u32_e32 v32, vcc, v22, v40, vcc
	global_store_dwordx2 v[31:32], v[37:38], off
	s_waitcnt vmcnt(0)
	s_barrier
	s_cbranch_scc1 .LBB1882_128
; %bb.129:
	s_add_i32 s7, s7, -1
	s_cmp_eq_u32 s6, s7
	s_cselect_b64 s[6:7], -1, 0
	s_xor_b64 s[4:5], s[4:5], -1
	s_and_b64 s[4:5], s[4:5], s[6:7]
	s_and_saveexec_b64 s[6:7], s[4:5]
	s_cbranch_execz .LBB1882_131
; %bb.130:
	ds_read_b32 v0, v24
	s_waitcnt lgkmcnt(0)
	v_add3_u32 v0, v19, v25, v0
	global_store_dword v24, v0, s[30:31]
.LBB1882_131:
	s_endpgm
	.section	.rodata,"a",@progbits
	.p2align	6, 0x0
	.amdhsa_kernel _ZN7rocprim17ROCPRIM_400000_NS6detail17trampoline_kernelINS0_14default_configENS1_35radix_sort_onesweep_config_selectorIflEEZZNS1_29radix_sort_onesweep_iterationIS3_Lb0EPfS7_N6thrust23THRUST_200600_302600_NS10device_ptrIlEESB_jNS0_19identity_decomposerENS1_16block_id_wrapperIjLb0EEEEE10hipError_tT1_PNSt15iterator_traitsISG_E10value_typeET2_T3_PNSH_ISM_E10value_typeET4_T5_PSR_SS_PNS1_23onesweep_lookback_stateEbbT6_jjT7_P12ihipStream_tbENKUlT_T0_SG_SL_E_clIS7_S7_PlSB_EEDaSZ_S10_SG_SL_EUlSZ_E_NS1_11comp_targetILNS1_3genE2ELNS1_11target_archE906ELNS1_3gpuE6ELNS1_3repE0EEENS1_47radix_sort_onesweep_sort_config_static_selectorELNS0_4arch9wavefront6targetE1EEEvSG_
		.amdhsa_group_segment_fixed_size 10280
		.amdhsa_private_segment_fixed_size 48
		.amdhsa_kernarg_size 344
		.amdhsa_user_sgpr_count 6
		.amdhsa_user_sgpr_private_segment_buffer 1
		.amdhsa_user_sgpr_dispatch_ptr 0
		.amdhsa_user_sgpr_queue_ptr 0
		.amdhsa_user_sgpr_kernarg_segment_ptr 1
		.amdhsa_user_sgpr_dispatch_id 0
		.amdhsa_user_sgpr_flat_scratch_init 0
		.amdhsa_user_sgpr_private_segment_size 0
		.amdhsa_uses_dynamic_stack 0
		.amdhsa_system_sgpr_private_segment_wavefront_offset 1
		.amdhsa_system_sgpr_workgroup_id_x 1
		.amdhsa_system_sgpr_workgroup_id_y 0
		.amdhsa_system_sgpr_workgroup_id_z 0
		.amdhsa_system_sgpr_workgroup_info 0
		.amdhsa_system_vgpr_workitem_id 2
		.amdhsa_next_free_vgpr 58
		.amdhsa_next_free_sgpr 57
		.amdhsa_reserve_vcc 1
		.amdhsa_reserve_flat_scratch 0
		.amdhsa_float_round_mode_32 0
		.amdhsa_float_round_mode_16_64 0
		.amdhsa_float_denorm_mode_32 3
		.amdhsa_float_denorm_mode_16_64 3
		.amdhsa_dx10_clamp 1
		.amdhsa_ieee_mode 1
		.amdhsa_fp16_overflow 0
		.amdhsa_exception_fp_ieee_invalid_op 0
		.amdhsa_exception_fp_denorm_src 0
		.amdhsa_exception_fp_ieee_div_zero 0
		.amdhsa_exception_fp_ieee_overflow 0
		.amdhsa_exception_fp_ieee_underflow 0
		.amdhsa_exception_fp_ieee_inexact 0
		.amdhsa_exception_int_div_zero 0
	.end_amdhsa_kernel
	.section	.text._ZN7rocprim17ROCPRIM_400000_NS6detail17trampoline_kernelINS0_14default_configENS1_35radix_sort_onesweep_config_selectorIflEEZZNS1_29radix_sort_onesweep_iterationIS3_Lb0EPfS7_N6thrust23THRUST_200600_302600_NS10device_ptrIlEESB_jNS0_19identity_decomposerENS1_16block_id_wrapperIjLb0EEEEE10hipError_tT1_PNSt15iterator_traitsISG_E10value_typeET2_T3_PNSH_ISM_E10value_typeET4_T5_PSR_SS_PNS1_23onesweep_lookback_stateEbbT6_jjT7_P12ihipStream_tbENKUlT_T0_SG_SL_E_clIS7_S7_PlSB_EEDaSZ_S10_SG_SL_EUlSZ_E_NS1_11comp_targetILNS1_3genE2ELNS1_11target_archE906ELNS1_3gpuE6ELNS1_3repE0EEENS1_47radix_sort_onesweep_sort_config_static_selectorELNS0_4arch9wavefront6targetE1EEEvSG_,"axG",@progbits,_ZN7rocprim17ROCPRIM_400000_NS6detail17trampoline_kernelINS0_14default_configENS1_35radix_sort_onesweep_config_selectorIflEEZZNS1_29radix_sort_onesweep_iterationIS3_Lb0EPfS7_N6thrust23THRUST_200600_302600_NS10device_ptrIlEESB_jNS0_19identity_decomposerENS1_16block_id_wrapperIjLb0EEEEE10hipError_tT1_PNSt15iterator_traitsISG_E10value_typeET2_T3_PNSH_ISM_E10value_typeET4_T5_PSR_SS_PNS1_23onesweep_lookback_stateEbbT6_jjT7_P12ihipStream_tbENKUlT_T0_SG_SL_E_clIS7_S7_PlSB_EEDaSZ_S10_SG_SL_EUlSZ_E_NS1_11comp_targetILNS1_3genE2ELNS1_11target_archE906ELNS1_3gpuE6ELNS1_3repE0EEENS1_47radix_sort_onesweep_sort_config_static_selectorELNS0_4arch9wavefront6targetE1EEEvSG_,comdat
.Lfunc_end1882:
	.size	_ZN7rocprim17ROCPRIM_400000_NS6detail17trampoline_kernelINS0_14default_configENS1_35radix_sort_onesweep_config_selectorIflEEZZNS1_29radix_sort_onesweep_iterationIS3_Lb0EPfS7_N6thrust23THRUST_200600_302600_NS10device_ptrIlEESB_jNS0_19identity_decomposerENS1_16block_id_wrapperIjLb0EEEEE10hipError_tT1_PNSt15iterator_traitsISG_E10value_typeET2_T3_PNSH_ISM_E10value_typeET4_T5_PSR_SS_PNS1_23onesweep_lookback_stateEbbT6_jjT7_P12ihipStream_tbENKUlT_T0_SG_SL_E_clIS7_S7_PlSB_EEDaSZ_S10_SG_SL_EUlSZ_E_NS1_11comp_targetILNS1_3genE2ELNS1_11target_archE906ELNS1_3gpuE6ELNS1_3repE0EEENS1_47radix_sort_onesweep_sort_config_static_selectorELNS0_4arch9wavefront6targetE1EEEvSG_, .Lfunc_end1882-_ZN7rocprim17ROCPRIM_400000_NS6detail17trampoline_kernelINS0_14default_configENS1_35radix_sort_onesweep_config_selectorIflEEZZNS1_29radix_sort_onesweep_iterationIS3_Lb0EPfS7_N6thrust23THRUST_200600_302600_NS10device_ptrIlEESB_jNS0_19identity_decomposerENS1_16block_id_wrapperIjLb0EEEEE10hipError_tT1_PNSt15iterator_traitsISG_E10value_typeET2_T3_PNSH_ISM_E10value_typeET4_T5_PSR_SS_PNS1_23onesweep_lookback_stateEbbT6_jjT7_P12ihipStream_tbENKUlT_T0_SG_SL_E_clIS7_S7_PlSB_EEDaSZ_S10_SG_SL_EUlSZ_E_NS1_11comp_targetILNS1_3genE2ELNS1_11target_archE906ELNS1_3gpuE6ELNS1_3repE0EEENS1_47radix_sort_onesweep_sort_config_static_selectorELNS0_4arch9wavefront6targetE1EEEvSG_
                                        ; -- End function
	.set _ZN7rocprim17ROCPRIM_400000_NS6detail17trampoline_kernelINS0_14default_configENS1_35radix_sort_onesweep_config_selectorIflEEZZNS1_29radix_sort_onesweep_iterationIS3_Lb0EPfS7_N6thrust23THRUST_200600_302600_NS10device_ptrIlEESB_jNS0_19identity_decomposerENS1_16block_id_wrapperIjLb0EEEEE10hipError_tT1_PNSt15iterator_traitsISG_E10value_typeET2_T3_PNSH_ISM_E10value_typeET4_T5_PSR_SS_PNS1_23onesweep_lookback_stateEbbT6_jjT7_P12ihipStream_tbENKUlT_T0_SG_SL_E_clIS7_S7_PlSB_EEDaSZ_S10_SG_SL_EUlSZ_E_NS1_11comp_targetILNS1_3genE2ELNS1_11target_archE906ELNS1_3gpuE6ELNS1_3repE0EEENS1_47radix_sort_onesweep_sort_config_static_selectorELNS0_4arch9wavefront6targetE1EEEvSG_.num_vgpr, 58
	.set _ZN7rocprim17ROCPRIM_400000_NS6detail17trampoline_kernelINS0_14default_configENS1_35radix_sort_onesweep_config_selectorIflEEZZNS1_29radix_sort_onesweep_iterationIS3_Lb0EPfS7_N6thrust23THRUST_200600_302600_NS10device_ptrIlEESB_jNS0_19identity_decomposerENS1_16block_id_wrapperIjLb0EEEEE10hipError_tT1_PNSt15iterator_traitsISG_E10value_typeET2_T3_PNSH_ISM_E10value_typeET4_T5_PSR_SS_PNS1_23onesweep_lookback_stateEbbT6_jjT7_P12ihipStream_tbENKUlT_T0_SG_SL_E_clIS7_S7_PlSB_EEDaSZ_S10_SG_SL_EUlSZ_E_NS1_11comp_targetILNS1_3genE2ELNS1_11target_archE906ELNS1_3gpuE6ELNS1_3repE0EEENS1_47radix_sort_onesweep_sort_config_static_selectorELNS0_4arch9wavefront6targetE1EEEvSG_.num_agpr, 0
	.set _ZN7rocprim17ROCPRIM_400000_NS6detail17trampoline_kernelINS0_14default_configENS1_35radix_sort_onesweep_config_selectorIflEEZZNS1_29radix_sort_onesweep_iterationIS3_Lb0EPfS7_N6thrust23THRUST_200600_302600_NS10device_ptrIlEESB_jNS0_19identity_decomposerENS1_16block_id_wrapperIjLb0EEEEE10hipError_tT1_PNSt15iterator_traitsISG_E10value_typeET2_T3_PNSH_ISM_E10value_typeET4_T5_PSR_SS_PNS1_23onesweep_lookback_stateEbbT6_jjT7_P12ihipStream_tbENKUlT_T0_SG_SL_E_clIS7_S7_PlSB_EEDaSZ_S10_SG_SL_EUlSZ_E_NS1_11comp_targetILNS1_3genE2ELNS1_11target_archE906ELNS1_3gpuE6ELNS1_3repE0EEENS1_47radix_sort_onesweep_sort_config_static_selectorELNS0_4arch9wavefront6targetE1EEEvSG_.numbered_sgpr, 57
	.set _ZN7rocprim17ROCPRIM_400000_NS6detail17trampoline_kernelINS0_14default_configENS1_35radix_sort_onesweep_config_selectorIflEEZZNS1_29radix_sort_onesweep_iterationIS3_Lb0EPfS7_N6thrust23THRUST_200600_302600_NS10device_ptrIlEESB_jNS0_19identity_decomposerENS1_16block_id_wrapperIjLb0EEEEE10hipError_tT1_PNSt15iterator_traitsISG_E10value_typeET2_T3_PNSH_ISM_E10value_typeET4_T5_PSR_SS_PNS1_23onesweep_lookback_stateEbbT6_jjT7_P12ihipStream_tbENKUlT_T0_SG_SL_E_clIS7_S7_PlSB_EEDaSZ_S10_SG_SL_EUlSZ_E_NS1_11comp_targetILNS1_3genE2ELNS1_11target_archE906ELNS1_3gpuE6ELNS1_3repE0EEENS1_47radix_sort_onesweep_sort_config_static_selectorELNS0_4arch9wavefront6targetE1EEEvSG_.num_named_barrier, 0
	.set _ZN7rocprim17ROCPRIM_400000_NS6detail17trampoline_kernelINS0_14default_configENS1_35radix_sort_onesweep_config_selectorIflEEZZNS1_29radix_sort_onesweep_iterationIS3_Lb0EPfS7_N6thrust23THRUST_200600_302600_NS10device_ptrIlEESB_jNS0_19identity_decomposerENS1_16block_id_wrapperIjLb0EEEEE10hipError_tT1_PNSt15iterator_traitsISG_E10value_typeET2_T3_PNSH_ISM_E10value_typeET4_T5_PSR_SS_PNS1_23onesweep_lookback_stateEbbT6_jjT7_P12ihipStream_tbENKUlT_T0_SG_SL_E_clIS7_S7_PlSB_EEDaSZ_S10_SG_SL_EUlSZ_E_NS1_11comp_targetILNS1_3genE2ELNS1_11target_archE906ELNS1_3gpuE6ELNS1_3repE0EEENS1_47radix_sort_onesweep_sort_config_static_selectorELNS0_4arch9wavefront6targetE1EEEvSG_.private_seg_size, 48
	.set _ZN7rocprim17ROCPRIM_400000_NS6detail17trampoline_kernelINS0_14default_configENS1_35radix_sort_onesweep_config_selectorIflEEZZNS1_29radix_sort_onesweep_iterationIS3_Lb0EPfS7_N6thrust23THRUST_200600_302600_NS10device_ptrIlEESB_jNS0_19identity_decomposerENS1_16block_id_wrapperIjLb0EEEEE10hipError_tT1_PNSt15iterator_traitsISG_E10value_typeET2_T3_PNSH_ISM_E10value_typeET4_T5_PSR_SS_PNS1_23onesweep_lookback_stateEbbT6_jjT7_P12ihipStream_tbENKUlT_T0_SG_SL_E_clIS7_S7_PlSB_EEDaSZ_S10_SG_SL_EUlSZ_E_NS1_11comp_targetILNS1_3genE2ELNS1_11target_archE906ELNS1_3gpuE6ELNS1_3repE0EEENS1_47radix_sort_onesweep_sort_config_static_selectorELNS0_4arch9wavefront6targetE1EEEvSG_.uses_vcc, 1
	.set _ZN7rocprim17ROCPRIM_400000_NS6detail17trampoline_kernelINS0_14default_configENS1_35radix_sort_onesweep_config_selectorIflEEZZNS1_29radix_sort_onesweep_iterationIS3_Lb0EPfS7_N6thrust23THRUST_200600_302600_NS10device_ptrIlEESB_jNS0_19identity_decomposerENS1_16block_id_wrapperIjLb0EEEEE10hipError_tT1_PNSt15iterator_traitsISG_E10value_typeET2_T3_PNSH_ISM_E10value_typeET4_T5_PSR_SS_PNS1_23onesweep_lookback_stateEbbT6_jjT7_P12ihipStream_tbENKUlT_T0_SG_SL_E_clIS7_S7_PlSB_EEDaSZ_S10_SG_SL_EUlSZ_E_NS1_11comp_targetILNS1_3genE2ELNS1_11target_archE906ELNS1_3gpuE6ELNS1_3repE0EEENS1_47radix_sort_onesweep_sort_config_static_selectorELNS0_4arch9wavefront6targetE1EEEvSG_.uses_flat_scratch, 0
	.set _ZN7rocprim17ROCPRIM_400000_NS6detail17trampoline_kernelINS0_14default_configENS1_35radix_sort_onesweep_config_selectorIflEEZZNS1_29radix_sort_onesweep_iterationIS3_Lb0EPfS7_N6thrust23THRUST_200600_302600_NS10device_ptrIlEESB_jNS0_19identity_decomposerENS1_16block_id_wrapperIjLb0EEEEE10hipError_tT1_PNSt15iterator_traitsISG_E10value_typeET2_T3_PNSH_ISM_E10value_typeET4_T5_PSR_SS_PNS1_23onesweep_lookback_stateEbbT6_jjT7_P12ihipStream_tbENKUlT_T0_SG_SL_E_clIS7_S7_PlSB_EEDaSZ_S10_SG_SL_EUlSZ_E_NS1_11comp_targetILNS1_3genE2ELNS1_11target_archE906ELNS1_3gpuE6ELNS1_3repE0EEENS1_47radix_sort_onesweep_sort_config_static_selectorELNS0_4arch9wavefront6targetE1EEEvSG_.has_dyn_sized_stack, 0
	.set _ZN7rocprim17ROCPRIM_400000_NS6detail17trampoline_kernelINS0_14default_configENS1_35radix_sort_onesweep_config_selectorIflEEZZNS1_29radix_sort_onesweep_iterationIS3_Lb0EPfS7_N6thrust23THRUST_200600_302600_NS10device_ptrIlEESB_jNS0_19identity_decomposerENS1_16block_id_wrapperIjLb0EEEEE10hipError_tT1_PNSt15iterator_traitsISG_E10value_typeET2_T3_PNSH_ISM_E10value_typeET4_T5_PSR_SS_PNS1_23onesweep_lookback_stateEbbT6_jjT7_P12ihipStream_tbENKUlT_T0_SG_SL_E_clIS7_S7_PlSB_EEDaSZ_S10_SG_SL_EUlSZ_E_NS1_11comp_targetILNS1_3genE2ELNS1_11target_archE906ELNS1_3gpuE6ELNS1_3repE0EEENS1_47radix_sort_onesweep_sort_config_static_selectorELNS0_4arch9wavefront6targetE1EEEvSG_.has_recursion, 0
	.set _ZN7rocprim17ROCPRIM_400000_NS6detail17trampoline_kernelINS0_14default_configENS1_35radix_sort_onesweep_config_selectorIflEEZZNS1_29radix_sort_onesweep_iterationIS3_Lb0EPfS7_N6thrust23THRUST_200600_302600_NS10device_ptrIlEESB_jNS0_19identity_decomposerENS1_16block_id_wrapperIjLb0EEEEE10hipError_tT1_PNSt15iterator_traitsISG_E10value_typeET2_T3_PNSH_ISM_E10value_typeET4_T5_PSR_SS_PNS1_23onesweep_lookback_stateEbbT6_jjT7_P12ihipStream_tbENKUlT_T0_SG_SL_E_clIS7_S7_PlSB_EEDaSZ_S10_SG_SL_EUlSZ_E_NS1_11comp_targetILNS1_3genE2ELNS1_11target_archE906ELNS1_3gpuE6ELNS1_3repE0EEENS1_47radix_sort_onesweep_sort_config_static_selectorELNS0_4arch9wavefront6targetE1EEEvSG_.has_indirect_call, 0
	.section	.AMDGPU.csdata,"",@progbits
; Kernel info:
; codeLenInByte = 12256
; TotalNumSgprs: 61
; NumVgprs: 58
; ScratchSize: 48
; MemoryBound: 0
; FloatMode: 240
; IeeeMode: 1
; LDSByteSize: 10280 bytes/workgroup (compile time only)
; SGPRBlocks: 7
; VGPRBlocks: 14
; NumSGPRsForWavesPerEU: 61
; NumVGPRsForWavesPerEU: 58
; Occupancy: 4
; WaveLimiterHint : 1
; COMPUTE_PGM_RSRC2:SCRATCH_EN: 1
; COMPUTE_PGM_RSRC2:USER_SGPR: 6
; COMPUTE_PGM_RSRC2:TRAP_HANDLER: 0
; COMPUTE_PGM_RSRC2:TGID_X_EN: 1
; COMPUTE_PGM_RSRC2:TGID_Y_EN: 0
; COMPUTE_PGM_RSRC2:TGID_Z_EN: 0
; COMPUTE_PGM_RSRC2:TIDIG_COMP_CNT: 2
	.section	.text._ZN7rocprim17ROCPRIM_400000_NS6detail17trampoline_kernelINS0_14default_configENS1_35radix_sort_onesweep_config_selectorIflEEZZNS1_29radix_sort_onesweep_iterationIS3_Lb0EPfS7_N6thrust23THRUST_200600_302600_NS10device_ptrIlEESB_jNS0_19identity_decomposerENS1_16block_id_wrapperIjLb0EEEEE10hipError_tT1_PNSt15iterator_traitsISG_E10value_typeET2_T3_PNSH_ISM_E10value_typeET4_T5_PSR_SS_PNS1_23onesweep_lookback_stateEbbT6_jjT7_P12ihipStream_tbENKUlT_T0_SG_SL_E_clIS7_S7_PlSB_EEDaSZ_S10_SG_SL_EUlSZ_E_NS1_11comp_targetILNS1_3genE4ELNS1_11target_archE910ELNS1_3gpuE8ELNS1_3repE0EEENS1_47radix_sort_onesweep_sort_config_static_selectorELNS0_4arch9wavefront6targetE1EEEvSG_,"axG",@progbits,_ZN7rocprim17ROCPRIM_400000_NS6detail17trampoline_kernelINS0_14default_configENS1_35radix_sort_onesweep_config_selectorIflEEZZNS1_29radix_sort_onesweep_iterationIS3_Lb0EPfS7_N6thrust23THRUST_200600_302600_NS10device_ptrIlEESB_jNS0_19identity_decomposerENS1_16block_id_wrapperIjLb0EEEEE10hipError_tT1_PNSt15iterator_traitsISG_E10value_typeET2_T3_PNSH_ISM_E10value_typeET4_T5_PSR_SS_PNS1_23onesweep_lookback_stateEbbT6_jjT7_P12ihipStream_tbENKUlT_T0_SG_SL_E_clIS7_S7_PlSB_EEDaSZ_S10_SG_SL_EUlSZ_E_NS1_11comp_targetILNS1_3genE4ELNS1_11target_archE910ELNS1_3gpuE8ELNS1_3repE0EEENS1_47radix_sort_onesweep_sort_config_static_selectorELNS0_4arch9wavefront6targetE1EEEvSG_,comdat
	.protected	_ZN7rocprim17ROCPRIM_400000_NS6detail17trampoline_kernelINS0_14default_configENS1_35radix_sort_onesweep_config_selectorIflEEZZNS1_29radix_sort_onesweep_iterationIS3_Lb0EPfS7_N6thrust23THRUST_200600_302600_NS10device_ptrIlEESB_jNS0_19identity_decomposerENS1_16block_id_wrapperIjLb0EEEEE10hipError_tT1_PNSt15iterator_traitsISG_E10value_typeET2_T3_PNSH_ISM_E10value_typeET4_T5_PSR_SS_PNS1_23onesweep_lookback_stateEbbT6_jjT7_P12ihipStream_tbENKUlT_T0_SG_SL_E_clIS7_S7_PlSB_EEDaSZ_S10_SG_SL_EUlSZ_E_NS1_11comp_targetILNS1_3genE4ELNS1_11target_archE910ELNS1_3gpuE8ELNS1_3repE0EEENS1_47radix_sort_onesweep_sort_config_static_selectorELNS0_4arch9wavefront6targetE1EEEvSG_ ; -- Begin function _ZN7rocprim17ROCPRIM_400000_NS6detail17trampoline_kernelINS0_14default_configENS1_35radix_sort_onesweep_config_selectorIflEEZZNS1_29radix_sort_onesweep_iterationIS3_Lb0EPfS7_N6thrust23THRUST_200600_302600_NS10device_ptrIlEESB_jNS0_19identity_decomposerENS1_16block_id_wrapperIjLb0EEEEE10hipError_tT1_PNSt15iterator_traitsISG_E10value_typeET2_T3_PNSH_ISM_E10value_typeET4_T5_PSR_SS_PNS1_23onesweep_lookback_stateEbbT6_jjT7_P12ihipStream_tbENKUlT_T0_SG_SL_E_clIS7_S7_PlSB_EEDaSZ_S10_SG_SL_EUlSZ_E_NS1_11comp_targetILNS1_3genE4ELNS1_11target_archE910ELNS1_3gpuE8ELNS1_3repE0EEENS1_47radix_sort_onesweep_sort_config_static_selectorELNS0_4arch9wavefront6targetE1EEEvSG_
	.globl	_ZN7rocprim17ROCPRIM_400000_NS6detail17trampoline_kernelINS0_14default_configENS1_35radix_sort_onesweep_config_selectorIflEEZZNS1_29radix_sort_onesweep_iterationIS3_Lb0EPfS7_N6thrust23THRUST_200600_302600_NS10device_ptrIlEESB_jNS0_19identity_decomposerENS1_16block_id_wrapperIjLb0EEEEE10hipError_tT1_PNSt15iterator_traitsISG_E10value_typeET2_T3_PNSH_ISM_E10value_typeET4_T5_PSR_SS_PNS1_23onesweep_lookback_stateEbbT6_jjT7_P12ihipStream_tbENKUlT_T0_SG_SL_E_clIS7_S7_PlSB_EEDaSZ_S10_SG_SL_EUlSZ_E_NS1_11comp_targetILNS1_3genE4ELNS1_11target_archE910ELNS1_3gpuE8ELNS1_3repE0EEENS1_47radix_sort_onesweep_sort_config_static_selectorELNS0_4arch9wavefront6targetE1EEEvSG_
	.p2align	8
	.type	_ZN7rocprim17ROCPRIM_400000_NS6detail17trampoline_kernelINS0_14default_configENS1_35radix_sort_onesweep_config_selectorIflEEZZNS1_29radix_sort_onesweep_iterationIS3_Lb0EPfS7_N6thrust23THRUST_200600_302600_NS10device_ptrIlEESB_jNS0_19identity_decomposerENS1_16block_id_wrapperIjLb0EEEEE10hipError_tT1_PNSt15iterator_traitsISG_E10value_typeET2_T3_PNSH_ISM_E10value_typeET4_T5_PSR_SS_PNS1_23onesweep_lookback_stateEbbT6_jjT7_P12ihipStream_tbENKUlT_T0_SG_SL_E_clIS7_S7_PlSB_EEDaSZ_S10_SG_SL_EUlSZ_E_NS1_11comp_targetILNS1_3genE4ELNS1_11target_archE910ELNS1_3gpuE8ELNS1_3repE0EEENS1_47radix_sort_onesweep_sort_config_static_selectorELNS0_4arch9wavefront6targetE1EEEvSG_,@function
_ZN7rocprim17ROCPRIM_400000_NS6detail17trampoline_kernelINS0_14default_configENS1_35radix_sort_onesweep_config_selectorIflEEZZNS1_29radix_sort_onesweep_iterationIS3_Lb0EPfS7_N6thrust23THRUST_200600_302600_NS10device_ptrIlEESB_jNS0_19identity_decomposerENS1_16block_id_wrapperIjLb0EEEEE10hipError_tT1_PNSt15iterator_traitsISG_E10value_typeET2_T3_PNSH_ISM_E10value_typeET4_T5_PSR_SS_PNS1_23onesweep_lookback_stateEbbT6_jjT7_P12ihipStream_tbENKUlT_T0_SG_SL_E_clIS7_S7_PlSB_EEDaSZ_S10_SG_SL_EUlSZ_E_NS1_11comp_targetILNS1_3genE4ELNS1_11target_archE910ELNS1_3gpuE8ELNS1_3repE0EEENS1_47radix_sort_onesweep_sort_config_static_selectorELNS0_4arch9wavefront6targetE1EEEvSG_: ; @_ZN7rocprim17ROCPRIM_400000_NS6detail17trampoline_kernelINS0_14default_configENS1_35radix_sort_onesweep_config_selectorIflEEZZNS1_29radix_sort_onesweep_iterationIS3_Lb0EPfS7_N6thrust23THRUST_200600_302600_NS10device_ptrIlEESB_jNS0_19identity_decomposerENS1_16block_id_wrapperIjLb0EEEEE10hipError_tT1_PNSt15iterator_traitsISG_E10value_typeET2_T3_PNSH_ISM_E10value_typeET4_T5_PSR_SS_PNS1_23onesweep_lookback_stateEbbT6_jjT7_P12ihipStream_tbENKUlT_T0_SG_SL_E_clIS7_S7_PlSB_EEDaSZ_S10_SG_SL_EUlSZ_E_NS1_11comp_targetILNS1_3genE4ELNS1_11target_archE910ELNS1_3gpuE8ELNS1_3repE0EEENS1_47radix_sort_onesweep_sort_config_static_selectorELNS0_4arch9wavefront6targetE1EEEvSG_
; %bb.0:
	.section	.rodata,"a",@progbits
	.p2align	6, 0x0
	.amdhsa_kernel _ZN7rocprim17ROCPRIM_400000_NS6detail17trampoline_kernelINS0_14default_configENS1_35radix_sort_onesweep_config_selectorIflEEZZNS1_29radix_sort_onesweep_iterationIS3_Lb0EPfS7_N6thrust23THRUST_200600_302600_NS10device_ptrIlEESB_jNS0_19identity_decomposerENS1_16block_id_wrapperIjLb0EEEEE10hipError_tT1_PNSt15iterator_traitsISG_E10value_typeET2_T3_PNSH_ISM_E10value_typeET4_T5_PSR_SS_PNS1_23onesweep_lookback_stateEbbT6_jjT7_P12ihipStream_tbENKUlT_T0_SG_SL_E_clIS7_S7_PlSB_EEDaSZ_S10_SG_SL_EUlSZ_E_NS1_11comp_targetILNS1_3genE4ELNS1_11target_archE910ELNS1_3gpuE8ELNS1_3repE0EEENS1_47radix_sort_onesweep_sort_config_static_selectorELNS0_4arch9wavefront6targetE1EEEvSG_
		.amdhsa_group_segment_fixed_size 0
		.amdhsa_private_segment_fixed_size 0
		.amdhsa_kernarg_size 88
		.amdhsa_user_sgpr_count 6
		.amdhsa_user_sgpr_private_segment_buffer 1
		.amdhsa_user_sgpr_dispatch_ptr 0
		.amdhsa_user_sgpr_queue_ptr 0
		.amdhsa_user_sgpr_kernarg_segment_ptr 1
		.amdhsa_user_sgpr_dispatch_id 0
		.amdhsa_user_sgpr_flat_scratch_init 0
		.amdhsa_user_sgpr_private_segment_size 0
		.amdhsa_uses_dynamic_stack 0
		.amdhsa_system_sgpr_private_segment_wavefront_offset 0
		.amdhsa_system_sgpr_workgroup_id_x 1
		.amdhsa_system_sgpr_workgroup_id_y 0
		.amdhsa_system_sgpr_workgroup_id_z 0
		.amdhsa_system_sgpr_workgroup_info 0
		.amdhsa_system_vgpr_workitem_id 0
		.amdhsa_next_free_vgpr 1
		.amdhsa_next_free_sgpr 0
		.amdhsa_reserve_vcc 0
		.amdhsa_reserve_flat_scratch 0
		.amdhsa_float_round_mode_32 0
		.amdhsa_float_round_mode_16_64 0
		.amdhsa_float_denorm_mode_32 3
		.amdhsa_float_denorm_mode_16_64 3
		.amdhsa_dx10_clamp 1
		.amdhsa_ieee_mode 1
		.amdhsa_fp16_overflow 0
		.amdhsa_exception_fp_ieee_invalid_op 0
		.amdhsa_exception_fp_denorm_src 0
		.amdhsa_exception_fp_ieee_div_zero 0
		.amdhsa_exception_fp_ieee_overflow 0
		.amdhsa_exception_fp_ieee_underflow 0
		.amdhsa_exception_fp_ieee_inexact 0
		.amdhsa_exception_int_div_zero 0
	.end_amdhsa_kernel
	.section	.text._ZN7rocprim17ROCPRIM_400000_NS6detail17trampoline_kernelINS0_14default_configENS1_35radix_sort_onesweep_config_selectorIflEEZZNS1_29radix_sort_onesweep_iterationIS3_Lb0EPfS7_N6thrust23THRUST_200600_302600_NS10device_ptrIlEESB_jNS0_19identity_decomposerENS1_16block_id_wrapperIjLb0EEEEE10hipError_tT1_PNSt15iterator_traitsISG_E10value_typeET2_T3_PNSH_ISM_E10value_typeET4_T5_PSR_SS_PNS1_23onesweep_lookback_stateEbbT6_jjT7_P12ihipStream_tbENKUlT_T0_SG_SL_E_clIS7_S7_PlSB_EEDaSZ_S10_SG_SL_EUlSZ_E_NS1_11comp_targetILNS1_3genE4ELNS1_11target_archE910ELNS1_3gpuE8ELNS1_3repE0EEENS1_47radix_sort_onesweep_sort_config_static_selectorELNS0_4arch9wavefront6targetE1EEEvSG_,"axG",@progbits,_ZN7rocprim17ROCPRIM_400000_NS6detail17trampoline_kernelINS0_14default_configENS1_35radix_sort_onesweep_config_selectorIflEEZZNS1_29radix_sort_onesweep_iterationIS3_Lb0EPfS7_N6thrust23THRUST_200600_302600_NS10device_ptrIlEESB_jNS0_19identity_decomposerENS1_16block_id_wrapperIjLb0EEEEE10hipError_tT1_PNSt15iterator_traitsISG_E10value_typeET2_T3_PNSH_ISM_E10value_typeET4_T5_PSR_SS_PNS1_23onesweep_lookback_stateEbbT6_jjT7_P12ihipStream_tbENKUlT_T0_SG_SL_E_clIS7_S7_PlSB_EEDaSZ_S10_SG_SL_EUlSZ_E_NS1_11comp_targetILNS1_3genE4ELNS1_11target_archE910ELNS1_3gpuE8ELNS1_3repE0EEENS1_47radix_sort_onesweep_sort_config_static_selectorELNS0_4arch9wavefront6targetE1EEEvSG_,comdat
.Lfunc_end1883:
	.size	_ZN7rocprim17ROCPRIM_400000_NS6detail17trampoline_kernelINS0_14default_configENS1_35radix_sort_onesweep_config_selectorIflEEZZNS1_29radix_sort_onesweep_iterationIS3_Lb0EPfS7_N6thrust23THRUST_200600_302600_NS10device_ptrIlEESB_jNS0_19identity_decomposerENS1_16block_id_wrapperIjLb0EEEEE10hipError_tT1_PNSt15iterator_traitsISG_E10value_typeET2_T3_PNSH_ISM_E10value_typeET4_T5_PSR_SS_PNS1_23onesweep_lookback_stateEbbT6_jjT7_P12ihipStream_tbENKUlT_T0_SG_SL_E_clIS7_S7_PlSB_EEDaSZ_S10_SG_SL_EUlSZ_E_NS1_11comp_targetILNS1_3genE4ELNS1_11target_archE910ELNS1_3gpuE8ELNS1_3repE0EEENS1_47radix_sort_onesweep_sort_config_static_selectorELNS0_4arch9wavefront6targetE1EEEvSG_, .Lfunc_end1883-_ZN7rocprim17ROCPRIM_400000_NS6detail17trampoline_kernelINS0_14default_configENS1_35radix_sort_onesweep_config_selectorIflEEZZNS1_29radix_sort_onesweep_iterationIS3_Lb0EPfS7_N6thrust23THRUST_200600_302600_NS10device_ptrIlEESB_jNS0_19identity_decomposerENS1_16block_id_wrapperIjLb0EEEEE10hipError_tT1_PNSt15iterator_traitsISG_E10value_typeET2_T3_PNSH_ISM_E10value_typeET4_T5_PSR_SS_PNS1_23onesweep_lookback_stateEbbT6_jjT7_P12ihipStream_tbENKUlT_T0_SG_SL_E_clIS7_S7_PlSB_EEDaSZ_S10_SG_SL_EUlSZ_E_NS1_11comp_targetILNS1_3genE4ELNS1_11target_archE910ELNS1_3gpuE8ELNS1_3repE0EEENS1_47radix_sort_onesweep_sort_config_static_selectorELNS0_4arch9wavefront6targetE1EEEvSG_
                                        ; -- End function
	.set _ZN7rocprim17ROCPRIM_400000_NS6detail17trampoline_kernelINS0_14default_configENS1_35radix_sort_onesweep_config_selectorIflEEZZNS1_29radix_sort_onesweep_iterationIS3_Lb0EPfS7_N6thrust23THRUST_200600_302600_NS10device_ptrIlEESB_jNS0_19identity_decomposerENS1_16block_id_wrapperIjLb0EEEEE10hipError_tT1_PNSt15iterator_traitsISG_E10value_typeET2_T3_PNSH_ISM_E10value_typeET4_T5_PSR_SS_PNS1_23onesweep_lookback_stateEbbT6_jjT7_P12ihipStream_tbENKUlT_T0_SG_SL_E_clIS7_S7_PlSB_EEDaSZ_S10_SG_SL_EUlSZ_E_NS1_11comp_targetILNS1_3genE4ELNS1_11target_archE910ELNS1_3gpuE8ELNS1_3repE0EEENS1_47radix_sort_onesweep_sort_config_static_selectorELNS0_4arch9wavefront6targetE1EEEvSG_.num_vgpr, 0
	.set _ZN7rocprim17ROCPRIM_400000_NS6detail17trampoline_kernelINS0_14default_configENS1_35radix_sort_onesweep_config_selectorIflEEZZNS1_29radix_sort_onesweep_iterationIS3_Lb0EPfS7_N6thrust23THRUST_200600_302600_NS10device_ptrIlEESB_jNS0_19identity_decomposerENS1_16block_id_wrapperIjLb0EEEEE10hipError_tT1_PNSt15iterator_traitsISG_E10value_typeET2_T3_PNSH_ISM_E10value_typeET4_T5_PSR_SS_PNS1_23onesweep_lookback_stateEbbT6_jjT7_P12ihipStream_tbENKUlT_T0_SG_SL_E_clIS7_S7_PlSB_EEDaSZ_S10_SG_SL_EUlSZ_E_NS1_11comp_targetILNS1_3genE4ELNS1_11target_archE910ELNS1_3gpuE8ELNS1_3repE0EEENS1_47radix_sort_onesweep_sort_config_static_selectorELNS0_4arch9wavefront6targetE1EEEvSG_.num_agpr, 0
	.set _ZN7rocprim17ROCPRIM_400000_NS6detail17trampoline_kernelINS0_14default_configENS1_35radix_sort_onesweep_config_selectorIflEEZZNS1_29radix_sort_onesweep_iterationIS3_Lb0EPfS7_N6thrust23THRUST_200600_302600_NS10device_ptrIlEESB_jNS0_19identity_decomposerENS1_16block_id_wrapperIjLb0EEEEE10hipError_tT1_PNSt15iterator_traitsISG_E10value_typeET2_T3_PNSH_ISM_E10value_typeET4_T5_PSR_SS_PNS1_23onesweep_lookback_stateEbbT6_jjT7_P12ihipStream_tbENKUlT_T0_SG_SL_E_clIS7_S7_PlSB_EEDaSZ_S10_SG_SL_EUlSZ_E_NS1_11comp_targetILNS1_3genE4ELNS1_11target_archE910ELNS1_3gpuE8ELNS1_3repE0EEENS1_47radix_sort_onesweep_sort_config_static_selectorELNS0_4arch9wavefront6targetE1EEEvSG_.numbered_sgpr, 0
	.set _ZN7rocprim17ROCPRIM_400000_NS6detail17trampoline_kernelINS0_14default_configENS1_35radix_sort_onesweep_config_selectorIflEEZZNS1_29radix_sort_onesweep_iterationIS3_Lb0EPfS7_N6thrust23THRUST_200600_302600_NS10device_ptrIlEESB_jNS0_19identity_decomposerENS1_16block_id_wrapperIjLb0EEEEE10hipError_tT1_PNSt15iterator_traitsISG_E10value_typeET2_T3_PNSH_ISM_E10value_typeET4_T5_PSR_SS_PNS1_23onesweep_lookback_stateEbbT6_jjT7_P12ihipStream_tbENKUlT_T0_SG_SL_E_clIS7_S7_PlSB_EEDaSZ_S10_SG_SL_EUlSZ_E_NS1_11comp_targetILNS1_3genE4ELNS1_11target_archE910ELNS1_3gpuE8ELNS1_3repE0EEENS1_47radix_sort_onesweep_sort_config_static_selectorELNS0_4arch9wavefront6targetE1EEEvSG_.num_named_barrier, 0
	.set _ZN7rocprim17ROCPRIM_400000_NS6detail17trampoline_kernelINS0_14default_configENS1_35radix_sort_onesweep_config_selectorIflEEZZNS1_29radix_sort_onesweep_iterationIS3_Lb0EPfS7_N6thrust23THRUST_200600_302600_NS10device_ptrIlEESB_jNS0_19identity_decomposerENS1_16block_id_wrapperIjLb0EEEEE10hipError_tT1_PNSt15iterator_traitsISG_E10value_typeET2_T3_PNSH_ISM_E10value_typeET4_T5_PSR_SS_PNS1_23onesweep_lookback_stateEbbT6_jjT7_P12ihipStream_tbENKUlT_T0_SG_SL_E_clIS7_S7_PlSB_EEDaSZ_S10_SG_SL_EUlSZ_E_NS1_11comp_targetILNS1_3genE4ELNS1_11target_archE910ELNS1_3gpuE8ELNS1_3repE0EEENS1_47radix_sort_onesweep_sort_config_static_selectorELNS0_4arch9wavefront6targetE1EEEvSG_.private_seg_size, 0
	.set _ZN7rocprim17ROCPRIM_400000_NS6detail17trampoline_kernelINS0_14default_configENS1_35radix_sort_onesweep_config_selectorIflEEZZNS1_29radix_sort_onesweep_iterationIS3_Lb0EPfS7_N6thrust23THRUST_200600_302600_NS10device_ptrIlEESB_jNS0_19identity_decomposerENS1_16block_id_wrapperIjLb0EEEEE10hipError_tT1_PNSt15iterator_traitsISG_E10value_typeET2_T3_PNSH_ISM_E10value_typeET4_T5_PSR_SS_PNS1_23onesweep_lookback_stateEbbT6_jjT7_P12ihipStream_tbENKUlT_T0_SG_SL_E_clIS7_S7_PlSB_EEDaSZ_S10_SG_SL_EUlSZ_E_NS1_11comp_targetILNS1_3genE4ELNS1_11target_archE910ELNS1_3gpuE8ELNS1_3repE0EEENS1_47radix_sort_onesweep_sort_config_static_selectorELNS0_4arch9wavefront6targetE1EEEvSG_.uses_vcc, 0
	.set _ZN7rocprim17ROCPRIM_400000_NS6detail17trampoline_kernelINS0_14default_configENS1_35radix_sort_onesweep_config_selectorIflEEZZNS1_29radix_sort_onesweep_iterationIS3_Lb0EPfS7_N6thrust23THRUST_200600_302600_NS10device_ptrIlEESB_jNS0_19identity_decomposerENS1_16block_id_wrapperIjLb0EEEEE10hipError_tT1_PNSt15iterator_traitsISG_E10value_typeET2_T3_PNSH_ISM_E10value_typeET4_T5_PSR_SS_PNS1_23onesweep_lookback_stateEbbT6_jjT7_P12ihipStream_tbENKUlT_T0_SG_SL_E_clIS7_S7_PlSB_EEDaSZ_S10_SG_SL_EUlSZ_E_NS1_11comp_targetILNS1_3genE4ELNS1_11target_archE910ELNS1_3gpuE8ELNS1_3repE0EEENS1_47radix_sort_onesweep_sort_config_static_selectorELNS0_4arch9wavefront6targetE1EEEvSG_.uses_flat_scratch, 0
	.set _ZN7rocprim17ROCPRIM_400000_NS6detail17trampoline_kernelINS0_14default_configENS1_35radix_sort_onesweep_config_selectorIflEEZZNS1_29radix_sort_onesweep_iterationIS3_Lb0EPfS7_N6thrust23THRUST_200600_302600_NS10device_ptrIlEESB_jNS0_19identity_decomposerENS1_16block_id_wrapperIjLb0EEEEE10hipError_tT1_PNSt15iterator_traitsISG_E10value_typeET2_T3_PNSH_ISM_E10value_typeET4_T5_PSR_SS_PNS1_23onesweep_lookback_stateEbbT6_jjT7_P12ihipStream_tbENKUlT_T0_SG_SL_E_clIS7_S7_PlSB_EEDaSZ_S10_SG_SL_EUlSZ_E_NS1_11comp_targetILNS1_3genE4ELNS1_11target_archE910ELNS1_3gpuE8ELNS1_3repE0EEENS1_47radix_sort_onesweep_sort_config_static_selectorELNS0_4arch9wavefront6targetE1EEEvSG_.has_dyn_sized_stack, 0
	.set _ZN7rocprim17ROCPRIM_400000_NS6detail17trampoline_kernelINS0_14default_configENS1_35radix_sort_onesweep_config_selectorIflEEZZNS1_29radix_sort_onesweep_iterationIS3_Lb0EPfS7_N6thrust23THRUST_200600_302600_NS10device_ptrIlEESB_jNS0_19identity_decomposerENS1_16block_id_wrapperIjLb0EEEEE10hipError_tT1_PNSt15iterator_traitsISG_E10value_typeET2_T3_PNSH_ISM_E10value_typeET4_T5_PSR_SS_PNS1_23onesweep_lookback_stateEbbT6_jjT7_P12ihipStream_tbENKUlT_T0_SG_SL_E_clIS7_S7_PlSB_EEDaSZ_S10_SG_SL_EUlSZ_E_NS1_11comp_targetILNS1_3genE4ELNS1_11target_archE910ELNS1_3gpuE8ELNS1_3repE0EEENS1_47radix_sort_onesweep_sort_config_static_selectorELNS0_4arch9wavefront6targetE1EEEvSG_.has_recursion, 0
	.set _ZN7rocprim17ROCPRIM_400000_NS6detail17trampoline_kernelINS0_14default_configENS1_35radix_sort_onesweep_config_selectorIflEEZZNS1_29radix_sort_onesweep_iterationIS3_Lb0EPfS7_N6thrust23THRUST_200600_302600_NS10device_ptrIlEESB_jNS0_19identity_decomposerENS1_16block_id_wrapperIjLb0EEEEE10hipError_tT1_PNSt15iterator_traitsISG_E10value_typeET2_T3_PNSH_ISM_E10value_typeET4_T5_PSR_SS_PNS1_23onesweep_lookback_stateEbbT6_jjT7_P12ihipStream_tbENKUlT_T0_SG_SL_E_clIS7_S7_PlSB_EEDaSZ_S10_SG_SL_EUlSZ_E_NS1_11comp_targetILNS1_3genE4ELNS1_11target_archE910ELNS1_3gpuE8ELNS1_3repE0EEENS1_47radix_sort_onesweep_sort_config_static_selectorELNS0_4arch9wavefront6targetE1EEEvSG_.has_indirect_call, 0
	.section	.AMDGPU.csdata,"",@progbits
; Kernel info:
; codeLenInByte = 0
; TotalNumSgprs: 4
; NumVgprs: 0
; ScratchSize: 0
; MemoryBound: 0
; FloatMode: 240
; IeeeMode: 1
; LDSByteSize: 0 bytes/workgroup (compile time only)
; SGPRBlocks: 0
; VGPRBlocks: 0
; NumSGPRsForWavesPerEU: 4
; NumVGPRsForWavesPerEU: 1
; Occupancy: 10
; WaveLimiterHint : 0
; COMPUTE_PGM_RSRC2:SCRATCH_EN: 0
; COMPUTE_PGM_RSRC2:USER_SGPR: 6
; COMPUTE_PGM_RSRC2:TRAP_HANDLER: 0
; COMPUTE_PGM_RSRC2:TGID_X_EN: 1
; COMPUTE_PGM_RSRC2:TGID_Y_EN: 0
; COMPUTE_PGM_RSRC2:TGID_Z_EN: 0
; COMPUTE_PGM_RSRC2:TIDIG_COMP_CNT: 0
	.section	.text._ZN7rocprim17ROCPRIM_400000_NS6detail17trampoline_kernelINS0_14default_configENS1_35radix_sort_onesweep_config_selectorIflEEZZNS1_29radix_sort_onesweep_iterationIS3_Lb0EPfS7_N6thrust23THRUST_200600_302600_NS10device_ptrIlEESB_jNS0_19identity_decomposerENS1_16block_id_wrapperIjLb0EEEEE10hipError_tT1_PNSt15iterator_traitsISG_E10value_typeET2_T3_PNSH_ISM_E10value_typeET4_T5_PSR_SS_PNS1_23onesweep_lookback_stateEbbT6_jjT7_P12ihipStream_tbENKUlT_T0_SG_SL_E_clIS7_S7_PlSB_EEDaSZ_S10_SG_SL_EUlSZ_E_NS1_11comp_targetILNS1_3genE3ELNS1_11target_archE908ELNS1_3gpuE7ELNS1_3repE0EEENS1_47radix_sort_onesweep_sort_config_static_selectorELNS0_4arch9wavefront6targetE1EEEvSG_,"axG",@progbits,_ZN7rocprim17ROCPRIM_400000_NS6detail17trampoline_kernelINS0_14default_configENS1_35radix_sort_onesweep_config_selectorIflEEZZNS1_29radix_sort_onesweep_iterationIS3_Lb0EPfS7_N6thrust23THRUST_200600_302600_NS10device_ptrIlEESB_jNS0_19identity_decomposerENS1_16block_id_wrapperIjLb0EEEEE10hipError_tT1_PNSt15iterator_traitsISG_E10value_typeET2_T3_PNSH_ISM_E10value_typeET4_T5_PSR_SS_PNS1_23onesweep_lookback_stateEbbT6_jjT7_P12ihipStream_tbENKUlT_T0_SG_SL_E_clIS7_S7_PlSB_EEDaSZ_S10_SG_SL_EUlSZ_E_NS1_11comp_targetILNS1_3genE3ELNS1_11target_archE908ELNS1_3gpuE7ELNS1_3repE0EEENS1_47radix_sort_onesweep_sort_config_static_selectorELNS0_4arch9wavefront6targetE1EEEvSG_,comdat
	.protected	_ZN7rocprim17ROCPRIM_400000_NS6detail17trampoline_kernelINS0_14default_configENS1_35radix_sort_onesweep_config_selectorIflEEZZNS1_29radix_sort_onesweep_iterationIS3_Lb0EPfS7_N6thrust23THRUST_200600_302600_NS10device_ptrIlEESB_jNS0_19identity_decomposerENS1_16block_id_wrapperIjLb0EEEEE10hipError_tT1_PNSt15iterator_traitsISG_E10value_typeET2_T3_PNSH_ISM_E10value_typeET4_T5_PSR_SS_PNS1_23onesweep_lookback_stateEbbT6_jjT7_P12ihipStream_tbENKUlT_T0_SG_SL_E_clIS7_S7_PlSB_EEDaSZ_S10_SG_SL_EUlSZ_E_NS1_11comp_targetILNS1_3genE3ELNS1_11target_archE908ELNS1_3gpuE7ELNS1_3repE0EEENS1_47radix_sort_onesweep_sort_config_static_selectorELNS0_4arch9wavefront6targetE1EEEvSG_ ; -- Begin function _ZN7rocprim17ROCPRIM_400000_NS6detail17trampoline_kernelINS0_14default_configENS1_35radix_sort_onesweep_config_selectorIflEEZZNS1_29radix_sort_onesweep_iterationIS3_Lb0EPfS7_N6thrust23THRUST_200600_302600_NS10device_ptrIlEESB_jNS0_19identity_decomposerENS1_16block_id_wrapperIjLb0EEEEE10hipError_tT1_PNSt15iterator_traitsISG_E10value_typeET2_T3_PNSH_ISM_E10value_typeET4_T5_PSR_SS_PNS1_23onesweep_lookback_stateEbbT6_jjT7_P12ihipStream_tbENKUlT_T0_SG_SL_E_clIS7_S7_PlSB_EEDaSZ_S10_SG_SL_EUlSZ_E_NS1_11comp_targetILNS1_3genE3ELNS1_11target_archE908ELNS1_3gpuE7ELNS1_3repE0EEENS1_47radix_sort_onesweep_sort_config_static_selectorELNS0_4arch9wavefront6targetE1EEEvSG_
	.globl	_ZN7rocprim17ROCPRIM_400000_NS6detail17trampoline_kernelINS0_14default_configENS1_35radix_sort_onesweep_config_selectorIflEEZZNS1_29radix_sort_onesweep_iterationIS3_Lb0EPfS7_N6thrust23THRUST_200600_302600_NS10device_ptrIlEESB_jNS0_19identity_decomposerENS1_16block_id_wrapperIjLb0EEEEE10hipError_tT1_PNSt15iterator_traitsISG_E10value_typeET2_T3_PNSH_ISM_E10value_typeET4_T5_PSR_SS_PNS1_23onesweep_lookback_stateEbbT6_jjT7_P12ihipStream_tbENKUlT_T0_SG_SL_E_clIS7_S7_PlSB_EEDaSZ_S10_SG_SL_EUlSZ_E_NS1_11comp_targetILNS1_3genE3ELNS1_11target_archE908ELNS1_3gpuE7ELNS1_3repE0EEENS1_47radix_sort_onesweep_sort_config_static_selectorELNS0_4arch9wavefront6targetE1EEEvSG_
	.p2align	8
	.type	_ZN7rocprim17ROCPRIM_400000_NS6detail17trampoline_kernelINS0_14default_configENS1_35radix_sort_onesweep_config_selectorIflEEZZNS1_29radix_sort_onesweep_iterationIS3_Lb0EPfS7_N6thrust23THRUST_200600_302600_NS10device_ptrIlEESB_jNS0_19identity_decomposerENS1_16block_id_wrapperIjLb0EEEEE10hipError_tT1_PNSt15iterator_traitsISG_E10value_typeET2_T3_PNSH_ISM_E10value_typeET4_T5_PSR_SS_PNS1_23onesweep_lookback_stateEbbT6_jjT7_P12ihipStream_tbENKUlT_T0_SG_SL_E_clIS7_S7_PlSB_EEDaSZ_S10_SG_SL_EUlSZ_E_NS1_11comp_targetILNS1_3genE3ELNS1_11target_archE908ELNS1_3gpuE7ELNS1_3repE0EEENS1_47radix_sort_onesweep_sort_config_static_selectorELNS0_4arch9wavefront6targetE1EEEvSG_,@function
_ZN7rocprim17ROCPRIM_400000_NS6detail17trampoline_kernelINS0_14default_configENS1_35radix_sort_onesweep_config_selectorIflEEZZNS1_29radix_sort_onesweep_iterationIS3_Lb0EPfS7_N6thrust23THRUST_200600_302600_NS10device_ptrIlEESB_jNS0_19identity_decomposerENS1_16block_id_wrapperIjLb0EEEEE10hipError_tT1_PNSt15iterator_traitsISG_E10value_typeET2_T3_PNSH_ISM_E10value_typeET4_T5_PSR_SS_PNS1_23onesweep_lookback_stateEbbT6_jjT7_P12ihipStream_tbENKUlT_T0_SG_SL_E_clIS7_S7_PlSB_EEDaSZ_S10_SG_SL_EUlSZ_E_NS1_11comp_targetILNS1_3genE3ELNS1_11target_archE908ELNS1_3gpuE7ELNS1_3repE0EEENS1_47radix_sort_onesweep_sort_config_static_selectorELNS0_4arch9wavefront6targetE1EEEvSG_: ; @_ZN7rocprim17ROCPRIM_400000_NS6detail17trampoline_kernelINS0_14default_configENS1_35radix_sort_onesweep_config_selectorIflEEZZNS1_29radix_sort_onesweep_iterationIS3_Lb0EPfS7_N6thrust23THRUST_200600_302600_NS10device_ptrIlEESB_jNS0_19identity_decomposerENS1_16block_id_wrapperIjLb0EEEEE10hipError_tT1_PNSt15iterator_traitsISG_E10value_typeET2_T3_PNSH_ISM_E10value_typeET4_T5_PSR_SS_PNS1_23onesweep_lookback_stateEbbT6_jjT7_P12ihipStream_tbENKUlT_T0_SG_SL_E_clIS7_S7_PlSB_EEDaSZ_S10_SG_SL_EUlSZ_E_NS1_11comp_targetILNS1_3genE3ELNS1_11target_archE908ELNS1_3gpuE7ELNS1_3repE0EEENS1_47radix_sort_onesweep_sort_config_static_selectorELNS0_4arch9wavefront6targetE1EEEvSG_
; %bb.0:
	.section	.rodata,"a",@progbits
	.p2align	6, 0x0
	.amdhsa_kernel _ZN7rocprim17ROCPRIM_400000_NS6detail17trampoline_kernelINS0_14default_configENS1_35radix_sort_onesweep_config_selectorIflEEZZNS1_29radix_sort_onesweep_iterationIS3_Lb0EPfS7_N6thrust23THRUST_200600_302600_NS10device_ptrIlEESB_jNS0_19identity_decomposerENS1_16block_id_wrapperIjLb0EEEEE10hipError_tT1_PNSt15iterator_traitsISG_E10value_typeET2_T3_PNSH_ISM_E10value_typeET4_T5_PSR_SS_PNS1_23onesweep_lookback_stateEbbT6_jjT7_P12ihipStream_tbENKUlT_T0_SG_SL_E_clIS7_S7_PlSB_EEDaSZ_S10_SG_SL_EUlSZ_E_NS1_11comp_targetILNS1_3genE3ELNS1_11target_archE908ELNS1_3gpuE7ELNS1_3repE0EEENS1_47radix_sort_onesweep_sort_config_static_selectorELNS0_4arch9wavefront6targetE1EEEvSG_
		.amdhsa_group_segment_fixed_size 0
		.amdhsa_private_segment_fixed_size 0
		.amdhsa_kernarg_size 88
		.amdhsa_user_sgpr_count 6
		.amdhsa_user_sgpr_private_segment_buffer 1
		.amdhsa_user_sgpr_dispatch_ptr 0
		.amdhsa_user_sgpr_queue_ptr 0
		.amdhsa_user_sgpr_kernarg_segment_ptr 1
		.amdhsa_user_sgpr_dispatch_id 0
		.amdhsa_user_sgpr_flat_scratch_init 0
		.amdhsa_user_sgpr_private_segment_size 0
		.amdhsa_uses_dynamic_stack 0
		.amdhsa_system_sgpr_private_segment_wavefront_offset 0
		.amdhsa_system_sgpr_workgroup_id_x 1
		.amdhsa_system_sgpr_workgroup_id_y 0
		.amdhsa_system_sgpr_workgroup_id_z 0
		.amdhsa_system_sgpr_workgroup_info 0
		.amdhsa_system_vgpr_workitem_id 0
		.amdhsa_next_free_vgpr 1
		.amdhsa_next_free_sgpr 0
		.amdhsa_reserve_vcc 0
		.amdhsa_reserve_flat_scratch 0
		.amdhsa_float_round_mode_32 0
		.amdhsa_float_round_mode_16_64 0
		.amdhsa_float_denorm_mode_32 3
		.amdhsa_float_denorm_mode_16_64 3
		.amdhsa_dx10_clamp 1
		.amdhsa_ieee_mode 1
		.amdhsa_fp16_overflow 0
		.amdhsa_exception_fp_ieee_invalid_op 0
		.amdhsa_exception_fp_denorm_src 0
		.amdhsa_exception_fp_ieee_div_zero 0
		.amdhsa_exception_fp_ieee_overflow 0
		.amdhsa_exception_fp_ieee_underflow 0
		.amdhsa_exception_fp_ieee_inexact 0
		.amdhsa_exception_int_div_zero 0
	.end_amdhsa_kernel
	.section	.text._ZN7rocprim17ROCPRIM_400000_NS6detail17trampoline_kernelINS0_14default_configENS1_35radix_sort_onesweep_config_selectorIflEEZZNS1_29radix_sort_onesweep_iterationIS3_Lb0EPfS7_N6thrust23THRUST_200600_302600_NS10device_ptrIlEESB_jNS0_19identity_decomposerENS1_16block_id_wrapperIjLb0EEEEE10hipError_tT1_PNSt15iterator_traitsISG_E10value_typeET2_T3_PNSH_ISM_E10value_typeET4_T5_PSR_SS_PNS1_23onesweep_lookback_stateEbbT6_jjT7_P12ihipStream_tbENKUlT_T0_SG_SL_E_clIS7_S7_PlSB_EEDaSZ_S10_SG_SL_EUlSZ_E_NS1_11comp_targetILNS1_3genE3ELNS1_11target_archE908ELNS1_3gpuE7ELNS1_3repE0EEENS1_47radix_sort_onesweep_sort_config_static_selectorELNS0_4arch9wavefront6targetE1EEEvSG_,"axG",@progbits,_ZN7rocprim17ROCPRIM_400000_NS6detail17trampoline_kernelINS0_14default_configENS1_35radix_sort_onesweep_config_selectorIflEEZZNS1_29radix_sort_onesweep_iterationIS3_Lb0EPfS7_N6thrust23THRUST_200600_302600_NS10device_ptrIlEESB_jNS0_19identity_decomposerENS1_16block_id_wrapperIjLb0EEEEE10hipError_tT1_PNSt15iterator_traitsISG_E10value_typeET2_T3_PNSH_ISM_E10value_typeET4_T5_PSR_SS_PNS1_23onesweep_lookback_stateEbbT6_jjT7_P12ihipStream_tbENKUlT_T0_SG_SL_E_clIS7_S7_PlSB_EEDaSZ_S10_SG_SL_EUlSZ_E_NS1_11comp_targetILNS1_3genE3ELNS1_11target_archE908ELNS1_3gpuE7ELNS1_3repE0EEENS1_47radix_sort_onesweep_sort_config_static_selectorELNS0_4arch9wavefront6targetE1EEEvSG_,comdat
.Lfunc_end1884:
	.size	_ZN7rocprim17ROCPRIM_400000_NS6detail17trampoline_kernelINS0_14default_configENS1_35radix_sort_onesweep_config_selectorIflEEZZNS1_29radix_sort_onesweep_iterationIS3_Lb0EPfS7_N6thrust23THRUST_200600_302600_NS10device_ptrIlEESB_jNS0_19identity_decomposerENS1_16block_id_wrapperIjLb0EEEEE10hipError_tT1_PNSt15iterator_traitsISG_E10value_typeET2_T3_PNSH_ISM_E10value_typeET4_T5_PSR_SS_PNS1_23onesweep_lookback_stateEbbT6_jjT7_P12ihipStream_tbENKUlT_T0_SG_SL_E_clIS7_S7_PlSB_EEDaSZ_S10_SG_SL_EUlSZ_E_NS1_11comp_targetILNS1_3genE3ELNS1_11target_archE908ELNS1_3gpuE7ELNS1_3repE0EEENS1_47radix_sort_onesweep_sort_config_static_selectorELNS0_4arch9wavefront6targetE1EEEvSG_, .Lfunc_end1884-_ZN7rocprim17ROCPRIM_400000_NS6detail17trampoline_kernelINS0_14default_configENS1_35radix_sort_onesweep_config_selectorIflEEZZNS1_29radix_sort_onesweep_iterationIS3_Lb0EPfS7_N6thrust23THRUST_200600_302600_NS10device_ptrIlEESB_jNS0_19identity_decomposerENS1_16block_id_wrapperIjLb0EEEEE10hipError_tT1_PNSt15iterator_traitsISG_E10value_typeET2_T3_PNSH_ISM_E10value_typeET4_T5_PSR_SS_PNS1_23onesweep_lookback_stateEbbT6_jjT7_P12ihipStream_tbENKUlT_T0_SG_SL_E_clIS7_S7_PlSB_EEDaSZ_S10_SG_SL_EUlSZ_E_NS1_11comp_targetILNS1_3genE3ELNS1_11target_archE908ELNS1_3gpuE7ELNS1_3repE0EEENS1_47radix_sort_onesweep_sort_config_static_selectorELNS0_4arch9wavefront6targetE1EEEvSG_
                                        ; -- End function
	.set _ZN7rocprim17ROCPRIM_400000_NS6detail17trampoline_kernelINS0_14default_configENS1_35radix_sort_onesweep_config_selectorIflEEZZNS1_29radix_sort_onesweep_iterationIS3_Lb0EPfS7_N6thrust23THRUST_200600_302600_NS10device_ptrIlEESB_jNS0_19identity_decomposerENS1_16block_id_wrapperIjLb0EEEEE10hipError_tT1_PNSt15iterator_traitsISG_E10value_typeET2_T3_PNSH_ISM_E10value_typeET4_T5_PSR_SS_PNS1_23onesweep_lookback_stateEbbT6_jjT7_P12ihipStream_tbENKUlT_T0_SG_SL_E_clIS7_S7_PlSB_EEDaSZ_S10_SG_SL_EUlSZ_E_NS1_11comp_targetILNS1_3genE3ELNS1_11target_archE908ELNS1_3gpuE7ELNS1_3repE0EEENS1_47radix_sort_onesweep_sort_config_static_selectorELNS0_4arch9wavefront6targetE1EEEvSG_.num_vgpr, 0
	.set _ZN7rocprim17ROCPRIM_400000_NS6detail17trampoline_kernelINS0_14default_configENS1_35radix_sort_onesweep_config_selectorIflEEZZNS1_29radix_sort_onesweep_iterationIS3_Lb0EPfS7_N6thrust23THRUST_200600_302600_NS10device_ptrIlEESB_jNS0_19identity_decomposerENS1_16block_id_wrapperIjLb0EEEEE10hipError_tT1_PNSt15iterator_traitsISG_E10value_typeET2_T3_PNSH_ISM_E10value_typeET4_T5_PSR_SS_PNS1_23onesweep_lookback_stateEbbT6_jjT7_P12ihipStream_tbENKUlT_T0_SG_SL_E_clIS7_S7_PlSB_EEDaSZ_S10_SG_SL_EUlSZ_E_NS1_11comp_targetILNS1_3genE3ELNS1_11target_archE908ELNS1_3gpuE7ELNS1_3repE0EEENS1_47radix_sort_onesweep_sort_config_static_selectorELNS0_4arch9wavefront6targetE1EEEvSG_.num_agpr, 0
	.set _ZN7rocprim17ROCPRIM_400000_NS6detail17trampoline_kernelINS0_14default_configENS1_35radix_sort_onesweep_config_selectorIflEEZZNS1_29radix_sort_onesweep_iterationIS3_Lb0EPfS7_N6thrust23THRUST_200600_302600_NS10device_ptrIlEESB_jNS0_19identity_decomposerENS1_16block_id_wrapperIjLb0EEEEE10hipError_tT1_PNSt15iterator_traitsISG_E10value_typeET2_T3_PNSH_ISM_E10value_typeET4_T5_PSR_SS_PNS1_23onesweep_lookback_stateEbbT6_jjT7_P12ihipStream_tbENKUlT_T0_SG_SL_E_clIS7_S7_PlSB_EEDaSZ_S10_SG_SL_EUlSZ_E_NS1_11comp_targetILNS1_3genE3ELNS1_11target_archE908ELNS1_3gpuE7ELNS1_3repE0EEENS1_47radix_sort_onesweep_sort_config_static_selectorELNS0_4arch9wavefront6targetE1EEEvSG_.numbered_sgpr, 0
	.set _ZN7rocprim17ROCPRIM_400000_NS6detail17trampoline_kernelINS0_14default_configENS1_35radix_sort_onesweep_config_selectorIflEEZZNS1_29radix_sort_onesweep_iterationIS3_Lb0EPfS7_N6thrust23THRUST_200600_302600_NS10device_ptrIlEESB_jNS0_19identity_decomposerENS1_16block_id_wrapperIjLb0EEEEE10hipError_tT1_PNSt15iterator_traitsISG_E10value_typeET2_T3_PNSH_ISM_E10value_typeET4_T5_PSR_SS_PNS1_23onesweep_lookback_stateEbbT6_jjT7_P12ihipStream_tbENKUlT_T0_SG_SL_E_clIS7_S7_PlSB_EEDaSZ_S10_SG_SL_EUlSZ_E_NS1_11comp_targetILNS1_3genE3ELNS1_11target_archE908ELNS1_3gpuE7ELNS1_3repE0EEENS1_47radix_sort_onesweep_sort_config_static_selectorELNS0_4arch9wavefront6targetE1EEEvSG_.num_named_barrier, 0
	.set _ZN7rocprim17ROCPRIM_400000_NS6detail17trampoline_kernelINS0_14default_configENS1_35radix_sort_onesweep_config_selectorIflEEZZNS1_29radix_sort_onesweep_iterationIS3_Lb0EPfS7_N6thrust23THRUST_200600_302600_NS10device_ptrIlEESB_jNS0_19identity_decomposerENS1_16block_id_wrapperIjLb0EEEEE10hipError_tT1_PNSt15iterator_traitsISG_E10value_typeET2_T3_PNSH_ISM_E10value_typeET4_T5_PSR_SS_PNS1_23onesweep_lookback_stateEbbT6_jjT7_P12ihipStream_tbENKUlT_T0_SG_SL_E_clIS7_S7_PlSB_EEDaSZ_S10_SG_SL_EUlSZ_E_NS1_11comp_targetILNS1_3genE3ELNS1_11target_archE908ELNS1_3gpuE7ELNS1_3repE0EEENS1_47radix_sort_onesweep_sort_config_static_selectorELNS0_4arch9wavefront6targetE1EEEvSG_.private_seg_size, 0
	.set _ZN7rocprim17ROCPRIM_400000_NS6detail17trampoline_kernelINS0_14default_configENS1_35radix_sort_onesweep_config_selectorIflEEZZNS1_29radix_sort_onesweep_iterationIS3_Lb0EPfS7_N6thrust23THRUST_200600_302600_NS10device_ptrIlEESB_jNS0_19identity_decomposerENS1_16block_id_wrapperIjLb0EEEEE10hipError_tT1_PNSt15iterator_traitsISG_E10value_typeET2_T3_PNSH_ISM_E10value_typeET4_T5_PSR_SS_PNS1_23onesweep_lookback_stateEbbT6_jjT7_P12ihipStream_tbENKUlT_T0_SG_SL_E_clIS7_S7_PlSB_EEDaSZ_S10_SG_SL_EUlSZ_E_NS1_11comp_targetILNS1_3genE3ELNS1_11target_archE908ELNS1_3gpuE7ELNS1_3repE0EEENS1_47radix_sort_onesweep_sort_config_static_selectorELNS0_4arch9wavefront6targetE1EEEvSG_.uses_vcc, 0
	.set _ZN7rocprim17ROCPRIM_400000_NS6detail17trampoline_kernelINS0_14default_configENS1_35radix_sort_onesweep_config_selectorIflEEZZNS1_29radix_sort_onesweep_iterationIS3_Lb0EPfS7_N6thrust23THRUST_200600_302600_NS10device_ptrIlEESB_jNS0_19identity_decomposerENS1_16block_id_wrapperIjLb0EEEEE10hipError_tT1_PNSt15iterator_traitsISG_E10value_typeET2_T3_PNSH_ISM_E10value_typeET4_T5_PSR_SS_PNS1_23onesweep_lookback_stateEbbT6_jjT7_P12ihipStream_tbENKUlT_T0_SG_SL_E_clIS7_S7_PlSB_EEDaSZ_S10_SG_SL_EUlSZ_E_NS1_11comp_targetILNS1_3genE3ELNS1_11target_archE908ELNS1_3gpuE7ELNS1_3repE0EEENS1_47radix_sort_onesweep_sort_config_static_selectorELNS0_4arch9wavefront6targetE1EEEvSG_.uses_flat_scratch, 0
	.set _ZN7rocprim17ROCPRIM_400000_NS6detail17trampoline_kernelINS0_14default_configENS1_35radix_sort_onesweep_config_selectorIflEEZZNS1_29radix_sort_onesweep_iterationIS3_Lb0EPfS7_N6thrust23THRUST_200600_302600_NS10device_ptrIlEESB_jNS0_19identity_decomposerENS1_16block_id_wrapperIjLb0EEEEE10hipError_tT1_PNSt15iterator_traitsISG_E10value_typeET2_T3_PNSH_ISM_E10value_typeET4_T5_PSR_SS_PNS1_23onesweep_lookback_stateEbbT6_jjT7_P12ihipStream_tbENKUlT_T0_SG_SL_E_clIS7_S7_PlSB_EEDaSZ_S10_SG_SL_EUlSZ_E_NS1_11comp_targetILNS1_3genE3ELNS1_11target_archE908ELNS1_3gpuE7ELNS1_3repE0EEENS1_47radix_sort_onesweep_sort_config_static_selectorELNS0_4arch9wavefront6targetE1EEEvSG_.has_dyn_sized_stack, 0
	.set _ZN7rocprim17ROCPRIM_400000_NS6detail17trampoline_kernelINS0_14default_configENS1_35radix_sort_onesweep_config_selectorIflEEZZNS1_29radix_sort_onesweep_iterationIS3_Lb0EPfS7_N6thrust23THRUST_200600_302600_NS10device_ptrIlEESB_jNS0_19identity_decomposerENS1_16block_id_wrapperIjLb0EEEEE10hipError_tT1_PNSt15iterator_traitsISG_E10value_typeET2_T3_PNSH_ISM_E10value_typeET4_T5_PSR_SS_PNS1_23onesweep_lookback_stateEbbT6_jjT7_P12ihipStream_tbENKUlT_T0_SG_SL_E_clIS7_S7_PlSB_EEDaSZ_S10_SG_SL_EUlSZ_E_NS1_11comp_targetILNS1_3genE3ELNS1_11target_archE908ELNS1_3gpuE7ELNS1_3repE0EEENS1_47radix_sort_onesweep_sort_config_static_selectorELNS0_4arch9wavefront6targetE1EEEvSG_.has_recursion, 0
	.set _ZN7rocprim17ROCPRIM_400000_NS6detail17trampoline_kernelINS0_14default_configENS1_35radix_sort_onesweep_config_selectorIflEEZZNS1_29radix_sort_onesweep_iterationIS3_Lb0EPfS7_N6thrust23THRUST_200600_302600_NS10device_ptrIlEESB_jNS0_19identity_decomposerENS1_16block_id_wrapperIjLb0EEEEE10hipError_tT1_PNSt15iterator_traitsISG_E10value_typeET2_T3_PNSH_ISM_E10value_typeET4_T5_PSR_SS_PNS1_23onesweep_lookback_stateEbbT6_jjT7_P12ihipStream_tbENKUlT_T0_SG_SL_E_clIS7_S7_PlSB_EEDaSZ_S10_SG_SL_EUlSZ_E_NS1_11comp_targetILNS1_3genE3ELNS1_11target_archE908ELNS1_3gpuE7ELNS1_3repE0EEENS1_47radix_sort_onesweep_sort_config_static_selectorELNS0_4arch9wavefront6targetE1EEEvSG_.has_indirect_call, 0
	.section	.AMDGPU.csdata,"",@progbits
; Kernel info:
; codeLenInByte = 0
; TotalNumSgprs: 4
; NumVgprs: 0
; ScratchSize: 0
; MemoryBound: 0
; FloatMode: 240
; IeeeMode: 1
; LDSByteSize: 0 bytes/workgroup (compile time only)
; SGPRBlocks: 0
; VGPRBlocks: 0
; NumSGPRsForWavesPerEU: 4
; NumVGPRsForWavesPerEU: 1
; Occupancy: 10
; WaveLimiterHint : 0
; COMPUTE_PGM_RSRC2:SCRATCH_EN: 0
; COMPUTE_PGM_RSRC2:USER_SGPR: 6
; COMPUTE_PGM_RSRC2:TRAP_HANDLER: 0
; COMPUTE_PGM_RSRC2:TGID_X_EN: 1
; COMPUTE_PGM_RSRC2:TGID_Y_EN: 0
; COMPUTE_PGM_RSRC2:TGID_Z_EN: 0
; COMPUTE_PGM_RSRC2:TIDIG_COMP_CNT: 0
	.section	.text._ZN7rocprim17ROCPRIM_400000_NS6detail17trampoline_kernelINS0_14default_configENS1_35radix_sort_onesweep_config_selectorIflEEZZNS1_29radix_sort_onesweep_iterationIS3_Lb0EPfS7_N6thrust23THRUST_200600_302600_NS10device_ptrIlEESB_jNS0_19identity_decomposerENS1_16block_id_wrapperIjLb0EEEEE10hipError_tT1_PNSt15iterator_traitsISG_E10value_typeET2_T3_PNSH_ISM_E10value_typeET4_T5_PSR_SS_PNS1_23onesweep_lookback_stateEbbT6_jjT7_P12ihipStream_tbENKUlT_T0_SG_SL_E_clIS7_S7_PlSB_EEDaSZ_S10_SG_SL_EUlSZ_E_NS1_11comp_targetILNS1_3genE10ELNS1_11target_archE1201ELNS1_3gpuE5ELNS1_3repE0EEENS1_47radix_sort_onesweep_sort_config_static_selectorELNS0_4arch9wavefront6targetE1EEEvSG_,"axG",@progbits,_ZN7rocprim17ROCPRIM_400000_NS6detail17trampoline_kernelINS0_14default_configENS1_35radix_sort_onesweep_config_selectorIflEEZZNS1_29radix_sort_onesweep_iterationIS3_Lb0EPfS7_N6thrust23THRUST_200600_302600_NS10device_ptrIlEESB_jNS0_19identity_decomposerENS1_16block_id_wrapperIjLb0EEEEE10hipError_tT1_PNSt15iterator_traitsISG_E10value_typeET2_T3_PNSH_ISM_E10value_typeET4_T5_PSR_SS_PNS1_23onesweep_lookback_stateEbbT6_jjT7_P12ihipStream_tbENKUlT_T0_SG_SL_E_clIS7_S7_PlSB_EEDaSZ_S10_SG_SL_EUlSZ_E_NS1_11comp_targetILNS1_3genE10ELNS1_11target_archE1201ELNS1_3gpuE5ELNS1_3repE0EEENS1_47radix_sort_onesweep_sort_config_static_selectorELNS0_4arch9wavefront6targetE1EEEvSG_,comdat
	.protected	_ZN7rocprim17ROCPRIM_400000_NS6detail17trampoline_kernelINS0_14default_configENS1_35radix_sort_onesweep_config_selectorIflEEZZNS1_29radix_sort_onesweep_iterationIS3_Lb0EPfS7_N6thrust23THRUST_200600_302600_NS10device_ptrIlEESB_jNS0_19identity_decomposerENS1_16block_id_wrapperIjLb0EEEEE10hipError_tT1_PNSt15iterator_traitsISG_E10value_typeET2_T3_PNSH_ISM_E10value_typeET4_T5_PSR_SS_PNS1_23onesweep_lookback_stateEbbT6_jjT7_P12ihipStream_tbENKUlT_T0_SG_SL_E_clIS7_S7_PlSB_EEDaSZ_S10_SG_SL_EUlSZ_E_NS1_11comp_targetILNS1_3genE10ELNS1_11target_archE1201ELNS1_3gpuE5ELNS1_3repE0EEENS1_47radix_sort_onesweep_sort_config_static_selectorELNS0_4arch9wavefront6targetE1EEEvSG_ ; -- Begin function _ZN7rocprim17ROCPRIM_400000_NS6detail17trampoline_kernelINS0_14default_configENS1_35radix_sort_onesweep_config_selectorIflEEZZNS1_29radix_sort_onesweep_iterationIS3_Lb0EPfS7_N6thrust23THRUST_200600_302600_NS10device_ptrIlEESB_jNS0_19identity_decomposerENS1_16block_id_wrapperIjLb0EEEEE10hipError_tT1_PNSt15iterator_traitsISG_E10value_typeET2_T3_PNSH_ISM_E10value_typeET4_T5_PSR_SS_PNS1_23onesweep_lookback_stateEbbT6_jjT7_P12ihipStream_tbENKUlT_T0_SG_SL_E_clIS7_S7_PlSB_EEDaSZ_S10_SG_SL_EUlSZ_E_NS1_11comp_targetILNS1_3genE10ELNS1_11target_archE1201ELNS1_3gpuE5ELNS1_3repE0EEENS1_47radix_sort_onesweep_sort_config_static_selectorELNS0_4arch9wavefront6targetE1EEEvSG_
	.globl	_ZN7rocprim17ROCPRIM_400000_NS6detail17trampoline_kernelINS0_14default_configENS1_35radix_sort_onesweep_config_selectorIflEEZZNS1_29radix_sort_onesweep_iterationIS3_Lb0EPfS7_N6thrust23THRUST_200600_302600_NS10device_ptrIlEESB_jNS0_19identity_decomposerENS1_16block_id_wrapperIjLb0EEEEE10hipError_tT1_PNSt15iterator_traitsISG_E10value_typeET2_T3_PNSH_ISM_E10value_typeET4_T5_PSR_SS_PNS1_23onesweep_lookback_stateEbbT6_jjT7_P12ihipStream_tbENKUlT_T0_SG_SL_E_clIS7_S7_PlSB_EEDaSZ_S10_SG_SL_EUlSZ_E_NS1_11comp_targetILNS1_3genE10ELNS1_11target_archE1201ELNS1_3gpuE5ELNS1_3repE0EEENS1_47radix_sort_onesweep_sort_config_static_selectorELNS0_4arch9wavefront6targetE1EEEvSG_
	.p2align	8
	.type	_ZN7rocprim17ROCPRIM_400000_NS6detail17trampoline_kernelINS0_14default_configENS1_35radix_sort_onesweep_config_selectorIflEEZZNS1_29radix_sort_onesweep_iterationIS3_Lb0EPfS7_N6thrust23THRUST_200600_302600_NS10device_ptrIlEESB_jNS0_19identity_decomposerENS1_16block_id_wrapperIjLb0EEEEE10hipError_tT1_PNSt15iterator_traitsISG_E10value_typeET2_T3_PNSH_ISM_E10value_typeET4_T5_PSR_SS_PNS1_23onesweep_lookback_stateEbbT6_jjT7_P12ihipStream_tbENKUlT_T0_SG_SL_E_clIS7_S7_PlSB_EEDaSZ_S10_SG_SL_EUlSZ_E_NS1_11comp_targetILNS1_3genE10ELNS1_11target_archE1201ELNS1_3gpuE5ELNS1_3repE0EEENS1_47radix_sort_onesweep_sort_config_static_selectorELNS0_4arch9wavefront6targetE1EEEvSG_,@function
_ZN7rocprim17ROCPRIM_400000_NS6detail17trampoline_kernelINS0_14default_configENS1_35radix_sort_onesweep_config_selectorIflEEZZNS1_29radix_sort_onesweep_iterationIS3_Lb0EPfS7_N6thrust23THRUST_200600_302600_NS10device_ptrIlEESB_jNS0_19identity_decomposerENS1_16block_id_wrapperIjLb0EEEEE10hipError_tT1_PNSt15iterator_traitsISG_E10value_typeET2_T3_PNSH_ISM_E10value_typeET4_T5_PSR_SS_PNS1_23onesweep_lookback_stateEbbT6_jjT7_P12ihipStream_tbENKUlT_T0_SG_SL_E_clIS7_S7_PlSB_EEDaSZ_S10_SG_SL_EUlSZ_E_NS1_11comp_targetILNS1_3genE10ELNS1_11target_archE1201ELNS1_3gpuE5ELNS1_3repE0EEENS1_47radix_sort_onesweep_sort_config_static_selectorELNS0_4arch9wavefront6targetE1EEEvSG_: ; @_ZN7rocprim17ROCPRIM_400000_NS6detail17trampoline_kernelINS0_14default_configENS1_35radix_sort_onesweep_config_selectorIflEEZZNS1_29radix_sort_onesweep_iterationIS3_Lb0EPfS7_N6thrust23THRUST_200600_302600_NS10device_ptrIlEESB_jNS0_19identity_decomposerENS1_16block_id_wrapperIjLb0EEEEE10hipError_tT1_PNSt15iterator_traitsISG_E10value_typeET2_T3_PNSH_ISM_E10value_typeET4_T5_PSR_SS_PNS1_23onesweep_lookback_stateEbbT6_jjT7_P12ihipStream_tbENKUlT_T0_SG_SL_E_clIS7_S7_PlSB_EEDaSZ_S10_SG_SL_EUlSZ_E_NS1_11comp_targetILNS1_3genE10ELNS1_11target_archE1201ELNS1_3gpuE5ELNS1_3repE0EEENS1_47radix_sort_onesweep_sort_config_static_selectorELNS0_4arch9wavefront6targetE1EEEvSG_
; %bb.0:
	.section	.rodata,"a",@progbits
	.p2align	6, 0x0
	.amdhsa_kernel _ZN7rocprim17ROCPRIM_400000_NS6detail17trampoline_kernelINS0_14default_configENS1_35radix_sort_onesweep_config_selectorIflEEZZNS1_29radix_sort_onesweep_iterationIS3_Lb0EPfS7_N6thrust23THRUST_200600_302600_NS10device_ptrIlEESB_jNS0_19identity_decomposerENS1_16block_id_wrapperIjLb0EEEEE10hipError_tT1_PNSt15iterator_traitsISG_E10value_typeET2_T3_PNSH_ISM_E10value_typeET4_T5_PSR_SS_PNS1_23onesweep_lookback_stateEbbT6_jjT7_P12ihipStream_tbENKUlT_T0_SG_SL_E_clIS7_S7_PlSB_EEDaSZ_S10_SG_SL_EUlSZ_E_NS1_11comp_targetILNS1_3genE10ELNS1_11target_archE1201ELNS1_3gpuE5ELNS1_3repE0EEENS1_47radix_sort_onesweep_sort_config_static_selectorELNS0_4arch9wavefront6targetE1EEEvSG_
		.amdhsa_group_segment_fixed_size 0
		.amdhsa_private_segment_fixed_size 0
		.amdhsa_kernarg_size 88
		.amdhsa_user_sgpr_count 6
		.amdhsa_user_sgpr_private_segment_buffer 1
		.amdhsa_user_sgpr_dispatch_ptr 0
		.amdhsa_user_sgpr_queue_ptr 0
		.amdhsa_user_sgpr_kernarg_segment_ptr 1
		.amdhsa_user_sgpr_dispatch_id 0
		.amdhsa_user_sgpr_flat_scratch_init 0
		.amdhsa_user_sgpr_private_segment_size 0
		.amdhsa_uses_dynamic_stack 0
		.amdhsa_system_sgpr_private_segment_wavefront_offset 0
		.amdhsa_system_sgpr_workgroup_id_x 1
		.amdhsa_system_sgpr_workgroup_id_y 0
		.amdhsa_system_sgpr_workgroup_id_z 0
		.amdhsa_system_sgpr_workgroup_info 0
		.amdhsa_system_vgpr_workitem_id 0
		.amdhsa_next_free_vgpr 1
		.amdhsa_next_free_sgpr 0
		.amdhsa_reserve_vcc 0
		.amdhsa_reserve_flat_scratch 0
		.amdhsa_float_round_mode_32 0
		.amdhsa_float_round_mode_16_64 0
		.amdhsa_float_denorm_mode_32 3
		.amdhsa_float_denorm_mode_16_64 3
		.amdhsa_dx10_clamp 1
		.amdhsa_ieee_mode 1
		.amdhsa_fp16_overflow 0
		.amdhsa_exception_fp_ieee_invalid_op 0
		.amdhsa_exception_fp_denorm_src 0
		.amdhsa_exception_fp_ieee_div_zero 0
		.amdhsa_exception_fp_ieee_overflow 0
		.amdhsa_exception_fp_ieee_underflow 0
		.amdhsa_exception_fp_ieee_inexact 0
		.amdhsa_exception_int_div_zero 0
	.end_amdhsa_kernel
	.section	.text._ZN7rocprim17ROCPRIM_400000_NS6detail17trampoline_kernelINS0_14default_configENS1_35radix_sort_onesweep_config_selectorIflEEZZNS1_29radix_sort_onesweep_iterationIS3_Lb0EPfS7_N6thrust23THRUST_200600_302600_NS10device_ptrIlEESB_jNS0_19identity_decomposerENS1_16block_id_wrapperIjLb0EEEEE10hipError_tT1_PNSt15iterator_traitsISG_E10value_typeET2_T3_PNSH_ISM_E10value_typeET4_T5_PSR_SS_PNS1_23onesweep_lookback_stateEbbT6_jjT7_P12ihipStream_tbENKUlT_T0_SG_SL_E_clIS7_S7_PlSB_EEDaSZ_S10_SG_SL_EUlSZ_E_NS1_11comp_targetILNS1_3genE10ELNS1_11target_archE1201ELNS1_3gpuE5ELNS1_3repE0EEENS1_47radix_sort_onesweep_sort_config_static_selectorELNS0_4arch9wavefront6targetE1EEEvSG_,"axG",@progbits,_ZN7rocprim17ROCPRIM_400000_NS6detail17trampoline_kernelINS0_14default_configENS1_35radix_sort_onesweep_config_selectorIflEEZZNS1_29radix_sort_onesweep_iterationIS3_Lb0EPfS7_N6thrust23THRUST_200600_302600_NS10device_ptrIlEESB_jNS0_19identity_decomposerENS1_16block_id_wrapperIjLb0EEEEE10hipError_tT1_PNSt15iterator_traitsISG_E10value_typeET2_T3_PNSH_ISM_E10value_typeET4_T5_PSR_SS_PNS1_23onesweep_lookback_stateEbbT6_jjT7_P12ihipStream_tbENKUlT_T0_SG_SL_E_clIS7_S7_PlSB_EEDaSZ_S10_SG_SL_EUlSZ_E_NS1_11comp_targetILNS1_3genE10ELNS1_11target_archE1201ELNS1_3gpuE5ELNS1_3repE0EEENS1_47radix_sort_onesweep_sort_config_static_selectorELNS0_4arch9wavefront6targetE1EEEvSG_,comdat
.Lfunc_end1885:
	.size	_ZN7rocprim17ROCPRIM_400000_NS6detail17trampoline_kernelINS0_14default_configENS1_35radix_sort_onesweep_config_selectorIflEEZZNS1_29radix_sort_onesweep_iterationIS3_Lb0EPfS7_N6thrust23THRUST_200600_302600_NS10device_ptrIlEESB_jNS0_19identity_decomposerENS1_16block_id_wrapperIjLb0EEEEE10hipError_tT1_PNSt15iterator_traitsISG_E10value_typeET2_T3_PNSH_ISM_E10value_typeET4_T5_PSR_SS_PNS1_23onesweep_lookback_stateEbbT6_jjT7_P12ihipStream_tbENKUlT_T0_SG_SL_E_clIS7_S7_PlSB_EEDaSZ_S10_SG_SL_EUlSZ_E_NS1_11comp_targetILNS1_3genE10ELNS1_11target_archE1201ELNS1_3gpuE5ELNS1_3repE0EEENS1_47radix_sort_onesweep_sort_config_static_selectorELNS0_4arch9wavefront6targetE1EEEvSG_, .Lfunc_end1885-_ZN7rocprim17ROCPRIM_400000_NS6detail17trampoline_kernelINS0_14default_configENS1_35radix_sort_onesweep_config_selectorIflEEZZNS1_29radix_sort_onesweep_iterationIS3_Lb0EPfS7_N6thrust23THRUST_200600_302600_NS10device_ptrIlEESB_jNS0_19identity_decomposerENS1_16block_id_wrapperIjLb0EEEEE10hipError_tT1_PNSt15iterator_traitsISG_E10value_typeET2_T3_PNSH_ISM_E10value_typeET4_T5_PSR_SS_PNS1_23onesweep_lookback_stateEbbT6_jjT7_P12ihipStream_tbENKUlT_T0_SG_SL_E_clIS7_S7_PlSB_EEDaSZ_S10_SG_SL_EUlSZ_E_NS1_11comp_targetILNS1_3genE10ELNS1_11target_archE1201ELNS1_3gpuE5ELNS1_3repE0EEENS1_47radix_sort_onesweep_sort_config_static_selectorELNS0_4arch9wavefront6targetE1EEEvSG_
                                        ; -- End function
	.set _ZN7rocprim17ROCPRIM_400000_NS6detail17trampoline_kernelINS0_14default_configENS1_35radix_sort_onesweep_config_selectorIflEEZZNS1_29radix_sort_onesweep_iterationIS3_Lb0EPfS7_N6thrust23THRUST_200600_302600_NS10device_ptrIlEESB_jNS0_19identity_decomposerENS1_16block_id_wrapperIjLb0EEEEE10hipError_tT1_PNSt15iterator_traitsISG_E10value_typeET2_T3_PNSH_ISM_E10value_typeET4_T5_PSR_SS_PNS1_23onesweep_lookback_stateEbbT6_jjT7_P12ihipStream_tbENKUlT_T0_SG_SL_E_clIS7_S7_PlSB_EEDaSZ_S10_SG_SL_EUlSZ_E_NS1_11comp_targetILNS1_3genE10ELNS1_11target_archE1201ELNS1_3gpuE5ELNS1_3repE0EEENS1_47radix_sort_onesweep_sort_config_static_selectorELNS0_4arch9wavefront6targetE1EEEvSG_.num_vgpr, 0
	.set _ZN7rocprim17ROCPRIM_400000_NS6detail17trampoline_kernelINS0_14default_configENS1_35radix_sort_onesweep_config_selectorIflEEZZNS1_29radix_sort_onesweep_iterationIS3_Lb0EPfS7_N6thrust23THRUST_200600_302600_NS10device_ptrIlEESB_jNS0_19identity_decomposerENS1_16block_id_wrapperIjLb0EEEEE10hipError_tT1_PNSt15iterator_traitsISG_E10value_typeET2_T3_PNSH_ISM_E10value_typeET4_T5_PSR_SS_PNS1_23onesweep_lookback_stateEbbT6_jjT7_P12ihipStream_tbENKUlT_T0_SG_SL_E_clIS7_S7_PlSB_EEDaSZ_S10_SG_SL_EUlSZ_E_NS1_11comp_targetILNS1_3genE10ELNS1_11target_archE1201ELNS1_3gpuE5ELNS1_3repE0EEENS1_47radix_sort_onesweep_sort_config_static_selectorELNS0_4arch9wavefront6targetE1EEEvSG_.num_agpr, 0
	.set _ZN7rocprim17ROCPRIM_400000_NS6detail17trampoline_kernelINS0_14default_configENS1_35radix_sort_onesweep_config_selectorIflEEZZNS1_29radix_sort_onesweep_iterationIS3_Lb0EPfS7_N6thrust23THRUST_200600_302600_NS10device_ptrIlEESB_jNS0_19identity_decomposerENS1_16block_id_wrapperIjLb0EEEEE10hipError_tT1_PNSt15iterator_traitsISG_E10value_typeET2_T3_PNSH_ISM_E10value_typeET4_T5_PSR_SS_PNS1_23onesweep_lookback_stateEbbT6_jjT7_P12ihipStream_tbENKUlT_T0_SG_SL_E_clIS7_S7_PlSB_EEDaSZ_S10_SG_SL_EUlSZ_E_NS1_11comp_targetILNS1_3genE10ELNS1_11target_archE1201ELNS1_3gpuE5ELNS1_3repE0EEENS1_47radix_sort_onesweep_sort_config_static_selectorELNS0_4arch9wavefront6targetE1EEEvSG_.numbered_sgpr, 0
	.set _ZN7rocprim17ROCPRIM_400000_NS6detail17trampoline_kernelINS0_14default_configENS1_35radix_sort_onesweep_config_selectorIflEEZZNS1_29radix_sort_onesweep_iterationIS3_Lb0EPfS7_N6thrust23THRUST_200600_302600_NS10device_ptrIlEESB_jNS0_19identity_decomposerENS1_16block_id_wrapperIjLb0EEEEE10hipError_tT1_PNSt15iterator_traitsISG_E10value_typeET2_T3_PNSH_ISM_E10value_typeET4_T5_PSR_SS_PNS1_23onesweep_lookback_stateEbbT6_jjT7_P12ihipStream_tbENKUlT_T0_SG_SL_E_clIS7_S7_PlSB_EEDaSZ_S10_SG_SL_EUlSZ_E_NS1_11comp_targetILNS1_3genE10ELNS1_11target_archE1201ELNS1_3gpuE5ELNS1_3repE0EEENS1_47radix_sort_onesweep_sort_config_static_selectorELNS0_4arch9wavefront6targetE1EEEvSG_.num_named_barrier, 0
	.set _ZN7rocprim17ROCPRIM_400000_NS6detail17trampoline_kernelINS0_14default_configENS1_35radix_sort_onesweep_config_selectorIflEEZZNS1_29radix_sort_onesweep_iterationIS3_Lb0EPfS7_N6thrust23THRUST_200600_302600_NS10device_ptrIlEESB_jNS0_19identity_decomposerENS1_16block_id_wrapperIjLb0EEEEE10hipError_tT1_PNSt15iterator_traitsISG_E10value_typeET2_T3_PNSH_ISM_E10value_typeET4_T5_PSR_SS_PNS1_23onesweep_lookback_stateEbbT6_jjT7_P12ihipStream_tbENKUlT_T0_SG_SL_E_clIS7_S7_PlSB_EEDaSZ_S10_SG_SL_EUlSZ_E_NS1_11comp_targetILNS1_3genE10ELNS1_11target_archE1201ELNS1_3gpuE5ELNS1_3repE0EEENS1_47radix_sort_onesweep_sort_config_static_selectorELNS0_4arch9wavefront6targetE1EEEvSG_.private_seg_size, 0
	.set _ZN7rocprim17ROCPRIM_400000_NS6detail17trampoline_kernelINS0_14default_configENS1_35radix_sort_onesweep_config_selectorIflEEZZNS1_29radix_sort_onesweep_iterationIS3_Lb0EPfS7_N6thrust23THRUST_200600_302600_NS10device_ptrIlEESB_jNS0_19identity_decomposerENS1_16block_id_wrapperIjLb0EEEEE10hipError_tT1_PNSt15iterator_traitsISG_E10value_typeET2_T3_PNSH_ISM_E10value_typeET4_T5_PSR_SS_PNS1_23onesweep_lookback_stateEbbT6_jjT7_P12ihipStream_tbENKUlT_T0_SG_SL_E_clIS7_S7_PlSB_EEDaSZ_S10_SG_SL_EUlSZ_E_NS1_11comp_targetILNS1_3genE10ELNS1_11target_archE1201ELNS1_3gpuE5ELNS1_3repE0EEENS1_47radix_sort_onesweep_sort_config_static_selectorELNS0_4arch9wavefront6targetE1EEEvSG_.uses_vcc, 0
	.set _ZN7rocprim17ROCPRIM_400000_NS6detail17trampoline_kernelINS0_14default_configENS1_35radix_sort_onesweep_config_selectorIflEEZZNS1_29radix_sort_onesweep_iterationIS3_Lb0EPfS7_N6thrust23THRUST_200600_302600_NS10device_ptrIlEESB_jNS0_19identity_decomposerENS1_16block_id_wrapperIjLb0EEEEE10hipError_tT1_PNSt15iterator_traitsISG_E10value_typeET2_T3_PNSH_ISM_E10value_typeET4_T5_PSR_SS_PNS1_23onesweep_lookback_stateEbbT6_jjT7_P12ihipStream_tbENKUlT_T0_SG_SL_E_clIS7_S7_PlSB_EEDaSZ_S10_SG_SL_EUlSZ_E_NS1_11comp_targetILNS1_3genE10ELNS1_11target_archE1201ELNS1_3gpuE5ELNS1_3repE0EEENS1_47radix_sort_onesweep_sort_config_static_selectorELNS0_4arch9wavefront6targetE1EEEvSG_.uses_flat_scratch, 0
	.set _ZN7rocprim17ROCPRIM_400000_NS6detail17trampoline_kernelINS0_14default_configENS1_35radix_sort_onesweep_config_selectorIflEEZZNS1_29radix_sort_onesweep_iterationIS3_Lb0EPfS7_N6thrust23THRUST_200600_302600_NS10device_ptrIlEESB_jNS0_19identity_decomposerENS1_16block_id_wrapperIjLb0EEEEE10hipError_tT1_PNSt15iterator_traitsISG_E10value_typeET2_T3_PNSH_ISM_E10value_typeET4_T5_PSR_SS_PNS1_23onesweep_lookback_stateEbbT6_jjT7_P12ihipStream_tbENKUlT_T0_SG_SL_E_clIS7_S7_PlSB_EEDaSZ_S10_SG_SL_EUlSZ_E_NS1_11comp_targetILNS1_3genE10ELNS1_11target_archE1201ELNS1_3gpuE5ELNS1_3repE0EEENS1_47radix_sort_onesweep_sort_config_static_selectorELNS0_4arch9wavefront6targetE1EEEvSG_.has_dyn_sized_stack, 0
	.set _ZN7rocprim17ROCPRIM_400000_NS6detail17trampoline_kernelINS0_14default_configENS1_35radix_sort_onesweep_config_selectorIflEEZZNS1_29radix_sort_onesweep_iterationIS3_Lb0EPfS7_N6thrust23THRUST_200600_302600_NS10device_ptrIlEESB_jNS0_19identity_decomposerENS1_16block_id_wrapperIjLb0EEEEE10hipError_tT1_PNSt15iterator_traitsISG_E10value_typeET2_T3_PNSH_ISM_E10value_typeET4_T5_PSR_SS_PNS1_23onesweep_lookback_stateEbbT6_jjT7_P12ihipStream_tbENKUlT_T0_SG_SL_E_clIS7_S7_PlSB_EEDaSZ_S10_SG_SL_EUlSZ_E_NS1_11comp_targetILNS1_3genE10ELNS1_11target_archE1201ELNS1_3gpuE5ELNS1_3repE0EEENS1_47radix_sort_onesweep_sort_config_static_selectorELNS0_4arch9wavefront6targetE1EEEvSG_.has_recursion, 0
	.set _ZN7rocprim17ROCPRIM_400000_NS6detail17trampoline_kernelINS0_14default_configENS1_35radix_sort_onesweep_config_selectorIflEEZZNS1_29radix_sort_onesweep_iterationIS3_Lb0EPfS7_N6thrust23THRUST_200600_302600_NS10device_ptrIlEESB_jNS0_19identity_decomposerENS1_16block_id_wrapperIjLb0EEEEE10hipError_tT1_PNSt15iterator_traitsISG_E10value_typeET2_T3_PNSH_ISM_E10value_typeET4_T5_PSR_SS_PNS1_23onesweep_lookback_stateEbbT6_jjT7_P12ihipStream_tbENKUlT_T0_SG_SL_E_clIS7_S7_PlSB_EEDaSZ_S10_SG_SL_EUlSZ_E_NS1_11comp_targetILNS1_3genE10ELNS1_11target_archE1201ELNS1_3gpuE5ELNS1_3repE0EEENS1_47radix_sort_onesweep_sort_config_static_selectorELNS0_4arch9wavefront6targetE1EEEvSG_.has_indirect_call, 0
	.section	.AMDGPU.csdata,"",@progbits
; Kernel info:
; codeLenInByte = 0
; TotalNumSgprs: 4
; NumVgprs: 0
; ScratchSize: 0
; MemoryBound: 0
; FloatMode: 240
; IeeeMode: 1
; LDSByteSize: 0 bytes/workgroup (compile time only)
; SGPRBlocks: 0
; VGPRBlocks: 0
; NumSGPRsForWavesPerEU: 4
; NumVGPRsForWavesPerEU: 1
; Occupancy: 10
; WaveLimiterHint : 0
; COMPUTE_PGM_RSRC2:SCRATCH_EN: 0
; COMPUTE_PGM_RSRC2:USER_SGPR: 6
; COMPUTE_PGM_RSRC2:TRAP_HANDLER: 0
; COMPUTE_PGM_RSRC2:TGID_X_EN: 1
; COMPUTE_PGM_RSRC2:TGID_Y_EN: 0
; COMPUTE_PGM_RSRC2:TGID_Z_EN: 0
; COMPUTE_PGM_RSRC2:TIDIG_COMP_CNT: 0
	.section	.text._ZN7rocprim17ROCPRIM_400000_NS6detail17trampoline_kernelINS0_14default_configENS1_35radix_sort_onesweep_config_selectorIflEEZZNS1_29radix_sort_onesweep_iterationIS3_Lb0EPfS7_N6thrust23THRUST_200600_302600_NS10device_ptrIlEESB_jNS0_19identity_decomposerENS1_16block_id_wrapperIjLb0EEEEE10hipError_tT1_PNSt15iterator_traitsISG_E10value_typeET2_T3_PNSH_ISM_E10value_typeET4_T5_PSR_SS_PNS1_23onesweep_lookback_stateEbbT6_jjT7_P12ihipStream_tbENKUlT_T0_SG_SL_E_clIS7_S7_PlSB_EEDaSZ_S10_SG_SL_EUlSZ_E_NS1_11comp_targetILNS1_3genE9ELNS1_11target_archE1100ELNS1_3gpuE3ELNS1_3repE0EEENS1_47radix_sort_onesweep_sort_config_static_selectorELNS0_4arch9wavefront6targetE1EEEvSG_,"axG",@progbits,_ZN7rocprim17ROCPRIM_400000_NS6detail17trampoline_kernelINS0_14default_configENS1_35radix_sort_onesweep_config_selectorIflEEZZNS1_29radix_sort_onesweep_iterationIS3_Lb0EPfS7_N6thrust23THRUST_200600_302600_NS10device_ptrIlEESB_jNS0_19identity_decomposerENS1_16block_id_wrapperIjLb0EEEEE10hipError_tT1_PNSt15iterator_traitsISG_E10value_typeET2_T3_PNSH_ISM_E10value_typeET4_T5_PSR_SS_PNS1_23onesweep_lookback_stateEbbT6_jjT7_P12ihipStream_tbENKUlT_T0_SG_SL_E_clIS7_S7_PlSB_EEDaSZ_S10_SG_SL_EUlSZ_E_NS1_11comp_targetILNS1_3genE9ELNS1_11target_archE1100ELNS1_3gpuE3ELNS1_3repE0EEENS1_47radix_sort_onesweep_sort_config_static_selectorELNS0_4arch9wavefront6targetE1EEEvSG_,comdat
	.protected	_ZN7rocprim17ROCPRIM_400000_NS6detail17trampoline_kernelINS0_14default_configENS1_35radix_sort_onesweep_config_selectorIflEEZZNS1_29radix_sort_onesweep_iterationIS3_Lb0EPfS7_N6thrust23THRUST_200600_302600_NS10device_ptrIlEESB_jNS0_19identity_decomposerENS1_16block_id_wrapperIjLb0EEEEE10hipError_tT1_PNSt15iterator_traitsISG_E10value_typeET2_T3_PNSH_ISM_E10value_typeET4_T5_PSR_SS_PNS1_23onesweep_lookback_stateEbbT6_jjT7_P12ihipStream_tbENKUlT_T0_SG_SL_E_clIS7_S7_PlSB_EEDaSZ_S10_SG_SL_EUlSZ_E_NS1_11comp_targetILNS1_3genE9ELNS1_11target_archE1100ELNS1_3gpuE3ELNS1_3repE0EEENS1_47radix_sort_onesweep_sort_config_static_selectorELNS0_4arch9wavefront6targetE1EEEvSG_ ; -- Begin function _ZN7rocprim17ROCPRIM_400000_NS6detail17trampoline_kernelINS0_14default_configENS1_35radix_sort_onesweep_config_selectorIflEEZZNS1_29radix_sort_onesweep_iterationIS3_Lb0EPfS7_N6thrust23THRUST_200600_302600_NS10device_ptrIlEESB_jNS0_19identity_decomposerENS1_16block_id_wrapperIjLb0EEEEE10hipError_tT1_PNSt15iterator_traitsISG_E10value_typeET2_T3_PNSH_ISM_E10value_typeET4_T5_PSR_SS_PNS1_23onesweep_lookback_stateEbbT6_jjT7_P12ihipStream_tbENKUlT_T0_SG_SL_E_clIS7_S7_PlSB_EEDaSZ_S10_SG_SL_EUlSZ_E_NS1_11comp_targetILNS1_3genE9ELNS1_11target_archE1100ELNS1_3gpuE3ELNS1_3repE0EEENS1_47radix_sort_onesweep_sort_config_static_selectorELNS0_4arch9wavefront6targetE1EEEvSG_
	.globl	_ZN7rocprim17ROCPRIM_400000_NS6detail17trampoline_kernelINS0_14default_configENS1_35radix_sort_onesweep_config_selectorIflEEZZNS1_29radix_sort_onesweep_iterationIS3_Lb0EPfS7_N6thrust23THRUST_200600_302600_NS10device_ptrIlEESB_jNS0_19identity_decomposerENS1_16block_id_wrapperIjLb0EEEEE10hipError_tT1_PNSt15iterator_traitsISG_E10value_typeET2_T3_PNSH_ISM_E10value_typeET4_T5_PSR_SS_PNS1_23onesweep_lookback_stateEbbT6_jjT7_P12ihipStream_tbENKUlT_T0_SG_SL_E_clIS7_S7_PlSB_EEDaSZ_S10_SG_SL_EUlSZ_E_NS1_11comp_targetILNS1_3genE9ELNS1_11target_archE1100ELNS1_3gpuE3ELNS1_3repE0EEENS1_47radix_sort_onesweep_sort_config_static_selectorELNS0_4arch9wavefront6targetE1EEEvSG_
	.p2align	8
	.type	_ZN7rocprim17ROCPRIM_400000_NS6detail17trampoline_kernelINS0_14default_configENS1_35radix_sort_onesweep_config_selectorIflEEZZNS1_29radix_sort_onesweep_iterationIS3_Lb0EPfS7_N6thrust23THRUST_200600_302600_NS10device_ptrIlEESB_jNS0_19identity_decomposerENS1_16block_id_wrapperIjLb0EEEEE10hipError_tT1_PNSt15iterator_traitsISG_E10value_typeET2_T3_PNSH_ISM_E10value_typeET4_T5_PSR_SS_PNS1_23onesweep_lookback_stateEbbT6_jjT7_P12ihipStream_tbENKUlT_T0_SG_SL_E_clIS7_S7_PlSB_EEDaSZ_S10_SG_SL_EUlSZ_E_NS1_11comp_targetILNS1_3genE9ELNS1_11target_archE1100ELNS1_3gpuE3ELNS1_3repE0EEENS1_47radix_sort_onesweep_sort_config_static_selectorELNS0_4arch9wavefront6targetE1EEEvSG_,@function
_ZN7rocprim17ROCPRIM_400000_NS6detail17trampoline_kernelINS0_14default_configENS1_35radix_sort_onesweep_config_selectorIflEEZZNS1_29radix_sort_onesweep_iterationIS3_Lb0EPfS7_N6thrust23THRUST_200600_302600_NS10device_ptrIlEESB_jNS0_19identity_decomposerENS1_16block_id_wrapperIjLb0EEEEE10hipError_tT1_PNSt15iterator_traitsISG_E10value_typeET2_T3_PNSH_ISM_E10value_typeET4_T5_PSR_SS_PNS1_23onesweep_lookback_stateEbbT6_jjT7_P12ihipStream_tbENKUlT_T0_SG_SL_E_clIS7_S7_PlSB_EEDaSZ_S10_SG_SL_EUlSZ_E_NS1_11comp_targetILNS1_3genE9ELNS1_11target_archE1100ELNS1_3gpuE3ELNS1_3repE0EEENS1_47radix_sort_onesweep_sort_config_static_selectorELNS0_4arch9wavefront6targetE1EEEvSG_: ; @_ZN7rocprim17ROCPRIM_400000_NS6detail17trampoline_kernelINS0_14default_configENS1_35radix_sort_onesweep_config_selectorIflEEZZNS1_29radix_sort_onesweep_iterationIS3_Lb0EPfS7_N6thrust23THRUST_200600_302600_NS10device_ptrIlEESB_jNS0_19identity_decomposerENS1_16block_id_wrapperIjLb0EEEEE10hipError_tT1_PNSt15iterator_traitsISG_E10value_typeET2_T3_PNSH_ISM_E10value_typeET4_T5_PSR_SS_PNS1_23onesweep_lookback_stateEbbT6_jjT7_P12ihipStream_tbENKUlT_T0_SG_SL_E_clIS7_S7_PlSB_EEDaSZ_S10_SG_SL_EUlSZ_E_NS1_11comp_targetILNS1_3genE9ELNS1_11target_archE1100ELNS1_3gpuE3ELNS1_3repE0EEENS1_47radix_sort_onesweep_sort_config_static_selectorELNS0_4arch9wavefront6targetE1EEEvSG_
; %bb.0:
	.section	.rodata,"a",@progbits
	.p2align	6, 0x0
	.amdhsa_kernel _ZN7rocprim17ROCPRIM_400000_NS6detail17trampoline_kernelINS0_14default_configENS1_35radix_sort_onesweep_config_selectorIflEEZZNS1_29radix_sort_onesweep_iterationIS3_Lb0EPfS7_N6thrust23THRUST_200600_302600_NS10device_ptrIlEESB_jNS0_19identity_decomposerENS1_16block_id_wrapperIjLb0EEEEE10hipError_tT1_PNSt15iterator_traitsISG_E10value_typeET2_T3_PNSH_ISM_E10value_typeET4_T5_PSR_SS_PNS1_23onesweep_lookback_stateEbbT6_jjT7_P12ihipStream_tbENKUlT_T0_SG_SL_E_clIS7_S7_PlSB_EEDaSZ_S10_SG_SL_EUlSZ_E_NS1_11comp_targetILNS1_3genE9ELNS1_11target_archE1100ELNS1_3gpuE3ELNS1_3repE0EEENS1_47radix_sort_onesweep_sort_config_static_selectorELNS0_4arch9wavefront6targetE1EEEvSG_
		.amdhsa_group_segment_fixed_size 0
		.amdhsa_private_segment_fixed_size 0
		.amdhsa_kernarg_size 88
		.amdhsa_user_sgpr_count 6
		.amdhsa_user_sgpr_private_segment_buffer 1
		.amdhsa_user_sgpr_dispatch_ptr 0
		.amdhsa_user_sgpr_queue_ptr 0
		.amdhsa_user_sgpr_kernarg_segment_ptr 1
		.amdhsa_user_sgpr_dispatch_id 0
		.amdhsa_user_sgpr_flat_scratch_init 0
		.amdhsa_user_sgpr_private_segment_size 0
		.amdhsa_uses_dynamic_stack 0
		.amdhsa_system_sgpr_private_segment_wavefront_offset 0
		.amdhsa_system_sgpr_workgroup_id_x 1
		.amdhsa_system_sgpr_workgroup_id_y 0
		.amdhsa_system_sgpr_workgroup_id_z 0
		.amdhsa_system_sgpr_workgroup_info 0
		.amdhsa_system_vgpr_workitem_id 0
		.amdhsa_next_free_vgpr 1
		.amdhsa_next_free_sgpr 0
		.amdhsa_reserve_vcc 0
		.amdhsa_reserve_flat_scratch 0
		.amdhsa_float_round_mode_32 0
		.amdhsa_float_round_mode_16_64 0
		.amdhsa_float_denorm_mode_32 3
		.amdhsa_float_denorm_mode_16_64 3
		.amdhsa_dx10_clamp 1
		.amdhsa_ieee_mode 1
		.amdhsa_fp16_overflow 0
		.amdhsa_exception_fp_ieee_invalid_op 0
		.amdhsa_exception_fp_denorm_src 0
		.amdhsa_exception_fp_ieee_div_zero 0
		.amdhsa_exception_fp_ieee_overflow 0
		.amdhsa_exception_fp_ieee_underflow 0
		.amdhsa_exception_fp_ieee_inexact 0
		.amdhsa_exception_int_div_zero 0
	.end_amdhsa_kernel
	.section	.text._ZN7rocprim17ROCPRIM_400000_NS6detail17trampoline_kernelINS0_14default_configENS1_35radix_sort_onesweep_config_selectorIflEEZZNS1_29radix_sort_onesweep_iterationIS3_Lb0EPfS7_N6thrust23THRUST_200600_302600_NS10device_ptrIlEESB_jNS0_19identity_decomposerENS1_16block_id_wrapperIjLb0EEEEE10hipError_tT1_PNSt15iterator_traitsISG_E10value_typeET2_T3_PNSH_ISM_E10value_typeET4_T5_PSR_SS_PNS1_23onesweep_lookback_stateEbbT6_jjT7_P12ihipStream_tbENKUlT_T0_SG_SL_E_clIS7_S7_PlSB_EEDaSZ_S10_SG_SL_EUlSZ_E_NS1_11comp_targetILNS1_3genE9ELNS1_11target_archE1100ELNS1_3gpuE3ELNS1_3repE0EEENS1_47radix_sort_onesweep_sort_config_static_selectorELNS0_4arch9wavefront6targetE1EEEvSG_,"axG",@progbits,_ZN7rocprim17ROCPRIM_400000_NS6detail17trampoline_kernelINS0_14default_configENS1_35radix_sort_onesweep_config_selectorIflEEZZNS1_29radix_sort_onesweep_iterationIS3_Lb0EPfS7_N6thrust23THRUST_200600_302600_NS10device_ptrIlEESB_jNS0_19identity_decomposerENS1_16block_id_wrapperIjLb0EEEEE10hipError_tT1_PNSt15iterator_traitsISG_E10value_typeET2_T3_PNSH_ISM_E10value_typeET4_T5_PSR_SS_PNS1_23onesweep_lookback_stateEbbT6_jjT7_P12ihipStream_tbENKUlT_T0_SG_SL_E_clIS7_S7_PlSB_EEDaSZ_S10_SG_SL_EUlSZ_E_NS1_11comp_targetILNS1_3genE9ELNS1_11target_archE1100ELNS1_3gpuE3ELNS1_3repE0EEENS1_47radix_sort_onesweep_sort_config_static_selectorELNS0_4arch9wavefront6targetE1EEEvSG_,comdat
.Lfunc_end1886:
	.size	_ZN7rocprim17ROCPRIM_400000_NS6detail17trampoline_kernelINS0_14default_configENS1_35radix_sort_onesweep_config_selectorIflEEZZNS1_29radix_sort_onesweep_iterationIS3_Lb0EPfS7_N6thrust23THRUST_200600_302600_NS10device_ptrIlEESB_jNS0_19identity_decomposerENS1_16block_id_wrapperIjLb0EEEEE10hipError_tT1_PNSt15iterator_traitsISG_E10value_typeET2_T3_PNSH_ISM_E10value_typeET4_T5_PSR_SS_PNS1_23onesweep_lookback_stateEbbT6_jjT7_P12ihipStream_tbENKUlT_T0_SG_SL_E_clIS7_S7_PlSB_EEDaSZ_S10_SG_SL_EUlSZ_E_NS1_11comp_targetILNS1_3genE9ELNS1_11target_archE1100ELNS1_3gpuE3ELNS1_3repE0EEENS1_47radix_sort_onesweep_sort_config_static_selectorELNS0_4arch9wavefront6targetE1EEEvSG_, .Lfunc_end1886-_ZN7rocprim17ROCPRIM_400000_NS6detail17trampoline_kernelINS0_14default_configENS1_35radix_sort_onesweep_config_selectorIflEEZZNS1_29radix_sort_onesweep_iterationIS3_Lb0EPfS7_N6thrust23THRUST_200600_302600_NS10device_ptrIlEESB_jNS0_19identity_decomposerENS1_16block_id_wrapperIjLb0EEEEE10hipError_tT1_PNSt15iterator_traitsISG_E10value_typeET2_T3_PNSH_ISM_E10value_typeET4_T5_PSR_SS_PNS1_23onesweep_lookback_stateEbbT6_jjT7_P12ihipStream_tbENKUlT_T0_SG_SL_E_clIS7_S7_PlSB_EEDaSZ_S10_SG_SL_EUlSZ_E_NS1_11comp_targetILNS1_3genE9ELNS1_11target_archE1100ELNS1_3gpuE3ELNS1_3repE0EEENS1_47radix_sort_onesweep_sort_config_static_selectorELNS0_4arch9wavefront6targetE1EEEvSG_
                                        ; -- End function
	.set _ZN7rocprim17ROCPRIM_400000_NS6detail17trampoline_kernelINS0_14default_configENS1_35radix_sort_onesweep_config_selectorIflEEZZNS1_29radix_sort_onesweep_iterationIS3_Lb0EPfS7_N6thrust23THRUST_200600_302600_NS10device_ptrIlEESB_jNS0_19identity_decomposerENS1_16block_id_wrapperIjLb0EEEEE10hipError_tT1_PNSt15iterator_traitsISG_E10value_typeET2_T3_PNSH_ISM_E10value_typeET4_T5_PSR_SS_PNS1_23onesweep_lookback_stateEbbT6_jjT7_P12ihipStream_tbENKUlT_T0_SG_SL_E_clIS7_S7_PlSB_EEDaSZ_S10_SG_SL_EUlSZ_E_NS1_11comp_targetILNS1_3genE9ELNS1_11target_archE1100ELNS1_3gpuE3ELNS1_3repE0EEENS1_47radix_sort_onesweep_sort_config_static_selectorELNS0_4arch9wavefront6targetE1EEEvSG_.num_vgpr, 0
	.set _ZN7rocprim17ROCPRIM_400000_NS6detail17trampoline_kernelINS0_14default_configENS1_35radix_sort_onesweep_config_selectorIflEEZZNS1_29radix_sort_onesweep_iterationIS3_Lb0EPfS7_N6thrust23THRUST_200600_302600_NS10device_ptrIlEESB_jNS0_19identity_decomposerENS1_16block_id_wrapperIjLb0EEEEE10hipError_tT1_PNSt15iterator_traitsISG_E10value_typeET2_T3_PNSH_ISM_E10value_typeET4_T5_PSR_SS_PNS1_23onesweep_lookback_stateEbbT6_jjT7_P12ihipStream_tbENKUlT_T0_SG_SL_E_clIS7_S7_PlSB_EEDaSZ_S10_SG_SL_EUlSZ_E_NS1_11comp_targetILNS1_3genE9ELNS1_11target_archE1100ELNS1_3gpuE3ELNS1_3repE0EEENS1_47radix_sort_onesweep_sort_config_static_selectorELNS0_4arch9wavefront6targetE1EEEvSG_.num_agpr, 0
	.set _ZN7rocprim17ROCPRIM_400000_NS6detail17trampoline_kernelINS0_14default_configENS1_35radix_sort_onesweep_config_selectorIflEEZZNS1_29radix_sort_onesweep_iterationIS3_Lb0EPfS7_N6thrust23THRUST_200600_302600_NS10device_ptrIlEESB_jNS0_19identity_decomposerENS1_16block_id_wrapperIjLb0EEEEE10hipError_tT1_PNSt15iterator_traitsISG_E10value_typeET2_T3_PNSH_ISM_E10value_typeET4_T5_PSR_SS_PNS1_23onesweep_lookback_stateEbbT6_jjT7_P12ihipStream_tbENKUlT_T0_SG_SL_E_clIS7_S7_PlSB_EEDaSZ_S10_SG_SL_EUlSZ_E_NS1_11comp_targetILNS1_3genE9ELNS1_11target_archE1100ELNS1_3gpuE3ELNS1_3repE0EEENS1_47radix_sort_onesweep_sort_config_static_selectorELNS0_4arch9wavefront6targetE1EEEvSG_.numbered_sgpr, 0
	.set _ZN7rocprim17ROCPRIM_400000_NS6detail17trampoline_kernelINS0_14default_configENS1_35radix_sort_onesweep_config_selectorIflEEZZNS1_29radix_sort_onesweep_iterationIS3_Lb0EPfS7_N6thrust23THRUST_200600_302600_NS10device_ptrIlEESB_jNS0_19identity_decomposerENS1_16block_id_wrapperIjLb0EEEEE10hipError_tT1_PNSt15iterator_traitsISG_E10value_typeET2_T3_PNSH_ISM_E10value_typeET4_T5_PSR_SS_PNS1_23onesweep_lookback_stateEbbT6_jjT7_P12ihipStream_tbENKUlT_T0_SG_SL_E_clIS7_S7_PlSB_EEDaSZ_S10_SG_SL_EUlSZ_E_NS1_11comp_targetILNS1_3genE9ELNS1_11target_archE1100ELNS1_3gpuE3ELNS1_3repE0EEENS1_47radix_sort_onesweep_sort_config_static_selectorELNS0_4arch9wavefront6targetE1EEEvSG_.num_named_barrier, 0
	.set _ZN7rocprim17ROCPRIM_400000_NS6detail17trampoline_kernelINS0_14default_configENS1_35radix_sort_onesweep_config_selectorIflEEZZNS1_29radix_sort_onesweep_iterationIS3_Lb0EPfS7_N6thrust23THRUST_200600_302600_NS10device_ptrIlEESB_jNS0_19identity_decomposerENS1_16block_id_wrapperIjLb0EEEEE10hipError_tT1_PNSt15iterator_traitsISG_E10value_typeET2_T3_PNSH_ISM_E10value_typeET4_T5_PSR_SS_PNS1_23onesweep_lookback_stateEbbT6_jjT7_P12ihipStream_tbENKUlT_T0_SG_SL_E_clIS7_S7_PlSB_EEDaSZ_S10_SG_SL_EUlSZ_E_NS1_11comp_targetILNS1_3genE9ELNS1_11target_archE1100ELNS1_3gpuE3ELNS1_3repE0EEENS1_47radix_sort_onesweep_sort_config_static_selectorELNS0_4arch9wavefront6targetE1EEEvSG_.private_seg_size, 0
	.set _ZN7rocprim17ROCPRIM_400000_NS6detail17trampoline_kernelINS0_14default_configENS1_35radix_sort_onesweep_config_selectorIflEEZZNS1_29radix_sort_onesweep_iterationIS3_Lb0EPfS7_N6thrust23THRUST_200600_302600_NS10device_ptrIlEESB_jNS0_19identity_decomposerENS1_16block_id_wrapperIjLb0EEEEE10hipError_tT1_PNSt15iterator_traitsISG_E10value_typeET2_T3_PNSH_ISM_E10value_typeET4_T5_PSR_SS_PNS1_23onesweep_lookback_stateEbbT6_jjT7_P12ihipStream_tbENKUlT_T0_SG_SL_E_clIS7_S7_PlSB_EEDaSZ_S10_SG_SL_EUlSZ_E_NS1_11comp_targetILNS1_3genE9ELNS1_11target_archE1100ELNS1_3gpuE3ELNS1_3repE0EEENS1_47radix_sort_onesweep_sort_config_static_selectorELNS0_4arch9wavefront6targetE1EEEvSG_.uses_vcc, 0
	.set _ZN7rocprim17ROCPRIM_400000_NS6detail17trampoline_kernelINS0_14default_configENS1_35radix_sort_onesweep_config_selectorIflEEZZNS1_29radix_sort_onesweep_iterationIS3_Lb0EPfS7_N6thrust23THRUST_200600_302600_NS10device_ptrIlEESB_jNS0_19identity_decomposerENS1_16block_id_wrapperIjLb0EEEEE10hipError_tT1_PNSt15iterator_traitsISG_E10value_typeET2_T3_PNSH_ISM_E10value_typeET4_T5_PSR_SS_PNS1_23onesweep_lookback_stateEbbT6_jjT7_P12ihipStream_tbENKUlT_T0_SG_SL_E_clIS7_S7_PlSB_EEDaSZ_S10_SG_SL_EUlSZ_E_NS1_11comp_targetILNS1_3genE9ELNS1_11target_archE1100ELNS1_3gpuE3ELNS1_3repE0EEENS1_47radix_sort_onesweep_sort_config_static_selectorELNS0_4arch9wavefront6targetE1EEEvSG_.uses_flat_scratch, 0
	.set _ZN7rocprim17ROCPRIM_400000_NS6detail17trampoline_kernelINS0_14default_configENS1_35radix_sort_onesweep_config_selectorIflEEZZNS1_29radix_sort_onesweep_iterationIS3_Lb0EPfS7_N6thrust23THRUST_200600_302600_NS10device_ptrIlEESB_jNS0_19identity_decomposerENS1_16block_id_wrapperIjLb0EEEEE10hipError_tT1_PNSt15iterator_traitsISG_E10value_typeET2_T3_PNSH_ISM_E10value_typeET4_T5_PSR_SS_PNS1_23onesweep_lookback_stateEbbT6_jjT7_P12ihipStream_tbENKUlT_T0_SG_SL_E_clIS7_S7_PlSB_EEDaSZ_S10_SG_SL_EUlSZ_E_NS1_11comp_targetILNS1_3genE9ELNS1_11target_archE1100ELNS1_3gpuE3ELNS1_3repE0EEENS1_47radix_sort_onesweep_sort_config_static_selectorELNS0_4arch9wavefront6targetE1EEEvSG_.has_dyn_sized_stack, 0
	.set _ZN7rocprim17ROCPRIM_400000_NS6detail17trampoline_kernelINS0_14default_configENS1_35radix_sort_onesweep_config_selectorIflEEZZNS1_29radix_sort_onesweep_iterationIS3_Lb0EPfS7_N6thrust23THRUST_200600_302600_NS10device_ptrIlEESB_jNS0_19identity_decomposerENS1_16block_id_wrapperIjLb0EEEEE10hipError_tT1_PNSt15iterator_traitsISG_E10value_typeET2_T3_PNSH_ISM_E10value_typeET4_T5_PSR_SS_PNS1_23onesweep_lookback_stateEbbT6_jjT7_P12ihipStream_tbENKUlT_T0_SG_SL_E_clIS7_S7_PlSB_EEDaSZ_S10_SG_SL_EUlSZ_E_NS1_11comp_targetILNS1_3genE9ELNS1_11target_archE1100ELNS1_3gpuE3ELNS1_3repE0EEENS1_47radix_sort_onesweep_sort_config_static_selectorELNS0_4arch9wavefront6targetE1EEEvSG_.has_recursion, 0
	.set _ZN7rocprim17ROCPRIM_400000_NS6detail17trampoline_kernelINS0_14default_configENS1_35radix_sort_onesweep_config_selectorIflEEZZNS1_29radix_sort_onesweep_iterationIS3_Lb0EPfS7_N6thrust23THRUST_200600_302600_NS10device_ptrIlEESB_jNS0_19identity_decomposerENS1_16block_id_wrapperIjLb0EEEEE10hipError_tT1_PNSt15iterator_traitsISG_E10value_typeET2_T3_PNSH_ISM_E10value_typeET4_T5_PSR_SS_PNS1_23onesweep_lookback_stateEbbT6_jjT7_P12ihipStream_tbENKUlT_T0_SG_SL_E_clIS7_S7_PlSB_EEDaSZ_S10_SG_SL_EUlSZ_E_NS1_11comp_targetILNS1_3genE9ELNS1_11target_archE1100ELNS1_3gpuE3ELNS1_3repE0EEENS1_47radix_sort_onesweep_sort_config_static_selectorELNS0_4arch9wavefront6targetE1EEEvSG_.has_indirect_call, 0
	.section	.AMDGPU.csdata,"",@progbits
; Kernel info:
; codeLenInByte = 0
; TotalNumSgprs: 4
; NumVgprs: 0
; ScratchSize: 0
; MemoryBound: 0
; FloatMode: 240
; IeeeMode: 1
; LDSByteSize: 0 bytes/workgroup (compile time only)
; SGPRBlocks: 0
; VGPRBlocks: 0
; NumSGPRsForWavesPerEU: 4
; NumVGPRsForWavesPerEU: 1
; Occupancy: 10
; WaveLimiterHint : 0
; COMPUTE_PGM_RSRC2:SCRATCH_EN: 0
; COMPUTE_PGM_RSRC2:USER_SGPR: 6
; COMPUTE_PGM_RSRC2:TRAP_HANDLER: 0
; COMPUTE_PGM_RSRC2:TGID_X_EN: 1
; COMPUTE_PGM_RSRC2:TGID_Y_EN: 0
; COMPUTE_PGM_RSRC2:TGID_Z_EN: 0
; COMPUTE_PGM_RSRC2:TIDIG_COMP_CNT: 0
	.section	.text._ZN7rocprim17ROCPRIM_400000_NS6detail17trampoline_kernelINS0_14default_configENS1_35radix_sort_onesweep_config_selectorIflEEZZNS1_29radix_sort_onesweep_iterationIS3_Lb0EPfS7_N6thrust23THRUST_200600_302600_NS10device_ptrIlEESB_jNS0_19identity_decomposerENS1_16block_id_wrapperIjLb0EEEEE10hipError_tT1_PNSt15iterator_traitsISG_E10value_typeET2_T3_PNSH_ISM_E10value_typeET4_T5_PSR_SS_PNS1_23onesweep_lookback_stateEbbT6_jjT7_P12ihipStream_tbENKUlT_T0_SG_SL_E_clIS7_S7_PlSB_EEDaSZ_S10_SG_SL_EUlSZ_E_NS1_11comp_targetILNS1_3genE8ELNS1_11target_archE1030ELNS1_3gpuE2ELNS1_3repE0EEENS1_47radix_sort_onesweep_sort_config_static_selectorELNS0_4arch9wavefront6targetE1EEEvSG_,"axG",@progbits,_ZN7rocprim17ROCPRIM_400000_NS6detail17trampoline_kernelINS0_14default_configENS1_35radix_sort_onesweep_config_selectorIflEEZZNS1_29radix_sort_onesweep_iterationIS3_Lb0EPfS7_N6thrust23THRUST_200600_302600_NS10device_ptrIlEESB_jNS0_19identity_decomposerENS1_16block_id_wrapperIjLb0EEEEE10hipError_tT1_PNSt15iterator_traitsISG_E10value_typeET2_T3_PNSH_ISM_E10value_typeET4_T5_PSR_SS_PNS1_23onesweep_lookback_stateEbbT6_jjT7_P12ihipStream_tbENKUlT_T0_SG_SL_E_clIS7_S7_PlSB_EEDaSZ_S10_SG_SL_EUlSZ_E_NS1_11comp_targetILNS1_3genE8ELNS1_11target_archE1030ELNS1_3gpuE2ELNS1_3repE0EEENS1_47radix_sort_onesweep_sort_config_static_selectorELNS0_4arch9wavefront6targetE1EEEvSG_,comdat
	.protected	_ZN7rocprim17ROCPRIM_400000_NS6detail17trampoline_kernelINS0_14default_configENS1_35radix_sort_onesweep_config_selectorIflEEZZNS1_29radix_sort_onesweep_iterationIS3_Lb0EPfS7_N6thrust23THRUST_200600_302600_NS10device_ptrIlEESB_jNS0_19identity_decomposerENS1_16block_id_wrapperIjLb0EEEEE10hipError_tT1_PNSt15iterator_traitsISG_E10value_typeET2_T3_PNSH_ISM_E10value_typeET4_T5_PSR_SS_PNS1_23onesweep_lookback_stateEbbT6_jjT7_P12ihipStream_tbENKUlT_T0_SG_SL_E_clIS7_S7_PlSB_EEDaSZ_S10_SG_SL_EUlSZ_E_NS1_11comp_targetILNS1_3genE8ELNS1_11target_archE1030ELNS1_3gpuE2ELNS1_3repE0EEENS1_47radix_sort_onesweep_sort_config_static_selectorELNS0_4arch9wavefront6targetE1EEEvSG_ ; -- Begin function _ZN7rocprim17ROCPRIM_400000_NS6detail17trampoline_kernelINS0_14default_configENS1_35radix_sort_onesweep_config_selectorIflEEZZNS1_29radix_sort_onesweep_iterationIS3_Lb0EPfS7_N6thrust23THRUST_200600_302600_NS10device_ptrIlEESB_jNS0_19identity_decomposerENS1_16block_id_wrapperIjLb0EEEEE10hipError_tT1_PNSt15iterator_traitsISG_E10value_typeET2_T3_PNSH_ISM_E10value_typeET4_T5_PSR_SS_PNS1_23onesweep_lookback_stateEbbT6_jjT7_P12ihipStream_tbENKUlT_T0_SG_SL_E_clIS7_S7_PlSB_EEDaSZ_S10_SG_SL_EUlSZ_E_NS1_11comp_targetILNS1_3genE8ELNS1_11target_archE1030ELNS1_3gpuE2ELNS1_3repE0EEENS1_47radix_sort_onesweep_sort_config_static_selectorELNS0_4arch9wavefront6targetE1EEEvSG_
	.globl	_ZN7rocprim17ROCPRIM_400000_NS6detail17trampoline_kernelINS0_14default_configENS1_35radix_sort_onesweep_config_selectorIflEEZZNS1_29radix_sort_onesweep_iterationIS3_Lb0EPfS7_N6thrust23THRUST_200600_302600_NS10device_ptrIlEESB_jNS0_19identity_decomposerENS1_16block_id_wrapperIjLb0EEEEE10hipError_tT1_PNSt15iterator_traitsISG_E10value_typeET2_T3_PNSH_ISM_E10value_typeET4_T5_PSR_SS_PNS1_23onesweep_lookback_stateEbbT6_jjT7_P12ihipStream_tbENKUlT_T0_SG_SL_E_clIS7_S7_PlSB_EEDaSZ_S10_SG_SL_EUlSZ_E_NS1_11comp_targetILNS1_3genE8ELNS1_11target_archE1030ELNS1_3gpuE2ELNS1_3repE0EEENS1_47radix_sort_onesweep_sort_config_static_selectorELNS0_4arch9wavefront6targetE1EEEvSG_
	.p2align	8
	.type	_ZN7rocprim17ROCPRIM_400000_NS6detail17trampoline_kernelINS0_14default_configENS1_35radix_sort_onesweep_config_selectorIflEEZZNS1_29radix_sort_onesweep_iterationIS3_Lb0EPfS7_N6thrust23THRUST_200600_302600_NS10device_ptrIlEESB_jNS0_19identity_decomposerENS1_16block_id_wrapperIjLb0EEEEE10hipError_tT1_PNSt15iterator_traitsISG_E10value_typeET2_T3_PNSH_ISM_E10value_typeET4_T5_PSR_SS_PNS1_23onesweep_lookback_stateEbbT6_jjT7_P12ihipStream_tbENKUlT_T0_SG_SL_E_clIS7_S7_PlSB_EEDaSZ_S10_SG_SL_EUlSZ_E_NS1_11comp_targetILNS1_3genE8ELNS1_11target_archE1030ELNS1_3gpuE2ELNS1_3repE0EEENS1_47radix_sort_onesweep_sort_config_static_selectorELNS0_4arch9wavefront6targetE1EEEvSG_,@function
_ZN7rocprim17ROCPRIM_400000_NS6detail17trampoline_kernelINS0_14default_configENS1_35radix_sort_onesweep_config_selectorIflEEZZNS1_29radix_sort_onesweep_iterationIS3_Lb0EPfS7_N6thrust23THRUST_200600_302600_NS10device_ptrIlEESB_jNS0_19identity_decomposerENS1_16block_id_wrapperIjLb0EEEEE10hipError_tT1_PNSt15iterator_traitsISG_E10value_typeET2_T3_PNSH_ISM_E10value_typeET4_T5_PSR_SS_PNS1_23onesweep_lookback_stateEbbT6_jjT7_P12ihipStream_tbENKUlT_T0_SG_SL_E_clIS7_S7_PlSB_EEDaSZ_S10_SG_SL_EUlSZ_E_NS1_11comp_targetILNS1_3genE8ELNS1_11target_archE1030ELNS1_3gpuE2ELNS1_3repE0EEENS1_47radix_sort_onesweep_sort_config_static_selectorELNS0_4arch9wavefront6targetE1EEEvSG_: ; @_ZN7rocprim17ROCPRIM_400000_NS6detail17trampoline_kernelINS0_14default_configENS1_35radix_sort_onesweep_config_selectorIflEEZZNS1_29radix_sort_onesweep_iterationIS3_Lb0EPfS7_N6thrust23THRUST_200600_302600_NS10device_ptrIlEESB_jNS0_19identity_decomposerENS1_16block_id_wrapperIjLb0EEEEE10hipError_tT1_PNSt15iterator_traitsISG_E10value_typeET2_T3_PNSH_ISM_E10value_typeET4_T5_PSR_SS_PNS1_23onesweep_lookback_stateEbbT6_jjT7_P12ihipStream_tbENKUlT_T0_SG_SL_E_clIS7_S7_PlSB_EEDaSZ_S10_SG_SL_EUlSZ_E_NS1_11comp_targetILNS1_3genE8ELNS1_11target_archE1030ELNS1_3gpuE2ELNS1_3repE0EEENS1_47radix_sort_onesweep_sort_config_static_selectorELNS0_4arch9wavefront6targetE1EEEvSG_
; %bb.0:
	.section	.rodata,"a",@progbits
	.p2align	6, 0x0
	.amdhsa_kernel _ZN7rocprim17ROCPRIM_400000_NS6detail17trampoline_kernelINS0_14default_configENS1_35radix_sort_onesweep_config_selectorIflEEZZNS1_29radix_sort_onesweep_iterationIS3_Lb0EPfS7_N6thrust23THRUST_200600_302600_NS10device_ptrIlEESB_jNS0_19identity_decomposerENS1_16block_id_wrapperIjLb0EEEEE10hipError_tT1_PNSt15iterator_traitsISG_E10value_typeET2_T3_PNSH_ISM_E10value_typeET4_T5_PSR_SS_PNS1_23onesweep_lookback_stateEbbT6_jjT7_P12ihipStream_tbENKUlT_T0_SG_SL_E_clIS7_S7_PlSB_EEDaSZ_S10_SG_SL_EUlSZ_E_NS1_11comp_targetILNS1_3genE8ELNS1_11target_archE1030ELNS1_3gpuE2ELNS1_3repE0EEENS1_47radix_sort_onesweep_sort_config_static_selectorELNS0_4arch9wavefront6targetE1EEEvSG_
		.amdhsa_group_segment_fixed_size 0
		.amdhsa_private_segment_fixed_size 0
		.amdhsa_kernarg_size 88
		.amdhsa_user_sgpr_count 6
		.amdhsa_user_sgpr_private_segment_buffer 1
		.amdhsa_user_sgpr_dispatch_ptr 0
		.amdhsa_user_sgpr_queue_ptr 0
		.amdhsa_user_sgpr_kernarg_segment_ptr 1
		.amdhsa_user_sgpr_dispatch_id 0
		.amdhsa_user_sgpr_flat_scratch_init 0
		.amdhsa_user_sgpr_private_segment_size 0
		.amdhsa_uses_dynamic_stack 0
		.amdhsa_system_sgpr_private_segment_wavefront_offset 0
		.amdhsa_system_sgpr_workgroup_id_x 1
		.amdhsa_system_sgpr_workgroup_id_y 0
		.amdhsa_system_sgpr_workgroup_id_z 0
		.amdhsa_system_sgpr_workgroup_info 0
		.amdhsa_system_vgpr_workitem_id 0
		.amdhsa_next_free_vgpr 1
		.amdhsa_next_free_sgpr 0
		.amdhsa_reserve_vcc 0
		.amdhsa_reserve_flat_scratch 0
		.amdhsa_float_round_mode_32 0
		.amdhsa_float_round_mode_16_64 0
		.amdhsa_float_denorm_mode_32 3
		.amdhsa_float_denorm_mode_16_64 3
		.amdhsa_dx10_clamp 1
		.amdhsa_ieee_mode 1
		.amdhsa_fp16_overflow 0
		.amdhsa_exception_fp_ieee_invalid_op 0
		.amdhsa_exception_fp_denorm_src 0
		.amdhsa_exception_fp_ieee_div_zero 0
		.amdhsa_exception_fp_ieee_overflow 0
		.amdhsa_exception_fp_ieee_underflow 0
		.amdhsa_exception_fp_ieee_inexact 0
		.amdhsa_exception_int_div_zero 0
	.end_amdhsa_kernel
	.section	.text._ZN7rocprim17ROCPRIM_400000_NS6detail17trampoline_kernelINS0_14default_configENS1_35radix_sort_onesweep_config_selectorIflEEZZNS1_29radix_sort_onesweep_iterationIS3_Lb0EPfS7_N6thrust23THRUST_200600_302600_NS10device_ptrIlEESB_jNS0_19identity_decomposerENS1_16block_id_wrapperIjLb0EEEEE10hipError_tT1_PNSt15iterator_traitsISG_E10value_typeET2_T3_PNSH_ISM_E10value_typeET4_T5_PSR_SS_PNS1_23onesweep_lookback_stateEbbT6_jjT7_P12ihipStream_tbENKUlT_T0_SG_SL_E_clIS7_S7_PlSB_EEDaSZ_S10_SG_SL_EUlSZ_E_NS1_11comp_targetILNS1_3genE8ELNS1_11target_archE1030ELNS1_3gpuE2ELNS1_3repE0EEENS1_47radix_sort_onesweep_sort_config_static_selectorELNS0_4arch9wavefront6targetE1EEEvSG_,"axG",@progbits,_ZN7rocprim17ROCPRIM_400000_NS6detail17trampoline_kernelINS0_14default_configENS1_35radix_sort_onesweep_config_selectorIflEEZZNS1_29radix_sort_onesweep_iterationIS3_Lb0EPfS7_N6thrust23THRUST_200600_302600_NS10device_ptrIlEESB_jNS0_19identity_decomposerENS1_16block_id_wrapperIjLb0EEEEE10hipError_tT1_PNSt15iterator_traitsISG_E10value_typeET2_T3_PNSH_ISM_E10value_typeET4_T5_PSR_SS_PNS1_23onesweep_lookback_stateEbbT6_jjT7_P12ihipStream_tbENKUlT_T0_SG_SL_E_clIS7_S7_PlSB_EEDaSZ_S10_SG_SL_EUlSZ_E_NS1_11comp_targetILNS1_3genE8ELNS1_11target_archE1030ELNS1_3gpuE2ELNS1_3repE0EEENS1_47radix_sort_onesweep_sort_config_static_selectorELNS0_4arch9wavefront6targetE1EEEvSG_,comdat
.Lfunc_end1887:
	.size	_ZN7rocprim17ROCPRIM_400000_NS6detail17trampoline_kernelINS0_14default_configENS1_35radix_sort_onesweep_config_selectorIflEEZZNS1_29radix_sort_onesweep_iterationIS3_Lb0EPfS7_N6thrust23THRUST_200600_302600_NS10device_ptrIlEESB_jNS0_19identity_decomposerENS1_16block_id_wrapperIjLb0EEEEE10hipError_tT1_PNSt15iterator_traitsISG_E10value_typeET2_T3_PNSH_ISM_E10value_typeET4_T5_PSR_SS_PNS1_23onesweep_lookback_stateEbbT6_jjT7_P12ihipStream_tbENKUlT_T0_SG_SL_E_clIS7_S7_PlSB_EEDaSZ_S10_SG_SL_EUlSZ_E_NS1_11comp_targetILNS1_3genE8ELNS1_11target_archE1030ELNS1_3gpuE2ELNS1_3repE0EEENS1_47radix_sort_onesweep_sort_config_static_selectorELNS0_4arch9wavefront6targetE1EEEvSG_, .Lfunc_end1887-_ZN7rocprim17ROCPRIM_400000_NS6detail17trampoline_kernelINS0_14default_configENS1_35radix_sort_onesweep_config_selectorIflEEZZNS1_29radix_sort_onesweep_iterationIS3_Lb0EPfS7_N6thrust23THRUST_200600_302600_NS10device_ptrIlEESB_jNS0_19identity_decomposerENS1_16block_id_wrapperIjLb0EEEEE10hipError_tT1_PNSt15iterator_traitsISG_E10value_typeET2_T3_PNSH_ISM_E10value_typeET4_T5_PSR_SS_PNS1_23onesweep_lookback_stateEbbT6_jjT7_P12ihipStream_tbENKUlT_T0_SG_SL_E_clIS7_S7_PlSB_EEDaSZ_S10_SG_SL_EUlSZ_E_NS1_11comp_targetILNS1_3genE8ELNS1_11target_archE1030ELNS1_3gpuE2ELNS1_3repE0EEENS1_47radix_sort_onesweep_sort_config_static_selectorELNS0_4arch9wavefront6targetE1EEEvSG_
                                        ; -- End function
	.set _ZN7rocprim17ROCPRIM_400000_NS6detail17trampoline_kernelINS0_14default_configENS1_35radix_sort_onesweep_config_selectorIflEEZZNS1_29radix_sort_onesweep_iterationIS3_Lb0EPfS7_N6thrust23THRUST_200600_302600_NS10device_ptrIlEESB_jNS0_19identity_decomposerENS1_16block_id_wrapperIjLb0EEEEE10hipError_tT1_PNSt15iterator_traitsISG_E10value_typeET2_T3_PNSH_ISM_E10value_typeET4_T5_PSR_SS_PNS1_23onesweep_lookback_stateEbbT6_jjT7_P12ihipStream_tbENKUlT_T0_SG_SL_E_clIS7_S7_PlSB_EEDaSZ_S10_SG_SL_EUlSZ_E_NS1_11comp_targetILNS1_3genE8ELNS1_11target_archE1030ELNS1_3gpuE2ELNS1_3repE0EEENS1_47radix_sort_onesweep_sort_config_static_selectorELNS0_4arch9wavefront6targetE1EEEvSG_.num_vgpr, 0
	.set _ZN7rocprim17ROCPRIM_400000_NS6detail17trampoline_kernelINS0_14default_configENS1_35radix_sort_onesweep_config_selectorIflEEZZNS1_29radix_sort_onesweep_iterationIS3_Lb0EPfS7_N6thrust23THRUST_200600_302600_NS10device_ptrIlEESB_jNS0_19identity_decomposerENS1_16block_id_wrapperIjLb0EEEEE10hipError_tT1_PNSt15iterator_traitsISG_E10value_typeET2_T3_PNSH_ISM_E10value_typeET4_T5_PSR_SS_PNS1_23onesweep_lookback_stateEbbT6_jjT7_P12ihipStream_tbENKUlT_T0_SG_SL_E_clIS7_S7_PlSB_EEDaSZ_S10_SG_SL_EUlSZ_E_NS1_11comp_targetILNS1_3genE8ELNS1_11target_archE1030ELNS1_3gpuE2ELNS1_3repE0EEENS1_47radix_sort_onesweep_sort_config_static_selectorELNS0_4arch9wavefront6targetE1EEEvSG_.num_agpr, 0
	.set _ZN7rocprim17ROCPRIM_400000_NS6detail17trampoline_kernelINS0_14default_configENS1_35radix_sort_onesweep_config_selectorIflEEZZNS1_29radix_sort_onesweep_iterationIS3_Lb0EPfS7_N6thrust23THRUST_200600_302600_NS10device_ptrIlEESB_jNS0_19identity_decomposerENS1_16block_id_wrapperIjLb0EEEEE10hipError_tT1_PNSt15iterator_traitsISG_E10value_typeET2_T3_PNSH_ISM_E10value_typeET4_T5_PSR_SS_PNS1_23onesweep_lookback_stateEbbT6_jjT7_P12ihipStream_tbENKUlT_T0_SG_SL_E_clIS7_S7_PlSB_EEDaSZ_S10_SG_SL_EUlSZ_E_NS1_11comp_targetILNS1_3genE8ELNS1_11target_archE1030ELNS1_3gpuE2ELNS1_3repE0EEENS1_47radix_sort_onesweep_sort_config_static_selectorELNS0_4arch9wavefront6targetE1EEEvSG_.numbered_sgpr, 0
	.set _ZN7rocprim17ROCPRIM_400000_NS6detail17trampoline_kernelINS0_14default_configENS1_35radix_sort_onesweep_config_selectorIflEEZZNS1_29radix_sort_onesweep_iterationIS3_Lb0EPfS7_N6thrust23THRUST_200600_302600_NS10device_ptrIlEESB_jNS0_19identity_decomposerENS1_16block_id_wrapperIjLb0EEEEE10hipError_tT1_PNSt15iterator_traitsISG_E10value_typeET2_T3_PNSH_ISM_E10value_typeET4_T5_PSR_SS_PNS1_23onesweep_lookback_stateEbbT6_jjT7_P12ihipStream_tbENKUlT_T0_SG_SL_E_clIS7_S7_PlSB_EEDaSZ_S10_SG_SL_EUlSZ_E_NS1_11comp_targetILNS1_3genE8ELNS1_11target_archE1030ELNS1_3gpuE2ELNS1_3repE0EEENS1_47radix_sort_onesweep_sort_config_static_selectorELNS0_4arch9wavefront6targetE1EEEvSG_.num_named_barrier, 0
	.set _ZN7rocprim17ROCPRIM_400000_NS6detail17trampoline_kernelINS0_14default_configENS1_35radix_sort_onesweep_config_selectorIflEEZZNS1_29radix_sort_onesweep_iterationIS3_Lb0EPfS7_N6thrust23THRUST_200600_302600_NS10device_ptrIlEESB_jNS0_19identity_decomposerENS1_16block_id_wrapperIjLb0EEEEE10hipError_tT1_PNSt15iterator_traitsISG_E10value_typeET2_T3_PNSH_ISM_E10value_typeET4_T5_PSR_SS_PNS1_23onesweep_lookback_stateEbbT6_jjT7_P12ihipStream_tbENKUlT_T0_SG_SL_E_clIS7_S7_PlSB_EEDaSZ_S10_SG_SL_EUlSZ_E_NS1_11comp_targetILNS1_3genE8ELNS1_11target_archE1030ELNS1_3gpuE2ELNS1_3repE0EEENS1_47radix_sort_onesweep_sort_config_static_selectorELNS0_4arch9wavefront6targetE1EEEvSG_.private_seg_size, 0
	.set _ZN7rocprim17ROCPRIM_400000_NS6detail17trampoline_kernelINS0_14default_configENS1_35radix_sort_onesweep_config_selectorIflEEZZNS1_29radix_sort_onesweep_iterationIS3_Lb0EPfS7_N6thrust23THRUST_200600_302600_NS10device_ptrIlEESB_jNS0_19identity_decomposerENS1_16block_id_wrapperIjLb0EEEEE10hipError_tT1_PNSt15iterator_traitsISG_E10value_typeET2_T3_PNSH_ISM_E10value_typeET4_T5_PSR_SS_PNS1_23onesweep_lookback_stateEbbT6_jjT7_P12ihipStream_tbENKUlT_T0_SG_SL_E_clIS7_S7_PlSB_EEDaSZ_S10_SG_SL_EUlSZ_E_NS1_11comp_targetILNS1_3genE8ELNS1_11target_archE1030ELNS1_3gpuE2ELNS1_3repE0EEENS1_47radix_sort_onesweep_sort_config_static_selectorELNS0_4arch9wavefront6targetE1EEEvSG_.uses_vcc, 0
	.set _ZN7rocprim17ROCPRIM_400000_NS6detail17trampoline_kernelINS0_14default_configENS1_35radix_sort_onesweep_config_selectorIflEEZZNS1_29radix_sort_onesweep_iterationIS3_Lb0EPfS7_N6thrust23THRUST_200600_302600_NS10device_ptrIlEESB_jNS0_19identity_decomposerENS1_16block_id_wrapperIjLb0EEEEE10hipError_tT1_PNSt15iterator_traitsISG_E10value_typeET2_T3_PNSH_ISM_E10value_typeET4_T5_PSR_SS_PNS1_23onesweep_lookback_stateEbbT6_jjT7_P12ihipStream_tbENKUlT_T0_SG_SL_E_clIS7_S7_PlSB_EEDaSZ_S10_SG_SL_EUlSZ_E_NS1_11comp_targetILNS1_3genE8ELNS1_11target_archE1030ELNS1_3gpuE2ELNS1_3repE0EEENS1_47radix_sort_onesweep_sort_config_static_selectorELNS0_4arch9wavefront6targetE1EEEvSG_.uses_flat_scratch, 0
	.set _ZN7rocprim17ROCPRIM_400000_NS6detail17trampoline_kernelINS0_14default_configENS1_35radix_sort_onesweep_config_selectorIflEEZZNS1_29radix_sort_onesweep_iterationIS3_Lb0EPfS7_N6thrust23THRUST_200600_302600_NS10device_ptrIlEESB_jNS0_19identity_decomposerENS1_16block_id_wrapperIjLb0EEEEE10hipError_tT1_PNSt15iterator_traitsISG_E10value_typeET2_T3_PNSH_ISM_E10value_typeET4_T5_PSR_SS_PNS1_23onesweep_lookback_stateEbbT6_jjT7_P12ihipStream_tbENKUlT_T0_SG_SL_E_clIS7_S7_PlSB_EEDaSZ_S10_SG_SL_EUlSZ_E_NS1_11comp_targetILNS1_3genE8ELNS1_11target_archE1030ELNS1_3gpuE2ELNS1_3repE0EEENS1_47radix_sort_onesweep_sort_config_static_selectorELNS0_4arch9wavefront6targetE1EEEvSG_.has_dyn_sized_stack, 0
	.set _ZN7rocprim17ROCPRIM_400000_NS6detail17trampoline_kernelINS0_14default_configENS1_35radix_sort_onesweep_config_selectorIflEEZZNS1_29radix_sort_onesweep_iterationIS3_Lb0EPfS7_N6thrust23THRUST_200600_302600_NS10device_ptrIlEESB_jNS0_19identity_decomposerENS1_16block_id_wrapperIjLb0EEEEE10hipError_tT1_PNSt15iterator_traitsISG_E10value_typeET2_T3_PNSH_ISM_E10value_typeET4_T5_PSR_SS_PNS1_23onesweep_lookback_stateEbbT6_jjT7_P12ihipStream_tbENKUlT_T0_SG_SL_E_clIS7_S7_PlSB_EEDaSZ_S10_SG_SL_EUlSZ_E_NS1_11comp_targetILNS1_3genE8ELNS1_11target_archE1030ELNS1_3gpuE2ELNS1_3repE0EEENS1_47radix_sort_onesweep_sort_config_static_selectorELNS0_4arch9wavefront6targetE1EEEvSG_.has_recursion, 0
	.set _ZN7rocprim17ROCPRIM_400000_NS6detail17trampoline_kernelINS0_14default_configENS1_35radix_sort_onesweep_config_selectorIflEEZZNS1_29radix_sort_onesweep_iterationIS3_Lb0EPfS7_N6thrust23THRUST_200600_302600_NS10device_ptrIlEESB_jNS0_19identity_decomposerENS1_16block_id_wrapperIjLb0EEEEE10hipError_tT1_PNSt15iterator_traitsISG_E10value_typeET2_T3_PNSH_ISM_E10value_typeET4_T5_PSR_SS_PNS1_23onesweep_lookback_stateEbbT6_jjT7_P12ihipStream_tbENKUlT_T0_SG_SL_E_clIS7_S7_PlSB_EEDaSZ_S10_SG_SL_EUlSZ_E_NS1_11comp_targetILNS1_3genE8ELNS1_11target_archE1030ELNS1_3gpuE2ELNS1_3repE0EEENS1_47radix_sort_onesweep_sort_config_static_selectorELNS0_4arch9wavefront6targetE1EEEvSG_.has_indirect_call, 0
	.section	.AMDGPU.csdata,"",@progbits
; Kernel info:
; codeLenInByte = 0
; TotalNumSgprs: 4
; NumVgprs: 0
; ScratchSize: 0
; MemoryBound: 0
; FloatMode: 240
; IeeeMode: 1
; LDSByteSize: 0 bytes/workgroup (compile time only)
; SGPRBlocks: 0
; VGPRBlocks: 0
; NumSGPRsForWavesPerEU: 4
; NumVGPRsForWavesPerEU: 1
; Occupancy: 10
; WaveLimiterHint : 0
; COMPUTE_PGM_RSRC2:SCRATCH_EN: 0
; COMPUTE_PGM_RSRC2:USER_SGPR: 6
; COMPUTE_PGM_RSRC2:TRAP_HANDLER: 0
; COMPUTE_PGM_RSRC2:TGID_X_EN: 1
; COMPUTE_PGM_RSRC2:TGID_Y_EN: 0
; COMPUTE_PGM_RSRC2:TGID_Z_EN: 0
; COMPUTE_PGM_RSRC2:TIDIG_COMP_CNT: 0
	.section	.text._ZN7rocprim17ROCPRIM_400000_NS6detail17trampoline_kernelINS0_14default_configENS1_22reduce_config_selectorIiEEZNS1_11reduce_implILb1ES3_N6thrust23THRUST_200600_302600_NS11hip_rocprim35transform_pair_of_input_iterators_tIiPfSB_NS8_12not_equal_toIfEEEEPiiNS8_4plusIiEEEE10hipError_tPvRmT1_T2_T3_mT4_P12ihipStream_tbEUlT_E0_NS1_11comp_targetILNS1_3genE0ELNS1_11target_archE4294967295ELNS1_3gpuE0ELNS1_3repE0EEENS1_30default_config_static_selectorELNS0_4arch9wavefront6targetE1EEEvSL_,"axG",@progbits,_ZN7rocprim17ROCPRIM_400000_NS6detail17trampoline_kernelINS0_14default_configENS1_22reduce_config_selectorIiEEZNS1_11reduce_implILb1ES3_N6thrust23THRUST_200600_302600_NS11hip_rocprim35transform_pair_of_input_iterators_tIiPfSB_NS8_12not_equal_toIfEEEEPiiNS8_4plusIiEEEE10hipError_tPvRmT1_T2_T3_mT4_P12ihipStream_tbEUlT_E0_NS1_11comp_targetILNS1_3genE0ELNS1_11target_archE4294967295ELNS1_3gpuE0ELNS1_3repE0EEENS1_30default_config_static_selectorELNS0_4arch9wavefront6targetE1EEEvSL_,comdat
	.protected	_ZN7rocprim17ROCPRIM_400000_NS6detail17trampoline_kernelINS0_14default_configENS1_22reduce_config_selectorIiEEZNS1_11reduce_implILb1ES3_N6thrust23THRUST_200600_302600_NS11hip_rocprim35transform_pair_of_input_iterators_tIiPfSB_NS8_12not_equal_toIfEEEEPiiNS8_4plusIiEEEE10hipError_tPvRmT1_T2_T3_mT4_P12ihipStream_tbEUlT_E0_NS1_11comp_targetILNS1_3genE0ELNS1_11target_archE4294967295ELNS1_3gpuE0ELNS1_3repE0EEENS1_30default_config_static_selectorELNS0_4arch9wavefront6targetE1EEEvSL_ ; -- Begin function _ZN7rocprim17ROCPRIM_400000_NS6detail17trampoline_kernelINS0_14default_configENS1_22reduce_config_selectorIiEEZNS1_11reduce_implILb1ES3_N6thrust23THRUST_200600_302600_NS11hip_rocprim35transform_pair_of_input_iterators_tIiPfSB_NS8_12not_equal_toIfEEEEPiiNS8_4plusIiEEEE10hipError_tPvRmT1_T2_T3_mT4_P12ihipStream_tbEUlT_E0_NS1_11comp_targetILNS1_3genE0ELNS1_11target_archE4294967295ELNS1_3gpuE0ELNS1_3repE0EEENS1_30default_config_static_selectorELNS0_4arch9wavefront6targetE1EEEvSL_
	.globl	_ZN7rocprim17ROCPRIM_400000_NS6detail17trampoline_kernelINS0_14default_configENS1_22reduce_config_selectorIiEEZNS1_11reduce_implILb1ES3_N6thrust23THRUST_200600_302600_NS11hip_rocprim35transform_pair_of_input_iterators_tIiPfSB_NS8_12not_equal_toIfEEEEPiiNS8_4plusIiEEEE10hipError_tPvRmT1_T2_T3_mT4_P12ihipStream_tbEUlT_E0_NS1_11comp_targetILNS1_3genE0ELNS1_11target_archE4294967295ELNS1_3gpuE0ELNS1_3repE0EEENS1_30default_config_static_selectorELNS0_4arch9wavefront6targetE1EEEvSL_
	.p2align	8
	.type	_ZN7rocprim17ROCPRIM_400000_NS6detail17trampoline_kernelINS0_14default_configENS1_22reduce_config_selectorIiEEZNS1_11reduce_implILb1ES3_N6thrust23THRUST_200600_302600_NS11hip_rocprim35transform_pair_of_input_iterators_tIiPfSB_NS8_12not_equal_toIfEEEEPiiNS8_4plusIiEEEE10hipError_tPvRmT1_T2_T3_mT4_P12ihipStream_tbEUlT_E0_NS1_11comp_targetILNS1_3genE0ELNS1_11target_archE4294967295ELNS1_3gpuE0ELNS1_3repE0EEENS1_30default_config_static_selectorELNS0_4arch9wavefront6targetE1EEEvSL_,@function
_ZN7rocprim17ROCPRIM_400000_NS6detail17trampoline_kernelINS0_14default_configENS1_22reduce_config_selectorIiEEZNS1_11reduce_implILb1ES3_N6thrust23THRUST_200600_302600_NS11hip_rocprim35transform_pair_of_input_iterators_tIiPfSB_NS8_12not_equal_toIfEEEEPiiNS8_4plusIiEEEE10hipError_tPvRmT1_T2_T3_mT4_P12ihipStream_tbEUlT_E0_NS1_11comp_targetILNS1_3genE0ELNS1_11target_archE4294967295ELNS1_3gpuE0ELNS1_3repE0EEENS1_30default_config_static_selectorELNS0_4arch9wavefront6targetE1EEEvSL_: ; @_ZN7rocprim17ROCPRIM_400000_NS6detail17trampoline_kernelINS0_14default_configENS1_22reduce_config_selectorIiEEZNS1_11reduce_implILb1ES3_N6thrust23THRUST_200600_302600_NS11hip_rocprim35transform_pair_of_input_iterators_tIiPfSB_NS8_12not_equal_toIfEEEEPiiNS8_4plusIiEEEE10hipError_tPvRmT1_T2_T3_mT4_P12ihipStream_tbEUlT_E0_NS1_11comp_targetILNS1_3genE0ELNS1_11target_archE4294967295ELNS1_3gpuE0ELNS1_3repE0EEENS1_30default_config_static_selectorELNS0_4arch9wavefront6targetE1EEEvSL_
; %bb.0:
	.section	.rodata,"a",@progbits
	.p2align	6, 0x0
	.amdhsa_kernel _ZN7rocprim17ROCPRIM_400000_NS6detail17trampoline_kernelINS0_14default_configENS1_22reduce_config_selectorIiEEZNS1_11reduce_implILb1ES3_N6thrust23THRUST_200600_302600_NS11hip_rocprim35transform_pair_of_input_iterators_tIiPfSB_NS8_12not_equal_toIfEEEEPiiNS8_4plusIiEEEE10hipError_tPvRmT1_T2_T3_mT4_P12ihipStream_tbEUlT_E0_NS1_11comp_targetILNS1_3genE0ELNS1_11target_archE4294967295ELNS1_3gpuE0ELNS1_3repE0EEENS1_30default_config_static_selectorELNS0_4arch9wavefront6targetE1EEEvSL_
		.amdhsa_group_segment_fixed_size 0
		.amdhsa_private_segment_fixed_size 0
		.amdhsa_kernarg_size 72
		.amdhsa_user_sgpr_count 6
		.amdhsa_user_sgpr_private_segment_buffer 1
		.amdhsa_user_sgpr_dispatch_ptr 0
		.amdhsa_user_sgpr_queue_ptr 0
		.amdhsa_user_sgpr_kernarg_segment_ptr 1
		.amdhsa_user_sgpr_dispatch_id 0
		.amdhsa_user_sgpr_flat_scratch_init 0
		.amdhsa_user_sgpr_private_segment_size 0
		.amdhsa_uses_dynamic_stack 0
		.amdhsa_system_sgpr_private_segment_wavefront_offset 0
		.amdhsa_system_sgpr_workgroup_id_x 1
		.amdhsa_system_sgpr_workgroup_id_y 0
		.amdhsa_system_sgpr_workgroup_id_z 0
		.amdhsa_system_sgpr_workgroup_info 0
		.amdhsa_system_vgpr_workitem_id 0
		.amdhsa_next_free_vgpr 1
		.amdhsa_next_free_sgpr 0
		.amdhsa_reserve_vcc 0
		.amdhsa_reserve_flat_scratch 0
		.amdhsa_float_round_mode_32 0
		.amdhsa_float_round_mode_16_64 0
		.amdhsa_float_denorm_mode_32 3
		.amdhsa_float_denorm_mode_16_64 3
		.amdhsa_dx10_clamp 1
		.amdhsa_ieee_mode 1
		.amdhsa_fp16_overflow 0
		.amdhsa_exception_fp_ieee_invalid_op 0
		.amdhsa_exception_fp_denorm_src 0
		.amdhsa_exception_fp_ieee_div_zero 0
		.amdhsa_exception_fp_ieee_overflow 0
		.amdhsa_exception_fp_ieee_underflow 0
		.amdhsa_exception_fp_ieee_inexact 0
		.amdhsa_exception_int_div_zero 0
	.end_amdhsa_kernel
	.section	.text._ZN7rocprim17ROCPRIM_400000_NS6detail17trampoline_kernelINS0_14default_configENS1_22reduce_config_selectorIiEEZNS1_11reduce_implILb1ES3_N6thrust23THRUST_200600_302600_NS11hip_rocprim35transform_pair_of_input_iterators_tIiPfSB_NS8_12not_equal_toIfEEEEPiiNS8_4plusIiEEEE10hipError_tPvRmT1_T2_T3_mT4_P12ihipStream_tbEUlT_E0_NS1_11comp_targetILNS1_3genE0ELNS1_11target_archE4294967295ELNS1_3gpuE0ELNS1_3repE0EEENS1_30default_config_static_selectorELNS0_4arch9wavefront6targetE1EEEvSL_,"axG",@progbits,_ZN7rocprim17ROCPRIM_400000_NS6detail17trampoline_kernelINS0_14default_configENS1_22reduce_config_selectorIiEEZNS1_11reduce_implILb1ES3_N6thrust23THRUST_200600_302600_NS11hip_rocprim35transform_pair_of_input_iterators_tIiPfSB_NS8_12not_equal_toIfEEEEPiiNS8_4plusIiEEEE10hipError_tPvRmT1_T2_T3_mT4_P12ihipStream_tbEUlT_E0_NS1_11comp_targetILNS1_3genE0ELNS1_11target_archE4294967295ELNS1_3gpuE0ELNS1_3repE0EEENS1_30default_config_static_selectorELNS0_4arch9wavefront6targetE1EEEvSL_,comdat
.Lfunc_end1888:
	.size	_ZN7rocprim17ROCPRIM_400000_NS6detail17trampoline_kernelINS0_14default_configENS1_22reduce_config_selectorIiEEZNS1_11reduce_implILb1ES3_N6thrust23THRUST_200600_302600_NS11hip_rocprim35transform_pair_of_input_iterators_tIiPfSB_NS8_12not_equal_toIfEEEEPiiNS8_4plusIiEEEE10hipError_tPvRmT1_T2_T3_mT4_P12ihipStream_tbEUlT_E0_NS1_11comp_targetILNS1_3genE0ELNS1_11target_archE4294967295ELNS1_3gpuE0ELNS1_3repE0EEENS1_30default_config_static_selectorELNS0_4arch9wavefront6targetE1EEEvSL_, .Lfunc_end1888-_ZN7rocprim17ROCPRIM_400000_NS6detail17trampoline_kernelINS0_14default_configENS1_22reduce_config_selectorIiEEZNS1_11reduce_implILb1ES3_N6thrust23THRUST_200600_302600_NS11hip_rocprim35transform_pair_of_input_iterators_tIiPfSB_NS8_12not_equal_toIfEEEEPiiNS8_4plusIiEEEE10hipError_tPvRmT1_T2_T3_mT4_P12ihipStream_tbEUlT_E0_NS1_11comp_targetILNS1_3genE0ELNS1_11target_archE4294967295ELNS1_3gpuE0ELNS1_3repE0EEENS1_30default_config_static_selectorELNS0_4arch9wavefront6targetE1EEEvSL_
                                        ; -- End function
	.set _ZN7rocprim17ROCPRIM_400000_NS6detail17trampoline_kernelINS0_14default_configENS1_22reduce_config_selectorIiEEZNS1_11reduce_implILb1ES3_N6thrust23THRUST_200600_302600_NS11hip_rocprim35transform_pair_of_input_iterators_tIiPfSB_NS8_12not_equal_toIfEEEEPiiNS8_4plusIiEEEE10hipError_tPvRmT1_T2_T3_mT4_P12ihipStream_tbEUlT_E0_NS1_11comp_targetILNS1_3genE0ELNS1_11target_archE4294967295ELNS1_3gpuE0ELNS1_3repE0EEENS1_30default_config_static_selectorELNS0_4arch9wavefront6targetE1EEEvSL_.num_vgpr, 0
	.set _ZN7rocprim17ROCPRIM_400000_NS6detail17trampoline_kernelINS0_14default_configENS1_22reduce_config_selectorIiEEZNS1_11reduce_implILb1ES3_N6thrust23THRUST_200600_302600_NS11hip_rocprim35transform_pair_of_input_iterators_tIiPfSB_NS8_12not_equal_toIfEEEEPiiNS8_4plusIiEEEE10hipError_tPvRmT1_T2_T3_mT4_P12ihipStream_tbEUlT_E0_NS1_11comp_targetILNS1_3genE0ELNS1_11target_archE4294967295ELNS1_3gpuE0ELNS1_3repE0EEENS1_30default_config_static_selectorELNS0_4arch9wavefront6targetE1EEEvSL_.num_agpr, 0
	.set _ZN7rocprim17ROCPRIM_400000_NS6detail17trampoline_kernelINS0_14default_configENS1_22reduce_config_selectorIiEEZNS1_11reduce_implILb1ES3_N6thrust23THRUST_200600_302600_NS11hip_rocprim35transform_pair_of_input_iterators_tIiPfSB_NS8_12not_equal_toIfEEEEPiiNS8_4plusIiEEEE10hipError_tPvRmT1_T2_T3_mT4_P12ihipStream_tbEUlT_E0_NS1_11comp_targetILNS1_3genE0ELNS1_11target_archE4294967295ELNS1_3gpuE0ELNS1_3repE0EEENS1_30default_config_static_selectorELNS0_4arch9wavefront6targetE1EEEvSL_.numbered_sgpr, 0
	.set _ZN7rocprim17ROCPRIM_400000_NS6detail17trampoline_kernelINS0_14default_configENS1_22reduce_config_selectorIiEEZNS1_11reduce_implILb1ES3_N6thrust23THRUST_200600_302600_NS11hip_rocprim35transform_pair_of_input_iterators_tIiPfSB_NS8_12not_equal_toIfEEEEPiiNS8_4plusIiEEEE10hipError_tPvRmT1_T2_T3_mT4_P12ihipStream_tbEUlT_E0_NS1_11comp_targetILNS1_3genE0ELNS1_11target_archE4294967295ELNS1_3gpuE0ELNS1_3repE0EEENS1_30default_config_static_selectorELNS0_4arch9wavefront6targetE1EEEvSL_.num_named_barrier, 0
	.set _ZN7rocprim17ROCPRIM_400000_NS6detail17trampoline_kernelINS0_14default_configENS1_22reduce_config_selectorIiEEZNS1_11reduce_implILb1ES3_N6thrust23THRUST_200600_302600_NS11hip_rocprim35transform_pair_of_input_iterators_tIiPfSB_NS8_12not_equal_toIfEEEEPiiNS8_4plusIiEEEE10hipError_tPvRmT1_T2_T3_mT4_P12ihipStream_tbEUlT_E0_NS1_11comp_targetILNS1_3genE0ELNS1_11target_archE4294967295ELNS1_3gpuE0ELNS1_3repE0EEENS1_30default_config_static_selectorELNS0_4arch9wavefront6targetE1EEEvSL_.private_seg_size, 0
	.set _ZN7rocprim17ROCPRIM_400000_NS6detail17trampoline_kernelINS0_14default_configENS1_22reduce_config_selectorIiEEZNS1_11reduce_implILb1ES3_N6thrust23THRUST_200600_302600_NS11hip_rocprim35transform_pair_of_input_iterators_tIiPfSB_NS8_12not_equal_toIfEEEEPiiNS8_4plusIiEEEE10hipError_tPvRmT1_T2_T3_mT4_P12ihipStream_tbEUlT_E0_NS1_11comp_targetILNS1_3genE0ELNS1_11target_archE4294967295ELNS1_3gpuE0ELNS1_3repE0EEENS1_30default_config_static_selectorELNS0_4arch9wavefront6targetE1EEEvSL_.uses_vcc, 0
	.set _ZN7rocprim17ROCPRIM_400000_NS6detail17trampoline_kernelINS0_14default_configENS1_22reduce_config_selectorIiEEZNS1_11reduce_implILb1ES3_N6thrust23THRUST_200600_302600_NS11hip_rocprim35transform_pair_of_input_iterators_tIiPfSB_NS8_12not_equal_toIfEEEEPiiNS8_4plusIiEEEE10hipError_tPvRmT1_T2_T3_mT4_P12ihipStream_tbEUlT_E0_NS1_11comp_targetILNS1_3genE0ELNS1_11target_archE4294967295ELNS1_3gpuE0ELNS1_3repE0EEENS1_30default_config_static_selectorELNS0_4arch9wavefront6targetE1EEEvSL_.uses_flat_scratch, 0
	.set _ZN7rocprim17ROCPRIM_400000_NS6detail17trampoline_kernelINS0_14default_configENS1_22reduce_config_selectorIiEEZNS1_11reduce_implILb1ES3_N6thrust23THRUST_200600_302600_NS11hip_rocprim35transform_pair_of_input_iterators_tIiPfSB_NS8_12not_equal_toIfEEEEPiiNS8_4plusIiEEEE10hipError_tPvRmT1_T2_T3_mT4_P12ihipStream_tbEUlT_E0_NS1_11comp_targetILNS1_3genE0ELNS1_11target_archE4294967295ELNS1_3gpuE0ELNS1_3repE0EEENS1_30default_config_static_selectorELNS0_4arch9wavefront6targetE1EEEvSL_.has_dyn_sized_stack, 0
	.set _ZN7rocprim17ROCPRIM_400000_NS6detail17trampoline_kernelINS0_14default_configENS1_22reduce_config_selectorIiEEZNS1_11reduce_implILb1ES3_N6thrust23THRUST_200600_302600_NS11hip_rocprim35transform_pair_of_input_iterators_tIiPfSB_NS8_12not_equal_toIfEEEEPiiNS8_4plusIiEEEE10hipError_tPvRmT1_T2_T3_mT4_P12ihipStream_tbEUlT_E0_NS1_11comp_targetILNS1_3genE0ELNS1_11target_archE4294967295ELNS1_3gpuE0ELNS1_3repE0EEENS1_30default_config_static_selectorELNS0_4arch9wavefront6targetE1EEEvSL_.has_recursion, 0
	.set _ZN7rocprim17ROCPRIM_400000_NS6detail17trampoline_kernelINS0_14default_configENS1_22reduce_config_selectorIiEEZNS1_11reduce_implILb1ES3_N6thrust23THRUST_200600_302600_NS11hip_rocprim35transform_pair_of_input_iterators_tIiPfSB_NS8_12not_equal_toIfEEEEPiiNS8_4plusIiEEEE10hipError_tPvRmT1_T2_T3_mT4_P12ihipStream_tbEUlT_E0_NS1_11comp_targetILNS1_3genE0ELNS1_11target_archE4294967295ELNS1_3gpuE0ELNS1_3repE0EEENS1_30default_config_static_selectorELNS0_4arch9wavefront6targetE1EEEvSL_.has_indirect_call, 0
	.section	.AMDGPU.csdata,"",@progbits
; Kernel info:
; codeLenInByte = 0
; TotalNumSgprs: 4
; NumVgprs: 0
; ScratchSize: 0
; MemoryBound: 0
; FloatMode: 240
; IeeeMode: 1
; LDSByteSize: 0 bytes/workgroup (compile time only)
; SGPRBlocks: 0
; VGPRBlocks: 0
; NumSGPRsForWavesPerEU: 4
; NumVGPRsForWavesPerEU: 1
; Occupancy: 10
; WaveLimiterHint : 0
; COMPUTE_PGM_RSRC2:SCRATCH_EN: 0
; COMPUTE_PGM_RSRC2:USER_SGPR: 6
; COMPUTE_PGM_RSRC2:TRAP_HANDLER: 0
; COMPUTE_PGM_RSRC2:TGID_X_EN: 1
; COMPUTE_PGM_RSRC2:TGID_Y_EN: 0
; COMPUTE_PGM_RSRC2:TGID_Z_EN: 0
; COMPUTE_PGM_RSRC2:TIDIG_COMP_CNT: 0
	.section	.text._ZN7rocprim17ROCPRIM_400000_NS6detail17trampoline_kernelINS0_14default_configENS1_22reduce_config_selectorIiEEZNS1_11reduce_implILb1ES3_N6thrust23THRUST_200600_302600_NS11hip_rocprim35transform_pair_of_input_iterators_tIiPfSB_NS8_12not_equal_toIfEEEEPiiNS8_4plusIiEEEE10hipError_tPvRmT1_T2_T3_mT4_P12ihipStream_tbEUlT_E0_NS1_11comp_targetILNS1_3genE5ELNS1_11target_archE942ELNS1_3gpuE9ELNS1_3repE0EEENS1_30default_config_static_selectorELNS0_4arch9wavefront6targetE1EEEvSL_,"axG",@progbits,_ZN7rocprim17ROCPRIM_400000_NS6detail17trampoline_kernelINS0_14default_configENS1_22reduce_config_selectorIiEEZNS1_11reduce_implILb1ES3_N6thrust23THRUST_200600_302600_NS11hip_rocprim35transform_pair_of_input_iterators_tIiPfSB_NS8_12not_equal_toIfEEEEPiiNS8_4plusIiEEEE10hipError_tPvRmT1_T2_T3_mT4_P12ihipStream_tbEUlT_E0_NS1_11comp_targetILNS1_3genE5ELNS1_11target_archE942ELNS1_3gpuE9ELNS1_3repE0EEENS1_30default_config_static_selectorELNS0_4arch9wavefront6targetE1EEEvSL_,comdat
	.protected	_ZN7rocprim17ROCPRIM_400000_NS6detail17trampoline_kernelINS0_14default_configENS1_22reduce_config_selectorIiEEZNS1_11reduce_implILb1ES3_N6thrust23THRUST_200600_302600_NS11hip_rocprim35transform_pair_of_input_iterators_tIiPfSB_NS8_12not_equal_toIfEEEEPiiNS8_4plusIiEEEE10hipError_tPvRmT1_T2_T3_mT4_P12ihipStream_tbEUlT_E0_NS1_11comp_targetILNS1_3genE5ELNS1_11target_archE942ELNS1_3gpuE9ELNS1_3repE0EEENS1_30default_config_static_selectorELNS0_4arch9wavefront6targetE1EEEvSL_ ; -- Begin function _ZN7rocprim17ROCPRIM_400000_NS6detail17trampoline_kernelINS0_14default_configENS1_22reduce_config_selectorIiEEZNS1_11reduce_implILb1ES3_N6thrust23THRUST_200600_302600_NS11hip_rocprim35transform_pair_of_input_iterators_tIiPfSB_NS8_12not_equal_toIfEEEEPiiNS8_4plusIiEEEE10hipError_tPvRmT1_T2_T3_mT4_P12ihipStream_tbEUlT_E0_NS1_11comp_targetILNS1_3genE5ELNS1_11target_archE942ELNS1_3gpuE9ELNS1_3repE0EEENS1_30default_config_static_selectorELNS0_4arch9wavefront6targetE1EEEvSL_
	.globl	_ZN7rocprim17ROCPRIM_400000_NS6detail17trampoline_kernelINS0_14default_configENS1_22reduce_config_selectorIiEEZNS1_11reduce_implILb1ES3_N6thrust23THRUST_200600_302600_NS11hip_rocprim35transform_pair_of_input_iterators_tIiPfSB_NS8_12not_equal_toIfEEEEPiiNS8_4plusIiEEEE10hipError_tPvRmT1_T2_T3_mT4_P12ihipStream_tbEUlT_E0_NS1_11comp_targetILNS1_3genE5ELNS1_11target_archE942ELNS1_3gpuE9ELNS1_3repE0EEENS1_30default_config_static_selectorELNS0_4arch9wavefront6targetE1EEEvSL_
	.p2align	8
	.type	_ZN7rocprim17ROCPRIM_400000_NS6detail17trampoline_kernelINS0_14default_configENS1_22reduce_config_selectorIiEEZNS1_11reduce_implILb1ES3_N6thrust23THRUST_200600_302600_NS11hip_rocprim35transform_pair_of_input_iterators_tIiPfSB_NS8_12not_equal_toIfEEEEPiiNS8_4plusIiEEEE10hipError_tPvRmT1_T2_T3_mT4_P12ihipStream_tbEUlT_E0_NS1_11comp_targetILNS1_3genE5ELNS1_11target_archE942ELNS1_3gpuE9ELNS1_3repE0EEENS1_30default_config_static_selectorELNS0_4arch9wavefront6targetE1EEEvSL_,@function
_ZN7rocprim17ROCPRIM_400000_NS6detail17trampoline_kernelINS0_14default_configENS1_22reduce_config_selectorIiEEZNS1_11reduce_implILb1ES3_N6thrust23THRUST_200600_302600_NS11hip_rocprim35transform_pair_of_input_iterators_tIiPfSB_NS8_12not_equal_toIfEEEEPiiNS8_4plusIiEEEE10hipError_tPvRmT1_T2_T3_mT4_P12ihipStream_tbEUlT_E0_NS1_11comp_targetILNS1_3genE5ELNS1_11target_archE942ELNS1_3gpuE9ELNS1_3repE0EEENS1_30default_config_static_selectorELNS0_4arch9wavefront6targetE1EEEvSL_: ; @_ZN7rocprim17ROCPRIM_400000_NS6detail17trampoline_kernelINS0_14default_configENS1_22reduce_config_selectorIiEEZNS1_11reduce_implILb1ES3_N6thrust23THRUST_200600_302600_NS11hip_rocprim35transform_pair_of_input_iterators_tIiPfSB_NS8_12not_equal_toIfEEEEPiiNS8_4plusIiEEEE10hipError_tPvRmT1_T2_T3_mT4_P12ihipStream_tbEUlT_E0_NS1_11comp_targetILNS1_3genE5ELNS1_11target_archE942ELNS1_3gpuE9ELNS1_3repE0EEENS1_30default_config_static_selectorELNS0_4arch9wavefront6targetE1EEEvSL_
; %bb.0:
	.section	.rodata,"a",@progbits
	.p2align	6, 0x0
	.amdhsa_kernel _ZN7rocprim17ROCPRIM_400000_NS6detail17trampoline_kernelINS0_14default_configENS1_22reduce_config_selectorIiEEZNS1_11reduce_implILb1ES3_N6thrust23THRUST_200600_302600_NS11hip_rocprim35transform_pair_of_input_iterators_tIiPfSB_NS8_12not_equal_toIfEEEEPiiNS8_4plusIiEEEE10hipError_tPvRmT1_T2_T3_mT4_P12ihipStream_tbEUlT_E0_NS1_11comp_targetILNS1_3genE5ELNS1_11target_archE942ELNS1_3gpuE9ELNS1_3repE0EEENS1_30default_config_static_selectorELNS0_4arch9wavefront6targetE1EEEvSL_
		.amdhsa_group_segment_fixed_size 0
		.amdhsa_private_segment_fixed_size 0
		.amdhsa_kernarg_size 72
		.amdhsa_user_sgpr_count 6
		.amdhsa_user_sgpr_private_segment_buffer 1
		.amdhsa_user_sgpr_dispatch_ptr 0
		.amdhsa_user_sgpr_queue_ptr 0
		.amdhsa_user_sgpr_kernarg_segment_ptr 1
		.amdhsa_user_sgpr_dispatch_id 0
		.amdhsa_user_sgpr_flat_scratch_init 0
		.amdhsa_user_sgpr_private_segment_size 0
		.amdhsa_uses_dynamic_stack 0
		.amdhsa_system_sgpr_private_segment_wavefront_offset 0
		.amdhsa_system_sgpr_workgroup_id_x 1
		.amdhsa_system_sgpr_workgroup_id_y 0
		.amdhsa_system_sgpr_workgroup_id_z 0
		.amdhsa_system_sgpr_workgroup_info 0
		.amdhsa_system_vgpr_workitem_id 0
		.amdhsa_next_free_vgpr 1
		.amdhsa_next_free_sgpr 0
		.amdhsa_reserve_vcc 0
		.amdhsa_reserve_flat_scratch 0
		.amdhsa_float_round_mode_32 0
		.amdhsa_float_round_mode_16_64 0
		.amdhsa_float_denorm_mode_32 3
		.amdhsa_float_denorm_mode_16_64 3
		.amdhsa_dx10_clamp 1
		.amdhsa_ieee_mode 1
		.amdhsa_fp16_overflow 0
		.amdhsa_exception_fp_ieee_invalid_op 0
		.amdhsa_exception_fp_denorm_src 0
		.amdhsa_exception_fp_ieee_div_zero 0
		.amdhsa_exception_fp_ieee_overflow 0
		.amdhsa_exception_fp_ieee_underflow 0
		.amdhsa_exception_fp_ieee_inexact 0
		.amdhsa_exception_int_div_zero 0
	.end_amdhsa_kernel
	.section	.text._ZN7rocprim17ROCPRIM_400000_NS6detail17trampoline_kernelINS0_14default_configENS1_22reduce_config_selectorIiEEZNS1_11reduce_implILb1ES3_N6thrust23THRUST_200600_302600_NS11hip_rocprim35transform_pair_of_input_iterators_tIiPfSB_NS8_12not_equal_toIfEEEEPiiNS8_4plusIiEEEE10hipError_tPvRmT1_T2_T3_mT4_P12ihipStream_tbEUlT_E0_NS1_11comp_targetILNS1_3genE5ELNS1_11target_archE942ELNS1_3gpuE9ELNS1_3repE0EEENS1_30default_config_static_selectorELNS0_4arch9wavefront6targetE1EEEvSL_,"axG",@progbits,_ZN7rocprim17ROCPRIM_400000_NS6detail17trampoline_kernelINS0_14default_configENS1_22reduce_config_selectorIiEEZNS1_11reduce_implILb1ES3_N6thrust23THRUST_200600_302600_NS11hip_rocprim35transform_pair_of_input_iterators_tIiPfSB_NS8_12not_equal_toIfEEEEPiiNS8_4plusIiEEEE10hipError_tPvRmT1_T2_T3_mT4_P12ihipStream_tbEUlT_E0_NS1_11comp_targetILNS1_3genE5ELNS1_11target_archE942ELNS1_3gpuE9ELNS1_3repE0EEENS1_30default_config_static_selectorELNS0_4arch9wavefront6targetE1EEEvSL_,comdat
.Lfunc_end1889:
	.size	_ZN7rocprim17ROCPRIM_400000_NS6detail17trampoline_kernelINS0_14default_configENS1_22reduce_config_selectorIiEEZNS1_11reduce_implILb1ES3_N6thrust23THRUST_200600_302600_NS11hip_rocprim35transform_pair_of_input_iterators_tIiPfSB_NS8_12not_equal_toIfEEEEPiiNS8_4plusIiEEEE10hipError_tPvRmT1_T2_T3_mT4_P12ihipStream_tbEUlT_E0_NS1_11comp_targetILNS1_3genE5ELNS1_11target_archE942ELNS1_3gpuE9ELNS1_3repE0EEENS1_30default_config_static_selectorELNS0_4arch9wavefront6targetE1EEEvSL_, .Lfunc_end1889-_ZN7rocprim17ROCPRIM_400000_NS6detail17trampoline_kernelINS0_14default_configENS1_22reduce_config_selectorIiEEZNS1_11reduce_implILb1ES3_N6thrust23THRUST_200600_302600_NS11hip_rocprim35transform_pair_of_input_iterators_tIiPfSB_NS8_12not_equal_toIfEEEEPiiNS8_4plusIiEEEE10hipError_tPvRmT1_T2_T3_mT4_P12ihipStream_tbEUlT_E0_NS1_11comp_targetILNS1_3genE5ELNS1_11target_archE942ELNS1_3gpuE9ELNS1_3repE0EEENS1_30default_config_static_selectorELNS0_4arch9wavefront6targetE1EEEvSL_
                                        ; -- End function
	.set _ZN7rocprim17ROCPRIM_400000_NS6detail17trampoline_kernelINS0_14default_configENS1_22reduce_config_selectorIiEEZNS1_11reduce_implILb1ES3_N6thrust23THRUST_200600_302600_NS11hip_rocprim35transform_pair_of_input_iterators_tIiPfSB_NS8_12not_equal_toIfEEEEPiiNS8_4plusIiEEEE10hipError_tPvRmT1_T2_T3_mT4_P12ihipStream_tbEUlT_E0_NS1_11comp_targetILNS1_3genE5ELNS1_11target_archE942ELNS1_3gpuE9ELNS1_3repE0EEENS1_30default_config_static_selectorELNS0_4arch9wavefront6targetE1EEEvSL_.num_vgpr, 0
	.set _ZN7rocprim17ROCPRIM_400000_NS6detail17trampoline_kernelINS0_14default_configENS1_22reduce_config_selectorIiEEZNS1_11reduce_implILb1ES3_N6thrust23THRUST_200600_302600_NS11hip_rocprim35transform_pair_of_input_iterators_tIiPfSB_NS8_12not_equal_toIfEEEEPiiNS8_4plusIiEEEE10hipError_tPvRmT1_T2_T3_mT4_P12ihipStream_tbEUlT_E0_NS1_11comp_targetILNS1_3genE5ELNS1_11target_archE942ELNS1_3gpuE9ELNS1_3repE0EEENS1_30default_config_static_selectorELNS0_4arch9wavefront6targetE1EEEvSL_.num_agpr, 0
	.set _ZN7rocprim17ROCPRIM_400000_NS6detail17trampoline_kernelINS0_14default_configENS1_22reduce_config_selectorIiEEZNS1_11reduce_implILb1ES3_N6thrust23THRUST_200600_302600_NS11hip_rocprim35transform_pair_of_input_iterators_tIiPfSB_NS8_12not_equal_toIfEEEEPiiNS8_4plusIiEEEE10hipError_tPvRmT1_T2_T3_mT4_P12ihipStream_tbEUlT_E0_NS1_11comp_targetILNS1_3genE5ELNS1_11target_archE942ELNS1_3gpuE9ELNS1_3repE0EEENS1_30default_config_static_selectorELNS0_4arch9wavefront6targetE1EEEvSL_.numbered_sgpr, 0
	.set _ZN7rocprim17ROCPRIM_400000_NS6detail17trampoline_kernelINS0_14default_configENS1_22reduce_config_selectorIiEEZNS1_11reduce_implILb1ES3_N6thrust23THRUST_200600_302600_NS11hip_rocprim35transform_pair_of_input_iterators_tIiPfSB_NS8_12not_equal_toIfEEEEPiiNS8_4plusIiEEEE10hipError_tPvRmT1_T2_T3_mT4_P12ihipStream_tbEUlT_E0_NS1_11comp_targetILNS1_3genE5ELNS1_11target_archE942ELNS1_3gpuE9ELNS1_3repE0EEENS1_30default_config_static_selectorELNS0_4arch9wavefront6targetE1EEEvSL_.num_named_barrier, 0
	.set _ZN7rocprim17ROCPRIM_400000_NS6detail17trampoline_kernelINS0_14default_configENS1_22reduce_config_selectorIiEEZNS1_11reduce_implILb1ES3_N6thrust23THRUST_200600_302600_NS11hip_rocprim35transform_pair_of_input_iterators_tIiPfSB_NS8_12not_equal_toIfEEEEPiiNS8_4plusIiEEEE10hipError_tPvRmT1_T2_T3_mT4_P12ihipStream_tbEUlT_E0_NS1_11comp_targetILNS1_3genE5ELNS1_11target_archE942ELNS1_3gpuE9ELNS1_3repE0EEENS1_30default_config_static_selectorELNS0_4arch9wavefront6targetE1EEEvSL_.private_seg_size, 0
	.set _ZN7rocprim17ROCPRIM_400000_NS6detail17trampoline_kernelINS0_14default_configENS1_22reduce_config_selectorIiEEZNS1_11reduce_implILb1ES3_N6thrust23THRUST_200600_302600_NS11hip_rocprim35transform_pair_of_input_iterators_tIiPfSB_NS8_12not_equal_toIfEEEEPiiNS8_4plusIiEEEE10hipError_tPvRmT1_T2_T3_mT4_P12ihipStream_tbEUlT_E0_NS1_11comp_targetILNS1_3genE5ELNS1_11target_archE942ELNS1_3gpuE9ELNS1_3repE0EEENS1_30default_config_static_selectorELNS0_4arch9wavefront6targetE1EEEvSL_.uses_vcc, 0
	.set _ZN7rocprim17ROCPRIM_400000_NS6detail17trampoline_kernelINS0_14default_configENS1_22reduce_config_selectorIiEEZNS1_11reduce_implILb1ES3_N6thrust23THRUST_200600_302600_NS11hip_rocprim35transform_pair_of_input_iterators_tIiPfSB_NS8_12not_equal_toIfEEEEPiiNS8_4plusIiEEEE10hipError_tPvRmT1_T2_T3_mT4_P12ihipStream_tbEUlT_E0_NS1_11comp_targetILNS1_3genE5ELNS1_11target_archE942ELNS1_3gpuE9ELNS1_3repE0EEENS1_30default_config_static_selectorELNS0_4arch9wavefront6targetE1EEEvSL_.uses_flat_scratch, 0
	.set _ZN7rocprim17ROCPRIM_400000_NS6detail17trampoline_kernelINS0_14default_configENS1_22reduce_config_selectorIiEEZNS1_11reduce_implILb1ES3_N6thrust23THRUST_200600_302600_NS11hip_rocprim35transform_pair_of_input_iterators_tIiPfSB_NS8_12not_equal_toIfEEEEPiiNS8_4plusIiEEEE10hipError_tPvRmT1_T2_T3_mT4_P12ihipStream_tbEUlT_E0_NS1_11comp_targetILNS1_3genE5ELNS1_11target_archE942ELNS1_3gpuE9ELNS1_3repE0EEENS1_30default_config_static_selectorELNS0_4arch9wavefront6targetE1EEEvSL_.has_dyn_sized_stack, 0
	.set _ZN7rocprim17ROCPRIM_400000_NS6detail17trampoline_kernelINS0_14default_configENS1_22reduce_config_selectorIiEEZNS1_11reduce_implILb1ES3_N6thrust23THRUST_200600_302600_NS11hip_rocprim35transform_pair_of_input_iterators_tIiPfSB_NS8_12not_equal_toIfEEEEPiiNS8_4plusIiEEEE10hipError_tPvRmT1_T2_T3_mT4_P12ihipStream_tbEUlT_E0_NS1_11comp_targetILNS1_3genE5ELNS1_11target_archE942ELNS1_3gpuE9ELNS1_3repE0EEENS1_30default_config_static_selectorELNS0_4arch9wavefront6targetE1EEEvSL_.has_recursion, 0
	.set _ZN7rocprim17ROCPRIM_400000_NS6detail17trampoline_kernelINS0_14default_configENS1_22reduce_config_selectorIiEEZNS1_11reduce_implILb1ES3_N6thrust23THRUST_200600_302600_NS11hip_rocprim35transform_pair_of_input_iterators_tIiPfSB_NS8_12not_equal_toIfEEEEPiiNS8_4plusIiEEEE10hipError_tPvRmT1_T2_T3_mT4_P12ihipStream_tbEUlT_E0_NS1_11comp_targetILNS1_3genE5ELNS1_11target_archE942ELNS1_3gpuE9ELNS1_3repE0EEENS1_30default_config_static_selectorELNS0_4arch9wavefront6targetE1EEEvSL_.has_indirect_call, 0
	.section	.AMDGPU.csdata,"",@progbits
; Kernel info:
; codeLenInByte = 0
; TotalNumSgprs: 4
; NumVgprs: 0
; ScratchSize: 0
; MemoryBound: 0
; FloatMode: 240
; IeeeMode: 1
; LDSByteSize: 0 bytes/workgroup (compile time only)
; SGPRBlocks: 0
; VGPRBlocks: 0
; NumSGPRsForWavesPerEU: 4
; NumVGPRsForWavesPerEU: 1
; Occupancy: 10
; WaveLimiterHint : 0
; COMPUTE_PGM_RSRC2:SCRATCH_EN: 0
; COMPUTE_PGM_RSRC2:USER_SGPR: 6
; COMPUTE_PGM_RSRC2:TRAP_HANDLER: 0
; COMPUTE_PGM_RSRC2:TGID_X_EN: 1
; COMPUTE_PGM_RSRC2:TGID_Y_EN: 0
; COMPUTE_PGM_RSRC2:TGID_Z_EN: 0
; COMPUTE_PGM_RSRC2:TIDIG_COMP_CNT: 0
	.section	.text._ZN7rocprim17ROCPRIM_400000_NS6detail17trampoline_kernelINS0_14default_configENS1_22reduce_config_selectorIiEEZNS1_11reduce_implILb1ES3_N6thrust23THRUST_200600_302600_NS11hip_rocprim35transform_pair_of_input_iterators_tIiPfSB_NS8_12not_equal_toIfEEEEPiiNS8_4plusIiEEEE10hipError_tPvRmT1_T2_T3_mT4_P12ihipStream_tbEUlT_E0_NS1_11comp_targetILNS1_3genE4ELNS1_11target_archE910ELNS1_3gpuE8ELNS1_3repE0EEENS1_30default_config_static_selectorELNS0_4arch9wavefront6targetE1EEEvSL_,"axG",@progbits,_ZN7rocprim17ROCPRIM_400000_NS6detail17trampoline_kernelINS0_14default_configENS1_22reduce_config_selectorIiEEZNS1_11reduce_implILb1ES3_N6thrust23THRUST_200600_302600_NS11hip_rocprim35transform_pair_of_input_iterators_tIiPfSB_NS8_12not_equal_toIfEEEEPiiNS8_4plusIiEEEE10hipError_tPvRmT1_T2_T3_mT4_P12ihipStream_tbEUlT_E0_NS1_11comp_targetILNS1_3genE4ELNS1_11target_archE910ELNS1_3gpuE8ELNS1_3repE0EEENS1_30default_config_static_selectorELNS0_4arch9wavefront6targetE1EEEvSL_,comdat
	.protected	_ZN7rocprim17ROCPRIM_400000_NS6detail17trampoline_kernelINS0_14default_configENS1_22reduce_config_selectorIiEEZNS1_11reduce_implILb1ES3_N6thrust23THRUST_200600_302600_NS11hip_rocprim35transform_pair_of_input_iterators_tIiPfSB_NS8_12not_equal_toIfEEEEPiiNS8_4plusIiEEEE10hipError_tPvRmT1_T2_T3_mT4_P12ihipStream_tbEUlT_E0_NS1_11comp_targetILNS1_3genE4ELNS1_11target_archE910ELNS1_3gpuE8ELNS1_3repE0EEENS1_30default_config_static_selectorELNS0_4arch9wavefront6targetE1EEEvSL_ ; -- Begin function _ZN7rocprim17ROCPRIM_400000_NS6detail17trampoline_kernelINS0_14default_configENS1_22reduce_config_selectorIiEEZNS1_11reduce_implILb1ES3_N6thrust23THRUST_200600_302600_NS11hip_rocprim35transform_pair_of_input_iterators_tIiPfSB_NS8_12not_equal_toIfEEEEPiiNS8_4plusIiEEEE10hipError_tPvRmT1_T2_T3_mT4_P12ihipStream_tbEUlT_E0_NS1_11comp_targetILNS1_3genE4ELNS1_11target_archE910ELNS1_3gpuE8ELNS1_3repE0EEENS1_30default_config_static_selectorELNS0_4arch9wavefront6targetE1EEEvSL_
	.globl	_ZN7rocprim17ROCPRIM_400000_NS6detail17trampoline_kernelINS0_14default_configENS1_22reduce_config_selectorIiEEZNS1_11reduce_implILb1ES3_N6thrust23THRUST_200600_302600_NS11hip_rocprim35transform_pair_of_input_iterators_tIiPfSB_NS8_12not_equal_toIfEEEEPiiNS8_4plusIiEEEE10hipError_tPvRmT1_T2_T3_mT4_P12ihipStream_tbEUlT_E0_NS1_11comp_targetILNS1_3genE4ELNS1_11target_archE910ELNS1_3gpuE8ELNS1_3repE0EEENS1_30default_config_static_selectorELNS0_4arch9wavefront6targetE1EEEvSL_
	.p2align	8
	.type	_ZN7rocprim17ROCPRIM_400000_NS6detail17trampoline_kernelINS0_14default_configENS1_22reduce_config_selectorIiEEZNS1_11reduce_implILb1ES3_N6thrust23THRUST_200600_302600_NS11hip_rocprim35transform_pair_of_input_iterators_tIiPfSB_NS8_12not_equal_toIfEEEEPiiNS8_4plusIiEEEE10hipError_tPvRmT1_T2_T3_mT4_P12ihipStream_tbEUlT_E0_NS1_11comp_targetILNS1_3genE4ELNS1_11target_archE910ELNS1_3gpuE8ELNS1_3repE0EEENS1_30default_config_static_selectorELNS0_4arch9wavefront6targetE1EEEvSL_,@function
_ZN7rocprim17ROCPRIM_400000_NS6detail17trampoline_kernelINS0_14default_configENS1_22reduce_config_selectorIiEEZNS1_11reduce_implILb1ES3_N6thrust23THRUST_200600_302600_NS11hip_rocprim35transform_pair_of_input_iterators_tIiPfSB_NS8_12not_equal_toIfEEEEPiiNS8_4plusIiEEEE10hipError_tPvRmT1_T2_T3_mT4_P12ihipStream_tbEUlT_E0_NS1_11comp_targetILNS1_3genE4ELNS1_11target_archE910ELNS1_3gpuE8ELNS1_3repE0EEENS1_30default_config_static_selectorELNS0_4arch9wavefront6targetE1EEEvSL_: ; @_ZN7rocprim17ROCPRIM_400000_NS6detail17trampoline_kernelINS0_14default_configENS1_22reduce_config_selectorIiEEZNS1_11reduce_implILb1ES3_N6thrust23THRUST_200600_302600_NS11hip_rocprim35transform_pair_of_input_iterators_tIiPfSB_NS8_12not_equal_toIfEEEEPiiNS8_4plusIiEEEE10hipError_tPvRmT1_T2_T3_mT4_P12ihipStream_tbEUlT_E0_NS1_11comp_targetILNS1_3genE4ELNS1_11target_archE910ELNS1_3gpuE8ELNS1_3repE0EEENS1_30default_config_static_selectorELNS0_4arch9wavefront6targetE1EEEvSL_
; %bb.0:
	.section	.rodata,"a",@progbits
	.p2align	6, 0x0
	.amdhsa_kernel _ZN7rocprim17ROCPRIM_400000_NS6detail17trampoline_kernelINS0_14default_configENS1_22reduce_config_selectorIiEEZNS1_11reduce_implILb1ES3_N6thrust23THRUST_200600_302600_NS11hip_rocprim35transform_pair_of_input_iterators_tIiPfSB_NS8_12not_equal_toIfEEEEPiiNS8_4plusIiEEEE10hipError_tPvRmT1_T2_T3_mT4_P12ihipStream_tbEUlT_E0_NS1_11comp_targetILNS1_3genE4ELNS1_11target_archE910ELNS1_3gpuE8ELNS1_3repE0EEENS1_30default_config_static_selectorELNS0_4arch9wavefront6targetE1EEEvSL_
		.amdhsa_group_segment_fixed_size 0
		.amdhsa_private_segment_fixed_size 0
		.amdhsa_kernarg_size 72
		.amdhsa_user_sgpr_count 6
		.amdhsa_user_sgpr_private_segment_buffer 1
		.amdhsa_user_sgpr_dispatch_ptr 0
		.amdhsa_user_sgpr_queue_ptr 0
		.amdhsa_user_sgpr_kernarg_segment_ptr 1
		.amdhsa_user_sgpr_dispatch_id 0
		.amdhsa_user_sgpr_flat_scratch_init 0
		.amdhsa_user_sgpr_private_segment_size 0
		.amdhsa_uses_dynamic_stack 0
		.amdhsa_system_sgpr_private_segment_wavefront_offset 0
		.amdhsa_system_sgpr_workgroup_id_x 1
		.amdhsa_system_sgpr_workgroup_id_y 0
		.amdhsa_system_sgpr_workgroup_id_z 0
		.amdhsa_system_sgpr_workgroup_info 0
		.amdhsa_system_vgpr_workitem_id 0
		.amdhsa_next_free_vgpr 1
		.amdhsa_next_free_sgpr 0
		.amdhsa_reserve_vcc 0
		.amdhsa_reserve_flat_scratch 0
		.amdhsa_float_round_mode_32 0
		.amdhsa_float_round_mode_16_64 0
		.amdhsa_float_denorm_mode_32 3
		.amdhsa_float_denorm_mode_16_64 3
		.amdhsa_dx10_clamp 1
		.amdhsa_ieee_mode 1
		.amdhsa_fp16_overflow 0
		.amdhsa_exception_fp_ieee_invalid_op 0
		.amdhsa_exception_fp_denorm_src 0
		.amdhsa_exception_fp_ieee_div_zero 0
		.amdhsa_exception_fp_ieee_overflow 0
		.amdhsa_exception_fp_ieee_underflow 0
		.amdhsa_exception_fp_ieee_inexact 0
		.amdhsa_exception_int_div_zero 0
	.end_amdhsa_kernel
	.section	.text._ZN7rocprim17ROCPRIM_400000_NS6detail17trampoline_kernelINS0_14default_configENS1_22reduce_config_selectorIiEEZNS1_11reduce_implILb1ES3_N6thrust23THRUST_200600_302600_NS11hip_rocprim35transform_pair_of_input_iterators_tIiPfSB_NS8_12not_equal_toIfEEEEPiiNS8_4plusIiEEEE10hipError_tPvRmT1_T2_T3_mT4_P12ihipStream_tbEUlT_E0_NS1_11comp_targetILNS1_3genE4ELNS1_11target_archE910ELNS1_3gpuE8ELNS1_3repE0EEENS1_30default_config_static_selectorELNS0_4arch9wavefront6targetE1EEEvSL_,"axG",@progbits,_ZN7rocprim17ROCPRIM_400000_NS6detail17trampoline_kernelINS0_14default_configENS1_22reduce_config_selectorIiEEZNS1_11reduce_implILb1ES3_N6thrust23THRUST_200600_302600_NS11hip_rocprim35transform_pair_of_input_iterators_tIiPfSB_NS8_12not_equal_toIfEEEEPiiNS8_4plusIiEEEE10hipError_tPvRmT1_T2_T3_mT4_P12ihipStream_tbEUlT_E0_NS1_11comp_targetILNS1_3genE4ELNS1_11target_archE910ELNS1_3gpuE8ELNS1_3repE0EEENS1_30default_config_static_selectorELNS0_4arch9wavefront6targetE1EEEvSL_,comdat
.Lfunc_end1890:
	.size	_ZN7rocprim17ROCPRIM_400000_NS6detail17trampoline_kernelINS0_14default_configENS1_22reduce_config_selectorIiEEZNS1_11reduce_implILb1ES3_N6thrust23THRUST_200600_302600_NS11hip_rocprim35transform_pair_of_input_iterators_tIiPfSB_NS8_12not_equal_toIfEEEEPiiNS8_4plusIiEEEE10hipError_tPvRmT1_T2_T3_mT4_P12ihipStream_tbEUlT_E0_NS1_11comp_targetILNS1_3genE4ELNS1_11target_archE910ELNS1_3gpuE8ELNS1_3repE0EEENS1_30default_config_static_selectorELNS0_4arch9wavefront6targetE1EEEvSL_, .Lfunc_end1890-_ZN7rocprim17ROCPRIM_400000_NS6detail17trampoline_kernelINS0_14default_configENS1_22reduce_config_selectorIiEEZNS1_11reduce_implILb1ES3_N6thrust23THRUST_200600_302600_NS11hip_rocprim35transform_pair_of_input_iterators_tIiPfSB_NS8_12not_equal_toIfEEEEPiiNS8_4plusIiEEEE10hipError_tPvRmT1_T2_T3_mT4_P12ihipStream_tbEUlT_E0_NS1_11comp_targetILNS1_3genE4ELNS1_11target_archE910ELNS1_3gpuE8ELNS1_3repE0EEENS1_30default_config_static_selectorELNS0_4arch9wavefront6targetE1EEEvSL_
                                        ; -- End function
	.set _ZN7rocprim17ROCPRIM_400000_NS6detail17trampoline_kernelINS0_14default_configENS1_22reduce_config_selectorIiEEZNS1_11reduce_implILb1ES3_N6thrust23THRUST_200600_302600_NS11hip_rocprim35transform_pair_of_input_iterators_tIiPfSB_NS8_12not_equal_toIfEEEEPiiNS8_4plusIiEEEE10hipError_tPvRmT1_T2_T3_mT4_P12ihipStream_tbEUlT_E0_NS1_11comp_targetILNS1_3genE4ELNS1_11target_archE910ELNS1_3gpuE8ELNS1_3repE0EEENS1_30default_config_static_selectorELNS0_4arch9wavefront6targetE1EEEvSL_.num_vgpr, 0
	.set _ZN7rocprim17ROCPRIM_400000_NS6detail17trampoline_kernelINS0_14default_configENS1_22reduce_config_selectorIiEEZNS1_11reduce_implILb1ES3_N6thrust23THRUST_200600_302600_NS11hip_rocprim35transform_pair_of_input_iterators_tIiPfSB_NS8_12not_equal_toIfEEEEPiiNS8_4plusIiEEEE10hipError_tPvRmT1_T2_T3_mT4_P12ihipStream_tbEUlT_E0_NS1_11comp_targetILNS1_3genE4ELNS1_11target_archE910ELNS1_3gpuE8ELNS1_3repE0EEENS1_30default_config_static_selectorELNS0_4arch9wavefront6targetE1EEEvSL_.num_agpr, 0
	.set _ZN7rocprim17ROCPRIM_400000_NS6detail17trampoline_kernelINS0_14default_configENS1_22reduce_config_selectorIiEEZNS1_11reduce_implILb1ES3_N6thrust23THRUST_200600_302600_NS11hip_rocprim35transform_pair_of_input_iterators_tIiPfSB_NS8_12not_equal_toIfEEEEPiiNS8_4plusIiEEEE10hipError_tPvRmT1_T2_T3_mT4_P12ihipStream_tbEUlT_E0_NS1_11comp_targetILNS1_3genE4ELNS1_11target_archE910ELNS1_3gpuE8ELNS1_3repE0EEENS1_30default_config_static_selectorELNS0_4arch9wavefront6targetE1EEEvSL_.numbered_sgpr, 0
	.set _ZN7rocprim17ROCPRIM_400000_NS6detail17trampoline_kernelINS0_14default_configENS1_22reduce_config_selectorIiEEZNS1_11reduce_implILb1ES3_N6thrust23THRUST_200600_302600_NS11hip_rocprim35transform_pair_of_input_iterators_tIiPfSB_NS8_12not_equal_toIfEEEEPiiNS8_4plusIiEEEE10hipError_tPvRmT1_T2_T3_mT4_P12ihipStream_tbEUlT_E0_NS1_11comp_targetILNS1_3genE4ELNS1_11target_archE910ELNS1_3gpuE8ELNS1_3repE0EEENS1_30default_config_static_selectorELNS0_4arch9wavefront6targetE1EEEvSL_.num_named_barrier, 0
	.set _ZN7rocprim17ROCPRIM_400000_NS6detail17trampoline_kernelINS0_14default_configENS1_22reduce_config_selectorIiEEZNS1_11reduce_implILb1ES3_N6thrust23THRUST_200600_302600_NS11hip_rocprim35transform_pair_of_input_iterators_tIiPfSB_NS8_12not_equal_toIfEEEEPiiNS8_4plusIiEEEE10hipError_tPvRmT1_T2_T3_mT4_P12ihipStream_tbEUlT_E0_NS1_11comp_targetILNS1_3genE4ELNS1_11target_archE910ELNS1_3gpuE8ELNS1_3repE0EEENS1_30default_config_static_selectorELNS0_4arch9wavefront6targetE1EEEvSL_.private_seg_size, 0
	.set _ZN7rocprim17ROCPRIM_400000_NS6detail17trampoline_kernelINS0_14default_configENS1_22reduce_config_selectorIiEEZNS1_11reduce_implILb1ES3_N6thrust23THRUST_200600_302600_NS11hip_rocprim35transform_pair_of_input_iterators_tIiPfSB_NS8_12not_equal_toIfEEEEPiiNS8_4plusIiEEEE10hipError_tPvRmT1_T2_T3_mT4_P12ihipStream_tbEUlT_E0_NS1_11comp_targetILNS1_3genE4ELNS1_11target_archE910ELNS1_3gpuE8ELNS1_3repE0EEENS1_30default_config_static_selectorELNS0_4arch9wavefront6targetE1EEEvSL_.uses_vcc, 0
	.set _ZN7rocprim17ROCPRIM_400000_NS6detail17trampoline_kernelINS0_14default_configENS1_22reduce_config_selectorIiEEZNS1_11reduce_implILb1ES3_N6thrust23THRUST_200600_302600_NS11hip_rocprim35transform_pair_of_input_iterators_tIiPfSB_NS8_12not_equal_toIfEEEEPiiNS8_4plusIiEEEE10hipError_tPvRmT1_T2_T3_mT4_P12ihipStream_tbEUlT_E0_NS1_11comp_targetILNS1_3genE4ELNS1_11target_archE910ELNS1_3gpuE8ELNS1_3repE0EEENS1_30default_config_static_selectorELNS0_4arch9wavefront6targetE1EEEvSL_.uses_flat_scratch, 0
	.set _ZN7rocprim17ROCPRIM_400000_NS6detail17trampoline_kernelINS0_14default_configENS1_22reduce_config_selectorIiEEZNS1_11reduce_implILb1ES3_N6thrust23THRUST_200600_302600_NS11hip_rocprim35transform_pair_of_input_iterators_tIiPfSB_NS8_12not_equal_toIfEEEEPiiNS8_4plusIiEEEE10hipError_tPvRmT1_T2_T3_mT4_P12ihipStream_tbEUlT_E0_NS1_11comp_targetILNS1_3genE4ELNS1_11target_archE910ELNS1_3gpuE8ELNS1_3repE0EEENS1_30default_config_static_selectorELNS0_4arch9wavefront6targetE1EEEvSL_.has_dyn_sized_stack, 0
	.set _ZN7rocprim17ROCPRIM_400000_NS6detail17trampoline_kernelINS0_14default_configENS1_22reduce_config_selectorIiEEZNS1_11reduce_implILb1ES3_N6thrust23THRUST_200600_302600_NS11hip_rocprim35transform_pair_of_input_iterators_tIiPfSB_NS8_12not_equal_toIfEEEEPiiNS8_4plusIiEEEE10hipError_tPvRmT1_T2_T3_mT4_P12ihipStream_tbEUlT_E0_NS1_11comp_targetILNS1_3genE4ELNS1_11target_archE910ELNS1_3gpuE8ELNS1_3repE0EEENS1_30default_config_static_selectorELNS0_4arch9wavefront6targetE1EEEvSL_.has_recursion, 0
	.set _ZN7rocprim17ROCPRIM_400000_NS6detail17trampoline_kernelINS0_14default_configENS1_22reduce_config_selectorIiEEZNS1_11reduce_implILb1ES3_N6thrust23THRUST_200600_302600_NS11hip_rocprim35transform_pair_of_input_iterators_tIiPfSB_NS8_12not_equal_toIfEEEEPiiNS8_4plusIiEEEE10hipError_tPvRmT1_T2_T3_mT4_P12ihipStream_tbEUlT_E0_NS1_11comp_targetILNS1_3genE4ELNS1_11target_archE910ELNS1_3gpuE8ELNS1_3repE0EEENS1_30default_config_static_selectorELNS0_4arch9wavefront6targetE1EEEvSL_.has_indirect_call, 0
	.section	.AMDGPU.csdata,"",@progbits
; Kernel info:
; codeLenInByte = 0
; TotalNumSgprs: 4
; NumVgprs: 0
; ScratchSize: 0
; MemoryBound: 0
; FloatMode: 240
; IeeeMode: 1
; LDSByteSize: 0 bytes/workgroup (compile time only)
; SGPRBlocks: 0
; VGPRBlocks: 0
; NumSGPRsForWavesPerEU: 4
; NumVGPRsForWavesPerEU: 1
; Occupancy: 10
; WaveLimiterHint : 0
; COMPUTE_PGM_RSRC2:SCRATCH_EN: 0
; COMPUTE_PGM_RSRC2:USER_SGPR: 6
; COMPUTE_PGM_RSRC2:TRAP_HANDLER: 0
; COMPUTE_PGM_RSRC2:TGID_X_EN: 1
; COMPUTE_PGM_RSRC2:TGID_Y_EN: 0
; COMPUTE_PGM_RSRC2:TGID_Z_EN: 0
; COMPUTE_PGM_RSRC2:TIDIG_COMP_CNT: 0
	.section	.text._ZN7rocprim17ROCPRIM_400000_NS6detail17trampoline_kernelINS0_14default_configENS1_22reduce_config_selectorIiEEZNS1_11reduce_implILb1ES3_N6thrust23THRUST_200600_302600_NS11hip_rocprim35transform_pair_of_input_iterators_tIiPfSB_NS8_12not_equal_toIfEEEEPiiNS8_4plusIiEEEE10hipError_tPvRmT1_T2_T3_mT4_P12ihipStream_tbEUlT_E0_NS1_11comp_targetILNS1_3genE3ELNS1_11target_archE908ELNS1_3gpuE7ELNS1_3repE0EEENS1_30default_config_static_selectorELNS0_4arch9wavefront6targetE1EEEvSL_,"axG",@progbits,_ZN7rocprim17ROCPRIM_400000_NS6detail17trampoline_kernelINS0_14default_configENS1_22reduce_config_selectorIiEEZNS1_11reduce_implILb1ES3_N6thrust23THRUST_200600_302600_NS11hip_rocprim35transform_pair_of_input_iterators_tIiPfSB_NS8_12not_equal_toIfEEEEPiiNS8_4plusIiEEEE10hipError_tPvRmT1_T2_T3_mT4_P12ihipStream_tbEUlT_E0_NS1_11comp_targetILNS1_3genE3ELNS1_11target_archE908ELNS1_3gpuE7ELNS1_3repE0EEENS1_30default_config_static_selectorELNS0_4arch9wavefront6targetE1EEEvSL_,comdat
	.protected	_ZN7rocprim17ROCPRIM_400000_NS6detail17trampoline_kernelINS0_14default_configENS1_22reduce_config_selectorIiEEZNS1_11reduce_implILb1ES3_N6thrust23THRUST_200600_302600_NS11hip_rocprim35transform_pair_of_input_iterators_tIiPfSB_NS8_12not_equal_toIfEEEEPiiNS8_4plusIiEEEE10hipError_tPvRmT1_T2_T3_mT4_P12ihipStream_tbEUlT_E0_NS1_11comp_targetILNS1_3genE3ELNS1_11target_archE908ELNS1_3gpuE7ELNS1_3repE0EEENS1_30default_config_static_selectorELNS0_4arch9wavefront6targetE1EEEvSL_ ; -- Begin function _ZN7rocprim17ROCPRIM_400000_NS6detail17trampoline_kernelINS0_14default_configENS1_22reduce_config_selectorIiEEZNS1_11reduce_implILb1ES3_N6thrust23THRUST_200600_302600_NS11hip_rocprim35transform_pair_of_input_iterators_tIiPfSB_NS8_12not_equal_toIfEEEEPiiNS8_4plusIiEEEE10hipError_tPvRmT1_T2_T3_mT4_P12ihipStream_tbEUlT_E0_NS1_11comp_targetILNS1_3genE3ELNS1_11target_archE908ELNS1_3gpuE7ELNS1_3repE0EEENS1_30default_config_static_selectorELNS0_4arch9wavefront6targetE1EEEvSL_
	.globl	_ZN7rocprim17ROCPRIM_400000_NS6detail17trampoline_kernelINS0_14default_configENS1_22reduce_config_selectorIiEEZNS1_11reduce_implILb1ES3_N6thrust23THRUST_200600_302600_NS11hip_rocprim35transform_pair_of_input_iterators_tIiPfSB_NS8_12not_equal_toIfEEEEPiiNS8_4plusIiEEEE10hipError_tPvRmT1_T2_T3_mT4_P12ihipStream_tbEUlT_E0_NS1_11comp_targetILNS1_3genE3ELNS1_11target_archE908ELNS1_3gpuE7ELNS1_3repE0EEENS1_30default_config_static_selectorELNS0_4arch9wavefront6targetE1EEEvSL_
	.p2align	8
	.type	_ZN7rocprim17ROCPRIM_400000_NS6detail17trampoline_kernelINS0_14default_configENS1_22reduce_config_selectorIiEEZNS1_11reduce_implILb1ES3_N6thrust23THRUST_200600_302600_NS11hip_rocprim35transform_pair_of_input_iterators_tIiPfSB_NS8_12not_equal_toIfEEEEPiiNS8_4plusIiEEEE10hipError_tPvRmT1_T2_T3_mT4_P12ihipStream_tbEUlT_E0_NS1_11comp_targetILNS1_3genE3ELNS1_11target_archE908ELNS1_3gpuE7ELNS1_3repE0EEENS1_30default_config_static_selectorELNS0_4arch9wavefront6targetE1EEEvSL_,@function
_ZN7rocprim17ROCPRIM_400000_NS6detail17trampoline_kernelINS0_14default_configENS1_22reduce_config_selectorIiEEZNS1_11reduce_implILb1ES3_N6thrust23THRUST_200600_302600_NS11hip_rocprim35transform_pair_of_input_iterators_tIiPfSB_NS8_12not_equal_toIfEEEEPiiNS8_4plusIiEEEE10hipError_tPvRmT1_T2_T3_mT4_P12ihipStream_tbEUlT_E0_NS1_11comp_targetILNS1_3genE3ELNS1_11target_archE908ELNS1_3gpuE7ELNS1_3repE0EEENS1_30default_config_static_selectorELNS0_4arch9wavefront6targetE1EEEvSL_: ; @_ZN7rocprim17ROCPRIM_400000_NS6detail17trampoline_kernelINS0_14default_configENS1_22reduce_config_selectorIiEEZNS1_11reduce_implILb1ES3_N6thrust23THRUST_200600_302600_NS11hip_rocprim35transform_pair_of_input_iterators_tIiPfSB_NS8_12not_equal_toIfEEEEPiiNS8_4plusIiEEEE10hipError_tPvRmT1_T2_T3_mT4_P12ihipStream_tbEUlT_E0_NS1_11comp_targetILNS1_3genE3ELNS1_11target_archE908ELNS1_3gpuE7ELNS1_3repE0EEENS1_30default_config_static_selectorELNS0_4arch9wavefront6targetE1EEEvSL_
; %bb.0:
	.section	.rodata,"a",@progbits
	.p2align	6, 0x0
	.amdhsa_kernel _ZN7rocprim17ROCPRIM_400000_NS6detail17trampoline_kernelINS0_14default_configENS1_22reduce_config_selectorIiEEZNS1_11reduce_implILb1ES3_N6thrust23THRUST_200600_302600_NS11hip_rocprim35transform_pair_of_input_iterators_tIiPfSB_NS8_12not_equal_toIfEEEEPiiNS8_4plusIiEEEE10hipError_tPvRmT1_T2_T3_mT4_P12ihipStream_tbEUlT_E0_NS1_11comp_targetILNS1_3genE3ELNS1_11target_archE908ELNS1_3gpuE7ELNS1_3repE0EEENS1_30default_config_static_selectorELNS0_4arch9wavefront6targetE1EEEvSL_
		.amdhsa_group_segment_fixed_size 0
		.amdhsa_private_segment_fixed_size 0
		.amdhsa_kernarg_size 72
		.amdhsa_user_sgpr_count 6
		.amdhsa_user_sgpr_private_segment_buffer 1
		.amdhsa_user_sgpr_dispatch_ptr 0
		.amdhsa_user_sgpr_queue_ptr 0
		.amdhsa_user_sgpr_kernarg_segment_ptr 1
		.amdhsa_user_sgpr_dispatch_id 0
		.amdhsa_user_sgpr_flat_scratch_init 0
		.amdhsa_user_sgpr_private_segment_size 0
		.amdhsa_uses_dynamic_stack 0
		.amdhsa_system_sgpr_private_segment_wavefront_offset 0
		.amdhsa_system_sgpr_workgroup_id_x 1
		.amdhsa_system_sgpr_workgroup_id_y 0
		.amdhsa_system_sgpr_workgroup_id_z 0
		.amdhsa_system_sgpr_workgroup_info 0
		.amdhsa_system_vgpr_workitem_id 0
		.amdhsa_next_free_vgpr 1
		.amdhsa_next_free_sgpr 0
		.amdhsa_reserve_vcc 0
		.amdhsa_reserve_flat_scratch 0
		.amdhsa_float_round_mode_32 0
		.amdhsa_float_round_mode_16_64 0
		.amdhsa_float_denorm_mode_32 3
		.amdhsa_float_denorm_mode_16_64 3
		.amdhsa_dx10_clamp 1
		.amdhsa_ieee_mode 1
		.amdhsa_fp16_overflow 0
		.amdhsa_exception_fp_ieee_invalid_op 0
		.amdhsa_exception_fp_denorm_src 0
		.amdhsa_exception_fp_ieee_div_zero 0
		.amdhsa_exception_fp_ieee_overflow 0
		.amdhsa_exception_fp_ieee_underflow 0
		.amdhsa_exception_fp_ieee_inexact 0
		.amdhsa_exception_int_div_zero 0
	.end_amdhsa_kernel
	.section	.text._ZN7rocprim17ROCPRIM_400000_NS6detail17trampoline_kernelINS0_14default_configENS1_22reduce_config_selectorIiEEZNS1_11reduce_implILb1ES3_N6thrust23THRUST_200600_302600_NS11hip_rocprim35transform_pair_of_input_iterators_tIiPfSB_NS8_12not_equal_toIfEEEEPiiNS8_4plusIiEEEE10hipError_tPvRmT1_T2_T3_mT4_P12ihipStream_tbEUlT_E0_NS1_11comp_targetILNS1_3genE3ELNS1_11target_archE908ELNS1_3gpuE7ELNS1_3repE0EEENS1_30default_config_static_selectorELNS0_4arch9wavefront6targetE1EEEvSL_,"axG",@progbits,_ZN7rocprim17ROCPRIM_400000_NS6detail17trampoline_kernelINS0_14default_configENS1_22reduce_config_selectorIiEEZNS1_11reduce_implILb1ES3_N6thrust23THRUST_200600_302600_NS11hip_rocprim35transform_pair_of_input_iterators_tIiPfSB_NS8_12not_equal_toIfEEEEPiiNS8_4plusIiEEEE10hipError_tPvRmT1_T2_T3_mT4_P12ihipStream_tbEUlT_E0_NS1_11comp_targetILNS1_3genE3ELNS1_11target_archE908ELNS1_3gpuE7ELNS1_3repE0EEENS1_30default_config_static_selectorELNS0_4arch9wavefront6targetE1EEEvSL_,comdat
.Lfunc_end1891:
	.size	_ZN7rocprim17ROCPRIM_400000_NS6detail17trampoline_kernelINS0_14default_configENS1_22reduce_config_selectorIiEEZNS1_11reduce_implILb1ES3_N6thrust23THRUST_200600_302600_NS11hip_rocprim35transform_pair_of_input_iterators_tIiPfSB_NS8_12not_equal_toIfEEEEPiiNS8_4plusIiEEEE10hipError_tPvRmT1_T2_T3_mT4_P12ihipStream_tbEUlT_E0_NS1_11comp_targetILNS1_3genE3ELNS1_11target_archE908ELNS1_3gpuE7ELNS1_3repE0EEENS1_30default_config_static_selectorELNS0_4arch9wavefront6targetE1EEEvSL_, .Lfunc_end1891-_ZN7rocprim17ROCPRIM_400000_NS6detail17trampoline_kernelINS0_14default_configENS1_22reduce_config_selectorIiEEZNS1_11reduce_implILb1ES3_N6thrust23THRUST_200600_302600_NS11hip_rocprim35transform_pair_of_input_iterators_tIiPfSB_NS8_12not_equal_toIfEEEEPiiNS8_4plusIiEEEE10hipError_tPvRmT1_T2_T3_mT4_P12ihipStream_tbEUlT_E0_NS1_11comp_targetILNS1_3genE3ELNS1_11target_archE908ELNS1_3gpuE7ELNS1_3repE0EEENS1_30default_config_static_selectorELNS0_4arch9wavefront6targetE1EEEvSL_
                                        ; -- End function
	.set _ZN7rocprim17ROCPRIM_400000_NS6detail17trampoline_kernelINS0_14default_configENS1_22reduce_config_selectorIiEEZNS1_11reduce_implILb1ES3_N6thrust23THRUST_200600_302600_NS11hip_rocprim35transform_pair_of_input_iterators_tIiPfSB_NS8_12not_equal_toIfEEEEPiiNS8_4plusIiEEEE10hipError_tPvRmT1_T2_T3_mT4_P12ihipStream_tbEUlT_E0_NS1_11comp_targetILNS1_3genE3ELNS1_11target_archE908ELNS1_3gpuE7ELNS1_3repE0EEENS1_30default_config_static_selectorELNS0_4arch9wavefront6targetE1EEEvSL_.num_vgpr, 0
	.set _ZN7rocprim17ROCPRIM_400000_NS6detail17trampoline_kernelINS0_14default_configENS1_22reduce_config_selectorIiEEZNS1_11reduce_implILb1ES3_N6thrust23THRUST_200600_302600_NS11hip_rocprim35transform_pair_of_input_iterators_tIiPfSB_NS8_12not_equal_toIfEEEEPiiNS8_4plusIiEEEE10hipError_tPvRmT1_T2_T3_mT4_P12ihipStream_tbEUlT_E0_NS1_11comp_targetILNS1_3genE3ELNS1_11target_archE908ELNS1_3gpuE7ELNS1_3repE0EEENS1_30default_config_static_selectorELNS0_4arch9wavefront6targetE1EEEvSL_.num_agpr, 0
	.set _ZN7rocprim17ROCPRIM_400000_NS6detail17trampoline_kernelINS0_14default_configENS1_22reduce_config_selectorIiEEZNS1_11reduce_implILb1ES3_N6thrust23THRUST_200600_302600_NS11hip_rocprim35transform_pair_of_input_iterators_tIiPfSB_NS8_12not_equal_toIfEEEEPiiNS8_4plusIiEEEE10hipError_tPvRmT1_T2_T3_mT4_P12ihipStream_tbEUlT_E0_NS1_11comp_targetILNS1_3genE3ELNS1_11target_archE908ELNS1_3gpuE7ELNS1_3repE0EEENS1_30default_config_static_selectorELNS0_4arch9wavefront6targetE1EEEvSL_.numbered_sgpr, 0
	.set _ZN7rocprim17ROCPRIM_400000_NS6detail17trampoline_kernelINS0_14default_configENS1_22reduce_config_selectorIiEEZNS1_11reduce_implILb1ES3_N6thrust23THRUST_200600_302600_NS11hip_rocprim35transform_pair_of_input_iterators_tIiPfSB_NS8_12not_equal_toIfEEEEPiiNS8_4plusIiEEEE10hipError_tPvRmT1_T2_T3_mT4_P12ihipStream_tbEUlT_E0_NS1_11comp_targetILNS1_3genE3ELNS1_11target_archE908ELNS1_3gpuE7ELNS1_3repE0EEENS1_30default_config_static_selectorELNS0_4arch9wavefront6targetE1EEEvSL_.num_named_barrier, 0
	.set _ZN7rocprim17ROCPRIM_400000_NS6detail17trampoline_kernelINS0_14default_configENS1_22reduce_config_selectorIiEEZNS1_11reduce_implILb1ES3_N6thrust23THRUST_200600_302600_NS11hip_rocprim35transform_pair_of_input_iterators_tIiPfSB_NS8_12not_equal_toIfEEEEPiiNS8_4plusIiEEEE10hipError_tPvRmT1_T2_T3_mT4_P12ihipStream_tbEUlT_E0_NS1_11comp_targetILNS1_3genE3ELNS1_11target_archE908ELNS1_3gpuE7ELNS1_3repE0EEENS1_30default_config_static_selectorELNS0_4arch9wavefront6targetE1EEEvSL_.private_seg_size, 0
	.set _ZN7rocprim17ROCPRIM_400000_NS6detail17trampoline_kernelINS0_14default_configENS1_22reduce_config_selectorIiEEZNS1_11reduce_implILb1ES3_N6thrust23THRUST_200600_302600_NS11hip_rocprim35transform_pair_of_input_iterators_tIiPfSB_NS8_12not_equal_toIfEEEEPiiNS8_4plusIiEEEE10hipError_tPvRmT1_T2_T3_mT4_P12ihipStream_tbEUlT_E0_NS1_11comp_targetILNS1_3genE3ELNS1_11target_archE908ELNS1_3gpuE7ELNS1_3repE0EEENS1_30default_config_static_selectorELNS0_4arch9wavefront6targetE1EEEvSL_.uses_vcc, 0
	.set _ZN7rocprim17ROCPRIM_400000_NS6detail17trampoline_kernelINS0_14default_configENS1_22reduce_config_selectorIiEEZNS1_11reduce_implILb1ES3_N6thrust23THRUST_200600_302600_NS11hip_rocprim35transform_pair_of_input_iterators_tIiPfSB_NS8_12not_equal_toIfEEEEPiiNS8_4plusIiEEEE10hipError_tPvRmT1_T2_T3_mT4_P12ihipStream_tbEUlT_E0_NS1_11comp_targetILNS1_3genE3ELNS1_11target_archE908ELNS1_3gpuE7ELNS1_3repE0EEENS1_30default_config_static_selectorELNS0_4arch9wavefront6targetE1EEEvSL_.uses_flat_scratch, 0
	.set _ZN7rocprim17ROCPRIM_400000_NS6detail17trampoline_kernelINS0_14default_configENS1_22reduce_config_selectorIiEEZNS1_11reduce_implILb1ES3_N6thrust23THRUST_200600_302600_NS11hip_rocprim35transform_pair_of_input_iterators_tIiPfSB_NS8_12not_equal_toIfEEEEPiiNS8_4plusIiEEEE10hipError_tPvRmT1_T2_T3_mT4_P12ihipStream_tbEUlT_E0_NS1_11comp_targetILNS1_3genE3ELNS1_11target_archE908ELNS1_3gpuE7ELNS1_3repE0EEENS1_30default_config_static_selectorELNS0_4arch9wavefront6targetE1EEEvSL_.has_dyn_sized_stack, 0
	.set _ZN7rocprim17ROCPRIM_400000_NS6detail17trampoline_kernelINS0_14default_configENS1_22reduce_config_selectorIiEEZNS1_11reduce_implILb1ES3_N6thrust23THRUST_200600_302600_NS11hip_rocprim35transform_pair_of_input_iterators_tIiPfSB_NS8_12not_equal_toIfEEEEPiiNS8_4plusIiEEEE10hipError_tPvRmT1_T2_T3_mT4_P12ihipStream_tbEUlT_E0_NS1_11comp_targetILNS1_3genE3ELNS1_11target_archE908ELNS1_3gpuE7ELNS1_3repE0EEENS1_30default_config_static_selectorELNS0_4arch9wavefront6targetE1EEEvSL_.has_recursion, 0
	.set _ZN7rocprim17ROCPRIM_400000_NS6detail17trampoline_kernelINS0_14default_configENS1_22reduce_config_selectorIiEEZNS1_11reduce_implILb1ES3_N6thrust23THRUST_200600_302600_NS11hip_rocprim35transform_pair_of_input_iterators_tIiPfSB_NS8_12not_equal_toIfEEEEPiiNS8_4plusIiEEEE10hipError_tPvRmT1_T2_T3_mT4_P12ihipStream_tbEUlT_E0_NS1_11comp_targetILNS1_3genE3ELNS1_11target_archE908ELNS1_3gpuE7ELNS1_3repE0EEENS1_30default_config_static_selectorELNS0_4arch9wavefront6targetE1EEEvSL_.has_indirect_call, 0
	.section	.AMDGPU.csdata,"",@progbits
; Kernel info:
; codeLenInByte = 0
; TotalNumSgprs: 4
; NumVgprs: 0
; ScratchSize: 0
; MemoryBound: 0
; FloatMode: 240
; IeeeMode: 1
; LDSByteSize: 0 bytes/workgroup (compile time only)
; SGPRBlocks: 0
; VGPRBlocks: 0
; NumSGPRsForWavesPerEU: 4
; NumVGPRsForWavesPerEU: 1
; Occupancy: 10
; WaveLimiterHint : 0
; COMPUTE_PGM_RSRC2:SCRATCH_EN: 0
; COMPUTE_PGM_RSRC2:USER_SGPR: 6
; COMPUTE_PGM_RSRC2:TRAP_HANDLER: 0
; COMPUTE_PGM_RSRC2:TGID_X_EN: 1
; COMPUTE_PGM_RSRC2:TGID_Y_EN: 0
; COMPUTE_PGM_RSRC2:TGID_Z_EN: 0
; COMPUTE_PGM_RSRC2:TIDIG_COMP_CNT: 0
	.section	.text._ZN7rocprim17ROCPRIM_400000_NS6detail17trampoline_kernelINS0_14default_configENS1_22reduce_config_selectorIiEEZNS1_11reduce_implILb1ES3_N6thrust23THRUST_200600_302600_NS11hip_rocprim35transform_pair_of_input_iterators_tIiPfSB_NS8_12not_equal_toIfEEEEPiiNS8_4plusIiEEEE10hipError_tPvRmT1_T2_T3_mT4_P12ihipStream_tbEUlT_E0_NS1_11comp_targetILNS1_3genE2ELNS1_11target_archE906ELNS1_3gpuE6ELNS1_3repE0EEENS1_30default_config_static_selectorELNS0_4arch9wavefront6targetE1EEEvSL_,"axG",@progbits,_ZN7rocprim17ROCPRIM_400000_NS6detail17trampoline_kernelINS0_14default_configENS1_22reduce_config_selectorIiEEZNS1_11reduce_implILb1ES3_N6thrust23THRUST_200600_302600_NS11hip_rocprim35transform_pair_of_input_iterators_tIiPfSB_NS8_12not_equal_toIfEEEEPiiNS8_4plusIiEEEE10hipError_tPvRmT1_T2_T3_mT4_P12ihipStream_tbEUlT_E0_NS1_11comp_targetILNS1_3genE2ELNS1_11target_archE906ELNS1_3gpuE6ELNS1_3repE0EEENS1_30default_config_static_selectorELNS0_4arch9wavefront6targetE1EEEvSL_,comdat
	.protected	_ZN7rocprim17ROCPRIM_400000_NS6detail17trampoline_kernelINS0_14default_configENS1_22reduce_config_selectorIiEEZNS1_11reduce_implILb1ES3_N6thrust23THRUST_200600_302600_NS11hip_rocprim35transform_pair_of_input_iterators_tIiPfSB_NS8_12not_equal_toIfEEEEPiiNS8_4plusIiEEEE10hipError_tPvRmT1_T2_T3_mT4_P12ihipStream_tbEUlT_E0_NS1_11comp_targetILNS1_3genE2ELNS1_11target_archE906ELNS1_3gpuE6ELNS1_3repE0EEENS1_30default_config_static_selectorELNS0_4arch9wavefront6targetE1EEEvSL_ ; -- Begin function _ZN7rocprim17ROCPRIM_400000_NS6detail17trampoline_kernelINS0_14default_configENS1_22reduce_config_selectorIiEEZNS1_11reduce_implILb1ES3_N6thrust23THRUST_200600_302600_NS11hip_rocprim35transform_pair_of_input_iterators_tIiPfSB_NS8_12not_equal_toIfEEEEPiiNS8_4plusIiEEEE10hipError_tPvRmT1_T2_T3_mT4_P12ihipStream_tbEUlT_E0_NS1_11comp_targetILNS1_3genE2ELNS1_11target_archE906ELNS1_3gpuE6ELNS1_3repE0EEENS1_30default_config_static_selectorELNS0_4arch9wavefront6targetE1EEEvSL_
	.globl	_ZN7rocprim17ROCPRIM_400000_NS6detail17trampoline_kernelINS0_14default_configENS1_22reduce_config_selectorIiEEZNS1_11reduce_implILb1ES3_N6thrust23THRUST_200600_302600_NS11hip_rocprim35transform_pair_of_input_iterators_tIiPfSB_NS8_12not_equal_toIfEEEEPiiNS8_4plusIiEEEE10hipError_tPvRmT1_T2_T3_mT4_P12ihipStream_tbEUlT_E0_NS1_11comp_targetILNS1_3genE2ELNS1_11target_archE906ELNS1_3gpuE6ELNS1_3repE0EEENS1_30default_config_static_selectorELNS0_4arch9wavefront6targetE1EEEvSL_
	.p2align	8
	.type	_ZN7rocprim17ROCPRIM_400000_NS6detail17trampoline_kernelINS0_14default_configENS1_22reduce_config_selectorIiEEZNS1_11reduce_implILb1ES3_N6thrust23THRUST_200600_302600_NS11hip_rocprim35transform_pair_of_input_iterators_tIiPfSB_NS8_12not_equal_toIfEEEEPiiNS8_4plusIiEEEE10hipError_tPvRmT1_T2_T3_mT4_P12ihipStream_tbEUlT_E0_NS1_11comp_targetILNS1_3genE2ELNS1_11target_archE906ELNS1_3gpuE6ELNS1_3repE0EEENS1_30default_config_static_selectorELNS0_4arch9wavefront6targetE1EEEvSL_,@function
_ZN7rocprim17ROCPRIM_400000_NS6detail17trampoline_kernelINS0_14default_configENS1_22reduce_config_selectorIiEEZNS1_11reduce_implILb1ES3_N6thrust23THRUST_200600_302600_NS11hip_rocprim35transform_pair_of_input_iterators_tIiPfSB_NS8_12not_equal_toIfEEEEPiiNS8_4plusIiEEEE10hipError_tPvRmT1_T2_T3_mT4_P12ihipStream_tbEUlT_E0_NS1_11comp_targetILNS1_3genE2ELNS1_11target_archE906ELNS1_3gpuE6ELNS1_3repE0EEENS1_30default_config_static_selectorELNS0_4arch9wavefront6targetE1EEEvSL_: ; @_ZN7rocprim17ROCPRIM_400000_NS6detail17trampoline_kernelINS0_14default_configENS1_22reduce_config_selectorIiEEZNS1_11reduce_implILb1ES3_N6thrust23THRUST_200600_302600_NS11hip_rocprim35transform_pair_of_input_iterators_tIiPfSB_NS8_12not_equal_toIfEEEEPiiNS8_4plusIiEEEE10hipError_tPvRmT1_T2_T3_mT4_P12ihipStream_tbEUlT_E0_NS1_11comp_targetILNS1_3genE2ELNS1_11target_archE906ELNS1_3gpuE6ELNS1_3repE0EEENS1_30default_config_static_selectorELNS0_4arch9wavefront6targetE1EEEvSL_
; %bb.0:
	s_load_dwordx8 s[8:15], s[4:5], 0x18
	s_load_dwordx4 s[0:3], s[4:5], 0x0
	s_load_dwordx2 s[16:17], s[4:5], 0x38
	v_lshlrev_b32_e32 v6, 2, v0
	v_mbcnt_lo_u32_b32 v5, -1, 0
	s_waitcnt lgkmcnt(0)
	s_lshl_b64 s[8:9], s[8:9], 2
	s_add_u32 s20, s0, s8
	s_addc_u32 s21, s1, s9
	s_add_u32 s22, s2, s8
	s_addc_u32 s23, s3, s9
	s_lshl_b32 s0, s6, 10
	s_mov_b32 s1, 0
	s_lshr_b64 s[2:3], s[10:11], 10
	s_lshl_b64 s[18:19], s[0:1], 2
	s_add_u32 s8, s20, s18
	s_addc_u32 s9, s21, s19
	s_add_u32 s18, s22, s18
	s_mov_b32 s7, s1
	s_addc_u32 s19, s23, s19
	s_cmp_lg_u64 s[2:3], s[6:7]
	s_cbranch_scc0 .LBB1892_6
; %bb.1:
	global_load_dword v1, v6, s[8:9]
	global_load_dword v4, v6, s[18:19]
	global_load_dword v7, v6, s[8:9] offset:2048
	global_load_dword v8, v6, s[18:19] offset:2048
	;; [unrolled: 1-line block ×6, first 2 shown]
	v_mbcnt_hi_u32_b32 v2, -1, v5
	v_lshlrev_b32_e32 v3, 2, v2
	s_waitcnt vmcnt(6)
	v_cmp_neq_f32_e32 vcc, v1, v4
	v_cndmask_b32_e64 v1, 0, 1, vcc
	s_waitcnt vmcnt(4)
	v_cmp_neq_f32_e32 vcc, v7, v8
	v_cndmask_b32_e64 v4, 0, 1, vcc
	s_waitcnt vmcnt(2)
	v_cmp_neq_f32_e32 vcc, v9, v10
	v_addc_co_u32_e32 v1, vcc, 0, v1, vcc
	s_waitcnt vmcnt(0)
	v_cmp_neq_f32_e32 vcc, v12, v11
	v_addc_co_u32_e32 v1, vcc, v1, v4, vcc
	v_or_b32_e32 v4, 0xfc, v3
	s_nop 0
	v_add_u32_dpp v1, v1, v1 quad_perm:[1,0,3,2] row_mask:0xf bank_mask:0xf bound_ctrl:1
	v_cmp_eq_u32_e32 vcc, 0, v2
	s_nop 0
	v_add_u32_dpp v1, v1, v1 quad_perm:[2,3,0,1] row_mask:0xf bank_mask:0xf bound_ctrl:1
	s_nop 1
	v_add_u32_dpp v1, v1, v1 row_ror:4 row_mask:0xf bank_mask:0xf bound_ctrl:1
	s_nop 1
	v_add_u32_dpp v1, v1, v1 row_ror:8 row_mask:0xf bank_mask:0xf bound_ctrl:1
	s_nop 1
	v_add_u32_dpp v1, v1, v1 row_bcast:15 row_mask:0xf bank_mask:0xf bound_ctrl:1
	s_nop 1
	v_add_u32_dpp v1, v1, v1 row_bcast:31 row_mask:0xf bank_mask:0xf bound_ctrl:1
	ds_bpermute_b32 v1, v4, v1
	s_and_saveexec_b64 s[2:3], vcc
	s_cbranch_execz .LBB1892_3
; %bb.2:
	v_lshrrev_b32_e32 v4, 4, v0
	v_and_b32_e32 v4, 12, v4
	s_waitcnt lgkmcnt(0)
	ds_write_b32 v4, v1
.LBB1892_3:
	s_or_b64 exec, exec, s[2:3]
	v_cmp_gt_u32_e32 vcc, 64, v0
	s_waitcnt lgkmcnt(0)
	s_barrier
	s_and_saveexec_b64 s[2:3], vcc
	s_cbranch_execz .LBB1892_5
; %bb.4:
	v_and_b32_e32 v1, 3, v2
	v_lshlrev_b32_e32 v4, 2, v1
	ds_read_b32 v4, v4
	v_cmp_ne_u32_e32 vcc, 3, v1
	v_addc_co_u32_e32 v1, vcc, 0, v2, vcc
	v_lshlrev_b32_e32 v1, 2, v1
	s_waitcnt lgkmcnt(0)
	ds_bpermute_b32 v1, v1, v4
	v_or_b32_e32 v2, 8, v3
	s_waitcnt lgkmcnt(0)
	v_add_u32_e32 v1, v1, v4
	ds_bpermute_b32 v2, v2, v1
	s_waitcnt lgkmcnt(0)
	v_add_u32_e32 v1, v2, v1
.LBB1892_5:
	s_or_b64 exec, exec, s[2:3]
	s_load_dword s22, s[4:5], 0x40
	s_branch .LBB1892_20
.LBB1892_6:
                                        ; implicit-def: $vgpr1
	s_load_dword s22, s[4:5], 0x40
	s_cbranch_execz .LBB1892_20
; %bb.7:
	s_sub_i32 s23, s10, s0
	v_mov_b32_e32 v1, 0
	v_cmp_gt_u32_e32 vcc, s23, v0
	v_mov_b32_e32 v2, v1
	v_mov_b32_e32 v3, v1
	;; [unrolled: 1-line block ×3, first 2 shown]
	s_and_saveexec_b64 s[0:1], vcc
	s_cbranch_execz .LBB1892_9
; %bb.8:
	global_load_dword v2, v6, s[8:9]
	global_load_dword v3, v6, s[18:19]
	v_mov_b32_e32 v8, v1
	v_mov_b32_e32 v9, v1
	;; [unrolled: 1-line block ×3, first 2 shown]
	s_waitcnt vmcnt(0)
	v_cmp_neq_f32_e32 vcc, v2, v3
	v_cndmask_b32_e64 v2, 0, 1, vcc
	v_and_b32_e32 v7, 0xffff, v2
	v_mov_b32_e32 v1, v7
	v_mov_b32_e32 v2, v8
	;; [unrolled: 1-line block ×4, first 2 shown]
.LBB1892_9:
	s_or_b64 exec, exec, s[0:1]
	v_or_b32_e32 v7, 0x100, v0
	v_cmp_gt_u32_e32 vcc, s23, v7
	s_and_saveexec_b64 s[2:3], vcc
	s_cbranch_execz .LBB1892_11
; %bb.10:
	global_load_dword v2, v6, s[8:9] offset:1024
	global_load_dword v7, v6, s[18:19] offset:1024
	s_waitcnt vmcnt(0)
	v_cmp_neq_f32_e64 s[0:1], v2, v7
	v_cndmask_b32_e64 v2, 0, 1, s[0:1]
.LBB1892_11:
	s_or_b64 exec, exec, s[2:3]
	v_or_b32_e32 v7, 0x200, v0
	v_cmp_gt_u32_e64 s[0:1], s23, v7
	s_and_saveexec_b64 s[4:5], s[0:1]
	s_cbranch_execz .LBB1892_13
; %bb.12:
	global_load_dword v3, v6, s[8:9] offset:2048
	global_load_dword v7, v6, s[18:19] offset:2048
	s_waitcnt vmcnt(0)
	v_cmp_neq_f32_e64 s[2:3], v3, v7
	v_cndmask_b32_e64 v3, 0, 1, s[2:3]
.LBB1892_13:
	s_or_b64 exec, exec, s[4:5]
	v_or_b32_e32 v7, 0x300, v0
	v_cmp_gt_u32_e64 s[2:3], s23, v7
	s_and_saveexec_b64 s[20:21], s[2:3]
	s_cbranch_execz .LBB1892_15
; %bb.14:
	global_load_dword v4, v6, s[8:9] offset:3072
	global_load_dword v7, v6, s[18:19] offset:3072
	s_waitcnt vmcnt(0)
	v_cmp_neq_f32_e64 s[4:5], v4, v7
	v_cndmask_b32_e64 v4, 0, 1, s[4:5]
.LBB1892_15:
	s_or_b64 exec, exec, s[20:21]
	v_cndmask_b32_e32 v2, 0, v2, vcc
	v_add_u32_e32 v1, v2, v1
	v_cndmask_b32_e64 v2, 0, v3, s[0:1]
	v_cndmask_b32_e64 v3, 0, v4, s[2:3]
	v_add3_u32 v1, v1, v2, v3
	v_mbcnt_hi_u32_b32 v2, -1, v5
	v_and_b32_e32 v4, 63, v2
	v_cmp_ne_u32_e32 vcc, 63, v4
	v_addc_co_u32_e32 v3, vcc, 0, v2, vcc
	v_lshlrev_b32_e32 v3, 2, v3
	ds_bpermute_b32 v3, v3, v1
	s_min_u32 s2, s23, 0x100
	v_and_b32_e32 v5, 0xc0, v0
	v_sub_u32_e64 v5, s2, v5 clamp
	v_add_u32_e32 v6, 1, v4
	v_cmp_lt_u32_e32 vcc, v6, v5
	s_waitcnt lgkmcnt(0)
	v_cndmask_b32_e32 v3, 0, v3, vcc
	v_cmp_gt_u32_e32 vcc, 62, v4
	v_add_u32_e32 v1, v3, v1
	v_cndmask_b32_e64 v3, 0, 2, vcc
	v_add_lshl_u32 v3, v3, v2, 2
	ds_bpermute_b32 v3, v3, v1
	v_add_u32_e32 v6, 2, v4
	v_cmp_lt_u32_e32 vcc, v6, v5
	v_add_u32_e32 v6, 4, v4
	s_waitcnt lgkmcnt(0)
	v_cndmask_b32_e32 v3, 0, v3, vcc
	v_cmp_gt_u32_e32 vcc, 60, v4
	v_add_u32_e32 v1, v1, v3
	v_cndmask_b32_e64 v3, 0, 4, vcc
	v_add_lshl_u32 v3, v3, v2, 2
	ds_bpermute_b32 v3, v3, v1
	v_cmp_lt_u32_e32 vcc, v6, v5
	v_add_u32_e32 v6, 8, v4
	s_waitcnt lgkmcnt(0)
	v_cndmask_b32_e32 v3, 0, v3, vcc
	v_cmp_gt_u32_e32 vcc, 56, v4
	v_add_u32_e32 v1, v1, v3
	v_cndmask_b32_e64 v3, 0, 8, vcc
	v_add_lshl_u32 v3, v3, v2, 2
	ds_bpermute_b32 v3, v3, v1
	v_cmp_lt_u32_e32 vcc, v6, v5
	v_add_u32_e32 v6, 16, v4
	s_waitcnt lgkmcnt(0)
	v_cndmask_b32_e32 v3, 0, v3, vcc
	v_cmp_gt_u32_e32 vcc, 48, v4
	v_add_u32_e32 v1, v1, v3
	v_cndmask_b32_e64 v3, 0, 16, vcc
	v_add_lshl_u32 v3, v3, v2, 2
	ds_bpermute_b32 v3, v3, v1
	v_cmp_lt_u32_e32 vcc, v6, v5
	v_add_u32_e32 v4, 32, v4
	s_waitcnt lgkmcnt(0)
	v_cndmask_b32_e32 v3, 0, v3, vcc
	v_add_u32_e32 v1, v1, v3
	v_lshlrev_b32_e32 v3, 2, v2
	v_or_b32_e32 v6, 0x80, v3
	ds_bpermute_b32 v6, v6, v1
	v_cmp_lt_u32_e32 vcc, v4, v5
	s_waitcnt lgkmcnt(0)
	v_cndmask_b32_e32 v4, 0, v6, vcc
	v_add_u32_e32 v1, v1, v4
	v_cmp_eq_u32_e32 vcc, 0, v2
	s_and_saveexec_b64 s[0:1], vcc
; %bb.16:
	v_lshrrev_b32_e32 v4, 4, v0
	v_and_b32_e32 v4, 12, v4
	ds_write_b32 v4, v1 offset:16
; %bb.17:
	s_or_b64 exec, exec, s[0:1]
	v_cmp_gt_u32_e32 vcc, 4, v0
	s_waitcnt lgkmcnt(0)
	s_barrier
	s_and_saveexec_b64 s[0:1], vcc
	s_cbranch_execz .LBB1892_19
; %bb.18:
	ds_read_b32 v1, v3 offset:16
	v_and_b32_e32 v4, 3, v2
	v_cmp_ne_u32_e32 vcc, 3, v4
	v_addc_co_u32_e32 v2, vcc, 0, v2, vcc
	v_lshlrev_b32_e32 v2, 2, v2
	s_waitcnt lgkmcnt(0)
	ds_bpermute_b32 v2, v2, v1
	s_add_i32 s2, s2, 63
	s_lshr_b32 s2, s2, 6
	v_add_u32_e32 v5, 1, v4
	v_cmp_gt_u32_e32 vcc, s2, v5
	s_waitcnt lgkmcnt(0)
	v_cndmask_b32_e32 v2, 0, v2, vcc
	v_add_u32_e32 v1, v2, v1
	v_or_b32_e32 v2, 8, v3
	ds_bpermute_b32 v2, v2, v1
	v_add_u32_e32 v3, 2, v4
	v_cmp_gt_u32_e32 vcc, s2, v3
	s_waitcnt lgkmcnt(0)
	v_cndmask_b32_e32 v2, 0, v2, vcc
	v_add_u32_e32 v1, v1, v2
.LBB1892_19:
	s_or_b64 exec, exec, s[0:1]
.LBB1892_20:
	v_cmp_eq_u32_e32 vcc, 0, v0
	s_and_saveexec_b64 s[0:1], vcc
	s_cbranch_execnz .LBB1892_22
; %bb.21:
	s_endpgm
.LBB1892_22:
	s_mul_i32 s0, s16, s15
	s_mul_hi_u32 s1, s16, s14
	s_add_i32 s0, s1, s0
	s_mul_i32 s1, s17, s14
	s_add_i32 s1, s0, s1
	s_mul_i32 s0, s16, s14
	s_lshl_b64 s[0:1], s[0:1], 2
	s_add_u32 s2, s12, s0
	s_addc_u32 s3, s13, s1
	s_cmp_eq_u64 s[10:11], 0
	s_cselect_b64 vcc, -1, 0
	s_lshl_b64 s[0:1], s[6:7], 2
	s_waitcnt lgkmcnt(0)
	v_mov_b32_e32 v0, s22
	s_add_u32 s0, s2, s0
	v_cndmask_b32_e32 v0, v1, v0, vcc
	s_addc_u32 s1, s3, s1
	v_mov_b32_e32 v1, 0
	global_store_dword v1, v0, s[0:1]
	s_endpgm
	.section	.rodata,"a",@progbits
	.p2align	6, 0x0
	.amdhsa_kernel _ZN7rocprim17ROCPRIM_400000_NS6detail17trampoline_kernelINS0_14default_configENS1_22reduce_config_selectorIiEEZNS1_11reduce_implILb1ES3_N6thrust23THRUST_200600_302600_NS11hip_rocprim35transform_pair_of_input_iterators_tIiPfSB_NS8_12not_equal_toIfEEEEPiiNS8_4plusIiEEEE10hipError_tPvRmT1_T2_T3_mT4_P12ihipStream_tbEUlT_E0_NS1_11comp_targetILNS1_3genE2ELNS1_11target_archE906ELNS1_3gpuE6ELNS1_3repE0EEENS1_30default_config_static_selectorELNS0_4arch9wavefront6targetE1EEEvSL_
		.amdhsa_group_segment_fixed_size 32
		.amdhsa_private_segment_fixed_size 0
		.amdhsa_kernarg_size 72
		.amdhsa_user_sgpr_count 6
		.amdhsa_user_sgpr_private_segment_buffer 1
		.amdhsa_user_sgpr_dispatch_ptr 0
		.amdhsa_user_sgpr_queue_ptr 0
		.amdhsa_user_sgpr_kernarg_segment_ptr 1
		.amdhsa_user_sgpr_dispatch_id 0
		.amdhsa_user_sgpr_flat_scratch_init 0
		.amdhsa_user_sgpr_private_segment_size 0
		.amdhsa_uses_dynamic_stack 0
		.amdhsa_system_sgpr_private_segment_wavefront_offset 0
		.amdhsa_system_sgpr_workgroup_id_x 1
		.amdhsa_system_sgpr_workgroup_id_y 0
		.amdhsa_system_sgpr_workgroup_id_z 0
		.amdhsa_system_sgpr_workgroup_info 0
		.amdhsa_system_vgpr_workitem_id 0
		.amdhsa_next_free_vgpr 13
		.amdhsa_next_free_sgpr 24
		.amdhsa_reserve_vcc 1
		.amdhsa_reserve_flat_scratch 0
		.amdhsa_float_round_mode_32 0
		.amdhsa_float_round_mode_16_64 0
		.amdhsa_float_denorm_mode_32 3
		.amdhsa_float_denorm_mode_16_64 3
		.amdhsa_dx10_clamp 1
		.amdhsa_ieee_mode 1
		.amdhsa_fp16_overflow 0
		.amdhsa_exception_fp_ieee_invalid_op 0
		.amdhsa_exception_fp_denorm_src 0
		.amdhsa_exception_fp_ieee_div_zero 0
		.amdhsa_exception_fp_ieee_overflow 0
		.amdhsa_exception_fp_ieee_underflow 0
		.amdhsa_exception_fp_ieee_inexact 0
		.amdhsa_exception_int_div_zero 0
	.end_amdhsa_kernel
	.section	.text._ZN7rocprim17ROCPRIM_400000_NS6detail17trampoline_kernelINS0_14default_configENS1_22reduce_config_selectorIiEEZNS1_11reduce_implILb1ES3_N6thrust23THRUST_200600_302600_NS11hip_rocprim35transform_pair_of_input_iterators_tIiPfSB_NS8_12not_equal_toIfEEEEPiiNS8_4plusIiEEEE10hipError_tPvRmT1_T2_T3_mT4_P12ihipStream_tbEUlT_E0_NS1_11comp_targetILNS1_3genE2ELNS1_11target_archE906ELNS1_3gpuE6ELNS1_3repE0EEENS1_30default_config_static_selectorELNS0_4arch9wavefront6targetE1EEEvSL_,"axG",@progbits,_ZN7rocprim17ROCPRIM_400000_NS6detail17trampoline_kernelINS0_14default_configENS1_22reduce_config_selectorIiEEZNS1_11reduce_implILb1ES3_N6thrust23THRUST_200600_302600_NS11hip_rocprim35transform_pair_of_input_iterators_tIiPfSB_NS8_12not_equal_toIfEEEEPiiNS8_4plusIiEEEE10hipError_tPvRmT1_T2_T3_mT4_P12ihipStream_tbEUlT_E0_NS1_11comp_targetILNS1_3genE2ELNS1_11target_archE906ELNS1_3gpuE6ELNS1_3repE0EEENS1_30default_config_static_selectorELNS0_4arch9wavefront6targetE1EEEvSL_,comdat
.Lfunc_end1892:
	.size	_ZN7rocprim17ROCPRIM_400000_NS6detail17trampoline_kernelINS0_14default_configENS1_22reduce_config_selectorIiEEZNS1_11reduce_implILb1ES3_N6thrust23THRUST_200600_302600_NS11hip_rocprim35transform_pair_of_input_iterators_tIiPfSB_NS8_12not_equal_toIfEEEEPiiNS8_4plusIiEEEE10hipError_tPvRmT1_T2_T3_mT4_P12ihipStream_tbEUlT_E0_NS1_11comp_targetILNS1_3genE2ELNS1_11target_archE906ELNS1_3gpuE6ELNS1_3repE0EEENS1_30default_config_static_selectorELNS0_4arch9wavefront6targetE1EEEvSL_, .Lfunc_end1892-_ZN7rocprim17ROCPRIM_400000_NS6detail17trampoline_kernelINS0_14default_configENS1_22reduce_config_selectorIiEEZNS1_11reduce_implILb1ES3_N6thrust23THRUST_200600_302600_NS11hip_rocprim35transform_pair_of_input_iterators_tIiPfSB_NS8_12not_equal_toIfEEEEPiiNS8_4plusIiEEEE10hipError_tPvRmT1_T2_T3_mT4_P12ihipStream_tbEUlT_E0_NS1_11comp_targetILNS1_3genE2ELNS1_11target_archE906ELNS1_3gpuE6ELNS1_3repE0EEENS1_30default_config_static_selectorELNS0_4arch9wavefront6targetE1EEEvSL_
                                        ; -- End function
	.set _ZN7rocprim17ROCPRIM_400000_NS6detail17trampoline_kernelINS0_14default_configENS1_22reduce_config_selectorIiEEZNS1_11reduce_implILb1ES3_N6thrust23THRUST_200600_302600_NS11hip_rocprim35transform_pair_of_input_iterators_tIiPfSB_NS8_12not_equal_toIfEEEEPiiNS8_4plusIiEEEE10hipError_tPvRmT1_T2_T3_mT4_P12ihipStream_tbEUlT_E0_NS1_11comp_targetILNS1_3genE2ELNS1_11target_archE906ELNS1_3gpuE6ELNS1_3repE0EEENS1_30default_config_static_selectorELNS0_4arch9wavefront6targetE1EEEvSL_.num_vgpr, 13
	.set _ZN7rocprim17ROCPRIM_400000_NS6detail17trampoline_kernelINS0_14default_configENS1_22reduce_config_selectorIiEEZNS1_11reduce_implILb1ES3_N6thrust23THRUST_200600_302600_NS11hip_rocprim35transform_pair_of_input_iterators_tIiPfSB_NS8_12not_equal_toIfEEEEPiiNS8_4plusIiEEEE10hipError_tPvRmT1_T2_T3_mT4_P12ihipStream_tbEUlT_E0_NS1_11comp_targetILNS1_3genE2ELNS1_11target_archE906ELNS1_3gpuE6ELNS1_3repE0EEENS1_30default_config_static_selectorELNS0_4arch9wavefront6targetE1EEEvSL_.num_agpr, 0
	.set _ZN7rocprim17ROCPRIM_400000_NS6detail17trampoline_kernelINS0_14default_configENS1_22reduce_config_selectorIiEEZNS1_11reduce_implILb1ES3_N6thrust23THRUST_200600_302600_NS11hip_rocprim35transform_pair_of_input_iterators_tIiPfSB_NS8_12not_equal_toIfEEEEPiiNS8_4plusIiEEEE10hipError_tPvRmT1_T2_T3_mT4_P12ihipStream_tbEUlT_E0_NS1_11comp_targetILNS1_3genE2ELNS1_11target_archE906ELNS1_3gpuE6ELNS1_3repE0EEENS1_30default_config_static_selectorELNS0_4arch9wavefront6targetE1EEEvSL_.numbered_sgpr, 24
	.set _ZN7rocprim17ROCPRIM_400000_NS6detail17trampoline_kernelINS0_14default_configENS1_22reduce_config_selectorIiEEZNS1_11reduce_implILb1ES3_N6thrust23THRUST_200600_302600_NS11hip_rocprim35transform_pair_of_input_iterators_tIiPfSB_NS8_12not_equal_toIfEEEEPiiNS8_4plusIiEEEE10hipError_tPvRmT1_T2_T3_mT4_P12ihipStream_tbEUlT_E0_NS1_11comp_targetILNS1_3genE2ELNS1_11target_archE906ELNS1_3gpuE6ELNS1_3repE0EEENS1_30default_config_static_selectorELNS0_4arch9wavefront6targetE1EEEvSL_.num_named_barrier, 0
	.set _ZN7rocprim17ROCPRIM_400000_NS6detail17trampoline_kernelINS0_14default_configENS1_22reduce_config_selectorIiEEZNS1_11reduce_implILb1ES3_N6thrust23THRUST_200600_302600_NS11hip_rocprim35transform_pair_of_input_iterators_tIiPfSB_NS8_12not_equal_toIfEEEEPiiNS8_4plusIiEEEE10hipError_tPvRmT1_T2_T3_mT4_P12ihipStream_tbEUlT_E0_NS1_11comp_targetILNS1_3genE2ELNS1_11target_archE906ELNS1_3gpuE6ELNS1_3repE0EEENS1_30default_config_static_selectorELNS0_4arch9wavefront6targetE1EEEvSL_.private_seg_size, 0
	.set _ZN7rocprim17ROCPRIM_400000_NS6detail17trampoline_kernelINS0_14default_configENS1_22reduce_config_selectorIiEEZNS1_11reduce_implILb1ES3_N6thrust23THRUST_200600_302600_NS11hip_rocprim35transform_pair_of_input_iterators_tIiPfSB_NS8_12not_equal_toIfEEEEPiiNS8_4plusIiEEEE10hipError_tPvRmT1_T2_T3_mT4_P12ihipStream_tbEUlT_E0_NS1_11comp_targetILNS1_3genE2ELNS1_11target_archE906ELNS1_3gpuE6ELNS1_3repE0EEENS1_30default_config_static_selectorELNS0_4arch9wavefront6targetE1EEEvSL_.uses_vcc, 1
	.set _ZN7rocprim17ROCPRIM_400000_NS6detail17trampoline_kernelINS0_14default_configENS1_22reduce_config_selectorIiEEZNS1_11reduce_implILb1ES3_N6thrust23THRUST_200600_302600_NS11hip_rocprim35transform_pair_of_input_iterators_tIiPfSB_NS8_12not_equal_toIfEEEEPiiNS8_4plusIiEEEE10hipError_tPvRmT1_T2_T3_mT4_P12ihipStream_tbEUlT_E0_NS1_11comp_targetILNS1_3genE2ELNS1_11target_archE906ELNS1_3gpuE6ELNS1_3repE0EEENS1_30default_config_static_selectorELNS0_4arch9wavefront6targetE1EEEvSL_.uses_flat_scratch, 0
	.set _ZN7rocprim17ROCPRIM_400000_NS6detail17trampoline_kernelINS0_14default_configENS1_22reduce_config_selectorIiEEZNS1_11reduce_implILb1ES3_N6thrust23THRUST_200600_302600_NS11hip_rocprim35transform_pair_of_input_iterators_tIiPfSB_NS8_12not_equal_toIfEEEEPiiNS8_4plusIiEEEE10hipError_tPvRmT1_T2_T3_mT4_P12ihipStream_tbEUlT_E0_NS1_11comp_targetILNS1_3genE2ELNS1_11target_archE906ELNS1_3gpuE6ELNS1_3repE0EEENS1_30default_config_static_selectorELNS0_4arch9wavefront6targetE1EEEvSL_.has_dyn_sized_stack, 0
	.set _ZN7rocprim17ROCPRIM_400000_NS6detail17trampoline_kernelINS0_14default_configENS1_22reduce_config_selectorIiEEZNS1_11reduce_implILb1ES3_N6thrust23THRUST_200600_302600_NS11hip_rocprim35transform_pair_of_input_iterators_tIiPfSB_NS8_12not_equal_toIfEEEEPiiNS8_4plusIiEEEE10hipError_tPvRmT1_T2_T3_mT4_P12ihipStream_tbEUlT_E0_NS1_11comp_targetILNS1_3genE2ELNS1_11target_archE906ELNS1_3gpuE6ELNS1_3repE0EEENS1_30default_config_static_selectorELNS0_4arch9wavefront6targetE1EEEvSL_.has_recursion, 0
	.set _ZN7rocprim17ROCPRIM_400000_NS6detail17trampoline_kernelINS0_14default_configENS1_22reduce_config_selectorIiEEZNS1_11reduce_implILb1ES3_N6thrust23THRUST_200600_302600_NS11hip_rocprim35transform_pair_of_input_iterators_tIiPfSB_NS8_12not_equal_toIfEEEEPiiNS8_4plusIiEEEE10hipError_tPvRmT1_T2_T3_mT4_P12ihipStream_tbEUlT_E0_NS1_11comp_targetILNS1_3genE2ELNS1_11target_archE906ELNS1_3gpuE6ELNS1_3repE0EEENS1_30default_config_static_selectorELNS0_4arch9wavefront6targetE1EEEvSL_.has_indirect_call, 0
	.section	.AMDGPU.csdata,"",@progbits
; Kernel info:
; codeLenInByte = 1356
; TotalNumSgprs: 28
; NumVgprs: 13
; ScratchSize: 0
; MemoryBound: 0
; FloatMode: 240
; IeeeMode: 1
; LDSByteSize: 32 bytes/workgroup (compile time only)
; SGPRBlocks: 3
; VGPRBlocks: 3
; NumSGPRsForWavesPerEU: 28
; NumVGPRsForWavesPerEU: 13
; Occupancy: 10
; WaveLimiterHint : 0
; COMPUTE_PGM_RSRC2:SCRATCH_EN: 0
; COMPUTE_PGM_RSRC2:USER_SGPR: 6
; COMPUTE_PGM_RSRC2:TRAP_HANDLER: 0
; COMPUTE_PGM_RSRC2:TGID_X_EN: 1
; COMPUTE_PGM_RSRC2:TGID_Y_EN: 0
; COMPUTE_PGM_RSRC2:TGID_Z_EN: 0
; COMPUTE_PGM_RSRC2:TIDIG_COMP_CNT: 0
	.section	.text._ZN7rocprim17ROCPRIM_400000_NS6detail17trampoline_kernelINS0_14default_configENS1_22reduce_config_selectorIiEEZNS1_11reduce_implILb1ES3_N6thrust23THRUST_200600_302600_NS11hip_rocprim35transform_pair_of_input_iterators_tIiPfSB_NS8_12not_equal_toIfEEEEPiiNS8_4plusIiEEEE10hipError_tPvRmT1_T2_T3_mT4_P12ihipStream_tbEUlT_E0_NS1_11comp_targetILNS1_3genE10ELNS1_11target_archE1201ELNS1_3gpuE5ELNS1_3repE0EEENS1_30default_config_static_selectorELNS0_4arch9wavefront6targetE1EEEvSL_,"axG",@progbits,_ZN7rocprim17ROCPRIM_400000_NS6detail17trampoline_kernelINS0_14default_configENS1_22reduce_config_selectorIiEEZNS1_11reduce_implILb1ES3_N6thrust23THRUST_200600_302600_NS11hip_rocprim35transform_pair_of_input_iterators_tIiPfSB_NS8_12not_equal_toIfEEEEPiiNS8_4plusIiEEEE10hipError_tPvRmT1_T2_T3_mT4_P12ihipStream_tbEUlT_E0_NS1_11comp_targetILNS1_3genE10ELNS1_11target_archE1201ELNS1_3gpuE5ELNS1_3repE0EEENS1_30default_config_static_selectorELNS0_4arch9wavefront6targetE1EEEvSL_,comdat
	.protected	_ZN7rocprim17ROCPRIM_400000_NS6detail17trampoline_kernelINS0_14default_configENS1_22reduce_config_selectorIiEEZNS1_11reduce_implILb1ES3_N6thrust23THRUST_200600_302600_NS11hip_rocprim35transform_pair_of_input_iterators_tIiPfSB_NS8_12not_equal_toIfEEEEPiiNS8_4plusIiEEEE10hipError_tPvRmT1_T2_T3_mT4_P12ihipStream_tbEUlT_E0_NS1_11comp_targetILNS1_3genE10ELNS1_11target_archE1201ELNS1_3gpuE5ELNS1_3repE0EEENS1_30default_config_static_selectorELNS0_4arch9wavefront6targetE1EEEvSL_ ; -- Begin function _ZN7rocprim17ROCPRIM_400000_NS6detail17trampoline_kernelINS0_14default_configENS1_22reduce_config_selectorIiEEZNS1_11reduce_implILb1ES3_N6thrust23THRUST_200600_302600_NS11hip_rocprim35transform_pair_of_input_iterators_tIiPfSB_NS8_12not_equal_toIfEEEEPiiNS8_4plusIiEEEE10hipError_tPvRmT1_T2_T3_mT4_P12ihipStream_tbEUlT_E0_NS1_11comp_targetILNS1_3genE10ELNS1_11target_archE1201ELNS1_3gpuE5ELNS1_3repE0EEENS1_30default_config_static_selectorELNS0_4arch9wavefront6targetE1EEEvSL_
	.globl	_ZN7rocprim17ROCPRIM_400000_NS6detail17trampoline_kernelINS0_14default_configENS1_22reduce_config_selectorIiEEZNS1_11reduce_implILb1ES3_N6thrust23THRUST_200600_302600_NS11hip_rocprim35transform_pair_of_input_iterators_tIiPfSB_NS8_12not_equal_toIfEEEEPiiNS8_4plusIiEEEE10hipError_tPvRmT1_T2_T3_mT4_P12ihipStream_tbEUlT_E0_NS1_11comp_targetILNS1_3genE10ELNS1_11target_archE1201ELNS1_3gpuE5ELNS1_3repE0EEENS1_30default_config_static_selectorELNS0_4arch9wavefront6targetE1EEEvSL_
	.p2align	8
	.type	_ZN7rocprim17ROCPRIM_400000_NS6detail17trampoline_kernelINS0_14default_configENS1_22reduce_config_selectorIiEEZNS1_11reduce_implILb1ES3_N6thrust23THRUST_200600_302600_NS11hip_rocprim35transform_pair_of_input_iterators_tIiPfSB_NS8_12not_equal_toIfEEEEPiiNS8_4plusIiEEEE10hipError_tPvRmT1_T2_T3_mT4_P12ihipStream_tbEUlT_E0_NS1_11comp_targetILNS1_3genE10ELNS1_11target_archE1201ELNS1_3gpuE5ELNS1_3repE0EEENS1_30default_config_static_selectorELNS0_4arch9wavefront6targetE1EEEvSL_,@function
_ZN7rocprim17ROCPRIM_400000_NS6detail17trampoline_kernelINS0_14default_configENS1_22reduce_config_selectorIiEEZNS1_11reduce_implILb1ES3_N6thrust23THRUST_200600_302600_NS11hip_rocprim35transform_pair_of_input_iterators_tIiPfSB_NS8_12not_equal_toIfEEEEPiiNS8_4plusIiEEEE10hipError_tPvRmT1_T2_T3_mT4_P12ihipStream_tbEUlT_E0_NS1_11comp_targetILNS1_3genE10ELNS1_11target_archE1201ELNS1_3gpuE5ELNS1_3repE0EEENS1_30default_config_static_selectorELNS0_4arch9wavefront6targetE1EEEvSL_: ; @_ZN7rocprim17ROCPRIM_400000_NS6detail17trampoline_kernelINS0_14default_configENS1_22reduce_config_selectorIiEEZNS1_11reduce_implILb1ES3_N6thrust23THRUST_200600_302600_NS11hip_rocprim35transform_pair_of_input_iterators_tIiPfSB_NS8_12not_equal_toIfEEEEPiiNS8_4plusIiEEEE10hipError_tPvRmT1_T2_T3_mT4_P12ihipStream_tbEUlT_E0_NS1_11comp_targetILNS1_3genE10ELNS1_11target_archE1201ELNS1_3gpuE5ELNS1_3repE0EEENS1_30default_config_static_selectorELNS0_4arch9wavefront6targetE1EEEvSL_
; %bb.0:
	.section	.rodata,"a",@progbits
	.p2align	6, 0x0
	.amdhsa_kernel _ZN7rocprim17ROCPRIM_400000_NS6detail17trampoline_kernelINS0_14default_configENS1_22reduce_config_selectorIiEEZNS1_11reduce_implILb1ES3_N6thrust23THRUST_200600_302600_NS11hip_rocprim35transform_pair_of_input_iterators_tIiPfSB_NS8_12not_equal_toIfEEEEPiiNS8_4plusIiEEEE10hipError_tPvRmT1_T2_T3_mT4_P12ihipStream_tbEUlT_E0_NS1_11comp_targetILNS1_3genE10ELNS1_11target_archE1201ELNS1_3gpuE5ELNS1_3repE0EEENS1_30default_config_static_selectorELNS0_4arch9wavefront6targetE1EEEvSL_
		.amdhsa_group_segment_fixed_size 0
		.amdhsa_private_segment_fixed_size 0
		.amdhsa_kernarg_size 72
		.amdhsa_user_sgpr_count 6
		.amdhsa_user_sgpr_private_segment_buffer 1
		.amdhsa_user_sgpr_dispatch_ptr 0
		.amdhsa_user_sgpr_queue_ptr 0
		.amdhsa_user_sgpr_kernarg_segment_ptr 1
		.amdhsa_user_sgpr_dispatch_id 0
		.amdhsa_user_sgpr_flat_scratch_init 0
		.amdhsa_user_sgpr_private_segment_size 0
		.amdhsa_uses_dynamic_stack 0
		.amdhsa_system_sgpr_private_segment_wavefront_offset 0
		.amdhsa_system_sgpr_workgroup_id_x 1
		.amdhsa_system_sgpr_workgroup_id_y 0
		.amdhsa_system_sgpr_workgroup_id_z 0
		.amdhsa_system_sgpr_workgroup_info 0
		.amdhsa_system_vgpr_workitem_id 0
		.amdhsa_next_free_vgpr 1
		.amdhsa_next_free_sgpr 0
		.amdhsa_reserve_vcc 0
		.amdhsa_reserve_flat_scratch 0
		.amdhsa_float_round_mode_32 0
		.amdhsa_float_round_mode_16_64 0
		.amdhsa_float_denorm_mode_32 3
		.amdhsa_float_denorm_mode_16_64 3
		.amdhsa_dx10_clamp 1
		.amdhsa_ieee_mode 1
		.amdhsa_fp16_overflow 0
		.amdhsa_exception_fp_ieee_invalid_op 0
		.amdhsa_exception_fp_denorm_src 0
		.amdhsa_exception_fp_ieee_div_zero 0
		.amdhsa_exception_fp_ieee_overflow 0
		.amdhsa_exception_fp_ieee_underflow 0
		.amdhsa_exception_fp_ieee_inexact 0
		.amdhsa_exception_int_div_zero 0
	.end_amdhsa_kernel
	.section	.text._ZN7rocprim17ROCPRIM_400000_NS6detail17trampoline_kernelINS0_14default_configENS1_22reduce_config_selectorIiEEZNS1_11reduce_implILb1ES3_N6thrust23THRUST_200600_302600_NS11hip_rocprim35transform_pair_of_input_iterators_tIiPfSB_NS8_12not_equal_toIfEEEEPiiNS8_4plusIiEEEE10hipError_tPvRmT1_T2_T3_mT4_P12ihipStream_tbEUlT_E0_NS1_11comp_targetILNS1_3genE10ELNS1_11target_archE1201ELNS1_3gpuE5ELNS1_3repE0EEENS1_30default_config_static_selectorELNS0_4arch9wavefront6targetE1EEEvSL_,"axG",@progbits,_ZN7rocprim17ROCPRIM_400000_NS6detail17trampoline_kernelINS0_14default_configENS1_22reduce_config_selectorIiEEZNS1_11reduce_implILb1ES3_N6thrust23THRUST_200600_302600_NS11hip_rocprim35transform_pair_of_input_iterators_tIiPfSB_NS8_12not_equal_toIfEEEEPiiNS8_4plusIiEEEE10hipError_tPvRmT1_T2_T3_mT4_P12ihipStream_tbEUlT_E0_NS1_11comp_targetILNS1_3genE10ELNS1_11target_archE1201ELNS1_3gpuE5ELNS1_3repE0EEENS1_30default_config_static_selectorELNS0_4arch9wavefront6targetE1EEEvSL_,comdat
.Lfunc_end1893:
	.size	_ZN7rocprim17ROCPRIM_400000_NS6detail17trampoline_kernelINS0_14default_configENS1_22reduce_config_selectorIiEEZNS1_11reduce_implILb1ES3_N6thrust23THRUST_200600_302600_NS11hip_rocprim35transform_pair_of_input_iterators_tIiPfSB_NS8_12not_equal_toIfEEEEPiiNS8_4plusIiEEEE10hipError_tPvRmT1_T2_T3_mT4_P12ihipStream_tbEUlT_E0_NS1_11comp_targetILNS1_3genE10ELNS1_11target_archE1201ELNS1_3gpuE5ELNS1_3repE0EEENS1_30default_config_static_selectorELNS0_4arch9wavefront6targetE1EEEvSL_, .Lfunc_end1893-_ZN7rocprim17ROCPRIM_400000_NS6detail17trampoline_kernelINS0_14default_configENS1_22reduce_config_selectorIiEEZNS1_11reduce_implILb1ES3_N6thrust23THRUST_200600_302600_NS11hip_rocprim35transform_pair_of_input_iterators_tIiPfSB_NS8_12not_equal_toIfEEEEPiiNS8_4plusIiEEEE10hipError_tPvRmT1_T2_T3_mT4_P12ihipStream_tbEUlT_E0_NS1_11comp_targetILNS1_3genE10ELNS1_11target_archE1201ELNS1_3gpuE5ELNS1_3repE0EEENS1_30default_config_static_selectorELNS0_4arch9wavefront6targetE1EEEvSL_
                                        ; -- End function
	.set _ZN7rocprim17ROCPRIM_400000_NS6detail17trampoline_kernelINS0_14default_configENS1_22reduce_config_selectorIiEEZNS1_11reduce_implILb1ES3_N6thrust23THRUST_200600_302600_NS11hip_rocprim35transform_pair_of_input_iterators_tIiPfSB_NS8_12not_equal_toIfEEEEPiiNS8_4plusIiEEEE10hipError_tPvRmT1_T2_T3_mT4_P12ihipStream_tbEUlT_E0_NS1_11comp_targetILNS1_3genE10ELNS1_11target_archE1201ELNS1_3gpuE5ELNS1_3repE0EEENS1_30default_config_static_selectorELNS0_4arch9wavefront6targetE1EEEvSL_.num_vgpr, 0
	.set _ZN7rocprim17ROCPRIM_400000_NS6detail17trampoline_kernelINS0_14default_configENS1_22reduce_config_selectorIiEEZNS1_11reduce_implILb1ES3_N6thrust23THRUST_200600_302600_NS11hip_rocprim35transform_pair_of_input_iterators_tIiPfSB_NS8_12not_equal_toIfEEEEPiiNS8_4plusIiEEEE10hipError_tPvRmT1_T2_T3_mT4_P12ihipStream_tbEUlT_E0_NS1_11comp_targetILNS1_3genE10ELNS1_11target_archE1201ELNS1_3gpuE5ELNS1_3repE0EEENS1_30default_config_static_selectorELNS0_4arch9wavefront6targetE1EEEvSL_.num_agpr, 0
	.set _ZN7rocprim17ROCPRIM_400000_NS6detail17trampoline_kernelINS0_14default_configENS1_22reduce_config_selectorIiEEZNS1_11reduce_implILb1ES3_N6thrust23THRUST_200600_302600_NS11hip_rocprim35transform_pair_of_input_iterators_tIiPfSB_NS8_12not_equal_toIfEEEEPiiNS8_4plusIiEEEE10hipError_tPvRmT1_T2_T3_mT4_P12ihipStream_tbEUlT_E0_NS1_11comp_targetILNS1_3genE10ELNS1_11target_archE1201ELNS1_3gpuE5ELNS1_3repE0EEENS1_30default_config_static_selectorELNS0_4arch9wavefront6targetE1EEEvSL_.numbered_sgpr, 0
	.set _ZN7rocprim17ROCPRIM_400000_NS6detail17trampoline_kernelINS0_14default_configENS1_22reduce_config_selectorIiEEZNS1_11reduce_implILb1ES3_N6thrust23THRUST_200600_302600_NS11hip_rocprim35transform_pair_of_input_iterators_tIiPfSB_NS8_12not_equal_toIfEEEEPiiNS8_4plusIiEEEE10hipError_tPvRmT1_T2_T3_mT4_P12ihipStream_tbEUlT_E0_NS1_11comp_targetILNS1_3genE10ELNS1_11target_archE1201ELNS1_3gpuE5ELNS1_3repE0EEENS1_30default_config_static_selectorELNS0_4arch9wavefront6targetE1EEEvSL_.num_named_barrier, 0
	.set _ZN7rocprim17ROCPRIM_400000_NS6detail17trampoline_kernelINS0_14default_configENS1_22reduce_config_selectorIiEEZNS1_11reduce_implILb1ES3_N6thrust23THRUST_200600_302600_NS11hip_rocprim35transform_pair_of_input_iterators_tIiPfSB_NS8_12not_equal_toIfEEEEPiiNS8_4plusIiEEEE10hipError_tPvRmT1_T2_T3_mT4_P12ihipStream_tbEUlT_E0_NS1_11comp_targetILNS1_3genE10ELNS1_11target_archE1201ELNS1_3gpuE5ELNS1_3repE0EEENS1_30default_config_static_selectorELNS0_4arch9wavefront6targetE1EEEvSL_.private_seg_size, 0
	.set _ZN7rocprim17ROCPRIM_400000_NS6detail17trampoline_kernelINS0_14default_configENS1_22reduce_config_selectorIiEEZNS1_11reduce_implILb1ES3_N6thrust23THRUST_200600_302600_NS11hip_rocprim35transform_pair_of_input_iterators_tIiPfSB_NS8_12not_equal_toIfEEEEPiiNS8_4plusIiEEEE10hipError_tPvRmT1_T2_T3_mT4_P12ihipStream_tbEUlT_E0_NS1_11comp_targetILNS1_3genE10ELNS1_11target_archE1201ELNS1_3gpuE5ELNS1_3repE0EEENS1_30default_config_static_selectorELNS0_4arch9wavefront6targetE1EEEvSL_.uses_vcc, 0
	.set _ZN7rocprim17ROCPRIM_400000_NS6detail17trampoline_kernelINS0_14default_configENS1_22reduce_config_selectorIiEEZNS1_11reduce_implILb1ES3_N6thrust23THRUST_200600_302600_NS11hip_rocprim35transform_pair_of_input_iterators_tIiPfSB_NS8_12not_equal_toIfEEEEPiiNS8_4plusIiEEEE10hipError_tPvRmT1_T2_T3_mT4_P12ihipStream_tbEUlT_E0_NS1_11comp_targetILNS1_3genE10ELNS1_11target_archE1201ELNS1_3gpuE5ELNS1_3repE0EEENS1_30default_config_static_selectorELNS0_4arch9wavefront6targetE1EEEvSL_.uses_flat_scratch, 0
	.set _ZN7rocprim17ROCPRIM_400000_NS6detail17trampoline_kernelINS0_14default_configENS1_22reduce_config_selectorIiEEZNS1_11reduce_implILb1ES3_N6thrust23THRUST_200600_302600_NS11hip_rocprim35transform_pair_of_input_iterators_tIiPfSB_NS8_12not_equal_toIfEEEEPiiNS8_4plusIiEEEE10hipError_tPvRmT1_T2_T3_mT4_P12ihipStream_tbEUlT_E0_NS1_11comp_targetILNS1_3genE10ELNS1_11target_archE1201ELNS1_3gpuE5ELNS1_3repE0EEENS1_30default_config_static_selectorELNS0_4arch9wavefront6targetE1EEEvSL_.has_dyn_sized_stack, 0
	.set _ZN7rocprim17ROCPRIM_400000_NS6detail17trampoline_kernelINS0_14default_configENS1_22reduce_config_selectorIiEEZNS1_11reduce_implILb1ES3_N6thrust23THRUST_200600_302600_NS11hip_rocprim35transform_pair_of_input_iterators_tIiPfSB_NS8_12not_equal_toIfEEEEPiiNS8_4plusIiEEEE10hipError_tPvRmT1_T2_T3_mT4_P12ihipStream_tbEUlT_E0_NS1_11comp_targetILNS1_3genE10ELNS1_11target_archE1201ELNS1_3gpuE5ELNS1_3repE0EEENS1_30default_config_static_selectorELNS0_4arch9wavefront6targetE1EEEvSL_.has_recursion, 0
	.set _ZN7rocprim17ROCPRIM_400000_NS6detail17trampoline_kernelINS0_14default_configENS1_22reduce_config_selectorIiEEZNS1_11reduce_implILb1ES3_N6thrust23THRUST_200600_302600_NS11hip_rocprim35transform_pair_of_input_iterators_tIiPfSB_NS8_12not_equal_toIfEEEEPiiNS8_4plusIiEEEE10hipError_tPvRmT1_T2_T3_mT4_P12ihipStream_tbEUlT_E0_NS1_11comp_targetILNS1_3genE10ELNS1_11target_archE1201ELNS1_3gpuE5ELNS1_3repE0EEENS1_30default_config_static_selectorELNS0_4arch9wavefront6targetE1EEEvSL_.has_indirect_call, 0
	.section	.AMDGPU.csdata,"",@progbits
; Kernel info:
; codeLenInByte = 0
; TotalNumSgprs: 4
; NumVgprs: 0
; ScratchSize: 0
; MemoryBound: 0
; FloatMode: 240
; IeeeMode: 1
; LDSByteSize: 0 bytes/workgroup (compile time only)
; SGPRBlocks: 0
; VGPRBlocks: 0
; NumSGPRsForWavesPerEU: 4
; NumVGPRsForWavesPerEU: 1
; Occupancy: 10
; WaveLimiterHint : 0
; COMPUTE_PGM_RSRC2:SCRATCH_EN: 0
; COMPUTE_PGM_RSRC2:USER_SGPR: 6
; COMPUTE_PGM_RSRC2:TRAP_HANDLER: 0
; COMPUTE_PGM_RSRC2:TGID_X_EN: 1
; COMPUTE_PGM_RSRC2:TGID_Y_EN: 0
; COMPUTE_PGM_RSRC2:TGID_Z_EN: 0
; COMPUTE_PGM_RSRC2:TIDIG_COMP_CNT: 0
	.section	.text._ZN7rocprim17ROCPRIM_400000_NS6detail17trampoline_kernelINS0_14default_configENS1_22reduce_config_selectorIiEEZNS1_11reduce_implILb1ES3_N6thrust23THRUST_200600_302600_NS11hip_rocprim35transform_pair_of_input_iterators_tIiPfSB_NS8_12not_equal_toIfEEEEPiiNS8_4plusIiEEEE10hipError_tPvRmT1_T2_T3_mT4_P12ihipStream_tbEUlT_E0_NS1_11comp_targetILNS1_3genE10ELNS1_11target_archE1200ELNS1_3gpuE4ELNS1_3repE0EEENS1_30default_config_static_selectorELNS0_4arch9wavefront6targetE1EEEvSL_,"axG",@progbits,_ZN7rocprim17ROCPRIM_400000_NS6detail17trampoline_kernelINS0_14default_configENS1_22reduce_config_selectorIiEEZNS1_11reduce_implILb1ES3_N6thrust23THRUST_200600_302600_NS11hip_rocprim35transform_pair_of_input_iterators_tIiPfSB_NS8_12not_equal_toIfEEEEPiiNS8_4plusIiEEEE10hipError_tPvRmT1_T2_T3_mT4_P12ihipStream_tbEUlT_E0_NS1_11comp_targetILNS1_3genE10ELNS1_11target_archE1200ELNS1_3gpuE4ELNS1_3repE0EEENS1_30default_config_static_selectorELNS0_4arch9wavefront6targetE1EEEvSL_,comdat
	.protected	_ZN7rocprim17ROCPRIM_400000_NS6detail17trampoline_kernelINS0_14default_configENS1_22reduce_config_selectorIiEEZNS1_11reduce_implILb1ES3_N6thrust23THRUST_200600_302600_NS11hip_rocprim35transform_pair_of_input_iterators_tIiPfSB_NS8_12not_equal_toIfEEEEPiiNS8_4plusIiEEEE10hipError_tPvRmT1_T2_T3_mT4_P12ihipStream_tbEUlT_E0_NS1_11comp_targetILNS1_3genE10ELNS1_11target_archE1200ELNS1_3gpuE4ELNS1_3repE0EEENS1_30default_config_static_selectorELNS0_4arch9wavefront6targetE1EEEvSL_ ; -- Begin function _ZN7rocprim17ROCPRIM_400000_NS6detail17trampoline_kernelINS0_14default_configENS1_22reduce_config_selectorIiEEZNS1_11reduce_implILb1ES3_N6thrust23THRUST_200600_302600_NS11hip_rocprim35transform_pair_of_input_iterators_tIiPfSB_NS8_12not_equal_toIfEEEEPiiNS8_4plusIiEEEE10hipError_tPvRmT1_T2_T3_mT4_P12ihipStream_tbEUlT_E0_NS1_11comp_targetILNS1_3genE10ELNS1_11target_archE1200ELNS1_3gpuE4ELNS1_3repE0EEENS1_30default_config_static_selectorELNS0_4arch9wavefront6targetE1EEEvSL_
	.globl	_ZN7rocprim17ROCPRIM_400000_NS6detail17trampoline_kernelINS0_14default_configENS1_22reduce_config_selectorIiEEZNS1_11reduce_implILb1ES3_N6thrust23THRUST_200600_302600_NS11hip_rocprim35transform_pair_of_input_iterators_tIiPfSB_NS8_12not_equal_toIfEEEEPiiNS8_4plusIiEEEE10hipError_tPvRmT1_T2_T3_mT4_P12ihipStream_tbEUlT_E0_NS1_11comp_targetILNS1_3genE10ELNS1_11target_archE1200ELNS1_3gpuE4ELNS1_3repE0EEENS1_30default_config_static_selectorELNS0_4arch9wavefront6targetE1EEEvSL_
	.p2align	8
	.type	_ZN7rocprim17ROCPRIM_400000_NS6detail17trampoline_kernelINS0_14default_configENS1_22reduce_config_selectorIiEEZNS1_11reduce_implILb1ES3_N6thrust23THRUST_200600_302600_NS11hip_rocprim35transform_pair_of_input_iterators_tIiPfSB_NS8_12not_equal_toIfEEEEPiiNS8_4plusIiEEEE10hipError_tPvRmT1_T2_T3_mT4_P12ihipStream_tbEUlT_E0_NS1_11comp_targetILNS1_3genE10ELNS1_11target_archE1200ELNS1_3gpuE4ELNS1_3repE0EEENS1_30default_config_static_selectorELNS0_4arch9wavefront6targetE1EEEvSL_,@function
_ZN7rocprim17ROCPRIM_400000_NS6detail17trampoline_kernelINS0_14default_configENS1_22reduce_config_selectorIiEEZNS1_11reduce_implILb1ES3_N6thrust23THRUST_200600_302600_NS11hip_rocprim35transform_pair_of_input_iterators_tIiPfSB_NS8_12not_equal_toIfEEEEPiiNS8_4plusIiEEEE10hipError_tPvRmT1_T2_T3_mT4_P12ihipStream_tbEUlT_E0_NS1_11comp_targetILNS1_3genE10ELNS1_11target_archE1200ELNS1_3gpuE4ELNS1_3repE0EEENS1_30default_config_static_selectorELNS0_4arch9wavefront6targetE1EEEvSL_: ; @_ZN7rocprim17ROCPRIM_400000_NS6detail17trampoline_kernelINS0_14default_configENS1_22reduce_config_selectorIiEEZNS1_11reduce_implILb1ES3_N6thrust23THRUST_200600_302600_NS11hip_rocprim35transform_pair_of_input_iterators_tIiPfSB_NS8_12not_equal_toIfEEEEPiiNS8_4plusIiEEEE10hipError_tPvRmT1_T2_T3_mT4_P12ihipStream_tbEUlT_E0_NS1_11comp_targetILNS1_3genE10ELNS1_11target_archE1200ELNS1_3gpuE4ELNS1_3repE0EEENS1_30default_config_static_selectorELNS0_4arch9wavefront6targetE1EEEvSL_
; %bb.0:
	.section	.rodata,"a",@progbits
	.p2align	6, 0x0
	.amdhsa_kernel _ZN7rocprim17ROCPRIM_400000_NS6detail17trampoline_kernelINS0_14default_configENS1_22reduce_config_selectorIiEEZNS1_11reduce_implILb1ES3_N6thrust23THRUST_200600_302600_NS11hip_rocprim35transform_pair_of_input_iterators_tIiPfSB_NS8_12not_equal_toIfEEEEPiiNS8_4plusIiEEEE10hipError_tPvRmT1_T2_T3_mT4_P12ihipStream_tbEUlT_E0_NS1_11comp_targetILNS1_3genE10ELNS1_11target_archE1200ELNS1_3gpuE4ELNS1_3repE0EEENS1_30default_config_static_selectorELNS0_4arch9wavefront6targetE1EEEvSL_
		.amdhsa_group_segment_fixed_size 0
		.amdhsa_private_segment_fixed_size 0
		.amdhsa_kernarg_size 72
		.amdhsa_user_sgpr_count 6
		.amdhsa_user_sgpr_private_segment_buffer 1
		.amdhsa_user_sgpr_dispatch_ptr 0
		.amdhsa_user_sgpr_queue_ptr 0
		.amdhsa_user_sgpr_kernarg_segment_ptr 1
		.amdhsa_user_sgpr_dispatch_id 0
		.amdhsa_user_sgpr_flat_scratch_init 0
		.amdhsa_user_sgpr_private_segment_size 0
		.amdhsa_uses_dynamic_stack 0
		.amdhsa_system_sgpr_private_segment_wavefront_offset 0
		.amdhsa_system_sgpr_workgroup_id_x 1
		.amdhsa_system_sgpr_workgroup_id_y 0
		.amdhsa_system_sgpr_workgroup_id_z 0
		.amdhsa_system_sgpr_workgroup_info 0
		.amdhsa_system_vgpr_workitem_id 0
		.amdhsa_next_free_vgpr 1
		.amdhsa_next_free_sgpr 0
		.amdhsa_reserve_vcc 0
		.amdhsa_reserve_flat_scratch 0
		.amdhsa_float_round_mode_32 0
		.amdhsa_float_round_mode_16_64 0
		.amdhsa_float_denorm_mode_32 3
		.amdhsa_float_denorm_mode_16_64 3
		.amdhsa_dx10_clamp 1
		.amdhsa_ieee_mode 1
		.amdhsa_fp16_overflow 0
		.amdhsa_exception_fp_ieee_invalid_op 0
		.amdhsa_exception_fp_denorm_src 0
		.amdhsa_exception_fp_ieee_div_zero 0
		.amdhsa_exception_fp_ieee_overflow 0
		.amdhsa_exception_fp_ieee_underflow 0
		.amdhsa_exception_fp_ieee_inexact 0
		.amdhsa_exception_int_div_zero 0
	.end_amdhsa_kernel
	.section	.text._ZN7rocprim17ROCPRIM_400000_NS6detail17trampoline_kernelINS0_14default_configENS1_22reduce_config_selectorIiEEZNS1_11reduce_implILb1ES3_N6thrust23THRUST_200600_302600_NS11hip_rocprim35transform_pair_of_input_iterators_tIiPfSB_NS8_12not_equal_toIfEEEEPiiNS8_4plusIiEEEE10hipError_tPvRmT1_T2_T3_mT4_P12ihipStream_tbEUlT_E0_NS1_11comp_targetILNS1_3genE10ELNS1_11target_archE1200ELNS1_3gpuE4ELNS1_3repE0EEENS1_30default_config_static_selectorELNS0_4arch9wavefront6targetE1EEEvSL_,"axG",@progbits,_ZN7rocprim17ROCPRIM_400000_NS6detail17trampoline_kernelINS0_14default_configENS1_22reduce_config_selectorIiEEZNS1_11reduce_implILb1ES3_N6thrust23THRUST_200600_302600_NS11hip_rocprim35transform_pair_of_input_iterators_tIiPfSB_NS8_12not_equal_toIfEEEEPiiNS8_4plusIiEEEE10hipError_tPvRmT1_T2_T3_mT4_P12ihipStream_tbEUlT_E0_NS1_11comp_targetILNS1_3genE10ELNS1_11target_archE1200ELNS1_3gpuE4ELNS1_3repE0EEENS1_30default_config_static_selectorELNS0_4arch9wavefront6targetE1EEEvSL_,comdat
.Lfunc_end1894:
	.size	_ZN7rocprim17ROCPRIM_400000_NS6detail17trampoline_kernelINS0_14default_configENS1_22reduce_config_selectorIiEEZNS1_11reduce_implILb1ES3_N6thrust23THRUST_200600_302600_NS11hip_rocprim35transform_pair_of_input_iterators_tIiPfSB_NS8_12not_equal_toIfEEEEPiiNS8_4plusIiEEEE10hipError_tPvRmT1_T2_T3_mT4_P12ihipStream_tbEUlT_E0_NS1_11comp_targetILNS1_3genE10ELNS1_11target_archE1200ELNS1_3gpuE4ELNS1_3repE0EEENS1_30default_config_static_selectorELNS0_4arch9wavefront6targetE1EEEvSL_, .Lfunc_end1894-_ZN7rocprim17ROCPRIM_400000_NS6detail17trampoline_kernelINS0_14default_configENS1_22reduce_config_selectorIiEEZNS1_11reduce_implILb1ES3_N6thrust23THRUST_200600_302600_NS11hip_rocprim35transform_pair_of_input_iterators_tIiPfSB_NS8_12not_equal_toIfEEEEPiiNS8_4plusIiEEEE10hipError_tPvRmT1_T2_T3_mT4_P12ihipStream_tbEUlT_E0_NS1_11comp_targetILNS1_3genE10ELNS1_11target_archE1200ELNS1_3gpuE4ELNS1_3repE0EEENS1_30default_config_static_selectorELNS0_4arch9wavefront6targetE1EEEvSL_
                                        ; -- End function
	.set _ZN7rocprim17ROCPRIM_400000_NS6detail17trampoline_kernelINS0_14default_configENS1_22reduce_config_selectorIiEEZNS1_11reduce_implILb1ES3_N6thrust23THRUST_200600_302600_NS11hip_rocprim35transform_pair_of_input_iterators_tIiPfSB_NS8_12not_equal_toIfEEEEPiiNS8_4plusIiEEEE10hipError_tPvRmT1_T2_T3_mT4_P12ihipStream_tbEUlT_E0_NS1_11comp_targetILNS1_3genE10ELNS1_11target_archE1200ELNS1_3gpuE4ELNS1_3repE0EEENS1_30default_config_static_selectorELNS0_4arch9wavefront6targetE1EEEvSL_.num_vgpr, 0
	.set _ZN7rocprim17ROCPRIM_400000_NS6detail17trampoline_kernelINS0_14default_configENS1_22reduce_config_selectorIiEEZNS1_11reduce_implILb1ES3_N6thrust23THRUST_200600_302600_NS11hip_rocprim35transform_pair_of_input_iterators_tIiPfSB_NS8_12not_equal_toIfEEEEPiiNS8_4plusIiEEEE10hipError_tPvRmT1_T2_T3_mT4_P12ihipStream_tbEUlT_E0_NS1_11comp_targetILNS1_3genE10ELNS1_11target_archE1200ELNS1_3gpuE4ELNS1_3repE0EEENS1_30default_config_static_selectorELNS0_4arch9wavefront6targetE1EEEvSL_.num_agpr, 0
	.set _ZN7rocprim17ROCPRIM_400000_NS6detail17trampoline_kernelINS0_14default_configENS1_22reduce_config_selectorIiEEZNS1_11reduce_implILb1ES3_N6thrust23THRUST_200600_302600_NS11hip_rocprim35transform_pair_of_input_iterators_tIiPfSB_NS8_12not_equal_toIfEEEEPiiNS8_4plusIiEEEE10hipError_tPvRmT1_T2_T3_mT4_P12ihipStream_tbEUlT_E0_NS1_11comp_targetILNS1_3genE10ELNS1_11target_archE1200ELNS1_3gpuE4ELNS1_3repE0EEENS1_30default_config_static_selectorELNS0_4arch9wavefront6targetE1EEEvSL_.numbered_sgpr, 0
	.set _ZN7rocprim17ROCPRIM_400000_NS6detail17trampoline_kernelINS0_14default_configENS1_22reduce_config_selectorIiEEZNS1_11reduce_implILb1ES3_N6thrust23THRUST_200600_302600_NS11hip_rocprim35transform_pair_of_input_iterators_tIiPfSB_NS8_12not_equal_toIfEEEEPiiNS8_4plusIiEEEE10hipError_tPvRmT1_T2_T3_mT4_P12ihipStream_tbEUlT_E0_NS1_11comp_targetILNS1_3genE10ELNS1_11target_archE1200ELNS1_3gpuE4ELNS1_3repE0EEENS1_30default_config_static_selectorELNS0_4arch9wavefront6targetE1EEEvSL_.num_named_barrier, 0
	.set _ZN7rocprim17ROCPRIM_400000_NS6detail17trampoline_kernelINS0_14default_configENS1_22reduce_config_selectorIiEEZNS1_11reduce_implILb1ES3_N6thrust23THRUST_200600_302600_NS11hip_rocprim35transform_pair_of_input_iterators_tIiPfSB_NS8_12not_equal_toIfEEEEPiiNS8_4plusIiEEEE10hipError_tPvRmT1_T2_T3_mT4_P12ihipStream_tbEUlT_E0_NS1_11comp_targetILNS1_3genE10ELNS1_11target_archE1200ELNS1_3gpuE4ELNS1_3repE0EEENS1_30default_config_static_selectorELNS0_4arch9wavefront6targetE1EEEvSL_.private_seg_size, 0
	.set _ZN7rocprim17ROCPRIM_400000_NS6detail17trampoline_kernelINS0_14default_configENS1_22reduce_config_selectorIiEEZNS1_11reduce_implILb1ES3_N6thrust23THRUST_200600_302600_NS11hip_rocprim35transform_pair_of_input_iterators_tIiPfSB_NS8_12not_equal_toIfEEEEPiiNS8_4plusIiEEEE10hipError_tPvRmT1_T2_T3_mT4_P12ihipStream_tbEUlT_E0_NS1_11comp_targetILNS1_3genE10ELNS1_11target_archE1200ELNS1_3gpuE4ELNS1_3repE0EEENS1_30default_config_static_selectorELNS0_4arch9wavefront6targetE1EEEvSL_.uses_vcc, 0
	.set _ZN7rocprim17ROCPRIM_400000_NS6detail17trampoline_kernelINS0_14default_configENS1_22reduce_config_selectorIiEEZNS1_11reduce_implILb1ES3_N6thrust23THRUST_200600_302600_NS11hip_rocprim35transform_pair_of_input_iterators_tIiPfSB_NS8_12not_equal_toIfEEEEPiiNS8_4plusIiEEEE10hipError_tPvRmT1_T2_T3_mT4_P12ihipStream_tbEUlT_E0_NS1_11comp_targetILNS1_3genE10ELNS1_11target_archE1200ELNS1_3gpuE4ELNS1_3repE0EEENS1_30default_config_static_selectorELNS0_4arch9wavefront6targetE1EEEvSL_.uses_flat_scratch, 0
	.set _ZN7rocprim17ROCPRIM_400000_NS6detail17trampoline_kernelINS0_14default_configENS1_22reduce_config_selectorIiEEZNS1_11reduce_implILb1ES3_N6thrust23THRUST_200600_302600_NS11hip_rocprim35transform_pair_of_input_iterators_tIiPfSB_NS8_12not_equal_toIfEEEEPiiNS8_4plusIiEEEE10hipError_tPvRmT1_T2_T3_mT4_P12ihipStream_tbEUlT_E0_NS1_11comp_targetILNS1_3genE10ELNS1_11target_archE1200ELNS1_3gpuE4ELNS1_3repE0EEENS1_30default_config_static_selectorELNS0_4arch9wavefront6targetE1EEEvSL_.has_dyn_sized_stack, 0
	.set _ZN7rocprim17ROCPRIM_400000_NS6detail17trampoline_kernelINS0_14default_configENS1_22reduce_config_selectorIiEEZNS1_11reduce_implILb1ES3_N6thrust23THRUST_200600_302600_NS11hip_rocprim35transform_pair_of_input_iterators_tIiPfSB_NS8_12not_equal_toIfEEEEPiiNS8_4plusIiEEEE10hipError_tPvRmT1_T2_T3_mT4_P12ihipStream_tbEUlT_E0_NS1_11comp_targetILNS1_3genE10ELNS1_11target_archE1200ELNS1_3gpuE4ELNS1_3repE0EEENS1_30default_config_static_selectorELNS0_4arch9wavefront6targetE1EEEvSL_.has_recursion, 0
	.set _ZN7rocprim17ROCPRIM_400000_NS6detail17trampoline_kernelINS0_14default_configENS1_22reduce_config_selectorIiEEZNS1_11reduce_implILb1ES3_N6thrust23THRUST_200600_302600_NS11hip_rocprim35transform_pair_of_input_iterators_tIiPfSB_NS8_12not_equal_toIfEEEEPiiNS8_4plusIiEEEE10hipError_tPvRmT1_T2_T3_mT4_P12ihipStream_tbEUlT_E0_NS1_11comp_targetILNS1_3genE10ELNS1_11target_archE1200ELNS1_3gpuE4ELNS1_3repE0EEENS1_30default_config_static_selectorELNS0_4arch9wavefront6targetE1EEEvSL_.has_indirect_call, 0
	.section	.AMDGPU.csdata,"",@progbits
; Kernel info:
; codeLenInByte = 0
; TotalNumSgprs: 4
; NumVgprs: 0
; ScratchSize: 0
; MemoryBound: 0
; FloatMode: 240
; IeeeMode: 1
; LDSByteSize: 0 bytes/workgroup (compile time only)
; SGPRBlocks: 0
; VGPRBlocks: 0
; NumSGPRsForWavesPerEU: 4
; NumVGPRsForWavesPerEU: 1
; Occupancy: 10
; WaveLimiterHint : 0
; COMPUTE_PGM_RSRC2:SCRATCH_EN: 0
; COMPUTE_PGM_RSRC2:USER_SGPR: 6
; COMPUTE_PGM_RSRC2:TRAP_HANDLER: 0
; COMPUTE_PGM_RSRC2:TGID_X_EN: 1
; COMPUTE_PGM_RSRC2:TGID_Y_EN: 0
; COMPUTE_PGM_RSRC2:TGID_Z_EN: 0
; COMPUTE_PGM_RSRC2:TIDIG_COMP_CNT: 0
	.section	.text._ZN7rocprim17ROCPRIM_400000_NS6detail17trampoline_kernelINS0_14default_configENS1_22reduce_config_selectorIiEEZNS1_11reduce_implILb1ES3_N6thrust23THRUST_200600_302600_NS11hip_rocprim35transform_pair_of_input_iterators_tIiPfSB_NS8_12not_equal_toIfEEEEPiiNS8_4plusIiEEEE10hipError_tPvRmT1_T2_T3_mT4_P12ihipStream_tbEUlT_E0_NS1_11comp_targetILNS1_3genE9ELNS1_11target_archE1100ELNS1_3gpuE3ELNS1_3repE0EEENS1_30default_config_static_selectorELNS0_4arch9wavefront6targetE1EEEvSL_,"axG",@progbits,_ZN7rocprim17ROCPRIM_400000_NS6detail17trampoline_kernelINS0_14default_configENS1_22reduce_config_selectorIiEEZNS1_11reduce_implILb1ES3_N6thrust23THRUST_200600_302600_NS11hip_rocprim35transform_pair_of_input_iterators_tIiPfSB_NS8_12not_equal_toIfEEEEPiiNS8_4plusIiEEEE10hipError_tPvRmT1_T2_T3_mT4_P12ihipStream_tbEUlT_E0_NS1_11comp_targetILNS1_3genE9ELNS1_11target_archE1100ELNS1_3gpuE3ELNS1_3repE0EEENS1_30default_config_static_selectorELNS0_4arch9wavefront6targetE1EEEvSL_,comdat
	.protected	_ZN7rocprim17ROCPRIM_400000_NS6detail17trampoline_kernelINS0_14default_configENS1_22reduce_config_selectorIiEEZNS1_11reduce_implILb1ES3_N6thrust23THRUST_200600_302600_NS11hip_rocprim35transform_pair_of_input_iterators_tIiPfSB_NS8_12not_equal_toIfEEEEPiiNS8_4plusIiEEEE10hipError_tPvRmT1_T2_T3_mT4_P12ihipStream_tbEUlT_E0_NS1_11comp_targetILNS1_3genE9ELNS1_11target_archE1100ELNS1_3gpuE3ELNS1_3repE0EEENS1_30default_config_static_selectorELNS0_4arch9wavefront6targetE1EEEvSL_ ; -- Begin function _ZN7rocprim17ROCPRIM_400000_NS6detail17trampoline_kernelINS0_14default_configENS1_22reduce_config_selectorIiEEZNS1_11reduce_implILb1ES3_N6thrust23THRUST_200600_302600_NS11hip_rocprim35transform_pair_of_input_iterators_tIiPfSB_NS8_12not_equal_toIfEEEEPiiNS8_4plusIiEEEE10hipError_tPvRmT1_T2_T3_mT4_P12ihipStream_tbEUlT_E0_NS1_11comp_targetILNS1_3genE9ELNS1_11target_archE1100ELNS1_3gpuE3ELNS1_3repE0EEENS1_30default_config_static_selectorELNS0_4arch9wavefront6targetE1EEEvSL_
	.globl	_ZN7rocprim17ROCPRIM_400000_NS6detail17trampoline_kernelINS0_14default_configENS1_22reduce_config_selectorIiEEZNS1_11reduce_implILb1ES3_N6thrust23THRUST_200600_302600_NS11hip_rocprim35transform_pair_of_input_iterators_tIiPfSB_NS8_12not_equal_toIfEEEEPiiNS8_4plusIiEEEE10hipError_tPvRmT1_T2_T3_mT4_P12ihipStream_tbEUlT_E0_NS1_11comp_targetILNS1_3genE9ELNS1_11target_archE1100ELNS1_3gpuE3ELNS1_3repE0EEENS1_30default_config_static_selectorELNS0_4arch9wavefront6targetE1EEEvSL_
	.p2align	8
	.type	_ZN7rocprim17ROCPRIM_400000_NS6detail17trampoline_kernelINS0_14default_configENS1_22reduce_config_selectorIiEEZNS1_11reduce_implILb1ES3_N6thrust23THRUST_200600_302600_NS11hip_rocprim35transform_pair_of_input_iterators_tIiPfSB_NS8_12not_equal_toIfEEEEPiiNS8_4plusIiEEEE10hipError_tPvRmT1_T2_T3_mT4_P12ihipStream_tbEUlT_E0_NS1_11comp_targetILNS1_3genE9ELNS1_11target_archE1100ELNS1_3gpuE3ELNS1_3repE0EEENS1_30default_config_static_selectorELNS0_4arch9wavefront6targetE1EEEvSL_,@function
_ZN7rocprim17ROCPRIM_400000_NS6detail17trampoline_kernelINS0_14default_configENS1_22reduce_config_selectorIiEEZNS1_11reduce_implILb1ES3_N6thrust23THRUST_200600_302600_NS11hip_rocprim35transform_pair_of_input_iterators_tIiPfSB_NS8_12not_equal_toIfEEEEPiiNS8_4plusIiEEEE10hipError_tPvRmT1_T2_T3_mT4_P12ihipStream_tbEUlT_E0_NS1_11comp_targetILNS1_3genE9ELNS1_11target_archE1100ELNS1_3gpuE3ELNS1_3repE0EEENS1_30default_config_static_selectorELNS0_4arch9wavefront6targetE1EEEvSL_: ; @_ZN7rocprim17ROCPRIM_400000_NS6detail17trampoline_kernelINS0_14default_configENS1_22reduce_config_selectorIiEEZNS1_11reduce_implILb1ES3_N6thrust23THRUST_200600_302600_NS11hip_rocprim35transform_pair_of_input_iterators_tIiPfSB_NS8_12not_equal_toIfEEEEPiiNS8_4plusIiEEEE10hipError_tPvRmT1_T2_T3_mT4_P12ihipStream_tbEUlT_E0_NS1_11comp_targetILNS1_3genE9ELNS1_11target_archE1100ELNS1_3gpuE3ELNS1_3repE0EEENS1_30default_config_static_selectorELNS0_4arch9wavefront6targetE1EEEvSL_
; %bb.0:
	.section	.rodata,"a",@progbits
	.p2align	6, 0x0
	.amdhsa_kernel _ZN7rocprim17ROCPRIM_400000_NS6detail17trampoline_kernelINS0_14default_configENS1_22reduce_config_selectorIiEEZNS1_11reduce_implILb1ES3_N6thrust23THRUST_200600_302600_NS11hip_rocprim35transform_pair_of_input_iterators_tIiPfSB_NS8_12not_equal_toIfEEEEPiiNS8_4plusIiEEEE10hipError_tPvRmT1_T2_T3_mT4_P12ihipStream_tbEUlT_E0_NS1_11comp_targetILNS1_3genE9ELNS1_11target_archE1100ELNS1_3gpuE3ELNS1_3repE0EEENS1_30default_config_static_selectorELNS0_4arch9wavefront6targetE1EEEvSL_
		.amdhsa_group_segment_fixed_size 0
		.amdhsa_private_segment_fixed_size 0
		.amdhsa_kernarg_size 72
		.amdhsa_user_sgpr_count 6
		.amdhsa_user_sgpr_private_segment_buffer 1
		.amdhsa_user_sgpr_dispatch_ptr 0
		.amdhsa_user_sgpr_queue_ptr 0
		.amdhsa_user_sgpr_kernarg_segment_ptr 1
		.amdhsa_user_sgpr_dispatch_id 0
		.amdhsa_user_sgpr_flat_scratch_init 0
		.amdhsa_user_sgpr_private_segment_size 0
		.amdhsa_uses_dynamic_stack 0
		.amdhsa_system_sgpr_private_segment_wavefront_offset 0
		.amdhsa_system_sgpr_workgroup_id_x 1
		.amdhsa_system_sgpr_workgroup_id_y 0
		.amdhsa_system_sgpr_workgroup_id_z 0
		.amdhsa_system_sgpr_workgroup_info 0
		.amdhsa_system_vgpr_workitem_id 0
		.amdhsa_next_free_vgpr 1
		.amdhsa_next_free_sgpr 0
		.amdhsa_reserve_vcc 0
		.amdhsa_reserve_flat_scratch 0
		.amdhsa_float_round_mode_32 0
		.amdhsa_float_round_mode_16_64 0
		.amdhsa_float_denorm_mode_32 3
		.amdhsa_float_denorm_mode_16_64 3
		.amdhsa_dx10_clamp 1
		.amdhsa_ieee_mode 1
		.amdhsa_fp16_overflow 0
		.amdhsa_exception_fp_ieee_invalid_op 0
		.amdhsa_exception_fp_denorm_src 0
		.amdhsa_exception_fp_ieee_div_zero 0
		.amdhsa_exception_fp_ieee_overflow 0
		.amdhsa_exception_fp_ieee_underflow 0
		.amdhsa_exception_fp_ieee_inexact 0
		.amdhsa_exception_int_div_zero 0
	.end_amdhsa_kernel
	.section	.text._ZN7rocprim17ROCPRIM_400000_NS6detail17trampoline_kernelINS0_14default_configENS1_22reduce_config_selectorIiEEZNS1_11reduce_implILb1ES3_N6thrust23THRUST_200600_302600_NS11hip_rocprim35transform_pair_of_input_iterators_tIiPfSB_NS8_12not_equal_toIfEEEEPiiNS8_4plusIiEEEE10hipError_tPvRmT1_T2_T3_mT4_P12ihipStream_tbEUlT_E0_NS1_11comp_targetILNS1_3genE9ELNS1_11target_archE1100ELNS1_3gpuE3ELNS1_3repE0EEENS1_30default_config_static_selectorELNS0_4arch9wavefront6targetE1EEEvSL_,"axG",@progbits,_ZN7rocprim17ROCPRIM_400000_NS6detail17trampoline_kernelINS0_14default_configENS1_22reduce_config_selectorIiEEZNS1_11reduce_implILb1ES3_N6thrust23THRUST_200600_302600_NS11hip_rocprim35transform_pair_of_input_iterators_tIiPfSB_NS8_12not_equal_toIfEEEEPiiNS8_4plusIiEEEE10hipError_tPvRmT1_T2_T3_mT4_P12ihipStream_tbEUlT_E0_NS1_11comp_targetILNS1_3genE9ELNS1_11target_archE1100ELNS1_3gpuE3ELNS1_3repE0EEENS1_30default_config_static_selectorELNS0_4arch9wavefront6targetE1EEEvSL_,comdat
.Lfunc_end1895:
	.size	_ZN7rocprim17ROCPRIM_400000_NS6detail17trampoline_kernelINS0_14default_configENS1_22reduce_config_selectorIiEEZNS1_11reduce_implILb1ES3_N6thrust23THRUST_200600_302600_NS11hip_rocprim35transform_pair_of_input_iterators_tIiPfSB_NS8_12not_equal_toIfEEEEPiiNS8_4plusIiEEEE10hipError_tPvRmT1_T2_T3_mT4_P12ihipStream_tbEUlT_E0_NS1_11comp_targetILNS1_3genE9ELNS1_11target_archE1100ELNS1_3gpuE3ELNS1_3repE0EEENS1_30default_config_static_selectorELNS0_4arch9wavefront6targetE1EEEvSL_, .Lfunc_end1895-_ZN7rocprim17ROCPRIM_400000_NS6detail17trampoline_kernelINS0_14default_configENS1_22reduce_config_selectorIiEEZNS1_11reduce_implILb1ES3_N6thrust23THRUST_200600_302600_NS11hip_rocprim35transform_pair_of_input_iterators_tIiPfSB_NS8_12not_equal_toIfEEEEPiiNS8_4plusIiEEEE10hipError_tPvRmT1_T2_T3_mT4_P12ihipStream_tbEUlT_E0_NS1_11comp_targetILNS1_3genE9ELNS1_11target_archE1100ELNS1_3gpuE3ELNS1_3repE0EEENS1_30default_config_static_selectorELNS0_4arch9wavefront6targetE1EEEvSL_
                                        ; -- End function
	.set _ZN7rocprim17ROCPRIM_400000_NS6detail17trampoline_kernelINS0_14default_configENS1_22reduce_config_selectorIiEEZNS1_11reduce_implILb1ES3_N6thrust23THRUST_200600_302600_NS11hip_rocprim35transform_pair_of_input_iterators_tIiPfSB_NS8_12not_equal_toIfEEEEPiiNS8_4plusIiEEEE10hipError_tPvRmT1_T2_T3_mT4_P12ihipStream_tbEUlT_E0_NS1_11comp_targetILNS1_3genE9ELNS1_11target_archE1100ELNS1_3gpuE3ELNS1_3repE0EEENS1_30default_config_static_selectorELNS0_4arch9wavefront6targetE1EEEvSL_.num_vgpr, 0
	.set _ZN7rocprim17ROCPRIM_400000_NS6detail17trampoline_kernelINS0_14default_configENS1_22reduce_config_selectorIiEEZNS1_11reduce_implILb1ES3_N6thrust23THRUST_200600_302600_NS11hip_rocprim35transform_pair_of_input_iterators_tIiPfSB_NS8_12not_equal_toIfEEEEPiiNS8_4plusIiEEEE10hipError_tPvRmT1_T2_T3_mT4_P12ihipStream_tbEUlT_E0_NS1_11comp_targetILNS1_3genE9ELNS1_11target_archE1100ELNS1_3gpuE3ELNS1_3repE0EEENS1_30default_config_static_selectorELNS0_4arch9wavefront6targetE1EEEvSL_.num_agpr, 0
	.set _ZN7rocprim17ROCPRIM_400000_NS6detail17trampoline_kernelINS0_14default_configENS1_22reduce_config_selectorIiEEZNS1_11reduce_implILb1ES3_N6thrust23THRUST_200600_302600_NS11hip_rocprim35transform_pair_of_input_iterators_tIiPfSB_NS8_12not_equal_toIfEEEEPiiNS8_4plusIiEEEE10hipError_tPvRmT1_T2_T3_mT4_P12ihipStream_tbEUlT_E0_NS1_11comp_targetILNS1_3genE9ELNS1_11target_archE1100ELNS1_3gpuE3ELNS1_3repE0EEENS1_30default_config_static_selectorELNS0_4arch9wavefront6targetE1EEEvSL_.numbered_sgpr, 0
	.set _ZN7rocprim17ROCPRIM_400000_NS6detail17trampoline_kernelINS0_14default_configENS1_22reduce_config_selectorIiEEZNS1_11reduce_implILb1ES3_N6thrust23THRUST_200600_302600_NS11hip_rocprim35transform_pair_of_input_iterators_tIiPfSB_NS8_12not_equal_toIfEEEEPiiNS8_4plusIiEEEE10hipError_tPvRmT1_T2_T3_mT4_P12ihipStream_tbEUlT_E0_NS1_11comp_targetILNS1_3genE9ELNS1_11target_archE1100ELNS1_3gpuE3ELNS1_3repE0EEENS1_30default_config_static_selectorELNS0_4arch9wavefront6targetE1EEEvSL_.num_named_barrier, 0
	.set _ZN7rocprim17ROCPRIM_400000_NS6detail17trampoline_kernelINS0_14default_configENS1_22reduce_config_selectorIiEEZNS1_11reduce_implILb1ES3_N6thrust23THRUST_200600_302600_NS11hip_rocprim35transform_pair_of_input_iterators_tIiPfSB_NS8_12not_equal_toIfEEEEPiiNS8_4plusIiEEEE10hipError_tPvRmT1_T2_T3_mT4_P12ihipStream_tbEUlT_E0_NS1_11comp_targetILNS1_3genE9ELNS1_11target_archE1100ELNS1_3gpuE3ELNS1_3repE0EEENS1_30default_config_static_selectorELNS0_4arch9wavefront6targetE1EEEvSL_.private_seg_size, 0
	.set _ZN7rocprim17ROCPRIM_400000_NS6detail17trampoline_kernelINS0_14default_configENS1_22reduce_config_selectorIiEEZNS1_11reduce_implILb1ES3_N6thrust23THRUST_200600_302600_NS11hip_rocprim35transform_pair_of_input_iterators_tIiPfSB_NS8_12not_equal_toIfEEEEPiiNS8_4plusIiEEEE10hipError_tPvRmT1_T2_T3_mT4_P12ihipStream_tbEUlT_E0_NS1_11comp_targetILNS1_3genE9ELNS1_11target_archE1100ELNS1_3gpuE3ELNS1_3repE0EEENS1_30default_config_static_selectorELNS0_4arch9wavefront6targetE1EEEvSL_.uses_vcc, 0
	.set _ZN7rocprim17ROCPRIM_400000_NS6detail17trampoline_kernelINS0_14default_configENS1_22reduce_config_selectorIiEEZNS1_11reduce_implILb1ES3_N6thrust23THRUST_200600_302600_NS11hip_rocprim35transform_pair_of_input_iterators_tIiPfSB_NS8_12not_equal_toIfEEEEPiiNS8_4plusIiEEEE10hipError_tPvRmT1_T2_T3_mT4_P12ihipStream_tbEUlT_E0_NS1_11comp_targetILNS1_3genE9ELNS1_11target_archE1100ELNS1_3gpuE3ELNS1_3repE0EEENS1_30default_config_static_selectorELNS0_4arch9wavefront6targetE1EEEvSL_.uses_flat_scratch, 0
	.set _ZN7rocprim17ROCPRIM_400000_NS6detail17trampoline_kernelINS0_14default_configENS1_22reduce_config_selectorIiEEZNS1_11reduce_implILb1ES3_N6thrust23THRUST_200600_302600_NS11hip_rocprim35transform_pair_of_input_iterators_tIiPfSB_NS8_12not_equal_toIfEEEEPiiNS8_4plusIiEEEE10hipError_tPvRmT1_T2_T3_mT4_P12ihipStream_tbEUlT_E0_NS1_11comp_targetILNS1_3genE9ELNS1_11target_archE1100ELNS1_3gpuE3ELNS1_3repE0EEENS1_30default_config_static_selectorELNS0_4arch9wavefront6targetE1EEEvSL_.has_dyn_sized_stack, 0
	.set _ZN7rocprim17ROCPRIM_400000_NS6detail17trampoline_kernelINS0_14default_configENS1_22reduce_config_selectorIiEEZNS1_11reduce_implILb1ES3_N6thrust23THRUST_200600_302600_NS11hip_rocprim35transform_pair_of_input_iterators_tIiPfSB_NS8_12not_equal_toIfEEEEPiiNS8_4plusIiEEEE10hipError_tPvRmT1_T2_T3_mT4_P12ihipStream_tbEUlT_E0_NS1_11comp_targetILNS1_3genE9ELNS1_11target_archE1100ELNS1_3gpuE3ELNS1_3repE0EEENS1_30default_config_static_selectorELNS0_4arch9wavefront6targetE1EEEvSL_.has_recursion, 0
	.set _ZN7rocprim17ROCPRIM_400000_NS6detail17trampoline_kernelINS0_14default_configENS1_22reduce_config_selectorIiEEZNS1_11reduce_implILb1ES3_N6thrust23THRUST_200600_302600_NS11hip_rocprim35transform_pair_of_input_iterators_tIiPfSB_NS8_12not_equal_toIfEEEEPiiNS8_4plusIiEEEE10hipError_tPvRmT1_T2_T3_mT4_P12ihipStream_tbEUlT_E0_NS1_11comp_targetILNS1_3genE9ELNS1_11target_archE1100ELNS1_3gpuE3ELNS1_3repE0EEENS1_30default_config_static_selectorELNS0_4arch9wavefront6targetE1EEEvSL_.has_indirect_call, 0
	.section	.AMDGPU.csdata,"",@progbits
; Kernel info:
; codeLenInByte = 0
; TotalNumSgprs: 4
; NumVgprs: 0
; ScratchSize: 0
; MemoryBound: 0
; FloatMode: 240
; IeeeMode: 1
; LDSByteSize: 0 bytes/workgroup (compile time only)
; SGPRBlocks: 0
; VGPRBlocks: 0
; NumSGPRsForWavesPerEU: 4
; NumVGPRsForWavesPerEU: 1
; Occupancy: 10
; WaveLimiterHint : 0
; COMPUTE_PGM_RSRC2:SCRATCH_EN: 0
; COMPUTE_PGM_RSRC2:USER_SGPR: 6
; COMPUTE_PGM_RSRC2:TRAP_HANDLER: 0
; COMPUTE_PGM_RSRC2:TGID_X_EN: 1
; COMPUTE_PGM_RSRC2:TGID_Y_EN: 0
; COMPUTE_PGM_RSRC2:TGID_Z_EN: 0
; COMPUTE_PGM_RSRC2:TIDIG_COMP_CNT: 0
	.section	.text._ZN7rocprim17ROCPRIM_400000_NS6detail17trampoline_kernelINS0_14default_configENS1_22reduce_config_selectorIiEEZNS1_11reduce_implILb1ES3_N6thrust23THRUST_200600_302600_NS11hip_rocprim35transform_pair_of_input_iterators_tIiPfSB_NS8_12not_equal_toIfEEEEPiiNS8_4plusIiEEEE10hipError_tPvRmT1_T2_T3_mT4_P12ihipStream_tbEUlT_E0_NS1_11comp_targetILNS1_3genE8ELNS1_11target_archE1030ELNS1_3gpuE2ELNS1_3repE0EEENS1_30default_config_static_selectorELNS0_4arch9wavefront6targetE1EEEvSL_,"axG",@progbits,_ZN7rocprim17ROCPRIM_400000_NS6detail17trampoline_kernelINS0_14default_configENS1_22reduce_config_selectorIiEEZNS1_11reduce_implILb1ES3_N6thrust23THRUST_200600_302600_NS11hip_rocprim35transform_pair_of_input_iterators_tIiPfSB_NS8_12not_equal_toIfEEEEPiiNS8_4plusIiEEEE10hipError_tPvRmT1_T2_T3_mT4_P12ihipStream_tbEUlT_E0_NS1_11comp_targetILNS1_3genE8ELNS1_11target_archE1030ELNS1_3gpuE2ELNS1_3repE0EEENS1_30default_config_static_selectorELNS0_4arch9wavefront6targetE1EEEvSL_,comdat
	.protected	_ZN7rocprim17ROCPRIM_400000_NS6detail17trampoline_kernelINS0_14default_configENS1_22reduce_config_selectorIiEEZNS1_11reduce_implILb1ES3_N6thrust23THRUST_200600_302600_NS11hip_rocprim35transform_pair_of_input_iterators_tIiPfSB_NS8_12not_equal_toIfEEEEPiiNS8_4plusIiEEEE10hipError_tPvRmT1_T2_T3_mT4_P12ihipStream_tbEUlT_E0_NS1_11comp_targetILNS1_3genE8ELNS1_11target_archE1030ELNS1_3gpuE2ELNS1_3repE0EEENS1_30default_config_static_selectorELNS0_4arch9wavefront6targetE1EEEvSL_ ; -- Begin function _ZN7rocprim17ROCPRIM_400000_NS6detail17trampoline_kernelINS0_14default_configENS1_22reduce_config_selectorIiEEZNS1_11reduce_implILb1ES3_N6thrust23THRUST_200600_302600_NS11hip_rocprim35transform_pair_of_input_iterators_tIiPfSB_NS8_12not_equal_toIfEEEEPiiNS8_4plusIiEEEE10hipError_tPvRmT1_T2_T3_mT4_P12ihipStream_tbEUlT_E0_NS1_11comp_targetILNS1_3genE8ELNS1_11target_archE1030ELNS1_3gpuE2ELNS1_3repE0EEENS1_30default_config_static_selectorELNS0_4arch9wavefront6targetE1EEEvSL_
	.globl	_ZN7rocprim17ROCPRIM_400000_NS6detail17trampoline_kernelINS0_14default_configENS1_22reduce_config_selectorIiEEZNS1_11reduce_implILb1ES3_N6thrust23THRUST_200600_302600_NS11hip_rocprim35transform_pair_of_input_iterators_tIiPfSB_NS8_12not_equal_toIfEEEEPiiNS8_4plusIiEEEE10hipError_tPvRmT1_T2_T3_mT4_P12ihipStream_tbEUlT_E0_NS1_11comp_targetILNS1_3genE8ELNS1_11target_archE1030ELNS1_3gpuE2ELNS1_3repE0EEENS1_30default_config_static_selectorELNS0_4arch9wavefront6targetE1EEEvSL_
	.p2align	8
	.type	_ZN7rocprim17ROCPRIM_400000_NS6detail17trampoline_kernelINS0_14default_configENS1_22reduce_config_selectorIiEEZNS1_11reduce_implILb1ES3_N6thrust23THRUST_200600_302600_NS11hip_rocprim35transform_pair_of_input_iterators_tIiPfSB_NS8_12not_equal_toIfEEEEPiiNS8_4plusIiEEEE10hipError_tPvRmT1_T2_T3_mT4_P12ihipStream_tbEUlT_E0_NS1_11comp_targetILNS1_3genE8ELNS1_11target_archE1030ELNS1_3gpuE2ELNS1_3repE0EEENS1_30default_config_static_selectorELNS0_4arch9wavefront6targetE1EEEvSL_,@function
_ZN7rocprim17ROCPRIM_400000_NS6detail17trampoline_kernelINS0_14default_configENS1_22reduce_config_selectorIiEEZNS1_11reduce_implILb1ES3_N6thrust23THRUST_200600_302600_NS11hip_rocprim35transform_pair_of_input_iterators_tIiPfSB_NS8_12not_equal_toIfEEEEPiiNS8_4plusIiEEEE10hipError_tPvRmT1_T2_T3_mT4_P12ihipStream_tbEUlT_E0_NS1_11comp_targetILNS1_3genE8ELNS1_11target_archE1030ELNS1_3gpuE2ELNS1_3repE0EEENS1_30default_config_static_selectorELNS0_4arch9wavefront6targetE1EEEvSL_: ; @_ZN7rocprim17ROCPRIM_400000_NS6detail17trampoline_kernelINS0_14default_configENS1_22reduce_config_selectorIiEEZNS1_11reduce_implILb1ES3_N6thrust23THRUST_200600_302600_NS11hip_rocprim35transform_pair_of_input_iterators_tIiPfSB_NS8_12not_equal_toIfEEEEPiiNS8_4plusIiEEEE10hipError_tPvRmT1_T2_T3_mT4_P12ihipStream_tbEUlT_E0_NS1_11comp_targetILNS1_3genE8ELNS1_11target_archE1030ELNS1_3gpuE2ELNS1_3repE0EEENS1_30default_config_static_selectorELNS0_4arch9wavefront6targetE1EEEvSL_
; %bb.0:
	.section	.rodata,"a",@progbits
	.p2align	6, 0x0
	.amdhsa_kernel _ZN7rocprim17ROCPRIM_400000_NS6detail17trampoline_kernelINS0_14default_configENS1_22reduce_config_selectorIiEEZNS1_11reduce_implILb1ES3_N6thrust23THRUST_200600_302600_NS11hip_rocprim35transform_pair_of_input_iterators_tIiPfSB_NS8_12not_equal_toIfEEEEPiiNS8_4plusIiEEEE10hipError_tPvRmT1_T2_T3_mT4_P12ihipStream_tbEUlT_E0_NS1_11comp_targetILNS1_3genE8ELNS1_11target_archE1030ELNS1_3gpuE2ELNS1_3repE0EEENS1_30default_config_static_selectorELNS0_4arch9wavefront6targetE1EEEvSL_
		.amdhsa_group_segment_fixed_size 0
		.amdhsa_private_segment_fixed_size 0
		.amdhsa_kernarg_size 72
		.amdhsa_user_sgpr_count 6
		.amdhsa_user_sgpr_private_segment_buffer 1
		.amdhsa_user_sgpr_dispatch_ptr 0
		.amdhsa_user_sgpr_queue_ptr 0
		.amdhsa_user_sgpr_kernarg_segment_ptr 1
		.amdhsa_user_sgpr_dispatch_id 0
		.amdhsa_user_sgpr_flat_scratch_init 0
		.amdhsa_user_sgpr_private_segment_size 0
		.amdhsa_uses_dynamic_stack 0
		.amdhsa_system_sgpr_private_segment_wavefront_offset 0
		.amdhsa_system_sgpr_workgroup_id_x 1
		.amdhsa_system_sgpr_workgroup_id_y 0
		.amdhsa_system_sgpr_workgroup_id_z 0
		.amdhsa_system_sgpr_workgroup_info 0
		.amdhsa_system_vgpr_workitem_id 0
		.amdhsa_next_free_vgpr 1
		.amdhsa_next_free_sgpr 0
		.amdhsa_reserve_vcc 0
		.amdhsa_reserve_flat_scratch 0
		.amdhsa_float_round_mode_32 0
		.amdhsa_float_round_mode_16_64 0
		.amdhsa_float_denorm_mode_32 3
		.amdhsa_float_denorm_mode_16_64 3
		.amdhsa_dx10_clamp 1
		.amdhsa_ieee_mode 1
		.amdhsa_fp16_overflow 0
		.amdhsa_exception_fp_ieee_invalid_op 0
		.amdhsa_exception_fp_denorm_src 0
		.amdhsa_exception_fp_ieee_div_zero 0
		.amdhsa_exception_fp_ieee_overflow 0
		.amdhsa_exception_fp_ieee_underflow 0
		.amdhsa_exception_fp_ieee_inexact 0
		.amdhsa_exception_int_div_zero 0
	.end_amdhsa_kernel
	.section	.text._ZN7rocprim17ROCPRIM_400000_NS6detail17trampoline_kernelINS0_14default_configENS1_22reduce_config_selectorIiEEZNS1_11reduce_implILb1ES3_N6thrust23THRUST_200600_302600_NS11hip_rocprim35transform_pair_of_input_iterators_tIiPfSB_NS8_12not_equal_toIfEEEEPiiNS8_4plusIiEEEE10hipError_tPvRmT1_T2_T3_mT4_P12ihipStream_tbEUlT_E0_NS1_11comp_targetILNS1_3genE8ELNS1_11target_archE1030ELNS1_3gpuE2ELNS1_3repE0EEENS1_30default_config_static_selectorELNS0_4arch9wavefront6targetE1EEEvSL_,"axG",@progbits,_ZN7rocprim17ROCPRIM_400000_NS6detail17trampoline_kernelINS0_14default_configENS1_22reduce_config_selectorIiEEZNS1_11reduce_implILb1ES3_N6thrust23THRUST_200600_302600_NS11hip_rocprim35transform_pair_of_input_iterators_tIiPfSB_NS8_12not_equal_toIfEEEEPiiNS8_4plusIiEEEE10hipError_tPvRmT1_T2_T3_mT4_P12ihipStream_tbEUlT_E0_NS1_11comp_targetILNS1_3genE8ELNS1_11target_archE1030ELNS1_3gpuE2ELNS1_3repE0EEENS1_30default_config_static_selectorELNS0_4arch9wavefront6targetE1EEEvSL_,comdat
.Lfunc_end1896:
	.size	_ZN7rocprim17ROCPRIM_400000_NS6detail17trampoline_kernelINS0_14default_configENS1_22reduce_config_selectorIiEEZNS1_11reduce_implILb1ES3_N6thrust23THRUST_200600_302600_NS11hip_rocprim35transform_pair_of_input_iterators_tIiPfSB_NS8_12not_equal_toIfEEEEPiiNS8_4plusIiEEEE10hipError_tPvRmT1_T2_T3_mT4_P12ihipStream_tbEUlT_E0_NS1_11comp_targetILNS1_3genE8ELNS1_11target_archE1030ELNS1_3gpuE2ELNS1_3repE0EEENS1_30default_config_static_selectorELNS0_4arch9wavefront6targetE1EEEvSL_, .Lfunc_end1896-_ZN7rocprim17ROCPRIM_400000_NS6detail17trampoline_kernelINS0_14default_configENS1_22reduce_config_selectorIiEEZNS1_11reduce_implILb1ES3_N6thrust23THRUST_200600_302600_NS11hip_rocprim35transform_pair_of_input_iterators_tIiPfSB_NS8_12not_equal_toIfEEEEPiiNS8_4plusIiEEEE10hipError_tPvRmT1_T2_T3_mT4_P12ihipStream_tbEUlT_E0_NS1_11comp_targetILNS1_3genE8ELNS1_11target_archE1030ELNS1_3gpuE2ELNS1_3repE0EEENS1_30default_config_static_selectorELNS0_4arch9wavefront6targetE1EEEvSL_
                                        ; -- End function
	.set _ZN7rocprim17ROCPRIM_400000_NS6detail17trampoline_kernelINS0_14default_configENS1_22reduce_config_selectorIiEEZNS1_11reduce_implILb1ES3_N6thrust23THRUST_200600_302600_NS11hip_rocprim35transform_pair_of_input_iterators_tIiPfSB_NS8_12not_equal_toIfEEEEPiiNS8_4plusIiEEEE10hipError_tPvRmT1_T2_T3_mT4_P12ihipStream_tbEUlT_E0_NS1_11comp_targetILNS1_3genE8ELNS1_11target_archE1030ELNS1_3gpuE2ELNS1_3repE0EEENS1_30default_config_static_selectorELNS0_4arch9wavefront6targetE1EEEvSL_.num_vgpr, 0
	.set _ZN7rocprim17ROCPRIM_400000_NS6detail17trampoline_kernelINS0_14default_configENS1_22reduce_config_selectorIiEEZNS1_11reduce_implILb1ES3_N6thrust23THRUST_200600_302600_NS11hip_rocprim35transform_pair_of_input_iterators_tIiPfSB_NS8_12not_equal_toIfEEEEPiiNS8_4plusIiEEEE10hipError_tPvRmT1_T2_T3_mT4_P12ihipStream_tbEUlT_E0_NS1_11comp_targetILNS1_3genE8ELNS1_11target_archE1030ELNS1_3gpuE2ELNS1_3repE0EEENS1_30default_config_static_selectorELNS0_4arch9wavefront6targetE1EEEvSL_.num_agpr, 0
	.set _ZN7rocprim17ROCPRIM_400000_NS6detail17trampoline_kernelINS0_14default_configENS1_22reduce_config_selectorIiEEZNS1_11reduce_implILb1ES3_N6thrust23THRUST_200600_302600_NS11hip_rocprim35transform_pair_of_input_iterators_tIiPfSB_NS8_12not_equal_toIfEEEEPiiNS8_4plusIiEEEE10hipError_tPvRmT1_T2_T3_mT4_P12ihipStream_tbEUlT_E0_NS1_11comp_targetILNS1_3genE8ELNS1_11target_archE1030ELNS1_3gpuE2ELNS1_3repE0EEENS1_30default_config_static_selectorELNS0_4arch9wavefront6targetE1EEEvSL_.numbered_sgpr, 0
	.set _ZN7rocprim17ROCPRIM_400000_NS6detail17trampoline_kernelINS0_14default_configENS1_22reduce_config_selectorIiEEZNS1_11reduce_implILb1ES3_N6thrust23THRUST_200600_302600_NS11hip_rocprim35transform_pair_of_input_iterators_tIiPfSB_NS8_12not_equal_toIfEEEEPiiNS8_4plusIiEEEE10hipError_tPvRmT1_T2_T3_mT4_P12ihipStream_tbEUlT_E0_NS1_11comp_targetILNS1_3genE8ELNS1_11target_archE1030ELNS1_3gpuE2ELNS1_3repE0EEENS1_30default_config_static_selectorELNS0_4arch9wavefront6targetE1EEEvSL_.num_named_barrier, 0
	.set _ZN7rocprim17ROCPRIM_400000_NS6detail17trampoline_kernelINS0_14default_configENS1_22reduce_config_selectorIiEEZNS1_11reduce_implILb1ES3_N6thrust23THRUST_200600_302600_NS11hip_rocprim35transform_pair_of_input_iterators_tIiPfSB_NS8_12not_equal_toIfEEEEPiiNS8_4plusIiEEEE10hipError_tPvRmT1_T2_T3_mT4_P12ihipStream_tbEUlT_E0_NS1_11comp_targetILNS1_3genE8ELNS1_11target_archE1030ELNS1_3gpuE2ELNS1_3repE0EEENS1_30default_config_static_selectorELNS0_4arch9wavefront6targetE1EEEvSL_.private_seg_size, 0
	.set _ZN7rocprim17ROCPRIM_400000_NS6detail17trampoline_kernelINS0_14default_configENS1_22reduce_config_selectorIiEEZNS1_11reduce_implILb1ES3_N6thrust23THRUST_200600_302600_NS11hip_rocprim35transform_pair_of_input_iterators_tIiPfSB_NS8_12not_equal_toIfEEEEPiiNS8_4plusIiEEEE10hipError_tPvRmT1_T2_T3_mT4_P12ihipStream_tbEUlT_E0_NS1_11comp_targetILNS1_3genE8ELNS1_11target_archE1030ELNS1_3gpuE2ELNS1_3repE0EEENS1_30default_config_static_selectorELNS0_4arch9wavefront6targetE1EEEvSL_.uses_vcc, 0
	.set _ZN7rocprim17ROCPRIM_400000_NS6detail17trampoline_kernelINS0_14default_configENS1_22reduce_config_selectorIiEEZNS1_11reduce_implILb1ES3_N6thrust23THRUST_200600_302600_NS11hip_rocprim35transform_pair_of_input_iterators_tIiPfSB_NS8_12not_equal_toIfEEEEPiiNS8_4plusIiEEEE10hipError_tPvRmT1_T2_T3_mT4_P12ihipStream_tbEUlT_E0_NS1_11comp_targetILNS1_3genE8ELNS1_11target_archE1030ELNS1_3gpuE2ELNS1_3repE0EEENS1_30default_config_static_selectorELNS0_4arch9wavefront6targetE1EEEvSL_.uses_flat_scratch, 0
	.set _ZN7rocprim17ROCPRIM_400000_NS6detail17trampoline_kernelINS0_14default_configENS1_22reduce_config_selectorIiEEZNS1_11reduce_implILb1ES3_N6thrust23THRUST_200600_302600_NS11hip_rocprim35transform_pair_of_input_iterators_tIiPfSB_NS8_12not_equal_toIfEEEEPiiNS8_4plusIiEEEE10hipError_tPvRmT1_T2_T3_mT4_P12ihipStream_tbEUlT_E0_NS1_11comp_targetILNS1_3genE8ELNS1_11target_archE1030ELNS1_3gpuE2ELNS1_3repE0EEENS1_30default_config_static_selectorELNS0_4arch9wavefront6targetE1EEEvSL_.has_dyn_sized_stack, 0
	.set _ZN7rocprim17ROCPRIM_400000_NS6detail17trampoline_kernelINS0_14default_configENS1_22reduce_config_selectorIiEEZNS1_11reduce_implILb1ES3_N6thrust23THRUST_200600_302600_NS11hip_rocprim35transform_pair_of_input_iterators_tIiPfSB_NS8_12not_equal_toIfEEEEPiiNS8_4plusIiEEEE10hipError_tPvRmT1_T2_T3_mT4_P12ihipStream_tbEUlT_E0_NS1_11comp_targetILNS1_3genE8ELNS1_11target_archE1030ELNS1_3gpuE2ELNS1_3repE0EEENS1_30default_config_static_selectorELNS0_4arch9wavefront6targetE1EEEvSL_.has_recursion, 0
	.set _ZN7rocprim17ROCPRIM_400000_NS6detail17trampoline_kernelINS0_14default_configENS1_22reduce_config_selectorIiEEZNS1_11reduce_implILb1ES3_N6thrust23THRUST_200600_302600_NS11hip_rocprim35transform_pair_of_input_iterators_tIiPfSB_NS8_12not_equal_toIfEEEEPiiNS8_4plusIiEEEE10hipError_tPvRmT1_T2_T3_mT4_P12ihipStream_tbEUlT_E0_NS1_11comp_targetILNS1_3genE8ELNS1_11target_archE1030ELNS1_3gpuE2ELNS1_3repE0EEENS1_30default_config_static_selectorELNS0_4arch9wavefront6targetE1EEEvSL_.has_indirect_call, 0
	.section	.AMDGPU.csdata,"",@progbits
; Kernel info:
; codeLenInByte = 0
; TotalNumSgprs: 4
; NumVgprs: 0
; ScratchSize: 0
; MemoryBound: 0
; FloatMode: 240
; IeeeMode: 1
; LDSByteSize: 0 bytes/workgroup (compile time only)
; SGPRBlocks: 0
; VGPRBlocks: 0
; NumSGPRsForWavesPerEU: 4
; NumVGPRsForWavesPerEU: 1
; Occupancy: 10
; WaveLimiterHint : 0
; COMPUTE_PGM_RSRC2:SCRATCH_EN: 0
; COMPUTE_PGM_RSRC2:USER_SGPR: 6
; COMPUTE_PGM_RSRC2:TRAP_HANDLER: 0
; COMPUTE_PGM_RSRC2:TGID_X_EN: 1
; COMPUTE_PGM_RSRC2:TGID_Y_EN: 0
; COMPUTE_PGM_RSRC2:TGID_Z_EN: 0
; COMPUTE_PGM_RSRC2:TIDIG_COMP_CNT: 0
	.section	.text._ZN7rocprim17ROCPRIM_400000_NS6detail17trampoline_kernelINS0_14default_configENS1_22reduce_config_selectorIiEEZNS1_11reduce_implILb1ES3_N6thrust23THRUST_200600_302600_NS11hip_rocprim35transform_pair_of_input_iterators_tIiPfSB_NS8_12not_equal_toIfEEEEPiiNS8_4plusIiEEEE10hipError_tPvRmT1_T2_T3_mT4_P12ihipStream_tbEUlT_E1_NS1_11comp_targetILNS1_3genE0ELNS1_11target_archE4294967295ELNS1_3gpuE0ELNS1_3repE0EEENS1_30default_config_static_selectorELNS0_4arch9wavefront6targetE1EEEvSL_,"axG",@progbits,_ZN7rocprim17ROCPRIM_400000_NS6detail17trampoline_kernelINS0_14default_configENS1_22reduce_config_selectorIiEEZNS1_11reduce_implILb1ES3_N6thrust23THRUST_200600_302600_NS11hip_rocprim35transform_pair_of_input_iterators_tIiPfSB_NS8_12not_equal_toIfEEEEPiiNS8_4plusIiEEEE10hipError_tPvRmT1_T2_T3_mT4_P12ihipStream_tbEUlT_E1_NS1_11comp_targetILNS1_3genE0ELNS1_11target_archE4294967295ELNS1_3gpuE0ELNS1_3repE0EEENS1_30default_config_static_selectorELNS0_4arch9wavefront6targetE1EEEvSL_,comdat
	.protected	_ZN7rocprim17ROCPRIM_400000_NS6detail17trampoline_kernelINS0_14default_configENS1_22reduce_config_selectorIiEEZNS1_11reduce_implILb1ES3_N6thrust23THRUST_200600_302600_NS11hip_rocprim35transform_pair_of_input_iterators_tIiPfSB_NS8_12not_equal_toIfEEEEPiiNS8_4plusIiEEEE10hipError_tPvRmT1_T2_T3_mT4_P12ihipStream_tbEUlT_E1_NS1_11comp_targetILNS1_3genE0ELNS1_11target_archE4294967295ELNS1_3gpuE0ELNS1_3repE0EEENS1_30default_config_static_selectorELNS0_4arch9wavefront6targetE1EEEvSL_ ; -- Begin function _ZN7rocprim17ROCPRIM_400000_NS6detail17trampoline_kernelINS0_14default_configENS1_22reduce_config_selectorIiEEZNS1_11reduce_implILb1ES3_N6thrust23THRUST_200600_302600_NS11hip_rocprim35transform_pair_of_input_iterators_tIiPfSB_NS8_12not_equal_toIfEEEEPiiNS8_4plusIiEEEE10hipError_tPvRmT1_T2_T3_mT4_P12ihipStream_tbEUlT_E1_NS1_11comp_targetILNS1_3genE0ELNS1_11target_archE4294967295ELNS1_3gpuE0ELNS1_3repE0EEENS1_30default_config_static_selectorELNS0_4arch9wavefront6targetE1EEEvSL_
	.globl	_ZN7rocprim17ROCPRIM_400000_NS6detail17trampoline_kernelINS0_14default_configENS1_22reduce_config_selectorIiEEZNS1_11reduce_implILb1ES3_N6thrust23THRUST_200600_302600_NS11hip_rocprim35transform_pair_of_input_iterators_tIiPfSB_NS8_12not_equal_toIfEEEEPiiNS8_4plusIiEEEE10hipError_tPvRmT1_T2_T3_mT4_P12ihipStream_tbEUlT_E1_NS1_11comp_targetILNS1_3genE0ELNS1_11target_archE4294967295ELNS1_3gpuE0ELNS1_3repE0EEENS1_30default_config_static_selectorELNS0_4arch9wavefront6targetE1EEEvSL_
	.p2align	8
	.type	_ZN7rocprim17ROCPRIM_400000_NS6detail17trampoline_kernelINS0_14default_configENS1_22reduce_config_selectorIiEEZNS1_11reduce_implILb1ES3_N6thrust23THRUST_200600_302600_NS11hip_rocprim35transform_pair_of_input_iterators_tIiPfSB_NS8_12not_equal_toIfEEEEPiiNS8_4plusIiEEEE10hipError_tPvRmT1_T2_T3_mT4_P12ihipStream_tbEUlT_E1_NS1_11comp_targetILNS1_3genE0ELNS1_11target_archE4294967295ELNS1_3gpuE0ELNS1_3repE0EEENS1_30default_config_static_selectorELNS0_4arch9wavefront6targetE1EEEvSL_,@function
_ZN7rocprim17ROCPRIM_400000_NS6detail17trampoline_kernelINS0_14default_configENS1_22reduce_config_selectorIiEEZNS1_11reduce_implILb1ES3_N6thrust23THRUST_200600_302600_NS11hip_rocprim35transform_pair_of_input_iterators_tIiPfSB_NS8_12not_equal_toIfEEEEPiiNS8_4plusIiEEEE10hipError_tPvRmT1_T2_T3_mT4_P12ihipStream_tbEUlT_E1_NS1_11comp_targetILNS1_3genE0ELNS1_11target_archE4294967295ELNS1_3gpuE0ELNS1_3repE0EEENS1_30default_config_static_selectorELNS0_4arch9wavefront6targetE1EEEvSL_: ; @_ZN7rocprim17ROCPRIM_400000_NS6detail17trampoline_kernelINS0_14default_configENS1_22reduce_config_selectorIiEEZNS1_11reduce_implILb1ES3_N6thrust23THRUST_200600_302600_NS11hip_rocprim35transform_pair_of_input_iterators_tIiPfSB_NS8_12not_equal_toIfEEEEPiiNS8_4plusIiEEEE10hipError_tPvRmT1_T2_T3_mT4_P12ihipStream_tbEUlT_E1_NS1_11comp_targetILNS1_3genE0ELNS1_11target_archE4294967295ELNS1_3gpuE0ELNS1_3repE0EEENS1_30default_config_static_selectorELNS0_4arch9wavefront6targetE1EEEvSL_
; %bb.0:
	.section	.rodata,"a",@progbits
	.p2align	6, 0x0
	.amdhsa_kernel _ZN7rocprim17ROCPRIM_400000_NS6detail17trampoline_kernelINS0_14default_configENS1_22reduce_config_selectorIiEEZNS1_11reduce_implILb1ES3_N6thrust23THRUST_200600_302600_NS11hip_rocprim35transform_pair_of_input_iterators_tIiPfSB_NS8_12not_equal_toIfEEEEPiiNS8_4plusIiEEEE10hipError_tPvRmT1_T2_T3_mT4_P12ihipStream_tbEUlT_E1_NS1_11comp_targetILNS1_3genE0ELNS1_11target_archE4294967295ELNS1_3gpuE0ELNS1_3repE0EEENS1_30default_config_static_selectorELNS0_4arch9wavefront6targetE1EEEvSL_
		.amdhsa_group_segment_fixed_size 0
		.amdhsa_private_segment_fixed_size 0
		.amdhsa_kernarg_size 56
		.amdhsa_user_sgpr_count 6
		.amdhsa_user_sgpr_private_segment_buffer 1
		.amdhsa_user_sgpr_dispatch_ptr 0
		.amdhsa_user_sgpr_queue_ptr 0
		.amdhsa_user_sgpr_kernarg_segment_ptr 1
		.amdhsa_user_sgpr_dispatch_id 0
		.amdhsa_user_sgpr_flat_scratch_init 0
		.amdhsa_user_sgpr_private_segment_size 0
		.amdhsa_uses_dynamic_stack 0
		.amdhsa_system_sgpr_private_segment_wavefront_offset 0
		.amdhsa_system_sgpr_workgroup_id_x 1
		.amdhsa_system_sgpr_workgroup_id_y 0
		.amdhsa_system_sgpr_workgroup_id_z 0
		.amdhsa_system_sgpr_workgroup_info 0
		.amdhsa_system_vgpr_workitem_id 0
		.amdhsa_next_free_vgpr 1
		.amdhsa_next_free_sgpr 0
		.amdhsa_reserve_vcc 0
		.amdhsa_reserve_flat_scratch 0
		.amdhsa_float_round_mode_32 0
		.amdhsa_float_round_mode_16_64 0
		.amdhsa_float_denorm_mode_32 3
		.amdhsa_float_denorm_mode_16_64 3
		.amdhsa_dx10_clamp 1
		.amdhsa_ieee_mode 1
		.amdhsa_fp16_overflow 0
		.amdhsa_exception_fp_ieee_invalid_op 0
		.amdhsa_exception_fp_denorm_src 0
		.amdhsa_exception_fp_ieee_div_zero 0
		.amdhsa_exception_fp_ieee_overflow 0
		.amdhsa_exception_fp_ieee_underflow 0
		.amdhsa_exception_fp_ieee_inexact 0
		.amdhsa_exception_int_div_zero 0
	.end_amdhsa_kernel
	.section	.text._ZN7rocprim17ROCPRIM_400000_NS6detail17trampoline_kernelINS0_14default_configENS1_22reduce_config_selectorIiEEZNS1_11reduce_implILb1ES3_N6thrust23THRUST_200600_302600_NS11hip_rocprim35transform_pair_of_input_iterators_tIiPfSB_NS8_12not_equal_toIfEEEEPiiNS8_4plusIiEEEE10hipError_tPvRmT1_T2_T3_mT4_P12ihipStream_tbEUlT_E1_NS1_11comp_targetILNS1_3genE0ELNS1_11target_archE4294967295ELNS1_3gpuE0ELNS1_3repE0EEENS1_30default_config_static_selectorELNS0_4arch9wavefront6targetE1EEEvSL_,"axG",@progbits,_ZN7rocprim17ROCPRIM_400000_NS6detail17trampoline_kernelINS0_14default_configENS1_22reduce_config_selectorIiEEZNS1_11reduce_implILb1ES3_N6thrust23THRUST_200600_302600_NS11hip_rocprim35transform_pair_of_input_iterators_tIiPfSB_NS8_12not_equal_toIfEEEEPiiNS8_4plusIiEEEE10hipError_tPvRmT1_T2_T3_mT4_P12ihipStream_tbEUlT_E1_NS1_11comp_targetILNS1_3genE0ELNS1_11target_archE4294967295ELNS1_3gpuE0ELNS1_3repE0EEENS1_30default_config_static_selectorELNS0_4arch9wavefront6targetE1EEEvSL_,comdat
.Lfunc_end1897:
	.size	_ZN7rocprim17ROCPRIM_400000_NS6detail17trampoline_kernelINS0_14default_configENS1_22reduce_config_selectorIiEEZNS1_11reduce_implILb1ES3_N6thrust23THRUST_200600_302600_NS11hip_rocprim35transform_pair_of_input_iterators_tIiPfSB_NS8_12not_equal_toIfEEEEPiiNS8_4plusIiEEEE10hipError_tPvRmT1_T2_T3_mT4_P12ihipStream_tbEUlT_E1_NS1_11comp_targetILNS1_3genE0ELNS1_11target_archE4294967295ELNS1_3gpuE0ELNS1_3repE0EEENS1_30default_config_static_selectorELNS0_4arch9wavefront6targetE1EEEvSL_, .Lfunc_end1897-_ZN7rocprim17ROCPRIM_400000_NS6detail17trampoline_kernelINS0_14default_configENS1_22reduce_config_selectorIiEEZNS1_11reduce_implILb1ES3_N6thrust23THRUST_200600_302600_NS11hip_rocprim35transform_pair_of_input_iterators_tIiPfSB_NS8_12not_equal_toIfEEEEPiiNS8_4plusIiEEEE10hipError_tPvRmT1_T2_T3_mT4_P12ihipStream_tbEUlT_E1_NS1_11comp_targetILNS1_3genE0ELNS1_11target_archE4294967295ELNS1_3gpuE0ELNS1_3repE0EEENS1_30default_config_static_selectorELNS0_4arch9wavefront6targetE1EEEvSL_
                                        ; -- End function
	.set _ZN7rocprim17ROCPRIM_400000_NS6detail17trampoline_kernelINS0_14default_configENS1_22reduce_config_selectorIiEEZNS1_11reduce_implILb1ES3_N6thrust23THRUST_200600_302600_NS11hip_rocprim35transform_pair_of_input_iterators_tIiPfSB_NS8_12not_equal_toIfEEEEPiiNS8_4plusIiEEEE10hipError_tPvRmT1_T2_T3_mT4_P12ihipStream_tbEUlT_E1_NS1_11comp_targetILNS1_3genE0ELNS1_11target_archE4294967295ELNS1_3gpuE0ELNS1_3repE0EEENS1_30default_config_static_selectorELNS0_4arch9wavefront6targetE1EEEvSL_.num_vgpr, 0
	.set _ZN7rocprim17ROCPRIM_400000_NS6detail17trampoline_kernelINS0_14default_configENS1_22reduce_config_selectorIiEEZNS1_11reduce_implILb1ES3_N6thrust23THRUST_200600_302600_NS11hip_rocprim35transform_pair_of_input_iterators_tIiPfSB_NS8_12not_equal_toIfEEEEPiiNS8_4plusIiEEEE10hipError_tPvRmT1_T2_T3_mT4_P12ihipStream_tbEUlT_E1_NS1_11comp_targetILNS1_3genE0ELNS1_11target_archE4294967295ELNS1_3gpuE0ELNS1_3repE0EEENS1_30default_config_static_selectorELNS0_4arch9wavefront6targetE1EEEvSL_.num_agpr, 0
	.set _ZN7rocprim17ROCPRIM_400000_NS6detail17trampoline_kernelINS0_14default_configENS1_22reduce_config_selectorIiEEZNS1_11reduce_implILb1ES3_N6thrust23THRUST_200600_302600_NS11hip_rocprim35transform_pair_of_input_iterators_tIiPfSB_NS8_12not_equal_toIfEEEEPiiNS8_4plusIiEEEE10hipError_tPvRmT1_T2_T3_mT4_P12ihipStream_tbEUlT_E1_NS1_11comp_targetILNS1_3genE0ELNS1_11target_archE4294967295ELNS1_3gpuE0ELNS1_3repE0EEENS1_30default_config_static_selectorELNS0_4arch9wavefront6targetE1EEEvSL_.numbered_sgpr, 0
	.set _ZN7rocprim17ROCPRIM_400000_NS6detail17trampoline_kernelINS0_14default_configENS1_22reduce_config_selectorIiEEZNS1_11reduce_implILb1ES3_N6thrust23THRUST_200600_302600_NS11hip_rocprim35transform_pair_of_input_iterators_tIiPfSB_NS8_12not_equal_toIfEEEEPiiNS8_4plusIiEEEE10hipError_tPvRmT1_T2_T3_mT4_P12ihipStream_tbEUlT_E1_NS1_11comp_targetILNS1_3genE0ELNS1_11target_archE4294967295ELNS1_3gpuE0ELNS1_3repE0EEENS1_30default_config_static_selectorELNS0_4arch9wavefront6targetE1EEEvSL_.num_named_barrier, 0
	.set _ZN7rocprim17ROCPRIM_400000_NS6detail17trampoline_kernelINS0_14default_configENS1_22reduce_config_selectorIiEEZNS1_11reduce_implILb1ES3_N6thrust23THRUST_200600_302600_NS11hip_rocprim35transform_pair_of_input_iterators_tIiPfSB_NS8_12not_equal_toIfEEEEPiiNS8_4plusIiEEEE10hipError_tPvRmT1_T2_T3_mT4_P12ihipStream_tbEUlT_E1_NS1_11comp_targetILNS1_3genE0ELNS1_11target_archE4294967295ELNS1_3gpuE0ELNS1_3repE0EEENS1_30default_config_static_selectorELNS0_4arch9wavefront6targetE1EEEvSL_.private_seg_size, 0
	.set _ZN7rocprim17ROCPRIM_400000_NS6detail17trampoline_kernelINS0_14default_configENS1_22reduce_config_selectorIiEEZNS1_11reduce_implILb1ES3_N6thrust23THRUST_200600_302600_NS11hip_rocprim35transform_pair_of_input_iterators_tIiPfSB_NS8_12not_equal_toIfEEEEPiiNS8_4plusIiEEEE10hipError_tPvRmT1_T2_T3_mT4_P12ihipStream_tbEUlT_E1_NS1_11comp_targetILNS1_3genE0ELNS1_11target_archE4294967295ELNS1_3gpuE0ELNS1_3repE0EEENS1_30default_config_static_selectorELNS0_4arch9wavefront6targetE1EEEvSL_.uses_vcc, 0
	.set _ZN7rocprim17ROCPRIM_400000_NS6detail17trampoline_kernelINS0_14default_configENS1_22reduce_config_selectorIiEEZNS1_11reduce_implILb1ES3_N6thrust23THRUST_200600_302600_NS11hip_rocprim35transform_pair_of_input_iterators_tIiPfSB_NS8_12not_equal_toIfEEEEPiiNS8_4plusIiEEEE10hipError_tPvRmT1_T2_T3_mT4_P12ihipStream_tbEUlT_E1_NS1_11comp_targetILNS1_3genE0ELNS1_11target_archE4294967295ELNS1_3gpuE0ELNS1_3repE0EEENS1_30default_config_static_selectorELNS0_4arch9wavefront6targetE1EEEvSL_.uses_flat_scratch, 0
	.set _ZN7rocprim17ROCPRIM_400000_NS6detail17trampoline_kernelINS0_14default_configENS1_22reduce_config_selectorIiEEZNS1_11reduce_implILb1ES3_N6thrust23THRUST_200600_302600_NS11hip_rocprim35transform_pair_of_input_iterators_tIiPfSB_NS8_12not_equal_toIfEEEEPiiNS8_4plusIiEEEE10hipError_tPvRmT1_T2_T3_mT4_P12ihipStream_tbEUlT_E1_NS1_11comp_targetILNS1_3genE0ELNS1_11target_archE4294967295ELNS1_3gpuE0ELNS1_3repE0EEENS1_30default_config_static_selectorELNS0_4arch9wavefront6targetE1EEEvSL_.has_dyn_sized_stack, 0
	.set _ZN7rocprim17ROCPRIM_400000_NS6detail17trampoline_kernelINS0_14default_configENS1_22reduce_config_selectorIiEEZNS1_11reduce_implILb1ES3_N6thrust23THRUST_200600_302600_NS11hip_rocprim35transform_pair_of_input_iterators_tIiPfSB_NS8_12not_equal_toIfEEEEPiiNS8_4plusIiEEEE10hipError_tPvRmT1_T2_T3_mT4_P12ihipStream_tbEUlT_E1_NS1_11comp_targetILNS1_3genE0ELNS1_11target_archE4294967295ELNS1_3gpuE0ELNS1_3repE0EEENS1_30default_config_static_selectorELNS0_4arch9wavefront6targetE1EEEvSL_.has_recursion, 0
	.set _ZN7rocprim17ROCPRIM_400000_NS6detail17trampoline_kernelINS0_14default_configENS1_22reduce_config_selectorIiEEZNS1_11reduce_implILb1ES3_N6thrust23THRUST_200600_302600_NS11hip_rocprim35transform_pair_of_input_iterators_tIiPfSB_NS8_12not_equal_toIfEEEEPiiNS8_4plusIiEEEE10hipError_tPvRmT1_T2_T3_mT4_P12ihipStream_tbEUlT_E1_NS1_11comp_targetILNS1_3genE0ELNS1_11target_archE4294967295ELNS1_3gpuE0ELNS1_3repE0EEENS1_30default_config_static_selectorELNS0_4arch9wavefront6targetE1EEEvSL_.has_indirect_call, 0
	.section	.AMDGPU.csdata,"",@progbits
; Kernel info:
; codeLenInByte = 0
; TotalNumSgprs: 4
; NumVgprs: 0
; ScratchSize: 0
; MemoryBound: 0
; FloatMode: 240
; IeeeMode: 1
; LDSByteSize: 0 bytes/workgroup (compile time only)
; SGPRBlocks: 0
; VGPRBlocks: 0
; NumSGPRsForWavesPerEU: 4
; NumVGPRsForWavesPerEU: 1
; Occupancy: 10
; WaveLimiterHint : 0
; COMPUTE_PGM_RSRC2:SCRATCH_EN: 0
; COMPUTE_PGM_RSRC2:USER_SGPR: 6
; COMPUTE_PGM_RSRC2:TRAP_HANDLER: 0
; COMPUTE_PGM_RSRC2:TGID_X_EN: 1
; COMPUTE_PGM_RSRC2:TGID_Y_EN: 0
; COMPUTE_PGM_RSRC2:TGID_Z_EN: 0
; COMPUTE_PGM_RSRC2:TIDIG_COMP_CNT: 0
	.section	.text._ZN7rocprim17ROCPRIM_400000_NS6detail17trampoline_kernelINS0_14default_configENS1_22reduce_config_selectorIiEEZNS1_11reduce_implILb1ES3_N6thrust23THRUST_200600_302600_NS11hip_rocprim35transform_pair_of_input_iterators_tIiPfSB_NS8_12not_equal_toIfEEEEPiiNS8_4plusIiEEEE10hipError_tPvRmT1_T2_T3_mT4_P12ihipStream_tbEUlT_E1_NS1_11comp_targetILNS1_3genE5ELNS1_11target_archE942ELNS1_3gpuE9ELNS1_3repE0EEENS1_30default_config_static_selectorELNS0_4arch9wavefront6targetE1EEEvSL_,"axG",@progbits,_ZN7rocprim17ROCPRIM_400000_NS6detail17trampoline_kernelINS0_14default_configENS1_22reduce_config_selectorIiEEZNS1_11reduce_implILb1ES3_N6thrust23THRUST_200600_302600_NS11hip_rocprim35transform_pair_of_input_iterators_tIiPfSB_NS8_12not_equal_toIfEEEEPiiNS8_4plusIiEEEE10hipError_tPvRmT1_T2_T3_mT4_P12ihipStream_tbEUlT_E1_NS1_11comp_targetILNS1_3genE5ELNS1_11target_archE942ELNS1_3gpuE9ELNS1_3repE0EEENS1_30default_config_static_selectorELNS0_4arch9wavefront6targetE1EEEvSL_,comdat
	.protected	_ZN7rocprim17ROCPRIM_400000_NS6detail17trampoline_kernelINS0_14default_configENS1_22reduce_config_selectorIiEEZNS1_11reduce_implILb1ES3_N6thrust23THRUST_200600_302600_NS11hip_rocprim35transform_pair_of_input_iterators_tIiPfSB_NS8_12not_equal_toIfEEEEPiiNS8_4plusIiEEEE10hipError_tPvRmT1_T2_T3_mT4_P12ihipStream_tbEUlT_E1_NS1_11comp_targetILNS1_3genE5ELNS1_11target_archE942ELNS1_3gpuE9ELNS1_3repE0EEENS1_30default_config_static_selectorELNS0_4arch9wavefront6targetE1EEEvSL_ ; -- Begin function _ZN7rocprim17ROCPRIM_400000_NS6detail17trampoline_kernelINS0_14default_configENS1_22reduce_config_selectorIiEEZNS1_11reduce_implILb1ES3_N6thrust23THRUST_200600_302600_NS11hip_rocprim35transform_pair_of_input_iterators_tIiPfSB_NS8_12not_equal_toIfEEEEPiiNS8_4plusIiEEEE10hipError_tPvRmT1_T2_T3_mT4_P12ihipStream_tbEUlT_E1_NS1_11comp_targetILNS1_3genE5ELNS1_11target_archE942ELNS1_3gpuE9ELNS1_3repE0EEENS1_30default_config_static_selectorELNS0_4arch9wavefront6targetE1EEEvSL_
	.globl	_ZN7rocprim17ROCPRIM_400000_NS6detail17trampoline_kernelINS0_14default_configENS1_22reduce_config_selectorIiEEZNS1_11reduce_implILb1ES3_N6thrust23THRUST_200600_302600_NS11hip_rocprim35transform_pair_of_input_iterators_tIiPfSB_NS8_12not_equal_toIfEEEEPiiNS8_4plusIiEEEE10hipError_tPvRmT1_T2_T3_mT4_P12ihipStream_tbEUlT_E1_NS1_11comp_targetILNS1_3genE5ELNS1_11target_archE942ELNS1_3gpuE9ELNS1_3repE0EEENS1_30default_config_static_selectorELNS0_4arch9wavefront6targetE1EEEvSL_
	.p2align	8
	.type	_ZN7rocprim17ROCPRIM_400000_NS6detail17trampoline_kernelINS0_14default_configENS1_22reduce_config_selectorIiEEZNS1_11reduce_implILb1ES3_N6thrust23THRUST_200600_302600_NS11hip_rocprim35transform_pair_of_input_iterators_tIiPfSB_NS8_12not_equal_toIfEEEEPiiNS8_4plusIiEEEE10hipError_tPvRmT1_T2_T3_mT4_P12ihipStream_tbEUlT_E1_NS1_11comp_targetILNS1_3genE5ELNS1_11target_archE942ELNS1_3gpuE9ELNS1_3repE0EEENS1_30default_config_static_selectorELNS0_4arch9wavefront6targetE1EEEvSL_,@function
_ZN7rocprim17ROCPRIM_400000_NS6detail17trampoline_kernelINS0_14default_configENS1_22reduce_config_selectorIiEEZNS1_11reduce_implILb1ES3_N6thrust23THRUST_200600_302600_NS11hip_rocprim35transform_pair_of_input_iterators_tIiPfSB_NS8_12not_equal_toIfEEEEPiiNS8_4plusIiEEEE10hipError_tPvRmT1_T2_T3_mT4_P12ihipStream_tbEUlT_E1_NS1_11comp_targetILNS1_3genE5ELNS1_11target_archE942ELNS1_3gpuE9ELNS1_3repE0EEENS1_30default_config_static_selectorELNS0_4arch9wavefront6targetE1EEEvSL_: ; @_ZN7rocprim17ROCPRIM_400000_NS6detail17trampoline_kernelINS0_14default_configENS1_22reduce_config_selectorIiEEZNS1_11reduce_implILb1ES3_N6thrust23THRUST_200600_302600_NS11hip_rocprim35transform_pair_of_input_iterators_tIiPfSB_NS8_12not_equal_toIfEEEEPiiNS8_4plusIiEEEE10hipError_tPvRmT1_T2_T3_mT4_P12ihipStream_tbEUlT_E1_NS1_11comp_targetILNS1_3genE5ELNS1_11target_archE942ELNS1_3gpuE9ELNS1_3repE0EEENS1_30default_config_static_selectorELNS0_4arch9wavefront6targetE1EEEvSL_
; %bb.0:
	.section	.rodata,"a",@progbits
	.p2align	6, 0x0
	.amdhsa_kernel _ZN7rocprim17ROCPRIM_400000_NS6detail17trampoline_kernelINS0_14default_configENS1_22reduce_config_selectorIiEEZNS1_11reduce_implILb1ES3_N6thrust23THRUST_200600_302600_NS11hip_rocprim35transform_pair_of_input_iterators_tIiPfSB_NS8_12not_equal_toIfEEEEPiiNS8_4plusIiEEEE10hipError_tPvRmT1_T2_T3_mT4_P12ihipStream_tbEUlT_E1_NS1_11comp_targetILNS1_3genE5ELNS1_11target_archE942ELNS1_3gpuE9ELNS1_3repE0EEENS1_30default_config_static_selectorELNS0_4arch9wavefront6targetE1EEEvSL_
		.amdhsa_group_segment_fixed_size 0
		.amdhsa_private_segment_fixed_size 0
		.amdhsa_kernarg_size 56
		.amdhsa_user_sgpr_count 6
		.amdhsa_user_sgpr_private_segment_buffer 1
		.amdhsa_user_sgpr_dispatch_ptr 0
		.amdhsa_user_sgpr_queue_ptr 0
		.amdhsa_user_sgpr_kernarg_segment_ptr 1
		.amdhsa_user_sgpr_dispatch_id 0
		.amdhsa_user_sgpr_flat_scratch_init 0
		.amdhsa_user_sgpr_private_segment_size 0
		.amdhsa_uses_dynamic_stack 0
		.amdhsa_system_sgpr_private_segment_wavefront_offset 0
		.amdhsa_system_sgpr_workgroup_id_x 1
		.amdhsa_system_sgpr_workgroup_id_y 0
		.amdhsa_system_sgpr_workgroup_id_z 0
		.amdhsa_system_sgpr_workgroup_info 0
		.amdhsa_system_vgpr_workitem_id 0
		.amdhsa_next_free_vgpr 1
		.amdhsa_next_free_sgpr 0
		.amdhsa_reserve_vcc 0
		.amdhsa_reserve_flat_scratch 0
		.amdhsa_float_round_mode_32 0
		.amdhsa_float_round_mode_16_64 0
		.amdhsa_float_denorm_mode_32 3
		.amdhsa_float_denorm_mode_16_64 3
		.amdhsa_dx10_clamp 1
		.amdhsa_ieee_mode 1
		.amdhsa_fp16_overflow 0
		.amdhsa_exception_fp_ieee_invalid_op 0
		.amdhsa_exception_fp_denorm_src 0
		.amdhsa_exception_fp_ieee_div_zero 0
		.amdhsa_exception_fp_ieee_overflow 0
		.amdhsa_exception_fp_ieee_underflow 0
		.amdhsa_exception_fp_ieee_inexact 0
		.amdhsa_exception_int_div_zero 0
	.end_amdhsa_kernel
	.section	.text._ZN7rocprim17ROCPRIM_400000_NS6detail17trampoline_kernelINS0_14default_configENS1_22reduce_config_selectorIiEEZNS1_11reduce_implILb1ES3_N6thrust23THRUST_200600_302600_NS11hip_rocprim35transform_pair_of_input_iterators_tIiPfSB_NS8_12not_equal_toIfEEEEPiiNS8_4plusIiEEEE10hipError_tPvRmT1_T2_T3_mT4_P12ihipStream_tbEUlT_E1_NS1_11comp_targetILNS1_3genE5ELNS1_11target_archE942ELNS1_3gpuE9ELNS1_3repE0EEENS1_30default_config_static_selectorELNS0_4arch9wavefront6targetE1EEEvSL_,"axG",@progbits,_ZN7rocprim17ROCPRIM_400000_NS6detail17trampoline_kernelINS0_14default_configENS1_22reduce_config_selectorIiEEZNS1_11reduce_implILb1ES3_N6thrust23THRUST_200600_302600_NS11hip_rocprim35transform_pair_of_input_iterators_tIiPfSB_NS8_12not_equal_toIfEEEEPiiNS8_4plusIiEEEE10hipError_tPvRmT1_T2_T3_mT4_P12ihipStream_tbEUlT_E1_NS1_11comp_targetILNS1_3genE5ELNS1_11target_archE942ELNS1_3gpuE9ELNS1_3repE0EEENS1_30default_config_static_selectorELNS0_4arch9wavefront6targetE1EEEvSL_,comdat
.Lfunc_end1898:
	.size	_ZN7rocprim17ROCPRIM_400000_NS6detail17trampoline_kernelINS0_14default_configENS1_22reduce_config_selectorIiEEZNS1_11reduce_implILb1ES3_N6thrust23THRUST_200600_302600_NS11hip_rocprim35transform_pair_of_input_iterators_tIiPfSB_NS8_12not_equal_toIfEEEEPiiNS8_4plusIiEEEE10hipError_tPvRmT1_T2_T3_mT4_P12ihipStream_tbEUlT_E1_NS1_11comp_targetILNS1_3genE5ELNS1_11target_archE942ELNS1_3gpuE9ELNS1_3repE0EEENS1_30default_config_static_selectorELNS0_4arch9wavefront6targetE1EEEvSL_, .Lfunc_end1898-_ZN7rocprim17ROCPRIM_400000_NS6detail17trampoline_kernelINS0_14default_configENS1_22reduce_config_selectorIiEEZNS1_11reduce_implILb1ES3_N6thrust23THRUST_200600_302600_NS11hip_rocprim35transform_pair_of_input_iterators_tIiPfSB_NS8_12not_equal_toIfEEEEPiiNS8_4plusIiEEEE10hipError_tPvRmT1_T2_T3_mT4_P12ihipStream_tbEUlT_E1_NS1_11comp_targetILNS1_3genE5ELNS1_11target_archE942ELNS1_3gpuE9ELNS1_3repE0EEENS1_30default_config_static_selectorELNS0_4arch9wavefront6targetE1EEEvSL_
                                        ; -- End function
	.set _ZN7rocprim17ROCPRIM_400000_NS6detail17trampoline_kernelINS0_14default_configENS1_22reduce_config_selectorIiEEZNS1_11reduce_implILb1ES3_N6thrust23THRUST_200600_302600_NS11hip_rocprim35transform_pair_of_input_iterators_tIiPfSB_NS8_12not_equal_toIfEEEEPiiNS8_4plusIiEEEE10hipError_tPvRmT1_T2_T3_mT4_P12ihipStream_tbEUlT_E1_NS1_11comp_targetILNS1_3genE5ELNS1_11target_archE942ELNS1_3gpuE9ELNS1_3repE0EEENS1_30default_config_static_selectorELNS0_4arch9wavefront6targetE1EEEvSL_.num_vgpr, 0
	.set _ZN7rocprim17ROCPRIM_400000_NS6detail17trampoline_kernelINS0_14default_configENS1_22reduce_config_selectorIiEEZNS1_11reduce_implILb1ES3_N6thrust23THRUST_200600_302600_NS11hip_rocprim35transform_pair_of_input_iterators_tIiPfSB_NS8_12not_equal_toIfEEEEPiiNS8_4plusIiEEEE10hipError_tPvRmT1_T2_T3_mT4_P12ihipStream_tbEUlT_E1_NS1_11comp_targetILNS1_3genE5ELNS1_11target_archE942ELNS1_3gpuE9ELNS1_3repE0EEENS1_30default_config_static_selectorELNS0_4arch9wavefront6targetE1EEEvSL_.num_agpr, 0
	.set _ZN7rocprim17ROCPRIM_400000_NS6detail17trampoline_kernelINS0_14default_configENS1_22reduce_config_selectorIiEEZNS1_11reduce_implILb1ES3_N6thrust23THRUST_200600_302600_NS11hip_rocprim35transform_pair_of_input_iterators_tIiPfSB_NS8_12not_equal_toIfEEEEPiiNS8_4plusIiEEEE10hipError_tPvRmT1_T2_T3_mT4_P12ihipStream_tbEUlT_E1_NS1_11comp_targetILNS1_3genE5ELNS1_11target_archE942ELNS1_3gpuE9ELNS1_3repE0EEENS1_30default_config_static_selectorELNS0_4arch9wavefront6targetE1EEEvSL_.numbered_sgpr, 0
	.set _ZN7rocprim17ROCPRIM_400000_NS6detail17trampoline_kernelINS0_14default_configENS1_22reduce_config_selectorIiEEZNS1_11reduce_implILb1ES3_N6thrust23THRUST_200600_302600_NS11hip_rocprim35transform_pair_of_input_iterators_tIiPfSB_NS8_12not_equal_toIfEEEEPiiNS8_4plusIiEEEE10hipError_tPvRmT1_T2_T3_mT4_P12ihipStream_tbEUlT_E1_NS1_11comp_targetILNS1_3genE5ELNS1_11target_archE942ELNS1_3gpuE9ELNS1_3repE0EEENS1_30default_config_static_selectorELNS0_4arch9wavefront6targetE1EEEvSL_.num_named_barrier, 0
	.set _ZN7rocprim17ROCPRIM_400000_NS6detail17trampoline_kernelINS0_14default_configENS1_22reduce_config_selectorIiEEZNS1_11reduce_implILb1ES3_N6thrust23THRUST_200600_302600_NS11hip_rocprim35transform_pair_of_input_iterators_tIiPfSB_NS8_12not_equal_toIfEEEEPiiNS8_4plusIiEEEE10hipError_tPvRmT1_T2_T3_mT4_P12ihipStream_tbEUlT_E1_NS1_11comp_targetILNS1_3genE5ELNS1_11target_archE942ELNS1_3gpuE9ELNS1_3repE0EEENS1_30default_config_static_selectorELNS0_4arch9wavefront6targetE1EEEvSL_.private_seg_size, 0
	.set _ZN7rocprim17ROCPRIM_400000_NS6detail17trampoline_kernelINS0_14default_configENS1_22reduce_config_selectorIiEEZNS1_11reduce_implILb1ES3_N6thrust23THRUST_200600_302600_NS11hip_rocprim35transform_pair_of_input_iterators_tIiPfSB_NS8_12not_equal_toIfEEEEPiiNS8_4plusIiEEEE10hipError_tPvRmT1_T2_T3_mT4_P12ihipStream_tbEUlT_E1_NS1_11comp_targetILNS1_3genE5ELNS1_11target_archE942ELNS1_3gpuE9ELNS1_3repE0EEENS1_30default_config_static_selectorELNS0_4arch9wavefront6targetE1EEEvSL_.uses_vcc, 0
	.set _ZN7rocprim17ROCPRIM_400000_NS6detail17trampoline_kernelINS0_14default_configENS1_22reduce_config_selectorIiEEZNS1_11reduce_implILb1ES3_N6thrust23THRUST_200600_302600_NS11hip_rocprim35transform_pair_of_input_iterators_tIiPfSB_NS8_12not_equal_toIfEEEEPiiNS8_4plusIiEEEE10hipError_tPvRmT1_T2_T3_mT4_P12ihipStream_tbEUlT_E1_NS1_11comp_targetILNS1_3genE5ELNS1_11target_archE942ELNS1_3gpuE9ELNS1_3repE0EEENS1_30default_config_static_selectorELNS0_4arch9wavefront6targetE1EEEvSL_.uses_flat_scratch, 0
	.set _ZN7rocprim17ROCPRIM_400000_NS6detail17trampoline_kernelINS0_14default_configENS1_22reduce_config_selectorIiEEZNS1_11reduce_implILb1ES3_N6thrust23THRUST_200600_302600_NS11hip_rocprim35transform_pair_of_input_iterators_tIiPfSB_NS8_12not_equal_toIfEEEEPiiNS8_4plusIiEEEE10hipError_tPvRmT1_T2_T3_mT4_P12ihipStream_tbEUlT_E1_NS1_11comp_targetILNS1_3genE5ELNS1_11target_archE942ELNS1_3gpuE9ELNS1_3repE0EEENS1_30default_config_static_selectorELNS0_4arch9wavefront6targetE1EEEvSL_.has_dyn_sized_stack, 0
	.set _ZN7rocprim17ROCPRIM_400000_NS6detail17trampoline_kernelINS0_14default_configENS1_22reduce_config_selectorIiEEZNS1_11reduce_implILb1ES3_N6thrust23THRUST_200600_302600_NS11hip_rocprim35transform_pair_of_input_iterators_tIiPfSB_NS8_12not_equal_toIfEEEEPiiNS8_4plusIiEEEE10hipError_tPvRmT1_T2_T3_mT4_P12ihipStream_tbEUlT_E1_NS1_11comp_targetILNS1_3genE5ELNS1_11target_archE942ELNS1_3gpuE9ELNS1_3repE0EEENS1_30default_config_static_selectorELNS0_4arch9wavefront6targetE1EEEvSL_.has_recursion, 0
	.set _ZN7rocprim17ROCPRIM_400000_NS6detail17trampoline_kernelINS0_14default_configENS1_22reduce_config_selectorIiEEZNS1_11reduce_implILb1ES3_N6thrust23THRUST_200600_302600_NS11hip_rocprim35transform_pair_of_input_iterators_tIiPfSB_NS8_12not_equal_toIfEEEEPiiNS8_4plusIiEEEE10hipError_tPvRmT1_T2_T3_mT4_P12ihipStream_tbEUlT_E1_NS1_11comp_targetILNS1_3genE5ELNS1_11target_archE942ELNS1_3gpuE9ELNS1_3repE0EEENS1_30default_config_static_selectorELNS0_4arch9wavefront6targetE1EEEvSL_.has_indirect_call, 0
	.section	.AMDGPU.csdata,"",@progbits
; Kernel info:
; codeLenInByte = 0
; TotalNumSgprs: 4
; NumVgprs: 0
; ScratchSize: 0
; MemoryBound: 0
; FloatMode: 240
; IeeeMode: 1
; LDSByteSize: 0 bytes/workgroup (compile time only)
; SGPRBlocks: 0
; VGPRBlocks: 0
; NumSGPRsForWavesPerEU: 4
; NumVGPRsForWavesPerEU: 1
; Occupancy: 10
; WaveLimiterHint : 0
; COMPUTE_PGM_RSRC2:SCRATCH_EN: 0
; COMPUTE_PGM_RSRC2:USER_SGPR: 6
; COMPUTE_PGM_RSRC2:TRAP_HANDLER: 0
; COMPUTE_PGM_RSRC2:TGID_X_EN: 1
; COMPUTE_PGM_RSRC2:TGID_Y_EN: 0
; COMPUTE_PGM_RSRC2:TGID_Z_EN: 0
; COMPUTE_PGM_RSRC2:TIDIG_COMP_CNT: 0
	.section	.text._ZN7rocprim17ROCPRIM_400000_NS6detail17trampoline_kernelINS0_14default_configENS1_22reduce_config_selectorIiEEZNS1_11reduce_implILb1ES3_N6thrust23THRUST_200600_302600_NS11hip_rocprim35transform_pair_of_input_iterators_tIiPfSB_NS8_12not_equal_toIfEEEEPiiNS8_4plusIiEEEE10hipError_tPvRmT1_T2_T3_mT4_P12ihipStream_tbEUlT_E1_NS1_11comp_targetILNS1_3genE4ELNS1_11target_archE910ELNS1_3gpuE8ELNS1_3repE0EEENS1_30default_config_static_selectorELNS0_4arch9wavefront6targetE1EEEvSL_,"axG",@progbits,_ZN7rocprim17ROCPRIM_400000_NS6detail17trampoline_kernelINS0_14default_configENS1_22reduce_config_selectorIiEEZNS1_11reduce_implILb1ES3_N6thrust23THRUST_200600_302600_NS11hip_rocprim35transform_pair_of_input_iterators_tIiPfSB_NS8_12not_equal_toIfEEEEPiiNS8_4plusIiEEEE10hipError_tPvRmT1_T2_T3_mT4_P12ihipStream_tbEUlT_E1_NS1_11comp_targetILNS1_3genE4ELNS1_11target_archE910ELNS1_3gpuE8ELNS1_3repE0EEENS1_30default_config_static_selectorELNS0_4arch9wavefront6targetE1EEEvSL_,comdat
	.protected	_ZN7rocprim17ROCPRIM_400000_NS6detail17trampoline_kernelINS0_14default_configENS1_22reduce_config_selectorIiEEZNS1_11reduce_implILb1ES3_N6thrust23THRUST_200600_302600_NS11hip_rocprim35transform_pair_of_input_iterators_tIiPfSB_NS8_12not_equal_toIfEEEEPiiNS8_4plusIiEEEE10hipError_tPvRmT1_T2_T3_mT4_P12ihipStream_tbEUlT_E1_NS1_11comp_targetILNS1_3genE4ELNS1_11target_archE910ELNS1_3gpuE8ELNS1_3repE0EEENS1_30default_config_static_selectorELNS0_4arch9wavefront6targetE1EEEvSL_ ; -- Begin function _ZN7rocprim17ROCPRIM_400000_NS6detail17trampoline_kernelINS0_14default_configENS1_22reduce_config_selectorIiEEZNS1_11reduce_implILb1ES3_N6thrust23THRUST_200600_302600_NS11hip_rocprim35transform_pair_of_input_iterators_tIiPfSB_NS8_12not_equal_toIfEEEEPiiNS8_4plusIiEEEE10hipError_tPvRmT1_T2_T3_mT4_P12ihipStream_tbEUlT_E1_NS1_11comp_targetILNS1_3genE4ELNS1_11target_archE910ELNS1_3gpuE8ELNS1_3repE0EEENS1_30default_config_static_selectorELNS0_4arch9wavefront6targetE1EEEvSL_
	.globl	_ZN7rocprim17ROCPRIM_400000_NS6detail17trampoline_kernelINS0_14default_configENS1_22reduce_config_selectorIiEEZNS1_11reduce_implILb1ES3_N6thrust23THRUST_200600_302600_NS11hip_rocprim35transform_pair_of_input_iterators_tIiPfSB_NS8_12not_equal_toIfEEEEPiiNS8_4plusIiEEEE10hipError_tPvRmT1_T2_T3_mT4_P12ihipStream_tbEUlT_E1_NS1_11comp_targetILNS1_3genE4ELNS1_11target_archE910ELNS1_3gpuE8ELNS1_3repE0EEENS1_30default_config_static_selectorELNS0_4arch9wavefront6targetE1EEEvSL_
	.p2align	8
	.type	_ZN7rocprim17ROCPRIM_400000_NS6detail17trampoline_kernelINS0_14default_configENS1_22reduce_config_selectorIiEEZNS1_11reduce_implILb1ES3_N6thrust23THRUST_200600_302600_NS11hip_rocprim35transform_pair_of_input_iterators_tIiPfSB_NS8_12not_equal_toIfEEEEPiiNS8_4plusIiEEEE10hipError_tPvRmT1_T2_T3_mT4_P12ihipStream_tbEUlT_E1_NS1_11comp_targetILNS1_3genE4ELNS1_11target_archE910ELNS1_3gpuE8ELNS1_3repE0EEENS1_30default_config_static_selectorELNS0_4arch9wavefront6targetE1EEEvSL_,@function
_ZN7rocprim17ROCPRIM_400000_NS6detail17trampoline_kernelINS0_14default_configENS1_22reduce_config_selectorIiEEZNS1_11reduce_implILb1ES3_N6thrust23THRUST_200600_302600_NS11hip_rocprim35transform_pair_of_input_iterators_tIiPfSB_NS8_12not_equal_toIfEEEEPiiNS8_4plusIiEEEE10hipError_tPvRmT1_T2_T3_mT4_P12ihipStream_tbEUlT_E1_NS1_11comp_targetILNS1_3genE4ELNS1_11target_archE910ELNS1_3gpuE8ELNS1_3repE0EEENS1_30default_config_static_selectorELNS0_4arch9wavefront6targetE1EEEvSL_: ; @_ZN7rocprim17ROCPRIM_400000_NS6detail17trampoline_kernelINS0_14default_configENS1_22reduce_config_selectorIiEEZNS1_11reduce_implILb1ES3_N6thrust23THRUST_200600_302600_NS11hip_rocprim35transform_pair_of_input_iterators_tIiPfSB_NS8_12not_equal_toIfEEEEPiiNS8_4plusIiEEEE10hipError_tPvRmT1_T2_T3_mT4_P12ihipStream_tbEUlT_E1_NS1_11comp_targetILNS1_3genE4ELNS1_11target_archE910ELNS1_3gpuE8ELNS1_3repE0EEENS1_30default_config_static_selectorELNS0_4arch9wavefront6targetE1EEEvSL_
; %bb.0:
	.section	.rodata,"a",@progbits
	.p2align	6, 0x0
	.amdhsa_kernel _ZN7rocprim17ROCPRIM_400000_NS6detail17trampoline_kernelINS0_14default_configENS1_22reduce_config_selectorIiEEZNS1_11reduce_implILb1ES3_N6thrust23THRUST_200600_302600_NS11hip_rocprim35transform_pair_of_input_iterators_tIiPfSB_NS8_12not_equal_toIfEEEEPiiNS8_4plusIiEEEE10hipError_tPvRmT1_T2_T3_mT4_P12ihipStream_tbEUlT_E1_NS1_11comp_targetILNS1_3genE4ELNS1_11target_archE910ELNS1_3gpuE8ELNS1_3repE0EEENS1_30default_config_static_selectorELNS0_4arch9wavefront6targetE1EEEvSL_
		.amdhsa_group_segment_fixed_size 0
		.amdhsa_private_segment_fixed_size 0
		.amdhsa_kernarg_size 56
		.amdhsa_user_sgpr_count 6
		.amdhsa_user_sgpr_private_segment_buffer 1
		.amdhsa_user_sgpr_dispatch_ptr 0
		.amdhsa_user_sgpr_queue_ptr 0
		.amdhsa_user_sgpr_kernarg_segment_ptr 1
		.amdhsa_user_sgpr_dispatch_id 0
		.amdhsa_user_sgpr_flat_scratch_init 0
		.amdhsa_user_sgpr_private_segment_size 0
		.amdhsa_uses_dynamic_stack 0
		.amdhsa_system_sgpr_private_segment_wavefront_offset 0
		.amdhsa_system_sgpr_workgroup_id_x 1
		.amdhsa_system_sgpr_workgroup_id_y 0
		.amdhsa_system_sgpr_workgroup_id_z 0
		.amdhsa_system_sgpr_workgroup_info 0
		.amdhsa_system_vgpr_workitem_id 0
		.amdhsa_next_free_vgpr 1
		.amdhsa_next_free_sgpr 0
		.amdhsa_reserve_vcc 0
		.amdhsa_reserve_flat_scratch 0
		.amdhsa_float_round_mode_32 0
		.amdhsa_float_round_mode_16_64 0
		.amdhsa_float_denorm_mode_32 3
		.amdhsa_float_denorm_mode_16_64 3
		.amdhsa_dx10_clamp 1
		.amdhsa_ieee_mode 1
		.amdhsa_fp16_overflow 0
		.amdhsa_exception_fp_ieee_invalid_op 0
		.amdhsa_exception_fp_denorm_src 0
		.amdhsa_exception_fp_ieee_div_zero 0
		.amdhsa_exception_fp_ieee_overflow 0
		.amdhsa_exception_fp_ieee_underflow 0
		.amdhsa_exception_fp_ieee_inexact 0
		.amdhsa_exception_int_div_zero 0
	.end_amdhsa_kernel
	.section	.text._ZN7rocprim17ROCPRIM_400000_NS6detail17trampoline_kernelINS0_14default_configENS1_22reduce_config_selectorIiEEZNS1_11reduce_implILb1ES3_N6thrust23THRUST_200600_302600_NS11hip_rocprim35transform_pair_of_input_iterators_tIiPfSB_NS8_12not_equal_toIfEEEEPiiNS8_4plusIiEEEE10hipError_tPvRmT1_T2_T3_mT4_P12ihipStream_tbEUlT_E1_NS1_11comp_targetILNS1_3genE4ELNS1_11target_archE910ELNS1_3gpuE8ELNS1_3repE0EEENS1_30default_config_static_selectorELNS0_4arch9wavefront6targetE1EEEvSL_,"axG",@progbits,_ZN7rocprim17ROCPRIM_400000_NS6detail17trampoline_kernelINS0_14default_configENS1_22reduce_config_selectorIiEEZNS1_11reduce_implILb1ES3_N6thrust23THRUST_200600_302600_NS11hip_rocprim35transform_pair_of_input_iterators_tIiPfSB_NS8_12not_equal_toIfEEEEPiiNS8_4plusIiEEEE10hipError_tPvRmT1_T2_T3_mT4_P12ihipStream_tbEUlT_E1_NS1_11comp_targetILNS1_3genE4ELNS1_11target_archE910ELNS1_3gpuE8ELNS1_3repE0EEENS1_30default_config_static_selectorELNS0_4arch9wavefront6targetE1EEEvSL_,comdat
.Lfunc_end1899:
	.size	_ZN7rocprim17ROCPRIM_400000_NS6detail17trampoline_kernelINS0_14default_configENS1_22reduce_config_selectorIiEEZNS1_11reduce_implILb1ES3_N6thrust23THRUST_200600_302600_NS11hip_rocprim35transform_pair_of_input_iterators_tIiPfSB_NS8_12not_equal_toIfEEEEPiiNS8_4plusIiEEEE10hipError_tPvRmT1_T2_T3_mT4_P12ihipStream_tbEUlT_E1_NS1_11comp_targetILNS1_3genE4ELNS1_11target_archE910ELNS1_3gpuE8ELNS1_3repE0EEENS1_30default_config_static_selectorELNS0_4arch9wavefront6targetE1EEEvSL_, .Lfunc_end1899-_ZN7rocprim17ROCPRIM_400000_NS6detail17trampoline_kernelINS0_14default_configENS1_22reduce_config_selectorIiEEZNS1_11reduce_implILb1ES3_N6thrust23THRUST_200600_302600_NS11hip_rocprim35transform_pair_of_input_iterators_tIiPfSB_NS8_12not_equal_toIfEEEEPiiNS8_4plusIiEEEE10hipError_tPvRmT1_T2_T3_mT4_P12ihipStream_tbEUlT_E1_NS1_11comp_targetILNS1_3genE4ELNS1_11target_archE910ELNS1_3gpuE8ELNS1_3repE0EEENS1_30default_config_static_selectorELNS0_4arch9wavefront6targetE1EEEvSL_
                                        ; -- End function
	.set _ZN7rocprim17ROCPRIM_400000_NS6detail17trampoline_kernelINS0_14default_configENS1_22reduce_config_selectorIiEEZNS1_11reduce_implILb1ES3_N6thrust23THRUST_200600_302600_NS11hip_rocprim35transform_pair_of_input_iterators_tIiPfSB_NS8_12not_equal_toIfEEEEPiiNS8_4plusIiEEEE10hipError_tPvRmT1_T2_T3_mT4_P12ihipStream_tbEUlT_E1_NS1_11comp_targetILNS1_3genE4ELNS1_11target_archE910ELNS1_3gpuE8ELNS1_3repE0EEENS1_30default_config_static_selectorELNS0_4arch9wavefront6targetE1EEEvSL_.num_vgpr, 0
	.set _ZN7rocprim17ROCPRIM_400000_NS6detail17trampoline_kernelINS0_14default_configENS1_22reduce_config_selectorIiEEZNS1_11reduce_implILb1ES3_N6thrust23THRUST_200600_302600_NS11hip_rocprim35transform_pair_of_input_iterators_tIiPfSB_NS8_12not_equal_toIfEEEEPiiNS8_4plusIiEEEE10hipError_tPvRmT1_T2_T3_mT4_P12ihipStream_tbEUlT_E1_NS1_11comp_targetILNS1_3genE4ELNS1_11target_archE910ELNS1_3gpuE8ELNS1_3repE0EEENS1_30default_config_static_selectorELNS0_4arch9wavefront6targetE1EEEvSL_.num_agpr, 0
	.set _ZN7rocprim17ROCPRIM_400000_NS6detail17trampoline_kernelINS0_14default_configENS1_22reduce_config_selectorIiEEZNS1_11reduce_implILb1ES3_N6thrust23THRUST_200600_302600_NS11hip_rocprim35transform_pair_of_input_iterators_tIiPfSB_NS8_12not_equal_toIfEEEEPiiNS8_4plusIiEEEE10hipError_tPvRmT1_T2_T3_mT4_P12ihipStream_tbEUlT_E1_NS1_11comp_targetILNS1_3genE4ELNS1_11target_archE910ELNS1_3gpuE8ELNS1_3repE0EEENS1_30default_config_static_selectorELNS0_4arch9wavefront6targetE1EEEvSL_.numbered_sgpr, 0
	.set _ZN7rocprim17ROCPRIM_400000_NS6detail17trampoline_kernelINS0_14default_configENS1_22reduce_config_selectorIiEEZNS1_11reduce_implILb1ES3_N6thrust23THRUST_200600_302600_NS11hip_rocprim35transform_pair_of_input_iterators_tIiPfSB_NS8_12not_equal_toIfEEEEPiiNS8_4plusIiEEEE10hipError_tPvRmT1_T2_T3_mT4_P12ihipStream_tbEUlT_E1_NS1_11comp_targetILNS1_3genE4ELNS1_11target_archE910ELNS1_3gpuE8ELNS1_3repE0EEENS1_30default_config_static_selectorELNS0_4arch9wavefront6targetE1EEEvSL_.num_named_barrier, 0
	.set _ZN7rocprim17ROCPRIM_400000_NS6detail17trampoline_kernelINS0_14default_configENS1_22reduce_config_selectorIiEEZNS1_11reduce_implILb1ES3_N6thrust23THRUST_200600_302600_NS11hip_rocprim35transform_pair_of_input_iterators_tIiPfSB_NS8_12not_equal_toIfEEEEPiiNS8_4plusIiEEEE10hipError_tPvRmT1_T2_T3_mT4_P12ihipStream_tbEUlT_E1_NS1_11comp_targetILNS1_3genE4ELNS1_11target_archE910ELNS1_3gpuE8ELNS1_3repE0EEENS1_30default_config_static_selectorELNS0_4arch9wavefront6targetE1EEEvSL_.private_seg_size, 0
	.set _ZN7rocprim17ROCPRIM_400000_NS6detail17trampoline_kernelINS0_14default_configENS1_22reduce_config_selectorIiEEZNS1_11reduce_implILb1ES3_N6thrust23THRUST_200600_302600_NS11hip_rocprim35transform_pair_of_input_iterators_tIiPfSB_NS8_12not_equal_toIfEEEEPiiNS8_4plusIiEEEE10hipError_tPvRmT1_T2_T3_mT4_P12ihipStream_tbEUlT_E1_NS1_11comp_targetILNS1_3genE4ELNS1_11target_archE910ELNS1_3gpuE8ELNS1_3repE0EEENS1_30default_config_static_selectorELNS0_4arch9wavefront6targetE1EEEvSL_.uses_vcc, 0
	.set _ZN7rocprim17ROCPRIM_400000_NS6detail17trampoline_kernelINS0_14default_configENS1_22reduce_config_selectorIiEEZNS1_11reduce_implILb1ES3_N6thrust23THRUST_200600_302600_NS11hip_rocprim35transform_pair_of_input_iterators_tIiPfSB_NS8_12not_equal_toIfEEEEPiiNS8_4plusIiEEEE10hipError_tPvRmT1_T2_T3_mT4_P12ihipStream_tbEUlT_E1_NS1_11comp_targetILNS1_3genE4ELNS1_11target_archE910ELNS1_3gpuE8ELNS1_3repE0EEENS1_30default_config_static_selectorELNS0_4arch9wavefront6targetE1EEEvSL_.uses_flat_scratch, 0
	.set _ZN7rocprim17ROCPRIM_400000_NS6detail17trampoline_kernelINS0_14default_configENS1_22reduce_config_selectorIiEEZNS1_11reduce_implILb1ES3_N6thrust23THRUST_200600_302600_NS11hip_rocprim35transform_pair_of_input_iterators_tIiPfSB_NS8_12not_equal_toIfEEEEPiiNS8_4plusIiEEEE10hipError_tPvRmT1_T2_T3_mT4_P12ihipStream_tbEUlT_E1_NS1_11comp_targetILNS1_3genE4ELNS1_11target_archE910ELNS1_3gpuE8ELNS1_3repE0EEENS1_30default_config_static_selectorELNS0_4arch9wavefront6targetE1EEEvSL_.has_dyn_sized_stack, 0
	.set _ZN7rocprim17ROCPRIM_400000_NS6detail17trampoline_kernelINS0_14default_configENS1_22reduce_config_selectorIiEEZNS1_11reduce_implILb1ES3_N6thrust23THRUST_200600_302600_NS11hip_rocprim35transform_pair_of_input_iterators_tIiPfSB_NS8_12not_equal_toIfEEEEPiiNS8_4plusIiEEEE10hipError_tPvRmT1_T2_T3_mT4_P12ihipStream_tbEUlT_E1_NS1_11comp_targetILNS1_3genE4ELNS1_11target_archE910ELNS1_3gpuE8ELNS1_3repE0EEENS1_30default_config_static_selectorELNS0_4arch9wavefront6targetE1EEEvSL_.has_recursion, 0
	.set _ZN7rocprim17ROCPRIM_400000_NS6detail17trampoline_kernelINS0_14default_configENS1_22reduce_config_selectorIiEEZNS1_11reduce_implILb1ES3_N6thrust23THRUST_200600_302600_NS11hip_rocprim35transform_pair_of_input_iterators_tIiPfSB_NS8_12not_equal_toIfEEEEPiiNS8_4plusIiEEEE10hipError_tPvRmT1_T2_T3_mT4_P12ihipStream_tbEUlT_E1_NS1_11comp_targetILNS1_3genE4ELNS1_11target_archE910ELNS1_3gpuE8ELNS1_3repE0EEENS1_30default_config_static_selectorELNS0_4arch9wavefront6targetE1EEEvSL_.has_indirect_call, 0
	.section	.AMDGPU.csdata,"",@progbits
; Kernel info:
; codeLenInByte = 0
; TotalNumSgprs: 4
; NumVgprs: 0
; ScratchSize: 0
; MemoryBound: 0
; FloatMode: 240
; IeeeMode: 1
; LDSByteSize: 0 bytes/workgroup (compile time only)
; SGPRBlocks: 0
; VGPRBlocks: 0
; NumSGPRsForWavesPerEU: 4
; NumVGPRsForWavesPerEU: 1
; Occupancy: 10
; WaveLimiterHint : 0
; COMPUTE_PGM_RSRC2:SCRATCH_EN: 0
; COMPUTE_PGM_RSRC2:USER_SGPR: 6
; COMPUTE_PGM_RSRC2:TRAP_HANDLER: 0
; COMPUTE_PGM_RSRC2:TGID_X_EN: 1
; COMPUTE_PGM_RSRC2:TGID_Y_EN: 0
; COMPUTE_PGM_RSRC2:TGID_Z_EN: 0
; COMPUTE_PGM_RSRC2:TIDIG_COMP_CNT: 0
	.section	.text._ZN7rocprim17ROCPRIM_400000_NS6detail17trampoline_kernelINS0_14default_configENS1_22reduce_config_selectorIiEEZNS1_11reduce_implILb1ES3_N6thrust23THRUST_200600_302600_NS11hip_rocprim35transform_pair_of_input_iterators_tIiPfSB_NS8_12not_equal_toIfEEEEPiiNS8_4plusIiEEEE10hipError_tPvRmT1_T2_T3_mT4_P12ihipStream_tbEUlT_E1_NS1_11comp_targetILNS1_3genE3ELNS1_11target_archE908ELNS1_3gpuE7ELNS1_3repE0EEENS1_30default_config_static_selectorELNS0_4arch9wavefront6targetE1EEEvSL_,"axG",@progbits,_ZN7rocprim17ROCPRIM_400000_NS6detail17trampoline_kernelINS0_14default_configENS1_22reduce_config_selectorIiEEZNS1_11reduce_implILb1ES3_N6thrust23THRUST_200600_302600_NS11hip_rocprim35transform_pair_of_input_iterators_tIiPfSB_NS8_12not_equal_toIfEEEEPiiNS8_4plusIiEEEE10hipError_tPvRmT1_T2_T3_mT4_P12ihipStream_tbEUlT_E1_NS1_11comp_targetILNS1_3genE3ELNS1_11target_archE908ELNS1_3gpuE7ELNS1_3repE0EEENS1_30default_config_static_selectorELNS0_4arch9wavefront6targetE1EEEvSL_,comdat
	.protected	_ZN7rocprim17ROCPRIM_400000_NS6detail17trampoline_kernelINS0_14default_configENS1_22reduce_config_selectorIiEEZNS1_11reduce_implILb1ES3_N6thrust23THRUST_200600_302600_NS11hip_rocprim35transform_pair_of_input_iterators_tIiPfSB_NS8_12not_equal_toIfEEEEPiiNS8_4plusIiEEEE10hipError_tPvRmT1_T2_T3_mT4_P12ihipStream_tbEUlT_E1_NS1_11comp_targetILNS1_3genE3ELNS1_11target_archE908ELNS1_3gpuE7ELNS1_3repE0EEENS1_30default_config_static_selectorELNS0_4arch9wavefront6targetE1EEEvSL_ ; -- Begin function _ZN7rocprim17ROCPRIM_400000_NS6detail17trampoline_kernelINS0_14default_configENS1_22reduce_config_selectorIiEEZNS1_11reduce_implILb1ES3_N6thrust23THRUST_200600_302600_NS11hip_rocprim35transform_pair_of_input_iterators_tIiPfSB_NS8_12not_equal_toIfEEEEPiiNS8_4plusIiEEEE10hipError_tPvRmT1_T2_T3_mT4_P12ihipStream_tbEUlT_E1_NS1_11comp_targetILNS1_3genE3ELNS1_11target_archE908ELNS1_3gpuE7ELNS1_3repE0EEENS1_30default_config_static_selectorELNS0_4arch9wavefront6targetE1EEEvSL_
	.globl	_ZN7rocprim17ROCPRIM_400000_NS6detail17trampoline_kernelINS0_14default_configENS1_22reduce_config_selectorIiEEZNS1_11reduce_implILb1ES3_N6thrust23THRUST_200600_302600_NS11hip_rocprim35transform_pair_of_input_iterators_tIiPfSB_NS8_12not_equal_toIfEEEEPiiNS8_4plusIiEEEE10hipError_tPvRmT1_T2_T3_mT4_P12ihipStream_tbEUlT_E1_NS1_11comp_targetILNS1_3genE3ELNS1_11target_archE908ELNS1_3gpuE7ELNS1_3repE0EEENS1_30default_config_static_selectorELNS0_4arch9wavefront6targetE1EEEvSL_
	.p2align	8
	.type	_ZN7rocprim17ROCPRIM_400000_NS6detail17trampoline_kernelINS0_14default_configENS1_22reduce_config_selectorIiEEZNS1_11reduce_implILb1ES3_N6thrust23THRUST_200600_302600_NS11hip_rocprim35transform_pair_of_input_iterators_tIiPfSB_NS8_12not_equal_toIfEEEEPiiNS8_4plusIiEEEE10hipError_tPvRmT1_T2_T3_mT4_P12ihipStream_tbEUlT_E1_NS1_11comp_targetILNS1_3genE3ELNS1_11target_archE908ELNS1_3gpuE7ELNS1_3repE0EEENS1_30default_config_static_selectorELNS0_4arch9wavefront6targetE1EEEvSL_,@function
_ZN7rocprim17ROCPRIM_400000_NS6detail17trampoline_kernelINS0_14default_configENS1_22reduce_config_selectorIiEEZNS1_11reduce_implILb1ES3_N6thrust23THRUST_200600_302600_NS11hip_rocprim35transform_pair_of_input_iterators_tIiPfSB_NS8_12not_equal_toIfEEEEPiiNS8_4plusIiEEEE10hipError_tPvRmT1_T2_T3_mT4_P12ihipStream_tbEUlT_E1_NS1_11comp_targetILNS1_3genE3ELNS1_11target_archE908ELNS1_3gpuE7ELNS1_3repE0EEENS1_30default_config_static_selectorELNS0_4arch9wavefront6targetE1EEEvSL_: ; @_ZN7rocprim17ROCPRIM_400000_NS6detail17trampoline_kernelINS0_14default_configENS1_22reduce_config_selectorIiEEZNS1_11reduce_implILb1ES3_N6thrust23THRUST_200600_302600_NS11hip_rocprim35transform_pair_of_input_iterators_tIiPfSB_NS8_12not_equal_toIfEEEEPiiNS8_4plusIiEEEE10hipError_tPvRmT1_T2_T3_mT4_P12ihipStream_tbEUlT_E1_NS1_11comp_targetILNS1_3genE3ELNS1_11target_archE908ELNS1_3gpuE7ELNS1_3repE0EEENS1_30default_config_static_selectorELNS0_4arch9wavefront6targetE1EEEvSL_
; %bb.0:
	.section	.rodata,"a",@progbits
	.p2align	6, 0x0
	.amdhsa_kernel _ZN7rocprim17ROCPRIM_400000_NS6detail17trampoline_kernelINS0_14default_configENS1_22reduce_config_selectorIiEEZNS1_11reduce_implILb1ES3_N6thrust23THRUST_200600_302600_NS11hip_rocprim35transform_pair_of_input_iterators_tIiPfSB_NS8_12not_equal_toIfEEEEPiiNS8_4plusIiEEEE10hipError_tPvRmT1_T2_T3_mT4_P12ihipStream_tbEUlT_E1_NS1_11comp_targetILNS1_3genE3ELNS1_11target_archE908ELNS1_3gpuE7ELNS1_3repE0EEENS1_30default_config_static_selectorELNS0_4arch9wavefront6targetE1EEEvSL_
		.amdhsa_group_segment_fixed_size 0
		.amdhsa_private_segment_fixed_size 0
		.amdhsa_kernarg_size 56
		.amdhsa_user_sgpr_count 6
		.amdhsa_user_sgpr_private_segment_buffer 1
		.amdhsa_user_sgpr_dispatch_ptr 0
		.amdhsa_user_sgpr_queue_ptr 0
		.amdhsa_user_sgpr_kernarg_segment_ptr 1
		.amdhsa_user_sgpr_dispatch_id 0
		.amdhsa_user_sgpr_flat_scratch_init 0
		.amdhsa_user_sgpr_private_segment_size 0
		.amdhsa_uses_dynamic_stack 0
		.amdhsa_system_sgpr_private_segment_wavefront_offset 0
		.amdhsa_system_sgpr_workgroup_id_x 1
		.amdhsa_system_sgpr_workgroup_id_y 0
		.amdhsa_system_sgpr_workgroup_id_z 0
		.amdhsa_system_sgpr_workgroup_info 0
		.amdhsa_system_vgpr_workitem_id 0
		.amdhsa_next_free_vgpr 1
		.amdhsa_next_free_sgpr 0
		.amdhsa_reserve_vcc 0
		.amdhsa_reserve_flat_scratch 0
		.amdhsa_float_round_mode_32 0
		.amdhsa_float_round_mode_16_64 0
		.amdhsa_float_denorm_mode_32 3
		.amdhsa_float_denorm_mode_16_64 3
		.amdhsa_dx10_clamp 1
		.amdhsa_ieee_mode 1
		.amdhsa_fp16_overflow 0
		.amdhsa_exception_fp_ieee_invalid_op 0
		.amdhsa_exception_fp_denorm_src 0
		.amdhsa_exception_fp_ieee_div_zero 0
		.amdhsa_exception_fp_ieee_overflow 0
		.amdhsa_exception_fp_ieee_underflow 0
		.amdhsa_exception_fp_ieee_inexact 0
		.amdhsa_exception_int_div_zero 0
	.end_amdhsa_kernel
	.section	.text._ZN7rocprim17ROCPRIM_400000_NS6detail17trampoline_kernelINS0_14default_configENS1_22reduce_config_selectorIiEEZNS1_11reduce_implILb1ES3_N6thrust23THRUST_200600_302600_NS11hip_rocprim35transform_pair_of_input_iterators_tIiPfSB_NS8_12not_equal_toIfEEEEPiiNS8_4plusIiEEEE10hipError_tPvRmT1_T2_T3_mT4_P12ihipStream_tbEUlT_E1_NS1_11comp_targetILNS1_3genE3ELNS1_11target_archE908ELNS1_3gpuE7ELNS1_3repE0EEENS1_30default_config_static_selectorELNS0_4arch9wavefront6targetE1EEEvSL_,"axG",@progbits,_ZN7rocprim17ROCPRIM_400000_NS6detail17trampoline_kernelINS0_14default_configENS1_22reduce_config_selectorIiEEZNS1_11reduce_implILb1ES3_N6thrust23THRUST_200600_302600_NS11hip_rocprim35transform_pair_of_input_iterators_tIiPfSB_NS8_12not_equal_toIfEEEEPiiNS8_4plusIiEEEE10hipError_tPvRmT1_T2_T3_mT4_P12ihipStream_tbEUlT_E1_NS1_11comp_targetILNS1_3genE3ELNS1_11target_archE908ELNS1_3gpuE7ELNS1_3repE0EEENS1_30default_config_static_selectorELNS0_4arch9wavefront6targetE1EEEvSL_,comdat
.Lfunc_end1900:
	.size	_ZN7rocprim17ROCPRIM_400000_NS6detail17trampoline_kernelINS0_14default_configENS1_22reduce_config_selectorIiEEZNS1_11reduce_implILb1ES3_N6thrust23THRUST_200600_302600_NS11hip_rocprim35transform_pair_of_input_iterators_tIiPfSB_NS8_12not_equal_toIfEEEEPiiNS8_4plusIiEEEE10hipError_tPvRmT1_T2_T3_mT4_P12ihipStream_tbEUlT_E1_NS1_11comp_targetILNS1_3genE3ELNS1_11target_archE908ELNS1_3gpuE7ELNS1_3repE0EEENS1_30default_config_static_selectorELNS0_4arch9wavefront6targetE1EEEvSL_, .Lfunc_end1900-_ZN7rocprim17ROCPRIM_400000_NS6detail17trampoline_kernelINS0_14default_configENS1_22reduce_config_selectorIiEEZNS1_11reduce_implILb1ES3_N6thrust23THRUST_200600_302600_NS11hip_rocprim35transform_pair_of_input_iterators_tIiPfSB_NS8_12not_equal_toIfEEEEPiiNS8_4plusIiEEEE10hipError_tPvRmT1_T2_T3_mT4_P12ihipStream_tbEUlT_E1_NS1_11comp_targetILNS1_3genE3ELNS1_11target_archE908ELNS1_3gpuE7ELNS1_3repE0EEENS1_30default_config_static_selectorELNS0_4arch9wavefront6targetE1EEEvSL_
                                        ; -- End function
	.set _ZN7rocprim17ROCPRIM_400000_NS6detail17trampoline_kernelINS0_14default_configENS1_22reduce_config_selectorIiEEZNS1_11reduce_implILb1ES3_N6thrust23THRUST_200600_302600_NS11hip_rocprim35transform_pair_of_input_iterators_tIiPfSB_NS8_12not_equal_toIfEEEEPiiNS8_4plusIiEEEE10hipError_tPvRmT1_T2_T3_mT4_P12ihipStream_tbEUlT_E1_NS1_11comp_targetILNS1_3genE3ELNS1_11target_archE908ELNS1_3gpuE7ELNS1_3repE0EEENS1_30default_config_static_selectorELNS0_4arch9wavefront6targetE1EEEvSL_.num_vgpr, 0
	.set _ZN7rocprim17ROCPRIM_400000_NS6detail17trampoline_kernelINS0_14default_configENS1_22reduce_config_selectorIiEEZNS1_11reduce_implILb1ES3_N6thrust23THRUST_200600_302600_NS11hip_rocprim35transform_pair_of_input_iterators_tIiPfSB_NS8_12not_equal_toIfEEEEPiiNS8_4plusIiEEEE10hipError_tPvRmT1_T2_T3_mT4_P12ihipStream_tbEUlT_E1_NS1_11comp_targetILNS1_3genE3ELNS1_11target_archE908ELNS1_3gpuE7ELNS1_3repE0EEENS1_30default_config_static_selectorELNS0_4arch9wavefront6targetE1EEEvSL_.num_agpr, 0
	.set _ZN7rocprim17ROCPRIM_400000_NS6detail17trampoline_kernelINS0_14default_configENS1_22reduce_config_selectorIiEEZNS1_11reduce_implILb1ES3_N6thrust23THRUST_200600_302600_NS11hip_rocprim35transform_pair_of_input_iterators_tIiPfSB_NS8_12not_equal_toIfEEEEPiiNS8_4plusIiEEEE10hipError_tPvRmT1_T2_T3_mT4_P12ihipStream_tbEUlT_E1_NS1_11comp_targetILNS1_3genE3ELNS1_11target_archE908ELNS1_3gpuE7ELNS1_3repE0EEENS1_30default_config_static_selectorELNS0_4arch9wavefront6targetE1EEEvSL_.numbered_sgpr, 0
	.set _ZN7rocprim17ROCPRIM_400000_NS6detail17trampoline_kernelINS0_14default_configENS1_22reduce_config_selectorIiEEZNS1_11reduce_implILb1ES3_N6thrust23THRUST_200600_302600_NS11hip_rocprim35transform_pair_of_input_iterators_tIiPfSB_NS8_12not_equal_toIfEEEEPiiNS8_4plusIiEEEE10hipError_tPvRmT1_T2_T3_mT4_P12ihipStream_tbEUlT_E1_NS1_11comp_targetILNS1_3genE3ELNS1_11target_archE908ELNS1_3gpuE7ELNS1_3repE0EEENS1_30default_config_static_selectorELNS0_4arch9wavefront6targetE1EEEvSL_.num_named_barrier, 0
	.set _ZN7rocprim17ROCPRIM_400000_NS6detail17trampoline_kernelINS0_14default_configENS1_22reduce_config_selectorIiEEZNS1_11reduce_implILb1ES3_N6thrust23THRUST_200600_302600_NS11hip_rocprim35transform_pair_of_input_iterators_tIiPfSB_NS8_12not_equal_toIfEEEEPiiNS8_4plusIiEEEE10hipError_tPvRmT1_T2_T3_mT4_P12ihipStream_tbEUlT_E1_NS1_11comp_targetILNS1_3genE3ELNS1_11target_archE908ELNS1_3gpuE7ELNS1_3repE0EEENS1_30default_config_static_selectorELNS0_4arch9wavefront6targetE1EEEvSL_.private_seg_size, 0
	.set _ZN7rocprim17ROCPRIM_400000_NS6detail17trampoline_kernelINS0_14default_configENS1_22reduce_config_selectorIiEEZNS1_11reduce_implILb1ES3_N6thrust23THRUST_200600_302600_NS11hip_rocprim35transform_pair_of_input_iterators_tIiPfSB_NS8_12not_equal_toIfEEEEPiiNS8_4plusIiEEEE10hipError_tPvRmT1_T2_T3_mT4_P12ihipStream_tbEUlT_E1_NS1_11comp_targetILNS1_3genE3ELNS1_11target_archE908ELNS1_3gpuE7ELNS1_3repE0EEENS1_30default_config_static_selectorELNS0_4arch9wavefront6targetE1EEEvSL_.uses_vcc, 0
	.set _ZN7rocprim17ROCPRIM_400000_NS6detail17trampoline_kernelINS0_14default_configENS1_22reduce_config_selectorIiEEZNS1_11reduce_implILb1ES3_N6thrust23THRUST_200600_302600_NS11hip_rocprim35transform_pair_of_input_iterators_tIiPfSB_NS8_12not_equal_toIfEEEEPiiNS8_4plusIiEEEE10hipError_tPvRmT1_T2_T3_mT4_P12ihipStream_tbEUlT_E1_NS1_11comp_targetILNS1_3genE3ELNS1_11target_archE908ELNS1_3gpuE7ELNS1_3repE0EEENS1_30default_config_static_selectorELNS0_4arch9wavefront6targetE1EEEvSL_.uses_flat_scratch, 0
	.set _ZN7rocprim17ROCPRIM_400000_NS6detail17trampoline_kernelINS0_14default_configENS1_22reduce_config_selectorIiEEZNS1_11reduce_implILb1ES3_N6thrust23THRUST_200600_302600_NS11hip_rocprim35transform_pair_of_input_iterators_tIiPfSB_NS8_12not_equal_toIfEEEEPiiNS8_4plusIiEEEE10hipError_tPvRmT1_T2_T3_mT4_P12ihipStream_tbEUlT_E1_NS1_11comp_targetILNS1_3genE3ELNS1_11target_archE908ELNS1_3gpuE7ELNS1_3repE0EEENS1_30default_config_static_selectorELNS0_4arch9wavefront6targetE1EEEvSL_.has_dyn_sized_stack, 0
	.set _ZN7rocprim17ROCPRIM_400000_NS6detail17trampoline_kernelINS0_14default_configENS1_22reduce_config_selectorIiEEZNS1_11reduce_implILb1ES3_N6thrust23THRUST_200600_302600_NS11hip_rocprim35transform_pair_of_input_iterators_tIiPfSB_NS8_12not_equal_toIfEEEEPiiNS8_4plusIiEEEE10hipError_tPvRmT1_T2_T3_mT4_P12ihipStream_tbEUlT_E1_NS1_11comp_targetILNS1_3genE3ELNS1_11target_archE908ELNS1_3gpuE7ELNS1_3repE0EEENS1_30default_config_static_selectorELNS0_4arch9wavefront6targetE1EEEvSL_.has_recursion, 0
	.set _ZN7rocprim17ROCPRIM_400000_NS6detail17trampoline_kernelINS0_14default_configENS1_22reduce_config_selectorIiEEZNS1_11reduce_implILb1ES3_N6thrust23THRUST_200600_302600_NS11hip_rocprim35transform_pair_of_input_iterators_tIiPfSB_NS8_12not_equal_toIfEEEEPiiNS8_4plusIiEEEE10hipError_tPvRmT1_T2_T3_mT4_P12ihipStream_tbEUlT_E1_NS1_11comp_targetILNS1_3genE3ELNS1_11target_archE908ELNS1_3gpuE7ELNS1_3repE0EEENS1_30default_config_static_selectorELNS0_4arch9wavefront6targetE1EEEvSL_.has_indirect_call, 0
	.section	.AMDGPU.csdata,"",@progbits
; Kernel info:
; codeLenInByte = 0
; TotalNumSgprs: 4
; NumVgprs: 0
; ScratchSize: 0
; MemoryBound: 0
; FloatMode: 240
; IeeeMode: 1
; LDSByteSize: 0 bytes/workgroup (compile time only)
; SGPRBlocks: 0
; VGPRBlocks: 0
; NumSGPRsForWavesPerEU: 4
; NumVGPRsForWavesPerEU: 1
; Occupancy: 10
; WaveLimiterHint : 0
; COMPUTE_PGM_RSRC2:SCRATCH_EN: 0
; COMPUTE_PGM_RSRC2:USER_SGPR: 6
; COMPUTE_PGM_RSRC2:TRAP_HANDLER: 0
; COMPUTE_PGM_RSRC2:TGID_X_EN: 1
; COMPUTE_PGM_RSRC2:TGID_Y_EN: 0
; COMPUTE_PGM_RSRC2:TGID_Z_EN: 0
; COMPUTE_PGM_RSRC2:TIDIG_COMP_CNT: 0
	.section	.text._ZN7rocprim17ROCPRIM_400000_NS6detail17trampoline_kernelINS0_14default_configENS1_22reduce_config_selectorIiEEZNS1_11reduce_implILb1ES3_N6thrust23THRUST_200600_302600_NS11hip_rocprim35transform_pair_of_input_iterators_tIiPfSB_NS8_12not_equal_toIfEEEEPiiNS8_4plusIiEEEE10hipError_tPvRmT1_T2_T3_mT4_P12ihipStream_tbEUlT_E1_NS1_11comp_targetILNS1_3genE2ELNS1_11target_archE906ELNS1_3gpuE6ELNS1_3repE0EEENS1_30default_config_static_selectorELNS0_4arch9wavefront6targetE1EEEvSL_,"axG",@progbits,_ZN7rocprim17ROCPRIM_400000_NS6detail17trampoline_kernelINS0_14default_configENS1_22reduce_config_selectorIiEEZNS1_11reduce_implILb1ES3_N6thrust23THRUST_200600_302600_NS11hip_rocprim35transform_pair_of_input_iterators_tIiPfSB_NS8_12not_equal_toIfEEEEPiiNS8_4plusIiEEEE10hipError_tPvRmT1_T2_T3_mT4_P12ihipStream_tbEUlT_E1_NS1_11comp_targetILNS1_3genE2ELNS1_11target_archE906ELNS1_3gpuE6ELNS1_3repE0EEENS1_30default_config_static_selectorELNS0_4arch9wavefront6targetE1EEEvSL_,comdat
	.protected	_ZN7rocprim17ROCPRIM_400000_NS6detail17trampoline_kernelINS0_14default_configENS1_22reduce_config_selectorIiEEZNS1_11reduce_implILb1ES3_N6thrust23THRUST_200600_302600_NS11hip_rocprim35transform_pair_of_input_iterators_tIiPfSB_NS8_12not_equal_toIfEEEEPiiNS8_4plusIiEEEE10hipError_tPvRmT1_T2_T3_mT4_P12ihipStream_tbEUlT_E1_NS1_11comp_targetILNS1_3genE2ELNS1_11target_archE906ELNS1_3gpuE6ELNS1_3repE0EEENS1_30default_config_static_selectorELNS0_4arch9wavefront6targetE1EEEvSL_ ; -- Begin function _ZN7rocprim17ROCPRIM_400000_NS6detail17trampoline_kernelINS0_14default_configENS1_22reduce_config_selectorIiEEZNS1_11reduce_implILb1ES3_N6thrust23THRUST_200600_302600_NS11hip_rocprim35transform_pair_of_input_iterators_tIiPfSB_NS8_12not_equal_toIfEEEEPiiNS8_4plusIiEEEE10hipError_tPvRmT1_T2_T3_mT4_P12ihipStream_tbEUlT_E1_NS1_11comp_targetILNS1_3genE2ELNS1_11target_archE906ELNS1_3gpuE6ELNS1_3repE0EEENS1_30default_config_static_selectorELNS0_4arch9wavefront6targetE1EEEvSL_
	.globl	_ZN7rocprim17ROCPRIM_400000_NS6detail17trampoline_kernelINS0_14default_configENS1_22reduce_config_selectorIiEEZNS1_11reduce_implILb1ES3_N6thrust23THRUST_200600_302600_NS11hip_rocprim35transform_pair_of_input_iterators_tIiPfSB_NS8_12not_equal_toIfEEEEPiiNS8_4plusIiEEEE10hipError_tPvRmT1_T2_T3_mT4_P12ihipStream_tbEUlT_E1_NS1_11comp_targetILNS1_3genE2ELNS1_11target_archE906ELNS1_3gpuE6ELNS1_3repE0EEENS1_30default_config_static_selectorELNS0_4arch9wavefront6targetE1EEEvSL_
	.p2align	8
	.type	_ZN7rocprim17ROCPRIM_400000_NS6detail17trampoline_kernelINS0_14default_configENS1_22reduce_config_selectorIiEEZNS1_11reduce_implILb1ES3_N6thrust23THRUST_200600_302600_NS11hip_rocprim35transform_pair_of_input_iterators_tIiPfSB_NS8_12not_equal_toIfEEEEPiiNS8_4plusIiEEEE10hipError_tPvRmT1_T2_T3_mT4_P12ihipStream_tbEUlT_E1_NS1_11comp_targetILNS1_3genE2ELNS1_11target_archE906ELNS1_3gpuE6ELNS1_3repE0EEENS1_30default_config_static_selectorELNS0_4arch9wavefront6targetE1EEEvSL_,@function
_ZN7rocprim17ROCPRIM_400000_NS6detail17trampoline_kernelINS0_14default_configENS1_22reduce_config_selectorIiEEZNS1_11reduce_implILb1ES3_N6thrust23THRUST_200600_302600_NS11hip_rocprim35transform_pair_of_input_iterators_tIiPfSB_NS8_12not_equal_toIfEEEEPiiNS8_4plusIiEEEE10hipError_tPvRmT1_T2_T3_mT4_P12ihipStream_tbEUlT_E1_NS1_11comp_targetILNS1_3genE2ELNS1_11target_archE906ELNS1_3gpuE6ELNS1_3repE0EEENS1_30default_config_static_selectorELNS0_4arch9wavefront6targetE1EEEvSL_: ; @_ZN7rocprim17ROCPRIM_400000_NS6detail17trampoline_kernelINS0_14default_configENS1_22reduce_config_selectorIiEEZNS1_11reduce_implILb1ES3_N6thrust23THRUST_200600_302600_NS11hip_rocprim35transform_pair_of_input_iterators_tIiPfSB_NS8_12not_equal_toIfEEEEPiiNS8_4plusIiEEEE10hipError_tPvRmT1_T2_T3_mT4_P12ihipStream_tbEUlT_E1_NS1_11comp_targetILNS1_3genE2ELNS1_11target_archE906ELNS1_3gpuE6ELNS1_3repE0EEENS1_30default_config_static_selectorELNS0_4arch9wavefront6targetE1EEEvSL_
; %bb.0:
	s_load_dword s33, s[4:5], 0x4
	s_load_dwordx4 s[40:43], s[4:5], 0x8
	s_load_dwordx4 s[36:39], s[4:5], 0x20
	s_waitcnt lgkmcnt(0)
	s_cmp_lt_i32 s33, 8
	s_cbranch_scc1 .LBB1901_11
; %bb.1:
	s_cmp_gt_i32 s33, 15
	s_cbranch_scc0 .LBB1901_12
; %bb.2:
	s_cmp_gt_i32 s33, 31
	s_cbranch_scc0 .LBB1901_13
; %bb.3:
	s_cmp_eq_u32 s33, 32
	s_mov_b64 s[16:17], 0
	s_cbranch_scc0 .LBB1901_14
; %bb.4:
	s_mov_b32 s7, 0
	s_lshl_b32 s22, s6, 13
	s_mov_b32 s23, s7
	s_lshr_b64 s[0:1], s[36:37], 13
	s_lshl_b64 s[2:3], s[22:23], 2
	s_add_u32 s18, s40, s2
	s_addc_u32 s19, s41, s3
	s_add_u32 s20, s42, s2
	s_addc_u32 s21, s43, s3
	s_cmp_lg_u64 s[0:1], s[6:7]
	s_cbranch_scc0 .LBB1901_23
; %bb.5:
	v_lshlrev_b32_e32 v9, 2, v0
	global_load_dword v10, v9, s[18:19]
	global_load_dword v11, v9, s[20:21]
	global_load_dword v12, v9, s[18:19] offset:1024
	global_load_dword v13, v9, s[20:21] offset:1024
	v_mov_b32_e32 v1, s19
	v_add_co_u32_e32 v14, vcc, s18, v9
	v_addc_co_u32_e32 v15, vcc, 0, v1, vcc
	global_load_dword v18, v9, s[18:19] offset:2048
	global_load_dword v19, v9, s[20:21] offset:2048
	v_mov_b32_e32 v2, s21
	v_add_co_u32_e32 v16, vcc, s20, v9
	s_movk_i32 s0, 0x1000
	v_addc_co_u32_e32 v17, vcc, 0, v2, vcc
	v_add_co_u32_e32 v1, vcc, s0, v14
	s_movk_i32 s1, 0x2000
	v_addc_co_u32_e32 v2, vcc, 0, v15, vcc
	v_add_co_u32_e32 v3, vcc, s1, v14
	v_addc_co_u32_e32 v4, vcc, 0, v15, vcc
	v_add_co_u32_e32 v5, vcc, s0, v16
	;; [unrolled: 2-line block ×3, first 2 shown]
	v_addc_co_u32_e32 v8, vcc, 0, v17, vcc
	global_load_dword v20, v[3:4], off offset:-4096
	global_load_dword v21, v[7:8], off offset:-4096
	global_load_dword v22, v[1:2], off offset:2048
	global_load_dword v23, v[5:6], off offset:2048
	global_load_dword v24, v[3:4], off
	global_load_dword v25, v[7:8], off
	global_load_dword v26, v9, s[20:21] offset:3072
	global_load_dword v27, v9, s[18:19] offset:3072
	global_load_dword v28, v[5:6], off offset:3072
	global_load_dword v29, v[5:6], off offset:1024
	;; [unrolled: 1-line block ×7, first 2 shown]
                                        ; kill: killed $vgpr5 killed $vgpr6
                                        ; kill: killed $vgpr1 killed $vgpr2
                                        ; kill: killed $vgpr9
	global_load_dword v9, v[7:8], off offset:2048
	s_movk_i32 s0, 0x4000
	v_add_co_u32_e32 v1, vcc, s0, v14
	v_addc_co_u32_e32 v2, vcc, 0, v15, vcc
	global_load_dword v35, v[3:4], off offset:3072
	v_add_co_u32_e64 v3, s[0:1], s0, v16
	global_load_dword v36, v[7:8], off offset:3072
	v_addc_co_u32_e64 v4, s[0:1], 0, v17, s[0:1]
	s_movk_i32 s2, 0x6000
	s_movk_i32 s12, 0x3000
	;; [unrolled: 1-line block ×3, first 2 shown]
	s_waitcnt vmcnt(22)
	v_cmp_neq_f32_e32 vcc, v10, v11
	v_cndmask_b32_e64 v5, 0, 1, vcc
	s_waitcnt vmcnt(20)
	v_cmp_neq_f32_e32 vcc, v12, v13
	global_load_dword v13, v[1:2], off offset:-4096
	global_load_dword v37, v[3:4], off offset:-4096
	v_addc_co_u32_e32 v5, vcc, 0, v5, vcc
	s_waitcnt vmcnt(20)
	v_cmp_neq_f32_e64 s[0:1], v18, v19
	v_cndmask_b32_e64 v6, 0, 1, s[0:1]
	s_waitcnt vmcnt(18)
	v_cmp_neq_f32_e32 vcc, v20, v21
	v_cndmask_b32_e64 v7, 0, 1, vcc
	s_waitcnt vmcnt(16)
	v_cmp_neq_f32_e32 vcc, v22, v23
	v_cndmask_b32_e64 v8, 0, 1, vcc
	;; [unrolled: 3-line block ×3, first 2 shown]
	s_waitcnt vmcnt(12)
	v_cmp_neq_f32_e32 vcc, v27, v26
	v_addc_co_u32_e32 v5, vcc, v5, v6, vcc
	global_load_dword v20, v[1:2], off
	global_load_dword v21, v[3:4], off
	s_waitcnt vmcnt(10)
	v_cmp_neq_f32_e32 vcc, v31, v29
	v_addc_co_u32_e32 v5, vcc, v5, v7, vcc
	v_cmp_neq_f32_e32 vcc, v30, v28
	v_addc_co_u32_e32 v19, vcc, v5, v8, vcc
	v_add_co_u32_e64 v5, s[0:1], s2, v14
	v_addc_co_u32_e64 v6, s[0:1], 0, v15, s[0:1]
	v_add_co_u32_e64 v7, s[0:1], s2, v16
	v_addc_co_u32_e64 v8, s[0:1], 0, v17, s[0:1]
	global_load_dword v22, v[5:6], off offset:-4096
	global_load_dword v23, v[7:8], off offset:-4096
	s_waitcnt vmcnt(8)
	v_cmp_neq_f32_e64 s[0:1], v34, v9
	global_load_dword v25, v[5:6], off
	global_load_dword v26, v[7:8], off
	s_movk_i32 s2, 0x7000
	v_cndmask_b32_e64 v24, 0, 1, s[0:1]
	v_add_co_u32_e64 v9, s[0:1], s2, v14
	v_addc_co_u32_e64 v10, s[0:1], 0, v15, s[0:1]
	v_add_co_u32_e64 v11, s[0:1], s2, v16
	v_cmp_neq_f32_e32 vcc, v33, v32
	v_addc_co_u32_e64 v12, s[0:1], 0, v17, s[0:1]
	global_load_dword v27, v[9:10], off
	global_load_dword v28, v[11:12], off
	v_addc_co_u32_e32 v18, vcc, v19, v18, vcc
	global_load_dword v19, v[1:2], off offset:1024
	global_load_dword v29, v[1:2], off offset:2048
	;; [unrolled: 1-line block ×6, first 2 shown]
	v_add_co_u32_e64 v1, s[10:11], s12, v14
	v_add_co_u32_e64 v3, s[12:13], s12, v16
	v_addc_co_u32_e64 v2, s[10:11], 0, v15, s[10:11]
	v_addc_co_u32_e64 v4, s[12:13], 0, v17, s[12:13]
	s_waitcnt vmcnt(16)
	v_cmp_neq_f32_e32 vcc, v35, v36
	v_addc_co_u32_e32 v18, vcc, v18, v24, vcc
	s_waitcnt vmcnt(14)
	v_cmp_neq_f32_e64 s[0:1], v13, v37
	global_load_dword v13, v[9:10], off offset:2048
	global_load_dword v34, v[11:12], off offset:2048
	s_waitcnt vmcnt(14)
	v_cmp_neq_f32_e64 s[2:3], v20, v21
	global_load_dword v20, v[5:6], off offset:1024
	global_load_dword v21, v[5:6], off offset:2048
	;; [unrolled: 1-line block ×6, first 2 shown]
	v_add_co_u32_e64 v5, s[14:15], s23, v14
	v_addc_co_u32_e64 v6, s[14:15], 0, v15, s[14:15]
	v_add_co_u32_e64 v7, s[14:15], s23, v16
	v_addc_co_u32_e64 v8, s[14:15], 0, v17, s[14:15]
	s_waitcnt vmcnt(18)
	v_cmp_neq_f32_e64 s[8:9], v22, v23
	s_waitcnt vmcnt(16)
	v_cmp_neq_f32_e64 s[10:11], v25, v26
	global_load_dword v22, v[9:10], off offset:3072
	global_load_dword v23, v[9:10], off offset:1024
	;; [unrolled: 1-line block ×5, first 2 shown]
	s_waitcnt vmcnt(19)
	v_cmp_neq_f32_e64 s[12:13], v27, v28
	global_load_dword v9, v[3:4], off offset:2048
	global_load_dword v10, v[5:6], off offset:2048
	v_cndmask_b32_e64 v17, 0, 1, s[12:13]
	s_waitcnt vmcnt(13)
	v_cmp_neq_f32_e64 s[14:15], v13, v34
	global_load_dword v11, v[7:8], off offset:2048
	global_load_dword v12, v[1:2], off offset:3072
	;; [unrolled: 1-line block ×6, first 2 shown]
                                        ; kill: killed $vgpr3 killed $vgpr4
                                        ; kill: killed $vgpr1 killed $vgpr2
	s_nop 0
	global_load_dword v1, v[5:6], off offset:1024
	global_load_dword v2, v[7:8], off offset:3072
	global_load_dword v3, v[7:8], off offset:1024
	v_cndmask_b32_e64 v4, 0, 1, s[0:1]
	v_cndmask_b32_e64 v6, 0, 1, s[2:3]
	;; [unrolled: 1-line block ×3, first 2 shown]
	s_waitcnt vmcnt(10)
	v_cmp_neq_f32_e64 s[0:1], v39, v9
	v_cndmask_b32_e64 v5, 0, 1, s[0:1]
	v_cmp_neq_f32_e64 s[0:1], v29, v32
	v_cndmask_b32_e64 v7, 0, 1, s[0:1]
	s_waitcnt vmcnt(8)
	v_cmp_neq_f32_e64 s[0:1], v10, v11
	v_cndmask_b32_e64 v9, 0, 1, s[0:1]
	v_cndmask_b32_e64 v10, 0, 1, s[10:11]
	v_cmp_neq_f32_e64 s[0:1], v21, v37
	s_waitcnt vmcnt(4)
	v_cmp_neq_f32_e32 vcc, v13, v15
	v_addc_co_u32_e32 v4, vcc, v18, v4, vcc
	v_cmp_neq_f32_e32 vcc, v12, v14
	v_addc_co_u32_e32 v4, vcc, v4, v5, vcc
	;; [unrolled: 2-line block ×4, first 2 shown]
	s_waitcnt vmcnt(0)
	v_cmp_neq_f32_e32 vcc, v1, v3
	v_addc_co_u32_e32 v1, vcc, v4, v8, vcc
	v_cmp_neq_f32_e32 vcc, v16, v2
	v_addc_co_u32_e32 v1, vcc, v1, v9, vcc
	;; [unrolled: 2-line block ×3, first 2 shown]
	v_cndmask_b32_e64 v11, 0, 1, s[0:1]
	v_cmp_neq_f32_e32 vcc, v35, v38
	v_addc_co_u32_e32 v1, vcc, v1, v11, vcc
	v_cmp_neq_f32_e32 vcc, v23, v26
	v_addc_co_u32_e32 v1, vcc, v1, v17, vcc
	v_cndmask_b32_e64 v21, 0, 1, s[14:15]
	v_cmp_neq_f32_e32 vcc, v22, v25
	v_addc_co_u32_e32 v1, vcc, v1, v21, vcc
	v_mbcnt_lo_u32_b32 v2, -1, 0
	s_nop 0
	v_add_u32_dpp v1, v1, v1 quad_perm:[1,0,3,2] row_mask:0xf bank_mask:0xf bound_ctrl:1
	v_mbcnt_hi_u32_b32 v2, -1, v2
	v_lshlrev_b32_e32 v3, 2, v2
	v_add_u32_dpp v1, v1, v1 quad_perm:[2,3,0,1] row_mask:0xf bank_mask:0xf bound_ctrl:1
	v_or_b32_e32 v4, 0xfc, v3
	v_cmp_eq_u32_e32 vcc, 0, v2
	v_add_u32_dpp v1, v1, v1 row_ror:4 row_mask:0xf bank_mask:0xf bound_ctrl:1
	s_nop 1
	v_add_u32_dpp v1, v1, v1 row_ror:8 row_mask:0xf bank_mask:0xf bound_ctrl:1
	s_nop 1
	v_add_u32_dpp v1, v1, v1 row_bcast:15 row_mask:0xf bank_mask:0xf bound_ctrl:1
	s_nop 1
	v_add_u32_dpp v1, v1, v1 row_bcast:31 row_mask:0xf bank_mask:0xf bound_ctrl:1
	ds_bpermute_b32 v1, v4, v1
	s_and_saveexec_b64 s[0:1], vcc
	s_cbranch_execz .LBB1901_7
; %bb.6:
	v_lshrrev_b32_e32 v4, 4, v0
	v_and_b32_e32 v4, 12, v4
	s_waitcnt lgkmcnt(0)
	ds_write_b32 v4, v1 offset:48
.LBB1901_7:
	s_or_b64 exec, exec, s[0:1]
	v_cmp_gt_u32_e32 vcc, 64, v0
	s_waitcnt lgkmcnt(0)
	s_barrier
	s_and_saveexec_b64 s[0:1], vcc
	s_cbranch_execz .LBB1901_9
; %bb.8:
	v_and_b32_e32 v1, 3, v2
	v_lshlrev_b32_e32 v4, 2, v1
	ds_read_b32 v4, v4 offset:48
	v_cmp_ne_u32_e32 vcc, 3, v1
	v_addc_co_u32_e32 v1, vcc, 0, v2, vcc
	v_lshlrev_b32_e32 v1, 2, v1
	s_waitcnt lgkmcnt(0)
	ds_bpermute_b32 v1, v1, v4
	v_or_b32_e32 v2, 8, v3
	s_waitcnt lgkmcnt(0)
	v_add_u32_e32 v1, v1, v4
	ds_bpermute_b32 v2, v2, v1
	s_waitcnt lgkmcnt(0)
	v_add_u32_e32 v1, v2, v1
.LBB1901_9:
	s_or_b64 exec, exec, s[0:1]
.LBB1901_10:
	v_cmp_eq_u32_e64 s[0:1], 0, v0
	s_and_b64 vcc, exec, s[16:17]
	s_cbranch_vccnz .LBB1901_15
	s_branch .LBB1901_93
.LBB1901_11:
	s_mov_b64 s[0:1], 0
                                        ; implicit-def: $vgpr1
	s_cbranch_execnz .LBB1901_166
	s_branch .LBB1901_224
.LBB1901_12:
	s_mov_b64 s[0:1], 0
                                        ; implicit-def: $vgpr1
	s_cbranch_execnz .LBB1901_134
	s_branch .LBB1901_142
.LBB1901_13:
	s_mov_b64 s[16:17], -1
.LBB1901_14:
	s_mov_b64 s[0:1], 0
                                        ; implicit-def: $vgpr1
	s_and_b64 vcc, exec, s[16:17]
	s_cbranch_vccz .LBB1901_93
.LBB1901_15:
	s_cmp_eq_u32 s33, 16
	s_cbranch_scc0 .LBB1901_22
; %bb.16:
	s_mov_b32 s7, 0
	s_lshl_b32 s0, s6, 12
	s_mov_b32 s1, s7
	s_lshr_b64 s[2:3], s[36:37], 12
	s_lshl_b64 s[8:9], s[0:1], 2
	s_add_u32 s34, s40, s8
	s_addc_u32 s35, s41, s9
	s_add_u32 s44, s42, s8
	s_addc_u32 s45, s43, s9
	s_cmp_lg_u64 s[2:3], s[6:7]
	s_cbranch_scc0 .LBB1901_94
; %bb.17:
	v_lshlrev_b32_e32 v1, 2, v0
	global_load_dword v13, v1, s[34:35]
	global_load_dword v14, v1, s[44:45]
	v_mov_b32_e32 v2, s35
	v_add_co_u32_e32 v9, vcc, s34, v1
	v_addc_co_u32_e32 v10, vcc, 0, v2, vcc
	v_mov_b32_e32 v3, s45
	v_add_co_u32_e32 v11, vcc, s44, v1
	s_movk_i32 s1, 0x1000
	v_addc_co_u32_e32 v12, vcc, 0, v3, vcc
	global_load_dword v15, v1, s[34:35] offset:1024
	global_load_dword v16, v1, s[44:45] offset:1024
	;; [unrolled: 1-line block ×6, first 2 shown]
	v_add_co_u32_e32 v1, vcc, s1, v9
	s_movk_i32 s2, 0x2000
	v_addc_co_u32_e32 v2, vcc, 0, v10, vcc
	v_add_co_u32_e32 v3, vcc, s2, v9
	v_addc_co_u32_e32 v4, vcc, 0, v10, vcc
	v_add_co_u32_e32 v5, vcc, s1, v11
	;; [unrolled: 2-line block ×3, first 2 shown]
	s_movk_i32 s3, 0x3000
	v_addc_co_u32_e32 v8, vcc, 0, v12, vcc
	v_add_co_u32_e32 v9, vcc, s3, v9
	v_addc_co_u32_e32 v10, vcc, 0, v10, vcc
	v_add_co_u32_e32 v11, vcc, s3, v11
	v_addc_co_u32_e32 v12, vcc, 0, v12, vcc
	global_load_dword v21, v[3:4], off offset:-4096
	global_load_dword v22, v[7:8], off offset:-4096
	global_load_dword v23, v[1:2], off offset:2048
	global_load_dword v24, v[5:6], off offset:2048
	global_load_dword v25, v[3:4], off
	global_load_dword v26, v[3:4], off offset:2048
	global_load_dword v27, v[7:8], off
	;; [unrolled: 2-line block ×3, first 2 shown]
	global_load_dword v30, v[9:10], off
	global_load_dword v31, v[9:10], off offset:2048
	s_waitcnt vmcnt(17)
	v_cmp_neq_f32_e32 vcc, v13, v14
	global_load_dword v13, v[11:12], off offset:2048
	global_load_dword v14, v[1:2], off offset:3072
	;; [unrolled: 1-line block ×6, first 2 shown]
                                        ; kill: killed $vgpr5 killed $vgpr6
                                        ; kill: killed $vgpr1 killed $vgpr2
	s_nop 0
	global_load_dword v1, v[3:4], off offset:1024
	global_load_dword v2, v[7:8], off offset:3072
	global_load_dword v5, v[7:8], off offset:1024
	global_load_dword v6, v[9:10], off offset:3072
                                        ; kill: killed $vgpr7 killed $vgpr8
                                        ; kill: killed $vgpr3 killed $vgpr4
	s_nop 0
	global_load_dword v3, v[9:10], off offset:1024
	global_load_dword v4, v[11:12], off offset:3072
	;; [unrolled: 1-line block ×3, first 2 shown]
	v_cndmask_b32_e64 v8, 0, 1, vcc
	s_waitcnt vmcnt(26)
	v_cmp_neq_f32_e32 vcc, v17, v18
	v_cndmask_b32_e64 v9, 0, 1, vcc
	s_waitcnt vmcnt(22)
	v_cmp_neq_f32_e32 vcc, v21, v22
	;; [unrolled: 3-line block ×7, first 2 shown]
	v_cndmask_b32_e64 v13, 0, 1, vcc
	v_cmp_neq_f32_e32 vcc, v15, v16
	v_addc_co_u32_e32 v8, vcc, 0, v8, vcc
	v_cmp_neq_f32_e32 vcc, v20, v19
	v_addc_co_u32_e32 v8, vcc, v8, v9, vcc
	s_waitcnt vmcnt(8)
	v_cmp_neq_f32_e32 vcc, v32, v34
	v_addc_co_u32_e32 v8, vcc, v8, v10, vcc
	v_cmp_neq_f32_e32 vcc, v14, v33
	v_addc_co_u32_e32 v8, vcc, v8, v11, vcc
	s_waitcnt vmcnt(4)
	v_cmp_neq_f32_e32 vcc, v1, v5
	v_addc_co_u32_e32 v1, vcc, v8, v12, vcc
	v_cmp_neq_f32_e32 vcc, v35, v2
	v_addc_co_u32_e32 v1, vcc, v1, v17, vcc
	s_waitcnt vmcnt(0)
	v_cmp_neq_f32_e32 vcc, v3, v7
	v_addc_co_u32_e32 v1, vcc, v1, v18, vcc
	v_cmp_neq_f32_e32 vcc, v6, v4
	v_addc_co_u32_e32 v1, vcc, v1, v13, vcc
	v_mbcnt_lo_u32_b32 v2, -1, 0
	s_nop 0
	v_add_u32_dpp v1, v1, v1 quad_perm:[1,0,3,2] row_mask:0xf bank_mask:0xf bound_ctrl:1
	v_mbcnt_hi_u32_b32 v2, -1, v2
	v_lshlrev_b32_e32 v3, 2, v2
	v_add_u32_dpp v1, v1, v1 quad_perm:[2,3,0,1] row_mask:0xf bank_mask:0xf bound_ctrl:1
	v_or_b32_e32 v4, 0xfc, v3
	v_cmp_eq_u32_e32 vcc, 0, v2
	v_add_u32_dpp v1, v1, v1 row_ror:4 row_mask:0xf bank_mask:0xf bound_ctrl:1
	s_nop 1
	v_add_u32_dpp v1, v1, v1 row_ror:8 row_mask:0xf bank_mask:0xf bound_ctrl:1
	s_nop 1
	v_add_u32_dpp v1, v1, v1 row_bcast:15 row_mask:0xf bank_mask:0xf bound_ctrl:1
	s_nop 1
	v_add_u32_dpp v1, v1, v1 row_bcast:31 row_mask:0xf bank_mask:0xf bound_ctrl:1
	ds_bpermute_b32 v1, v4, v1
	s_and_saveexec_b64 s[2:3], vcc
	s_cbranch_execz .LBB1901_19
; %bb.18:
	v_lshrrev_b32_e32 v4, 4, v0
	v_and_b32_e32 v4, 12, v4
	s_waitcnt lgkmcnt(0)
	ds_write_b32 v4, v1
.LBB1901_19:
	s_or_b64 exec, exec, s[2:3]
	v_cmp_gt_u32_e32 vcc, 64, v0
	s_waitcnt lgkmcnt(0)
	s_barrier
	s_and_saveexec_b64 s[2:3], vcc
	s_cbranch_execz .LBB1901_21
; %bb.20:
	v_and_b32_e32 v1, 3, v2
	v_lshlrev_b32_e32 v4, 2, v1
	ds_read_b32 v4, v4
	v_cmp_ne_u32_e32 vcc, 3, v1
	v_addc_co_u32_e32 v1, vcc, 0, v2, vcc
	v_lshlrev_b32_e32 v1, 2, v1
	s_waitcnt lgkmcnt(0)
	ds_bpermute_b32 v1, v1, v4
	v_or_b32_e32 v2, 8, v3
	s_waitcnt lgkmcnt(0)
	v_add_u32_e32 v1, v1, v4
	ds_bpermute_b32 v2, v2, v1
	s_waitcnt lgkmcnt(0)
	v_add_u32_e32 v1, v2, v1
.LBB1901_21:
	s_or_b64 exec, exec, s[2:3]
	s_mov_b64 s[2:3], 0
	s_branch .LBB1901_95
.LBB1901_22:
                                        ; implicit-def: $vgpr1
	s_branch .LBB1901_142
.LBB1901_23:
                                        ; implicit-def: $vgpr1
	s_cbranch_execz .LBB1901_10
; %bb.24:
	s_sub_i32 s2, s36, s22
	v_cmp_gt_u32_e32 vcc, s2, v0
                                        ; implicit-def: $vgpr1
	s_and_saveexec_b64 s[0:1], vcc
	s_cbranch_execz .LBB1901_26
; %bb.25:
	v_lshlrev_b32_e32 v1, 2, v0
	global_load_dword v2, v1, s[18:19]
	global_load_dword v3, v1, s[20:21]
	s_waitcnt vmcnt(0)
	v_cmp_neq_f32_e32 vcc, v2, v3
	v_cndmask_b32_e64 v1, 0, 1, vcc
.LBB1901_26:
	s_or_b64 exec, exec, s[0:1]
	v_or_b32_e32 v2, 0x100, v0
	v_cmp_gt_u32_e32 vcc, s2, v2
	v_mov_b32_e32 v2, 0
	v_mov_b32_e32 v3, 0
	s_and_saveexec_b64 s[0:1], vcc
	s_cbranch_execz .LBB1901_28
; %bb.27:
	v_lshlrev_b32_e32 v3, 2, v0
	global_load_dword v4, v3, s[18:19] offset:1024
	global_load_dword v5, v3, s[20:21] offset:1024
	s_waitcnt vmcnt(0)
	v_cmp_neq_f32_e32 vcc, v4, v5
	v_cndmask_b32_e64 v3, 0, 1, vcc
.LBB1901_28:
	s_or_b64 exec, exec, s[0:1]
	v_or_b32_e32 v4, 0x200, v0
	v_cmp_gt_u32_e32 vcc, s2, v4
	s_and_saveexec_b64 s[0:1], vcc
	s_cbranch_execz .LBB1901_30
; %bb.29:
	v_lshlrev_b32_e32 v2, 2, v0
	global_load_dword v4, v2, s[18:19] offset:2048
	global_load_dword v5, v2, s[20:21] offset:2048
	s_waitcnt vmcnt(0)
	v_cmp_neq_f32_e32 vcc, v4, v5
	v_cndmask_b32_e64 v2, 0, 1, vcc
.LBB1901_30:
	s_or_b64 exec, exec, s[0:1]
	v_or_b32_e32 v4, 0x300, v0
	v_cmp_gt_u32_e32 vcc, s2, v4
	v_mov_b32_e32 v4, 0
	v_mov_b32_e32 v5, 0
	s_and_saveexec_b64 s[0:1], vcc
	s_cbranch_execz .LBB1901_32
; %bb.31:
	v_lshlrev_b32_e32 v5, 2, v0
	global_load_dword v6, v5, s[18:19] offset:3072
	global_load_dword v7, v5, s[20:21] offset:3072
	s_waitcnt vmcnt(0)
	v_cmp_neq_f32_e32 vcc, v6, v7
	v_cndmask_b32_e64 v5, 0, 1, vcc
.LBB1901_32:
	s_or_b64 exec, exec, s[0:1]
	v_or_b32_e32 v6, 0x400, v0
	v_cmp_gt_u32_e32 vcc, s2, v6
	s_and_saveexec_b64 s[0:1], vcc
	s_cbranch_execz .LBB1901_34
; %bb.33:
	v_lshlrev_b32_e32 v4, 2, v6
	global_load_dword v6, v4, s[18:19]
	global_load_dword v7, v4, s[20:21]
	s_waitcnt vmcnt(0)
	v_cmp_neq_f32_e32 vcc, v6, v7
	v_cndmask_b32_e64 v4, 0, 1, vcc
.LBB1901_34:
	s_or_b64 exec, exec, s[0:1]
	v_or_b32_e32 v8, 0x500, v0
	v_cmp_gt_u32_e32 vcc, s2, v8
	v_mov_b32_e32 v6, 0
	v_mov_b32_e32 v7, 0
	s_and_saveexec_b64 s[0:1], vcc
	s_cbranch_execz .LBB1901_36
; %bb.35:
	v_lshlrev_b32_e32 v7, 2, v8
	global_load_dword v8, v7, s[18:19]
	global_load_dword v9, v7, s[20:21]
	s_waitcnt vmcnt(0)
	v_cmp_neq_f32_e32 vcc, v8, v9
	v_cndmask_b32_e64 v7, 0, 1, vcc
.LBB1901_36:
	s_or_b64 exec, exec, s[0:1]
	v_or_b32_e32 v8, 0x600, v0
	v_cmp_gt_u32_e32 vcc, s2, v8
	s_and_saveexec_b64 s[0:1], vcc
	s_cbranch_execz .LBB1901_38
; %bb.37:
	v_lshlrev_b32_e32 v6, 2, v8
	global_load_dword v8, v6, s[18:19]
	global_load_dword v9, v6, s[20:21]
	s_waitcnt vmcnt(0)
	v_cmp_neq_f32_e32 vcc, v8, v9
	v_cndmask_b32_e64 v6, 0, 1, vcc
.LBB1901_38:
	s_or_b64 exec, exec, s[0:1]
	v_or_b32_e32 v10, 0x700, v0
	v_cmp_gt_u32_e32 vcc, s2, v10
	v_mov_b32_e32 v8, 0
	v_mov_b32_e32 v9, 0
	s_and_saveexec_b64 s[0:1], vcc
	s_cbranch_execz .LBB1901_40
; %bb.39:
	v_lshlrev_b32_e32 v9, 2, v10
	global_load_dword v10, v9, s[18:19]
	global_load_dword v11, v9, s[20:21]
	s_waitcnt vmcnt(0)
	v_cmp_neq_f32_e32 vcc, v10, v11
	v_cndmask_b32_e64 v9, 0, 1, vcc
.LBB1901_40:
	;; [unrolled: 28-line block ×13, first 2 shown]
	s_or_b64 exec, exec, s[0:1]
	v_or_b32_e32 v32, 0x1e00, v0
	v_cmp_gt_u32_e32 vcc, s2, v32
	s_and_saveexec_b64 s[0:1], vcc
	s_cbranch_execz .LBB1901_86
; %bb.85:
	v_lshlrev_b32_e32 v30, 2, v32
	global_load_dword v32, v30, s[18:19]
	global_load_dword v33, v30, s[20:21]
	s_waitcnt vmcnt(0)
	v_cmp_neq_f32_e32 vcc, v32, v33
	v_cndmask_b32_e64 v30, 0, 1, vcc
.LBB1901_86:
	s_or_b64 exec, exec, s[0:1]
	v_or_b32_e32 v33, 0x1f00, v0
	v_cmp_gt_u32_e32 vcc, s2, v33
	v_mov_b32_e32 v32, 0
	s_and_saveexec_b64 s[0:1], vcc
	s_cbranch_execz .LBB1901_88
; %bb.87:
	v_lshlrev_b32_e32 v32, 2, v33
	global_load_dword v33, v32, s[18:19]
	global_load_dword v34, v32, s[20:21]
	s_waitcnt vmcnt(0)
	v_cmp_neq_f32_e32 vcc, v33, v34
	v_cndmask_b32_e64 v32, 0, 1, vcc
.LBB1901_88:
	s_or_b64 exec, exec, s[0:1]
	v_add_u32_e32 v1, v3, v1
	v_add3_u32 v1, v1, v2, v5
	v_add3_u32 v1, v1, v4, v7
	;; [unrolled: 1-line block ×10, first 2 shown]
	v_mbcnt_lo_u32_b32 v2, -1, 0
	v_add3_u32 v1, v1, v22, v25
	v_mbcnt_hi_u32_b32 v2, -1, v2
	v_add3_u32 v1, v1, v24, v27
	v_and_b32_e32 v4, 63, v2
	v_add3_u32 v1, v1, v26, v29
	v_cmp_ne_u32_e32 vcc, 63, v4
	v_add3_u32 v1, v1, v28, v31
	v_addc_co_u32_e32 v3, vcc, 0, v2, vcc
	v_add3_u32 v1, v1, v30, v32
	v_lshlrev_b32_e32 v3, 2, v3
	ds_bpermute_b32 v3, v3, v1
	s_min_u32 s2, s2, 0x100
	v_and_b32_e32 v5, 0xc0, v0
	v_sub_u32_e64 v5, s2, v5 clamp
	v_add_u32_e32 v6, 1, v4
	v_cmp_lt_u32_e32 vcc, v6, v5
	s_waitcnt lgkmcnt(0)
	v_cndmask_b32_e32 v3, 0, v3, vcc
	v_cmp_gt_u32_e32 vcc, 62, v4
	v_add_u32_e32 v1, v3, v1
	v_cndmask_b32_e64 v3, 0, 2, vcc
	v_add_lshl_u32 v3, v3, v2, 2
	ds_bpermute_b32 v3, v3, v1
	v_add_u32_e32 v6, 2, v4
	v_cmp_lt_u32_e32 vcc, v6, v5
	v_add_u32_e32 v6, 4, v4
	s_waitcnt lgkmcnt(0)
	v_cndmask_b32_e32 v3, 0, v3, vcc
	v_cmp_gt_u32_e32 vcc, 60, v4
	v_add_u32_e32 v1, v1, v3
	v_cndmask_b32_e64 v3, 0, 4, vcc
	v_add_lshl_u32 v3, v3, v2, 2
	ds_bpermute_b32 v3, v3, v1
	v_cmp_lt_u32_e32 vcc, v6, v5
	v_add_u32_e32 v6, 8, v4
	s_waitcnt lgkmcnt(0)
	v_cndmask_b32_e32 v3, 0, v3, vcc
	v_cmp_gt_u32_e32 vcc, 56, v4
	v_add_u32_e32 v1, v1, v3
	v_cndmask_b32_e64 v3, 0, 8, vcc
	v_add_lshl_u32 v3, v3, v2, 2
	ds_bpermute_b32 v3, v3, v1
	;; [unrolled: 9-line block ×3, first 2 shown]
	v_cmp_lt_u32_e32 vcc, v6, v5
	v_add_u32_e32 v4, 32, v4
	s_waitcnt lgkmcnt(0)
	v_cndmask_b32_e32 v3, 0, v3, vcc
	v_add_u32_e32 v1, v1, v3
	v_lshlrev_b32_e32 v3, 2, v2
	v_or_b32_e32 v6, 0x80, v3
	ds_bpermute_b32 v6, v6, v1
	v_cmp_lt_u32_e32 vcc, v4, v5
	s_waitcnt lgkmcnt(0)
	v_cndmask_b32_e32 v4, 0, v6, vcc
	v_add_u32_e32 v1, v1, v4
	v_cmp_eq_u32_e32 vcc, 0, v2
	s_and_saveexec_b64 s[0:1], vcc
; %bb.89:
	v_lshrrev_b32_e32 v4, 4, v0
	v_and_b32_e32 v4, 12, v4
	ds_write_b32 v4, v1 offset:96
; %bb.90:
	s_or_b64 exec, exec, s[0:1]
	v_cmp_gt_u32_e32 vcc, 4, v0
	s_waitcnt lgkmcnt(0)
	s_barrier
	s_and_saveexec_b64 s[0:1], vcc
	s_cbranch_execz .LBB1901_92
; %bb.91:
	ds_read_b32 v1, v3 offset:96
	v_and_b32_e32 v4, 3, v2
	v_cmp_ne_u32_e32 vcc, 3, v4
	v_addc_co_u32_e32 v2, vcc, 0, v2, vcc
	v_lshlrev_b32_e32 v2, 2, v2
	s_waitcnt lgkmcnt(0)
	ds_bpermute_b32 v2, v2, v1
	s_add_i32 s2, s2, 63
	s_lshr_b32 s2, s2, 6
	v_add_u32_e32 v5, 1, v4
	v_cmp_gt_u32_e32 vcc, s2, v5
	s_waitcnt lgkmcnt(0)
	v_cndmask_b32_e32 v2, 0, v2, vcc
	v_add_u32_e32 v1, v2, v1
	v_or_b32_e32 v2, 8, v3
	ds_bpermute_b32 v2, v2, v1
	v_add_u32_e32 v3, 2, v4
	v_cmp_gt_u32_e32 vcc, s2, v3
	s_waitcnt lgkmcnt(0)
	v_cndmask_b32_e32 v2, 0, v2, vcc
	v_add_u32_e32 v1, v1, v2
.LBB1901_92:
	s_or_b64 exec, exec, s[0:1]
	v_cmp_eq_u32_e64 s[0:1], 0, v0
	s_and_b64 vcc, exec, s[16:17]
	s_cbranch_vccnz .LBB1901_15
.LBB1901_93:
	s_branch .LBB1901_142
.LBB1901_94:
	s_mov_b64 s[2:3], -1
                                        ; implicit-def: $vgpr1
.LBB1901_95:
	s_and_b64 vcc, exec, s[2:3]
	s_cbranch_vccz .LBB1901_133
; %bb.96:
	s_sub_i32 s48, s36, s0
	v_mov_b32_e32 v1, 0
	v_cmp_gt_u32_e32 vcc, s48, v0
	v_mov_b32_e32 v2, v1
	v_mov_b32_e32 v3, v1
	;; [unrolled: 1-line block ×15, first 2 shown]
	s_and_saveexec_b64 s[0:1], vcc
	s_cbranch_execz .LBB1901_98
; %bb.97:
	v_mov_b32_e32 v2, v1
	v_mov_b32_e32 v3, v1
	;; [unrolled: 1-line block ×15, first 2 shown]
	v_lshlrev_b32_e32 v1, 2, v0
	global_load_dword v17, v1, s[34:35]
	global_load_dword v18, v1, s[44:45]
	s_waitcnt vmcnt(0)
	v_cmp_neq_f32_e32 vcc, v17, v18
	v_cndmask_b32_e64 v1, 0, 1, vcc
	v_and_b32_e32 v1, 0xffff, v1
.LBB1901_98:
	s_or_b64 exec, exec, s[0:1]
	v_or_b32_e32 v17, 0x100, v0
	v_cmp_gt_u32_e32 vcc, s48, v17
	s_and_saveexec_b64 s[2:3], vcc
	s_cbranch_execz .LBB1901_100
; %bb.99:
	v_lshlrev_b32_e32 v2, 2, v0
	global_load_dword v17, v2, s[34:35] offset:1024
	global_load_dword v18, v2, s[44:45] offset:1024
	s_waitcnt vmcnt(0)
	v_cmp_neq_f32_e64 s[0:1], v17, v18
	v_cndmask_b32_e64 v2, 0, 1, s[0:1]
.LBB1901_100:
	s_or_b64 exec, exec, s[2:3]
	v_or_b32_e32 v17, 0x200, v0
	v_cmp_gt_u32_e64 s[0:1], s48, v17
	s_and_saveexec_b64 s[8:9], s[0:1]
	s_cbranch_execz .LBB1901_102
; %bb.101:
	v_lshlrev_b32_e32 v3, 2, v0
	global_load_dword v17, v3, s[34:35] offset:2048
	global_load_dword v18, v3, s[44:45] offset:2048
	s_waitcnt vmcnt(0)
	v_cmp_neq_f32_e64 s[2:3], v17, v18
	v_cndmask_b32_e64 v3, 0, 1, s[2:3]
.LBB1901_102:
	s_or_b64 exec, exec, s[8:9]
	v_or_b32_e32 v17, 0x300, v0
	v_cmp_gt_u32_e64 s[2:3], s48, v17
	s_and_saveexec_b64 s[10:11], s[2:3]
	;; [unrolled: 13-line block ×3, first 2 shown]
	s_cbranch_execz .LBB1901_106
; %bb.105:
	v_lshlrev_b32_e32 v5, 2, v17
	global_load_dword v17, v5, s[34:35]
	global_load_dword v18, v5, s[44:45]
	s_waitcnt vmcnt(0)
	v_cmp_neq_f32_e64 s[10:11], v17, v18
	v_cndmask_b32_e64 v5, 0, 1, s[10:11]
.LBB1901_106:
	s_or_b64 exec, exec, s[12:13]
	v_or_b32_e32 v17, 0x500, v0
	v_cmp_gt_u32_e64 s[10:11], s48, v17
	s_and_saveexec_b64 s[14:15], s[10:11]
	s_cbranch_execz .LBB1901_108
; %bb.107:
	v_lshlrev_b32_e32 v6, 2, v17
	global_load_dword v17, v6, s[34:35]
	global_load_dword v18, v6, s[44:45]
	s_waitcnt vmcnt(0)
	v_cmp_neq_f32_e64 s[12:13], v17, v18
	v_cndmask_b32_e64 v6, 0, 1, s[12:13]
.LBB1901_108:
	s_or_b64 exec, exec, s[14:15]
	v_or_b32_e32 v17, 0x600, v0
	v_cmp_gt_u32_e64 s[12:13], s48, v17
	s_and_saveexec_b64 s[16:17], s[12:13]
	;; [unrolled: 13-line block ×10, first 2 shown]
	s_cbranch_execz .LBB1901_126
; %bb.125:
	v_lshlrev_b32_e32 v15, 2, v17
	global_load_dword v17, v15, s[34:35]
	s_nop 0
	global_load_dword v15, v15, s[44:45]
	s_waitcnt vmcnt(0)
	v_cmp_neq_f32_e64 s[30:31], v17, v15
	v_cndmask_b32_e64 v15, 0, 1, s[30:31]
.LBB1901_126:
	s_or_b64 exec, exec, s[46:47]
	v_or_b32_e32 v17, 0xf00, v0
	v_cmp_gt_u32_e64 s[30:31], s48, v17
	s_and_saveexec_b64 s[46:47], s[30:31]
	s_cbranch_execz .LBB1901_128
; %bb.127:
	v_lshlrev_b32_e32 v16, 2, v17
	global_load_dword v17, v16, s[34:35]
	s_nop 0
	global_load_dword v16, v16, s[44:45]
	s_waitcnt vmcnt(0)
	v_cmp_neq_f32_e64 s[34:35], v17, v16
	v_cndmask_b32_e64 v16, 0, 1, s[34:35]
.LBB1901_128:
	s_or_b64 exec, exec, s[46:47]
	v_cndmask_b32_e32 v2, 0, v2, vcc
	v_add_u32_e32 v1, v2, v1
	v_cndmask_b32_e64 v2, 0, v3, s[0:1]
	v_cndmask_b32_e64 v3, 0, v4, s[2:3]
	v_add3_u32 v1, v1, v2, v3
	v_cndmask_b32_e64 v2, 0, v5, s[8:9]
	v_cndmask_b32_e64 v3, 0, v6, s[10:11]
	v_add3_u32 v1, v1, v2, v3
	;; [unrolled: 3-line block ×7, first 2 shown]
	v_mbcnt_lo_u32_b32 v2, -1, 0
	v_mbcnt_hi_u32_b32 v2, -1, v2
	v_and_b32_e32 v4, 63, v2
	v_cmp_ne_u32_e32 vcc, 63, v4
	v_addc_co_u32_e32 v3, vcc, 0, v2, vcc
	v_lshlrev_b32_e32 v3, 2, v3
	ds_bpermute_b32 v3, v3, v1
	s_min_u32 s2, s48, 0x100
	v_and_b32_e32 v5, 0xc0, v0
	v_sub_u32_e64 v5, s2, v5 clamp
	v_add_u32_e32 v6, 1, v4
	v_cmp_lt_u32_e32 vcc, v6, v5
	s_waitcnt lgkmcnt(0)
	v_cndmask_b32_e32 v3, 0, v3, vcc
	v_cmp_gt_u32_e32 vcc, 62, v4
	v_add_u32_e32 v1, v1, v3
	v_cndmask_b32_e64 v3, 0, 2, vcc
	v_add_lshl_u32 v3, v3, v2, 2
	ds_bpermute_b32 v3, v3, v1
	v_add_u32_e32 v6, 2, v4
	v_cmp_lt_u32_e32 vcc, v6, v5
	v_add_u32_e32 v6, 4, v4
	s_waitcnt lgkmcnt(0)
	v_cndmask_b32_e32 v3, 0, v3, vcc
	v_cmp_gt_u32_e32 vcc, 60, v4
	v_add_u32_e32 v1, v1, v3
	v_cndmask_b32_e64 v3, 0, 4, vcc
	v_add_lshl_u32 v3, v3, v2, 2
	ds_bpermute_b32 v3, v3, v1
	v_cmp_lt_u32_e32 vcc, v6, v5
	v_add_u32_e32 v6, 8, v4
	s_waitcnt lgkmcnt(0)
	v_cndmask_b32_e32 v3, 0, v3, vcc
	v_cmp_gt_u32_e32 vcc, 56, v4
	v_add_u32_e32 v1, v1, v3
	v_cndmask_b32_e64 v3, 0, 8, vcc
	v_add_lshl_u32 v3, v3, v2, 2
	ds_bpermute_b32 v3, v3, v1
	;; [unrolled: 9-line block ×3, first 2 shown]
	v_cmp_lt_u32_e32 vcc, v6, v5
	v_add_u32_e32 v4, 32, v4
	s_waitcnt lgkmcnt(0)
	v_cndmask_b32_e32 v3, 0, v3, vcc
	v_add_u32_e32 v1, v1, v3
	v_lshlrev_b32_e32 v3, 2, v2
	v_or_b32_e32 v6, 0x80, v3
	ds_bpermute_b32 v6, v6, v1
	v_cmp_lt_u32_e32 vcc, v4, v5
	s_waitcnt lgkmcnt(0)
	v_cndmask_b32_e32 v4, 0, v6, vcc
	v_add_u32_e32 v1, v1, v4
	v_cmp_eq_u32_e32 vcc, 0, v2
	s_and_saveexec_b64 s[0:1], vcc
; %bb.129:
	v_lshrrev_b32_e32 v4, 4, v0
	v_and_b32_e32 v4, 12, v4
	ds_write_b32 v4, v1 offset:96
; %bb.130:
	s_or_b64 exec, exec, s[0:1]
	v_cmp_gt_u32_e32 vcc, 4, v0
	s_waitcnt lgkmcnt(0)
	s_barrier
	s_and_saveexec_b64 s[0:1], vcc
	s_cbranch_execz .LBB1901_132
; %bb.131:
	ds_read_b32 v1, v3 offset:96
	v_and_b32_e32 v4, 3, v2
	v_cmp_ne_u32_e32 vcc, 3, v4
	v_addc_co_u32_e32 v2, vcc, 0, v2, vcc
	v_lshlrev_b32_e32 v2, 2, v2
	s_waitcnt lgkmcnt(0)
	ds_bpermute_b32 v2, v2, v1
	s_add_i32 s2, s2, 63
	s_lshr_b32 s2, s2, 6
	v_add_u32_e32 v5, 1, v4
	v_cmp_gt_u32_e32 vcc, s2, v5
	s_waitcnt lgkmcnt(0)
	v_cndmask_b32_e32 v2, 0, v2, vcc
	v_add_u32_e32 v1, v2, v1
	v_or_b32_e32 v2, 8, v3
	ds_bpermute_b32 v2, v2, v1
	v_add_u32_e32 v3, 2, v4
	v_cmp_gt_u32_e32 vcc, s2, v3
	s_waitcnt lgkmcnt(0)
	v_cndmask_b32_e32 v2, 0, v2, vcc
	v_add_u32_e32 v1, v1, v2
.LBB1901_132:
	s_or_b64 exec, exec, s[0:1]
.LBB1901_133:
	v_cmp_eq_u32_e64 s[0:1], 0, v0
	s_branch .LBB1901_142
.LBB1901_134:
	s_cmp_eq_u32 s33, 8
	s_cbranch_scc0 .LBB1901_141
; %bb.135:
	s_mov_b32 s7, 0
	s_lshl_b32 s0, s6, 11
	s_mov_b32 s1, s7
	s_lshr_b64 s[2:3], s[36:37], 11
	s_lshl_b64 s[8:9], s[0:1], 2
	s_add_u32 s16, s40, s8
	s_addc_u32 s17, s41, s9
	s_add_u32 s18, s42, s8
	s_addc_u32 s19, s43, s9
	s_cmp_lg_u64 s[2:3], s[6:7]
	s_cbranch_scc0 .LBB1901_143
; %bb.136:
	v_lshlrev_b32_e32 v5, 2, v0
	global_load_dword v7, v5, s[16:17]
	global_load_dword v8, v5, s[18:19]
	global_load_dword v9, v5, s[16:17] offset:1024
	global_load_dword v10, v5, s[18:19] offset:1024
	;; [unrolled: 1-line block ×4, first 2 shown]
	v_mov_b32_e32 v1, s17
	v_add_co_u32_e32 v2, vcc, s16, v5
	v_addc_co_u32_e32 v3, vcc, 0, v1, vcc
	v_mov_b32_e32 v1, s19
	v_add_co_u32_e32 v4, vcc, s18, v5
	v_addc_co_u32_e32 v6, vcc, 0, v1, vcc
	s_movk_i32 s1, 0x1000
	v_add_co_u32_e32 v1, vcc, s1, v2
	v_addc_co_u32_e32 v2, vcc, 0, v3, vcc
	v_add_co_u32_e32 v3, vcc, s1, v4
	v_addc_co_u32_e32 v4, vcc, 0, v6, vcc
	global_load_dword v6, v[3:4], off
	global_load_dword v13, v[1:2], off
	global_load_dword v14, v[1:2], off offset:2048
	global_load_dword v15, v[3:4], off offset:2048
	global_load_dword v16, v5, s[18:19] offset:3072
	global_load_dword v17, v5, s[16:17] offset:3072
	global_load_dword v18, v[3:4], off offset:1024
	global_load_dword v19, v[1:2], off offset:1024
	;; [unrolled: 1-line block ×4, first 2 shown]
	v_mbcnt_lo_u32_b32 v1, -1, 0
	v_mbcnt_hi_u32_b32 v2, -1, v1
	v_lshlrev_b32_e32 v3, 2, v2
	s_waitcnt vmcnt(14)
	v_cmp_neq_f32_e32 vcc, v7, v8
	v_cndmask_b32_e64 v1, 0, 1, vcc
	s_waitcnt vmcnt(10)
	v_cmp_neq_f32_e32 vcc, v11, v12
	v_cndmask_b32_e64 v4, 0, 1, vcc
	v_cmp_neq_f32_e32 vcc, v9, v10
	v_addc_co_u32_e32 v1, vcc, 0, v1, vcc
	s_waitcnt vmcnt(8)
	v_cmp_neq_f32_e32 vcc, v13, v6
	v_cndmask_b32_e64 v5, 0, 1, vcc
	s_waitcnt vmcnt(6)
	v_cmp_neq_f32_e32 vcc, v14, v15
	v_cndmask_b32_e64 v6, 0, 1, vcc
	s_waitcnt vmcnt(4)
	v_cmp_neq_f32_e32 vcc, v17, v16
	v_addc_co_u32_e32 v1, vcc, v1, v4, vcc
	s_waitcnt vmcnt(2)
	v_cmp_neq_f32_e32 vcc, v19, v18
	v_addc_co_u32_e32 v1, vcc, v1, v5, vcc
	;; [unrolled: 3-line block ×3, first 2 shown]
	v_or_b32_e32 v4, 0xfc, v3
	s_nop 0
	v_add_u32_dpp v1, v1, v1 quad_perm:[1,0,3,2] row_mask:0xf bank_mask:0xf bound_ctrl:1
	v_cmp_eq_u32_e32 vcc, 0, v2
	s_nop 0
	v_add_u32_dpp v1, v1, v1 quad_perm:[2,3,0,1] row_mask:0xf bank_mask:0xf bound_ctrl:1
	s_nop 1
	v_add_u32_dpp v1, v1, v1 row_ror:4 row_mask:0xf bank_mask:0xf bound_ctrl:1
	s_nop 1
	v_add_u32_dpp v1, v1, v1 row_ror:8 row_mask:0xf bank_mask:0xf bound_ctrl:1
	s_nop 1
	v_add_u32_dpp v1, v1, v1 row_bcast:15 row_mask:0xf bank_mask:0xf bound_ctrl:1
	s_nop 1
	v_add_u32_dpp v1, v1, v1 row_bcast:31 row_mask:0xf bank_mask:0xf bound_ctrl:1
	ds_bpermute_b32 v1, v4, v1
	s_and_saveexec_b64 s[2:3], vcc
	s_cbranch_execz .LBB1901_138
; %bb.137:
	v_lshrrev_b32_e32 v4, 4, v0
	v_and_b32_e32 v4, 12, v4
	s_waitcnt lgkmcnt(0)
	ds_write_b32 v4, v1 offset:80
.LBB1901_138:
	s_or_b64 exec, exec, s[2:3]
	v_cmp_gt_u32_e32 vcc, 64, v0
	s_waitcnt lgkmcnt(0)
	s_barrier
	s_and_saveexec_b64 s[2:3], vcc
	s_cbranch_execz .LBB1901_140
; %bb.139:
	v_and_b32_e32 v1, 3, v2
	v_lshlrev_b32_e32 v4, 2, v1
	ds_read_b32 v4, v4 offset:80
	v_cmp_ne_u32_e32 vcc, 3, v1
	v_addc_co_u32_e32 v1, vcc, 0, v2, vcc
	v_lshlrev_b32_e32 v1, 2, v1
	s_waitcnt lgkmcnt(0)
	ds_bpermute_b32 v1, v1, v4
	v_or_b32_e32 v2, 8, v3
	s_waitcnt lgkmcnt(0)
	v_add_u32_e32 v1, v1, v4
	ds_bpermute_b32 v2, v2, v1
	s_waitcnt lgkmcnt(0)
	v_add_u32_e32 v1, v2, v1
.LBB1901_140:
	s_or_b64 exec, exec, s[2:3]
	s_branch .LBB1901_165
.LBB1901_141:
                                        ; implicit-def: $vgpr1
.LBB1901_142:
	s_branch .LBB1901_224
.LBB1901_143:
                                        ; implicit-def: $vgpr1
	s_cbranch_execz .LBB1901_165
; %bb.144:
	s_sub_i32 s22, s36, s0
	v_mov_b32_e32 v1, 0
	v_cmp_gt_u32_e32 vcc, s22, v0
	v_mov_b32_e32 v2, v1
	v_mov_b32_e32 v3, v1
	;; [unrolled: 1-line block ×7, first 2 shown]
	s_and_saveexec_b64 s[0:1], vcc
	s_cbranch_execz .LBB1901_146
; %bb.145:
	v_lshlrev_b32_e32 v2, 2, v0
	global_load_dword v9, v2, s[16:17]
	global_load_dword v10, v2, s[18:19]
	v_mov_b32_e32 v3, v1
	v_mov_b32_e32 v4, v1
	;; [unrolled: 1-line block ×6, first 2 shown]
	s_waitcnt vmcnt(0)
	v_cmp_neq_f32_e32 vcc, v9, v10
	v_cndmask_b32_e64 v2, 0, 1, vcc
	v_and_b32_e32 v2, 0xffff, v2
	v_mov_b32_e32 v9, v1
	v_mov_b32_e32 v1, v2
	;; [unrolled: 1-line block ×9, first 2 shown]
.LBB1901_146:
	s_or_b64 exec, exec, s[0:1]
	v_or_b32_e32 v9, 0x100, v0
	v_cmp_gt_u32_e32 vcc, s22, v9
	s_and_saveexec_b64 s[2:3], vcc
	s_cbranch_execz .LBB1901_148
; %bb.147:
	v_lshlrev_b32_e32 v2, 2, v0
	global_load_dword v9, v2, s[16:17] offset:1024
	global_load_dword v10, v2, s[18:19] offset:1024
	s_waitcnt vmcnt(0)
	v_cmp_neq_f32_e64 s[0:1], v9, v10
	v_cndmask_b32_e64 v2, 0, 1, s[0:1]
.LBB1901_148:
	s_or_b64 exec, exec, s[2:3]
	v_or_b32_e32 v9, 0x200, v0
	v_cmp_gt_u32_e64 s[0:1], s22, v9
	s_and_saveexec_b64 s[8:9], s[0:1]
	s_cbranch_execz .LBB1901_150
; %bb.149:
	v_lshlrev_b32_e32 v3, 2, v0
	global_load_dword v9, v3, s[16:17] offset:2048
	global_load_dword v10, v3, s[18:19] offset:2048
	s_waitcnt vmcnt(0)
	v_cmp_neq_f32_e64 s[2:3], v9, v10
	v_cndmask_b32_e64 v3, 0, 1, s[2:3]
.LBB1901_150:
	s_or_b64 exec, exec, s[8:9]
	v_or_b32_e32 v9, 0x300, v0
	v_cmp_gt_u32_e64 s[2:3], s22, v9
	s_and_saveexec_b64 s[10:11], s[2:3]
	;; [unrolled: 13-line block ×3, first 2 shown]
	s_cbranch_execz .LBB1901_154
; %bb.153:
	v_lshlrev_b32_e32 v5, 2, v9
	global_load_dword v9, v5, s[16:17]
	global_load_dword v10, v5, s[18:19]
	s_waitcnt vmcnt(0)
	v_cmp_neq_f32_e64 s[10:11], v9, v10
	v_cndmask_b32_e64 v5, 0, 1, s[10:11]
.LBB1901_154:
	s_or_b64 exec, exec, s[12:13]
	v_or_b32_e32 v9, 0x500, v0
	v_cmp_gt_u32_e64 s[10:11], s22, v9
	s_and_saveexec_b64 s[14:15], s[10:11]
	s_cbranch_execz .LBB1901_156
; %bb.155:
	v_lshlrev_b32_e32 v6, 2, v9
	global_load_dword v9, v6, s[16:17]
	global_load_dword v10, v6, s[18:19]
	s_waitcnt vmcnt(0)
	v_cmp_neq_f32_e64 s[12:13], v9, v10
	v_cndmask_b32_e64 v6, 0, 1, s[12:13]
.LBB1901_156:
	s_or_b64 exec, exec, s[14:15]
	v_or_b32_e32 v9, 0x600, v0
	v_cmp_gt_u32_e64 s[12:13], s22, v9
	s_and_saveexec_b64 s[20:21], s[12:13]
	;; [unrolled: 13-line block ×3, first 2 shown]
	s_cbranch_execz .LBB1901_160
; %bb.159:
	v_lshlrev_b32_e32 v8, 2, v9
	global_load_dword v9, v8, s[16:17]
	global_load_dword v10, v8, s[18:19]
	s_waitcnt vmcnt(0)
	v_cmp_neq_f32_e64 s[16:17], v9, v10
	v_cndmask_b32_e64 v8, 0, 1, s[16:17]
.LBB1901_160:
	s_or_b64 exec, exec, s[20:21]
	v_cndmask_b32_e32 v2, 0, v2, vcc
	v_add_u32_e32 v1, v2, v1
	v_cndmask_b32_e64 v2, 0, v3, s[0:1]
	v_cndmask_b32_e64 v3, 0, v4, s[2:3]
	v_add3_u32 v1, v1, v2, v3
	v_cndmask_b32_e64 v2, 0, v5, s[8:9]
	v_cndmask_b32_e64 v3, 0, v6, s[10:11]
	v_add3_u32 v1, v1, v2, v3
	v_cndmask_b32_e64 v2, 0, v7, s[12:13]
	v_cndmask_b32_e64 v3, 0, v8, s[14:15]
	v_add3_u32 v1, v1, v2, v3
	v_mbcnt_lo_u32_b32 v2, -1, 0
	v_mbcnt_hi_u32_b32 v2, -1, v2
	v_and_b32_e32 v4, 63, v2
	v_cmp_ne_u32_e32 vcc, 63, v4
	v_addc_co_u32_e32 v3, vcc, 0, v2, vcc
	v_lshlrev_b32_e32 v3, 2, v3
	ds_bpermute_b32 v3, v3, v1
	s_min_u32 s2, s22, 0x100
	v_and_b32_e32 v5, 0xc0, v0
	v_sub_u32_e64 v5, s2, v5 clamp
	v_add_u32_e32 v6, 1, v4
	v_cmp_lt_u32_e32 vcc, v6, v5
	s_waitcnt lgkmcnt(0)
	v_cndmask_b32_e32 v3, 0, v3, vcc
	v_cmp_gt_u32_e32 vcc, 62, v4
	v_add_u32_e32 v1, v1, v3
	v_cndmask_b32_e64 v3, 0, 2, vcc
	v_add_lshl_u32 v3, v3, v2, 2
	ds_bpermute_b32 v3, v3, v1
	v_add_u32_e32 v6, 2, v4
	v_cmp_lt_u32_e32 vcc, v6, v5
	v_add_u32_e32 v6, 4, v4
	s_waitcnt lgkmcnt(0)
	v_cndmask_b32_e32 v3, 0, v3, vcc
	v_cmp_gt_u32_e32 vcc, 60, v4
	v_add_u32_e32 v1, v1, v3
	v_cndmask_b32_e64 v3, 0, 4, vcc
	v_add_lshl_u32 v3, v3, v2, 2
	ds_bpermute_b32 v3, v3, v1
	v_cmp_lt_u32_e32 vcc, v6, v5
	v_add_u32_e32 v6, 8, v4
	s_waitcnt lgkmcnt(0)
	v_cndmask_b32_e32 v3, 0, v3, vcc
	v_cmp_gt_u32_e32 vcc, 56, v4
	v_add_u32_e32 v1, v1, v3
	v_cndmask_b32_e64 v3, 0, 8, vcc
	v_add_lshl_u32 v3, v3, v2, 2
	ds_bpermute_b32 v3, v3, v1
	;; [unrolled: 9-line block ×3, first 2 shown]
	v_cmp_lt_u32_e32 vcc, v6, v5
	v_add_u32_e32 v4, 32, v4
	s_waitcnt lgkmcnt(0)
	v_cndmask_b32_e32 v3, 0, v3, vcc
	v_add_u32_e32 v1, v1, v3
	v_lshlrev_b32_e32 v3, 2, v2
	v_or_b32_e32 v6, 0x80, v3
	ds_bpermute_b32 v6, v6, v1
	v_cmp_lt_u32_e32 vcc, v4, v5
	s_waitcnt lgkmcnt(0)
	v_cndmask_b32_e32 v4, 0, v6, vcc
	v_add_u32_e32 v1, v1, v4
	v_cmp_eq_u32_e32 vcc, 0, v2
	s_and_saveexec_b64 s[0:1], vcc
; %bb.161:
	v_lshrrev_b32_e32 v4, 4, v0
	v_and_b32_e32 v4, 12, v4
	ds_write_b32 v4, v1 offset:96
; %bb.162:
	s_or_b64 exec, exec, s[0:1]
	v_cmp_gt_u32_e32 vcc, 4, v0
	s_waitcnt lgkmcnt(0)
	s_barrier
	s_and_saveexec_b64 s[0:1], vcc
	s_cbranch_execz .LBB1901_164
; %bb.163:
	ds_read_b32 v1, v3 offset:96
	v_and_b32_e32 v4, 3, v2
	v_cmp_ne_u32_e32 vcc, 3, v4
	v_addc_co_u32_e32 v2, vcc, 0, v2, vcc
	v_lshlrev_b32_e32 v2, 2, v2
	s_waitcnt lgkmcnt(0)
	ds_bpermute_b32 v2, v2, v1
	s_add_i32 s2, s2, 63
	s_lshr_b32 s2, s2, 6
	v_add_u32_e32 v5, 1, v4
	v_cmp_gt_u32_e32 vcc, s2, v5
	s_waitcnt lgkmcnt(0)
	v_cndmask_b32_e32 v2, 0, v2, vcc
	v_add_u32_e32 v1, v2, v1
	v_or_b32_e32 v2, 8, v3
	ds_bpermute_b32 v2, v2, v1
	v_add_u32_e32 v3, 2, v4
	v_cmp_gt_u32_e32 vcc, s2, v3
	s_waitcnt lgkmcnt(0)
	v_cndmask_b32_e32 v2, 0, v2, vcc
	v_add_u32_e32 v1, v1, v2
.LBB1901_164:
	s_or_b64 exec, exec, s[0:1]
.LBB1901_165:
	v_cmp_eq_u32_e64 s[0:1], 0, v0
	s_branch .LBB1901_224
.LBB1901_166:
	s_cmp_gt_i32 s33, 1
	s_cbranch_scc0 .LBB1901_175
; %bb.167:
	s_cmp_gt_i32 s33, 3
	s_cbranch_scc0 .LBB1901_176
; %bb.168:
	s_cmp_eq_u32 s33, 4
	s_cbranch_scc0 .LBB1901_177
; %bb.169:
	s_mov_b32 s7, 0
	s_lshl_b32 s0, s6, 10
	s_mov_b32 s1, s7
	s_lshr_b64 s[2:3], s[36:37], 10
	s_lshl_b64 s[10:11], s[0:1], 2
	s_add_u32 s8, s40, s10
	s_addc_u32 s9, s41, s11
	s_add_u32 s10, s42, s10
	s_addc_u32 s11, s43, s11
	s_cmp_lg_u64 s[2:3], s[6:7]
	s_cbranch_scc0 .LBB1901_179
; %bb.170:
	v_lshlrev_b32_e32 v1, 2, v0
	global_load_dword v4, v1, s[8:9]
	global_load_dword v5, v1, s[10:11]
	global_load_dword v6, v1, s[8:9] offset:2048
	global_load_dword v7, v1, s[10:11] offset:2048
	;; [unrolled: 1-line block ×6, first 2 shown]
	v_mbcnt_lo_u32_b32 v1, -1, 0
	v_mbcnt_hi_u32_b32 v2, -1, v1
	v_lshlrev_b32_e32 v3, 2, v2
	s_waitcnt vmcnt(6)
	v_cmp_neq_f32_e32 vcc, v4, v5
	v_cndmask_b32_e64 v1, 0, 1, vcc
	s_waitcnt vmcnt(4)
	v_cmp_neq_f32_e32 vcc, v6, v7
	v_cndmask_b32_e64 v4, 0, 1, vcc
	s_waitcnt vmcnt(2)
	v_cmp_neq_f32_e32 vcc, v8, v9
	v_addc_co_u32_e32 v1, vcc, 0, v1, vcc
	s_waitcnt vmcnt(0)
	v_cmp_neq_f32_e32 vcc, v11, v10
	v_addc_co_u32_e32 v1, vcc, v1, v4, vcc
	v_or_b32_e32 v4, 0xfc, v3
	s_nop 0
	v_add_u32_dpp v1, v1, v1 quad_perm:[1,0,3,2] row_mask:0xf bank_mask:0xf bound_ctrl:1
	v_cmp_eq_u32_e32 vcc, 0, v2
	s_nop 0
	v_add_u32_dpp v1, v1, v1 quad_perm:[2,3,0,1] row_mask:0xf bank_mask:0xf bound_ctrl:1
	s_nop 1
	v_add_u32_dpp v1, v1, v1 row_ror:4 row_mask:0xf bank_mask:0xf bound_ctrl:1
	s_nop 1
	v_add_u32_dpp v1, v1, v1 row_ror:8 row_mask:0xf bank_mask:0xf bound_ctrl:1
	s_nop 1
	v_add_u32_dpp v1, v1, v1 row_bcast:15 row_mask:0xf bank_mask:0xf bound_ctrl:1
	s_nop 1
	v_add_u32_dpp v1, v1, v1 row_bcast:31 row_mask:0xf bank_mask:0xf bound_ctrl:1
	ds_bpermute_b32 v1, v4, v1
	s_and_saveexec_b64 s[2:3], vcc
	s_cbranch_execz .LBB1901_172
; %bb.171:
	v_lshrrev_b32_e32 v4, 4, v0
	v_and_b32_e32 v4, 12, v4
	s_waitcnt lgkmcnt(0)
	ds_write_b32 v4, v1 offset:64
.LBB1901_172:
	s_or_b64 exec, exec, s[2:3]
	v_cmp_gt_u32_e32 vcc, 64, v0
	s_waitcnt lgkmcnt(0)
	s_barrier
	s_and_saveexec_b64 s[2:3], vcc
	s_cbranch_execz .LBB1901_174
; %bb.173:
	v_and_b32_e32 v1, 3, v2
	v_lshlrev_b32_e32 v4, 2, v1
	ds_read_b32 v4, v4 offset:64
	v_cmp_ne_u32_e32 vcc, 3, v1
	v_addc_co_u32_e32 v1, vcc, 0, v2, vcc
	v_lshlrev_b32_e32 v1, 2, v1
	s_waitcnt lgkmcnt(0)
	ds_bpermute_b32 v1, v1, v4
	v_or_b32_e32 v2, 8, v3
	s_waitcnt lgkmcnt(0)
	v_add_u32_e32 v1, v1, v4
	ds_bpermute_b32 v2, v2, v1
	s_waitcnt lgkmcnt(0)
	v_add_u32_e32 v1, v2, v1
.LBB1901_174:
	s_or_b64 exec, exec, s[2:3]
	s_mov_b64 s[2:3], 0
	s_branch .LBB1901_180
.LBB1901_175:
                                        ; implicit-def: $vgpr1
	s_cbranch_execnz .LBB1901_215
	s_branch .LBB1901_224
.LBB1901_176:
                                        ; implicit-def: $vgpr1
	s_cbranch_execz .LBB1901_178
	s_branch .LBB1901_195
.LBB1901_177:
                                        ; implicit-def: $vgpr1
.LBB1901_178:
	s_branch .LBB1901_224
.LBB1901_179:
	s_mov_b64 s[2:3], -1
                                        ; implicit-def: $vgpr1
.LBB1901_180:
	s_and_b64 vcc, exec, s[2:3]
	s_cbranch_vccz .LBB1901_194
; %bb.181:
	s_sub_i32 s14, s36, s0
	v_mov_b32_e32 v1, 0
	v_cmp_gt_u32_e32 vcc, s14, v0
	v_mov_b32_e32 v2, v1
	v_mov_b32_e32 v3, v1
	;; [unrolled: 1-line block ×3, first 2 shown]
	s_and_saveexec_b64 s[0:1], vcc
	s_cbranch_execz .LBB1901_183
; %bb.182:
	v_lshlrev_b32_e32 v2, 2, v0
	global_load_dword v5, v2, s[8:9]
	global_load_dword v6, v2, s[10:11]
	v_mov_b32_e32 v3, v1
	v_mov_b32_e32 v4, v1
	s_waitcnt vmcnt(0)
	v_cmp_neq_f32_e32 vcc, v5, v6
	v_cndmask_b32_e64 v2, 0, 1, vcc
	v_and_b32_e32 v2, 0xffff, v2
	v_mov_b32_e32 v5, v1
	v_mov_b32_e32 v1, v2
	;; [unrolled: 1-line block ×5, first 2 shown]
.LBB1901_183:
	s_or_b64 exec, exec, s[0:1]
	v_or_b32_e32 v5, 0x100, v0
	v_cmp_gt_u32_e32 vcc, s14, v5
	s_and_saveexec_b64 s[2:3], vcc
	s_cbranch_execz .LBB1901_185
; %bb.184:
	v_lshlrev_b32_e32 v2, 2, v0
	global_load_dword v5, v2, s[8:9] offset:1024
	global_load_dword v6, v2, s[10:11] offset:1024
	s_waitcnt vmcnt(0)
	v_cmp_neq_f32_e64 s[0:1], v5, v6
	v_cndmask_b32_e64 v2, 0, 1, s[0:1]
.LBB1901_185:
	s_or_b64 exec, exec, s[2:3]
	v_or_b32_e32 v5, 0x200, v0
	v_cmp_gt_u32_e64 s[0:1], s14, v5
	s_and_saveexec_b64 s[12:13], s[0:1]
	s_cbranch_execz .LBB1901_187
; %bb.186:
	v_lshlrev_b32_e32 v3, 2, v0
	global_load_dword v5, v3, s[8:9] offset:2048
	global_load_dword v6, v3, s[10:11] offset:2048
	s_waitcnt vmcnt(0)
	v_cmp_neq_f32_e64 s[2:3], v5, v6
	v_cndmask_b32_e64 v3, 0, 1, s[2:3]
.LBB1901_187:
	s_or_b64 exec, exec, s[12:13]
	v_or_b32_e32 v5, 0x300, v0
	v_cmp_gt_u32_e64 s[2:3], s14, v5
	s_and_saveexec_b64 s[12:13], s[2:3]
	s_cbranch_execz .LBB1901_189
; %bb.188:
	v_lshlrev_b32_e32 v4, 2, v0
	global_load_dword v5, v4, s[8:9] offset:3072
	global_load_dword v6, v4, s[10:11] offset:3072
	s_waitcnt vmcnt(0)
	v_cmp_neq_f32_e64 s[8:9], v5, v6
	v_cndmask_b32_e64 v4, 0, 1, s[8:9]
.LBB1901_189:
	s_or_b64 exec, exec, s[12:13]
	v_cndmask_b32_e32 v2, 0, v2, vcc
	v_add_u32_e32 v1, v2, v1
	v_cndmask_b32_e64 v2, 0, v3, s[0:1]
	v_cndmask_b32_e64 v3, 0, v4, s[2:3]
	v_add3_u32 v1, v1, v2, v3
	v_mbcnt_lo_u32_b32 v2, -1, 0
	v_mbcnt_hi_u32_b32 v2, -1, v2
	v_and_b32_e32 v4, 63, v2
	v_cmp_ne_u32_e32 vcc, 63, v4
	v_addc_co_u32_e32 v3, vcc, 0, v2, vcc
	v_lshlrev_b32_e32 v3, 2, v3
	ds_bpermute_b32 v3, v3, v1
	s_min_u32 s2, s14, 0x100
	v_and_b32_e32 v5, 0xc0, v0
	v_sub_u32_e64 v5, s2, v5 clamp
	v_add_u32_e32 v6, 1, v4
	v_cmp_lt_u32_e32 vcc, v6, v5
	s_waitcnt lgkmcnt(0)
	v_cndmask_b32_e32 v3, 0, v3, vcc
	v_cmp_gt_u32_e32 vcc, 62, v4
	v_add_u32_e32 v1, v3, v1
	v_cndmask_b32_e64 v3, 0, 2, vcc
	v_add_lshl_u32 v3, v3, v2, 2
	ds_bpermute_b32 v3, v3, v1
	v_add_u32_e32 v6, 2, v4
	v_cmp_lt_u32_e32 vcc, v6, v5
	v_add_u32_e32 v6, 4, v4
	s_waitcnt lgkmcnt(0)
	v_cndmask_b32_e32 v3, 0, v3, vcc
	v_cmp_gt_u32_e32 vcc, 60, v4
	v_add_u32_e32 v1, v1, v3
	v_cndmask_b32_e64 v3, 0, 4, vcc
	v_add_lshl_u32 v3, v3, v2, 2
	ds_bpermute_b32 v3, v3, v1
	v_cmp_lt_u32_e32 vcc, v6, v5
	v_add_u32_e32 v6, 8, v4
	s_waitcnt lgkmcnt(0)
	v_cndmask_b32_e32 v3, 0, v3, vcc
	v_cmp_gt_u32_e32 vcc, 56, v4
	v_add_u32_e32 v1, v1, v3
	v_cndmask_b32_e64 v3, 0, 8, vcc
	v_add_lshl_u32 v3, v3, v2, 2
	ds_bpermute_b32 v3, v3, v1
	;; [unrolled: 9-line block ×3, first 2 shown]
	v_cmp_lt_u32_e32 vcc, v6, v5
	v_add_u32_e32 v4, 32, v4
	s_waitcnt lgkmcnt(0)
	v_cndmask_b32_e32 v3, 0, v3, vcc
	v_add_u32_e32 v1, v1, v3
	v_lshlrev_b32_e32 v3, 2, v2
	v_or_b32_e32 v6, 0x80, v3
	ds_bpermute_b32 v6, v6, v1
	v_cmp_lt_u32_e32 vcc, v4, v5
	s_waitcnt lgkmcnt(0)
	v_cndmask_b32_e32 v4, 0, v6, vcc
	v_add_u32_e32 v1, v1, v4
	v_cmp_eq_u32_e32 vcc, 0, v2
	s_and_saveexec_b64 s[0:1], vcc
; %bb.190:
	v_lshrrev_b32_e32 v4, 4, v0
	v_and_b32_e32 v4, 12, v4
	ds_write_b32 v4, v1 offset:96
; %bb.191:
	s_or_b64 exec, exec, s[0:1]
	v_cmp_gt_u32_e32 vcc, 4, v0
	s_waitcnt lgkmcnt(0)
	s_barrier
	s_and_saveexec_b64 s[0:1], vcc
	s_cbranch_execz .LBB1901_193
; %bb.192:
	ds_read_b32 v1, v3 offset:96
	v_and_b32_e32 v4, 3, v2
	v_cmp_ne_u32_e32 vcc, 3, v4
	v_addc_co_u32_e32 v2, vcc, 0, v2, vcc
	v_lshlrev_b32_e32 v2, 2, v2
	s_waitcnt lgkmcnt(0)
	ds_bpermute_b32 v2, v2, v1
	s_add_i32 s2, s2, 63
	s_lshr_b32 s2, s2, 6
	v_add_u32_e32 v5, 1, v4
	v_cmp_gt_u32_e32 vcc, s2, v5
	s_waitcnt lgkmcnt(0)
	v_cndmask_b32_e32 v2, 0, v2, vcc
	v_add_u32_e32 v1, v2, v1
	v_or_b32_e32 v2, 8, v3
	ds_bpermute_b32 v2, v2, v1
	v_add_u32_e32 v3, 2, v4
	v_cmp_gt_u32_e32 vcc, s2, v3
	s_waitcnt lgkmcnt(0)
	v_cndmask_b32_e32 v2, 0, v2, vcc
	v_add_u32_e32 v1, v1, v2
.LBB1901_193:
	s_or_b64 exec, exec, s[0:1]
.LBB1901_194:
	v_cmp_eq_u32_e64 s[0:1], 0, v0
	s_branch .LBB1901_178
.LBB1901_195:
	s_cmp_eq_u32 s33, 2
	s_cbranch_scc0 .LBB1901_202
; %bb.196:
	s_mov_b32 s7, 0
	s_lshl_b32 s10, s6, 9
	s_mov_b32 s11, s7
	s_lshr_b64 s[0:1], s[36:37], 9
	s_lshl_b64 s[8:9], s[10:11], 2
	s_add_u32 s2, s40, s8
	s_addc_u32 s3, s41, s9
	s_add_u32 s8, s42, s8
	s_addc_u32 s9, s43, s9
	s_cmp_lg_u64 s[0:1], s[6:7]
	s_cbranch_scc0 .LBB1901_203
; %bb.197:
	v_lshlrev_b32_e32 v1, 2, v0
	global_load_dword v4, v1, s[2:3]
	global_load_dword v5, v1, s[8:9]
	global_load_dword v6, v1, s[8:9] offset:1024
	global_load_dword v7, v1, s[2:3] offset:1024
	v_mbcnt_lo_u32_b32 v1, -1, 0
	v_mbcnt_hi_u32_b32 v2, -1, v1
	v_lshlrev_b32_e32 v3, 2, v2
	s_waitcnt vmcnt(2)
	v_cmp_neq_f32_e32 vcc, v4, v5
	v_cndmask_b32_e64 v1, 0, 1, vcc
	s_waitcnt vmcnt(0)
	v_cmp_neq_f32_e32 vcc, v7, v6
	v_addc_co_u32_e64 v4, s[0:1], 0, v1, vcc
	s_nop 1
	v_mov_b32_dpp v4, v4 quad_perm:[1,0,3,2] row_mask:0xf bank_mask:0xf bound_ctrl:1
	v_addc_co_u32_e32 v1, vcc, v4, v1, vcc
	v_or_b32_e32 v4, 0xfc, v3
	s_nop 0
	v_add_u32_dpp v1, v1, v1 quad_perm:[2,3,0,1] row_mask:0xf bank_mask:0xf bound_ctrl:1
	v_cmp_eq_u32_e32 vcc, 0, v2
	s_nop 0
	v_add_u32_dpp v1, v1, v1 row_ror:4 row_mask:0xf bank_mask:0xf bound_ctrl:1
	s_nop 1
	v_add_u32_dpp v1, v1, v1 row_ror:8 row_mask:0xf bank_mask:0xf bound_ctrl:1
	s_nop 1
	v_add_u32_dpp v1, v1, v1 row_bcast:15 row_mask:0xf bank_mask:0xf bound_ctrl:1
	s_nop 1
	v_add_u32_dpp v1, v1, v1 row_bcast:31 row_mask:0xf bank_mask:0xf bound_ctrl:1
	ds_bpermute_b32 v1, v4, v1
	s_and_saveexec_b64 s[0:1], vcc
	s_cbranch_execz .LBB1901_199
; %bb.198:
	v_lshrrev_b32_e32 v4, 4, v0
	v_and_b32_e32 v4, 12, v4
	s_waitcnt lgkmcnt(0)
	ds_write_b32 v4, v1 offset:32
.LBB1901_199:
	s_or_b64 exec, exec, s[0:1]
	v_cmp_gt_u32_e32 vcc, 64, v0
	s_waitcnt lgkmcnt(0)
	s_barrier
	s_and_saveexec_b64 s[0:1], vcc
	s_cbranch_execz .LBB1901_201
; %bb.200:
	v_and_b32_e32 v1, 3, v2
	v_lshlrev_b32_e32 v4, 2, v1
	ds_read_b32 v4, v4 offset:32
	v_cmp_ne_u32_e32 vcc, 3, v1
	v_addc_co_u32_e32 v1, vcc, 0, v2, vcc
	v_lshlrev_b32_e32 v1, 2, v1
	s_waitcnt lgkmcnt(0)
	ds_bpermute_b32 v1, v1, v4
	v_or_b32_e32 v2, 8, v3
	s_waitcnt lgkmcnt(0)
	v_add_u32_e32 v1, v1, v4
	ds_bpermute_b32 v2, v2, v1
	s_waitcnt lgkmcnt(0)
	v_add_u32_e32 v1, v2, v1
.LBB1901_201:
	s_or_b64 exec, exec, s[0:1]
	s_mov_b64 s[0:1], 0
	s_branch .LBB1901_204
.LBB1901_202:
                                        ; implicit-def: $vgpr1
	s_branch .LBB1901_224
.LBB1901_203:
	s_mov_b64 s[0:1], -1
                                        ; implicit-def: $vgpr1
.LBB1901_204:
	s_and_b64 vcc, exec, s[0:1]
	s_cbranch_vccz .LBB1901_214
; %bb.205:
	s_sub_i32 s12, s36, s10
	v_mov_b32_e32 v1, 0
	v_cmp_gt_u32_e32 vcc, s12, v0
	v_mov_b32_e32 v2, v1
	s_and_saveexec_b64 s[0:1], vcc
	s_cbranch_execz .LBB1901_207
; %bb.206:
	v_lshlrev_b32_e32 v2, 2, v0
	global_load_dword v3, v2, s[2:3]
	global_load_dword v4, v2, s[8:9]
	s_waitcnt vmcnt(0)
	v_cmp_neq_f32_e32 vcc, v3, v4
	v_cndmask_b32_e64 v2, 0, 1, vcc
	v_and_b32_e32 v2, 0xffff, v2
	v_mov_b32_e32 v3, v1
	v_mov_b32_e32 v1, v2
	;; [unrolled: 1-line block ×3, first 2 shown]
.LBB1901_207:
	s_or_b64 exec, exec, s[0:1]
	v_or_b32_e32 v3, 0x100, v0
	v_cmp_gt_u32_e32 vcc, s12, v3
	s_and_saveexec_b64 s[10:11], vcc
	s_cbranch_execz .LBB1901_209
; %bb.208:
	v_lshlrev_b32_e32 v2, 2, v0
	global_load_dword v3, v2, s[2:3] offset:1024
	global_load_dword v4, v2, s[8:9] offset:1024
	s_waitcnt vmcnt(0)
	v_cmp_neq_f32_e64 s[0:1], v3, v4
	v_cndmask_b32_e64 v2, 0, 1, s[0:1]
.LBB1901_209:
	s_or_b64 exec, exec, s[10:11]
	v_cndmask_b32_e32 v2, 0, v2, vcc
	v_add_u32_e32 v1, v2, v1
	v_mbcnt_lo_u32_b32 v2, -1, 0
	v_mbcnt_hi_u32_b32 v2, -1, v2
	v_and_b32_e32 v4, 63, v2
	v_cmp_ne_u32_e32 vcc, 63, v4
	v_addc_co_u32_e32 v3, vcc, 0, v2, vcc
	v_lshlrev_b32_e32 v3, 2, v3
	ds_bpermute_b32 v3, v3, v1
	s_min_u32 s2, s12, 0x100
	v_and_b32_e32 v5, 0xc0, v0
	v_sub_u32_e64 v5, s2, v5 clamp
	v_add_u32_e32 v6, 1, v4
	v_cmp_lt_u32_e32 vcc, v6, v5
	s_waitcnt lgkmcnt(0)
	v_cndmask_b32_e32 v3, 0, v3, vcc
	v_cmp_gt_u32_e32 vcc, 62, v4
	v_add_u32_e32 v1, v3, v1
	v_cndmask_b32_e64 v3, 0, 2, vcc
	v_add_lshl_u32 v3, v3, v2, 2
	ds_bpermute_b32 v3, v3, v1
	v_add_u32_e32 v6, 2, v4
	v_cmp_lt_u32_e32 vcc, v6, v5
	v_add_u32_e32 v6, 4, v4
	s_waitcnt lgkmcnt(0)
	v_cndmask_b32_e32 v3, 0, v3, vcc
	v_cmp_gt_u32_e32 vcc, 60, v4
	v_add_u32_e32 v1, v1, v3
	v_cndmask_b32_e64 v3, 0, 4, vcc
	v_add_lshl_u32 v3, v3, v2, 2
	ds_bpermute_b32 v3, v3, v1
	v_cmp_lt_u32_e32 vcc, v6, v5
	v_add_u32_e32 v6, 8, v4
	s_waitcnt lgkmcnt(0)
	v_cndmask_b32_e32 v3, 0, v3, vcc
	v_cmp_gt_u32_e32 vcc, 56, v4
	v_add_u32_e32 v1, v1, v3
	v_cndmask_b32_e64 v3, 0, 8, vcc
	v_add_lshl_u32 v3, v3, v2, 2
	ds_bpermute_b32 v3, v3, v1
	;; [unrolled: 9-line block ×3, first 2 shown]
	v_cmp_lt_u32_e32 vcc, v6, v5
	v_add_u32_e32 v4, 32, v4
	s_waitcnt lgkmcnt(0)
	v_cndmask_b32_e32 v3, 0, v3, vcc
	v_add_u32_e32 v1, v1, v3
	v_lshlrev_b32_e32 v3, 2, v2
	v_or_b32_e32 v6, 0x80, v3
	ds_bpermute_b32 v6, v6, v1
	v_cmp_lt_u32_e32 vcc, v4, v5
	s_waitcnt lgkmcnt(0)
	v_cndmask_b32_e32 v4, 0, v6, vcc
	v_add_u32_e32 v1, v1, v4
	v_cmp_eq_u32_e32 vcc, 0, v2
	s_and_saveexec_b64 s[0:1], vcc
; %bb.210:
	v_lshrrev_b32_e32 v4, 4, v0
	v_and_b32_e32 v4, 12, v4
	ds_write_b32 v4, v1 offset:96
; %bb.211:
	s_or_b64 exec, exec, s[0:1]
	v_cmp_gt_u32_e32 vcc, 4, v0
	s_waitcnt lgkmcnt(0)
	s_barrier
	s_and_saveexec_b64 s[0:1], vcc
	s_cbranch_execz .LBB1901_213
; %bb.212:
	ds_read_b32 v1, v3 offset:96
	v_and_b32_e32 v4, 3, v2
	v_cmp_ne_u32_e32 vcc, 3, v4
	v_addc_co_u32_e32 v2, vcc, 0, v2, vcc
	v_lshlrev_b32_e32 v2, 2, v2
	s_waitcnt lgkmcnt(0)
	ds_bpermute_b32 v2, v2, v1
	s_add_i32 s2, s2, 63
	s_lshr_b32 s2, s2, 6
	v_add_u32_e32 v5, 1, v4
	v_cmp_gt_u32_e32 vcc, s2, v5
	s_waitcnt lgkmcnt(0)
	v_cndmask_b32_e32 v2, 0, v2, vcc
	v_add_u32_e32 v1, v2, v1
	v_or_b32_e32 v2, 8, v3
	ds_bpermute_b32 v2, v2, v1
	v_add_u32_e32 v3, 2, v4
	v_cmp_gt_u32_e32 vcc, s2, v3
	s_waitcnt lgkmcnt(0)
	v_cndmask_b32_e32 v2, 0, v2, vcc
	v_add_u32_e32 v1, v1, v2
.LBB1901_213:
	s_or_b64 exec, exec, s[0:1]
.LBB1901_214:
	v_cmp_eq_u32_e64 s[0:1], 0, v0
	s_branch .LBB1901_224
.LBB1901_215:
	s_cmp_eq_u32 s33, 1
	s_cbranch_scc0 .LBB1901_223
; %bb.216:
	s_mov_b32 s3, 0
	s_lshl_b32 s2, s6, 8
	s_mov_b32 s7, s3
	s_lshr_b64 s[0:1], s[36:37], 8
	s_cmp_lg_u64 s[0:1], s[6:7]
	v_mbcnt_lo_u32_b32 v2, -1, 0
	s_cbranch_scc0 .LBB1901_227
; %bb.217:
	s_lshl_b64 s[0:1], s[2:3], 2
	s_add_u32 s8, s40, s0
	s_addc_u32 s9, s41, s1
	s_add_u32 s0, s42, s0
	v_lshlrev_b32_e32 v1, 2, v0
	s_addc_u32 s1, s43, s1
	global_load_dword v5, v1, s[8:9]
	global_load_dword v6, v1, s[0:1]
	v_mbcnt_hi_u32_b32 v3, -1, v2
	v_lshlrev_b32_e32 v4, 2, v3
	s_waitcnt vmcnt(0)
	v_cmp_neq_f32_e32 vcc, v5, v6
	v_cndmask_b32_e64 v1, 0, 1, vcc
	s_nop 1
	v_mov_b32_dpp v1, v1 quad_perm:[1,0,3,2] row_mask:0xf bank_mask:0xf bound_ctrl:1
	v_addc_co_u32_e64 v5, s[0:1], 0, v1, vcc
	s_nop 1
	v_mov_b32_dpp v5, v5 quad_perm:[2,3,0,1] row_mask:0xf bank_mask:0xf bound_ctrl:1
	v_addc_co_u32_e32 v1, vcc, v5, v1, vcc
	v_or_b32_e32 v5, 0xfc, v4
	s_nop 0
	v_add_u32_dpp v1, v1, v1 row_ror:4 row_mask:0xf bank_mask:0xf bound_ctrl:1
	v_cmp_eq_u32_e32 vcc, 0, v3
	s_nop 0
	v_add_u32_dpp v1, v1, v1 row_ror:8 row_mask:0xf bank_mask:0xf bound_ctrl:1
	s_nop 1
	v_add_u32_dpp v1, v1, v1 row_bcast:15 row_mask:0xf bank_mask:0xf bound_ctrl:1
	s_nop 1
	v_add_u32_dpp v1, v1, v1 row_bcast:31 row_mask:0xf bank_mask:0xf bound_ctrl:1
	ds_bpermute_b32 v1, v5, v1
	s_and_saveexec_b64 s[0:1], vcc
	s_cbranch_execz .LBB1901_219
; %bb.218:
	v_lshrrev_b32_e32 v5, 4, v0
	v_and_b32_e32 v5, 12, v5
	s_waitcnt lgkmcnt(0)
	ds_write_b32 v5, v1 offset:16
.LBB1901_219:
	s_or_b64 exec, exec, s[0:1]
	v_cmp_gt_u32_e32 vcc, 64, v0
	s_waitcnt lgkmcnt(0)
	s_barrier
	s_and_saveexec_b64 s[0:1], vcc
	s_cbranch_execz .LBB1901_221
; %bb.220:
	v_and_b32_e32 v1, 3, v3
	v_lshlrev_b32_e32 v5, 2, v1
	ds_read_b32 v5, v5 offset:16
	v_cmp_ne_u32_e32 vcc, 3, v1
	v_addc_co_u32_e32 v1, vcc, 0, v3, vcc
	v_lshlrev_b32_e32 v1, 2, v1
	s_waitcnt lgkmcnt(0)
	ds_bpermute_b32 v1, v1, v5
	v_or_b32_e32 v3, 8, v4
	s_waitcnt lgkmcnt(0)
	v_add_u32_e32 v1, v1, v5
	ds_bpermute_b32 v3, v3, v1
	s_waitcnt lgkmcnt(0)
	v_add_u32_e32 v1, v3, v1
.LBB1901_221:
	s_or_b64 exec, exec, s[0:1]
.LBB1901_222:
	v_cmp_eq_u32_e64 s[0:1], 0, v0
	s_and_saveexec_b64 s[2:3], s[0:1]
	s_cbranch_execnz .LBB1901_225
	s_branch .LBB1901_226
.LBB1901_223:
                                        ; implicit-def: $vgpr1
                                        ; implicit-def: $sgpr6_sgpr7
.LBB1901_224:
	s_and_saveexec_b64 s[2:3], s[0:1]
	s_cbranch_execz .LBB1901_226
.LBB1901_225:
	s_lshl_b64 s[0:1], s[6:7], 2
	s_load_dword s2, s[4:5], 0x30
	s_add_u32 s0, s38, s0
	s_addc_u32 s1, s39, s1
	s_cmp_lg_u64 s[36:37], 0
	s_cselect_b64 vcc, -1, 0
	v_cndmask_b32_e32 v1, 0, v1, vcc
	v_mov_b32_e32 v0, 0
	s_waitcnt lgkmcnt(0)
	v_add_u32_e32 v1, s2, v1
	global_store_dword v0, v1, s[0:1]
.LBB1901_226:
	s_endpgm
.LBB1901_227:
                                        ; implicit-def: $vgpr1
	s_cbranch_execz .LBB1901_222
; %bb.228:
	s_sub_i32 s8, s36, s2
	v_cmp_gt_u32_e32 vcc, s8, v0
                                        ; implicit-def: $vgpr1
	s_and_saveexec_b64 s[0:1], vcc
	s_cbranch_execz .LBB1901_230
; %bb.229:
	s_lshl_b64 s[2:3], s[2:3], 2
	s_add_u32 s10, s42, s2
	s_addc_u32 s11, s43, s3
	s_add_u32 s2, s40, s2
	v_lshlrev_b32_e32 v1, 2, v0
	s_addc_u32 s3, s41, s3
	global_load_dword v3, v1, s[2:3]
	global_load_dword v4, v1, s[10:11]
	s_waitcnt vmcnt(0)
	v_cmp_neq_f32_e32 vcc, v3, v4
	v_cndmask_b32_e64 v1, 0, 1, vcc
.LBB1901_230:
	s_or_b64 exec, exec, s[0:1]
	v_mbcnt_hi_u32_b32 v2, -1, v2
	v_and_b32_e32 v4, 63, v2
	v_cmp_ne_u32_e32 vcc, 63, v4
	v_addc_co_u32_e32 v3, vcc, 0, v2, vcc
	v_lshlrev_b32_e32 v3, 2, v3
	ds_bpermute_b32 v3, v3, v1
	s_min_u32 s2, s8, 0x100
	v_and_b32_e32 v5, 0xc0, v0
	v_sub_u32_e64 v5, s2, v5 clamp
	v_add_u32_e32 v6, 1, v4
	v_cmp_lt_u32_e32 vcc, v6, v5
	s_waitcnt lgkmcnt(0)
	v_cndmask_b32_e32 v3, 0, v3, vcc
	v_cmp_gt_u32_e32 vcc, 62, v4
	v_add_u32_e32 v1, v3, v1
	v_cndmask_b32_e64 v3, 0, 2, vcc
	v_add_lshl_u32 v3, v3, v2, 2
	ds_bpermute_b32 v3, v3, v1
	v_add_u32_e32 v6, 2, v4
	v_cmp_lt_u32_e32 vcc, v6, v5
	v_add_u32_e32 v6, 4, v4
	s_waitcnt lgkmcnt(0)
	v_cndmask_b32_e32 v3, 0, v3, vcc
	v_cmp_gt_u32_e32 vcc, 60, v4
	v_add_u32_e32 v1, v1, v3
	v_cndmask_b32_e64 v3, 0, 4, vcc
	v_add_lshl_u32 v3, v3, v2, 2
	ds_bpermute_b32 v3, v3, v1
	v_cmp_lt_u32_e32 vcc, v6, v5
	v_add_u32_e32 v6, 8, v4
	s_waitcnt lgkmcnt(0)
	v_cndmask_b32_e32 v3, 0, v3, vcc
	v_cmp_gt_u32_e32 vcc, 56, v4
	v_add_u32_e32 v1, v1, v3
	v_cndmask_b32_e64 v3, 0, 8, vcc
	v_add_lshl_u32 v3, v3, v2, 2
	ds_bpermute_b32 v3, v3, v1
	;; [unrolled: 9-line block ×3, first 2 shown]
	v_cmp_lt_u32_e32 vcc, v6, v5
	v_add_u32_e32 v4, 32, v4
	s_waitcnt lgkmcnt(0)
	v_cndmask_b32_e32 v3, 0, v3, vcc
	v_add_u32_e32 v1, v1, v3
	v_lshlrev_b32_e32 v3, 2, v2
	v_or_b32_e32 v6, 0x80, v3
	ds_bpermute_b32 v6, v6, v1
	v_cmp_lt_u32_e32 vcc, v4, v5
	s_waitcnt lgkmcnt(0)
	v_cndmask_b32_e32 v4, 0, v6, vcc
	v_add_u32_e32 v1, v1, v4
	v_cmp_eq_u32_e32 vcc, 0, v2
	s_and_saveexec_b64 s[0:1], vcc
; %bb.231:
	v_lshrrev_b32_e32 v4, 4, v0
	v_and_b32_e32 v4, 12, v4
	ds_write_b32 v4, v1 offset:96
; %bb.232:
	s_or_b64 exec, exec, s[0:1]
	v_cmp_gt_u32_e32 vcc, 4, v0
	s_waitcnt lgkmcnt(0)
	s_barrier
	s_and_saveexec_b64 s[0:1], vcc
	s_cbranch_execz .LBB1901_234
; %bb.233:
	ds_read_b32 v1, v3 offset:96
	v_and_b32_e32 v4, 3, v2
	v_cmp_ne_u32_e32 vcc, 3, v4
	v_addc_co_u32_e32 v2, vcc, 0, v2, vcc
	v_lshlrev_b32_e32 v2, 2, v2
	s_waitcnt lgkmcnt(0)
	ds_bpermute_b32 v2, v2, v1
	s_add_i32 s2, s2, 63
	s_lshr_b32 s2, s2, 6
	v_add_u32_e32 v5, 1, v4
	v_cmp_gt_u32_e32 vcc, s2, v5
	s_waitcnt lgkmcnt(0)
	v_cndmask_b32_e32 v2, 0, v2, vcc
	v_add_u32_e32 v1, v2, v1
	v_or_b32_e32 v2, 8, v3
	ds_bpermute_b32 v2, v2, v1
	v_add_u32_e32 v3, 2, v4
	v_cmp_gt_u32_e32 vcc, s2, v3
	s_waitcnt lgkmcnt(0)
	v_cndmask_b32_e32 v2, 0, v2, vcc
	v_add_u32_e32 v1, v1, v2
.LBB1901_234:
	s_or_b64 exec, exec, s[0:1]
	v_cmp_eq_u32_e64 s[0:1], 0, v0
	s_and_saveexec_b64 s[2:3], s[0:1]
	s_cbranch_execnz .LBB1901_225
	s_branch .LBB1901_226
	.section	.rodata,"a",@progbits
	.p2align	6, 0x0
	.amdhsa_kernel _ZN7rocprim17ROCPRIM_400000_NS6detail17trampoline_kernelINS0_14default_configENS1_22reduce_config_selectorIiEEZNS1_11reduce_implILb1ES3_N6thrust23THRUST_200600_302600_NS11hip_rocprim35transform_pair_of_input_iterators_tIiPfSB_NS8_12not_equal_toIfEEEEPiiNS8_4plusIiEEEE10hipError_tPvRmT1_T2_T3_mT4_P12ihipStream_tbEUlT_E1_NS1_11comp_targetILNS1_3genE2ELNS1_11target_archE906ELNS1_3gpuE6ELNS1_3repE0EEENS1_30default_config_static_selectorELNS0_4arch9wavefront6targetE1EEEvSL_
		.amdhsa_group_segment_fixed_size 112
		.amdhsa_private_segment_fixed_size 0
		.amdhsa_kernarg_size 56
		.amdhsa_user_sgpr_count 6
		.amdhsa_user_sgpr_private_segment_buffer 1
		.amdhsa_user_sgpr_dispatch_ptr 0
		.amdhsa_user_sgpr_queue_ptr 0
		.amdhsa_user_sgpr_kernarg_segment_ptr 1
		.amdhsa_user_sgpr_dispatch_id 0
		.amdhsa_user_sgpr_flat_scratch_init 0
		.amdhsa_user_sgpr_private_segment_size 0
		.amdhsa_uses_dynamic_stack 0
		.amdhsa_system_sgpr_private_segment_wavefront_offset 0
		.amdhsa_system_sgpr_workgroup_id_x 1
		.amdhsa_system_sgpr_workgroup_id_y 0
		.amdhsa_system_sgpr_workgroup_id_z 0
		.amdhsa_system_sgpr_workgroup_info 0
		.amdhsa_system_vgpr_workitem_id 0
		.amdhsa_next_free_vgpr 40
		.amdhsa_next_free_sgpr 49
		.amdhsa_reserve_vcc 1
		.amdhsa_reserve_flat_scratch 0
		.amdhsa_float_round_mode_32 0
		.amdhsa_float_round_mode_16_64 0
		.amdhsa_float_denorm_mode_32 3
		.amdhsa_float_denorm_mode_16_64 3
		.amdhsa_dx10_clamp 1
		.amdhsa_ieee_mode 1
		.amdhsa_fp16_overflow 0
		.amdhsa_exception_fp_ieee_invalid_op 0
		.amdhsa_exception_fp_denorm_src 0
		.amdhsa_exception_fp_ieee_div_zero 0
		.amdhsa_exception_fp_ieee_overflow 0
		.amdhsa_exception_fp_ieee_underflow 0
		.amdhsa_exception_fp_ieee_inexact 0
		.amdhsa_exception_int_div_zero 0
	.end_amdhsa_kernel
	.section	.text._ZN7rocprim17ROCPRIM_400000_NS6detail17trampoline_kernelINS0_14default_configENS1_22reduce_config_selectorIiEEZNS1_11reduce_implILb1ES3_N6thrust23THRUST_200600_302600_NS11hip_rocprim35transform_pair_of_input_iterators_tIiPfSB_NS8_12not_equal_toIfEEEEPiiNS8_4plusIiEEEE10hipError_tPvRmT1_T2_T3_mT4_P12ihipStream_tbEUlT_E1_NS1_11comp_targetILNS1_3genE2ELNS1_11target_archE906ELNS1_3gpuE6ELNS1_3repE0EEENS1_30default_config_static_selectorELNS0_4arch9wavefront6targetE1EEEvSL_,"axG",@progbits,_ZN7rocprim17ROCPRIM_400000_NS6detail17trampoline_kernelINS0_14default_configENS1_22reduce_config_selectorIiEEZNS1_11reduce_implILb1ES3_N6thrust23THRUST_200600_302600_NS11hip_rocprim35transform_pair_of_input_iterators_tIiPfSB_NS8_12not_equal_toIfEEEEPiiNS8_4plusIiEEEE10hipError_tPvRmT1_T2_T3_mT4_P12ihipStream_tbEUlT_E1_NS1_11comp_targetILNS1_3genE2ELNS1_11target_archE906ELNS1_3gpuE6ELNS1_3repE0EEENS1_30default_config_static_selectorELNS0_4arch9wavefront6targetE1EEEvSL_,comdat
.Lfunc_end1901:
	.size	_ZN7rocprim17ROCPRIM_400000_NS6detail17trampoline_kernelINS0_14default_configENS1_22reduce_config_selectorIiEEZNS1_11reduce_implILb1ES3_N6thrust23THRUST_200600_302600_NS11hip_rocprim35transform_pair_of_input_iterators_tIiPfSB_NS8_12not_equal_toIfEEEEPiiNS8_4plusIiEEEE10hipError_tPvRmT1_T2_T3_mT4_P12ihipStream_tbEUlT_E1_NS1_11comp_targetILNS1_3genE2ELNS1_11target_archE906ELNS1_3gpuE6ELNS1_3repE0EEENS1_30default_config_static_selectorELNS0_4arch9wavefront6targetE1EEEvSL_, .Lfunc_end1901-_ZN7rocprim17ROCPRIM_400000_NS6detail17trampoline_kernelINS0_14default_configENS1_22reduce_config_selectorIiEEZNS1_11reduce_implILb1ES3_N6thrust23THRUST_200600_302600_NS11hip_rocprim35transform_pair_of_input_iterators_tIiPfSB_NS8_12not_equal_toIfEEEEPiiNS8_4plusIiEEEE10hipError_tPvRmT1_T2_T3_mT4_P12ihipStream_tbEUlT_E1_NS1_11comp_targetILNS1_3genE2ELNS1_11target_archE906ELNS1_3gpuE6ELNS1_3repE0EEENS1_30default_config_static_selectorELNS0_4arch9wavefront6targetE1EEEvSL_
                                        ; -- End function
	.set _ZN7rocprim17ROCPRIM_400000_NS6detail17trampoline_kernelINS0_14default_configENS1_22reduce_config_selectorIiEEZNS1_11reduce_implILb1ES3_N6thrust23THRUST_200600_302600_NS11hip_rocprim35transform_pair_of_input_iterators_tIiPfSB_NS8_12not_equal_toIfEEEEPiiNS8_4plusIiEEEE10hipError_tPvRmT1_T2_T3_mT4_P12ihipStream_tbEUlT_E1_NS1_11comp_targetILNS1_3genE2ELNS1_11target_archE906ELNS1_3gpuE6ELNS1_3repE0EEENS1_30default_config_static_selectorELNS0_4arch9wavefront6targetE1EEEvSL_.num_vgpr, 40
	.set _ZN7rocprim17ROCPRIM_400000_NS6detail17trampoline_kernelINS0_14default_configENS1_22reduce_config_selectorIiEEZNS1_11reduce_implILb1ES3_N6thrust23THRUST_200600_302600_NS11hip_rocprim35transform_pair_of_input_iterators_tIiPfSB_NS8_12not_equal_toIfEEEEPiiNS8_4plusIiEEEE10hipError_tPvRmT1_T2_T3_mT4_P12ihipStream_tbEUlT_E1_NS1_11comp_targetILNS1_3genE2ELNS1_11target_archE906ELNS1_3gpuE6ELNS1_3repE0EEENS1_30default_config_static_selectorELNS0_4arch9wavefront6targetE1EEEvSL_.num_agpr, 0
	.set _ZN7rocprim17ROCPRIM_400000_NS6detail17trampoline_kernelINS0_14default_configENS1_22reduce_config_selectorIiEEZNS1_11reduce_implILb1ES3_N6thrust23THRUST_200600_302600_NS11hip_rocprim35transform_pair_of_input_iterators_tIiPfSB_NS8_12not_equal_toIfEEEEPiiNS8_4plusIiEEEE10hipError_tPvRmT1_T2_T3_mT4_P12ihipStream_tbEUlT_E1_NS1_11comp_targetILNS1_3genE2ELNS1_11target_archE906ELNS1_3gpuE6ELNS1_3repE0EEENS1_30default_config_static_selectorELNS0_4arch9wavefront6targetE1EEEvSL_.numbered_sgpr, 49
	.set _ZN7rocprim17ROCPRIM_400000_NS6detail17trampoline_kernelINS0_14default_configENS1_22reduce_config_selectorIiEEZNS1_11reduce_implILb1ES3_N6thrust23THRUST_200600_302600_NS11hip_rocprim35transform_pair_of_input_iterators_tIiPfSB_NS8_12not_equal_toIfEEEEPiiNS8_4plusIiEEEE10hipError_tPvRmT1_T2_T3_mT4_P12ihipStream_tbEUlT_E1_NS1_11comp_targetILNS1_3genE2ELNS1_11target_archE906ELNS1_3gpuE6ELNS1_3repE0EEENS1_30default_config_static_selectorELNS0_4arch9wavefront6targetE1EEEvSL_.num_named_barrier, 0
	.set _ZN7rocprim17ROCPRIM_400000_NS6detail17trampoline_kernelINS0_14default_configENS1_22reduce_config_selectorIiEEZNS1_11reduce_implILb1ES3_N6thrust23THRUST_200600_302600_NS11hip_rocprim35transform_pair_of_input_iterators_tIiPfSB_NS8_12not_equal_toIfEEEEPiiNS8_4plusIiEEEE10hipError_tPvRmT1_T2_T3_mT4_P12ihipStream_tbEUlT_E1_NS1_11comp_targetILNS1_3genE2ELNS1_11target_archE906ELNS1_3gpuE6ELNS1_3repE0EEENS1_30default_config_static_selectorELNS0_4arch9wavefront6targetE1EEEvSL_.private_seg_size, 0
	.set _ZN7rocprim17ROCPRIM_400000_NS6detail17trampoline_kernelINS0_14default_configENS1_22reduce_config_selectorIiEEZNS1_11reduce_implILb1ES3_N6thrust23THRUST_200600_302600_NS11hip_rocprim35transform_pair_of_input_iterators_tIiPfSB_NS8_12not_equal_toIfEEEEPiiNS8_4plusIiEEEE10hipError_tPvRmT1_T2_T3_mT4_P12ihipStream_tbEUlT_E1_NS1_11comp_targetILNS1_3genE2ELNS1_11target_archE906ELNS1_3gpuE6ELNS1_3repE0EEENS1_30default_config_static_selectorELNS0_4arch9wavefront6targetE1EEEvSL_.uses_vcc, 1
	.set _ZN7rocprim17ROCPRIM_400000_NS6detail17trampoline_kernelINS0_14default_configENS1_22reduce_config_selectorIiEEZNS1_11reduce_implILb1ES3_N6thrust23THRUST_200600_302600_NS11hip_rocprim35transform_pair_of_input_iterators_tIiPfSB_NS8_12not_equal_toIfEEEEPiiNS8_4plusIiEEEE10hipError_tPvRmT1_T2_T3_mT4_P12ihipStream_tbEUlT_E1_NS1_11comp_targetILNS1_3genE2ELNS1_11target_archE906ELNS1_3gpuE6ELNS1_3repE0EEENS1_30default_config_static_selectorELNS0_4arch9wavefront6targetE1EEEvSL_.uses_flat_scratch, 0
	.set _ZN7rocprim17ROCPRIM_400000_NS6detail17trampoline_kernelINS0_14default_configENS1_22reduce_config_selectorIiEEZNS1_11reduce_implILb1ES3_N6thrust23THRUST_200600_302600_NS11hip_rocprim35transform_pair_of_input_iterators_tIiPfSB_NS8_12not_equal_toIfEEEEPiiNS8_4plusIiEEEE10hipError_tPvRmT1_T2_T3_mT4_P12ihipStream_tbEUlT_E1_NS1_11comp_targetILNS1_3genE2ELNS1_11target_archE906ELNS1_3gpuE6ELNS1_3repE0EEENS1_30default_config_static_selectorELNS0_4arch9wavefront6targetE1EEEvSL_.has_dyn_sized_stack, 0
	.set _ZN7rocprim17ROCPRIM_400000_NS6detail17trampoline_kernelINS0_14default_configENS1_22reduce_config_selectorIiEEZNS1_11reduce_implILb1ES3_N6thrust23THRUST_200600_302600_NS11hip_rocprim35transform_pair_of_input_iterators_tIiPfSB_NS8_12not_equal_toIfEEEEPiiNS8_4plusIiEEEE10hipError_tPvRmT1_T2_T3_mT4_P12ihipStream_tbEUlT_E1_NS1_11comp_targetILNS1_3genE2ELNS1_11target_archE906ELNS1_3gpuE6ELNS1_3repE0EEENS1_30default_config_static_selectorELNS0_4arch9wavefront6targetE1EEEvSL_.has_recursion, 0
	.set _ZN7rocprim17ROCPRIM_400000_NS6detail17trampoline_kernelINS0_14default_configENS1_22reduce_config_selectorIiEEZNS1_11reduce_implILb1ES3_N6thrust23THRUST_200600_302600_NS11hip_rocprim35transform_pair_of_input_iterators_tIiPfSB_NS8_12not_equal_toIfEEEEPiiNS8_4plusIiEEEE10hipError_tPvRmT1_T2_T3_mT4_P12ihipStream_tbEUlT_E1_NS1_11comp_targetILNS1_3genE2ELNS1_11target_archE906ELNS1_3gpuE6ELNS1_3repE0EEENS1_30default_config_static_selectorELNS0_4arch9wavefront6targetE1EEEvSL_.has_indirect_call, 0
	.section	.AMDGPU.csdata,"",@progbits
; Kernel info:
; codeLenInByte = 12020
; TotalNumSgprs: 53
; NumVgprs: 40
; ScratchSize: 0
; MemoryBound: 0
; FloatMode: 240
; IeeeMode: 1
; LDSByteSize: 112 bytes/workgroup (compile time only)
; SGPRBlocks: 6
; VGPRBlocks: 9
; NumSGPRsForWavesPerEU: 53
; NumVGPRsForWavesPerEU: 40
; Occupancy: 6
; WaveLimiterHint : 0
; COMPUTE_PGM_RSRC2:SCRATCH_EN: 0
; COMPUTE_PGM_RSRC2:USER_SGPR: 6
; COMPUTE_PGM_RSRC2:TRAP_HANDLER: 0
; COMPUTE_PGM_RSRC2:TGID_X_EN: 1
; COMPUTE_PGM_RSRC2:TGID_Y_EN: 0
; COMPUTE_PGM_RSRC2:TGID_Z_EN: 0
; COMPUTE_PGM_RSRC2:TIDIG_COMP_CNT: 0
	.section	.text._ZN7rocprim17ROCPRIM_400000_NS6detail17trampoline_kernelINS0_14default_configENS1_22reduce_config_selectorIiEEZNS1_11reduce_implILb1ES3_N6thrust23THRUST_200600_302600_NS11hip_rocprim35transform_pair_of_input_iterators_tIiPfSB_NS8_12not_equal_toIfEEEEPiiNS8_4plusIiEEEE10hipError_tPvRmT1_T2_T3_mT4_P12ihipStream_tbEUlT_E1_NS1_11comp_targetILNS1_3genE10ELNS1_11target_archE1201ELNS1_3gpuE5ELNS1_3repE0EEENS1_30default_config_static_selectorELNS0_4arch9wavefront6targetE1EEEvSL_,"axG",@progbits,_ZN7rocprim17ROCPRIM_400000_NS6detail17trampoline_kernelINS0_14default_configENS1_22reduce_config_selectorIiEEZNS1_11reduce_implILb1ES3_N6thrust23THRUST_200600_302600_NS11hip_rocprim35transform_pair_of_input_iterators_tIiPfSB_NS8_12not_equal_toIfEEEEPiiNS8_4plusIiEEEE10hipError_tPvRmT1_T2_T3_mT4_P12ihipStream_tbEUlT_E1_NS1_11comp_targetILNS1_3genE10ELNS1_11target_archE1201ELNS1_3gpuE5ELNS1_3repE0EEENS1_30default_config_static_selectorELNS0_4arch9wavefront6targetE1EEEvSL_,comdat
	.protected	_ZN7rocprim17ROCPRIM_400000_NS6detail17trampoline_kernelINS0_14default_configENS1_22reduce_config_selectorIiEEZNS1_11reduce_implILb1ES3_N6thrust23THRUST_200600_302600_NS11hip_rocprim35transform_pair_of_input_iterators_tIiPfSB_NS8_12not_equal_toIfEEEEPiiNS8_4plusIiEEEE10hipError_tPvRmT1_T2_T3_mT4_P12ihipStream_tbEUlT_E1_NS1_11comp_targetILNS1_3genE10ELNS1_11target_archE1201ELNS1_3gpuE5ELNS1_3repE0EEENS1_30default_config_static_selectorELNS0_4arch9wavefront6targetE1EEEvSL_ ; -- Begin function _ZN7rocprim17ROCPRIM_400000_NS6detail17trampoline_kernelINS0_14default_configENS1_22reduce_config_selectorIiEEZNS1_11reduce_implILb1ES3_N6thrust23THRUST_200600_302600_NS11hip_rocprim35transform_pair_of_input_iterators_tIiPfSB_NS8_12not_equal_toIfEEEEPiiNS8_4plusIiEEEE10hipError_tPvRmT1_T2_T3_mT4_P12ihipStream_tbEUlT_E1_NS1_11comp_targetILNS1_3genE10ELNS1_11target_archE1201ELNS1_3gpuE5ELNS1_3repE0EEENS1_30default_config_static_selectorELNS0_4arch9wavefront6targetE1EEEvSL_
	.globl	_ZN7rocprim17ROCPRIM_400000_NS6detail17trampoline_kernelINS0_14default_configENS1_22reduce_config_selectorIiEEZNS1_11reduce_implILb1ES3_N6thrust23THRUST_200600_302600_NS11hip_rocprim35transform_pair_of_input_iterators_tIiPfSB_NS8_12not_equal_toIfEEEEPiiNS8_4plusIiEEEE10hipError_tPvRmT1_T2_T3_mT4_P12ihipStream_tbEUlT_E1_NS1_11comp_targetILNS1_3genE10ELNS1_11target_archE1201ELNS1_3gpuE5ELNS1_3repE0EEENS1_30default_config_static_selectorELNS0_4arch9wavefront6targetE1EEEvSL_
	.p2align	8
	.type	_ZN7rocprim17ROCPRIM_400000_NS6detail17trampoline_kernelINS0_14default_configENS1_22reduce_config_selectorIiEEZNS1_11reduce_implILb1ES3_N6thrust23THRUST_200600_302600_NS11hip_rocprim35transform_pair_of_input_iterators_tIiPfSB_NS8_12not_equal_toIfEEEEPiiNS8_4plusIiEEEE10hipError_tPvRmT1_T2_T3_mT4_P12ihipStream_tbEUlT_E1_NS1_11comp_targetILNS1_3genE10ELNS1_11target_archE1201ELNS1_3gpuE5ELNS1_3repE0EEENS1_30default_config_static_selectorELNS0_4arch9wavefront6targetE1EEEvSL_,@function
_ZN7rocprim17ROCPRIM_400000_NS6detail17trampoline_kernelINS0_14default_configENS1_22reduce_config_selectorIiEEZNS1_11reduce_implILb1ES3_N6thrust23THRUST_200600_302600_NS11hip_rocprim35transform_pair_of_input_iterators_tIiPfSB_NS8_12not_equal_toIfEEEEPiiNS8_4plusIiEEEE10hipError_tPvRmT1_T2_T3_mT4_P12ihipStream_tbEUlT_E1_NS1_11comp_targetILNS1_3genE10ELNS1_11target_archE1201ELNS1_3gpuE5ELNS1_3repE0EEENS1_30default_config_static_selectorELNS0_4arch9wavefront6targetE1EEEvSL_: ; @_ZN7rocprim17ROCPRIM_400000_NS6detail17trampoline_kernelINS0_14default_configENS1_22reduce_config_selectorIiEEZNS1_11reduce_implILb1ES3_N6thrust23THRUST_200600_302600_NS11hip_rocprim35transform_pair_of_input_iterators_tIiPfSB_NS8_12not_equal_toIfEEEEPiiNS8_4plusIiEEEE10hipError_tPvRmT1_T2_T3_mT4_P12ihipStream_tbEUlT_E1_NS1_11comp_targetILNS1_3genE10ELNS1_11target_archE1201ELNS1_3gpuE5ELNS1_3repE0EEENS1_30default_config_static_selectorELNS0_4arch9wavefront6targetE1EEEvSL_
; %bb.0:
	.section	.rodata,"a",@progbits
	.p2align	6, 0x0
	.amdhsa_kernel _ZN7rocprim17ROCPRIM_400000_NS6detail17trampoline_kernelINS0_14default_configENS1_22reduce_config_selectorIiEEZNS1_11reduce_implILb1ES3_N6thrust23THRUST_200600_302600_NS11hip_rocprim35transform_pair_of_input_iterators_tIiPfSB_NS8_12not_equal_toIfEEEEPiiNS8_4plusIiEEEE10hipError_tPvRmT1_T2_T3_mT4_P12ihipStream_tbEUlT_E1_NS1_11comp_targetILNS1_3genE10ELNS1_11target_archE1201ELNS1_3gpuE5ELNS1_3repE0EEENS1_30default_config_static_selectorELNS0_4arch9wavefront6targetE1EEEvSL_
		.amdhsa_group_segment_fixed_size 0
		.amdhsa_private_segment_fixed_size 0
		.amdhsa_kernarg_size 56
		.amdhsa_user_sgpr_count 6
		.amdhsa_user_sgpr_private_segment_buffer 1
		.amdhsa_user_sgpr_dispatch_ptr 0
		.amdhsa_user_sgpr_queue_ptr 0
		.amdhsa_user_sgpr_kernarg_segment_ptr 1
		.amdhsa_user_sgpr_dispatch_id 0
		.amdhsa_user_sgpr_flat_scratch_init 0
		.amdhsa_user_sgpr_private_segment_size 0
		.amdhsa_uses_dynamic_stack 0
		.amdhsa_system_sgpr_private_segment_wavefront_offset 0
		.amdhsa_system_sgpr_workgroup_id_x 1
		.amdhsa_system_sgpr_workgroup_id_y 0
		.amdhsa_system_sgpr_workgroup_id_z 0
		.amdhsa_system_sgpr_workgroup_info 0
		.amdhsa_system_vgpr_workitem_id 0
		.amdhsa_next_free_vgpr 1
		.amdhsa_next_free_sgpr 0
		.amdhsa_reserve_vcc 0
		.amdhsa_reserve_flat_scratch 0
		.amdhsa_float_round_mode_32 0
		.amdhsa_float_round_mode_16_64 0
		.amdhsa_float_denorm_mode_32 3
		.amdhsa_float_denorm_mode_16_64 3
		.amdhsa_dx10_clamp 1
		.amdhsa_ieee_mode 1
		.amdhsa_fp16_overflow 0
		.amdhsa_exception_fp_ieee_invalid_op 0
		.amdhsa_exception_fp_denorm_src 0
		.amdhsa_exception_fp_ieee_div_zero 0
		.amdhsa_exception_fp_ieee_overflow 0
		.amdhsa_exception_fp_ieee_underflow 0
		.amdhsa_exception_fp_ieee_inexact 0
		.amdhsa_exception_int_div_zero 0
	.end_amdhsa_kernel
	.section	.text._ZN7rocprim17ROCPRIM_400000_NS6detail17trampoline_kernelINS0_14default_configENS1_22reduce_config_selectorIiEEZNS1_11reduce_implILb1ES3_N6thrust23THRUST_200600_302600_NS11hip_rocprim35transform_pair_of_input_iterators_tIiPfSB_NS8_12not_equal_toIfEEEEPiiNS8_4plusIiEEEE10hipError_tPvRmT1_T2_T3_mT4_P12ihipStream_tbEUlT_E1_NS1_11comp_targetILNS1_3genE10ELNS1_11target_archE1201ELNS1_3gpuE5ELNS1_3repE0EEENS1_30default_config_static_selectorELNS0_4arch9wavefront6targetE1EEEvSL_,"axG",@progbits,_ZN7rocprim17ROCPRIM_400000_NS6detail17trampoline_kernelINS0_14default_configENS1_22reduce_config_selectorIiEEZNS1_11reduce_implILb1ES3_N6thrust23THRUST_200600_302600_NS11hip_rocprim35transform_pair_of_input_iterators_tIiPfSB_NS8_12not_equal_toIfEEEEPiiNS8_4plusIiEEEE10hipError_tPvRmT1_T2_T3_mT4_P12ihipStream_tbEUlT_E1_NS1_11comp_targetILNS1_3genE10ELNS1_11target_archE1201ELNS1_3gpuE5ELNS1_3repE0EEENS1_30default_config_static_selectorELNS0_4arch9wavefront6targetE1EEEvSL_,comdat
.Lfunc_end1902:
	.size	_ZN7rocprim17ROCPRIM_400000_NS6detail17trampoline_kernelINS0_14default_configENS1_22reduce_config_selectorIiEEZNS1_11reduce_implILb1ES3_N6thrust23THRUST_200600_302600_NS11hip_rocprim35transform_pair_of_input_iterators_tIiPfSB_NS8_12not_equal_toIfEEEEPiiNS8_4plusIiEEEE10hipError_tPvRmT1_T2_T3_mT4_P12ihipStream_tbEUlT_E1_NS1_11comp_targetILNS1_3genE10ELNS1_11target_archE1201ELNS1_3gpuE5ELNS1_3repE0EEENS1_30default_config_static_selectorELNS0_4arch9wavefront6targetE1EEEvSL_, .Lfunc_end1902-_ZN7rocprim17ROCPRIM_400000_NS6detail17trampoline_kernelINS0_14default_configENS1_22reduce_config_selectorIiEEZNS1_11reduce_implILb1ES3_N6thrust23THRUST_200600_302600_NS11hip_rocprim35transform_pair_of_input_iterators_tIiPfSB_NS8_12not_equal_toIfEEEEPiiNS8_4plusIiEEEE10hipError_tPvRmT1_T2_T3_mT4_P12ihipStream_tbEUlT_E1_NS1_11comp_targetILNS1_3genE10ELNS1_11target_archE1201ELNS1_3gpuE5ELNS1_3repE0EEENS1_30default_config_static_selectorELNS0_4arch9wavefront6targetE1EEEvSL_
                                        ; -- End function
	.set _ZN7rocprim17ROCPRIM_400000_NS6detail17trampoline_kernelINS0_14default_configENS1_22reduce_config_selectorIiEEZNS1_11reduce_implILb1ES3_N6thrust23THRUST_200600_302600_NS11hip_rocprim35transform_pair_of_input_iterators_tIiPfSB_NS8_12not_equal_toIfEEEEPiiNS8_4plusIiEEEE10hipError_tPvRmT1_T2_T3_mT4_P12ihipStream_tbEUlT_E1_NS1_11comp_targetILNS1_3genE10ELNS1_11target_archE1201ELNS1_3gpuE5ELNS1_3repE0EEENS1_30default_config_static_selectorELNS0_4arch9wavefront6targetE1EEEvSL_.num_vgpr, 0
	.set _ZN7rocprim17ROCPRIM_400000_NS6detail17trampoline_kernelINS0_14default_configENS1_22reduce_config_selectorIiEEZNS1_11reduce_implILb1ES3_N6thrust23THRUST_200600_302600_NS11hip_rocprim35transform_pair_of_input_iterators_tIiPfSB_NS8_12not_equal_toIfEEEEPiiNS8_4plusIiEEEE10hipError_tPvRmT1_T2_T3_mT4_P12ihipStream_tbEUlT_E1_NS1_11comp_targetILNS1_3genE10ELNS1_11target_archE1201ELNS1_3gpuE5ELNS1_3repE0EEENS1_30default_config_static_selectorELNS0_4arch9wavefront6targetE1EEEvSL_.num_agpr, 0
	.set _ZN7rocprim17ROCPRIM_400000_NS6detail17trampoline_kernelINS0_14default_configENS1_22reduce_config_selectorIiEEZNS1_11reduce_implILb1ES3_N6thrust23THRUST_200600_302600_NS11hip_rocprim35transform_pair_of_input_iterators_tIiPfSB_NS8_12not_equal_toIfEEEEPiiNS8_4plusIiEEEE10hipError_tPvRmT1_T2_T3_mT4_P12ihipStream_tbEUlT_E1_NS1_11comp_targetILNS1_3genE10ELNS1_11target_archE1201ELNS1_3gpuE5ELNS1_3repE0EEENS1_30default_config_static_selectorELNS0_4arch9wavefront6targetE1EEEvSL_.numbered_sgpr, 0
	.set _ZN7rocprim17ROCPRIM_400000_NS6detail17trampoline_kernelINS0_14default_configENS1_22reduce_config_selectorIiEEZNS1_11reduce_implILb1ES3_N6thrust23THRUST_200600_302600_NS11hip_rocprim35transform_pair_of_input_iterators_tIiPfSB_NS8_12not_equal_toIfEEEEPiiNS8_4plusIiEEEE10hipError_tPvRmT1_T2_T3_mT4_P12ihipStream_tbEUlT_E1_NS1_11comp_targetILNS1_3genE10ELNS1_11target_archE1201ELNS1_3gpuE5ELNS1_3repE0EEENS1_30default_config_static_selectorELNS0_4arch9wavefront6targetE1EEEvSL_.num_named_barrier, 0
	.set _ZN7rocprim17ROCPRIM_400000_NS6detail17trampoline_kernelINS0_14default_configENS1_22reduce_config_selectorIiEEZNS1_11reduce_implILb1ES3_N6thrust23THRUST_200600_302600_NS11hip_rocprim35transform_pair_of_input_iterators_tIiPfSB_NS8_12not_equal_toIfEEEEPiiNS8_4plusIiEEEE10hipError_tPvRmT1_T2_T3_mT4_P12ihipStream_tbEUlT_E1_NS1_11comp_targetILNS1_3genE10ELNS1_11target_archE1201ELNS1_3gpuE5ELNS1_3repE0EEENS1_30default_config_static_selectorELNS0_4arch9wavefront6targetE1EEEvSL_.private_seg_size, 0
	.set _ZN7rocprim17ROCPRIM_400000_NS6detail17trampoline_kernelINS0_14default_configENS1_22reduce_config_selectorIiEEZNS1_11reduce_implILb1ES3_N6thrust23THRUST_200600_302600_NS11hip_rocprim35transform_pair_of_input_iterators_tIiPfSB_NS8_12not_equal_toIfEEEEPiiNS8_4plusIiEEEE10hipError_tPvRmT1_T2_T3_mT4_P12ihipStream_tbEUlT_E1_NS1_11comp_targetILNS1_3genE10ELNS1_11target_archE1201ELNS1_3gpuE5ELNS1_3repE0EEENS1_30default_config_static_selectorELNS0_4arch9wavefront6targetE1EEEvSL_.uses_vcc, 0
	.set _ZN7rocprim17ROCPRIM_400000_NS6detail17trampoline_kernelINS0_14default_configENS1_22reduce_config_selectorIiEEZNS1_11reduce_implILb1ES3_N6thrust23THRUST_200600_302600_NS11hip_rocprim35transform_pair_of_input_iterators_tIiPfSB_NS8_12not_equal_toIfEEEEPiiNS8_4plusIiEEEE10hipError_tPvRmT1_T2_T3_mT4_P12ihipStream_tbEUlT_E1_NS1_11comp_targetILNS1_3genE10ELNS1_11target_archE1201ELNS1_3gpuE5ELNS1_3repE0EEENS1_30default_config_static_selectorELNS0_4arch9wavefront6targetE1EEEvSL_.uses_flat_scratch, 0
	.set _ZN7rocprim17ROCPRIM_400000_NS6detail17trampoline_kernelINS0_14default_configENS1_22reduce_config_selectorIiEEZNS1_11reduce_implILb1ES3_N6thrust23THRUST_200600_302600_NS11hip_rocprim35transform_pair_of_input_iterators_tIiPfSB_NS8_12not_equal_toIfEEEEPiiNS8_4plusIiEEEE10hipError_tPvRmT1_T2_T3_mT4_P12ihipStream_tbEUlT_E1_NS1_11comp_targetILNS1_3genE10ELNS1_11target_archE1201ELNS1_3gpuE5ELNS1_3repE0EEENS1_30default_config_static_selectorELNS0_4arch9wavefront6targetE1EEEvSL_.has_dyn_sized_stack, 0
	.set _ZN7rocprim17ROCPRIM_400000_NS6detail17trampoline_kernelINS0_14default_configENS1_22reduce_config_selectorIiEEZNS1_11reduce_implILb1ES3_N6thrust23THRUST_200600_302600_NS11hip_rocprim35transform_pair_of_input_iterators_tIiPfSB_NS8_12not_equal_toIfEEEEPiiNS8_4plusIiEEEE10hipError_tPvRmT1_T2_T3_mT4_P12ihipStream_tbEUlT_E1_NS1_11comp_targetILNS1_3genE10ELNS1_11target_archE1201ELNS1_3gpuE5ELNS1_3repE0EEENS1_30default_config_static_selectorELNS0_4arch9wavefront6targetE1EEEvSL_.has_recursion, 0
	.set _ZN7rocprim17ROCPRIM_400000_NS6detail17trampoline_kernelINS0_14default_configENS1_22reduce_config_selectorIiEEZNS1_11reduce_implILb1ES3_N6thrust23THRUST_200600_302600_NS11hip_rocprim35transform_pair_of_input_iterators_tIiPfSB_NS8_12not_equal_toIfEEEEPiiNS8_4plusIiEEEE10hipError_tPvRmT1_T2_T3_mT4_P12ihipStream_tbEUlT_E1_NS1_11comp_targetILNS1_3genE10ELNS1_11target_archE1201ELNS1_3gpuE5ELNS1_3repE0EEENS1_30default_config_static_selectorELNS0_4arch9wavefront6targetE1EEEvSL_.has_indirect_call, 0
	.section	.AMDGPU.csdata,"",@progbits
; Kernel info:
; codeLenInByte = 0
; TotalNumSgprs: 4
; NumVgprs: 0
; ScratchSize: 0
; MemoryBound: 0
; FloatMode: 240
; IeeeMode: 1
; LDSByteSize: 0 bytes/workgroup (compile time only)
; SGPRBlocks: 0
; VGPRBlocks: 0
; NumSGPRsForWavesPerEU: 4
; NumVGPRsForWavesPerEU: 1
; Occupancy: 10
; WaveLimiterHint : 0
; COMPUTE_PGM_RSRC2:SCRATCH_EN: 0
; COMPUTE_PGM_RSRC2:USER_SGPR: 6
; COMPUTE_PGM_RSRC2:TRAP_HANDLER: 0
; COMPUTE_PGM_RSRC2:TGID_X_EN: 1
; COMPUTE_PGM_RSRC2:TGID_Y_EN: 0
; COMPUTE_PGM_RSRC2:TGID_Z_EN: 0
; COMPUTE_PGM_RSRC2:TIDIG_COMP_CNT: 0
	.section	.text._ZN7rocprim17ROCPRIM_400000_NS6detail17trampoline_kernelINS0_14default_configENS1_22reduce_config_selectorIiEEZNS1_11reduce_implILb1ES3_N6thrust23THRUST_200600_302600_NS11hip_rocprim35transform_pair_of_input_iterators_tIiPfSB_NS8_12not_equal_toIfEEEEPiiNS8_4plusIiEEEE10hipError_tPvRmT1_T2_T3_mT4_P12ihipStream_tbEUlT_E1_NS1_11comp_targetILNS1_3genE10ELNS1_11target_archE1200ELNS1_3gpuE4ELNS1_3repE0EEENS1_30default_config_static_selectorELNS0_4arch9wavefront6targetE1EEEvSL_,"axG",@progbits,_ZN7rocprim17ROCPRIM_400000_NS6detail17trampoline_kernelINS0_14default_configENS1_22reduce_config_selectorIiEEZNS1_11reduce_implILb1ES3_N6thrust23THRUST_200600_302600_NS11hip_rocprim35transform_pair_of_input_iterators_tIiPfSB_NS8_12not_equal_toIfEEEEPiiNS8_4plusIiEEEE10hipError_tPvRmT1_T2_T3_mT4_P12ihipStream_tbEUlT_E1_NS1_11comp_targetILNS1_3genE10ELNS1_11target_archE1200ELNS1_3gpuE4ELNS1_3repE0EEENS1_30default_config_static_selectorELNS0_4arch9wavefront6targetE1EEEvSL_,comdat
	.protected	_ZN7rocprim17ROCPRIM_400000_NS6detail17trampoline_kernelINS0_14default_configENS1_22reduce_config_selectorIiEEZNS1_11reduce_implILb1ES3_N6thrust23THRUST_200600_302600_NS11hip_rocprim35transform_pair_of_input_iterators_tIiPfSB_NS8_12not_equal_toIfEEEEPiiNS8_4plusIiEEEE10hipError_tPvRmT1_T2_T3_mT4_P12ihipStream_tbEUlT_E1_NS1_11comp_targetILNS1_3genE10ELNS1_11target_archE1200ELNS1_3gpuE4ELNS1_3repE0EEENS1_30default_config_static_selectorELNS0_4arch9wavefront6targetE1EEEvSL_ ; -- Begin function _ZN7rocprim17ROCPRIM_400000_NS6detail17trampoline_kernelINS0_14default_configENS1_22reduce_config_selectorIiEEZNS1_11reduce_implILb1ES3_N6thrust23THRUST_200600_302600_NS11hip_rocprim35transform_pair_of_input_iterators_tIiPfSB_NS8_12not_equal_toIfEEEEPiiNS8_4plusIiEEEE10hipError_tPvRmT1_T2_T3_mT4_P12ihipStream_tbEUlT_E1_NS1_11comp_targetILNS1_3genE10ELNS1_11target_archE1200ELNS1_3gpuE4ELNS1_3repE0EEENS1_30default_config_static_selectorELNS0_4arch9wavefront6targetE1EEEvSL_
	.globl	_ZN7rocprim17ROCPRIM_400000_NS6detail17trampoline_kernelINS0_14default_configENS1_22reduce_config_selectorIiEEZNS1_11reduce_implILb1ES3_N6thrust23THRUST_200600_302600_NS11hip_rocprim35transform_pair_of_input_iterators_tIiPfSB_NS8_12not_equal_toIfEEEEPiiNS8_4plusIiEEEE10hipError_tPvRmT1_T2_T3_mT4_P12ihipStream_tbEUlT_E1_NS1_11comp_targetILNS1_3genE10ELNS1_11target_archE1200ELNS1_3gpuE4ELNS1_3repE0EEENS1_30default_config_static_selectorELNS0_4arch9wavefront6targetE1EEEvSL_
	.p2align	8
	.type	_ZN7rocprim17ROCPRIM_400000_NS6detail17trampoline_kernelINS0_14default_configENS1_22reduce_config_selectorIiEEZNS1_11reduce_implILb1ES3_N6thrust23THRUST_200600_302600_NS11hip_rocprim35transform_pair_of_input_iterators_tIiPfSB_NS8_12not_equal_toIfEEEEPiiNS8_4plusIiEEEE10hipError_tPvRmT1_T2_T3_mT4_P12ihipStream_tbEUlT_E1_NS1_11comp_targetILNS1_3genE10ELNS1_11target_archE1200ELNS1_3gpuE4ELNS1_3repE0EEENS1_30default_config_static_selectorELNS0_4arch9wavefront6targetE1EEEvSL_,@function
_ZN7rocprim17ROCPRIM_400000_NS6detail17trampoline_kernelINS0_14default_configENS1_22reduce_config_selectorIiEEZNS1_11reduce_implILb1ES3_N6thrust23THRUST_200600_302600_NS11hip_rocprim35transform_pair_of_input_iterators_tIiPfSB_NS8_12not_equal_toIfEEEEPiiNS8_4plusIiEEEE10hipError_tPvRmT1_T2_T3_mT4_P12ihipStream_tbEUlT_E1_NS1_11comp_targetILNS1_3genE10ELNS1_11target_archE1200ELNS1_3gpuE4ELNS1_3repE0EEENS1_30default_config_static_selectorELNS0_4arch9wavefront6targetE1EEEvSL_: ; @_ZN7rocprim17ROCPRIM_400000_NS6detail17trampoline_kernelINS0_14default_configENS1_22reduce_config_selectorIiEEZNS1_11reduce_implILb1ES3_N6thrust23THRUST_200600_302600_NS11hip_rocprim35transform_pair_of_input_iterators_tIiPfSB_NS8_12not_equal_toIfEEEEPiiNS8_4plusIiEEEE10hipError_tPvRmT1_T2_T3_mT4_P12ihipStream_tbEUlT_E1_NS1_11comp_targetILNS1_3genE10ELNS1_11target_archE1200ELNS1_3gpuE4ELNS1_3repE0EEENS1_30default_config_static_selectorELNS0_4arch9wavefront6targetE1EEEvSL_
; %bb.0:
	.section	.rodata,"a",@progbits
	.p2align	6, 0x0
	.amdhsa_kernel _ZN7rocprim17ROCPRIM_400000_NS6detail17trampoline_kernelINS0_14default_configENS1_22reduce_config_selectorIiEEZNS1_11reduce_implILb1ES3_N6thrust23THRUST_200600_302600_NS11hip_rocprim35transform_pair_of_input_iterators_tIiPfSB_NS8_12not_equal_toIfEEEEPiiNS8_4plusIiEEEE10hipError_tPvRmT1_T2_T3_mT4_P12ihipStream_tbEUlT_E1_NS1_11comp_targetILNS1_3genE10ELNS1_11target_archE1200ELNS1_3gpuE4ELNS1_3repE0EEENS1_30default_config_static_selectorELNS0_4arch9wavefront6targetE1EEEvSL_
		.amdhsa_group_segment_fixed_size 0
		.amdhsa_private_segment_fixed_size 0
		.amdhsa_kernarg_size 56
		.amdhsa_user_sgpr_count 6
		.amdhsa_user_sgpr_private_segment_buffer 1
		.amdhsa_user_sgpr_dispatch_ptr 0
		.amdhsa_user_sgpr_queue_ptr 0
		.amdhsa_user_sgpr_kernarg_segment_ptr 1
		.amdhsa_user_sgpr_dispatch_id 0
		.amdhsa_user_sgpr_flat_scratch_init 0
		.amdhsa_user_sgpr_private_segment_size 0
		.amdhsa_uses_dynamic_stack 0
		.amdhsa_system_sgpr_private_segment_wavefront_offset 0
		.amdhsa_system_sgpr_workgroup_id_x 1
		.amdhsa_system_sgpr_workgroup_id_y 0
		.amdhsa_system_sgpr_workgroup_id_z 0
		.amdhsa_system_sgpr_workgroup_info 0
		.amdhsa_system_vgpr_workitem_id 0
		.amdhsa_next_free_vgpr 1
		.amdhsa_next_free_sgpr 0
		.amdhsa_reserve_vcc 0
		.amdhsa_reserve_flat_scratch 0
		.amdhsa_float_round_mode_32 0
		.amdhsa_float_round_mode_16_64 0
		.amdhsa_float_denorm_mode_32 3
		.amdhsa_float_denorm_mode_16_64 3
		.amdhsa_dx10_clamp 1
		.amdhsa_ieee_mode 1
		.amdhsa_fp16_overflow 0
		.amdhsa_exception_fp_ieee_invalid_op 0
		.amdhsa_exception_fp_denorm_src 0
		.amdhsa_exception_fp_ieee_div_zero 0
		.amdhsa_exception_fp_ieee_overflow 0
		.amdhsa_exception_fp_ieee_underflow 0
		.amdhsa_exception_fp_ieee_inexact 0
		.amdhsa_exception_int_div_zero 0
	.end_amdhsa_kernel
	.section	.text._ZN7rocprim17ROCPRIM_400000_NS6detail17trampoline_kernelINS0_14default_configENS1_22reduce_config_selectorIiEEZNS1_11reduce_implILb1ES3_N6thrust23THRUST_200600_302600_NS11hip_rocprim35transform_pair_of_input_iterators_tIiPfSB_NS8_12not_equal_toIfEEEEPiiNS8_4plusIiEEEE10hipError_tPvRmT1_T2_T3_mT4_P12ihipStream_tbEUlT_E1_NS1_11comp_targetILNS1_3genE10ELNS1_11target_archE1200ELNS1_3gpuE4ELNS1_3repE0EEENS1_30default_config_static_selectorELNS0_4arch9wavefront6targetE1EEEvSL_,"axG",@progbits,_ZN7rocprim17ROCPRIM_400000_NS6detail17trampoline_kernelINS0_14default_configENS1_22reduce_config_selectorIiEEZNS1_11reduce_implILb1ES3_N6thrust23THRUST_200600_302600_NS11hip_rocprim35transform_pair_of_input_iterators_tIiPfSB_NS8_12not_equal_toIfEEEEPiiNS8_4plusIiEEEE10hipError_tPvRmT1_T2_T3_mT4_P12ihipStream_tbEUlT_E1_NS1_11comp_targetILNS1_3genE10ELNS1_11target_archE1200ELNS1_3gpuE4ELNS1_3repE0EEENS1_30default_config_static_selectorELNS0_4arch9wavefront6targetE1EEEvSL_,comdat
.Lfunc_end1903:
	.size	_ZN7rocprim17ROCPRIM_400000_NS6detail17trampoline_kernelINS0_14default_configENS1_22reduce_config_selectorIiEEZNS1_11reduce_implILb1ES3_N6thrust23THRUST_200600_302600_NS11hip_rocprim35transform_pair_of_input_iterators_tIiPfSB_NS8_12not_equal_toIfEEEEPiiNS8_4plusIiEEEE10hipError_tPvRmT1_T2_T3_mT4_P12ihipStream_tbEUlT_E1_NS1_11comp_targetILNS1_3genE10ELNS1_11target_archE1200ELNS1_3gpuE4ELNS1_3repE0EEENS1_30default_config_static_selectorELNS0_4arch9wavefront6targetE1EEEvSL_, .Lfunc_end1903-_ZN7rocprim17ROCPRIM_400000_NS6detail17trampoline_kernelINS0_14default_configENS1_22reduce_config_selectorIiEEZNS1_11reduce_implILb1ES3_N6thrust23THRUST_200600_302600_NS11hip_rocprim35transform_pair_of_input_iterators_tIiPfSB_NS8_12not_equal_toIfEEEEPiiNS8_4plusIiEEEE10hipError_tPvRmT1_T2_T3_mT4_P12ihipStream_tbEUlT_E1_NS1_11comp_targetILNS1_3genE10ELNS1_11target_archE1200ELNS1_3gpuE4ELNS1_3repE0EEENS1_30default_config_static_selectorELNS0_4arch9wavefront6targetE1EEEvSL_
                                        ; -- End function
	.set _ZN7rocprim17ROCPRIM_400000_NS6detail17trampoline_kernelINS0_14default_configENS1_22reduce_config_selectorIiEEZNS1_11reduce_implILb1ES3_N6thrust23THRUST_200600_302600_NS11hip_rocprim35transform_pair_of_input_iterators_tIiPfSB_NS8_12not_equal_toIfEEEEPiiNS8_4plusIiEEEE10hipError_tPvRmT1_T2_T3_mT4_P12ihipStream_tbEUlT_E1_NS1_11comp_targetILNS1_3genE10ELNS1_11target_archE1200ELNS1_3gpuE4ELNS1_3repE0EEENS1_30default_config_static_selectorELNS0_4arch9wavefront6targetE1EEEvSL_.num_vgpr, 0
	.set _ZN7rocprim17ROCPRIM_400000_NS6detail17trampoline_kernelINS0_14default_configENS1_22reduce_config_selectorIiEEZNS1_11reduce_implILb1ES3_N6thrust23THRUST_200600_302600_NS11hip_rocprim35transform_pair_of_input_iterators_tIiPfSB_NS8_12not_equal_toIfEEEEPiiNS8_4plusIiEEEE10hipError_tPvRmT1_T2_T3_mT4_P12ihipStream_tbEUlT_E1_NS1_11comp_targetILNS1_3genE10ELNS1_11target_archE1200ELNS1_3gpuE4ELNS1_3repE0EEENS1_30default_config_static_selectorELNS0_4arch9wavefront6targetE1EEEvSL_.num_agpr, 0
	.set _ZN7rocprim17ROCPRIM_400000_NS6detail17trampoline_kernelINS0_14default_configENS1_22reduce_config_selectorIiEEZNS1_11reduce_implILb1ES3_N6thrust23THRUST_200600_302600_NS11hip_rocprim35transform_pair_of_input_iterators_tIiPfSB_NS8_12not_equal_toIfEEEEPiiNS8_4plusIiEEEE10hipError_tPvRmT1_T2_T3_mT4_P12ihipStream_tbEUlT_E1_NS1_11comp_targetILNS1_3genE10ELNS1_11target_archE1200ELNS1_3gpuE4ELNS1_3repE0EEENS1_30default_config_static_selectorELNS0_4arch9wavefront6targetE1EEEvSL_.numbered_sgpr, 0
	.set _ZN7rocprim17ROCPRIM_400000_NS6detail17trampoline_kernelINS0_14default_configENS1_22reduce_config_selectorIiEEZNS1_11reduce_implILb1ES3_N6thrust23THRUST_200600_302600_NS11hip_rocprim35transform_pair_of_input_iterators_tIiPfSB_NS8_12not_equal_toIfEEEEPiiNS8_4plusIiEEEE10hipError_tPvRmT1_T2_T3_mT4_P12ihipStream_tbEUlT_E1_NS1_11comp_targetILNS1_3genE10ELNS1_11target_archE1200ELNS1_3gpuE4ELNS1_3repE0EEENS1_30default_config_static_selectorELNS0_4arch9wavefront6targetE1EEEvSL_.num_named_barrier, 0
	.set _ZN7rocprim17ROCPRIM_400000_NS6detail17trampoline_kernelINS0_14default_configENS1_22reduce_config_selectorIiEEZNS1_11reduce_implILb1ES3_N6thrust23THRUST_200600_302600_NS11hip_rocprim35transform_pair_of_input_iterators_tIiPfSB_NS8_12not_equal_toIfEEEEPiiNS8_4plusIiEEEE10hipError_tPvRmT1_T2_T3_mT4_P12ihipStream_tbEUlT_E1_NS1_11comp_targetILNS1_3genE10ELNS1_11target_archE1200ELNS1_3gpuE4ELNS1_3repE0EEENS1_30default_config_static_selectorELNS0_4arch9wavefront6targetE1EEEvSL_.private_seg_size, 0
	.set _ZN7rocprim17ROCPRIM_400000_NS6detail17trampoline_kernelINS0_14default_configENS1_22reduce_config_selectorIiEEZNS1_11reduce_implILb1ES3_N6thrust23THRUST_200600_302600_NS11hip_rocprim35transform_pair_of_input_iterators_tIiPfSB_NS8_12not_equal_toIfEEEEPiiNS8_4plusIiEEEE10hipError_tPvRmT1_T2_T3_mT4_P12ihipStream_tbEUlT_E1_NS1_11comp_targetILNS1_3genE10ELNS1_11target_archE1200ELNS1_3gpuE4ELNS1_3repE0EEENS1_30default_config_static_selectorELNS0_4arch9wavefront6targetE1EEEvSL_.uses_vcc, 0
	.set _ZN7rocprim17ROCPRIM_400000_NS6detail17trampoline_kernelINS0_14default_configENS1_22reduce_config_selectorIiEEZNS1_11reduce_implILb1ES3_N6thrust23THRUST_200600_302600_NS11hip_rocprim35transform_pair_of_input_iterators_tIiPfSB_NS8_12not_equal_toIfEEEEPiiNS8_4plusIiEEEE10hipError_tPvRmT1_T2_T3_mT4_P12ihipStream_tbEUlT_E1_NS1_11comp_targetILNS1_3genE10ELNS1_11target_archE1200ELNS1_3gpuE4ELNS1_3repE0EEENS1_30default_config_static_selectorELNS0_4arch9wavefront6targetE1EEEvSL_.uses_flat_scratch, 0
	.set _ZN7rocprim17ROCPRIM_400000_NS6detail17trampoline_kernelINS0_14default_configENS1_22reduce_config_selectorIiEEZNS1_11reduce_implILb1ES3_N6thrust23THRUST_200600_302600_NS11hip_rocprim35transform_pair_of_input_iterators_tIiPfSB_NS8_12not_equal_toIfEEEEPiiNS8_4plusIiEEEE10hipError_tPvRmT1_T2_T3_mT4_P12ihipStream_tbEUlT_E1_NS1_11comp_targetILNS1_3genE10ELNS1_11target_archE1200ELNS1_3gpuE4ELNS1_3repE0EEENS1_30default_config_static_selectorELNS0_4arch9wavefront6targetE1EEEvSL_.has_dyn_sized_stack, 0
	.set _ZN7rocprim17ROCPRIM_400000_NS6detail17trampoline_kernelINS0_14default_configENS1_22reduce_config_selectorIiEEZNS1_11reduce_implILb1ES3_N6thrust23THRUST_200600_302600_NS11hip_rocprim35transform_pair_of_input_iterators_tIiPfSB_NS8_12not_equal_toIfEEEEPiiNS8_4plusIiEEEE10hipError_tPvRmT1_T2_T3_mT4_P12ihipStream_tbEUlT_E1_NS1_11comp_targetILNS1_3genE10ELNS1_11target_archE1200ELNS1_3gpuE4ELNS1_3repE0EEENS1_30default_config_static_selectorELNS0_4arch9wavefront6targetE1EEEvSL_.has_recursion, 0
	.set _ZN7rocprim17ROCPRIM_400000_NS6detail17trampoline_kernelINS0_14default_configENS1_22reduce_config_selectorIiEEZNS1_11reduce_implILb1ES3_N6thrust23THRUST_200600_302600_NS11hip_rocprim35transform_pair_of_input_iterators_tIiPfSB_NS8_12not_equal_toIfEEEEPiiNS8_4plusIiEEEE10hipError_tPvRmT1_T2_T3_mT4_P12ihipStream_tbEUlT_E1_NS1_11comp_targetILNS1_3genE10ELNS1_11target_archE1200ELNS1_3gpuE4ELNS1_3repE0EEENS1_30default_config_static_selectorELNS0_4arch9wavefront6targetE1EEEvSL_.has_indirect_call, 0
	.section	.AMDGPU.csdata,"",@progbits
; Kernel info:
; codeLenInByte = 0
; TotalNumSgprs: 4
; NumVgprs: 0
; ScratchSize: 0
; MemoryBound: 0
; FloatMode: 240
; IeeeMode: 1
; LDSByteSize: 0 bytes/workgroup (compile time only)
; SGPRBlocks: 0
; VGPRBlocks: 0
; NumSGPRsForWavesPerEU: 4
; NumVGPRsForWavesPerEU: 1
; Occupancy: 10
; WaveLimiterHint : 0
; COMPUTE_PGM_RSRC2:SCRATCH_EN: 0
; COMPUTE_PGM_RSRC2:USER_SGPR: 6
; COMPUTE_PGM_RSRC2:TRAP_HANDLER: 0
; COMPUTE_PGM_RSRC2:TGID_X_EN: 1
; COMPUTE_PGM_RSRC2:TGID_Y_EN: 0
; COMPUTE_PGM_RSRC2:TGID_Z_EN: 0
; COMPUTE_PGM_RSRC2:TIDIG_COMP_CNT: 0
	.section	.text._ZN7rocprim17ROCPRIM_400000_NS6detail17trampoline_kernelINS0_14default_configENS1_22reduce_config_selectorIiEEZNS1_11reduce_implILb1ES3_N6thrust23THRUST_200600_302600_NS11hip_rocprim35transform_pair_of_input_iterators_tIiPfSB_NS8_12not_equal_toIfEEEEPiiNS8_4plusIiEEEE10hipError_tPvRmT1_T2_T3_mT4_P12ihipStream_tbEUlT_E1_NS1_11comp_targetILNS1_3genE9ELNS1_11target_archE1100ELNS1_3gpuE3ELNS1_3repE0EEENS1_30default_config_static_selectorELNS0_4arch9wavefront6targetE1EEEvSL_,"axG",@progbits,_ZN7rocprim17ROCPRIM_400000_NS6detail17trampoline_kernelINS0_14default_configENS1_22reduce_config_selectorIiEEZNS1_11reduce_implILb1ES3_N6thrust23THRUST_200600_302600_NS11hip_rocprim35transform_pair_of_input_iterators_tIiPfSB_NS8_12not_equal_toIfEEEEPiiNS8_4plusIiEEEE10hipError_tPvRmT1_T2_T3_mT4_P12ihipStream_tbEUlT_E1_NS1_11comp_targetILNS1_3genE9ELNS1_11target_archE1100ELNS1_3gpuE3ELNS1_3repE0EEENS1_30default_config_static_selectorELNS0_4arch9wavefront6targetE1EEEvSL_,comdat
	.protected	_ZN7rocprim17ROCPRIM_400000_NS6detail17trampoline_kernelINS0_14default_configENS1_22reduce_config_selectorIiEEZNS1_11reduce_implILb1ES3_N6thrust23THRUST_200600_302600_NS11hip_rocprim35transform_pair_of_input_iterators_tIiPfSB_NS8_12not_equal_toIfEEEEPiiNS8_4plusIiEEEE10hipError_tPvRmT1_T2_T3_mT4_P12ihipStream_tbEUlT_E1_NS1_11comp_targetILNS1_3genE9ELNS1_11target_archE1100ELNS1_3gpuE3ELNS1_3repE0EEENS1_30default_config_static_selectorELNS0_4arch9wavefront6targetE1EEEvSL_ ; -- Begin function _ZN7rocprim17ROCPRIM_400000_NS6detail17trampoline_kernelINS0_14default_configENS1_22reduce_config_selectorIiEEZNS1_11reduce_implILb1ES3_N6thrust23THRUST_200600_302600_NS11hip_rocprim35transform_pair_of_input_iterators_tIiPfSB_NS8_12not_equal_toIfEEEEPiiNS8_4plusIiEEEE10hipError_tPvRmT1_T2_T3_mT4_P12ihipStream_tbEUlT_E1_NS1_11comp_targetILNS1_3genE9ELNS1_11target_archE1100ELNS1_3gpuE3ELNS1_3repE0EEENS1_30default_config_static_selectorELNS0_4arch9wavefront6targetE1EEEvSL_
	.globl	_ZN7rocprim17ROCPRIM_400000_NS6detail17trampoline_kernelINS0_14default_configENS1_22reduce_config_selectorIiEEZNS1_11reduce_implILb1ES3_N6thrust23THRUST_200600_302600_NS11hip_rocprim35transform_pair_of_input_iterators_tIiPfSB_NS8_12not_equal_toIfEEEEPiiNS8_4plusIiEEEE10hipError_tPvRmT1_T2_T3_mT4_P12ihipStream_tbEUlT_E1_NS1_11comp_targetILNS1_3genE9ELNS1_11target_archE1100ELNS1_3gpuE3ELNS1_3repE0EEENS1_30default_config_static_selectorELNS0_4arch9wavefront6targetE1EEEvSL_
	.p2align	8
	.type	_ZN7rocprim17ROCPRIM_400000_NS6detail17trampoline_kernelINS0_14default_configENS1_22reduce_config_selectorIiEEZNS1_11reduce_implILb1ES3_N6thrust23THRUST_200600_302600_NS11hip_rocprim35transform_pair_of_input_iterators_tIiPfSB_NS8_12not_equal_toIfEEEEPiiNS8_4plusIiEEEE10hipError_tPvRmT1_T2_T3_mT4_P12ihipStream_tbEUlT_E1_NS1_11comp_targetILNS1_3genE9ELNS1_11target_archE1100ELNS1_3gpuE3ELNS1_3repE0EEENS1_30default_config_static_selectorELNS0_4arch9wavefront6targetE1EEEvSL_,@function
_ZN7rocprim17ROCPRIM_400000_NS6detail17trampoline_kernelINS0_14default_configENS1_22reduce_config_selectorIiEEZNS1_11reduce_implILb1ES3_N6thrust23THRUST_200600_302600_NS11hip_rocprim35transform_pair_of_input_iterators_tIiPfSB_NS8_12not_equal_toIfEEEEPiiNS8_4plusIiEEEE10hipError_tPvRmT1_T2_T3_mT4_P12ihipStream_tbEUlT_E1_NS1_11comp_targetILNS1_3genE9ELNS1_11target_archE1100ELNS1_3gpuE3ELNS1_3repE0EEENS1_30default_config_static_selectorELNS0_4arch9wavefront6targetE1EEEvSL_: ; @_ZN7rocprim17ROCPRIM_400000_NS6detail17trampoline_kernelINS0_14default_configENS1_22reduce_config_selectorIiEEZNS1_11reduce_implILb1ES3_N6thrust23THRUST_200600_302600_NS11hip_rocprim35transform_pair_of_input_iterators_tIiPfSB_NS8_12not_equal_toIfEEEEPiiNS8_4plusIiEEEE10hipError_tPvRmT1_T2_T3_mT4_P12ihipStream_tbEUlT_E1_NS1_11comp_targetILNS1_3genE9ELNS1_11target_archE1100ELNS1_3gpuE3ELNS1_3repE0EEENS1_30default_config_static_selectorELNS0_4arch9wavefront6targetE1EEEvSL_
; %bb.0:
	.section	.rodata,"a",@progbits
	.p2align	6, 0x0
	.amdhsa_kernel _ZN7rocprim17ROCPRIM_400000_NS6detail17trampoline_kernelINS0_14default_configENS1_22reduce_config_selectorIiEEZNS1_11reduce_implILb1ES3_N6thrust23THRUST_200600_302600_NS11hip_rocprim35transform_pair_of_input_iterators_tIiPfSB_NS8_12not_equal_toIfEEEEPiiNS8_4plusIiEEEE10hipError_tPvRmT1_T2_T3_mT4_P12ihipStream_tbEUlT_E1_NS1_11comp_targetILNS1_3genE9ELNS1_11target_archE1100ELNS1_3gpuE3ELNS1_3repE0EEENS1_30default_config_static_selectorELNS0_4arch9wavefront6targetE1EEEvSL_
		.amdhsa_group_segment_fixed_size 0
		.amdhsa_private_segment_fixed_size 0
		.amdhsa_kernarg_size 56
		.amdhsa_user_sgpr_count 6
		.amdhsa_user_sgpr_private_segment_buffer 1
		.amdhsa_user_sgpr_dispatch_ptr 0
		.amdhsa_user_sgpr_queue_ptr 0
		.amdhsa_user_sgpr_kernarg_segment_ptr 1
		.amdhsa_user_sgpr_dispatch_id 0
		.amdhsa_user_sgpr_flat_scratch_init 0
		.amdhsa_user_sgpr_private_segment_size 0
		.amdhsa_uses_dynamic_stack 0
		.amdhsa_system_sgpr_private_segment_wavefront_offset 0
		.amdhsa_system_sgpr_workgroup_id_x 1
		.amdhsa_system_sgpr_workgroup_id_y 0
		.amdhsa_system_sgpr_workgroup_id_z 0
		.amdhsa_system_sgpr_workgroup_info 0
		.amdhsa_system_vgpr_workitem_id 0
		.amdhsa_next_free_vgpr 1
		.amdhsa_next_free_sgpr 0
		.amdhsa_reserve_vcc 0
		.amdhsa_reserve_flat_scratch 0
		.amdhsa_float_round_mode_32 0
		.amdhsa_float_round_mode_16_64 0
		.amdhsa_float_denorm_mode_32 3
		.amdhsa_float_denorm_mode_16_64 3
		.amdhsa_dx10_clamp 1
		.amdhsa_ieee_mode 1
		.amdhsa_fp16_overflow 0
		.amdhsa_exception_fp_ieee_invalid_op 0
		.amdhsa_exception_fp_denorm_src 0
		.amdhsa_exception_fp_ieee_div_zero 0
		.amdhsa_exception_fp_ieee_overflow 0
		.amdhsa_exception_fp_ieee_underflow 0
		.amdhsa_exception_fp_ieee_inexact 0
		.amdhsa_exception_int_div_zero 0
	.end_amdhsa_kernel
	.section	.text._ZN7rocprim17ROCPRIM_400000_NS6detail17trampoline_kernelINS0_14default_configENS1_22reduce_config_selectorIiEEZNS1_11reduce_implILb1ES3_N6thrust23THRUST_200600_302600_NS11hip_rocprim35transform_pair_of_input_iterators_tIiPfSB_NS8_12not_equal_toIfEEEEPiiNS8_4plusIiEEEE10hipError_tPvRmT1_T2_T3_mT4_P12ihipStream_tbEUlT_E1_NS1_11comp_targetILNS1_3genE9ELNS1_11target_archE1100ELNS1_3gpuE3ELNS1_3repE0EEENS1_30default_config_static_selectorELNS0_4arch9wavefront6targetE1EEEvSL_,"axG",@progbits,_ZN7rocprim17ROCPRIM_400000_NS6detail17trampoline_kernelINS0_14default_configENS1_22reduce_config_selectorIiEEZNS1_11reduce_implILb1ES3_N6thrust23THRUST_200600_302600_NS11hip_rocprim35transform_pair_of_input_iterators_tIiPfSB_NS8_12not_equal_toIfEEEEPiiNS8_4plusIiEEEE10hipError_tPvRmT1_T2_T3_mT4_P12ihipStream_tbEUlT_E1_NS1_11comp_targetILNS1_3genE9ELNS1_11target_archE1100ELNS1_3gpuE3ELNS1_3repE0EEENS1_30default_config_static_selectorELNS0_4arch9wavefront6targetE1EEEvSL_,comdat
.Lfunc_end1904:
	.size	_ZN7rocprim17ROCPRIM_400000_NS6detail17trampoline_kernelINS0_14default_configENS1_22reduce_config_selectorIiEEZNS1_11reduce_implILb1ES3_N6thrust23THRUST_200600_302600_NS11hip_rocprim35transform_pair_of_input_iterators_tIiPfSB_NS8_12not_equal_toIfEEEEPiiNS8_4plusIiEEEE10hipError_tPvRmT1_T2_T3_mT4_P12ihipStream_tbEUlT_E1_NS1_11comp_targetILNS1_3genE9ELNS1_11target_archE1100ELNS1_3gpuE3ELNS1_3repE0EEENS1_30default_config_static_selectorELNS0_4arch9wavefront6targetE1EEEvSL_, .Lfunc_end1904-_ZN7rocprim17ROCPRIM_400000_NS6detail17trampoline_kernelINS0_14default_configENS1_22reduce_config_selectorIiEEZNS1_11reduce_implILb1ES3_N6thrust23THRUST_200600_302600_NS11hip_rocprim35transform_pair_of_input_iterators_tIiPfSB_NS8_12not_equal_toIfEEEEPiiNS8_4plusIiEEEE10hipError_tPvRmT1_T2_T3_mT4_P12ihipStream_tbEUlT_E1_NS1_11comp_targetILNS1_3genE9ELNS1_11target_archE1100ELNS1_3gpuE3ELNS1_3repE0EEENS1_30default_config_static_selectorELNS0_4arch9wavefront6targetE1EEEvSL_
                                        ; -- End function
	.set _ZN7rocprim17ROCPRIM_400000_NS6detail17trampoline_kernelINS0_14default_configENS1_22reduce_config_selectorIiEEZNS1_11reduce_implILb1ES3_N6thrust23THRUST_200600_302600_NS11hip_rocprim35transform_pair_of_input_iterators_tIiPfSB_NS8_12not_equal_toIfEEEEPiiNS8_4plusIiEEEE10hipError_tPvRmT1_T2_T3_mT4_P12ihipStream_tbEUlT_E1_NS1_11comp_targetILNS1_3genE9ELNS1_11target_archE1100ELNS1_3gpuE3ELNS1_3repE0EEENS1_30default_config_static_selectorELNS0_4arch9wavefront6targetE1EEEvSL_.num_vgpr, 0
	.set _ZN7rocprim17ROCPRIM_400000_NS6detail17trampoline_kernelINS0_14default_configENS1_22reduce_config_selectorIiEEZNS1_11reduce_implILb1ES3_N6thrust23THRUST_200600_302600_NS11hip_rocprim35transform_pair_of_input_iterators_tIiPfSB_NS8_12not_equal_toIfEEEEPiiNS8_4plusIiEEEE10hipError_tPvRmT1_T2_T3_mT4_P12ihipStream_tbEUlT_E1_NS1_11comp_targetILNS1_3genE9ELNS1_11target_archE1100ELNS1_3gpuE3ELNS1_3repE0EEENS1_30default_config_static_selectorELNS0_4arch9wavefront6targetE1EEEvSL_.num_agpr, 0
	.set _ZN7rocprim17ROCPRIM_400000_NS6detail17trampoline_kernelINS0_14default_configENS1_22reduce_config_selectorIiEEZNS1_11reduce_implILb1ES3_N6thrust23THRUST_200600_302600_NS11hip_rocprim35transform_pair_of_input_iterators_tIiPfSB_NS8_12not_equal_toIfEEEEPiiNS8_4plusIiEEEE10hipError_tPvRmT1_T2_T3_mT4_P12ihipStream_tbEUlT_E1_NS1_11comp_targetILNS1_3genE9ELNS1_11target_archE1100ELNS1_3gpuE3ELNS1_3repE0EEENS1_30default_config_static_selectorELNS0_4arch9wavefront6targetE1EEEvSL_.numbered_sgpr, 0
	.set _ZN7rocprim17ROCPRIM_400000_NS6detail17trampoline_kernelINS0_14default_configENS1_22reduce_config_selectorIiEEZNS1_11reduce_implILb1ES3_N6thrust23THRUST_200600_302600_NS11hip_rocprim35transform_pair_of_input_iterators_tIiPfSB_NS8_12not_equal_toIfEEEEPiiNS8_4plusIiEEEE10hipError_tPvRmT1_T2_T3_mT4_P12ihipStream_tbEUlT_E1_NS1_11comp_targetILNS1_3genE9ELNS1_11target_archE1100ELNS1_3gpuE3ELNS1_3repE0EEENS1_30default_config_static_selectorELNS0_4arch9wavefront6targetE1EEEvSL_.num_named_barrier, 0
	.set _ZN7rocprim17ROCPRIM_400000_NS6detail17trampoline_kernelINS0_14default_configENS1_22reduce_config_selectorIiEEZNS1_11reduce_implILb1ES3_N6thrust23THRUST_200600_302600_NS11hip_rocprim35transform_pair_of_input_iterators_tIiPfSB_NS8_12not_equal_toIfEEEEPiiNS8_4plusIiEEEE10hipError_tPvRmT1_T2_T3_mT4_P12ihipStream_tbEUlT_E1_NS1_11comp_targetILNS1_3genE9ELNS1_11target_archE1100ELNS1_3gpuE3ELNS1_3repE0EEENS1_30default_config_static_selectorELNS0_4arch9wavefront6targetE1EEEvSL_.private_seg_size, 0
	.set _ZN7rocprim17ROCPRIM_400000_NS6detail17trampoline_kernelINS0_14default_configENS1_22reduce_config_selectorIiEEZNS1_11reduce_implILb1ES3_N6thrust23THRUST_200600_302600_NS11hip_rocprim35transform_pair_of_input_iterators_tIiPfSB_NS8_12not_equal_toIfEEEEPiiNS8_4plusIiEEEE10hipError_tPvRmT1_T2_T3_mT4_P12ihipStream_tbEUlT_E1_NS1_11comp_targetILNS1_3genE9ELNS1_11target_archE1100ELNS1_3gpuE3ELNS1_3repE0EEENS1_30default_config_static_selectorELNS0_4arch9wavefront6targetE1EEEvSL_.uses_vcc, 0
	.set _ZN7rocprim17ROCPRIM_400000_NS6detail17trampoline_kernelINS0_14default_configENS1_22reduce_config_selectorIiEEZNS1_11reduce_implILb1ES3_N6thrust23THRUST_200600_302600_NS11hip_rocprim35transform_pair_of_input_iterators_tIiPfSB_NS8_12not_equal_toIfEEEEPiiNS8_4plusIiEEEE10hipError_tPvRmT1_T2_T3_mT4_P12ihipStream_tbEUlT_E1_NS1_11comp_targetILNS1_3genE9ELNS1_11target_archE1100ELNS1_3gpuE3ELNS1_3repE0EEENS1_30default_config_static_selectorELNS0_4arch9wavefront6targetE1EEEvSL_.uses_flat_scratch, 0
	.set _ZN7rocprim17ROCPRIM_400000_NS6detail17trampoline_kernelINS0_14default_configENS1_22reduce_config_selectorIiEEZNS1_11reduce_implILb1ES3_N6thrust23THRUST_200600_302600_NS11hip_rocprim35transform_pair_of_input_iterators_tIiPfSB_NS8_12not_equal_toIfEEEEPiiNS8_4plusIiEEEE10hipError_tPvRmT1_T2_T3_mT4_P12ihipStream_tbEUlT_E1_NS1_11comp_targetILNS1_3genE9ELNS1_11target_archE1100ELNS1_3gpuE3ELNS1_3repE0EEENS1_30default_config_static_selectorELNS0_4arch9wavefront6targetE1EEEvSL_.has_dyn_sized_stack, 0
	.set _ZN7rocprim17ROCPRIM_400000_NS6detail17trampoline_kernelINS0_14default_configENS1_22reduce_config_selectorIiEEZNS1_11reduce_implILb1ES3_N6thrust23THRUST_200600_302600_NS11hip_rocprim35transform_pair_of_input_iterators_tIiPfSB_NS8_12not_equal_toIfEEEEPiiNS8_4plusIiEEEE10hipError_tPvRmT1_T2_T3_mT4_P12ihipStream_tbEUlT_E1_NS1_11comp_targetILNS1_3genE9ELNS1_11target_archE1100ELNS1_3gpuE3ELNS1_3repE0EEENS1_30default_config_static_selectorELNS0_4arch9wavefront6targetE1EEEvSL_.has_recursion, 0
	.set _ZN7rocprim17ROCPRIM_400000_NS6detail17trampoline_kernelINS0_14default_configENS1_22reduce_config_selectorIiEEZNS1_11reduce_implILb1ES3_N6thrust23THRUST_200600_302600_NS11hip_rocprim35transform_pair_of_input_iterators_tIiPfSB_NS8_12not_equal_toIfEEEEPiiNS8_4plusIiEEEE10hipError_tPvRmT1_T2_T3_mT4_P12ihipStream_tbEUlT_E1_NS1_11comp_targetILNS1_3genE9ELNS1_11target_archE1100ELNS1_3gpuE3ELNS1_3repE0EEENS1_30default_config_static_selectorELNS0_4arch9wavefront6targetE1EEEvSL_.has_indirect_call, 0
	.section	.AMDGPU.csdata,"",@progbits
; Kernel info:
; codeLenInByte = 0
; TotalNumSgprs: 4
; NumVgprs: 0
; ScratchSize: 0
; MemoryBound: 0
; FloatMode: 240
; IeeeMode: 1
; LDSByteSize: 0 bytes/workgroup (compile time only)
; SGPRBlocks: 0
; VGPRBlocks: 0
; NumSGPRsForWavesPerEU: 4
; NumVGPRsForWavesPerEU: 1
; Occupancy: 10
; WaveLimiterHint : 0
; COMPUTE_PGM_RSRC2:SCRATCH_EN: 0
; COMPUTE_PGM_RSRC2:USER_SGPR: 6
; COMPUTE_PGM_RSRC2:TRAP_HANDLER: 0
; COMPUTE_PGM_RSRC2:TGID_X_EN: 1
; COMPUTE_PGM_RSRC2:TGID_Y_EN: 0
; COMPUTE_PGM_RSRC2:TGID_Z_EN: 0
; COMPUTE_PGM_RSRC2:TIDIG_COMP_CNT: 0
	.section	.text._ZN7rocprim17ROCPRIM_400000_NS6detail17trampoline_kernelINS0_14default_configENS1_22reduce_config_selectorIiEEZNS1_11reduce_implILb1ES3_N6thrust23THRUST_200600_302600_NS11hip_rocprim35transform_pair_of_input_iterators_tIiPfSB_NS8_12not_equal_toIfEEEEPiiNS8_4plusIiEEEE10hipError_tPvRmT1_T2_T3_mT4_P12ihipStream_tbEUlT_E1_NS1_11comp_targetILNS1_3genE8ELNS1_11target_archE1030ELNS1_3gpuE2ELNS1_3repE0EEENS1_30default_config_static_selectorELNS0_4arch9wavefront6targetE1EEEvSL_,"axG",@progbits,_ZN7rocprim17ROCPRIM_400000_NS6detail17trampoline_kernelINS0_14default_configENS1_22reduce_config_selectorIiEEZNS1_11reduce_implILb1ES3_N6thrust23THRUST_200600_302600_NS11hip_rocprim35transform_pair_of_input_iterators_tIiPfSB_NS8_12not_equal_toIfEEEEPiiNS8_4plusIiEEEE10hipError_tPvRmT1_T2_T3_mT4_P12ihipStream_tbEUlT_E1_NS1_11comp_targetILNS1_3genE8ELNS1_11target_archE1030ELNS1_3gpuE2ELNS1_3repE0EEENS1_30default_config_static_selectorELNS0_4arch9wavefront6targetE1EEEvSL_,comdat
	.protected	_ZN7rocprim17ROCPRIM_400000_NS6detail17trampoline_kernelINS0_14default_configENS1_22reduce_config_selectorIiEEZNS1_11reduce_implILb1ES3_N6thrust23THRUST_200600_302600_NS11hip_rocprim35transform_pair_of_input_iterators_tIiPfSB_NS8_12not_equal_toIfEEEEPiiNS8_4plusIiEEEE10hipError_tPvRmT1_T2_T3_mT4_P12ihipStream_tbEUlT_E1_NS1_11comp_targetILNS1_3genE8ELNS1_11target_archE1030ELNS1_3gpuE2ELNS1_3repE0EEENS1_30default_config_static_selectorELNS0_4arch9wavefront6targetE1EEEvSL_ ; -- Begin function _ZN7rocprim17ROCPRIM_400000_NS6detail17trampoline_kernelINS0_14default_configENS1_22reduce_config_selectorIiEEZNS1_11reduce_implILb1ES3_N6thrust23THRUST_200600_302600_NS11hip_rocprim35transform_pair_of_input_iterators_tIiPfSB_NS8_12not_equal_toIfEEEEPiiNS8_4plusIiEEEE10hipError_tPvRmT1_T2_T3_mT4_P12ihipStream_tbEUlT_E1_NS1_11comp_targetILNS1_3genE8ELNS1_11target_archE1030ELNS1_3gpuE2ELNS1_3repE0EEENS1_30default_config_static_selectorELNS0_4arch9wavefront6targetE1EEEvSL_
	.globl	_ZN7rocprim17ROCPRIM_400000_NS6detail17trampoline_kernelINS0_14default_configENS1_22reduce_config_selectorIiEEZNS1_11reduce_implILb1ES3_N6thrust23THRUST_200600_302600_NS11hip_rocprim35transform_pair_of_input_iterators_tIiPfSB_NS8_12not_equal_toIfEEEEPiiNS8_4plusIiEEEE10hipError_tPvRmT1_T2_T3_mT4_P12ihipStream_tbEUlT_E1_NS1_11comp_targetILNS1_3genE8ELNS1_11target_archE1030ELNS1_3gpuE2ELNS1_3repE0EEENS1_30default_config_static_selectorELNS0_4arch9wavefront6targetE1EEEvSL_
	.p2align	8
	.type	_ZN7rocprim17ROCPRIM_400000_NS6detail17trampoline_kernelINS0_14default_configENS1_22reduce_config_selectorIiEEZNS1_11reduce_implILb1ES3_N6thrust23THRUST_200600_302600_NS11hip_rocprim35transform_pair_of_input_iterators_tIiPfSB_NS8_12not_equal_toIfEEEEPiiNS8_4plusIiEEEE10hipError_tPvRmT1_T2_T3_mT4_P12ihipStream_tbEUlT_E1_NS1_11comp_targetILNS1_3genE8ELNS1_11target_archE1030ELNS1_3gpuE2ELNS1_3repE0EEENS1_30default_config_static_selectorELNS0_4arch9wavefront6targetE1EEEvSL_,@function
_ZN7rocprim17ROCPRIM_400000_NS6detail17trampoline_kernelINS0_14default_configENS1_22reduce_config_selectorIiEEZNS1_11reduce_implILb1ES3_N6thrust23THRUST_200600_302600_NS11hip_rocprim35transform_pair_of_input_iterators_tIiPfSB_NS8_12not_equal_toIfEEEEPiiNS8_4plusIiEEEE10hipError_tPvRmT1_T2_T3_mT4_P12ihipStream_tbEUlT_E1_NS1_11comp_targetILNS1_3genE8ELNS1_11target_archE1030ELNS1_3gpuE2ELNS1_3repE0EEENS1_30default_config_static_selectorELNS0_4arch9wavefront6targetE1EEEvSL_: ; @_ZN7rocprim17ROCPRIM_400000_NS6detail17trampoline_kernelINS0_14default_configENS1_22reduce_config_selectorIiEEZNS1_11reduce_implILb1ES3_N6thrust23THRUST_200600_302600_NS11hip_rocprim35transform_pair_of_input_iterators_tIiPfSB_NS8_12not_equal_toIfEEEEPiiNS8_4plusIiEEEE10hipError_tPvRmT1_T2_T3_mT4_P12ihipStream_tbEUlT_E1_NS1_11comp_targetILNS1_3genE8ELNS1_11target_archE1030ELNS1_3gpuE2ELNS1_3repE0EEENS1_30default_config_static_selectorELNS0_4arch9wavefront6targetE1EEEvSL_
; %bb.0:
	.section	.rodata,"a",@progbits
	.p2align	6, 0x0
	.amdhsa_kernel _ZN7rocprim17ROCPRIM_400000_NS6detail17trampoline_kernelINS0_14default_configENS1_22reduce_config_selectorIiEEZNS1_11reduce_implILb1ES3_N6thrust23THRUST_200600_302600_NS11hip_rocprim35transform_pair_of_input_iterators_tIiPfSB_NS8_12not_equal_toIfEEEEPiiNS8_4plusIiEEEE10hipError_tPvRmT1_T2_T3_mT4_P12ihipStream_tbEUlT_E1_NS1_11comp_targetILNS1_3genE8ELNS1_11target_archE1030ELNS1_3gpuE2ELNS1_3repE0EEENS1_30default_config_static_selectorELNS0_4arch9wavefront6targetE1EEEvSL_
		.amdhsa_group_segment_fixed_size 0
		.amdhsa_private_segment_fixed_size 0
		.amdhsa_kernarg_size 56
		.amdhsa_user_sgpr_count 6
		.amdhsa_user_sgpr_private_segment_buffer 1
		.amdhsa_user_sgpr_dispatch_ptr 0
		.amdhsa_user_sgpr_queue_ptr 0
		.amdhsa_user_sgpr_kernarg_segment_ptr 1
		.amdhsa_user_sgpr_dispatch_id 0
		.amdhsa_user_sgpr_flat_scratch_init 0
		.amdhsa_user_sgpr_private_segment_size 0
		.amdhsa_uses_dynamic_stack 0
		.amdhsa_system_sgpr_private_segment_wavefront_offset 0
		.amdhsa_system_sgpr_workgroup_id_x 1
		.amdhsa_system_sgpr_workgroup_id_y 0
		.amdhsa_system_sgpr_workgroup_id_z 0
		.amdhsa_system_sgpr_workgroup_info 0
		.amdhsa_system_vgpr_workitem_id 0
		.amdhsa_next_free_vgpr 1
		.amdhsa_next_free_sgpr 0
		.amdhsa_reserve_vcc 0
		.amdhsa_reserve_flat_scratch 0
		.amdhsa_float_round_mode_32 0
		.amdhsa_float_round_mode_16_64 0
		.amdhsa_float_denorm_mode_32 3
		.amdhsa_float_denorm_mode_16_64 3
		.amdhsa_dx10_clamp 1
		.amdhsa_ieee_mode 1
		.amdhsa_fp16_overflow 0
		.amdhsa_exception_fp_ieee_invalid_op 0
		.amdhsa_exception_fp_denorm_src 0
		.amdhsa_exception_fp_ieee_div_zero 0
		.amdhsa_exception_fp_ieee_overflow 0
		.amdhsa_exception_fp_ieee_underflow 0
		.amdhsa_exception_fp_ieee_inexact 0
		.amdhsa_exception_int_div_zero 0
	.end_amdhsa_kernel
	.section	.text._ZN7rocprim17ROCPRIM_400000_NS6detail17trampoline_kernelINS0_14default_configENS1_22reduce_config_selectorIiEEZNS1_11reduce_implILb1ES3_N6thrust23THRUST_200600_302600_NS11hip_rocprim35transform_pair_of_input_iterators_tIiPfSB_NS8_12not_equal_toIfEEEEPiiNS8_4plusIiEEEE10hipError_tPvRmT1_T2_T3_mT4_P12ihipStream_tbEUlT_E1_NS1_11comp_targetILNS1_3genE8ELNS1_11target_archE1030ELNS1_3gpuE2ELNS1_3repE0EEENS1_30default_config_static_selectorELNS0_4arch9wavefront6targetE1EEEvSL_,"axG",@progbits,_ZN7rocprim17ROCPRIM_400000_NS6detail17trampoline_kernelINS0_14default_configENS1_22reduce_config_selectorIiEEZNS1_11reduce_implILb1ES3_N6thrust23THRUST_200600_302600_NS11hip_rocprim35transform_pair_of_input_iterators_tIiPfSB_NS8_12not_equal_toIfEEEEPiiNS8_4plusIiEEEE10hipError_tPvRmT1_T2_T3_mT4_P12ihipStream_tbEUlT_E1_NS1_11comp_targetILNS1_3genE8ELNS1_11target_archE1030ELNS1_3gpuE2ELNS1_3repE0EEENS1_30default_config_static_selectorELNS0_4arch9wavefront6targetE1EEEvSL_,comdat
.Lfunc_end1905:
	.size	_ZN7rocprim17ROCPRIM_400000_NS6detail17trampoline_kernelINS0_14default_configENS1_22reduce_config_selectorIiEEZNS1_11reduce_implILb1ES3_N6thrust23THRUST_200600_302600_NS11hip_rocprim35transform_pair_of_input_iterators_tIiPfSB_NS8_12not_equal_toIfEEEEPiiNS8_4plusIiEEEE10hipError_tPvRmT1_T2_T3_mT4_P12ihipStream_tbEUlT_E1_NS1_11comp_targetILNS1_3genE8ELNS1_11target_archE1030ELNS1_3gpuE2ELNS1_3repE0EEENS1_30default_config_static_selectorELNS0_4arch9wavefront6targetE1EEEvSL_, .Lfunc_end1905-_ZN7rocprim17ROCPRIM_400000_NS6detail17trampoline_kernelINS0_14default_configENS1_22reduce_config_selectorIiEEZNS1_11reduce_implILb1ES3_N6thrust23THRUST_200600_302600_NS11hip_rocprim35transform_pair_of_input_iterators_tIiPfSB_NS8_12not_equal_toIfEEEEPiiNS8_4plusIiEEEE10hipError_tPvRmT1_T2_T3_mT4_P12ihipStream_tbEUlT_E1_NS1_11comp_targetILNS1_3genE8ELNS1_11target_archE1030ELNS1_3gpuE2ELNS1_3repE0EEENS1_30default_config_static_selectorELNS0_4arch9wavefront6targetE1EEEvSL_
                                        ; -- End function
	.set _ZN7rocprim17ROCPRIM_400000_NS6detail17trampoline_kernelINS0_14default_configENS1_22reduce_config_selectorIiEEZNS1_11reduce_implILb1ES3_N6thrust23THRUST_200600_302600_NS11hip_rocprim35transform_pair_of_input_iterators_tIiPfSB_NS8_12not_equal_toIfEEEEPiiNS8_4plusIiEEEE10hipError_tPvRmT1_T2_T3_mT4_P12ihipStream_tbEUlT_E1_NS1_11comp_targetILNS1_3genE8ELNS1_11target_archE1030ELNS1_3gpuE2ELNS1_3repE0EEENS1_30default_config_static_selectorELNS0_4arch9wavefront6targetE1EEEvSL_.num_vgpr, 0
	.set _ZN7rocprim17ROCPRIM_400000_NS6detail17trampoline_kernelINS0_14default_configENS1_22reduce_config_selectorIiEEZNS1_11reduce_implILb1ES3_N6thrust23THRUST_200600_302600_NS11hip_rocprim35transform_pair_of_input_iterators_tIiPfSB_NS8_12not_equal_toIfEEEEPiiNS8_4plusIiEEEE10hipError_tPvRmT1_T2_T3_mT4_P12ihipStream_tbEUlT_E1_NS1_11comp_targetILNS1_3genE8ELNS1_11target_archE1030ELNS1_3gpuE2ELNS1_3repE0EEENS1_30default_config_static_selectorELNS0_4arch9wavefront6targetE1EEEvSL_.num_agpr, 0
	.set _ZN7rocprim17ROCPRIM_400000_NS6detail17trampoline_kernelINS0_14default_configENS1_22reduce_config_selectorIiEEZNS1_11reduce_implILb1ES3_N6thrust23THRUST_200600_302600_NS11hip_rocprim35transform_pair_of_input_iterators_tIiPfSB_NS8_12not_equal_toIfEEEEPiiNS8_4plusIiEEEE10hipError_tPvRmT1_T2_T3_mT4_P12ihipStream_tbEUlT_E1_NS1_11comp_targetILNS1_3genE8ELNS1_11target_archE1030ELNS1_3gpuE2ELNS1_3repE0EEENS1_30default_config_static_selectorELNS0_4arch9wavefront6targetE1EEEvSL_.numbered_sgpr, 0
	.set _ZN7rocprim17ROCPRIM_400000_NS6detail17trampoline_kernelINS0_14default_configENS1_22reduce_config_selectorIiEEZNS1_11reduce_implILb1ES3_N6thrust23THRUST_200600_302600_NS11hip_rocprim35transform_pair_of_input_iterators_tIiPfSB_NS8_12not_equal_toIfEEEEPiiNS8_4plusIiEEEE10hipError_tPvRmT1_T2_T3_mT4_P12ihipStream_tbEUlT_E1_NS1_11comp_targetILNS1_3genE8ELNS1_11target_archE1030ELNS1_3gpuE2ELNS1_3repE0EEENS1_30default_config_static_selectorELNS0_4arch9wavefront6targetE1EEEvSL_.num_named_barrier, 0
	.set _ZN7rocprim17ROCPRIM_400000_NS6detail17trampoline_kernelINS0_14default_configENS1_22reduce_config_selectorIiEEZNS1_11reduce_implILb1ES3_N6thrust23THRUST_200600_302600_NS11hip_rocprim35transform_pair_of_input_iterators_tIiPfSB_NS8_12not_equal_toIfEEEEPiiNS8_4plusIiEEEE10hipError_tPvRmT1_T2_T3_mT4_P12ihipStream_tbEUlT_E1_NS1_11comp_targetILNS1_3genE8ELNS1_11target_archE1030ELNS1_3gpuE2ELNS1_3repE0EEENS1_30default_config_static_selectorELNS0_4arch9wavefront6targetE1EEEvSL_.private_seg_size, 0
	.set _ZN7rocprim17ROCPRIM_400000_NS6detail17trampoline_kernelINS0_14default_configENS1_22reduce_config_selectorIiEEZNS1_11reduce_implILb1ES3_N6thrust23THRUST_200600_302600_NS11hip_rocprim35transform_pair_of_input_iterators_tIiPfSB_NS8_12not_equal_toIfEEEEPiiNS8_4plusIiEEEE10hipError_tPvRmT1_T2_T3_mT4_P12ihipStream_tbEUlT_E1_NS1_11comp_targetILNS1_3genE8ELNS1_11target_archE1030ELNS1_3gpuE2ELNS1_3repE0EEENS1_30default_config_static_selectorELNS0_4arch9wavefront6targetE1EEEvSL_.uses_vcc, 0
	.set _ZN7rocprim17ROCPRIM_400000_NS6detail17trampoline_kernelINS0_14default_configENS1_22reduce_config_selectorIiEEZNS1_11reduce_implILb1ES3_N6thrust23THRUST_200600_302600_NS11hip_rocprim35transform_pair_of_input_iterators_tIiPfSB_NS8_12not_equal_toIfEEEEPiiNS8_4plusIiEEEE10hipError_tPvRmT1_T2_T3_mT4_P12ihipStream_tbEUlT_E1_NS1_11comp_targetILNS1_3genE8ELNS1_11target_archE1030ELNS1_3gpuE2ELNS1_3repE0EEENS1_30default_config_static_selectorELNS0_4arch9wavefront6targetE1EEEvSL_.uses_flat_scratch, 0
	.set _ZN7rocprim17ROCPRIM_400000_NS6detail17trampoline_kernelINS0_14default_configENS1_22reduce_config_selectorIiEEZNS1_11reduce_implILb1ES3_N6thrust23THRUST_200600_302600_NS11hip_rocprim35transform_pair_of_input_iterators_tIiPfSB_NS8_12not_equal_toIfEEEEPiiNS8_4plusIiEEEE10hipError_tPvRmT1_T2_T3_mT4_P12ihipStream_tbEUlT_E1_NS1_11comp_targetILNS1_3genE8ELNS1_11target_archE1030ELNS1_3gpuE2ELNS1_3repE0EEENS1_30default_config_static_selectorELNS0_4arch9wavefront6targetE1EEEvSL_.has_dyn_sized_stack, 0
	.set _ZN7rocprim17ROCPRIM_400000_NS6detail17trampoline_kernelINS0_14default_configENS1_22reduce_config_selectorIiEEZNS1_11reduce_implILb1ES3_N6thrust23THRUST_200600_302600_NS11hip_rocprim35transform_pair_of_input_iterators_tIiPfSB_NS8_12not_equal_toIfEEEEPiiNS8_4plusIiEEEE10hipError_tPvRmT1_T2_T3_mT4_P12ihipStream_tbEUlT_E1_NS1_11comp_targetILNS1_3genE8ELNS1_11target_archE1030ELNS1_3gpuE2ELNS1_3repE0EEENS1_30default_config_static_selectorELNS0_4arch9wavefront6targetE1EEEvSL_.has_recursion, 0
	.set _ZN7rocprim17ROCPRIM_400000_NS6detail17trampoline_kernelINS0_14default_configENS1_22reduce_config_selectorIiEEZNS1_11reduce_implILb1ES3_N6thrust23THRUST_200600_302600_NS11hip_rocprim35transform_pair_of_input_iterators_tIiPfSB_NS8_12not_equal_toIfEEEEPiiNS8_4plusIiEEEE10hipError_tPvRmT1_T2_T3_mT4_P12ihipStream_tbEUlT_E1_NS1_11comp_targetILNS1_3genE8ELNS1_11target_archE1030ELNS1_3gpuE2ELNS1_3repE0EEENS1_30default_config_static_selectorELNS0_4arch9wavefront6targetE1EEEvSL_.has_indirect_call, 0
	.section	.AMDGPU.csdata,"",@progbits
; Kernel info:
; codeLenInByte = 0
; TotalNumSgprs: 4
; NumVgprs: 0
; ScratchSize: 0
; MemoryBound: 0
; FloatMode: 240
; IeeeMode: 1
; LDSByteSize: 0 bytes/workgroup (compile time only)
; SGPRBlocks: 0
; VGPRBlocks: 0
; NumSGPRsForWavesPerEU: 4
; NumVGPRsForWavesPerEU: 1
; Occupancy: 10
; WaveLimiterHint : 0
; COMPUTE_PGM_RSRC2:SCRATCH_EN: 0
; COMPUTE_PGM_RSRC2:USER_SGPR: 6
; COMPUTE_PGM_RSRC2:TRAP_HANDLER: 0
; COMPUTE_PGM_RSRC2:TGID_X_EN: 1
; COMPUTE_PGM_RSRC2:TGID_Y_EN: 0
; COMPUTE_PGM_RSRC2:TGID_Z_EN: 0
; COMPUTE_PGM_RSRC2:TIDIG_COMP_CNT: 0
	.section	.text._ZN7rocprim17ROCPRIM_400000_NS6detail17trampoline_kernelINS0_14default_configENS1_29reduce_by_key_config_selectorIflN6thrust23THRUST_200600_302600_NS4plusIlEEEEZZNS1_33reduce_by_key_impl_wrapped_configILNS1_25lookback_scan_determinismE0ES3_S9_PfNS6_17constant_iteratorIiNS6_11use_defaultESE_EENS6_10device_ptrIfEENSG_IlEEPmS8_NS6_8equal_toIfEEEE10hipError_tPvRmT2_T3_mT4_T5_T6_T7_T8_P12ihipStream_tbENKUlT_T0_E_clISt17integral_constantIbLb0EES13_EEDaSY_SZ_EUlSY_E_NS1_11comp_targetILNS1_3genE0ELNS1_11target_archE4294967295ELNS1_3gpuE0ELNS1_3repE0EEENS1_30default_config_static_selectorELNS0_4arch9wavefront6targetE1EEEvT1_,"axG",@progbits,_ZN7rocprim17ROCPRIM_400000_NS6detail17trampoline_kernelINS0_14default_configENS1_29reduce_by_key_config_selectorIflN6thrust23THRUST_200600_302600_NS4plusIlEEEEZZNS1_33reduce_by_key_impl_wrapped_configILNS1_25lookback_scan_determinismE0ES3_S9_PfNS6_17constant_iteratorIiNS6_11use_defaultESE_EENS6_10device_ptrIfEENSG_IlEEPmS8_NS6_8equal_toIfEEEE10hipError_tPvRmT2_T3_mT4_T5_T6_T7_T8_P12ihipStream_tbENKUlT_T0_E_clISt17integral_constantIbLb0EES13_EEDaSY_SZ_EUlSY_E_NS1_11comp_targetILNS1_3genE0ELNS1_11target_archE4294967295ELNS1_3gpuE0ELNS1_3repE0EEENS1_30default_config_static_selectorELNS0_4arch9wavefront6targetE1EEEvT1_,comdat
	.protected	_ZN7rocprim17ROCPRIM_400000_NS6detail17trampoline_kernelINS0_14default_configENS1_29reduce_by_key_config_selectorIflN6thrust23THRUST_200600_302600_NS4plusIlEEEEZZNS1_33reduce_by_key_impl_wrapped_configILNS1_25lookback_scan_determinismE0ES3_S9_PfNS6_17constant_iteratorIiNS6_11use_defaultESE_EENS6_10device_ptrIfEENSG_IlEEPmS8_NS6_8equal_toIfEEEE10hipError_tPvRmT2_T3_mT4_T5_T6_T7_T8_P12ihipStream_tbENKUlT_T0_E_clISt17integral_constantIbLb0EES13_EEDaSY_SZ_EUlSY_E_NS1_11comp_targetILNS1_3genE0ELNS1_11target_archE4294967295ELNS1_3gpuE0ELNS1_3repE0EEENS1_30default_config_static_selectorELNS0_4arch9wavefront6targetE1EEEvT1_ ; -- Begin function _ZN7rocprim17ROCPRIM_400000_NS6detail17trampoline_kernelINS0_14default_configENS1_29reduce_by_key_config_selectorIflN6thrust23THRUST_200600_302600_NS4plusIlEEEEZZNS1_33reduce_by_key_impl_wrapped_configILNS1_25lookback_scan_determinismE0ES3_S9_PfNS6_17constant_iteratorIiNS6_11use_defaultESE_EENS6_10device_ptrIfEENSG_IlEEPmS8_NS6_8equal_toIfEEEE10hipError_tPvRmT2_T3_mT4_T5_T6_T7_T8_P12ihipStream_tbENKUlT_T0_E_clISt17integral_constantIbLb0EES13_EEDaSY_SZ_EUlSY_E_NS1_11comp_targetILNS1_3genE0ELNS1_11target_archE4294967295ELNS1_3gpuE0ELNS1_3repE0EEENS1_30default_config_static_selectorELNS0_4arch9wavefront6targetE1EEEvT1_
	.globl	_ZN7rocprim17ROCPRIM_400000_NS6detail17trampoline_kernelINS0_14default_configENS1_29reduce_by_key_config_selectorIflN6thrust23THRUST_200600_302600_NS4plusIlEEEEZZNS1_33reduce_by_key_impl_wrapped_configILNS1_25lookback_scan_determinismE0ES3_S9_PfNS6_17constant_iteratorIiNS6_11use_defaultESE_EENS6_10device_ptrIfEENSG_IlEEPmS8_NS6_8equal_toIfEEEE10hipError_tPvRmT2_T3_mT4_T5_T6_T7_T8_P12ihipStream_tbENKUlT_T0_E_clISt17integral_constantIbLb0EES13_EEDaSY_SZ_EUlSY_E_NS1_11comp_targetILNS1_3genE0ELNS1_11target_archE4294967295ELNS1_3gpuE0ELNS1_3repE0EEENS1_30default_config_static_selectorELNS0_4arch9wavefront6targetE1EEEvT1_
	.p2align	8
	.type	_ZN7rocprim17ROCPRIM_400000_NS6detail17trampoline_kernelINS0_14default_configENS1_29reduce_by_key_config_selectorIflN6thrust23THRUST_200600_302600_NS4plusIlEEEEZZNS1_33reduce_by_key_impl_wrapped_configILNS1_25lookback_scan_determinismE0ES3_S9_PfNS6_17constant_iteratorIiNS6_11use_defaultESE_EENS6_10device_ptrIfEENSG_IlEEPmS8_NS6_8equal_toIfEEEE10hipError_tPvRmT2_T3_mT4_T5_T6_T7_T8_P12ihipStream_tbENKUlT_T0_E_clISt17integral_constantIbLb0EES13_EEDaSY_SZ_EUlSY_E_NS1_11comp_targetILNS1_3genE0ELNS1_11target_archE4294967295ELNS1_3gpuE0ELNS1_3repE0EEENS1_30default_config_static_selectorELNS0_4arch9wavefront6targetE1EEEvT1_,@function
_ZN7rocprim17ROCPRIM_400000_NS6detail17trampoline_kernelINS0_14default_configENS1_29reduce_by_key_config_selectorIflN6thrust23THRUST_200600_302600_NS4plusIlEEEEZZNS1_33reduce_by_key_impl_wrapped_configILNS1_25lookback_scan_determinismE0ES3_S9_PfNS6_17constant_iteratorIiNS6_11use_defaultESE_EENS6_10device_ptrIfEENSG_IlEEPmS8_NS6_8equal_toIfEEEE10hipError_tPvRmT2_T3_mT4_T5_T6_T7_T8_P12ihipStream_tbENKUlT_T0_E_clISt17integral_constantIbLb0EES13_EEDaSY_SZ_EUlSY_E_NS1_11comp_targetILNS1_3genE0ELNS1_11target_archE4294967295ELNS1_3gpuE0ELNS1_3repE0EEENS1_30default_config_static_selectorELNS0_4arch9wavefront6targetE1EEEvT1_: ; @_ZN7rocprim17ROCPRIM_400000_NS6detail17trampoline_kernelINS0_14default_configENS1_29reduce_by_key_config_selectorIflN6thrust23THRUST_200600_302600_NS4plusIlEEEEZZNS1_33reduce_by_key_impl_wrapped_configILNS1_25lookback_scan_determinismE0ES3_S9_PfNS6_17constant_iteratorIiNS6_11use_defaultESE_EENS6_10device_ptrIfEENSG_IlEEPmS8_NS6_8equal_toIfEEEE10hipError_tPvRmT2_T3_mT4_T5_T6_T7_T8_P12ihipStream_tbENKUlT_T0_E_clISt17integral_constantIbLb0EES13_EEDaSY_SZ_EUlSY_E_NS1_11comp_targetILNS1_3genE0ELNS1_11target_archE4294967295ELNS1_3gpuE0ELNS1_3repE0EEENS1_30default_config_static_selectorELNS0_4arch9wavefront6targetE1EEEvT1_
; %bb.0:
	.section	.rodata,"a",@progbits
	.p2align	6, 0x0
	.amdhsa_kernel _ZN7rocprim17ROCPRIM_400000_NS6detail17trampoline_kernelINS0_14default_configENS1_29reduce_by_key_config_selectorIflN6thrust23THRUST_200600_302600_NS4plusIlEEEEZZNS1_33reduce_by_key_impl_wrapped_configILNS1_25lookback_scan_determinismE0ES3_S9_PfNS6_17constant_iteratorIiNS6_11use_defaultESE_EENS6_10device_ptrIfEENSG_IlEEPmS8_NS6_8equal_toIfEEEE10hipError_tPvRmT2_T3_mT4_T5_T6_T7_T8_P12ihipStream_tbENKUlT_T0_E_clISt17integral_constantIbLb0EES13_EEDaSY_SZ_EUlSY_E_NS1_11comp_targetILNS1_3genE0ELNS1_11target_archE4294967295ELNS1_3gpuE0ELNS1_3repE0EEENS1_30default_config_static_selectorELNS0_4arch9wavefront6targetE1EEEvT1_
		.amdhsa_group_segment_fixed_size 0
		.amdhsa_private_segment_fixed_size 0
		.amdhsa_kernarg_size 144
		.amdhsa_user_sgpr_count 6
		.amdhsa_user_sgpr_private_segment_buffer 1
		.amdhsa_user_sgpr_dispatch_ptr 0
		.amdhsa_user_sgpr_queue_ptr 0
		.amdhsa_user_sgpr_kernarg_segment_ptr 1
		.amdhsa_user_sgpr_dispatch_id 0
		.amdhsa_user_sgpr_flat_scratch_init 0
		.amdhsa_user_sgpr_private_segment_size 0
		.amdhsa_uses_dynamic_stack 0
		.amdhsa_system_sgpr_private_segment_wavefront_offset 0
		.amdhsa_system_sgpr_workgroup_id_x 1
		.amdhsa_system_sgpr_workgroup_id_y 0
		.amdhsa_system_sgpr_workgroup_id_z 0
		.amdhsa_system_sgpr_workgroup_info 0
		.amdhsa_system_vgpr_workitem_id 0
		.amdhsa_next_free_vgpr 1
		.amdhsa_next_free_sgpr 0
		.amdhsa_reserve_vcc 0
		.amdhsa_reserve_flat_scratch 0
		.amdhsa_float_round_mode_32 0
		.amdhsa_float_round_mode_16_64 0
		.amdhsa_float_denorm_mode_32 3
		.amdhsa_float_denorm_mode_16_64 3
		.amdhsa_dx10_clamp 1
		.amdhsa_ieee_mode 1
		.amdhsa_fp16_overflow 0
		.amdhsa_exception_fp_ieee_invalid_op 0
		.amdhsa_exception_fp_denorm_src 0
		.amdhsa_exception_fp_ieee_div_zero 0
		.amdhsa_exception_fp_ieee_overflow 0
		.amdhsa_exception_fp_ieee_underflow 0
		.amdhsa_exception_fp_ieee_inexact 0
		.amdhsa_exception_int_div_zero 0
	.end_amdhsa_kernel
	.section	.text._ZN7rocprim17ROCPRIM_400000_NS6detail17trampoline_kernelINS0_14default_configENS1_29reduce_by_key_config_selectorIflN6thrust23THRUST_200600_302600_NS4plusIlEEEEZZNS1_33reduce_by_key_impl_wrapped_configILNS1_25lookback_scan_determinismE0ES3_S9_PfNS6_17constant_iteratorIiNS6_11use_defaultESE_EENS6_10device_ptrIfEENSG_IlEEPmS8_NS6_8equal_toIfEEEE10hipError_tPvRmT2_T3_mT4_T5_T6_T7_T8_P12ihipStream_tbENKUlT_T0_E_clISt17integral_constantIbLb0EES13_EEDaSY_SZ_EUlSY_E_NS1_11comp_targetILNS1_3genE0ELNS1_11target_archE4294967295ELNS1_3gpuE0ELNS1_3repE0EEENS1_30default_config_static_selectorELNS0_4arch9wavefront6targetE1EEEvT1_,"axG",@progbits,_ZN7rocprim17ROCPRIM_400000_NS6detail17trampoline_kernelINS0_14default_configENS1_29reduce_by_key_config_selectorIflN6thrust23THRUST_200600_302600_NS4plusIlEEEEZZNS1_33reduce_by_key_impl_wrapped_configILNS1_25lookback_scan_determinismE0ES3_S9_PfNS6_17constant_iteratorIiNS6_11use_defaultESE_EENS6_10device_ptrIfEENSG_IlEEPmS8_NS6_8equal_toIfEEEE10hipError_tPvRmT2_T3_mT4_T5_T6_T7_T8_P12ihipStream_tbENKUlT_T0_E_clISt17integral_constantIbLb0EES13_EEDaSY_SZ_EUlSY_E_NS1_11comp_targetILNS1_3genE0ELNS1_11target_archE4294967295ELNS1_3gpuE0ELNS1_3repE0EEENS1_30default_config_static_selectorELNS0_4arch9wavefront6targetE1EEEvT1_,comdat
.Lfunc_end1906:
	.size	_ZN7rocprim17ROCPRIM_400000_NS6detail17trampoline_kernelINS0_14default_configENS1_29reduce_by_key_config_selectorIflN6thrust23THRUST_200600_302600_NS4plusIlEEEEZZNS1_33reduce_by_key_impl_wrapped_configILNS1_25lookback_scan_determinismE0ES3_S9_PfNS6_17constant_iteratorIiNS6_11use_defaultESE_EENS6_10device_ptrIfEENSG_IlEEPmS8_NS6_8equal_toIfEEEE10hipError_tPvRmT2_T3_mT4_T5_T6_T7_T8_P12ihipStream_tbENKUlT_T0_E_clISt17integral_constantIbLb0EES13_EEDaSY_SZ_EUlSY_E_NS1_11comp_targetILNS1_3genE0ELNS1_11target_archE4294967295ELNS1_3gpuE0ELNS1_3repE0EEENS1_30default_config_static_selectorELNS0_4arch9wavefront6targetE1EEEvT1_, .Lfunc_end1906-_ZN7rocprim17ROCPRIM_400000_NS6detail17trampoline_kernelINS0_14default_configENS1_29reduce_by_key_config_selectorIflN6thrust23THRUST_200600_302600_NS4plusIlEEEEZZNS1_33reduce_by_key_impl_wrapped_configILNS1_25lookback_scan_determinismE0ES3_S9_PfNS6_17constant_iteratorIiNS6_11use_defaultESE_EENS6_10device_ptrIfEENSG_IlEEPmS8_NS6_8equal_toIfEEEE10hipError_tPvRmT2_T3_mT4_T5_T6_T7_T8_P12ihipStream_tbENKUlT_T0_E_clISt17integral_constantIbLb0EES13_EEDaSY_SZ_EUlSY_E_NS1_11comp_targetILNS1_3genE0ELNS1_11target_archE4294967295ELNS1_3gpuE0ELNS1_3repE0EEENS1_30default_config_static_selectorELNS0_4arch9wavefront6targetE1EEEvT1_
                                        ; -- End function
	.set _ZN7rocprim17ROCPRIM_400000_NS6detail17trampoline_kernelINS0_14default_configENS1_29reduce_by_key_config_selectorIflN6thrust23THRUST_200600_302600_NS4plusIlEEEEZZNS1_33reduce_by_key_impl_wrapped_configILNS1_25lookback_scan_determinismE0ES3_S9_PfNS6_17constant_iteratorIiNS6_11use_defaultESE_EENS6_10device_ptrIfEENSG_IlEEPmS8_NS6_8equal_toIfEEEE10hipError_tPvRmT2_T3_mT4_T5_T6_T7_T8_P12ihipStream_tbENKUlT_T0_E_clISt17integral_constantIbLb0EES13_EEDaSY_SZ_EUlSY_E_NS1_11comp_targetILNS1_3genE0ELNS1_11target_archE4294967295ELNS1_3gpuE0ELNS1_3repE0EEENS1_30default_config_static_selectorELNS0_4arch9wavefront6targetE1EEEvT1_.num_vgpr, 0
	.set _ZN7rocprim17ROCPRIM_400000_NS6detail17trampoline_kernelINS0_14default_configENS1_29reduce_by_key_config_selectorIflN6thrust23THRUST_200600_302600_NS4plusIlEEEEZZNS1_33reduce_by_key_impl_wrapped_configILNS1_25lookback_scan_determinismE0ES3_S9_PfNS6_17constant_iteratorIiNS6_11use_defaultESE_EENS6_10device_ptrIfEENSG_IlEEPmS8_NS6_8equal_toIfEEEE10hipError_tPvRmT2_T3_mT4_T5_T6_T7_T8_P12ihipStream_tbENKUlT_T0_E_clISt17integral_constantIbLb0EES13_EEDaSY_SZ_EUlSY_E_NS1_11comp_targetILNS1_3genE0ELNS1_11target_archE4294967295ELNS1_3gpuE0ELNS1_3repE0EEENS1_30default_config_static_selectorELNS0_4arch9wavefront6targetE1EEEvT1_.num_agpr, 0
	.set _ZN7rocprim17ROCPRIM_400000_NS6detail17trampoline_kernelINS0_14default_configENS1_29reduce_by_key_config_selectorIflN6thrust23THRUST_200600_302600_NS4plusIlEEEEZZNS1_33reduce_by_key_impl_wrapped_configILNS1_25lookback_scan_determinismE0ES3_S9_PfNS6_17constant_iteratorIiNS6_11use_defaultESE_EENS6_10device_ptrIfEENSG_IlEEPmS8_NS6_8equal_toIfEEEE10hipError_tPvRmT2_T3_mT4_T5_T6_T7_T8_P12ihipStream_tbENKUlT_T0_E_clISt17integral_constantIbLb0EES13_EEDaSY_SZ_EUlSY_E_NS1_11comp_targetILNS1_3genE0ELNS1_11target_archE4294967295ELNS1_3gpuE0ELNS1_3repE0EEENS1_30default_config_static_selectorELNS0_4arch9wavefront6targetE1EEEvT1_.numbered_sgpr, 0
	.set _ZN7rocprim17ROCPRIM_400000_NS6detail17trampoline_kernelINS0_14default_configENS1_29reduce_by_key_config_selectorIflN6thrust23THRUST_200600_302600_NS4plusIlEEEEZZNS1_33reduce_by_key_impl_wrapped_configILNS1_25lookback_scan_determinismE0ES3_S9_PfNS6_17constant_iteratorIiNS6_11use_defaultESE_EENS6_10device_ptrIfEENSG_IlEEPmS8_NS6_8equal_toIfEEEE10hipError_tPvRmT2_T3_mT4_T5_T6_T7_T8_P12ihipStream_tbENKUlT_T0_E_clISt17integral_constantIbLb0EES13_EEDaSY_SZ_EUlSY_E_NS1_11comp_targetILNS1_3genE0ELNS1_11target_archE4294967295ELNS1_3gpuE0ELNS1_3repE0EEENS1_30default_config_static_selectorELNS0_4arch9wavefront6targetE1EEEvT1_.num_named_barrier, 0
	.set _ZN7rocprim17ROCPRIM_400000_NS6detail17trampoline_kernelINS0_14default_configENS1_29reduce_by_key_config_selectorIflN6thrust23THRUST_200600_302600_NS4plusIlEEEEZZNS1_33reduce_by_key_impl_wrapped_configILNS1_25lookback_scan_determinismE0ES3_S9_PfNS6_17constant_iteratorIiNS6_11use_defaultESE_EENS6_10device_ptrIfEENSG_IlEEPmS8_NS6_8equal_toIfEEEE10hipError_tPvRmT2_T3_mT4_T5_T6_T7_T8_P12ihipStream_tbENKUlT_T0_E_clISt17integral_constantIbLb0EES13_EEDaSY_SZ_EUlSY_E_NS1_11comp_targetILNS1_3genE0ELNS1_11target_archE4294967295ELNS1_3gpuE0ELNS1_3repE0EEENS1_30default_config_static_selectorELNS0_4arch9wavefront6targetE1EEEvT1_.private_seg_size, 0
	.set _ZN7rocprim17ROCPRIM_400000_NS6detail17trampoline_kernelINS0_14default_configENS1_29reduce_by_key_config_selectorIflN6thrust23THRUST_200600_302600_NS4plusIlEEEEZZNS1_33reduce_by_key_impl_wrapped_configILNS1_25lookback_scan_determinismE0ES3_S9_PfNS6_17constant_iteratorIiNS6_11use_defaultESE_EENS6_10device_ptrIfEENSG_IlEEPmS8_NS6_8equal_toIfEEEE10hipError_tPvRmT2_T3_mT4_T5_T6_T7_T8_P12ihipStream_tbENKUlT_T0_E_clISt17integral_constantIbLb0EES13_EEDaSY_SZ_EUlSY_E_NS1_11comp_targetILNS1_3genE0ELNS1_11target_archE4294967295ELNS1_3gpuE0ELNS1_3repE0EEENS1_30default_config_static_selectorELNS0_4arch9wavefront6targetE1EEEvT1_.uses_vcc, 0
	.set _ZN7rocprim17ROCPRIM_400000_NS6detail17trampoline_kernelINS0_14default_configENS1_29reduce_by_key_config_selectorIflN6thrust23THRUST_200600_302600_NS4plusIlEEEEZZNS1_33reduce_by_key_impl_wrapped_configILNS1_25lookback_scan_determinismE0ES3_S9_PfNS6_17constant_iteratorIiNS6_11use_defaultESE_EENS6_10device_ptrIfEENSG_IlEEPmS8_NS6_8equal_toIfEEEE10hipError_tPvRmT2_T3_mT4_T5_T6_T7_T8_P12ihipStream_tbENKUlT_T0_E_clISt17integral_constantIbLb0EES13_EEDaSY_SZ_EUlSY_E_NS1_11comp_targetILNS1_3genE0ELNS1_11target_archE4294967295ELNS1_3gpuE0ELNS1_3repE0EEENS1_30default_config_static_selectorELNS0_4arch9wavefront6targetE1EEEvT1_.uses_flat_scratch, 0
	.set _ZN7rocprim17ROCPRIM_400000_NS6detail17trampoline_kernelINS0_14default_configENS1_29reduce_by_key_config_selectorIflN6thrust23THRUST_200600_302600_NS4plusIlEEEEZZNS1_33reduce_by_key_impl_wrapped_configILNS1_25lookback_scan_determinismE0ES3_S9_PfNS6_17constant_iteratorIiNS6_11use_defaultESE_EENS6_10device_ptrIfEENSG_IlEEPmS8_NS6_8equal_toIfEEEE10hipError_tPvRmT2_T3_mT4_T5_T6_T7_T8_P12ihipStream_tbENKUlT_T0_E_clISt17integral_constantIbLb0EES13_EEDaSY_SZ_EUlSY_E_NS1_11comp_targetILNS1_3genE0ELNS1_11target_archE4294967295ELNS1_3gpuE0ELNS1_3repE0EEENS1_30default_config_static_selectorELNS0_4arch9wavefront6targetE1EEEvT1_.has_dyn_sized_stack, 0
	.set _ZN7rocprim17ROCPRIM_400000_NS6detail17trampoline_kernelINS0_14default_configENS1_29reduce_by_key_config_selectorIflN6thrust23THRUST_200600_302600_NS4plusIlEEEEZZNS1_33reduce_by_key_impl_wrapped_configILNS1_25lookback_scan_determinismE0ES3_S9_PfNS6_17constant_iteratorIiNS6_11use_defaultESE_EENS6_10device_ptrIfEENSG_IlEEPmS8_NS6_8equal_toIfEEEE10hipError_tPvRmT2_T3_mT4_T5_T6_T7_T8_P12ihipStream_tbENKUlT_T0_E_clISt17integral_constantIbLb0EES13_EEDaSY_SZ_EUlSY_E_NS1_11comp_targetILNS1_3genE0ELNS1_11target_archE4294967295ELNS1_3gpuE0ELNS1_3repE0EEENS1_30default_config_static_selectorELNS0_4arch9wavefront6targetE1EEEvT1_.has_recursion, 0
	.set _ZN7rocprim17ROCPRIM_400000_NS6detail17trampoline_kernelINS0_14default_configENS1_29reduce_by_key_config_selectorIflN6thrust23THRUST_200600_302600_NS4plusIlEEEEZZNS1_33reduce_by_key_impl_wrapped_configILNS1_25lookback_scan_determinismE0ES3_S9_PfNS6_17constant_iteratorIiNS6_11use_defaultESE_EENS6_10device_ptrIfEENSG_IlEEPmS8_NS6_8equal_toIfEEEE10hipError_tPvRmT2_T3_mT4_T5_T6_T7_T8_P12ihipStream_tbENKUlT_T0_E_clISt17integral_constantIbLb0EES13_EEDaSY_SZ_EUlSY_E_NS1_11comp_targetILNS1_3genE0ELNS1_11target_archE4294967295ELNS1_3gpuE0ELNS1_3repE0EEENS1_30default_config_static_selectorELNS0_4arch9wavefront6targetE1EEEvT1_.has_indirect_call, 0
	.section	.AMDGPU.csdata,"",@progbits
; Kernel info:
; codeLenInByte = 0
; TotalNumSgprs: 4
; NumVgprs: 0
; ScratchSize: 0
; MemoryBound: 0
; FloatMode: 240
; IeeeMode: 1
; LDSByteSize: 0 bytes/workgroup (compile time only)
; SGPRBlocks: 0
; VGPRBlocks: 0
; NumSGPRsForWavesPerEU: 4
; NumVGPRsForWavesPerEU: 1
; Occupancy: 10
; WaveLimiterHint : 0
; COMPUTE_PGM_RSRC2:SCRATCH_EN: 0
; COMPUTE_PGM_RSRC2:USER_SGPR: 6
; COMPUTE_PGM_RSRC2:TRAP_HANDLER: 0
; COMPUTE_PGM_RSRC2:TGID_X_EN: 1
; COMPUTE_PGM_RSRC2:TGID_Y_EN: 0
; COMPUTE_PGM_RSRC2:TGID_Z_EN: 0
; COMPUTE_PGM_RSRC2:TIDIG_COMP_CNT: 0
	.section	.text._ZN7rocprim17ROCPRIM_400000_NS6detail17trampoline_kernelINS0_14default_configENS1_29reduce_by_key_config_selectorIflN6thrust23THRUST_200600_302600_NS4plusIlEEEEZZNS1_33reduce_by_key_impl_wrapped_configILNS1_25lookback_scan_determinismE0ES3_S9_PfNS6_17constant_iteratorIiNS6_11use_defaultESE_EENS6_10device_ptrIfEENSG_IlEEPmS8_NS6_8equal_toIfEEEE10hipError_tPvRmT2_T3_mT4_T5_T6_T7_T8_P12ihipStream_tbENKUlT_T0_E_clISt17integral_constantIbLb0EES13_EEDaSY_SZ_EUlSY_E_NS1_11comp_targetILNS1_3genE5ELNS1_11target_archE942ELNS1_3gpuE9ELNS1_3repE0EEENS1_30default_config_static_selectorELNS0_4arch9wavefront6targetE1EEEvT1_,"axG",@progbits,_ZN7rocprim17ROCPRIM_400000_NS6detail17trampoline_kernelINS0_14default_configENS1_29reduce_by_key_config_selectorIflN6thrust23THRUST_200600_302600_NS4plusIlEEEEZZNS1_33reduce_by_key_impl_wrapped_configILNS1_25lookback_scan_determinismE0ES3_S9_PfNS6_17constant_iteratorIiNS6_11use_defaultESE_EENS6_10device_ptrIfEENSG_IlEEPmS8_NS6_8equal_toIfEEEE10hipError_tPvRmT2_T3_mT4_T5_T6_T7_T8_P12ihipStream_tbENKUlT_T0_E_clISt17integral_constantIbLb0EES13_EEDaSY_SZ_EUlSY_E_NS1_11comp_targetILNS1_3genE5ELNS1_11target_archE942ELNS1_3gpuE9ELNS1_3repE0EEENS1_30default_config_static_selectorELNS0_4arch9wavefront6targetE1EEEvT1_,comdat
	.protected	_ZN7rocprim17ROCPRIM_400000_NS6detail17trampoline_kernelINS0_14default_configENS1_29reduce_by_key_config_selectorIflN6thrust23THRUST_200600_302600_NS4plusIlEEEEZZNS1_33reduce_by_key_impl_wrapped_configILNS1_25lookback_scan_determinismE0ES3_S9_PfNS6_17constant_iteratorIiNS6_11use_defaultESE_EENS6_10device_ptrIfEENSG_IlEEPmS8_NS6_8equal_toIfEEEE10hipError_tPvRmT2_T3_mT4_T5_T6_T7_T8_P12ihipStream_tbENKUlT_T0_E_clISt17integral_constantIbLb0EES13_EEDaSY_SZ_EUlSY_E_NS1_11comp_targetILNS1_3genE5ELNS1_11target_archE942ELNS1_3gpuE9ELNS1_3repE0EEENS1_30default_config_static_selectorELNS0_4arch9wavefront6targetE1EEEvT1_ ; -- Begin function _ZN7rocprim17ROCPRIM_400000_NS6detail17trampoline_kernelINS0_14default_configENS1_29reduce_by_key_config_selectorIflN6thrust23THRUST_200600_302600_NS4plusIlEEEEZZNS1_33reduce_by_key_impl_wrapped_configILNS1_25lookback_scan_determinismE0ES3_S9_PfNS6_17constant_iteratorIiNS6_11use_defaultESE_EENS6_10device_ptrIfEENSG_IlEEPmS8_NS6_8equal_toIfEEEE10hipError_tPvRmT2_T3_mT4_T5_T6_T7_T8_P12ihipStream_tbENKUlT_T0_E_clISt17integral_constantIbLb0EES13_EEDaSY_SZ_EUlSY_E_NS1_11comp_targetILNS1_3genE5ELNS1_11target_archE942ELNS1_3gpuE9ELNS1_3repE0EEENS1_30default_config_static_selectorELNS0_4arch9wavefront6targetE1EEEvT1_
	.globl	_ZN7rocprim17ROCPRIM_400000_NS6detail17trampoline_kernelINS0_14default_configENS1_29reduce_by_key_config_selectorIflN6thrust23THRUST_200600_302600_NS4plusIlEEEEZZNS1_33reduce_by_key_impl_wrapped_configILNS1_25lookback_scan_determinismE0ES3_S9_PfNS6_17constant_iteratorIiNS6_11use_defaultESE_EENS6_10device_ptrIfEENSG_IlEEPmS8_NS6_8equal_toIfEEEE10hipError_tPvRmT2_T3_mT4_T5_T6_T7_T8_P12ihipStream_tbENKUlT_T0_E_clISt17integral_constantIbLb0EES13_EEDaSY_SZ_EUlSY_E_NS1_11comp_targetILNS1_3genE5ELNS1_11target_archE942ELNS1_3gpuE9ELNS1_3repE0EEENS1_30default_config_static_selectorELNS0_4arch9wavefront6targetE1EEEvT1_
	.p2align	8
	.type	_ZN7rocprim17ROCPRIM_400000_NS6detail17trampoline_kernelINS0_14default_configENS1_29reduce_by_key_config_selectorIflN6thrust23THRUST_200600_302600_NS4plusIlEEEEZZNS1_33reduce_by_key_impl_wrapped_configILNS1_25lookback_scan_determinismE0ES3_S9_PfNS6_17constant_iteratorIiNS6_11use_defaultESE_EENS6_10device_ptrIfEENSG_IlEEPmS8_NS6_8equal_toIfEEEE10hipError_tPvRmT2_T3_mT4_T5_T6_T7_T8_P12ihipStream_tbENKUlT_T0_E_clISt17integral_constantIbLb0EES13_EEDaSY_SZ_EUlSY_E_NS1_11comp_targetILNS1_3genE5ELNS1_11target_archE942ELNS1_3gpuE9ELNS1_3repE0EEENS1_30default_config_static_selectorELNS0_4arch9wavefront6targetE1EEEvT1_,@function
_ZN7rocprim17ROCPRIM_400000_NS6detail17trampoline_kernelINS0_14default_configENS1_29reduce_by_key_config_selectorIflN6thrust23THRUST_200600_302600_NS4plusIlEEEEZZNS1_33reduce_by_key_impl_wrapped_configILNS1_25lookback_scan_determinismE0ES3_S9_PfNS6_17constant_iteratorIiNS6_11use_defaultESE_EENS6_10device_ptrIfEENSG_IlEEPmS8_NS6_8equal_toIfEEEE10hipError_tPvRmT2_T3_mT4_T5_T6_T7_T8_P12ihipStream_tbENKUlT_T0_E_clISt17integral_constantIbLb0EES13_EEDaSY_SZ_EUlSY_E_NS1_11comp_targetILNS1_3genE5ELNS1_11target_archE942ELNS1_3gpuE9ELNS1_3repE0EEENS1_30default_config_static_selectorELNS0_4arch9wavefront6targetE1EEEvT1_: ; @_ZN7rocprim17ROCPRIM_400000_NS6detail17trampoline_kernelINS0_14default_configENS1_29reduce_by_key_config_selectorIflN6thrust23THRUST_200600_302600_NS4plusIlEEEEZZNS1_33reduce_by_key_impl_wrapped_configILNS1_25lookback_scan_determinismE0ES3_S9_PfNS6_17constant_iteratorIiNS6_11use_defaultESE_EENS6_10device_ptrIfEENSG_IlEEPmS8_NS6_8equal_toIfEEEE10hipError_tPvRmT2_T3_mT4_T5_T6_T7_T8_P12ihipStream_tbENKUlT_T0_E_clISt17integral_constantIbLb0EES13_EEDaSY_SZ_EUlSY_E_NS1_11comp_targetILNS1_3genE5ELNS1_11target_archE942ELNS1_3gpuE9ELNS1_3repE0EEENS1_30default_config_static_selectorELNS0_4arch9wavefront6targetE1EEEvT1_
; %bb.0:
	.section	.rodata,"a",@progbits
	.p2align	6, 0x0
	.amdhsa_kernel _ZN7rocprim17ROCPRIM_400000_NS6detail17trampoline_kernelINS0_14default_configENS1_29reduce_by_key_config_selectorIflN6thrust23THRUST_200600_302600_NS4plusIlEEEEZZNS1_33reduce_by_key_impl_wrapped_configILNS1_25lookback_scan_determinismE0ES3_S9_PfNS6_17constant_iteratorIiNS6_11use_defaultESE_EENS6_10device_ptrIfEENSG_IlEEPmS8_NS6_8equal_toIfEEEE10hipError_tPvRmT2_T3_mT4_T5_T6_T7_T8_P12ihipStream_tbENKUlT_T0_E_clISt17integral_constantIbLb0EES13_EEDaSY_SZ_EUlSY_E_NS1_11comp_targetILNS1_3genE5ELNS1_11target_archE942ELNS1_3gpuE9ELNS1_3repE0EEENS1_30default_config_static_selectorELNS0_4arch9wavefront6targetE1EEEvT1_
		.amdhsa_group_segment_fixed_size 0
		.amdhsa_private_segment_fixed_size 0
		.amdhsa_kernarg_size 144
		.amdhsa_user_sgpr_count 6
		.amdhsa_user_sgpr_private_segment_buffer 1
		.amdhsa_user_sgpr_dispatch_ptr 0
		.amdhsa_user_sgpr_queue_ptr 0
		.amdhsa_user_sgpr_kernarg_segment_ptr 1
		.amdhsa_user_sgpr_dispatch_id 0
		.amdhsa_user_sgpr_flat_scratch_init 0
		.amdhsa_user_sgpr_private_segment_size 0
		.amdhsa_uses_dynamic_stack 0
		.amdhsa_system_sgpr_private_segment_wavefront_offset 0
		.amdhsa_system_sgpr_workgroup_id_x 1
		.amdhsa_system_sgpr_workgroup_id_y 0
		.amdhsa_system_sgpr_workgroup_id_z 0
		.amdhsa_system_sgpr_workgroup_info 0
		.amdhsa_system_vgpr_workitem_id 0
		.amdhsa_next_free_vgpr 1
		.amdhsa_next_free_sgpr 0
		.amdhsa_reserve_vcc 0
		.amdhsa_reserve_flat_scratch 0
		.amdhsa_float_round_mode_32 0
		.amdhsa_float_round_mode_16_64 0
		.amdhsa_float_denorm_mode_32 3
		.amdhsa_float_denorm_mode_16_64 3
		.amdhsa_dx10_clamp 1
		.amdhsa_ieee_mode 1
		.amdhsa_fp16_overflow 0
		.amdhsa_exception_fp_ieee_invalid_op 0
		.amdhsa_exception_fp_denorm_src 0
		.amdhsa_exception_fp_ieee_div_zero 0
		.amdhsa_exception_fp_ieee_overflow 0
		.amdhsa_exception_fp_ieee_underflow 0
		.amdhsa_exception_fp_ieee_inexact 0
		.amdhsa_exception_int_div_zero 0
	.end_amdhsa_kernel
	.section	.text._ZN7rocprim17ROCPRIM_400000_NS6detail17trampoline_kernelINS0_14default_configENS1_29reduce_by_key_config_selectorIflN6thrust23THRUST_200600_302600_NS4plusIlEEEEZZNS1_33reduce_by_key_impl_wrapped_configILNS1_25lookback_scan_determinismE0ES3_S9_PfNS6_17constant_iteratorIiNS6_11use_defaultESE_EENS6_10device_ptrIfEENSG_IlEEPmS8_NS6_8equal_toIfEEEE10hipError_tPvRmT2_T3_mT4_T5_T6_T7_T8_P12ihipStream_tbENKUlT_T0_E_clISt17integral_constantIbLb0EES13_EEDaSY_SZ_EUlSY_E_NS1_11comp_targetILNS1_3genE5ELNS1_11target_archE942ELNS1_3gpuE9ELNS1_3repE0EEENS1_30default_config_static_selectorELNS0_4arch9wavefront6targetE1EEEvT1_,"axG",@progbits,_ZN7rocprim17ROCPRIM_400000_NS6detail17trampoline_kernelINS0_14default_configENS1_29reduce_by_key_config_selectorIflN6thrust23THRUST_200600_302600_NS4plusIlEEEEZZNS1_33reduce_by_key_impl_wrapped_configILNS1_25lookback_scan_determinismE0ES3_S9_PfNS6_17constant_iteratorIiNS6_11use_defaultESE_EENS6_10device_ptrIfEENSG_IlEEPmS8_NS6_8equal_toIfEEEE10hipError_tPvRmT2_T3_mT4_T5_T6_T7_T8_P12ihipStream_tbENKUlT_T0_E_clISt17integral_constantIbLb0EES13_EEDaSY_SZ_EUlSY_E_NS1_11comp_targetILNS1_3genE5ELNS1_11target_archE942ELNS1_3gpuE9ELNS1_3repE0EEENS1_30default_config_static_selectorELNS0_4arch9wavefront6targetE1EEEvT1_,comdat
.Lfunc_end1907:
	.size	_ZN7rocprim17ROCPRIM_400000_NS6detail17trampoline_kernelINS0_14default_configENS1_29reduce_by_key_config_selectorIflN6thrust23THRUST_200600_302600_NS4plusIlEEEEZZNS1_33reduce_by_key_impl_wrapped_configILNS1_25lookback_scan_determinismE0ES3_S9_PfNS6_17constant_iteratorIiNS6_11use_defaultESE_EENS6_10device_ptrIfEENSG_IlEEPmS8_NS6_8equal_toIfEEEE10hipError_tPvRmT2_T3_mT4_T5_T6_T7_T8_P12ihipStream_tbENKUlT_T0_E_clISt17integral_constantIbLb0EES13_EEDaSY_SZ_EUlSY_E_NS1_11comp_targetILNS1_3genE5ELNS1_11target_archE942ELNS1_3gpuE9ELNS1_3repE0EEENS1_30default_config_static_selectorELNS0_4arch9wavefront6targetE1EEEvT1_, .Lfunc_end1907-_ZN7rocprim17ROCPRIM_400000_NS6detail17trampoline_kernelINS0_14default_configENS1_29reduce_by_key_config_selectorIflN6thrust23THRUST_200600_302600_NS4plusIlEEEEZZNS1_33reduce_by_key_impl_wrapped_configILNS1_25lookback_scan_determinismE0ES3_S9_PfNS6_17constant_iteratorIiNS6_11use_defaultESE_EENS6_10device_ptrIfEENSG_IlEEPmS8_NS6_8equal_toIfEEEE10hipError_tPvRmT2_T3_mT4_T5_T6_T7_T8_P12ihipStream_tbENKUlT_T0_E_clISt17integral_constantIbLb0EES13_EEDaSY_SZ_EUlSY_E_NS1_11comp_targetILNS1_3genE5ELNS1_11target_archE942ELNS1_3gpuE9ELNS1_3repE0EEENS1_30default_config_static_selectorELNS0_4arch9wavefront6targetE1EEEvT1_
                                        ; -- End function
	.set _ZN7rocprim17ROCPRIM_400000_NS6detail17trampoline_kernelINS0_14default_configENS1_29reduce_by_key_config_selectorIflN6thrust23THRUST_200600_302600_NS4plusIlEEEEZZNS1_33reduce_by_key_impl_wrapped_configILNS1_25lookback_scan_determinismE0ES3_S9_PfNS6_17constant_iteratorIiNS6_11use_defaultESE_EENS6_10device_ptrIfEENSG_IlEEPmS8_NS6_8equal_toIfEEEE10hipError_tPvRmT2_T3_mT4_T5_T6_T7_T8_P12ihipStream_tbENKUlT_T0_E_clISt17integral_constantIbLb0EES13_EEDaSY_SZ_EUlSY_E_NS1_11comp_targetILNS1_3genE5ELNS1_11target_archE942ELNS1_3gpuE9ELNS1_3repE0EEENS1_30default_config_static_selectorELNS0_4arch9wavefront6targetE1EEEvT1_.num_vgpr, 0
	.set _ZN7rocprim17ROCPRIM_400000_NS6detail17trampoline_kernelINS0_14default_configENS1_29reduce_by_key_config_selectorIflN6thrust23THRUST_200600_302600_NS4plusIlEEEEZZNS1_33reduce_by_key_impl_wrapped_configILNS1_25lookback_scan_determinismE0ES3_S9_PfNS6_17constant_iteratorIiNS6_11use_defaultESE_EENS6_10device_ptrIfEENSG_IlEEPmS8_NS6_8equal_toIfEEEE10hipError_tPvRmT2_T3_mT4_T5_T6_T7_T8_P12ihipStream_tbENKUlT_T0_E_clISt17integral_constantIbLb0EES13_EEDaSY_SZ_EUlSY_E_NS1_11comp_targetILNS1_3genE5ELNS1_11target_archE942ELNS1_3gpuE9ELNS1_3repE0EEENS1_30default_config_static_selectorELNS0_4arch9wavefront6targetE1EEEvT1_.num_agpr, 0
	.set _ZN7rocprim17ROCPRIM_400000_NS6detail17trampoline_kernelINS0_14default_configENS1_29reduce_by_key_config_selectorIflN6thrust23THRUST_200600_302600_NS4plusIlEEEEZZNS1_33reduce_by_key_impl_wrapped_configILNS1_25lookback_scan_determinismE0ES3_S9_PfNS6_17constant_iteratorIiNS6_11use_defaultESE_EENS6_10device_ptrIfEENSG_IlEEPmS8_NS6_8equal_toIfEEEE10hipError_tPvRmT2_T3_mT4_T5_T6_T7_T8_P12ihipStream_tbENKUlT_T0_E_clISt17integral_constantIbLb0EES13_EEDaSY_SZ_EUlSY_E_NS1_11comp_targetILNS1_3genE5ELNS1_11target_archE942ELNS1_3gpuE9ELNS1_3repE0EEENS1_30default_config_static_selectorELNS0_4arch9wavefront6targetE1EEEvT1_.numbered_sgpr, 0
	.set _ZN7rocprim17ROCPRIM_400000_NS6detail17trampoline_kernelINS0_14default_configENS1_29reduce_by_key_config_selectorIflN6thrust23THRUST_200600_302600_NS4plusIlEEEEZZNS1_33reduce_by_key_impl_wrapped_configILNS1_25lookback_scan_determinismE0ES3_S9_PfNS6_17constant_iteratorIiNS6_11use_defaultESE_EENS6_10device_ptrIfEENSG_IlEEPmS8_NS6_8equal_toIfEEEE10hipError_tPvRmT2_T3_mT4_T5_T6_T7_T8_P12ihipStream_tbENKUlT_T0_E_clISt17integral_constantIbLb0EES13_EEDaSY_SZ_EUlSY_E_NS1_11comp_targetILNS1_3genE5ELNS1_11target_archE942ELNS1_3gpuE9ELNS1_3repE0EEENS1_30default_config_static_selectorELNS0_4arch9wavefront6targetE1EEEvT1_.num_named_barrier, 0
	.set _ZN7rocprim17ROCPRIM_400000_NS6detail17trampoline_kernelINS0_14default_configENS1_29reduce_by_key_config_selectorIflN6thrust23THRUST_200600_302600_NS4plusIlEEEEZZNS1_33reduce_by_key_impl_wrapped_configILNS1_25lookback_scan_determinismE0ES3_S9_PfNS6_17constant_iteratorIiNS6_11use_defaultESE_EENS6_10device_ptrIfEENSG_IlEEPmS8_NS6_8equal_toIfEEEE10hipError_tPvRmT2_T3_mT4_T5_T6_T7_T8_P12ihipStream_tbENKUlT_T0_E_clISt17integral_constantIbLb0EES13_EEDaSY_SZ_EUlSY_E_NS1_11comp_targetILNS1_3genE5ELNS1_11target_archE942ELNS1_3gpuE9ELNS1_3repE0EEENS1_30default_config_static_selectorELNS0_4arch9wavefront6targetE1EEEvT1_.private_seg_size, 0
	.set _ZN7rocprim17ROCPRIM_400000_NS6detail17trampoline_kernelINS0_14default_configENS1_29reduce_by_key_config_selectorIflN6thrust23THRUST_200600_302600_NS4plusIlEEEEZZNS1_33reduce_by_key_impl_wrapped_configILNS1_25lookback_scan_determinismE0ES3_S9_PfNS6_17constant_iteratorIiNS6_11use_defaultESE_EENS6_10device_ptrIfEENSG_IlEEPmS8_NS6_8equal_toIfEEEE10hipError_tPvRmT2_T3_mT4_T5_T6_T7_T8_P12ihipStream_tbENKUlT_T0_E_clISt17integral_constantIbLb0EES13_EEDaSY_SZ_EUlSY_E_NS1_11comp_targetILNS1_3genE5ELNS1_11target_archE942ELNS1_3gpuE9ELNS1_3repE0EEENS1_30default_config_static_selectorELNS0_4arch9wavefront6targetE1EEEvT1_.uses_vcc, 0
	.set _ZN7rocprim17ROCPRIM_400000_NS6detail17trampoline_kernelINS0_14default_configENS1_29reduce_by_key_config_selectorIflN6thrust23THRUST_200600_302600_NS4plusIlEEEEZZNS1_33reduce_by_key_impl_wrapped_configILNS1_25lookback_scan_determinismE0ES3_S9_PfNS6_17constant_iteratorIiNS6_11use_defaultESE_EENS6_10device_ptrIfEENSG_IlEEPmS8_NS6_8equal_toIfEEEE10hipError_tPvRmT2_T3_mT4_T5_T6_T7_T8_P12ihipStream_tbENKUlT_T0_E_clISt17integral_constantIbLb0EES13_EEDaSY_SZ_EUlSY_E_NS1_11comp_targetILNS1_3genE5ELNS1_11target_archE942ELNS1_3gpuE9ELNS1_3repE0EEENS1_30default_config_static_selectorELNS0_4arch9wavefront6targetE1EEEvT1_.uses_flat_scratch, 0
	.set _ZN7rocprim17ROCPRIM_400000_NS6detail17trampoline_kernelINS0_14default_configENS1_29reduce_by_key_config_selectorIflN6thrust23THRUST_200600_302600_NS4plusIlEEEEZZNS1_33reduce_by_key_impl_wrapped_configILNS1_25lookback_scan_determinismE0ES3_S9_PfNS6_17constant_iteratorIiNS6_11use_defaultESE_EENS6_10device_ptrIfEENSG_IlEEPmS8_NS6_8equal_toIfEEEE10hipError_tPvRmT2_T3_mT4_T5_T6_T7_T8_P12ihipStream_tbENKUlT_T0_E_clISt17integral_constantIbLb0EES13_EEDaSY_SZ_EUlSY_E_NS1_11comp_targetILNS1_3genE5ELNS1_11target_archE942ELNS1_3gpuE9ELNS1_3repE0EEENS1_30default_config_static_selectorELNS0_4arch9wavefront6targetE1EEEvT1_.has_dyn_sized_stack, 0
	.set _ZN7rocprim17ROCPRIM_400000_NS6detail17trampoline_kernelINS0_14default_configENS1_29reduce_by_key_config_selectorIflN6thrust23THRUST_200600_302600_NS4plusIlEEEEZZNS1_33reduce_by_key_impl_wrapped_configILNS1_25lookback_scan_determinismE0ES3_S9_PfNS6_17constant_iteratorIiNS6_11use_defaultESE_EENS6_10device_ptrIfEENSG_IlEEPmS8_NS6_8equal_toIfEEEE10hipError_tPvRmT2_T3_mT4_T5_T6_T7_T8_P12ihipStream_tbENKUlT_T0_E_clISt17integral_constantIbLb0EES13_EEDaSY_SZ_EUlSY_E_NS1_11comp_targetILNS1_3genE5ELNS1_11target_archE942ELNS1_3gpuE9ELNS1_3repE0EEENS1_30default_config_static_selectorELNS0_4arch9wavefront6targetE1EEEvT1_.has_recursion, 0
	.set _ZN7rocprim17ROCPRIM_400000_NS6detail17trampoline_kernelINS0_14default_configENS1_29reduce_by_key_config_selectorIflN6thrust23THRUST_200600_302600_NS4plusIlEEEEZZNS1_33reduce_by_key_impl_wrapped_configILNS1_25lookback_scan_determinismE0ES3_S9_PfNS6_17constant_iteratorIiNS6_11use_defaultESE_EENS6_10device_ptrIfEENSG_IlEEPmS8_NS6_8equal_toIfEEEE10hipError_tPvRmT2_T3_mT4_T5_T6_T7_T8_P12ihipStream_tbENKUlT_T0_E_clISt17integral_constantIbLb0EES13_EEDaSY_SZ_EUlSY_E_NS1_11comp_targetILNS1_3genE5ELNS1_11target_archE942ELNS1_3gpuE9ELNS1_3repE0EEENS1_30default_config_static_selectorELNS0_4arch9wavefront6targetE1EEEvT1_.has_indirect_call, 0
	.section	.AMDGPU.csdata,"",@progbits
; Kernel info:
; codeLenInByte = 0
; TotalNumSgprs: 4
; NumVgprs: 0
; ScratchSize: 0
; MemoryBound: 0
; FloatMode: 240
; IeeeMode: 1
; LDSByteSize: 0 bytes/workgroup (compile time only)
; SGPRBlocks: 0
; VGPRBlocks: 0
; NumSGPRsForWavesPerEU: 4
; NumVGPRsForWavesPerEU: 1
; Occupancy: 10
; WaveLimiterHint : 0
; COMPUTE_PGM_RSRC2:SCRATCH_EN: 0
; COMPUTE_PGM_RSRC2:USER_SGPR: 6
; COMPUTE_PGM_RSRC2:TRAP_HANDLER: 0
; COMPUTE_PGM_RSRC2:TGID_X_EN: 1
; COMPUTE_PGM_RSRC2:TGID_Y_EN: 0
; COMPUTE_PGM_RSRC2:TGID_Z_EN: 0
; COMPUTE_PGM_RSRC2:TIDIG_COMP_CNT: 0
	.section	.text._ZN7rocprim17ROCPRIM_400000_NS6detail17trampoline_kernelINS0_14default_configENS1_29reduce_by_key_config_selectorIflN6thrust23THRUST_200600_302600_NS4plusIlEEEEZZNS1_33reduce_by_key_impl_wrapped_configILNS1_25lookback_scan_determinismE0ES3_S9_PfNS6_17constant_iteratorIiNS6_11use_defaultESE_EENS6_10device_ptrIfEENSG_IlEEPmS8_NS6_8equal_toIfEEEE10hipError_tPvRmT2_T3_mT4_T5_T6_T7_T8_P12ihipStream_tbENKUlT_T0_E_clISt17integral_constantIbLb0EES13_EEDaSY_SZ_EUlSY_E_NS1_11comp_targetILNS1_3genE4ELNS1_11target_archE910ELNS1_3gpuE8ELNS1_3repE0EEENS1_30default_config_static_selectorELNS0_4arch9wavefront6targetE1EEEvT1_,"axG",@progbits,_ZN7rocprim17ROCPRIM_400000_NS6detail17trampoline_kernelINS0_14default_configENS1_29reduce_by_key_config_selectorIflN6thrust23THRUST_200600_302600_NS4plusIlEEEEZZNS1_33reduce_by_key_impl_wrapped_configILNS1_25lookback_scan_determinismE0ES3_S9_PfNS6_17constant_iteratorIiNS6_11use_defaultESE_EENS6_10device_ptrIfEENSG_IlEEPmS8_NS6_8equal_toIfEEEE10hipError_tPvRmT2_T3_mT4_T5_T6_T7_T8_P12ihipStream_tbENKUlT_T0_E_clISt17integral_constantIbLb0EES13_EEDaSY_SZ_EUlSY_E_NS1_11comp_targetILNS1_3genE4ELNS1_11target_archE910ELNS1_3gpuE8ELNS1_3repE0EEENS1_30default_config_static_selectorELNS0_4arch9wavefront6targetE1EEEvT1_,comdat
	.protected	_ZN7rocprim17ROCPRIM_400000_NS6detail17trampoline_kernelINS0_14default_configENS1_29reduce_by_key_config_selectorIflN6thrust23THRUST_200600_302600_NS4plusIlEEEEZZNS1_33reduce_by_key_impl_wrapped_configILNS1_25lookback_scan_determinismE0ES3_S9_PfNS6_17constant_iteratorIiNS6_11use_defaultESE_EENS6_10device_ptrIfEENSG_IlEEPmS8_NS6_8equal_toIfEEEE10hipError_tPvRmT2_T3_mT4_T5_T6_T7_T8_P12ihipStream_tbENKUlT_T0_E_clISt17integral_constantIbLb0EES13_EEDaSY_SZ_EUlSY_E_NS1_11comp_targetILNS1_3genE4ELNS1_11target_archE910ELNS1_3gpuE8ELNS1_3repE0EEENS1_30default_config_static_selectorELNS0_4arch9wavefront6targetE1EEEvT1_ ; -- Begin function _ZN7rocprim17ROCPRIM_400000_NS6detail17trampoline_kernelINS0_14default_configENS1_29reduce_by_key_config_selectorIflN6thrust23THRUST_200600_302600_NS4plusIlEEEEZZNS1_33reduce_by_key_impl_wrapped_configILNS1_25lookback_scan_determinismE0ES3_S9_PfNS6_17constant_iteratorIiNS6_11use_defaultESE_EENS6_10device_ptrIfEENSG_IlEEPmS8_NS6_8equal_toIfEEEE10hipError_tPvRmT2_T3_mT4_T5_T6_T7_T8_P12ihipStream_tbENKUlT_T0_E_clISt17integral_constantIbLb0EES13_EEDaSY_SZ_EUlSY_E_NS1_11comp_targetILNS1_3genE4ELNS1_11target_archE910ELNS1_3gpuE8ELNS1_3repE0EEENS1_30default_config_static_selectorELNS0_4arch9wavefront6targetE1EEEvT1_
	.globl	_ZN7rocprim17ROCPRIM_400000_NS6detail17trampoline_kernelINS0_14default_configENS1_29reduce_by_key_config_selectorIflN6thrust23THRUST_200600_302600_NS4plusIlEEEEZZNS1_33reduce_by_key_impl_wrapped_configILNS1_25lookback_scan_determinismE0ES3_S9_PfNS6_17constant_iteratorIiNS6_11use_defaultESE_EENS6_10device_ptrIfEENSG_IlEEPmS8_NS6_8equal_toIfEEEE10hipError_tPvRmT2_T3_mT4_T5_T6_T7_T8_P12ihipStream_tbENKUlT_T0_E_clISt17integral_constantIbLb0EES13_EEDaSY_SZ_EUlSY_E_NS1_11comp_targetILNS1_3genE4ELNS1_11target_archE910ELNS1_3gpuE8ELNS1_3repE0EEENS1_30default_config_static_selectorELNS0_4arch9wavefront6targetE1EEEvT1_
	.p2align	8
	.type	_ZN7rocprim17ROCPRIM_400000_NS6detail17trampoline_kernelINS0_14default_configENS1_29reduce_by_key_config_selectorIflN6thrust23THRUST_200600_302600_NS4plusIlEEEEZZNS1_33reduce_by_key_impl_wrapped_configILNS1_25lookback_scan_determinismE0ES3_S9_PfNS6_17constant_iteratorIiNS6_11use_defaultESE_EENS6_10device_ptrIfEENSG_IlEEPmS8_NS6_8equal_toIfEEEE10hipError_tPvRmT2_T3_mT4_T5_T6_T7_T8_P12ihipStream_tbENKUlT_T0_E_clISt17integral_constantIbLb0EES13_EEDaSY_SZ_EUlSY_E_NS1_11comp_targetILNS1_3genE4ELNS1_11target_archE910ELNS1_3gpuE8ELNS1_3repE0EEENS1_30default_config_static_selectorELNS0_4arch9wavefront6targetE1EEEvT1_,@function
_ZN7rocprim17ROCPRIM_400000_NS6detail17trampoline_kernelINS0_14default_configENS1_29reduce_by_key_config_selectorIflN6thrust23THRUST_200600_302600_NS4plusIlEEEEZZNS1_33reduce_by_key_impl_wrapped_configILNS1_25lookback_scan_determinismE0ES3_S9_PfNS6_17constant_iteratorIiNS6_11use_defaultESE_EENS6_10device_ptrIfEENSG_IlEEPmS8_NS6_8equal_toIfEEEE10hipError_tPvRmT2_T3_mT4_T5_T6_T7_T8_P12ihipStream_tbENKUlT_T0_E_clISt17integral_constantIbLb0EES13_EEDaSY_SZ_EUlSY_E_NS1_11comp_targetILNS1_3genE4ELNS1_11target_archE910ELNS1_3gpuE8ELNS1_3repE0EEENS1_30default_config_static_selectorELNS0_4arch9wavefront6targetE1EEEvT1_: ; @_ZN7rocprim17ROCPRIM_400000_NS6detail17trampoline_kernelINS0_14default_configENS1_29reduce_by_key_config_selectorIflN6thrust23THRUST_200600_302600_NS4plusIlEEEEZZNS1_33reduce_by_key_impl_wrapped_configILNS1_25lookback_scan_determinismE0ES3_S9_PfNS6_17constant_iteratorIiNS6_11use_defaultESE_EENS6_10device_ptrIfEENSG_IlEEPmS8_NS6_8equal_toIfEEEE10hipError_tPvRmT2_T3_mT4_T5_T6_T7_T8_P12ihipStream_tbENKUlT_T0_E_clISt17integral_constantIbLb0EES13_EEDaSY_SZ_EUlSY_E_NS1_11comp_targetILNS1_3genE4ELNS1_11target_archE910ELNS1_3gpuE8ELNS1_3repE0EEENS1_30default_config_static_selectorELNS0_4arch9wavefront6targetE1EEEvT1_
; %bb.0:
	.section	.rodata,"a",@progbits
	.p2align	6, 0x0
	.amdhsa_kernel _ZN7rocprim17ROCPRIM_400000_NS6detail17trampoline_kernelINS0_14default_configENS1_29reduce_by_key_config_selectorIflN6thrust23THRUST_200600_302600_NS4plusIlEEEEZZNS1_33reduce_by_key_impl_wrapped_configILNS1_25lookback_scan_determinismE0ES3_S9_PfNS6_17constant_iteratorIiNS6_11use_defaultESE_EENS6_10device_ptrIfEENSG_IlEEPmS8_NS6_8equal_toIfEEEE10hipError_tPvRmT2_T3_mT4_T5_T6_T7_T8_P12ihipStream_tbENKUlT_T0_E_clISt17integral_constantIbLb0EES13_EEDaSY_SZ_EUlSY_E_NS1_11comp_targetILNS1_3genE4ELNS1_11target_archE910ELNS1_3gpuE8ELNS1_3repE0EEENS1_30default_config_static_selectorELNS0_4arch9wavefront6targetE1EEEvT1_
		.amdhsa_group_segment_fixed_size 0
		.amdhsa_private_segment_fixed_size 0
		.amdhsa_kernarg_size 144
		.amdhsa_user_sgpr_count 6
		.amdhsa_user_sgpr_private_segment_buffer 1
		.amdhsa_user_sgpr_dispatch_ptr 0
		.amdhsa_user_sgpr_queue_ptr 0
		.amdhsa_user_sgpr_kernarg_segment_ptr 1
		.amdhsa_user_sgpr_dispatch_id 0
		.amdhsa_user_sgpr_flat_scratch_init 0
		.amdhsa_user_sgpr_private_segment_size 0
		.amdhsa_uses_dynamic_stack 0
		.amdhsa_system_sgpr_private_segment_wavefront_offset 0
		.amdhsa_system_sgpr_workgroup_id_x 1
		.amdhsa_system_sgpr_workgroup_id_y 0
		.amdhsa_system_sgpr_workgroup_id_z 0
		.amdhsa_system_sgpr_workgroup_info 0
		.amdhsa_system_vgpr_workitem_id 0
		.amdhsa_next_free_vgpr 1
		.amdhsa_next_free_sgpr 0
		.amdhsa_reserve_vcc 0
		.amdhsa_reserve_flat_scratch 0
		.amdhsa_float_round_mode_32 0
		.amdhsa_float_round_mode_16_64 0
		.amdhsa_float_denorm_mode_32 3
		.amdhsa_float_denorm_mode_16_64 3
		.amdhsa_dx10_clamp 1
		.amdhsa_ieee_mode 1
		.amdhsa_fp16_overflow 0
		.amdhsa_exception_fp_ieee_invalid_op 0
		.amdhsa_exception_fp_denorm_src 0
		.amdhsa_exception_fp_ieee_div_zero 0
		.amdhsa_exception_fp_ieee_overflow 0
		.amdhsa_exception_fp_ieee_underflow 0
		.amdhsa_exception_fp_ieee_inexact 0
		.amdhsa_exception_int_div_zero 0
	.end_amdhsa_kernel
	.section	.text._ZN7rocprim17ROCPRIM_400000_NS6detail17trampoline_kernelINS0_14default_configENS1_29reduce_by_key_config_selectorIflN6thrust23THRUST_200600_302600_NS4plusIlEEEEZZNS1_33reduce_by_key_impl_wrapped_configILNS1_25lookback_scan_determinismE0ES3_S9_PfNS6_17constant_iteratorIiNS6_11use_defaultESE_EENS6_10device_ptrIfEENSG_IlEEPmS8_NS6_8equal_toIfEEEE10hipError_tPvRmT2_T3_mT4_T5_T6_T7_T8_P12ihipStream_tbENKUlT_T0_E_clISt17integral_constantIbLb0EES13_EEDaSY_SZ_EUlSY_E_NS1_11comp_targetILNS1_3genE4ELNS1_11target_archE910ELNS1_3gpuE8ELNS1_3repE0EEENS1_30default_config_static_selectorELNS0_4arch9wavefront6targetE1EEEvT1_,"axG",@progbits,_ZN7rocprim17ROCPRIM_400000_NS6detail17trampoline_kernelINS0_14default_configENS1_29reduce_by_key_config_selectorIflN6thrust23THRUST_200600_302600_NS4plusIlEEEEZZNS1_33reduce_by_key_impl_wrapped_configILNS1_25lookback_scan_determinismE0ES3_S9_PfNS6_17constant_iteratorIiNS6_11use_defaultESE_EENS6_10device_ptrIfEENSG_IlEEPmS8_NS6_8equal_toIfEEEE10hipError_tPvRmT2_T3_mT4_T5_T6_T7_T8_P12ihipStream_tbENKUlT_T0_E_clISt17integral_constantIbLb0EES13_EEDaSY_SZ_EUlSY_E_NS1_11comp_targetILNS1_3genE4ELNS1_11target_archE910ELNS1_3gpuE8ELNS1_3repE0EEENS1_30default_config_static_selectorELNS0_4arch9wavefront6targetE1EEEvT1_,comdat
.Lfunc_end1908:
	.size	_ZN7rocprim17ROCPRIM_400000_NS6detail17trampoline_kernelINS0_14default_configENS1_29reduce_by_key_config_selectorIflN6thrust23THRUST_200600_302600_NS4plusIlEEEEZZNS1_33reduce_by_key_impl_wrapped_configILNS1_25lookback_scan_determinismE0ES3_S9_PfNS6_17constant_iteratorIiNS6_11use_defaultESE_EENS6_10device_ptrIfEENSG_IlEEPmS8_NS6_8equal_toIfEEEE10hipError_tPvRmT2_T3_mT4_T5_T6_T7_T8_P12ihipStream_tbENKUlT_T0_E_clISt17integral_constantIbLb0EES13_EEDaSY_SZ_EUlSY_E_NS1_11comp_targetILNS1_3genE4ELNS1_11target_archE910ELNS1_3gpuE8ELNS1_3repE0EEENS1_30default_config_static_selectorELNS0_4arch9wavefront6targetE1EEEvT1_, .Lfunc_end1908-_ZN7rocprim17ROCPRIM_400000_NS6detail17trampoline_kernelINS0_14default_configENS1_29reduce_by_key_config_selectorIflN6thrust23THRUST_200600_302600_NS4plusIlEEEEZZNS1_33reduce_by_key_impl_wrapped_configILNS1_25lookback_scan_determinismE0ES3_S9_PfNS6_17constant_iteratorIiNS6_11use_defaultESE_EENS6_10device_ptrIfEENSG_IlEEPmS8_NS6_8equal_toIfEEEE10hipError_tPvRmT2_T3_mT4_T5_T6_T7_T8_P12ihipStream_tbENKUlT_T0_E_clISt17integral_constantIbLb0EES13_EEDaSY_SZ_EUlSY_E_NS1_11comp_targetILNS1_3genE4ELNS1_11target_archE910ELNS1_3gpuE8ELNS1_3repE0EEENS1_30default_config_static_selectorELNS0_4arch9wavefront6targetE1EEEvT1_
                                        ; -- End function
	.set _ZN7rocprim17ROCPRIM_400000_NS6detail17trampoline_kernelINS0_14default_configENS1_29reduce_by_key_config_selectorIflN6thrust23THRUST_200600_302600_NS4plusIlEEEEZZNS1_33reduce_by_key_impl_wrapped_configILNS1_25lookback_scan_determinismE0ES3_S9_PfNS6_17constant_iteratorIiNS6_11use_defaultESE_EENS6_10device_ptrIfEENSG_IlEEPmS8_NS6_8equal_toIfEEEE10hipError_tPvRmT2_T3_mT4_T5_T6_T7_T8_P12ihipStream_tbENKUlT_T0_E_clISt17integral_constantIbLb0EES13_EEDaSY_SZ_EUlSY_E_NS1_11comp_targetILNS1_3genE4ELNS1_11target_archE910ELNS1_3gpuE8ELNS1_3repE0EEENS1_30default_config_static_selectorELNS0_4arch9wavefront6targetE1EEEvT1_.num_vgpr, 0
	.set _ZN7rocprim17ROCPRIM_400000_NS6detail17trampoline_kernelINS0_14default_configENS1_29reduce_by_key_config_selectorIflN6thrust23THRUST_200600_302600_NS4plusIlEEEEZZNS1_33reduce_by_key_impl_wrapped_configILNS1_25lookback_scan_determinismE0ES3_S9_PfNS6_17constant_iteratorIiNS6_11use_defaultESE_EENS6_10device_ptrIfEENSG_IlEEPmS8_NS6_8equal_toIfEEEE10hipError_tPvRmT2_T3_mT4_T5_T6_T7_T8_P12ihipStream_tbENKUlT_T0_E_clISt17integral_constantIbLb0EES13_EEDaSY_SZ_EUlSY_E_NS1_11comp_targetILNS1_3genE4ELNS1_11target_archE910ELNS1_3gpuE8ELNS1_3repE0EEENS1_30default_config_static_selectorELNS0_4arch9wavefront6targetE1EEEvT1_.num_agpr, 0
	.set _ZN7rocprim17ROCPRIM_400000_NS6detail17trampoline_kernelINS0_14default_configENS1_29reduce_by_key_config_selectorIflN6thrust23THRUST_200600_302600_NS4plusIlEEEEZZNS1_33reduce_by_key_impl_wrapped_configILNS1_25lookback_scan_determinismE0ES3_S9_PfNS6_17constant_iteratorIiNS6_11use_defaultESE_EENS6_10device_ptrIfEENSG_IlEEPmS8_NS6_8equal_toIfEEEE10hipError_tPvRmT2_T3_mT4_T5_T6_T7_T8_P12ihipStream_tbENKUlT_T0_E_clISt17integral_constantIbLb0EES13_EEDaSY_SZ_EUlSY_E_NS1_11comp_targetILNS1_3genE4ELNS1_11target_archE910ELNS1_3gpuE8ELNS1_3repE0EEENS1_30default_config_static_selectorELNS0_4arch9wavefront6targetE1EEEvT1_.numbered_sgpr, 0
	.set _ZN7rocprim17ROCPRIM_400000_NS6detail17trampoline_kernelINS0_14default_configENS1_29reduce_by_key_config_selectorIflN6thrust23THRUST_200600_302600_NS4plusIlEEEEZZNS1_33reduce_by_key_impl_wrapped_configILNS1_25lookback_scan_determinismE0ES3_S9_PfNS6_17constant_iteratorIiNS6_11use_defaultESE_EENS6_10device_ptrIfEENSG_IlEEPmS8_NS6_8equal_toIfEEEE10hipError_tPvRmT2_T3_mT4_T5_T6_T7_T8_P12ihipStream_tbENKUlT_T0_E_clISt17integral_constantIbLb0EES13_EEDaSY_SZ_EUlSY_E_NS1_11comp_targetILNS1_3genE4ELNS1_11target_archE910ELNS1_3gpuE8ELNS1_3repE0EEENS1_30default_config_static_selectorELNS0_4arch9wavefront6targetE1EEEvT1_.num_named_barrier, 0
	.set _ZN7rocprim17ROCPRIM_400000_NS6detail17trampoline_kernelINS0_14default_configENS1_29reduce_by_key_config_selectorIflN6thrust23THRUST_200600_302600_NS4plusIlEEEEZZNS1_33reduce_by_key_impl_wrapped_configILNS1_25lookback_scan_determinismE0ES3_S9_PfNS6_17constant_iteratorIiNS6_11use_defaultESE_EENS6_10device_ptrIfEENSG_IlEEPmS8_NS6_8equal_toIfEEEE10hipError_tPvRmT2_T3_mT4_T5_T6_T7_T8_P12ihipStream_tbENKUlT_T0_E_clISt17integral_constantIbLb0EES13_EEDaSY_SZ_EUlSY_E_NS1_11comp_targetILNS1_3genE4ELNS1_11target_archE910ELNS1_3gpuE8ELNS1_3repE0EEENS1_30default_config_static_selectorELNS0_4arch9wavefront6targetE1EEEvT1_.private_seg_size, 0
	.set _ZN7rocprim17ROCPRIM_400000_NS6detail17trampoline_kernelINS0_14default_configENS1_29reduce_by_key_config_selectorIflN6thrust23THRUST_200600_302600_NS4plusIlEEEEZZNS1_33reduce_by_key_impl_wrapped_configILNS1_25lookback_scan_determinismE0ES3_S9_PfNS6_17constant_iteratorIiNS6_11use_defaultESE_EENS6_10device_ptrIfEENSG_IlEEPmS8_NS6_8equal_toIfEEEE10hipError_tPvRmT2_T3_mT4_T5_T6_T7_T8_P12ihipStream_tbENKUlT_T0_E_clISt17integral_constantIbLb0EES13_EEDaSY_SZ_EUlSY_E_NS1_11comp_targetILNS1_3genE4ELNS1_11target_archE910ELNS1_3gpuE8ELNS1_3repE0EEENS1_30default_config_static_selectorELNS0_4arch9wavefront6targetE1EEEvT1_.uses_vcc, 0
	.set _ZN7rocprim17ROCPRIM_400000_NS6detail17trampoline_kernelINS0_14default_configENS1_29reduce_by_key_config_selectorIflN6thrust23THRUST_200600_302600_NS4plusIlEEEEZZNS1_33reduce_by_key_impl_wrapped_configILNS1_25lookback_scan_determinismE0ES3_S9_PfNS6_17constant_iteratorIiNS6_11use_defaultESE_EENS6_10device_ptrIfEENSG_IlEEPmS8_NS6_8equal_toIfEEEE10hipError_tPvRmT2_T3_mT4_T5_T6_T7_T8_P12ihipStream_tbENKUlT_T0_E_clISt17integral_constantIbLb0EES13_EEDaSY_SZ_EUlSY_E_NS1_11comp_targetILNS1_3genE4ELNS1_11target_archE910ELNS1_3gpuE8ELNS1_3repE0EEENS1_30default_config_static_selectorELNS0_4arch9wavefront6targetE1EEEvT1_.uses_flat_scratch, 0
	.set _ZN7rocprim17ROCPRIM_400000_NS6detail17trampoline_kernelINS0_14default_configENS1_29reduce_by_key_config_selectorIflN6thrust23THRUST_200600_302600_NS4plusIlEEEEZZNS1_33reduce_by_key_impl_wrapped_configILNS1_25lookback_scan_determinismE0ES3_S9_PfNS6_17constant_iteratorIiNS6_11use_defaultESE_EENS6_10device_ptrIfEENSG_IlEEPmS8_NS6_8equal_toIfEEEE10hipError_tPvRmT2_T3_mT4_T5_T6_T7_T8_P12ihipStream_tbENKUlT_T0_E_clISt17integral_constantIbLb0EES13_EEDaSY_SZ_EUlSY_E_NS1_11comp_targetILNS1_3genE4ELNS1_11target_archE910ELNS1_3gpuE8ELNS1_3repE0EEENS1_30default_config_static_selectorELNS0_4arch9wavefront6targetE1EEEvT1_.has_dyn_sized_stack, 0
	.set _ZN7rocprim17ROCPRIM_400000_NS6detail17trampoline_kernelINS0_14default_configENS1_29reduce_by_key_config_selectorIflN6thrust23THRUST_200600_302600_NS4plusIlEEEEZZNS1_33reduce_by_key_impl_wrapped_configILNS1_25lookback_scan_determinismE0ES3_S9_PfNS6_17constant_iteratorIiNS6_11use_defaultESE_EENS6_10device_ptrIfEENSG_IlEEPmS8_NS6_8equal_toIfEEEE10hipError_tPvRmT2_T3_mT4_T5_T6_T7_T8_P12ihipStream_tbENKUlT_T0_E_clISt17integral_constantIbLb0EES13_EEDaSY_SZ_EUlSY_E_NS1_11comp_targetILNS1_3genE4ELNS1_11target_archE910ELNS1_3gpuE8ELNS1_3repE0EEENS1_30default_config_static_selectorELNS0_4arch9wavefront6targetE1EEEvT1_.has_recursion, 0
	.set _ZN7rocprim17ROCPRIM_400000_NS6detail17trampoline_kernelINS0_14default_configENS1_29reduce_by_key_config_selectorIflN6thrust23THRUST_200600_302600_NS4plusIlEEEEZZNS1_33reduce_by_key_impl_wrapped_configILNS1_25lookback_scan_determinismE0ES3_S9_PfNS6_17constant_iteratorIiNS6_11use_defaultESE_EENS6_10device_ptrIfEENSG_IlEEPmS8_NS6_8equal_toIfEEEE10hipError_tPvRmT2_T3_mT4_T5_T6_T7_T8_P12ihipStream_tbENKUlT_T0_E_clISt17integral_constantIbLb0EES13_EEDaSY_SZ_EUlSY_E_NS1_11comp_targetILNS1_3genE4ELNS1_11target_archE910ELNS1_3gpuE8ELNS1_3repE0EEENS1_30default_config_static_selectorELNS0_4arch9wavefront6targetE1EEEvT1_.has_indirect_call, 0
	.section	.AMDGPU.csdata,"",@progbits
; Kernel info:
; codeLenInByte = 0
; TotalNumSgprs: 4
; NumVgprs: 0
; ScratchSize: 0
; MemoryBound: 0
; FloatMode: 240
; IeeeMode: 1
; LDSByteSize: 0 bytes/workgroup (compile time only)
; SGPRBlocks: 0
; VGPRBlocks: 0
; NumSGPRsForWavesPerEU: 4
; NumVGPRsForWavesPerEU: 1
; Occupancy: 10
; WaveLimiterHint : 0
; COMPUTE_PGM_RSRC2:SCRATCH_EN: 0
; COMPUTE_PGM_RSRC2:USER_SGPR: 6
; COMPUTE_PGM_RSRC2:TRAP_HANDLER: 0
; COMPUTE_PGM_RSRC2:TGID_X_EN: 1
; COMPUTE_PGM_RSRC2:TGID_Y_EN: 0
; COMPUTE_PGM_RSRC2:TGID_Z_EN: 0
; COMPUTE_PGM_RSRC2:TIDIG_COMP_CNT: 0
	.section	.text._ZN7rocprim17ROCPRIM_400000_NS6detail17trampoline_kernelINS0_14default_configENS1_29reduce_by_key_config_selectorIflN6thrust23THRUST_200600_302600_NS4plusIlEEEEZZNS1_33reduce_by_key_impl_wrapped_configILNS1_25lookback_scan_determinismE0ES3_S9_PfNS6_17constant_iteratorIiNS6_11use_defaultESE_EENS6_10device_ptrIfEENSG_IlEEPmS8_NS6_8equal_toIfEEEE10hipError_tPvRmT2_T3_mT4_T5_T6_T7_T8_P12ihipStream_tbENKUlT_T0_E_clISt17integral_constantIbLb0EES13_EEDaSY_SZ_EUlSY_E_NS1_11comp_targetILNS1_3genE3ELNS1_11target_archE908ELNS1_3gpuE7ELNS1_3repE0EEENS1_30default_config_static_selectorELNS0_4arch9wavefront6targetE1EEEvT1_,"axG",@progbits,_ZN7rocprim17ROCPRIM_400000_NS6detail17trampoline_kernelINS0_14default_configENS1_29reduce_by_key_config_selectorIflN6thrust23THRUST_200600_302600_NS4plusIlEEEEZZNS1_33reduce_by_key_impl_wrapped_configILNS1_25lookback_scan_determinismE0ES3_S9_PfNS6_17constant_iteratorIiNS6_11use_defaultESE_EENS6_10device_ptrIfEENSG_IlEEPmS8_NS6_8equal_toIfEEEE10hipError_tPvRmT2_T3_mT4_T5_T6_T7_T8_P12ihipStream_tbENKUlT_T0_E_clISt17integral_constantIbLb0EES13_EEDaSY_SZ_EUlSY_E_NS1_11comp_targetILNS1_3genE3ELNS1_11target_archE908ELNS1_3gpuE7ELNS1_3repE0EEENS1_30default_config_static_selectorELNS0_4arch9wavefront6targetE1EEEvT1_,comdat
	.protected	_ZN7rocprim17ROCPRIM_400000_NS6detail17trampoline_kernelINS0_14default_configENS1_29reduce_by_key_config_selectorIflN6thrust23THRUST_200600_302600_NS4plusIlEEEEZZNS1_33reduce_by_key_impl_wrapped_configILNS1_25lookback_scan_determinismE0ES3_S9_PfNS6_17constant_iteratorIiNS6_11use_defaultESE_EENS6_10device_ptrIfEENSG_IlEEPmS8_NS6_8equal_toIfEEEE10hipError_tPvRmT2_T3_mT4_T5_T6_T7_T8_P12ihipStream_tbENKUlT_T0_E_clISt17integral_constantIbLb0EES13_EEDaSY_SZ_EUlSY_E_NS1_11comp_targetILNS1_3genE3ELNS1_11target_archE908ELNS1_3gpuE7ELNS1_3repE0EEENS1_30default_config_static_selectorELNS0_4arch9wavefront6targetE1EEEvT1_ ; -- Begin function _ZN7rocprim17ROCPRIM_400000_NS6detail17trampoline_kernelINS0_14default_configENS1_29reduce_by_key_config_selectorIflN6thrust23THRUST_200600_302600_NS4plusIlEEEEZZNS1_33reduce_by_key_impl_wrapped_configILNS1_25lookback_scan_determinismE0ES3_S9_PfNS6_17constant_iteratorIiNS6_11use_defaultESE_EENS6_10device_ptrIfEENSG_IlEEPmS8_NS6_8equal_toIfEEEE10hipError_tPvRmT2_T3_mT4_T5_T6_T7_T8_P12ihipStream_tbENKUlT_T0_E_clISt17integral_constantIbLb0EES13_EEDaSY_SZ_EUlSY_E_NS1_11comp_targetILNS1_3genE3ELNS1_11target_archE908ELNS1_3gpuE7ELNS1_3repE0EEENS1_30default_config_static_selectorELNS0_4arch9wavefront6targetE1EEEvT1_
	.globl	_ZN7rocprim17ROCPRIM_400000_NS6detail17trampoline_kernelINS0_14default_configENS1_29reduce_by_key_config_selectorIflN6thrust23THRUST_200600_302600_NS4plusIlEEEEZZNS1_33reduce_by_key_impl_wrapped_configILNS1_25lookback_scan_determinismE0ES3_S9_PfNS6_17constant_iteratorIiNS6_11use_defaultESE_EENS6_10device_ptrIfEENSG_IlEEPmS8_NS6_8equal_toIfEEEE10hipError_tPvRmT2_T3_mT4_T5_T6_T7_T8_P12ihipStream_tbENKUlT_T0_E_clISt17integral_constantIbLb0EES13_EEDaSY_SZ_EUlSY_E_NS1_11comp_targetILNS1_3genE3ELNS1_11target_archE908ELNS1_3gpuE7ELNS1_3repE0EEENS1_30default_config_static_selectorELNS0_4arch9wavefront6targetE1EEEvT1_
	.p2align	8
	.type	_ZN7rocprim17ROCPRIM_400000_NS6detail17trampoline_kernelINS0_14default_configENS1_29reduce_by_key_config_selectorIflN6thrust23THRUST_200600_302600_NS4plusIlEEEEZZNS1_33reduce_by_key_impl_wrapped_configILNS1_25lookback_scan_determinismE0ES3_S9_PfNS6_17constant_iteratorIiNS6_11use_defaultESE_EENS6_10device_ptrIfEENSG_IlEEPmS8_NS6_8equal_toIfEEEE10hipError_tPvRmT2_T3_mT4_T5_T6_T7_T8_P12ihipStream_tbENKUlT_T0_E_clISt17integral_constantIbLb0EES13_EEDaSY_SZ_EUlSY_E_NS1_11comp_targetILNS1_3genE3ELNS1_11target_archE908ELNS1_3gpuE7ELNS1_3repE0EEENS1_30default_config_static_selectorELNS0_4arch9wavefront6targetE1EEEvT1_,@function
_ZN7rocprim17ROCPRIM_400000_NS6detail17trampoline_kernelINS0_14default_configENS1_29reduce_by_key_config_selectorIflN6thrust23THRUST_200600_302600_NS4plusIlEEEEZZNS1_33reduce_by_key_impl_wrapped_configILNS1_25lookback_scan_determinismE0ES3_S9_PfNS6_17constant_iteratorIiNS6_11use_defaultESE_EENS6_10device_ptrIfEENSG_IlEEPmS8_NS6_8equal_toIfEEEE10hipError_tPvRmT2_T3_mT4_T5_T6_T7_T8_P12ihipStream_tbENKUlT_T0_E_clISt17integral_constantIbLb0EES13_EEDaSY_SZ_EUlSY_E_NS1_11comp_targetILNS1_3genE3ELNS1_11target_archE908ELNS1_3gpuE7ELNS1_3repE0EEENS1_30default_config_static_selectorELNS0_4arch9wavefront6targetE1EEEvT1_: ; @_ZN7rocprim17ROCPRIM_400000_NS6detail17trampoline_kernelINS0_14default_configENS1_29reduce_by_key_config_selectorIflN6thrust23THRUST_200600_302600_NS4plusIlEEEEZZNS1_33reduce_by_key_impl_wrapped_configILNS1_25lookback_scan_determinismE0ES3_S9_PfNS6_17constant_iteratorIiNS6_11use_defaultESE_EENS6_10device_ptrIfEENSG_IlEEPmS8_NS6_8equal_toIfEEEE10hipError_tPvRmT2_T3_mT4_T5_T6_T7_T8_P12ihipStream_tbENKUlT_T0_E_clISt17integral_constantIbLb0EES13_EEDaSY_SZ_EUlSY_E_NS1_11comp_targetILNS1_3genE3ELNS1_11target_archE908ELNS1_3gpuE7ELNS1_3repE0EEENS1_30default_config_static_selectorELNS0_4arch9wavefront6targetE1EEEvT1_
; %bb.0:
	.section	.rodata,"a",@progbits
	.p2align	6, 0x0
	.amdhsa_kernel _ZN7rocprim17ROCPRIM_400000_NS6detail17trampoline_kernelINS0_14default_configENS1_29reduce_by_key_config_selectorIflN6thrust23THRUST_200600_302600_NS4plusIlEEEEZZNS1_33reduce_by_key_impl_wrapped_configILNS1_25lookback_scan_determinismE0ES3_S9_PfNS6_17constant_iteratorIiNS6_11use_defaultESE_EENS6_10device_ptrIfEENSG_IlEEPmS8_NS6_8equal_toIfEEEE10hipError_tPvRmT2_T3_mT4_T5_T6_T7_T8_P12ihipStream_tbENKUlT_T0_E_clISt17integral_constantIbLb0EES13_EEDaSY_SZ_EUlSY_E_NS1_11comp_targetILNS1_3genE3ELNS1_11target_archE908ELNS1_3gpuE7ELNS1_3repE0EEENS1_30default_config_static_selectorELNS0_4arch9wavefront6targetE1EEEvT1_
		.amdhsa_group_segment_fixed_size 0
		.amdhsa_private_segment_fixed_size 0
		.amdhsa_kernarg_size 144
		.amdhsa_user_sgpr_count 6
		.amdhsa_user_sgpr_private_segment_buffer 1
		.amdhsa_user_sgpr_dispatch_ptr 0
		.amdhsa_user_sgpr_queue_ptr 0
		.amdhsa_user_sgpr_kernarg_segment_ptr 1
		.amdhsa_user_sgpr_dispatch_id 0
		.amdhsa_user_sgpr_flat_scratch_init 0
		.amdhsa_user_sgpr_private_segment_size 0
		.amdhsa_uses_dynamic_stack 0
		.amdhsa_system_sgpr_private_segment_wavefront_offset 0
		.amdhsa_system_sgpr_workgroup_id_x 1
		.amdhsa_system_sgpr_workgroup_id_y 0
		.amdhsa_system_sgpr_workgroup_id_z 0
		.amdhsa_system_sgpr_workgroup_info 0
		.amdhsa_system_vgpr_workitem_id 0
		.amdhsa_next_free_vgpr 1
		.amdhsa_next_free_sgpr 0
		.amdhsa_reserve_vcc 0
		.amdhsa_reserve_flat_scratch 0
		.amdhsa_float_round_mode_32 0
		.amdhsa_float_round_mode_16_64 0
		.amdhsa_float_denorm_mode_32 3
		.amdhsa_float_denorm_mode_16_64 3
		.amdhsa_dx10_clamp 1
		.amdhsa_ieee_mode 1
		.amdhsa_fp16_overflow 0
		.amdhsa_exception_fp_ieee_invalid_op 0
		.amdhsa_exception_fp_denorm_src 0
		.amdhsa_exception_fp_ieee_div_zero 0
		.amdhsa_exception_fp_ieee_overflow 0
		.amdhsa_exception_fp_ieee_underflow 0
		.amdhsa_exception_fp_ieee_inexact 0
		.amdhsa_exception_int_div_zero 0
	.end_amdhsa_kernel
	.section	.text._ZN7rocprim17ROCPRIM_400000_NS6detail17trampoline_kernelINS0_14default_configENS1_29reduce_by_key_config_selectorIflN6thrust23THRUST_200600_302600_NS4plusIlEEEEZZNS1_33reduce_by_key_impl_wrapped_configILNS1_25lookback_scan_determinismE0ES3_S9_PfNS6_17constant_iteratorIiNS6_11use_defaultESE_EENS6_10device_ptrIfEENSG_IlEEPmS8_NS6_8equal_toIfEEEE10hipError_tPvRmT2_T3_mT4_T5_T6_T7_T8_P12ihipStream_tbENKUlT_T0_E_clISt17integral_constantIbLb0EES13_EEDaSY_SZ_EUlSY_E_NS1_11comp_targetILNS1_3genE3ELNS1_11target_archE908ELNS1_3gpuE7ELNS1_3repE0EEENS1_30default_config_static_selectorELNS0_4arch9wavefront6targetE1EEEvT1_,"axG",@progbits,_ZN7rocprim17ROCPRIM_400000_NS6detail17trampoline_kernelINS0_14default_configENS1_29reduce_by_key_config_selectorIflN6thrust23THRUST_200600_302600_NS4plusIlEEEEZZNS1_33reduce_by_key_impl_wrapped_configILNS1_25lookback_scan_determinismE0ES3_S9_PfNS6_17constant_iteratorIiNS6_11use_defaultESE_EENS6_10device_ptrIfEENSG_IlEEPmS8_NS6_8equal_toIfEEEE10hipError_tPvRmT2_T3_mT4_T5_T6_T7_T8_P12ihipStream_tbENKUlT_T0_E_clISt17integral_constantIbLb0EES13_EEDaSY_SZ_EUlSY_E_NS1_11comp_targetILNS1_3genE3ELNS1_11target_archE908ELNS1_3gpuE7ELNS1_3repE0EEENS1_30default_config_static_selectorELNS0_4arch9wavefront6targetE1EEEvT1_,comdat
.Lfunc_end1909:
	.size	_ZN7rocprim17ROCPRIM_400000_NS6detail17trampoline_kernelINS0_14default_configENS1_29reduce_by_key_config_selectorIflN6thrust23THRUST_200600_302600_NS4plusIlEEEEZZNS1_33reduce_by_key_impl_wrapped_configILNS1_25lookback_scan_determinismE0ES3_S9_PfNS6_17constant_iteratorIiNS6_11use_defaultESE_EENS6_10device_ptrIfEENSG_IlEEPmS8_NS6_8equal_toIfEEEE10hipError_tPvRmT2_T3_mT4_T5_T6_T7_T8_P12ihipStream_tbENKUlT_T0_E_clISt17integral_constantIbLb0EES13_EEDaSY_SZ_EUlSY_E_NS1_11comp_targetILNS1_3genE3ELNS1_11target_archE908ELNS1_3gpuE7ELNS1_3repE0EEENS1_30default_config_static_selectorELNS0_4arch9wavefront6targetE1EEEvT1_, .Lfunc_end1909-_ZN7rocprim17ROCPRIM_400000_NS6detail17trampoline_kernelINS0_14default_configENS1_29reduce_by_key_config_selectorIflN6thrust23THRUST_200600_302600_NS4plusIlEEEEZZNS1_33reduce_by_key_impl_wrapped_configILNS1_25lookback_scan_determinismE0ES3_S9_PfNS6_17constant_iteratorIiNS6_11use_defaultESE_EENS6_10device_ptrIfEENSG_IlEEPmS8_NS6_8equal_toIfEEEE10hipError_tPvRmT2_T3_mT4_T5_T6_T7_T8_P12ihipStream_tbENKUlT_T0_E_clISt17integral_constantIbLb0EES13_EEDaSY_SZ_EUlSY_E_NS1_11comp_targetILNS1_3genE3ELNS1_11target_archE908ELNS1_3gpuE7ELNS1_3repE0EEENS1_30default_config_static_selectorELNS0_4arch9wavefront6targetE1EEEvT1_
                                        ; -- End function
	.set _ZN7rocprim17ROCPRIM_400000_NS6detail17trampoline_kernelINS0_14default_configENS1_29reduce_by_key_config_selectorIflN6thrust23THRUST_200600_302600_NS4plusIlEEEEZZNS1_33reduce_by_key_impl_wrapped_configILNS1_25lookback_scan_determinismE0ES3_S9_PfNS6_17constant_iteratorIiNS6_11use_defaultESE_EENS6_10device_ptrIfEENSG_IlEEPmS8_NS6_8equal_toIfEEEE10hipError_tPvRmT2_T3_mT4_T5_T6_T7_T8_P12ihipStream_tbENKUlT_T0_E_clISt17integral_constantIbLb0EES13_EEDaSY_SZ_EUlSY_E_NS1_11comp_targetILNS1_3genE3ELNS1_11target_archE908ELNS1_3gpuE7ELNS1_3repE0EEENS1_30default_config_static_selectorELNS0_4arch9wavefront6targetE1EEEvT1_.num_vgpr, 0
	.set _ZN7rocprim17ROCPRIM_400000_NS6detail17trampoline_kernelINS0_14default_configENS1_29reduce_by_key_config_selectorIflN6thrust23THRUST_200600_302600_NS4plusIlEEEEZZNS1_33reduce_by_key_impl_wrapped_configILNS1_25lookback_scan_determinismE0ES3_S9_PfNS6_17constant_iteratorIiNS6_11use_defaultESE_EENS6_10device_ptrIfEENSG_IlEEPmS8_NS6_8equal_toIfEEEE10hipError_tPvRmT2_T3_mT4_T5_T6_T7_T8_P12ihipStream_tbENKUlT_T0_E_clISt17integral_constantIbLb0EES13_EEDaSY_SZ_EUlSY_E_NS1_11comp_targetILNS1_3genE3ELNS1_11target_archE908ELNS1_3gpuE7ELNS1_3repE0EEENS1_30default_config_static_selectorELNS0_4arch9wavefront6targetE1EEEvT1_.num_agpr, 0
	.set _ZN7rocprim17ROCPRIM_400000_NS6detail17trampoline_kernelINS0_14default_configENS1_29reduce_by_key_config_selectorIflN6thrust23THRUST_200600_302600_NS4plusIlEEEEZZNS1_33reduce_by_key_impl_wrapped_configILNS1_25lookback_scan_determinismE0ES3_S9_PfNS6_17constant_iteratorIiNS6_11use_defaultESE_EENS6_10device_ptrIfEENSG_IlEEPmS8_NS6_8equal_toIfEEEE10hipError_tPvRmT2_T3_mT4_T5_T6_T7_T8_P12ihipStream_tbENKUlT_T0_E_clISt17integral_constantIbLb0EES13_EEDaSY_SZ_EUlSY_E_NS1_11comp_targetILNS1_3genE3ELNS1_11target_archE908ELNS1_3gpuE7ELNS1_3repE0EEENS1_30default_config_static_selectorELNS0_4arch9wavefront6targetE1EEEvT1_.numbered_sgpr, 0
	.set _ZN7rocprim17ROCPRIM_400000_NS6detail17trampoline_kernelINS0_14default_configENS1_29reduce_by_key_config_selectorIflN6thrust23THRUST_200600_302600_NS4plusIlEEEEZZNS1_33reduce_by_key_impl_wrapped_configILNS1_25lookback_scan_determinismE0ES3_S9_PfNS6_17constant_iteratorIiNS6_11use_defaultESE_EENS6_10device_ptrIfEENSG_IlEEPmS8_NS6_8equal_toIfEEEE10hipError_tPvRmT2_T3_mT4_T5_T6_T7_T8_P12ihipStream_tbENKUlT_T0_E_clISt17integral_constantIbLb0EES13_EEDaSY_SZ_EUlSY_E_NS1_11comp_targetILNS1_3genE3ELNS1_11target_archE908ELNS1_3gpuE7ELNS1_3repE0EEENS1_30default_config_static_selectorELNS0_4arch9wavefront6targetE1EEEvT1_.num_named_barrier, 0
	.set _ZN7rocprim17ROCPRIM_400000_NS6detail17trampoline_kernelINS0_14default_configENS1_29reduce_by_key_config_selectorIflN6thrust23THRUST_200600_302600_NS4plusIlEEEEZZNS1_33reduce_by_key_impl_wrapped_configILNS1_25lookback_scan_determinismE0ES3_S9_PfNS6_17constant_iteratorIiNS6_11use_defaultESE_EENS6_10device_ptrIfEENSG_IlEEPmS8_NS6_8equal_toIfEEEE10hipError_tPvRmT2_T3_mT4_T5_T6_T7_T8_P12ihipStream_tbENKUlT_T0_E_clISt17integral_constantIbLb0EES13_EEDaSY_SZ_EUlSY_E_NS1_11comp_targetILNS1_3genE3ELNS1_11target_archE908ELNS1_3gpuE7ELNS1_3repE0EEENS1_30default_config_static_selectorELNS0_4arch9wavefront6targetE1EEEvT1_.private_seg_size, 0
	.set _ZN7rocprim17ROCPRIM_400000_NS6detail17trampoline_kernelINS0_14default_configENS1_29reduce_by_key_config_selectorIflN6thrust23THRUST_200600_302600_NS4plusIlEEEEZZNS1_33reduce_by_key_impl_wrapped_configILNS1_25lookback_scan_determinismE0ES3_S9_PfNS6_17constant_iteratorIiNS6_11use_defaultESE_EENS6_10device_ptrIfEENSG_IlEEPmS8_NS6_8equal_toIfEEEE10hipError_tPvRmT2_T3_mT4_T5_T6_T7_T8_P12ihipStream_tbENKUlT_T0_E_clISt17integral_constantIbLb0EES13_EEDaSY_SZ_EUlSY_E_NS1_11comp_targetILNS1_3genE3ELNS1_11target_archE908ELNS1_3gpuE7ELNS1_3repE0EEENS1_30default_config_static_selectorELNS0_4arch9wavefront6targetE1EEEvT1_.uses_vcc, 0
	.set _ZN7rocprim17ROCPRIM_400000_NS6detail17trampoline_kernelINS0_14default_configENS1_29reduce_by_key_config_selectorIflN6thrust23THRUST_200600_302600_NS4plusIlEEEEZZNS1_33reduce_by_key_impl_wrapped_configILNS1_25lookback_scan_determinismE0ES3_S9_PfNS6_17constant_iteratorIiNS6_11use_defaultESE_EENS6_10device_ptrIfEENSG_IlEEPmS8_NS6_8equal_toIfEEEE10hipError_tPvRmT2_T3_mT4_T5_T6_T7_T8_P12ihipStream_tbENKUlT_T0_E_clISt17integral_constantIbLb0EES13_EEDaSY_SZ_EUlSY_E_NS1_11comp_targetILNS1_3genE3ELNS1_11target_archE908ELNS1_3gpuE7ELNS1_3repE0EEENS1_30default_config_static_selectorELNS0_4arch9wavefront6targetE1EEEvT1_.uses_flat_scratch, 0
	.set _ZN7rocprim17ROCPRIM_400000_NS6detail17trampoline_kernelINS0_14default_configENS1_29reduce_by_key_config_selectorIflN6thrust23THRUST_200600_302600_NS4plusIlEEEEZZNS1_33reduce_by_key_impl_wrapped_configILNS1_25lookback_scan_determinismE0ES3_S9_PfNS6_17constant_iteratorIiNS6_11use_defaultESE_EENS6_10device_ptrIfEENSG_IlEEPmS8_NS6_8equal_toIfEEEE10hipError_tPvRmT2_T3_mT4_T5_T6_T7_T8_P12ihipStream_tbENKUlT_T0_E_clISt17integral_constantIbLb0EES13_EEDaSY_SZ_EUlSY_E_NS1_11comp_targetILNS1_3genE3ELNS1_11target_archE908ELNS1_3gpuE7ELNS1_3repE0EEENS1_30default_config_static_selectorELNS0_4arch9wavefront6targetE1EEEvT1_.has_dyn_sized_stack, 0
	.set _ZN7rocprim17ROCPRIM_400000_NS6detail17trampoline_kernelINS0_14default_configENS1_29reduce_by_key_config_selectorIflN6thrust23THRUST_200600_302600_NS4plusIlEEEEZZNS1_33reduce_by_key_impl_wrapped_configILNS1_25lookback_scan_determinismE0ES3_S9_PfNS6_17constant_iteratorIiNS6_11use_defaultESE_EENS6_10device_ptrIfEENSG_IlEEPmS8_NS6_8equal_toIfEEEE10hipError_tPvRmT2_T3_mT4_T5_T6_T7_T8_P12ihipStream_tbENKUlT_T0_E_clISt17integral_constantIbLb0EES13_EEDaSY_SZ_EUlSY_E_NS1_11comp_targetILNS1_3genE3ELNS1_11target_archE908ELNS1_3gpuE7ELNS1_3repE0EEENS1_30default_config_static_selectorELNS0_4arch9wavefront6targetE1EEEvT1_.has_recursion, 0
	.set _ZN7rocprim17ROCPRIM_400000_NS6detail17trampoline_kernelINS0_14default_configENS1_29reduce_by_key_config_selectorIflN6thrust23THRUST_200600_302600_NS4plusIlEEEEZZNS1_33reduce_by_key_impl_wrapped_configILNS1_25lookback_scan_determinismE0ES3_S9_PfNS6_17constant_iteratorIiNS6_11use_defaultESE_EENS6_10device_ptrIfEENSG_IlEEPmS8_NS6_8equal_toIfEEEE10hipError_tPvRmT2_T3_mT4_T5_T6_T7_T8_P12ihipStream_tbENKUlT_T0_E_clISt17integral_constantIbLb0EES13_EEDaSY_SZ_EUlSY_E_NS1_11comp_targetILNS1_3genE3ELNS1_11target_archE908ELNS1_3gpuE7ELNS1_3repE0EEENS1_30default_config_static_selectorELNS0_4arch9wavefront6targetE1EEEvT1_.has_indirect_call, 0
	.section	.AMDGPU.csdata,"",@progbits
; Kernel info:
; codeLenInByte = 0
; TotalNumSgprs: 4
; NumVgprs: 0
; ScratchSize: 0
; MemoryBound: 0
; FloatMode: 240
; IeeeMode: 1
; LDSByteSize: 0 bytes/workgroup (compile time only)
; SGPRBlocks: 0
; VGPRBlocks: 0
; NumSGPRsForWavesPerEU: 4
; NumVGPRsForWavesPerEU: 1
; Occupancy: 10
; WaveLimiterHint : 0
; COMPUTE_PGM_RSRC2:SCRATCH_EN: 0
; COMPUTE_PGM_RSRC2:USER_SGPR: 6
; COMPUTE_PGM_RSRC2:TRAP_HANDLER: 0
; COMPUTE_PGM_RSRC2:TGID_X_EN: 1
; COMPUTE_PGM_RSRC2:TGID_Y_EN: 0
; COMPUTE_PGM_RSRC2:TGID_Z_EN: 0
; COMPUTE_PGM_RSRC2:TIDIG_COMP_CNT: 0
	.section	.text._ZN7rocprim17ROCPRIM_400000_NS6detail17trampoline_kernelINS0_14default_configENS1_29reduce_by_key_config_selectorIflN6thrust23THRUST_200600_302600_NS4plusIlEEEEZZNS1_33reduce_by_key_impl_wrapped_configILNS1_25lookback_scan_determinismE0ES3_S9_PfNS6_17constant_iteratorIiNS6_11use_defaultESE_EENS6_10device_ptrIfEENSG_IlEEPmS8_NS6_8equal_toIfEEEE10hipError_tPvRmT2_T3_mT4_T5_T6_T7_T8_P12ihipStream_tbENKUlT_T0_E_clISt17integral_constantIbLb0EES13_EEDaSY_SZ_EUlSY_E_NS1_11comp_targetILNS1_3genE2ELNS1_11target_archE906ELNS1_3gpuE6ELNS1_3repE0EEENS1_30default_config_static_selectorELNS0_4arch9wavefront6targetE1EEEvT1_,"axG",@progbits,_ZN7rocprim17ROCPRIM_400000_NS6detail17trampoline_kernelINS0_14default_configENS1_29reduce_by_key_config_selectorIflN6thrust23THRUST_200600_302600_NS4plusIlEEEEZZNS1_33reduce_by_key_impl_wrapped_configILNS1_25lookback_scan_determinismE0ES3_S9_PfNS6_17constant_iteratorIiNS6_11use_defaultESE_EENS6_10device_ptrIfEENSG_IlEEPmS8_NS6_8equal_toIfEEEE10hipError_tPvRmT2_T3_mT4_T5_T6_T7_T8_P12ihipStream_tbENKUlT_T0_E_clISt17integral_constantIbLb0EES13_EEDaSY_SZ_EUlSY_E_NS1_11comp_targetILNS1_3genE2ELNS1_11target_archE906ELNS1_3gpuE6ELNS1_3repE0EEENS1_30default_config_static_selectorELNS0_4arch9wavefront6targetE1EEEvT1_,comdat
	.protected	_ZN7rocprim17ROCPRIM_400000_NS6detail17trampoline_kernelINS0_14default_configENS1_29reduce_by_key_config_selectorIflN6thrust23THRUST_200600_302600_NS4plusIlEEEEZZNS1_33reduce_by_key_impl_wrapped_configILNS1_25lookback_scan_determinismE0ES3_S9_PfNS6_17constant_iteratorIiNS6_11use_defaultESE_EENS6_10device_ptrIfEENSG_IlEEPmS8_NS6_8equal_toIfEEEE10hipError_tPvRmT2_T3_mT4_T5_T6_T7_T8_P12ihipStream_tbENKUlT_T0_E_clISt17integral_constantIbLb0EES13_EEDaSY_SZ_EUlSY_E_NS1_11comp_targetILNS1_3genE2ELNS1_11target_archE906ELNS1_3gpuE6ELNS1_3repE0EEENS1_30default_config_static_selectorELNS0_4arch9wavefront6targetE1EEEvT1_ ; -- Begin function _ZN7rocprim17ROCPRIM_400000_NS6detail17trampoline_kernelINS0_14default_configENS1_29reduce_by_key_config_selectorIflN6thrust23THRUST_200600_302600_NS4plusIlEEEEZZNS1_33reduce_by_key_impl_wrapped_configILNS1_25lookback_scan_determinismE0ES3_S9_PfNS6_17constant_iteratorIiNS6_11use_defaultESE_EENS6_10device_ptrIfEENSG_IlEEPmS8_NS6_8equal_toIfEEEE10hipError_tPvRmT2_T3_mT4_T5_T6_T7_T8_P12ihipStream_tbENKUlT_T0_E_clISt17integral_constantIbLb0EES13_EEDaSY_SZ_EUlSY_E_NS1_11comp_targetILNS1_3genE2ELNS1_11target_archE906ELNS1_3gpuE6ELNS1_3repE0EEENS1_30default_config_static_selectorELNS0_4arch9wavefront6targetE1EEEvT1_
	.globl	_ZN7rocprim17ROCPRIM_400000_NS6detail17trampoline_kernelINS0_14default_configENS1_29reduce_by_key_config_selectorIflN6thrust23THRUST_200600_302600_NS4plusIlEEEEZZNS1_33reduce_by_key_impl_wrapped_configILNS1_25lookback_scan_determinismE0ES3_S9_PfNS6_17constant_iteratorIiNS6_11use_defaultESE_EENS6_10device_ptrIfEENSG_IlEEPmS8_NS6_8equal_toIfEEEE10hipError_tPvRmT2_T3_mT4_T5_T6_T7_T8_P12ihipStream_tbENKUlT_T0_E_clISt17integral_constantIbLb0EES13_EEDaSY_SZ_EUlSY_E_NS1_11comp_targetILNS1_3genE2ELNS1_11target_archE906ELNS1_3gpuE6ELNS1_3repE0EEENS1_30default_config_static_selectorELNS0_4arch9wavefront6targetE1EEEvT1_
	.p2align	8
	.type	_ZN7rocprim17ROCPRIM_400000_NS6detail17trampoline_kernelINS0_14default_configENS1_29reduce_by_key_config_selectorIflN6thrust23THRUST_200600_302600_NS4plusIlEEEEZZNS1_33reduce_by_key_impl_wrapped_configILNS1_25lookback_scan_determinismE0ES3_S9_PfNS6_17constant_iteratorIiNS6_11use_defaultESE_EENS6_10device_ptrIfEENSG_IlEEPmS8_NS6_8equal_toIfEEEE10hipError_tPvRmT2_T3_mT4_T5_T6_T7_T8_P12ihipStream_tbENKUlT_T0_E_clISt17integral_constantIbLb0EES13_EEDaSY_SZ_EUlSY_E_NS1_11comp_targetILNS1_3genE2ELNS1_11target_archE906ELNS1_3gpuE6ELNS1_3repE0EEENS1_30default_config_static_selectorELNS0_4arch9wavefront6targetE1EEEvT1_,@function
_ZN7rocprim17ROCPRIM_400000_NS6detail17trampoline_kernelINS0_14default_configENS1_29reduce_by_key_config_selectorIflN6thrust23THRUST_200600_302600_NS4plusIlEEEEZZNS1_33reduce_by_key_impl_wrapped_configILNS1_25lookback_scan_determinismE0ES3_S9_PfNS6_17constant_iteratorIiNS6_11use_defaultESE_EENS6_10device_ptrIfEENSG_IlEEPmS8_NS6_8equal_toIfEEEE10hipError_tPvRmT2_T3_mT4_T5_T6_T7_T8_P12ihipStream_tbENKUlT_T0_E_clISt17integral_constantIbLb0EES13_EEDaSY_SZ_EUlSY_E_NS1_11comp_targetILNS1_3genE2ELNS1_11target_archE906ELNS1_3gpuE6ELNS1_3repE0EEENS1_30default_config_static_selectorELNS0_4arch9wavefront6targetE1EEEvT1_: ; @_ZN7rocprim17ROCPRIM_400000_NS6detail17trampoline_kernelINS0_14default_configENS1_29reduce_by_key_config_selectorIflN6thrust23THRUST_200600_302600_NS4plusIlEEEEZZNS1_33reduce_by_key_impl_wrapped_configILNS1_25lookback_scan_determinismE0ES3_S9_PfNS6_17constant_iteratorIiNS6_11use_defaultESE_EENS6_10device_ptrIfEENSG_IlEEPmS8_NS6_8equal_toIfEEEE10hipError_tPvRmT2_T3_mT4_T5_T6_T7_T8_P12ihipStream_tbENKUlT_T0_E_clISt17integral_constantIbLb0EES13_EEDaSY_SZ_EUlSY_E_NS1_11comp_targetILNS1_3genE2ELNS1_11target_archE906ELNS1_3gpuE6ELNS1_3repE0EEENS1_30default_config_static_selectorELNS0_4arch9wavefront6targetE1EEEvT1_
; %bb.0:
	s_load_dwordx16 s[40:55], s[4:5], 0x40
	s_load_dwordx4 s[8:11], s[4:5], 0x0
	s_load_dword s12, s[4:5], 0x18
	s_load_dwordx4 s[56:59], s[4:5], 0x20
	s_load_dwordx2 s[38:39], s[4:5], 0x30
	s_add_u32 s0, s0, s7
	s_waitcnt lgkmcnt(0)
	s_mul_i32 s7, s48, s47
	s_mul_hi_u32 s13, s48, s46
	s_addc_u32 s1, s1, 0
	s_add_i32 s7, s13, s7
	s_mul_i32 s13, s49, s46
	s_add_i32 s7, s7, s13
	s_lshl_b64 s[10:11], s[10:11], 2
	s_add_u32 s10, s8, s10
	s_addc_u32 s11, s9, s11
	s_mul_i32 s8, s6, 0xf00
	s_mov_b32 s9, 0
	s_lshl_b64 s[8:9], s[8:9], 2
	s_add_u32 s62, s10, s8
	s_mul_i32 s13, s48, s46
	s_addc_u32 s63, s11, s9
	s_add_u32 s8, s13, s6
	s_addc_u32 s9, s7, 0
	s_add_u32 s16, s50, -1
	s_addc_u32 s17, s51, -1
	s_cmp_eq_u64 s[8:9], s[16:17]
	s_cselect_b64 s[48:49], -1, 0
	s_cmp_lg_u64 s[8:9], s[16:17]
	s_mov_b64 s[14:15], -1
	s_cselect_b64 s[10:11], -1, 0
	s_mul_i32 s33, s16, 0xfffff100
	s_and_b64 vcc, exec, s[48:49]
	s_cbranch_vccnz .LBB1910_2
; %bb.1:
	v_lshlrev_b32_e32 v5, 2, v0
	v_mov_b32_e32 v1, s63
	v_add_co_u32_e32 v3, vcc, s62, v5
	v_addc_co_u32_e32 v4, vcc, 0, v1, vcc
	v_add_co_u32_e32 v1, vcc, 0x1000, v3
	v_addc_co_u32_e32 v2, vcc, 0, v4, vcc
	global_load_dword v6, v5, s[62:63]
	global_load_dword v7, v5, s[62:63] offset:1024
	global_load_dword v8, v5, s[62:63] offset:2048
	global_load_dword v9, v5, s[62:63] offset:3072
	global_load_dword v10, v[1:2], off
	global_load_dword v11, v[1:2], off offset:1024
	global_load_dword v12, v[1:2], off offset:2048
	;; [unrolled: 1-line block ×3, first 2 shown]
	v_add_co_u32_e32 v1, vcc, 0x2000, v3
	v_addc_co_u32_e32 v2, vcc, 0, v4, vcc
	v_add_co_u32_e32 v3, vcc, 0x3000, v3
	v_addc_co_u32_e32 v4, vcc, 0, v4, vcc
	global_load_dword v14, v[1:2], off
	global_load_dword v15, v[1:2], off offset:1024
	global_load_dword v16, v[1:2], off offset:2048
	;; [unrolled: 1-line block ×3, first 2 shown]
	global_load_dword v18, v[3:4], off
	global_load_dword v19, v[3:4], off offset:1024
	global_load_dword v20, v[3:4], off offset:2048
	v_mad_u32_u24 v4, v0, 56, v5
	s_ashr_i32 s13, s12, 31
	s_movk_i32 s7, 0xffcc
	v_mov_b32_e32 v2, s12
	v_mul_u32_u24_e32 v1, 15, v0
	v_mov_b32_e32 v3, s13
	v_mad_i32_i24 v21, v0, s7, v4
	s_waitcnt vmcnt(13)
	ds_write2st64_b32 v5, v6, v7 offset1:4
	s_waitcnt vmcnt(11)
	ds_write2st64_b32 v5, v8, v9 offset0:8 offset1:12
	s_waitcnt vmcnt(9)
	ds_write2st64_b32 v5, v10, v11 offset0:16 offset1:20
	;; [unrolled: 2-line block ×6, first 2 shown]
	s_waitcnt vmcnt(0)
	ds_write_b32 v5, v20 offset:14336
	s_waitcnt lgkmcnt(0)
	s_barrier
	ds_read2_b32 v[41:42], v4 offset1:1
	ds_read2_b32 v[39:40], v4 offset0:2 offset1:3
	ds_read2_b32 v[37:38], v4 offset0:4 offset1:5
	;; [unrolled: 1-line block ×6, first 2 shown]
	ds_read_b32 v81, v4 offset:56
	s_waitcnt lgkmcnt(0)
	s_barrier
	ds_write2st64_b64 v21, v[2:3], v[2:3] offset1:4
	ds_write2st64_b64 v21, v[2:3], v[2:3] offset0:8 offset1:12
	ds_write2st64_b64 v21, v[2:3], v[2:3] offset0:16 offset1:20
	;; [unrolled: 1-line block ×6, first 2 shown]
	ds_write_b64 v21, v[2:3] offset:28672
	s_waitcnt lgkmcnt(0)
	s_barrier
	s_load_dwordx2 s[60:61], s[4:5], 0x80
	s_add_i32 s33, s33, s52
	s_cbranch_execz .LBB1910_3
	s_branch .LBB1910_34
.LBB1910_2:
                                        ; implicit-def: $vgpr41
                                        ; implicit-def: $vgpr39
                                        ; implicit-def: $vgpr37
                                        ; implicit-def: $vgpr35
                                        ; implicit-def: $vgpr33
                                        ; implicit-def: $vgpr31
                                        ; implicit-def: $vgpr29
                                        ; implicit-def: $vgpr81
                                        ; implicit-def: $vgpr1
	s_load_dwordx2 s[60:61], s[4:5], 0x80
	s_andn2_b64 vcc, exec, s[14:15]
	s_add_i32 s33, s33, s52
	s_cbranch_vccnz .LBB1910_34
.LBB1910_3:
	v_cmp_gt_u32_e32 vcc, s33, v0
                                        ; implicit-def: $vgpr1
	s_and_saveexec_b64 s[4:5], vcc
	s_cbranch_execz .LBB1910_5
; %bb.4:
	v_lshlrev_b32_e32 v1, 2, v0
	global_load_dword v1, v1, s[62:63]
.LBB1910_5:
	s_or_b64 exec, exec, s[4:5]
	v_or_b32_e32 v2, 0x100, v0
	v_cmp_gt_u32_e32 vcc, s33, v2
                                        ; implicit-def: $vgpr2
	s_and_saveexec_b64 s[4:5], vcc
	s_cbranch_execz .LBB1910_7
; %bb.6:
	v_lshlrev_b32_e32 v2, 2, v0
	global_load_dword v2, v2, s[62:63] offset:1024
.LBB1910_7:
	s_or_b64 exec, exec, s[4:5]
	v_or_b32_e32 v3, 0x200, v0
	v_cmp_gt_u32_e32 vcc, s33, v3
                                        ; implicit-def: $vgpr3
	s_and_saveexec_b64 s[4:5], vcc
	s_cbranch_execz .LBB1910_9
; %bb.8:
	v_lshlrev_b32_e32 v3, 2, v0
	global_load_dword v3, v3, s[62:63] offset:2048
.LBB1910_9:
	s_or_b64 exec, exec, s[4:5]
	v_or_b32_e32 v4, 0x300, v0
	v_cmp_gt_u32_e32 vcc, s33, v4
                                        ; implicit-def: $vgpr4
	s_and_saveexec_b64 s[4:5], vcc
	s_cbranch_execz .LBB1910_11
; %bb.10:
	v_lshlrev_b32_e32 v4, 2, v0
	global_load_dword v4, v4, s[62:63] offset:3072
.LBB1910_11:
	s_or_b64 exec, exec, s[4:5]
	v_or_b32_e32 v6, 0x400, v0
	v_cmp_gt_u32_e32 vcc, s33, v6
                                        ; implicit-def: $vgpr5
	s_and_saveexec_b64 s[4:5], vcc
	s_cbranch_execz .LBB1910_13
; %bb.12:
	v_lshlrev_b32_e32 v5, 2, v6
	global_load_dword v5, v5, s[62:63]
.LBB1910_13:
	s_or_b64 exec, exec, s[4:5]
	v_or_b32_e32 v7, 0x500, v0
	v_cmp_gt_u32_e32 vcc, s33, v7
                                        ; implicit-def: $vgpr6
	s_and_saveexec_b64 s[4:5], vcc
	s_cbranch_execz .LBB1910_15
; %bb.14:
	v_lshlrev_b32_e32 v6, 2, v7
	global_load_dword v6, v6, s[62:63]
.LBB1910_15:
	s_or_b64 exec, exec, s[4:5]
	v_or_b32_e32 v8, 0x600, v0
	v_cmp_gt_u32_e32 vcc, s33, v8
                                        ; implicit-def: $vgpr7
	s_and_saveexec_b64 s[4:5], vcc
	s_cbranch_execz .LBB1910_17
; %bb.16:
	v_lshlrev_b32_e32 v7, 2, v8
	global_load_dword v7, v7, s[62:63]
.LBB1910_17:
	s_or_b64 exec, exec, s[4:5]
	v_or_b32_e32 v9, 0x700, v0
	v_cmp_gt_u32_e32 vcc, s33, v9
                                        ; implicit-def: $vgpr8
	s_and_saveexec_b64 s[4:5], vcc
	s_cbranch_execz .LBB1910_19
; %bb.18:
	v_lshlrev_b32_e32 v8, 2, v9
	global_load_dword v8, v8, s[62:63]
.LBB1910_19:
	s_or_b64 exec, exec, s[4:5]
	v_or_b32_e32 v10, 0x800, v0
	v_cmp_gt_u32_e32 vcc, s33, v10
                                        ; implicit-def: $vgpr9
	s_and_saveexec_b64 s[4:5], vcc
	s_cbranch_execz .LBB1910_21
; %bb.20:
	v_lshlrev_b32_e32 v9, 2, v10
	global_load_dword v9, v9, s[62:63]
.LBB1910_21:
	s_or_b64 exec, exec, s[4:5]
	v_or_b32_e32 v11, 0x900, v0
	v_cmp_gt_u32_e32 vcc, s33, v11
                                        ; implicit-def: $vgpr10
	s_and_saveexec_b64 s[4:5], vcc
	s_cbranch_execz .LBB1910_23
; %bb.22:
	v_lshlrev_b32_e32 v10, 2, v11
	global_load_dword v10, v10, s[62:63]
.LBB1910_23:
	s_or_b64 exec, exec, s[4:5]
	v_or_b32_e32 v12, 0xa00, v0
	v_cmp_gt_u32_e32 vcc, s33, v12
                                        ; implicit-def: $vgpr11
	s_and_saveexec_b64 s[4:5], vcc
	s_cbranch_execz .LBB1910_25
; %bb.24:
	v_lshlrev_b32_e32 v11, 2, v12
	global_load_dword v11, v11, s[62:63]
.LBB1910_25:
	s_or_b64 exec, exec, s[4:5]
	v_or_b32_e32 v13, 0xb00, v0
	v_cmp_gt_u32_e32 vcc, s33, v13
                                        ; implicit-def: $vgpr12
	s_and_saveexec_b64 s[4:5], vcc
	s_cbranch_execz .LBB1910_27
; %bb.26:
	v_lshlrev_b32_e32 v12, 2, v13
	global_load_dword v12, v12, s[62:63]
.LBB1910_27:
	s_or_b64 exec, exec, s[4:5]
	v_or_b32_e32 v14, 0xc00, v0
	v_cmp_gt_u32_e32 vcc, s33, v14
                                        ; implicit-def: $vgpr13
	s_and_saveexec_b64 s[4:5], vcc
	s_cbranch_execz .LBB1910_29
; %bb.28:
	v_lshlrev_b32_e32 v13, 2, v14
	global_load_dword v13, v13, s[62:63]
.LBB1910_29:
	s_or_b64 exec, exec, s[4:5]
	v_or_b32_e32 v15, 0xd00, v0
	v_cmp_gt_u32_e32 vcc, s33, v15
                                        ; implicit-def: $vgpr14
	s_and_saveexec_b64 s[4:5], vcc
	s_cbranch_execz .LBB1910_31
; %bb.30:
	v_lshlrev_b32_e32 v14, 2, v15
	global_load_dword v14, v14, s[62:63]
.LBB1910_31:
	s_or_b64 exec, exec, s[4:5]
	v_or_b32_e32 v16, 0xe00, v0
	v_cmp_gt_u32_e32 vcc, s33, v16
                                        ; implicit-def: $vgpr15
	s_and_saveexec_b64 s[4:5], vcc
	s_cbranch_execz .LBB1910_33
; %bb.32:
	v_lshlrev_b32_e32 v15, 2, v16
	global_load_dword v15, v15, s[62:63]
.LBB1910_33:
	s_or_b64 exec, exec, s[4:5]
	v_lshlrev_b32_e32 v16, 2, v0
	s_waitcnt vmcnt(0)
	ds_write2st64_b32 v16, v1, v2 offset1:4
	ds_write2st64_b32 v16, v3, v4 offset0:8 offset1:12
	ds_write2st64_b32 v16, v5, v6 offset0:16 offset1:20
	;; [unrolled: 1-line block ×6, first 2 shown]
	ds_write_b32 v16, v15 offset:14336
	v_mad_u32_u24 v2, v0, 56, v16
	s_waitcnt lgkmcnt(0)
	s_barrier
	ds_read2_b32 v[41:42], v2 offset1:1
	ds_read2_b32 v[39:40], v2 offset0:2 offset1:3
	ds_read2_b32 v[37:38], v2 offset0:4 offset1:5
	;; [unrolled: 1-line block ×6, first 2 shown]
	ds_read_b32 v81, v2 offset:56
	s_movk_i32 s4, 0xffcc
	s_ashr_i32 s13, s12, 31
	v_mad_i32_i24 v4, v0, s4, v2
	v_mov_b32_e32 v2, s12
	v_mul_u32_u24_e32 v1, 15, v0
	v_mov_b32_e32 v3, s13
	s_waitcnt lgkmcnt(0)
	s_barrier
	ds_write2st64_b64 v4, v[2:3], v[2:3] offset1:4
	ds_write2st64_b64 v4, v[2:3], v[2:3] offset0:8 offset1:12
	ds_write2st64_b64 v4, v[2:3], v[2:3] offset0:16 offset1:20
	ds_write2st64_b64 v4, v[2:3], v[2:3] offset0:24 offset1:28
	ds_write2st64_b64 v4, v[2:3], v[2:3] offset0:32 offset1:36
	ds_write2st64_b64 v4, v[2:3], v[2:3] offset0:40 offset1:44
	ds_write2st64_b64 v4, v[2:3], v[2:3] offset0:48 offset1:52
	ds_write_b64 v4, v[2:3] offset:28672
	s_waitcnt lgkmcnt(0)
	s_barrier
.LBB1910_34:
	v_lshlrev_b32_e32 v25, 3, v1
	s_waitcnt lgkmcnt(0)
	ds_read_b64 v[73:74], v25 offset:112
	ds_read2_b64 v[1:4], v25 offset0:12 offset1:13
	ds_read2_b64 v[5:8], v25 offset0:10 offset1:11
	;; [unrolled: 1-line block ×6, first 2 shown]
	ds_read2_b64 v[25:28], v25 offset1:1
	s_cmp_eq_u64 s[8:9], 0
	s_cselect_b64 s[50:51], -1, 0
	s_cmp_lg_u64 s[8:9], 0
	s_mov_b64 s[64:65], 0
	s_cselect_b64 s[4:5], -1, 0
	s_and_b64 vcc, exec, s[10:11]
	s_waitcnt lgkmcnt(0)
	s_barrier
	s_cbranch_vccz .LBB1910_39
; %bb.35:
	s_and_b64 vcc, exec, s[4:5]
	s_cbranch_vccz .LBB1910_40
; %bb.36:
	v_cmp_neq_f32_e32 vcc, v30, v81
	v_cndmask_b32_e64 v44, 0, 1, vcc
	v_cmp_neq_f32_e32 vcc, v29, v30
	buffer_store_dword v44, off, s[0:3], 0 offset:56
	v_cndmask_b32_e64 v44, 0, 1, vcc
	v_cmp_neq_f32_e32 vcc, v32, v29
	buffer_store_dword v44, off, s[0:3], 0 offset:52
	;; [unrolled: 3-line block ×6, first 2 shown]
	v_cndmask_b32_e64 v44, 0, 1, vcc
	v_cmp_neq_f32_e32 vcc, v35, v36
	s_add_u32 s10, s62, -4
	buffer_store_dword v44, off, s[0:3], 0 offset:32
	v_cndmask_b32_e64 v44, 0, 1, vcc
	v_cmp_neq_f32_e32 vcc, v38, v35
	s_addc_u32 s11, s63, -1
	buffer_store_dword v44, off, s[0:3], 0 offset:28
	v_cndmask_b32_e64 v44, 0, 1, vcc
	v_cmp_neq_f32_e32 vcc, v37, v38
	s_load_dword s7, s[10:11], 0x0
	buffer_store_dword v44, off, s[0:3], 0 offset:24
	v_cndmask_b32_e64 v44, 0, 1, vcc
	v_cmp_neq_f32_e32 vcc, v40, v37
	buffer_store_dword v44, off, s[0:3], 0 offset:20
	v_cndmask_b32_e64 v44, 0, 1, vcc
	v_cmp_neq_f32_e32 vcc, v39, v40
	;; [unrolled: 3-line block ×4, first 2 shown]
	buffer_store_dword v44, off, s[0:3], 0 offset:8
	v_cndmask_b32_e64 v44, 0, 1, vcc
	v_lshlrev_b32_e32 v43, 2, v0
	buffer_store_dword v44, off, s[0:3], 0 offset:4
	v_cmp_ne_u32_e32 vcc, 0, v0
	s_waitcnt lgkmcnt(0)
	v_mov_b32_e32 v44, s7
	ds_write_b32 v43, v81
	s_waitcnt vmcnt(0) lgkmcnt(0)
	s_barrier
	s_and_saveexec_b64 s[10:11], vcc
; %bb.37:
	v_add_u32_e32 v43, -4, v43
	ds_read_b32 v44, v43
; %bb.38:
	s_or_b64 exec, exec, s[10:11]
	s_waitcnt lgkmcnt(0)
	v_cmp_neq_f32_e64 s[10:11], v44, v41
	s_mov_b64 s[64:65], -1
	s_branch .LBB1910_44
.LBB1910_39:
                                        ; implicit-def: $sgpr10_sgpr11
	s_cbranch_execnz .LBB1910_45
	s_branch .LBB1910_53
.LBB1910_40:
                                        ; implicit-def: $sgpr10_sgpr11
	s_cbranch_execz .LBB1910_44
; %bb.41:
	v_cmp_neq_f32_e32 vcc, v30, v81
	v_cndmask_b32_e64 v44, 0, 1, vcc
	v_cmp_neq_f32_e32 vcc, v29, v30
	buffer_store_dword v44, off, s[0:3], 0 offset:56
	v_cndmask_b32_e64 v44, 0, 1, vcc
	v_cmp_neq_f32_e32 vcc, v32, v29
	buffer_store_dword v44, off, s[0:3], 0 offset:52
	;; [unrolled: 3-line block ×13, first 2 shown]
	v_cndmask_b32_e64 v44, 0, 1, vcc
	v_lshlrev_b32_e32 v43, 2, v0
	buffer_store_dword v44, off, s[0:3], 0 offset:4
	v_mov_b32_e32 v44, 1
	v_cmp_ne_u32_e32 vcc, 0, v0
	ds_write_b32 v43, v81
	s_waitcnt vmcnt(0) lgkmcnt(0)
	s_barrier
	buffer_store_dword v44, off, s[0:3], 0
                                        ; implicit-def: $sgpr10_sgpr11
	s_and_saveexec_b64 s[12:13], vcc
	s_xor_b64 s[12:13], exec, s[12:13]
	s_cbranch_execz .LBB1910_43
; %bb.42:
	v_add_u32_e32 v43, -4, v43
	ds_read_b32 v43, v43
	s_or_b64 s[64:65], s[64:65], exec
	s_waitcnt lgkmcnt(0)
	v_cmp_neq_f32_e64 s[10:11], v43, v41
.LBB1910_43:
	s_or_b64 exec, exec, s[12:13]
.LBB1910_44:
	s_branch .LBB1910_53
.LBB1910_45:
	s_mul_i32 s7, s9, 0xfffff100
	s_mul_hi_u32 s9, s8, 0xfffff100
	s_sub_i32 s9, s9, s8
	s_add_i32 s9, s9, s7
	s_mul_i32 s7, s8, 0xfffff100
	s_add_u32 s52, s7, s52
	s_addc_u32 s53, s9, s53
	s_and_b64 vcc, exec, s[4:5]
	v_cmp_neq_f32_e64 s[34:35], v30, v81
	v_cmp_neq_f32_e64 s[30:31], v29, v30
	;; [unrolled: 1-line block ×14, first 2 shown]
	v_mad_u32_u24 v43, v0, 15, 14
	v_mad_u32_u24 v69, v0, 15, 13
	;; [unrolled: 1-line block ×14, first 2 shown]
	v_cmp_ne_u32_e64 s[8:9], 0, v0
	s_cbranch_vccz .LBB1910_49
; %bb.46:
	v_mov_b32_e32 v44, 0
	global_load_dword v75, v44, s[62:63] offset:-4
	v_cmp_gt_u64_e32 vcc, s[52:53], v[43:44]
	v_mov_b32_e32 v70, v44
	s_and_b64 s[34:35], vcc, s[34:35]
	v_cmp_gt_u64_e32 vcc, s[52:53], v[69:70]
	v_mov_b32_e32 v68, v44
	s_and_b64 s[30:31], vcc, s[30:31]
	;; [unrolled: 3-line block ×6, first 2 shown]
	v_cmp_gt_u64_e32 vcc, s[52:53], v[59:60]
	v_mov_b32_e32 v58, v44
	v_cndmask_b32_e64 v46, 0, 1, s[34:35]
	s_and_b64 s[20:21], vcc, s[20:21]
	v_cmp_gt_u64_e32 vcc, s[52:53], v[57:58]
	buffer_store_dword v46, off, s[0:3], 0 offset:56
	v_cndmask_b32_e64 v46, 0, 1, s[30:31]
	v_mov_b32_e32 v56, v44
	buffer_store_dword v46, off, s[0:3], 0 offset:52
	v_cndmask_b32_e64 v46, 0, 1, s[28:29]
	s_and_b64 s[18:19], vcc, s[18:19]
	v_cmp_gt_u64_e32 vcc, s[52:53], v[55:56]
	buffer_store_dword v46, off, s[0:3], 0 offset:48
	v_cndmask_b32_e64 v46, 0, 1, s[26:27]
	v_mov_b32_e32 v54, v44
	buffer_store_dword v46, off, s[0:3], 0 offset:44
	;; [unrolled: 7-line block ×4, first 2 shown]
	v_cndmask_b32_e64 v46, 0, 1, s[16:17]
	s_and_b64 s[12:13], vcc, s[12:13]
	v_cmp_gt_u64_e32 vcc, s[52:53], v[49:50]
	buffer_store_dword v46, off, s[0:3], 0 offset:24
	v_cndmask_b32_e64 v46, 0, 1, s[14:15]
	buffer_store_dword v46, off, s[0:3], 0 offset:20
	v_cndmask_b32_e64 v46, 0, 1, s[12:13]
	s_and_b64 s[10:11], vcc, s[10:11]
	v_mov_b32_e32 v48, v44
	buffer_store_dword v46, off, s[0:3], 0 offset:16
	v_cndmask_b32_e64 v46, 0, 1, s[10:11]
	v_cmp_gt_u64_e32 vcc, s[52:53], v[47:48]
	buffer_store_dword v46, off, s[0:3], 0 offset:12
	v_mov_b32_e32 v46, v44
	s_and_b64 s[10:11], vcc, s[36:37]
	v_cmp_gt_u64_e32 vcc, s[52:53], v[45:46]
	v_lshlrev_b32_e32 v72, 2, v0
	s_and_b64 s[4:5], vcc, s[4:5]
	v_mul_u32_u24_e32 v71, 15, v0
	v_cndmask_b32_e64 v48, 0, 1, s[10:11]
	v_cndmask_b32_e64 v46, 0, 1, s[4:5]
	ds_write_b32 v72, v81
	buffer_store_dword v48, off, s[0:3], 0 offset:8
	buffer_store_dword v46, off, s[0:3], 0 offset:4
	s_waitcnt vmcnt(0) lgkmcnt(0)
	s_barrier
	s_and_saveexec_b64 s[4:5], s[8:9]
; %bb.47:
	v_add_u32_e32 v46, -4, v72
	ds_read_b32 v75, v46
; %bb.48:
	s_or_b64 exec, exec, s[4:5]
	v_mov_b32_e32 v72, v44
	v_cmp_gt_u64_e32 vcc, s[52:53], v[71:72]
	s_waitcnt lgkmcnt(0)
	v_cmp_neq_f32_e64 s[4:5], v75, v41
	s_and_b64 s[10:11], vcc, s[4:5]
	s_mov_b64 s[64:65], -1
	s_branch .LBB1910_53
.LBB1910_49:
                                        ; implicit-def: $sgpr10_sgpr11
	s_cbranch_execz .LBB1910_53
; %bb.50:
	v_mov_b32_e32 v44, 0
	v_cmp_gt_u64_e32 vcc, s[52:53], v[43:44]
	v_cmp_neq_f32_e64 s[4:5], v30, v81
	v_mov_b32_e32 v70, v44
	s_and_b64 s[4:5], vcc, s[4:5]
	v_cmp_gt_u64_e32 vcc, s[52:53], v[69:70]
	v_cndmask_b32_e64 v43, 0, 1, s[4:5]
	v_cmp_neq_f32_e64 s[4:5], v29, v30
	v_mov_b32_e32 v68, v44
	s_and_b64 s[4:5], vcc, s[4:5]
	v_cmp_gt_u64_e32 vcc, s[52:53], v[67:68]
	buffer_store_dword v43, off, s[0:3], 0 offset:56
	v_cndmask_b32_e64 v43, 0, 1, s[4:5]
	v_cmp_neq_f32_e64 s[4:5], v32, v29
	v_mov_b32_e32 v66, v44
	s_and_b64 s[4:5], vcc, s[4:5]
	v_cmp_gt_u64_e32 vcc, s[52:53], v[65:66]
	buffer_store_dword v43, off, s[0:3], 0 offset:52
	;; [unrolled: 6-line block ×12, first 2 shown]
	v_cndmask_b32_e64 v43, 0, 1, s[4:5]
	v_cmp_neq_f32_e64 s[4:5], v41, v42
	s_and_b64 s[4:5], vcc, s[4:5]
	v_lshlrev_b32_e32 v71, 2, v0
	buffer_store_dword v43, off, s[0:3], 0 offset:8
	v_mov_b32_e32 v43, 1
	v_cndmask_b32_e64 v45, 0, 1, s[4:5]
	v_cmp_ne_u32_e32 vcc, 0, v0
	ds_write_b32 v71, v81
	buffer_store_dword v45, off, s[0:3], 0 offset:4
	s_waitcnt vmcnt(0) lgkmcnt(0)
	s_barrier
	buffer_store_dword v43, off, s[0:3], 0
                                        ; implicit-def: $sgpr10_sgpr11
	s_and_saveexec_b64 s[8:9], vcc
	s_cbranch_execz .LBB1910_52
; %bb.51:
	v_add_u32_e32 v43, -4, v71
	ds_read_b32 v45, v43
	v_mul_u32_u24_e32 v43, 15, v0
	v_cmp_gt_u64_e32 vcc, s[52:53], v[43:44]
	s_or_b64 s[64:65], s[64:65], exec
	s_waitcnt lgkmcnt(0)
	v_cmp_neq_f32_e64 s[4:5], v45, v41
	s_and_b64 s[10:11], vcc, s[4:5]
.LBB1910_52:
	s_or_b64 exec, exec, s[8:9]
.LBB1910_53:
	v_mov_b32_e32 v82, 1
	s_and_saveexec_b64 s[4:5], s[64:65]
	s_cbranch_execz .LBB1910_55
; %bb.54:
	v_cndmask_b32_e64 v82, 0, 1, s[10:11]
	buffer_store_dword v82, off, s[0:3], 0
.LBB1910_55:
	s_or_b64 exec, exec, s[4:5]
	buffer_load_dword v95, off, s[0:3], 0 offset:4
	buffer_load_dword v94, off, s[0:3], 0 offset:8
	buffer_load_dword v93, off, s[0:3], 0 offset:12
	buffer_load_dword v83, off, s[0:3], 0 offset:16
	buffer_load_dword v84, off, s[0:3], 0 offset:20
	buffer_load_dword v85, off, s[0:3], 0 offset:24
	buffer_load_dword v86, off, s[0:3], 0 offset:28
	buffer_load_dword v87, off, s[0:3], 0 offset:32
	buffer_load_dword v88, off, s[0:3], 0 offset:36
	buffer_load_dword v89, off, s[0:3], 0 offset:40
	buffer_load_dword v90, off, s[0:3], 0 offset:44
	buffer_load_dword v91, off, s[0:3], 0 offset:48
	buffer_load_dword v92, off, s[0:3], 0 offset:52
	buffer_load_dword v96, off, s[0:3], 0 offset:56
	s_cmp_eq_u64 s[46:47], 0
	s_cselect_b64 s[46:47], -1, 0
	s_cmp_lg_u32 s6, 0
	v_mbcnt_lo_u32_b32 v97, -1, 0
	s_waitcnt vmcnt(13)
	v_cmp_eq_u32_e64 s[28:29], 0, v95
	s_waitcnt vmcnt(12)
	v_add3_u32 v43, v95, v82, v94
	v_cmp_eq_u32_e64 s[26:27], 0, v94
	s_waitcnt vmcnt(11)
	v_cmp_eq_u32_e64 s[24:25], 0, v93
	s_waitcnt vmcnt(10)
	;; [unrolled: 2-line block ×12, first 2 shown]
	v_cmp_eq_u32_e32 vcc, 0, v96
	v_add3_u32 v98, v43, v93, v83
	s_cbranch_scc0 .LBB1910_117
; %bb.56:
	v_cndmask_b32_e64 v44, 0, v25, s[28:29]
	v_cndmask_b32_e64 v43, 0, v26, s[28:29]
	v_add_co_u32_e64 v44, s[30:31], v44, v27
	v_addc_co_u32_e64 v43, s[30:31], v43, v28, s[30:31]
	v_cndmask_b32_e64 v44, 0, v44, s[26:27]
	v_cndmask_b32_e64 v43, 0, v43, s[26:27]
	v_add_co_u32_e64 v44, s[30:31], v44, v21
	v_addc_co_u32_e64 v43, s[30:31], v43, v22, s[30:31]
	;; [unrolled: 4-line block ×11, first 2 shown]
	v_cndmask_b32_e64 v44, 0, v44, s[34:35]
	v_add3_u32 v45, v98, v84, v85
	v_cndmask_b32_e64 v43, 0, v43, s[34:35]
	v_add_co_u32_e64 v44, s[30:31], v44, v1
	v_add3_u32 v45, v45, v86, v87
	v_addc_co_u32_e64 v43, s[30:31], v43, v2, s[30:31]
	v_cndmask_b32_e64 v44, 0, v44, s[4:5]
	v_add3_u32 v45, v45, v88, v89
	v_cndmask_b32_e64 v43, 0, v43, s[4:5]
	v_add_co_u32_e64 v44, s[30:31], v44, v3
	v_add3_u32 v45, v45, v90, v91
	v_addc_co_u32_e64 v43, s[30:31], v43, v4, s[30:31]
	v_cndmask_b32_e32 v44, 0, v44, vcc
	v_add3_u32 v47, v45, v92, v96
	v_cndmask_b32_e32 v43, 0, v43, vcc
	v_add_co_u32_e32 v45, vcc, v44, v73
	v_mbcnt_hi_u32_b32 v52, -1, v97
	v_addc_co_u32_e32 v46, vcc, v43, v74, vcc
	v_and_b32_e32 v43, 15, v52
	v_mov_b32_dpp v48, v47 row_shr:1 row_mask:0xf bank_mask:0xf
	v_mov_b32_dpp v44, v45 row_shr:1 row_mask:0xf bank_mask:0xf
	;; [unrolled: 1-line block ×3, first 2 shown]
	v_cmp_ne_u32_e32 vcc, 0, v43
	s_and_saveexec_b64 s[30:31], vcc
; %bb.57:
	v_cmp_eq_u32_e32 vcc, 0, v47
	v_cndmask_b32_e32 v44, 0, v44, vcc
	v_add_u32_e32 v48, v48, v47
	v_cndmask_b32_e32 v47, 0, v49, vcc
	v_add_co_u32_e32 v45, vcc, v44, v45
	v_addc_co_u32_e32 v46, vcc, v47, v46, vcc
	v_mov_b32_e32 v47, v48
; %bb.58:
	s_or_b64 exec, exec, s[30:31]
	s_nop 0
	v_mov_b32_dpp v48, v47 row_shr:2 row_mask:0xf bank_mask:0xf
	v_mov_b32_dpp v44, v45 row_shr:2 row_mask:0xf bank_mask:0xf
	v_mov_b32_dpp v49, v46 row_shr:2 row_mask:0xf bank_mask:0xf
	v_cmp_lt_u32_e32 vcc, 1, v43
	s_and_saveexec_b64 s[30:31], vcc
; %bb.59:
	v_cmp_eq_u32_e32 vcc, 0, v47
	v_cndmask_b32_e32 v44, 0, v44, vcc
	v_add_u32_e32 v48, v48, v47
	v_cndmask_b32_e32 v47, 0, v49, vcc
	v_add_co_u32_e32 v45, vcc, v44, v45
	v_addc_co_u32_e32 v46, vcc, v47, v46, vcc
	v_mov_b32_e32 v47, v48
; %bb.60:
	s_or_b64 exec, exec, s[30:31]
	s_nop 0
	v_mov_b32_dpp v48, v47 row_shr:4 row_mask:0xf bank_mask:0xf
	v_mov_b32_dpp v44, v45 row_shr:4 row_mask:0xf bank_mask:0xf
	v_mov_b32_dpp v49, v46 row_shr:4 row_mask:0xf bank_mask:0xf
	v_cmp_lt_u32_e32 vcc, 3, v43
	;; [unrolled: 16-line block ×3, first 2 shown]
	s_and_saveexec_b64 s[30:31], vcc
; %bb.63:
	v_cmp_eq_u32_e32 vcc, 0, v47
	v_cndmask_b32_e32 v44, 0, v44, vcc
	v_add_u32_e32 v43, v48, v47
	v_cndmask_b32_e32 v47, 0, v49, vcc
	v_add_co_u32_e32 v45, vcc, v44, v45
	v_addc_co_u32_e32 v46, vcc, v47, v46, vcc
	v_mov_b32_e32 v47, v43
; %bb.64:
	s_or_b64 exec, exec, s[30:31]
	v_and_b32_e32 v49, 16, v52
	v_mov_b32_dpp v44, v47 row_bcast:15 row_mask:0xf bank_mask:0xf
	v_mov_b32_dpp v43, v45 row_bcast:15 row_mask:0xf bank_mask:0xf
	;; [unrolled: 1-line block ×3, first 2 shown]
	v_cmp_ne_u32_e32 vcc, 0, v49
	s_and_saveexec_b64 s[30:31], vcc
; %bb.65:
	v_cmp_eq_u32_e32 vcc, 0, v47
	v_cndmask_b32_e32 v43, 0, v43, vcc
	v_add_u32_e32 v44, v44, v47
	v_cndmask_b32_e32 v47, 0, v48, vcc
	v_add_co_u32_e32 v45, vcc, v43, v45
	v_addc_co_u32_e32 v46, vcc, v47, v46, vcc
	v_mov_b32_e32 v47, v44
; %bb.66:
	s_or_b64 exec, exec, s[30:31]
	s_nop 0
	v_mov_b32_dpp v44, v47 row_bcast:31 row_mask:0xf bank_mask:0xf
	v_mov_b32_dpp v43, v45 row_bcast:31 row_mask:0xf bank_mask:0xf
	;; [unrolled: 1-line block ×3, first 2 shown]
	v_cmp_lt_u32_e32 vcc, 31, v52
	s_and_saveexec_b64 s[30:31], vcc
; %bb.67:
	v_cmp_eq_u32_e32 vcc, 0, v47
	v_cndmask_b32_e32 v43, 0, v43, vcc
	v_add_u32_e32 v44, v44, v47
	v_cndmask_b32_e32 v47, 0, v48, vcc
	v_add_co_u32_e32 v45, vcc, v43, v45
	v_addc_co_u32_e32 v46, vcc, v47, v46, vcc
	v_mov_b32_e32 v47, v44
; %bb.68:
	s_or_b64 exec, exec, s[30:31]
	v_lshrrev_b32_e32 v43, 6, v0
	v_or_b32_e32 v44, 63, v0
	v_cmp_eq_u32_e32 vcc, v0, v44
	v_lshlrev_b32_e32 v48, 4, v43
	s_and_saveexec_b64 s[30:31], vcc
	s_cbranch_execz .LBB1910_70
; %bb.69:
	ds_write_b32 v48, v47 offset:2080
	ds_write_b64 v48, v[45:46] offset:2088
.LBB1910_70:
	s_or_b64 exec, exec, s[30:31]
	v_cmp_gt_u32_e32 vcc, 4, v0
	s_waitcnt lgkmcnt(0)
	s_barrier
	s_and_saveexec_b64 s[30:31], vcc
	s_cbranch_execz .LBB1910_76
; %bb.71:
	v_lshlrev_b32_e32 v49, 4, v0
	ds_read_b32 v50, v49 offset:2080
	ds_read_b64 v[43:44], v49 offset:2088
	v_and_b32_e32 v51, 3, v52
	v_cmp_ne_u32_e32 vcc, 0, v51
	s_waitcnt lgkmcnt(1)
	v_mov_b32_dpp v54, v50 row_shr:1 row_mask:0xf bank_mask:0xf
	s_waitcnt lgkmcnt(0)
	v_mov_b32_dpp v53, v43 row_shr:1 row_mask:0xf bank_mask:0xf
	v_mov_b32_dpp v55, v44 row_shr:1 row_mask:0xf bank_mask:0xf
	s_and_saveexec_b64 s[36:37], vcc
; %bb.72:
	v_cmp_eq_u32_e32 vcc, 0, v50
	v_cndmask_b32_e32 v53, 0, v53, vcc
	v_add_u32_e32 v54, v54, v50
	v_cndmask_b32_e32 v50, 0, v55, vcc
	v_add_co_u32_e32 v43, vcc, v53, v43
	v_addc_co_u32_e32 v44, vcc, v50, v44, vcc
	v_mov_b32_e32 v50, v54
; %bb.73:
	s_or_b64 exec, exec, s[36:37]
	s_nop 0
	v_mov_b32_dpp v54, v50 row_shr:2 row_mask:0xf bank_mask:0xf
	v_mov_b32_dpp v53, v43 row_shr:2 row_mask:0xf bank_mask:0xf
	v_mov_b32_dpp v55, v44 row_shr:2 row_mask:0xf bank_mask:0xf
	v_cmp_lt_u32_e32 vcc, 1, v51
	s_and_saveexec_b64 s[36:37], vcc
; %bb.74:
	v_cmp_eq_u32_e32 vcc, 0, v50
	v_cndmask_b32_e32 v53, 0, v53, vcc
	v_add_u32_e32 v51, v54, v50
	v_cndmask_b32_e32 v50, 0, v55, vcc
	v_add_co_u32_e32 v43, vcc, v53, v43
	v_addc_co_u32_e32 v44, vcc, v50, v44, vcc
	v_mov_b32_e32 v50, v51
; %bb.75:
	s_or_b64 exec, exec, s[36:37]
	ds_write_b32 v49, v50 offset:2080
	ds_write_b64 v49, v[43:44] offset:2088
.LBB1910_76:
	s_or_b64 exec, exec, s[30:31]
	v_mov_b32_e32 v43, 0
	v_cmp_gt_u32_e32 vcc, 64, v0
	v_cmp_lt_u32_e64 s[30:31], 63, v0
	v_mov_b32_e32 v44, 0
	v_mov_b32_e32 v55, 0
	s_waitcnt lgkmcnt(0)
	s_barrier
	s_and_saveexec_b64 s[36:37], s[30:31]
	s_cbranch_execz .LBB1910_78
; %bb.77:
	ds_read_b32 v55, v48 offset:2064
	ds_read_b64 v[43:44], v48 offset:2072
	v_cmp_eq_u32_e64 s[30:31], 0, v47
	s_waitcnt lgkmcnt(1)
	v_add_u32_e32 v48, v55, v47
	s_waitcnt lgkmcnt(0)
	v_cndmask_b32_e64 v49, 0, v43, s[30:31]
	v_cndmask_b32_e64 v47, 0, v44, s[30:31]
	v_add_co_u32_e64 v45, s[30:31], v49, v45
	v_addc_co_u32_e64 v46, s[30:31], v47, v46, s[30:31]
	v_mov_b32_e32 v47, v48
.LBB1910_78:
	s_or_b64 exec, exec, s[36:37]
	v_subrev_co_u32_e64 v48, s[30:31], 1, v52
	v_and_b32_e32 v49, 64, v52
	v_cmp_lt_i32_e64 s[36:37], v48, v49
	v_cndmask_b32_e64 v48, v48, v52, s[36:37]
	v_lshlrev_b32_e32 v48, 2, v48
	ds_bpermute_b32 v56, v48, v47
	ds_bpermute_b32 v57, v48, v45
	;; [unrolled: 1-line block ×3, first 2 shown]
	s_and_saveexec_b64 s[52:53], vcc
	s_cbranch_execz .LBB1910_122
; %bb.79:
	v_mov_b32_e32 v49, 0
	ds_read_b32 v59, v49 offset:2128
	ds_read_b64 v[45:46], v49 offset:2136
	s_and_saveexec_b64 s[36:37], s[30:31]
	s_cbranch_execz .LBB1910_81
; %bb.80:
	s_add_i32 s62, s6, 64
	s_mov_b32 s63, 0
	s_lshl_b64 s[64:65], s[62:63], 4
	s_add_u32 s64, s40, s64
	s_addc_u32 s65, s41, s65
	v_mov_b32_e32 v47, 1
	v_mov_b32_e32 v48, s62
	s_waitcnt lgkmcnt(1)
	global_store_dword v49, v59, s[64:65]
	s_waitcnt lgkmcnt(0)
	global_store_dwordx2 v49, v[45:46], s[64:65] offset:8
	s_waitcnt vmcnt(0)
	buffer_wbinvl1_vol
	global_store_byte v48, v47, s[44:45]
.LBB1910_81:
	s_or_b64 exec, exec, s[36:37]
	v_xad_u32 v47, v52, -1, s6
	v_add_u32_e32 v48, 64, v47
	global_load_ubyte v60, v48, s[44:45] glc
	s_waitcnt vmcnt(0)
	v_cmp_eq_u16_e32 vcc, 0, v60
	s_and_saveexec_b64 s[36:37], vcc
	s_cbranch_execz .LBB1910_85
; %bb.82:
	v_mov_b32_e32 v51, s45
	v_add_co_u32_e32 v50, vcc, s44, v48
	v_addc_co_u32_e32 v51, vcc, 0, v51, vcc
	s_mov_b64 s[62:63], 0
.LBB1910_83:                            ; =>This Inner Loop Header: Depth=1
	global_load_ubyte v60, v[50:51], off glc
	s_waitcnt vmcnt(0)
	v_cmp_ne_u16_e32 vcc, 0, v60
	s_or_b64 s[62:63], vcc, s[62:63]
	s_andn2_b64 exec, exec, s[62:63]
	s_cbranch_execnz .LBB1910_83
; %bb.84:
	s_or_b64 exec, exec, s[62:63]
.LBB1910_85:
	s_or_b64 exec, exec, s[36:37]
	v_mov_b32_e32 v50, s43
	v_mov_b32_e32 v51, s41
	v_cmp_eq_u16_e32 vcc, 1, v60
	v_cndmask_b32_e32 v50, v50, v51, vcc
	v_mov_b32_e32 v51, s42
	v_mov_b32_e32 v53, s40
	v_lshlrev_b64 v[48:49], 4, v[48:49]
	v_cndmask_b32_e32 v51, v51, v53, vcc
	v_add_co_u32_e32 v48, vcc, v51, v48
	v_addc_co_u32_e32 v49, vcc, v50, v49, vcc
	s_waitcnt lgkmcnt(0)
	buffer_wbinvl1_vol
	global_load_dword v77, v[48:49], off
	global_load_dwordx2 v[53:54], v[48:49], off offset:8
	v_and_b32_e32 v61, 63, v52
	v_lshlrev_b64 v[49:50], v52, -1
	v_cmp_ne_u32_e64 s[36:37], 63, v61
	v_cmp_eq_u16_e32 vcc, 2, v60
	v_addc_co_u32_e64 v48, s[36:37], 0, v52, s[36:37]
	v_and_b32_e32 v51, vcc_hi, v50
	v_lshlrev_b32_e32 v62, 2, v48
	v_or_b32_e32 v48, 0x80000000, v51
	v_and_b32_e32 v65, vcc_lo, v49
	v_ffbl_b32_e32 v48, v48
	v_add_u32_e32 v48, 32, v48
	v_ffbl_b32_e32 v65, v65
	v_min_u32_e32 v48, v65, v48
	v_cmp_lt_u32_e32 vcc, v61, v48
	s_waitcnt vmcnt(1)
	ds_bpermute_b32 v63, v62, v77
	s_waitcnt vmcnt(0)
	ds_bpermute_b32 v51, v62, v53
	ds_bpermute_b32 v64, v62, v54
	s_and_saveexec_b64 s[36:37], vcc
	s_cbranch_execz .LBB1910_87
; %bb.86:
	v_cmp_eq_u32_e32 vcc, 0, v77
	s_waitcnt lgkmcnt(1)
	v_cndmask_b32_e32 v51, 0, v51, vcc
	v_add_u32_e32 v63, v63, v77
	s_waitcnt lgkmcnt(0)
	v_cndmask_b32_e32 v64, 0, v64, vcc
	v_add_co_u32_e32 v53, vcc, v51, v53
	v_addc_co_u32_e32 v54, vcc, v64, v54, vcc
	v_mov_b32_e32 v77, v63
.LBB1910_87:
	s_or_b64 exec, exec, s[36:37]
	v_cmp_gt_u32_e32 vcc, 62, v61
	s_waitcnt lgkmcnt(1)
	v_cndmask_b32_e64 v51, 0, 2, vcc
	v_add_lshl_u32 v63, v51, v52, 2
	ds_bpermute_b32 v65, v63, v77
	ds_bpermute_b32 v51, v63, v53
	ds_bpermute_b32 v66, v63, v54
	s_waitcnt lgkmcnt(3)
	v_add_u32_e32 v64, 2, v61
	v_cmp_le_u32_e32 vcc, v64, v48
	s_and_saveexec_b64 s[36:37], vcc
	s_cbranch_execz .LBB1910_89
; %bb.88:
	v_cmp_eq_u32_e32 vcc, 0, v77
	s_waitcnt lgkmcnt(1)
	v_cndmask_b32_e32 v51, 0, v51, vcc
	v_add_u32_e32 v65, v65, v77
	s_waitcnt lgkmcnt(0)
	v_cndmask_b32_e32 v66, 0, v66, vcc
	v_add_co_u32_e32 v53, vcc, v51, v53
	v_addc_co_u32_e32 v54, vcc, v66, v54, vcc
	v_mov_b32_e32 v77, v65
.LBB1910_89:
	s_or_b64 exec, exec, s[36:37]
	v_cmp_gt_u32_e32 vcc, 60, v61
	s_waitcnt lgkmcnt(1)
	v_cndmask_b32_e64 v51, 0, 4, vcc
	v_add_lshl_u32 v65, v51, v52, 2
	ds_bpermute_b32 v67, v65, v77
	ds_bpermute_b32 v51, v65, v53
	ds_bpermute_b32 v68, v65, v54
	s_waitcnt lgkmcnt(3)
	v_add_u32_e32 v66, 4, v61
	v_cmp_le_u32_e32 vcc, v66, v48
	s_and_saveexec_b64 s[36:37], vcc
	s_cbranch_execz .LBB1910_91
; %bb.90:
	v_cmp_eq_u32_e32 vcc, 0, v77
	s_waitcnt lgkmcnt(1)
	v_cndmask_b32_e32 v51, 0, v51, vcc
	v_add_u32_e32 v67, v67, v77
	s_waitcnt lgkmcnt(0)
	v_cndmask_b32_e32 v68, 0, v68, vcc
	v_add_co_u32_e32 v53, vcc, v51, v53
	v_addc_co_u32_e32 v54, vcc, v68, v54, vcc
	v_mov_b32_e32 v77, v67
.LBB1910_91:
	s_or_b64 exec, exec, s[36:37]
	v_cmp_gt_u32_e32 vcc, 56, v61
	s_waitcnt lgkmcnt(1)
	v_cndmask_b32_e64 v51, 0, 8, vcc
	v_add_lshl_u32 v67, v51, v52, 2
	ds_bpermute_b32 v69, v67, v77
	ds_bpermute_b32 v51, v67, v53
	ds_bpermute_b32 v70, v67, v54
	s_waitcnt lgkmcnt(3)
	v_add_u32_e32 v68, 8, v61
	v_cmp_le_u32_e32 vcc, v68, v48
	s_and_saveexec_b64 s[36:37], vcc
	s_cbranch_execz .LBB1910_93
; %bb.92:
	v_cmp_eq_u32_e32 vcc, 0, v77
	s_waitcnt lgkmcnt(1)
	v_cndmask_b32_e32 v51, 0, v51, vcc
	v_add_u32_e32 v69, v69, v77
	s_waitcnt lgkmcnt(0)
	v_cndmask_b32_e32 v70, 0, v70, vcc
	v_add_co_u32_e32 v53, vcc, v51, v53
	v_addc_co_u32_e32 v54, vcc, v70, v54, vcc
	v_mov_b32_e32 v77, v69
.LBB1910_93:
	s_or_b64 exec, exec, s[36:37]
	v_cmp_gt_u32_e32 vcc, 48, v61
	s_waitcnt lgkmcnt(1)
	v_cndmask_b32_e64 v51, 0, 16, vcc
	v_add_lshl_u32 v69, v51, v52, 2
	ds_bpermute_b32 v71, v69, v77
	ds_bpermute_b32 v51, v69, v53
	ds_bpermute_b32 v72, v69, v54
	s_waitcnt lgkmcnt(3)
	v_add_u32_e32 v70, 16, v61
	v_cmp_le_u32_e32 vcc, v70, v48
	s_and_saveexec_b64 s[36:37], vcc
	s_cbranch_execz .LBB1910_95
; %bb.94:
	v_cmp_eq_u32_e32 vcc, 0, v77
	s_waitcnt lgkmcnt(1)
	v_cndmask_b32_e32 v51, 0, v51, vcc
	v_add_u32_e32 v71, v71, v77
	s_waitcnt lgkmcnt(0)
	v_cndmask_b32_e32 v72, 0, v72, vcc
	v_add_co_u32_e32 v53, vcc, v51, v53
	v_addc_co_u32_e32 v54, vcc, v72, v54, vcc
	v_mov_b32_e32 v77, v71
.LBB1910_95:
	s_or_b64 exec, exec, s[36:37]
	s_waitcnt lgkmcnt(1)
	v_mov_b32_e32 v51, 0x80
	s_waitcnt lgkmcnt(0)
	v_lshl_or_b32 v72, v52, 2, v51
	ds_bpermute_b32 v52, v72, v77
	ds_bpermute_b32 v51, v72, v53
	;; [unrolled: 1-line block ×3, first 2 shown]
	v_add_u32_e32 v75, 32, v61
	v_cmp_le_u32_e32 vcc, v75, v48
	s_and_saveexec_b64 s[36:37], vcc
	s_cbranch_execz .LBB1910_97
; %bb.96:
	v_cmp_eq_u32_e32 vcc, 0, v77
	s_waitcnt lgkmcnt(1)
	v_cndmask_b32_e32 v51, 0, v51, vcc
	v_add_u32_e32 v48, v52, v77
	s_waitcnt lgkmcnt(0)
	v_cndmask_b32_e32 v52, 0, v71, vcc
	v_add_co_u32_e32 v53, vcc, v51, v53
	v_addc_co_u32_e32 v54, vcc, v52, v54, vcc
	v_mov_b32_e32 v77, v48
.LBB1910_97:
	s_or_b64 exec, exec, s[36:37]
	v_mov_b32_e32 v48, 0
	v_mov_b32_e32 v76, 2
	s_branch .LBB1910_100
.LBB1910_98:                            ;   in Loop: Header=BB1910_100 Depth=1
	s_or_b64 exec, exec, s[36:37]
	v_cmp_eq_u32_e32 vcc, 0, v71
	v_cndmask_b32_e32 v53, 0, v53, vcc
	v_cndmask_b32_e32 v54, 0, v54, vcc
	v_add_co_u32_e32 v53, vcc, v53, v51
	v_subrev_u32_e32 v47, 64, v47
	v_add_u32_e32 v77, v78, v71
	v_addc_co_u32_e32 v54, vcc, v54, v52, vcc
	s_mov_b64 s[36:37], 0
.LBB1910_99:                            ;   in Loop: Header=BB1910_100 Depth=1
	s_and_b64 vcc, exec, s[36:37]
	s_cbranch_vccnz .LBB1910_118
.LBB1910_100:                           ; =>This Loop Header: Depth=1
                                        ;     Child Loop BB1910_103 Depth 2
	s_waitcnt lgkmcnt(1)
	v_mov_b32_e32 v51, v53
	v_cmp_ne_u16_sdwa s[36:37], v60, v76 src0_sel:BYTE_0 src1_sel:DWORD
	v_mov_b32_e32 v52, v54
	s_waitcnt lgkmcnt(0)
	v_mov_b32_e32 v71, v77
	s_cmp_lg_u64 s[36:37], exec
	s_mov_b64 s[36:37], -1
                                        ; implicit-def: $vgpr53_vgpr54
                                        ; implicit-def: $vgpr77
                                        ; implicit-def: $vgpr60
	s_cbranch_scc1 .LBB1910_99
; %bb.101:                              ;   in Loop: Header=BB1910_100 Depth=1
	global_load_ubyte v60, v47, s[44:45] glc
	s_waitcnt vmcnt(0)
	v_cmp_eq_u16_e32 vcc, 0, v60
	s_and_saveexec_b64 s[36:37], vcc
	s_cbranch_execz .LBB1910_105
; %bb.102:                              ;   in Loop: Header=BB1910_100 Depth=1
	v_mov_b32_e32 v54, s45
	v_add_co_u32_e32 v53, vcc, s44, v47
	v_addc_co_u32_e32 v54, vcc, 0, v54, vcc
	s_mov_b64 s[62:63], 0
.LBB1910_103:                           ;   Parent Loop BB1910_100 Depth=1
                                        ; =>  This Inner Loop Header: Depth=2
	global_load_ubyte v60, v[53:54], off glc
	s_waitcnt vmcnt(0)
	v_cmp_ne_u16_e32 vcc, 0, v60
	s_or_b64 s[62:63], vcc, s[62:63]
	s_andn2_b64 exec, exec, s[62:63]
	s_cbranch_execnz .LBB1910_103
; %bb.104:                              ;   in Loop: Header=BB1910_100 Depth=1
	s_or_b64 exec, exec, s[62:63]
.LBB1910_105:                           ;   in Loop: Header=BB1910_100 Depth=1
	s_or_b64 exec, exec, s[36:37]
	v_mov_b32_e32 v53, s43
	v_mov_b32_e32 v54, s41
	v_cmp_eq_u16_e32 vcc, 1, v60
	v_cndmask_b32_e32 v77, v53, v54, vcc
	v_mov_b32_e32 v53, s42
	v_mov_b32_e32 v54, s40
	v_cndmask_b32_e32 v78, v53, v54, vcc
	v_lshlrev_b64 v[53:54], 4, v[47:48]
	buffer_wbinvl1_vol
	v_add_co_u32_e32 v53, vcc, v78, v53
	v_addc_co_u32_e32 v54, vcc, v77, v54, vcc
	global_load_dword v78, v[53:54], off
	s_nop 0
	global_load_dwordx2 v[53:54], v[53:54], off offset:8
	v_cmp_eq_u16_e32 vcc, 2, v60
	v_and_b32_e32 v77, vcc_hi, v50
	v_or_b32_e32 v77, 0x80000000, v77
	v_and_b32_e32 v100, vcc_lo, v49
	v_ffbl_b32_e32 v77, v77
	v_add_u32_e32 v77, 32, v77
	v_ffbl_b32_e32 v100, v100
	v_min_u32_e32 v77, v100, v77
	v_cmp_lt_u32_e32 vcc, v61, v77
	s_waitcnt vmcnt(1)
	ds_bpermute_b32 v80, v62, v78
	s_waitcnt vmcnt(0)
	ds_bpermute_b32 v79, v62, v53
	ds_bpermute_b32 v99, v62, v54
	s_and_saveexec_b64 s[36:37], vcc
	s_cbranch_execz .LBB1910_107
; %bb.106:                              ;   in Loop: Header=BB1910_100 Depth=1
	v_cmp_eq_u32_e32 vcc, 0, v78
	s_waitcnt lgkmcnt(1)
	v_cndmask_b32_e32 v79, 0, v79, vcc
	v_add_u32_e32 v80, v80, v78
	s_waitcnt lgkmcnt(0)
	v_cndmask_b32_e32 v78, 0, v99, vcc
	v_add_co_u32_e32 v53, vcc, v79, v53
	v_addc_co_u32_e32 v54, vcc, v78, v54, vcc
	v_mov_b32_e32 v78, v80
.LBB1910_107:                           ;   in Loop: Header=BB1910_100 Depth=1
	s_or_b64 exec, exec, s[36:37]
	s_waitcnt lgkmcnt(2)
	ds_bpermute_b32 v80, v63, v78
	s_waitcnt lgkmcnt(2)
	ds_bpermute_b32 v79, v63, v53
	s_waitcnt lgkmcnt(2)
	ds_bpermute_b32 v99, v63, v54
	v_cmp_le_u32_e32 vcc, v64, v77
	s_and_saveexec_b64 s[36:37], vcc
	s_cbranch_execz .LBB1910_109
; %bb.108:                              ;   in Loop: Header=BB1910_100 Depth=1
	v_cmp_eq_u32_e32 vcc, 0, v78
	s_waitcnt lgkmcnt(1)
	v_cndmask_b32_e32 v79, 0, v79, vcc
	v_add_u32_e32 v80, v80, v78
	s_waitcnt lgkmcnt(0)
	v_cndmask_b32_e32 v78, 0, v99, vcc
	v_add_co_u32_e32 v53, vcc, v79, v53
	v_addc_co_u32_e32 v54, vcc, v78, v54, vcc
	v_mov_b32_e32 v78, v80
.LBB1910_109:                           ;   in Loop: Header=BB1910_100 Depth=1
	s_or_b64 exec, exec, s[36:37]
	s_waitcnt lgkmcnt(2)
	ds_bpermute_b32 v80, v65, v78
	s_waitcnt lgkmcnt(2)
	ds_bpermute_b32 v79, v65, v53
	s_waitcnt lgkmcnt(2)
	ds_bpermute_b32 v99, v65, v54
	v_cmp_le_u32_e32 vcc, v66, v77
	s_and_saveexec_b64 s[36:37], vcc
	s_cbranch_execz .LBB1910_111
; %bb.110:                              ;   in Loop: Header=BB1910_100 Depth=1
	v_cmp_eq_u32_e32 vcc, 0, v78
	s_waitcnt lgkmcnt(1)
	v_cndmask_b32_e32 v79, 0, v79, vcc
	v_add_u32_e32 v80, v80, v78
	s_waitcnt lgkmcnt(0)
	v_cndmask_b32_e32 v78, 0, v99, vcc
	v_add_co_u32_e32 v53, vcc, v79, v53
	v_addc_co_u32_e32 v54, vcc, v78, v54, vcc
	v_mov_b32_e32 v78, v80
.LBB1910_111:                           ;   in Loop: Header=BB1910_100 Depth=1
	s_or_b64 exec, exec, s[36:37]
	s_waitcnt lgkmcnt(2)
	ds_bpermute_b32 v80, v67, v78
	s_waitcnt lgkmcnt(2)
	ds_bpermute_b32 v79, v67, v53
	s_waitcnt lgkmcnt(2)
	ds_bpermute_b32 v99, v67, v54
	v_cmp_le_u32_e32 vcc, v68, v77
	s_and_saveexec_b64 s[36:37], vcc
	s_cbranch_execz .LBB1910_113
; %bb.112:                              ;   in Loop: Header=BB1910_100 Depth=1
	v_cmp_eq_u32_e32 vcc, 0, v78
	s_waitcnt lgkmcnt(1)
	v_cndmask_b32_e32 v79, 0, v79, vcc
	v_add_u32_e32 v80, v80, v78
	s_waitcnt lgkmcnt(0)
	v_cndmask_b32_e32 v78, 0, v99, vcc
	v_add_co_u32_e32 v53, vcc, v79, v53
	v_addc_co_u32_e32 v54, vcc, v78, v54, vcc
	v_mov_b32_e32 v78, v80
.LBB1910_113:                           ;   in Loop: Header=BB1910_100 Depth=1
	s_or_b64 exec, exec, s[36:37]
	s_waitcnt lgkmcnt(2)
	ds_bpermute_b32 v80, v69, v78
	s_waitcnt lgkmcnt(2)
	ds_bpermute_b32 v79, v69, v53
	s_waitcnt lgkmcnt(2)
	ds_bpermute_b32 v99, v69, v54
	v_cmp_le_u32_e32 vcc, v70, v77
	s_and_saveexec_b64 s[36:37], vcc
	s_cbranch_execz .LBB1910_115
; %bb.114:                              ;   in Loop: Header=BB1910_100 Depth=1
	v_cmp_eq_u32_e32 vcc, 0, v78
	s_waitcnt lgkmcnt(1)
	v_cndmask_b32_e32 v79, 0, v79, vcc
	v_add_u32_e32 v80, v80, v78
	s_waitcnt lgkmcnt(0)
	v_cndmask_b32_e32 v78, 0, v99, vcc
	v_add_co_u32_e32 v53, vcc, v79, v53
	v_addc_co_u32_e32 v54, vcc, v78, v54, vcc
	v_mov_b32_e32 v78, v80
.LBB1910_115:                           ;   in Loop: Header=BB1910_100 Depth=1
	s_or_b64 exec, exec, s[36:37]
	s_waitcnt lgkmcnt(2)
	ds_bpermute_b32 v80, v72, v78
	s_waitcnt lgkmcnt(2)
	ds_bpermute_b32 v79, v72, v53
	s_waitcnt lgkmcnt(2)
	ds_bpermute_b32 v99, v72, v54
	v_cmp_le_u32_e32 vcc, v75, v77
	s_and_saveexec_b64 s[36:37], vcc
	s_cbranch_execz .LBB1910_98
; %bb.116:                              ;   in Loop: Header=BB1910_100 Depth=1
	v_cmp_eq_u32_e32 vcc, 0, v78
	s_waitcnt lgkmcnt(1)
	v_cndmask_b32_e32 v79, 0, v79, vcc
	v_add_u32_e32 v77, v80, v78
	s_waitcnt lgkmcnt(0)
	v_cndmask_b32_e32 v78, 0, v99, vcc
	v_add_co_u32_e32 v53, vcc, v79, v53
	v_addc_co_u32_e32 v54, vcc, v78, v54, vcc
	v_mov_b32_e32 v78, v77
	s_branch .LBB1910_98
.LBB1910_117:
                                        ; implicit-def: $vgpr43
                                        ; implicit-def: $vgpr45_vgpr46
                                        ; implicit-def: $vgpr47
                                        ; implicit-def: $vgpr75_vgpr76
                                        ; implicit-def: $vgpr49_vgpr50
                                        ; implicit-def: $vgpr51_vgpr52
                                        ; implicit-def: $vgpr53_vgpr54
                                        ; implicit-def: $vgpr55_vgpr56
                                        ; implicit-def: $vgpr57_vgpr58
                                        ; implicit-def: $vgpr59_vgpr60
                                        ; implicit-def: $vgpr61_vgpr62
                                        ; implicit-def: $vgpr63_vgpr64
                                        ; implicit-def: $vgpr65_vgpr66
                                        ; implicit-def: $vgpr67_vgpr68
                                        ; implicit-def: $vgpr69_vgpr70
                                        ; implicit-def: $vgpr71_vgpr72
                                        ; implicit-def: $vgpr77_vgpr78
                                        ; implicit-def: $vgpr79_vgpr80
                                        ; implicit-def: $vgpr44
	s_cbranch_execnz .LBB1910_123
	s_branch .LBB1910_150
.LBB1910_118:
	s_and_saveexec_b64 s[36:37], s[30:31]
	s_cbranch_execz .LBB1910_120
; %bb.119:
	s_mov_b32 s7, 0
	v_cmp_eq_u32_e32 vcc, 0, v59
	s_add_i32 s6, s6, 64
	v_cndmask_b32_e32 v47, 0, v51, vcc
	s_lshl_b64 s[40:41], s[6:7], 4
	v_cndmask_b32_e32 v48, 0, v52, vcc
	v_add_co_u32_e32 v47, vcc, v47, v45
	s_add_u32 s40, s42, s40
	v_add_u32_e32 v49, v71, v59
	v_addc_co_u32_e32 v48, vcc, v48, v46, vcc
	s_addc_u32 s41, s43, s41
	v_mov_b32_e32 v50, 0
	global_store_dword v50, v49, s[40:41]
	global_store_dwordx2 v50, v[47:48], s[40:41] offset:8
	v_mov_b32_e32 v47, 2
	v_mov_b32_e32 v48, s6
	s_waitcnt vmcnt(0) lgkmcnt(0)
	buffer_wbinvl1_vol
	global_store_byte v48, v47, s[44:45]
	ds_write_b32 v50, v59 offset:2048
	ds_write_b64 v50, v[45:46] offset:2056
	ds_write_b32 v50, v71 offset:2064
	ds_write_b64 v50, v[51:52] offset:2072
.LBB1910_120:
	s_or_b64 exec, exec, s[36:37]
	v_cmp_eq_u32_e32 vcc, 0, v0
	s_and_b64 exec, exec, vcc
	s_cbranch_execz .LBB1910_122
; %bb.121:
	v_mov_b32_e32 v45, 0
	ds_write_b32 v45, v71 offset:2128
	ds_write_b64 v45, v[51:52] offset:2136
.LBB1910_122:
	s_or_b64 exec, exec, s[52:53]
	v_mov_b32_e32 v48, 0
	s_waitcnt vmcnt(0) lgkmcnt(0)
	s_barrier
	ds_read_b32 v47, v48 offset:2128
	ds_read_b64 v[45:46], v48 offset:2136
	v_cndmask_b32_e64 v49, v56, v55, s[30:31]
	v_cmp_eq_u32_e32 vcc, 0, v49
	v_cndmask_b32_e64 v43, v57, v43, s[30:31]
	v_cndmask_b32_e64 v44, v58, v44, s[30:31]
	s_waitcnt lgkmcnt(0)
	v_cndmask_b32_e32 v51, 0, v45, vcc
	v_cndmask_b32_e32 v50, 0, v46, vcc
	v_add_co_u32_e32 v43, vcc, v51, v43
	v_addc_co_u32_e32 v50, vcc, v50, v44, vcc
	v_cmp_eq_u32_e32 vcc, 0, v0
	v_cndmask_b32_e64 v44, v49, 0, vcc
	v_cndmask_b32_e32 v76, v50, v46, vcc
	v_cndmask_b32_e32 v75, v43, v45, vcc
	v_cmp_eq_u32_e32 vcc, 0, v82
	v_cndmask_b32_e32 v45, 0, v75, vcc
	v_cndmask_b32_e32 v43, 0, v76, vcc
	v_add_co_u32_e32 v49, vcc, v45, v25
	v_addc_co_u32_e32 v50, vcc, v43, v26, vcc
	v_cndmask_b32_e64 v45, 0, v49, s[28:29]
	v_cndmask_b32_e64 v43, 0, v50, s[28:29]
	v_add_co_u32_e32 v51, vcc, v45, v27
	v_addc_co_u32_e32 v52, vcc, v43, v28, vcc
	v_cndmask_b32_e64 v45, 0, v51, s[26:27]
	v_cndmask_b32_e64 v43, 0, v52, s[26:27]
	;; [unrolled: 4-line block ×11, first 2 shown]
	v_add_co_u32_e32 v71, vcc, v45, v7
	v_add_u32_e32 v44, v47, v44
	v_addc_co_u32_e32 v72, vcc, v43, v8, vcc
	s_barrier
	ds_read_b32 v43, v48 offset:2048
	ds_read_b64 v[45:46], v48 offset:2056
	ds_read_b32 v47, v48 offset:2064
	ds_read_b64 v[99:100], v48 offset:2072
	v_cndmask_b32_e64 v77, 0, v71, s[34:35]
	v_cndmask_b32_e64 v78, 0, v72, s[34:35]
	v_add_co_u32_e32 v77, vcc, v77, v1
	v_addc_co_u32_e32 v78, vcc, v78, v2, vcc
	s_waitcnt lgkmcnt(3)
	v_cmp_eq_u32_e32 vcc, 0, v43
	s_waitcnt lgkmcnt(0)
	v_cndmask_b32_e32 v99, 0, v99, vcc
	v_cndmask_b32_e32 v48, 0, v100, vcc
	v_add_co_u32_e32 v45, vcc, v99, v45
	v_cndmask_b32_e64 v80, 0, v78, s[4:5]
	v_cndmask_b32_e64 v79, 0, v77, s[4:5]
	v_addc_co_u32_e32 v46, vcc, v48, v46, vcc
	s_branch .LBB1910_150
.LBB1910_123:
	s_cmp_eq_u64 s[60:61], 0
	s_cselect_b64 s[4:5], -1, 0
	s_or_b64 s[4:5], s[46:47], s[4:5]
	v_mov_b32_e32 v48, v26
	s_and_b64 vcc, exec, s[4:5]
	v_mov_b32_e32 v47, v25
	s_cbranch_vccnz .LBB1910_125
; %bb.124:
	v_mov_b32_e32 v43, 0
	global_load_dwordx2 v[47:48], v43, s[60:61]
.LBB1910_125:
	v_cmp_eq_u32_e64 s[26:27], 0, v95
	v_cndmask_b32_e64 v44, 0, v25, s[26:27]
	v_cndmask_b32_e64 v43, 0, v26, s[26:27]
	v_add_co_u32_e32 v44, vcc, v44, v27
	v_cmp_eq_u32_e64 s[24:25], 0, v94
	v_addc_co_u32_e32 v43, vcc, v43, v28, vcc
	v_cndmask_b32_e64 v44, 0, v44, s[24:25]
	v_cndmask_b32_e64 v43, 0, v43, s[24:25]
	v_add_co_u32_e32 v44, vcc, v44, v21
	v_cmp_eq_u32_e64 s[22:23], 0, v93
	v_addc_co_u32_e32 v43, vcc, v43, v22, vcc
	v_cndmask_b32_e64 v44, 0, v44, s[22:23]
	v_cndmask_b32_e64 v43, 0, v43, s[22:23]
	v_add_co_u32_e32 v44, vcc, v44, v23
	v_cmp_eq_u32_e64 s[20:21], 0, v83
	v_addc_co_u32_e32 v43, vcc, v43, v24, vcc
	v_cndmask_b32_e64 v44, 0, v44, s[20:21]
	v_cndmask_b32_e64 v43, 0, v43, s[20:21]
	v_add_co_u32_e32 v44, vcc, v44, v17
	v_cmp_eq_u32_e64 s[16:17], 0, v84
	v_addc_co_u32_e32 v43, vcc, v43, v18, vcc
	v_cndmask_b32_e64 v44, 0, v44, s[16:17]
	v_cndmask_b32_e64 v43, 0, v43, s[16:17]
	v_add_co_u32_e32 v44, vcc, v44, v19
	v_cmp_eq_u32_e64 s[18:19], 0, v85
	v_addc_co_u32_e32 v43, vcc, v43, v20, vcc
	v_cndmask_b32_e64 v44, 0, v44, s[18:19]
	v_cndmask_b32_e64 v43, 0, v43, s[18:19]
	v_add_co_u32_e32 v44, vcc, v44, v13
	v_cmp_eq_u32_e64 s[12:13], 0, v86
	v_addc_co_u32_e32 v43, vcc, v43, v14, vcc
	v_cndmask_b32_e64 v44, 0, v44, s[12:13]
	v_cndmask_b32_e64 v43, 0, v43, s[12:13]
	v_add_co_u32_e32 v44, vcc, v44, v15
	v_cmp_eq_u32_e64 s[14:15], 0, v87
	v_addc_co_u32_e32 v43, vcc, v43, v16, vcc
	v_cndmask_b32_e64 v44, 0, v44, s[14:15]
	v_cndmask_b32_e64 v43, 0, v43, s[14:15]
	v_add_co_u32_e32 v44, vcc, v44, v9
	v_cmp_eq_u32_e64 s[8:9], 0, v88
	v_addc_co_u32_e32 v43, vcc, v43, v10, vcc
	v_cndmask_b32_e64 v44, 0, v44, s[8:9]
	v_cndmask_b32_e64 v43, 0, v43, s[8:9]
	v_add_co_u32_e32 v44, vcc, v44, v11
	v_cmp_eq_u32_e64 s[10:11], 0, v89
	v_addc_co_u32_e32 v43, vcc, v43, v12, vcc
	v_cndmask_b32_e64 v44, 0, v44, s[10:11]
	v_cndmask_b32_e64 v43, 0, v43, s[10:11]
	v_add_co_u32_e32 v44, vcc, v44, v5
	v_cmp_eq_u32_e64 s[4:5], 0, v90
	v_addc_co_u32_e32 v43, vcc, v43, v6, vcc
	v_cndmask_b32_e64 v44, 0, v44, s[4:5]
	v_cndmask_b32_e64 v43, 0, v43, s[4:5]
	v_add_co_u32_e32 v44, vcc, v44, v7
	v_cmp_eq_u32_e64 s[6:7], 0, v91
	v_addc_co_u32_e32 v43, vcc, v43, v8, vcc
	v_cndmask_b32_e64 v44, 0, v44, s[6:7]
	v_cndmask_b32_e64 v43, 0, v43, s[6:7]
	v_add_co_u32_e32 v44, vcc, v44, v1
	v_addc_co_u32_e32 v43, vcc, v43, v2, vcc
	v_cmp_eq_u32_e32 vcc, 0, v92
	v_add3_u32 v45, v98, v84, v85
	v_cndmask_b32_e32 v44, 0, v44, vcc
	v_add3_u32 v45, v45, v86, v87
	v_cndmask_b32_e32 v43, 0, v43, vcc
	v_add_co_u32_e64 v44, s[28:29], v44, v3
	v_add3_u32 v45, v45, v88, v89
	v_addc_co_u32_e64 v43, s[28:29], v43, v4, s[28:29]
	v_add3_u32 v45, v45, v90, v91
	v_cmp_eq_u32_e64 s[28:29], 0, v96
	v_add3_u32 v50, v45, v92, v96
	v_cndmask_b32_e64 v45, 0, v43, s[28:29]
	v_cndmask_b32_e64 v43, 0, v44, s[28:29]
	v_add_co_u32_e64 v43, s[28:29], v43, v73
	v_mbcnt_hi_u32_b32 v49, -1, v97
	v_addc_co_u32_e64 v44, s[28:29], v45, v74, s[28:29]
	v_and_b32_e32 v45, 15, v49
	v_mov_b32_dpp v51, v50 row_shr:1 row_mask:0xf bank_mask:0xf
	v_mov_b32_dpp v46, v43 row_shr:1 row_mask:0xf bank_mask:0xf
	;; [unrolled: 1-line block ×3, first 2 shown]
	v_cmp_ne_u32_e64 s[28:29], 0, v45
	s_and_saveexec_b64 s[30:31], s[28:29]
; %bb.126:
	v_cmp_eq_u32_e64 s[28:29], 0, v50
	v_cndmask_b32_e64 v46, 0, v46, s[28:29]
	v_add_u32_e32 v51, v51, v50
	v_cndmask_b32_e64 v50, 0, v52, s[28:29]
	v_add_co_u32_e64 v43, s[28:29], v46, v43
	v_addc_co_u32_e64 v44, s[28:29], v50, v44, s[28:29]
	v_mov_b32_e32 v50, v51
; %bb.127:
	s_or_b64 exec, exec, s[30:31]
	s_nop 0
	v_mov_b32_dpp v51, v50 row_shr:2 row_mask:0xf bank_mask:0xf
	v_mov_b32_dpp v46, v43 row_shr:2 row_mask:0xf bank_mask:0xf
	v_mov_b32_dpp v52, v44 row_shr:2 row_mask:0xf bank_mask:0xf
	v_cmp_lt_u32_e64 s[28:29], 1, v45
	s_and_saveexec_b64 s[30:31], s[28:29]
; %bb.128:
	v_cmp_eq_u32_e64 s[28:29], 0, v50
	v_cndmask_b32_e64 v46, 0, v46, s[28:29]
	v_add_u32_e32 v51, v51, v50
	v_cndmask_b32_e64 v50, 0, v52, s[28:29]
	v_add_co_u32_e64 v43, s[28:29], v46, v43
	v_addc_co_u32_e64 v44, s[28:29], v50, v44, s[28:29]
	v_mov_b32_e32 v50, v51
; %bb.129:
	s_or_b64 exec, exec, s[30:31]
	s_nop 0
	v_mov_b32_dpp v51, v50 row_shr:4 row_mask:0xf bank_mask:0xf
	v_mov_b32_dpp v46, v43 row_shr:4 row_mask:0xf bank_mask:0xf
	v_mov_b32_dpp v52, v44 row_shr:4 row_mask:0xf bank_mask:0xf
	v_cmp_lt_u32_e64 s[28:29], 3, v45
	;; [unrolled: 16-line block ×3, first 2 shown]
	s_and_saveexec_b64 s[30:31], s[28:29]
; %bb.132:
	v_cmp_eq_u32_e64 s[28:29], 0, v50
	v_cndmask_b32_e64 v46, 0, v46, s[28:29]
	v_add_u32_e32 v45, v51, v50
	v_cndmask_b32_e64 v50, 0, v52, s[28:29]
	v_add_co_u32_e64 v43, s[28:29], v46, v43
	v_addc_co_u32_e64 v44, s[28:29], v50, v44, s[28:29]
	v_mov_b32_e32 v50, v45
; %bb.133:
	s_or_b64 exec, exec, s[30:31]
	v_and_b32_e32 v52, 16, v49
	v_mov_b32_dpp v46, v50 row_bcast:15 row_mask:0xf bank_mask:0xf
	v_mov_b32_dpp v45, v43 row_bcast:15 row_mask:0xf bank_mask:0xf
	;; [unrolled: 1-line block ×3, first 2 shown]
	v_cmp_ne_u32_e64 s[28:29], 0, v52
	s_and_saveexec_b64 s[30:31], s[28:29]
; %bb.134:
	v_cmp_eq_u32_e64 s[28:29], 0, v50
	v_cndmask_b32_e64 v45, 0, v45, s[28:29]
	v_add_u32_e32 v46, v46, v50
	v_cndmask_b32_e64 v50, 0, v51, s[28:29]
	v_add_co_u32_e64 v43, s[28:29], v45, v43
	v_addc_co_u32_e64 v44, s[28:29], v50, v44, s[28:29]
	v_mov_b32_e32 v50, v46
; %bb.135:
	s_or_b64 exec, exec, s[30:31]
	s_nop 0
	v_mov_b32_dpp v46, v50 row_bcast:31 row_mask:0xf bank_mask:0xf
	v_mov_b32_dpp v45, v43 row_bcast:31 row_mask:0xf bank_mask:0xf
	;; [unrolled: 1-line block ×3, first 2 shown]
	v_cmp_lt_u32_e64 s[28:29], 31, v49
	s_and_saveexec_b64 s[30:31], s[28:29]
; %bb.136:
	v_cmp_eq_u32_e64 s[28:29], 0, v50
	v_cndmask_b32_e64 v45, 0, v45, s[28:29]
	v_add_u32_e32 v46, v46, v50
	v_cndmask_b32_e64 v50, 0, v51, s[28:29]
	v_add_co_u32_e64 v43, s[28:29], v45, v43
	v_addc_co_u32_e64 v44, s[28:29], v50, v44, s[28:29]
	v_mov_b32_e32 v50, v46
; %bb.137:
	s_or_b64 exec, exec, s[30:31]
	v_lshrrev_b32_e32 v45, 6, v0
	v_or_b32_e32 v46, 63, v0
	v_cmp_eq_u32_e64 s[28:29], v0, v46
	v_lshlrev_b32_e32 v51, 4, v45
	s_and_saveexec_b64 s[30:31], s[28:29]
	s_cbranch_execz .LBB1910_139
; %bb.138:
	ds_write_b32 v51, v50 offset:2080
	ds_write_b64 v51, v[43:44] offset:2088
.LBB1910_139:
	s_or_b64 exec, exec, s[30:31]
	v_cmp_gt_u32_e64 s[28:29], 4, v0
	s_waitcnt vmcnt(0) lgkmcnt(0)
	s_barrier
	s_and_saveexec_b64 s[30:31], s[28:29]
	s_cbranch_execz .LBB1910_145
; %bb.140:
	v_lshlrev_b32_e32 v52, 4, v0
	ds_read_b32 v53, v52 offset:2080
	ds_read_b64 v[45:46], v52 offset:2088
	v_and_b32_e32 v54, 3, v49
	v_cmp_ne_u32_e64 s[28:29], 0, v54
	s_waitcnt lgkmcnt(1)
	v_mov_b32_dpp v56, v53 row_shr:1 row_mask:0xf bank_mask:0xf
	s_waitcnt lgkmcnt(0)
	v_mov_b32_dpp v55, v45 row_shr:1 row_mask:0xf bank_mask:0xf
	v_mov_b32_dpp v57, v46 row_shr:1 row_mask:0xf bank_mask:0xf
	s_and_saveexec_b64 s[34:35], s[28:29]
; %bb.141:
	v_cmp_eq_u32_e64 s[28:29], 0, v53
	v_cndmask_b32_e64 v55, 0, v55, s[28:29]
	v_add_u32_e32 v56, v56, v53
	v_cndmask_b32_e64 v53, 0, v57, s[28:29]
	v_add_co_u32_e64 v45, s[28:29], v55, v45
	v_addc_co_u32_e64 v46, s[28:29], v53, v46, s[28:29]
	v_mov_b32_e32 v53, v56
; %bb.142:
	s_or_b64 exec, exec, s[34:35]
	s_nop 0
	v_mov_b32_dpp v56, v53 row_shr:2 row_mask:0xf bank_mask:0xf
	v_mov_b32_dpp v55, v45 row_shr:2 row_mask:0xf bank_mask:0xf
	;; [unrolled: 1-line block ×3, first 2 shown]
	v_cmp_lt_u32_e64 s[28:29], 1, v54
	s_and_saveexec_b64 s[34:35], s[28:29]
; %bb.143:
	v_cmp_eq_u32_e64 s[28:29], 0, v53
	v_cndmask_b32_e64 v55, 0, v55, s[28:29]
	v_add_u32_e32 v54, v56, v53
	v_cndmask_b32_e64 v53, 0, v57, s[28:29]
	v_add_co_u32_e64 v45, s[28:29], v55, v45
	v_addc_co_u32_e64 v46, s[28:29], v53, v46, s[28:29]
	v_mov_b32_e32 v53, v54
; %bb.144:
	s_or_b64 exec, exec, s[34:35]
	ds_write_b32 v52, v53 offset:2080
	ds_write_b64 v52, v[45:46] offset:2088
.LBB1910_145:
	s_or_b64 exec, exec, s[30:31]
	v_mov_b32_e32 v45, v47
	v_cmp_lt_u32_e64 s[28:29], 63, v0
	v_mov_b32_e32 v73, 0
	v_mov_b32_e32 v52, 0
	;; [unrolled: 1-line block ×3, first 2 shown]
	s_waitcnt lgkmcnt(0)
	s_barrier
	s_and_saveexec_b64 s[30:31], s[28:29]
	s_cbranch_execz .LBB1910_147
; %bb.146:
	ds_read_b32 v52, v51 offset:2064
	ds_read_b64 v[45:46], v51 offset:2072
	s_waitcnt lgkmcnt(1)
	v_cmp_eq_u32_e64 s[28:29], 0, v52
	v_cndmask_b32_e64 v53, 0, v47, s[28:29]
	v_cndmask_b32_e64 v51, 0, v48, s[28:29]
	s_waitcnt lgkmcnt(0)
	v_add_co_u32_e64 v45, s[28:29], v53, v45
	v_addc_co_u32_e64 v46, s[28:29], v51, v46, s[28:29]
.LBB1910_147:
	s_or_b64 exec, exec, s[30:31]
	v_cmp_eq_u32_e64 s[28:29], 0, v50
	v_cndmask_b32_e64 v53, 0, v45, s[28:29]
	v_add_u32_e32 v51, v52, v50
	v_cndmask_b32_e64 v50, 0, v46, s[28:29]
	v_add_co_u32_e64 v43, s[28:29], v53, v43
	v_addc_co_u32_e64 v44, s[28:29], v50, v44, s[28:29]
	v_subrev_co_u32_e64 v50, s[28:29], 1, v49
	v_and_b32_e32 v53, 64, v49
	v_cmp_lt_i32_e64 s[30:31], v50, v53
	v_cndmask_b32_e64 v49, v50, v49, s[30:31]
	v_lshlrev_b32_e32 v49, 2, v49
	ds_bpermute_b32 v50, v49, v51
	ds_bpermute_b32 v51, v49, v44
	;; [unrolled: 1-line block ×3, first 2 shown]
	v_cmp_eq_u32_e64 s[30:31], 0, v82
	s_waitcnt lgkmcnt(2)
	v_cndmask_b32_e64 v44, v50, v52, s[28:29]
	s_waitcnt lgkmcnt(1)
	v_cndmask_b32_e64 v76, v51, v46, s[28:29]
	;; [unrolled: 2-line block ×3, first 2 shown]
	v_cmp_eq_u32_e64 s[28:29], 0, v0
	v_cndmask_b32_e64 v43, v75, v47, s[28:29]
	v_cndmask_b32_e64 v45, v76, v48, s[28:29]
	;; [unrolled: 1-line block ×4, first 2 shown]
	v_add_co_u32_e64 v49, s[30:31], v43, v25
	v_addc_co_u32_e64 v50, s[30:31], v45, v26, s[30:31]
	v_cndmask_b32_e64 v26, 0, v49, s[26:27]
	v_cndmask_b32_e64 v25, 0, v50, s[26:27]
	v_add_co_u32_e64 v51, s[26:27], v26, v27
	v_addc_co_u32_e64 v52, s[26:27], v25, v28, s[26:27]
	v_cndmask_b32_e64 v26, 0, v51, s[24:25]
	v_cndmask_b32_e64 v25, 0, v52, s[24:25]
	;; [unrolled: 4-line block ×11, first 2 shown]
	v_add_co_u32_e64 v71, s[4:5], v6, v7
	v_addc_co_u32_e64 v72, s[4:5], v5, v8, s[4:5]
	v_cndmask_b32_e64 v6, 0, v71, s[6:7]
	ds_read_b32 v43, v73 offset:2128
	v_cndmask_b32_e64 v5, 0, v72, s[6:7]
	v_add_co_u32_e64 v77, s[4:5], v6, v1
	v_addc_co_u32_e64 v78, s[4:5], v5, v2, s[4:5]
	ds_read_b64 v[1:2], v73 offset:2136
	v_cndmask_b32_e32 v80, 0, v78, vcc
	v_cndmask_b32_e32 v79, 0, v77, vcc
	s_waitcnt lgkmcnt(1)
	v_cmp_eq_u32_e32 vcc, 0, v43
	v_cndmask_b32_e32 v6, 0, v47, vcc
	v_cndmask_b32_e32 v5, 0, v48, vcc
	s_waitcnt lgkmcnt(0)
	v_add_co_u32_e32 v45, vcc, v6, v1
	v_addc_co_u32_e32 v46, vcc, v5, v2, vcc
	s_and_saveexec_b64 s[4:5], s[28:29]
	s_cbranch_execz .LBB1910_149
; %bb.148:
	v_mov_b32_e32 v76, v48
	v_mov_b32_e32 v44, 0
	;; [unrolled: 1-line block ×4, first 2 shown]
	global_store_dword v44, v43, s[42:43] offset:1024
	global_store_dwordx2 v44, v[45:46], s[42:43] offset:1032
	s_waitcnt vmcnt(0)
	buffer_wbinvl1_vol
	global_store_byte v44, v1, s[44:45] offset:64
.LBB1910_149:
	s_or_b64 exec, exec, s[4:5]
	v_mov_b32_e32 v47, 0
.LBB1910_150:
	s_cmp_eq_u64 s[54:55], 0
	s_cselect_b64 s[4:5], -1, 0
	s_or_b64 s[4:5], s[46:47], s[4:5]
	v_mov_b32_e32 v1, 0
	s_and_b64 vcc, exec, s[4:5]
	v_mov_b32_e32 v2, 0
	s_waitcnt vmcnt(0)
	s_barrier
	s_cbranch_vccnz .LBB1910_152
; %bb.151:
	v_mov_b32_e32 v1, 0
	global_load_dwordx2 v[1:2], v1, s[54:55]
.LBB1910_152:
	s_nop 0
	buffer_load_dword v23, off, s[0:3], 0
	buffer_load_dword v24, off, s[0:3], 0 offset:4
	buffer_load_dword v25, off, s[0:3], 0 offset:8
	;; [unrolled: 1-line block ×13, first 2 shown]
	v_add_u32_e32 v20, v44, v82
	buffer_load_dword v82, off, s[0:3], 0 offset:56
	s_waitcnt vmcnt(15)
	v_lshlrev_b64 v[5:6], 2, v[1:2]
	v_mov_b32_e32 v48, 0
	v_mov_b32_e32 v9, s57
	v_lshlrev_b64 v[7:8], 2, v[47:48]
	v_add_co_u32_e32 v5, vcc, s56, v5
	v_addc_co_u32_e32 v6, vcc, v9, v6, vcc
	v_add_co_u32_e32 v21, vcc, v5, v7
	v_addc_co_u32_e32 v22, vcc, v6, v8, vcc
	v_add_u32_e32 v19, v20, v95
	v_add_u32_e32 v18, v19, v94
	;; [unrolled: 1-line block ×11, first 2 shown]
	s_movk_i32 s36, 0x100
	v_add_u32_e32 v8, v9, v91
	v_add_u32_e32 v7, v8, v92
	s_mov_b64 s[40:41], -1
	s_waitcnt vmcnt(14)
	v_cmp_eq_u32_e32 vcc, 0, v23
	v_cndmask_b32_e64 v5, 1, 2, vcc
	s_waitcnt vmcnt(13)
	v_cmp_eq_u32_e32 vcc, 0, v24
	v_cndmask_b32_e64 v6, 1, 2, vcc
	s_waitcnt vmcnt(12)
	v_cmp_eq_u32_e32 vcc, 0, v25
	v_cmp_ne_u32_e64 s[34:35], 0, v23
	v_cndmask_b32_e64 v23, 1, 2, vcc
	s_waitcnt vmcnt(11)
	v_cmp_eq_u32_e32 vcc, 0, v26
	v_and_b32_e32 v5, v6, v5
	v_cmp_ne_u32_e64 s[30:31], 0, v24
	v_cndmask_b32_e64 v24, 1, 2, vcc
	s_waitcnt vmcnt(10)
	v_cmp_eq_u32_e32 vcc, 0, v27
	v_and_b32_e32 v5, v5, v23
	;; [unrolled: 5-line block ×8, first 2 shown]
	v_cndmask_b32_e64 v83, 1, 2, vcc
	s_waitcnt vmcnt(3)
	v_cmp_eq_u32_e32 vcc, 0, v99
	v_and_b32_e32 v5, v5, v74
	v_cndmask_b32_e64 v84, 1, 2, vcc
	s_waitcnt vmcnt(2)
	v_cmp_eq_u32_e32 vcc, 0, v100
	v_and_b32_e32 v5, v5, v83
	v_cndmask_b32_e64 v85, 1, 2, vcc
	v_and_b32_e32 v5, v5, v84
	s_waitcnt vmcnt(1)
	v_cmp_eq_u32_e32 vcc, 0, v101
	v_and_b32_e32 v5, v5, v85
	v_cndmask_b32_e64 v6, 1, 2, vcc
	s_waitcnt vmcnt(0)
	v_cmp_eq_u32_e32 vcc, 0, v82
	v_and_b32_e32 v5, v5, v6
	v_cndmask_b32_e64 v6, 1, 2, vcc
	v_and_b32_e32 v5, v5, v6
	v_cmp_gt_u32_e32 vcc, s36, v43
	v_cmp_ne_u32_e64 s[16:17], 0, v96
	v_cmp_ne_u32_e64 s[14:15], 0, v97
	;; [unrolled: 1-line block ×7, first 2 shown]
	v_cmp_gt_i16_e64 s[36:37], 2, v5
	s_cbranch_vccz .LBB1910_159
; %bb.153:
	s_and_saveexec_b64 s[40:41], s[36:37]
	s_cbranch_execz .LBB1910_158
; %bb.154:
	v_cmp_ne_u16_e32 vcc, 1, v5
	s_mov_b64 s[42:43], 0
	s_and_saveexec_b64 s[36:37], vcc
	s_xor_b64 s[36:37], exec, s[36:37]
	s_cbranch_execnz .LBB1910_194
; %bb.155:
	s_andn2_saveexec_b64 s[36:37], s[36:37]
	s_cbranch_execnz .LBB1910_210
.LBB1910_156:
	s_or_b64 exec, exec, s[36:37]
	s_and_b64 exec, exec, s[42:43]
	s_cbranch_execz .LBB1910_158
.LBB1910_157:
	v_sub_u32_e32 v23, v7, v47
	v_mov_b32_e32 v24, 0
	v_lshlrev_b64 v[23:24], 2, v[23:24]
	v_add_co_u32_e32 v23, vcc, v21, v23
	v_addc_co_u32_e32 v24, vcc, v22, v24, vcc
	global_store_dword v[23:24], v81, off
.LBB1910_158:
	s_or_b64 exec, exec, s[40:41]
	s_mov_b64 s[40:41], 0
.LBB1910_159:
	s_and_b64 vcc, exec, s[40:41]
	s_cbranch_vccz .LBB1910_169
; %bb.160:
	v_cmp_gt_i16_e32 vcc, 2, v5
	s_and_saveexec_b64 s[36:37], vcc
	s_cbranch_execz .LBB1910_165
; %bb.161:
	v_cmp_ne_u16_e32 vcc, 1, v5
	s_mov_b64 s[42:43], 0
	s_and_saveexec_b64 s[40:41], vcc
	s_xor_b64 s[40:41], exec, s[40:41]
	s_cbranch_execnz .LBB1910_211
; %bb.162:
	s_andn2_saveexec_b64 s[4:5], s[40:41]
	s_cbranch_execnz .LBB1910_227
.LBB1910_163:
	s_or_b64 exec, exec, s[4:5]
	s_and_b64 exec, exec, s[42:43]
.LBB1910_164:
	v_sub_u32_e32 v5, v7, v47
	v_lshlrev_b32_e32 v5, 2, v5
	ds_write_b32 v5, v81
.LBB1910_165:
	s_or_b64 exec, exec, s[36:37]
	v_cmp_lt_u32_e32 vcc, v0, v43
	s_waitcnt vmcnt(0) lgkmcnt(0)
	s_barrier
	s_and_saveexec_b64 s[6:7], vcc
	s_cbranch_execz .LBB1910_168
; %bb.166:
	v_lshlrev_b32_e32 v23, 2, v0
	s_mov_b64 s[8:9], 0
	v_mov_b32_e32 v6, 0
	v_mov_b32_e32 v5, v0
.LBB1910_167:                           ; =>This Inner Loop Header: Depth=1
	ds_read_b32 v26, v23
	v_lshlrev_b64 v[24:25], 2, v[5:6]
	v_add_u32_e32 v5, 0x100, v5
	v_cmp_ge_u32_e32 vcc, v5, v43
	v_add_co_u32_e64 v24, s[4:5], v21, v24
	v_add_u32_e32 v23, 0x400, v23
	v_addc_co_u32_e64 v25, s[4:5], v22, v25, s[4:5]
	s_or_b64 s[8:9], vcc, s[8:9]
	s_waitcnt lgkmcnt(0)
	global_store_dword v[24:25], v26, off
	s_andn2_b64 exec, exec, s[8:9]
	s_cbranch_execnz .LBB1910_167
.LBB1910_168:
	s_or_b64 exec, exec, s[6:7]
.LBB1910_169:
	v_cmp_eq_u32_e32 vcc, 0, v0
	s_and_b64 s[6:7], vcc, s[50:51]
	s_waitcnt vmcnt(0)
	s_barrier
	s_and_saveexec_b64 s[4:5], s[6:7]
	s_cbranch_execz .LBB1910_171
; %bb.170:
	v_mov_b32_e32 v5, 0
	buffer_store_dword v5, off, s[0:3], 0
.LBB1910_171:
	s_or_b64 exec, exec, s[4:5]
	s_mul_hi_u32 s4, s33, 0x88888889
	s_lshr_b32 s4, s4, 3
	v_cmp_eq_u32_e32 vcc, s4, v0
	s_and_b64 s[6:7], s[48:49], vcc
	s_and_saveexec_b64 s[4:5], s[6:7]
	s_cbranch_execz .LBB1910_173
; %bb.172:
	s_lshl_b32 s6, s33, 2
	v_mov_b32_e32 v5, s6
	s_movk_i32 s6, 0xffc4
	v_mad_i32_i24 v5, v0, s6, v5
	v_mov_b32_e32 v6, 1
	buffer_store_dword v6, v5, s[0:3], 0 offen
.LBB1910_173:
	s_or_b64 exec, exec, s[4:5]
	buffer_load_dword v25, off, s[0:3], 0
	buffer_load_dword v26, off, s[0:3], 0 offset:4
	buffer_load_dword v27, off, s[0:3], 0 offset:8
	;; [unrolled: 1-line block ×14, first 2 shown]
	v_add_co_u32_e32 v3, vcc, v79, v3
	v_lshlrev_b64 v[5:6], 3, v[1:2]
	v_addc_co_u32_e32 v4, vcc, v80, v4, vcc
	v_mov_b32_e32 v39, s59
	v_lshlrev_b64 v[22:23], 3, v[47:48]
	v_add_co_u32_e32 v5, vcc, s58, v5
	v_addc_co_u32_e32 v6, vcc, v39, v6, vcc
	v_cndmask_b32_e64 v21, 0, 1, s[50:51]
	v_add_co_u32_e32 v5, vcc, v5, v22
	v_lshlrev_b32_e32 v42, 3, v21
	v_addc_co_u32_e32 v6, vcc, v6, v23, vcc
	v_add_co_u32_e32 v22, vcc, v5, v42
	v_addc_co_u32_e32 v23, vcc, 0, v6, vcc
	v_add_co_u32_e32 v22, vcc, -8, v22
	v_addc_co_u32_e32 v23, vcc, -1, v23, vcc
	s_cmpk_lg_i32 s33, 0xf00
	s_cselect_b64 s[4:5], -1, 0
	s_and_b64 s[4:5], s[48:49], s[4:5]
	v_sub_u32_e32 v41, v43, v21
	v_add_u32_e32 v24, v47, v21
	v_cndmask_b32_e64 v21, 0, 1, s[4:5]
	v_add_u32_e32 v21, v41, v21
	s_movk_i32 s36, 0x100
	s_mov_b64 s[40:41], -1
	s_waitcnt vmcnt(14)
	v_cmp_eq_u32_e32 vcc, 0, v25
	v_cmp_ne_u32_e64 s[34:35], 0, v25
	v_cndmask_b32_e64 v25, 1, 2, vcc
	s_waitcnt vmcnt(13)
	v_cmp_eq_u32_e32 vcc, 0, v26
	v_cmp_ne_u32_e64 s[30:31], 0, v26
	v_cndmask_b32_e64 v26, 1, 2, vcc
	;; [unrolled: 4-line block ×3, first 2 shown]
	s_waitcnt vmcnt(11)
	v_cmp_eq_u32_e32 vcc, 0, v28
	v_and_b32_e32 v25, v26, v25
	v_cmp_ne_u32_e64 s[26:27], 0, v28
	v_cndmask_b32_e64 v28, 1, 2, vcc
	s_waitcnt vmcnt(10)
	v_cmp_eq_u32_e32 vcc, 0, v29
	v_and_b32_e32 v25, v25, v27
	v_cmp_ne_u32_e64 s[24:25], 0, v29
	v_cndmask_b32_e64 v29, 1, 2, vcc
	;; [unrolled: 5-line block ×8, first 2 shown]
	v_and_b32_e32 v25, v25, v34
	s_waitcnt vmcnt(3)
	v_cmp_eq_u32_e32 vcc, 0, v36
	v_and_b32_e32 v25, v25, v35
	v_cndmask_b32_e64 v26, 1, 2, vcc
	s_waitcnt vmcnt(2)
	v_cmp_eq_u32_e32 vcc, 0, v37
	v_and_b32_e32 v25, v25, v26
	v_cndmask_b32_e64 v26, 1, 2, vcc
	s_waitcnt vmcnt(1)
	v_cmp_eq_u32_e32 vcc, 0, v38
	v_and_b32_e32 v25, v25, v26
	v_cndmask_b32_e64 v26, 1, 2, vcc
	s_waitcnt vmcnt(0)
	v_cmp_eq_u32_e32 vcc, 0, v40
	v_and_b32_e32 v25, v25, v26
	v_cndmask_b32_e64 v26, 1, 2, vcc
	v_and_b32_e32 v25, v25, v26
	v_cmp_gt_u32_e32 vcc, s36, v21
	v_cmp_ne_u32_e64 s[8:9], 0, v36
	v_cmp_ne_u32_e64 s[10:11], 0, v37
	;; [unrolled: 1-line block ×4, first 2 shown]
	v_cmp_gt_i16_e64 s[36:37], 2, v25
	s_cbranch_vccz .LBB1910_180
; %bb.174:
	s_and_saveexec_b64 s[40:41], s[36:37]
	s_cbranch_execz .LBB1910_179
; %bb.175:
	v_cmp_ne_u16_e32 vcc, 1, v25
	s_mov_b64 s[42:43], 0
	s_and_saveexec_b64 s[36:37], vcc
	s_xor_b64 s[36:37], exec, s[36:37]
	s_cbranch_execnz .LBB1910_228
; %bb.176:
	s_andn2_saveexec_b64 s[36:37], s[36:37]
	s_cbranch_execnz .LBB1910_244
.LBB1910_177:
	s_or_b64 exec, exec, s[36:37]
	s_and_b64 exec, exec, s[42:43]
	s_cbranch_execz .LBB1910_179
.LBB1910_178:
	v_sub_u32_e32 v26, v7, v24
	v_mov_b32_e32 v27, 0
	v_lshlrev_b64 v[26:27], 3, v[26:27]
	v_add_co_u32_e32 v26, vcc, v22, v26
	v_addc_co_u32_e32 v27, vcc, v23, v27, vcc
	global_store_dwordx2 v[26:27], v[3:4], off
.LBB1910_179:
	s_or_b64 exec, exec, s[40:41]
	s_mov_b64 s[40:41], 0
.LBB1910_180:
	s_and_b64 vcc, exec, s[40:41]
	s_cbranch_vccz .LBB1910_190
; %bb.181:
	v_cmp_gt_i16_e32 vcc, 2, v25
	s_and_saveexec_b64 s[36:37], vcc
	s_cbranch_execz .LBB1910_186
; %bb.182:
	v_cmp_ne_u16_e32 vcc, 1, v25
	s_mov_b64 s[42:43], 0
	s_and_saveexec_b64 s[40:41], vcc
	s_xor_b64 s[40:41], exec, s[40:41]
	s_cbranch_execnz .LBB1910_245
; %bb.183:
	s_andn2_saveexec_b64 s[4:5], s[40:41]
	s_cbranch_execnz .LBB1910_261
.LBB1910_184:
	s_or_b64 exec, exec, s[4:5]
	s_and_b64 exec, exec, s[42:43]
.LBB1910_185:
	v_sub_u32_e32 v7, v7, v24
	v_lshlrev_b32_e32 v7, 3, v7
	ds_write_b64 v7, v[3:4]
.LBB1910_186:
	s_or_b64 exec, exec, s[36:37]
	v_cmp_lt_u32_e32 vcc, v0, v21
	s_waitcnt vmcnt(0) lgkmcnt(0)
	s_barrier
	s_and_saveexec_b64 s[6:7], vcc
	s_cbranch_execz .LBB1910_189
; %bb.187:
	v_lshlrev_b32_e32 v7, 3, v0
	s_mov_b64 s[8:9], 0
	v_mov_b32_e32 v4, 0
	v_mov_b32_e32 v3, v0
.LBB1910_188:                           ; =>This Inner Loop Header: Depth=1
	ds_read_b64 v[10:11], v7
	v_lshlrev_b64 v[8:9], 3, v[3:4]
	v_add_u32_e32 v3, 0x100, v3
	v_cmp_ge_u32_e32 vcc, v3, v21
	v_add_co_u32_e64 v8, s[4:5], v22, v8
	v_add_u32_e32 v7, 0x800, v7
	v_addc_co_u32_e64 v9, s[4:5], v23, v9, s[4:5]
	s_or_b64 s[8:9], vcc, s[8:9]
	s_waitcnt lgkmcnt(0)
	global_store_dwordx2 v[8:9], v[10:11], off
	s_andn2_b64 exec, exec, s[8:9]
	s_cbranch_execnz .LBB1910_188
.LBB1910_189:
	s_or_b64 exec, exec, s[6:7]
.LBB1910_190:
	s_movk_i32 s4, 0xff
	v_cmp_eq_u32_e32 vcc, s4, v0
	s_and_b64 s[4:5], vcc, s[48:49]
	s_and_saveexec_b64 s[6:7], s[4:5]
	s_cbranch_execz .LBB1910_193
; %bb.191:
	v_add_co_u32_e32 v0, vcc, v43, v47
	v_addc_co_u32_e64 v3, s[4:5], 0, 0, vcc
	v_add_co_u32_e32 v0, vcc, v0, v1
	v_mov_b32_e32 v44, 0
	v_addc_co_u32_e32 v1, vcc, v3, v2, vcc
	s_cmpk_lg_i32 s33, 0xf00
	global_store_dwordx2 v44, v[0:1], s[38:39]
	s_cbranch_scc1 .LBB1910_193
; %bb.192:
	v_lshlrev_b64 v[0:1], 3, v[43:44]
	v_add_co_u32_e32 v0, vcc, v5, v0
	v_addc_co_u32_e32 v1, vcc, v6, v1, vcc
	global_store_dwordx2 v[0:1], v[45:46], off offset:-8
.LBB1910_193:
	s_endpgm
.LBB1910_194:
	s_and_saveexec_b64 s[42:43], s[34:35]
	s_cbranch_execnz .LBB1910_262
; %bb.195:
	s_or_b64 exec, exec, s[42:43]
	s_and_saveexec_b64 s[42:43], s[30:31]
	s_cbranch_execnz .LBB1910_263
.LBB1910_196:
	s_or_b64 exec, exec, s[42:43]
	s_and_saveexec_b64 s[42:43], s[28:29]
	s_cbranch_execnz .LBB1910_264
.LBB1910_197:
	s_or_b64 exec, exec, s[42:43]
	s_and_saveexec_b64 s[42:43], s[26:27]
	s_cbranch_execnz .LBB1910_265
.LBB1910_198:
	s_or_b64 exec, exec, s[42:43]
	s_and_saveexec_b64 s[42:43], s[24:25]
	s_cbranch_execnz .LBB1910_266
.LBB1910_199:
	s_or_b64 exec, exec, s[42:43]
	s_and_saveexec_b64 s[42:43], s[22:23]
	s_cbranch_execnz .LBB1910_267
.LBB1910_200:
	s_or_b64 exec, exec, s[42:43]
	s_and_saveexec_b64 s[42:43], s[20:21]
	s_cbranch_execnz .LBB1910_268
.LBB1910_201:
	s_or_b64 exec, exec, s[42:43]
	s_and_saveexec_b64 s[42:43], s[18:19]
	s_cbranch_execnz .LBB1910_269
.LBB1910_202:
	s_or_b64 exec, exec, s[42:43]
	s_and_saveexec_b64 s[42:43], s[16:17]
	s_cbranch_execnz .LBB1910_270
.LBB1910_203:
	s_or_b64 exec, exec, s[42:43]
	s_and_saveexec_b64 s[42:43], s[14:15]
	s_cbranch_execnz .LBB1910_271
.LBB1910_204:
	s_or_b64 exec, exec, s[42:43]
	s_and_saveexec_b64 s[42:43], s[12:13]
	s_cbranch_execnz .LBB1910_272
.LBB1910_205:
	s_or_b64 exec, exec, s[42:43]
	s_and_saveexec_b64 s[42:43], s[10:11]
	s_cbranch_execnz .LBB1910_273
.LBB1910_206:
	s_or_b64 exec, exec, s[42:43]
	s_and_saveexec_b64 s[42:43], s[8:9]
	s_cbranch_execnz .LBB1910_274
.LBB1910_207:
	s_or_b64 exec, exec, s[42:43]
	s_and_saveexec_b64 s[42:43], s[4:5]
	s_cbranch_execz .LBB1910_209
.LBB1910_208:
	v_sub_u32_e32 v23, v8, v47
	v_mov_b32_e32 v24, 0
	v_lshlrev_b64 v[23:24], 2, v[23:24]
	v_add_co_u32_e32 v23, vcc, v21, v23
	v_addc_co_u32_e32 v24, vcc, v22, v24, vcc
	global_store_dword v[23:24], v30, off
.LBB1910_209:
	s_or_b64 exec, exec, s[42:43]
	s_and_b64 s[42:43], s[6:7], exec
	s_andn2_saveexec_b64 s[36:37], s[36:37]
	s_cbranch_execz .LBB1910_156
.LBB1910_210:
	v_sub_u32_e32 v23, v44, v47
	v_mov_b32_e32 v24, 0
	v_lshlrev_b64 v[25:26], 2, v[23:24]
	v_sub_u32_e32 v23, v20, v47
	v_add_co_u32_e32 v25, vcc, v21, v25
	v_addc_co_u32_e32 v26, vcc, v22, v26, vcc
	global_store_dword v[25:26], v41, off
	v_lshlrev_b64 v[25:26], 2, v[23:24]
	v_sub_u32_e32 v23, v19, v47
	v_add_co_u32_e32 v25, vcc, v21, v25
	v_addc_co_u32_e32 v26, vcc, v22, v26, vcc
	global_store_dword v[25:26], v42, off
	;; [unrolled: 5-line block ×12, first 2 shown]
	v_lshlrev_b64 v[25:26], 2, v[23:24]
	v_sub_u32_e32 v23, v8, v47
	v_add_co_u32_e32 v25, vcc, v21, v25
	v_lshlrev_b64 v[23:24], 2, v[23:24]
	v_addc_co_u32_e32 v26, vcc, v22, v26, vcc
	v_add_co_u32_e32 v23, vcc, v21, v23
	v_addc_co_u32_e32 v24, vcc, v22, v24, vcc
	s_or_b64 s[42:43], s[42:43], exec
	global_store_dword v[25:26], v29, off
	global_store_dword v[23:24], v30, off
	s_or_b64 exec, exec, s[36:37]
	s_and_b64 exec, exec, s[42:43]
	s_cbranch_execnz .LBB1910_157
	s_branch .LBB1910_158
.LBB1910_211:
	s_and_saveexec_b64 s[42:43], s[34:35]
	s_cbranch_execnz .LBB1910_275
; %bb.212:
	s_or_b64 exec, exec, s[42:43]
	s_and_saveexec_b64 s[34:35], s[30:31]
	s_cbranch_execnz .LBB1910_276
.LBB1910_213:
	s_or_b64 exec, exec, s[34:35]
	s_and_saveexec_b64 s[30:31], s[28:29]
	s_cbranch_execnz .LBB1910_277
.LBB1910_214:
	s_or_b64 exec, exec, s[30:31]
	s_and_saveexec_b64 s[28:29], s[26:27]
	s_cbranch_execnz .LBB1910_278
.LBB1910_215:
	s_or_b64 exec, exec, s[28:29]
	s_and_saveexec_b64 s[26:27], s[24:25]
	s_cbranch_execnz .LBB1910_279
.LBB1910_216:
	s_or_b64 exec, exec, s[26:27]
	s_and_saveexec_b64 s[24:25], s[22:23]
	s_cbranch_execnz .LBB1910_280
.LBB1910_217:
	s_or_b64 exec, exec, s[24:25]
	s_and_saveexec_b64 s[22:23], s[20:21]
	s_cbranch_execnz .LBB1910_281
.LBB1910_218:
	s_or_b64 exec, exec, s[22:23]
	s_and_saveexec_b64 s[20:21], s[18:19]
	s_cbranch_execnz .LBB1910_282
.LBB1910_219:
	s_or_b64 exec, exec, s[20:21]
	s_and_saveexec_b64 s[18:19], s[16:17]
	s_cbranch_execnz .LBB1910_283
.LBB1910_220:
	s_or_b64 exec, exec, s[18:19]
	s_and_saveexec_b64 s[16:17], s[14:15]
	s_cbranch_execnz .LBB1910_284
.LBB1910_221:
	s_or_b64 exec, exec, s[16:17]
	s_and_saveexec_b64 s[14:15], s[12:13]
	s_cbranch_execnz .LBB1910_285
.LBB1910_222:
	s_or_b64 exec, exec, s[14:15]
	s_and_saveexec_b64 s[12:13], s[10:11]
	s_cbranch_execnz .LBB1910_286
.LBB1910_223:
	s_or_b64 exec, exec, s[12:13]
	s_and_saveexec_b64 s[10:11], s[8:9]
	s_cbranch_execnz .LBB1910_287
.LBB1910_224:
	s_or_b64 exec, exec, s[10:11]
	s_and_saveexec_b64 s[8:9], s[4:5]
.LBB1910_225:
	v_sub_u32_e32 v5, v8, v47
	v_lshlrev_b32_e32 v5, 2, v5
	ds_write_b32 v5, v30
.LBB1910_226:
	s_or_b64 exec, exec, s[8:9]
	s_and_b64 s[42:43], s[6:7], exec
                                        ; implicit-def: $vgpr41
                                        ; implicit-def: $vgpr39
                                        ; implicit-def: $vgpr37
                                        ; implicit-def: $vgpr35
                                        ; implicit-def: $vgpr33
                                        ; implicit-def: $vgpr31
                                        ; implicit-def: $vgpr29
	s_andn2_saveexec_b64 s[4:5], s[40:41]
	s_cbranch_execz .LBB1910_163
.LBB1910_227:
	v_sub_u32_e32 v5, v44, v47
	v_lshlrev_b32_e32 v5, 2, v5
	ds_write_b32 v5, v41
	v_sub_u32_e32 v5, v20, v47
	v_lshlrev_b32_e32 v5, 2, v5
	ds_write_b32 v5, v42
	;; [unrolled: 3-line block ×13, first 2 shown]
	v_sub_u32_e32 v5, v8, v47
	v_lshlrev_b32_e32 v5, 2, v5
	s_or_b64 s[42:43], s[42:43], exec
	ds_write_b32 v5, v30
	s_or_b64 exec, exec, s[4:5]
	s_and_b64 exec, exec, s[42:43]
	s_cbranch_execnz .LBB1910_164
	s_branch .LBB1910_165
.LBB1910_228:
	s_and_saveexec_b64 s[42:43], s[34:35]
	s_cbranch_execnz .LBB1910_288
; %bb.229:
	s_or_b64 exec, exec, s[42:43]
	s_and_saveexec_b64 s[42:43], s[30:31]
	s_cbranch_execnz .LBB1910_289
.LBB1910_230:
	s_or_b64 exec, exec, s[42:43]
	s_and_saveexec_b64 s[42:43], s[28:29]
	s_cbranch_execnz .LBB1910_290
.LBB1910_231:
	s_or_b64 exec, exec, s[42:43]
	s_and_saveexec_b64 s[42:43], s[26:27]
	s_cbranch_execnz .LBB1910_291
.LBB1910_232:
	s_or_b64 exec, exec, s[42:43]
	s_and_saveexec_b64 s[42:43], s[24:25]
	s_cbranch_execnz .LBB1910_292
.LBB1910_233:
	s_or_b64 exec, exec, s[42:43]
	s_and_saveexec_b64 s[42:43], s[22:23]
	s_cbranch_execnz .LBB1910_293
.LBB1910_234:
	s_or_b64 exec, exec, s[42:43]
	s_and_saveexec_b64 s[42:43], s[20:21]
	s_cbranch_execnz .LBB1910_294
.LBB1910_235:
	s_or_b64 exec, exec, s[42:43]
	s_and_saveexec_b64 s[42:43], s[18:19]
	s_cbranch_execnz .LBB1910_295
.LBB1910_236:
	s_or_b64 exec, exec, s[42:43]
	s_and_saveexec_b64 s[42:43], s[16:17]
	s_cbranch_execnz .LBB1910_296
.LBB1910_237:
	s_or_b64 exec, exec, s[42:43]
	s_and_saveexec_b64 s[42:43], s[14:15]
	s_cbranch_execnz .LBB1910_297
.LBB1910_238:
	s_or_b64 exec, exec, s[42:43]
	s_and_saveexec_b64 s[42:43], s[12:13]
	s_cbranch_execnz .LBB1910_298
.LBB1910_239:
	s_or_b64 exec, exec, s[42:43]
	s_and_saveexec_b64 s[42:43], s[8:9]
	s_cbranch_execnz .LBB1910_299
.LBB1910_240:
	s_or_b64 exec, exec, s[42:43]
	s_and_saveexec_b64 s[42:43], s[10:11]
	s_cbranch_execnz .LBB1910_300
.LBB1910_241:
	s_or_b64 exec, exec, s[42:43]
	s_and_saveexec_b64 s[42:43], s[6:7]
	s_cbranch_execz .LBB1910_243
.LBB1910_242:
	v_sub_u32_e32 v26, v8, v24
	v_mov_b32_e32 v27, 0
	v_lshlrev_b64 v[26:27], 3, v[26:27]
	v_add_co_u32_e32 v26, vcc, v22, v26
	v_addc_co_u32_e32 v27, vcc, v23, v27, vcc
	global_store_dwordx2 v[26:27], v[77:78], off
.LBB1910_243:
	s_or_b64 exec, exec, s[42:43]
	s_and_b64 s[42:43], s[4:5], exec
	s_andn2_saveexec_b64 s[36:37], s[36:37]
	s_cbranch_execz .LBB1910_177
.LBB1910_244:
	v_sub_u32_e32 v26, v44, v24
	v_mov_b32_e32 v27, 0
	v_lshlrev_b64 v[28:29], 3, v[26:27]
	v_sub_u32_e32 v26, v20, v24
	v_add_co_u32_e32 v28, vcc, v22, v28
	v_addc_co_u32_e32 v29, vcc, v23, v29, vcc
	global_store_dwordx2 v[28:29], v[75:76], off
	v_lshlrev_b64 v[28:29], 3, v[26:27]
	v_sub_u32_e32 v26, v19, v24
	v_add_co_u32_e32 v28, vcc, v22, v28
	v_addc_co_u32_e32 v29, vcc, v23, v29, vcc
	global_store_dwordx2 v[28:29], v[49:50], off
	;; [unrolled: 5-line block ×12, first 2 shown]
	v_lshlrev_b64 v[28:29], 3, v[26:27]
	v_sub_u32_e32 v26, v8, v24
	v_add_co_u32_e32 v28, vcc, v22, v28
	v_lshlrev_b64 v[26:27], 3, v[26:27]
	v_addc_co_u32_e32 v29, vcc, v23, v29, vcc
	v_add_co_u32_e32 v26, vcc, v22, v26
	v_addc_co_u32_e32 v27, vcc, v23, v27, vcc
	s_or_b64 s[42:43], s[42:43], exec
	global_store_dwordx2 v[28:29], v[71:72], off
	global_store_dwordx2 v[26:27], v[77:78], off
	s_or_b64 exec, exec, s[36:37]
	s_and_b64 exec, exec, s[42:43]
	s_cbranch_execnz .LBB1910_178
	s_branch .LBB1910_179
.LBB1910_245:
	s_and_saveexec_b64 s[42:43], s[34:35]
	s_cbranch_execnz .LBB1910_301
; %bb.246:
	s_or_b64 exec, exec, s[42:43]
	s_and_saveexec_b64 s[34:35], s[30:31]
	s_cbranch_execnz .LBB1910_302
.LBB1910_247:
	s_or_b64 exec, exec, s[34:35]
	s_and_saveexec_b64 s[30:31], s[28:29]
	s_cbranch_execnz .LBB1910_303
.LBB1910_248:
	s_or_b64 exec, exec, s[30:31]
	s_and_saveexec_b64 s[28:29], s[26:27]
	s_cbranch_execnz .LBB1910_304
.LBB1910_249:
	s_or_b64 exec, exec, s[28:29]
	s_and_saveexec_b64 s[26:27], s[24:25]
	s_cbranch_execnz .LBB1910_305
.LBB1910_250:
	s_or_b64 exec, exec, s[26:27]
	s_and_saveexec_b64 s[24:25], s[22:23]
	s_cbranch_execnz .LBB1910_306
.LBB1910_251:
	s_or_b64 exec, exec, s[24:25]
	s_and_saveexec_b64 s[22:23], s[20:21]
	s_cbranch_execnz .LBB1910_307
.LBB1910_252:
	s_or_b64 exec, exec, s[22:23]
	s_and_saveexec_b64 s[20:21], s[18:19]
	s_cbranch_execnz .LBB1910_308
.LBB1910_253:
	s_or_b64 exec, exec, s[20:21]
	s_and_saveexec_b64 s[18:19], s[16:17]
	s_cbranch_execnz .LBB1910_309
.LBB1910_254:
	s_or_b64 exec, exec, s[18:19]
	s_and_saveexec_b64 s[16:17], s[14:15]
	s_cbranch_execnz .LBB1910_310
.LBB1910_255:
	s_or_b64 exec, exec, s[16:17]
	s_and_saveexec_b64 s[14:15], s[12:13]
	s_cbranch_execnz .LBB1910_311
.LBB1910_256:
	s_or_b64 exec, exec, s[14:15]
	s_and_saveexec_b64 s[12:13], s[8:9]
	s_cbranch_execnz .LBB1910_312
.LBB1910_257:
	s_or_b64 exec, exec, s[12:13]
	s_and_saveexec_b64 s[8:9], s[10:11]
	s_cbranch_execnz .LBB1910_313
.LBB1910_258:
	s_or_b64 exec, exec, s[8:9]
	s_and_saveexec_b64 s[8:9], s[6:7]
.LBB1910_259:
	v_sub_u32_e32 v8, v8, v24
	v_lshlrev_b32_e32 v8, 3, v8
	ds_write_b64 v8, v[77:78]
.LBB1910_260:
	s_or_b64 exec, exec, s[8:9]
	s_and_b64 s[42:43], s[4:5], exec
                                        ; implicit-def: $vgpr75_vgpr76
                                        ; implicit-def: $vgpr49_vgpr50
                                        ; implicit-def: $vgpr51_vgpr52
                                        ; implicit-def: $vgpr53_vgpr54
                                        ; implicit-def: $vgpr55_vgpr56
                                        ; implicit-def: $vgpr57_vgpr58
                                        ; implicit-def: $vgpr59_vgpr60
                                        ; implicit-def: $vgpr61_vgpr62
                                        ; implicit-def: $vgpr63_vgpr64
                                        ; implicit-def: $vgpr65_vgpr66
                                        ; implicit-def: $vgpr67_vgpr68
                                        ; implicit-def: $vgpr69_vgpr70
                                        ; implicit-def: $vgpr71_vgpr72
                                        ; implicit-def: $vgpr77_vgpr78
                                        ; implicit-def: $vgpr44
                                        ; implicit-def: $vgpr20
                                        ; implicit-def: $vgpr19
                                        ; implicit-def: $vgpr18
                                        ; implicit-def: $vgpr17
                                        ; implicit-def: $vgpr16
                                        ; implicit-def: $vgpr15
                                        ; implicit-def: $vgpr14
                                        ; implicit-def: $vgpr13
                                        ; implicit-def: $vgpr12
                                        ; implicit-def: $vgpr11
                                        ; implicit-def: $vgpr10
                                        ; implicit-def: $vgpr9
                                        ; implicit-def: $vgpr8
	s_andn2_saveexec_b64 s[4:5], s[40:41]
	s_cbranch_execz .LBB1910_184
.LBB1910_261:
	v_sub_u32_e32 v25, v44, v24
	v_sub_u32_e32 v20, v20, v24
	;; [unrolled: 1-line block ×14, first 2 shown]
	v_lshlrev_b32_e32 v25, 3, v25
	v_lshlrev_b32_e32 v20, 3, v20
	;; [unrolled: 1-line block ×14, first 2 shown]
	s_or_b64 s[42:43], s[42:43], exec
	ds_write_b64 v25, v[75:76]
	ds_write_b64 v20, v[49:50]
	ds_write_b64 v19, v[51:52]
	ds_write_b64 v18, v[53:54]
	ds_write_b64 v17, v[55:56]
	ds_write_b64 v16, v[57:58]
	ds_write_b64 v15, v[59:60]
	ds_write_b64 v14, v[61:62]
	ds_write_b64 v13, v[63:64]
	ds_write_b64 v12, v[65:66]
	ds_write_b64 v11, v[67:68]
	ds_write_b64 v10, v[69:70]
	ds_write_b64 v9, v[71:72]
	ds_write_b64 v8, v[77:78]
	s_or_b64 exec, exec, s[4:5]
	s_and_b64 exec, exec, s[42:43]
	s_cbranch_execnz .LBB1910_185
	s_branch .LBB1910_186
.LBB1910_262:
	v_sub_u32_e32 v23, v44, v47
	v_mov_b32_e32 v24, 0
	v_lshlrev_b64 v[23:24], 2, v[23:24]
	v_add_co_u32_e32 v23, vcc, v21, v23
	v_addc_co_u32_e32 v24, vcc, v22, v24, vcc
	global_store_dword v[23:24], v41, off
	s_or_b64 exec, exec, s[42:43]
	s_and_saveexec_b64 s[42:43], s[30:31]
	s_cbranch_execz .LBB1910_196
.LBB1910_263:
	v_sub_u32_e32 v23, v20, v47
	v_mov_b32_e32 v24, 0
	v_lshlrev_b64 v[23:24], 2, v[23:24]
	v_add_co_u32_e32 v23, vcc, v21, v23
	v_addc_co_u32_e32 v24, vcc, v22, v24, vcc
	global_store_dword v[23:24], v42, off
	s_or_b64 exec, exec, s[42:43]
	s_and_saveexec_b64 s[42:43], s[28:29]
	s_cbranch_execz .LBB1910_197
.LBB1910_264:
	v_sub_u32_e32 v23, v19, v47
	v_mov_b32_e32 v24, 0
	v_lshlrev_b64 v[23:24], 2, v[23:24]
	v_add_co_u32_e32 v23, vcc, v21, v23
	v_addc_co_u32_e32 v24, vcc, v22, v24, vcc
	global_store_dword v[23:24], v39, off
	s_or_b64 exec, exec, s[42:43]
	s_and_saveexec_b64 s[42:43], s[26:27]
	s_cbranch_execz .LBB1910_198
.LBB1910_265:
	v_sub_u32_e32 v23, v18, v47
	v_mov_b32_e32 v24, 0
	v_lshlrev_b64 v[23:24], 2, v[23:24]
	v_add_co_u32_e32 v23, vcc, v21, v23
	v_addc_co_u32_e32 v24, vcc, v22, v24, vcc
	global_store_dword v[23:24], v40, off
	s_or_b64 exec, exec, s[42:43]
	s_and_saveexec_b64 s[42:43], s[24:25]
	s_cbranch_execz .LBB1910_199
.LBB1910_266:
	v_sub_u32_e32 v23, v17, v47
	v_mov_b32_e32 v24, 0
	v_lshlrev_b64 v[23:24], 2, v[23:24]
	v_add_co_u32_e32 v23, vcc, v21, v23
	v_addc_co_u32_e32 v24, vcc, v22, v24, vcc
	global_store_dword v[23:24], v37, off
	s_or_b64 exec, exec, s[42:43]
	s_and_saveexec_b64 s[42:43], s[22:23]
	s_cbranch_execz .LBB1910_200
.LBB1910_267:
	v_sub_u32_e32 v23, v16, v47
	v_mov_b32_e32 v24, 0
	v_lshlrev_b64 v[23:24], 2, v[23:24]
	v_add_co_u32_e32 v23, vcc, v21, v23
	v_addc_co_u32_e32 v24, vcc, v22, v24, vcc
	global_store_dword v[23:24], v38, off
	s_or_b64 exec, exec, s[42:43]
	s_and_saveexec_b64 s[42:43], s[20:21]
	s_cbranch_execz .LBB1910_201
.LBB1910_268:
	v_sub_u32_e32 v23, v15, v47
	v_mov_b32_e32 v24, 0
	v_lshlrev_b64 v[23:24], 2, v[23:24]
	v_add_co_u32_e32 v23, vcc, v21, v23
	v_addc_co_u32_e32 v24, vcc, v22, v24, vcc
	global_store_dword v[23:24], v35, off
	s_or_b64 exec, exec, s[42:43]
	s_and_saveexec_b64 s[42:43], s[18:19]
	s_cbranch_execz .LBB1910_202
.LBB1910_269:
	v_sub_u32_e32 v23, v14, v47
	v_mov_b32_e32 v24, 0
	v_lshlrev_b64 v[23:24], 2, v[23:24]
	v_add_co_u32_e32 v23, vcc, v21, v23
	v_addc_co_u32_e32 v24, vcc, v22, v24, vcc
	global_store_dword v[23:24], v36, off
	s_or_b64 exec, exec, s[42:43]
	s_and_saveexec_b64 s[42:43], s[16:17]
	s_cbranch_execz .LBB1910_203
.LBB1910_270:
	v_sub_u32_e32 v23, v13, v47
	v_mov_b32_e32 v24, 0
	v_lshlrev_b64 v[23:24], 2, v[23:24]
	v_add_co_u32_e32 v23, vcc, v21, v23
	v_addc_co_u32_e32 v24, vcc, v22, v24, vcc
	global_store_dword v[23:24], v33, off
	s_or_b64 exec, exec, s[42:43]
	s_and_saveexec_b64 s[42:43], s[14:15]
	s_cbranch_execz .LBB1910_204
.LBB1910_271:
	v_sub_u32_e32 v23, v12, v47
	v_mov_b32_e32 v24, 0
	v_lshlrev_b64 v[23:24], 2, v[23:24]
	v_add_co_u32_e32 v23, vcc, v21, v23
	v_addc_co_u32_e32 v24, vcc, v22, v24, vcc
	global_store_dword v[23:24], v34, off
	s_or_b64 exec, exec, s[42:43]
	s_and_saveexec_b64 s[42:43], s[12:13]
	s_cbranch_execz .LBB1910_205
.LBB1910_272:
	v_sub_u32_e32 v23, v11, v47
	v_mov_b32_e32 v24, 0
	v_lshlrev_b64 v[23:24], 2, v[23:24]
	v_add_co_u32_e32 v23, vcc, v21, v23
	v_addc_co_u32_e32 v24, vcc, v22, v24, vcc
	global_store_dword v[23:24], v31, off
	s_or_b64 exec, exec, s[42:43]
	s_and_saveexec_b64 s[42:43], s[10:11]
	s_cbranch_execz .LBB1910_206
.LBB1910_273:
	v_sub_u32_e32 v23, v10, v47
	v_mov_b32_e32 v24, 0
	v_lshlrev_b64 v[23:24], 2, v[23:24]
	v_add_co_u32_e32 v23, vcc, v21, v23
	v_addc_co_u32_e32 v24, vcc, v22, v24, vcc
	global_store_dword v[23:24], v32, off
	s_or_b64 exec, exec, s[42:43]
	s_and_saveexec_b64 s[42:43], s[8:9]
	s_cbranch_execz .LBB1910_207
.LBB1910_274:
	v_sub_u32_e32 v23, v9, v47
	v_mov_b32_e32 v24, 0
	v_lshlrev_b64 v[23:24], 2, v[23:24]
	v_add_co_u32_e32 v23, vcc, v21, v23
	v_addc_co_u32_e32 v24, vcc, v22, v24, vcc
	global_store_dword v[23:24], v29, off
	s_or_b64 exec, exec, s[42:43]
	s_and_saveexec_b64 s[42:43], s[4:5]
	s_cbranch_execnz .LBB1910_208
	s_branch .LBB1910_209
.LBB1910_275:
	v_sub_u32_e32 v5, v44, v47
	v_lshlrev_b32_e32 v5, 2, v5
	ds_write_b32 v5, v41
	s_or_b64 exec, exec, s[42:43]
	s_and_saveexec_b64 s[34:35], s[30:31]
	s_cbranch_execz .LBB1910_213
.LBB1910_276:
	v_sub_u32_e32 v5, v20, v47
	v_lshlrev_b32_e32 v5, 2, v5
	ds_write_b32 v5, v42
	s_or_b64 exec, exec, s[34:35]
	s_and_saveexec_b64 s[30:31], s[28:29]
	s_cbranch_execz .LBB1910_214
.LBB1910_277:
	v_sub_u32_e32 v5, v19, v47
	v_lshlrev_b32_e32 v5, 2, v5
	ds_write_b32 v5, v39
	s_or_b64 exec, exec, s[30:31]
	s_and_saveexec_b64 s[28:29], s[26:27]
	s_cbranch_execz .LBB1910_215
.LBB1910_278:
	v_sub_u32_e32 v5, v18, v47
	v_lshlrev_b32_e32 v5, 2, v5
	ds_write_b32 v5, v40
	s_or_b64 exec, exec, s[28:29]
	s_and_saveexec_b64 s[26:27], s[24:25]
	s_cbranch_execz .LBB1910_216
.LBB1910_279:
	v_sub_u32_e32 v5, v17, v47
	v_lshlrev_b32_e32 v5, 2, v5
	ds_write_b32 v5, v37
	s_or_b64 exec, exec, s[26:27]
	s_and_saveexec_b64 s[24:25], s[22:23]
	s_cbranch_execz .LBB1910_217
.LBB1910_280:
	v_sub_u32_e32 v5, v16, v47
	v_lshlrev_b32_e32 v5, 2, v5
	ds_write_b32 v5, v38
	s_or_b64 exec, exec, s[24:25]
	s_and_saveexec_b64 s[22:23], s[20:21]
	s_cbranch_execz .LBB1910_218
.LBB1910_281:
	v_sub_u32_e32 v5, v15, v47
	v_lshlrev_b32_e32 v5, 2, v5
	ds_write_b32 v5, v35
	s_or_b64 exec, exec, s[22:23]
	s_and_saveexec_b64 s[20:21], s[18:19]
	s_cbranch_execz .LBB1910_219
.LBB1910_282:
	v_sub_u32_e32 v5, v14, v47
	v_lshlrev_b32_e32 v5, 2, v5
	ds_write_b32 v5, v36
	s_or_b64 exec, exec, s[20:21]
	s_and_saveexec_b64 s[18:19], s[16:17]
	s_cbranch_execz .LBB1910_220
.LBB1910_283:
	v_sub_u32_e32 v5, v13, v47
	v_lshlrev_b32_e32 v5, 2, v5
	ds_write_b32 v5, v33
	s_or_b64 exec, exec, s[18:19]
	s_and_saveexec_b64 s[16:17], s[14:15]
	s_cbranch_execz .LBB1910_221
.LBB1910_284:
	v_sub_u32_e32 v5, v12, v47
	v_lshlrev_b32_e32 v5, 2, v5
	ds_write_b32 v5, v34
	s_or_b64 exec, exec, s[16:17]
	s_and_saveexec_b64 s[14:15], s[12:13]
	s_cbranch_execz .LBB1910_222
.LBB1910_285:
	v_sub_u32_e32 v5, v11, v47
	v_lshlrev_b32_e32 v5, 2, v5
	ds_write_b32 v5, v31
	s_or_b64 exec, exec, s[14:15]
	s_and_saveexec_b64 s[12:13], s[10:11]
	s_cbranch_execz .LBB1910_223
.LBB1910_286:
	v_sub_u32_e32 v5, v10, v47
	v_lshlrev_b32_e32 v5, 2, v5
	ds_write_b32 v5, v32
	s_or_b64 exec, exec, s[12:13]
	s_and_saveexec_b64 s[10:11], s[8:9]
	s_cbranch_execz .LBB1910_224
.LBB1910_287:
	v_sub_u32_e32 v5, v9, v47
	v_lshlrev_b32_e32 v5, 2, v5
	ds_write_b32 v5, v29
	s_or_b64 exec, exec, s[10:11]
	s_and_saveexec_b64 s[8:9], s[4:5]
	s_cbranch_execnz .LBB1910_225
	s_branch .LBB1910_226
.LBB1910_288:
	v_sub_u32_e32 v26, v44, v24
	v_mov_b32_e32 v27, 0
	v_lshlrev_b64 v[26:27], 3, v[26:27]
	v_add_co_u32_e32 v26, vcc, v22, v26
	v_addc_co_u32_e32 v27, vcc, v23, v27, vcc
	global_store_dwordx2 v[26:27], v[75:76], off
	s_or_b64 exec, exec, s[42:43]
	s_and_saveexec_b64 s[42:43], s[30:31]
	s_cbranch_execz .LBB1910_230
.LBB1910_289:
	v_sub_u32_e32 v26, v20, v24
	v_mov_b32_e32 v27, 0
	v_lshlrev_b64 v[26:27], 3, v[26:27]
	v_add_co_u32_e32 v26, vcc, v22, v26
	v_addc_co_u32_e32 v27, vcc, v23, v27, vcc
	global_store_dwordx2 v[26:27], v[49:50], off
	s_or_b64 exec, exec, s[42:43]
	s_and_saveexec_b64 s[42:43], s[28:29]
	s_cbranch_execz .LBB1910_231
.LBB1910_290:
	v_sub_u32_e32 v26, v19, v24
	v_mov_b32_e32 v27, 0
	v_lshlrev_b64 v[26:27], 3, v[26:27]
	v_add_co_u32_e32 v26, vcc, v22, v26
	v_addc_co_u32_e32 v27, vcc, v23, v27, vcc
	global_store_dwordx2 v[26:27], v[51:52], off
	s_or_b64 exec, exec, s[42:43]
	s_and_saveexec_b64 s[42:43], s[26:27]
	s_cbranch_execz .LBB1910_232
.LBB1910_291:
	v_sub_u32_e32 v26, v18, v24
	v_mov_b32_e32 v27, 0
	v_lshlrev_b64 v[26:27], 3, v[26:27]
	v_add_co_u32_e32 v26, vcc, v22, v26
	v_addc_co_u32_e32 v27, vcc, v23, v27, vcc
	global_store_dwordx2 v[26:27], v[53:54], off
	s_or_b64 exec, exec, s[42:43]
	s_and_saveexec_b64 s[42:43], s[24:25]
	s_cbranch_execz .LBB1910_233
.LBB1910_292:
	v_sub_u32_e32 v26, v17, v24
	v_mov_b32_e32 v27, 0
	v_lshlrev_b64 v[26:27], 3, v[26:27]
	v_add_co_u32_e32 v26, vcc, v22, v26
	v_addc_co_u32_e32 v27, vcc, v23, v27, vcc
	global_store_dwordx2 v[26:27], v[55:56], off
	s_or_b64 exec, exec, s[42:43]
	s_and_saveexec_b64 s[42:43], s[22:23]
	s_cbranch_execz .LBB1910_234
.LBB1910_293:
	v_sub_u32_e32 v26, v16, v24
	v_mov_b32_e32 v27, 0
	v_lshlrev_b64 v[26:27], 3, v[26:27]
	v_add_co_u32_e32 v26, vcc, v22, v26
	v_addc_co_u32_e32 v27, vcc, v23, v27, vcc
	global_store_dwordx2 v[26:27], v[57:58], off
	s_or_b64 exec, exec, s[42:43]
	s_and_saveexec_b64 s[42:43], s[20:21]
	s_cbranch_execz .LBB1910_235
.LBB1910_294:
	v_sub_u32_e32 v26, v15, v24
	v_mov_b32_e32 v27, 0
	v_lshlrev_b64 v[26:27], 3, v[26:27]
	v_add_co_u32_e32 v26, vcc, v22, v26
	v_addc_co_u32_e32 v27, vcc, v23, v27, vcc
	global_store_dwordx2 v[26:27], v[59:60], off
	s_or_b64 exec, exec, s[42:43]
	s_and_saveexec_b64 s[42:43], s[18:19]
	s_cbranch_execz .LBB1910_236
.LBB1910_295:
	v_sub_u32_e32 v26, v14, v24
	v_mov_b32_e32 v27, 0
	v_lshlrev_b64 v[26:27], 3, v[26:27]
	v_add_co_u32_e32 v26, vcc, v22, v26
	v_addc_co_u32_e32 v27, vcc, v23, v27, vcc
	global_store_dwordx2 v[26:27], v[61:62], off
	s_or_b64 exec, exec, s[42:43]
	s_and_saveexec_b64 s[42:43], s[16:17]
	s_cbranch_execz .LBB1910_237
.LBB1910_296:
	v_sub_u32_e32 v26, v13, v24
	v_mov_b32_e32 v27, 0
	v_lshlrev_b64 v[26:27], 3, v[26:27]
	v_add_co_u32_e32 v26, vcc, v22, v26
	v_addc_co_u32_e32 v27, vcc, v23, v27, vcc
	global_store_dwordx2 v[26:27], v[63:64], off
	s_or_b64 exec, exec, s[42:43]
	s_and_saveexec_b64 s[42:43], s[14:15]
	s_cbranch_execz .LBB1910_238
.LBB1910_297:
	v_sub_u32_e32 v26, v12, v24
	v_mov_b32_e32 v27, 0
	v_lshlrev_b64 v[26:27], 3, v[26:27]
	v_add_co_u32_e32 v26, vcc, v22, v26
	v_addc_co_u32_e32 v27, vcc, v23, v27, vcc
	global_store_dwordx2 v[26:27], v[65:66], off
	s_or_b64 exec, exec, s[42:43]
	s_and_saveexec_b64 s[42:43], s[12:13]
	s_cbranch_execz .LBB1910_239
.LBB1910_298:
	v_sub_u32_e32 v26, v11, v24
	v_mov_b32_e32 v27, 0
	v_lshlrev_b64 v[26:27], 3, v[26:27]
	v_add_co_u32_e32 v26, vcc, v22, v26
	v_addc_co_u32_e32 v27, vcc, v23, v27, vcc
	global_store_dwordx2 v[26:27], v[67:68], off
	s_or_b64 exec, exec, s[42:43]
	s_and_saveexec_b64 s[42:43], s[8:9]
	s_cbranch_execz .LBB1910_240
.LBB1910_299:
	v_sub_u32_e32 v26, v10, v24
	v_mov_b32_e32 v27, 0
	v_lshlrev_b64 v[26:27], 3, v[26:27]
	v_add_co_u32_e32 v26, vcc, v22, v26
	v_addc_co_u32_e32 v27, vcc, v23, v27, vcc
	global_store_dwordx2 v[26:27], v[69:70], off
	s_or_b64 exec, exec, s[42:43]
	s_and_saveexec_b64 s[42:43], s[10:11]
	s_cbranch_execz .LBB1910_241
.LBB1910_300:
	v_sub_u32_e32 v26, v9, v24
	v_mov_b32_e32 v27, 0
	v_lshlrev_b64 v[26:27], 3, v[26:27]
	v_add_co_u32_e32 v26, vcc, v22, v26
	v_addc_co_u32_e32 v27, vcc, v23, v27, vcc
	global_store_dwordx2 v[26:27], v[71:72], off
	s_or_b64 exec, exec, s[42:43]
	s_and_saveexec_b64 s[42:43], s[6:7]
	s_cbranch_execnz .LBB1910_242
	s_branch .LBB1910_243
.LBB1910_301:
	v_sub_u32_e32 v25, v44, v24
	v_lshlrev_b32_e32 v25, 3, v25
	ds_write_b64 v25, v[75:76]
	s_or_b64 exec, exec, s[42:43]
	s_and_saveexec_b64 s[34:35], s[30:31]
	s_cbranch_execz .LBB1910_247
.LBB1910_302:
	v_sub_u32_e32 v20, v20, v24
	v_lshlrev_b32_e32 v20, 3, v20
	ds_write_b64 v20, v[49:50]
	s_or_b64 exec, exec, s[34:35]
	s_and_saveexec_b64 s[30:31], s[28:29]
	s_cbranch_execz .LBB1910_248
.LBB1910_303:
	v_sub_u32_e32 v19, v19, v24
	v_lshlrev_b32_e32 v19, 3, v19
	ds_write_b64 v19, v[51:52]
	s_or_b64 exec, exec, s[30:31]
	s_and_saveexec_b64 s[28:29], s[26:27]
	s_cbranch_execz .LBB1910_249
.LBB1910_304:
	v_sub_u32_e32 v18, v18, v24
	v_lshlrev_b32_e32 v18, 3, v18
	ds_write_b64 v18, v[53:54]
	s_or_b64 exec, exec, s[28:29]
	s_and_saveexec_b64 s[26:27], s[24:25]
	s_cbranch_execz .LBB1910_250
.LBB1910_305:
	v_sub_u32_e32 v17, v17, v24
	v_lshlrev_b32_e32 v17, 3, v17
	ds_write_b64 v17, v[55:56]
	s_or_b64 exec, exec, s[26:27]
	s_and_saveexec_b64 s[24:25], s[22:23]
	s_cbranch_execz .LBB1910_251
.LBB1910_306:
	v_sub_u32_e32 v16, v16, v24
	v_lshlrev_b32_e32 v16, 3, v16
	ds_write_b64 v16, v[57:58]
	s_or_b64 exec, exec, s[24:25]
	s_and_saveexec_b64 s[22:23], s[20:21]
	s_cbranch_execz .LBB1910_252
.LBB1910_307:
	v_sub_u32_e32 v15, v15, v24
	v_lshlrev_b32_e32 v15, 3, v15
	ds_write_b64 v15, v[59:60]
	s_or_b64 exec, exec, s[22:23]
	s_and_saveexec_b64 s[20:21], s[18:19]
	s_cbranch_execz .LBB1910_253
.LBB1910_308:
	v_sub_u32_e32 v14, v14, v24
	v_lshlrev_b32_e32 v14, 3, v14
	ds_write_b64 v14, v[61:62]
	s_or_b64 exec, exec, s[20:21]
	s_and_saveexec_b64 s[18:19], s[16:17]
	s_cbranch_execz .LBB1910_254
.LBB1910_309:
	v_sub_u32_e32 v13, v13, v24
	v_lshlrev_b32_e32 v13, 3, v13
	ds_write_b64 v13, v[63:64]
	s_or_b64 exec, exec, s[18:19]
	s_and_saveexec_b64 s[16:17], s[14:15]
	s_cbranch_execz .LBB1910_255
.LBB1910_310:
	v_sub_u32_e32 v12, v12, v24
	v_lshlrev_b32_e32 v12, 3, v12
	ds_write_b64 v12, v[65:66]
	s_or_b64 exec, exec, s[16:17]
	s_and_saveexec_b64 s[14:15], s[12:13]
	s_cbranch_execz .LBB1910_256
.LBB1910_311:
	v_sub_u32_e32 v11, v11, v24
	v_lshlrev_b32_e32 v11, 3, v11
	ds_write_b64 v11, v[67:68]
	s_or_b64 exec, exec, s[14:15]
	s_and_saveexec_b64 s[12:13], s[8:9]
	s_cbranch_execz .LBB1910_257
.LBB1910_312:
	v_sub_u32_e32 v10, v10, v24
	v_lshlrev_b32_e32 v10, 3, v10
	ds_write_b64 v10, v[69:70]
	s_or_b64 exec, exec, s[12:13]
	s_and_saveexec_b64 s[8:9], s[10:11]
	s_cbranch_execz .LBB1910_258
.LBB1910_313:
	v_sub_u32_e32 v9, v9, v24
	v_lshlrev_b32_e32 v9, 3, v9
	ds_write_b64 v9, v[71:72]
	s_or_b64 exec, exec, s[8:9]
	s_and_saveexec_b64 s[8:9], s[6:7]
	s_cbranch_execnz .LBB1910_259
	s_branch .LBB1910_260
	.section	.rodata,"a",@progbits
	.p2align	6, 0x0
	.amdhsa_kernel _ZN7rocprim17ROCPRIM_400000_NS6detail17trampoline_kernelINS0_14default_configENS1_29reduce_by_key_config_selectorIflN6thrust23THRUST_200600_302600_NS4plusIlEEEEZZNS1_33reduce_by_key_impl_wrapped_configILNS1_25lookback_scan_determinismE0ES3_S9_PfNS6_17constant_iteratorIiNS6_11use_defaultESE_EENS6_10device_ptrIfEENSG_IlEEPmS8_NS6_8equal_toIfEEEE10hipError_tPvRmT2_T3_mT4_T5_T6_T7_T8_P12ihipStream_tbENKUlT_T0_E_clISt17integral_constantIbLb0EES13_EEDaSY_SZ_EUlSY_E_NS1_11comp_targetILNS1_3genE2ELNS1_11target_archE906ELNS1_3gpuE6ELNS1_3repE0EEENS1_30default_config_static_selectorELNS0_4arch9wavefront6targetE1EEEvT1_
		.amdhsa_group_segment_fixed_size 30720
		.amdhsa_private_segment_fixed_size 64
		.amdhsa_kernarg_size 144
		.amdhsa_user_sgpr_count 6
		.amdhsa_user_sgpr_private_segment_buffer 1
		.amdhsa_user_sgpr_dispatch_ptr 0
		.amdhsa_user_sgpr_queue_ptr 0
		.amdhsa_user_sgpr_kernarg_segment_ptr 1
		.amdhsa_user_sgpr_dispatch_id 0
		.amdhsa_user_sgpr_flat_scratch_init 0
		.amdhsa_user_sgpr_private_segment_size 0
		.amdhsa_uses_dynamic_stack 0
		.amdhsa_system_sgpr_private_segment_wavefront_offset 1
		.amdhsa_system_sgpr_workgroup_id_x 1
		.amdhsa_system_sgpr_workgroup_id_y 0
		.amdhsa_system_sgpr_workgroup_id_z 0
		.amdhsa_system_sgpr_workgroup_info 0
		.amdhsa_system_vgpr_workitem_id 0
		.amdhsa_next_free_vgpr 102
		.amdhsa_next_free_sgpr 98
		.amdhsa_reserve_vcc 1
		.amdhsa_reserve_flat_scratch 0
		.amdhsa_float_round_mode_32 0
		.amdhsa_float_round_mode_16_64 0
		.amdhsa_float_denorm_mode_32 3
		.amdhsa_float_denorm_mode_16_64 3
		.amdhsa_dx10_clamp 1
		.amdhsa_ieee_mode 1
		.amdhsa_fp16_overflow 0
		.amdhsa_exception_fp_ieee_invalid_op 0
		.amdhsa_exception_fp_denorm_src 0
		.amdhsa_exception_fp_ieee_div_zero 0
		.amdhsa_exception_fp_ieee_overflow 0
		.amdhsa_exception_fp_ieee_underflow 0
		.amdhsa_exception_fp_ieee_inexact 0
		.amdhsa_exception_int_div_zero 0
	.end_amdhsa_kernel
	.section	.text._ZN7rocprim17ROCPRIM_400000_NS6detail17trampoline_kernelINS0_14default_configENS1_29reduce_by_key_config_selectorIflN6thrust23THRUST_200600_302600_NS4plusIlEEEEZZNS1_33reduce_by_key_impl_wrapped_configILNS1_25lookback_scan_determinismE0ES3_S9_PfNS6_17constant_iteratorIiNS6_11use_defaultESE_EENS6_10device_ptrIfEENSG_IlEEPmS8_NS6_8equal_toIfEEEE10hipError_tPvRmT2_T3_mT4_T5_T6_T7_T8_P12ihipStream_tbENKUlT_T0_E_clISt17integral_constantIbLb0EES13_EEDaSY_SZ_EUlSY_E_NS1_11comp_targetILNS1_3genE2ELNS1_11target_archE906ELNS1_3gpuE6ELNS1_3repE0EEENS1_30default_config_static_selectorELNS0_4arch9wavefront6targetE1EEEvT1_,"axG",@progbits,_ZN7rocprim17ROCPRIM_400000_NS6detail17trampoline_kernelINS0_14default_configENS1_29reduce_by_key_config_selectorIflN6thrust23THRUST_200600_302600_NS4plusIlEEEEZZNS1_33reduce_by_key_impl_wrapped_configILNS1_25lookback_scan_determinismE0ES3_S9_PfNS6_17constant_iteratorIiNS6_11use_defaultESE_EENS6_10device_ptrIfEENSG_IlEEPmS8_NS6_8equal_toIfEEEE10hipError_tPvRmT2_T3_mT4_T5_T6_T7_T8_P12ihipStream_tbENKUlT_T0_E_clISt17integral_constantIbLb0EES13_EEDaSY_SZ_EUlSY_E_NS1_11comp_targetILNS1_3genE2ELNS1_11target_archE906ELNS1_3gpuE6ELNS1_3repE0EEENS1_30default_config_static_selectorELNS0_4arch9wavefront6targetE1EEEvT1_,comdat
.Lfunc_end1910:
	.size	_ZN7rocprim17ROCPRIM_400000_NS6detail17trampoline_kernelINS0_14default_configENS1_29reduce_by_key_config_selectorIflN6thrust23THRUST_200600_302600_NS4plusIlEEEEZZNS1_33reduce_by_key_impl_wrapped_configILNS1_25lookback_scan_determinismE0ES3_S9_PfNS6_17constant_iteratorIiNS6_11use_defaultESE_EENS6_10device_ptrIfEENSG_IlEEPmS8_NS6_8equal_toIfEEEE10hipError_tPvRmT2_T3_mT4_T5_T6_T7_T8_P12ihipStream_tbENKUlT_T0_E_clISt17integral_constantIbLb0EES13_EEDaSY_SZ_EUlSY_E_NS1_11comp_targetILNS1_3genE2ELNS1_11target_archE906ELNS1_3gpuE6ELNS1_3repE0EEENS1_30default_config_static_selectorELNS0_4arch9wavefront6targetE1EEEvT1_, .Lfunc_end1910-_ZN7rocprim17ROCPRIM_400000_NS6detail17trampoline_kernelINS0_14default_configENS1_29reduce_by_key_config_selectorIflN6thrust23THRUST_200600_302600_NS4plusIlEEEEZZNS1_33reduce_by_key_impl_wrapped_configILNS1_25lookback_scan_determinismE0ES3_S9_PfNS6_17constant_iteratorIiNS6_11use_defaultESE_EENS6_10device_ptrIfEENSG_IlEEPmS8_NS6_8equal_toIfEEEE10hipError_tPvRmT2_T3_mT4_T5_T6_T7_T8_P12ihipStream_tbENKUlT_T0_E_clISt17integral_constantIbLb0EES13_EEDaSY_SZ_EUlSY_E_NS1_11comp_targetILNS1_3genE2ELNS1_11target_archE906ELNS1_3gpuE6ELNS1_3repE0EEENS1_30default_config_static_selectorELNS0_4arch9wavefront6targetE1EEEvT1_
                                        ; -- End function
	.set _ZN7rocprim17ROCPRIM_400000_NS6detail17trampoline_kernelINS0_14default_configENS1_29reduce_by_key_config_selectorIflN6thrust23THRUST_200600_302600_NS4plusIlEEEEZZNS1_33reduce_by_key_impl_wrapped_configILNS1_25lookback_scan_determinismE0ES3_S9_PfNS6_17constant_iteratorIiNS6_11use_defaultESE_EENS6_10device_ptrIfEENSG_IlEEPmS8_NS6_8equal_toIfEEEE10hipError_tPvRmT2_T3_mT4_T5_T6_T7_T8_P12ihipStream_tbENKUlT_T0_E_clISt17integral_constantIbLb0EES13_EEDaSY_SZ_EUlSY_E_NS1_11comp_targetILNS1_3genE2ELNS1_11target_archE906ELNS1_3gpuE6ELNS1_3repE0EEENS1_30default_config_static_selectorELNS0_4arch9wavefront6targetE1EEEvT1_.num_vgpr, 102
	.set _ZN7rocprim17ROCPRIM_400000_NS6detail17trampoline_kernelINS0_14default_configENS1_29reduce_by_key_config_selectorIflN6thrust23THRUST_200600_302600_NS4plusIlEEEEZZNS1_33reduce_by_key_impl_wrapped_configILNS1_25lookback_scan_determinismE0ES3_S9_PfNS6_17constant_iteratorIiNS6_11use_defaultESE_EENS6_10device_ptrIfEENSG_IlEEPmS8_NS6_8equal_toIfEEEE10hipError_tPvRmT2_T3_mT4_T5_T6_T7_T8_P12ihipStream_tbENKUlT_T0_E_clISt17integral_constantIbLb0EES13_EEDaSY_SZ_EUlSY_E_NS1_11comp_targetILNS1_3genE2ELNS1_11target_archE906ELNS1_3gpuE6ELNS1_3repE0EEENS1_30default_config_static_selectorELNS0_4arch9wavefront6targetE1EEEvT1_.num_agpr, 0
	.set _ZN7rocprim17ROCPRIM_400000_NS6detail17trampoline_kernelINS0_14default_configENS1_29reduce_by_key_config_selectorIflN6thrust23THRUST_200600_302600_NS4plusIlEEEEZZNS1_33reduce_by_key_impl_wrapped_configILNS1_25lookback_scan_determinismE0ES3_S9_PfNS6_17constant_iteratorIiNS6_11use_defaultESE_EENS6_10device_ptrIfEENSG_IlEEPmS8_NS6_8equal_toIfEEEE10hipError_tPvRmT2_T3_mT4_T5_T6_T7_T8_P12ihipStream_tbENKUlT_T0_E_clISt17integral_constantIbLb0EES13_EEDaSY_SZ_EUlSY_E_NS1_11comp_targetILNS1_3genE2ELNS1_11target_archE906ELNS1_3gpuE6ELNS1_3repE0EEENS1_30default_config_static_selectorELNS0_4arch9wavefront6targetE1EEEvT1_.numbered_sgpr, 66
	.set _ZN7rocprim17ROCPRIM_400000_NS6detail17trampoline_kernelINS0_14default_configENS1_29reduce_by_key_config_selectorIflN6thrust23THRUST_200600_302600_NS4plusIlEEEEZZNS1_33reduce_by_key_impl_wrapped_configILNS1_25lookback_scan_determinismE0ES3_S9_PfNS6_17constant_iteratorIiNS6_11use_defaultESE_EENS6_10device_ptrIfEENSG_IlEEPmS8_NS6_8equal_toIfEEEE10hipError_tPvRmT2_T3_mT4_T5_T6_T7_T8_P12ihipStream_tbENKUlT_T0_E_clISt17integral_constantIbLb0EES13_EEDaSY_SZ_EUlSY_E_NS1_11comp_targetILNS1_3genE2ELNS1_11target_archE906ELNS1_3gpuE6ELNS1_3repE0EEENS1_30default_config_static_selectorELNS0_4arch9wavefront6targetE1EEEvT1_.num_named_barrier, 0
	.set _ZN7rocprim17ROCPRIM_400000_NS6detail17trampoline_kernelINS0_14default_configENS1_29reduce_by_key_config_selectorIflN6thrust23THRUST_200600_302600_NS4plusIlEEEEZZNS1_33reduce_by_key_impl_wrapped_configILNS1_25lookback_scan_determinismE0ES3_S9_PfNS6_17constant_iteratorIiNS6_11use_defaultESE_EENS6_10device_ptrIfEENSG_IlEEPmS8_NS6_8equal_toIfEEEE10hipError_tPvRmT2_T3_mT4_T5_T6_T7_T8_P12ihipStream_tbENKUlT_T0_E_clISt17integral_constantIbLb0EES13_EEDaSY_SZ_EUlSY_E_NS1_11comp_targetILNS1_3genE2ELNS1_11target_archE906ELNS1_3gpuE6ELNS1_3repE0EEENS1_30default_config_static_selectorELNS0_4arch9wavefront6targetE1EEEvT1_.private_seg_size, 64
	.set _ZN7rocprim17ROCPRIM_400000_NS6detail17trampoline_kernelINS0_14default_configENS1_29reduce_by_key_config_selectorIflN6thrust23THRUST_200600_302600_NS4plusIlEEEEZZNS1_33reduce_by_key_impl_wrapped_configILNS1_25lookback_scan_determinismE0ES3_S9_PfNS6_17constant_iteratorIiNS6_11use_defaultESE_EENS6_10device_ptrIfEENSG_IlEEPmS8_NS6_8equal_toIfEEEE10hipError_tPvRmT2_T3_mT4_T5_T6_T7_T8_P12ihipStream_tbENKUlT_T0_E_clISt17integral_constantIbLb0EES13_EEDaSY_SZ_EUlSY_E_NS1_11comp_targetILNS1_3genE2ELNS1_11target_archE906ELNS1_3gpuE6ELNS1_3repE0EEENS1_30default_config_static_selectorELNS0_4arch9wavefront6targetE1EEEvT1_.uses_vcc, 1
	.set _ZN7rocprim17ROCPRIM_400000_NS6detail17trampoline_kernelINS0_14default_configENS1_29reduce_by_key_config_selectorIflN6thrust23THRUST_200600_302600_NS4plusIlEEEEZZNS1_33reduce_by_key_impl_wrapped_configILNS1_25lookback_scan_determinismE0ES3_S9_PfNS6_17constant_iteratorIiNS6_11use_defaultESE_EENS6_10device_ptrIfEENSG_IlEEPmS8_NS6_8equal_toIfEEEE10hipError_tPvRmT2_T3_mT4_T5_T6_T7_T8_P12ihipStream_tbENKUlT_T0_E_clISt17integral_constantIbLb0EES13_EEDaSY_SZ_EUlSY_E_NS1_11comp_targetILNS1_3genE2ELNS1_11target_archE906ELNS1_3gpuE6ELNS1_3repE0EEENS1_30default_config_static_selectorELNS0_4arch9wavefront6targetE1EEEvT1_.uses_flat_scratch, 0
	.set _ZN7rocprim17ROCPRIM_400000_NS6detail17trampoline_kernelINS0_14default_configENS1_29reduce_by_key_config_selectorIflN6thrust23THRUST_200600_302600_NS4plusIlEEEEZZNS1_33reduce_by_key_impl_wrapped_configILNS1_25lookback_scan_determinismE0ES3_S9_PfNS6_17constant_iteratorIiNS6_11use_defaultESE_EENS6_10device_ptrIfEENSG_IlEEPmS8_NS6_8equal_toIfEEEE10hipError_tPvRmT2_T3_mT4_T5_T6_T7_T8_P12ihipStream_tbENKUlT_T0_E_clISt17integral_constantIbLb0EES13_EEDaSY_SZ_EUlSY_E_NS1_11comp_targetILNS1_3genE2ELNS1_11target_archE906ELNS1_3gpuE6ELNS1_3repE0EEENS1_30default_config_static_selectorELNS0_4arch9wavefront6targetE1EEEvT1_.has_dyn_sized_stack, 0
	.set _ZN7rocprim17ROCPRIM_400000_NS6detail17trampoline_kernelINS0_14default_configENS1_29reduce_by_key_config_selectorIflN6thrust23THRUST_200600_302600_NS4plusIlEEEEZZNS1_33reduce_by_key_impl_wrapped_configILNS1_25lookback_scan_determinismE0ES3_S9_PfNS6_17constant_iteratorIiNS6_11use_defaultESE_EENS6_10device_ptrIfEENSG_IlEEPmS8_NS6_8equal_toIfEEEE10hipError_tPvRmT2_T3_mT4_T5_T6_T7_T8_P12ihipStream_tbENKUlT_T0_E_clISt17integral_constantIbLb0EES13_EEDaSY_SZ_EUlSY_E_NS1_11comp_targetILNS1_3genE2ELNS1_11target_archE906ELNS1_3gpuE6ELNS1_3repE0EEENS1_30default_config_static_selectorELNS0_4arch9wavefront6targetE1EEEvT1_.has_recursion, 0
	.set _ZN7rocprim17ROCPRIM_400000_NS6detail17trampoline_kernelINS0_14default_configENS1_29reduce_by_key_config_selectorIflN6thrust23THRUST_200600_302600_NS4plusIlEEEEZZNS1_33reduce_by_key_impl_wrapped_configILNS1_25lookback_scan_determinismE0ES3_S9_PfNS6_17constant_iteratorIiNS6_11use_defaultESE_EENS6_10device_ptrIfEENSG_IlEEPmS8_NS6_8equal_toIfEEEE10hipError_tPvRmT2_T3_mT4_T5_T6_T7_T8_P12ihipStream_tbENKUlT_T0_E_clISt17integral_constantIbLb0EES13_EEDaSY_SZ_EUlSY_E_NS1_11comp_targetILNS1_3genE2ELNS1_11target_archE906ELNS1_3gpuE6ELNS1_3repE0EEENS1_30default_config_static_selectorELNS0_4arch9wavefront6targetE1EEEvT1_.has_indirect_call, 0
	.section	.AMDGPU.csdata,"",@progbits
; Kernel info:
; codeLenInByte = 16108
; TotalNumSgprs: 70
; NumVgprs: 102
; ScratchSize: 64
; MemoryBound: 0
; FloatMode: 240
; IeeeMode: 1
; LDSByteSize: 30720 bytes/workgroup (compile time only)
; SGPRBlocks: 12
; VGPRBlocks: 25
; NumSGPRsForWavesPerEU: 102
; NumVGPRsForWavesPerEU: 102
; Occupancy: 2
; WaveLimiterHint : 1
; COMPUTE_PGM_RSRC2:SCRATCH_EN: 1
; COMPUTE_PGM_RSRC2:USER_SGPR: 6
; COMPUTE_PGM_RSRC2:TRAP_HANDLER: 0
; COMPUTE_PGM_RSRC2:TGID_X_EN: 1
; COMPUTE_PGM_RSRC2:TGID_Y_EN: 0
; COMPUTE_PGM_RSRC2:TGID_Z_EN: 0
; COMPUTE_PGM_RSRC2:TIDIG_COMP_CNT: 0
	.section	.text._ZN7rocprim17ROCPRIM_400000_NS6detail17trampoline_kernelINS0_14default_configENS1_29reduce_by_key_config_selectorIflN6thrust23THRUST_200600_302600_NS4plusIlEEEEZZNS1_33reduce_by_key_impl_wrapped_configILNS1_25lookback_scan_determinismE0ES3_S9_PfNS6_17constant_iteratorIiNS6_11use_defaultESE_EENS6_10device_ptrIfEENSG_IlEEPmS8_NS6_8equal_toIfEEEE10hipError_tPvRmT2_T3_mT4_T5_T6_T7_T8_P12ihipStream_tbENKUlT_T0_E_clISt17integral_constantIbLb0EES13_EEDaSY_SZ_EUlSY_E_NS1_11comp_targetILNS1_3genE10ELNS1_11target_archE1201ELNS1_3gpuE5ELNS1_3repE0EEENS1_30default_config_static_selectorELNS0_4arch9wavefront6targetE1EEEvT1_,"axG",@progbits,_ZN7rocprim17ROCPRIM_400000_NS6detail17trampoline_kernelINS0_14default_configENS1_29reduce_by_key_config_selectorIflN6thrust23THRUST_200600_302600_NS4plusIlEEEEZZNS1_33reduce_by_key_impl_wrapped_configILNS1_25lookback_scan_determinismE0ES3_S9_PfNS6_17constant_iteratorIiNS6_11use_defaultESE_EENS6_10device_ptrIfEENSG_IlEEPmS8_NS6_8equal_toIfEEEE10hipError_tPvRmT2_T3_mT4_T5_T6_T7_T8_P12ihipStream_tbENKUlT_T0_E_clISt17integral_constantIbLb0EES13_EEDaSY_SZ_EUlSY_E_NS1_11comp_targetILNS1_3genE10ELNS1_11target_archE1201ELNS1_3gpuE5ELNS1_3repE0EEENS1_30default_config_static_selectorELNS0_4arch9wavefront6targetE1EEEvT1_,comdat
	.protected	_ZN7rocprim17ROCPRIM_400000_NS6detail17trampoline_kernelINS0_14default_configENS1_29reduce_by_key_config_selectorIflN6thrust23THRUST_200600_302600_NS4plusIlEEEEZZNS1_33reduce_by_key_impl_wrapped_configILNS1_25lookback_scan_determinismE0ES3_S9_PfNS6_17constant_iteratorIiNS6_11use_defaultESE_EENS6_10device_ptrIfEENSG_IlEEPmS8_NS6_8equal_toIfEEEE10hipError_tPvRmT2_T3_mT4_T5_T6_T7_T8_P12ihipStream_tbENKUlT_T0_E_clISt17integral_constantIbLb0EES13_EEDaSY_SZ_EUlSY_E_NS1_11comp_targetILNS1_3genE10ELNS1_11target_archE1201ELNS1_3gpuE5ELNS1_3repE0EEENS1_30default_config_static_selectorELNS0_4arch9wavefront6targetE1EEEvT1_ ; -- Begin function _ZN7rocprim17ROCPRIM_400000_NS6detail17trampoline_kernelINS0_14default_configENS1_29reduce_by_key_config_selectorIflN6thrust23THRUST_200600_302600_NS4plusIlEEEEZZNS1_33reduce_by_key_impl_wrapped_configILNS1_25lookback_scan_determinismE0ES3_S9_PfNS6_17constant_iteratorIiNS6_11use_defaultESE_EENS6_10device_ptrIfEENSG_IlEEPmS8_NS6_8equal_toIfEEEE10hipError_tPvRmT2_T3_mT4_T5_T6_T7_T8_P12ihipStream_tbENKUlT_T0_E_clISt17integral_constantIbLb0EES13_EEDaSY_SZ_EUlSY_E_NS1_11comp_targetILNS1_3genE10ELNS1_11target_archE1201ELNS1_3gpuE5ELNS1_3repE0EEENS1_30default_config_static_selectorELNS0_4arch9wavefront6targetE1EEEvT1_
	.globl	_ZN7rocprim17ROCPRIM_400000_NS6detail17trampoline_kernelINS0_14default_configENS1_29reduce_by_key_config_selectorIflN6thrust23THRUST_200600_302600_NS4plusIlEEEEZZNS1_33reduce_by_key_impl_wrapped_configILNS1_25lookback_scan_determinismE0ES3_S9_PfNS6_17constant_iteratorIiNS6_11use_defaultESE_EENS6_10device_ptrIfEENSG_IlEEPmS8_NS6_8equal_toIfEEEE10hipError_tPvRmT2_T3_mT4_T5_T6_T7_T8_P12ihipStream_tbENKUlT_T0_E_clISt17integral_constantIbLb0EES13_EEDaSY_SZ_EUlSY_E_NS1_11comp_targetILNS1_3genE10ELNS1_11target_archE1201ELNS1_3gpuE5ELNS1_3repE0EEENS1_30default_config_static_selectorELNS0_4arch9wavefront6targetE1EEEvT1_
	.p2align	8
	.type	_ZN7rocprim17ROCPRIM_400000_NS6detail17trampoline_kernelINS0_14default_configENS1_29reduce_by_key_config_selectorIflN6thrust23THRUST_200600_302600_NS4plusIlEEEEZZNS1_33reduce_by_key_impl_wrapped_configILNS1_25lookback_scan_determinismE0ES3_S9_PfNS6_17constant_iteratorIiNS6_11use_defaultESE_EENS6_10device_ptrIfEENSG_IlEEPmS8_NS6_8equal_toIfEEEE10hipError_tPvRmT2_T3_mT4_T5_T6_T7_T8_P12ihipStream_tbENKUlT_T0_E_clISt17integral_constantIbLb0EES13_EEDaSY_SZ_EUlSY_E_NS1_11comp_targetILNS1_3genE10ELNS1_11target_archE1201ELNS1_3gpuE5ELNS1_3repE0EEENS1_30default_config_static_selectorELNS0_4arch9wavefront6targetE1EEEvT1_,@function
_ZN7rocprim17ROCPRIM_400000_NS6detail17trampoline_kernelINS0_14default_configENS1_29reduce_by_key_config_selectorIflN6thrust23THRUST_200600_302600_NS4plusIlEEEEZZNS1_33reduce_by_key_impl_wrapped_configILNS1_25lookback_scan_determinismE0ES3_S9_PfNS6_17constant_iteratorIiNS6_11use_defaultESE_EENS6_10device_ptrIfEENSG_IlEEPmS8_NS6_8equal_toIfEEEE10hipError_tPvRmT2_T3_mT4_T5_T6_T7_T8_P12ihipStream_tbENKUlT_T0_E_clISt17integral_constantIbLb0EES13_EEDaSY_SZ_EUlSY_E_NS1_11comp_targetILNS1_3genE10ELNS1_11target_archE1201ELNS1_3gpuE5ELNS1_3repE0EEENS1_30default_config_static_selectorELNS0_4arch9wavefront6targetE1EEEvT1_: ; @_ZN7rocprim17ROCPRIM_400000_NS6detail17trampoline_kernelINS0_14default_configENS1_29reduce_by_key_config_selectorIflN6thrust23THRUST_200600_302600_NS4plusIlEEEEZZNS1_33reduce_by_key_impl_wrapped_configILNS1_25lookback_scan_determinismE0ES3_S9_PfNS6_17constant_iteratorIiNS6_11use_defaultESE_EENS6_10device_ptrIfEENSG_IlEEPmS8_NS6_8equal_toIfEEEE10hipError_tPvRmT2_T3_mT4_T5_T6_T7_T8_P12ihipStream_tbENKUlT_T0_E_clISt17integral_constantIbLb0EES13_EEDaSY_SZ_EUlSY_E_NS1_11comp_targetILNS1_3genE10ELNS1_11target_archE1201ELNS1_3gpuE5ELNS1_3repE0EEENS1_30default_config_static_selectorELNS0_4arch9wavefront6targetE1EEEvT1_
; %bb.0:
	.section	.rodata,"a",@progbits
	.p2align	6, 0x0
	.amdhsa_kernel _ZN7rocprim17ROCPRIM_400000_NS6detail17trampoline_kernelINS0_14default_configENS1_29reduce_by_key_config_selectorIflN6thrust23THRUST_200600_302600_NS4plusIlEEEEZZNS1_33reduce_by_key_impl_wrapped_configILNS1_25lookback_scan_determinismE0ES3_S9_PfNS6_17constant_iteratorIiNS6_11use_defaultESE_EENS6_10device_ptrIfEENSG_IlEEPmS8_NS6_8equal_toIfEEEE10hipError_tPvRmT2_T3_mT4_T5_T6_T7_T8_P12ihipStream_tbENKUlT_T0_E_clISt17integral_constantIbLb0EES13_EEDaSY_SZ_EUlSY_E_NS1_11comp_targetILNS1_3genE10ELNS1_11target_archE1201ELNS1_3gpuE5ELNS1_3repE0EEENS1_30default_config_static_selectorELNS0_4arch9wavefront6targetE1EEEvT1_
		.amdhsa_group_segment_fixed_size 0
		.amdhsa_private_segment_fixed_size 0
		.amdhsa_kernarg_size 144
		.amdhsa_user_sgpr_count 6
		.amdhsa_user_sgpr_private_segment_buffer 1
		.amdhsa_user_sgpr_dispatch_ptr 0
		.amdhsa_user_sgpr_queue_ptr 0
		.amdhsa_user_sgpr_kernarg_segment_ptr 1
		.amdhsa_user_sgpr_dispatch_id 0
		.amdhsa_user_sgpr_flat_scratch_init 0
		.amdhsa_user_sgpr_private_segment_size 0
		.amdhsa_uses_dynamic_stack 0
		.amdhsa_system_sgpr_private_segment_wavefront_offset 0
		.amdhsa_system_sgpr_workgroup_id_x 1
		.amdhsa_system_sgpr_workgroup_id_y 0
		.amdhsa_system_sgpr_workgroup_id_z 0
		.amdhsa_system_sgpr_workgroup_info 0
		.amdhsa_system_vgpr_workitem_id 0
		.amdhsa_next_free_vgpr 1
		.amdhsa_next_free_sgpr 0
		.amdhsa_reserve_vcc 0
		.amdhsa_reserve_flat_scratch 0
		.amdhsa_float_round_mode_32 0
		.amdhsa_float_round_mode_16_64 0
		.amdhsa_float_denorm_mode_32 3
		.amdhsa_float_denorm_mode_16_64 3
		.amdhsa_dx10_clamp 1
		.amdhsa_ieee_mode 1
		.amdhsa_fp16_overflow 0
		.amdhsa_exception_fp_ieee_invalid_op 0
		.amdhsa_exception_fp_denorm_src 0
		.amdhsa_exception_fp_ieee_div_zero 0
		.amdhsa_exception_fp_ieee_overflow 0
		.amdhsa_exception_fp_ieee_underflow 0
		.amdhsa_exception_fp_ieee_inexact 0
		.amdhsa_exception_int_div_zero 0
	.end_amdhsa_kernel
	.section	.text._ZN7rocprim17ROCPRIM_400000_NS6detail17trampoline_kernelINS0_14default_configENS1_29reduce_by_key_config_selectorIflN6thrust23THRUST_200600_302600_NS4plusIlEEEEZZNS1_33reduce_by_key_impl_wrapped_configILNS1_25lookback_scan_determinismE0ES3_S9_PfNS6_17constant_iteratorIiNS6_11use_defaultESE_EENS6_10device_ptrIfEENSG_IlEEPmS8_NS6_8equal_toIfEEEE10hipError_tPvRmT2_T3_mT4_T5_T6_T7_T8_P12ihipStream_tbENKUlT_T0_E_clISt17integral_constantIbLb0EES13_EEDaSY_SZ_EUlSY_E_NS1_11comp_targetILNS1_3genE10ELNS1_11target_archE1201ELNS1_3gpuE5ELNS1_3repE0EEENS1_30default_config_static_selectorELNS0_4arch9wavefront6targetE1EEEvT1_,"axG",@progbits,_ZN7rocprim17ROCPRIM_400000_NS6detail17trampoline_kernelINS0_14default_configENS1_29reduce_by_key_config_selectorIflN6thrust23THRUST_200600_302600_NS4plusIlEEEEZZNS1_33reduce_by_key_impl_wrapped_configILNS1_25lookback_scan_determinismE0ES3_S9_PfNS6_17constant_iteratorIiNS6_11use_defaultESE_EENS6_10device_ptrIfEENSG_IlEEPmS8_NS6_8equal_toIfEEEE10hipError_tPvRmT2_T3_mT4_T5_T6_T7_T8_P12ihipStream_tbENKUlT_T0_E_clISt17integral_constantIbLb0EES13_EEDaSY_SZ_EUlSY_E_NS1_11comp_targetILNS1_3genE10ELNS1_11target_archE1201ELNS1_3gpuE5ELNS1_3repE0EEENS1_30default_config_static_selectorELNS0_4arch9wavefront6targetE1EEEvT1_,comdat
.Lfunc_end1911:
	.size	_ZN7rocprim17ROCPRIM_400000_NS6detail17trampoline_kernelINS0_14default_configENS1_29reduce_by_key_config_selectorIflN6thrust23THRUST_200600_302600_NS4plusIlEEEEZZNS1_33reduce_by_key_impl_wrapped_configILNS1_25lookback_scan_determinismE0ES3_S9_PfNS6_17constant_iteratorIiNS6_11use_defaultESE_EENS6_10device_ptrIfEENSG_IlEEPmS8_NS6_8equal_toIfEEEE10hipError_tPvRmT2_T3_mT4_T5_T6_T7_T8_P12ihipStream_tbENKUlT_T0_E_clISt17integral_constantIbLb0EES13_EEDaSY_SZ_EUlSY_E_NS1_11comp_targetILNS1_3genE10ELNS1_11target_archE1201ELNS1_3gpuE5ELNS1_3repE0EEENS1_30default_config_static_selectorELNS0_4arch9wavefront6targetE1EEEvT1_, .Lfunc_end1911-_ZN7rocprim17ROCPRIM_400000_NS6detail17trampoline_kernelINS0_14default_configENS1_29reduce_by_key_config_selectorIflN6thrust23THRUST_200600_302600_NS4plusIlEEEEZZNS1_33reduce_by_key_impl_wrapped_configILNS1_25lookback_scan_determinismE0ES3_S9_PfNS6_17constant_iteratorIiNS6_11use_defaultESE_EENS6_10device_ptrIfEENSG_IlEEPmS8_NS6_8equal_toIfEEEE10hipError_tPvRmT2_T3_mT4_T5_T6_T7_T8_P12ihipStream_tbENKUlT_T0_E_clISt17integral_constantIbLb0EES13_EEDaSY_SZ_EUlSY_E_NS1_11comp_targetILNS1_3genE10ELNS1_11target_archE1201ELNS1_3gpuE5ELNS1_3repE0EEENS1_30default_config_static_selectorELNS0_4arch9wavefront6targetE1EEEvT1_
                                        ; -- End function
	.set _ZN7rocprim17ROCPRIM_400000_NS6detail17trampoline_kernelINS0_14default_configENS1_29reduce_by_key_config_selectorIflN6thrust23THRUST_200600_302600_NS4plusIlEEEEZZNS1_33reduce_by_key_impl_wrapped_configILNS1_25lookback_scan_determinismE0ES3_S9_PfNS6_17constant_iteratorIiNS6_11use_defaultESE_EENS6_10device_ptrIfEENSG_IlEEPmS8_NS6_8equal_toIfEEEE10hipError_tPvRmT2_T3_mT4_T5_T6_T7_T8_P12ihipStream_tbENKUlT_T0_E_clISt17integral_constantIbLb0EES13_EEDaSY_SZ_EUlSY_E_NS1_11comp_targetILNS1_3genE10ELNS1_11target_archE1201ELNS1_3gpuE5ELNS1_3repE0EEENS1_30default_config_static_selectorELNS0_4arch9wavefront6targetE1EEEvT1_.num_vgpr, 0
	.set _ZN7rocprim17ROCPRIM_400000_NS6detail17trampoline_kernelINS0_14default_configENS1_29reduce_by_key_config_selectorIflN6thrust23THRUST_200600_302600_NS4plusIlEEEEZZNS1_33reduce_by_key_impl_wrapped_configILNS1_25lookback_scan_determinismE0ES3_S9_PfNS6_17constant_iteratorIiNS6_11use_defaultESE_EENS6_10device_ptrIfEENSG_IlEEPmS8_NS6_8equal_toIfEEEE10hipError_tPvRmT2_T3_mT4_T5_T6_T7_T8_P12ihipStream_tbENKUlT_T0_E_clISt17integral_constantIbLb0EES13_EEDaSY_SZ_EUlSY_E_NS1_11comp_targetILNS1_3genE10ELNS1_11target_archE1201ELNS1_3gpuE5ELNS1_3repE0EEENS1_30default_config_static_selectorELNS0_4arch9wavefront6targetE1EEEvT1_.num_agpr, 0
	.set _ZN7rocprim17ROCPRIM_400000_NS6detail17trampoline_kernelINS0_14default_configENS1_29reduce_by_key_config_selectorIflN6thrust23THRUST_200600_302600_NS4plusIlEEEEZZNS1_33reduce_by_key_impl_wrapped_configILNS1_25lookback_scan_determinismE0ES3_S9_PfNS6_17constant_iteratorIiNS6_11use_defaultESE_EENS6_10device_ptrIfEENSG_IlEEPmS8_NS6_8equal_toIfEEEE10hipError_tPvRmT2_T3_mT4_T5_T6_T7_T8_P12ihipStream_tbENKUlT_T0_E_clISt17integral_constantIbLb0EES13_EEDaSY_SZ_EUlSY_E_NS1_11comp_targetILNS1_3genE10ELNS1_11target_archE1201ELNS1_3gpuE5ELNS1_3repE0EEENS1_30default_config_static_selectorELNS0_4arch9wavefront6targetE1EEEvT1_.numbered_sgpr, 0
	.set _ZN7rocprim17ROCPRIM_400000_NS6detail17trampoline_kernelINS0_14default_configENS1_29reduce_by_key_config_selectorIflN6thrust23THRUST_200600_302600_NS4plusIlEEEEZZNS1_33reduce_by_key_impl_wrapped_configILNS1_25lookback_scan_determinismE0ES3_S9_PfNS6_17constant_iteratorIiNS6_11use_defaultESE_EENS6_10device_ptrIfEENSG_IlEEPmS8_NS6_8equal_toIfEEEE10hipError_tPvRmT2_T3_mT4_T5_T6_T7_T8_P12ihipStream_tbENKUlT_T0_E_clISt17integral_constantIbLb0EES13_EEDaSY_SZ_EUlSY_E_NS1_11comp_targetILNS1_3genE10ELNS1_11target_archE1201ELNS1_3gpuE5ELNS1_3repE0EEENS1_30default_config_static_selectorELNS0_4arch9wavefront6targetE1EEEvT1_.num_named_barrier, 0
	.set _ZN7rocprim17ROCPRIM_400000_NS6detail17trampoline_kernelINS0_14default_configENS1_29reduce_by_key_config_selectorIflN6thrust23THRUST_200600_302600_NS4plusIlEEEEZZNS1_33reduce_by_key_impl_wrapped_configILNS1_25lookback_scan_determinismE0ES3_S9_PfNS6_17constant_iteratorIiNS6_11use_defaultESE_EENS6_10device_ptrIfEENSG_IlEEPmS8_NS6_8equal_toIfEEEE10hipError_tPvRmT2_T3_mT4_T5_T6_T7_T8_P12ihipStream_tbENKUlT_T0_E_clISt17integral_constantIbLb0EES13_EEDaSY_SZ_EUlSY_E_NS1_11comp_targetILNS1_3genE10ELNS1_11target_archE1201ELNS1_3gpuE5ELNS1_3repE0EEENS1_30default_config_static_selectorELNS0_4arch9wavefront6targetE1EEEvT1_.private_seg_size, 0
	.set _ZN7rocprim17ROCPRIM_400000_NS6detail17trampoline_kernelINS0_14default_configENS1_29reduce_by_key_config_selectorIflN6thrust23THRUST_200600_302600_NS4plusIlEEEEZZNS1_33reduce_by_key_impl_wrapped_configILNS1_25lookback_scan_determinismE0ES3_S9_PfNS6_17constant_iteratorIiNS6_11use_defaultESE_EENS6_10device_ptrIfEENSG_IlEEPmS8_NS6_8equal_toIfEEEE10hipError_tPvRmT2_T3_mT4_T5_T6_T7_T8_P12ihipStream_tbENKUlT_T0_E_clISt17integral_constantIbLb0EES13_EEDaSY_SZ_EUlSY_E_NS1_11comp_targetILNS1_3genE10ELNS1_11target_archE1201ELNS1_3gpuE5ELNS1_3repE0EEENS1_30default_config_static_selectorELNS0_4arch9wavefront6targetE1EEEvT1_.uses_vcc, 0
	.set _ZN7rocprim17ROCPRIM_400000_NS6detail17trampoline_kernelINS0_14default_configENS1_29reduce_by_key_config_selectorIflN6thrust23THRUST_200600_302600_NS4plusIlEEEEZZNS1_33reduce_by_key_impl_wrapped_configILNS1_25lookback_scan_determinismE0ES3_S9_PfNS6_17constant_iteratorIiNS6_11use_defaultESE_EENS6_10device_ptrIfEENSG_IlEEPmS8_NS6_8equal_toIfEEEE10hipError_tPvRmT2_T3_mT4_T5_T6_T7_T8_P12ihipStream_tbENKUlT_T0_E_clISt17integral_constantIbLb0EES13_EEDaSY_SZ_EUlSY_E_NS1_11comp_targetILNS1_3genE10ELNS1_11target_archE1201ELNS1_3gpuE5ELNS1_3repE0EEENS1_30default_config_static_selectorELNS0_4arch9wavefront6targetE1EEEvT1_.uses_flat_scratch, 0
	.set _ZN7rocprim17ROCPRIM_400000_NS6detail17trampoline_kernelINS0_14default_configENS1_29reduce_by_key_config_selectorIflN6thrust23THRUST_200600_302600_NS4plusIlEEEEZZNS1_33reduce_by_key_impl_wrapped_configILNS1_25lookback_scan_determinismE0ES3_S9_PfNS6_17constant_iteratorIiNS6_11use_defaultESE_EENS6_10device_ptrIfEENSG_IlEEPmS8_NS6_8equal_toIfEEEE10hipError_tPvRmT2_T3_mT4_T5_T6_T7_T8_P12ihipStream_tbENKUlT_T0_E_clISt17integral_constantIbLb0EES13_EEDaSY_SZ_EUlSY_E_NS1_11comp_targetILNS1_3genE10ELNS1_11target_archE1201ELNS1_3gpuE5ELNS1_3repE0EEENS1_30default_config_static_selectorELNS0_4arch9wavefront6targetE1EEEvT1_.has_dyn_sized_stack, 0
	.set _ZN7rocprim17ROCPRIM_400000_NS6detail17trampoline_kernelINS0_14default_configENS1_29reduce_by_key_config_selectorIflN6thrust23THRUST_200600_302600_NS4plusIlEEEEZZNS1_33reduce_by_key_impl_wrapped_configILNS1_25lookback_scan_determinismE0ES3_S9_PfNS6_17constant_iteratorIiNS6_11use_defaultESE_EENS6_10device_ptrIfEENSG_IlEEPmS8_NS6_8equal_toIfEEEE10hipError_tPvRmT2_T3_mT4_T5_T6_T7_T8_P12ihipStream_tbENKUlT_T0_E_clISt17integral_constantIbLb0EES13_EEDaSY_SZ_EUlSY_E_NS1_11comp_targetILNS1_3genE10ELNS1_11target_archE1201ELNS1_3gpuE5ELNS1_3repE0EEENS1_30default_config_static_selectorELNS0_4arch9wavefront6targetE1EEEvT1_.has_recursion, 0
	.set _ZN7rocprim17ROCPRIM_400000_NS6detail17trampoline_kernelINS0_14default_configENS1_29reduce_by_key_config_selectorIflN6thrust23THRUST_200600_302600_NS4plusIlEEEEZZNS1_33reduce_by_key_impl_wrapped_configILNS1_25lookback_scan_determinismE0ES3_S9_PfNS6_17constant_iteratorIiNS6_11use_defaultESE_EENS6_10device_ptrIfEENSG_IlEEPmS8_NS6_8equal_toIfEEEE10hipError_tPvRmT2_T3_mT4_T5_T6_T7_T8_P12ihipStream_tbENKUlT_T0_E_clISt17integral_constantIbLb0EES13_EEDaSY_SZ_EUlSY_E_NS1_11comp_targetILNS1_3genE10ELNS1_11target_archE1201ELNS1_3gpuE5ELNS1_3repE0EEENS1_30default_config_static_selectorELNS0_4arch9wavefront6targetE1EEEvT1_.has_indirect_call, 0
	.section	.AMDGPU.csdata,"",@progbits
; Kernel info:
; codeLenInByte = 0
; TotalNumSgprs: 4
; NumVgprs: 0
; ScratchSize: 0
; MemoryBound: 0
; FloatMode: 240
; IeeeMode: 1
; LDSByteSize: 0 bytes/workgroup (compile time only)
; SGPRBlocks: 0
; VGPRBlocks: 0
; NumSGPRsForWavesPerEU: 4
; NumVGPRsForWavesPerEU: 1
; Occupancy: 10
; WaveLimiterHint : 0
; COMPUTE_PGM_RSRC2:SCRATCH_EN: 0
; COMPUTE_PGM_RSRC2:USER_SGPR: 6
; COMPUTE_PGM_RSRC2:TRAP_HANDLER: 0
; COMPUTE_PGM_RSRC2:TGID_X_EN: 1
; COMPUTE_PGM_RSRC2:TGID_Y_EN: 0
; COMPUTE_PGM_RSRC2:TGID_Z_EN: 0
; COMPUTE_PGM_RSRC2:TIDIG_COMP_CNT: 0
	.section	.text._ZN7rocprim17ROCPRIM_400000_NS6detail17trampoline_kernelINS0_14default_configENS1_29reduce_by_key_config_selectorIflN6thrust23THRUST_200600_302600_NS4plusIlEEEEZZNS1_33reduce_by_key_impl_wrapped_configILNS1_25lookback_scan_determinismE0ES3_S9_PfNS6_17constant_iteratorIiNS6_11use_defaultESE_EENS6_10device_ptrIfEENSG_IlEEPmS8_NS6_8equal_toIfEEEE10hipError_tPvRmT2_T3_mT4_T5_T6_T7_T8_P12ihipStream_tbENKUlT_T0_E_clISt17integral_constantIbLb0EES13_EEDaSY_SZ_EUlSY_E_NS1_11comp_targetILNS1_3genE10ELNS1_11target_archE1200ELNS1_3gpuE4ELNS1_3repE0EEENS1_30default_config_static_selectorELNS0_4arch9wavefront6targetE1EEEvT1_,"axG",@progbits,_ZN7rocprim17ROCPRIM_400000_NS6detail17trampoline_kernelINS0_14default_configENS1_29reduce_by_key_config_selectorIflN6thrust23THRUST_200600_302600_NS4plusIlEEEEZZNS1_33reduce_by_key_impl_wrapped_configILNS1_25lookback_scan_determinismE0ES3_S9_PfNS6_17constant_iteratorIiNS6_11use_defaultESE_EENS6_10device_ptrIfEENSG_IlEEPmS8_NS6_8equal_toIfEEEE10hipError_tPvRmT2_T3_mT4_T5_T6_T7_T8_P12ihipStream_tbENKUlT_T0_E_clISt17integral_constantIbLb0EES13_EEDaSY_SZ_EUlSY_E_NS1_11comp_targetILNS1_3genE10ELNS1_11target_archE1200ELNS1_3gpuE4ELNS1_3repE0EEENS1_30default_config_static_selectorELNS0_4arch9wavefront6targetE1EEEvT1_,comdat
	.protected	_ZN7rocprim17ROCPRIM_400000_NS6detail17trampoline_kernelINS0_14default_configENS1_29reduce_by_key_config_selectorIflN6thrust23THRUST_200600_302600_NS4plusIlEEEEZZNS1_33reduce_by_key_impl_wrapped_configILNS1_25lookback_scan_determinismE0ES3_S9_PfNS6_17constant_iteratorIiNS6_11use_defaultESE_EENS6_10device_ptrIfEENSG_IlEEPmS8_NS6_8equal_toIfEEEE10hipError_tPvRmT2_T3_mT4_T5_T6_T7_T8_P12ihipStream_tbENKUlT_T0_E_clISt17integral_constantIbLb0EES13_EEDaSY_SZ_EUlSY_E_NS1_11comp_targetILNS1_3genE10ELNS1_11target_archE1200ELNS1_3gpuE4ELNS1_3repE0EEENS1_30default_config_static_selectorELNS0_4arch9wavefront6targetE1EEEvT1_ ; -- Begin function _ZN7rocprim17ROCPRIM_400000_NS6detail17trampoline_kernelINS0_14default_configENS1_29reduce_by_key_config_selectorIflN6thrust23THRUST_200600_302600_NS4plusIlEEEEZZNS1_33reduce_by_key_impl_wrapped_configILNS1_25lookback_scan_determinismE0ES3_S9_PfNS6_17constant_iteratorIiNS6_11use_defaultESE_EENS6_10device_ptrIfEENSG_IlEEPmS8_NS6_8equal_toIfEEEE10hipError_tPvRmT2_T3_mT4_T5_T6_T7_T8_P12ihipStream_tbENKUlT_T0_E_clISt17integral_constantIbLb0EES13_EEDaSY_SZ_EUlSY_E_NS1_11comp_targetILNS1_3genE10ELNS1_11target_archE1200ELNS1_3gpuE4ELNS1_3repE0EEENS1_30default_config_static_selectorELNS0_4arch9wavefront6targetE1EEEvT1_
	.globl	_ZN7rocprim17ROCPRIM_400000_NS6detail17trampoline_kernelINS0_14default_configENS1_29reduce_by_key_config_selectorIflN6thrust23THRUST_200600_302600_NS4plusIlEEEEZZNS1_33reduce_by_key_impl_wrapped_configILNS1_25lookback_scan_determinismE0ES3_S9_PfNS6_17constant_iteratorIiNS6_11use_defaultESE_EENS6_10device_ptrIfEENSG_IlEEPmS8_NS6_8equal_toIfEEEE10hipError_tPvRmT2_T3_mT4_T5_T6_T7_T8_P12ihipStream_tbENKUlT_T0_E_clISt17integral_constantIbLb0EES13_EEDaSY_SZ_EUlSY_E_NS1_11comp_targetILNS1_3genE10ELNS1_11target_archE1200ELNS1_3gpuE4ELNS1_3repE0EEENS1_30default_config_static_selectorELNS0_4arch9wavefront6targetE1EEEvT1_
	.p2align	8
	.type	_ZN7rocprim17ROCPRIM_400000_NS6detail17trampoline_kernelINS0_14default_configENS1_29reduce_by_key_config_selectorIflN6thrust23THRUST_200600_302600_NS4plusIlEEEEZZNS1_33reduce_by_key_impl_wrapped_configILNS1_25lookback_scan_determinismE0ES3_S9_PfNS6_17constant_iteratorIiNS6_11use_defaultESE_EENS6_10device_ptrIfEENSG_IlEEPmS8_NS6_8equal_toIfEEEE10hipError_tPvRmT2_T3_mT4_T5_T6_T7_T8_P12ihipStream_tbENKUlT_T0_E_clISt17integral_constantIbLb0EES13_EEDaSY_SZ_EUlSY_E_NS1_11comp_targetILNS1_3genE10ELNS1_11target_archE1200ELNS1_3gpuE4ELNS1_3repE0EEENS1_30default_config_static_selectorELNS0_4arch9wavefront6targetE1EEEvT1_,@function
_ZN7rocprim17ROCPRIM_400000_NS6detail17trampoline_kernelINS0_14default_configENS1_29reduce_by_key_config_selectorIflN6thrust23THRUST_200600_302600_NS4plusIlEEEEZZNS1_33reduce_by_key_impl_wrapped_configILNS1_25lookback_scan_determinismE0ES3_S9_PfNS6_17constant_iteratorIiNS6_11use_defaultESE_EENS6_10device_ptrIfEENSG_IlEEPmS8_NS6_8equal_toIfEEEE10hipError_tPvRmT2_T3_mT4_T5_T6_T7_T8_P12ihipStream_tbENKUlT_T0_E_clISt17integral_constantIbLb0EES13_EEDaSY_SZ_EUlSY_E_NS1_11comp_targetILNS1_3genE10ELNS1_11target_archE1200ELNS1_3gpuE4ELNS1_3repE0EEENS1_30default_config_static_selectorELNS0_4arch9wavefront6targetE1EEEvT1_: ; @_ZN7rocprim17ROCPRIM_400000_NS6detail17trampoline_kernelINS0_14default_configENS1_29reduce_by_key_config_selectorIflN6thrust23THRUST_200600_302600_NS4plusIlEEEEZZNS1_33reduce_by_key_impl_wrapped_configILNS1_25lookback_scan_determinismE0ES3_S9_PfNS6_17constant_iteratorIiNS6_11use_defaultESE_EENS6_10device_ptrIfEENSG_IlEEPmS8_NS6_8equal_toIfEEEE10hipError_tPvRmT2_T3_mT4_T5_T6_T7_T8_P12ihipStream_tbENKUlT_T0_E_clISt17integral_constantIbLb0EES13_EEDaSY_SZ_EUlSY_E_NS1_11comp_targetILNS1_3genE10ELNS1_11target_archE1200ELNS1_3gpuE4ELNS1_3repE0EEENS1_30default_config_static_selectorELNS0_4arch9wavefront6targetE1EEEvT1_
; %bb.0:
	.section	.rodata,"a",@progbits
	.p2align	6, 0x0
	.amdhsa_kernel _ZN7rocprim17ROCPRIM_400000_NS6detail17trampoline_kernelINS0_14default_configENS1_29reduce_by_key_config_selectorIflN6thrust23THRUST_200600_302600_NS4plusIlEEEEZZNS1_33reduce_by_key_impl_wrapped_configILNS1_25lookback_scan_determinismE0ES3_S9_PfNS6_17constant_iteratorIiNS6_11use_defaultESE_EENS6_10device_ptrIfEENSG_IlEEPmS8_NS6_8equal_toIfEEEE10hipError_tPvRmT2_T3_mT4_T5_T6_T7_T8_P12ihipStream_tbENKUlT_T0_E_clISt17integral_constantIbLb0EES13_EEDaSY_SZ_EUlSY_E_NS1_11comp_targetILNS1_3genE10ELNS1_11target_archE1200ELNS1_3gpuE4ELNS1_3repE0EEENS1_30default_config_static_selectorELNS0_4arch9wavefront6targetE1EEEvT1_
		.amdhsa_group_segment_fixed_size 0
		.amdhsa_private_segment_fixed_size 0
		.amdhsa_kernarg_size 144
		.amdhsa_user_sgpr_count 6
		.amdhsa_user_sgpr_private_segment_buffer 1
		.amdhsa_user_sgpr_dispatch_ptr 0
		.amdhsa_user_sgpr_queue_ptr 0
		.amdhsa_user_sgpr_kernarg_segment_ptr 1
		.amdhsa_user_sgpr_dispatch_id 0
		.amdhsa_user_sgpr_flat_scratch_init 0
		.amdhsa_user_sgpr_private_segment_size 0
		.amdhsa_uses_dynamic_stack 0
		.amdhsa_system_sgpr_private_segment_wavefront_offset 0
		.amdhsa_system_sgpr_workgroup_id_x 1
		.amdhsa_system_sgpr_workgroup_id_y 0
		.amdhsa_system_sgpr_workgroup_id_z 0
		.amdhsa_system_sgpr_workgroup_info 0
		.amdhsa_system_vgpr_workitem_id 0
		.amdhsa_next_free_vgpr 1
		.amdhsa_next_free_sgpr 0
		.amdhsa_reserve_vcc 0
		.amdhsa_reserve_flat_scratch 0
		.amdhsa_float_round_mode_32 0
		.amdhsa_float_round_mode_16_64 0
		.amdhsa_float_denorm_mode_32 3
		.amdhsa_float_denorm_mode_16_64 3
		.amdhsa_dx10_clamp 1
		.amdhsa_ieee_mode 1
		.amdhsa_fp16_overflow 0
		.amdhsa_exception_fp_ieee_invalid_op 0
		.amdhsa_exception_fp_denorm_src 0
		.amdhsa_exception_fp_ieee_div_zero 0
		.amdhsa_exception_fp_ieee_overflow 0
		.amdhsa_exception_fp_ieee_underflow 0
		.amdhsa_exception_fp_ieee_inexact 0
		.amdhsa_exception_int_div_zero 0
	.end_amdhsa_kernel
	.section	.text._ZN7rocprim17ROCPRIM_400000_NS6detail17trampoline_kernelINS0_14default_configENS1_29reduce_by_key_config_selectorIflN6thrust23THRUST_200600_302600_NS4plusIlEEEEZZNS1_33reduce_by_key_impl_wrapped_configILNS1_25lookback_scan_determinismE0ES3_S9_PfNS6_17constant_iteratorIiNS6_11use_defaultESE_EENS6_10device_ptrIfEENSG_IlEEPmS8_NS6_8equal_toIfEEEE10hipError_tPvRmT2_T3_mT4_T5_T6_T7_T8_P12ihipStream_tbENKUlT_T0_E_clISt17integral_constantIbLb0EES13_EEDaSY_SZ_EUlSY_E_NS1_11comp_targetILNS1_3genE10ELNS1_11target_archE1200ELNS1_3gpuE4ELNS1_3repE0EEENS1_30default_config_static_selectorELNS0_4arch9wavefront6targetE1EEEvT1_,"axG",@progbits,_ZN7rocprim17ROCPRIM_400000_NS6detail17trampoline_kernelINS0_14default_configENS1_29reduce_by_key_config_selectorIflN6thrust23THRUST_200600_302600_NS4plusIlEEEEZZNS1_33reduce_by_key_impl_wrapped_configILNS1_25lookback_scan_determinismE0ES3_S9_PfNS6_17constant_iteratorIiNS6_11use_defaultESE_EENS6_10device_ptrIfEENSG_IlEEPmS8_NS6_8equal_toIfEEEE10hipError_tPvRmT2_T3_mT4_T5_T6_T7_T8_P12ihipStream_tbENKUlT_T0_E_clISt17integral_constantIbLb0EES13_EEDaSY_SZ_EUlSY_E_NS1_11comp_targetILNS1_3genE10ELNS1_11target_archE1200ELNS1_3gpuE4ELNS1_3repE0EEENS1_30default_config_static_selectorELNS0_4arch9wavefront6targetE1EEEvT1_,comdat
.Lfunc_end1912:
	.size	_ZN7rocprim17ROCPRIM_400000_NS6detail17trampoline_kernelINS0_14default_configENS1_29reduce_by_key_config_selectorIflN6thrust23THRUST_200600_302600_NS4plusIlEEEEZZNS1_33reduce_by_key_impl_wrapped_configILNS1_25lookback_scan_determinismE0ES3_S9_PfNS6_17constant_iteratorIiNS6_11use_defaultESE_EENS6_10device_ptrIfEENSG_IlEEPmS8_NS6_8equal_toIfEEEE10hipError_tPvRmT2_T3_mT4_T5_T6_T7_T8_P12ihipStream_tbENKUlT_T0_E_clISt17integral_constantIbLb0EES13_EEDaSY_SZ_EUlSY_E_NS1_11comp_targetILNS1_3genE10ELNS1_11target_archE1200ELNS1_3gpuE4ELNS1_3repE0EEENS1_30default_config_static_selectorELNS0_4arch9wavefront6targetE1EEEvT1_, .Lfunc_end1912-_ZN7rocprim17ROCPRIM_400000_NS6detail17trampoline_kernelINS0_14default_configENS1_29reduce_by_key_config_selectorIflN6thrust23THRUST_200600_302600_NS4plusIlEEEEZZNS1_33reduce_by_key_impl_wrapped_configILNS1_25lookback_scan_determinismE0ES3_S9_PfNS6_17constant_iteratorIiNS6_11use_defaultESE_EENS6_10device_ptrIfEENSG_IlEEPmS8_NS6_8equal_toIfEEEE10hipError_tPvRmT2_T3_mT4_T5_T6_T7_T8_P12ihipStream_tbENKUlT_T0_E_clISt17integral_constantIbLb0EES13_EEDaSY_SZ_EUlSY_E_NS1_11comp_targetILNS1_3genE10ELNS1_11target_archE1200ELNS1_3gpuE4ELNS1_3repE0EEENS1_30default_config_static_selectorELNS0_4arch9wavefront6targetE1EEEvT1_
                                        ; -- End function
	.set _ZN7rocprim17ROCPRIM_400000_NS6detail17trampoline_kernelINS0_14default_configENS1_29reduce_by_key_config_selectorIflN6thrust23THRUST_200600_302600_NS4plusIlEEEEZZNS1_33reduce_by_key_impl_wrapped_configILNS1_25lookback_scan_determinismE0ES3_S9_PfNS6_17constant_iteratorIiNS6_11use_defaultESE_EENS6_10device_ptrIfEENSG_IlEEPmS8_NS6_8equal_toIfEEEE10hipError_tPvRmT2_T3_mT4_T5_T6_T7_T8_P12ihipStream_tbENKUlT_T0_E_clISt17integral_constantIbLb0EES13_EEDaSY_SZ_EUlSY_E_NS1_11comp_targetILNS1_3genE10ELNS1_11target_archE1200ELNS1_3gpuE4ELNS1_3repE0EEENS1_30default_config_static_selectorELNS0_4arch9wavefront6targetE1EEEvT1_.num_vgpr, 0
	.set _ZN7rocprim17ROCPRIM_400000_NS6detail17trampoline_kernelINS0_14default_configENS1_29reduce_by_key_config_selectorIflN6thrust23THRUST_200600_302600_NS4plusIlEEEEZZNS1_33reduce_by_key_impl_wrapped_configILNS1_25lookback_scan_determinismE0ES3_S9_PfNS6_17constant_iteratorIiNS6_11use_defaultESE_EENS6_10device_ptrIfEENSG_IlEEPmS8_NS6_8equal_toIfEEEE10hipError_tPvRmT2_T3_mT4_T5_T6_T7_T8_P12ihipStream_tbENKUlT_T0_E_clISt17integral_constantIbLb0EES13_EEDaSY_SZ_EUlSY_E_NS1_11comp_targetILNS1_3genE10ELNS1_11target_archE1200ELNS1_3gpuE4ELNS1_3repE0EEENS1_30default_config_static_selectorELNS0_4arch9wavefront6targetE1EEEvT1_.num_agpr, 0
	.set _ZN7rocprim17ROCPRIM_400000_NS6detail17trampoline_kernelINS0_14default_configENS1_29reduce_by_key_config_selectorIflN6thrust23THRUST_200600_302600_NS4plusIlEEEEZZNS1_33reduce_by_key_impl_wrapped_configILNS1_25lookback_scan_determinismE0ES3_S9_PfNS6_17constant_iteratorIiNS6_11use_defaultESE_EENS6_10device_ptrIfEENSG_IlEEPmS8_NS6_8equal_toIfEEEE10hipError_tPvRmT2_T3_mT4_T5_T6_T7_T8_P12ihipStream_tbENKUlT_T0_E_clISt17integral_constantIbLb0EES13_EEDaSY_SZ_EUlSY_E_NS1_11comp_targetILNS1_3genE10ELNS1_11target_archE1200ELNS1_3gpuE4ELNS1_3repE0EEENS1_30default_config_static_selectorELNS0_4arch9wavefront6targetE1EEEvT1_.numbered_sgpr, 0
	.set _ZN7rocprim17ROCPRIM_400000_NS6detail17trampoline_kernelINS0_14default_configENS1_29reduce_by_key_config_selectorIflN6thrust23THRUST_200600_302600_NS4plusIlEEEEZZNS1_33reduce_by_key_impl_wrapped_configILNS1_25lookback_scan_determinismE0ES3_S9_PfNS6_17constant_iteratorIiNS6_11use_defaultESE_EENS6_10device_ptrIfEENSG_IlEEPmS8_NS6_8equal_toIfEEEE10hipError_tPvRmT2_T3_mT4_T5_T6_T7_T8_P12ihipStream_tbENKUlT_T0_E_clISt17integral_constantIbLb0EES13_EEDaSY_SZ_EUlSY_E_NS1_11comp_targetILNS1_3genE10ELNS1_11target_archE1200ELNS1_3gpuE4ELNS1_3repE0EEENS1_30default_config_static_selectorELNS0_4arch9wavefront6targetE1EEEvT1_.num_named_barrier, 0
	.set _ZN7rocprim17ROCPRIM_400000_NS6detail17trampoline_kernelINS0_14default_configENS1_29reduce_by_key_config_selectorIflN6thrust23THRUST_200600_302600_NS4plusIlEEEEZZNS1_33reduce_by_key_impl_wrapped_configILNS1_25lookback_scan_determinismE0ES3_S9_PfNS6_17constant_iteratorIiNS6_11use_defaultESE_EENS6_10device_ptrIfEENSG_IlEEPmS8_NS6_8equal_toIfEEEE10hipError_tPvRmT2_T3_mT4_T5_T6_T7_T8_P12ihipStream_tbENKUlT_T0_E_clISt17integral_constantIbLb0EES13_EEDaSY_SZ_EUlSY_E_NS1_11comp_targetILNS1_3genE10ELNS1_11target_archE1200ELNS1_3gpuE4ELNS1_3repE0EEENS1_30default_config_static_selectorELNS0_4arch9wavefront6targetE1EEEvT1_.private_seg_size, 0
	.set _ZN7rocprim17ROCPRIM_400000_NS6detail17trampoline_kernelINS0_14default_configENS1_29reduce_by_key_config_selectorIflN6thrust23THRUST_200600_302600_NS4plusIlEEEEZZNS1_33reduce_by_key_impl_wrapped_configILNS1_25lookback_scan_determinismE0ES3_S9_PfNS6_17constant_iteratorIiNS6_11use_defaultESE_EENS6_10device_ptrIfEENSG_IlEEPmS8_NS6_8equal_toIfEEEE10hipError_tPvRmT2_T3_mT4_T5_T6_T7_T8_P12ihipStream_tbENKUlT_T0_E_clISt17integral_constantIbLb0EES13_EEDaSY_SZ_EUlSY_E_NS1_11comp_targetILNS1_3genE10ELNS1_11target_archE1200ELNS1_3gpuE4ELNS1_3repE0EEENS1_30default_config_static_selectorELNS0_4arch9wavefront6targetE1EEEvT1_.uses_vcc, 0
	.set _ZN7rocprim17ROCPRIM_400000_NS6detail17trampoline_kernelINS0_14default_configENS1_29reduce_by_key_config_selectorIflN6thrust23THRUST_200600_302600_NS4plusIlEEEEZZNS1_33reduce_by_key_impl_wrapped_configILNS1_25lookback_scan_determinismE0ES3_S9_PfNS6_17constant_iteratorIiNS6_11use_defaultESE_EENS6_10device_ptrIfEENSG_IlEEPmS8_NS6_8equal_toIfEEEE10hipError_tPvRmT2_T3_mT4_T5_T6_T7_T8_P12ihipStream_tbENKUlT_T0_E_clISt17integral_constantIbLb0EES13_EEDaSY_SZ_EUlSY_E_NS1_11comp_targetILNS1_3genE10ELNS1_11target_archE1200ELNS1_3gpuE4ELNS1_3repE0EEENS1_30default_config_static_selectorELNS0_4arch9wavefront6targetE1EEEvT1_.uses_flat_scratch, 0
	.set _ZN7rocprim17ROCPRIM_400000_NS6detail17trampoline_kernelINS0_14default_configENS1_29reduce_by_key_config_selectorIflN6thrust23THRUST_200600_302600_NS4plusIlEEEEZZNS1_33reduce_by_key_impl_wrapped_configILNS1_25lookback_scan_determinismE0ES3_S9_PfNS6_17constant_iteratorIiNS6_11use_defaultESE_EENS6_10device_ptrIfEENSG_IlEEPmS8_NS6_8equal_toIfEEEE10hipError_tPvRmT2_T3_mT4_T5_T6_T7_T8_P12ihipStream_tbENKUlT_T0_E_clISt17integral_constantIbLb0EES13_EEDaSY_SZ_EUlSY_E_NS1_11comp_targetILNS1_3genE10ELNS1_11target_archE1200ELNS1_3gpuE4ELNS1_3repE0EEENS1_30default_config_static_selectorELNS0_4arch9wavefront6targetE1EEEvT1_.has_dyn_sized_stack, 0
	.set _ZN7rocprim17ROCPRIM_400000_NS6detail17trampoline_kernelINS0_14default_configENS1_29reduce_by_key_config_selectorIflN6thrust23THRUST_200600_302600_NS4plusIlEEEEZZNS1_33reduce_by_key_impl_wrapped_configILNS1_25lookback_scan_determinismE0ES3_S9_PfNS6_17constant_iteratorIiNS6_11use_defaultESE_EENS6_10device_ptrIfEENSG_IlEEPmS8_NS6_8equal_toIfEEEE10hipError_tPvRmT2_T3_mT4_T5_T6_T7_T8_P12ihipStream_tbENKUlT_T0_E_clISt17integral_constantIbLb0EES13_EEDaSY_SZ_EUlSY_E_NS1_11comp_targetILNS1_3genE10ELNS1_11target_archE1200ELNS1_3gpuE4ELNS1_3repE0EEENS1_30default_config_static_selectorELNS0_4arch9wavefront6targetE1EEEvT1_.has_recursion, 0
	.set _ZN7rocprim17ROCPRIM_400000_NS6detail17trampoline_kernelINS0_14default_configENS1_29reduce_by_key_config_selectorIflN6thrust23THRUST_200600_302600_NS4plusIlEEEEZZNS1_33reduce_by_key_impl_wrapped_configILNS1_25lookback_scan_determinismE0ES3_S9_PfNS6_17constant_iteratorIiNS6_11use_defaultESE_EENS6_10device_ptrIfEENSG_IlEEPmS8_NS6_8equal_toIfEEEE10hipError_tPvRmT2_T3_mT4_T5_T6_T7_T8_P12ihipStream_tbENKUlT_T0_E_clISt17integral_constantIbLb0EES13_EEDaSY_SZ_EUlSY_E_NS1_11comp_targetILNS1_3genE10ELNS1_11target_archE1200ELNS1_3gpuE4ELNS1_3repE0EEENS1_30default_config_static_selectorELNS0_4arch9wavefront6targetE1EEEvT1_.has_indirect_call, 0
	.section	.AMDGPU.csdata,"",@progbits
; Kernel info:
; codeLenInByte = 0
; TotalNumSgprs: 4
; NumVgprs: 0
; ScratchSize: 0
; MemoryBound: 0
; FloatMode: 240
; IeeeMode: 1
; LDSByteSize: 0 bytes/workgroup (compile time only)
; SGPRBlocks: 0
; VGPRBlocks: 0
; NumSGPRsForWavesPerEU: 4
; NumVGPRsForWavesPerEU: 1
; Occupancy: 10
; WaveLimiterHint : 0
; COMPUTE_PGM_RSRC2:SCRATCH_EN: 0
; COMPUTE_PGM_RSRC2:USER_SGPR: 6
; COMPUTE_PGM_RSRC2:TRAP_HANDLER: 0
; COMPUTE_PGM_RSRC2:TGID_X_EN: 1
; COMPUTE_PGM_RSRC2:TGID_Y_EN: 0
; COMPUTE_PGM_RSRC2:TGID_Z_EN: 0
; COMPUTE_PGM_RSRC2:TIDIG_COMP_CNT: 0
	.section	.text._ZN7rocprim17ROCPRIM_400000_NS6detail17trampoline_kernelINS0_14default_configENS1_29reduce_by_key_config_selectorIflN6thrust23THRUST_200600_302600_NS4plusIlEEEEZZNS1_33reduce_by_key_impl_wrapped_configILNS1_25lookback_scan_determinismE0ES3_S9_PfNS6_17constant_iteratorIiNS6_11use_defaultESE_EENS6_10device_ptrIfEENSG_IlEEPmS8_NS6_8equal_toIfEEEE10hipError_tPvRmT2_T3_mT4_T5_T6_T7_T8_P12ihipStream_tbENKUlT_T0_E_clISt17integral_constantIbLb0EES13_EEDaSY_SZ_EUlSY_E_NS1_11comp_targetILNS1_3genE9ELNS1_11target_archE1100ELNS1_3gpuE3ELNS1_3repE0EEENS1_30default_config_static_selectorELNS0_4arch9wavefront6targetE1EEEvT1_,"axG",@progbits,_ZN7rocprim17ROCPRIM_400000_NS6detail17trampoline_kernelINS0_14default_configENS1_29reduce_by_key_config_selectorIflN6thrust23THRUST_200600_302600_NS4plusIlEEEEZZNS1_33reduce_by_key_impl_wrapped_configILNS1_25lookback_scan_determinismE0ES3_S9_PfNS6_17constant_iteratorIiNS6_11use_defaultESE_EENS6_10device_ptrIfEENSG_IlEEPmS8_NS6_8equal_toIfEEEE10hipError_tPvRmT2_T3_mT4_T5_T6_T7_T8_P12ihipStream_tbENKUlT_T0_E_clISt17integral_constantIbLb0EES13_EEDaSY_SZ_EUlSY_E_NS1_11comp_targetILNS1_3genE9ELNS1_11target_archE1100ELNS1_3gpuE3ELNS1_3repE0EEENS1_30default_config_static_selectorELNS0_4arch9wavefront6targetE1EEEvT1_,comdat
	.protected	_ZN7rocprim17ROCPRIM_400000_NS6detail17trampoline_kernelINS0_14default_configENS1_29reduce_by_key_config_selectorIflN6thrust23THRUST_200600_302600_NS4plusIlEEEEZZNS1_33reduce_by_key_impl_wrapped_configILNS1_25lookback_scan_determinismE0ES3_S9_PfNS6_17constant_iteratorIiNS6_11use_defaultESE_EENS6_10device_ptrIfEENSG_IlEEPmS8_NS6_8equal_toIfEEEE10hipError_tPvRmT2_T3_mT4_T5_T6_T7_T8_P12ihipStream_tbENKUlT_T0_E_clISt17integral_constantIbLb0EES13_EEDaSY_SZ_EUlSY_E_NS1_11comp_targetILNS1_3genE9ELNS1_11target_archE1100ELNS1_3gpuE3ELNS1_3repE0EEENS1_30default_config_static_selectorELNS0_4arch9wavefront6targetE1EEEvT1_ ; -- Begin function _ZN7rocprim17ROCPRIM_400000_NS6detail17trampoline_kernelINS0_14default_configENS1_29reduce_by_key_config_selectorIflN6thrust23THRUST_200600_302600_NS4plusIlEEEEZZNS1_33reduce_by_key_impl_wrapped_configILNS1_25lookback_scan_determinismE0ES3_S9_PfNS6_17constant_iteratorIiNS6_11use_defaultESE_EENS6_10device_ptrIfEENSG_IlEEPmS8_NS6_8equal_toIfEEEE10hipError_tPvRmT2_T3_mT4_T5_T6_T7_T8_P12ihipStream_tbENKUlT_T0_E_clISt17integral_constantIbLb0EES13_EEDaSY_SZ_EUlSY_E_NS1_11comp_targetILNS1_3genE9ELNS1_11target_archE1100ELNS1_3gpuE3ELNS1_3repE0EEENS1_30default_config_static_selectorELNS0_4arch9wavefront6targetE1EEEvT1_
	.globl	_ZN7rocprim17ROCPRIM_400000_NS6detail17trampoline_kernelINS0_14default_configENS1_29reduce_by_key_config_selectorIflN6thrust23THRUST_200600_302600_NS4plusIlEEEEZZNS1_33reduce_by_key_impl_wrapped_configILNS1_25lookback_scan_determinismE0ES3_S9_PfNS6_17constant_iteratorIiNS6_11use_defaultESE_EENS6_10device_ptrIfEENSG_IlEEPmS8_NS6_8equal_toIfEEEE10hipError_tPvRmT2_T3_mT4_T5_T6_T7_T8_P12ihipStream_tbENKUlT_T0_E_clISt17integral_constantIbLb0EES13_EEDaSY_SZ_EUlSY_E_NS1_11comp_targetILNS1_3genE9ELNS1_11target_archE1100ELNS1_3gpuE3ELNS1_3repE0EEENS1_30default_config_static_selectorELNS0_4arch9wavefront6targetE1EEEvT1_
	.p2align	8
	.type	_ZN7rocprim17ROCPRIM_400000_NS6detail17trampoline_kernelINS0_14default_configENS1_29reduce_by_key_config_selectorIflN6thrust23THRUST_200600_302600_NS4plusIlEEEEZZNS1_33reduce_by_key_impl_wrapped_configILNS1_25lookback_scan_determinismE0ES3_S9_PfNS6_17constant_iteratorIiNS6_11use_defaultESE_EENS6_10device_ptrIfEENSG_IlEEPmS8_NS6_8equal_toIfEEEE10hipError_tPvRmT2_T3_mT4_T5_T6_T7_T8_P12ihipStream_tbENKUlT_T0_E_clISt17integral_constantIbLb0EES13_EEDaSY_SZ_EUlSY_E_NS1_11comp_targetILNS1_3genE9ELNS1_11target_archE1100ELNS1_3gpuE3ELNS1_3repE0EEENS1_30default_config_static_selectorELNS0_4arch9wavefront6targetE1EEEvT1_,@function
_ZN7rocprim17ROCPRIM_400000_NS6detail17trampoline_kernelINS0_14default_configENS1_29reduce_by_key_config_selectorIflN6thrust23THRUST_200600_302600_NS4plusIlEEEEZZNS1_33reduce_by_key_impl_wrapped_configILNS1_25lookback_scan_determinismE0ES3_S9_PfNS6_17constant_iteratorIiNS6_11use_defaultESE_EENS6_10device_ptrIfEENSG_IlEEPmS8_NS6_8equal_toIfEEEE10hipError_tPvRmT2_T3_mT4_T5_T6_T7_T8_P12ihipStream_tbENKUlT_T0_E_clISt17integral_constantIbLb0EES13_EEDaSY_SZ_EUlSY_E_NS1_11comp_targetILNS1_3genE9ELNS1_11target_archE1100ELNS1_3gpuE3ELNS1_3repE0EEENS1_30default_config_static_selectorELNS0_4arch9wavefront6targetE1EEEvT1_: ; @_ZN7rocprim17ROCPRIM_400000_NS6detail17trampoline_kernelINS0_14default_configENS1_29reduce_by_key_config_selectorIflN6thrust23THRUST_200600_302600_NS4plusIlEEEEZZNS1_33reduce_by_key_impl_wrapped_configILNS1_25lookback_scan_determinismE0ES3_S9_PfNS6_17constant_iteratorIiNS6_11use_defaultESE_EENS6_10device_ptrIfEENSG_IlEEPmS8_NS6_8equal_toIfEEEE10hipError_tPvRmT2_T3_mT4_T5_T6_T7_T8_P12ihipStream_tbENKUlT_T0_E_clISt17integral_constantIbLb0EES13_EEDaSY_SZ_EUlSY_E_NS1_11comp_targetILNS1_3genE9ELNS1_11target_archE1100ELNS1_3gpuE3ELNS1_3repE0EEENS1_30default_config_static_selectorELNS0_4arch9wavefront6targetE1EEEvT1_
; %bb.0:
	.section	.rodata,"a",@progbits
	.p2align	6, 0x0
	.amdhsa_kernel _ZN7rocprim17ROCPRIM_400000_NS6detail17trampoline_kernelINS0_14default_configENS1_29reduce_by_key_config_selectorIflN6thrust23THRUST_200600_302600_NS4plusIlEEEEZZNS1_33reduce_by_key_impl_wrapped_configILNS1_25lookback_scan_determinismE0ES3_S9_PfNS6_17constant_iteratorIiNS6_11use_defaultESE_EENS6_10device_ptrIfEENSG_IlEEPmS8_NS6_8equal_toIfEEEE10hipError_tPvRmT2_T3_mT4_T5_T6_T7_T8_P12ihipStream_tbENKUlT_T0_E_clISt17integral_constantIbLb0EES13_EEDaSY_SZ_EUlSY_E_NS1_11comp_targetILNS1_3genE9ELNS1_11target_archE1100ELNS1_3gpuE3ELNS1_3repE0EEENS1_30default_config_static_selectorELNS0_4arch9wavefront6targetE1EEEvT1_
		.amdhsa_group_segment_fixed_size 0
		.amdhsa_private_segment_fixed_size 0
		.amdhsa_kernarg_size 144
		.amdhsa_user_sgpr_count 6
		.amdhsa_user_sgpr_private_segment_buffer 1
		.amdhsa_user_sgpr_dispatch_ptr 0
		.amdhsa_user_sgpr_queue_ptr 0
		.amdhsa_user_sgpr_kernarg_segment_ptr 1
		.amdhsa_user_sgpr_dispatch_id 0
		.amdhsa_user_sgpr_flat_scratch_init 0
		.amdhsa_user_sgpr_private_segment_size 0
		.amdhsa_uses_dynamic_stack 0
		.amdhsa_system_sgpr_private_segment_wavefront_offset 0
		.amdhsa_system_sgpr_workgroup_id_x 1
		.amdhsa_system_sgpr_workgroup_id_y 0
		.amdhsa_system_sgpr_workgroup_id_z 0
		.amdhsa_system_sgpr_workgroup_info 0
		.amdhsa_system_vgpr_workitem_id 0
		.amdhsa_next_free_vgpr 1
		.amdhsa_next_free_sgpr 0
		.amdhsa_reserve_vcc 0
		.amdhsa_reserve_flat_scratch 0
		.amdhsa_float_round_mode_32 0
		.amdhsa_float_round_mode_16_64 0
		.amdhsa_float_denorm_mode_32 3
		.amdhsa_float_denorm_mode_16_64 3
		.amdhsa_dx10_clamp 1
		.amdhsa_ieee_mode 1
		.amdhsa_fp16_overflow 0
		.amdhsa_exception_fp_ieee_invalid_op 0
		.amdhsa_exception_fp_denorm_src 0
		.amdhsa_exception_fp_ieee_div_zero 0
		.amdhsa_exception_fp_ieee_overflow 0
		.amdhsa_exception_fp_ieee_underflow 0
		.amdhsa_exception_fp_ieee_inexact 0
		.amdhsa_exception_int_div_zero 0
	.end_amdhsa_kernel
	.section	.text._ZN7rocprim17ROCPRIM_400000_NS6detail17trampoline_kernelINS0_14default_configENS1_29reduce_by_key_config_selectorIflN6thrust23THRUST_200600_302600_NS4plusIlEEEEZZNS1_33reduce_by_key_impl_wrapped_configILNS1_25lookback_scan_determinismE0ES3_S9_PfNS6_17constant_iteratorIiNS6_11use_defaultESE_EENS6_10device_ptrIfEENSG_IlEEPmS8_NS6_8equal_toIfEEEE10hipError_tPvRmT2_T3_mT4_T5_T6_T7_T8_P12ihipStream_tbENKUlT_T0_E_clISt17integral_constantIbLb0EES13_EEDaSY_SZ_EUlSY_E_NS1_11comp_targetILNS1_3genE9ELNS1_11target_archE1100ELNS1_3gpuE3ELNS1_3repE0EEENS1_30default_config_static_selectorELNS0_4arch9wavefront6targetE1EEEvT1_,"axG",@progbits,_ZN7rocprim17ROCPRIM_400000_NS6detail17trampoline_kernelINS0_14default_configENS1_29reduce_by_key_config_selectorIflN6thrust23THRUST_200600_302600_NS4plusIlEEEEZZNS1_33reduce_by_key_impl_wrapped_configILNS1_25lookback_scan_determinismE0ES3_S9_PfNS6_17constant_iteratorIiNS6_11use_defaultESE_EENS6_10device_ptrIfEENSG_IlEEPmS8_NS6_8equal_toIfEEEE10hipError_tPvRmT2_T3_mT4_T5_T6_T7_T8_P12ihipStream_tbENKUlT_T0_E_clISt17integral_constantIbLb0EES13_EEDaSY_SZ_EUlSY_E_NS1_11comp_targetILNS1_3genE9ELNS1_11target_archE1100ELNS1_3gpuE3ELNS1_3repE0EEENS1_30default_config_static_selectorELNS0_4arch9wavefront6targetE1EEEvT1_,comdat
.Lfunc_end1913:
	.size	_ZN7rocprim17ROCPRIM_400000_NS6detail17trampoline_kernelINS0_14default_configENS1_29reduce_by_key_config_selectorIflN6thrust23THRUST_200600_302600_NS4plusIlEEEEZZNS1_33reduce_by_key_impl_wrapped_configILNS1_25lookback_scan_determinismE0ES3_S9_PfNS6_17constant_iteratorIiNS6_11use_defaultESE_EENS6_10device_ptrIfEENSG_IlEEPmS8_NS6_8equal_toIfEEEE10hipError_tPvRmT2_T3_mT4_T5_T6_T7_T8_P12ihipStream_tbENKUlT_T0_E_clISt17integral_constantIbLb0EES13_EEDaSY_SZ_EUlSY_E_NS1_11comp_targetILNS1_3genE9ELNS1_11target_archE1100ELNS1_3gpuE3ELNS1_3repE0EEENS1_30default_config_static_selectorELNS0_4arch9wavefront6targetE1EEEvT1_, .Lfunc_end1913-_ZN7rocprim17ROCPRIM_400000_NS6detail17trampoline_kernelINS0_14default_configENS1_29reduce_by_key_config_selectorIflN6thrust23THRUST_200600_302600_NS4plusIlEEEEZZNS1_33reduce_by_key_impl_wrapped_configILNS1_25lookback_scan_determinismE0ES3_S9_PfNS6_17constant_iteratorIiNS6_11use_defaultESE_EENS6_10device_ptrIfEENSG_IlEEPmS8_NS6_8equal_toIfEEEE10hipError_tPvRmT2_T3_mT4_T5_T6_T7_T8_P12ihipStream_tbENKUlT_T0_E_clISt17integral_constantIbLb0EES13_EEDaSY_SZ_EUlSY_E_NS1_11comp_targetILNS1_3genE9ELNS1_11target_archE1100ELNS1_3gpuE3ELNS1_3repE0EEENS1_30default_config_static_selectorELNS0_4arch9wavefront6targetE1EEEvT1_
                                        ; -- End function
	.set _ZN7rocprim17ROCPRIM_400000_NS6detail17trampoline_kernelINS0_14default_configENS1_29reduce_by_key_config_selectorIflN6thrust23THRUST_200600_302600_NS4plusIlEEEEZZNS1_33reduce_by_key_impl_wrapped_configILNS1_25lookback_scan_determinismE0ES3_S9_PfNS6_17constant_iteratorIiNS6_11use_defaultESE_EENS6_10device_ptrIfEENSG_IlEEPmS8_NS6_8equal_toIfEEEE10hipError_tPvRmT2_T3_mT4_T5_T6_T7_T8_P12ihipStream_tbENKUlT_T0_E_clISt17integral_constantIbLb0EES13_EEDaSY_SZ_EUlSY_E_NS1_11comp_targetILNS1_3genE9ELNS1_11target_archE1100ELNS1_3gpuE3ELNS1_3repE0EEENS1_30default_config_static_selectorELNS0_4arch9wavefront6targetE1EEEvT1_.num_vgpr, 0
	.set _ZN7rocprim17ROCPRIM_400000_NS6detail17trampoline_kernelINS0_14default_configENS1_29reduce_by_key_config_selectorIflN6thrust23THRUST_200600_302600_NS4plusIlEEEEZZNS1_33reduce_by_key_impl_wrapped_configILNS1_25lookback_scan_determinismE0ES3_S9_PfNS6_17constant_iteratorIiNS6_11use_defaultESE_EENS6_10device_ptrIfEENSG_IlEEPmS8_NS6_8equal_toIfEEEE10hipError_tPvRmT2_T3_mT4_T5_T6_T7_T8_P12ihipStream_tbENKUlT_T0_E_clISt17integral_constantIbLb0EES13_EEDaSY_SZ_EUlSY_E_NS1_11comp_targetILNS1_3genE9ELNS1_11target_archE1100ELNS1_3gpuE3ELNS1_3repE0EEENS1_30default_config_static_selectorELNS0_4arch9wavefront6targetE1EEEvT1_.num_agpr, 0
	.set _ZN7rocprim17ROCPRIM_400000_NS6detail17trampoline_kernelINS0_14default_configENS1_29reduce_by_key_config_selectorIflN6thrust23THRUST_200600_302600_NS4plusIlEEEEZZNS1_33reduce_by_key_impl_wrapped_configILNS1_25lookback_scan_determinismE0ES3_S9_PfNS6_17constant_iteratorIiNS6_11use_defaultESE_EENS6_10device_ptrIfEENSG_IlEEPmS8_NS6_8equal_toIfEEEE10hipError_tPvRmT2_T3_mT4_T5_T6_T7_T8_P12ihipStream_tbENKUlT_T0_E_clISt17integral_constantIbLb0EES13_EEDaSY_SZ_EUlSY_E_NS1_11comp_targetILNS1_3genE9ELNS1_11target_archE1100ELNS1_3gpuE3ELNS1_3repE0EEENS1_30default_config_static_selectorELNS0_4arch9wavefront6targetE1EEEvT1_.numbered_sgpr, 0
	.set _ZN7rocprim17ROCPRIM_400000_NS6detail17trampoline_kernelINS0_14default_configENS1_29reduce_by_key_config_selectorIflN6thrust23THRUST_200600_302600_NS4plusIlEEEEZZNS1_33reduce_by_key_impl_wrapped_configILNS1_25lookback_scan_determinismE0ES3_S9_PfNS6_17constant_iteratorIiNS6_11use_defaultESE_EENS6_10device_ptrIfEENSG_IlEEPmS8_NS6_8equal_toIfEEEE10hipError_tPvRmT2_T3_mT4_T5_T6_T7_T8_P12ihipStream_tbENKUlT_T0_E_clISt17integral_constantIbLb0EES13_EEDaSY_SZ_EUlSY_E_NS1_11comp_targetILNS1_3genE9ELNS1_11target_archE1100ELNS1_3gpuE3ELNS1_3repE0EEENS1_30default_config_static_selectorELNS0_4arch9wavefront6targetE1EEEvT1_.num_named_barrier, 0
	.set _ZN7rocprim17ROCPRIM_400000_NS6detail17trampoline_kernelINS0_14default_configENS1_29reduce_by_key_config_selectorIflN6thrust23THRUST_200600_302600_NS4plusIlEEEEZZNS1_33reduce_by_key_impl_wrapped_configILNS1_25lookback_scan_determinismE0ES3_S9_PfNS6_17constant_iteratorIiNS6_11use_defaultESE_EENS6_10device_ptrIfEENSG_IlEEPmS8_NS6_8equal_toIfEEEE10hipError_tPvRmT2_T3_mT4_T5_T6_T7_T8_P12ihipStream_tbENKUlT_T0_E_clISt17integral_constantIbLb0EES13_EEDaSY_SZ_EUlSY_E_NS1_11comp_targetILNS1_3genE9ELNS1_11target_archE1100ELNS1_3gpuE3ELNS1_3repE0EEENS1_30default_config_static_selectorELNS0_4arch9wavefront6targetE1EEEvT1_.private_seg_size, 0
	.set _ZN7rocprim17ROCPRIM_400000_NS6detail17trampoline_kernelINS0_14default_configENS1_29reduce_by_key_config_selectorIflN6thrust23THRUST_200600_302600_NS4plusIlEEEEZZNS1_33reduce_by_key_impl_wrapped_configILNS1_25lookback_scan_determinismE0ES3_S9_PfNS6_17constant_iteratorIiNS6_11use_defaultESE_EENS6_10device_ptrIfEENSG_IlEEPmS8_NS6_8equal_toIfEEEE10hipError_tPvRmT2_T3_mT4_T5_T6_T7_T8_P12ihipStream_tbENKUlT_T0_E_clISt17integral_constantIbLb0EES13_EEDaSY_SZ_EUlSY_E_NS1_11comp_targetILNS1_3genE9ELNS1_11target_archE1100ELNS1_3gpuE3ELNS1_3repE0EEENS1_30default_config_static_selectorELNS0_4arch9wavefront6targetE1EEEvT1_.uses_vcc, 0
	.set _ZN7rocprim17ROCPRIM_400000_NS6detail17trampoline_kernelINS0_14default_configENS1_29reduce_by_key_config_selectorIflN6thrust23THRUST_200600_302600_NS4plusIlEEEEZZNS1_33reduce_by_key_impl_wrapped_configILNS1_25lookback_scan_determinismE0ES3_S9_PfNS6_17constant_iteratorIiNS6_11use_defaultESE_EENS6_10device_ptrIfEENSG_IlEEPmS8_NS6_8equal_toIfEEEE10hipError_tPvRmT2_T3_mT4_T5_T6_T7_T8_P12ihipStream_tbENKUlT_T0_E_clISt17integral_constantIbLb0EES13_EEDaSY_SZ_EUlSY_E_NS1_11comp_targetILNS1_3genE9ELNS1_11target_archE1100ELNS1_3gpuE3ELNS1_3repE0EEENS1_30default_config_static_selectorELNS0_4arch9wavefront6targetE1EEEvT1_.uses_flat_scratch, 0
	.set _ZN7rocprim17ROCPRIM_400000_NS6detail17trampoline_kernelINS0_14default_configENS1_29reduce_by_key_config_selectorIflN6thrust23THRUST_200600_302600_NS4plusIlEEEEZZNS1_33reduce_by_key_impl_wrapped_configILNS1_25lookback_scan_determinismE0ES3_S9_PfNS6_17constant_iteratorIiNS6_11use_defaultESE_EENS6_10device_ptrIfEENSG_IlEEPmS8_NS6_8equal_toIfEEEE10hipError_tPvRmT2_T3_mT4_T5_T6_T7_T8_P12ihipStream_tbENKUlT_T0_E_clISt17integral_constantIbLb0EES13_EEDaSY_SZ_EUlSY_E_NS1_11comp_targetILNS1_3genE9ELNS1_11target_archE1100ELNS1_3gpuE3ELNS1_3repE0EEENS1_30default_config_static_selectorELNS0_4arch9wavefront6targetE1EEEvT1_.has_dyn_sized_stack, 0
	.set _ZN7rocprim17ROCPRIM_400000_NS6detail17trampoline_kernelINS0_14default_configENS1_29reduce_by_key_config_selectorIflN6thrust23THRUST_200600_302600_NS4plusIlEEEEZZNS1_33reduce_by_key_impl_wrapped_configILNS1_25lookback_scan_determinismE0ES3_S9_PfNS6_17constant_iteratorIiNS6_11use_defaultESE_EENS6_10device_ptrIfEENSG_IlEEPmS8_NS6_8equal_toIfEEEE10hipError_tPvRmT2_T3_mT4_T5_T6_T7_T8_P12ihipStream_tbENKUlT_T0_E_clISt17integral_constantIbLb0EES13_EEDaSY_SZ_EUlSY_E_NS1_11comp_targetILNS1_3genE9ELNS1_11target_archE1100ELNS1_3gpuE3ELNS1_3repE0EEENS1_30default_config_static_selectorELNS0_4arch9wavefront6targetE1EEEvT1_.has_recursion, 0
	.set _ZN7rocprim17ROCPRIM_400000_NS6detail17trampoline_kernelINS0_14default_configENS1_29reduce_by_key_config_selectorIflN6thrust23THRUST_200600_302600_NS4plusIlEEEEZZNS1_33reduce_by_key_impl_wrapped_configILNS1_25lookback_scan_determinismE0ES3_S9_PfNS6_17constant_iteratorIiNS6_11use_defaultESE_EENS6_10device_ptrIfEENSG_IlEEPmS8_NS6_8equal_toIfEEEE10hipError_tPvRmT2_T3_mT4_T5_T6_T7_T8_P12ihipStream_tbENKUlT_T0_E_clISt17integral_constantIbLb0EES13_EEDaSY_SZ_EUlSY_E_NS1_11comp_targetILNS1_3genE9ELNS1_11target_archE1100ELNS1_3gpuE3ELNS1_3repE0EEENS1_30default_config_static_selectorELNS0_4arch9wavefront6targetE1EEEvT1_.has_indirect_call, 0
	.section	.AMDGPU.csdata,"",@progbits
; Kernel info:
; codeLenInByte = 0
; TotalNumSgprs: 4
; NumVgprs: 0
; ScratchSize: 0
; MemoryBound: 0
; FloatMode: 240
; IeeeMode: 1
; LDSByteSize: 0 bytes/workgroup (compile time only)
; SGPRBlocks: 0
; VGPRBlocks: 0
; NumSGPRsForWavesPerEU: 4
; NumVGPRsForWavesPerEU: 1
; Occupancy: 10
; WaveLimiterHint : 0
; COMPUTE_PGM_RSRC2:SCRATCH_EN: 0
; COMPUTE_PGM_RSRC2:USER_SGPR: 6
; COMPUTE_PGM_RSRC2:TRAP_HANDLER: 0
; COMPUTE_PGM_RSRC2:TGID_X_EN: 1
; COMPUTE_PGM_RSRC2:TGID_Y_EN: 0
; COMPUTE_PGM_RSRC2:TGID_Z_EN: 0
; COMPUTE_PGM_RSRC2:TIDIG_COMP_CNT: 0
	.section	.text._ZN7rocprim17ROCPRIM_400000_NS6detail17trampoline_kernelINS0_14default_configENS1_29reduce_by_key_config_selectorIflN6thrust23THRUST_200600_302600_NS4plusIlEEEEZZNS1_33reduce_by_key_impl_wrapped_configILNS1_25lookback_scan_determinismE0ES3_S9_PfNS6_17constant_iteratorIiNS6_11use_defaultESE_EENS6_10device_ptrIfEENSG_IlEEPmS8_NS6_8equal_toIfEEEE10hipError_tPvRmT2_T3_mT4_T5_T6_T7_T8_P12ihipStream_tbENKUlT_T0_E_clISt17integral_constantIbLb0EES13_EEDaSY_SZ_EUlSY_E_NS1_11comp_targetILNS1_3genE8ELNS1_11target_archE1030ELNS1_3gpuE2ELNS1_3repE0EEENS1_30default_config_static_selectorELNS0_4arch9wavefront6targetE1EEEvT1_,"axG",@progbits,_ZN7rocprim17ROCPRIM_400000_NS6detail17trampoline_kernelINS0_14default_configENS1_29reduce_by_key_config_selectorIflN6thrust23THRUST_200600_302600_NS4plusIlEEEEZZNS1_33reduce_by_key_impl_wrapped_configILNS1_25lookback_scan_determinismE0ES3_S9_PfNS6_17constant_iteratorIiNS6_11use_defaultESE_EENS6_10device_ptrIfEENSG_IlEEPmS8_NS6_8equal_toIfEEEE10hipError_tPvRmT2_T3_mT4_T5_T6_T7_T8_P12ihipStream_tbENKUlT_T0_E_clISt17integral_constantIbLb0EES13_EEDaSY_SZ_EUlSY_E_NS1_11comp_targetILNS1_3genE8ELNS1_11target_archE1030ELNS1_3gpuE2ELNS1_3repE0EEENS1_30default_config_static_selectorELNS0_4arch9wavefront6targetE1EEEvT1_,comdat
	.protected	_ZN7rocprim17ROCPRIM_400000_NS6detail17trampoline_kernelINS0_14default_configENS1_29reduce_by_key_config_selectorIflN6thrust23THRUST_200600_302600_NS4plusIlEEEEZZNS1_33reduce_by_key_impl_wrapped_configILNS1_25lookback_scan_determinismE0ES3_S9_PfNS6_17constant_iteratorIiNS6_11use_defaultESE_EENS6_10device_ptrIfEENSG_IlEEPmS8_NS6_8equal_toIfEEEE10hipError_tPvRmT2_T3_mT4_T5_T6_T7_T8_P12ihipStream_tbENKUlT_T0_E_clISt17integral_constantIbLb0EES13_EEDaSY_SZ_EUlSY_E_NS1_11comp_targetILNS1_3genE8ELNS1_11target_archE1030ELNS1_3gpuE2ELNS1_3repE0EEENS1_30default_config_static_selectorELNS0_4arch9wavefront6targetE1EEEvT1_ ; -- Begin function _ZN7rocprim17ROCPRIM_400000_NS6detail17trampoline_kernelINS0_14default_configENS1_29reduce_by_key_config_selectorIflN6thrust23THRUST_200600_302600_NS4plusIlEEEEZZNS1_33reduce_by_key_impl_wrapped_configILNS1_25lookback_scan_determinismE0ES3_S9_PfNS6_17constant_iteratorIiNS6_11use_defaultESE_EENS6_10device_ptrIfEENSG_IlEEPmS8_NS6_8equal_toIfEEEE10hipError_tPvRmT2_T3_mT4_T5_T6_T7_T8_P12ihipStream_tbENKUlT_T0_E_clISt17integral_constantIbLb0EES13_EEDaSY_SZ_EUlSY_E_NS1_11comp_targetILNS1_3genE8ELNS1_11target_archE1030ELNS1_3gpuE2ELNS1_3repE0EEENS1_30default_config_static_selectorELNS0_4arch9wavefront6targetE1EEEvT1_
	.globl	_ZN7rocprim17ROCPRIM_400000_NS6detail17trampoline_kernelINS0_14default_configENS1_29reduce_by_key_config_selectorIflN6thrust23THRUST_200600_302600_NS4plusIlEEEEZZNS1_33reduce_by_key_impl_wrapped_configILNS1_25lookback_scan_determinismE0ES3_S9_PfNS6_17constant_iteratorIiNS6_11use_defaultESE_EENS6_10device_ptrIfEENSG_IlEEPmS8_NS6_8equal_toIfEEEE10hipError_tPvRmT2_T3_mT4_T5_T6_T7_T8_P12ihipStream_tbENKUlT_T0_E_clISt17integral_constantIbLb0EES13_EEDaSY_SZ_EUlSY_E_NS1_11comp_targetILNS1_3genE8ELNS1_11target_archE1030ELNS1_3gpuE2ELNS1_3repE0EEENS1_30default_config_static_selectorELNS0_4arch9wavefront6targetE1EEEvT1_
	.p2align	8
	.type	_ZN7rocprim17ROCPRIM_400000_NS6detail17trampoline_kernelINS0_14default_configENS1_29reduce_by_key_config_selectorIflN6thrust23THRUST_200600_302600_NS4plusIlEEEEZZNS1_33reduce_by_key_impl_wrapped_configILNS1_25lookback_scan_determinismE0ES3_S9_PfNS6_17constant_iteratorIiNS6_11use_defaultESE_EENS6_10device_ptrIfEENSG_IlEEPmS8_NS6_8equal_toIfEEEE10hipError_tPvRmT2_T3_mT4_T5_T6_T7_T8_P12ihipStream_tbENKUlT_T0_E_clISt17integral_constantIbLb0EES13_EEDaSY_SZ_EUlSY_E_NS1_11comp_targetILNS1_3genE8ELNS1_11target_archE1030ELNS1_3gpuE2ELNS1_3repE0EEENS1_30default_config_static_selectorELNS0_4arch9wavefront6targetE1EEEvT1_,@function
_ZN7rocprim17ROCPRIM_400000_NS6detail17trampoline_kernelINS0_14default_configENS1_29reduce_by_key_config_selectorIflN6thrust23THRUST_200600_302600_NS4plusIlEEEEZZNS1_33reduce_by_key_impl_wrapped_configILNS1_25lookback_scan_determinismE0ES3_S9_PfNS6_17constant_iteratorIiNS6_11use_defaultESE_EENS6_10device_ptrIfEENSG_IlEEPmS8_NS6_8equal_toIfEEEE10hipError_tPvRmT2_T3_mT4_T5_T6_T7_T8_P12ihipStream_tbENKUlT_T0_E_clISt17integral_constantIbLb0EES13_EEDaSY_SZ_EUlSY_E_NS1_11comp_targetILNS1_3genE8ELNS1_11target_archE1030ELNS1_3gpuE2ELNS1_3repE0EEENS1_30default_config_static_selectorELNS0_4arch9wavefront6targetE1EEEvT1_: ; @_ZN7rocprim17ROCPRIM_400000_NS6detail17trampoline_kernelINS0_14default_configENS1_29reduce_by_key_config_selectorIflN6thrust23THRUST_200600_302600_NS4plusIlEEEEZZNS1_33reduce_by_key_impl_wrapped_configILNS1_25lookback_scan_determinismE0ES3_S9_PfNS6_17constant_iteratorIiNS6_11use_defaultESE_EENS6_10device_ptrIfEENSG_IlEEPmS8_NS6_8equal_toIfEEEE10hipError_tPvRmT2_T3_mT4_T5_T6_T7_T8_P12ihipStream_tbENKUlT_T0_E_clISt17integral_constantIbLb0EES13_EEDaSY_SZ_EUlSY_E_NS1_11comp_targetILNS1_3genE8ELNS1_11target_archE1030ELNS1_3gpuE2ELNS1_3repE0EEENS1_30default_config_static_selectorELNS0_4arch9wavefront6targetE1EEEvT1_
; %bb.0:
	.section	.rodata,"a",@progbits
	.p2align	6, 0x0
	.amdhsa_kernel _ZN7rocprim17ROCPRIM_400000_NS6detail17trampoline_kernelINS0_14default_configENS1_29reduce_by_key_config_selectorIflN6thrust23THRUST_200600_302600_NS4plusIlEEEEZZNS1_33reduce_by_key_impl_wrapped_configILNS1_25lookback_scan_determinismE0ES3_S9_PfNS6_17constant_iteratorIiNS6_11use_defaultESE_EENS6_10device_ptrIfEENSG_IlEEPmS8_NS6_8equal_toIfEEEE10hipError_tPvRmT2_T3_mT4_T5_T6_T7_T8_P12ihipStream_tbENKUlT_T0_E_clISt17integral_constantIbLb0EES13_EEDaSY_SZ_EUlSY_E_NS1_11comp_targetILNS1_3genE8ELNS1_11target_archE1030ELNS1_3gpuE2ELNS1_3repE0EEENS1_30default_config_static_selectorELNS0_4arch9wavefront6targetE1EEEvT1_
		.amdhsa_group_segment_fixed_size 0
		.amdhsa_private_segment_fixed_size 0
		.amdhsa_kernarg_size 144
		.amdhsa_user_sgpr_count 6
		.amdhsa_user_sgpr_private_segment_buffer 1
		.amdhsa_user_sgpr_dispatch_ptr 0
		.amdhsa_user_sgpr_queue_ptr 0
		.amdhsa_user_sgpr_kernarg_segment_ptr 1
		.amdhsa_user_sgpr_dispatch_id 0
		.amdhsa_user_sgpr_flat_scratch_init 0
		.amdhsa_user_sgpr_private_segment_size 0
		.amdhsa_uses_dynamic_stack 0
		.amdhsa_system_sgpr_private_segment_wavefront_offset 0
		.amdhsa_system_sgpr_workgroup_id_x 1
		.amdhsa_system_sgpr_workgroup_id_y 0
		.amdhsa_system_sgpr_workgroup_id_z 0
		.amdhsa_system_sgpr_workgroup_info 0
		.amdhsa_system_vgpr_workitem_id 0
		.amdhsa_next_free_vgpr 1
		.amdhsa_next_free_sgpr 0
		.amdhsa_reserve_vcc 0
		.amdhsa_reserve_flat_scratch 0
		.amdhsa_float_round_mode_32 0
		.amdhsa_float_round_mode_16_64 0
		.amdhsa_float_denorm_mode_32 3
		.amdhsa_float_denorm_mode_16_64 3
		.amdhsa_dx10_clamp 1
		.amdhsa_ieee_mode 1
		.amdhsa_fp16_overflow 0
		.amdhsa_exception_fp_ieee_invalid_op 0
		.amdhsa_exception_fp_denorm_src 0
		.amdhsa_exception_fp_ieee_div_zero 0
		.amdhsa_exception_fp_ieee_overflow 0
		.amdhsa_exception_fp_ieee_underflow 0
		.amdhsa_exception_fp_ieee_inexact 0
		.amdhsa_exception_int_div_zero 0
	.end_amdhsa_kernel
	.section	.text._ZN7rocprim17ROCPRIM_400000_NS6detail17trampoline_kernelINS0_14default_configENS1_29reduce_by_key_config_selectorIflN6thrust23THRUST_200600_302600_NS4plusIlEEEEZZNS1_33reduce_by_key_impl_wrapped_configILNS1_25lookback_scan_determinismE0ES3_S9_PfNS6_17constant_iteratorIiNS6_11use_defaultESE_EENS6_10device_ptrIfEENSG_IlEEPmS8_NS6_8equal_toIfEEEE10hipError_tPvRmT2_T3_mT4_T5_T6_T7_T8_P12ihipStream_tbENKUlT_T0_E_clISt17integral_constantIbLb0EES13_EEDaSY_SZ_EUlSY_E_NS1_11comp_targetILNS1_3genE8ELNS1_11target_archE1030ELNS1_3gpuE2ELNS1_3repE0EEENS1_30default_config_static_selectorELNS0_4arch9wavefront6targetE1EEEvT1_,"axG",@progbits,_ZN7rocprim17ROCPRIM_400000_NS6detail17trampoline_kernelINS0_14default_configENS1_29reduce_by_key_config_selectorIflN6thrust23THRUST_200600_302600_NS4plusIlEEEEZZNS1_33reduce_by_key_impl_wrapped_configILNS1_25lookback_scan_determinismE0ES3_S9_PfNS6_17constant_iteratorIiNS6_11use_defaultESE_EENS6_10device_ptrIfEENSG_IlEEPmS8_NS6_8equal_toIfEEEE10hipError_tPvRmT2_T3_mT4_T5_T6_T7_T8_P12ihipStream_tbENKUlT_T0_E_clISt17integral_constantIbLb0EES13_EEDaSY_SZ_EUlSY_E_NS1_11comp_targetILNS1_3genE8ELNS1_11target_archE1030ELNS1_3gpuE2ELNS1_3repE0EEENS1_30default_config_static_selectorELNS0_4arch9wavefront6targetE1EEEvT1_,comdat
.Lfunc_end1914:
	.size	_ZN7rocprim17ROCPRIM_400000_NS6detail17trampoline_kernelINS0_14default_configENS1_29reduce_by_key_config_selectorIflN6thrust23THRUST_200600_302600_NS4plusIlEEEEZZNS1_33reduce_by_key_impl_wrapped_configILNS1_25lookback_scan_determinismE0ES3_S9_PfNS6_17constant_iteratorIiNS6_11use_defaultESE_EENS6_10device_ptrIfEENSG_IlEEPmS8_NS6_8equal_toIfEEEE10hipError_tPvRmT2_T3_mT4_T5_T6_T7_T8_P12ihipStream_tbENKUlT_T0_E_clISt17integral_constantIbLb0EES13_EEDaSY_SZ_EUlSY_E_NS1_11comp_targetILNS1_3genE8ELNS1_11target_archE1030ELNS1_3gpuE2ELNS1_3repE0EEENS1_30default_config_static_selectorELNS0_4arch9wavefront6targetE1EEEvT1_, .Lfunc_end1914-_ZN7rocprim17ROCPRIM_400000_NS6detail17trampoline_kernelINS0_14default_configENS1_29reduce_by_key_config_selectorIflN6thrust23THRUST_200600_302600_NS4plusIlEEEEZZNS1_33reduce_by_key_impl_wrapped_configILNS1_25lookback_scan_determinismE0ES3_S9_PfNS6_17constant_iteratorIiNS6_11use_defaultESE_EENS6_10device_ptrIfEENSG_IlEEPmS8_NS6_8equal_toIfEEEE10hipError_tPvRmT2_T3_mT4_T5_T6_T7_T8_P12ihipStream_tbENKUlT_T0_E_clISt17integral_constantIbLb0EES13_EEDaSY_SZ_EUlSY_E_NS1_11comp_targetILNS1_3genE8ELNS1_11target_archE1030ELNS1_3gpuE2ELNS1_3repE0EEENS1_30default_config_static_selectorELNS0_4arch9wavefront6targetE1EEEvT1_
                                        ; -- End function
	.set _ZN7rocprim17ROCPRIM_400000_NS6detail17trampoline_kernelINS0_14default_configENS1_29reduce_by_key_config_selectorIflN6thrust23THRUST_200600_302600_NS4plusIlEEEEZZNS1_33reduce_by_key_impl_wrapped_configILNS1_25lookback_scan_determinismE0ES3_S9_PfNS6_17constant_iteratorIiNS6_11use_defaultESE_EENS6_10device_ptrIfEENSG_IlEEPmS8_NS6_8equal_toIfEEEE10hipError_tPvRmT2_T3_mT4_T5_T6_T7_T8_P12ihipStream_tbENKUlT_T0_E_clISt17integral_constantIbLb0EES13_EEDaSY_SZ_EUlSY_E_NS1_11comp_targetILNS1_3genE8ELNS1_11target_archE1030ELNS1_3gpuE2ELNS1_3repE0EEENS1_30default_config_static_selectorELNS0_4arch9wavefront6targetE1EEEvT1_.num_vgpr, 0
	.set _ZN7rocprim17ROCPRIM_400000_NS6detail17trampoline_kernelINS0_14default_configENS1_29reduce_by_key_config_selectorIflN6thrust23THRUST_200600_302600_NS4plusIlEEEEZZNS1_33reduce_by_key_impl_wrapped_configILNS1_25lookback_scan_determinismE0ES3_S9_PfNS6_17constant_iteratorIiNS6_11use_defaultESE_EENS6_10device_ptrIfEENSG_IlEEPmS8_NS6_8equal_toIfEEEE10hipError_tPvRmT2_T3_mT4_T5_T6_T7_T8_P12ihipStream_tbENKUlT_T0_E_clISt17integral_constantIbLb0EES13_EEDaSY_SZ_EUlSY_E_NS1_11comp_targetILNS1_3genE8ELNS1_11target_archE1030ELNS1_3gpuE2ELNS1_3repE0EEENS1_30default_config_static_selectorELNS0_4arch9wavefront6targetE1EEEvT1_.num_agpr, 0
	.set _ZN7rocprim17ROCPRIM_400000_NS6detail17trampoline_kernelINS0_14default_configENS1_29reduce_by_key_config_selectorIflN6thrust23THRUST_200600_302600_NS4plusIlEEEEZZNS1_33reduce_by_key_impl_wrapped_configILNS1_25lookback_scan_determinismE0ES3_S9_PfNS6_17constant_iteratorIiNS6_11use_defaultESE_EENS6_10device_ptrIfEENSG_IlEEPmS8_NS6_8equal_toIfEEEE10hipError_tPvRmT2_T3_mT4_T5_T6_T7_T8_P12ihipStream_tbENKUlT_T0_E_clISt17integral_constantIbLb0EES13_EEDaSY_SZ_EUlSY_E_NS1_11comp_targetILNS1_3genE8ELNS1_11target_archE1030ELNS1_3gpuE2ELNS1_3repE0EEENS1_30default_config_static_selectorELNS0_4arch9wavefront6targetE1EEEvT1_.numbered_sgpr, 0
	.set _ZN7rocprim17ROCPRIM_400000_NS6detail17trampoline_kernelINS0_14default_configENS1_29reduce_by_key_config_selectorIflN6thrust23THRUST_200600_302600_NS4plusIlEEEEZZNS1_33reduce_by_key_impl_wrapped_configILNS1_25lookback_scan_determinismE0ES3_S9_PfNS6_17constant_iteratorIiNS6_11use_defaultESE_EENS6_10device_ptrIfEENSG_IlEEPmS8_NS6_8equal_toIfEEEE10hipError_tPvRmT2_T3_mT4_T5_T6_T7_T8_P12ihipStream_tbENKUlT_T0_E_clISt17integral_constantIbLb0EES13_EEDaSY_SZ_EUlSY_E_NS1_11comp_targetILNS1_3genE8ELNS1_11target_archE1030ELNS1_3gpuE2ELNS1_3repE0EEENS1_30default_config_static_selectorELNS0_4arch9wavefront6targetE1EEEvT1_.num_named_barrier, 0
	.set _ZN7rocprim17ROCPRIM_400000_NS6detail17trampoline_kernelINS0_14default_configENS1_29reduce_by_key_config_selectorIflN6thrust23THRUST_200600_302600_NS4plusIlEEEEZZNS1_33reduce_by_key_impl_wrapped_configILNS1_25lookback_scan_determinismE0ES3_S9_PfNS6_17constant_iteratorIiNS6_11use_defaultESE_EENS6_10device_ptrIfEENSG_IlEEPmS8_NS6_8equal_toIfEEEE10hipError_tPvRmT2_T3_mT4_T5_T6_T7_T8_P12ihipStream_tbENKUlT_T0_E_clISt17integral_constantIbLb0EES13_EEDaSY_SZ_EUlSY_E_NS1_11comp_targetILNS1_3genE8ELNS1_11target_archE1030ELNS1_3gpuE2ELNS1_3repE0EEENS1_30default_config_static_selectorELNS0_4arch9wavefront6targetE1EEEvT1_.private_seg_size, 0
	.set _ZN7rocprim17ROCPRIM_400000_NS6detail17trampoline_kernelINS0_14default_configENS1_29reduce_by_key_config_selectorIflN6thrust23THRUST_200600_302600_NS4plusIlEEEEZZNS1_33reduce_by_key_impl_wrapped_configILNS1_25lookback_scan_determinismE0ES3_S9_PfNS6_17constant_iteratorIiNS6_11use_defaultESE_EENS6_10device_ptrIfEENSG_IlEEPmS8_NS6_8equal_toIfEEEE10hipError_tPvRmT2_T3_mT4_T5_T6_T7_T8_P12ihipStream_tbENKUlT_T0_E_clISt17integral_constantIbLb0EES13_EEDaSY_SZ_EUlSY_E_NS1_11comp_targetILNS1_3genE8ELNS1_11target_archE1030ELNS1_3gpuE2ELNS1_3repE0EEENS1_30default_config_static_selectorELNS0_4arch9wavefront6targetE1EEEvT1_.uses_vcc, 0
	.set _ZN7rocprim17ROCPRIM_400000_NS6detail17trampoline_kernelINS0_14default_configENS1_29reduce_by_key_config_selectorIflN6thrust23THRUST_200600_302600_NS4plusIlEEEEZZNS1_33reduce_by_key_impl_wrapped_configILNS1_25lookback_scan_determinismE0ES3_S9_PfNS6_17constant_iteratorIiNS6_11use_defaultESE_EENS6_10device_ptrIfEENSG_IlEEPmS8_NS6_8equal_toIfEEEE10hipError_tPvRmT2_T3_mT4_T5_T6_T7_T8_P12ihipStream_tbENKUlT_T0_E_clISt17integral_constantIbLb0EES13_EEDaSY_SZ_EUlSY_E_NS1_11comp_targetILNS1_3genE8ELNS1_11target_archE1030ELNS1_3gpuE2ELNS1_3repE0EEENS1_30default_config_static_selectorELNS0_4arch9wavefront6targetE1EEEvT1_.uses_flat_scratch, 0
	.set _ZN7rocprim17ROCPRIM_400000_NS6detail17trampoline_kernelINS0_14default_configENS1_29reduce_by_key_config_selectorIflN6thrust23THRUST_200600_302600_NS4plusIlEEEEZZNS1_33reduce_by_key_impl_wrapped_configILNS1_25lookback_scan_determinismE0ES3_S9_PfNS6_17constant_iteratorIiNS6_11use_defaultESE_EENS6_10device_ptrIfEENSG_IlEEPmS8_NS6_8equal_toIfEEEE10hipError_tPvRmT2_T3_mT4_T5_T6_T7_T8_P12ihipStream_tbENKUlT_T0_E_clISt17integral_constantIbLb0EES13_EEDaSY_SZ_EUlSY_E_NS1_11comp_targetILNS1_3genE8ELNS1_11target_archE1030ELNS1_3gpuE2ELNS1_3repE0EEENS1_30default_config_static_selectorELNS0_4arch9wavefront6targetE1EEEvT1_.has_dyn_sized_stack, 0
	.set _ZN7rocprim17ROCPRIM_400000_NS6detail17trampoline_kernelINS0_14default_configENS1_29reduce_by_key_config_selectorIflN6thrust23THRUST_200600_302600_NS4plusIlEEEEZZNS1_33reduce_by_key_impl_wrapped_configILNS1_25lookback_scan_determinismE0ES3_S9_PfNS6_17constant_iteratorIiNS6_11use_defaultESE_EENS6_10device_ptrIfEENSG_IlEEPmS8_NS6_8equal_toIfEEEE10hipError_tPvRmT2_T3_mT4_T5_T6_T7_T8_P12ihipStream_tbENKUlT_T0_E_clISt17integral_constantIbLb0EES13_EEDaSY_SZ_EUlSY_E_NS1_11comp_targetILNS1_3genE8ELNS1_11target_archE1030ELNS1_3gpuE2ELNS1_3repE0EEENS1_30default_config_static_selectorELNS0_4arch9wavefront6targetE1EEEvT1_.has_recursion, 0
	.set _ZN7rocprim17ROCPRIM_400000_NS6detail17trampoline_kernelINS0_14default_configENS1_29reduce_by_key_config_selectorIflN6thrust23THRUST_200600_302600_NS4plusIlEEEEZZNS1_33reduce_by_key_impl_wrapped_configILNS1_25lookback_scan_determinismE0ES3_S9_PfNS6_17constant_iteratorIiNS6_11use_defaultESE_EENS6_10device_ptrIfEENSG_IlEEPmS8_NS6_8equal_toIfEEEE10hipError_tPvRmT2_T3_mT4_T5_T6_T7_T8_P12ihipStream_tbENKUlT_T0_E_clISt17integral_constantIbLb0EES13_EEDaSY_SZ_EUlSY_E_NS1_11comp_targetILNS1_3genE8ELNS1_11target_archE1030ELNS1_3gpuE2ELNS1_3repE0EEENS1_30default_config_static_selectorELNS0_4arch9wavefront6targetE1EEEvT1_.has_indirect_call, 0
	.section	.AMDGPU.csdata,"",@progbits
; Kernel info:
; codeLenInByte = 0
; TotalNumSgprs: 4
; NumVgprs: 0
; ScratchSize: 0
; MemoryBound: 0
; FloatMode: 240
; IeeeMode: 1
; LDSByteSize: 0 bytes/workgroup (compile time only)
; SGPRBlocks: 0
; VGPRBlocks: 0
; NumSGPRsForWavesPerEU: 4
; NumVGPRsForWavesPerEU: 1
; Occupancy: 10
; WaveLimiterHint : 0
; COMPUTE_PGM_RSRC2:SCRATCH_EN: 0
; COMPUTE_PGM_RSRC2:USER_SGPR: 6
; COMPUTE_PGM_RSRC2:TRAP_HANDLER: 0
; COMPUTE_PGM_RSRC2:TGID_X_EN: 1
; COMPUTE_PGM_RSRC2:TGID_Y_EN: 0
; COMPUTE_PGM_RSRC2:TGID_Z_EN: 0
; COMPUTE_PGM_RSRC2:TIDIG_COMP_CNT: 0
	.section	.text._ZN7rocprim17ROCPRIM_400000_NS6detail17trampoline_kernelINS0_14default_configENS1_29reduce_by_key_config_selectorIflN6thrust23THRUST_200600_302600_NS4plusIlEEEEZZNS1_33reduce_by_key_impl_wrapped_configILNS1_25lookback_scan_determinismE0ES3_S9_PfNS6_17constant_iteratorIiNS6_11use_defaultESE_EENS6_10device_ptrIfEENSG_IlEEPmS8_NS6_8equal_toIfEEEE10hipError_tPvRmT2_T3_mT4_T5_T6_T7_T8_P12ihipStream_tbENKUlT_T0_E_clISt17integral_constantIbLb1EES13_EEDaSY_SZ_EUlSY_E_NS1_11comp_targetILNS1_3genE0ELNS1_11target_archE4294967295ELNS1_3gpuE0ELNS1_3repE0EEENS1_30default_config_static_selectorELNS0_4arch9wavefront6targetE1EEEvT1_,"axG",@progbits,_ZN7rocprim17ROCPRIM_400000_NS6detail17trampoline_kernelINS0_14default_configENS1_29reduce_by_key_config_selectorIflN6thrust23THRUST_200600_302600_NS4plusIlEEEEZZNS1_33reduce_by_key_impl_wrapped_configILNS1_25lookback_scan_determinismE0ES3_S9_PfNS6_17constant_iteratorIiNS6_11use_defaultESE_EENS6_10device_ptrIfEENSG_IlEEPmS8_NS6_8equal_toIfEEEE10hipError_tPvRmT2_T3_mT4_T5_T6_T7_T8_P12ihipStream_tbENKUlT_T0_E_clISt17integral_constantIbLb1EES13_EEDaSY_SZ_EUlSY_E_NS1_11comp_targetILNS1_3genE0ELNS1_11target_archE4294967295ELNS1_3gpuE0ELNS1_3repE0EEENS1_30default_config_static_selectorELNS0_4arch9wavefront6targetE1EEEvT1_,comdat
	.protected	_ZN7rocprim17ROCPRIM_400000_NS6detail17trampoline_kernelINS0_14default_configENS1_29reduce_by_key_config_selectorIflN6thrust23THRUST_200600_302600_NS4plusIlEEEEZZNS1_33reduce_by_key_impl_wrapped_configILNS1_25lookback_scan_determinismE0ES3_S9_PfNS6_17constant_iteratorIiNS6_11use_defaultESE_EENS6_10device_ptrIfEENSG_IlEEPmS8_NS6_8equal_toIfEEEE10hipError_tPvRmT2_T3_mT4_T5_T6_T7_T8_P12ihipStream_tbENKUlT_T0_E_clISt17integral_constantIbLb1EES13_EEDaSY_SZ_EUlSY_E_NS1_11comp_targetILNS1_3genE0ELNS1_11target_archE4294967295ELNS1_3gpuE0ELNS1_3repE0EEENS1_30default_config_static_selectorELNS0_4arch9wavefront6targetE1EEEvT1_ ; -- Begin function _ZN7rocprim17ROCPRIM_400000_NS6detail17trampoline_kernelINS0_14default_configENS1_29reduce_by_key_config_selectorIflN6thrust23THRUST_200600_302600_NS4plusIlEEEEZZNS1_33reduce_by_key_impl_wrapped_configILNS1_25lookback_scan_determinismE0ES3_S9_PfNS6_17constant_iteratorIiNS6_11use_defaultESE_EENS6_10device_ptrIfEENSG_IlEEPmS8_NS6_8equal_toIfEEEE10hipError_tPvRmT2_T3_mT4_T5_T6_T7_T8_P12ihipStream_tbENKUlT_T0_E_clISt17integral_constantIbLb1EES13_EEDaSY_SZ_EUlSY_E_NS1_11comp_targetILNS1_3genE0ELNS1_11target_archE4294967295ELNS1_3gpuE0ELNS1_3repE0EEENS1_30default_config_static_selectorELNS0_4arch9wavefront6targetE1EEEvT1_
	.globl	_ZN7rocprim17ROCPRIM_400000_NS6detail17trampoline_kernelINS0_14default_configENS1_29reduce_by_key_config_selectorIflN6thrust23THRUST_200600_302600_NS4plusIlEEEEZZNS1_33reduce_by_key_impl_wrapped_configILNS1_25lookback_scan_determinismE0ES3_S9_PfNS6_17constant_iteratorIiNS6_11use_defaultESE_EENS6_10device_ptrIfEENSG_IlEEPmS8_NS6_8equal_toIfEEEE10hipError_tPvRmT2_T3_mT4_T5_T6_T7_T8_P12ihipStream_tbENKUlT_T0_E_clISt17integral_constantIbLb1EES13_EEDaSY_SZ_EUlSY_E_NS1_11comp_targetILNS1_3genE0ELNS1_11target_archE4294967295ELNS1_3gpuE0ELNS1_3repE0EEENS1_30default_config_static_selectorELNS0_4arch9wavefront6targetE1EEEvT1_
	.p2align	8
	.type	_ZN7rocprim17ROCPRIM_400000_NS6detail17trampoline_kernelINS0_14default_configENS1_29reduce_by_key_config_selectorIflN6thrust23THRUST_200600_302600_NS4plusIlEEEEZZNS1_33reduce_by_key_impl_wrapped_configILNS1_25lookback_scan_determinismE0ES3_S9_PfNS6_17constant_iteratorIiNS6_11use_defaultESE_EENS6_10device_ptrIfEENSG_IlEEPmS8_NS6_8equal_toIfEEEE10hipError_tPvRmT2_T3_mT4_T5_T6_T7_T8_P12ihipStream_tbENKUlT_T0_E_clISt17integral_constantIbLb1EES13_EEDaSY_SZ_EUlSY_E_NS1_11comp_targetILNS1_3genE0ELNS1_11target_archE4294967295ELNS1_3gpuE0ELNS1_3repE0EEENS1_30default_config_static_selectorELNS0_4arch9wavefront6targetE1EEEvT1_,@function
_ZN7rocprim17ROCPRIM_400000_NS6detail17trampoline_kernelINS0_14default_configENS1_29reduce_by_key_config_selectorIflN6thrust23THRUST_200600_302600_NS4plusIlEEEEZZNS1_33reduce_by_key_impl_wrapped_configILNS1_25lookback_scan_determinismE0ES3_S9_PfNS6_17constant_iteratorIiNS6_11use_defaultESE_EENS6_10device_ptrIfEENSG_IlEEPmS8_NS6_8equal_toIfEEEE10hipError_tPvRmT2_T3_mT4_T5_T6_T7_T8_P12ihipStream_tbENKUlT_T0_E_clISt17integral_constantIbLb1EES13_EEDaSY_SZ_EUlSY_E_NS1_11comp_targetILNS1_3genE0ELNS1_11target_archE4294967295ELNS1_3gpuE0ELNS1_3repE0EEENS1_30default_config_static_selectorELNS0_4arch9wavefront6targetE1EEEvT1_: ; @_ZN7rocprim17ROCPRIM_400000_NS6detail17trampoline_kernelINS0_14default_configENS1_29reduce_by_key_config_selectorIflN6thrust23THRUST_200600_302600_NS4plusIlEEEEZZNS1_33reduce_by_key_impl_wrapped_configILNS1_25lookback_scan_determinismE0ES3_S9_PfNS6_17constant_iteratorIiNS6_11use_defaultESE_EENS6_10device_ptrIfEENSG_IlEEPmS8_NS6_8equal_toIfEEEE10hipError_tPvRmT2_T3_mT4_T5_T6_T7_T8_P12ihipStream_tbENKUlT_T0_E_clISt17integral_constantIbLb1EES13_EEDaSY_SZ_EUlSY_E_NS1_11comp_targetILNS1_3genE0ELNS1_11target_archE4294967295ELNS1_3gpuE0ELNS1_3repE0EEENS1_30default_config_static_selectorELNS0_4arch9wavefront6targetE1EEEvT1_
; %bb.0:
	.section	.rodata,"a",@progbits
	.p2align	6, 0x0
	.amdhsa_kernel _ZN7rocprim17ROCPRIM_400000_NS6detail17trampoline_kernelINS0_14default_configENS1_29reduce_by_key_config_selectorIflN6thrust23THRUST_200600_302600_NS4plusIlEEEEZZNS1_33reduce_by_key_impl_wrapped_configILNS1_25lookback_scan_determinismE0ES3_S9_PfNS6_17constant_iteratorIiNS6_11use_defaultESE_EENS6_10device_ptrIfEENSG_IlEEPmS8_NS6_8equal_toIfEEEE10hipError_tPvRmT2_T3_mT4_T5_T6_T7_T8_P12ihipStream_tbENKUlT_T0_E_clISt17integral_constantIbLb1EES13_EEDaSY_SZ_EUlSY_E_NS1_11comp_targetILNS1_3genE0ELNS1_11target_archE4294967295ELNS1_3gpuE0ELNS1_3repE0EEENS1_30default_config_static_selectorELNS0_4arch9wavefront6targetE1EEEvT1_
		.amdhsa_group_segment_fixed_size 0
		.amdhsa_private_segment_fixed_size 0
		.amdhsa_kernarg_size 144
		.amdhsa_user_sgpr_count 6
		.amdhsa_user_sgpr_private_segment_buffer 1
		.amdhsa_user_sgpr_dispatch_ptr 0
		.amdhsa_user_sgpr_queue_ptr 0
		.amdhsa_user_sgpr_kernarg_segment_ptr 1
		.amdhsa_user_sgpr_dispatch_id 0
		.amdhsa_user_sgpr_flat_scratch_init 0
		.amdhsa_user_sgpr_private_segment_size 0
		.amdhsa_uses_dynamic_stack 0
		.amdhsa_system_sgpr_private_segment_wavefront_offset 0
		.amdhsa_system_sgpr_workgroup_id_x 1
		.amdhsa_system_sgpr_workgroup_id_y 0
		.amdhsa_system_sgpr_workgroup_id_z 0
		.amdhsa_system_sgpr_workgroup_info 0
		.amdhsa_system_vgpr_workitem_id 0
		.amdhsa_next_free_vgpr 1
		.amdhsa_next_free_sgpr 0
		.amdhsa_reserve_vcc 0
		.amdhsa_reserve_flat_scratch 0
		.amdhsa_float_round_mode_32 0
		.amdhsa_float_round_mode_16_64 0
		.amdhsa_float_denorm_mode_32 3
		.amdhsa_float_denorm_mode_16_64 3
		.amdhsa_dx10_clamp 1
		.amdhsa_ieee_mode 1
		.amdhsa_fp16_overflow 0
		.amdhsa_exception_fp_ieee_invalid_op 0
		.amdhsa_exception_fp_denorm_src 0
		.amdhsa_exception_fp_ieee_div_zero 0
		.amdhsa_exception_fp_ieee_overflow 0
		.amdhsa_exception_fp_ieee_underflow 0
		.amdhsa_exception_fp_ieee_inexact 0
		.amdhsa_exception_int_div_zero 0
	.end_amdhsa_kernel
	.section	.text._ZN7rocprim17ROCPRIM_400000_NS6detail17trampoline_kernelINS0_14default_configENS1_29reduce_by_key_config_selectorIflN6thrust23THRUST_200600_302600_NS4plusIlEEEEZZNS1_33reduce_by_key_impl_wrapped_configILNS1_25lookback_scan_determinismE0ES3_S9_PfNS6_17constant_iteratorIiNS6_11use_defaultESE_EENS6_10device_ptrIfEENSG_IlEEPmS8_NS6_8equal_toIfEEEE10hipError_tPvRmT2_T3_mT4_T5_T6_T7_T8_P12ihipStream_tbENKUlT_T0_E_clISt17integral_constantIbLb1EES13_EEDaSY_SZ_EUlSY_E_NS1_11comp_targetILNS1_3genE0ELNS1_11target_archE4294967295ELNS1_3gpuE0ELNS1_3repE0EEENS1_30default_config_static_selectorELNS0_4arch9wavefront6targetE1EEEvT1_,"axG",@progbits,_ZN7rocprim17ROCPRIM_400000_NS6detail17trampoline_kernelINS0_14default_configENS1_29reduce_by_key_config_selectorIflN6thrust23THRUST_200600_302600_NS4plusIlEEEEZZNS1_33reduce_by_key_impl_wrapped_configILNS1_25lookback_scan_determinismE0ES3_S9_PfNS6_17constant_iteratorIiNS6_11use_defaultESE_EENS6_10device_ptrIfEENSG_IlEEPmS8_NS6_8equal_toIfEEEE10hipError_tPvRmT2_T3_mT4_T5_T6_T7_T8_P12ihipStream_tbENKUlT_T0_E_clISt17integral_constantIbLb1EES13_EEDaSY_SZ_EUlSY_E_NS1_11comp_targetILNS1_3genE0ELNS1_11target_archE4294967295ELNS1_3gpuE0ELNS1_3repE0EEENS1_30default_config_static_selectorELNS0_4arch9wavefront6targetE1EEEvT1_,comdat
.Lfunc_end1915:
	.size	_ZN7rocprim17ROCPRIM_400000_NS6detail17trampoline_kernelINS0_14default_configENS1_29reduce_by_key_config_selectorIflN6thrust23THRUST_200600_302600_NS4plusIlEEEEZZNS1_33reduce_by_key_impl_wrapped_configILNS1_25lookback_scan_determinismE0ES3_S9_PfNS6_17constant_iteratorIiNS6_11use_defaultESE_EENS6_10device_ptrIfEENSG_IlEEPmS8_NS6_8equal_toIfEEEE10hipError_tPvRmT2_T3_mT4_T5_T6_T7_T8_P12ihipStream_tbENKUlT_T0_E_clISt17integral_constantIbLb1EES13_EEDaSY_SZ_EUlSY_E_NS1_11comp_targetILNS1_3genE0ELNS1_11target_archE4294967295ELNS1_3gpuE0ELNS1_3repE0EEENS1_30default_config_static_selectorELNS0_4arch9wavefront6targetE1EEEvT1_, .Lfunc_end1915-_ZN7rocprim17ROCPRIM_400000_NS6detail17trampoline_kernelINS0_14default_configENS1_29reduce_by_key_config_selectorIflN6thrust23THRUST_200600_302600_NS4plusIlEEEEZZNS1_33reduce_by_key_impl_wrapped_configILNS1_25lookback_scan_determinismE0ES3_S9_PfNS6_17constant_iteratorIiNS6_11use_defaultESE_EENS6_10device_ptrIfEENSG_IlEEPmS8_NS6_8equal_toIfEEEE10hipError_tPvRmT2_T3_mT4_T5_T6_T7_T8_P12ihipStream_tbENKUlT_T0_E_clISt17integral_constantIbLb1EES13_EEDaSY_SZ_EUlSY_E_NS1_11comp_targetILNS1_3genE0ELNS1_11target_archE4294967295ELNS1_3gpuE0ELNS1_3repE0EEENS1_30default_config_static_selectorELNS0_4arch9wavefront6targetE1EEEvT1_
                                        ; -- End function
	.set _ZN7rocprim17ROCPRIM_400000_NS6detail17trampoline_kernelINS0_14default_configENS1_29reduce_by_key_config_selectorIflN6thrust23THRUST_200600_302600_NS4plusIlEEEEZZNS1_33reduce_by_key_impl_wrapped_configILNS1_25lookback_scan_determinismE0ES3_S9_PfNS6_17constant_iteratorIiNS6_11use_defaultESE_EENS6_10device_ptrIfEENSG_IlEEPmS8_NS6_8equal_toIfEEEE10hipError_tPvRmT2_T3_mT4_T5_T6_T7_T8_P12ihipStream_tbENKUlT_T0_E_clISt17integral_constantIbLb1EES13_EEDaSY_SZ_EUlSY_E_NS1_11comp_targetILNS1_3genE0ELNS1_11target_archE4294967295ELNS1_3gpuE0ELNS1_3repE0EEENS1_30default_config_static_selectorELNS0_4arch9wavefront6targetE1EEEvT1_.num_vgpr, 0
	.set _ZN7rocprim17ROCPRIM_400000_NS6detail17trampoline_kernelINS0_14default_configENS1_29reduce_by_key_config_selectorIflN6thrust23THRUST_200600_302600_NS4plusIlEEEEZZNS1_33reduce_by_key_impl_wrapped_configILNS1_25lookback_scan_determinismE0ES3_S9_PfNS6_17constant_iteratorIiNS6_11use_defaultESE_EENS6_10device_ptrIfEENSG_IlEEPmS8_NS6_8equal_toIfEEEE10hipError_tPvRmT2_T3_mT4_T5_T6_T7_T8_P12ihipStream_tbENKUlT_T0_E_clISt17integral_constantIbLb1EES13_EEDaSY_SZ_EUlSY_E_NS1_11comp_targetILNS1_3genE0ELNS1_11target_archE4294967295ELNS1_3gpuE0ELNS1_3repE0EEENS1_30default_config_static_selectorELNS0_4arch9wavefront6targetE1EEEvT1_.num_agpr, 0
	.set _ZN7rocprim17ROCPRIM_400000_NS6detail17trampoline_kernelINS0_14default_configENS1_29reduce_by_key_config_selectorIflN6thrust23THRUST_200600_302600_NS4plusIlEEEEZZNS1_33reduce_by_key_impl_wrapped_configILNS1_25lookback_scan_determinismE0ES3_S9_PfNS6_17constant_iteratorIiNS6_11use_defaultESE_EENS6_10device_ptrIfEENSG_IlEEPmS8_NS6_8equal_toIfEEEE10hipError_tPvRmT2_T3_mT4_T5_T6_T7_T8_P12ihipStream_tbENKUlT_T0_E_clISt17integral_constantIbLb1EES13_EEDaSY_SZ_EUlSY_E_NS1_11comp_targetILNS1_3genE0ELNS1_11target_archE4294967295ELNS1_3gpuE0ELNS1_3repE0EEENS1_30default_config_static_selectorELNS0_4arch9wavefront6targetE1EEEvT1_.numbered_sgpr, 0
	.set _ZN7rocprim17ROCPRIM_400000_NS6detail17trampoline_kernelINS0_14default_configENS1_29reduce_by_key_config_selectorIflN6thrust23THRUST_200600_302600_NS4plusIlEEEEZZNS1_33reduce_by_key_impl_wrapped_configILNS1_25lookback_scan_determinismE0ES3_S9_PfNS6_17constant_iteratorIiNS6_11use_defaultESE_EENS6_10device_ptrIfEENSG_IlEEPmS8_NS6_8equal_toIfEEEE10hipError_tPvRmT2_T3_mT4_T5_T6_T7_T8_P12ihipStream_tbENKUlT_T0_E_clISt17integral_constantIbLb1EES13_EEDaSY_SZ_EUlSY_E_NS1_11comp_targetILNS1_3genE0ELNS1_11target_archE4294967295ELNS1_3gpuE0ELNS1_3repE0EEENS1_30default_config_static_selectorELNS0_4arch9wavefront6targetE1EEEvT1_.num_named_barrier, 0
	.set _ZN7rocprim17ROCPRIM_400000_NS6detail17trampoline_kernelINS0_14default_configENS1_29reduce_by_key_config_selectorIflN6thrust23THRUST_200600_302600_NS4plusIlEEEEZZNS1_33reduce_by_key_impl_wrapped_configILNS1_25lookback_scan_determinismE0ES3_S9_PfNS6_17constant_iteratorIiNS6_11use_defaultESE_EENS6_10device_ptrIfEENSG_IlEEPmS8_NS6_8equal_toIfEEEE10hipError_tPvRmT2_T3_mT4_T5_T6_T7_T8_P12ihipStream_tbENKUlT_T0_E_clISt17integral_constantIbLb1EES13_EEDaSY_SZ_EUlSY_E_NS1_11comp_targetILNS1_3genE0ELNS1_11target_archE4294967295ELNS1_3gpuE0ELNS1_3repE0EEENS1_30default_config_static_selectorELNS0_4arch9wavefront6targetE1EEEvT1_.private_seg_size, 0
	.set _ZN7rocprim17ROCPRIM_400000_NS6detail17trampoline_kernelINS0_14default_configENS1_29reduce_by_key_config_selectorIflN6thrust23THRUST_200600_302600_NS4plusIlEEEEZZNS1_33reduce_by_key_impl_wrapped_configILNS1_25lookback_scan_determinismE0ES3_S9_PfNS6_17constant_iteratorIiNS6_11use_defaultESE_EENS6_10device_ptrIfEENSG_IlEEPmS8_NS6_8equal_toIfEEEE10hipError_tPvRmT2_T3_mT4_T5_T6_T7_T8_P12ihipStream_tbENKUlT_T0_E_clISt17integral_constantIbLb1EES13_EEDaSY_SZ_EUlSY_E_NS1_11comp_targetILNS1_3genE0ELNS1_11target_archE4294967295ELNS1_3gpuE0ELNS1_3repE0EEENS1_30default_config_static_selectorELNS0_4arch9wavefront6targetE1EEEvT1_.uses_vcc, 0
	.set _ZN7rocprim17ROCPRIM_400000_NS6detail17trampoline_kernelINS0_14default_configENS1_29reduce_by_key_config_selectorIflN6thrust23THRUST_200600_302600_NS4plusIlEEEEZZNS1_33reduce_by_key_impl_wrapped_configILNS1_25lookback_scan_determinismE0ES3_S9_PfNS6_17constant_iteratorIiNS6_11use_defaultESE_EENS6_10device_ptrIfEENSG_IlEEPmS8_NS6_8equal_toIfEEEE10hipError_tPvRmT2_T3_mT4_T5_T6_T7_T8_P12ihipStream_tbENKUlT_T0_E_clISt17integral_constantIbLb1EES13_EEDaSY_SZ_EUlSY_E_NS1_11comp_targetILNS1_3genE0ELNS1_11target_archE4294967295ELNS1_3gpuE0ELNS1_3repE0EEENS1_30default_config_static_selectorELNS0_4arch9wavefront6targetE1EEEvT1_.uses_flat_scratch, 0
	.set _ZN7rocprim17ROCPRIM_400000_NS6detail17trampoline_kernelINS0_14default_configENS1_29reduce_by_key_config_selectorIflN6thrust23THRUST_200600_302600_NS4plusIlEEEEZZNS1_33reduce_by_key_impl_wrapped_configILNS1_25lookback_scan_determinismE0ES3_S9_PfNS6_17constant_iteratorIiNS6_11use_defaultESE_EENS6_10device_ptrIfEENSG_IlEEPmS8_NS6_8equal_toIfEEEE10hipError_tPvRmT2_T3_mT4_T5_T6_T7_T8_P12ihipStream_tbENKUlT_T0_E_clISt17integral_constantIbLb1EES13_EEDaSY_SZ_EUlSY_E_NS1_11comp_targetILNS1_3genE0ELNS1_11target_archE4294967295ELNS1_3gpuE0ELNS1_3repE0EEENS1_30default_config_static_selectorELNS0_4arch9wavefront6targetE1EEEvT1_.has_dyn_sized_stack, 0
	.set _ZN7rocprim17ROCPRIM_400000_NS6detail17trampoline_kernelINS0_14default_configENS1_29reduce_by_key_config_selectorIflN6thrust23THRUST_200600_302600_NS4plusIlEEEEZZNS1_33reduce_by_key_impl_wrapped_configILNS1_25lookback_scan_determinismE0ES3_S9_PfNS6_17constant_iteratorIiNS6_11use_defaultESE_EENS6_10device_ptrIfEENSG_IlEEPmS8_NS6_8equal_toIfEEEE10hipError_tPvRmT2_T3_mT4_T5_T6_T7_T8_P12ihipStream_tbENKUlT_T0_E_clISt17integral_constantIbLb1EES13_EEDaSY_SZ_EUlSY_E_NS1_11comp_targetILNS1_3genE0ELNS1_11target_archE4294967295ELNS1_3gpuE0ELNS1_3repE0EEENS1_30default_config_static_selectorELNS0_4arch9wavefront6targetE1EEEvT1_.has_recursion, 0
	.set _ZN7rocprim17ROCPRIM_400000_NS6detail17trampoline_kernelINS0_14default_configENS1_29reduce_by_key_config_selectorIflN6thrust23THRUST_200600_302600_NS4plusIlEEEEZZNS1_33reduce_by_key_impl_wrapped_configILNS1_25lookback_scan_determinismE0ES3_S9_PfNS6_17constant_iteratorIiNS6_11use_defaultESE_EENS6_10device_ptrIfEENSG_IlEEPmS8_NS6_8equal_toIfEEEE10hipError_tPvRmT2_T3_mT4_T5_T6_T7_T8_P12ihipStream_tbENKUlT_T0_E_clISt17integral_constantIbLb1EES13_EEDaSY_SZ_EUlSY_E_NS1_11comp_targetILNS1_3genE0ELNS1_11target_archE4294967295ELNS1_3gpuE0ELNS1_3repE0EEENS1_30default_config_static_selectorELNS0_4arch9wavefront6targetE1EEEvT1_.has_indirect_call, 0
	.section	.AMDGPU.csdata,"",@progbits
; Kernel info:
; codeLenInByte = 0
; TotalNumSgprs: 4
; NumVgprs: 0
; ScratchSize: 0
; MemoryBound: 0
; FloatMode: 240
; IeeeMode: 1
; LDSByteSize: 0 bytes/workgroup (compile time only)
; SGPRBlocks: 0
; VGPRBlocks: 0
; NumSGPRsForWavesPerEU: 4
; NumVGPRsForWavesPerEU: 1
; Occupancy: 10
; WaveLimiterHint : 0
; COMPUTE_PGM_RSRC2:SCRATCH_EN: 0
; COMPUTE_PGM_RSRC2:USER_SGPR: 6
; COMPUTE_PGM_RSRC2:TRAP_HANDLER: 0
; COMPUTE_PGM_RSRC2:TGID_X_EN: 1
; COMPUTE_PGM_RSRC2:TGID_Y_EN: 0
; COMPUTE_PGM_RSRC2:TGID_Z_EN: 0
; COMPUTE_PGM_RSRC2:TIDIG_COMP_CNT: 0
	.section	.text._ZN7rocprim17ROCPRIM_400000_NS6detail17trampoline_kernelINS0_14default_configENS1_29reduce_by_key_config_selectorIflN6thrust23THRUST_200600_302600_NS4plusIlEEEEZZNS1_33reduce_by_key_impl_wrapped_configILNS1_25lookback_scan_determinismE0ES3_S9_PfNS6_17constant_iteratorIiNS6_11use_defaultESE_EENS6_10device_ptrIfEENSG_IlEEPmS8_NS6_8equal_toIfEEEE10hipError_tPvRmT2_T3_mT4_T5_T6_T7_T8_P12ihipStream_tbENKUlT_T0_E_clISt17integral_constantIbLb1EES13_EEDaSY_SZ_EUlSY_E_NS1_11comp_targetILNS1_3genE5ELNS1_11target_archE942ELNS1_3gpuE9ELNS1_3repE0EEENS1_30default_config_static_selectorELNS0_4arch9wavefront6targetE1EEEvT1_,"axG",@progbits,_ZN7rocprim17ROCPRIM_400000_NS6detail17trampoline_kernelINS0_14default_configENS1_29reduce_by_key_config_selectorIflN6thrust23THRUST_200600_302600_NS4plusIlEEEEZZNS1_33reduce_by_key_impl_wrapped_configILNS1_25lookback_scan_determinismE0ES3_S9_PfNS6_17constant_iteratorIiNS6_11use_defaultESE_EENS6_10device_ptrIfEENSG_IlEEPmS8_NS6_8equal_toIfEEEE10hipError_tPvRmT2_T3_mT4_T5_T6_T7_T8_P12ihipStream_tbENKUlT_T0_E_clISt17integral_constantIbLb1EES13_EEDaSY_SZ_EUlSY_E_NS1_11comp_targetILNS1_3genE5ELNS1_11target_archE942ELNS1_3gpuE9ELNS1_3repE0EEENS1_30default_config_static_selectorELNS0_4arch9wavefront6targetE1EEEvT1_,comdat
	.protected	_ZN7rocprim17ROCPRIM_400000_NS6detail17trampoline_kernelINS0_14default_configENS1_29reduce_by_key_config_selectorIflN6thrust23THRUST_200600_302600_NS4plusIlEEEEZZNS1_33reduce_by_key_impl_wrapped_configILNS1_25lookback_scan_determinismE0ES3_S9_PfNS6_17constant_iteratorIiNS6_11use_defaultESE_EENS6_10device_ptrIfEENSG_IlEEPmS8_NS6_8equal_toIfEEEE10hipError_tPvRmT2_T3_mT4_T5_T6_T7_T8_P12ihipStream_tbENKUlT_T0_E_clISt17integral_constantIbLb1EES13_EEDaSY_SZ_EUlSY_E_NS1_11comp_targetILNS1_3genE5ELNS1_11target_archE942ELNS1_3gpuE9ELNS1_3repE0EEENS1_30default_config_static_selectorELNS0_4arch9wavefront6targetE1EEEvT1_ ; -- Begin function _ZN7rocprim17ROCPRIM_400000_NS6detail17trampoline_kernelINS0_14default_configENS1_29reduce_by_key_config_selectorIflN6thrust23THRUST_200600_302600_NS4plusIlEEEEZZNS1_33reduce_by_key_impl_wrapped_configILNS1_25lookback_scan_determinismE0ES3_S9_PfNS6_17constant_iteratorIiNS6_11use_defaultESE_EENS6_10device_ptrIfEENSG_IlEEPmS8_NS6_8equal_toIfEEEE10hipError_tPvRmT2_T3_mT4_T5_T6_T7_T8_P12ihipStream_tbENKUlT_T0_E_clISt17integral_constantIbLb1EES13_EEDaSY_SZ_EUlSY_E_NS1_11comp_targetILNS1_3genE5ELNS1_11target_archE942ELNS1_3gpuE9ELNS1_3repE0EEENS1_30default_config_static_selectorELNS0_4arch9wavefront6targetE1EEEvT1_
	.globl	_ZN7rocprim17ROCPRIM_400000_NS6detail17trampoline_kernelINS0_14default_configENS1_29reduce_by_key_config_selectorIflN6thrust23THRUST_200600_302600_NS4plusIlEEEEZZNS1_33reduce_by_key_impl_wrapped_configILNS1_25lookback_scan_determinismE0ES3_S9_PfNS6_17constant_iteratorIiNS6_11use_defaultESE_EENS6_10device_ptrIfEENSG_IlEEPmS8_NS6_8equal_toIfEEEE10hipError_tPvRmT2_T3_mT4_T5_T6_T7_T8_P12ihipStream_tbENKUlT_T0_E_clISt17integral_constantIbLb1EES13_EEDaSY_SZ_EUlSY_E_NS1_11comp_targetILNS1_3genE5ELNS1_11target_archE942ELNS1_3gpuE9ELNS1_3repE0EEENS1_30default_config_static_selectorELNS0_4arch9wavefront6targetE1EEEvT1_
	.p2align	8
	.type	_ZN7rocprim17ROCPRIM_400000_NS6detail17trampoline_kernelINS0_14default_configENS1_29reduce_by_key_config_selectorIflN6thrust23THRUST_200600_302600_NS4plusIlEEEEZZNS1_33reduce_by_key_impl_wrapped_configILNS1_25lookback_scan_determinismE0ES3_S9_PfNS6_17constant_iteratorIiNS6_11use_defaultESE_EENS6_10device_ptrIfEENSG_IlEEPmS8_NS6_8equal_toIfEEEE10hipError_tPvRmT2_T3_mT4_T5_T6_T7_T8_P12ihipStream_tbENKUlT_T0_E_clISt17integral_constantIbLb1EES13_EEDaSY_SZ_EUlSY_E_NS1_11comp_targetILNS1_3genE5ELNS1_11target_archE942ELNS1_3gpuE9ELNS1_3repE0EEENS1_30default_config_static_selectorELNS0_4arch9wavefront6targetE1EEEvT1_,@function
_ZN7rocprim17ROCPRIM_400000_NS6detail17trampoline_kernelINS0_14default_configENS1_29reduce_by_key_config_selectorIflN6thrust23THRUST_200600_302600_NS4plusIlEEEEZZNS1_33reduce_by_key_impl_wrapped_configILNS1_25lookback_scan_determinismE0ES3_S9_PfNS6_17constant_iteratorIiNS6_11use_defaultESE_EENS6_10device_ptrIfEENSG_IlEEPmS8_NS6_8equal_toIfEEEE10hipError_tPvRmT2_T3_mT4_T5_T6_T7_T8_P12ihipStream_tbENKUlT_T0_E_clISt17integral_constantIbLb1EES13_EEDaSY_SZ_EUlSY_E_NS1_11comp_targetILNS1_3genE5ELNS1_11target_archE942ELNS1_3gpuE9ELNS1_3repE0EEENS1_30default_config_static_selectorELNS0_4arch9wavefront6targetE1EEEvT1_: ; @_ZN7rocprim17ROCPRIM_400000_NS6detail17trampoline_kernelINS0_14default_configENS1_29reduce_by_key_config_selectorIflN6thrust23THRUST_200600_302600_NS4plusIlEEEEZZNS1_33reduce_by_key_impl_wrapped_configILNS1_25lookback_scan_determinismE0ES3_S9_PfNS6_17constant_iteratorIiNS6_11use_defaultESE_EENS6_10device_ptrIfEENSG_IlEEPmS8_NS6_8equal_toIfEEEE10hipError_tPvRmT2_T3_mT4_T5_T6_T7_T8_P12ihipStream_tbENKUlT_T0_E_clISt17integral_constantIbLb1EES13_EEDaSY_SZ_EUlSY_E_NS1_11comp_targetILNS1_3genE5ELNS1_11target_archE942ELNS1_3gpuE9ELNS1_3repE0EEENS1_30default_config_static_selectorELNS0_4arch9wavefront6targetE1EEEvT1_
; %bb.0:
	.section	.rodata,"a",@progbits
	.p2align	6, 0x0
	.amdhsa_kernel _ZN7rocprim17ROCPRIM_400000_NS6detail17trampoline_kernelINS0_14default_configENS1_29reduce_by_key_config_selectorIflN6thrust23THRUST_200600_302600_NS4plusIlEEEEZZNS1_33reduce_by_key_impl_wrapped_configILNS1_25lookback_scan_determinismE0ES3_S9_PfNS6_17constant_iteratorIiNS6_11use_defaultESE_EENS6_10device_ptrIfEENSG_IlEEPmS8_NS6_8equal_toIfEEEE10hipError_tPvRmT2_T3_mT4_T5_T6_T7_T8_P12ihipStream_tbENKUlT_T0_E_clISt17integral_constantIbLb1EES13_EEDaSY_SZ_EUlSY_E_NS1_11comp_targetILNS1_3genE5ELNS1_11target_archE942ELNS1_3gpuE9ELNS1_3repE0EEENS1_30default_config_static_selectorELNS0_4arch9wavefront6targetE1EEEvT1_
		.amdhsa_group_segment_fixed_size 0
		.amdhsa_private_segment_fixed_size 0
		.amdhsa_kernarg_size 144
		.amdhsa_user_sgpr_count 6
		.amdhsa_user_sgpr_private_segment_buffer 1
		.amdhsa_user_sgpr_dispatch_ptr 0
		.amdhsa_user_sgpr_queue_ptr 0
		.amdhsa_user_sgpr_kernarg_segment_ptr 1
		.amdhsa_user_sgpr_dispatch_id 0
		.amdhsa_user_sgpr_flat_scratch_init 0
		.amdhsa_user_sgpr_private_segment_size 0
		.amdhsa_uses_dynamic_stack 0
		.amdhsa_system_sgpr_private_segment_wavefront_offset 0
		.amdhsa_system_sgpr_workgroup_id_x 1
		.amdhsa_system_sgpr_workgroup_id_y 0
		.amdhsa_system_sgpr_workgroup_id_z 0
		.amdhsa_system_sgpr_workgroup_info 0
		.amdhsa_system_vgpr_workitem_id 0
		.amdhsa_next_free_vgpr 1
		.amdhsa_next_free_sgpr 0
		.amdhsa_reserve_vcc 0
		.amdhsa_reserve_flat_scratch 0
		.amdhsa_float_round_mode_32 0
		.amdhsa_float_round_mode_16_64 0
		.amdhsa_float_denorm_mode_32 3
		.amdhsa_float_denorm_mode_16_64 3
		.amdhsa_dx10_clamp 1
		.amdhsa_ieee_mode 1
		.amdhsa_fp16_overflow 0
		.amdhsa_exception_fp_ieee_invalid_op 0
		.amdhsa_exception_fp_denorm_src 0
		.amdhsa_exception_fp_ieee_div_zero 0
		.amdhsa_exception_fp_ieee_overflow 0
		.amdhsa_exception_fp_ieee_underflow 0
		.amdhsa_exception_fp_ieee_inexact 0
		.amdhsa_exception_int_div_zero 0
	.end_amdhsa_kernel
	.section	.text._ZN7rocprim17ROCPRIM_400000_NS6detail17trampoline_kernelINS0_14default_configENS1_29reduce_by_key_config_selectorIflN6thrust23THRUST_200600_302600_NS4plusIlEEEEZZNS1_33reduce_by_key_impl_wrapped_configILNS1_25lookback_scan_determinismE0ES3_S9_PfNS6_17constant_iteratorIiNS6_11use_defaultESE_EENS6_10device_ptrIfEENSG_IlEEPmS8_NS6_8equal_toIfEEEE10hipError_tPvRmT2_T3_mT4_T5_T6_T7_T8_P12ihipStream_tbENKUlT_T0_E_clISt17integral_constantIbLb1EES13_EEDaSY_SZ_EUlSY_E_NS1_11comp_targetILNS1_3genE5ELNS1_11target_archE942ELNS1_3gpuE9ELNS1_3repE0EEENS1_30default_config_static_selectorELNS0_4arch9wavefront6targetE1EEEvT1_,"axG",@progbits,_ZN7rocprim17ROCPRIM_400000_NS6detail17trampoline_kernelINS0_14default_configENS1_29reduce_by_key_config_selectorIflN6thrust23THRUST_200600_302600_NS4plusIlEEEEZZNS1_33reduce_by_key_impl_wrapped_configILNS1_25lookback_scan_determinismE0ES3_S9_PfNS6_17constant_iteratorIiNS6_11use_defaultESE_EENS6_10device_ptrIfEENSG_IlEEPmS8_NS6_8equal_toIfEEEE10hipError_tPvRmT2_T3_mT4_T5_T6_T7_T8_P12ihipStream_tbENKUlT_T0_E_clISt17integral_constantIbLb1EES13_EEDaSY_SZ_EUlSY_E_NS1_11comp_targetILNS1_3genE5ELNS1_11target_archE942ELNS1_3gpuE9ELNS1_3repE0EEENS1_30default_config_static_selectorELNS0_4arch9wavefront6targetE1EEEvT1_,comdat
.Lfunc_end1916:
	.size	_ZN7rocprim17ROCPRIM_400000_NS6detail17trampoline_kernelINS0_14default_configENS1_29reduce_by_key_config_selectorIflN6thrust23THRUST_200600_302600_NS4plusIlEEEEZZNS1_33reduce_by_key_impl_wrapped_configILNS1_25lookback_scan_determinismE0ES3_S9_PfNS6_17constant_iteratorIiNS6_11use_defaultESE_EENS6_10device_ptrIfEENSG_IlEEPmS8_NS6_8equal_toIfEEEE10hipError_tPvRmT2_T3_mT4_T5_T6_T7_T8_P12ihipStream_tbENKUlT_T0_E_clISt17integral_constantIbLb1EES13_EEDaSY_SZ_EUlSY_E_NS1_11comp_targetILNS1_3genE5ELNS1_11target_archE942ELNS1_3gpuE9ELNS1_3repE0EEENS1_30default_config_static_selectorELNS0_4arch9wavefront6targetE1EEEvT1_, .Lfunc_end1916-_ZN7rocprim17ROCPRIM_400000_NS6detail17trampoline_kernelINS0_14default_configENS1_29reduce_by_key_config_selectorIflN6thrust23THRUST_200600_302600_NS4plusIlEEEEZZNS1_33reduce_by_key_impl_wrapped_configILNS1_25lookback_scan_determinismE0ES3_S9_PfNS6_17constant_iteratorIiNS6_11use_defaultESE_EENS6_10device_ptrIfEENSG_IlEEPmS8_NS6_8equal_toIfEEEE10hipError_tPvRmT2_T3_mT4_T5_T6_T7_T8_P12ihipStream_tbENKUlT_T0_E_clISt17integral_constantIbLb1EES13_EEDaSY_SZ_EUlSY_E_NS1_11comp_targetILNS1_3genE5ELNS1_11target_archE942ELNS1_3gpuE9ELNS1_3repE0EEENS1_30default_config_static_selectorELNS0_4arch9wavefront6targetE1EEEvT1_
                                        ; -- End function
	.set _ZN7rocprim17ROCPRIM_400000_NS6detail17trampoline_kernelINS0_14default_configENS1_29reduce_by_key_config_selectorIflN6thrust23THRUST_200600_302600_NS4plusIlEEEEZZNS1_33reduce_by_key_impl_wrapped_configILNS1_25lookback_scan_determinismE0ES3_S9_PfNS6_17constant_iteratorIiNS6_11use_defaultESE_EENS6_10device_ptrIfEENSG_IlEEPmS8_NS6_8equal_toIfEEEE10hipError_tPvRmT2_T3_mT4_T5_T6_T7_T8_P12ihipStream_tbENKUlT_T0_E_clISt17integral_constantIbLb1EES13_EEDaSY_SZ_EUlSY_E_NS1_11comp_targetILNS1_3genE5ELNS1_11target_archE942ELNS1_3gpuE9ELNS1_3repE0EEENS1_30default_config_static_selectorELNS0_4arch9wavefront6targetE1EEEvT1_.num_vgpr, 0
	.set _ZN7rocprim17ROCPRIM_400000_NS6detail17trampoline_kernelINS0_14default_configENS1_29reduce_by_key_config_selectorIflN6thrust23THRUST_200600_302600_NS4plusIlEEEEZZNS1_33reduce_by_key_impl_wrapped_configILNS1_25lookback_scan_determinismE0ES3_S9_PfNS6_17constant_iteratorIiNS6_11use_defaultESE_EENS6_10device_ptrIfEENSG_IlEEPmS8_NS6_8equal_toIfEEEE10hipError_tPvRmT2_T3_mT4_T5_T6_T7_T8_P12ihipStream_tbENKUlT_T0_E_clISt17integral_constantIbLb1EES13_EEDaSY_SZ_EUlSY_E_NS1_11comp_targetILNS1_3genE5ELNS1_11target_archE942ELNS1_3gpuE9ELNS1_3repE0EEENS1_30default_config_static_selectorELNS0_4arch9wavefront6targetE1EEEvT1_.num_agpr, 0
	.set _ZN7rocprim17ROCPRIM_400000_NS6detail17trampoline_kernelINS0_14default_configENS1_29reduce_by_key_config_selectorIflN6thrust23THRUST_200600_302600_NS4plusIlEEEEZZNS1_33reduce_by_key_impl_wrapped_configILNS1_25lookback_scan_determinismE0ES3_S9_PfNS6_17constant_iteratorIiNS6_11use_defaultESE_EENS6_10device_ptrIfEENSG_IlEEPmS8_NS6_8equal_toIfEEEE10hipError_tPvRmT2_T3_mT4_T5_T6_T7_T8_P12ihipStream_tbENKUlT_T0_E_clISt17integral_constantIbLb1EES13_EEDaSY_SZ_EUlSY_E_NS1_11comp_targetILNS1_3genE5ELNS1_11target_archE942ELNS1_3gpuE9ELNS1_3repE0EEENS1_30default_config_static_selectorELNS0_4arch9wavefront6targetE1EEEvT1_.numbered_sgpr, 0
	.set _ZN7rocprim17ROCPRIM_400000_NS6detail17trampoline_kernelINS0_14default_configENS1_29reduce_by_key_config_selectorIflN6thrust23THRUST_200600_302600_NS4plusIlEEEEZZNS1_33reduce_by_key_impl_wrapped_configILNS1_25lookback_scan_determinismE0ES3_S9_PfNS6_17constant_iteratorIiNS6_11use_defaultESE_EENS6_10device_ptrIfEENSG_IlEEPmS8_NS6_8equal_toIfEEEE10hipError_tPvRmT2_T3_mT4_T5_T6_T7_T8_P12ihipStream_tbENKUlT_T0_E_clISt17integral_constantIbLb1EES13_EEDaSY_SZ_EUlSY_E_NS1_11comp_targetILNS1_3genE5ELNS1_11target_archE942ELNS1_3gpuE9ELNS1_3repE0EEENS1_30default_config_static_selectorELNS0_4arch9wavefront6targetE1EEEvT1_.num_named_barrier, 0
	.set _ZN7rocprim17ROCPRIM_400000_NS6detail17trampoline_kernelINS0_14default_configENS1_29reduce_by_key_config_selectorIflN6thrust23THRUST_200600_302600_NS4plusIlEEEEZZNS1_33reduce_by_key_impl_wrapped_configILNS1_25lookback_scan_determinismE0ES3_S9_PfNS6_17constant_iteratorIiNS6_11use_defaultESE_EENS6_10device_ptrIfEENSG_IlEEPmS8_NS6_8equal_toIfEEEE10hipError_tPvRmT2_T3_mT4_T5_T6_T7_T8_P12ihipStream_tbENKUlT_T0_E_clISt17integral_constantIbLb1EES13_EEDaSY_SZ_EUlSY_E_NS1_11comp_targetILNS1_3genE5ELNS1_11target_archE942ELNS1_3gpuE9ELNS1_3repE0EEENS1_30default_config_static_selectorELNS0_4arch9wavefront6targetE1EEEvT1_.private_seg_size, 0
	.set _ZN7rocprim17ROCPRIM_400000_NS6detail17trampoline_kernelINS0_14default_configENS1_29reduce_by_key_config_selectorIflN6thrust23THRUST_200600_302600_NS4plusIlEEEEZZNS1_33reduce_by_key_impl_wrapped_configILNS1_25lookback_scan_determinismE0ES3_S9_PfNS6_17constant_iteratorIiNS6_11use_defaultESE_EENS6_10device_ptrIfEENSG_IlEEPmS8_NS6_8equal_toIfEEEE10hipError_tPvRmT2_T3_mT4_T5_T6_T7_T8_P12ihipStream_tbENKUlT_T0_E_clISt17integral_constantIbLb1EES13_EEDaSY_SZ_EUlSY_E_NS1_11comp_targetILNS1_3genE5ELNS1_11target_archE942ELNS1_3gpuE9ELNS1_3repE0EEENS1_30default_config_static_selectorELNS0_4arch9wavefront6targetE1EEEvT1_.uses_vcc, 0
	.set _ZN7rocprim17ROCPRIM_400000_NS6detail17trampoline_kernelINS0_14default_configENS1_29reduce_by_key_config_selectorIflN6thrust23THRUST_200600_302600_NS4plusIlEEEEZZNS1_33reduce_by_key_impl_wrapped_configILNS1_25lookback_scan_determinismE0ES3_S9_PfNS6_17constant_iteratorIiNS6_11use_defaultESE_EENS6_10device_ptrIfEENSG_IlEEPmS8_NS6_8equal_toIfEEEE10hipError_tPvRmT2_T3_mT4_T5_T6_T7_T8_P12ihipStream_tbENKUlT_T0_E_clISt17integral_constantIbLb1EES13_EEDaSY_SZ_EUlSY_E_NS1_11comp_targetILNS1_3genE5ELNS1_11target_archE942ELNS1_3gpuE9ELNS1_3repE0EEENS1_30default_config_static_selectorELNS0_4arch9wavefront6targetE1EEEvT1_.uses_flat_scratch, 0
	.set _ZN7rocprim17ROCPRIM_400000_NS6detail17trampoline_kernelINS0_14default_configENS1_29reduce_by_key_config_selectorIflN6thrust23THRUST_200600_302600_NS4plusIlEEEEZZNS1_33reduce_by_key_impl_wrapped_configILNS1_25lookback_scan_determinismE0ES3_S9_PfNS6_17constant_iteratorIiNS6_11use_defaultESE_EENS6_10device_ptrIfEENSG_IlEEPmS8_NS6_8equal_toIfEEEE10hipError_tPvRmT2_T3_mT4_T5_T6_T7_T8_P12ihipStream_tbENKUlT_T0_E_clISt17integral_constantIbLb1EES13_EEDaSY_SZ_EUlSY_E_NS1_11comp_targetILNS1_3genE5ELNS1_11target_archE942ELNS1_3gpuE9ELNS1_3repE0EEENS1_30default_config_static_selectorELNS0_4arch9wavefront6targetE1EEEvT1_.has_dyn_sized_stack, 0
	.set _ZN7rocprim17ROCPRIM_400000_NS6detail17trampoline_kernelINS0_14default_configENS1_29reduce_by_key_config_selectorIflN6thrust23THRUST_200600_302600_NS4plusIlEEEEZZNS1_33reduce_by_key_impl_wrapped_configILNS1_25lookback_scan_determinismE0ES3_S9_PfNS6_17constant_iteratorIiNS6_11use_defaultESE_EENS6_10device_ptrIfEENSG_IlEEPmS8_NS6_8equal_toIfEEEE10hipError_tPvRmT2_T3_mT4_T5_T6_T7_T8_P12ihipStream_tbENKUlT_T0_E_clISt17integral_constantIbLb1EES13_EEDaSY_SZ_EUlSY_E_NS1_11comp_targetILNS1_3genE5ELNS1_11target_archE942ELNS1_3gpuE9ELNS1_3repE0EEENS1_30default_config_static_selectorELNS0_4arch9wavefront6targetE1EEEvT1_.has_recursion, 0
	.set _ZN7rocprim17ROCPRIM_400000_NS6detail17trampoline_kernelINS0_14default_configENS1_29reduce_by_key_config_selectorIflN6thrust23THRUST_200600_302600_NS4plusIlEEEEZZNS1_33reduce_by_key_impl_wrapped_configILNS1_25lookback_scan_determinismE0ES3_S9_PfNS6_17constant_iteratorIiNS6_11use_defaultESE_EENS6_10device_ptrIfEENSG_IlEEPmS8_NS6_8equal_toIfEEEE10hipError_tPvRmT2_T3_mT4_T5_T6_T7_T8_P12ihipStream_tbENKUlT_T0_E_clISt17integral_constantIbLb1EES13_EEDaSY_SZ_EUlSY_E_NS1_11comp_targetILNS1_3genE5ELNS1_11target_archE942ELNS1_3gpuE9ELNS1_3repE0EEENS1_30default_config_static_selectorELNS0_4arch9wavefront6targetE1EEEvT1_.has_indirect_call, 0
	.section	.AMDGPU.csdata,"",@progbits
; Kernel info:
; codeLenInByte = 0
; TotalNumSgprs: 4
; NumVgprs: 0
; ScratchSize: 0
; MemoryBound: 0
; FloatMode: 240
; IeeeMode: 1
; LDSByteSize: 0 bytes/workgroup (compile time only)
; SGPRBlocks: 0
; VGPRBlocks: 0
; NumSGPRsForWavesPerEU: 4
; NumVGPRsForWavesPerEU: 1
; Occupancy: 10
; WaveLimiterHint : 0
; COMPUTE_PGM_RSRC2:SCRATCH_EN: 0
; COMPUTE_PGM_RSRC2:USER_SGPR: 6
; COMPUTE_PGM_RSRC2:TRAP_HANDLER: 0
; COMPUTE_PGM_RSRC2:TGID_X_EN: 1
; COMPUTE_PGM_RSRC2:TGID_Y_EN: 0
; COMPUTE_PGM_RSRC2:TGID_Z_EN: 0
; COMPUTE_PGM_RSRC2:TIDIG_COMP_CNT: 0
	.section	.text._ZN7rocprim17ROCPRIM_400000_NS6detail17trampoline_kernelINS0_14default_configENS1_29reduce_by_key_config_selectorIflN6thrust23THRUST_200600_302600_NS4plusIlEEEEZZNS1_33reduce_by_key_impl_wrapped_configILNS1_25lookback_scan_determinismE0ES3_S9_PfNS6_17constant_iteratorIiNS6_11use_defaultESE_EENS6_10device_ptrIfEENSG_IlEEPmS8_NS6_8equal_toIfEEEE10hipError_tPvRmT2_T3_mT4_T5_T6_T7_T8_P12ihipStream_tbENKUlT_T0_E_clISt17integral_constantIbLb1EES13_EEDaSY_SZ_EUlSY_E_NS1_11comp_targetILNS1_3genE4ELNS1_11target_archE910ELNS1_3gpuE8ELNS1_3repE0EEENS1_30default_config_static_selectorELNS0_4arch9wavefront6targetE1EEEvT1_,"axG",@progbits,_ZN7rocprim17ROCPRIM_400000_NS6detail17trampoline_kernelINS0_14default_configENS1_29reduce_by_key_config_selectorIflN6thrust23THRUST_200600_302600_NS4plusIlEEEEZZNS1_33reduce_by_key_impl_wrapped_configILNS1_25lookback_scan_determinismE0ES3_S9_PfNS6_17constant_iteratorIiNS6_11use_defaultESE_EENS6_10device_ptrIfEENSG_IlEEPmS8_NS6_8equal_toIfEEEE10hipError_tPvRmT2_T3_mT4_T5_T6_T7_T8_P12ihipStream_tbENKUlT_T0_E_clISt17integral_constantIbLb1EES13_EEDaSY_SZ_EUlSY_E_NS1_11comp_targetILNS1_3genE4ELNS1_11target_archE910ELNS1_3gpuE8ELNS1_3repE0EEENS1_30default_config_static_selectorELNS0_4arch9wavefront6targetE1EEEvT1_,comdat
	.protected	_ZN7rocprim17ROCPRIM_400000_NS6detail17trampoline_kernelINS0_14default_configENS1_29reduce_by_key_config_selectorIflN6thrust23THRUST_200600_302600_NS4plusIlEEEEZZNS1_33reduce_by_key_impl_wrapped_configILNS1_25lookback_scan_determinismE0ES3_S9_PfNS6_17constant_iteratorIiNS6_11use_defaultESE_EENS6_10device_ptrIfEENSG_IlEEPmS8_NS6_8equal_toIfEEEE10hipError_tPvRmT2_T3_mT4_T5_T6_T7_T8_P12ihipStream_tbENKUlT_T0_E_clISt17integral_constantIbLb1EES13_EEDaSY_SZ_EUlSY_E_NS1_11comp_targetILNS1_3genE4ELNS1_11target_archE910ELNS1_3gpuE8ELNS1_3repE0EEENS1_30default_config_static_selectorELNS0_4arch9wavefront6targetE1EEEvT1_ ; -- Begin function _ZN7rocprim17ROCPRIM_400000_NS6detail17trampoline_kernelINS0_14default_configENS1_29reduce_by_key_config_selectorIflN6thrust23THRUST_200600_302600_NS4plusIlEEEEZZNS1_33reduce_by_key_impl_wrapped_configILNS1_25lookback_scan_determinismE0ES3_S9_PfNS6_17constant_iteratorIiNS6_11use_defaultESE_EENS6_10device_ptrIfEENSG_IlEEPmS8_NS6_8equal_toIfEEEE10hipError_tPvRmT2_T3_mT4_T5_T6_T7_T8_P12ihipStream_tbENKUlT_T0_E_clISt17integral_constantIbLb1EES13_EEDaSY_SZ_EUlSY_E_NS1_11comp_targetILNS1_3genE4ELNS1_11target_archE910ELNS1_3gpuE8ELNS1_3repE0EEENS1_30default_config_static_selectorELNS0_4arch9wavefront6targetE1EEEvT1_
	.globl	_ZN7rocprim17ROCPRIM_400000_NS6detail17trampoline_kernelINS0_14default_configENS1_29reduce_by_key_config_selectorIflN6thrust23THRUST_200600_302600_NS4plusIlEEEEZZNS1_33reduce_by_key_impl_wrapped_configILNS1_25lookback_scan_determinismE0ES3_S9_PfNS6_17constant_iteratorIiNS6_11use_defaultESE_EENS6_10device_ptrIfEENSG_IlEEPmS8_NS6_8equal_toIfEEEE10hipError_tPvRmT2_T3_mT4_T5_T6_T7_T8_P12ihipStream_tbENKUlT_T0_E_clISt17integral_constantIbLb1EES13_EEDaSY_SZ_EUlSY_E_NS1_11comp_targetILNS1_3genE4ELNS1_11target_archE910ELNS1_3gpuE8ELNS1_3repE0EEENS1_30default_config_static_selectorELNS0_4arch9wavefront6targetE1EEEvT1_
	.p2align	8
	.type	_ZN7rocprim17ROCPRIM_400000_NS6detail17trampoline_kernelINS0_14default_configENS1_29reduce_by_key_config_selectorIflN6thrust23THRUST_200600_302600_NS4plusIlEEEEZZNS1_33reduce_by_key_impl_wrapped_configILNS1_25lookback_scan_determinismE0ES3_S9_PfNS6_17constant_iteratorIiNS6_11use_defaultESE_EENS6_10device_ptrIfEENSG_IlEEPmS8_NS6_8equal_toIfEEEE10hipError_tPvRmT2_T3_mT4_T5_T6_T7_T8_P12ihipStream_tbENKUlT_T0_E_clISt17integral_constantIbLb1EES13_EEDaSY_SZ_EUlSY_E_NS1_11comp_targetILNS1_3genE4ELNS1_11target_archE910ELNS1_3gpuE8ELNS1_3repE0EEENS1_30default_config_static_selectorELNS0_4arch9wavefront6targetE1EEEvT1_,@function
_ZN7rocprim17ROCPRIM_400000_NS6detail17trampoline_kernelINS0_14default_configENS1_29reduce_by_key_config_selectorIflN6thrust23THRUST_200600_302600_NS4plusIlEEEEZZNS1_33reduce_by_key_impl_wrapped_configILNS1_25lookback_scan_determinismE0ES3_S9_PfNS6_17constant_iteratorIiNS6_11use_defaultESE_EENS6_10device_ptrIfEENSG_IlEEPmS8_NS6_8equal_toIfEEEE10hipError_tPvRmT2_T3_mT4_T5_T6_T7_T8_P12ihipStream_tbENKUlT_T0_E_clISt17integral_constantIbLb1EES13_EEDaSY_SZ_EUlSY_E_NS1_11comp_targetILNS1_3genE4ELNS1_11target_archE910ELNS1_3gpuE8ELNS1_3repE0EEENS1_30default_config_static_selectorELNS0_4arch9wavefront6targetE1EEEvT1_: ; @_ZN7rocprim17ROCPRIM_400000_NS6detail17trampoline_kernelINS0_14default_configENS1_29reduce_by_key_config_selectorIflN6thrust23THRUST_200600_302600_NS4plusIlEEEEZZNS1_33reduce_by_key_impl_wrapped_configILNS1_25lookback_scan_determinismE0ES3_S9_PfNS6_17constant_iteratorIiNS6_11use_defaultESE_EENS6_10device_ptrIfEENSG_IlEEPmS8_NS6_8equal_toIfEEEE10hipError_tPvRmT2_T3_mT4_T5_T6_T7_T8_P12ihipStream_tbENKUlT_T0_E_clISt17integral_constantIbLb1EES13_EEDaSY_SZ_EUlSY_E_NS1_11comp_targetILNS1_3genE4ELNS1_11target_archE910ELNS1_3gpuE8ELNS1_3repE0EEENS1_30default_config_static_selectorELNS0_4arch9wavefront6targetE1EEEvT1_
; %bb.0:
	.section	.rodata,"a",@progbits
	.p2align	6, 0x0
	.amdhsa_kernel _ZN7rocprim17ROCPRIM_400000_NS6detail17trampoline_kernelINS0_14default_configENS1_29reduce_by_key_config_selectorIflN6thrust23THRUST_200600_302600_NS4plusIlEEEEZZNS1_33reduce_by_key_impl_wrapped_configILNS1_25lookback_scan_determinismE0ES3_S9_PfNS6_17constant_iteratorIiNS6_11use_defaultESE_EENS6_10device_ptrIfEENSG_IlEEPmS8_NS6_8equal_toIfEEEE10hipError_tPvRmT2_T3_mT4_T5_T6_T7_T8_P12ihipStream_tbENKUlT_T0_E_clISt17integral_constantIbLb1EES13_EEDaSY_SZ_EUlSY_E_NS1_11comp_targetILNS1_3genE4ELNS1_11target_archE910ELNS1_3gpuE8ELNS1_3repE0EEENS1_30default_config_static_selectorELNS0_4arch9wavefront6targetE1EEEvT1_
		.amdhsa_group_segment_fixed_size 0
		.amdhsa_private_segment_fixed_size 0
		.amdhsa_kernarg_size 144
		.amdhsa_user_sgpr_count 6
		.amdhsa_user_sgpr_private_segment_buffer 1
		.amdhsa_user_sgpr_dispatch_ptr 0
		.amdhsa_user_sgpr_queue_ptr 0
		.amdhsa_user_sgpr_kernarg_segment_ptr 1
		.amdhsa_user_sgpr_dispatch_id 0
		.amdhsa_user_sgpr_flat_scratch_init 0
		.amdhsa_user_sgpr_private_segment_size 0
		.amdhsa_uses_dynamic_stack 0
		.amdhsa_system_sgpr_private_segment_wavefront_offset 0
		.amdhsa_system_sgpr_workgroup_id_x 1
		.amdhsa_system_sgpr_workgroup_id_y 0
		.amdhsa_system_sgpr_workgroup_id_z 0
		.amdhsa_system_sgpr_workgroup_info 0
		.amdhsa_system_vgpr_workitem_id 0
		.amdhsa_next_free_vgpr 1
		.amdhsa_next_free_sgpr 0
		.amdhsa_reserve_vcc 0
		.amdhsa_reserve_flat_scratch 0
		.amdhsa_float_round_mode_32 0
		.amdhsa_float_round_mode_16_64 0
		.amdhsa_float_denorm_mode_32 3
		.amdhsa_float_denorm_mode_16_64 3
		.amdhsa_dx10_clamp 1
		.amdhsa_ieee_mode 1
		.amdhsa_fp16_overflow 0
		.amdhsa_exception_fp_ieee_invalid_op 0
		.amdhsa_exception_fp_denorm_src 0
		.amdhsa_exception_fp_ieee_div_zero 0
		.amdhsa_exception_fp_ieee_overflow 0
		.amdhsa_exception_fp_ieee_underflow 0
		.amdhsa_exception_fp_ieee_inexact 0
		.amdhsa_exception_int_div_zero 0
	.end_amdhsa_kernel
	.section	.text._ZN7rocprim17ROCPRIM_400000_NS6detail17trampoline_kernelINS0_14default_configENS1_29reduce_by_key_config_selectorIflN6thrust23THRUST_200600_302600_NS4plusIlEEEEZZNS1_33reduce_by_key_impl_wrapped_configILNS1_25lookback_scan_determinismE0ES3_S9_PfNS6_17constant_iteratorIiNS6_11use_defaultESE_EENS6_10device_ptrIfEENSG_IlEEPmS8_NS6_8equal_toIfEEEE10hipError_tPvRmT2_T3_mT4_T5_T6_T7_T8_P12ihipStream_tbENKUlT_T0_E_clISt17integral_constantIbLb1EES13_EEDaSY_SZ_EUlSY_E_NS1_11comp_targetILNS1_3genE4ELNS1_11target_archE910ELNS1_3gpuE8ELNS1_3repE0EEENS1_30default_config_static_selectorELNS0_4arch9wavefront6targetE1EEEvT1_,"axG",@progbits,_ZN7rocprim17ROCPRIM_400000_NS6detail17trampoline_kernelINS0_14default_configENS1_29reduce_by_key_config_selectorIflN6thrust23THRUST_200600_302600_NS4plusIlEEEEZZNS1_33reduce_by_key_impl_wrapped_configILNS1_25lookback_scan_determinismE0ES3_S9_PfNS6_17constant_iteratorIiNS6_11use_defaultESE_EENS6_10device_ptrIfEENSG_IlEEPmS8_NS6_8equal_toIfEEEE10hipError_tPvRmT2_T3_mT4_T5_T6_T7_T8_P12ihipStream_tbENKUlT_T0_E_clISt17integral_constantIbLb1EES13_EEDaSY_SZ_EUlSY_E_NS1_11comp_targetILNS1_3genE4ELNS1_11target_archE910ELNS1_3gpuE8ELNS1_3repE0EEENS1_30default_config_static_selectorELNS0_4arch9wavefront6targetE1EEEvT1_,comdat
.Lfunc_end1917:
	.size	_ZN7rocprim17ROCPRIM_400000_NS6detail17trampoline_kernelINS0_14default_configENS1_29reduce_by_key_config_selectorIflN6thrust23THRUST_200600_302600_NS4plusIlEEEEZZNS1_33reduce_by_key_impl_wrapped_configILNS1_25lookback_scan_determinismE0ES3_S9_PfNS6_17constant_iteratorIiNS6_11use_defaultESE_EENS6_10device_ptrIfEENSG_IlEEPmS8_NS6_8equal_toIfEEEE10hipError_tPvRmT2_T3_mT4_T5_T6_T7_T8_P12ihipStream_tbENKUlT_T0_E_clISt17integral_constantIbLb1EES13_EEDaSY_SZ_EUlSY_E_NS1_11comp_targetILNS1_3genE4ELNS1_11target_archE910ELNS1_3gpuE8ELNS1_3repE0EEENS1_30default_config_static_selectorELNS0_4arch9wavefront6targetE1EEEvT1_, .Lfunc_end1917-_ZN7rocprim17ROCPRIM_400000_NS6detail17trampoline_kernelINS0_14default_configENS1_29reduce_by_key_config_selectorIflN6thrust23THRUST_200600_302600_NS4plusIlEEEEZZNS1_33reduce_by_key_impl_wrapped_configILNS1_25lookback_scan_determinismE0ES3_S9_PfNS6_17constant_iteratorIiNS6_11use_defaultESE_EENS6_10device_ptrIfEENSG_IlEEPmS8_NS6_8equal_toIfEEEE10hipError_tPvRmT2_T3_mT4_T5_T6_T7_T8_P12ihipStream_tbENKUlT_T0_E_clISt17integral_constantIbLb1EES13_EEDaSY_SZ_EUlSY_E_NS1_11comp_targetILNS1_3genE4ELNS1_11target_archE910ELNS1_3gpuE8ELNS1_3repE0EEENS1_30default_config_static_selectorELNS0_4arch9wavefront6targetE1EEEvT1_
                                        ; -- End function
	.set _ZN7rocprim17ROCPRIM_400000_NS6detail17trampoline_kernelINS0_14default_configENS1_29reduce_by_key_config_selectorIflN6thrust23THRUST_200600_302600_NS4plusIlEEEEZZNS1_33reduce_by_key_impl_wrapped_configILNS1_25lookback_scan_determinismE0ES3_S9_PfNS6_17constant_iteratorIiNS6_11use_defaultESE_EENS6_10device_ptrIfEENSG_IlEEPmS8_NS6_8equal_toIfEEEE10hipError_tPvRmT2_T3_mT4_T5_T6_T7_T8_P12ihipStream_tbENKUlT_T0_E_clISt17integral_constantIbLb1EES13_EEDaSY_SZ_EUlSY_E_NS1_11comp_targetILNS1_3genE4ELNS1_11target_archE910ELNS1_3gpuE8ELNS1_3repE0EEENS1_30default_config_static_selectorELNS0_4arch9wavefront6targetE1EEEvT1_.num_vgpr, 0
	.set _ZN7rocprim17ROCPRIM_400000_NS6detail17trampoline_kernelINS0_14default_configENS1_29reduce_by_key_config_selectorIflN6thrust23THRUST_200600_302600_NS4plusIlEEEEZZNS1_33reduce_by_key_impl_wrapped_configILNS1_25lookback_scan_determinismE0ES3_S9_PfNS6_17constant_iteratorIiNS6_11use_defaultESE_EENS6_10device_ptrIfEENSG_IlEEPmS8_NS6_8equal_toIfEEEE10hipError_tPvRmT2_T3_mT4_T5_T6_T7_T8_P12ihipStream_tbENKUlT_T0_E_clISt17integral_constantIbLb1EES13_EEDaSY_SZ_EUlSY_E_NS1_11comp_targetILNS1_3genE4ELNS1_11target_archE910ELNS1_3gpuE8ELNS1_3repE0EEENS1_30default_config_static_selectorELNS0_4arch9wavefront6targetE1EEEvT1_.num_agpr, 0
	.set _ZN7rocprim17ROCPRIM_400000_NS6detail17trampoline_kernelINS0_14default_configENS1_29reduce_by_key_config_selectorIflN6thrust23THRUST_200600_302600_NS4plusIlEEEEZZNS1_33reduce_by_key_impl_wrapped_configILNS1_25lookback_scan_determinismE0ES3_S9_PfNS6_17constant_iteratorIiNS6_11use_defaultESE_EENS6_10device_ptrIfEENSG_IlEEPmS8_NS6_8equal_toIfEEEE10hipError_tPvRmT2_T3_mT4_T5_T6_T7_T8_P12ihipStream_tbENKUlT_T0_E_clISt17integral_constantIbLb1EES13_EEDaSY_SZ_EUlSY_E_NS1_11comp_targetILNS1_3genE4ELNS1_11target_archE910ELNS1_3gpuE8ELNS1_3repE0EEENS1_30default_config_static_selectorELNS0_4arch9wavefront6targetE1EEEvT1_.numbered_sgpr, 0
	.set _ZN7rocprim17ROCPRIM_400000_NS6detail17trampoline_kernelINS0_14default_configENS1_29reduce_by_key_config_selectorIflN6thrust23THRUST_200600_302600_NS4plusIlEEEEZZNS1_33reduce_by_key_impl_wrapped_configILNS1_25lookback_scan_determinismE0ES3_S9_PfNS6_17constant_iteratorIiNS6_11use_defaultESE_EENS6_10device_ptrIfEENSG_IlEEPmS8_NS6_8equal_toIfEEEE10hipError_tPvRmT2_T3_mT4_T5_T6_T7_T8_P12ihipStream_tbENKUlT_T0_E_clISt17integral_constantIbLb1EES13_EEDaSY_SZ_EUlSY_E_NS1_11comp_targetILNS1_3genE4ELNS1_11target_archE910ELNS1_3gpuE8ELNS1_3repE0EEENS1_30default_config_static_selectorELNS0_4arch9wavefront6targetE1EEEvT1_.num_named_barrier, 0
	.set _ZN7rocprim17ROCPRIM_400000_NS6detail17trampoline_kernelINS0_14default_configENS1_29reduce_by_key_config_selectorIflN6thrust23THRUST_200600_302600_NS4plusIlEEEEZZNS1_33reduce_by_key_impl_wrapped_configILNS1_25lookback_scan_determinismE0ES3_S9_PfNS6_17constant_iteratorIiNS6_11use_defaultESE_EENS6_10device_ptrIfEENSG_IlEEPmS8_NS6_8equal_toIfEEEE10hipError_tPvRmT2_T3_mT4_T5_T6_T7_T8_P12ihipStream_tbENKUlT_T0_E_clISt17integral_constantIbLb1EES13_EEDaSY_SZ_EUlSY_E_NS1_11comp_targetILNS1_3genE4ELNS1_11target_archE910ELNS1_3gpuE8ELNS1_3repE0EEENS1_30default_config_static_selectorELNS0_4arch9wavefront6targetE1EEEvT1_.private_seg_size, 0
	.set _ZN7rocprim17ROCPRIM_400000_NS6detail17trampoline_kernelINS0_14default_configENS1_29reduce_by_key_config_selectorIflN6thrust23THRUST_200600_302600_NS4plusIlEEEEZZNS1_33reduce_by_key_impl_wrapped_configILNS1_25lookback_scan_determinismE0ES3_S9_PfNS6_17constant_iteratorIiNS6_11use_defaultESE_EENS6_10device_ptrIfEENSG_IlEEPmS8_NS6_8equal_toIfEEEE10hipError_tPvRmT2_T3_mT4_T5_T6_T7_T8_P12ihipStream_tbENKUlT_T0_E_clISt17integral_constantIbLb1EES13_EEDaSY_SZ_EUlSY_E_NS1_11comp_targetILNS1_3genE4ELNS1_11target_archE910ELNS1_3gpuE8ELNS1_3repE0EEENS1_30default_config_static_selectorELNS0_4arch9wavefront6targetE1EEEvT1_.uses_vcc, 0
	.set _ZN7rocprim17ROCPRIM_400000_NS6detail17trampoline_kernelINS0_14default_configENS1_29reduce_by_key_config_selectorIflN6thrust23THRUST_200600_302600_NS4plusIlEEEEZZNS1_33reduce_by_key_impl_wrapped_configILNS1_25lookback_scan_determinismE0ES3_S9_PfNS6_17constant_iteratorIiNS6_11use_defaultESE_EENS6_10device_ptrIfEENSG_IlEEPmS8_NS6_8equal_toIfEEEE10hipError_tPvRmT2_T3_mT4_T5_T6_T7_T8_P12ihipStream_tbENKUlT_T0_E_clISt17integral_constantIbLb1EES13_EEDaSY_SZ_EUlSY_E_NS1_11comp_targetILNS1_3genE4ELNS1_11target_archE910ELNS1_3gpuE8ELNS1_3repE0EEENS1_30default_config_static_selectorELNS0_4arch9wavefront6targetE1EEEvT1_.uses_flat_scratch, 0
	.set _ZN7rocprim17ROCPRIM_400000_NS6detail17trampoline_kernelINS0_14default_configENS1_29reduce_by_key_config_selectorIflN6thrust23THRUST_200600_302600_NS4plusIlEEEEZZNS1_33reduce_by_key_impl_wrapped_configILNS1_25lookback_scan_determinismE0ES3_S9_PfNS6_17constant_iteratorIiNS6_11use_defaultESE_EENS6_10device_ptrIfEENSG_IlEEPmS8_NS6_8equal_toIfEEEE10hipError_tPvRmT2_T3_mT4_T5_T6_T7_T8_P12ihipStream_tbENKUlT_T0_E_clISt17integral_constantIbLb1EES13_EEDaSY_SZ_EUlSY_E_NS1_11comp_targetILNS1_3genE4ELNS1_11target_archE910ELNS1_3gpuE8ELNS1_3repE0EEENS1_30default_config_static_selectorELNS0_4arch9wavefront6targetE1EEEvT1_.has_dyn_sized_stack, 0
	.set _ZN7rocprim17ROCPRIM_400000_NS6detail17trampoline_kernelINS0_14default_configENS1_29reduce_by_key_config_selectorIflN6thrust23THRUST_200600_302600_NS4plusIlEEEEZZNS1_33reduce_by_key_impl_wrapped_configILNS1_25lookback_scan_determinismE0ES3_S9_PfNS6_17constant_iteratorIiNS6_11use_defaultESE_EENS6_10device_ptrIfEENSG_IlEEPmS8_NS6_8equal_toIfEEEE10hipError_tPvRmT2_T3_mT4_T5_T6_T7_T8_P12ihipStream_tbENKUlT_T0_E_clISt17integral_constantIbLb1EES13_EEDaSY_SZ_EUlSY_E_NS1_11comp_targetILNS1_3genE4ELNS1_11target_archE910ELNS1_3gpuE8ELNS1_3repE0EEENS1_30default_config_static_selectorELNS0_4arch9wavefront6targetE1EEEvT1_.has_recursion, 0
	.set _ZN7rocprim17ROCPRIM_400000_NS6detail17trampoline_kernelINS0_14default_configENS1_29reduce_by_key_config_selectorIflN6thrust23THRUST_200600_302600_NS4plusIlEEEEZZNS1_33reduce_by_key_impl_wrapped_configILNS1_25lookback_scan_determinismE0ES3_S9_PfNS6_17constant_iteratorIiNS6_11use_defaultESE_EENS6_10device_ptrIfEENSG_IlEEPmS8_NS6_8equal_toIfEEEE10hipError_tPvRmT2_T3_mT4_T5_T6_T7_T8_P12ihipStream_tbENKUlT_T0_E_clISt17integral_constantIbLb1EES13_EEDaSY_SZ_EUlSY_E_NS1_11comp_targetILNS1_3genE4ELNS1_11target_archE910ELNS1_3gpuE8ELNS1_3repE0EEENS1_30default_config_static_selectorELNS0_4arch9wavefront6targetE1EEEvT1_.has_indirect_call, 0
	.section	.AMDGPU.csdata,"",@progbits
; Kernel info:
; codeLenInByte = 0
; TotalNumSgprs: 4
; NumVgprs: 0
; ScratchSize: 0
; MemoryBound: 0
; FloatMode: 240
; IeeeMode: 1
; LDSByteSize: 0 bytes/workgroup (compile time only)
; SGPRBlocks: 0
; VGPRBlocks: 0
; NumSGPRsForWavesPerEU: 4
; NumVGPRsForWavesPerEU: 1
; Occupancy: 10
; WaveLimiterHint : 0
; COMPUTE_PGM_RSRC2:SCRATCH_EN: 0
; COMPUTE_PGM_RSRC2:USER_SGPR: 6
; COMPUTE_PGM_RSRC2:TRAP_HANDLER: 0
; COMPUTE_PGM_RSRC2:TGID_X_EN: 1
; COMPUTE_PGM_RSRC2:TGID_Y_EN: 0
; COMPUTE_PGM_RSRC2:TGID_Z_EN: 0
; COMPUTE_PGM_RSRC2:TIDIG_COMP_CNT: 0
	.section	.text._ZN7rocprim17ROCPRIM_400000_NS6detail17trampoline_kernelINS0_14default_configENS1_29reduce_by_key_config_selectorIflN6thrust23THRUST_200600_302600_NS4plusIlEEEEZZNS1_33reduce_by_key_impl_wrapped_configILNS1_25lookback_scan_determinismE0ES3_S9_PfNS6_17constant_iteratorIiNS6_11use_defaultESE_EENS6_10device_ptrIfEENSG_IlEEPmS8_NS6_8equal_toIfEEEE10hipError_tPvRmT2_T3_mT4_T5_T6_T7_T8_P12ihipStream_tbENKUlT_T0_E_clISt17integral_constantIbLb1EES13_EEDaSY_SZ_EUlSY_E_NS1_11comp_targetILNS1_3genE3ELNS1_11target_archE908ELNS1_3gpuE7ELNS1_3repE0EEENS1_30default_config_static_selectorELNS0_4arch9wavefront6targetE1EEEvT1_,"axG",@progbits,_ZN7rocprim17ROCPRIM_400000_NS6detail17trampoline_kernelINS0_14default_configENS1_29reduce_by_key_config_selectorIflN6thrust23THRUST_200600_302600_NS4plusIlEEEEZZNS1_33reduce_by_key_impl_wrapped_configILNS1_25lookback_scan_determinismE0ES3_S9_PfNS6_17constant_iteratorIiNS6_11use_defaultESE_EENS6_10device_ptrIfEENSG_IlEEPmS8_NS6_8equal_toIfEEEE10hipError_tPvRmT2_T3_mT4_T5_T6_T7_T8_P12ihipStream_tbENKUlT_T0_E_clISt17integral_constantIbLb1EES13_EEDaSY_SZ_EUlSY_E_NS1_11comp_targetILNS1_3genE3ELNS1_11target_archE908ELNS1_3gpuE7ELNS1_3repE0EEENS1_30default_config_static_selectorELNS0_4arch9wavefront6targetE1EEEvT1_,comdat
	.protected	_ZN7rocprim17ROCPRIM_400000_NS6detail17trampoline_kernelINS0_14default_configENS1_29reduce_by_key_config_selectorIflN6thrust23THRUST_200600_302600_NS4plusIlEEEEZZNS1_33reduce_by_key_impl_wrapped_configILNS1_25lookback_scan_determinismE0ES3_S9_PfNS6_17constant_iteratorIiNS6_11use_defaultESE_EENS6_10device_ptrIfEENSG_IlEEPmS8_NS6_8equal_toIfEEEE10hipError_tPvRmT2_T3_mT4_T5_T6_T7_T8_P12ihipStream_tbENKUlT_T0_E_clISt17integral_constantIbLb1EES13_EEDaSY_SZ_EUlSY_E_NS1_11comp_targetILNS1_3genE3ELNS1_11target_archE908ELNS1_3gpuE7ELNS1_3repE0EEENS1_30default_config_static_selectorELNS0_4arch9wavefront6targetE1EEEvT1_ ; -- Begin function _ZN7rocprim17ROCPRIM_400000_NS6detail17trampoline_kernelINS0_14default_configENS1_29reduce_by_key_config_selectorIflN6thrust23THRUST_200600_302600_NS4plusIlEEEEZZNS1_33reduce_by_key_impl_wrapped_configILNS1_25lookback_scan_determinismE0ES3_S9_PfNS6_17constant_iteratorIiNS6_11use_defaultESE_EENS6_10device_ptrIfEENSG_IlEEPmS8_NS6_8equal_toIfEEEE10hipError_tPvRmT2_T3_mT4_T5_T6_T7_T8_P12ihipStream_tbENKUlT_T0_E_clISt17integral_constantIbLb1EES13_EEDaSY_SZ_EUlSY_E_NS1_11comp_targetILNS1_3genE3ELNS1_11target_archE908ELNS1_3gpuE7ELNS1_3repE0EEENS1_30default_config_static_selectorELNS0_4arch9wavefront6targetE1EEEvT1_
	.globl	_ZN7rocprim17ROCPRIM_400000_NS6detail17trampoline_kernelINS0_14default_configENS1_29reduce_by_key_config_selectorIflN6thrust23THRUST_200600_302600_NS4plusIlEEEEZZNS1_33reduce_by_key_impl_wrapped_configILNS1_25lookback_scan_determinismE0ES3_S9_PfNS6_17constant_iteratorIiNS6_11use_defaultESE_EENS6_10device_ptrIfEENSG_IlEEPmS8_NS6_8equal_toIfEEEE10hipError_tPvRmT2_T3_mT4_T5_T6_T7_T8_P12ihipStream_tbENKUlT_T0_E_clISt17integral_constantIbLb1EES13_EEDaSY_SZ_EUlSY_E_NS1_11comp_targetILNS1_3genE3ELNS1_11target_archE908ELNS1_3gpuE7ELNS1_3repE0EEENS1_30default_config_static_selectorELNS0_4arch9wavefront6targetE1EEEvT1_
	.p2align	8
	.type	_ZN7rocprim17ROCPRIM_400000_NS6detail17trampoline_kernelINS0_14default_configENS1_29reduce_by_key_config_selectorIflN6thrust23THRUST_200600_302600_NS4plusIlEEEEZZNS1_33reduce_by_key_impl_wrapped_configILNS1_25lookback_scan_determinismE0ES3_S9_PfNS6_17constant_iteratorIiNS6_11use_defaultESE_EENS6_10device_ptrIfEENSG_IlEEPmS8_NS6_8equal_toIfEEEE10hipError_tPvRmT2_T3_mT4_T5_T6_T7_T8_P12ihipStream_tbENKUlT_T0_E_clISt17integral_constantIbLb1EES13_EEDaSY_SZ_EUlSY_E_NS1_11comp_targetILNS1_3genE3ELNS1_11target_archE908ELNS1_3gpuE7ELNS1_3repE0EEENS1_30default_config_static_selectorELNS0_4arch9wavefront6targetE1EEEvT1_,@function
_ZN7rocprim17ROCPRIM_400000_NS6detail17trampoline_kernelINS0_14default_configENS1_29reduce_by_key_config_selectorIflN6thrust23THRUST_200600_302600_NS4plusIlEEEEZZNS1_33reduce_by_key_impl_wrapped_configILNS1_25lookback_scan_determinismE0ES3_S9_PfNS6_17constant_iteratorIiNS6_11use_defaultESE_EENS6_10device_ptrIfEENSG_IlEEPmS8_NS6_8equal_toIfEEEE10hipError_tPvRmT2_T3_mT4_T5_T6_T7_T8_P12ihipStream_tbENKUlT_T0_E_clISt17integral_constantIbLb1EES13_EEDaSY_SZ_EUlSY_E_NS1_11comp_targetILNS1_3genE3ELNS1_11target_archE908ELNS1_3gpuE7ELNS1_3repE0EEENS1_30default_config_static_selectorELNS0_4arch9wavefront6targetE1EEEvT1_: ; @_ZN7rocprim17ROCPRIM_400000_NS6detail17trampoline_kernelINS0_14default_configENS1_29reduce_by_key_config_selectorIflN6thrust23THRUST_200600_302600_NS4plusIlEEEEZZNS1_33reduce_by_key_impl_wrapped_configILNS1_25lookback_scan_determinismE0ES3_S9_PfNS6_17constant_iteratorIiNS6_11use_defaultESE_EENS6_10device_ptrIfEENSG_IlEEPmS8_NS6_8equal_toIfEEEE10hipError_tPvRmT2_T3_mT4_T5_T6_T7_T8_P12ihipStream_tbENKUlT_T0_E_clISt17integral_constantIbLb1EES13_EEDaSY_SZ_EUlSY_E_NS1_11comp_targetILNS1_3genE3ELNS1_11target_archE908ELNS1_3gpuE7ELNS1_3repE0EEENS1_30default_config_static_selectorELNS0_4arch9wavefront6targetE1EEEvT1_
; %bb.0:
	.section	.rodata,"a",@progbits
	.p2align	6, 0x0
	.amdhsa_kernel _ZN7rocprim17ROCPRIM_400000_NS6detail17trampoline_kernelINS0_14default_configENS1_29reduce_by_key_config_selectorIflN6thrust23THRUST_200600_302600_NS4plusIlEEEEZZNS1_33reduce_by_key_impl_wrapped_configILNS1_25lookback_scan_determinismE0ES3_S9_PfNS6_17constant_iteratorIiNS6_11use_defaultESE_EENS6_10device_ptrIfEENSG_IlEEPmS8_NS6_8equal_toIfEEEE10hipError_tPvRmT2_T3_mT4_T5_T6_T7_T8_P12ihipStream_tbENKUlT_T0_E_clISt17integral_constantIbLb1EES13_EEDaSY_SZ_EUlSY_E_NS1_11comp_targetILNS1_3genE3ELNS1_11target_archE908ELNS1_3gpuE7ELNS1_3repE0EEENS1_30default_config_static_selectorELNS0_4arch9wavefront6targetE1EEEvT1_
		.amdhsa_group_segment_fixed_size 0
		.amdhsa_private_segment_fixed_size 0
		.amdhsa_kernarg_size 144
		.amdhsa_user_sgpr_count 6
		.amdhsa_user_sgpr_private_segment_buffer 1
		.amdhsa_user_sgpr_dispatch_ptr 0
		.amdhsa_user_sgpr_queue_ptr 0
		.amdhsa_user_sgpr_kernarg_segment_ptr 1
		.amdhsa_user_sgpr_dispatch_id 0
		.amdhsa_user_sgpr_flat_scratch_init 0
		.amdhsa_user_sgpr_private_segment_size 0
		.amdhsa_uses_dynamic_stack 0
		.amdhsa_system_sgpr_private_segment_wavefront_offset 0
		.amdhsa_system_sgpr_workgroup_id_x 1
		.amdhsa_system_sgpr_workgroup_id_y 0
		.amdhsa_system_sgpr_workgroup_id_z 0
		.amdhsa_system_sgpr_workgroup_info 0
		.amdhsa_system_vgpr_workitem_id 0
		.amdhsa_next_free_vgpr 1
		.amdhsa_next_free_sgpr 0
		.amdhsa_reserve_vcc 0
		.amdhsa_reserve_flat_scratch 0
		.amdhsa_float_round_mode_32 0
		.amdhsa_float_round_mode_16_64 0
		.amdhsa_float_denorm_mode_32 3
		.amdhsa_float_denorm_mode_16_64 3
		.amdhsa_dx10_clamp 1
		.amdhsa_ieee_mode 1
		.amdhsa_fp16_overflow 0
		.amdhsa_exception_fp_ieee_invalid_op 0
		.amdhsa_exception_fp_denorm_src 0
		.amdhsa_exception_fp_ieee_div_zero 0
		.amdhsa_exception_fp_ieee_overflow 0
		.amdhsa_exception_fp_ieee_underflow 0
		.amdhsa_exception_fp_ieee_inexact 0
		.amdhsa_exception_int_div_zero 0
	.end_amdhsa_kernel
	.section	.text._ZN7rocprim17ROCPRIM_400000_NS6detail17trampoline_kernelINS0_14default_configENS1_29reduce_by_key_config_selectorIflN6thrust23THRUST_200600_302600_NS4plusIlEEEEZZNS1_33reduce_by_key_impl_wrapped_configILNS1_25lookback_scan_determinismE0ES3_S9_PfNS6_17constant_iteratorIiNS6_11use_defaultESE_EENS6_10device_ptrIfEENSG_IlEEPmS8_NS6_8equal_toIfEEEE10hipError_tPvRmT2_T3_mT4_T5_T6_T7_T8_P12ihipStream_tbENKUlT_T0_E_clISt17integral_constantIbLb1EES13_EEDaSY_SZ_EUlSY_E_NS1_11comp_targetILNS1_3genE3ELNS1_11target_archE908ELNS1_3gpuE7ELNS1_3repE0EEENS1_30default_config_static_selectorELNS0_4arch9wavefront6targetE1EEEvT1_,"axG",@progbits,_ZN7rocprim17ROCPRIM_400000_NS6detail17trampoline_kernelINS0_14default_configENS1_29reduce_by_key_config_selectorIflN6thrust23THRUST_200600_302600_NS4plusIlEEEEZZNS1_33reduce_by_key_impl_wrapped_configILNS1_25lookback_scan_determinismE0ES3_S9_PfNS6_17constant_iteratorIiNS6_11use_defaultESE_EENS6_10device_ptrIfEENSG_IlEEPmS8_NS6_8equal_toIfEEEE10hipError_tPvRmT2_T3_mT4_T5_T6_T7_T8_P12ihipStream_tbENKUlT_T0_E_clISt17integral_constantIbLb1EES13_EEDaSY_SZ_EUlSY_E_NS1_11comp_targetILNS1_3genE3ELNS1_11target_archE908ELNS1_3gpuE7ELNS1_3repE0EEENS1_30default_config_static_selectorELNS0_4arch9wavefront6targetE1EEEvT1_,comdat
.Lfunc_end1918:
	.size	_ZN7rocprim17ROCPRIM_400000_NS6detail17trampoline_kernelINS0_14default_configENS1_29reduce_by_key_config_selectorIflN6thrust23THRUST_200600_302600_NS4plusIlEEEEZZNS1_33reduce_by_key_impl_wrapped_configILNS1_25lookback_scan_determinismE0ES3_S9_PfNS6_17constant_iteratorIiNS6_11use_defaultESE_EENS6_10device_ptrIfEENSG_IlEEPmS8_NS6_8equal_toIfEEEE10hipError_tPvRmT2_T3_mT4_T5_T6_T7_T8_P12ihipStream_tbENKUlT_T0_E_clISt17integral_constantIbLb1EES13_EEDaSY_SZ_EUlSY_E_NS1_11comp_targetILNS1_3genE3ELNS1_11target_archE908ELNS1_3gpuE7ELNS1_3repE0EEENS1_30default_config_static_selectorELNS0_4arch9wavefront6targetE1EEEvT1_, .Lfunc_end1918-_ZN7rocprim17ROCPRIM_400000_NS6detail17trampoline_kernelINS0_14default_configENS1_29reduce_by_key_config_selectorIflN6thrust23THRUST_200600_302600_NS4plusIlEEEEZZNS1_33reduce_by_key_impl_wrapped_configILNS1_25lookback_scan_determinismE0ES3_S9_PfNS6_17constant_iteratorIiNS6_11use_defaultESE_EENS6_10device_ptrIfEENSG_IlEEPmS8_NS6_8equal_toIfEEEE10hipError_tPvRmT2_T3_mT4_T5_T6_T7_T8_P12ihipStream_tbENKUlT_T0_E_clISt17integral_constantIbLb1EES13_EEDaSY_SZ_EUlSY_E_NS1_11comp_targetILNS1_3genE3ELNS1_11target_archE908ELNS1_3gpuE7ELNS1_3repE0EEENS1_30default_config_static_selectorELNS0_4arch9wavefront6targetE1EEEvT1_
                                        ; -- End function
	.set _ZN7rocprim17ROCPRIM_400000_NS6detail17trampoline_kernelINS0_14default_configENS1_29reduce_by_key_config_selectorIflN6thrust23THRUST_200600_302600_NS4plusIlEEEEZZNS1_33reduce_by_key_impl_wrapped_configILNS1_25lookback_scan_determinismE0ES3_S9_PfNS6_17constant_iteratorIiNS6_11use_defaultESE_EENS6_10device_ptrIfEENSG_IlEEPmS8_NS6_8equal_toIfEEEE10hipError_tPvRmT2_T3_mT4_T5_T6_T7_T8_P12ihipStream_tbENKUlT_T0_E_clISt17integral_constantIbLb1EES13_EEDaSY_SZ_EUlSY_E_NS1_11comp_targetILNS1_3genE3ELNS1_11target_archE908ELNS1_3gpuE7ELNS1_3repE0EEENS1_30default_config_static_selectorELNS0_4arch9wavefront6targetE1EEEvT1_.num_vgpr, 0
	.set _ZN7rocprim17ROCPRIM_400000_NS6detail17trampoline_kernelINS0_14default_configENS1_29reduce_by_key_config_selectorIflN6thrust23THRUST_200600_302600_NS4plusIlEEEEZZNS1_33reduce_by_key_impl_wrapped_configILNS1_25lookback_scan_determinismE0ES3_S9_PfNS6_17constant_iteratorIiNS6_11use_defaultESE_EENS6_10device_ptrIfEENSG_IlEEPmS8_NS6_8equal_toIfEEEE10hipError_tPvRmT2_T3_mT4_T5_T6_T7_T8_P12ihipStream_tbENKUlT_T0_E_clISt17integral_constantIbLb1EES13_EEDaSY_SZ_EUlSY_E_NS1_11comp_targetILNS1_3genE3ELNS1_11target_archE908ELNS1_3gpuE7ELNS1_3repE0EEENS1_30default_config_static_selectorELNS0_4arch9wavefront6targetE1EEEvT1_.num_agpr, 0
	.set _ZN7rocprim17ROCPRIM_400000_NS6detail17trampoline_kernelINS0_14default_configENS1_29reduce_by_key_config_selectorIflN6thrust23THRUST_200600_302600_NS4plusIlEEEEZZNS1_33reduce_by_key_impl_wrapped_configILNS1_25lookback_scan_determinismE0ES3_S9_PfNS6_17constant_iteratorIiNS6_11use_defaultESE_EENS6_10device_ptrIfEENSG_IlEEPmS8_NS6_8equal_toIfEEEE10hipError_tPvRmT2_T3_mT4_T5_T6_T7_T8_P12ihipStream_tbENKUlT_T0_E_clISt17integral_constantIbLb1EES13_EEDaSY_SZ_EUlSY_E_NS1_11comp_targetILNS1_3genE3ELNS1_11target_archE908ELNS1_3gpuE7ELNS1_3repE0EEENS1_30default_config_static_selectorELNS0_4arch9wavefront6targetE1EEEvT1_.numbered_sgpr, 0
	.set _ZN7rocprim17ROCPRIM_400000_NS6detail17trampoline_kernelINS0_14default_configENS1_29reduce_by_key_config_selectorIflN6thrust23THRUST_200600_302600_NS4plusIlEEEEZZNS1_33reduce_by_key_impl_wrapped_configILNS1_25lookback_scan_determinismE0ES3_S9_PfNS6_17constant_iteratorIiNS6_11use_defaultESE_EENS6_10device_ptrIfEENSG_IlEEPmS8_NS6_8equal_toIfEEEE10hipError_tPvRmT2_T3_mT4_T5_T6_T7_T8_P12ihipStream_tbENKUlT_T0_E_clISt17integral_constantIbLb1EES13_EEDaSY_SZ_EUlSY_E_NS1_11comp_targetILNS1_3genE3ELNS1_11target_archE908ELNS1_3gpuE7ELNS1_3repE0EEENS1_30default_config_static_selectorELNS0_4arch9wavefront6targetE1EEEvT1_.num_named_barrier, 0
	.set _ZN7rocprim17ROCPRIM_400000_NS6detail17trampoline_kernelINS0_14default_configENS1_29reduce_by_key_config_selectorIflN6thrust23THRUST_200600_302600_NS4plusIlEEEEZZNS1_33reduce_by_key_impl_wrapped_configILNS1_25lookback_scan_determinismE0ES3_S9_PfNS6_17constant_iteratorIiNS6_11use_defaultESE_EENS6_10device_ptrIfEENSG_IlEEPmS8_NS6_8equal_toIfEEEE10hipError_tPvRmT2_T3_mT4_T5_T6_T7_T8_P12ihipStream_tbENKUlT_T0_E_clISt17integral_constantIbLb1EES13_EEDaSY_SZ_EUlSY_E_NS1_11comp_targetILNS1_3genE3ELNS1_11target_archE908ELNS1_3gpuE7ELNS1_3repE0EEENS1_30default_config_static_selectorELNS0_4arch9wavefront6targetE1EEEvT1_.private_seg_size, 0
	.set _ZN7rocprim17ROCPRIM_400000_NS6detail17trampoline_kernelINS0_14default_configENS1_29reduce_by_key_config_selectorIflN6thrust23THRUST_200600_302600_NS4plusIlEEEEZZNS1_33reduce_by_key_impl_wrapped_configILNS1_25lookback_scan_determinismE0ES3_S9_PfNS6_17constant_iteratorIiNS6_11use_defaultESE_EENS6_10device_ptrIfEENSG_IlEEPmS8_NS6_8equal_toIfEEEE10hipError_tPvRmT2_T3_mT4_T5_T6_T7_T8_P12ihipStream_tbENKUlT_T0_E_clISt17integral_constantIbLb1EES13_EEDaSY_SZ_EUlSY_E_NS1_11comp_targetILNS1_3genE3ELNS1_11target_archE908ELNS1_3gpuE7ELNS1_3repE0EEENS1_30default_config_static_selectorELNS0_4arch9wavefront6targetE1EEEvT1_.uses_vcc, 0
	.set _ZN7rocprim17ROCPRIM_400000_NS6detail17trampoline_kernelINS0_14default_configENS1_29reduce_by_key_config_selectorIflN6thrust23THRUST_200600_302600_NS4plusIlEEEEZZNS1_33reduce_by_key_impl_wrapped_configILNS1_25lookback_scan_determinismE0ES3_S9_PfNS6_17constant_iteratorIiNS6_11use_defaultESE_EENS6_10device_ptrIfEENSG_IlEEPmS8_NS6_8equal_toIfEEEE10hipError_tPvRmT2_T3_mT4_T5_T6_T7_T8_P12ihipStream_tbENKUlT_T0_E_clISt17integral_constantIbLb1EES13_EEDaSY_SZ_EUlSY_E_NS1_11comp_targetILNS1_3genE3ELNS1_11target_archE908ELNS1_3gpuE7ELNS1_3repE0EEENS1_30default_config_static_selectorELNS0_4arch9wavefront6targetE1EEEvT1_.uses_flat_scratch, 0
	.set _ZN7rocprim17ROCPRIM_400000_NS6detail17trampoline_kernelINS0_14default_configENS1_29reduce_by_key_config_selectorIflN6thrust23THRUST_200600_302600_NS4plusIlEEEEZZNS1_33reduce_by_key_impl_wrapped_configILNS1_25lookback_scan_determinismE0ES3_S9_PfNS6_17constant_iteratorIiNS6_11use_defaultESE_EENS6_10device_ptrIfEENSG_IlEEPmS8_NS6_8equal_toIfEEEE10hipError_tPvRmT2_T3_mT4_T5_T6_T7_T8_P12ihipStream_tbENKUlT_T0_E_clISt17integral_constantIbLb1EES13_EEDaSY_SZ_EUlSY_E_NS1_11comp_targetILNS1_3genE3ELNS1_11target_archE908ELNS1_3gpuE7ELNS1_3repE0EEENS1_30default_config_static_selectorELNS0_4arch9wavefront6targetE1EEEvT1_.has_dyn_sized_stack, 0
	.set _ZN7rocprim17ROCPRIM_400000_NS6detail17trampoline_kernelINS0_14default_configENS1_29reduce_by_key_config_selectorIflN6thrust23THRUST_200600_302600_NS4plusIlEEEEZZNS1_33reduce_by_key_impl_wrapped_configILNS1_25lookback_scan_determinismE0ES3_S9_PfNS6_17constant_iteratorIiNS6_11use_defaultESE_EENS6_10device_ptrIfEENSG_IlEEPmS8_NS6_8equal_toIfEEEE10hipError_tPvRmT2_T3_mT4_T5_T6_T7_T8_P12ihipStream_tbENKUlT_T0_E_clISt17integral_constantIbLb1EES13_EEDaSY_SZ_EUlSY_E_NS1_11comp_targetILNS1_3genE3ELNS1_11target_archE908ELNS1_3gpuE7ELNS1_3repE0EEENS1_30default_config_static_selectorELNS0_4arch9wavefront6targetE1EEEvT1_.has_recursion, 0
	.set _ZN7rocprim17ROCPRIM_400000_NS6detail17trampoline_kernelINS0_14default_configENS1_29reduce_by_key_config_selectorIflN6thrust23THRUST_200600_302600_NS4plusIlEEEEZZNS1_33reduce_by_key_impl_wrapped_configILNS1_25lookback_scan_determinismE0ES3_S9_PfNS6_17constant_iteratorIiNS6_11use_defaultESE_EENS6_10device_ptrIfEENSG_IlEEPmS8_NS6_8equal_toIfEEEE10hipError_tPvRmT2_T3_mT4_T5_T6_T7_T8_P12ihipStream_tbENKUlT_T0_E_clISt17integral_constantIbLb1EES13_EEDaSY_SZ_EUlSY_E_NS1_11comp_targetILNS1_3genE3ELNS1_11target_archE908ELNS1_3gpuE7ELNS1_3repE0EEENS1_30default_config_static_selectorELNS0_4arch9wavefront6targetE1EEEvT1_.has_indirect_call, 0
	.section	.AMDGPU.csdata,"",@progbits
; Kernel info:
; codeLenInByte = 0
; TotalNumSgprs: 4
; NumVgprs: 0
; ScratchSize: 0
; MemoryBound: 0
; FloatMode: 240
; IeeeMode: 1
; LDSByteSize: 0 bytes/workgroup (compile time only)
; SGPRBlocks: 0
; VGPRBlocks: 0
; NumSGPRsForWavesPerEU: 4
; NumVGPRsForWavesPerEU: 1
; Occupancy: 10
; WaveLimiterHint : 0
; COMPUTE_PGM_RSRC2:SCRATCH_EN: 0
; COMPUTE_PGM_RSRC2:USER_SGPR: 6
; COMPUTE_PGM_RSRC2:TRAP_HANDLER: 0
; COMPUTE_PGM_RSRC2:TGID_X_EN: 1
; COMPUTE_PGM_RSRC2:TGID_Y_EN: 0
; COMPUTE_PGM_RSRC2:TGID_Z_EN: 0
; COMPUTE_PGM_RSRC2:TIDIG_COMP_CNT: 0
	.section	.text._ZN7rocprim17ROCPRIM_400000_NS6detail17trampoline_kernelINS0_14default_configENS1_29reduce_by_key_config_selectorIflN6thrust23THRUST_200600_302600_NS4plusIlEEEEZZNS1_33reduce_by_key_impl_wrapped_configILNS1_25lookback_scan_determinismE0ES3_S9_PfNS6_17constant_iteratorIiNS6_11use_defaultESE_EENS6_10device_ptrIfEENSG_IlEEPmS8_NS6_8equal_toIfEEEE10hipError_tPvRmT2_T3_mT4_T5_T6_T7_T8_P12ihipStream_tbENKUlT_T0_E_clISt17integral_constantIbLb1EES13_EEDaSY_SZ_EUlSY_E_NS1_11comp_targetILNS1_3genE2ELNS1_11target_archE906ELNS1_3gpuE6ELNS1_3repE0EEENS1_30default_config_static_selectorELNS0_4arch9wavefront6targetE1EEEvT1_,"axG",@progbits,_ZN7rocprim17ROCPRIM_400000_NS6detail17trampoline_kernelINS0_14default_configENS1_29reduce_by_key_config_selectorIflN6thrust23THRUST_200600_302600_NS4plusIlEEEEZZNS1_33reduce_by_key_impl_wrapped_configILNS1_25lookback_scan_determinismE0ES3_S9_PfNS6_17constant_iteratorIiNS6_11use_defaultESE_EENS6_10device_ptrIfEENSG_IlEEPmS8_NS6_8equal_toIfEEEE10hipError_tPvRmT2_T3_mT4_T5_T6_T7_T8_P12ihipStream_tbENKUlT_T0_E_clISt17integral_constantIbLb1EES13_EEDaSY_SZ_EUlSY_E_NS1_11comp_targetILNS1_3genE2ELNS1_11target_archE906ELNS1_3gpuE6ELNS1_3repE0EEENS1_30default_config_static_selectorELNS0_4arch9wavefront6targetE1EEEvT1_,comdat
	.protected	_ZN7rocprim17ROCPRIM_400000_NS6detail17trampoline_kernelINS0_14default_configENS1_29reduce_by_key_config_selectorIflN6thrust23THRUST_200600_302600_NS4plusIlEEEEZZNS1_33reduce_by_key_impl_wrapped_configILNS1_25lookback_scan_determinismE0ES3_S9_PfNS6_17constant_iteratorIiNS6_11use_defaultESE_EENS6_10device_ptrIfEENSG_IlEEPmS8_NS6_8equal_toIfEEEE10hipError_tPvRmT2_T3_mT4_T5_T6_T7_T8_P12ihipStream_tbENKUlT_T0_E_clISt17integral_constantIbLb1EES13_EEDaSY_SZ_EUlSY_E_NS1_11comp_targetILNS1_3genE2ELNS1_11target_archE906ELNS1_3gpuE6ELNS1_3repE0EEENS1_30default_config_static_selectorELNS0_4arch9wavefront6targetE1EEEvT1_ ; -- Begin function _ZN7rocprim17ROCPRIM_400000_NS6detail17trampoline_kernelINS0_14default_configENS1_29reduce_by_key_config_selectorIflN6thrust23THRUST_200600_302600_NS4plusIlEEEEZZNS1_33reduce_by_key_impl_wrapped_configILNS1_25lookback_scan_determinismE0ES3_S9_PfNS6_17constant_iteratorIiNS6_11use_defaultESE_EENS6_10device_ptrIfEENSG_IlEEPmS8_NS6_8equal_toIfEEEE10hipError_tPvRmT2_T3_mT4_T5_T6_T7_T8_P12ihipStream_tbENKUlT_T0_E_clISt17integral_constantIbLb1EES13_EEDaSY_SZ_EUlSY_E_NS1_11comp_targetILNS1_3genE2ELNS1_11target_archE906ELNS1_3gpuE6ELNS1_3repE0EEENS1_30default_config_static_selectorELNS0_4arch9wavefront6targetE1EEEvT1_
	.globl	_ZN7rocprim17ROCPRIM_400000_NS6detail17trampoline_kernelINS0_14default_configENS1_29reduce_by_key_config_selectorIflN6thrust23THRUST_200600_302600_NS4plusIlEEEEZZNS1_33reduce_by_key_impl_wrapped_configILNS1_25lookback_scan_determinismE0ES3_S9_PfNS6_17constant_iteratorIiNS6_11use_defaultESE_EENS6_10device_ptrIfEENSG_IlEEPmS8_NS6_8equal_toIfEEEE10hipError_tPvRmT2_T3_mT4_T5_T6_T7_T8_P12ihipStream_tbENKUlT_T0_E_clISt17integral_constantIbLb1EES13_EEDaSY_SZ_EUlSY_E_NS1_11comp_targetILNS1_3genE2ELNS1_11target_archE906ELNS1_3gpuE6ELNS1_3repE0EEENS1_30default_config_static_selectorELNS0_4arch9wavefront6targetE1EEEvT1_
	.p2align	8
	.type	_ZN7rocprim17ROCPRIM_400000_NS6detail17trampoline_kernelINS0_14default_configENS1_29reduce_by_key_config_selectorIflN6thrust23THRUST_200600_302600_NS4plusIlEEEEZZNS1_33reduce_by_key_impl_wrapped_configILNS1_25lookback_scan_determinismE0ES3_S9_PfNS6_17constant_iteratorIiNS6_11use_defaultESE_EENS6_10device_ptrIfEENSG_IlEEPmS8_NS6_8equal_toIfEEEE10hipError_tPvRmT2_T3_mT4_T5_T6_T7_T8_P12ihipStream_tbENKUlT_T0_E_clISt17integral_constantIbLb1EES13_EEDaSY_SZ_EUlSY_E_NS1_11comp_targetILNS1_3genE2ELNS1_11target_archE906ELNS1_3gpuE6ELNS1_3repE0EEENS1_30default_config_static_selectorELNS0_4arch9wavefront6targetE1EEEvT1_,@function
_ZN7rocprim17ROCPRIM_400000_NS6detail17trampoline_kernelINS0_14default_configENS1_29reduce_by_key_config_selectorIflN6thrust23THRUST_200600_302600_NS4plusIlEEEEZZNS1_33reduce_by_key_impl_wrapped_configILNS1_25lookback_scan_determinismE0ES3_S9_PfNS6_17constant_iteratorIiNS6_11use_defaultESE_EENS6_10device_ptrIfEENSG_IlEEPmS8_NS6_8equal_toIfEEEE10hipError_tPvRmT2_T3_mT4_T5_T6_T7_T8_P12ihipStream_tbENKUlT_T0_E_clISt17integral_constantIbLb1EES13_EEDaSY_SZ_EUlSY_E_NS1_11comp_targetILNS1_3genE2ELNS1_11target_archE906ELNS1_3gpuE6ELNS1_3repE0EEENS1_30default_config_static_selectorELNS0_4arch9wavefront6targetE1EEEvT1_: ; @_ZN7rocprim17ROCPRIM_400000_NS6detail17trampoline_kernelINS0_14default_configENS1_29reduce_by_key_config_selectorIflN6thrust23THRUST_200600_302600_NS4plusIlEEEEZZNS1_33reduce_by_key_impl_wrapped_configILNS1_25lookback_scan_determinismE0ES3_S9_PfNS6_17constant_iteratorIiNS6_11use_defaultESE_EENS6_10device_ptrIfEENSG_IlEEPmS8_NS6_8equal_toIfEEEE10hipError_tPvRmT2_T3_mT4_T5_T6_T7_T8_P12ihipStream_tbENKUlT_T0_E_clISt17integral_constantIbLb1EES13_EEDaSY_SZ_EUlSY_E_NS1_11comp_targetILNS1_3genE2ELNS1_11target_archE906ELNS1_3gpuE6ELNS1_3repE0EEENS1_30default_config_static_selectorELNS0_4arch9wavefront6targetE1EEEvT1_
; %bb.0:
	s_endpgm
	.section	.rodata,"a",@progbits
	.p2align	6, 0x0
	.amdhsa_kernel _ZN7rocprim17ROCPRIM_400000_NS6detail17trampoline_kernelINS0_14default_configENS1_29reduce_by_key_config_selectorIflN6thrust23THRUST_200600_302600_NS4plusIlEEEEZZNS1_33reduce_by_key_impl_wrapped_configILNS1_25lookback_scan_determinismE0ES3_S9_PfNS6_17constant_iteratorIiNS6_11use_defaultESE_EENS6_10device_ptrIfEENSG_IlEEPmS8_NS6_8equal_toIfEEEE10hipError_tPvRmT2_T3_mT4_T5_T6_T7_T8_P12ihipStream_tbENKUlT_T0_E_clISt17integral_constantIbLb1EES13_EEDaSY_SZ_EUlSY_E_NS1_11comp_targetILNS1_3genE2ELNS1_11target_archE906ELNS1_3gpuE6ELNS1_3repE0EEENS1_30default_config_static_selectorELNS0_4arch9wavefront6targetE1EEEvT1_
		.amdhsa_group_segment_fixed_size 0
		.amdhsa_private_segment_fixed_size 0
		.amdhsa_kernarg_size 144
		.amdhsa_user_sgpr_count 6
		.amdhsa_user_sgpr_private_segment_buffer 1
		.amdhsa_user_sgpr_dispatch_ptr 0
		.amdhsa_user_sgpr_queue_ptr 0
		.amdhsa_user_sgpr_kernarg_segment_ptr 1
		.amdhsa_user_sgpr_dispatch_id 0
		.amdhsa_user_sgpr_flat_scratch_init 0
		.amdhsa_user_sgpr_private_segment_size 0
		.amdhsa_uses_dynamic_stack 0
		.amdhsa_system_sgpr_private_segment_wavefront_offset 0
		.amdhsa_system_sgpr_workgroup_id_x 1
		.amdhsa_system_sgpr_workgroup_id_y 0
		.amdhsa_system_sgpr_workgroup_id_z 0
		.amdhsa_system_sgpr_workgroup_info 0
		.amdhsa_system_vgpr_workitem_id 0
		.amdhsa_next_free_vgpr 1
		.amdhsa_next_free_sgpr 0
		.amdhsa_reserve_vcc 0
		.amdhsa_reserve_flat_scratch 0
		.amdhsa_float_round_mode_32 0
		.amdhsa_float_round_mode_16_64 0
		.amdhsa_float_denorm_mode_32 3
		.amdhsa_float_denorm_mode_16_64 3
		.amdhsa_dx10_clamp 1
		.amdhsa_ieee_mode 1
		.amdhsa_fp16_overflow 0
		.amdhsa_exception_fp_ieee_invalid_op 0
		.amdhsa_exception_fp_denorm_src 0
		.amdhsa_exception_fp_ieee_div_zero 0
		.amdhsa_exception_fp_ieee_overflow 0
		.amdhsa_exception_fp_ieee_underflow 0
		.amdhsa_exception_fp_ieee_inexact 0
		.amdhsa_exception_int_div_zero 0
	.end_amdhsa_kernel
	.section	.text._ZN7rocprim17ROCPRIM_400000_NS6detail17trampoline_kernelINS0_14default_configENS1_29reduce_by_key_config_selectorIflN6thrust23THRUST_200600_302600_NS4plusIlEEEEZZNS1_33reduce_by_key_impl_wrapped_configILNS1_25lookback_scan_determinismE0ES3_S9_PfNS6_17constant_iteratorIiNS6_11use_defaultESE_EENS6_10device_ptrIfEENSG_IlEEPmS8_NS6_8equal_toIfEEEE10hipError_tPvRmT2_T3_mT4_T5_T6_T7_T8_P12ihipStream_tbENKUlT_T0_E_clISt17integral_constantIbLb1EES13_EEDaSY_SZ_EUlSY_E_NS1_11comp_targetILNS1_3genE2ELNS1_11target_archE906ELNS1_3gpuE6ELNS1_3repE0EEENS1_30default_config_static_selectorELNS0_4arch9wavefront6targetE1EEEvT1_,"axG",@progbits,_ZN7rocprim17ROCPRIM_400000_NS6detail17trampoline_kernelINS0_14default_configENS1_29reduce_by_key_config_selectorIflN6thrust23THRUST_200600_302600_NS4plusIlEEEEZZNS1_33reduce_by_key_impl_wrapped_configILNS1_25lookback_scan_determinismE0ES3_S9_PfNS6_17constant_iteratorIiNS6_11use_defaultESE_EENS6_10device_ptrIfEENSG_IlEEPmS8_NS6_8equal_toIfEEEE10hipError_tPvRmT2_T3_mT4_T5_T6_T7_T8_P12ihipStream_tbENKUlT_T0_E_clISt17integral_constantIbLb1EES13_EEDaSY_SZ_EUlSY_E_NS1_11comp_targetILNS1_3genE2ELNS1_11target_archE906ELNS1_3gpuE6ELNS1_3repE0EEENS1_30default_config_static_selectorELNS0_4arch9wavefront6targetE1EEEvT1_,comdat
.Lfunc_end1919:
	.size	_ZN7rocprim17ROCPRIM_400000_NS6detail17trampoline_kernelINS0_14default_configENS1_29reduce_by_key_config_selectorIflN6thrust23THRUST_200600_302600_NS4plusIlEEEEZZNS1_33reduce_by_key_impl_wrapped_configILNS1_25lookback_scan_determinismE0ES3_S9_PfNS6_17constant_iteratorIiNS6_11use_defaultESE_EENS6_10device_ptrIfEENSG_IlEEPmS8_NS6_8equal_toIfEEEE10hipError_tPvRmT2_T3_mT4_T5_T6_T7_T8_P12ihipStream_tbENKUlT_T0_E_clISt17integral_constantIbLb1EES13_EEDaSY_SZ_EUlSY_E_NS1_11comp_targetILNS1_3genE2ELNS1_11target_archE906ELNS1_3gpuE6ELNS1_3repE0EEENS1_30default_config_static_selectorELNS0_4arch9wavefront6targetE1EEEvT1_, .Lfunc_end1919-_ZN7rocprim17ROCPRIM_400000_NS6detail17trampoline_kernelINS0_14default_configENS1_29reduce_by_key_config_selectorIflN6thrust23THRUST_200600_302600_NS4plusIlEEEEZZNS1_33reduce_by_key_impl_wrapped_configILNS1_25lookback_scan_determinismE0ES3_S9_PfNS6_17constant_iteratorIiNS6_11use_defaultESE_EENS6_10device_ptrIfEENSG_IlEEPmS8_NS6_8equal_toIfEEEE10hipError_tPvRmT2_T3_mT4_T5_T6_T7_T8_P12ihipStream_tbENKUlT_T0_E_clISt17integral_constantIbLb1EES13_EEDaSY_SZ_EUlSY_E_NS1_11comp_targetILNS1_3genE2ELNS1_11target_archE906ELNS1_3gpuE6ELNS1_3repE0EEENS1_30default_config_static_selectorELNS0_4arch9wavefront6targetE1EEEvT1_
                                        ; -- End function
	.set _ZN7rocprim17ROCPRIM_400000_NS6detail17trampoline_kernelINS0_14default_configENS1_29reduce_by_key_config_selectorIflN6thrust23THRUST_200600_302600_NS4plusIlEEEEZZNS1_33reduce_by_key_impl_wrapped_configILNS1_25lookback_scan_determinismE0ES3_S9_PfNS6_17constant_iteratorIiNS6_11use_defaultESE_EENS6_10device_ptrIfEENSG_IlEEPmS8_NS6_8equal_toIfEEEE10hipError_tPvRmT2_T3_mT4_T5_T6_T7_T8_P12ihipStream_tbENKUlT_T0_E_clISt17integral_constantIbLb1EES13_EEDaSY_SZ_EUlSY_E_NS1_11comp_targetILNS1_3genE2ELNS1_11target_archE906ELNS1_3gpuE6ELNS1_3repE0EEENS1_30default_config_static_selectorELNS0_4arch9wavefront6targetE1EEEvT1_.num_vgpr, 0
	.set _ZN7rocprim17ROCPRIM_400000_NS6detail17trampoline_kernelINS0_14default_configENS1_29reduce_by_key_config_selectorIflN6thrust23THRUST_200600_302600_NS4plusIlEEEEZZNS1_33reduce_by_key_impl_wrapped_configILNS1_25lookback_scan_determinismE0ES3_S9_PfNS6_17constant_iteratorIiNS6_11use_defaultESE_EENS6_10device_ptrIfEENSG_IlEEPmS8_NS6_8equal_toIfEEEE10hipError_tPvRmT2_T3_mT4_T5_T6_T7_T8_P12ihipStream_tbENKUlT_T0_E_clISt17integral_constantIbLb1EES13_EEDaSY_SZ_EUlSY_E_NS1_11comp_targetILNS1_3genE2ELNS1_11target_archE906ELNS1_3gpuE6ELNS1_3repE0EEENS1_30default_config_static_selectorELNS0_4arch9wavefront6targetE1EEEvT1_.num_agpr, 0
	.set _ZN7rocprim17ROCPRIM_400000_NS6detail17trampoline_kernelINS0_14default_configENS1_29reduce_by_key_config_selectorIflN6thrust23THRUST_200600_302600_NS4plusIlEEEEZZNS1_33reduce_by_key_impl_wrapped_configILNS1_25lookback_scan_determinismE0ES3_S9_PfNS6_17constant_iteratorIiNS6_11use_defaultESE_EENS6_10device_ptrIfEENSG_IlEEPmS8_NS6_8equal_toIfEEEE10hipError_tPvRmT2_T3_mT4_T5_T6_T7_T8_P12ihipStream_tbENKUlT_T0_E_clISt17integral_constantIbLb1EES13_EEDaSY_SZ_EUlSY_E_NS1_11comp_targetILNS1_3genE2ELNS1_11target_archE906ELNS1_3gpuE6ELNS1_3repE0EEENS1_30default_config_static_selectorELNS0_4arch9wavefront6targetE1EEEvT1_.numbered_sgpr, 0
	.set _ZN7rocprim17ROCPRIM_400000_NS6detail17trampoline_kernelINS0_14default_configENS1_29reduce_by_key_config_selectorIflN6thrust23THRUST_200600_302600_NS4plusIlEEEEZZNS1_33reduce_by_key_impl_wrapped_configILNS1_25lookback_scan_determinismE0ES3_S9_PfNS6_17constant_iteratorIiNS6_11use_defaultESE_EENS6_10device_ptrIfEENSG_IlEEPmS8_NS6_8equal_toIfEEEE10hipError_tPvRmT2_T3_mT4_T5_T6_T7_T8_P12ihipStream_tbENKUlT_T0_E_clISt17integral_constantIbLb1EES13_EEDaSY_SZ_EUlSY_E_NS1_11comp_targetILNS1_3genE2ELNS1_11target_archE906ELNS1_3gpuE6ELNS1_3repE0EEENS1_30default_config_static_selectorELNS0_4arch9wavefront6targetE1EEEvT1_.num_named_barrier, 0
	.set _ZN7rocprim17ROCPRIM_400000_NS6detail17trampoline_kernelINS0_14default_configENS1_29reduce_by_key_config_selectorIflN6thrust23THRUST_200600_302600_NS4plusIlEEEEZZNS1_33reduce_by_key_impl_wrapped_configILNS1_25lookback_scan_determinismE0ES3_S9_PfNS6_17constant_iteratorIiNS6_11use_defaultESE_EENS6_10device_ptrIfEENSG_IlEEPmS8_NS6_8equal_toIfEEEE10hipError_tPvRmT2_T3_mT4_T5_T6_T7_T8_P12ihipStream_tbENKUlT_T0_E_clISt17integral_constantIbLb1EES13_EEDaSY_SZ_EUlSY_E_NS1_11comp_targetILNS1_3genE2ELNS1_11target_archE906ELNS1_3gpuE6ELNS1_3repE0EEENS1_30default_config_static_selectorELNS0_4arch9wavefront6targetE1EEEvT1_.private_seg_size, 0
	.set _ZN7rocprim17ROCPRIM_400000_NS6detail17trampoline_kernelINS0_14default_configENS1_29reduce_by_key_config_selectorIflN6thrust23THRUST_200600_302600_NS4plusIlEEEEZZNS1_33reduce_by_key_impl_wrapped_configILNS1_25lookback_scan_determinismE0ES3_S9_PfNS6_17constant_iteratorIiNS6_11use_defaultESE_EENS6_10device_ptrIfEENSG_IlEEPmS8_NS6_8equal_toIfEEEE10hipError_tPvRmT2_T3_mT4_T5_T6_T7_T8_P12ihipStream_tbENKUlT_T0_E_clISt17integral_constantIbLb1EES13_EEDaSY_SZ_EUlSY_E_NS1_11comp_targetILNS1_3genE2ELNS1_11target_archE906ELNS1_3gpuE6ELNS1_3repE0EEENS1_30default_config_static_selectorELNS0_4arch9wavefront6targetE1EEEvT1_.uses_vcc, 0
	.set _ZN7rocprim17ROCPRIM_400000_NS6detail17trampoline_kernelINS0_14default_configENS1_29reduce_by_key_config_selectorIflN6thrust23THRUST_200600_302600_NS4plusIlEEEEZZNS1_33reduce_by_key_impl_wrapped_configILNS1_25lookback_scan_determinismE0ES3_S9_PfNS6_17constant_iteratorIiNS6_11use_defaultESE_EENS6_10device_ptrIfEENSG_IlEEPmS8_NS6_8equal_toIfEEEE10hipError_tPvRmT2_T3_mT4_T5_T6_T7_T8_P12ihipStream_tbENKUlT_T0_E_clISt17integral_constantIbLb1EES13_EEDaSY_SZ_EUlSY_E_NS1_11comp_targetILNS1_3genE2ELNS1_11target_archE906ELNS1_3gpuE6ELNS1_3repE0EEENS1_30default_config_static_selectorELNS0_4arch9wavefront6targetE1EEEvT1_.uses_flat_scratch, 0
	.set _ZN7rocprim17ROCPRIM_400000_NS6detail17trampoline_kernelINS0_14default_configENS1_29reduce_by_key_config_selectorIflN6thrust23THRUST_200600_302600_NS4plusIlEEEEZZNS1_33reduce_by_key_impl_wrapped_configILNS1_25lookback_scan_determinismE0ES3_S9_PfNS6_17constant_iteratorIiNS6_11use_defaultESE_EENS6_10device_ptrIfEENSG_IlEEPmS8_NS6_8equal_toIfEEEE10hipError_tPvRmT2_T3_mT4_T5_T6_T7_T8_P12ihipStream_tbENKUlT_T0_E_clISt17integral_constantIbLb1EES13_EEDaSY_SZ_EUlSY_E_NS1_11comp_targetILNS1_3genE2ELNS1_11target_archE906ELNS1_3gpuE6ELNS1_3repE0EEENS1_30default_config_static_selectorELNS0_4arch9wavefront6targetE1EEEvT1_.has_dyn_sized_stack, 0
	.set _ZN7rocprim17ROCPRIM_400000_NS6detail17trampoline_kernelINS0_14default_configENS1_29reduce_by_key_config_selectorIflN6thrust23THRUST_200600_302600_NS4plusIlEEEEZZNS1_33reduce_by_key_impl_wrapped_configILNS1_25lookback_scan_determinismE0ES3_S9_PfNS6_17constant_iteratorIiNS6_11use_defaultESE_EENS6_10device_ptrIfEENSG_IlEEPmS8_NS6_8equal_toIfEEEE10hipError_tPvRmT2_T3_mT4_T5_T6_T7_T8_P12ihipStream_tbENKUlT_T0_E_clISt17integral_constantIbLb1EES13_EEDaSY_SZ_EUlSY_E_NS1_11comp_targetILNS1_3genE2ELNS1_11target_archE906ELNS1_3gpuE6ELNS1_3repE0EEENS1_30default_config_static_selectorELNS0_4arch9wavefront6targetE1EEEvT1_.has_recursion, 0
	.set _ZN7rocprim17ROCPRIM_400000_NS6detail17trampoline_kernelINS0_14default_configENS1_29reduce_by_key_config_selectorIflN6thrust23THRUST_200600_302600_NS4plusIlEEEEZZNS1_33reduce_by_key_impl_wrapped_configILNS1_25lookback_scan_determinismE0ES3_S9_PfNS6_17constant_iteratorIiNS6_11use_defaultESE_EENS6_10device_ptrIfEENSG_IlEEPmS8_NS6_8equal_toIfEEEE10hipError_tPvRmT2_T3_mT4_T5_T6_T7_T8_P12ihipStream_tbENKUlT_T0_E_clISt17integral_constantIbLb1EES13_EEDaSY_SZ_EUlSY_E_NS1_11comp_targetILNS1_3genE2ELNS1_11target_archE906ELNS1_3gpuE6ELNS1_3repE0EEENS1_30default_config_static_selectorELNS0_4arch9wavefront6targetE1EEEvT1_.has_indirect_call, 0
	.section	.AMDGPU.csdata,"",@progbits
; Kernel info:
; codeLenInByte = 4
; TotalNumSgprs: 4
; NumVgprs: 0
; ScratchSize: 0
; MemoryBound: 0
; FloatMode: 240
; IeeeMode: 1
; LDSByteSize: 0 bytes/workgroup (compile time only)
; SGPRBlocks: 0
; VGPRBlocks: 0
; NumSGPRsForWavesPerEU: 4
; NumVGPRsForWavesPerEU: 1
; Occupancy: 10
; WaveLimiterHint : 0
; COMPUTE_PGM_RSRC2:SCRATCH_EN: 0
; COMPUTE_PGM_RSRC2:USER_SGPR: 6
; COMPUTE_PGM_RSRC2:TRAP_HANDLER: 0
; COMPUTE_PGM_RSRC2:TGID_X_EN: 1
; COMPUTE_PGM_RSRC2:TGID_Y_EN: 0
; COMPUTE_PGM_RSRC2:TGID_Z_EN: 0
; COMPUTE_PGM_RSRC2:TIDIG_COMP_CNT: 0
	.section	.text._ZN7rocprim17ROCPRIM_400000_NS6detail17trampoline_kernelINS0_14default_configENS1_29reduce_by_key_config_selectorIflN6thrust23THRUST_200600_302600_NS4plusIlEEEEZZNS1_33reduce_by_key_impl_wrapped_configILNS1_25lookback_scan_determinismE0ES3_S9_PfNS6_17constant_iteratorIiNS6_11use_defaultESE_EENS6_10device_ptrIfEENSG_IlEEPmS8_NS6_8equal_toIfEEEE10hipError_tPvRmT2_T3_mT4_T5_T6_T7_T8_P12ihipStream_tbENKUlT_T0_E_clISt17integral_constantIbLb1EES13_EEDaSY_SZ_EUlSY_E_NS1_11comp_targetILNS1_3genE10ELNS1_11target_archE1201ELNS1_3gpuE5ELNS1_3repE0EEENS1_30default_config_static_selectorELNS0_4arch9wavefront6targetE1EEEvT1_,"axG",@progbits,_ZN7rocprim17ROCPRIM_400000_NS6detail17trampoline_kernelINS0_14default_configENS1_29reduce_by_key_config_selectorIflN6thrust23THRUST_200600_302600_NS4plusIlEEEEZZNS1_33reduce_by_key_impl_wrapped_configILNS1_25lookback_scan_determinismE0ES3_S9_PfNS6_17constant_iteratorIiNS6_11use_defaultESE_EENS6_10device_ptrIfEENSG_IlEEPmS8_NS6_8equal_toIfEEEE10hipError_tPvRmT2_T3_mT4_T5_T6_T7_T8_P12ihipStream_tbENKUlT_T0_E_clISt17integral_constantIbLb1EES13_EEDaSY_SZ_EUlSY_E_NS1_11comp_targetILNS1_3genE10ELNS1_11target_archE1201ELNS1_3gpuE5ELNS1_3repE0EEENS1_30default_config_static_selectorELNS0_4arch9wavefront6targetE1EEEvT1_,comdat
	.protected	_ZN7rocprim17ROCPRIM_400000_NS6detail17trampoline_kernelINS0_14default_configENS1_29reduce_by_key_config_selectorIflN6thrust23THRUST_200600_302600_NS4plusIlEEEEZZNS1_33reduce_by_key_impl_wrapped_configILNS1_25lookback_scan_determinismE0ES3_S9_PfNS6_17constant_iteratorIiNS6_11use_defaultESE_EENS6_10device_ptrIfEENSG_IlEEPmS8_NS6_8equal_toIfEEEE10hipError_tPvRmT2_T3_mT4_T5_T6_T7_T8_P12ihipStream_tbENKUlT_T0_E_clISt17integral_constantIbLb1EES13_EEDaSY_SZ_EUlSY_E_NS1_11comp_targetILNS1_3genE10ELNS1_11target_archE1201ELNS1_3gpuE5ELNS1_3repE0EEENS1_30default_config_static_selectorELNS0_4arch9wavefront6targetE1EEEvT1_ ; -- Begin function _ZN7rocprim17ROCPRIM_400000_NS6detail17trampoline_kernelINS0_14default_configENS1_29reduce_by_key_config_selectorIflN6thrust23THRUST_200600_302600_NS4plusIlEEEEZZNS1_33reduce_by_key_impl_wrapped_configILNS1_25lookback_scan_determinismE0ES3_S9_PfNS6_17constant_iteratorIiNS6_11use_defaultESE_EENS6_10device_ptrIfEENSG_IlEEPmS8_NS6_8equal_toIfEEEE10hipError_tPvRmT2_T3_mT4_T5_T6_T7_T8_P12ihipStream_tbENKUlT_T0_E_clISt17integral_constantIbLb1EES13_EEDaSY_SZ_EUlSY_E_NS1_11comp_targetILNS1_3genE10ELNS1_11target_archE1201ELNS1_3gpuE5ELNS1_3repE0EEENS1_30default_config_static_selectorELNS0_4arch9wavefront6targetE1EEEvT1_
	.globl	_ZN7rocprim17ROCPRIM_400000_NS6detail17trampoline_kernelINS0_14default_configENS1_29reduce_by_key_config_selectorIflN6thrust23THRUST_200600_302600_NS4plusIlEEEEZZNS1_33reduce_by_key_impl_wrapped_configILNS1_25lookback_scan_determinismE0ES3_S9_PfNS6_17constant_iteratorIiNS6_11use_defaultESE_EENS6_10device_ptrIfEENSG_IlEEPmS8_NS6_8equal_toIfEEEE10hipError_tPvRmT2_T3_mT4_T5_T6_T7_T8_P12ihipStream_tbENKUlT_T0_E_clISt17integral_constantIbLb1EES13_EEDaSY_SZ_EUlSY_E_NS1_11comp_targetILNS1_3genE10ELNS1_11target_archE1201ELNS1_3gpuE5ELNS1_3repE0EEENS1_30default_config_static_selectorELNS0_4arch9wavefront6targetE1EEEvT1_
	.p2align	8
	.type	_ZN7rocprim17ROCPRIM_400000_NS6detail17trampoline_kernelINS0_14default_configENS1_29reduce_by_key_config_selectorIflN6thrust23THRUST_200600_302600_NS4plusIlEEEEZZNS1_33reduce_by_key_impl_wrapped_configILNS1_25lookback_scan_determinismE0ES3_S9_PfNS6_17constant_iteratorIiNS6_11use_defaultESE_EENS6_10device_ptrIfEENSG_IlEEPmS8_NS6_8equal_toIfEEEE10hipError_tPvRmT2_T3_mT4_T5_T6_T7_T8_P12ihipStream_tbENKUlT_T0_E_clISt17integral_constantIbLb1EES13_EEDaSY_SZ_EUlSY_E_NS1_11comp_targetILNS1_3genE10ELNS1_11target_archE1201ELNS1_3gpuE5ELNS1_3repE0EEENS1_30default_config_static_selectorELNS0_4arch9wavefront6targetE1EEEvT1_,@function
_ZN7rocprim17ROCPRIM_400000_NS6detail17trampoline_kernelINS0_14default_configENS1_29reduce_by_key_config_selectorIflN6thrust23THRUST_200600_302600_NS4plusIlEEEEZZNS1_33reduce_by_key_impl_wrapped_configILNS1_25lookback_scan_determinismE0ES3_S9_PfNS6_17constant_iteratorIiNS6_11use_defaultESE_EENS6_10device_ptrIfEENSG_IlEEPmS8_NS6_8equal_toIfEEEE10hipError_tPvRmT2_T3_mT4_T5_T6_T7_T8_P12ihipStream_tbENKUlT_T0_E_clISt17integral_constantIbLb1EES13_EEDaSY_SZ_EUlSY_E_NS1_11comp_targetILNS1_3genE10ELNS1_11target_archE1201ELNS1_3gpuE5ELNS1_3repE0EEENS1_30default_config_static_selectorELNS0_4arch9wavefront6targetE1EEEvT1_: ; @_ZN7rocprim17ROCPRIM_400000_NS6detail17trampoline_kernelINS0_14default_configENS1_29reduce_by_key_config_selectorIflN6thrust23THRUST_200600_302600_NS4plusIlEEEEZZNS1_33reduce_by_key_impl_wrapped_configILNS1_25lookback_scan_determinismE0ES3_S9_PfNS6_17constant_iteratorIiNS6_11use_defaultESE_EENS6_10device_ptrIfEENSG_IlEEPmS8_NS6_8equal_toIfEEEE10hipError_tPvRmT2_T3_mT4_T5_T6_T7_T8_P12ihipStream_tbENKUlT_T0_E_clISt17integral_constantIbLb1EES13_EEDaSY_SZ_EUlSY_E_NS1_11comp_targetILNS1_3genE10ELNS1_11target_archE1201ELNS1_3gpuE5ELNS1_3repE0EEENS1_30default_config_static_selectorELNS0_4arch9wavefront6targetE1EEEvT1_
; %bb.0:
	.section	.rodata,"a",@progbits
	.p2align	6, 0x0
	.amdhsa_kernel _ZN7rocprim17ROCPRIM_400000_NS6detail17trampoline_kernelINS0_14default_configENS1_29reduce_by_key_config_selectorIflN6thrust23THRUST_200600_302600_NS4plusIlEEEEZZNS1_33reduce_by_key_impl_wrapped_configILNS1_25lookback_scan_determinismE0ES3_S9_PfNS6_17constant_iteratorIiNS6_11use_defaultESE_EENS6_10device_ptrIfEENSG_IlEEPmS8_NS6_8equal_toIfEEEE10hipError_tPvRmT2_T3_mT4_T5_T6_T7_T8_P12ihipStream_tbENKUlT_T0_E_clISt17integral_constantIbLb1EES13_EEDaSY_SZ_EUlSY_E_NS1_11comp_targetILNS1_3genE10ELNS1_11target_archE1201ELNS1_3gpuE5ELNS1_3repE0EEENS1_30default_config_static_selectorELNS0_4arch9wavefront6targetE1EEEvT1_
		.amdhsa_group_segment_fixed_size 0
		.amdhsa_private_segment_fixed_size 0
		.amdhsa_kernarg_size 144
		.amdhsa_user_sgpr_count 6
		.amdhsa_user_sgpr_private_segment_buffer 1
		.amdhsa_user_sgpr_dispatch_ptr 0
		.amdhsa_user_sgpr_queue_ptr 0
		.amdhsa_user_sgpr_kernarg_segment_ptr 1
		.amdhsa_user_sgpr_dispatch_id 0
		.amdhsa_user_sgpr_flat_scratch_init 0
		.amdhsa_user_sgpr_private_segment_size 0
		.amdhsa_uses_dynamic_stack 0
		.amdhsa_system_sgpr_private_segment_wavefront_offset 0
		.amdhsa_system_sgpr_workgroup_id_x 1
		.amdhsa_system_sgpr_workgroup_id_y 0
		.amdhsa_system_sgpr_workgroup_id_z 0
		.amdhsa_system_sgpr_workgroup_info 0
		.amdhsa_system_vgpr_workitem_id 0
		.amdhsa_next_free_vgpr 1
		.amdhsa_next_free_sgpr 0
		.amdhsa_reserve_vcc 0
		.amdhsa_reserve_flat_scratch 0
		.amdhsa_float_round_mode_32 0
		.amdhsa_float_round_mode_16_64 0
		.amdhsa_float_denorm_mode_32 3
		.amdhsa_float_denorm_mode_16_64 3
		.amdhsa_dx10_clamp 1
		.amdhsa_ieee_mode 1
		.amdhsa_fp16_overflow 0
		.amdhsa_exception_fp_ieee_invalid_op 0
		.amdhsa_exception_fp_denorm_src 0
		.amdhsa_exception_fp_ieee_div_zero 0
		.amdhsa_exception_fp_ieee_overflow 0
		.amdhsa_exception_fp_ieee_underflow 0
		.amdhsa_exception_fp_ieee_inexact 0
		.amdhsa_exception_int_div_zero 0
	.end_amdhsa_kernel
	.section	.text._ZN7rocprim17ROCPRIM_400000_NS6detail17trampoline_kernelINS0_14default_configENS1_29reduce_by_key_config_selectorIflN6thrust23THRUST_200600_302600_NS4plusIlEEEEZZNS1_33reduce_by_key_impl_wrapped_configILNS1_25lookback_scan_determinismE0ES3_S9_PfNS6_17constant_iteratorIiNS6_11use_defaultESE_EENS6_10device_ptrIfEENSG_IlEEPmS8_NS6_8equal_toIfEEEE10hipError_tPvRmT2_T3_mT4_T5_T6_T7_T8_P12ihipStream_tbENKUlT_T0_E_clISt17integral_constantIbLb1EES13_EEDaSY_SZ_EUlSY_E_NS1_11comp_targetILNS1_3genE10ELNS1_11target_archE1201ELNS1_3gpuE5ELNS1_3repE0EEENS1_30default_config_static_selectorELNS0_4arch9wavefront6targetE1EEEvT1_,"axG",@progbits,_ZN7rocprim17ROCPRIM_400000_NS6detail17trampoline_kernelINS0_14default_configENS1_29reduce_by_key_config_selectorIflN6thrust23THRUST_200600_302600_NS4plusIlEEEEZZNS1_33reduce_by_key_impl_wrapped_configILNS1_25lookback_scan_determinismE0ES3_S9_PfNS6_17constant_iteratorIiNS6_11use_defaultESE_EENS6_10device_ptrIfEENSG_IlEEPmS8_NS6_8equal_toIfEEEE10hipError_tPvRmT2_T3_mT4_T5_T6_T7_T8_P12ihipStream_tbENKUlT_T0_E_clISt17integral_constantIbLb1EES13_EEDaSY_SZ_EUlSY_E_NS1_11comp_targetILNS1_3genE10ELNS1_11target_archE1201ELNS1_3gpuE5ELNS1_3repE0EEENS1_30default_config_static_selectorELNS0_4arch9wavefront6targetE1EEEvT1_,comdat
.Lfunc_end1920:
	.size	_ZN7rocprim17ROCPRIM_400000_NS6detail17trampoline_kernelINS0_14default_configENS1_29reduce_by_key_config_selectorIflN6thrust23THRUST_200600_302600_NS4plusIlEEEEZZNS1_33reduce_by_key_impl_wrapped_configILNS1_25lookback_scan_determinismE0ES3_S9_PfNS6_17constant_iteratorIiNS6_11use_defaultESE_EENS6_10device_ptrIfEENSG_IlEEPmS8_NS6_8equal_toIfEEEE10hipError_tPvRmT2_T3_mT4_T5_T6_T7_T8_P12ihipStream_tbENKUlT_T0_E_clISt17integral_constantIbLb1EES13_EEDaSY_SZ_EUlSY_E_NS1_11comp_targetILNS1_3genE10ELNS1_11target_archE1201ELNS1_3gpuE5ELNS1_3repE0EEENS1_30default_config_static_selectorELNS0_4arch9wavefront6targetE1EEEvT1_, .Lfunc_end1920-_ZN7rocprim17ROCPRIM_400000_NS6detail17trampoline_kernelINS0_14default_configENS1_29reduce_by_key_config_selectorIflN6thrust23THRUST_200600_302600_NS4plusIlEEEEZZNS1_33reduce_by_key_impl_wrapped_configILNS1_25lookback_scan_determinismE0ES3_S9_PfNS6_17constant_iteratorIiNS6_11use_defaultESE_EENS6_10device_ptrIfEENSG_IlEEPmS8_NS6_8equal_toIfEEEE10hipError_tPvRmT2_T3_mT4_T5_T6_T7_T8_P12ihipStream_tbENKUlT_T0_E_clISt17integral_constantIbLb1EES13_EEDaSY_SZ_EUlSY_E_NS1_11comp_targetILNS1_3genE10ELNS1_11target_archE1201ELNS1_3gpuE5ELNS1_3repE0EEENS1_30default_config_static_selectorELNS0_4arch9wavefront6targetE1EEEvT1_
                                        ; -- End function
	.set _ZN7rocprim17ROCPRIM_400000_NS6detail17trampoline_kernelINS0_14default_configENS1_29reduce_by_key_config_selectorIflN6thrust23THRUST_200600_302600_NS4plusIlEEEEZZNS1_33reduce_by_key_impl_wrapped_configILNS1_25lookback_scan_determinismE0ES3_S9_PfNS6_17constant_iteratorIiNS6_11use_defaultESE_EENS6_10device_ptrIfEENSG_IlEEPmS8_NS6_8equal_toIfEEEE10hipError_tPvRmT2_T3_mT4_T5_T6_T7_T8_P12ihipStream_tbENKUlT_T0_E_clISt17integral_constantIbLb1EES13_EEDaSY_SZ_EUlSY_E_NS1_11comp_targetILNS1_3genE10ELNS1_11target_archE1201ELNS1_3gpuE5ELNS1_3repE0EEENS1_30default_config_static_selectorELNS0_4arch9wavefront6targetE1EEEvT1_.num_vgpr, 0
	.set _ZN7rocprim17ROCPRIM_400000_NS6detail17trampoline_kernelINS0_14default_configENS1_29reduce_by_key_config_selectorIflN6thrust23THRUST_200600_302600_NS4plusIlEEEEZZNS1_33reduce_by_key_impl_wrapped_configILNS1_25lookback_scan_determinismE0ES3_S9_PfNS6_17constant_iteratorIiNS6_11use_defaultESE_EENS6_10device_ptrIfEENSG_IlEEPmS8_NS6_8equal_toIfEEEE10hipError_tPvRmT2_T3_mT4_T5_T6_T7_T8_P12ihipStream_tbENKUlT_T0_E_clISt17integral_constantIbLb1EES13_EEDaSY_SZ_EUlSY_E_NS1_11comp_targetILNS1_3genE10ELNS1_11target_archE1201ELNS1_3gpuE5ELNS1_3repE0EEENS1_30default_config_static_selectorELNS0_4arch9wavefront6targetE1EEEvT1_.num_agpr, 0
	.set _ZN7rocprim17ROCPRIM_400000_NS6detail17trampoline_kernelINS0_14default_configENS1_29reduce_by_key_config_selectorIflN6thrust23THRUST_200600_302600_NS4plusIlEEEEZZNS1_33reduce_by_key_impl_wrapped_configILNS1_25lookback_scan_determinismE0ES3_S9_PfNS6_17constant_iteratorIiNS6_11use_defaultESE_EENS6_10device_ptrIfEENSG_IlEEPmS8_NS6_8equal_toIfEEEE10hipError_tPvRmT2_T3_mT4_T5_T6_T7_T8_P12ihipStream_tbENKUlT_T0_E_clISt17integral_constantIbLb1EES13_EEDaSY_SZ_EUlSY_E_NS1_11comp_targetILNS1_3genE10ELNS1_11target_archE1201ELNS1_3gpuE5ELNS1_3repE0EEENS1_30default_config_static_selectorELNS0_4arch9wavefront6targetE1EEEvT1_.numbered_sgpr, 0
	.set _ZN7rocprim17ROCPRIM_400000_NS6detail17trampoline_kernelINS0_14default_configENS1_29reduce_by_key_config_selectorIflN6thrust23THRUST_200600_302600_NS4plusIlEEEEZZNS1_33reduce_by_key_impl_wrapped_configILNS1_25lookback_scan_determinismE0ES3_S9_PfNS6_17constant_iteratorIiNS6_11use_defaultESE_EENS6_10device_ptrIfEENSG_IlEEPmS8_NS6_8equal_toIfEEEE10hipError_tPvRmT2_T3_mT4_T5_T6_T7_T8_P12ihipStream_tbENKUlT_T0_E_clISt17integral_constantIbLb1EES13_EEDaSY_SZ_EUlSY_E_NS1_11comp_targetILNS1_3genE10ELNS1_11target_archE1201ELNS1_3gpuE5ELNS1_3repE0EEENS1_30default_config_static_selectorELNS0_4arch9wavefront6targetE1EEEvT1_.num_named_barrier, 0
	.set _ZN7rocprim17ROCPRIM_400000_NS6detail17trampoline_kernelINS0_14default_configENS1_29reduce_by_key_config_selectorIflN6thrust23THRUST_200600_302600_NS4plusIlEEEEZZNS1_33reduce_by_key_impl_wrapped_configILNS1_25lookback_scan_determinismE0ES3_S9_PfNS6_17constant_iteratorIiNS6_11use_defaultESE_EENS6_10device_ptrIfEENSG_IlEEPmS8_NS6_8equal_toIfEEEE10hipError_tPvRmT2_T3_mT4_T5_T6_T7_T8_P12ihipStream_tbENKUlT_T0_E_clISt17integral_constantIbLb1EES13_EEDaSY_SZ_EUlSY_E_NS1_11comp_targetILNS1_3genE10ELNS1_11target_archE1201ELNS1_3gpuE5ELNS1_3repE0EEENS1_30default_config_static_selectorELNS0_4arch9wavefront6targetE1EEEvT1_.private_seg_size, 0
	.set _ZN7rocprim17ROCPRIM_400000_NS6detail17trampoline_kernelINS0_14default_configENS1_29reduce_by_key_config_selectorIflN6thrust23THRUST_200600_302600_NS4plusIlEEEEZZNS1_33reduce_by_key_impl_wrapped_configILNS1_25lookback_scan_determinismE0ES3_S9_PfNS6_17constant_iteratorIiNS6_11use_defaultESE_EENS6_10device_ptrIfEENSG_IlEEPmS8_NS6_8equal_toIfEEEE10hipError_tPvRmT2_T3_mT4_T5_T6_T7_T8_P12ihipStream_tbENKUlT_T0_E_clISt17integral_constantIbLb1EES13_EEDaSY_SZ_EUlSY_E_NS1_11comp_targetILNS1_3genE10ELNS1_11target_archE1201ELNS1_3gpuE5ELNS1_3repE0EEENS1_30default_config_static_selectorELNS0_4arch9wavefront6targetE1EEEvT1_.uses_vcc, 0
	.set _ZN7rocprim17ROCPRIM_400000_NS6detail17trampoline_kernelINS0_14default_configENS1_29reduce_by_key_config_selectorIflN6thrust23THRUST_200600_302600_NS4plusIlEEEEZZNS1_33reduce_by_key_impl_wrapped_configILNS1_25lookback_scan_determinismE0ES3_S9_PfNS6_17constant_iteratorIiNS6_11use_defaultESE_EENS6_10device_ptrIfEENSG_IlEEPmS8_NS6_8equal_toIfEEEE10hipError_tPvRmT2_T3_mT4_T5_T6_T7_T8_P12ihipStream_tbENKUlT_T0_E_clISt17integral_constantIbLb1EES13_EEDaSY_SZ_EUlSY_E_NS1_11comp_targetILNS1_3genE10ELNS1_11target_archE1201ELNS1_3gpuE5ELNS1_3repE0EEENS1_30default_config_static_selectorELNS0_4arch9wavefront6targetE1EEEvT1_.uses_flat_scratch, 0
	.set _ZN7rocprim17ROCPRIM_400000_NS6detail17trampoline_kernelINS0_14default_configENS1_29reduce_by_key_config_selectorIflN6thrust23THRUST_200600_302600_NS4plusIlEEEEZZNS1_33reduce_by_key_impl_wrapped_configILNS1_25lookback_scan_determinismE0ES3_S9_PfNS6_17constant_iteratorIiNS6_11use_defaultESE_EENS6_10device_ptrIfEENSG_IlEEPmS8_NS6_8equal_toIfEEEE10hipError_tPvRmT2_T3_mT4_T5_T6_T7_T8_P12ihipStream_tbENKUlT_T0_E_clISt17integral_constantIbLb1EES13_EEDaSY_SZ_EUlSY_E_NS1_11comp_targetILNS1_3genE10ELNS1_11target_archE1201ELNS1_3gpuE5ELNS1_3repE0EEENS1_30default_config_static_selectorELNS0_4arch9wavefront6targetE1EEEvT1_.has_dyn_sized_stack, 0
	.set _ZN7rocprim17ROCPRIM_400000_NS6detail17trampoline_kernelINS0_14default_configENS1_29reduce_by_key_config_selectorIflN6thrust23THRUST_200600_302600_NS4plusIlEEEEZZNS1_33reduce_by_key_impl_wrapped_configILNS1_25lookback_scan_determinismE0ES3_S9_PfNS6_17constant_iteratorIiNS6_11use_defaultESE_EENS6_10device_ptrIfEENSG_IlEEPmS8_NS6_8equal_toIfEEEE10hipError_tPvRmT2_T3_mT4_T5_T6_T7_T8_P12ihipStream_tbENKUlT_T0_E_clISt17integral_constantIbLb1EES13_EEDaSY_SZ_EUlSY_E_NS1_11comp_targetILNS1_3genE10ELNS1_11target_archE1201ELNS1_3gpuE5ELNS1_3repE0EEENS1_30default_config_static_selectorELNS0_4arch9wavefront6targetE1EEEvT1_.has_recursion, 0
	.set _ZN7rocprim17ROCPRIM_400000_NS6detail17trampoline_kernelINS0_14default_configENS1_29reduce_by_key_config_selectorIflN6thrust23THRUST_200600_302600_NS4plusIlEEEEZZNS1_33reduce_by_key_impl_wrapped_configILNS1_25lookback_scan_determinismE0ES3_S9_PfNS6_17constant_iteratorIiNS6_11use_defaultESE_EENS6_10device_ptrIfEENSG_IlEEPmS8_NS6_8equal_toIfEEEE10hipError_tPvRmT2_T3_mT4_T5_T6_T7_T8_P12ihipStream_tbENKUlT_T0_E_clISt17integral_constantIbLb1EES13_EEDaSY_SZ_EUlSY_E_NS1_11comp_targetILNS1_3genE10ELNS1_11target_archE1201ELNS1_3gpuE5ELNS1_3repE0EEENS1_30default_config_static_selectorELNS0_4arch9wavefront6targetE1EEEvT1_.has_indirect_call, 0
	.section	.AMDGPU.csdata,"",@progbits
; Kernel info:
; codeLenInByte = 0
; TotalNumSgprs: 4
; NumVgprs: 0
; ScratchSize: 0
; MemoryBound: 0
; FloatMode: 240
; IeeeMode: 1
; LDSByteSize: 0 bytes/workgroup (compile time only)
; SGPRBlocks: 0
; VGPRBlocks: 0
; NumSGPRsForWavesPerEU: 4
; NumVGPRsForWavesPerEU: 1
; Occupancy: 10
; WaveLimiterHint : 0
; COMPUTE_PGM_RSRC2:SCRATCH_EN: 0
; COMPUTE_PGM_RSRC2:USER_SGPR: 6
; COMPUTE_PGM_RSRC2:TRAP_HANDLER: 0
; COMPUTE_PGM_RSRC2:TGID_X_EN: 1
; COMPUTE_PGM_RSRC2:TGID_Y_EN: 0
; COMPUTE_PGM_RSRC2:TGID_Z_EN: 0
; COMPUTE_PGM_RSRC2:TIDIG_COMP_CNT: 0
	.section	.text._ZN7rocprim17ROCPRIM_400000_NS6detail17trampoline_kernelINS0_14default_configENS1_29reduce_by_key_config_selectorIflN6thrust23THRUST_200600_302600_NS4plusIlEEEEZZNS1_33reduce_by_key_impl_wrapped_configILNS1_25lookback_scan_determinismE0ES3_S9_PfNS6_17constant_iteratorIiNS6_11use_defaultESE_EENS6_10device_ptrIfEENSG_IlEEPmS8_NS6_8equal_toIfEEEE10hipError_tPvRmT2_T3_mT4_T5_T6_T7_T8_P12ihipStream_tbENKUlT_T0_E_clISt17integral_constantIbLb1EES13_EEDaSY_SZ_EUlSY_E_NS1_11comp_targetILNS1_3genE10ELNS1_11target_archE1200ELNS1_3gpuE4ELNS1_3repE0EEENS1_30default_config_static_selectorELNS0_4arch9wavefront6targetE1EEEvT1_,"axG",@progbits,_ZN7rocprim17ROCPRIM_400000_NS6detail17trampoline_kernelINS0_14default_configENS1_29reduce_by_key_config_selectorIflN6thrust23THRUST_200600_302600_NS4plusIlEEEEZZNS1_33reduce_by_key_impl_wrapped_configILNS1_25lookback_scan_determinismE0ES3_S9_PfNS6_17constant_iteratorIiNS6_11use_defaultESE_EENS6_10device_ptrIfEENSG_IlEEPmS8_NS6_8equal_toIfEEEE10hipError_tPvRmT2_T3_mT4_T5_T6_T7_T8_P12ihipStream_tbENKUlT_T0_E_clISt17integral_constantIbLb1EES13_EEDaSY_SZ_EUlSY_E_NS1_11comp_targetILNS1_3genE10ELNS1_11target_archE1200ELNS1_3gpuE4ELNS1_3repE0EEENS1_30default_config_static_selectorELNS0_4arch9wavefront6targetE1EEEvT1_,comdat
	.protected	_ZN7rocprim17ROCPRIM_400000_NS6detail17trampoline_kernelINS0_14default_configENS1_29reduce_by_key_config_selectorIflN6thrust23THRUST_200600_302600_NS4plusIlEEEEZZNS1_33reduce_by_key_impl_wrapped_configILNS1_25lookback_scan_determinismE0ES3_S9_PfNS6_17constant_iteratorIiNS6_11use_defaultESE_EENS6_10device_ptrIfEENSG_IlEEPmS8_NS6_8equal_toIfEEEE10hipError_tPvRmT2_T3_mT4_T5_T6_T7_T8_P12ihipStream_tbENKUlT_T0_E_clISt17integral_constantIbLb1EES13_EEDaSY_SZ_EUlSY_E_NS1_11comp_targetILNS1_3genE10ELNS1_11target_archE1200ELNS1_3gpuE4ELNS1_3repE0EEENS1_30default_config_static_selectorELNS0_4arch9wavefront6targetE1EEEvT1_ ; -- Begin function _ZN7rocprim17ROCPRIM_400000_NS6detail17trampoline_kernelINS0_14default_configENS1_29reduce_by_key_config_selectorIflN6thrust23THRUST_200600_302600_NS4plusIlEEEEZZNS1_33reduce_by_key_impl_wrapped_configILNS1_25lookback_scan_determinismE0ES3_S9_PfNS6_17constant_iteratorIiNS6_11use_defaultESE_EENS6_10device_ptrIfEENSG_IlEEPmS8_NS6_8equal_toIfEEEE10hipError_tPvRmT2_T3_mT4_T5_T6_T7_T8_P12ihipStream_tbENKUlT_T0_E_clISt17integral_constantIbLb1EES13_EEDaSY_SZ_EUlSY_E_NS1_11comp_targetILNS1_3genE10ELNS1_11target_archE1200ELNS1_3gpuE4ELNS1_3repE0EEENS1_30default_config_static_selectorELNS0_4arch9wavefront6targetE1EEEvT1_
	.globl	_ZN7rocprim17ROCPRIM_400000_NS6detail17trampoline_kernelINS0_14default_configENS1_29reduce_by_key_config_selectorIflN6thrust23THRUST_200600_302600_NS4plusIlEEEEZZNS1_33reduce_by_key_impl_wrapped_configILNS1_25lookback_scan_determinismE0ES3_S9_PfNS6_17constant_iteratorIiNS6_11use_defaultESE_EENS6_10device_ptrIfEENSG_IlEEPmS8_NS6_8equal_toIfEEEE10hipError_tPvRmT2_T3_mT4_T5_T6_T7_T8_P12ihipStream_tbENKUlT_T0_E_clISt17integral_constantIbLb1EES13_EEDaSY_SZ_EUlSY_E_NS1_11comp_targetILNS1_3genE10ELNS1_11target_archE1200ELNS1_3gpuE4ELNS1_3repE0EEENS1_30default_config_static_selectorELNS0_4arch9wavefront6targetE1EEEvT1_
	.p2align	8
	.type	_ZN7rocprim17ROCPRIM_400000_NS6detail17trampoline_kernelINS0_14default_configENS1_29reduce_by_key_config_selectorIflN6thrust23THRUST_200600_302600_NS4plusIlEEEEZZNS1_33reduce_by_key_impl_wrapped_configILNS1_25lookback_scan_determinismE0ES3_S9_PfNS6_17constant_iteratorIiNS6_11use_defaultESE_EENS6_10device_ptrIfEENSG_IlEEPmS8_NS6_8equal_toIfEEEE10hipError_tPvRmT2_T3_mT4_T5_T6_T7_T8_P12ihipStream_tbENKUlT_T0_E_clISt17integral_constantIbLb1EES13_EEDaSY_SZ_EUlSY_E_NS1_11comp_targetILNS1_3genE10ELNS1_11target_archE1200ELNS1_3gpuE4ELNS1_3repE0EEENS1_30default_config_static_selectorELNS0_4arch9wavefront6targetE1EEEvT1_,@function
_ZN7rocprim17ROCPRIM_400000_NS6detail17trampoline_kernelINS0_14default_configENS1_29reduce_by_key_config_selectorIflN6thrust23THRUST_200600_302600_NS4plusIlEEEEZZNS1_33reduce_by_key_impl_wrapped_configILNS1_25lookback_scan_determinismE0ES3_S9_PfNS6_17constant_iteratorIiNS6_11use_defaultESE_EENS6_10device_ptrIfEENSG_IlEEPmS8_NS6_8equal_toIfEEEE10hipError_tPvRmT2_T3_mT4_T5_T6_T7_T8_P12ihipStream_tbENKUlT_T0_E_clISt17integral_constantIbLb1EES13_EEDaSY_SZ_EUlSY_E_NS1_11comp_targetILNS1_3genE10ELNS1_11target_archE1200ELNS1_3gpuE4ELNS1_3repE0EEENS1_30default_config_static_selectorELNS0_4arch9wavefront6targetE1EEEvT1_: ; @_ZN7rocprim17ROCPRIM_400000_NS6detail17trampoline_kernelINS0_14default_configENS1_29reduce_by_key_config_selectorIflN6thrust23THRUST_200600_302600_NS4plusIlEEEEZZNS1_33reduce_by_key_impl_wrapped_configILNS1_25lookback_scan_determinismE0ES3_S9_PfNS6_17constant_iteratorIiNS6_11use_defaultESE_EENS6_10device_ptrIfEENSG_IlEEPmS8_NS6_8equal_toIfEEEE10hipError_tPvRmT2_T3_mT4_T5_T6_T7_T8_P12ihipStream_tbENKUlT_T0_E_clISt17integral_constantIbLb1EES13_EEDaSY_SZ_EUlSY_E_NS1_11comp_targetILNS1_3genE10ELNS1_11target_archE1200ELNS1_3gpuE4ELNS1_3repE0EEENS1_30default_config_static_selectorELNS0_4arch9wavefront6targetE1EEEvT1_
; %bb.0:
	.section	.rodata,"a",@progbits
	.p2align	6, 0x0
	.amdhsa_kernel _ZN7rocprim17ROCPRIM_400000_NS6detail17trampoline_kernelINS0_14default_configENS1_29reduce_by_key_config_selectorIflN6thrust23THRUST_200600_302600_NS4plusIlEEEEZZNS1_33reduce_by_key_impl_wrapped_configILNS1_25lookback_scan_determinismE0ES3_S9_PfNS6_17constant_iteratorIiNS6_11use_defaultESE_EENS6_10device_ptrIfEENSG_IlEEPmS8_NS6_8equal_toIfEEEE10hipError_tPvRmT2_T3_mT4_T5_T6_T7_T8_P12ihipStream_tbENKUlT_T0_E_clISt17integral_constantIbLb1EES13_EEDaSY_SZ_EUlSY_E_NS1_11comp_targetILNS1_3genE10ELNS1_11target_archE1200ELNS1_3gpuE4ELNS1_3repE0EEENS1_30default_config_static_selectorELNS0_4arch9wavefront6targetE1EEEvT1_
		.amdhsa_group_segment_fixed_size 0
		.amdhsa_private_segment_fixed_size 0
		.amdhsa_kernarg_size 144
		.amdhsa_user_sgpr_count 6
		.amdhsa_user_sgpr_private_segment_buffer 1
		.amdhsa_user_sgpr_dispatch_ptr 0
		.amdhsa_user_sgpr_queue_ptr 0
		.amdhsa_user_sgpr_kernarg_segment_ptr 1
		.amdhsa_user_sgpr_dispatch_id 0
		.amdhsa_user_sgpr_flat_scratch_init 0
		.amdhsa_user_sgpr_private_segment_size 0
		.amdhsa_uses_dynamic_stack 0
		.amdhsa_system_sgpr_private_segment_wavefront_offset 0
		.amdhsa_system_sgpr_workgroup_id_x 1
		.amdhsa_system_sgpr_workgroup_id_y 0
		.amdhsa_system_sgpr_workgroup_id_z 0
		.amdhsa_system_sgpr_workgroup_info 0
		.amdhsa_system_vgpr_workitem_id 0
		.amdhsa_next_free_vgpr 1
		.amdhsa_next_free_sgpr 0
		.amdhsa_reserve_vcc 0
		.amdhsa_reserve_flat_scratch 0
		.amdhsa_float_round_mode_32 0
		.amdhsa_float_round_mode_16_64 0
		.amdhsa_float_denorm_mode_32 3
		.amdhsa_float_denorm_mode_16_64 3
		.amdhsa_dx10_clamp 1
		.amdhsa_ieee_mode 1
		.amdhsa_fp16_overflow 0
		.amdhsa_exception_fp_ieee_invalid_op 0
		.amdhsa_exception_fp_denorm_src 0
		.amdhsa_exception_fp_ieee_div_zero 0
		.amdhsa_exception_fp_ieee_overflow 0
		.amdhsa_exception_fp_ieee_underflow 0
		.amdhsa_exception_fp_ieee_inexact 0
		.amdhsa_exception_int_div_zero 0
	.end_amdhsa_kernel
	.section	.text._ZN7rocprim17ROCPRIM_400000_NS6detail17trampoline_kernelINS0_14default_configENS1_29reduce_by_key_config_selectorIflN6thrust23THRUST_200600_302600_NS4plusIlEEEEZZNS1_33reduce_by_key_impl_wrapped_configILNS1_25lookback_scan_determinismE0ES3_S9_PfNS6_17constant_iteratorIiNS6_11use_defaultESE_EENS6_10device_ptrIfEENSG_IlEEPmS8_NS6_8equal_toIfEEEE10hipError_tPvRmT2_T3_mT4_T5_T6_T7_T8_P12ihipStream_tbENKUlT_T0_E_clISt17integral_constantIbLb1EES13_EEDaSY_SZ_EUlSY_E_NS1_11comp_targetILNS1_3genE10ELNS1_11target_archE1200ELNS1_3gpuE4ELNS1_3repE0EEENS1_30default_config_static_selectorELNS0_4arch9wavefront6targetE1EEEvT1_,"axG",@progbits,_ZN7rocprim17ROCPRIM_400000_NS6detail17trampoline_kernelINS0_14default_configENS1_29reduce_by_key_config_selectorIflN6thrust23THRUST_200600_302600_NS4plusIlEEEEZZNS1_33reduce_by_key_impl_wrapped_configILNS1_25lookback_scan_determinismE0ES3_S9_PfNS6_17constant_iteratorIiNS6_11use_defaultESE_EENS6_10device_ptrIfEENSG_IlEEPmS8_NS6_8equal_toIfEEEE10hipError_tPvRmT2_T3_mT4_T5_T6_T7_T8_P12ihipStream_tbENKUlT_T0_E_clISt17integral_constantIbLb1EES13_EEDaSY_SZ_EUlSY_E_NS1_11comp_targetILNS1_3genE10ELNS1_11target_archE1200ELNS1_3gpuE4ELNS1_3repE0EEENS1_30default_config_static_selectorELNS0_4arch9wavefront6targetE1EEEvT1_,comdat
.Lfunc_end1921:
	.size	_ZN7rocprim17ROCPRIM_400000_NS6detail17trampoline_kernelINS0_14default_configENS1_29reduce_by_key_config_selectorIflN6thrust23THRUST_200600_302600_NS4plusIlEEEEZZNS1_33reduce_by_key_impl_wrapped_configILNS1_25lookback_scan_determinismE0ES3_S9_PfNS6_17constant_iteratorIiNS6_11use_defaultESE_EENS6_10device_ptrIfEENSG_IlEEPmS8_NS6_8equal_toIfEEEE10hipError_tPvRmT2_T3_mT4_T5_T6_T7_T8_P12ihipStream_tbENKUlT_T0_E_clISt17integral_constantIbLb1EES13_EEDaSY_SZ_EUlSY_E_NS1_11comp_targetILNS1_3genE10ELNS1_11target_archE1200ELNS1_3gpuE4ELNS1_3repE0EEENS1_30default_config_static_selectorELNS0_4arch9wavefront6targetE1EEEvT1_, .Lfunc_end1921-_ZN7rocprim17ROCPRIM_400000_NS6detail17trampoline_kernelINS0_14default_configENS1_29reduce_by_key_config_selectorIflN6thrust23THRUST_200600_302600_NS4plusIlEEEEZZNS1_33reduce_by_key_impl_wrapped_configILNS1_25lookback_scan_determinismE0ES3_S9_PfNS6_17constant_iteratorIiNS6_11use_defaultESE_EENS6_10device_ptrIfEENSG_IlEEPmS8_NS6_8equal_toIfEEEE10hipError_tPvRmT2_T3_mT4_T5_T6_T7_T8_P12ihipStream_tbENKUlT_T0_E_clISt17integral_constantIbLb1EES13_EEDaSY_SZ_EUlSY_E_NS1_11comp_targetILNS1_3genE10ELNS1_11target_archE1200ELNS1_3gpuE4ELNS1_3repE0EEENS1_30default_config_static_selectorELNS0_4arch9wavefront6targetE1EEEvT1_
                                        ; -- End function
	.set _ZN7rocprim17ROCPRIM_400000_NS6detail17trampoline_kernelINS0_14default_configENS1_29reduce_by_key_config_selectorIflN6thrust23THRUST_200600_302600_NS4plusIlEEEEZZNS1_33reduce_by_key_impl_wrapped_configILNS1_25lookback_scan_determinismE0ES3_S9_PfNS6_17constant_iteratorIiNS6_11use_defaultESE_EENS6_10device_ptrIfEENSG_IlEEPmS8_NS6_8equal_toIfEEEE10hipError_tPvRmT2_T3_mT4_T5_T6_T7_T8_P12ihipStream_tbENKUlT_T0_E_clISt17integral_constantIbLb1EES13_EEDaSY_SZ_EUlSY_E_NS1_11comp_targetILNS1_3genE10ELNS1_11target_archE1200ELNS1_3gpuE4ELNS1_3repE0EEENS1_30default_config_static_selectorELNS0_4arch9wavefront6targetE1EEEvT1_.num_vgpr, 0
	.set _ZN7rocprim17ROCPRIM_400000_NS6detail17trampoline_kernelINS0_14default_configENS1_29reduce_by_key_config_selectorIflN6thrust23THRUST_200600_302600_NS4plusIlEEEEZZNS1_33reduce_by_key_impl_wrapped_configILNS1_25lookback_scan_determinismE0ES3_S9_PfNS6_17constant_iteratorIiNS6_11use_defaultESE_EENS6_10device_ptrIfEENSG_IlEEPmS8_NS6_8equal_toIfEEEE10hipError_tPvRmT2_T3_mT4_T5_T6_T7_T8_P12ihipStream_tbENKUlT_T0_E_clISt17integral_constantIbLb1EES13_EEDaSY_SZ_EUlSY_E_NS1_11comp_targetILNS1_3genE10ELNS1_11target_archE1200ELNS1_3gpuE4ELNS1_3repE0EEENS1_30default_config_static_selectorELNS0_4arch9wavefront6targetE1EEEvT1_.num_agpr, 0
	.set _ZN7rocprim17ROCPRIM_400000_NS6detail17trampoline_kernelINS0_14default_configENS1_29reduce_by_key_config_selectorIflN6thrust23THRUST_200600_302600_NS4plusIlEEEEZZNS1_33reduce_by_key_impl_wrapped_configILNS1_25lookback_scan_determinismE0ES3_S9_PfNS6_17constant_iteratorIiNS6_11use_defaultESE_EENS6_10device_ptrIfEENSG_IlEEPmS8_NS6_8equal_toIfEEEE10hipError_tPvRmT2_T3_mT4_T5_T6_T7_T8_P12ihipStream_tbENKUlT_T0_E_clISt17integral_constantIbLb1EES13_EEDaSY_SZ_EUlSY_E_NS1_11comp_targetILNS1_3genE10ELNS1_11target_archE1200ELNS1_3gpuE4ELNS1_3repE0EEENS1_30default_config_static_selectorELNS0_4arch9wavefront6targetE1EEEvT1_.numbered_sgpr, 0
	.set _ZN7rocprim17ROCPRIM_400000_NS6detail17trampoline_kernelINS0_14default_configENS1_29reduce_by_key_config_selectorIflN6thrust23THRUST_200600_302600_NS4plusIlEEEEZZNS1_33reduce_by_key_impl_wrapped_configILNS1_25lookback_scan_determinismE0ES3_S9_PfNS6_17constant_iteratorIiNS6_11use_defaultESE_EENS6_10device_ptrIfEENSG_IlEEPmS8_NS6_8equal_toIfEEEE10hipError_tPvRmT2_T3_mT4_T5_T6_T7_T8_P12ihipStream_tbENKUlT_T0_E_clISt17integral_constantIbLb1EES13_EEDaSY_SZ_EUlSY_E_NS1_11comp_targetILNS1_3genE10ELNS1_11target_archE1200ELNS1_3gpuE4ELNS1_3repE0EEENS1_30default_config_static_selectorELNS0_4arch9wavefront6targetE1EEEvT1_.num_named_barrier, 0
	.set _ZN7rocprim17ROCPRIM_400000_NS6detail17trampoline_kernelINS0_14default_configENS1_29reduce_by_key_config_selectorIflN6thrust23THRUST_200600_302600_NS4plusIlEEEEZZNS1_33reduce_by_key_impl_wrapped_configILNS1_25lookback_scan_determinismE0ES3_S9_PfNS6_17constant_iteratorIiNS6_11use_defaultESE_EENS6_10device_ptrIfEENSG_IlEEPmS8_NS6_8equal_toIfEEEE10hipError_tPvRmT2_T3_mT4_T5_T6_T7_T8_P12ihipStream_tbENKUlT_T0_E_clISt17integral_constantIbLb1EES13_EEDaSY_SZ_EUlSY_E_NS1_11comp_targetILNS1_3genE10ELNS1_11target_archE1200ELNS1_3gpuE4ELNS1_3repE0EEENS1_30default_config_static_selectorELNS0_4arch9wavefront6targetE1EEEvT1_.private_seg_size, 0
	.set _ZN7rocprim17ROCPRIM_400000_NS6detail17trampoline_kernelINS0_14default_configENS1_29reduce_by_key_config_selectorIflN6thrust23THRUST_200600_302600_NS4plusIlEEEEZZNS1_33reduce_by_key_impl_wrapped_configILNS1_25lookback_scan_determinismE0ES3_S9_PfNS6_17constant_iteratorIiNS6_11use_defaultESE_EENS6_10device_ptrIfEENSG_IlEEPmS8_NS6_8equal_toIfEEEE10hipError_tPvRmT2_T3_mT4_T5_T6_T7_T8_P12ihipStream_tbENKUlT_T0_E_clISt17integral_constantIbLb1EES13_EEDaSY_SZ_EUlSY_E_NS1_11comp_targetILNS1_3genE10ELNS1_11target_archE1200ELNS1_3gpuE4ELNS1_3repE0EEENS1_30default_config_static_selectorELNS0_4arch9wavefront6targetE1EEEvT1_.uses_vcc, 0
	.set _ZN7rocprim17ROCPRIM_400000_NS6detail17trampoline_kernelINS0_14default_configENS1_29reduce_by_key_config_selectorIflN6thrust23THRUST_200600_302600_NS4plusIlEEEEZZNS1_33reduce_by_key_impl_wrapped_configILNS1_25lookback_scan_determinismE0ES3_S9_PfNS6_17constant_iteratorIiNS6_11use_defaultESE_EENS6_10device_ptrIfEENSG_IlEEPmS8_NS6_8equal_toIfEEEE10hipError_tPvRmT2_T3_mT4_T5_T6_T7_T8_P12ihipStream_tbENKUlT_T0_E_clISt17integral_constantIbLb1EES13_EEDaSY_SZ_EUlSY_E_NS1_11comp_targetILNS1_3genE10ELNS1_11target_archE1200ELNS1_3gpuE4ELNS1_3repE0EEENS1_30default_config_static_selectorELNS0_4arch9wavefront6targetE1EEEvT1_.uses_flat_scratch, 0
	.set _ZN7rocprim17ROCPRIM_400000_NS6detail17trampoline_kernelINS0_14default_configENS1_29reduce_by_key_config_selectorIflN6thrust23THRUST_200600_302600_NS4plusIlEEEEZZNS1_33reduce_by_key_impl_wrapped_configILNS1_25lookback_scan_determinismE0ES3_S9_PfNS6_17constant_iteratorIiNS6_11use_defaultESE_EENS6_10device_ptrIfEENSG_IlEEPmS8_NS6_8equal_toIfEEEE10hipError_tPvRmT2_T3_mT4_T5_T6_T7_T8_P12ihipStream_tbENKUlT_T0_E_clISt17integral_constantIbLb1EES13_EEDaSY_SZ_EUlSY_E_NS1_11comp_targetILNS1_3genE10ELNS1_11target_archE1200ELNS1_3gpuE4ELNS1_3repE0EEENS1_30default_config_static_selectorELNS0_4arch9wavefront6targetE1EEEvT1_.has_dyn_sized_stack, 0
	.set _ZN7rocprim17ROCPRIM_400000_NS6detail17trampoline_kernelINS0_14default_configENS1_29reduce_by_key_config_selectorIflN6thrust23THRUST_200600_302600_NS4plusIlEEEEZZNS1_33reduce_by_key_impl_wrapped_configILNS1_25lookback_scan_determinismE0ES3_S9_PfNS6_17constant_iteratorIiNS6_11use_defaultESE_EENS6_10device_ptrIfEENSG_IlEEPmS8_NS6_8equal_toIfEEEE10hipError_tPvRmT2_T3_mT4_T5_T6_T7_T8_P12ihipStream_tbENKUlT_T0_E_clISt17integral_constantIbLb1EES13_EEDaSY_SZ_EUlSY_E_NS1_11comp_targetILNS1_3genE10ELNS1_11target_archE1200ELNS1_3gpuE4ELNS1_3repE0EEENS1_30default_config_static_selectorELNS0_4arch9wavefront6targetE1EEEvT1_.has_recursion, 0
	.set _ZN7rocprim17ROCPRIM_400000_NS6detail17trampoline_kernelINS0_14default_configENS1_29reduce_by_key_config_selectorIflN6thrust23THRUST_200600_302600_NS4plusIlEEEEZZNS1_33reduce_by_key_impl_wrapped_configILNS1_25lookback_scan_determinismE0ES3_S9_PfNS6_17constant_iteratorIiNS6_11use_defaultESE_EENS6_10device_ptrIfEENSG_IlEEPmS8_NS6_8equal_toIfEEEE10hipError_tPvRmT2_T3_mT4_T5_T6_T7_T8_P12ihipStream_tbENKUlT_T0_E_clISt17integral_constantIbLb1EES13_EEDaSY_SZ_EUlSY_E_NS1_11comp_targetILNS1_3genE10ELNS1_11target_archE1200ELNS1_3gpuE4ELNS1_3repE0EEENS1_30default_config_static_selectorELNS0_4arch9wavefront6targetE1EEEvT1_.has_indirect_call, 0
	.section	.AMDGPU.csdata,"",@progbits
; Kernel info:
; codeLenInByte = 0
; TotalNumSgprs: 4
; NumVgprs: 0
; ScratchSize: 0
; MemoryBound: 0
; FloatMode: 240
; IeeeMode: 1
; LDSByteSize: 0 bytes/workgroup (compile time only)
; SGPRBlocks: 0
; VGPRBlocks: 0
; NumSGPRsForWavesPerEU: 4
; NumVGPRsForWavesPerEU: 1
; Occupancy: 10
; WaveLimiterHint : 0
; COMPUTE_PGM_RSRC2:SCRATCH_EN: 0
; COMPUTE_PGM_RSRC2:USER_SGPR: 6
; COMPUTE_PGM_RSRC2:TRAP_HANDLER: 0
; COMPUTE_PGM_RSRC2:TGID_X_EN: 1
; COMPUTE_PGM_RSRC2:TGID_Y_EN: 0
; COMPUTE_PGM_RSRC2:TGID_Z_EN: 0
; COMPUTE_PGM_RSRC2:TIDIG_COMP_CNT: 0
	.section	.text._ZN7rocprim17ROCPRIM_400000_NS6detail17trampoline_kernelINS0_14default_configENS1_29reduce_by_key_config_selectorIflN6thrust23THRUST_200600_302600_NS4plusIlEEEEZZNS1_33reduce_by_key_impl_wrapped_configILNS1_25lookback_scan_determinismE0ES3_S9_PfNS6_17constant_iteratorIiNS6_11use_defaultESE_EENS6_10device_ptrIfEENSG_IlEEPmS8_NS6_8equal_toIfEEEE10hipError_tPvRmT2_T3_mT4_T5_T6_T7_T8_P12ihipStream_tbENKUlT_T0_E_clISt17integral_constantIbLb1EES13_EEDaSY_SZ_EUlSY_E_NS1_11comp_targetILNS1_3genE9ELNS1_11target_archE1100ELNS1_3gpuE3ELNS1_3repE0EEENS1_30default_config_static_selectorELNS0_4arch9wavefront6targetE1EEEvT1_,"axG",@progbits,_ZN7rocprim17ROCPRIM_400000_NS6detail17trampoline_kernelINS0_14default_configENS1_29reduce_by_key_config_selectorIflN6thrust23THRUST_200600_302600_NS4plusIlEEEEZZNS1_33reduce_by_key_impl_wrapped_configILNS1_25lookback_scan_determinismE0ES3_S9_PfNS6_17constant_iteratorIiNS6_11use_defaultESE_EENS6_10device_ptrIfEENSG_IlEEPmS8_NS6_8equal_toIfEEEE10hipError_tPvRmT2_T3_mT4_T5_T6_T7_T8_P12ihipStream_tbENKUlT_T0_E_clISt17integral_constantIbLb1EES13_EEDaSY_SZ_EUlSY_E_NS1_11comp_targetILNS1_3genE9ELNS1_11target_archE1100ELNS1_3gpuE3ELNS1_3repE0EEENS1_30default_config_static_selectorELNS0_4arch9wavefront6targetE1EEEvT1_,comdat
	.protected	_ZN7rocprim17ROCPRIM_400000_NS6detail17trampoline_kernelINS0_14default_configENS1_29reduce_by_key_config_selectorIflN6thrust23THRUST_200600_302600_NS4plusIlEEEEZZNS1_33reduce_by_key_impl_wrapped_configILNS1_25lookback_scan_determinismE0ES3_S9_PfNS6_17constant_iteratorIiNS6_11use_defaultESE_EENS6_10device_ptrIfEENSG_IlEEPmS8_NS6_8equal_toIfEEEE10hipError_tPvRmT2_T3_mT4_T5_T6_T7_T8_P12ihipStream_tbENKUlT_T0_E_clISt17integral_constantIbLb1EES13_EEDaSY_SZ_EUlSY_E_NS1_11comp_targetILNS1_3genE9ELNS1_11target_archE1100ELNS1_3gpuE3ELNS1_3repE0EEENS1_30default_config_static_selectorELNS0_4arch9wavefront6targetE1EEEvT1_ ; -- Begin function _ZN7rocprim17ROCPRIM_400000_NS6detail17trampoline_kernelINS0_14default_configENS1_29reduce_by_key_config_selectorIflN6thrust23THRUST_200600_302600_NS4plusIlEEEEZZNS1_33reduce_by_key_impl_wrapped_configILNS1_25lookback_scan_determinismE0ES3_S9_PfNS6_17constant_iteratorIiNS6_11use_defaultESE_EENS6_10device_ptrIfEENSG_IlEEPmS8_NS6_8equal_toIfEEEE10hipError_tPvRmT2_T3_mT4_T5_T6_T7_T8_P12ihipStream_tbENKUlT_T0_E_clISt17integral_constantIbLb1EES13_EEDaSY_SZ_EUlSY_E_NS1_11comp_targetILNS1_3genE9ELNS1_11target_archE1100ELNS1_3gpuE3ELNS1_3repE0EEENS1_30default_config_static_selectorELNS0_4arch9wavefront6targetE1EEEvT1_
	.globl	_ZN7rocprim17ROCPRIM_400000_NS6detail17trampoline_kernelINS0_14default_configENS1_29reduce_by_key_config_selectorIflN6thrust23THRUST_200600_302600_NS4plusIlEEEEZZNS1_33reduce_by_key_impl_wrapped_configILNS1_25lookback_scan_determinismE0ES3_S9_PfNS6_17constant_iteratorIiNS6_11use_defaultESE_EENS6_10device_ptrIfEENSG_IlEEPmS8_NS6_8equal_toIfEEEE10hipError_tPvRmT2_T3_mT4_T5_T6_T7_T8_P12ihipStream_tbENKUlT_T0_E_clISt17integral_constantIbLb1EES13_EEDaSY_SZ_EUlSY_E_NS1_11comp_targetILNS1_3genE9ELNS1_11target_archE1100ELNS1_3gpuE3ELNS1_3repE0EEENS1_30default_config_static_selectorELNS0_4arch9wavefront6targetE1EEEvT1_
	.p2align	8
	.type	_ZN7rocprim17ROCPRIM_400000_NS6detail17trampoline_kernelINS0_14default_configENS1_29reduce_by_key_config_selectorIflN6thrust23THRUST_200600_302600_NS4plusIlEEEEZZNS1_33reduce_by_key_impl_wrapped_configILNS1_25lookback_scan_determinismE0ES3_S9_PfNS6_17constant_iteratorIiNS6_11use_defaultESE_EENS6_10device_ptrIfEENSG_IlEEPmS8_NS6_8equal_toIfEEEE10hipError_tPvRmT2_T3_mT4_T5_T6_T7_T8_P12ihipStream_tbENKUlT_T0_E_clISt17integral_constantIbLb1EES13_EEDaSY_SZ_EUlSY_E_NS1_11comp_targetILNS1_3genE9ELNS1_11target_archE1100ELNS1_3gpuE3ELNS1_3repE0EEENS1_30default_config_static_selectorELNS0_4arch9wavefront6targetE1EEEvT1_,@function
_ZN7rocprim17ROCPRIM_400000_NS6detail17trampoline_kernelINS0_14default_configENS1_29reduce_by_key_config_selectorIflN6thrust23THRUST_200600_302600_NS4plusIlEEEEZZNS1_33reduce_by_key_impl_wrapped_configILNS1_25lookback_scan_determinismE0ES3_S9_PfNS6_17constant_iteratorIiNS6_11use_defaultESE_EENS6_10device_ptrIfEENSG_IlEEPmS8_NS6_8equal_toIfEEEE10hipError_tPvRmT2_T3_mT4_T5_T6_T7_T8_P12ihipStream_tbENKUlT_T0_E_clISt17integral_constantIbLb1EES13_EEDaSY_SZ_EUlSY_E_NS1_11comp_targetILNS1_3genE9ELNS1_11target_archE1100ELNS1_3gpuE3ELNS1_3repE0EEENS1_30default_config_static_selectorELNS0_4arch9wavefront6targetE1EEEvT1_: ; @_ZN7rocprim17ROCPRIM_400000_NS6detail17trampoline_kernelINS0_14default_configENS1_29reduce_by_key_config_selectorIflN6thrust23THRUST_200600_302600_NS4plusIlEEEEZZNS1_33reduce_by_key_impl_wrapped_configILNS1_25lookback_scan_determinismE0ES3_S9_PfNS6_17constant_iteratorIiNS6_11use_defaultESE_EENS6_10device_ptrIfEENSG_IlEEPmS8_NS6_8equal_toIfEEEE10hipError_tPvRmT2_T3_mT4_T5_T6_T7_T8_P12ihipStream_tbENKUlT_T0_E_clISt17integral_constantIbLb1EES13_EEDaSY_SZ_EUlSY_E_NS1_11comp_targetILNS1_3genE9ELNS1_11target_archE1100ELNS1_3gpuE3ELNS1_3repE0EEENS1_30default_config_static_selectorELNS0_4arch9wavefront6targetE1EEEvT1_
; %bb.0:
	.section	.rodata,"a",@progbits
	.p2align	6, 0x0
	.amdhsa_kernel _ZN7rocprim17ROCPRIM_400000_NS6detail17trampoline_kernelINS0_14default_configENS1_29reduce_by_key_config_selectorIflN6thrust23THRUST_200600_302600_NS4plusIlEEEEZZNS1_33reduce_by_key_impl_wrapped_configILNS1_25lookback_scan_determinismE0ES3_S9_PfNS6_17constant_iteratorIiNS6_11use_defaultESE_EENS6_10device_ptrIfEENSG_IlEEPmS8_NS6_8equal_toIfEEEE10hipError_tPvRmT2_T3_mT4_T5_T6_T7_T8_P12ihipStream_tbENKUlT_T0_E_clISt17integral_constantIbLb1EES13_EEDaSY_SZ_EUlSY_E_NS1_11comp_targetILNS1_3genE9ELNS1_11target_archE1100ELNS1_3gpuE3ELNS1_3repE0EEENS1_30default_config_static_selectorELNS0_4arch9wavefront6targetE1EEEvT1_
		.amdhsa_group_segment_fixed_size 0
		.amdhsa_private_segment_fixed_size 0
		.amdhsa_kernarg_size 144
		.amdhsa_user_sgpr_count 6
		.amdhsa_user_sgpr_private_segment_buffer 1
		.amdhsa_user_sgpr_dispatch_ptr 0
		.amdhsa_user_sgpr_queue_ptr 0
		.amdhsa_user_sgpr_kernarg_segment_ptr 1
		.amdhsa_user_sgpr_dispatch_id 0
		.amdhsa_user_sgpr_flat_scratch_init 0
		.amdhsa_user_sgpr_private_segment_size 0
		.amdhsa_uses_dynamic_stack 0
		.amdhsa_system_sgpr_private_segment_wavefront_offset 0
		.amdhsa_system_sgpr_workgroup_id_x 1
		.amdhsa_system_sgpr_workgroup_id_y 0
		.amdhsa_system_sgpr_workgroup_id_z 0
		.amdhsa_system_sgpr_workgroup_info 0
		.amdhsa_system_vgpr_workitem_id 0
		.amdhsa_next_free_vgpr 1
		.amdhsa_next_free_sgpr 0
		.amdhsa_reserve_vcc 0
		.amdhsa_reserve_flat_scratch 0
		.amdhsa_float_round_mode_32 0
		.amdhsa_float_round_mode_16_64 0
		.amdhsa_float_denorm_mode_32 3
		.amdhsa_float_denorm_mode_16_64 3
		.amdhsa_dx10_clamp 1
		.amdhsa_ieee_mode 1
		.amdhsa_fp16_overflow 0
		.amdhsa_exception_fp_ieee_invalid_op 0
		.amdhsa_exception_fp_denorm_src 0
		.amdhsa_exception_fp_ieee_div_zero 0
		.amdhsa_exception_fp_ieee_overflow 0
		.amdhsa_exception_fp_ieee_underflow 0
		.amdhsa_exception_fp_ieee_inexact 0
		.amdhsa_exception_int_div_zero 0
	.end_amdhsa_kernel
	.section	.text._ZN7rocprim17ROCPRIM_400000_NS6detail17trampoline_kernelINS0_14default_configENS1_29reduce_by_key_config_selectorIflN6thrust23THRUST_200600_302600_NS4plusIlEEEEZZNS1_33reduce_by_key_impl_wrapped_configILNS1_25lookback_scan_determinismE0ES3_S9_PfNS6_17constant_iteratorIiNS6_11use_defaultESE_EENS6_10device_ptrIfEENSG_IlEEPmS8_NS6_8equal_toIfEEEE10hipError_tPvRmT2_T3_mT4_T5_T6_T7_T8_P12ihipStream_tbENKUlT_T0_E_clISt17integral_constantIbLb1EES13_EEDaSY_SZ_EUlSY_E_NS1_11comp_targetILNS1_3genE9ELNS1_11target_archE1100ELNS1_3gpuE3ELNS1_3repE0EEENS1_30default_config_static_selectorELNS0_4arch9wavefront6targetE1EEEvT1_,"axG",@progbits,_ZN7rocprim17ROCPRIM_400000_NS6detail17trampoline_kernelINS0_14default_configENS1_29reduce_by_key_config_selectorIflN6thrust23THRUST_200600_302600_NS4plusIlEEEEZZNS1_33reduce_by_key_impl_wrapped_configILNS1_25lookback_scan_determinismE0ES3_S9_PfNS6_17constant_iteratorIiNS6_11use_defaultESE_EENS6_10device_ptrIfEENSG_IlEEPmS8_NS6_8equal_toIfEEEE10hipError_tPvRmT2_T3_mT4_T5_T6_T7_T8_P12ihipStream_tbENKUlT_T0_E_clISt17integral_constantIbLb1EES13_EEDaSY_SZ_EUlSY_E_NS1_11comp_targetILNS1_3genE9ELNS1_11target_archE1100ELNS1_3gpuE3ELNS1_3repE0EEENS1_30default_config_static_selectorELNS0_4arch9wavefront6targetE1EEEvT1_,comdat
.Lfunc_end1922:
	.size	_ZN7rocprim17ROCPRIM_400000_NS6detail17trampoline_kernelINS0_14default_configENS1_29reduce_by_key_config_selectorIflN6thrust23THRUST_200600_302600_NS4plusIlEEEEZZNS1_33reduce_by_key_impl_wrapped_configILNS1_25lookback_scan_determinismE0ES3_S9_PfNS6_17constant_iteratorIiNS6_11use_defaultESE_EENS6_10device_ptrIfEENSG_IlEEPmS8_NS6_8equal_toIfEEEE10hipError_tPvRmT2_T3_mT4_T5_T6_T7_T8_P12ihipStream_tbENKUlT_T0_E_clISt17integral_constantIbLb1EES13_EEDaSY_SZ_EUlSY_E_NS1_11comp_targetILNS1_3genE9ELNS1_11target_archE1100ELNS1_3gpuE3ELNS1_3repE0EEENS1_30default_config_static_selectorELNS0_4arch9wavefront6targetE1EEEvT1_, .Lfunc_end1922-_ZN7rocprim17ROCPRIM_400000_NS6detail17trampoline_kernelINS0_14default_configENS1_29reduce_by_key_config_selectorIflN6thrust23THRUST_200600_302600_NS4plusIlEEEEZZNS1_33reduce_by_key_impl_wrapped_configILNS1_25lookback_scan_determinismE0ES3_S9_PfNS6_17constant_iteratorIiNS6_11use_defaultESE_EENS6_10device_ptrIfEENSG_IlEEPmS8_NS6_8equal_toIfEEEE10hipError_tPvRmT2_T3_mT4_T5_T6_T7_T8_P12ihipStream_tbENKUlT_T0_E_clISt17integral_constantIbLb1EES13_EEDaSY_SZ_EUlSY_E_NS1_11comp_targetILNS1_3genE9ELNS1_11target_archE1100ELNS1_3gpuE3ELNS1_3repE0EEENS1_30default_config_static_selectorELNS0_4arch9wavefront6targetE1EEEvT1_
                                        ; -- End function
	.set _ZN7rocprim17ROCPRIM_400000_NS6detail17trampoline_kernelINS0_14default_configENS1_29reduce_by_key_config_selectorIflN6thrust23THRUST_200600_302600_NS4plusIlEEEEZZNS1_33reduce_by_key_impl_wrapped_configILNS1_25lookback_scan_determinismE0ES3_S9_PfNS6_17constant_iteratorIiNS6_11use_defaultESE_EENS6_10device_ptrIfEENSG_IlEEPmS8_NS6_8equal_toIfEEEE10hipError_tPvRmT2_T3_mT4_T5_T6_T7_T8_P12ihipStream_tbENKUlT_T0_E_clISt17integral_constantIbLb1EES13_EEDaSY_SZ_EUlSY_E_NS1_11comp_targetILNS1_3genE9ELNS1_11target_archE1100ELNS1_3gpuE3ELNS1_3repE0EEENS1_30default_config_static_selectorELNS0_4arch9wavefront6targetE1EEEvT1_.num_vgpr, 0
	.set _ZN7rocprim17ROCPRIM_400000_NS6detail17trampoline_kernelINS0_14default_configENS1_29reduce_by_key_config_selectorIflN6thrust23THRUST_200600_302600_NS4plusIlEEEEZZNS1_33reduce_by_key_impl_wrapped_configILNS1_25lookback_scan_determinismE0ES3_S9_PfNS6_17constant_iteratorIiNS6_11use_defaultESE_EENS6_10device_ptrIfEENSG_IlEEPmS8_NS6_8equal_toIfEEEE10hipError_tPvRmT2_T3_mT4_T5_T6_T7_T8_P12ihipStream_tbENKUlT_T0_E_clISt17integral_constantIbLb1EES13_EEDaSY_SZ_EUlSY_E_NS1_11comp_targetILNS1_3genE9ELNS1_11target_archE1100ELNS1_3gpuE3ELNS1_3repE0EEENS1_30default_config_static_selectorELNS0_4arch9wavefront6targetE1EEEvT1_.num_agpr, 0
	.set _ZN7rocprim17ROCPRIM_400000_NS6detail17trampoline_kernelINS0_14default_configENS1_29reduce_by_key_config_selectorIflN6thrust23THRUST_200600_302600_NS4plusIlEEEEZZNS1_33reduce_by_key_impl_wrapped_configILNS1_25lookback_scan_determinismE0ES3_S9_PfNS6_17constant_iteratorIiNS6_11use_defaultESE_EENS6_10device_ptrIfEENSG_IlEEPmS8_NS6_8equal_toIfEEEE10hipError_tPvRmT2_T3_mT4_T5_T6_T7_T8_P12ihipStream_tbENKUlT_T0_E_clISt17integral_constantIbLb1EES13_EEDaSY_SZ_EUlSY_E_NS1_11comp_targetILNS1_3genE9ELNS1_11target_archE1100ELNS1_3gpuE3ELNS1_3repE0EEENS1_30default_config_static_selectorELNS0_4arch9wavefront6targetE1EEEvT1_.numbered_sgpr, 0
	.set _ZN7rocprim17ROCPRIM_400000_NS6detail17trampoline_kernelINS0_14default_configENS1_29reduce_by_key_config_selectorIflN6thrust23THRUST_200600_302600_NS4plusIlEEEEZZNS1_33reduce_by_key_impl_wrapped_configILNS1_25lookback_scan_determinismE0ES3_S9_PfNS6_17constant_iteratorIiNS6_11use_defaultESE_EENS6_10device_ptrIfEENSG_IlEEPmS8_NS6_8equal_toIfEEEE10hipError_tPvRmT2_T3_mT4_T5_T6_T7_T8_P12ihipStream_tbENKUlT_T0_E_clISt17integral_constantIbLb1EES13_EEDaSY_SZ_EUlSY_E_NS1_11comp_targetILNS1_3genE9ELNS1_11target_archE1100ELNS1_3gpuE3ELNS1_3repE0EEENS1_30default_config_static_selectorELNS0_4arch9wavefront6targetE1EEEvT1_.num_named_barrier, 0
	.set _ZN7rocprim17ROCPRIM_400000_NS6detail17trampoline_kernelINS0_14default_configENS1_29reduce_by_key_config_selectorIflN6thrust23THRUST_200600_302600_NS4plusIlEEEEZZNS1_33reduce_by_key_impl_wrapped_configILNS1_25lookback_scan_determinismE0ES3_S9_PfNS6_17constant_iteratorIiNS6_11use_defaultESE_EENS6_10device_ptrIfEENSG_IlEEPmS8_NS6_8equal_toIfEEEE10hipError_tPvRmT2_T3_mT4_T5_T6_T7_T8_P12ihipStream_tbENKUlT_T0_E_clISt17integral_constantIbLb1EES13_EEDaSY_SZ_EUlSY_E_NS1_11comp_targetILNS1_3genE9ELNS1_11target_archE1100ELNS1_3gpuE3ELNS1_3repE0EEENS1_30default_config_static_selectorELNS0_4arch9wavefront6targetE1EEEvT1_.private_seg_size, 0
	.set _ZN7rocprim17ROCPRIM_400000_NS6detail17trampoline_kernelINS0_14default_configENS1_29reduce_by_key_config_selectorIflN6thrust23THRUST_200600_302600_NS4plusIlEEEEZZNS1_33reduce_by_key_impl_wrapped_configILNS1_25lookback_scan_determinismE0ES3_S9_PfNS6_17constant_iteratorIiNS6_11use_defaultESE_EENS6_10device_ptrIfEENSG_IlEEPmS8_NS6_8equal_toIfEEEE10hipError_tPvRmT2_T3_mT4_T5_T6_T7_T8_P12ihipStream_tbENKUlT_T0_E_clISt17integral_constantIbLb1EES13_EEDaSY_SZ_EUlSY_E_NS1_11comp_targetILNS1_3genE9ELNS1_11target_archE1100ELNS1_3gpuE3ELNS1_3repE0EEENS1_30default_config_static_selectorELNS0_4arch9wavefront6targetE1EEEvT1_.uses_vcc, 0
	.set _ZN7rocprim17ROCPRIM_400000_NS6detail17trampoline_kernelINS0_14default_configENS1_29reduce_by_key_config_selectorIflN6thrust23THRUST_200600_302600_NS4plusIlEEEEZZNS1_33reduce_by_key_impl_wrapped_configILNS1_25lookback_scan_determinismE0ES3_S9_PfNS6_17constant_iteratorIiNS6_11use_defaultESE_EENS6_10device_ptrIfEENSG_IlEEPmS8_NS6_8equal_toIfEEEE10hipError_tPvRmT2_T3_mT4_T5_T6_T7_T8_P12ihipStream_tbENKUlT_T0_E_clISt17integral_constantIbLb1EES13_EEDaSY_SZ_EUlSY_E_NS1_11comp_targetILNS1_3genE9ELNS1_11target_archE1100ELNS1_3gpuE3ELNS1_3repE0EEENS1_30default_config_static_selectorELNS0_4arch9wavefront6targetE1EEEvT1_.uses_flat_scratch, 0
	.set _ZN7rocprim17ROCPRIM_400000_NS6detail17trampoline_kernelINS0_14default_configENS1_29reduce_by_key_config_selectorIflN6thrust23THRUST_200600_302600_NS4plusIlEEEEZZNS1_33reduce_by_key_impl_wrapped_configILNS1_25lookback_scan_determinismE0ES3_S9_PfNS6_17constant_iteratorIiNS6_11use_defaultESE_EENS6_10device_ptrIfEENSG_IlEEPmS8_NS6_8equal_toIfEEEE10hipError_tPvRmT2_T3_mT4_T5_T6_T7_T8_P12ihipStream_tbENKUlT_T0_E_clISt17integral_constantIbLb1EES13_EEDaSY_SZ_EUlSY_E_NS1_11comp_targetILNS1_3genE9ELNS1_11target_archE1100ELNS1_3gpuE3ELNS1_3repE0EEENS1_30default_config_static_selectorELNS0_4arch9wavefront6targetE1EEEvT1_.has_dyn_sized_stack, 0
	.set _ZN7rocprim17ROCPRIM_400000_NS6detail17trampoline_kernelINS0_14default_configENS1_29reduce_by_key_config_selectorIflN6thrust23THRUST_200600_302600_NS4plusIlEEEEZZNS1_33reduce_by_key_impl_wrapped_configILNS1_25lookback_scan_determinismE0ES3_S9_PfNS6_17constant_iteratorIiNS6_11use_defaultESE_EENS6_10device_ptrIfEENSG_IlEEPmS8_NS6_8equal_toIfEEEE10hipError_tPvRmT2_T3_mT4_T5_T6_T7_T8_P12ihipStream_tbENKUlT_T0_E_clISt17integral_constantIbLb1EES13_EEDaSY_SZ_EUlSY_E_NS1_11comp_targetILNS1_3genE9ELNS1_11target_archE1100ELNS1_3gpuE3ELNS1_3repE0EEENS1_30default_config_static_selectorELNS0_4arch9wavefront6targetE1EEEvT1_.has_recursion, 0
	.set _ZN7rocprim17ROCPRIM_400000_NS6detail17trampoline_kernelINS0_14default_configENS1_29reduce_by_key_config_selectorIflN6thrust23THRUST_200600_302600_NS4plusIlEEEEZZNS1_33reduce_by_key_impl_wrapped_configILNS1_25lookback_scan_determinismE0ES3_S9_PfNS6_17constant_iteratorIiNS6_11use_defaultESE_EENS6_10device_ptrIfEENSG_IlEEPmS8_NS6_8equal_toIfEEEE10hipError_tPvRmT2_T3_mT4_T5_T6_T7_T8_P12ihipStream_tbENKUlT_T0_E_clISt17integral_constantIbLb1EES13_EEDaSY_SZ_EUlSY_E_NS1_11comp_targetILNS1_3genE9ELNS1_11target_archE1100ELNS1_3gpuE3ELNS1_3repE0EEENS1_30default_config_static_selectorELNS0_4arch9wavefront6targetE1EEEvT1_.has_indirect_call, 0
	.section	.AMDGPU.csdata,"",@progbits
; Kernel info:
; codeLenInByte = 0
; TotalNumSgprs: 4
; NumVgprs: 0
; ScratchSize: 0
; MemoryBound: 0
; FloatMode: 240
; IeeeMode: 1
; LDSByteSize: 0 bytes/workgroup (compile time only)
; SGPRBlocks: 0
; VGPRBlocks: 0
; NumSGPRsForWavesPerEU: 4
; NumVGPRsForWavesPerEU: 1
; Occupancy: 10
; WaveLimiterHint : 0
; COMPUTE_PGM_RSRC2:SCRATCH_EN: 0
; COMPUTE_PGM_RSRC2:USER_SGPR: 6
; COMPUTE_PGM_RSRC2:TRAP_HANDLER: 0
; COMPUTE_PGM_RSRC2:TGID_X_EN: 1
; COMPUTE_PGM_RSRC2:TGID_Y_EN: 0
; COMPUTE_PGM_RSRC2:TGID_Z_EN: 0
; COMPUTE_PGM_RSRC2:TIDIG_COMP_CNT: 0
	.section	.text._ZN7rocprim17ROCPRIM_400000_NS6detail17trampoline_kernelINS0_14default_configENS1_29reduce_by_key_config_selectorIflN6thrust23THRUST_200600_302600_NS4plusIlEEEEZZNS1_33reduce_by_key_impl_wrapped_configILNS1_25lookback_scan_determinismE0ES3_S9_PfNS6_17constant_iteratorIiNS6_11use_defaultESE_EENS6_10device_ptrIfEENSG_IlEEPmS8_NS6_8equal_toIfEEEE10hipError_tPvRmT2_T3_mT4_T5_T6_T7_T8_P12ihipStream_tbENKUlT_T0_E_clISt17integral_constantIbLb1EES13_EEDaSY_SZ_EUlSY_E_NS1_11comp_targetILNS1_3genE8ELNS1_11target_archE1030ELNS1_3gpuE2ELNS1_3repE0EEENS1_30default_config_static_selectorELNS0_4arch9wavefront6targetE1EEEvT1_,"axG",@progbits,_ZN7rocprim17ROCPRIM_400000_NS6detail17trampoline_kernelINS0_14default_configENS1_29reduce_by_key_config_selectorIflN6thrust23THRUST_200600_302600_NS4plusIlEEEEZZNS1_33reduce_by_key_impl_wrapped_configILNS1_25lookback_scan_determinismE0ES3_S9_PfNS6_17constant_iteratorIiNS6_11use_defaultESE_EENS6_10device_ptrIfEENSG_IlEEPmS8_NS6_8equal_toIfEEEE10hipError_tPvRmT2_T3_mT4_T5_T6_T7_T8_P12ihipStream_tbENKUlT_T0_E_clISt17integral_constantIbLb1EES13_EEDaSY_SZ_EUlSY_E_NS1_11comp_targetILNS1_3genE8ELNS1_11target_archE1030ELNS1_3gpuE2ELNS1_3repE0EEENS1_30default_config_static_selectorELNS0_4arch9wavefront6targetE1EEEvT1_,comdat
	.protected	_ZN7rocprim17ROCPRIM_400000_NS6detail17trampoline_kernelINS0_14default_configENS1_29reduce_by_key_config_selectorIflN6thrust23THRUST_200600_302600_NS4plusIlEEEEZZNS1_33reduce_by_key_impl_wrapped_configILNS1_25lookback_scan_determinismE0ES3_S9_PfNS6_17constant_iteratorIiNS6_11use_defaultESE_EENS6_10device_ptrIfEENSG_IlEEPmS8_NS6_8equal_toIfEEEE10hipError_tPvRmT2_T3_mT4_T5_T6_T7_T8_P12ihipStream_tbENKUlT_T0_E_clISt17integral_constantIbLb1EES13_EEDaSY_SZ_EUlSY_E_NS1_11comp_targetILNS1_3genE8ELNS1_11target_archE1030ELNS1_3gpuE2ELNS1_3repE0EEENS1_30default_config_static_selectorELNS0_4arch9wavefront6targetE1EEEvT1_ ; -- Begin function _ZN7rocprim17ROCPRIM_400000_NS6detail17trampoline_kernelINS0_14default_configENS1_29reduce_by_key_config_selectorIflN6thrust23THRUST_200600_302600_NS4plusIlEEEEZZNS1_33reduce_by_key_impl_wrapped_configILNS1_25lookback_scan_determinismE0ES3_S9_PfNS6_17constant_iteratorIiNS6_11use_defaultESE_EENS6_10device_ptrIfEENSG_IlEEPmS8_NS6_8equal_toIfEEEE10hipError_tPvRmT2_T3_mT4_T5_T6_T7_T8_P12ihipStream_tbENKUlT_T0_E_clISt17integral_constantIbLb1EES13_EEDaSY_SZ_EUlSY_E_NS1_11comp_targetILNS1_3genE8ELNS1_11target_archE1030ELNS1_3gpuE2ELNS1_3repE0EEENS1_30default_config_static_selectorELNS0_4arch9wavefront6targetE1EEEvT1_
	.globl	_ZN7rocprim17ROCPRIM_400000_NS6detail17trampoline_kernelINS0_14default_configENS1_29reduce_by_key_config_selectorIflN6thrust23THRUST_200600_302600_NS4plusIlEEEEZZNS1_33reduce_by_key_impl_wrapped_configILNS1_25lookback_scan_determinismE0ES3_S9_PfNS6_17constant_iteratorIiNS6_11use_defaultESE_EENS6_10device_ptrIfEENSG_IlEEPmS8_NS6_8equal_toIfEEEE10hipError_tPvRmT2_T3_mT4_T5_T6_T7_T8_P12ihipStream_tbENKUlT_T0_E_clISt17integral_constantIbLb1EES13_EEDaSY_SZ_EUlSY_E_NS1_11comp_targetILNS1_3genE8ELNS1_11target_archE1030ELNS1_3gpuE2ELNS1_3repE0EEENS1_30default_config_static_selectorELNS0_4arch9wavefront6targetE1EEEvT1_
	.p2align	8
	.type	_ZN7rocprim17ROCPRIM_400000_NS6detail17trampoline_kernelINS0_14default_configENS1_29reduce_by_key_config_selectorIflN6thrust23THRUST_200600_302600_NS4plusIlEEEEZZNS1_33reduce_by_key_impl_wrapped_configILNS1_25lookback_scan_determinismE0ES3_S9_PfNS6_17constant_iteratorIiNS6_11use_defaultESE_EENS6_10device_ptrIfEENSG_IlEEPmS8_NS6_8equal_toIfEEEE10hipError_tPvRmT2_T3_mT4_T5_T6_T7_T8_P12ihipStream_tbENKUlT_T0_E_clISt17integral_constantIbLb1EES13_EEDaSY_SZ_EUlSY_E_NS1_11comp_targetILNS1_3genE8ELNS1_11target_archE1030ELNS1_3gpuE2ELNS1_3repE0EEENS1_30default_config_static_selectorELNS0_4arch9wavefront6targetE1EEEvT1_,@function
_ZN7rocprim17ROCPRIM_400000_NS6detail17trampoline_kernelINS0_14default_configENS1_29reduce_by_key_config_selectorIflN6thrust23THRUST_200600_302600_NS4plusIlEEEEZZNS1_33reduce_by_key_impl_wrapped_configILNS1_25lookback_scan_determinismE0ES3_S9_PfNS6_17constant_iteratorIiNS6_11use_defaultESE_EENS6_10device_ptrIfEENSG_IlEEPmS8_NS6_8equal_toIfEEEE10hipError_tPvRmT2_T3_mT4_T5_T6_T7_T8_P12ihipStream_tbENKUlT_T0_E_clISt17integral_constantIbLb1EES13_EEDaSY_SZ_EUlSY_E_NS1_11comp_targetILNS1_3genE8ELNS1_11target_archE1030ELNS1_3gpuE2ELNS1_3repE0EEENS1_30default_config_static_selectorELNS0_4arch9wavefront6targetE1EEEvT1_: ; @_ZN7rocprim17ROCPRIM_400000_NS6detail17trampoline_kernelINS0_14default_configENS1_29reduce_by_key_config_selectorIflN6thrust23THRUST_200600_302600_NS4plusIlEEEEZZNS1_33reduce_by_key_impl_wrapped_configILNS1_25lookback_scan_determinismE0ES3_S9_PfNS6_17constant_iteratorIiNS6_11use_defaultESE_EENS6_10device_ptrIfEENSG_IlEEPmS8_NS6_8equal_toIfEEEE10hipError_tPvRmT2_T3_mT4_T5_T6_T7_T8_P12ihipStream_tbENKUlT_T0_E_clISt17integral_constantIbLb1EES13_EEDaSY_SZ_EUlSY_E_NS1_11comp_targetILNS1_3genE8ELNS1_11target_archE1030ELNS1_3gpuE2ELNS1_3repE0EEENS1_30default_config_static_selectorELNS0_4arch9wavefront6targetE1EEEvT1_
; %bb.0:
	.section	.rodata,"a",@progbits
	.p2align	6, 0x0
	.amdhsa_kernel _ZN7rocprim17ROCPRIM_400000_NS6detail17trampoline_kernelINS0_14default_configENS1_29reduce_by_key_config_selectorIflN6thrust23THRUST_200600_302600_NS4plusIlEEEEZZNS1_33reduce_by_key_impl_wrapped_configILNS1_25lookback_scan_determinismE0ES3_S9_PfNS6_17constant_iteratorIiNS6_11use_defaultESE_EENS6_10device_ptrIfEENSG_IlEEPmS8_NS6_8equal_toIfEEEE10hipError_tPvRmT2_T3_mT4_T5_T6_T7_T8_P12ihipStream_tbENKUlT_T0_E_clISt17integral_constantIbLb1EES13_EEDaSY_SZ_EUlSY_E_NS1_11comp_targetILNS1_3genE8ELNS1_11target_archE1030ELNS1_3gpuE2ELNS1_3repE0EEENS1_30default_config_static_selectorELNS0_4arch9wavefront6targetE1EEEvT1_
		.amdhsa_group_segment_fixed_size 0
		.amdhsa_private_segment_fixed_size 0
		.amdhsa_kernarg_size 144
		.amdhsa_user_sgpr_count 6
		.amdhsa_user_sgpr_private_segment_buffer 1
		.amdhsa_user_sgpr_dispatch_ptr 0
		.amdhsa_user_sgpr_queue_ptr 0
		.amdhsa_user_sgpr_kernarg_segment_ptr 1
		.amdhsa_user_sgpr_dispatch_id 0
		.amdhsa_user_sgpr_flat_scratch_init 0
		.amdhsa_user_sgpr_private_segment_size 0
		.amdhsa_uses_dynamic_stack 0
		.amdhsa_system_sgpr_private_segment_wavefront_offset 0
		.amdhsa_system_sgpr_workgroup_id_x 1
		.amdhsa_system_sgpr_workgroup_id_y 0
		.amdhsa_system_sgpr_workgroup_id_z 0
		.amdhsa_system_sgpr_workgroup_info 0
		.amdhsa_system_vgpr_workitem_id 0
		.amdhsa_next_free_vgpr 1
		.amdhsa_next_free_sgpr 0
		.amdhsa_reserve_vcc 0
		.amdhsa_reserve_flat_scratch 0
		.amdhsa_float_round_mode_32 0
		.amdhsa_float_round_mode_16_64 0
		.amdhsa_float_denorm_mode_32 3
		.amdhsa_float_denorm_mode_16_64 3
		.amdhsa_dx10_clamp 1
		.amdhsa_ieee_mode 1
		.amdhsa_fp16_overflow 0
		.amdhsa_exception_fp_ieee_invalid_op 0
		.amdhsa_exception_fp_denorm_src 0
		.amdhsa_exception_fp_ieee_div_zero 0
		.amdhsa_exception_fp_ieee_overflow 0
		.amdhsa_exception_fp_ieee_underflow 0
		.amdhsa_exception_fp_ieee_inexact 0
		.amdhsa_exception_int_div_zero 0
	.end_amdhsa_kernel
	.section	.text._ZN7rocprim17ROCPRIM_400000_NS6detail17trampoline_kernelINS0_14default_configENS1_29reduce_by_key_config_selectorIflN6thrust23THRUST_200600_302600_NS4plusIlEEEEZZNS1_33reduce_by_key_impl_wrapped_configILNS1_25lookback_scan_determinismE0ES3_S9_PfNS6_17constant_iteratorIiNS6_11use_defaultESE_EENS6_10device_ptrIfEENSG_IlEEPmS8_NS6_8equal_toIfEEEE10hipError_tPvRmT2_T3_mT4_T5_T6_T7_T8_P12ihipStream_tbENKUlT_T0_E_clISt17integral_constantIbLb1EES13_EEDaSY_SZ_EUlSY_E_NS1_11comp_targetILNS1_3genE8ELNS1_11target_archE1030ELNS1_3gpuE2ELNS1_3repE0EEENS1_30default_config_static_selectorELNS0_4arch9wavefront6targetE1EEEvT1_,"axG",@progbits,_ZN7rocprim17ROCPRIM_400000_NS6detail17trampoline_kernelINS0_14default_configENS1_29reduce_by_key_config_selectorIflN6thrust23THRUST_200600_302600_NS4plusIlEEEEZZNS1_33reduce_by_key_impl_wrapped_configILNS1_25lookback_scan_determinismE0ES3_S9_PfNS6_17constant_iteratorIiNS6_11use_defaultESE_EENS6_10device_ptrIfEENSG_IlEEPmS8_NS6_8equal_toIfEEEE10hipError_tPvRmT2_T3_mT4_T5_T6_T7_T8_P12ihipStream_tbENKUlT_T0_E_clISt17integral_constantIbLb1EES13_EEDaSY_SZ_EUlSY_E_NS1_11comp_targetILNS1_3genE8ELNS1_11target_archE1030ELNS1_3gpuE2ELNS1_3repE0EEENS1_30default_config_static_selectorELNS0_4arch9wavefront6targetE1EEEvT1_,comdat
.Lfunc_end1923:
	.size	_ZN7rocprim17ROCPRIM_400000_NS6detail17trampoline_kernelINS0_14default_configENS1_29reduce_by_key_config_selectorIflN6thrust23THRUST_200600_302600_NS4plusIlEEEEZZNS1_33reduce_by_key_impl_wrapped_configILNS1_25lookback_scan_determinismE0ES3_S9_PfNS6_17constant_iteratorIiNS6_11use_defaultESE_EENS6_10device_ptrIfEENSG_IlEEPmS8_NS6_8equal_toIfEEEE10hipError_tPvRmT2_T3_mT4_T5_T6_T7_T8_P12ihipStream_tbENKUlT_T0_E_clISt17integral_constantIbLb1EES13_EEDaSY_SZ_EUlSY_E_NS1_11comp_targetILNS1_3genE8ELNS1_11target_archE1030ELNS1_3gpuE2ELNS1_3repE0EEENS1_30default_config_static_selectorELNS0_4arch9wavefront6targetE1EEEvT1_, .Lfunc_end1923-_ZN7rocprim17ROCPRIM_400000_NS6detail17trampoline_kernelINS0_14default_configENS1_29reduce_by_key_config_selectorIflN6thrust23THRUST_200600_302600_NS4plusIlEEEEZZNS1_33reduce_by_key_impl_wrapped_configILNS1_25lookback_scan_determinismE0ES3_S9_PfNS6_17constant_iteratorIiNS6_11use_defaultESE_EENS6_10device_ptrIfEENSG_IlEEPmS8_NS6_8equal_toIfEEEE10hipError_tPvRmT2_T3_mT4_T5_T6_T7_T8_P12ihipStream_tbENKUlT_T0_E_clISt17integral_constantIbLb1EES13_EEDaSY_SZ_EUlSY_E_NS1_11comp_targetILNS1_3genE8ELNS1_11target_archE1030ELNS1_3gpuE2ELNS1_3repE0EEENS1_30default_config_static_selectorELNS0_4arch9wavefront6targetE1EEEvT1_
                                        ; -- End function
	.set _ZN7rocprim17ROCPRIM_400000_NS6detail17trampoline_kernelINS0_14default_configENS1_29reduce_by_key_config_selectorIflN6thrust23THRUST_200600_302600_NS4plusIlEEEEZZNS1_33reduce_by_key_impl_wrapped_configILNS1_25lookback_scan_determinismE0ES3_S9_PfNS6_17constant_iteratorIiNS6_11use_defaultESE_EENS6_10device_ptrIfEENSG_IlEEPmS8_NS6_8equal_toIfEEEE10hipError_tPvRmT2_T3_mT4_T5_T6_T7_T8_P12ihipStream_tbENKUlT_T0_E_clISt17integral_constantIbLb1EES13_EEDaSY_SZ_EUlSY_E_NS1_11comp_targetILNS1_3genE8ELNS1_11target_archE1030ELNS1_3gpuE2ELNS1_3repE0EEENS1_30default_config_static_selectorELNS0_4arch9wavefront6targetE1EEEvT1_.num_vgpr, 0
	.set _ZN7rocprim17ROCPRIM_400000_NS6detail17trampoline_kernelINS0_14default_configENS1_29reduce_by_key_config_selectorIflN6thrust23THRUST_200600_302600_NS4plusIlEEEEZZNS1_33reduce_by_key_impl_wrapped_configILNS1_25lookback_scan_determinismE0ES3_S9_PfNS6_17constant_iteratorIiNS6_11use_defaultESE_EENS6_10device_ptrIfEENSG_IlEEPmS8_NS6_8equal_toIfEEEE10hipError_tPvRmT2_T3_mT4_T5_T6_T7_T8_P12ihipStream_tbENKUlT_T0_E_clISt17integral_constantIbLb1EES13_EEDaSY_SZ_EUlSY_E_NS1_11comp_targetILNS1_3genE8ELNS1_11target_archE1030ELNS1_3gpuE2ELNS1_3repE0EEENS1_30default_config_static_selectorELNS0_4arch9wavefront6targetE1EEEvT1_.num_agpr, 0
	.set _ZN7rocprim17ROCPRIM_400000_NS6detail17trampoline_kernelINS0_14default_configENS1_29reduce_by_key_config_selectorIflN6thrust23THRUST_200600_302600_NS4plusIlEEEEZZNS1_33reduce_by_key_impl_wrapped_configILNS1_25lookback_scan_determinismE0ES3_S9_PfNS6_17constant_iteratorIiNS6_11use_defaultESE_EENS6_10device_ptrIfEENSG_IlEEPmS8_NS6_8equal_toIfEEEE10hipError_tPvRmT2_T3_mT4_T5_T6_T7_T8_P12ihipStream_tbENKUlT_T0_E_clISt17integral_constantIbLb1EES13_EEDaSY_SZ_EUlSY_E_NS1_11comp_targetILNS1_3genE8ELNS1_11target_archE1030ELNS1_3gpuE2ELNS1_3repE0EEENS1_30default_config_static_selectorELNS0_4arch9wavefront6targetE1EEEvT1_.numbered_sgpr, 0
	.set _ZN7rocprim17ROCPRIM_400000_NS6detail17trampoline_kernelINS0_14default_configENS1_29reduce_by_key_config_selectorIflN6thrust23THRUST_200600_302600_NS4plusIlEEEEZZNS1_33reduce_by_key_impl_wrapped_configILNS1_25lookback_scan_determinismE0ES3_S9_PfNS6_17constant_iteratorIiNS6_11use_defaultESE_EENS6_10device_ptrIfEENSG_IlEEPmS8_NS6_8equal_toIfEEEE10hipError_tPvRmT2_T3_mT4_T5_T6_T7_T8_P12ihipStream_tbENKUlT_T0_E_clISt17integral_constantIbLb1EES13_EEDaSY_SZ_EUlSY_E_NS1_11comp_targetILNS1_3genE8ELNS1_11target_archE1030ELNS1_3gpuE2ELNS1_3repE0EEENS1_30default_config_static_selectorELNS0_4arch9wavefront6targetE1EEEvT1_.num_named_barrier, 0
	.set _ZN7rocprim17ROCPRIM_400000_NS6detail17trampoline_kernelINS0_14default_configENS1_29reduce_by_key_config_selectorIflN6thrust23THRUST_200600_302600_NS4plusIlEEEEZZNS1_33reduce_by_key_impl_wrapped_configILNS1_25lookback_scan_determinismE0ES3_S9_PfNS6_17constant_iteratorIiNS6_11use_defaultESE_EENS6_10device_ptrIfEENSG_IlEEPmS8_NS6_8equal_toIfEEEE10hipError_tPvRmT2_T3_mT4_T5_T6_T7_T8_P12ihipStream_tbENKUlT_T0_E_clISt17integral_constantIbLb1EES13_EEDaSY_SZ_EUlSY_E_NS1_11comp_targetILNS1_3genE8ELNS1_11target_archE1030ELNS1_3gpuE2ELNS1_3repE0EEENS1_30default_config_static_selectorELNS0_4arch9wavefront6targetE1EEEvT1_.private_seg_size, 0
	.set _ZN7rocprim17ROCPRIM_400000_NS6detail17trampoline_kernelINS0_14default_configENS1_29reduce_by_key_config_selectorIflN6thrust23THRUST_200600_302600_NS4plusIlEEEEZZNS1_33reduce_by_key_impl_wrapped_configILNS1_25lookback_scan_determinismE0ES3_S9_PfNS6_17constant_iteratorIiNS6_11use_defaultESE_EENS6_10device_ptrIfEENSG_IlEEPmS8_NS6_8equal_toIfEEEE10hipError_tPvRmT2_T3_mT4_T5_T6_T7_T8_P12ihipStream_tbENKUlT_T0_E_clISt17integral_constantIbLb1EES13_EEDaSY_SZ_EUlSY_E_NS1_11comp_targetILNS1_3genE8ELNS1_11target_archE1030ELNS1_3gpuE2ELNS1_3repE0EEENS1_30default_config_static_selectorELNS0_4arch9wavefront6targetE1EEEvT1_.uses_vcc, 0
	.set _ZN7rocprim17ROCPRIM_400000_NS6detail17trampoline_kernelINS0_14default_configENS1_29reduce_by_key_config_selectorIflN6thrust23THRUST_200600_302600_NS4plusIlEEEEZZNS1_33reduce_by_key_impl_wrapped_configILNS1_25lookback_scan_determinismE0ES3_S9_PfNS6_17constant_iteratorIiNS6_11use_defaultESE_EENS6_10device_ptrIfEENSG_IlEEPmS8_NS6_8equal_toIfEEEE10hipError_tPvRmT2_T3_mT4_T5_T6_T7_T8_P12ihipStream_tbENKUlT_T0_E_clISt17integral_constantIbLb1EES13_EEDaSY_SZ_EUlSY_E_NS1_11comp_targetILNS1_3genE8ELNS1_11target_archE1030ELNS1_3gpuE2ELNS1_3repE0EEENS1_30default_config_static_selectorELNS0_4arch9wavefront6targetE1EEEvT1_.uses_flat_scratch, 0
	.set _ZN7rocprim17ROCPRIM_400000_NS6detail17trampoline_kernelINS0_14default_configENS1_29reduce_by_key_config_selectorIflN6thrust23THRUST_200600_302600_NS4plusIlEEEEZZNS1_33reduce_by_key_impl_wrapped_configILNS1_25lookback_scan_determinismE0ES3_S9_PfNS6_17constant_iteratorIiNS6_11use_defaultESE_EENS6_10device_ptrIfEENSG_IlEEPmS8_NS6_8equal_toIfEEEE10hipError_tPvRmT2_T3_mT4_T5_T6_T7_T8_P12ihipStream_tbENKUlT_T0_E_clISt17integral_constantIbLb1EES13_EEDaSY_SZ_EUlSY_E_NS1_11comp_targetILNS1_3genE8ELNS1_11target_archE1030ELNS1_3gpuE2ELNS1_3repE0EEENS1_30default_config_static_selectorELNS0_4arch9wavefront6targetE1EEEvT1_.has_dyn_sized_stack, 0
	.set _ZN7rocprim17ROCPRIM_400000_NS6detail17trampoline_kernelINS0_14default_configENS1_29reduce_by_key_config_selectorIflN6thrust23THRUST_200600_302600_NS4plusIlEEEEZZNS1_33reduce_by_key_impl_wrapped_configILNS1_25lookback_scan_determinismE0ES3_S9_PfNS6_17constant_iteratorIiNS6_11use_defaultESE_EENS6_10device_ptrIfEENSG_IlEEPmS8_NS6_8equal_toIfEEEE10hipError_tPvRmT2_T3_mT4_T5_T6_T7_T8_P12ihipStream_tbENKUlT_T0_E_clISt17integral_constantIbLb1EES13_EEDaSY_SZ_EUlSY_E_NS1_11comp_targetILNS1_3genE8ELNS1_11target_archE1030ELNS1_3gpuE2ELNS1_3repE0EEENS1_30default_config_static_selectorELNS0_4arch9wavefront6targetE1EEEvT1_.has_recursion, 0
	.set _ZN7rocprim17ROCPRIM_400000_NS6detail17trampoline_kernelINS0_14default_configENS1_29reduce_by_key_config_selectorIflN6thrust23THRUST_200600_302600_NS4plusIlEEEEZZNS1_33reduce_by_key_impl_wrapped_configILNS1_25lookback_scan_determinismE0ES3_S9_PfNS6_17constant_iteratorIiNS6_11use_defaultESE_EENS6_10device_ptrIfEENSG_IlEEPmS8_NS6_8equal_toIfEEEE10hipError_tPvRmT2_T3_mT4_T5_T6_T7_T8_P12ihipStream_tbENKUlT_T0_E_clISt17integral_constantIbLb1EES13_EEDaSY_SZ_EUlSY_E_NS1_11comp_targetILNS1_3genE8ELNS1_11target_archE1030ELNS1_3gpuE2ELNS1_3repE0EEENS1_30default_config_static_selectorELNS0_4arch9wavefront6targetE1EEEvT1_.has_indirect_call, 0
	.section	.AMDGPU.csdata,"",@progbits
; Kernel info:
; codeLenInByte = 0
; TotalNumSgprs: 4
; NumVgprs: 0
; ScratchSize: 0
; MemoryBound: 0
; FloatMode: 240
; IeeeMode: 1
; LDSByteSize: 0 bytes/workgroup (compile time only)
; SGPRBlocks: 0
; VGPRBlocks: 0
; NumSGPRsForWavesPerEU: 4
; NumVGPRsForWavesPerEU: 1
; Occupancy: 10
; WaveLimiterHint : 0
; COMPUTE_PGM_RSRC2:SCRATCH_EN: 0
; COMPUTE_PGM_RSRC2:USER_SGPR: 6
; COMPUTE_PGM_RSRC2:TRAP_HANDLER: 0
; COMPUTE_PGM_RSRC2:TGID_X_EN: 1
; COMPUTE_PGM_RSRC2:TGID_Y_EN: 0
; COMPUTE_PGM_RSRC2:TGID_Z_EN: 0
; COMPUTE_PGM_RSRC2:TIDIG_COMP_CNT: 0
	.section	.text._ZN7rocprim17ROCPRIM_400000_NS6detail17trampoline_kernelINS0_14default_configENS1_29reduce_by_key_config_selectorIflN6thrust23THRUST_200600_302600_NS4plusIlEEEEZZNS1_33reduce_by_key_impl_wrapped_configILNS1_25lookback_scan_determinismE0ES3_S9_PfNS6_17constant_iteratorIiNS6_11use_defaultESE_EENS6_10device_ptrIfEENSG_IlEEPmS8_NS6_8equal_toIfEEEE10hipError_tPvRmT2_T3_mT4_T5_T6_T7_T8_P12ihipStream_tbENKUlT_T0_E_clISt17integral_constantIbLb1EES12_IbLb0EEEEDaSY_SZ_EUlSY_E_NS1_11comp_targetILNS1_3genE0ELNS1_11target_archE4294967295ELNS1_3gpuE0ELNS1_3repE0EEENS1_30default_config_static_selectorELNS0_4arch9wavefront6targetE1EEEvT1_,"axG",@progbits,_ZN7rocprim17ROCPRIM_400000_NS6detail17trampoline_kernelINS0_14default_configENS1_29reduce_by_key_config_selectorIflN6thrust23THRUST_200600_302600_NS4plusIlEEEEZZNS1_33reduce_by_key_impl_wrapped_configILNS1_25lookback_scan_determinismE0ES3_S9_PfNS6_17constant_iteratorIiNS6_11use_defaultESE_EENS6_10device_ptrIfEENSG_IlEEPmS8_NS6_8equal_toIfEEEE10hipError_tPvRmT2_T3_mT4_T5_T6_T7_T8_P12ihipStream_tbENKUlT_T0_E_clISt17integral_constantIbLb1EES12_IbLb0EEEEDaSY_SZ_EUlSY_E_NS1_11comp_targetILNS1_3genE0ELNS1_11target_archE4294967295ELNS1_3gpuE0ELNS1_3repE0EEENS1_30default_config_static_selectorELNS0_4arch9wavefront6targetE1EEEvT1_,comdat
	.protected	_ZN7rocprim17ROCPRIM_400000_NS6detail17trampoline_kernelINS0_14default_configENS1_29reduce_by_key_config_selectorIflN6thrust23THRUST_200600_302600_NS4plusIlEEEEZZNS1_33reduce_by_key_impl_wrapped_configILNS1_25lookback_scan_determinismE0ES3_S9_PfNS6_17constant_iteratorIiNS6_11use_defaultESE_EENS6_10device_ptrIfEENSG_IlEEPmS8_NS6_8equal_toIfEEEE10hipError_tPvRmT2_T3_mT4_T5_T6_T7_T8_P12ihipStream_tbENKUlT_T0_E_clISt17integral_constantIbLb1EES12_IbLb0EEEEDaSY_SZ_EUlSY_E_NS1_11comp_targetILNS1_3genE0ELNS1_11target_archE4294967295ELNS1_3gpuE0ELNS1_3repE0EEENS1_30default_config_static_selectorELNS0_4arch9wavefront6targetE1EEEvT1_ ; -- Begin function _ZN7rocprim17ROCPRIM_400000_NS6detail17trampoline_kernelINS0_14default_configENS1_29reduce_by_key_config_selectorIflN6thrust23THRUST_200600_302600_NS4plusIlEEEEZZNS1_33reduce_by_key_impl_wrapped_configILNS1_25lookback_scan_determinismE0ES3_S9_PfNS6_17constant_iteratorIiNS6_11use_defaultESE_EENS6_10device_ptrIfEENSG_IlEEPmS8_NS6_8equal_toIfEEEE10hipError_tPvRmT2_T3_mT4_T5_T6_T7_T8_P12ihipStream_tbENKUlT_T0_E_clISt17integral_constantIbLb1EES12_IbLb0EEEEDaSY_SZ_EUlSY_E_NS1_11comp_targetILNS1_3genE0ELNS1_11target_archE4294967295ELNS1_3gpuE0ELNS1_3repE0EEENS1_30default_config_static_selectorELNS0_4arch9wavefront6targetE1EEEvT1_
	.globl	_ZN7rocprim17ROCPRIM_400000_NS6detail17trampoline_kernelINS0_14default_configENS1_29reduce_by_key_config_selectorIflN6thrust23THRUST_200600_302600_NS4plusIlEEEEZZNS1_33reduce_by_key_impl_wrapped_configILNS1_25lookback_scan_determinismE0ES3_S9_PfNS6_17constant_iteratorIiNS6_11use_defaultESE_EENS6_10device_ptrIfEENSG_IlEEPmS8_NS6_8equal_toIfEEEE10hipError_tPvRmT2_T3_mT4_T5_T6_T7_T8_P12ihipStream_tbENKUlT_T0_E_clISt17integral_constantIbLb1EES12_IbLb0EEEEDaSY_SZ_EUlSY_E_NS1_11comp_targetILNS1_3genE0ELNS1_11target_archE4294967295ELNS1_3gpuE0ELNS1_3repE0EEENS1_30default_config_static_selectorELNS0_4arch9wavefront6targetE1EEEvT1_
	.p2align	8
	.type	_ZN7rocprim17ROCPRIM_400000_NS6detail17trampoline_kernelINS0_14default_configENS1_29reduce_by_key_config_selectorIflN6thrust23THRUST_200600_302600_NS4plusIlEEEEZZNS1_33reduce_by_key_impl_wrapped_configILNS1_25lookback_scan_determinismE0ES3_S9_PfNS6_17constant_iteratorIiNS6_11use_defaultESE_EENS6_10device_ptrIfEENSG_IlEEPmS8_NS6_8equal_toIfEEEE10hipError_tPvRmT2_T3_mT4_T5_T6_T7_T8_P12ihipStream_tbENKUlT_T0_E_clISt17integral_constantIbLb1EES12_IbLb0EEEEDaSY_SZ_EUlSY_E_NS1_11comp_targetILNS1_3genE0ELNS1_11target_archE4294967295ELNS1_3gpuE0ELNS1_3repE0EEENS1_30default_config_static_selectorELNS0_4arch9wavefront6targetE1EEEvT1_,@function
_ZN7rocprim17ROCPRIM_400000_NS6detail17trampoline_kernelINS0_14default_configENS1_29reduce_by_key_config_selectorIflN6thrust23THRUST_200600_302600_NS4plusIlEEEEZZNS1_33reduce_by_key_impl_wrapped_configILNS1_25lookback_scan_determinismE0ES3_S9_PfNS6_17constant_iteratorIiNS6_11use_defaultESE_EENS6_10device_ptrIfEENSG_IlEEPmS8_NS6_8equal_toIfEEEE10hipError_tPvRmT2_T3_mT4_T5_T6_T7_T8_P12ihipStream_tbENKUlT_T0_E_clISt17integral_constantIbLb1EES12_IbLb0EEEEDaSY_SZ_EUlSY_E_NS1_11comp_targetILNS1_3genE0ELNS1_11target_archE4294967295ELNS1_3gpuE0ELNS1_3repE0EEENS1_30default_config_static_selectorELNS0_4arch9wavefront6targetE1EEEvT1_: ; @_ZN7rocprim17ROCPRIM_400000_NS6detail17trampoline_kernelINS0_14default_configENS1_29reduce_by_key_config_selectorIflN6thrust23THRUST_200600_302600_NS4plusIlEEEEZZNS1_33reduce_by_key_impl_wrapped_configILNS1_25lookback_scan_determinismE0ES3_S9_PfNS6_17constant_iteratorIiNS6_11use_defaultESE_EENS6_10device_ptrIfEENSG_IlEEPmS8_NS6_8equal_toIfEEEE10hipError_tPvRmT2_T3_mT4_T5_T6_T7_T8_P12ihipStream_tbENKUlT_T0_E_clISt17integral_constantIbLb1EES12_IbLb0EEEEDaSY_SZ_EUlSY_E_NS1_11comp_targetILNS1_3genE0ELNS1_11target_archE4294967295ELNS1_3gpuE0ELNS1_3repE0EEENS1_30default_config_static_selectorELNS0_4arch9wavefront6targetE1EEEvT1_
; %bb.0:
	.section	.rodata,"a",@progbits
	.p2align	6, 0x0
	.amdhsa_kernel _ZN7rocprim17ROCPRIM_400000_NS6detail17trampoline_kernelINS0_14default_configENS1_29reduce_by_key_config_selectorIflN6thrust23THRUST_200600_302600_NS4plusIlEEEEZZNS1_33reduce_by_key_impl_wrapped_configILNS1_25lookback_scan_determinismE0ES3_S9_PfNS6_17constant_iteratorIiNS6_11use_defaultESE_EENS6_10device_ptrIfEENSG_IlEEPmS8_NS6_8equal_toIfEEEE10hipError_tPvRmT2_T3_mT4_T5_T6_T7_T8_P12ihipStream_tbENKUlT_T0_E_clISt17integral_constantIbLb1EES12_IbLb0EEEEDaSY_SZ_EUlSY_E_NS1_11comp_targetILNS1_3genE0ELNS1_11target_archE4294967295ELNS1_3gpuE0ELNS1_3repE0EEENS1_30default_config_static_selectorELNS0_4arch9wavefront6targetE1EEEvT1_
		.amdhsa_group_segment_fixed_size 0
		.amdhsa_private_segment_fixed_size 0
		.amdhsa_kernarg_size 144
		.amdhsa_user_sgpr_count 6
		.amdhsa_user_sgpr_private_segment_buffer 1
		.amdhsa_user_sgpr_dispatch_ptr 0
		.amdhsa_user_sgpr_queue_ptr 0
		.amdhsa_user_sgpr_kernarg_segment_ptr 1
		.amdhsa_user_sgpr_dispatch_id 0
		.amdhsa_user_sgpr_flat_scratch_init 0
		.amdhsa_user_sgpr_private_segment_size 0
		.amdhsa_uses_dynamic_stack 0
		.amdhsa_system_sgpr_private_segment_wavefront_offset 0
		.amdhsa_system_sgpr_workgroup_id_x 1
		.amdhsa_system_sgpr_workgroup_id_y 0
		.amdhsa_system_sgpr_workgroup_id_z 0
		.amdhsa_system_sgpr_workgroup_info 0
		.amdhsa_system_vgpr_workitem_id 0
		.amdhsa_next_free_vgpr 1
		.amdhsa_next_free_sgpr 0
		.amdhsa_reserve_vcc 0
		.amdhsa_reserve_flat_scratch 0
		.amdhsa_float_round_mode_32 0
		.amdhsa_float_round_mode_16_64 0
		.amdhsa_float_denorm_mode_32 3
		.amdhsa_float_denorm_mode_16_64 3
		.amdhsa_dx10_clamp 1
		.amdhsa_ieee_mode 1
		.amdhsa_fp16_overflow 0
		.amdhsa_exception_fp_ieee_invalid_op 0
		.amdhsa_exception_fp_denorm_src 0
		.amdhsa_exception_fp_ieee_div_zero 0
		.amdhsa_exception_fp_ieee_overflow 0
		.amdhsa_exception_fp_ieee_underflow 0
		.amdhsa_exception_fp_ieee_inexact 0
		.amdhsa_exception_int_div_zero 0
	.end_amdhsa_kernel
	.section	.text._ZN7rocprim17ROCPRIM_400000_NS6detail17trampoline_kernelINS0_14default_configENS1_29reduce_by_key_config_selectorIflN6thrust23THRUST_200600_302600_NS4plusIlEEEEZZNS1_33reduce_by_key_impl_wrapped_configILNS1_25lookback_scan_determinismE0ES3_S9_PfNS6_17constant_iteratorIiNS6_11use_defaultESE_EENS6_10device_ptrIfEENSG_IlEEPmS8_NS6_8equal_toIfEEEE10hipError_tPvRmT2_T3_mT4_T5_T6_T7_T8_P12ihipStream_tbENKUlT_T0_E_clISt17integral_constantIbLb1EES12_IbLb0EEEEDaSY_SZ_EUlSY_E_NS1_11comp_targetILNS1_3genE0ELNS1_11target_archE4294967295ELNS1_3gpuE0ELNS1_3repE0EEENS1_30default_config_static_selectorELNS0_4arch9wavefront6targetE1EEEvT1_,"axG",@progbits,_ZN7rocprim17ROCPRIM_400000_NS6detail17trampoline_kernelINS0_14default_configENS1_29reduce_by_key_config_selectorIflN6thrust23THRUST_200600_302600_NS4plusIlEEEEZZNS1_33reduce_by_key_impl_wrapped_configILNS1_25lookback_scan_determinismE0ES3_S9_PfNS6_17constant_iteratorIiNS6_11use_defaultESE_EENS6_10device_ptrIfEENSG_IlEEPmS8_NS6_8equal_toIfEEEE10hipError_tPvRmT2_T3_mT4_T5_T6_T7_T8_P12ihipStream_tbENKUlT_T0_E_clISt17integral_constantIbLb1EES12_IbLb0EEEEDaSY_SZ_EUlSY_E_NS1_11comp_targetILNS1_3genE0ELNS1_11target_archE4294967295ELNS1_3gpuE0ELNS1_3repE0EEENS1_30default_config_static_selectorELNS0_4arch9wavefront6targetE1EEEvT1_,comdat
.Lfunc_end1924:
	.size	_ZN7rocprim17ROCPRIM_400000_NS6detail17trampoline_kernelINS0_14default_configENS1_29reduce_by_key_config_selectorIflN6thrust23THRUST_200600_302600_NS4plusIlEEEEZZNS1_33reduce_by_key_impl_wrapped_configILNS1_25lookback_scan_determinismE0ES3_S9_PfNS6_17constant_iteratorIiNS6_11use_defaultESE_EENS6_10device_ptrIfEENSG_IlEEPmS8_NS6_8equal_toIfEEEE10hipError_tPvRmT2_T3_mT4_T5_T6_T7_T8_P12ihipStream_tbENKUlT_T0_E_clISt17integral_constantIbLb1EES12_IbLb0EEEEDaSY_SZ_EUlSY_E_NS1_11comp_targetILNS1_3genE0ELNS1_11target_archE4294967295ELNS1_3gpuE0ELNS1_3repE0EEENS1_30default_config_static_selectorELNS0_4arch9wavefront6targetE1EEEvT1_, .Lfunc_end1924-_ZN7rocprim17ROCPRIM_400000_NS6detail17trampoline_kernelINS0_14default_configENS1_29reduce_by_key_config_selectorIflN6thrust23THRUST_200600_302600_NS4plusIlEEEEZZNS1_33reduce_by_key_impl_wrapped_configILNS1_25lookback_scan_determinismE0ES3_S9_PfNS6_17constant_iteratorIiNS6_11use_defaultESE_EENS6_10device_ptrIfEENSG_IlEEPmS8_NS6_8equal_toIfEEEE10hipError_tPvRmT2_T3_mT4_T5_T6_T7_T8_P12ihipStream_tbENKUlT_T0_E_clISt17integral_constantIbLb1EES12_IbLb0EEEEDaSY_SZ_EUlSY_E_NS1_11comp_targetILNS1_3genE0ELNS1_11target_archE4294967295ELNS1_3gpuE0ELNS1_3repE0EEENS1_30default_config_static_selectorELNS0_4arch9wavefront6targetE1EEEvT1_
                                        ; -- End function
	.set _ZN7rocprim17ROCPRIM_400000_NS6detail17trampoline_kernelINS0_14default_configENS1_29reduce_by_key_config_selectorIflN6thrust23THRUST_200600_302600_NS4plusIlEEEEZZNS1_33reduce_by_key_impl_wrapped_configILNS1_25lookback_scan_determinismE0ES3_S9_PfNS6_17constant_iteratorIiNS6_11use_defaultESE_EENS6_10device_ptrIfEENSG_IlEEPmS8_NS6_8equal_toIfEEEE10hipError_tPvRmT2_T3_mT4_T5_T6_T7_T8_P12ihipStream_tbENKUlT_T0_E_clISt17integral_constantIbLb1EES12_IbLb0EEEEDaSY_SZ_EUlSY_E_NS1_11comp_targetILNS1_3genE0ELNS1_11target_archE4294967295ELNS1_3gpuE0ELNS1_3repE0EEENS1_30default_config_static_selectorELNS0_4arch9wavefront6targetE1EEEvT1_.num_vgpr, 0
	.set _ZN7rocprim17ROCPRIM_400000_NS6detail17trampoline_kernelINS0_14default_configENS1_29reduce_by_key_config_selectorIflN6thrust23THRUST_200600_302600_NS4plusIlEEEEZZNS1_33reduce_by_key_impl_wrapped_configILNS1_25lookback_scan_determinismE0ES3_S9_PfNS6_17constant_iteratorIiNS6_11use_defaultESE_EENS6_10device_ptrIfEENSG_IlEEPmS8_NS6_8equal_toIfEEEE10hipError_tPvRmT2_T3_mT4_T5_T6_T7_T8_P12ihipStream_tbENKUlT_T0_E_clISt17integral_constantIbLb1EES12_IbLb0EEEEDaSY_SZ_EUlSY_E_NS1_11comp_targetILNS1_3genE0ELNS1_11target_archE4294967295ELNS1_3gpuE0ELNS1_3repE0EEENS1_30default_config_static_selectorELNS0_4arch9wavefront6targetE1EEEvT1_.num_agpr, 0
	.set _ZN7rocprim17ROCPRIM_400000_NS6detail17trampoline_kernelINS0_14default_configENS1_29reduce_by_key_config_selectorIflN6thrust23THRUST_200600_302600_NS4plusIlEEEEZZNS1_33reduce_by_key_impl_wrapped_configILNS1_25lookback_scan_determinismE0ES3_S9_PfNS6_17constant_iteratorIiNS6_11use_defaultESE_EENS6_10device_ptrIfEENSG_IlEEPmS8_NS6_8equal_toIfEEEE10hipError_tPvRmT2_T3_mT4_T5_T6_T7_T8_P12ihipStream_tbENKUlT_T0_E_clISt17integral_constantIbLb1EES12_IbLb0EEEEDaSY_SZ_EUlSY_E_NS1_11comp_targetILNS1_3genE0ELNS1_11target_archE4294967295ELNS1_3gpuE0ELNS1_3repE0EEENS1_30default_config_static_selectorELNS0_4arch9wavefront6targetE1EEEvT1_.numbered_sgpr, 0
	.set _ZN7rocprim17ROCPRIM_400000_NS6detail17trampoline_kernelINS0_14default_configENS1_29reduce_by_key_config_selectorIflN6thrust23THRUST_200600_302600_NS4plusIlEEEEZZNS1_33reduce_by_key_impl_wrapped_configILNS1_25lookback_scan_determinismE0ES3_S9_PfNS6_17constant_iteratorIiNS6_11use_defaultESE_EENS6_10device_ptrIfEENSG_IlEEPmS8_NS6_8equal_toIfEEEE10hipError_tPvRmT2_T3_mT4_T5_T6_T7_T8_P12ihipStream_tbENKUlT_T0_E_clISt17integral_constantIbLb1EES12_IbLb0EEEEDaSY_SZ_EUlSY_E_NS1_11comp_targetILNS1_3genE0ELNS1_11target_archE4294967295ELNS1_3gpuE0ELNS1_3repE0EEENS1_30default_config_static_selectorELNS0_4arch9wavefront6targetE1EEEvT1_.num_named_barrier, 0
	.set _ZN7rocprim17ROCPRIM_400000_NS6detail17trampoline_kernelINS0_14default_configENS1_29reduce_by_key_config_selectorIflN6thrust23THRUST_200600_302600_NS4plusIlEEEEZZNS1_33reduce_by_key_impl_wrapped_configILNS1_25lookback_scan_determinismE0ES3_S9_PfNS6_17constant_iteratorIiNS6_11use_defaultESE_EENS6_10device_ptrIfEENSG_IlEEPmS8_NS6_8equal_toIfEEEE10hipError_tPvRmT2_T3_mT4_T5_T6_T7_T8_P12ihipStream_tbENKUlT_T0_E_clISt17integral_constantIbLb1EES12_IbLb0EEEEDaSY_SZ_EUlSY_E_NS1_11comp_targetILNS1_3genE0ELNS1_11target_archE4294967295ELNS1_3gpuE0ELNS1_3repE0EEENS1_30default_config_static_selectorELNS0_4arch9wavefront6targetE1EEEvT1_.private_seg_size, 0
	.set _ZN7rocprim17ROCPRIM_400000_NS6detail17trampoline_kernelINS0_14default_configENS1_29reduce_by_key_config_selectorIflN6thrust23THRUST_200600_302600_NS4plusIlEEEEZZNS1_33reduce_by_key_impl_wrapped_configILNS1_25lookback_scan_determinismE0ES3_S9_PfNS6_17constant_iteratorIiNS6_11use_defaultESE_EENS6_10device_ptrIfEENSG_IlEEPmS8_NS6_8equal_toIfEEEE10hipError_tPvRmT2_T3_mT4_T5_T6_T7_T8_P12ihipStream_tbENKUlT_T0_E_clISt17integral_constantIbLb1EES12_IbLb0EEEEDaSY_SZ_EUlSY_E_NS1_11comp_targetILNS1_3genE0ELNS1_11target_archE4294967295ELNS1_3gpuE0ELNS1_3repE0EEENS1_30default_config_static_selectorELNS0_4arch9wavefront6targetE1EEEvT1_.uses_vcc, 0
	.set _ZN7rocprim17ROCPRIM_400000_NS6detail17trampoline_kernelINS0_14default_configENS1_29reduce_by_key_config_selectorIflN6thrust23THRUST_200600_302600_NS4plusIlEEEEZZNS1_33reduce_by_key_impl_wrapped_configILNS1_25lookback_scan_determinismE0ES3_S9_PfNS6_17constant_iteratorIiNS6_11use_defaultESE_EENS6_10device_ptrIfEENSG_IlEEPmS8_NS6_8equal_toIfEEEE10hipError_tPvRmT2_T3_mT4_T5_T6_T7_T8_P12ihipStream_tbENKUlT_T0_E_clISt17integral_constantIbLb1EES12_IbLb0EEEEDaSY_SZ_EUlSY_E_NS1_11comp_targetILNS1_3genE0ELNS1_11target_archE4294967295ELNS1_3gpuE0ELNS1_3repE0EEENS1_30default_config_static_selectorELNS0_4arch9wavefront6targetE1EEEvT1_.uses_flat_scratch, 0
	.set _ZN7rocprim17ROCPRIM_400000_NS6detail17trampoline_kernelINS0_14default_configENS1_29reduce_by_key_config_selectorIflN6thrust23THRUST_200600_302600_NS4plusIlEEEEZZNS1_33reduce_by_key_impl_wrapped_configILNS1_25lookback_scan_determinismE0ES3_S9_PfNS6_17constant_iteratorIiNS6_11use_defaultESE_EENS6_10device_ptrIfEENSG_IlEEPmS8_NS6_8equal_toIfEEEE10hipError_tPvRmT2_T3_mT4_T5_T6_T7_T8_P12ihipStream_tbENKUlT_T0_E_clISt17integral_constantIbLb1EES12_IbLb0EEEEDaSY_SZ_EUlSY_E_NS1_11comp_targetILNS1_3genE0ELNS1_11target_archE4294967295ELNS1_3gpuE0ELNS1_3repE0EEENS1_30default_config_static_selectorELNS0_4arch9wavefront6targetE1EEEvT1_.has_dyn_sized_stack, 0
	.set _ZN7rocprim17ROCPRIM_400000_NS6detail17trampoline_kernelINS0_14default_configENS1_29reduce_by_key_config_selectorIflN6thrust23THRUST_200600_302600_NS4plusIlEEEEZZNS1_33reduce_by_key_impl_wrapped_configILNS1_25lookback_scan_determinismE0ES3_S9_PfNS6_17constant_iteratorIiNS6_11use_defaultESE_EENS6_10device_ptrIfEENSG_IlEEPmS8_NS6_8equal_toIfEEEE10hipError_tPvRmT2_T3_mT4_T5_T6_T7_T8_P12ihipStream_tbENKUlT_T0_E_clISt17integral_constantIbLb1EES12_IbLb0EEEEDaSY_SZ_EUlSY_E_NS1_11comp_targetILNS1_3genE0ELNS1_11target_archE4294967295ELNS1_3gpuE0ELNS1_3repE0EEENS1_30default_config_static_selectorELNS0_4arch9wavefront6targetE1EEEvT1_.has_recursion, 0
	.set _ZN7rocprim17ROCPRIM_400000_NS6detail17trampoline_kernelINS0_14default_configENS1_29reduce_by_key_config_selectorIflN6thrust23THRUST_200600_302600_NS4plusIlEEEEZZNS1_33reduce_by_key_impl_wrapped_configILNS1_25lookback_scan_determinismE0ES3_S9_PfNS6_17constant_iteratorIiNS6_11use_defaultESE_EENS6_10device_ptrIfEENSG_IlEEPmS8_NS6_8equal_toIfEEEE10hipError_tPvRmT2_T3_mT4_T5_T6_T7_T8_P12ihipStream_tbENKUlT_T0_E_clISt17integral_constantIbLb1EES12_IbLb0EEEEDaSY_SZ_EUlSY_E_NS1_11comp_targetILNS1_3genE0ELNS1_11target_archE4294967295ELNS1_3gpuE0ELNS1_3repE0EEENS1_30default_config_static_selectorELNS0_4arch9wavefront6targetE1EEEvT1_.has_indirect_call, 0
	.section	.AMDGPU.csdata,"",@progbits
; Kernel info:
; codeLenInByte = 0
; TotalNumSgprs: 4
; NumVgprs: 0
; ScratchSize: 0
; MemoryBound: 0
; FloatMode: 240
; IeeeMode: 1
; LDSByteSize: 0 bytes/workgroup (compile time only)
; SGPRBlocks: 0
; VGPRBlocks: 0
; NumSGPRsForWavesPerEU: 4
; NumVGPRsForWavesPerEU: 1
; Occupancy: 10
; WaveLimiterHint : 0
; COMPUTE_PGM_RSRC2:SCRATCH_EN: 0
; COMPUTE_PGM_RSRC2:USER_SGPR: 6
; COMPUTE_PGM_RSRC2:TRAP_HANDLER: 0
; COMPUTE_PGM_RSRC2:TGID_X_EN: 1
; COMPUTE_PGM_RSRC2:TGID_Y_EN: 0
; COMPUTE_PGM_RSRC2:TGID_Z_EN: 0
; COMPUTE_PGM_RSRC2:TIDIG_COMP_CNT: 0
	.section	.text._ZN7rocprim17ROCPRIM_400000_NS6detail17trampoline_kernelINS0_14default_configENS1_29reduce_by_key_config_selectorIflN6thrust23THRUST_200600_302600_NS4plusIlEEEEZZNS1_33reduce_by_key_impl_wrapped_configILNS1_25lookback_scan_determinismE0ES3_S9_PfNS6_17constant_iteratorIiNS6_11use_defaultESE_EENS6_10device_ptrIfEENSG_IlEEPmS8_NS6_8equal_toIfEEEE10hipError_tPvRmT2_T3_mT4_T5_T6_T7_T8_P12ihipStream_tbENKUlT_T0_E_clISt17integral_constantIbLb1EES12_IbLb0EEEEDaSY_SZ_EUlSY_E_NS1_11comp_targetILNS1_3genE5ELNS1_11target_archE942ELNS1_3gpuE9ELNS1_3repE0EEENS1_30default_config_static_selectorELNS0_4arch9wavefront6targetE1EEEvT1_,"axG",@progbits,_ZN7rocprim17ROCPRIM_400000_NS6detail17trampoline_kernelINS0_14default_configENS1_29reduce_by_key_config_selectorIflN6thrust23THRUST_200600_302600_NS4plusIlEEEEZZNS1_33reduce_by_key_impl_wrapped_configILNS1_25lookback_scan_determinismE0ES3_S9_PfNS6_17constant_iteratorIiNS6_11use_defaultESE_EENS6_10device_ptrIfEENSG_IlEEPmS8_NS6_8equal_toIfEEEE10hipError_tPvRmT2_T3_mT4_T5_T6_T7_T8_P12ihipStream_tbENKUlT_T0_E_clISt17integral_constantIbLb1EES12_IbLb0EEEEDaSY_SZ_EUlSY_E_NS1_11comp_targetILNS1_3genE5ELNS1_11target_archE942ELNS1_3gpuE9ELNS1_3repE0EEENS1_30default_config_static_selectorELNS0_4arch9wavefront6targetE1EEEvT1_,comdat
	.protected	_ZN7rocprim17ROCPRIM_400000_NS6detail17trampoline_kernelINS0_14default_configENS1_29reduce_by_key_config_selectorIflN6thrust23THRUST_200600_302600_NS4plusIlEEEEZZNS1_33reduce_by_key_impl_wrapped_configILNS1_25lookback_scan_determinismE0ES3_S9_PfNS6_17constant_iteratorIiNS6_11use_defaultESE_EENS6_10device_ptrIfEENSG_IlEEPmS8_NS6_8equal_toIfEEEE10hipError_tPvRmT2_T3_mT4_T5_T6_T7_T8_P12ihipStream_tbENKUlT_T0_E_clISt17integral_constantIbLb1EES12_IbLb0EEEEDaSY_SZ_EUlSY_E_NS1_11comp_targetILNS1_3genE5ELNS1_11target_archE942ELNS1_3gpuE9ELNS1_3repE0EEENS1_30default_config_static_selectorELNS0_4arch9wavefront6targetE1EEEvT1_ ; -- Begin function _ZN7rocprim17ROCPRIM_400000_NS6detail17trampoline_kernelINS0_14default_configENS1_29reduce_by_key_config_selectorIflN6thrust23THRUST_200600_302600_NS4plusIlEEEEZZNS1_33reduce_by_key_impl_wrapped_configILNS1_25lookback_scan_determinismE0ES3_S9_PfNS6_17constant_iteratorIiNS6_11use_defaultESE_EENS6_10device_ptrIfEENSG_IlEEPmS8_NS6_8equal_toIfEEEE10hipError_tPvRmT2_T3_mT4_T5_T6_T7_T8_P12ihipStream_tbENKUlT_T0_E_clISt17integral_constantIbLb1EES12_IbLb0EEEEDaSY_SZ_EUlSY_E_NS1_11comp_targetILNS1_3genE5ELNS1_11target_archE942ELNS1_3gpuE9ELNS1_3repE0EEENS1_30default_config_static_selectorELNS0_4arch9wavefront6targetE1EEEvT1_
	.globl	_ZN7rocprim17ROCPRIM_400000_NS6detail17trampoline_kernelINS0_14default_configENS1_29reduce_by_key_config_selectorIflN6thrust23THRUST_200600_302600_NS4plusIlEEEEZZNS1_33reduce_by_key_impl_wrapped_configILNS1_25lookback_scan_determinismE0ES3_S9_PfNS6_17constant_iteratorIiNS6_11use_defaultESE_EENS6_10device_ptrIfEENSG_IlEEPmS8_NS6_8equal_toIfEEEE10hipError_tPvRmT2_T3_mT4_T5_T6_T7_T8_P12ihipStream_tbENKUlT_T0_E_clISt17integral_constantIbLb1EES12_IbLb0EEEEDaSY_SZ_EUlSY_E_NS1_11comp_targetILNS1_3genE5ELNS1_11target_archE942ELNS1_3gpuE9ELNS1_3repE0EEENS1_30default_config_static_selectorELNS0_4arch9wavefront6targetE1EEEvT1_
	.p2align	8
	.type	_ZN7rocprim17ROCPRIM_400000_NS6detail17trampoline_kernelINS0_14default_configENS1_29reduce_by_key_config_selectorIflN6thrust23THRUST_200600_302600_NS4plusIlEEEEZZNS1_33reduce_by_key_impl_wrapped_configILNS1_25lookback_scan_determinismE0ES3_S9_PfNS6_17constant_iteratorIiNS6_11use_defaultESE_EENS6_10device_ptrIfEENSG_IlEEPmS8_NS6_8equal_toIfEEEE10hipError_tPvRmT2_T3_mT4_T5_T6_T7_T8_P12ihipStream_tbENKUlT_T0_E_clISt17integral_constantIbLb1EES12_IbLb0EEEEDaSY_SZ_EUlSY_E_NS1_11comp_targetILNS1_3genE5ELNS1_11target_archE942ELNS1_3gpuE9ELNS1_3repE0EEENS1_30default_config_static_selectorELNS0_4arch9wavefront6targetE1EEEvT1_,@function
_ZN7rocprim17ROCPRIM_400000_NS6detail17trampoline_kernelINS0_14default_configENS1_29reduce_by_key_config_selectorIflN6thrust23THRUST_200600_302600_NS4plusIlEEEEZZNS1_33reduce_by_key_impl_wrapped_configILNS1_25lookback_scan_determinismE0ES3_S9_PfNS6_17constant_iteratorIiNS6_11use_defaultESE_EENS6_10device_ptrIfEENSG_IlEEPmS8_NS6_8equal_toIfEEEE10hipError_tPvRmT2_T3_mT4_T5_T6_T7_T8_P12ihipStream_tbENKUlT_T0_E_clISt17integral_constantIbLb1EES12_IbLb0EEEEDaSY_SZ_EUlSY_E_NS1_11comp_targetILNS1_3genE5ELNS1_11target_archE942ELNS1_3gpuE9ELNS1_3repE0EEENS1_30default_config_static_selectorELNS0_4arch9wavefront6targetE1EEEvT1_: ; @_ZN7rocprim17ROCPRIM_400000_NS6detail17trampoline_kernelINS0_14default_configENS1_29reduce_by_key_config_selectorIflN6thrust23THRUST_200600_302600_NS4plusIlEEEEZZNS1_33reduce_by_key_impl_wrapped_configILNS1_25lookback_scan_determinismE0ES3_S9_PfNS6_17constant_iteratorIiNS6_11use_defaultESE_EENS6_10device_ptrIfEENSG_IlEEPmS8_NS6_8equal_toIfEEEE10hipError_tPvRmT2_T3_mT4_T5_T6_T7_T8_P12ihipStream_tbENKUlT_T0_E_clISt17integral_constantIbLb1EES12_IbLb0EEEEDaSY_SZ_EUlSY_E_NS1_11comp_targetILNS1_3genE5ELNS1_11target_archE942ELNS1_3gpuE9ELNS1_3repE0EEENS1_30default_config_static_selectorELNS0_4arch9wavefront6targetE1EEEvT1_
; %bb.0:
	.section	.rodata,"a",@progbits
	.p2align	6, 0x0
	.amdhsa_kernel _ZN7rocprim17ROCPRIM_400000_NS6detail17trampoline_kernelINS0_14default_configENS1_29reduce_by_key_config_selectorIflN6thrust23THRUST_200600_302600_NS4plusIlEEEEZZNS1_33reduce_by_key_impl_wrapped_configILNS1_25lookback_scan_determinismE0ES3_S9_PfNS6_17constant_iteratorIiNS6_11use_defaultESE_EENS6_10device_ptrIfEENSG_IlEEPmS8_NS6_8equal_toIfEEEE10hipError_tPvRmT2_T3_mT4_T5_T6_T7_T8_P12ihipStream_tbENKUlT_T0_E_clISt17integral_constantIbLb1EES12_IbLb0EEEEDaSY_SZ_EUlSY_E_NS1_11comp_targetILNS1_3genE5ELNS1_11target_archE942ELNS1_3gpuE9ELNS1_3repE0EEENS1_30default_config_static_selectorELNS0_4arch9wavefront6targetE1EEEvT1_
		.amdhsa_group_segment_fixed_size 0
		.amdhsa_private_segment_fixed_size 0
		.amdhsa_kernarg_size 144
		.amdhsa_user_sgpr_count 6
		.amdhsa_user_sgpr_private_segment_buffer 1
		.amdhsa_user_sgpr_dispatch_ptr 0
		.amdhsa_user_sgpr_queue_ptr 0
		.amdhsa_user_sgpr_kernarg_segment_ptr 1
		.amdhsa_user_sgpr_dispatch_id 0
		.amdhsa_user_sgpr_flat_scratch_init 0
		.amdhsa_user_sgpr_private_segment_size 0
		.amdhsa_uses_dynamic_stack 0
		.amdhsa_system_sgpr_private_segment_wavefront_offset 0
		.amdhsa_system_sgpr_workgroup_id_x 1
		.amdhsa_system_sgpr_workgroup_id_y 0
		.amdhsa_system_sgpr_workgroup_id_z 0
		.amdhsa_system_sgpr_workgroup_info 0
		.amdhsa_system_vgpr_workitem_id 0
		.amdhsa_next_free_vgpr 1
		.amdhsa_next_free_sgpr 0
		.amdhsa_reserve_vcc 0
		.amdhsa_reserve_flat_scratch 0
		.amdhsa_float_round_mode_32 0
		.amdhsa_float_round_mode_16_64 0
		.amdhsa_float_denorm_mode_32 3
		.amdhsa_float_denorm_mode_16_64 3
		.amdhsa_dx10_clamp 1
		.amdhsa_ieee_mode 1
		.amdhsa_fp16_overflow 0
		.amdhsa_exception_fp_ieee_invalid_op 0
		.amdhsa_exception_fp_denorm_src 0
		.amdhsa_exception_fp_ieee_div_zero 0
		.amdhsa_exception_fp_ieee_overflow 0
		.amdhsa_exception_fp_ieee_underflow 0
		.amdhsa_exception_fp_ieee_inexact 0
		.amdhsa_exception_int_div_zero 0
	.end_amdhsa_kernel
	.section	.text._ZN7rocprim17ROCPRIM_400000_NS6detail17trampoline_kernelINS0_14default_configENS1_29reduce_by_key_config_selectorIflN6thrust23THRUST_200600_302600_NS4plusIlEEEEZZNS1_33reduce_by_key_impl_wrapped_configILNS1_25lookback_scan_determinismE0ES3_S9_PfNS6_17constant_iteratorIiNS6_11use_defaultESE_EENS6_10device_ptrIfEENSG_IlEEPmS8_NS6_8equal_toIfEEEE10hipError_tPvRmT2_T3_mT4_T5_T6_T7_T8_P12ihipStream_tbENKUlT_T0_E_clISt17integral_constantIbLb1EES12_IbLb0EEEEDaSY_SZ_EUlSY_E_NS1_11comp_targetILNS1_3genE5ELNS1_11target_archE942ELNS1_3gpuE9ELNS1_3repE0EEENS1_30default_config_static_selectorELNS0_4arch9wavefront6targetE1EEEvT1_,"axG",@progbits,_ZN7rocprim17ROCPRIM_400000_NS6detail17trampoline_kernelINS0_14default_configENS1_29reduce_by_key_config_selectorIflN6thrust23THRUST_200600_302600_NS4plusIlEEEEZZNS1_33reduce_by_key_impl_wrapped_configILNS1_25lookback_scan_determinismE0ES3_S9_PfNS6_17constant_iteratorIiNS6_11use_defaultESE_EENS6_10device_ptrIfEENSG_IlEEPmS8_NS6_8equal_toIfEEEE10hipError_tPvRmT2_T3_mT4_T5_T6_T7_T8_P12ihipStream_tbENKUlT_T0_E_clISt17integral_constantIbLb1EES12_IbLb0EEEEDaSY_SZ_EUlSY_E_NS1_11comp_targetILNS1_3genE5ELNS1_11target_archE942ELNS1_3gpuE9ELNS1_3repE0EEENS1_30default_config_static_selectorELNS0_4arch9wavefront6targetE1EEEvT1_,comdat
.Lfunc_end1925:
	.size	_ZN7rocprim17ROCPRIM_400000_NS6detail17trampoline_kernelINS0_14default_configENS1_29reduce_by_key_config_selectorIflN6thrust23THRUST_200600_302600_NS4plusIlEEEEZZNS1_33reduce_by_key_impl_wrapped_configILNS1_25lookback_scan_determinismE0ES3_S9_PfNS6_17constant_iteratorIiNS6_11use_defaultESE_EENS6_10device_ptrIfEENSG_IlEEPmS8_NS6_8equal_toIfEEEE10hipError_tPvRmT2_T3_mT4_T5_T6_T7_T8_P12ihipStream_tbENKUlT_T0_E_clISt17integral_constantIbLb1EES12_IbLb0EEEEDaSY_SZ_EUlSY_E_NS1_11comp_targetILNS1_3genE5ELNS1_11target_archE942ELNS1_3gpuE9ELNS1_3repE0EEENS1_30default_config_static_selectorELNS0_4arch9wavefront6targetE1EEEvT1_, .Lfunc_end1925-_ZN7rocprim17ROCPRIM_400000_NS6detail17trampoline_kernelINS0_14default_configENS1_29reduce_by_key_config_selectorIflN6thrust23THRUST_200600_302600_NS4plusIlEEEEZZNS1_33reduce_by_key_impl_wrapped_configILNS1_25lookback_scan_determinismE0ES3_S9_PfNS6_17constant_iteratorIiNS6_11use_defaultESE_EENS6_10device_ptrIfEENSG_IlEEPmS8_NS6_8equal_toIfEEEE10hipError_tPvRmT2_T3_mT4_T5_T6_T7_T8_P12ihipStream_tbENKUlT_T0_E_clISt17integral_constantIbLb1EES12_IbLb0EEEEDaSY_SZ_EUlSY_E_NS1_11comp_targetILNS1_3genE5ELNS1_11target_archE942ELNS1_3gpuE9ELNS1_3repE0EEENS1_30default_config_static_selectorELNS0_4arch9wavefront6targetE1EEEvT1_
                                        ; -- End function
	.set _ZN7rocprim17ROCPRIM_400000_NS6detail17trampoline_kernelINS0_14default_configENS1_29reduce_by_key_config_selectorIflN6thrust23THRUST_200600_302600_NS4plusIlEEEEZZNS1_33reduce_by_key_impl_wrapped_configILNS1_25lookback_scan_determinismE0ES3_S9_PfNS6_17constant_iteratorIiNS6_11use_defaultESE_EENS6_10device_ptrIfEENSG_IlEEPmS8_NS6_8equal_toIfEEEE10hipError_tPvRmT2_T3_mT4_T5_T6_T7_T8_P12ihipStream_tbENKUlT_T0_E_clISt17integral_constantIbLb1EES12_IbLb0EEEEDaSY_SZ_EUlSY_E_NS1_11comp_targetILNS1_3genE5ELNS1_11target_archE942ELNS1_3gpuE9ELNS1_3repE0EEENS1_30default_config_static_selectorELNS0_4arch9wavefront6targetE1EEEvT1_.num_vgpr, 0
	.set _ZN7rocprim17ROCPRIM_400000_NS6detail17trampoline_kernelINS0_14default_configENS1_29reduce_by_key_config_selectorIflN6thrust23THRUST_200600_302600_NS4plusIlEEEEZZNS1_33reduce_by_key_impl_wrapped_configILNS1_25lookback_scan_determinismE0ES3_S9_PfNS6_17constant_iteratorIiNS6_11use_defaultESE_EENS6_10device_ptrIfEENSG_IlEEPmS8_NS6_8equal_toIfEEEE10hipError_tPvRmT2_T3_mT4_T5_T6_T7_T8_P12ihipStream_tbENKUlT_T0_E_clISt17integral_constantIbLb1EES12_IbLb0EEEEDaSY_SZ_EUlSY_E_NS1_11comp_targetILNS1_3genE5ELNS1_11target_archE942ELNS1_3gpuE9ELNS1_3repE0EEENS1_30default_config_static_selectorELNS0_4arch9wavefront6targetE1EEEvT1_.num_agpr, 0
	.set _ZN7rocprim17ROCPRIM_400000_NS6detail17trampoline_kernelINS0_14default_configENS1_29reduce_by_key_config_selectorIflN6thrust23THRUST_200600_302600_NS4plusIlEEEEZZNS1_33reduce_by_key_impl_wrapped_configILNS1_25lookback_scan_determinismE0ES3_S9_PfNS6_17constant_iteratorIiNS6_11use_defaultESE_EENS6_10device_ptrIfEENSG_IlEEPmS8_NS6_8equal_toIfEEEE10hipError_tPvRmT2_T3_mT4_T5_T6_T7_T8_P12ihipStream_tbENKUlT_T0_E_clISt17integral_constantIbLb1EES12_IbLb0EEEEDaSY_SZ_EUlSY_E_NS1_11comp_targetILNS1_3genE5ELNS1_11target_archE942ELNS1_3gpuE9ELNS1_3repE0EEENS1_30default_config_static_selectorELNS0_4arch9wavefront6targetE1EEEvT1_.numbered_sgpr, 0
	.set _ZN7rocprim17ROCPRIM_400000_NS6detail17trampoline_kernelINS0_14default_configENS1_29reduce_by_key_config_selectorIflN6thrust23THRUST_200600_302600_NS4plusIlEEEEZZNS1_33reduce_by_key_impl_wrapped_configILNS1_25lookback_scan_determinismE0ES3_S9_PfNS6_17constant_iteratorIiNS6_11use_defaultESE_EENS6_10device_ptrIfEENSG_IlEEPmS8_NS6_8equal_toIfEEEE10hipError_tPvRmT2_T3_mT4_T5_T6_T7_T8_P12ihipStream_tbENKUlT_T0_E_clISt17integral_constantIbLb1EES12_IbLb0EEEEDaSY_SZ_EUlSY_E_NS1_11comp_targetILNS1_3genE5ELNS1_11target_archE942ELNS1_3gpuE9ELNS1_3repE0EEENS1_30default_config_static_selectorELNS0_4arch9wavefront6targetE1EEEvT1_.num_named_barrier, 0
	.set _ZN7rocprim17ROCPRIM_400000_NS6detail17trampoline_kernelINS0_14default_configENS1_29reduce_by_key_config_selectorIflN6thrust23THRUST_200600_302600_NS4plusIlEEEEZZNS1_33reduce_by_key_impl_wrapped_configILNS1_25lookback_scan_determinismE0ES3_S9_PfNS6_17constant_iteratorIiNS6_11use_defaultESE_EENS6_10device_ptrIfEENSG_IlEEPmS8_NS6_8equal_toIfEEEE10hipError_tPvRmT2_T3_mT4_T5_T6_T7_T8_P12ihipStream_tbENKUlT_T0_E_clISt17integral_constantIbLb1EES12_IbLb0EEEEDaSY_SZ_EUlSY_E_NS1_11comp_targetILNS1_3genE5ELNS1_11target_archE942ELNS1_3gpuE9ELNS1_3repE0EEENS1_30default_config_static_selectorELNS0_4arch9wavefront6targetE1EEEvT1_.private_seg_size, 0
	.set _ZN7rocprim17ROCPRIM_400000_NS6detail17trampoline_kernelINS0_14default_configENS1_29reduce_by_key_config_selectorIflN6thrust23THRUST_200600_302600_NS4plusIlEEEEZZNS1_33reduce_by_key_impl_wrapped_configILNS1_25lookback_scan_determinismE0ES3_S9_PfNS6_17constant_iteratorIiNS6_11use_defaultESE_EENS6_10device_ptrIfEENSG_IlEEPmS8_NS6_8equal_toIfEEEE10hipError_tPvRmT2_T3_mT4_T5_T6_T7_T8_P12ihipStream_tbENKUlT_T0_E_clISt17integral_constantIbLb1EES12_IbLb0EEEEDaSY_SZ_EUlSY_E_NS1_11comp_targetILNS1_3genE5ELNS1_11target_archE942ELNS1_3gpuE9ELNS1_3repE0EEENS1_30default_config_static_selectorELNS0_4arch9wavefront6targetE1EEEvT1_.uses_vcc, 0
	.set _ZN7rocprim17ROCPRIM_400000_NS6detail17trampoline_kernelINS0_14default_configENS1_29reduce_by_key_config_selectorIflN6thrust23THRUST_200600_302600_NS4plusIlEEEEZZNS1_33reduce_by_key_impl_wrapped_configILNS1_25lookback_scan_determinismE0ES3_S9_PfNS6_17constant_iteratorIiNS6_11use_defaultESE_EENS6_10device_ptrIfEENSG_IlEEPmS8_NS6_8equal_toIfEEEE10hipError_tPvRmT2_T3_mT4_T5_T6_T7_T8_P12ihipStream_tbENKUlT_T0_E_clISt17integral_constantIbLb1EES12_IbLb0EEEEDaSY_SZ_EUlSY_E_NS1_11comp_targetILNS1_3genE5ELNS1_11target_archE942ELNS1_3gpuE9ELNS1_3repE0EEENS1_30default_config_static_selectorELNS0_4arch9wavefront6targetE1EEEvT1_.uses_flat_scratch, 0
	.set _ZN7rocprim17ROCPRIM_400000_NS6detail17trampoline_kernelINS0_14default_configENS1_29reduce_by_key_config_selectorIflN6thrust23THRUST_200600_302600_NS4plusIlEEEEZZNS1_33reduce_by_key_impl_wrapped_configILNS1_25lookback_scan_determinismE0ES3_S9_PfNS6_17constant_iteratorIiNS6_11use_defaultESE_EENS6_10device_ptrIfEENSG_IlEEPmS8_NS6_8equal_toIfEEEE10hipError_tPvRmT2_T3_mT4_T5_T6_T7_T8_P12ihipStream_tbENKUlT_T0_E_clISt17integral_constantIbLb1EES12_IbLb0EEEEDaSY_SZ_EUlSY_E_NS1_11comp_targetILNS1_3genE5ELNS1_11target_archE942ELNS1_3gpuE9ELNS1_3repE0EEENS1_30default_config_static_selectorELNS0_4arch9wavefront6targetE1EEEvT1_.has_dyn_sized_stack, 0
	.set _ZN7rocprim17ROCPRIM_400000_NS6detail17trampoline_kernelINS0_14default_configENS1_29reduce_by_key_config_selectorIflN6thrust23THRUST_200600_302600_NS4plusIlEEEEZZNS1_33reduce_by_key_impl_wrapped_configILNS1_25lookback_scan_determinismE0ES3_S9_PfNS6_17constant_iteratorIiNS6_11use_defaultESE_EENS6_10device_ptrIfEENSG_IlEEPmS8_NS6_8equal_toIfEEEE10hipError_tPvRmT2_T3_mT4_T5_T6_T7_T8_P12ihipStream_tbENKUlT_T0_E_clISt17integral_constantIbLb1EES12_IbLb0EEEEDaSY_SZ_EUlSY_E_NS1_11comp_targetILNS1_3genE5ELNS1_11target_archE942ELNS1_3gpuE9ELNS1_3repE0EEENS1_30default_config_static_selectorELNS0_4arch9wavefront6targetE1EEEvT1_.has_recursion, 0
	.set _ZN7rocprim17ROCPRIM_400000_NS6detail17trampoline_kernelINS0_14default_configENS1_29reduce_by_key_config_selectorIflN6thrust23THRUST_200600_302600_NS4plusIlEEEEZZNS1_33reduce_by_key_impl_wrapped_configILNS1_25lookback_scan_determinismE0ES3_S9_PfNS6_17constant_iteratorIiNS6_11use_defaultESE_EENS6_10device_ptrIfEENSG_IlEEPmS8_NS6_8equal_toIfEEEE10hipError_tPvRmT2_T3_mT4_T5_T6_T7_T8_P12ihipStream_tbENKUlT_T0_E_clISt17integral_constantIbLb1EES12_IbLb0EEEEDaSY_SZ_EUlSY_E_NS1_11comp_targetILNS1_3genE5ELNS1_11target_archE942ELNS1_3gpuE9ELNS1_3repE0EEENS1_30default_config_static_selectorELNS0_4arch9wavefront6targetE1EEEvT1_.has_indirect_call, 0
	.section	.AMDGPU.csdata,"",@progbits
; Kernel info:
; codeLenInByte = 0
; TotalNumSgprs: 4
; NumVgprs: 0
; ScratchSize: 0
; MemoryBound: 0
; FloatMode: 240
; IeeeMode: 1
; LDSByteSize: 0 bytes/workgroup (compile time only)
; SGPRBlocks: 0
; VGPRBlocks: 0
; NumSGPRsForWavesPerEU: 4
; NumVGPRsForWavesPerEU: 1
; Occupancy: 10
; WaveLimiterHint : 0
; COMPUTE_PGM_RSRC2:SCRATCH_EN: 0
; COMPUTE_PGM_RSRC2:USER_SGPR: 6
; COMPUTE_PGM_RSRC2:TRAP_HANDLER: 0
; COMPUTE_PGM_RSRC2:TGID_X_EN: 1
; COMPUTE_PGM_RSRC2:TGID_Y_EN: 0
; COMPUTE_PGM_RSRC2:TGID_Z_EN: 0
; COMPUTE_PGM_RSRC2:TIDIG_COMP_CNT: 0
	.section	.text._ZN7rocprim17ROCPRIM_400000_NS6detail17trampoline_kernelINS0_14default_configENS1_29reduce_by_key_config_selectorIflN6thrust23THRUST_200600_302600_NS4plusIlEEEEZZNS1_33reduce_by_key_impl_wrapped_configILNS1_25lookback_scan_determinismE0ES3_S9_PfNS6_17constant_iteratorIiNS6_11use_defaultESE_EENS6_10device_ptrIfEENSG_IlEEPmS8_NS6_8equal_toIfEEEE10hipError_tPvRmT2_T3_mT4_T5_T6_T7_T8_P12ihipStream_tbENKUlT_T0_E_clISt17integral_constantIbLb1EES12_IbLb0EEEEDaSY_SZ_EUlSY_E_NS1_11comp_targetILNS1_3genE4ELNS1_11target_archE910ELNS1_3gpuE8ELNS1_3repE0EEENS1_30default_config_static_selectorELNS0_4arch9wavefront6targetE1EEEvT1_,"axG",@progbits,_ZN7rocprim17ROCPRIM_400000_NS6detail17trampoline_kernelINS0_14default_configENS1_29reduce_by_key_config_selectorIflN6thrust23THRUST_200600_302600_NS4plusIlEEEEZZNS1_33reduce_by_key_impl_wrapped_configILNS1_25lookback_scan_determinismE0ES3_S9_PfNS6_17constant_iteratorIiNS6_11use_defaultESE_EENS6_10device_ptrIfEENSG_IlEEPmS8_NS6_8equal_toIfEEEE10hipError_tPvRmT2_T3_mT4_T5_T6_T7_T8_P12ihipStream_tbENKUlT_T0_E_clISt17integral_constantIbLb1EES12_IbLb0EEEEDaSY_SZ_EUlSY_E_NS1_11comp_targetILNS1_3genE4ELNS1_11target_archE910ELNS1_3gpuE8ELNS1_3repE0EEENS1_30default_config_static_selectorELNS0_4arch9wavefront6targetE1EEEvT1_,comdat
	.protected	_ZN7rocprim17ROCPRIM_400000_NS6detail17trampoline_kernelINS0_14default_configENS1_29reduce_by_key_config_selectorIflN6thrust23THRUST_200600_302600_NS4plusIlEEEEZZNS1_33reduce_by_key_impl_wrapped_configILNS1_25lookback_scan_determinismE0ES3_S9_PfNS6_17constant_iteratorIiNS6_11use_defaultESE_EENS6_10device_ptrIfEENSG_IlEEPmS8_NS6_8equal_toIfEEEE10hipError_tPvRmT2_T3_mT4_T5_T6_T7_T8_P12ihipStream_tbENKUlT_T0_E_clISt17integral_constantIbLb1EES12_IbLb0EEEEDaSY_SZ_EUlSY_E_NS1_11comp_targetILNS1_3genE4ELNS1_11target_archE910ELNS1_3gpuE8ELNS1_3repE0EEENS1_30default_config_static_selectorELNS0_4arch9wavefront6targetE1EEEvT1_ ; -- Begin function _ZN7rocprim17ROCPRIM_400000_NS6detail17trampoline_kernelINS0_14default_configENS1_29reduce_by_key_config_selectorIflN6thrust23THRUST_200600_302600_NS4plusIlEEEEZZNS1_33reduce_by_key_impl_wrapped_configILNS1_25lookback_scan_determinismE0ES3_S9_PfNS6_17constant_iteratorIiNS6_11use_defaultESE_EENS6_10device_ptrIfEENSG_IlEEPmS8_NS6_8equal_toIfEEEE10hipError_tPvRmT2_T3_mT4_T5_T6_T7_T8_P12ihipStream_tbENKUlT_T0_E_clISt17integral_constantIbLb1EES12_IbLb0EEEEDaSY_SZ_EUlSY_E_NS1_11comp_targetILNS1_3genE4ELNS1_11target_archE910ELNS1_3gpuE8ELNS1_3repE0EEENS1_30default_config_static_selectorELNS0_4arch9wavefront6targetE1EEEvT1_
	.globl	_ZN7rocprim17ROCPRIM_400000_NS6detail17trampoline_kernelINS0_14default_configENS1_29reduce_by_key_config_selectorIflN6thrust23THRUST_200600_302600_NS4plusIlEEEEZZNS1_33reduce_by_key_impl_wrapped_configILNS1_25lookback_scan_determinismE0ES3_S9_PfNS6_17constant_iteratorIiNS6_11use_defaultESE_EENS6_10device_ptrIfEENSG_IlEEPmS8_NS6_8equal_toIfEEEE10hipError_tPvRmT2_T3_mT4_T5_T6_T7_T8_P12ihipStream_tbENKUlT_T0_E_clISt17integral_constantIbLb1EES12_IbLb0EEEEDaSY_SZ_EUlSY_E_NS1_11comp_targetILNS1_3genE4ELNS1_11target_archE910ELNS1_3gpuE8ELNS1_3repE0EEENS1_30default_config_static_selectorELNS0_4arch9wavefront6targetE1EEEvT1_
	.p2align	8
	.type	_ZN7rocprim17ROCPRIM_400000_NS6detail17trampoline_kernelINS0_14default_configENS1_29reduce_by_key_config_selectorIflN6thrust23THRUST_200600_302600_NS4plusIlEEEEZZNS1_33reduce_by_key_impl_wrapped_configILNS1_25lookback_scan_determinismE0ES3_S9_PfNS6_17constant_iteratorIiNS6_11use_defaultESE_EENS6_10device_ptrIfEENSG_IlEEPmS8_NS6_8equal_toIfEEEE10hipError_tPvRmT2_T3_mT4_T5_T6_T7_T8_P12ihipStream_tbENKUlT_T0_E_clISt17integral_constantIbLb1EES12_IbLb0EEEEDaSY_SZ_EUlSY_E_NS1_11comp_targetILNS1_3genE4ELNS1_11target_archE910ELNS1_3gpuE8ELNS1_3repE0EEENS1_30default_config_static_selectorELNS0_4arch9wavefront6targetE1EEEvT1_,@function
_ZN7rocprim17ROCPRIM_400000_NS6detail17trampoline_kernelINS0_14default_configENS1_29reduce_by_key_config_selectorIflN6thrust23THRUST_200600_302600_NS4plusIlEEEEZZNS1_33reduce_by_key_impl_wrapped_configILNS1_25lookback_scan_determinismE0ES3_S9_PfNS6_17constant_iteratorIiNS6_11use_defaultESE_EENS6_10device_ptrIfEENSG_IlEEPmS8_NS6_8equal_toIfEEEE10hipError_tPvRmT2_T3_mT4_T5_T6_T7_T8_P12ihipStream_tbENKUlT_T0_E_clISt17integral_constantIbLb1EES12_IbLb0EEEEDaSY_SZ_EUlSY_E_NS1_11comp_targetILNS1_3genE4ELNS1_11target_archE910ELNS1_3gpuE8ELNS1_3repE0EEENS1_30default_config_static_selectorELNS0_4arch9wavefront6targetE1EEEvT1_: ; @_ZN7rocprim17ROCPRIM_400000_NS6detail17trampoline_kernelINS0_14default_configENS1_29reduce_by_key_config_selectorIflN6thrust23THRUST_200600_302600_NS4plusIlEEEEZZNS1_33reduce_by_key_impl_wrapped_configILNS1_25lookback_scan_determinismE0ES3_S9_PfNS6_17constant_iteratorIiNS6_11use_defaultESE_EENS6_10device_ptrIfEENSG_IlEEPmS8_NS6_8equal_toIfEEEE10hipError_tPvRmT2_T3_mT4_T5_T6_T7_T8_P12ihipStream_tbENKUlT_T0_E_clISt17integral_constantIbLb1EES12_IbLb0EEEEDaSY_SZ_EUlSY_E_NS1_11comp_targetILNS1_3genE4ELNS1_11target_archE910ELNS1_3gpuE8ELNS1_3repE0EEENS1_30default_config_static_selectorELNS0_4arch9wavefront6targetE1EEEvT1_
; %bb.0:
	.section	.rodata,"a",@progbits
	.p2align	6, 0x0
	.amdhsa_kernel _ZN7rocprim17ROCPRIM_400000_NS6detail17trampoline_kernelINS0_14default_configENS1_29reduce_by_key_config_selectorIflN6thrust23THRUST_200600_302600_NS4plusIlEEEEZZNS1_33reduce_by_key_impl_wrapped_configILNS1_25lookback_scan_determinismE0ES3_S9_PfNS6_17constant_iteratorIiNS6_11use_defaultESE_EENS6_10device_ptrIfEENSG_IlEEPmS8_NS6_8equal_toIfEEEE10hipError_tPvRmT2_T3_mT4_T5_T6_T7_T8_P12ihipStream_tbENKUlT_T0_E_clISt17integral_constantIbLb1EES12_IbLb0EEEEDaSY_SZ_EUlSY_E_NS1_11comp_targetILNS1_3genE4ELNS1_11target_archE910ELNS1_3gpuE8ELNS1_3repE0EEENS1_30default_config_static_selectorELNS0_4arch9wavefront6targetE1EEEvT1_
		.amdhsa_group_segment_fixed_size 0
		.amdhsa_private_segment_fixed_size 0
		.amdhsa_kernarg_size 144
		.amdhsa_user_sgpr_count 6
		.amdhsa_user_sgpr_private_segment_buffer 1
		.amdhsa_user_sgpr_dispatch_ptr 0
		.amdhsa_user_sgpr_queue_ptr 0
		.amdhsa_user_sgpr_kernarg_segment_ptr 1
		.amdhsa_user_sgpr_dispatch_id 0
		.amdhsa_user_sgpr_flat_scratch_init 0
		.amdhsa_user_sgpr_private_segment_size 0
		.amdhsa_uses_dynamic_stack 0
		.amdhsa_system_sgpr_private_segment_wavefront_offset 0
		.amdhsa_system_sgpr_workgroup_id_x 1
		.amdhsa_system_sgpr_workgroup_id_y 0
		.amdhsa_system_sgpr_workgroup_id_z 0
		.amdhsa_system_sgpr_workgroup_info 0
		.amdhsa_system_vgpr_workitem_id 0
		.amdhsa_next_free_vgpr 1
		.amdhsa_next_free_sgpr 0
		.amdhsa_reserve_vcc 0
		.amdhsa_reserve_flat_scratch 0
		.amdhsa_float_round_mode_32 0
		.amdhsa_float_round_mode_16_64 0
		.amdhsa_float_denorm_mode_32 3
		.amdhsa_float_denorm_mode_16_64 3
		.amdhsa_dx10_clamp 1
		.amdhsa_ieee_mode 1
		.amdhsa_fp16_overflow 0
		.amdhsa_exception_fp_ieee_invalid_op 0
		.amdhsa_exception_fp_denorm_src 0
		.amdhsa_exception_fp_ieee_div_zero 0
		.amdhsa_exception_fp_ieee_overflow 0
		.amdhsa_exception_fp_ieee_underflow 0
		.amdhsa_exception_fp_ieee_inexact 0
		.amdhsa_exception_int_div_zero 0
	.end_amdhsa_kernel
	.section	.text._ZN7rocprim17ROCPRIM_400000_NS6detail17trampoline_kernelINS0_14default_configENS1_29reduce_by_key_config_selectorIflN6thrust23THRUST_200600_302600_NS4plusIlEEEEZZNS1_33reduce_by_key_impl_wrapped_configILNS1_25lookback_scan_determinismE0ES3_S9_PfNS6_17constant_iteratorIiNS6_11use_defaultESE_EENS6_10device_ptrIfEENSG_IlEEPmS8_NS6_8equal_toIfEEEE10hipError_tPvRmT2_T3_mT4_T5_T6_T7_T8_P12ihipStream_tbENKUlT_T0_E_clISt17integral_constantIbLb1EES12_IbLb0EEEEDaSY_SZ_EUlSY_E_NS1_11comp_targetILNS1_3genE4ELNS1_11target_archE910ELNS1_3gpuE8ELNS1_3repE0EEENS1_30default_config_static_selectorELNS0_4arch9wavefront6targetE1EEEvT1_,"axG",@progbits,_ZN7rocprim17ROCPRIM_400000_NS6detail17trampoline_kernelINS0_14default_configENS1_29reduce_by_key_config_selectorIflN6thrust23THRUST_200600_302600_NS4plusIlEEEEZZNS1_33reduce_by_key_impl_wrapped_configILNS1_25lookback_scan_determinismE0ES3_S9_PfNS6_17constant_iteratorIiNS6_11use_defaultESE_EENS6_10device_ptrIfEENSG_IlEEPmS8_NS6_8equal_toIfEEEE10hipError_tPvRmT2_T3_mT4_T5_T6_T7_T8_P12ihipStream_tbENKUlT_T0_E_clISt17integral_constantIbLb1EES12_IbLb0EEEEDaSY_SZ_EUlSY_E_NS1_11comp_targetILNS1_3genE4ELNS1_11target_archE910ELNS1_3gpuE8ELNS1_3repE0EEENS1_30default_config_static_selectorELNS0_4arch9wavefront6targetE1EEEvT1_,comdat
.Lfunc_end1926:
	.size	_ZN7rocprim17ROCPRIM_400000_NS6detail17trampoline_kernelINS0_14default_configENS1_29reduce_by_key_config_selectorIflN6thrust23THRUST_200600_302600_NS4plusIlEEEEZZNS1_33reduce_by_key_impl_wrapped_configILNS1_25lookback_scan_determinismE0ES3_S9_PfNS6_17constant_iteratorIiNS6_11use_defaultESE_EENS6_10device_ptrIfEENSG_IlEEPmS8_NS6_8equal_toIfEEEE10hipError_tPvRmT2_T3_mT4_T5_T6_T7_T8_P12ihipStream_tbENKUlT_T0_E_clISt17integral_constantIbLb1EES12_IbLb0EEEEDaSY_SZ_EUlSY_E_NS1_11comp_targetILNS1_3genE4ELNS1_11target_archE910ELNS1_3gpuE8ELNS1_3repE0EEENS1_30default_config_static_selectorELNS0_4arch9wavefront6targetE1EEEvT1_, .Lfunc_end1926-_ZN7rocprim17ROCPRIM_400000_NS6detail17trampoline_kernelINS0_14default_configENS1_29reduce_by_key_config_selectorIflN6thrust23THRUST_200600_302600_NS4plusIlEEEEZZNS1_33reduce_by_key_impl_wrapped_configILNS1_25lookback_scan_determinismE0ES3_S9_PfNS6_17constant_iteratorIiNS6_11use_defaultESE_EENS6_10device_ptrIfEENSG_IlEEPmS8_NS6_8equal_toIfEEEE10hipError_tPvRmT2_T3_mT4_T5_T6_T7_T8_P12ihipStream_tbENKUlT_T0_E_clISt17integral_constantIbLb1EES12_IbLb0EEEEDaSY_SZ_EUlSY_E_NS1_11comp_targetILNS1_3genE4ELNS1_11target_archE910ELNS1_3gpuE8ELNS1_3repE0EEENS1_30default_config_static_selectorELNS0_4arch9wavefront6targetE1EEEvT1_
                                        ; -- End function
	.set _ZN7rocprim17ROCPRIM_400000_NS6detail17trampoline_kernelINS0_14default_configENS1_29reduce_by_key_config_selectorIflN6thrust23THRUST_200600_302600_NS4plusIlEEEEZZNS1_33reduce_by_key_impl_wrapped_configILNS1_25lookback_scan_determinismE0ES3_S9_PfNS6_17constant_iteratorIiNS6_11use_defaultESE_EENS6_10device_ptrIfEENSG_IlEEPmS8_NS6_8equal_toIfEEEE10hipError_tPvRmT2_T3_mT4_T5_T6_T7_T8_P12ihipStream_tbENKUlT_T0_E_clISt17integral_constantIbLb1EES12_IbLb0EEEEDaSY_SZ_EUlSY_E_NS1_11comp_targetILNS1_3genE4ELNS1_11target_archE910ELNS1_3gpuE8ELNS1_3repE0EEENS1_30default_config_static_selectorELNS0_4arch9wavefront6targetE1EEEvT1_.num_vgpr, 0
	.set _ZN7rocprim17ROCPRIM_400000_NS6detail17trampoline_kernelINS0_14default_configENS1_29reduce_by_key_config_selectorIflN6thrust23THRUST_200600_302600_NS4plusIlEEEEZZNS1_33reduce_by_key_impl_wrapped_configILNS1_25lookback_scan_determinismE0ES3_S9_PfNS6_17constant_iteratorIiNS6_11use_defaultESE_EENS6_10device_ptrIfEENSG_IlEEPmS8_NS6_8equal_toIfEEEE10hipError_tPvRmT2_T3_mT4_T5_T6_T7_T8_P12ihipStream_tbENKUlT_T0_E_clISt17integral_constantIbLb1EES12_IbLb0EEEEDaSY_SZ_EUlSY_E_NS1_11comp_targetILNS1_3genE4ELNS1_11target_archE910ELNS1_3gpuE8ELNS1_3repE0EEENS1_30default_config_static_selectorELNS0_4arch9wavefront6targetE1EEEvT1_.num_agpr, 0
	.set _ZN7rocprim17ROCPRIM_400000_NS6detail17trampoline_kernelINS0_14default_configENS1_29reduce_by_key_config_selectorIflN6thrust23THRUST_200600_302600_NS4plusIlEEEEZZNS1_33reduce_by_key_impl_wrapped_configILNS1_25lookback_scan_determinismE0ES3_S9_PfNS6_17constant_iteratorIiNS6_11use_defaultESE_EENS6_10device_ptrIfEENSG_IlEEPmS8_NS6_8equal_toIfEEEE10hipError_tPvRmT2_T3_mT4_T5_T6_T7_T8_P12ihipStream_tbENKUlT_T0_E_clISt17integral_constantIbLb1EES12_IbLb0EEEEDaSY_SZ_EUlSY_E_NS1_11comp_targetILNS1_3genE4ELNS1_11target_archE910ELNS1_3gpuE8ELNS1_3repE0EEENS1_30default_config_static_selectorELNS0_4arch9wavefront6targetE1EEEvT1_.numbered_sgpr, 0
	.set _ZN7rocprim17ROCPRIM_400000_NS6detail17trampoline_kernelINS0_14default_configENS1_29reduce_by_key_config_selectorIflN6thrust23THRUST_200600_302600_NS4plusIlEEEEZZNS1_33reduce_by_key_impl_wrapped_configILNS1_25lookback_scan_determinismE0ES3_S9_PfNS6_17constant_iteratorIiNS6_11use_defaultESE_EENS6_10device_ptrIfEENSG_IlEEPmS8_NS6_8equal_toIfEEEE10hipError_tPvRmT2_T3_mT4_T5_T6_T7_T8_P12ihipStream_tbENKUlT_T0_E_clISt17integral_constantIbLb1EES12_IbLb0EEEEDaSY_SZ_EUlSY_E_NS1_11comp_targetILNS1_3genE4ELNS1_11target_archE910ELNS1_3gpuE8ELNS1_3repE0EEENS1_30default_config_static_selectorELNS0_4arch9wavefront6targetE1EEEvT1_.num_named_barrier, 0
	.set _ZN7rocprim17ROCPRIM_400000_NS6detail17trampoline_kernelINS0_14default_configENS1_29reduce_by_key_config_selectorIflN6thrust23THRUST_200600_302600_NS4plusIlEEEEZZNS1_33reduce_by_key_impl_wrapped_configILNS1_25lookback_scan_determinismE0ES3_S9_PfNS6_17constant_iteratorIiNS6_11use_defaultESE_EENS6_10device_ptrIfEENSG_IlEEPmS8_NS6_8equal_toIfEEEE10hipError_tPvRmT2_T3_mT4_T5_T6_T7_T8_P12ihipStream_tbENKUlT_T0_E_clISt17integral_constantIbLb1EES12_IbLb0EEEEDaSY_SZ_EUlSY_E_NS1_11comp_targetILNS1_3genE4ELNS1_11target_archE910ELNS1_3gpuE8ELNS1_3repE0EEENS1_30default_config_static_selectorELNS0_4arch9wavefront6targetE1EEEvT1_.private_seg_size, 0
	.set _ZN7rocprim17ROCPRIM_400000_NS6detail17trampoline_kernelINS0_14default_configENS1_29reduce_by_key_config_selectorIflN6thrust23THRUST_200600_302600_NS4plusIlEEEEZZNS1_33reduce_by_key_impl_wrapped_configILNS1_25lookback_scan_determinismE0ES3_S9_PfNS6_17constant_iteratorIiNS6_11use_defaultESE_EENS6_10device_ptrIfEENSG_IlEEPmS8_NS6_8equal_toIfEEEE10hipError_tPvRmT2_T3_mT4_T5_T6_T7_T8_P12ihipStream_tbENKUlT_T0_E_clISt17integral_constantIbLb1EES12_IbLb0EEEEDaSY_SZ_EUlSY_E_NS1_11comp_targetILNS1_3genE4ELNS1_11target_archE910ELNS1_3gpuE8ELNS1_3repE0EEENS1_30default_config_static_selectorELNS0_4arch9wavefront6targetE1EEEvT1_.uses_vcc, 0
	.set _ZN7rocprim17ROCPRIM_400000_NS6detail17trampoline_kernelINS0_14default_configENS1_29reduce_by_key_config_selectorIflN6thrust23THRUST_200600_302600_NS4plusIlEEEEZZNS1_33reduce_by_key_impl_wrapped_configILNS1_25lookback_scan_determinismE0ES3_S9_PfNS6_17constant_iteratorIiNS6_11use_defaultESE_EENS6_10device_ptrIfEENSG_IlEEPmS8_NS6_8equal_toIfEEEE10hipError_tPvRmT2_T3_mT4_T5_T6_T7_T8_P12ihipStream_tbENKUlT_T0_E_clISt17integral_constantIbLb1EES12_IbLb0EEEEDaSY_SZ_EUlSY_E_NS1_11comp_targetILNS1_3genE4ELNS1_11target_archE910ELNS1_3gpuE8ELNS1_3repE0EEENS1_30default_config_static_selectorELNS0_4arch9wavefront6targetE1EEEvT1_.uses_flat_scratch, 0
	.set _ZN7rocprim17ROCPRIM_400000_NS6detail17trampoline_kernelINS0_14default_configENS1_29reduce_by_key_config_selectorIflN6thrust23THRUST_200600_302600_NS4plusIlEEEEZZNS1_33reduce_by_key_impl_wrapped_configILNS1_25lookback_scan_determinismE0ES3_S9_PfNS6_17constant_iteratorIiNS6_11use_defaultESE_EENS6_10device_ptrIfEENSG_IlEEPmS8_NS6_8equal_toIfEEEE10hipError_tPvRmT2_T3_mT4_T5_T6_T7_T8_P12ihipStream_tbENKUlT_T0_E_clISt17integral_constantIbLb1EES12_IbLb0EEEEDaSY_SZ_EUlSY_E_NS1_11comp_targetILNS1_3genE4ELNS1_11target_archE910ELNS1_3gpuE8ELNS1_3repE0EEENS1_30default_config_static_selectorELNS0_4arch9wavefront6targetE1EEEvT1_.has_dyn_sized_stack, 0
	.set _ZN7rocprim17ROCPRIM_400000_NS6detail17trampoline_kernelINS0_14default_configENS1_29reduce_by_key_config_selectorIflN6thrust23THRUST_200600_302600_NS4plusIlEEEEZZNS1_33reduce_by_key_impl_wrapped_configILNS1_25lookback_scan_determinismE0ES3_S9_PfNS6_17constant_iteratorIiNS6_11use_defaultESE_EENS6_10device_ptrIfEENSG_IlEEPmS8_NS6_8equal_toIfEEEE10hipError_tPvRmT2_T3_mT4_T5_T6_T7_T8_P12ihipStream_tbENKUlT_T0_E_clISt17integral_constantIbLb1EES12_IbLb0EEEEDaSY_SZ_EUlSY_E_NS1_11comp_targetILNS1_3genE4ELNS1_11target_archE910ELNS1_3gpuE8ELNS1_3repE0EEENS1_30default_config_static_selectorELNS0_4arch9wavefront6targetE1EEEvT1_.has_recursion, 0
	.set _ZN7rocprim17ROCPRIM_400000_NS6detail17trampoline_kernelINS0_14default_configENS1_29reduce_by_key_config_selectorIflN6thrust23THRUST_200600_302600_NS4plusIlEEEEZZNS1_33reduce_by_key_impl_wrapped_configILNS1_25lookback_scan_determinismE0ES3_S9_PfNS6_17constant_iteratorIiNS6_11use_defaultESE_EENS6_10device_ptrIfEENSG_IlEEPmS8_NS6_8equal_toIfEEEE10hipError_tPvRmT2_T3_mT4_T5_T6_T7_T8_P12ihipStream_tbENKUlT_T0_E_clISt17integral_constantIbLb1EES12_IbLb0EEEEDaSY_SZ_EUlSY_E_NS1_11comp_targetILNS1_3genE4ELNS1_11target_archE910ELNS1_3gpuE8ELNS1_3repE0EEENS1_30default_config_static_selectorELNS0_4arch9wavefront6targetE1EEEvT1_.has_indirect_call, 0
	.section	.AMDGPU.csdata,"",@progbits
; Kernel info:
; codeLenInByte = 0
; TotalNumSgprs: 4
; NumVgprs: 0
; ScratchSize: 0
; MemoryBound: 0
; FloatMode: 240
; IeeeMode: 1
; LDSByteSize: 0 bytes/workgroup (compile time only)
; SGPRBlocks: 0
; VGPRBlocks: 0
; NumSGPRsForWavesPerEU: 4
; NumVGPRsForWavesPerEU: 1
; Occupancy: 10
; WaveLimiterHint : 0
; COMPUTE_PGM_RSRC2:SCRATCH_EN: 0
; COMPUTE_PGM_RSRC2:USER_SGPR: 6
; COMPUTE_PGM_RSRC2:TRAP_HANDLER: 0
; COMPUTE_PGM_RSRC2:TGID_X_EN: 1
; COMPUTE_PGM_RSRC2:TGID_Y_EN: 0
; COMPUTE_PGM_RSRC2:TGID_Z_EN: 0
; COMPUTE_PGM_RSRC2:TIDIG_COMP_CNT: 0
	.section	.text._ZN7rocprim17ROCPRIM_400000_NS6detail17trampoline_kernelINS0_14default_configENS1_29reduce_by_key_config_selectorIflN6thrust23THRUST_200600_302600_NS4plusIlEEEEZZNS1_33reduce_by_key_impl_wrapped_configILNS1_25lookback_scan_determinismE0ES3_S9_PfNS6_17constant_iteratorIiNS6_11use_defaultESE_EENS6_10device_ptrIfEENSG_IlEEPmS8_NS6_8equal_toIfEEEE10hipError_tPvRmT2_T3_mT4_T5_T6_T7_T8_P12ihipStream_tbENKUlT_T0_E_clISt17integral_constantIbLb1EES12_IbLb0EEEEDaSY_SZ_EUlSY_E_NS1_11comp_targetILNS1_3genE3ELNS1_11target_archE908ELNS1_3gpuE7ELNS1_3repE0EEENS1_30default_config_static_selectorELNS0_4arch9wavefront6targetE1EEEvT1_,"axG",@progbits,_ZN7rocprim17ROCPRIM_400000_NS6detail17trampoline_kernelINS0_14default_configENS1_29reduce_by_key_config_selectorIflN6thrust23THRUST_200600_302600_NS4plusIlEEEEZZNS1_33reduce_by_key_impl_wrapped_configILNS1_25lookback_scan_determinismE0ES3_S9_PfNS6_17constant_iteratorIiNS6_11use_defaultESE_EENS6_10device_ptrIfEENSG_IlEEPmS8_NS6_8equal_toIfEEEE10hipError_tPvRmT2_T3_mT4_T5_T6_T7_T8_P12ihipStream_tbENKUlT_T0_E_clISt17integral_constantIbLb1EES12_IbLb0EEEEDaSY_SZ_EUlSY_E_NS1_11comp_targetILNS1_3genE3ELNS1_11target_archE908ELNS1_3gpuE7ELNS1_3repE0EEENS1_30default_config_static_selectorELNS0_4arch9wavefront6targetE1EEEvT1_,comdat
	.protected	_ZN7rocprim17ROCPRIM_400000_NS6detail17trampoline_kernelINS0_14default_configENS1_29reduce_by_key_config_selectorIflN6thrust23THRUST_200600_302600_NS4plusIlEEEEZZNS1_33reduce_by_key_impl_wrapped_configILNS1_25lookback_scan_determinismE0ES3_S9_PfNS6_17constant_iteratorIiNS6_11use_defaultESE_EENS6_10device_ptrIfEENSG_IlEEPmS8_NS6_8equal_toIfEEEE10hipError_tPvRmT2_T3_mT4_T5_T6_T7_T8_P12ihipStream_tbENKUlT_T0_E_clISt17integral_constantIbLb1EES12_IbLb0EEEEDaSY_SZ_EUlSY_E_NS1_11comp_targetILNS1_3genE3ELNS1_11target_archE908ELNS1_3gpuE7ELNS1_3repE0EEENS1_30default_config_static_selectorELNS0_4arch9wavefront6targetE1EEEvT1_ ; -- Begin function _ZN7rocprim17ROCPRIM_400000_NS6detail17trampoline_kernelINS0_14default_configENS1_29reduce_by_key_config_selectorIflN6thrust23THRUST_200600_302600_NS4plusIlEEEEZZNS1_33reduce_by_key_impl_wrapped_configILNS1_25lookback_scan_determinismE0ES3_S9_PfNS6_17constant_iteratorIiNS6_11use_defaultESE_EENS6_10device_ptrIfEENSG_IlEEPmS8_NS6_8equal_toIfEEEE10hipError_tPvRmT2_T3_mT4_T5_T6_T7_T8_P12ihipStream_tbENKUlT_T0_E_clISt17integral_constantIbLb1EES12_IbLb0EEEEDaSY_SZ_EUlSY_E_NS1_11comp_targetILNS1_3genE3ELNS1_11target_archE908ELNS1_3gpuE7ELNS1_3repE0EEENS1_30default_config_static_selectorELNS0_4arch9wavefront6targetE1EEEvT1_
	.globl	_ZN7rocprim17ROCPRIM_400000_NS6detail17trampoline_kernelINS0_14default_configENS1_29reduce_by_key_config_selectorIflN6thrust23THRUST_200600_302600_NS4plusIlEEEEZZNS1_33reduce_by_key_impl_wrapped_configILNS1_25lookback_scan_determinismE0ES3_S9_PfNS6_17constant_iteratorIiNS6_11use_defaultESE_EENS6_10device_ptrIfEENSG_IlEEPmS8_NS6_8equal_toIfEEEE10hipError_tPvRmT2_T3_mT4_T5_T6_T7_T8_P12ihipStream_tbENKUlT_T0_E_clISt17integral_constantIbLb1EES12_IbLb0EEEEDaSY_SZ_EUlSY_E_NS1_11comp_targetILNS1_3genE3ELNS1_11target_archE908ELNS1_3gpuE7ELNS1_3repE0EEENS1_30default_config_static_selectorELNS0_4arch9wavefront6targetE1EEEvT1_
	.p2align	8
	.type	_ZN7rocprim17ROCPRIM_400000_NS6detail17trampoline_kernelINS0_14default_configENS1_29reduce_by_key_config_selectorIflN6thrust23THRUST_200600_302600_NS4plusIlEEEEZZNS1_33reduce_by_key_impl_wrapped_configILNS1_25lookback_scan_determinismE0ES3_S9_PfNS6_17constant_iteratorIiNS6_11use_defaultESE_EENS6_10device_ptrIfEENSG_IlEEPmS8_NS6_8equal_toIfEEEE10hipError_tPvRmT2_T3_mT4_T5_T6_T7_T8_P12ihipStream_tbENKUlT_T0_E_clISt17integral_constantIbLb1EES12_IbLb0EEEEDaSY_SZ_EUlSY_E_NS1_11comp_targetILNS1_3genE3ELNS1_11target_archE908ELNS1_3gpuE7ELNS1_3repE0EEENS1_30default_config_static_selectorELNS0_4arch9wavefront6targetE1EEEvT1_,@function
_ZN7rocprim17ROCPRIM_400000_NS6detail17trampoline_kernelINS0_14default_configENS1_29reduce_by_key_config_selectorIflN6thrust23THRUST_200600_302600_NS4plusIlEEEEZZNS1_33reduce_by_key_impl_wrapped_configILNS1_25lookback_scan_determinismE0ES3_S9_PfNS6_17constant_iteratorIiNS6_11use_defaultESE_EENS6_10device_ptrIfEENSG_IlEEPmS8_NS6_8equal_toIfEEEE10hipError_tPvRmT2_T3_mT4_T5_T6_T7_T8_P12ihipStream_tbENKUlT_T0_E_clISt17integral_constantIbLb1EES12_IbLb0EEEEDaSY_SZ_EUlSY_E_NS1_11comp_targetILNS1_3genE3ELNS1_11target_archE908ELNS1_3gpuE7ELNS1_3repE0EEENS1_30default_config_static_selectorELNS0_4arch9wavefront6targetE1EEEvT1_: ; @_ZN7rocprim17ROCPRIM_400000_NS6detail17trampoline_kernelINS0_14default_configENS1_29reduce_by_key_config_selectorIflN6thrust23THRUST_200600_302600_NS4plusIlEEEEZZNS1_33reduce_by_key_impl_wrapped_configILNS1_25lookback_scan_determinismE0ES3_S9_PfNS6_17constant_iteratorIiNS6_11use_defaultESE_EENS6_10device_ptrIfEENSG_IlEEPmS8_NS6_8equal_toIfEEEE10hipError_tPvRmT2_T3_mT4_T5_T6_T7_T8_P12ihipStream_tbENKUlT_T0_E_clISt17integral_constantIbLb1EES12_IbLb0EEEEDaSY_SZ_EUlSY_E_NS1_11comp_targetILNS1_3genE3ELNS1_11target_archE908ELNS1_3gpuE7ELNS1_3repE0EEENS1_30default_config_static_selectorELNS0_4arch9wavefront6targetE1EEEvT1_
; %bb.0:
	.section	.rodata,"a",@progbits
	.p2align	6, 0x0
	.amdhsa_kernel _ZN7rocprim17ROCPRIM_400000_NS6detail17trampoline_kernelINS0_14default_configENS1_29reduce_by_key_config_selectorIflN6thrust23THRUST_200600_302600_NS4plusIlEEEEZZNS1_33reduce_by_key_impl_wrapped_configILNS1_25lookback_scan_determinismE0ES3_S9_PfNS6_17constant_iteratorIiNS6_11use_defaultESE_EENS6_10device_ptrIfEENSG_IlEEPmS8_NS6_8equal_toIfEEEE10hipError_tPvRmT2_T3_mT4_T5_T6_T7_T8_P12ihipStream_tbENKUlT_T0_E_clISt17integral_constantIbLb1EES12_IbLb0EEEEDaSY_SZ_EUlSY_E_NS1_11comp_targetILNS1_3genE3ELNS1_11target_archE908ELNS1_3gpuE7ELNS1_3repE0EEENS1_30default_config_static_selectorELNS0_4arch9wavefront6targetE1EEEvT1_
		.amdhsa_group_segment_fixed_size 0
		.amdhsa_private_segment_fixed_size 0
		.amdhsa_kernarg_size 144
		.amdhsa_user_sgpr_count 6
		.amdhsa_user_sgpr_private_segment_buffer 1
		.amdhsa_user_sgpr_dispatch_ptr 0
		.amdhsa_user_sgpr_queue_ptr 0
		.amdhsa_user_sgpr_kernarg_segment_ptr 1
		.amdhsa_user_sgpr_dispatch_id 0
		.amdhsa_user_sgpr_flat_scratch_init 0
		.amdhsa_user_sgpr_private_segment_size 0
		.amdhsa_uses_dynamic_stack 0
		.amdhsa_system_sgpr_private_segment_wavefront_offset 0
		.amdhsa_system_sgpr_workgroup_id_x 1
		.amdhsa_system_sgpr_workgroup_id_y 0
		.amdhsa_system_sgpr_workgroup_id_z 0
		.amdhsa_system_sgpr_workgroup_info 0
		.amdhsa_system_vgpr_workitem_id 0
		.amdhsa_next_free_vgpr 1
		.amdhsa_next_free_sgpr 0
		.amdhsa_reserve_vcc 0
		.amdhsa_reserve_flat_scratch 0
		.amdhsa_float_round_mode_32 0
		.amdhsa_float_round_mode_16_64 0
		.amdhsa_float_denorm_mode_32 3
		.amdhsa_float_denorm_mode_16_64 3
		.amdhsa_dx10_clamp 1
		.amdhsa_ieee_mode 1
		.amdhsa_fp16_overflow 0
		.amdhsa_exception_fp_ieee_invalid_op 0
		.amdhsa_exception_fp_denorm_src 0
		.amdhsa_exception_fp_ieee_div_zero 0
		.amdhsa_exception_fp_ieee_overflow 0
		.amdhsa_exception_fp_ieee_underflow 0
		.amdhsa_exception_fp_ieee_inexact 0
		.amdhsa_exception_int_div_zero 0
	.end_amdhsa_kernel
	.section	.text._ZN7rocprim17ROCPRIM_400000_NS6detail17trampoline_kernelINS0_14default_configENS1_29reduce_by_key_config_selectorIflN6thrust23THRUST_200600_302600_NS4plusIlEEEEZZNS1_33reduce_by_key_impl_wrapped_configILNS1_25lookback_scan_determinismE0ES3_S9_PfNS6_17constant_iteratorIiNS6_11use_defaultESE_EENS6_10device_ptrIfEENSG_IlEEPmS8_NS6_8equal_toIfEEEE10hipError_tPvRmT2_T3_mT4_T5_T6_T7_T8_P12ihipStream_tbENKUlT_T0_E_clISt17integral_constantIbLb1EES12_IbLb0EEEEDaSY_SZ_EUlSY_E_NS1_11comp_targetILNS1_3genE3ELNS1_11target_archE908ELNS1_3gpuE7ELNS1_3repE0EEENS1_30default_config_static_selectorELNS0_4arch9wavefront6targetE1EEEvT1_,"axG",@progbits,_ZN7rocprim17ROCPRIM_400000_NS6detail17trampoline_kernelINS0_14default_configENS1_29reduce_by_key_config_selectorIflN6thrust23THRUST_200600_302600_NS4plusIlEEEEZZNS1_33reduce_by_key_impl_wrapped_configILNS1_25lookback_scan_determinismE0ES3_S9_PfNS6_17constant_iteratorIiNS6_11use_defaultESE_EENS6_10device_ptrIfEENSG_IlEEPmS8_NS6_8equal_toIfEEEE10hipError_tPvRmT2_T3_mT4_T5_T6_T7_T8_P12ihipStream_tbENKUlT_T0_E_clISt17integral_constantIbLb1EES12_IbLb0EEEEDaSY_SZ_EUlSY_E_NS1_11comp_targetILNS1_3genE3ELNS1_11target_archE908ELNS1_3gpuE7ELNS1_3repE0EEENS1_30default_config_static_selectorELNS0_4arch9wavefront6targetE1EEEvT1_,comdat
.Lfunc_end1927:
	.size	_ZN7rocprim17ROCPRIM_400000_NS6detail17trampoline_kernelINS0_14default_configENS1_29reduce_by_key_config_selectorIflN6thrust23THRUST_200600_302600_NS4plusIlEEEEZZNS1_33reduce_by_key_impl_wrapped_configILNS1_25lookback_scan_determinismE0ES3_S9_PfNS6_17constant_iteratorIiNS6_11use_defaultESE_EENS6_10device_ptrIfEENSG_IlEEPmS8_NS6_8equal_toIfEEEE10hipError_tPvRmT2_T3_mT4_T5_T6_T7_T8_P12ihipStream_tbENKUlT_T0_E_clISt17integral_constantIbLb1EES12_IbLb0EEEEDaSY_SZ_EUlSY_E_NS1_11comp_targetILNS1_3genE3ELNS1_11target_archE908ELNS1_3gpuE7ELNS1_3repE0EEENS1_30default_config_static_selectorELNS0_4arch9wavefront6targetE1EEEvT1_, .Lfunc_end1927-_ZN7rocprim17ROCPRIM_400000_NS6detail17trampoline_kernelINS0_14default_configENS1_29reduce_by_key_config_selectorIflN6thrust23THRUST_200600_302600_NS4plusIlEEEEZZNS1_33reduce_by_key_impl_wrapped_configILNS1_25lookback_scan_determinismE0ES3_S9_PfNS6_17constant_iteratorIiNS6_11use_defaultESE_EENS6_10device_ptrIfEENSG_IlEEPmS8_NS6_8equal_toIfEEEE10hipError_tPvRmT2_T3_mT4_T5_T6_T7_T8_P12ihipStream_tbENKUlT_T0_E_clISt17integral_constantIbLb1EES12_IbLb0EEEEDaSY_SZ_EUlSY_E_NS1_11comp_targetILNS1_3genE3ELNS1_11target_archE908ELNS1_3gpuE7ELNS1_3repE0EEENS1_30default_config_static_selectorELNS0_4arch9wavefront6targetE1EEEvT1_
                                        ; -- End function
	.set _ZN7rocprim17ROCPRIM_400000_NS6detail17trampoline_kernelINS0_14default_configENS1_29reduce_by_key_config_selectorIflN6thrust23THRUST_200600_302600_NS4plusIlEEEEZZNS1_33reduce_by_key_impl_wrapped_configILNS1_25lookback_scan_determinismE0ES3_S9_PfNS6_17constant_iteratorIiNS6_11use_defaultESE_EENS6_10device_ptrIfEENSG_IlEEPmS8_NS6_8equal_toIfEEEE10hipError_tPvRmT2_T3_mT4_T5_T6_T7_T8_P12ihipStream_tbENKUlT_T0_E_clISt17integral_constantIbLb1EES12_IbLb0EEEEDaSY_SZ_EUlSY_E_NS1_11comp_targetILNS1_3genE3ELNS1_11target_archE908ELNS1_3gpuE7ELNS1_3repE0EEENS1_30default_config_static_selectorELNS0_4arch9wavefront6targetE1EEEvT1_.num_vgpr, 0
	.set _ZN7rocprim17ROCPRIM_400000_NS6detail17trampoline_kernelINS0_14default_configENS1_29reduce_by_key_config_selectorIflN6thrust23THRUST_200600_302600_NS4plusIlEEEEZZNS1_33reduce_by_key_impl_wrapped_configILNS1_25lookback_scan_determinismE0ES3_S9_PfNS6_17constant_iteratorIiNS6_11use_defaultESE_EENS6_10device_ptrIfEENSG_IlEEPmS8_NS6_8equal_toIfEEEE10hipError_tPvRmT2_T3_mT4_T5_T6_T7_T8_P12ihipStream_tbENKUlT_T0_E_clISt17integral_constantIbLb1EES12_IbLb0EEEEDaSY_SZ_EUlSY_E_NS1_11comp_targetILNS1_3genE3ELNS1_11target_archE908ELNS1_3gpuE7ELNS1_3repE0EEENS1_30default_config_static_selectorELNS0_4arch9wavefront6targetE1EEEvT1_.num_agpr, 0
	.set _ZN7rocprim17ROCPRIM_400000_NS6detail17trampoline_kernelINS0_14default_configENS1_29reduce_by_key_config_selectorIflN6thrust23THRUST_200600_302600_NS4plusIlEEEEZZNS1_33reduce_by_key_impl_wrapped_configILNS1_25lookback_scan_determinismE0ES3_S9_PfNS6_17constant_iteratorIiNS6_11use_defaultESE_EENS6_10device_ptrIfEENSG_IlEEPmS8_NS6_8equal_toIfEEEE10hipError_tPvRmT2_T3_mT4_T5_T6_T7_T8_P12ihipStream_tbENKUlT_T0_E_clISt17integral_constantIbLb1EES12_IbLb0EEEEDaSY_SZ_EUlSY_E_NS1_11comp_targetILNS1_3genE3ELNS1_11target_archE908ELNS1_3gpuE7ELNS1_3repE0EEENS1_30default_config_static_selectorELNS0_4arch9wavefront6targetE1EEEvT1_.numbered_sgpr, 0
	.set _ZN7rocprim17ROCPRIM_400000_NS6detail17trampoline_kernelINS0_14default_configENS1_29reduce_by_key_config_selectorIflN6thrust23THRUST_200600_302600_NS4plusIlEEEEZZNS1_33reduce_by_key_impl_wrapped_configILNS1_25lookback_scan_determinismE0ES3_S9_PfNS6_17constant_iteratorIiNS6_11use_defaultESE_EENS6_10device_ptrIfEENSG_IlEEPmS8_NS6_8equal_toIfEEEE10hipError_tPvRmT2_T3_mT4_T5_T6_T7_T8_P12ihipStream_tbENKUlT_T0_E_clISt17integral_constantIbLb1EES12_IbLb0EEEEDaSY_SZ_EUlSY_E_NS1_11comp_targetILNS1_3genE3ELNS1_11target_archE908ELNS1_3gpuE7ELNS1_3repE0EEENS1_30default_config_static_selectorELNS0_4arch9wavefront6targetE1EEEvT1_.num_named_barrier, 0
	.set _ZN7rocprim17ROCPRIM_400000_NS6detail17trampoline_kernelINS0_14default_configENS1_29reduce_by_key_config_selectorIflN6thrust23THRUST_200600_302600_NS4plusIlEEEEZZNS1_33reduce_by_key_impl_wrapped_configILNS1_25lookback_scan_determinismE0ES3_S9_PfNS6_17constant_iteratorIiNS6_11use_defaultESE_EENS6_10device_ptrIfEENSG_IlEEPmS8_NS6_8equal_toIfEEEE10hipError_tPvRmT2_T3_mT4_T5_T6_T7_T8_P12ihipStream_tbENKUlT_T0_E_clISt17integral_constantIbLb1EES12_IbLb0EEEEDaSY_SZ_EUlSY_E_NS1_11comp_targetILNS1_3genE3ELNS1_11target_archE908ELNS1_3gpuE7ELNS1_3repE0EEENS1_30default_config_static_selectorELNS0_4arch9wavefront6targetE1EEEvT1_.private_seg_size, 0
	.set _ZN7rocprim17ROCPRIM_400000_NS6detail17trampoline_kernelINS0_14default_configENS1_29reduce_by_key_config_selectorIflN6thrust23THRUST_200600_302600_NS4plusIlEEEEZZNS1_33reduce_by_key_impl_wrapped_configILNS1_25lookback_scan_determinismE0ES3_S9_PfNS6_17constant_iteratorIiNS6_11use_defaultESE_EENS6_10device_ptrIfEENSG_IlEEPmS8_NS6_8equal_toIfEEEE10hipError_tPvRmT2_T3_mT4_T5_T6_T7_T8_P12ihipStream_tbENKUlT_T0_E_clISt17integral_constantIbLb1EES12_IbLb0EEEEDaSY_SZ_EUlSY_E_NS1_11comp_targetILNS1_3genE3ELNS1_11target_archE908ELNS1_3gpuE7ELNS1_3repE0EEENS1_30default_config_static_selectorELNS0_4arch9wavefront6targetE1EEEvT1_.uses_vcc, 0
	.set _ZN7rocprim17ROCPRIM_400000_NS6detail17trampoline_kernelINS0_14default_configENS1_29reduce_by_key_config_selectorIflN6thrust23THRUST_200600_302600_NS4plusIlEEEEZZNS1_33reduce_by_key_impl_wrapped_configILNS1_25lookback_scan_determinismE0ES3_S9_PfNS6_17constant_iteratorIiNS6_11use_defaultESE_EENS6_10device_ptrIfEENSG_IlEEPmS8_NS6_8equal_toIfEEEE10hipError_tPvRmT2_T3_mT4_T5_T6_T7_T8_P12ihipStream_tbENKUlT_T0_E_clISt17integral_constantIbLb1EES12_IbLb0EEEEDaSY_SZ_EUlSY_E_NS1_11comp_targetILNS1_3genE3ELNS1_11target_archE908ELNS1_3gpuE7ELNS1_3repE0EEENS1_30default_config_static_selectorELNS0_4arch9wavefront6targetE1EEEvT1_.uses_flat_scratch, 0
	.set _ZN7rocprim17ROCPRIM_400000_NS6detail17trampoline_kernelINS0_14default_configENS1_29reduce_by_key_config_selectorIflN6thrust23THRUST_200600_302600_NS4plusIlEEEEZZNS1_33reduce_by_key_impl_wrapped_configILNS1_25lookback_scan_determinismE0ES3_S9_PfNS6_17constant_iteratorIiNS6_11use_defaultESE_EENS6_10device_ptrIfEENSG_IlEEPmS8_NS6_8equal_toIfEEEE10hipError_tPvRmT2_T3_mT4_T5_T6_T7_T8_P12ihipStream_tbENKUlT_T0_E_clISt17integral_constantIbLb1EES12_IbLb0EEEEDaSY_SZ_EUlSY_E_NS1_11comp_targetILNS1_3genE3ELNS1_11target_archE908ELNS1_3gpuE7ELNS1_3repE0EEENS1_30default_config_static_selectorELNS0_4arch9wavefront6targetE1EEEvT1_.has_dyn_sized_stack, 0
	.set _ZN7rocprim17ROCPRIM_400000_NS6detail17trampoline_kernelINS0_14default_configENS1_29reduce_by_key_config_selectorIflN6thrust23THRUST_200600_302600_NS4plusIlEEEEZZNS1_33reduce_by_key_impl_wrapped_configILNS1_25lookback_scan_determinismE0ES3_S9_PfNS6_17constant_iteratorIiNS6_11use_defaultESE_EENS6_10device_ptrIfEENSG_IlEEPmS8_NS6_8equal_toIfEEEE10hipError_tPvRmT2_T3_mT4_T5_T6_T7_T8_P12ihipStream_tbENKUlT_T0_E_clISt17integral_constantIbLb1EES12_IbLb0EEEEDaSY_SZ_EUlSY_E_NS1_11comp_targetILNS1_3genE3ELNS1_11target_archE908ELNS1_3gpuE7ELNS1_3repE0EEENS1_30default_config_static_selectorELNS0_4arch9wavefront6targetE1EEEvT1_.has_recursion, 0
	.set _ZN7rocprim17ROCPRIM_400000_NS6detail17trampoline_kernelINS0_14default_configENS1_29reduce_by_key_config_selectorIflN6thrust23THRUST_200600_302600_NS4plusIlEEEEZZNS1_33reduce_by_key_impl_wrapped_configILNS1_25lookback_scan_determinismE0ES3_S9_PfNS6_17constant_iteratorIiNS6_11use_defaultESE_EENS6_10device_ptrIfEENSG_IlEEPmS8_NS6_8equal_toIfEEEE10hipError_tPvRmT2_T3_mT4_T5_T6_T7_T8_P12ihipStream_tbENKUlT_T0_E_clISt17integral_constantIbLb1EES12_IbLb0EEEEDaSY_SZ_EUlSY_E_NS1_11comp_targetILNS1_3genE3ELNS1_11target_archE908ELNS1_3gpuE7ELNS1_3repE0EEENS1_30default_config_static_selectorELNS0_4arch9wavefront6targetE1EEEvT1_.has_indirect_call, 0
	.section	.AMDGPU.csdata,"",@progbits
; Kernel info:
; codeLenInByte = 0
; TotalNumSgprs: 4
; NumVgprs: 0
; ScratchSize: 0
; MemoryBound: 0
; FloatMode: 240
; IeeeMode: 1
; LDSByteSize: 0 bytes/workgroup (compile time only)
; SGPRBlocks: 0
; VGPRBlocks: 0
; NumSGPRsForWavesPerEU: 4
; NumVGPRsForWavesPerEU: 1
; Occupancy: 10
; WaveLimiterHint : 0
; COMPUTE_PGM_RSRC2:SCRATCH_EN: 0
; COMPUTE_PGM_RSRC2:USER_SGPR: 6
; COMPUTE_PGM_RSRC2:TRAP_HANDLER: 0
; COMPUTE_PGM_RSRC2:TGID_X_EN: 1
; COMPUTE_PGM_RSRC2:TGID_Y_EN: 0
; COMPUTE_PGM_RSRC2:TGID_Z_EN: 0
; COMPUTE_PGM_RSRC2:TIDIG_COMP_CNT: 0
	.section	.text._ZN7rocprim17ROCPRIM_400000_NS6detail17trampoline_kernelINS0_14default_configENS1_29reduce_by_key_config_selectorIflN6thrust23THRUST_200600_302600_NS4plusIlEEEEZZNS1_33reduce_by_key_impl_wrapped_configILNS1_25lookback_scan_determinismE0ES3_S9_PfNS6_17constant_iteratorIiNS6_11use_defaultESE_EENS6_10device_ptrIfEENSG_IlEEPmS8_NS6_8equal_toIfEEEE10hipError_tPvRmT2_T3_mT4_T5_T6_T7_T8_P12ihipStream_tbENKUlT_T0_E_clISt17integral_constantIbLb1EES12_IbLb0EEEEDaSY_SZ_EUlSY_E_NS1_11comp_targetILNS1_3genE2ELNS1_11target_archE906ELNS1_3gpuE6ELNS1_3repE0EEENS1_30default_config_static_selectorELNS0_4arch9wavefront6targetE1EEEvT1_,"axG",@progbits,_ZN7rocprim17ROCPRIM_400000_NS6detail17trampoline_kernelINS0_14default_configENS1_29reduce_by_key_config_selectorIflN6thrust23THRUST_200600_302600_NS4plusIlEEEEZZNS1_33reduce_by_key_impl_wrapped_configILNS1_25lookback_scan_determinismE0ES3_S9_PfNS6_17constant_iteratorIiNS6_11use_defaultESE_EENS6_10device_ptrIfEENSG_IlEEPmS8_NS6_8equal_toIfEEEE10hipError_tPvRmT2_T3_mT4_T5_T6_T7_T8_P12ihipStream_tbENKUlT_T0_E_clISt17integral_constantIbLb1EES12_IbLb0EEEEDaSY_SZ_EUlSY_E_NS1_11comp_targetILNS1_3genE2ELNS1_11target_archE906ELNS1_3gpuE6ELNS1_3repE0EEENS1_30default_config_static_selectorELNS0_4arch9wavefront6targetE1EEEvT1_,comdat
	.protected	_ZN7rocprim17ROCPRIM_400000_NS6detail17trampoline_kernelINS0_14default_configENS1_29reduce_by_key_config_selectorIflN6thrust23THRUST_200600_302600_NS4plusIlEEEEZZNS1_33reduce_by_key_impl_wrapped_configILNS1_25lookback_scan_determinismE0ES3_S9_PfNS6_17constant_iteratorIiNS6_11use_defaultESE_EENS6_10device_ptrIfEENSG_IlEEPmS8_NS6_8equal_toIfEEEE10hipError_tPvRmT2_T3_mT4_T5_T6_T7_T8_P12ihipStream_tbENKUlT_T0_E_clISt17integral_constantIbLb1EES12_IbLb0EEEEDaSY_SZ_EUlSY_E_NS1_11comp_targetILNS1_3genE2ELNS1_11target_archE906ELNS1_3gpuE6ELNS1_3repE0EEENS1_30default_config_static_selectorELNS0_4arch9wavefront6targetE1EEEvT1_ ; -- Begin function _ZN7rocprim17ROCPRIM_400000_NS6detail17trampoline_kernelINS0_14default_configENS1_29reduce_by_key_config_selectorIflN6thrust23THRUST_200600_302600_NS4plusIlEEEEZZNS1_33reduce_by_key_impl_wrapped_configILNS1_25lookback_scan_determinismE0ES3_S9_PfNS6_17constant_iteratorIiNS6_11use_defaultESE_EENS6_10device_ptrIfEENSG_IlEEPmS8_NS6_8equal_toIfEEEE10hipError_tPvRmT2_T3_mT4_T5_T6_T7_T8_P12ihipStream_tbENKUlT_T0_E_clISt17integral_constantIbLb1EES12_IbLb0EEEEDaSY_SZ_EUlSY_E_NS1_11comp_targetILNS1_3genE2ELNS1_11target_archE906ELNS1_3gpuE6ELNS1_3repE0EEENS1_30default_config_static_selectorELNS0_4arch9wavefront6targetE1EEEvT1_
	.globl	_ZN7rocprim17ROCPRIM_400000_NS6detail17trampoline_kernelINS0_14default_configENS1_29reduce_by_key_config_selectorIflN6thrust23THRUST_200600_302600_NS4plusIlEEEEZZNS1_33reduce_by_key_impl_wrapped_configILNS1_25lookback_scan_determinismE0ES3_S9_PfNS6_17constant_iteratorIiNS6_11use_defaultESE_EENS6_10device_ptrIfEENSG_IlEEPmS8_NS6_8equal_toIfEEEE10hipError_tPvRmT2_T3_mT4_T5_T6_T7_T8_P12ihipStream_tbENKUlT_T0_E_clISt17integral_constantIbLb1EES12_IbLb0EEEEDaSY_SZ_EUlSY_E_NS1_11comp_targetILNS1_3genE2ELNS1_11target_archE906ELNS1_3gpuE6ELNS1_3repE0EEENS1_30default_config_static_selectorELNS0_4arch9wavefront6targetE1EEEvT1_
	.p2align	8
	.type	_ZN7rocprim17ROCPRIM_400000_NS6detail17trampoline_kernelINS0_14default_configENS1_29reduce_by_key_config_selectorIflN6thrust23THRUST_200600_302600_NS4plusIlEEEEZZNS1_33reduce_by_key_impl_wrapped_configILNS1_25lookback_scan_determinismE0ES3_S9_PfNS6_17constant_iteratorIiNS6_11use_defaultESE_EENS6_10device_ptrIfEENSG_IlEEPmS8_NS6_8equal_toIfEEEE10hipError_tPvRmT2_T3_mT4_T5_T6_T7_T8_P12ihipStream_tbENKUlT_T0_E_clISt17integral_constantIbLb1EES12_IbLb0EEEEDaSY_SZ_EUlSY_E_NS1_11comp_targetILNS1_3genE2ELNS1_11target_archE906ELNS1_3gpuE6ELNS1_3repE0EEENS1_30default_config_static_selectorELNS0_4arch9wavefront6targetE1EEEvT1_,@function
_ZN7rocprim17ROCPRIM_400000_NS6detail17trampoline_kernelINS0_14default_configENS1_29reduce_by_key_config_selectorIflN6thrust23THRUST_200600_302600_NS4plusIlEEEEZZNS1_33reduce_by_key_impl_wrapped_configILNS1_25lookback_scan_determinismE0ES3_S9_PfNS6_17constant_iteratorIiNS6_11use_defaultESE_EENS6_10device_ptrIfEENSG_IlEEPmS8_NS6_8equal_toIfEEEE10hipError_tPvRmT2_T3_mT4_T5_T6_T7_T8_P12ihipStream_tbENKUlT_T0_E_clISt17integral_constantIbLb1EES12_IbLb0EEEEDaSY_SZ_EUlSY_E_NS1_11comp_targetILNS1_3genE2ELNS1_11target_archE906ELNS1_3gpuE6ELNS1_3repE0EEENS1_30default_config_static_selectorELNS0_4arch9wavefront6targetE1EEEvT1_: ; @_ZN7rocprim17ROCPRIM_400000_NS6detail17trampoline_kernelINS0_14default_configENS1_29reduce_by_key_config_selectorIflN6thrust23THRUST_200600_302600_NS4plusIlEEEEZZNS1_33reduce_by_key_impl_wrapped_configILNS1_25lookback_scan_determinismE0ES3_S9_PfNS6_17constant_iteratorIiNS6_11use_defaultESE_EENS6_10device_ptrIfEENSG_IlEEPmS8_NS6_8equal_toIfEEEE10hipError_tPvRmT2_T3_mT4_T5_T6_T7_T8_P12ihipStream_tbENKUlT_T0_E_clISt17integral_constantIbLb1EES12_IbLb0EEEEDaSY_SZ_EUlSY_E_NS1_11comp_targetILNS1_3genE2ELNS1_11target_archE906ELNS1_3gpuE6ELNS1_3repE0EEENS1_30default_config_static_selectorELNS0_4arch9wavefront6targetE1EEEvT1_
; %bb.0:
	s_endpgm
	.section	.rodata,"a",@progbits
	.p2align	6, 0x0
	.amdhsa_kernel _ZN7rocprim17ROCPRIM_400000_NS6detail17trampoline_kernelINS0_14default_configENS1_29reduce_by_key_config_selectorIflN6thrust23THRUST_200600_302600_NS4plusIlEEEEZZNS1_33reduce_by_key_impl_wrapped_configILNS1_25lookback_scan_determinismE0ES3_S9_PfNS6_17constant_iteratorIiNS6_11use_defaultESE_EENS6_10device_ptrIfEENSG_IlEEPmS8_NS6_8equal_toIfEEEE10hipError_tPvRmT2_T3_mT4_T5_T6_T7_T8_P12ihipStream_tbENKUlT_T0_E_clISt17integral_constantIbLb1EES12_IbLb0EEEEDaSY_SZ_EUlSY_E_NS1_11comp_targetILNS1_3genE2ELNS1_11target_archE906ELNS1_3gpuE6ELNS1_3repE0EEENS1_30default_config_static_selectorELNS0_4arch9wavefront6targetE1EEEvT1_
		.amdhsa_group_segment_fixed_size 0
		.amdhsa_private_segment_fixed_size 0
		.amdhsa_kernarg_size 144
		.amdhsa_user_sgpr_count 6
		.amdhsa_user_sgpr_private_segment_buffer 1
		.amdhsa_user_sgpr_dispatch_ptr 0
		.amdhsa_user_sgpr_queue_ptr 0
		.amdhsa_user_sgpr_kernarg_segment_ptr 1
		.amdhsa_user_sgpr_dispatch_id 0
		.amdhsa_user_sgpr_flat_scratch_init 0
		.amdhsa_user_sgpr_private_segment_size 0
		.amdhsa_uses_dynamic_stack 0
		.amdhsa_system_sgpr_private_segment_wavefront_offset 0
		.amdhsa_system_sgpr_workgroup_id_x 1
		.amdhsa_system_sgpr_workgroup_id_y 0
		.amdhsa_system_sgpr_workgroup_id_z 0
		.amdhsa_system_sgpr_workgroup_info 0
		.amdhsa_system_vgpr_workitem_id 0
		.amdhsa_next_free_vgpr 1
		.amdhsa_next_free_sgpr 0
		.amdhsa_reserve_vcc 0
		.amdhsa_reserve_flat_scratch 0
		.amdhsa_float_round_mode_32 0
		.amdhsa_float_round_mode_16_64 0
		.amdhsa_float_denorm_mode_32 3
		.amdhsa_float_denorm_mode_16_64 3
		.amdhsa_dx10_clamp 1
		.amdhsa_ieee_mode 1
		.amdhsa_fp16_overflow 0
		.amdhsa_exception_fp_ieee_invalid_op 0
		.amdhsa_exception_fp_denorm_src 0
		.amdhsa_exception_fp_ieee_div_zero 0
		.amdhsa_exception_fp_ieee_overflow 0
		.amdhsa_exception_fp_ieee_underflow 0
		.amdhsa_exception_fp_ieee_inexact 0
		.amdhsa_exception_int_div_zero 0
	.end_amdhsa_kernel
	.section	.text._ZN7rocprim17ROCPRIM_400000_NS6detail17trampoline_kernelINS0_14default_configENS1_29reduce_by_key_config_selectorIflN6thrust23THRUST_200600_302600_NS4plusIlEEEEZZNS1_33reduce_by_key_impl_wrapped_configILNS1_25lookback_scan_determinismE0ES3_S9_PfNS6_17constant_iteratorIiNS6_11use_defaultESE_EENS6_10device_ptrIfEENSG_IlEEPmS8_NS6_8equal_toIfEEEE10hipError_tPvRmT2_T3_mT4_T5_T6_T7_T8_P12ihipStream_tbENKUlT_T0_E_clISt17integral_constantIbLb1EES12_IbLb0EEEEDaSY_SZ_EUlSY_E_NS1_11comp_targetILNS1_3genE2ELNS1_11target_archE906ELNS1_3gpuE6ELNS1_3repE0EEENS1_30default_config_static_selectorELNS0_4arch9wavefront6targetE1EEEvT1_,"axG",@progbits,_ZN7rocprim17ROCPRIM_400000_NS6detail17trampoline_kernelINS0_14default_configENS1_29reduce_by_key_config_selectorIflN6thrust23THRUST_200600_302600_NS4plusIlEEEEZZNS1_33reduce_by_key_impl_wrapped_configILNS1_25lookback_scan_determinismE0ES3_S9_PfNS6_17constant_iteratorIiNS6_11use_defaultESE_EENS6_10device_ptrIfEENSG_IlEEPmS8_NS6_8equal_toIfEEEE10hipError_tPvRmT2_T3_mT4_T5_T6_T7_T8_P12ihipStream_tbENKUlT_T0_E_clISt17integral_constantIbLb1EES12_IbLb0EEEEDaSY_SZ_EUlSY_E_NS1_11comp_targetILNS1_3genE2ELNS1_11target_archE906ELNS1_3gpuE6ELNS1_3repE0EEENS1_30default_config_static_selectorELNS0_4arch9wavefront6targetE1EEEvT1_,comdat
.Lfunc_end1928:
	.size	_ZN7rocprim17ROCPRIM_400000_NS6detail17trampoline_kernelINS0_14default_configENS1_29reduce_by_key_config_selectorIflN6thrust23THRUST_200600_302600_NS4plusIlEEEEZZNS1_33reduce_by_key_impl_wrapped_configILNS1_25lookback_scan_determinismE0ES3_S9_PfNS6_17constant_iteratorIiNS6_11use_defaultESE_EENS6_10device_ptrIfEENSG_IlEEPmS8_NS6_8equal_toIfEEEE10hipError_tPvRmT2_T3_mT4_T5_T6_T7_T8_P12ihipStream_tbENKUlT_T0_E_clISt17integral_constantIbLb1EES12_IbLb0EEEEDaSY_SZ_EUlSY_E_NS1_11comp_targetILNS1_3genE2ELNS1_11target_archE906ELNS1_3gpuE6ELNS1_3repE0EEENS1_30default_config_static_selectorELNS0_4arch9wavefront6targetE1EEEvT1_, .Lfunc_end1928-_ZN7rocprim17ROCPRIM_400000_NS6detail17trampoline_kernelINS0_14default_configENS1_29reduce_by_key_config_selectorIflN6thrust23THRUST_200600_302600_NS4plusIlEEEEZZNS1_33reduce_by_key_impl_wrapped_configILNS1_25lookback_scan_determinismE0ES3_S9_PfNS6_17constant_iteratorIiNS6_11use_defaultESE_EENS6_10device_ptrIfEENSG_IlEEPmS8_NS6_8equal_toIfEEEE10hipError_tPvRmT2_T3_mT4_T5_T6_T7_T8_P12ihipStream_tbENKUlT_T0_E_clISt17integral_constantIbLb1EES12_IbLb0EEEEDaSY_SZ_EUlSY_E_NS1_11comp_targetILNS1_3genE2ELNS1_11target_archE906ELNS1_3gpuE6ELNS1_3repE0EEENS1_30default_config_static_selectorELNS0_4arch9wavefront6targetE1EEEvT1_
                                        ; -- End function
	.set _ZN7rocprim17ROCPRIM_400000_NS6detail17trampoline_kernelINS0_14default_configENS1_29reduce_by_key_config_selectorIflN6thrust23THRUST_200600_302600_NS4plusIlEEEEZZNS1_33reduce_by_key_impl_wrapped_configILNS1_25lookback_scan_determinismE0ES3_S9_PfNS6_17constant_iteratorIiNS6_11use_defaultESE_EENS6_10device_ptrIfEENSG_IlEEPmS8_NS6_8equal_toIfEEEE10hipError_tPvRmT2_T3_mT4_T5_T6_T7_T8_P12ihipStream_tbENKUlT_T0_E_clISt17integral_constantIbLb1EES12_IbLb0EEEEDaSY_SZ_EUlSY_E_NS1_11comp_targetILNS1_3genE2ELNS1_11target_archE906ELNS1_3gpuE6ELNS1_3repE0EEENS1_30default_config_static_selectorELNS0_4arch9wavefront6targetE1EEEvT1_.num_vgpr, 0
	.set _ZN7rocprim17ROCPRIM_400000_NS6detail17trampoline_kernelINS0_14default_configENS1_29reduce_by_key_config_selectorIflN6thrust23THRUST_200600_302600_NS4plusIlEEEEZZNS1_33reduce_by_key_impl_wrapped_configILNS1_25lookback_scan_determinismE0ES3_S9_PfNS6_17constant_iteratorIiNS6_11use_defaultESE_EENS6_10device_ptrIfEENSG_IlEEPmS8_NS6_8equal_toIfEEEE10hipError_tPvRmT2_T3_mT4_T5_T6_T7_T8_P12ihipStream_tbENKUlT_T0_E_clISt17integral_constantIbLb1EES12_IbLb0EEEEDaSY_SZ_EUlSY_E_NS1_11comp_targetILNS1_3genE2ELNS1_11target_archE906ELNS1_3gpuE6ELNS1_3repE0EEENS1_30default_config_static_selectorELNS0_4arch9wavefront6targetE1EEEvT1_.num_agpr, 0
	.set _ZN7rocprim17ROCPRIM_400000_NS6detail17trampoline_kernelINS0_14default_configENS1_29reduce_by_key_config_selectorIflN6thrust23THRUST_200600_302600_NS4plusIlEEEEZZNS1_33reduce_by_key_impl_wrapped_configILNS1_25lookback_scan_determinismE0ES3_S9_PfNS6_17constant_iteratorIiNS6_11use_defaultESE_EENS6_10device_ptrIfEENSG_IlEEPmS8_NS6_8equal_toIfEEEE10hipError_tPvRmT2_T3_mT4_T5_T6_T7_T8_P12ihipStream_tbENKUlT_T0_E_clISt17integral_constantIbLb1EES12_IbLb0EEEEDaSY_SZ_EUlSY_E_NS1_11comp_targetILNS1_3genE2ELNS1_11target_archE906ELNS1_3gpuE6ELNS1_3repE0EEENS1_30default_config_static_selectorELNS0_4arch9wavefront6targetE1EEEvT1_.numbered_sgpr, 0
	.set _ZN7rocprim17ROCPRIM_400000_NS6detail17trampoline_kernelINS0_14default_configENS1_29reduce_by_key_config_selectorIflN6thrust23THRUST_200600_302600_NS4plusIlEEEEZZNS1_33reduce_by_key_impl_wrapped_configILNS1_25lookback_scan_determinismE0ES3_S9_PfNS6_17constant_iteratorIiNS6_11use_defaultESE_EENS6_10device_ptrIfEENSG_IlEEPmS8_NS6_8equal_toIfEEEE10hipError_tPvRmT2_T3_mT4_T5_T6_T7_T8_P12ihipStream_tbENKUlT_T0_E_clISt17integral_constantIbLb1EES12_IbLb0EEEEDaSY_SZ_EUlSY_E_NS1_11comp_targetILNS1_3genE2ELNS1_11target_archE906ELNS1_3gpuE6ELNS1_3repE0EEENS1_30default_config_static_selectorELNS0_4arch9wavefront6targetE1EEEvT1_.num_named_barrier, 0
	.set _ZN7rocprim17ROCPRIM_400000_NS6detail17trampoline_kernelINS0_14default_configENS1_29reduce_by_key_config_selectorIflN6thrust23THRUST_200600_302600_NS4plusIlEEEEZZNS1_33reduce_by_key_impl_wrapped_configILNS1_25lookback_scan_determinismE0ES3_S9_PfNS6_17constant_iteratorIiNS6_11use_defaultESE_EENS6_10device_ptrIfEENSG_IlEEPmS8_NS6_8equal_toIfEEEE10hipError_tPvRmT2_T3_mT4_T5_T6_T7_T8_P12ihipStream_tbENKUlT_T0_E_clISt17integral_constantIbLb1EES12_IbLb0EEEEDaSY_SZ_EUlSY_E_NS1_11comp_targetILNS1_3genE2ELNS1_11target_archE906ELNS1_3gpuE6ELNS1_3repE0EEENS1_30default_config_static_selectorELNS0_4arch9wavefront6targetE1EEEvT1_.private_seg_size, 0
	.set _ZN7rocprim17ROCPRIM_400000_NS6detail17trampoline_kernelINS0_14default_configENS1_29reduce_by_key_config_selectorIflN6thrust23THRUST_200600_302600_NS4plusIlEEEEZZNS1_33reduce_by_key_impl_wrapped_configILNS1_25lookback_scan_determinismE0ES3_S9_PfNS6_17constant_iteratorIiNS6_11use_defaultESE_EENS6_10device_ptrIfEENSG_IlEEPmS8_NS6_8equal_toIfEEEE10hipError_tPvRmT2_T3_mT4_T5_T6_T7_T8_P12ihipStream_tbENKUlT_T0_E_clISt17integral_constantIbLb1EES12_IbLb0EEEEDaSY_SZ_EUlSY_E_NS1_11comp_targetILNS1_3genE2ELNS1_11target_archE906ELNS1_3gpuE6ELNS1_3repE0EEENS1_30default_config_static_selectorELNS0_4arch9wavefront6targetE1EEEvT1_.uses_vcc, 0
	.set _ZN7rocprim17ROCPRIM_400000_NS6detail17trampoline_kernelINS0_14default_configENS1_29reduce_by_key_config_selectorIflN6thrust23THRUST_200600_302600_NS4plusIlEEEEZZNS1_33reduce_by_key_impl_wrapped_configILNS1_25lookback_scan_determinismE0ES3_S9_PfNS6_17constant_iteratorIiNS6_11use_defaultESE_EENS6_10device_ptrIfEENSG_IlEEPmS8_NS6_8equal_toIfEEEE10hipError_tPvRmT2_T3_mT4_T5_T6_T7_T8_P12ihipStream_tbENKUlT_T0_E_clISt17integral_constantIbLb1EES12_IbLb0EEEEDaSY_SZ_EUlSY_E_NS1_11comp_targetILNS1_3genE2ELNS1_11target_archE906ELNS1_3gpuE6ELNS1_3repE0EEENS1_30default_config_static_selectorELNS0_4arch9wavefront6targetE1EEEvT1_.uses_flat_scratch, 0
	.set _ZN7rocprim17ROCPRIM_400000_NS6detail17trampoline_kernelINS0_14default_configENS1_29reduce_by_key_config_selectorIflN6thrust23THRUST_200600_302600_NS4plusIlEEEEZZNS1_33reduce_by_key_impl_wrapped_configILNS1_25lookback_scan_determinismE0ES3_S9_PfNS6_17constant_iteratorIiNS6_11use_defaultESE_EENS6_10device_ptrIfEENSG_IlEEPmS8_NS6_8equal_toIfEEEE10hipError_tPvRmT2_T3_mT4_T5_T6_T7_T8_P12ihipStream_tbENKUlT_T0_E_clISt17integral_constantIbLb1EES12_IbLb0EEEEDaSY_SZ_EUlSY_E_NS1_11comp_targetILNS1_3genE2ELNS1_11target_archE906ELNS1_3gpuE6ELNS1_3repE0EEENS1_30default_config_static_selectorELNS0_4arch9wavefront6targetE1EEEvT1_.has_dyn_sized_stack, 0
	.set _ZN7rocprim17ROCPRIM_400000_NS6detail17trampoline_kernelINS0_14default_configENS1_29reduce_by_key_config_selectorIflN6thrust23THRUST_200600_302600_NS4plusIlEEEEZZNS1_33reduce_by_key_impl_wrapped_configILNS1_25lookback_scan_determinismE0ES3_S9_PfNS6_17constant_iteratorIiNS6_11use_defaultESE_EENS6_10device_ptrIfEENSG_IlEEPmS8_NS6_8equal_toIfEEEE10hipError_tPvRmT2_T3_mT4_T5_T6_T7_T8_P12ihipStream_tbENKUlT_T0_E_clISt17integral_constantIbLb1EES12_IbLb0EEEEDaSY_SZ_EUlSY_E_NS1_11comp_targetILNS1_3genE2ELNS1_11target_archE906ELNS1_3gpuE6ELNS1_3repE0EEENS1_30default_config_static_selectorELNS0_4arch9wavefront6targetE1EEEvT1_.has_recursion, 0
	.set _ZN7rocprim17ROCPRIM_400000_NS6detail17trampoline_kernelINS0_14default_configENS1_29reduce_by_key_config_selectorIflN6thrust23THRUST_200600_302600_NS4plusIlEEEEZZNS1_33reduce_by_key_impl_wrapped_configILNS1_25lookback_scan_determinismE0ES3_S9_PfNS6_17constant_iteratorIiNS6_11use_defaultESE_EENS6_10device_ptrIfEENSG_IlEEPmS8_NS6_8equal_toIfEEEE10hipError_tPvRmT2_T3_mT4_T5_T6_T7_T8_P12ihipStream_tbENKUlT_T0_E_clISt17integral_constantIbLb1EES12_IbLb0EEEEDaSY_SZ_EUlSY_E_NS1_11comp_targetILNS1_3genE2ELNS1_11target_archE906ELNS1_3gpuE6ELNS1_3repE0EEENS1_30default_config_static_selectorELNS0_4arch9wavefront6targetE1EEEvT1_.has_indirect_call, 0
	.section	.AMDGPU.csdata,"",@progbits
; Kernel info:
; codeLenInByte = 4
; TotalNumSgprs: 4
; NumVgprs: 0
; ScratchSize: 0
; MemoryBound: 0
; FloatMode: 240
; IeeeMode: 1
; LDSByteSize: 0 bytes/workgroup (compile time only)
; SGPRBlocks: 0
; VGPRBlocks: 0
; NumSGPRsForWavesPerEU: 4
; NumVGPRsForWavesPerEU: 1
; Occupancy: 10
; WaveLimiterHint : 0
; COMPUTE_PGM_RSRC2:SCRATCH_EN: 0
; COMPUTE_PGM_RSRC2:USER_SGPR: 6
; COMPUTE_PGM_RSRC2:TRAP_HANDLER: 0
; COMPUTE_PGM_RSRC2:TGID_X_EN: 1
; COMPUTE_PGM_RSRC2:TGID_Y_EN: 0
; COMPUTE_PGM_RSRC2:TGID_Z_EN: 0
; COMPUTE_PGM_RSRC2:TIDIG_COMP_CNT: 0
	.section	.text._ZN7rocprim17ROCPRIM_400000_NS6detail17trampoline_kernelINS0_14default_configENS1_29reduce_by_key_config_selectorIflN6thrust23THRUST_200600_302600_NS4plusIlEEEEZZNS1_33reduce_by_key_impl_wrapped_configILNS1_25lookback_scan_determinismE0ES3_S9_PfNS6_17constant_iteratorIiNS6_11use_defaultESE_EENS6_10device_ptrIfEENSG_IlEEPmS8_NS6_8equal_toIfEEEE10hipError_tPvRmT2_T3_mT4_T5_T6_T7_T8_P12ihipStream_tbENKUlT_T0_E_clISt17integral_constantIbLb1EES12_IbLb0EEEEDaSY_SZ_EUlSY_E_NS1_11comp_targetILNS1_3genE10ELNS1_11target_archE1201ELNS1_3gpuE5ELNS1_3repE0EEENS1_30default_config_static_selectorELNS0_4arch9wavefront6targetE1EEEvT1_,"axG",@progbits,_ZN7rocprim17ROCPRIM_400000_NS6detail17trampoline_kernelINS0_14default_configENS1_29reduce_by_key_config_selectorIflN6thrust23THRUST_200600_302600_NS4plusIlEEEEZZNS1_33reduce_by_key_impl_wrapped_configILNS1_25lookback_scan_determinismE0ES3_S9_PfNS6_17constant_iteratorIiNS6_11use_defaultESE_EENS6_10device_ptrIfEENSG_IlEEPmS8_NS6_8equal_toIfEEEE10hipError_tPvRmT2_T3_mT4_T5_T6_T7_T8_P12ihipStream_tbENKUlT_T0_E_clISt17integral_constantIbLb1EES12_IbLb0EEEEDaSY_SZ_EUlSY_E_NS1_11comp_targetILNS1_3genE10ELNS1_11target_archE1201ELNS1_3gpuE5ELNS1_3repE0EEENS1_30default_config_static_selectorELNS0_4arch9wavefront6targetE1EEEvT1_,comdat
	.protected	_ZN7rocprim17ROCPRIM_400000_NS6detail17trampoline_kernelINS0_14default_configENS1_29reduce_by_key_config_selectorIflN6thrust23THRUST_200600_302600_NS4plusIlEEEEZZNS1_33reduce_by_key_impl_wrapped_configILNS1_25lookback_scan_determinismE0ES3_S9_PfNS6_17constant_iteratorIiNS6_11use_defaultESE_EENS6_10device_ptrIfEENSG_IlEEPmS8_NS6_8equal_toIfEEEE10hipError_tPvRmT2_T3_mT4_T5_T6_T7_T8_P12ihipStream_tbENKUlT_T0_E_clISt17integral_constantIbLb1EES12_IbLb0EEEEDaSY_SZ_EUlSY_E_NS1_11comp_targetILNS1_3genE10ELNS1_11target_archE1201ELNS1_3gpuE5ELNS1_3repE0EEENS1_30default_config_static_selectorELNS0_4arch9wavefront6targetE1EEEvT1_ ; -- Begin function _ZN7rocprim17ROCPRIM_400000_NS6detail17trampoline_kernelINS0_14default_configENS1_29reduce_by_key_config_selectorIflN6thrust23THRUST_200600_302600_NS4plusIlEEEEZZNS1_33reduce_by_key_impl_wrapped_configILNS1_25lookback_scan_determinismE0ES3_S9_PfNS6_17constant_iteratorIiNS6_11use_defaultESE_EENS6_10device_ptrIfEENSG_IlEEPmS8_NS6_8equal_toIfEEEE10hipError_tPvRmT2_T3_mT4_T5_T6_T7_T8_P12ihipStream_tbENKUlT_T0_E_clISt17integral_constantIbLb1EES12_IbLb0EEEEDaSY_SZ_EUlSY_E_NS1_11comp_targetILNS1_3genE10ELNS1_11target_archE1201ELNS1_3gpuE5ELNS1_3repE0EEENS1_30default_config_static_selectorELNS0_4arch9wavefront6targetE1EEEvT1_
	.globl	_ZN7rocprim17ROCPRIM_400000_NS6detail17trampoline_kernelINS0_14default_configENS1_29reduce_by_key_config_selectorIflN6thrust23THRUST_200600_302600_NS4plusIlEEEEZZNS1_33reduce_by_key_impl_wrapped_configILNS1_25lookback_scan_determinismE0ES3_S9_PfNS6_17constant_iteratorIiNS6_11use_defaultESE_EENS6_10device_ptrIfEENSG_IlEEPmS8_NS6_8equal_toIfEEEE10hipError_tPvRmT2_T3_mT4_T5_T6_T7_T8_P12ihipStream_tbENKUlT_T0_E_clISt17integral_constantIbLb1EES12_IbLb0EEEEDaSY_SZ_EUlSY_E_NS1_11comp_targetILNS1_3genE10ELNS1_11target_archE1201ELNS1_3gpuE5ELNS1_3repE0EEENS1_30default_config_static_selectorELNS0_4arch9wavefront6targetE1EEEvT1_
	.p2align	8
	.type	_ZN7rocprim17ROCPRIM_400000_NS6detail17trampoline_kernelINS0_14default_configENS1_29reduce_by_key_config_selectorIflN6thrust23THRUST_200600_302600_NS4plusIlEEEEZZNS1_33reduce_by_key_impl_wrapped_configILNS1_25lookback_scan_determinismE0ES3_S9_PfNS6_17constant_iteratorIiNS6_11use_defaultESE_EENS6_10device_ptrIfEENSG_IlEEPmS8_NS6_8equal_toIfEEEE10hipError_tPvRmT2_T3_mT4_T5_T6_T7_T8_P12ihipStream_tbENKUlT_T0_E_clISt17integral_constantIbLb1EES12_IbLb0EEEEDaSY_SZ_EUlSY_E_NS1_11comp_targetILNS1_3genE10ELNS1_11target_archE1201ELNS1_3gpuE5ELNS1_3repE0EEENS1_30default_config_static_selectorELNS0_4arch9wavefront6targetE1EEEvT1_,@function
_ZN7rocprim17ROCPRIM_400000_NS6detail17trampoline_kernelINS0_14default_configENS1_29reduce_by_key_config_selectorIflN6thrust23THRUST_200600_302600_NS4plusIlEEEEZZNS1_33reduce_by_key_impl_wrapped_configILNS1_25lookback_scan_determinismE0ES3_S9_PfNS6_17constant_iteratorIiNS6_11use_defaultESE_EENS6_10device_ptrIfEENSG_IlEEPmS8_NS6_8equal_toIfEEEE10hipError_tPvRmT2_T3_mT4_T5_T6_T7_T8_P12ihipStream_tbENKUlT_T0_E_clISt17integral_constantIbLb1EES12_IbLb0EEEEDaSY_SZ_EUlSY_E_NS1_11comp_targetILNS1_3genE10ELNS1_11target_archE1201ELNS1_3gpuE5ELNS1_3repE0EEENS1_30default_config_static_selectorELNS0_4arch9wavefront6targetE1EEEvT1_: ; @_ZN7rocprim17ROCPRIM_400000_NS6detail17trampoline_kernelINS0_14default_configENS1_29reduce_by_key_config_selectorIflN6thrust23THRUST_200600_302600_NS4plusIlEEEEZZNS1_33reduce_by_key_impl_wrapped_configILNS1_25lookback_scan_determinismE0ES3_S9_PfNS6_17constant_iteratorIiNS6_11use_defaultESE_EENS6_10device_ptrIfEENSG_IlEEPmS8_NS6_8equal_toIfEEEE10hipError_tPvRmT2_T3_mT4_T5_T6_T7_T8_P12ihipStream_tbENKUlT_T0_E_clISt17integral_constantIbLb1EES12_IbLb0EEEEDaSY_SZ_EUlSY_E_NS1_11comp_targetILNS1_3genE10ELNS1_11target_archE1201ELNS1_3gpuE5ELNS1_3repE0EEENS1_30default_config_static_selectorELNS0_4arch9wavefront6targetE1EEEvT1_
; %bb.0:
	.section	.rodata,"a",@progbits
	.p2align	6, 0x0
	.amdhsa_kernel _ZN7rocprim17ROCPRIM_400000_NS6detail17trampoline_kernelINS0_14default_configENS1_29reduce_by_key_config_selectorIflN6thrust23THRUST_200600_302600_NS4plusIlEEEEZZNS1_33reduce_by_key_impl_wrapped_configILNS1_25lookback_scan_determinismE0ES3_S9_PfNS6_17constant_iteratorIiNS6_11use_defaultESE_EENS6_10device_ptrIfEENSG_IlEEPmS8_NS6_8equal_toIfEEEE10hipError_tPvRmT2_T3_mT4_T5_T6_T7_T8_P12ihipStream_tbENKUlT_T0_E_clISt17integral_constantIbLb1EES12_IbLb0EEEEDaSY_SZ_EUlSY_E_NS1_11comp_targetILNS1_3genE10ELNS1_11target_archE1201ELNS1_3gpuE5ELNS1_3repE0EEENS1_30default_config_static_selectorELNS0_4arch9wavefront6targetE1EEEvT1_
		.amdhsa_group_segment_fixed_size 0
		.amdhsa_private_segment_fixed_size 0
		.amdhsa_kernarg_size 144
		.amdhsa_user_sgpr_count 6
		.amdhsa_user_sgpr_private_segment_buffer 1
		.amdhsa_user_sgpr_dispatch_ptr 0
		.amdhsa_user_sgpr_queue_ptr 0
		.amdhsa_user_sgpr_kernarg_segment_ptr 1
		.amdhsa_user_sgpr_dispatch_id 0
		.amdhsa_user_sgpr_flat_scratch_init 0
		.amdhsa_user_sgpr_private_segment_size 0
		.amdhsa_uses_dynamic_stack 0
		.amdhsa_system_sgpr_private_segment_wavefront_offset 0
		.amdhsa_system_sgpr_workgroup_id_x 1
		.amdhsa_system_sgpr_workgroup_id_y 0
		.amdhsa_system_sgpr_workgroup_id_z 0
		.amdhsa_system_sgpr_workgroup_info 0
		.amdhsa_system_vgpr_workitem_id 0
		.amdhsa_next_free_vgpr 1
		.amdhsa_next_free_sgpr 0
		.amdhsa_reserve_vcc 0
		.amdhsa_reserve_flat_scratch 0
		.amdhsa_float_round_mode_32 0
		.amdhsa_float_round_mode_16_64 0
		.amdhsa_float_denorm_mode_32 3
		.amdhsa_float_denorm_mode_16_64 3
		.amdhsa_dx10_clamp 1
		.amdhsa_ieee_mode 1
		.amdhsa_fp16_overflow 0
		.amdhsa_exception_fp_ieee_invalid_op 0
		.amdhsa_exception_fp_denorm_src 0
		.amdhsa_exception_fp_ieee_div_zero 0
		.amdhsa_exception_fp_ieee_overflow 0
		.amdhsa_exception_fp_ieee_underflow 0
		.amdhsa_exception_fp_ieee_inexact 0
		.amdhsa_exception_int_div_zero 0
	.end_amdhsa_kernel
	.section	.text._ZN7rocprim17ROCPRIM_400000_NS6detail17trampoline_kernelINS0_14default_configENS1_29reduce_by_key_config_selectorIflN6thrust23THRUST_200600_302600_NS4plusIlEEEEZZNS1_33reduce_by_key_impl_wrapped_configILNS1_25lookback_scan_determinismE0ES3_S9_PfNS6_17constant_iteratorIiNS6_11use_defaultESE_EENS6_10device_ptrIfEENSG_IlEEPmS8_NS6_8equal_toIfEEEE10hipError_tPvRmT2_T3_mT4_T5_T6_T7_T8_P12ihipStream_tbENKUlT_T0_E_clISt17integral_constantIbLb1EES12_IbLb0EEEEDaSY_SZ_EUlSY_E_NS1_11comp_targetILNS1_3genE10ELNS1_11target_archE1201ELNS1_3gpuE5ELNS1_3repE0EEENS1_30default_config_static_selectorELNS0_4arch9wavefront6targetE1EEEvT1_,"axG",@progbits,_ZN7rocprim17ROCPRIM_400000_NS6detail17trampoline_kernelINS0_14default_configENS1_29reduce_by_key_config_selectorIflN6thrust23THRUST_200600_302600_NS4plusIlEEEEZZNS1_33reduce_by_key_impl_wrapped_configILNS1_25lookback_scan_determinismE0ES3_S9_PfNS6_17constant_iteratorIiNS6_11use_defaultESE_EENS6_10device_ptrIfEENSG_IlEEPmS8_NS6_8equal_toIfEEEE10hipError_tPvRmT2_T3_mT4_T5_T6_T7_T8_P12ihipStream_tbENKUlT_T0_E_clISt17integral_constantIbLb1EES12_IbLb0EEEEDaSY_SZ_EUlSY_E_NS1_11comp_targetILNS1_3genE10ELNS1_11target_archE1201ELNS1_3gpuE5ELNS1_3repE0EEENS1_30default_config_static_selectorELNS0_4arch9wavefront6targetE1EEEvT1_,comdat
.Lfunc_end1929:
	.size	_ZN7rocprim17ROCPRIM_400000_NS6detail17trampoline_kernelINS0_14default_configENS1_29reduce_by_key_config_selectorIflN6thrust23THRUST_200600_302600_NS4plusIlEEEEZZNS1_33reduce_by_key_impl_wrapped_configILNS1_25lookback_scan_determinismE0ES3_S9_PfNS6_17constant_iteratorIiNS6_11use_defaultESE_EENS6_10device_ptrIfEENSG_IlEEPmS8_NS6_8equal_toIfEEEE10hipError_tPvRmT2_T3_mT4_T5_T6_T7_T8_P12ihipStream_tbENKUlT_T0_E_clISt17integral_constantIbLb1EES12_IbLb0EEEEDaSY_SZ_EUlSY_E_NS1_11comp_targetILNS1_3genE10ELNS1_11target_archE1201ELNS1_3gpuE5ELNS1_3repE0EEENS1_30default_config_static_selectorELNS0_4arch9wavefront6targetE1EEEvT1_, .Lfunc_end1929-_ZN7rocprim17ROCPRIM_400000_NS6detail17trampoline_kernelINS0_14default_configENS1_29reduce_by_key_config_selectorIflN6thrust23THRUST_200600_302600_NS4plusIlEEEEZZNS1_33reduce_by_key_impl_wrapped_configILNS1_25lookback_scan_determinismE0ES3_S9_PfNS6_17constant_iteratorIiNS6_11use_defaultESE_EENS6_10device_ptrIfEENSG_IlEEPmS8_NS6_8equal_toIfEEEE10hipError_tPvRmT2_T3_mT4_T5_T6_T7_T8_P12ihipStream_tbENKUlT_T0_E_clISt17integral_constantIbLb1EES12_IbLb0EEEEDaSY_SZ_EUlSY_E_NS1_11comp_targetILNS1_3genE10ELNS1_11target_archE1201ELNS1_3gpuE5ELNS1_3repE0EEENS1_30default_config_static_selectorELNS0_4arch9wavefront6targetE1EEEvT1_
                                        ; -- End function
	.set _ZN7rocprim17ROCPRIM_400000_NS6detail17trampoline_kernelINS0_14default_configENS1_29reduce_by_key_config_selectorIflN6thrust23THRUST_200600_302600_NS4plusIlEEEEZZNS1_33reduce_by_key_impl_wrapped_configILNS1_25lookback_scan_determinismE0ES3_S9_PfNS6_17constant_iteratorIiNS6_11use_defaultESE_EENS6_10device_ptrIfEENSG_IlEEPmS8_NS6_8equal_toIfEEEE10hipError_tPvRmT2_T3_mT4_T5_T6_T7_T8_P12ihipStream_tbENKUlT_T0_E_clISt17integral_constantIbLb1EES12_IbLb0EEEEDaSY_SZ_EUlSY_E_NS1_11comp_targetILNS1_3genE10ELNS1_11target_archE1201ELNS1_3gpuE5ELNS1_3repE0EEENS1_30default_config_static_selectorELNS0_4arch9wavefront6targetE1EEEvT1_.num_vgpr, 0
	.set _ZN7rocprim17ROCPRIM_400000_NS6detail17trampoline_kernelINS0_14default_configENS1_29reduce_by_key_config_selectorIflN6thrust23THRUST_200600_302600_NS4plusIlEEEEZZNS1_33reduce_by_key_impl_wrapped_configILNS1_25lookback_scan_determinismE0ES3_S9_PfNS6_17constant_iteratorIiNS6_11use_defaultESE_EENS6_10device_ptrIfEENSG_IlEEPmS8_NS6_8equal_toIfEEEE10hipError_tPvRmT2_T3_mT4_T5_T6_T7_T8_P12ihipStream_tbENKUlT_T0_E_clISt17integral_constantIbLb1EES12_IbLb0EEEEDaSY_SZ_EUlSY_E_NS1_11comp_targetILNS1_3genE10ELNS1_11target_archE1201ELNS1_3gpuE5ELNS1_3repE0EEENS1_30default_config_static_selectorELNS0_4arch9wavefront6targetE1EEEvT1_.num_agpr, 0
	.set _ZN7rocprim17ROCPRIM_400000_NS6detail17trampoline_kernelINS0_14default_configENS1_29reduce_by_key_config_selectorIflN6thrust23THRUST_200600_302600_NS4plusIlEEEEZZNS1_33reduce_by_key_impl_wrapped_configILNS1_25lookback_scan_determinismE0ES3_S9_PfNS6_17constant_iteratorIiNS6_11use_defaultESE_EENS6_10device_ptrIfEENSG_IlEEPmS8_NS6_8equal_toIfEEEE10hipError_tPvRmT2_T3_mT4_T5_T6_T7_T8_P12ihipStream_tbENKUlT_T0_E_clISt17integral_constantIbLb1EES12_IbLb0EEEEDaSY_SZ_EUlSY_E_NS1_11comp_targetILNS1_3genE10ELNS1_11target_archE1201ELNS1_3gpuE5ELNS1_3repE0EEENS1_30default_config_static_selectorELNS0_4arch9wavefront6targetE1EEEvT1_.numbered_sgpr, 0
	.set _ZN7rocprim17ROCPRIM_400000_NS6detail17trampoline_kernelINS0_14default_configENS1_29reduce_by_key_config_selectorIflN6thrust23THRUST_200600_302600_NS4plusIlEEEEZZNS1_33reduce_by_key_impl_wrapped_configILNS1_25lookback_scan_determinismE0ES3_S9_PfNS6_17constant_iteratorIiNS6_11use_defaultESE_EENS6_10device_ptrIfEENSG_IlEEPmS8_NS6_8equal_toIfEEEE10hipError_tPvRmT2_T3_mT4_T5_T6_T7_T8_P12ihipStream_tbENKUlT_T0_E_clISt17integral_constantIbLb1EES12_IbLb0EEEEDaSY_SZ_EUlSY_E_NS1_11comp_targetILNS1_3genE10ELNS1_11target_archE1201ELNS1_3gpuE5ELNS1_3repE0EEENS1_30default_config_static_selectorELNS0_4arch9wavefront6targetE1EEEvT1_.num_named_barrier, 0
	.set _ZN7rocprim17ROCPRIM_400000_NS6detail17trampoline_kernelINS0_14default_configENS1_29reduce_by_key_config_selectorIflN6thrust23THRUST_200600_302600_NS4plusIlEEEEZZNS1_33reduce_by_key_impl_wrapped_configILNS1_25lookback_scan_determinismE0ES3_S9_PfNS6_17constant_iteratorIiNS6_11use_defaultESE_EENS6_10device_ptrIfEENSG_IlEEPmS8_NS6_8equal_toIfEEEE10hipError_tPvRmT2_T3_mT4_T5_T6_T7_T8_P12ihipStream_tbENKUlT_T0_E_clISt17integral_constantIbLb1EES12_IbLb0EEEEDaSY_SZ_EUlSY_E_NS1_11comp_targetILNS1_3genE10ELNS1_11target_archE1201ELNS1_3gpuE5ELNS1_3repE0EEENS1_30default_config_static_selectorELNS0_4arch9wavefront6targetE1EEEvT1_.private_seg_size, 0
	.set _ZN7rocprim17ROCPRIM_400000_NS6detail17trampoline_kernelINS0_14default_configENS1_29reduce_by_key_config_selectorIflN6thrust23THRUST_200600_302600_NS4plusIlEEEEZZNS1_33reduce_by_key_impl_wrapped_configILNS1_25lookback_scan_determinismE0ES3_S9_PfNS6_17constant_iteratorIiNS6_11use_defaultESE_EENS6_10device_ptrIfEENSG_IlEEPmS8_NS6_8equal_toIfEEEE10hipError_tPvRmT2_T3_mT4_T5_T6_T7_T8_P12ihipStream_tbENKUlT_T0_E_clISt17integral_constantIbLb1EES12_IbLb0EEEEDaSY_SZ_EUlSY_E_NS1_11comp_targetILNS1_3genE10ELNS1_11target_archE1201ELNS1_3gpuE5ELNS1_3repE0EEENS1_30default_config_static_selectorELNS0_4arch9wavefront6targetE1EEEvT1_.uses_vcc, 0
	.set _ZN7rocprim17ROCPRIM_400000_NS6detail17trampoline_kernelINS0_14default_configENS1_29reduce_by_key_config_selectorIflN6thrust23THRUST_200600_302600_NS4plusIlEEEEZZNS1_33reduce_by_key_impl_wrapped_configILNS1_25lookback_scan_determinismE0ES3_S9_PfNS6_17constant_iteratorIiNS6_11use_defaultESE_EENS6_10device_ptrIfEENSG_IlEEPmS8_NS6_8equal_toIfEEEE10hipError_tPvRmT2_T3_mT4_T5_T6_T7_T8_P12ihipStream_tbENKUlT_T0_E_clISt17integral_constantIbLb1EES12_IbLb0EEEEDaSY_SZ_EUlSY_E_NS1_11comp_targetILNS1_3genE10ELNS1_11target_archE1201ELNS1_3gpuE5ELNS1_3repE0EEENS1_30default_config_static_selectorELNS0_4arch9wavefront6targetE1EEEvT1_.uses_flat_scratch, 0
	.set _ZN7rocprim17ROCPRIM_400000_NS6detail17trampoline_kernelINS0_14default_configENS1_29reduce_by_key_config_selectorIflN6thrust23THRUST_200600_302600_NS4plusIlEEEEZZNS1_33reduce_by_key_impl_wrapped_configILNS1_25lookback_scan_determinismE0ES3_S9_PfNS6_17constant_iteratorIiNS6_11use_defaultESE_EENS6_10device_ptrIfEENSG_IlEEPmS8_NS6_8equal_toIfEEEE10hipError_tPvRmT2_T3_mT4_T5_T6_T7_T8_P12ihipStream_tbENKUlT_T0_E_clISt17integral_constantIbLb1EES12_IbLb0EEEEDaSY_SZ_EUlSY_E_NS1_11comp_targetILNS1_3genE10ELNS1_11target_archE1201ELNS1_3gpuE5ELNS1_3repE0EEENS1_30default_config_static_selectorELNS0_4arch9wavefront6targetE1EEEvT1_.has_dyn_sized_stack, 0
	.set _ZN7rocprim17ROCPRIM_400000_NS6detail17trampoline_kernelINS0_14default_configENS1_29reduce_by_key_config_selectorIflN6thrust23THRUST_200600_302600_NS4plusIlEEEEZZNS1_33reduce_by_key_impl_wrapped_configILNS1_25lookback_scan_determinismE0ES3_S9_PfNS6_17constant_iteratorIiNS6_11use_defaultESE_EENS6_10device_ptrIfEENSG_IlEEPmS8_NS6_8equal_toIfEEEE10hipError_tPvRmT2_T3_mT4_T5_T6_T7_T8_P12ihipStream_tbENKUlT_T0_E_clISt17integral_constantIbLb1EES12_IbLb0EEEEDaSY_SZ_EUlSY_E_NS1_11comp_targetILNS1_3genE10ELNS1_11target_archE1201ELNS1_3gpuE5ELNS1_3repE0EEENS1_30default_config_static_selectorELNS0_4arch9wavefront6targetE1EEEvT1_.has_recursion, 0
	.set _ZN7rocprim17ROCPRIM_400000_NS6detail17trampoline_kernelINS0_14default_configENS1_29reduce_by_key_config_selectorIflN6thrust23THRUST_200600_302600_NS4plusIlEEEEZZNS1_33reduce_by_key_impl_wrapped_configILNS1_25lookback_scan_determinismE0ES3_S9_PfNS6_17constant_iteratorIiNS6_11use_defaultESE_EENS6_10device_ptrIfEENSG_IlEEPmS8_NS6_8equal_toIfEEEE10hipError_tPvRmT2_T3_mT4_T5_T6_T7_T8_P12ihipStream_tbENKUlT_T0_E_clISt17integral_constantIbLb1EES12_IbLb0EEEEDaSY_SZ_EUlSY_E_NS1_11comp_targetILNS1_3genE10ELNS1_11target_archE1201ELNS1_3gpuE5ELNS1_3repE0EEENS1_30default_config_static_selectorELNS0_4arch9wavefront6targetE1EEEvT1_.has_indirect_call, 0
	.section	.AMDGPU.csdata,"",@progbits
; Kernel info:
; codeLenInByte = 0
; TotalNumSgprs: 4
; NumVgprs: 0
; ScratchSize: 0
; MemoryBound: 0
; FloatMode: 240
; IeeeMode: 1
; LDSByteSize: 0 bytes/workgroup (compile time only)
; SGPRBlocks: 0
; VGPRBlocks: 0
; NumSGPRsForWavesPerEU: 4
; NumVGPRsForWavesPerEU: 1
; Occupancy: 10
; WaveLimiterHint : 0
; COMPUTE_PGM_RSRC2:SCRATCH_EN: 0
; COMPUTE_PGM_RSRC2:USER_SGPR: 6
; COMPUTE_PGM_RSRC2:TRAP_HANDLER: 0
; COMPUTE_PGM_RSRC2:TGID_X_EN: 1
; COMPUTE_PGM_RSRC2:TGID_Y_EN: 0
; COMPUTE_PGM_RSRC2:TGID_Z_EN: 0
; COMPUTE_PGM_RSRC2:TIDIG_COMP_CNT: 0
	.section	.text._ZN7rocprim17ROCPRIM_400000_NS6detail17trampoline_kernelINS0_14default_configENS1_29reduce_by_key_config_selectorIflN6thrust23THRUST_200600_302600_NS4plusIlEEEEZZNS1_33reduce_by_key_impl_wrapped_configILNS1_25lookback_scan_determinismE0ES3_S9_PfNS6_17constant_iteratorIiNS6_11use_defaultESE_EENS6_10device_ptrIfEENSG_IlEEPmS8_NS6_8equal_toIfEEEE10hipError_tPvRmT2_T3_mT4_T5_T6_T7_T8_P12ihipStream_tbENKUlT_T0_E_clISt17integral_constantIbLb1EES12_IbLb0EEEEDaSY_SZ_EUlSY_E_NS1_11comp_targetILNS1_3genE10ELNS1_11target_archE1200ELNS1_3gpuE4ELNS1_3repE0EEENS1_30default_config_static_selectorELNS0_4arch9wavefront6targetE1EEEvT1_,"axG",@progbits,_ZN7rocprim17ROCPRIM_400000_NS6detail17trampoline_kernelINS0_14default_configENS1_29reduce_by_key_config_selectorIflN6thrust23THRUST_200600_302600_NS4plusIlEEEEZZNS1_33reduce_by_key_impl_wrapped_configILNS1_25lookback_scan_determinismE0ES3_S9_PfNS6_17constant_iteratorIiNS6_11use_defaultESE_EENS6_10device_ptrIfEENSG_IlEEPmS8_NS6_8equal_toIfEEEE10hipError_tPvRmT2_T3_mT4_T5_T6_T7_T8_P12ihipStream_tbENKUlT_T0_E_clISt17integral_constantIbLb1EES12_IbLb0EEEEDaSY_SZ_EUlSY_E_NS1_11comp_targetILNS1_3genE10ELNS1_11target_archE1200ELNS1_3gpuE4ELNS1_3repE0EEENS1_30default_config_static_selectorELNS0_4arch9wavefront6targetE1EEEvT1_,comdat
	.protected	_ZN7rocprim17ROCPRIM_400000_NS6detail17trampoline_kernelINS0_14default_configENS1_29reduce_by_key_config_selectorIflN6thrust23THRUST_200600_302600_NS4plusIlEEEEZZNS1_33reduce_by_key_impl_wrapped_configILNS1_25lookback_scan_determinismE0ES3_S9_PfNS6_17constant_iteratorIiNS6_11use_defaultESE_EENS6_10device_ptrIfEENSG_IlEEPmS8_NS6_8equal_toIfEEEE10hipError_tPvRmT2_T3_mT4_T5_T6_T7_T8_P12ihipStream_tbENKUlT_T0_E_clISt17integral_constantIbLb1EES12_IbLb0EEEEDaSY_SZ_EUlSY_E_NS1_11comp_targetILNS1_3genE10ELNS1_11target_archE1200ELNS1_3gpuE4ELNS1_3repE0EEENS1_30default_config_static_selectorELNS0_4arch9wavefront6targetE1EEEvT1_ ; -- Begin function _ZN7rocprim17ROCPRIM_400000_NS6detail17trampoline_kernelINS0_14default_configENS1_29reduce_by_key_config_selectorIflN6thrust23THRUST_200600_302600_NS4plusIlEEEEZZNS1_33reduce_by_key_impl_wrapped_configILNS1_25lookback_scan_determinismE0ES3_S9_PfNS6_17constant_iteratorIiNS6_11use_defaultESE_EENS6_10device_ptrIfEENSG_IlEEPmS8_NS6_8equal_toIfEEEE10hipError_tPvRmT2_T3_mT4_T5_T6_T7_T8_P12ihipStream_tbENKUlT_T0_E_clISt17integral_constantIbLb1EES12_IbLb0EEEEDaSY_SZ_EUlSY_E_NS1_11comp_targetILNS1_3genE10ELNS1_11target_archE1200ELNS1_3gpuE4ELNS1_3repE0EEENS1_30default_config_static_selectorELNS0_4arch9wavefront6targetE1EEEvT1_
	.globl	_ZN7rocprim17ROCPRIM_400000_NS6detail17trampoline_kernelINS0_14default_configENS1_29reduce_by_key_config_selectorIflN6thrust23THRUST_200600_302600_NS4plusIlEEEEZZNS1_33reduce_by_key_impl_wrapped_configILNS1_25lookback_scan_determinismE0ES3_S9_PfNS6_17constant_iteratorIiNS6_11use_defaultESE_EENS6_10device_ptrIfEENSG_IlEEPmS8_NS6_8equal_toIfEEEE10hipError_tPvRmT2_T3_mT4_T5_T6_T7_T8_P12ihipStream_tbENKUlT_T0_E_clISt17integral_constantIbLb1EES12_IbLb0EEEEDaSY_SZ_EUlSY_E_NS1_11comp_targetILNS1_3genE10ELNS1_11target_archE1200ELNS1_3gpuE4ELNS1_3repE0EEENS1_30default_config_static_selectorELNS0_4arch9wavefront6targetE1EEEvT1_
	.p2align	8
	.type	_ZN7rocprim17ROCPRIM_400000_NS6detail17trampoline_kernelINS0_14default_configENS1_29reduce_by_key_config_selectorIflN6thrust23THRUST_200600_302600_NS4plusIlEEEEZZNS1_33reduce_by_key_impl_wrapped_configILNS1_25lookback_scan_determinismE0ES3_S9_PfNS6_17constant_iteratorIiNS6_11use_defaultESE_EENS6_10device_ptrIfEENSG_IlEEPmS8_NS6_8equal_toIfEEEE10hipError_tPvRmT2_T3_mT4_T5_T6_T7_T8_P12ihipStream_tbENKUlT_T0_E_clISt17integral_constantIbLb1EES12_IbLb0EEEEDaSY_SZ_EUlSY_E_NS1_11comp_targetILNS1_3genE10ELNS1_11target_archE1200ELNS1_3gpuE4ELNS1_3repE0EEENS1_30default_config_static_selectorELNS0_4arch9wavefront6targetE1EEEvT1_,@function
_ZN7rocprim17ROCPRIM_400000_NS6detail17trampoline_kernelINS0_14default_configENS1_29reduce_by_key_config_selectorIflN6thrust23THRUST_200600_302600_NS4plusIlEEEEZZNS1_33reduce_by_key_impl_wrapped_configILNS1_25lookback_scan_determinismE0ES3_S9_PfNS6_17constant_iteratorIiNS6_11use_defaultESE_EENS6_10device_ptrIfEENSG_IlEEPmS8_NS6_8equal_toIfEEEE10hipError_tPvRmT2_T3_mT4_T5_T6_T7_T8_P12ihipStream_tbENKUlT_T0_E_clISt17integral_constantIbLb1EES12_IbLb0EEEEDaSY_SZ_EUlSY_E_NS1_11comp_targetILNS1_3genE10ELNS1_11target_archE1200ELNS1_3gpuE4ELNS1_3repE0EEENS1_30default_config_static_selectorELNS0_4arch9wavefront6targetE1EEEvT1_: ; @_ZN7rocprim17ROCPRIM_400000_NS6detail17trampoline_kernelINS0_14default_configENS1_29reduce_by_key_config_selectorIflN6thrust23THRUST_200600_302600_NS4plusIlEEEEZZNS1_33reduce_by_key_impl_wrapped_configILNS1_25lookback_scan_determinismE0ES3_S9_PfNS6_17constant_iteratorIiNS6_11use_defaultESE_EENS6_10device_ptrIfEENSG_IlEEPmS8_NS6_8equal_toIfEEEE10hipError_tPvRmT2_T3_mT4_T5_T6_T7_T8_P12ihipStream_tbENKUlT_T0_E_clISt17integral_constantIbLb1EES12_IbLb0EEEEDaSY_SZ_EUlSY_E_NS1_11comp_targetILNS1_3genE10ELNS1_11target_archE1200ELNS1_3gpuE4ELNS1_3repE0EEENS1_30default_config_static_selectorELNS0_4arch9wavefront6targetE1EEEvT1_
; %bb.0:
	.section	.rodata,"a",@progbits
	.p2align	6, 0x0
	.amdhsa_kernel _ZN7rocprim17ROCPRIM_400000_NS6detail17trampoline_kernelINS0_14default_configENS1_29reduce_by_key_config_selectorIflN6thrust23THRUST_200600_302600_NS4plusIlEEEEZZNS1_33reduce_by_key_impl_wrapped_configILNS1_25lookback_scan_determinismE0ES3_S9_PfNS6_17constant_iteratorIiNS6_11use_defaultESE_EENS6_10device_ptrIfEENSG_IlEEPmS8_NS6_8equal_toIfEEEE10hipError_tPvRmT2_T3_mT4_T5_T6_T7_T8_P12ihipStream_tbENKUlT_T0_E_clISt17integral_constantIbLb1EES12_IbLb0EEEEDaSY_SZ_EUlSY_E_NS1_11comp_targetILNS1_3genE10ELNS1_11target_archE1200ELNS1_3gpuE4ELNS1_3repE0EEENS1_30default_config_static_selectorELNS0_4arch9wavefront6targetE1EEEvT1_
		.amdhsa_group_segment_fixed_size 0
		.amdhsa_private_segment_fixed_size 0
		.amdhsa_kernarg_size 144
		.amdhsa_user_sgpr_count 6
		.amdhsa_user_sgpr_private_segment_buffer 1
		.amdhsa_user_sgpr_dispatch_ptr 0
		.amdhsa_user_sgpr_queue_ptr 0
		.amdhsa_user_sgpr_kernarg_segment_ptr 1
		.amdhsa_user_sgpr_dispatch_id 0
		.amdhsa_user_sgpr_flat_scratch_init 0
		.amdhsa_user_sgpr_private_segment_size 0
		.amdhsa_uses_dynamic_stack 0
		.amdhsa_system_sgpr_private_segment_wavefront_offset 0
		.amdhsa_system_sgpr_workgroup_id_x 1
		.amdhsa_system_sgpr_workgroup_id_y 0
		.amdhsa_system_sgpr_workgroup_id_z 0
		.amdhsa_system_sgpr_workgroup_info 0
		.amdhsa_system_vgpr_workitem_id 0
		.amdhsa_next_free_vgpr 1
		.amdhsa_next_free_sgpr 0
		.amdhsa_reserve_vcc 0
		.amdhsa_reserve_flat_scratch 0
		.amdhsa_float_round_mode_32 0
		.amdhsa_float_round_mode_16_64 0
		.amdhsa_float_denorm_mode_32 3
		.amdhsa_float_denorm_mode_16_64 3
		.amdhsa_dx10_clamp 1
		.amdhsa_ieee_mode 1
		.amdhsa_fp16_overflow 0
		.amdhsa_exception_fp_ieee_invalid_op 0
		.amdhsa_exception_fp_denorm_src 0
		.amdhsa_exception_fp_ieee_div_zero 0
		.amdhsa_exception_fp_ieee_overflow 0
		.amdhsa_exception_fp_ieee_underflow 0
		.amdhsa_exception_fp_ieee_inexact 0
		.amdhsa_exception_int_div_zero 0
	.end_amdhsa_kernel
	.section	.text._ZN7rocprim17ROCPRIM_400000_NS6detail17trampoline_kernelINS0_14default_configENS1_29reduce_by_key_config_selectorIflN6thrust23THRUST_200600_302600_NS4plusIlEEEEZZNS1_33reduce_by_key_impl_wrapped_configILNS1_25lookback_scan_determinismE0ES3_S9_PfNS6_17constant_iteratorIiNS6_11use_defaultESE_EENS6_10device_ptrIfEENSG_IlEEPmS8_NS6_8equal_toIfEEEE10hipError_tPvRmT2_T3_mT4_T5_T6_T7_T8_P12ihipStream_tbENKUlT_T0_E_clISt17integral_constantIbLb1EES12_IbLb0EEEEDaSY_SZ_EUlSY_E_NS1_11comp_targetILNS1_3genE10ELNS1_11target_archE1200ELNS1_3gpuE4ELNS1_3repE0EEENS1_30default_config_static_selectorELNS0_4arch9wavefront6targetE1EEEvT1_,"axG",@progbits,_ZN7rocprim17ROCPRIM_400000_NS6detail17trampoline_kernelINS0_14default_configENS1_29reduce_by_key_config_selectorIflN6thrust23THRUST_200600_302600_NS4plusIlEEEEZZNS1_33reduce_by_key_impl_wrapped_configILNS1_25lookback_scan_determinismE0ES3_S9_PfNS6_17constant_iteratorIiNS6_11use_defaultESE_EENS6_10device_ptrIfEENSG_IlEEPmS8_NS6_8equal_toIfEEEE10hipError_tPvRmT2_T3_mT4_T5_T6_T7_T8_P12ihipStream_tbENKUlT_T0_E_clISt17integral_constantIbLb1EES12_IbLb0EEEEDaSY_SZ_EUlSY_E_NS1_11comp_targetILNS1_3genE10ELNS1_11target_archE1200ELNS1_3gpuE4ELNS1_3repE0EEENS1_30default_config_static_selectorELNS0_4arch9wavefront6targetE1EEEvT1_,comdat
.Lfunc_end1930:
	.size	_ZN7rocprim17ROCPRIM_400000_NS6detail17trampoline_kernelINS0_14default_configENS1_29reduce_by_key_config_selectorIflN6thrust23THRUST_200600_302600_NS4plusIlEEEEZZNS1_33reduce_by_key_impl_wrapped_configILNS1_25lookback_scan_determinismE0ES3_S9_PfNS6_17constant_iteratorIiNS6_11use_defaultESE_EENS6_10device_ptrIfEENSG_IlEEPmS8_NS6_8equal_toIfEEEE10hipError_tPvRmT2_T3_mT4_T5_T6_T7_T8_P12ihipStream_tbENKUlT_T0_E_clISt17integral_constantIbLb1EES12_IbLb0EEEEDaSY_SZ_EUlSY_E_NS1_11comp_targetILNS1_3genE10ELNS1_11target_archE1200ELNS1_3gpuE4ELNS1_3repE0EEENS1_30default_config_static_selectorELNS0_4arch9wavefront6targetE1EEEvT1_, .Lfunc_end1930-_ZN7rocprim17ROCPRIM_400000_NS6detail17trampoline_kernelINS0_14default_configENS1_29reduce_by_key_config_selectorIflN6thrust23THRUST_200600_302600_NS4plusIlEEEEZZNS1_33reduce_by_key_impl_wrapped_configILNS1_25lookback_scan_determinismE0ES3_S9_PfNS6_17constant_iteratorIiNS6_11use_defaultESE_EENS6_10device_ptrIfEENSG_IlEEPmS8_NS6_8equal_toIfEEEE10hipError_tPvRmT2_T3_mT4_T5_T6_T7_T8_P12ihipStream_tbENKUlT_T0_E_clISt17integral_constantIbLb1EES12_IbLb0EEEEDaSY_SZ_EUlSY_E_NS1_11comp_targetILNS1_3genE10ELNS1_11target_archE1200ELNS1_3gpuE4ELNS1_3repE0EEENS1_30default_config_static_selectorELNS0_4arch9wavefront6targetE1EEEvT1_
                                        ; -- End function
	.set _ZN7rocprim17ROCPRIM_400000_NS6detail17trampoline_kernelINS0_14default_configENS1_29reduce_by_key_config_selectorIflN6thrust23THRUST_200600_302600_NS4plusIlEEEEZZNS1_33reduce_by_key_impl_wrapped_configILNS1_25lookback_scan_determinismE0ES3_S9_PfNS6_17constant_iteratorIiNS6_11use_defaultESE_EENS6_10device_ptrIfEENSG_IlEEPmS8_NS6_8equal_toIfEEEE10hipError_tPvRmT2_T3_mT4_T5_T6_T7_T8_P12ihipStream_tbENKUlT_T0_E_clISt17integral_constantIbLb1EES12_IbLb0EEEEDaSY_SZ_EUlSY_E_NS1_11comp_targetILNS1_3genE10ELNS1_11target_archE1200ELNS1_3gpuE4ELNS1_3repE0EEENS1_30default_config_static_selectorELNS0_4arch9wavefront6targetE1EEEvT1_.num_vgpr, 0
	.set _ZN7rocprim17ROCPRIM_400000_NS6detail17trampoline_kernelINS0_14default_configENS1_29reduce_by_key_config_selectorIflN6thrust23THRUST_200600_302600_NS4plusIlEEEEZZNS1_33reduce_by_key_impl_wrapped_configILNS1_25lookback_scan_determinismE0ES3_S9_PfNS6_17constant_iteratorIiNS6_11use_defaultESE_EENS6_10device_ptrIfEENSG_IlEEPmS8_NS6_8equal_toIfEEEE10hipError_tPvRmT2_T3_mT4_T5_T6_T7_T8_P12ihipStream_tbENKUlT_T0_E_clISt17integral_constantIbLb1EES12_IbLb0EEEEDaSY_SZ_EUlSY_E_NS1_11comp_targetILNS1_3genE10ELNS1_11target_archE1200ELNS1_3gpuE4ELNS1_3repE0EEENS1_30default_config_static_selectorELNS0_4arch9wavefront6targetE1EEEvT1_.num_agpr, 0
	.set _ZN7rocprim17ROCPRIM_400000_NS6detail17trampoline_kernelINS0_14default_configENS1_29reduce_by_key_config_selectorIflN6thrust23THRUST_200600_302600_NS4plusIlEEEEZZNS1_33reduce_by_key_impl_wrapped_configILNS1_25lookback_scan_determinismE0ES3_S9_PfNS6_17constant_iteratorIiNS6_11use_defaultESE_EENS6_10device_ptrIfEENSG_IlEEPmS8_NS6_8equal_toIfEEEE10hipError_tPvRmT2_T3_mT4_T5_T6_T7_T8_P12ihipStream_tbENKUlT_T0_E_clISt17integral_constantIbLb1EES12_IbLb0EEEEDaSY_SZ_EUlSY_E_NS1_11comp_targetILNS1_3genE10ELNS1_11target_archE1200ELNS1_3gpuE4ELNS1_3repE0EEENS1_30default_config_static_selectorELNS0_4arch9wavefront6targetE1EEEvT1_.numbered_sgpr, 0
	.set _ZN7rocprim17ROCPRIM_400000_NS6detail17trampoline_kernelINS0_14default_configENS1_29reduce_by_key_config_selectorIflN6thrust23THRUST_200600_302600_NS4plusIlEEEEZZNS1_33reduce_by_key_impl_wrapped_configILNS1_25lookback_scan_determinismE0ES3_S9_PfNS6_17constant_iteratorIiNS6_11use_defaultESE_EENS6_10device_ptrIfEENSG_IlEEPmS8_NS6_8equal_toIfEEEE10hipError_tPvRmT2_T3_mT4_T5_T6_T7_T8_P12ihipStream_tbENKUlT_T0_E_clISt17integral_constantIbLb1EES12_IbLb0EEEEDaSY_SZ_EUlSY_E_NS1_11comp_targetILNS1_3genE10ELNS1_11target_archE1200ELNS1_3gpuE4ELNS1_3repE0EEENS1_30default_config_static_selectorELNS0_4arch9wavefront6targetE1EEEvT1_.num_named_barrier, 0
	.set _ZN7rocprim17ROCPRIM_400000_NS6detail17trampoline_kernelINS0_14default_configENS1_29reduce_by_key_config_selectorIflN6thrust23THRUST_200600_302600_NS4plusIlEEEEZZNS1_33reduce_by_key_impl_wrapped_configILNS1_25lookback_scan_determinismE0ES3_S9_PfNS6_17constant_iteratorIiNS6_11use_defaultESE_EENS6_10device_ptrIfEENSG_IlEEPmS8_NS6_8equal_toIfEEEE10hipError_tPvRmT2_T3_mT4_T5_T6_T7_T8_P12ihipStream_tbENKUlT_T0_E_clISt17integral_constantIbLb1EES12_IbLb0EEEEDaSY_SZ_EUlSY_E_NS1_11comp_targetILNS1_3genE10ELNS1_11target_archE1200ELNS1_3gpuE4ELNS1_3repE0EEENS1_30default_config_static_selectorELNS0_4arch9wavefront6targetE1EEEvT1_.private_seg_size, 0
	.set _ZN7rocprim17ROCPRIM_400000_NS6detail17trampoline_kernelINS0_14default_configENS1_29reduce_by_key_config_selectorIflN6thrust23THRUST_200600_302600_NS4plusIlEEEEZZNS1_33reduce_by_key_impl_wrapped_configILNS1_25lookback_scan_determinismE0ES3_S9_PfNS6_17constant_iteratorIiNS6_11use_defaultESE_EENS6_10device_ptrIfEENSG_IlEEPmS8_NS6_8equal_toIfEEEE10hipError_tPvRmT2_T3_mT4_T5_T6_T7_T8_P12ihipStream_tbENKUlT_T0_E_clISt17integral_constantIbLb1EES12_IbLb0EEEEDaSY_SZ_EUlSY_E_NS1_11comp_targetILNS1_3genE10ELNS1_11target_archE1200ELNS1_3gpuE4ELNS1_3repE0EEENS1_30default_config_static_selectorELNS0_4arch9wavefront6targetE1EEEvT1_.uses_vcc, 0
	.set _ZN7rocprim17ROCPRIM_400000_NS6detail17trampoline_kernelINS0_14default_configENS1_29reduce_by_key_config_selectorIflN6thrust23THRUST_200600_302600_NS4plusIlEEEEZZNS1_33reduce_by_key_impl_wrapped_configILNS1_25lookback_scan_determinismE0ES3_S9_PfNS6_17constant_iteratorIiNS6_11use_defaultESE_EENS6_10device_ptrIfEENSG_IlEEPmS8_NS6_8equal_toIfEEEE10hipError_tPvRmT2_T3_mT4_T5_T6_T7_T8_P12ihipStream_tbENKUlT_T0_E_clISt17integral_constantIbLb1EES12_IbLb0EEEEDaSY_SZ_EUlSY_E_NS1_11comp_targetILNS1_3genE10ELNS1_11target_archE1200ELNS1_3gpuE4ELNS1_3repE0EEENS1_30default_config_static_selectorELNS0_4arch9wavefront6targetE1EEEvT1_.uses_flat_scratch, 0
	.set _ZN7rocprim17ROCPRIM_400000_NS6detail17trampoline_kernelINS0_14default_configENS1_29reduce_by_key_config_selectorIflN6thrust23THRUST_200600_302600_NS4plusIlEEEEZZNS1_33reduce_by_key_impl_wrapped_configILNS1_25lookback_scan_determinismE0ES3_S9_PfNS6_17constant_iteratorIiNS6_11use_defaultESE_EENS6_10device_ptrIfEENSG_IlEEPmS8_NS6_8equal_toIfEEEE10hipError_tPvRmT2_T3_mT4_T5_T6_T7_T8_P12ihipStream_tbENKUlT_T0_E_clISt17integral_constantIbLb1EES12_IbLb0EEEEDaSY_SZ_EUlSY_E_NS1_11comp_targetILNS1_3genE10ELNS1_11target_archE1200ELNS1_3gpuE4ELNS1_3repE0EEENS1_30default_config_static_selectorELNS0_4arch9wavefront6targetE1EEEvT1_.has_dyn_sized_stack, 0
	.set _ZN7rocprim17ROCPRIM_400000_NS6detail17trampoline_kernelINS0_14default_configENS1_29reduce_by_key_config_selectorIflN6thrust23THRUST_200600_302600_NS4plusIlEEEEZZNS1_33reduce_by_key_impl_wrapped_configILNS1_25lookback_scan_determinismE0ES3_S9_PfNS6_17constant_iteratorIiNS6_11use_defaultESE_EENS6_10device_ptrIfEENSG_IlEEPmS8_NS6_8equal_toIfEEEE10hipError_tPvRmT2_T3_mT4_T5_T6_T7_T8_P12ihipStream_tbENKUlT_T0_E_clISt17integral_constantIbLb1EES12_IbLb0EEEEDaSY_SZ_EUlSY_E_NS1_11comp_targetILNS1_3genE10ELNS1_11target_archE1200ELNS1_3gpuE4ELNS1_3repE0EEENS1_30default_config_static_selectorELNS0_4arch9wavefront6targetE1EEEvT1_.has_recursion, 0
	.set _ZN7rocprim17ROCPRIM_400000_NS6detail17trampoline_kernelINS0_14default_configENS1_29reduce_by_key_config_selectorIflN6thrust23THRUST_200600_302600_NS4plusIlEEEEZZNS1_33reduce_by_key_impl_wrapped_configILNS1_25lookback_scan_determinismE0ES3_S9_PfNS6_17constant_iteratorIiNS6_11use_defaultESE_EENS6_10device_ptrIfEENSG_IlEEPmS8_NS6_8equal_toIfEEEE10hipError_tPvRmT2_T3_mT4_T5_T6_T7_T8_P12ihipStream_tbENKUlT_T0_E_clISt17integral_constantIbLb1EES12_IbLb0EEEEDaSY_SZ_EUlSY_E_NS1_11comp_targetILNS1_3genE10ELNS1_11target_archE1200ELNS1_3gpuE4ELNS1_3repE0EEENS1_30default_config_static_selectorELNS0_4arch9wavefront6targetE1EEEvT1_.has_indirect_call, 0
	.section	.AMDGPU.csdata,"",@progbits
; Kernel info:
; codeLenInByte = 0
; TotalNumSgprs: 4
; NumVgprs: 0
; ScratchSize: 0
; MemoryBound: 0
; FloatMode: 240
; IeeeMode: 1
; LDSByteSize: 0 bytes/workgroup (compile time only)
; SGPRBlocks: 0
; VGPRBlocks: 0
; NumSGPRsForWavesPerEU: 4
; NumVGPRsForWavesPerEU: 1
; Occupancy: 10
; WaveLimiterHint : 0
; COMPUTE_PGM_RSRC2:SCRATCH_EN: 0
; COMPUTE_PGM_RSRC2:USER_SGPR: 6
; COMPUTE_PGM_RSRC2:TRAP_HANDLER: 0
; COMPUTE_PGM_RSRC2:TGID_X_EN: 1
; COMPUTE_PGM_RSRC2:TGID_Y_EN: 0
; COMPUTE_PGM_RSRC2:TGID_Z_EN: 0
; COMPUTE_PGM_RSRC2:TIDIG_COMP_CNT: 0
	.section	.text._ZN7rocprim17ROCPRIM_400000_NS6detail17trampoline_kernelINS0_14default_configENS1_29reduce_by_key_config_selectorIflN6thrust23THRUST_200600_302600_NS4plusIlEEEEZZNS1_33reduce_by_key_impl_wrapped_configILNS1_25lookback_scan_determinismE0ES3_S9_PfNS6_17constant_iteratorIiNS6_11use_defaultESE_EENS6_10device_ptrIfEENSG_IlEEPmS8_NS6_8equal_toIfEEEE10hipError_tPvRmT2_T3_mT4_T5_T6_T7_T8_P12ihipStream_tbENKUlT_T0_E_clISt17integral_constantIbLb1EES12_IbLb0EEEEDaSY_SZ_EUlSY_E_NS1_11comp_targetILNS1_3genE9ELNS1_11target_archE1100ELNS1_3gpuE3ELNS1_3repE0EEENS1_30default_config_static_selectorELNS0_4arch9wavefront6targetE1EEEvT1_,"axG",@progbits,_ZN7rocprim17ROCPRIM_400000_NS6detail17trampoline_kernelINS0_14default_configENS1_29reduce_by_key_config_selectorIflN6thrust23THRUST_200600_302600_NS4plusIlEEEEZZNS1_33reduce_by_key_impl_wrapped_configILNS1_25lookback_scan_determinismE0ES3_S9_PfNS6_17constant_iteratorIiNS6_11use_defaultESE_EENS6_10device_ptrIfEENSG_IlEEPmS8_NS6_8equal_toIfEEEE10hipError_tPvRmT2_T3_mT4_T5_T6_T7_T8_P12ihipStream_tbENKUlT_T0_E_clISt17integral_constantIbLb1EES12_IbLb0EEEEDaSY_SZ_EUlSY_E_NS1_11comp_targetILNS1_3genE9ELNS1_11target_archE1100ELNS1_3gpuE3ELNS1_3repE0EEENS1_30default_config_static_selectorELNS0_4arch9wavefront6targetE1EEEvT1_,comdat
	.protected	_ZN7rocprim17ROCPRIM_400000_NS6detail17trampoline_kernelINS0_14default_configENS1_29reduce_by_key_config_selectorIflN6thrust23THRUST_200600_302600_NS4plusIlEEEEZZNS1_33reduce_by_key_impl_wrapped_configILNS1_25lookback_scan_determinismE0ES3_S9_PfNS6_17constant_iteratorIiNS6_11use_defaultESE_EENS6_10device_ptrIfEENSG_IlEEPmS8_NS6_8equal_toIfEEEE10hipError_tPvRmT2_T3_mT4_T5_T6_T7_T8_P12ihipStream_tbENKUlT_T0_E_clISt17integral_constantIbLb1EES12_IbLb0EEEEDaSY_SZ_EUlSY_E_NS1_11comp_targetILNS1_3genE9ELNS1_11target_archE1100ELNS1_3gpuE3ELNS1_3repE0EEENS1_30default_config_static_selectorELNS0_4arch9wavefront6targetE1EEEvT1_ ; -- Begin function _ZN7rocprim17ROCPRIM_400000_NS6detail17trampoline_kernelINS0_14default_configENS1_29reduce_by_key_config_selectorIflN6thrust23THRUST_200600_302600_NS4plusIlEEEEZZNS1_33reduce_by_key_impl_wrapped_configILNS1_25lookback_scan_determinismE0ES3_S9_PfNS6_17constant_iteratorIiNS6_11use_defaultESE_EENS6_10device_ptrIfEENSG_IlEEPmS8_NS6_8equal_toIfEEEE10hipError_tPvRmT2_T3_mT4_T5_T6_T7_T8_P12ihipStream_tbENKUlT_T0_E_clISt17integral_constantIbLb1EES12_IbLb0EEEEDaSY_SZ_EUlSY_E_NS1_11comp_targetILNS1_3genE9ELNS1_11target_archE1100ELNS1_3gpuE3ELNS1_3repE0EEENS1_30default_config_static_selectorELNS0_4arch9wavefront6targetE1EEEvT1_
	.globl	_ZN7rocprim17ROCPRIM_400000_NS6detail17trampoline_kernelINS0_14default_configENS1_29reduce_by_key_config_selectorIflN6thrust23THRUST_200600_302600_NS4plusIlEEEEZZNS1_33reduce_by_key_impl_wrapped_configILNS1_25lookback_scan_determinismE0ES3_S9_PfNS6_17constant_iteratorIiNS6_11use_defaultESE_EENS6_10device_ptrIfEENSG_IlEEPmS8_NS6_8equal_toIfEEEE10hipError_tPvRmT2_T3_mT4_T5_T6_T7_T8_P12ihipStream_tbENKUlT_T0_E_clISt17integral_constantIbLb1EES12_IbLb0EEEEDaSY_SZ_EUlSY_E_NS1_11comp_targetILNS1_3genE9ELNS1_11target_archE1100ELNS1_3gpuE3ELNS1_3repE0EEENS1_30default_config_static_selectorELNS0_4arch9wavefront6targetE1EEEvT1_
	.p2align	8
	.type	_ZN7rocprim17ROCPRIM_400000_NS6detail17trampoline_kernelINS0_14default_configENS1_29reduce_by_key_config_selectorIflN6thrust23THRUST_200600_302600_NS4plusIlEEEEZZNS1_33reduce_by_key_impl_wrapped_configILNS1_25lookback_scan_determinismE0ES3_S9_PfNS6_17constant_iteratorIiNS6_11use_defaultESE_EENS6_10device_ptrIfEENSG_IlEEPmS8_NS6_8equal_toIfEEEE10hipError_tPvRmT2_T3_mT4_T5_T6_T7_T8_P12ihipStream_tbENKUlT_T0_E_clISt17integral_constantIbLb1EES12_IbLb0EEEEDaSY_SZ_EUlSY_E_NS1_11comp_targetILNS1_3genE9ELNS1_11target_archE1100ELNS1_3gpuE3ELNS1_3repE0EEENS1_30default_config_static_selectorELNS0_4arch9wavefront6targetE1EEEvT1_,@function
_ZN7rocprim17ROCPRIM_400000_NS6detail17trampoline_kernelINS0_14default_configENS1_29reduce_by_key_config_selectorIflN6thrust23THRUST_200600_302600_NS4plusIlEEEEZZNS1_33reduce_by_key_impl_wrapped_configILNS1_25lookback_scan_determinismE0ES3_S9_PfNS6_17constant_iteratorIiNS6_11use_defaultESE_EENS6_10device_ptrIfEENSG_IlEEPmS8_NS6_8equal_toIfEEEE10hipError_tPvRmT2_T3_mT4_T5_T6_T7_T8_P12ihipStream_tbENKUlT_T0_E_clISt17integral_constantIbLb1EES12_IbLb0EEEEDaSY_SZ_EUlSY_E_NS1_11comp_targetILNS1_3genE9ELNS1_11target_archE1100ELNS1_3gpuE3ELNS1_3repE0EEENS1_30default_config_static_selectorELNS0_4arch9wavefront6targetE1EEEvT1_: ; @_ZN7rocprim17ROCPRIM_400000_NS6detail17trampoline_kernelINS0_14default_configENS1_29reduce_by_key_config_selectorIflN6thrust23THRUST_200600_302600_NS4plusIlEEEEZZNS1_33reduce_by_key_impl_wrapped_configILNS1_25lookback_scan_determinismE0ES3_S9_PfNS6_17constant_iteratorIiNS6_11use_defaultESE_EENS6_10device_ptrIfEENSG_IlEEPmS8_NS6_8equal_toIfEEEE10hipError_tPvRmT2_T3_mT4_T5_T6_T7_T8_P12ihipStream_tbENKUlT_T0_E_clISt17integral_constantIbLb1EES12_IbLb0EEEEDaSY_SZ_EUlSY_E_NS1_11comp_targetILNS1_3genE9ELNS1_11target_archE1100ELNS1_3gpuE3ELNS1_3repE0EEENS1_30default_config_static_selectorELNS0_4arch9wavefront6targetE1EEEvT1_
; %bb.0:
	.section	.rodata,"a",@progbits
	.p2align	6, 0x0
	.amdhsa_kernel _ZN7rocprim17ROCPRIM_400000_NS6detail17trampoline_kernelINS0_14default_configENS1_29reduce_by_key_config_selectorIflN6thrust23THRUST_200600_302600_NS4plusIlEEEEZZNS1_33reduce_by_key_impl_wrapped_configILNS1_25lookback_scan_determinismE0ES3_S9_PfNS6_17constant_iteratorIiNS6_11use_defaultESE_EENS6_10device_ptrIfEENSG_IlEEPmS8_NS6_8equal_toIfEEEE10hipError_tPvRmT2_T3_mT4_T5_T6_T7_T8_P12ihipStream_tbENKUlT_T0_E_clISt17integral_constantIbLb1EES12_IbLb0EEEEDaSY_SZ_EUlSY_E_NS1_11comp_targetILNS1_3genE9ELNS1_11target_archE1100ELNS1_3gpuE3ELNS1_3repE0EEENS1_30default_config_static_selectorELNS0_4arch9wavefront6targetE1EEEvT1_
		.amdhsa_group_segment_fixed_size 0
		.amdhsa_private_segment_fixed_size 0
		.amdhsa_kernarg_size 144
		.amdhsa_user_sgpr_count 6
		.amdhsa_user_sgpr_private_segment_buffer 1
		.amdhsa_user_sgpr_dispatch_ptr 0
		.amdhsa_user_sgpr_queue_ptr 0
		.amdhsa_user_sgpr_kernarg_segment_ptr 1
		.amdhsa_user_sgpr_dispatch_id 0
		.amdhsa_user_sgpr_flat_scratch_init 0
		.amdhsa_user_sgpr_private_segment_size 0
		.amdhsa_uses_dynamic_stack 0
		.amdhsa_system_sgpr_private_segment_wavefront_offset 0
		.amdhsa_system_sgpr_workgroup_id_x 1
		.amdhsa_system_sgpr_workgroup_id_y 0
		.amdhsa_system_sgpr_workgroup_id_z 0
		.amdhsa_system_sgpr_workgroup_info 0
		.amdhsa_system_vgpr_workitem_id 0
		.amdhsa_next_free_vgpr 1
		.amdhsa_next_free_sgpr 0
		.amdhsa_reserve_vcc 0
		.amdhsa_reserve_flat_scratch 0
		.amdhsa_float_round_mode_32 0
		.amdhsa_float_round_mode_16_64 0
		.amdhsa_float_denorm_mode_32 3
		.amdhsa_float_denorm_mode_16_64 3
		.amdhsa_dx10_clamp 1
		.amdhsa_ieee_mode 1
		.amdhsa_fp16_overflow 0
		.amdhsa_exception_fp_ieee_invalid_op 0
		.amdhsa_exception_fp_denorm_src 0
		.amdhsa_exception_fp_ieee_div_zero 0
		.amdhsa_exception_fp_ieee_overflow 0
		.amdhsa_exception_fp_ieee_underflow 0
		.amdhsa_exception_fp_ieee_inexact 0
		.amdhsa_exception_int_div_zero 0
	.end_amdhsa_kernel
	.section	.text._ZN7rocprim17ROCPRIM_400000_NS6detail17trampoline_kernelINS0_14default_configENS1_29reduce_by_key_config_selectorIflN6thrust23THRUST_200600_302600_NS4plusIlEEEEZZNS1_33reduce_by_key_impl_wrapped_configILNS1_25lookback_scan_determinismE0ES3_S9_PfNS6_17constant_iteratorIiNS6_11use_defaultESE_EENS6_10device_ptrIfEENSG_IlEEPmS8_NS6_8equal_toIfEEEE10hipError_tPvRmT2_T3_mT4_T5_T6_T7_T8_P12ihipStream_tbENKUlT_T0_E_clISt17integral_constantIbLb1EES12_IbLb0EEEEDaSY_SZ_EUlSY_E_NS1_11comp_targetILNS1_3genE9ELNS1_11target_archE1100ELNS1_3gpuE3ELNS1_3repE0EEENS1_30default_config_static_selectorELNS0_4arch9wavefront6targetE1EEEvT1_,"axG",@progbits,_ZN7rocprim17ROCPRIM_400000_NS6detail17trampoline_kernelINS0_14default_configENS1_29reduce_by_key_config_selectorIflN6thrust23THRUST_200600_302600_NS4plusIlEEEEZZNS1_33reduce_by_key_impl_wrapped_configILNS1_25lookback_scan_determinismE0ES3_S9_PfNS6_17constant_iteratorIiNS6_11use_defaultESE_EENS6_10device_ptrIfEENSG_IlEEPmS8_NS6_8equal_toIfEEEE10hipError_tPvRmT2_T3_mT4_T5_T6_T7_T8_P12ihipStream_tbENKUlT_T0_E_clISt17integral_constantIbLb1EES12_IbLb0EEEEDaSY_SZ_EUlSY_E_NS1_11comp_targetILNS1_3genE9ELNS1_11target_archE1100ELNS1_3gpuE3ELNS1_3repE0EEENS1_30default_config_static_selectorELNS0_4arch9wavefront6targetE1EEEvT1_,comdat
.Lfunc_end1931:
	.size	_ZN7rocprim17ROCPRIM_400000_NS6detail17trampoline_kernelINS0_14default_configENS1_29reduce_by_key_config_selectorIflN6thrust23THRUST_200600_302600_NS4plusIlEEEEZZNS1_33reduce_by_key_impl_wrapped_configILNS1_25lookback_scan_determinismE0ES3_S9_PfNS6_17constant_iteratorIiNS6_11use_defaultESE_EENS6_10device_ptrIfEENSG_IlEEPmS8_NS6_8equal_toIfEEEE10hipError_tPvRmT2_T3_mT4_T5_T6_T7_T8_P12ihipStream_tbENKUlT_T0_E_clISt17integral_constantIbLb1EES12_IbLb0EEEEDaSY_SZ_EUlSY_E_NS1_11comp_targetILNS1_3genE9ELNS1_11target_archE1100ELNS1_3gpuE3ELNS1_3repE0EEENS1_30default_config_static_selectorELNS0_4arch9wavefront6targetE1EEEvT1_, .Lfunc_end1931-_ZN7rocprim17ROCPRIM_400000_NS6detail17trampoline_kernelINS0_14default_configENS1_29reduce_by_key_config_selectorIflN6thrust23THRUST_200600_302600_NS4plusIlEEEEZZNS1_33reduce_by_key_impl_wrapped_configILNS1_25lookback_scan_determinismE0ES3_S9_PfNS6_17constant_iteratorIiNS6_11use_defaultESE_EENS6_10device_ptrIfEENSG_IlEEPmS8_NS6_8equal_toIfEEEE10hipError_tPvRmT2_T3_mT4_T5_T6_T7_T8_P12ihipStream_tbENKUlT_T0_E_clISt17integral_constantIbLb1EES12_IbLb0EEEEDaSY_SZ_EUlSY_E_NS1_11comp_targetILNS1_3genE9ELNS1_11target_archE1100ELNS1_3gpuE3ELNS1_3repE0EEENS1_30default_config_static_selectorELNS0_4arch9wavefront6targetE1EEEvT1_
                                        ; -- End function
	.set _ZN7rocprim17ROCPRIM_400000_NS6detail17trampoline_kernelINS0_14default_configENS1_29reduce_by_key_config_selectorIflN6thrust23THRUST_200600_302600_NS4plusIlEEEEZZNS1_33reduce_by_key_impl_wrapped_configILNS1_25lookback_scan_determinismE0ES3_S9_PfNS6_17constant_iteratorIiNS6_11use_defaultESE_EENS6_10device_ptrIfEENSG_IlEEPmS8_NS6_8equal_toIfEEEE10hipError_tPvRmT2_T3_mT4_T5_T6_T7_T8_P12ihipStream_tbENKUlT_T0_E_clISt17integral_constantIbLb1EES12_IbLb0EEEEDaSY_SZ_EUlSY_E_NS1_11comp_targetILNS1_3genE9ELNS1_11target_archE1100ELNS1_3gpuE3ELNS1_3repE0EEENS1_30default_config_static_selectorELNS0_4arch9wavefront6targetE1EEEvT1_.num_vgpr, 0
	.set _ZN7rocprim17ROCPRIM_400000_NS6detail17trampoline_kernelINS0_14default_configENS1_29reduce_by_key_config_selectorIflN6thrust23THRUST_200600_302600_NS4plusIlEEEEZZNS1_33reduce_by_key_impl_wrapped_configILNS1_25lookback_scan_determinismE0ES3_S9_PfNS6_17constant_iteratorIiNS6_11use_defaultESE_EENS6_10device_ptrIfEENSG_IlEEPmS8_NS6_8equal_toIfEEEE10hipError_tPvRmT2_T3_mT4_T5_T6_T7_T8_P12ihipStream_tbENKUlT_T0_E_clISt17integral_constantIbLb1EES12_IbLb0EEEEDaSY_SZ_EUlSY_E_NS1_11comp_targetILNS1_3genE9ELNS1_11target_archE1100ELNS1_3gpuE3ELNS1_3repE0EEENS1_30default_config_static_selectorELNS0_4arch9wavefront6targetE1EEEvT1_.num_agpr, 0
	.set _ZN7rocprim17ROCPRIM_400000_NS6detail17trampoline_kernelINS0_14default_configENS1_29reduce_by_key_config_selectorIflN6thrust23THRUST_200600_302600_NS4plusIlEEEEZZNS1_33reduce_by_key_impl_wrapped_configILNS1_25lookback_scan_determinismE0ES3_S9_PfNS6_17constant_iteratorIiNS6_11use_defaultESE_EENS6_10device_ptrIfEENSG_IlEEPmS8_NS6_8equal_toIfEEEE10hipError_tPvRmT2_T3_mT4_T5_T6_T7_T8_P12ihipStream_tbENKUlT_T0_E_clISt17integral_constantIbLb1EES12_IbLb0EEEEDaSY_SZ_EUlSY_E_NS1_11comp_targetILNS1_3genE9ELNS1_11target_archE1100ELNS1_3gpuE3ELNS1_3repE0EEENS1_30default_config_static_selectorELNS0_4arch9wavefront6targetE1EEEvT1_.numbered_sgpr, 0
	.set _ZN7rocprim17ROCPRIM_400000_NS6detail17trampoline_kernelINS0_14default_configENS1_29reduce_by_key_config_selectorIflN6thrust23THRUST_200600_302600_NS4plusIlEEEEZZNS1_33reduce_by_key_impl_wrapped_configILNS1_25lookback_scan_determinismE0ES3_S9_PfNS6_17constant_iteratorIiNS6_11use_defaultESE_EENS6_10device_ptrIfEENSG_IlEEPmS8_NS6_8equal_toIfEEEE10hipError_tPvRmT2_T3_mT4_T5_T6_T7_T8_P12ihipStream_tbENKUlT_T0_E_clISt17integral_constantIbLb1EES12_IbLb0EEEEDaSY_SZ_EUlSY_E_NS1_11comp_targetILNS1_3genE9ELNS1_11target_archE1100ELNS1_3gpuE3ELNS1_3repE0EEENS1_30default_config_static_selectorELNS0_4arch9wavefront6targetE1EEEvT1_.num_named_barrier, 0
	.set _ZN7rocprim17ROCPRIM_400000_NS6detail17trampoline_kernelINS0_14default_configENS1_29reduce_by_key_config_selectorIflN6thrust23THRUST_200600_302600_NS4plusIlEEEEZZNS1_33reduce_by_key_impl_wrapped_configILNS1_25lookback_scan_determinismE0ES3_S9_PfNS6_17constant_iteratorIiNS6_11use_defaultESE_EENS6_10device_ptrIfEENSG_IlEEPmS8_NS6_8equal_toIfEEEE10hipError_tPvRmT2_T3_mT4_T5_T6_T7_T8_P12ihipStream_tbENKUlT_T0_E_clISt17integral_constantIbLb1EES12_IbLb0EEEEDaSY_SZ_EUlSY_E_NS1_11comp_targetILNS1_3genE9ELNS1_11target_archE1100ELNS1_3gpuE3ELNS1_3repE0EEENS1_30default_config_static_selectorELNS0_4arch9wavefront6targetE1EEEvT1_.private_seg_size, 0
	.set _ZN7rocprim17ROCPRIM_400000_NS6detail17trampoline_kernelINS0_14default_configENS1_29reduce_by_key_config_selectorIflN6thrust23THRUST_200600_302600_NS4plusIlEEEEZZNS1_33reduce_by_key_impl_wrapped_configILNS1_25lookback_scan_determinismE0ES3_S9_PfNS6_17constant_iteratorIiNS6_11use_defaultESE_EENS6_10device_ptrIfEENSG_IlEEPmS8_NS6_8equal_toIfEEEE10hipError_tPvRmT2_T3_mT4_T5_T6_T7_T8_P12ihipStream_tbENKUlT_T0_E_clISt17integral_constantIbLb1EES12_IbLb0EEEEDaSY_SZ_EUlSY_E_NS1_11comp_targetILNS1_3genE9ELNS1_11target_archE1100ELNS1_3gpuE3ELNS1_3repE0EEENS1_30default_config_static_selectorELNS0_4arch9wavefront6targetE1EEEvT1_.uses_vcc, 0
	.set _ZN7rocprim17ROCPRIM_400000_NS6detail17trampoline_kernelINS0_14default_configENS1_29reduce_by_key_config_selectorIflN6thrust23THRUST_200600_302600_NS4plusIlEEEEZZNS1_33reduce_by_key_impl_wrapped_configILNS1_25lookback_scan_determinismE0ES3_S9_PfNS6_17constant_iteratorIiNS6_11use_defaultESE_EENS6_10device_ptrIfEENSG_IlEEPmS8_NS6_8equal_toIfEEEE10hipError_tPvRmT2_T3_mT4_T5_T6_T7_T8_P12ihipStream_tbENKUlT_T0_E_clISt17integral_constantIbLb1EES12_IbLb0EEEEDaSY_SZ_EUlSY_E_NS1_11comp_targetILNS1_3genE9ELNS1_11target_archE1100ELNS1_3gpuE3ELNS1_3repE0EEENS1_30default_config_static_selectorELNS0_4arch9wavefront6targetE1EEEvT1_.uses_flat_scratch, 0
	.set _ZN7rocprim17ROCPRIM_400000_NS6detail17trampoline_kernelINS0_14default_configENS1_29reduce_by_key_config_selectorIflN6thrust23THRUST_200600_302600_NS4plusIlEEEEZZNS1_33reduce_by_key_impl_wrapped_configILNS1_25lookback_scan_determinismE0ES3_S9_PfNS6_17constant_iteratorIiNS6_11use_defaultESE_EENS6_10device_ptrIfEENSG_IlEEPmS8_NS6_8equal_toIfEEEE10hipError_tPvRmT2_T3_mT4_T5_T6_T7_T8_P12ihipStream_tbENKUlT_T0_E_clISt17integral_constantIbLb1EES12_IbLb0EEEEDaSY_SZ_EUlSY_E_NS1_11comp_targetILNS1_3genE9ELNS1_11target_archE1100ELNS1_3gpuE3ELNS1_3repE0EEENS1_30default_config_static_selectorELNS0_4arch9wavefront6targetE1EEEvT1_.has_dyn_sized_stack, 0
	.set _ZN7rocprim17ROCPRIM_400000_NS6detail17trampoline_kernelINS0_14default_configENS1_29reduce_by_key_config_selectorIflN6thrust23THRUST_200600_302600_NS4plusIlEEEEZZNS1_33reduce_by_key_impl_wrapped_configILNS1_25lookback_scan_determinismE0ES3_S9_PfNS6_17constant_iteratorIiNS6_11use_defaultESE_EENS6_10device_ptrIfEENSG_IlEEPmS8_NS6_8equal_toIfEEEE10hipError_tPvRmT2_T3_mT4_T5_T6_T7_T8_P12ihipStream_tbENKUlT_T0_E_clISt17integral_constantIbLb1EES12_IbLb0EEEEDaSY_SZ_EUlSY_E_NS1_11comp_targetILNS1_3genE9ELNS1_11target_archE1100ELNS1_3gpuE3ELNS1_3repE0EEENS1_30default_config_static_selectorELNS0_4arch9wavefront6targetE1EEEvT1_.has_recursion, 0
	.set _ZN7rocprim17ROCPRIM_400000_NS6detail17trampoline_kernelINS0_14default_configENS1_29reduce_by_key_config_selectorIflN6thrust23THRUST_200600_302600_NS4plusIlEEEEZZNS1_33reduce_by_key_impl_wrapped_configILNS1_25lookback_scan_determinismE0ES3_S9_PfNS6_17constant_iteratorIiNS6_11use_defaultESE_EENS6_10device_ptrIfEENSG_IlEEPmS8_NS6_8equal_toIfEEEE10hipError_tPvRmT2_T3_mT4_T5_T6_T7_T8_P12ihipStream_tbENKUlT_T0_E_clISt17integral_constantIbLb1EES12_IbLb0EEEEDaSY_SZ_EUlSY_E_NS1_11comp_targetILNS1_3genE9ELNS1_11target_archE1100ELNS1_3gpuE3ELNS1_3repE0EEENS1_30default_config_static_selectorELNS0_4arch9wavefront6targetE1EEEvT1_.has_indirect_call, 0
	.section	.AMDGPU.csdata,"",@progbits
; Kernel info:
; codeLenInByte = 0
; TotalNumSgprs: 4
; NumVgprs: 0
; ScratchSize: 0
; MemoryBound: 0
; FloatMode: 240
; IeeeMode: 1
; LDSByteSize: 0 bytes/workgroup (compile time only)
; SGPRBlocks: 0
; VGPRBlocks: 0
; NumSGPRsForWavesPerEU: 4
; NumVGPRsForWavesPerEU: 1
; Occupancy: 10
; WaveLimiterHint : 0
; COMPUTE_PGM_RSRC2:SCRATCH_EN: 0
; COMPUTE_PGM_RSRC2:USER_SGPR: 6
; COMPUTE_PGM_RSRC2:TRAP_HANDLER: 0
; COMPUTE_PGM_RSRC2:TGID_X_EN: 1
; COMPUTE_PGM_RSRC2:TGID_Y_EN: 0
; COMPUTE_PGM_RSRC2:TGID_Z_EN: 0
; COMPUTE_PGM_RSRC2:TIDIG_COMP_CNT: 0
	.section	.text._ZN7rocprim17ROCPRIM_400000_NS6detail17trampoline_kernelINS0_14default_configENS1_29reduce_by_key_config_selectorIflN6thrust23THRUST_200600_302600_NS4plusIlEEEEZZNS1_33reduce_by_key_impl_wrapped_configILNS1_25lookback_scan_determinismE0ES3_S9_PfNS6_17constant_iteratorIiNS6_11use_defaultESE_EENS6_10device_ptrIfEENSG_IlEEPmS8_NS6_8equal_toIfEEEE10hipError_tPvRmT2_T3_mT4_T5_T6_T7_T8_P12ihipStream_tbENKUlT_T0_E_clISt17integral_constantIbLb1EES12_IbLb0EEEEDaSY_SZ_EUlSY_E_NS1_11comp_targetILNS1_3genE8ELNS1_11target_archE1030ELNS1_3gpuE2ELNS1_3repE0EEENS1_30default_config_static_selectorELNS0_4arch9wavefront6targetE1EEEvT1_,"axG",@progbits,_ZN7rocprim17ROCPRIM_400000_NS6detail17trampoline_kernelINS0_14default_configENS1_29reduce_by_key_config_selectorIflN6thrust23THRUST_200600_302600_NS4plusIlEEEEZZNS1_33reduce_by_key_impl_wrapped_configILNS1_25lookback_scan_determinismE0ES3_S9_PfNS6_17constant_iteratorIiNS6_11use_defaultESE_EENS6_10device_ptrIfEENSG_IlEEPmS8_NS6_8equal_toIfEEEE10hipError_tPvRmT2_T3_mT4_T5_T6_T7_T8_P12ihipStream_tbENKUlT_T0_E_clISt17integral_constantIbLb1EES12_IbLb0EEEEDaSY_SZ_EUlSY_E_NS1_11comp_targetILNS1_3genE8ELNS1_11target_archE1030ELNS1_3gpuE2ELNS1_3repE0EEENS1_30default_config_static_selectorELNS0_4arch9wavefront6targetE1EEEvT1_,comdat
	.protected	_ZN7rocprim17ROCPRIM_400000_NS6detail17trampoline_kernelINS0_14default_configENS1_29reduce_by_key_config_selectorIflN6thrust23THRUST_200600_302600_NS4plusIlEEEEZZNS1_33reduce_by_key_impl_wrapped_configILNS1_25lookback_scan_determinismE0ES3_S9_PfNS6_17constant_iteratorIiNS6_11use_defaultESE_EENS6_10device_ptrIfEENSG_IlEEPmS8_NS6_8equal_toIfEEEE10hipError_tPvRmT2_T3_mT4_T5_T6_T7_T8_P12ihipStream_tbENKUlT_T0_E_clISt17integral_constantIbLb1EES12_IbLb0EEEEDaSY_SZ_EUlSY_E_NS1_11comp_targetILNS1_3genE8ELNS1_11target_archE1030ELNS1_3gpuE2ELNS1_3repE0EEENS1_30default_config_static_selectorELNS0_4arch9wavefront6targetE1EEEvT1_ ; -- Begin function _ZN7rocprim17ROCPRIM_400000_NS6detail17trampoline_kernelINS0_14default_configENS1_29reduce_by_key_config_selectorIflN6thrust23THRUST_200600_302600_NS4plusIlEEEEZZNS1_33reduce_by_key_impl_wrapped_configILNS1_25lookback_scan_determinismE0ES3_S9_PfNS6_17constant_iteratorIiNS6_11use_defaultESE_EENS6_10device_ptrIfEENSG_IlEEPmS8_NS6_8equal_toIfEEEE10hipError_tPvRmT2_T3_mT4_T5_T6_T7_T8_P12ihipStream_tbENKUlT_T0_E_clISt17integral_constantIbLb1EES12_IbLb0EEEEDaSY_SZ_EUlSY_E_NS1_11comp_targetILNS1_3genE8ELNS1_11target_archE1030ELNS1_3gpuE2ELNS1_3repE0EEENS1_30default_config_static_selectorELNS0_4arch9wavefront6targetE1EEEvT1_
	.globl	_ZN7rocprim17ROCPRIM_400000_NS6detail17trampoline_kernelINS0_14default_configENS1_29reduce_by_key_config_selectorIflN6thrust23THRUST_200600_302600_NS4plusIlEEEEZZNS1_33reduce_by_key_impl_wrapped_configILNS1_25lookback_scan_determinismE0ES3_S9_PfNS6_17constant_iteratorIiNS6_11use_defaultESE_EENS6_10device_ptrIfEENSG_IlEEPmS8_NS6_8equal_toIfEEEE10hipError_tPvRmT2_T3_mT4_T5_T6_T7_T8_P12ihipStream_tbENKUlT_T0_E_clISt17integral_constantIbLb1EES12_IbLb0EEEEDaSY_SZ_EUlSY_E_NS1_11comp_targetILNS1_3genE8ELNS1_11target_archE1030ELNS1_3gpuE2ELNS1_3repE0EEENS1_30default_config_static_selectorELNS0_4arch9wavefront6targetE1EEEvT1_
	.p2align	8
	.type	_ZN7rocprim17ROCPRIM_400000_NS6detail17trampoline_kernelINS0_14default_configENS1_29reduce_by_key_config_selectorIflN6thrust23THRUST_200600_302600_NS4plusIlEEEEZZNS1_33reduce_by_key_impl_wrapped_configILNS1_25lookback_scan_determinismE0ES3_S9_PfNS6_17constant_iteratorIiNS6_11use_defaultESE_EENS6_10device_ptrIfEENSG_IlEEPmS8_NS6_8equal_toIfEEEE10hipError_tPvRmT2_T3_mT4_T5_T6_T7_T8_P12ihipStream_tbENKUlT_T0_E_clISt17integral_constantIbLb1EES12_IbLb0EEEEDaSY_SZ_EUlSY_E_NS1_11comp_targetILNS1_3genE8ELNS1_11target_archE1030ELNS1_3gpuE2ELNS1_3repE0EEENS1_30default_config_static_selectorELNS0_4arch9wavefront6targetE1EEEvT1_,@function
_ZN7rocprim17ROCPRIM_400000_NS6detail17trampoline_kernelINS0_14default_configENS1_29reduce_by_key_config_selectorIflN6thrust23THRUST_200600_302600_NS4plusIlEEEEZZNS1_33reduce_by_key_impl_wrapped_configILNS1_25lookback_scan_determinismE0ES3_S9_PfNS6_17constant_iteratorIiNS6_11use_defaultESE_EENS6_10device_ptrIfEENSG_IlEEPmS8_NS6_8equal_toIfEEEE10hipError_tPvRmT2_T3_mT4_T5_T6_T7_T8_P12ihipStream_tbENKUlT_T0_E_clISt17integral_constantIbLb1EES12_IbLb0EEEEDaSY_SZ_EUlSY_E_NS1_11comp_targetILNS1_3genE8ELNS1_11target_archE1030ELNS1_3gpuE2ELNS1_3repE0EEENS1_30default_config_static_selectorELNS0_4arch9wavefront6targetE1EEEvT1_: ; @_ZN7rocprim17ROCPRIM_400000_NS6detail17trampoline_kernelINS0_14default_configENS1_29reduce_by_key_config_selectorIflN6thrust23THRUST_200600_302600_NS4plusIlEEEEZZNS1_33reduce_by_key_impl_wrapped_configILNS1_25lookback_scan_determinismE0ES3_S9_PfNS6_17constant_iteratorIiNS6_11use_defaultESE_EENS6_10device_ptrIfEENSG_IlEEPmS8_NS6_8equal_toIfEEEE10hipError_tPvRmT2_T3_mT4_T5_T6_T7_T8_P12ihipStream_tbENKUlT_T0_E_clISt17integral_constantIbLb1EES12_IbLb0EEEEDaSY_SZ_EUlSY_E_NS1_11comp_targetILNS1_3genE8ELNS1_11target_archE1030ELNS1_3gpuE2ELNS1_3repE0EEENS1_30default_config_static_selectorELNS0_4arch9wavefront6targetE1EEEvT1_
; %bb.0:
	.section	.rodata,"a",@progbits
	.p2align	6, 0x0
	.amdhsa_kernel _ZN7rocprim17ROCPRIM_400000_NS6detail17trampoline_kernelINS0_14default_configENS1_29reduce_by_key_config_selectorIflN6thrust23THRUST_200600_302600_NS4plusIlEEEEZZNS1_33reduce_by_key_impl_wrapped_configILNS1_25lookback_scan_determinismE0ES3_S9_PfNS6_17constant_iteratorIiNS6_11use_defaultESE_EENS6_10device_ptrIfEENSG_IlEEPmS8_NS6_8equal_toIfEEEE10hipError_tPvRmT2_T3_mT4_T5_T6_T7_T8_P12ihipStream_tbENKUlT_T0_E_clISt17integral_constantIbLb1EES12_IbLb0EEEEDaSY_SZ_EUlSY_E_NS1_11comp_targetILNS1_3genE8ELNS1_11target_archE1030ELNS1_3gpuE2ELNS1_3repE0EEENS1_30default_config_static_selectorELNS0_4arch9wavefront6targetE1EEEvT1_
		.amdhsa_group_segment_fixed_size 0
		.amdhsa_private_segment_fixed_size 0
		.amdhsa_kernarg_size 144
		.amdhsa_user_sgpr_count 6
		.amdhsa_user_sgpr_private_segment_buffer 1
		.amdhsa_user_sgpr_dispatch_ptr 0
		.amdhsa_user_sgpr_queue_ptr 0
		.amdhsa_user_sgpr_kernarg_segment_ptr 1
		.amdhsa_user_sgpr_dispatch_id 0
		.amdhsa_user_sgpr_flat_scratch_init 0
		.amdhsa_user_sgpr_private_segment_size 0
		.amdhsa_uses_dynamic_stack 0
		.amdhsa_system_sgpr_private_segment_wavefront_offset 0
		.amdhsa_system_sgpr_workgroup_id_x 1
		.amdhsa_system_sgpr_workgroup_id_y 0
		.amdhsa_system_sgpr_workgroup_id_z 0
		.amdhsa_system_sgpr_workgroup_info 0
		.amdhsa_system_vgpr_workitem_id 0
		.amdhsa_next_free_vgpr 1
		.amdhsa_next_free_sgpr 0
		.amdhsa_reserve_vcc 0
		.amdhsa_reserve_flat_scratch 0
		.amdhsa_float_round_mode_32 0
		.amdhsa_float_round_mode_16_64 0
		.amdhsa_float_denorm_mode_32 3
		.amdhsa_float_denorm_mode_16_64 3
		.amdhsa_dx10_clamp 1
		.amdhsa_ieee_mode 1
		.amdhsa_fp16_overflow 0
		.amdhsa_exception_fp_ieee_invalid_op 0
		.amdhsa_exception_fp_denorm_src 0
		.amdhsa_exception_fp_ieee_div_zero 0
		.amdhsa_exception_fp_ieee_overflow 0
		.amdhsa_exception_fp_ieee_underflow 0
		.amdhsa_exception_fp_ieee_inexact 0
		.amdhsa_exception_int_div_zero 0
	.end_amdhsa_kernel
	.section	.text._ZN7rocprim17ROCPRIM_400000_NS6detail17trampoline_kernelINS0_14default_configENS1_29reduce_by_key_config_selectorIflN6thrust23THRUST_200600_302600_NS4plusIlEEEEZZNS1_33reduce_by_key_impl_wrapped_configILNS1_25lookback_scan_determinismE0ES3_S9_PfNS6_17constant_iteratorIiNS6_11use_defaultESE_EENS6_10device_ptrIfEENSG_IlEEPmS8_NS6_8equal_toIfEEEE10hipError_tPvRmT2_T3_mT4_T5_T6_T7_T8_P12ihipStream_tbENKUlT_T0_E_clISt17integral_constantIbLb1EES12_IbLb0EEEEDaSY_SZ_EUlSY_E_NS1_11comp_targetILNS1_3genE8ELNS1_11target_archE1030ELNS1_3gpuE2ELNS1_3repE0EEENS1_30default_config_static_selectorELNS0_4arch9wavefront6targetE1EEEvT1_,"axG",@progbits,_ZN7rocprim17ROCPRIM_400000_NS6detail17trampoline_kernelINS0_14default_configENS1_29reduce_by_key_config_selectorIflN6thrust23THRUST_200600_302600_NS4plusIlEEEEZZNS1_33reduce_by_key_impl_wrapped_configILNS1_25lookback_scan_determinismE0ES3_S9_PfNS6_17constant_iteratorIiNS6_11use_defaultESE_EENS6_10device_ptrIfEENSG_IlEEPmS8_NS6_8equal_toIfEEEE10hipError_tPvRmT2_T3_mT4_T5_T6_T7_T8_P12ihipStream_tbENKUlT_T0_E_clISt17integral_constantIbLb1EES12_IbLb0EEEEDaSY_SZ_EUlSY_E_NS1_11comp_targetILNS1_3genE8ELNS1_11target_archE1030ELNS1_3gpuE2ELNS1_3repE0EEENS1_30default_config_static_selectorELNS0_4arch9wavefront6targetE1EEEvT1_,comdat
.Lfunc_end1932:
	.size	_ZN7rocprim17ROCPRIM_400000_NS6detail17trampoline_kernelINS0_14default_configENS1_29reduce_by_key_config_selectorIflN6thrust23THRUST_200600_302600_NS4plusIlEEEEZZNS1_33reduce_by_key_impl_wrapped_configILNS1_25lookback_scan_determinismE0ES3_S9_PfNS6_17constant_iteratorIiNS6_11use_defaultESE_EENS6_10device_ptrIfEENSG_IlEEPmS8_NS6_8equal_toIfEEEE10hipError_tPvRmT2_T3_mT4_T5_T6_T7_T8_P12ihipStream_tbENKUlT_T0_E_clISt17integral_constantIbLb1EES12_IbLb0EEEEDaSY_SZ_EUlSY_E_NS1_11comp_targetILNS1_3genE8ELNS1_11target_archE1030ELNS1_3gpuE2ELNS1_3repE0EEENS1_30default_config_static_selectorELNS0_4arch9wavefront6targetE1EEEvT1_, .Lfunc_end1932-_ZN7rocprim17ROCPRIM_400000_NS6detail17trampoline_kernelINS0_14default_configENS1_29reduce_by_key_config_selectorIflN6thrust23THRUST_200600_302600_NS4plusIlEEEEZZNS1_33reduce_by_key_impl_wrapped_configILNS1_25lookback_scan_determinismE0ES3_S9_PfNS6_17constant_iteratorIiNS6_11use_defaultESE_EENS6_10device_ptrIfEENSG_IlEEPmS8_NS6_8equal_toIfEEEE10hipError_tPvRmT2_T3_mT4_T5_T6_T7_T8_P12ihipStream_tbENKUlT_T0_E_clISt17integral_constantIbLb1EES12_IbLb0EEEEDaSY_SZ_EUlSY_E_NS1_11comp_targetILNS1_3genE8ELNS1_11target_archE1030ELNS1_3gpuE2ELNS1_3repE0EEENS1_30default_config_static_selectorELNS0_4arch9wavefront6targetE1EEEvT1_
                                        ; -- End function
	.set _ZN7rocprim17ROCPRIM_400000_NS6detail17trampoline_kernelINS0_14default_configENS1_29reduce_by_key_config_selectorIflN6thrust23THRUST_200600_302600_NS4plusIlEEEEZZNS1_33reduce_by_key_impl_wrapped_configILNS1_25lookback_scan_determinismE0ES3_S9_PfNS6_17constant_iteratorIiNS6_11use_defaultESE_EENS6_10device_ptrIfEENSG_IlEEPmS8_NS6_8equal_toIfEEEE10hipError_tPvRmT2_T3_mT4_T5_T6_T7_T8_P12ihipStream_tbENKUlT_T0_E_clISt17integral_constantIbLb1EES12_IbLb0EEEEDaSY_SZ_EUlSY_E_NS1_11comp_targetILNS1_3genE8ELNS1_11target_archE1030ELNS1_3gpuE2ELNS1_3repE0EEENS1_30default_config_static_selectorELNS0_4arch9wavefront6targetE1EEEvT1_.num_vgpr, 0
	.set _ZN7rocprim17ROCPRIM_400000_NS6detail17trampoline_kernelINS0_14default_configENS1_29reduce_by_key_config_selectorIflN6thrust23THRUST_200600_302600_NS4plusIlEEEEZZNS1_33reduce_by_key_impl_wrapped_configILNS1_25lookback_scan_determinismE0ES3_S9_PfNS6_17constant_iteratorIiNS6_11use_defaultESE_EENS6_10device_ptrIfEENSG_IlEEPmS8_NS6_8equal_toIfEEEE10hipError_tPvRmT2_T3_mT4_T5_T6_T7_T8_P12ihipStream_tbENKUlT_T0_E_clISt17integral_constantIbLb1EES12_IbLb0EEEEDaSY_SZ_EUlSY_E_NS1_11comp_targetILNS1_3genE8ELNS1_11target_archE1030ELNS1_3gpuE2ELNS1_3repE0EEENS1_30default_config_static_selectorELNS0_4arch9wavefront6targetE1EEEvT1_.num_agpr, 0
	.set _ZN7rocprim17ROCPRIM_400000_NS6detail17trampoline_kernelINS0_14default_configENS1_29reduce_by_key_config_selectorIflN6thrust23THRUST_200600_302600_NS4plusIlEEEEZZNS1_33reduce_by_key_impl_wrapped_configILNS1_25lookback_scan_determinismE0ES3_S9_PfNS6_17constant_iteratorIiNS6_11use_defaultESE_EENS6_10device_ptrIfEENSG_IlEEPmS8_NS6_8equal_toIfEEEE10hipError_tPvRmT2_T3_mT4_T5_T6_T7_T8_P12ihipStream_tbENKUlT_T0_E_clISt17integral_constantIbLb1EES12_IbLb0EEEEDaSY_SZ_EUlSY_E_NS1_11comp_targetILNS1_3genE8ELNS1_11target_archE1030ELNS1_3gpuE2ELNS1_3repE0EEENS1_30default_config_static_selectorELNS0_4arch9wavefront6targetE1EEEvT1_.numbered_sgpr, 0
	.set _ZN7rocprim17ROCPRIM_400000_NS6detail17trampoline_kernelINS0_14default_configENS1_29reduce_by_key_config_selectorIflN6thrust23THRUST_200600_302600_NS4plusIlEEEEZZNS1_33reduce_by_key_impl_wrapped_configILNS1_25lookback_scan_determinismE0ES3_S9_PfNS6_17constant_iteratorIiNS6_11use_defaultESE_EENS6_10device_ptrIfEENSG_IlEEPmS8_NS6_8equal_toIfEEEE10hipError_tPvRmT2_T3_mT4_T5_T6_T7_T8_P12ihipStream_tbENKUlT_T0_E_clISt17integral_constantIbLb1EES12_IbLb0EEEEDaSY_SZ_EUlSY_E_NS1_11comp_targetILNS1_3genE8ELNS1_11target_archE1030ELNS1_3gpuE2ELNS1_3repE0EEENS1_30default_config_static_selectorELNS0_4arch9wavefront6targetE1EEEvT1_.num_named_barrier, 0
	.set _ZN7rocprim17ROCPRIM_400000_NS6detail17trampoline_kernelINS0_14default_configENS1_29reduce_by_key_config_selectorIflN6thrust23THRUST_200600_302600_NS4plusIlEEEEZZNS1_33reduce_by_key_impl_wrapped_configILNS1_25lookback_scan_determinismE0ES3_S9_PfNS6_17constant_iteratorIiNS6_11use_defaultESE_EENS6_10device_ptrIfEENSG_IlEEPmS8_NS6_8equal_toIfEEEE10hipError_tPvRmT2_T3_mT4_T5_T6_T7_T8_P12ihipStream_tbENKUlT_T0_E_clISt17integral_constantIbLb1EES12_IbLb0EEEEDaSY_SZ_EUlSY_E_NS1_11comp_targetILNS1_3genE8ELNS1_11target_archE1030ELNS1_3gpuE2ELNS1_3repE0EEENS1_30default_config_static_selectorELNS0_4arch9wavefront6targetE1EEEvT1_.private_seg_size, 0
	.set _ZN7rocprim17ROCPRIM_400000_NS6detail17trampoline_kernelINS0_14default_configENS1_29reduce_by_key_config_selectorIflN6thrust23THRUST_200600_302600_NS4plusIlEEEEZZNS1_33reduce_by_key_impl_wrapped_configILNS1_25lookback_scan_determinismE0ES3_S9_PfNS6_17constant_iteratorIiNS6_11use_defaultESE_EENS6_10device_ptrIfEENSG_IlEEPmS8_NS6_8equal_toIfEEEE10hipError_tPvRmT2_T3_mT4_T5_T6_T7_T8_P12ihipStream_tbENKUlT_T0_E_clISt17integral_constantIbLb1EES12_IbLb0EEEEDaSY_SZ_EUlSY_E_NS1_11comp_targetILNS1_3genE8ELNS1_11target_archE1030ELNS1_3gpuE2ELNS1_3repE0EEENS1_30default_config_static_selectorELNS0_4arch9wavefront6targetE1EEEvT1_.uses_vcc, 0
	.set _ZN7rocprim17ROCPRIM_400000_NS6detail17trampoline_kernelINS0_14default_configENS1_29reduce_by_key_config_selectorIflN6thrust23THRUST_200600_302600_NS4plusIlEEEEZZNS1_33reduce_by_key_impl_wrapped_configILNS1_25lookback_scan_determinismE0ES3_S9_PfNS6_17constant_iteratorIiNS6_11use_defaultESE_EENS6_10device_ptrIfEENSG_IlEEPmS8_NS6_8equal_toIfEEEE10hipError_tPvRmT2_T3_mT4_T5_T6_T7_T8_P12ihipStream_tbENKUlT_T0_E_clISt17integral_constantIbLb1EES12_IbLb0EEEEDaSY_SZ_EUlSY_E_NS1_11comp_targetILNS1_3genE8ELNS1_11target_archE1030ELNS1_3gpuE2ELNS1_3repE0EEENS1_30default_config_static_selectorELNS0_4arch9wavefront6targetE1EEEvT1_.uses_flat_scratch, 0
	.set _ZN7rocprim17ROCPRIM_400000_NS6detail17trampoline_kernelINS0_14default_configENS1_29reduce_by_key_config_selectorIflN6thrust23THRUST_200600_302600_NS4plusIlEEEEZZNS1_33reduce_by_key_impl_wrapped_configILNS1_25lookback_scan_determinismE0ES3_S9_PfNS6_17constant_iteratorIiNS6_11use_defaultESE_EENS6_10device_ptrIfEENSG_IlEEPmS8_NS6_8equal_toIfEEEE10hipError_tPvRmT2_T3_mT4_T5_T6_T7_T8_P12ihipStream_tbENKUlT_T0_E_clISt17integral_constantIbLb1EES12_IbLb0EEEEDaSY_SZ_EUlSY_E_NS1_11comp_targetILNS1_3genE8ELNS1_11target_archE1030ELNS1_3gpuE2ELNS1_3repE0EEENS1_30default_config_static_selectorELNS0_4arch9wavefront6targetE1EEEvT1_.has_dyn_sized_stack, 0
	.set _ZN7rocprim17ROCPRIM_400000_NS6detail17trampoline_kernelINS0_14default_configENS1_29reduce_by_key_config_selectorIflN6thrust23THRUST_200600_302600_NS4plusIlEEEEZZNS1_33reduce_by_key_impl_wrapped_configILNS1_25lookback_scan_determinismE0ES3_S9_PfNS6_17constant_iteratorIiNS6_11use_defaultESE_EENS6_10device_ptrIfEENSG_IlEEPmS8_NS6_8equal_toIfEEEE10hipError_tPvRmT2_T3_mT4_T5_T6_T7_T8_P12ihipStream_tbENKUlT_T0_E_clISt17integral_constantIbLb1EES12_IbLb0EEEEDaSY_SZ_EUlSY_E_NS1_11comp_targetILNS1_3genE8ELNS1_11target_archE1030ELNS1_3gpuE2ELNS1_3repE0EEENS1_30default_config_static_selectorELNS0_4arch9wavefront6targetE1EEEvT1_.has_recursion, 0
	.set _ZN7rocprim17ROCPRIM_400000_NS6detail17trampoline_kernelINS0_14default_configENS1_29reduce_by_key_config_selectorIflN6thrust23THRUST_200600_302600_NS4plusIlEEEEZZNS1_33reduce_by_key_impl_wrapped_configILNS1_25lookback_scan_determinismE0ES3_S9_PfNS6_17constant_iteratorIiNS6_11use_defaultESE_EENS6_10device_ptrIfEENSG_IlEEPmS8_NS6_8equal_toIfEEEE10hipError_tPvRmT2_T3_mT4_T5_T6_T7_T8_P12ihipStream_tbENKUlT_T0_E_clISt17integral_constantIbLb1EES12_IbLb0EEEEDaSY_SZ_EUlSY_E_NS1_11comp_targetILNS1_3genE8ELNS1_11target_archE1030ELNS1_3gpuE2ELNS1_3repE0EEENS1_30default_config_static_selectorELNS0_4arch9wavefront6targetE1EEEvT1_.has_indirect_call, 0
	.section	.AMDGPU.csdata,"",@progbits
; Kernel info:
; codeLenInByte = 0
; TotalNumSgprs: 4
; NumVgprs: 0
; ScratchSize: 0
; MemoryBound: 0
; FloatMode: 240
; IeeeMode: 1
; LDSByteSize: 0 bytes/workgroup (compile time only)
; SGPRBlocks: 0
; VGPRBlocks: 0
; NumSGPRsForWavesPerEU: 4
; NumVGPRsForWavesPerEU: 1
; Occupancy: 10
; WaveLimiterHint : 0
; COMPUTE_PGM_RSRC2:SCRATCH_EN: 0
; COMPUTE_PGM_RSRC2:USER_SGPR: 6
; COMPUTE_PGM_RSRC2:TRAP_HANDLER: 0
; COMPUTE_PGM_RSRC2:TGID_X_EN: 1
; COMPUTE_PGM_RSRC2:TGID_Y_EN: 0
; COMPUTE_PGM_RSRC2:TGID_Z_EN: 0
; COMPUTE_PGM_RSRC2:TIDIG_COMP_CNT: 0
	.section	.text._ZN7rocprim17ROCPRIM_400000_NS6detail17trampoline_kernelINS0_14default_configENS1_29reduce_by_key_config_selectorIflN6thrust23THRUST_200600_302600_NS4plusIlEEEEZZNS1_33reduce_by_key_impl_wrapped_configILNS1_25lookback_scan_determinismE0ES3_S9_PfNS6_17constant_iteratorIiNS6_11use_defaultESE_EENS6_10device_ptrIfEENSG_IlEEPmS8_NS6_8equal_toIfEEEE10hipError_tPvRmT2_T3_mT4_T5_T6_T7_T8_P12ihipStream_tbENKUlT_T0_E_clISt17integral_constantIbLb0EES12_IbLb1EEEEDaSY_SZ_EUlSY_E_NS1_11comp_targetILNS1_3genE0ELNS1_11target_archE4294967295ELNS1_3gpuE0ELNS1_3repE0EEENS1_30default_config_static_selectorELNS0_4arch9wavefront6targetE1EEEvT1_,"axG",@progbits,_ZN7rocprim17ROCPRIM_400000_NS6detail17trampoline_kernelINS0_14default_configENS1_29reduce_by_key_config_selectorIflN6thrust23THRUST_200600_302600_NS4plusIlEEEEZZNS1_33reduce_by_key_impl_wrapped_configILNS1_25lookback_scan_determinismE0ES3_S9_PfNS6_17constant_iteratorIiNS6_11use_defaultESE_EENS6_10device_ptrIfEENSG_IlEEPmS8_NS6_8equal_toIfEEEE10hipError_tPvRmT2_T3_mT4_T5_T6_T7_T8_P12ihipStream_tbENKUlT_T0_E_clISt17integral_constantIbLb0EES12_IbLb1EEEEDaSY_SZ_EUlSY_E_NS1_11comp_targetILNS1_3genE0ELNS1_11target_archE4294967295ELNS1_3gpuE0ELNS1_3repE0EEENS1_30default_config_static_selectorELNS0_4arch9wavefront6targetE1EEEvT1_,comdat
	.protected	_ZN7rocprim17ROCPRIM_400000_NS6detail17trampoline_kernelINS0_14default_configENS1_29reduce_by_key_config_selectorIflN6thrust23THRUST_200600_302600_NS4plusIlEEEEZZNS1_33reduce_by_key_impl_wrapped_configILNS1_25lookback_scan_determinismE0ES3_S9_PfNS6_17constant_iteratorIiNS6_11use_defaultESE_EENS6_10device_ptrIfEENSG_IlEEPmS8_NS6_8equal_toIfEEEE10hipError_tPvRmT2_T3_mT4_T5_T6_T7_T8_P12ihipStream_tbENKUlT_T0_E_clISt17integral_constantIbLb0EES12_IbLb1EEEEDaSY_SZ_EUlSY_E_NS1_11comp_targetILNS1_3genE0ELNS1_11target_archE4294967295ELNS1_3gpuE0ELNS1_3repE0EEENS1_30default_config_static_selectorELNS0_4arch9wavefront6targetE1EEEvT1_ ; -- Begin function _ZN7rocprim17ROCPRIM_400000_NS6detail17trampoline_kernelINS0_14default_configENS1_29reduce_by_key_config_selectorIflN6thrust23THRUST_200600_302600_NS4plusIlEEEEZZNS1_33reduce_by_key_impl_wrapped_configILNS1_25lookback_scan_determinismE0ES3_S9_PfNS6_17constant_iteratorIiNS6_11use_defaultESE_EENS6_10device_ptrIfEENSG_IlEEPmS8_NS6_8equal_toIfEEEE10hipError_tPvRmT2_T3_mT4_T5_T6_T7_T8_P12ihipStream_tbENKUlT_T0_E_clISt17integral_constantIbLb0EES12_IbLb1EEEEDaSY_SZ_EUlSY_E_NS1_11comp_targetILNS1_3genE0ELNS1_11target_archE4294967295ELNS1_3gpuE0ELNS1_3repE0EEENS1_30default_config_static_selectorELNS0_4arch9wavefront6targetE1EEEvT1_
	.globl	_ZN7rocprim17ROCPRIM_400000_NS6detail17trampoline_kernelINS0_14default_configENS1_29reduce_by_key_config_selectorIflN6thrust23THRUST_200600_302600_NS4plusIlEEEEZZNS1_33reduce_by_key_impl_wrapped_configILNS1_25lookback_scan_determinismE0ES3_S9_PfNS6_17constant_iteratorIiNS6_11use_defaultESE_EENS6_10device_ptrIfEENSG_IlEEPmS8_NS6_8equal_toIfEEEE10hipError_tPvRmT2_T3_mT4_T5_T6_T7_T8_P12ihipStream_tbENKUlT_T0_E_clISt17integral_constantIbLb0EES12_IbLb1EEEEDaSY_SZ_EUlSY_E_NS1_11comp_targetILNS1_3genE0ELNS1_11target_archE4294967295ELNS1_3gpuE0ELNS1_3repE0EEENS1_30default_config_static_selectorELNS0_4arch9wavefront6targetE1EEEvT1_
	.p2align	8
	.type	_ZN7rocprim17ROCPRIM_400000_NS6detail17trampoline_kernelINS0_14default_configENS1_29reduce_by_key_config_selectorIflN6thrust23THRUST_200600_302600_NS4plusIlEEEEZZNS1_33reduce_by_key_impl_wrapped_configILNS1_25lookback_scan_determinismE0ES3_S9_PfNS6_17constant_iteratorIiNS6_11use_defaultESE_EENS6_10device_ptrIfEENSG_IlEEPmS8_NS6_8equal_toIfEEEE10hipError_tPvRmT2_T3_mT4_T5_T6_T7_T8_P12ihipStream_tbENKUlT_T0_E_clISt17integral_constantIbLb0EES12_IbLb1EEEEDaSY_SZ_EUlSY_E_NS1_11comp_targetILNS1_3genE0ELNS1_11target_archE4294967295ELNS1_3gpuE0ELNS1_3repE0EEENS1_30default_config_static_selectorELNS0_4arch9wavefront6targetE1EEEvT1_,@function
_ZN7rocprim17ROCPRIM_400000_NS6detail17trampoline_kernelINS0_14default_configENS1_29reduce_by_key_config_selectorIflN6thrust23THRUST_200600_302600_NS4plusIlEEEEZZNS1_33reduce_by_key_impl_wrapped_configILNS1_25lookback_scan_determinismE0ES3_S9_PfNS6_17constant_iteratorIiNS6_11use_defaultESE_EENS6_10device_ptrIfEENSG_IlEEPmS8_NS6_8equal_toIfEEEE10hipError_tPvRmT2_T3_mT4_T5_T6_T7_T8_P12ihipStream_tbENKUlT_T0_E_clISt17integral_constantIbLb0EES12_IbLb1EEEEDaSY_SZ_EUlSY_E_NS1_11comp_targetILNS1_3genE0ELNS1_11target_archE4294967295ELNS1_3gpuE0ELNS1_3repE0EEENS1_30default_config_static_selectorELNS0_4arch9wavefront6targetE1EEEvT1_: ; @_ZN7rocprim17ROCPRIM_400000_NS6detail17trampoline_kernelINS0_14default_configENS1_29reduce_by_key_config_selectorIflN6thrust23THRUST_200600_302600_NS4plusIlEEEEZZNS1_33reduce_by_key_impl_wrapped_configILNS1_25lookback_scan_determinismE0ES3_S9_PfNS6_17constant_iteratorIiNS6_11use_defaultESE_EENS6_10device_ptrIfEENSG_IlEEPmS8_NS6_8equal_toIfEEEE10hipError_tPvRmT2_T3_mT4_T5_T6_T7_T8_P12ihipStream_tbENKUlT_T0_E_clISt17integral_constantIbLb0EES12_IbLb1EEEEDaSY_SZ_EUlSY_E_NS1_11comp_targetILNS1_3genE0ELNS1_11target_archE4294967295ELNS1_3gpuE0ELNS1_3repE0EEENS1_30default_config_static_selectorELNS0_4arch9wavefront6targetE1EEEvT1_
; %bb.0:
	.section	.rodata,"a",@progbits
	.p2align	6, 0x0
	.amdhsa_kernel _ZN7rocprim17ROCPRIM_400000_NS6detail17trampoline_kernelINS0_14default_configENS1_29reduce_by_key_config_selectorIflN6thrust23THRUST_200600_302600_NS4plusIlEEEEZZNS1_33reduce_by_key_impl_wrapped_configILNS1_25lookback_scan_determinismE0ES3_S9_PfNS6_17constant_iteratorIiNS6_11use_defaultESE_EENS6_10device_ptrIfEENSG_IlEEPmS8_NS6_8equal_toIfEEEE10hipError_tPvRmT2_T3_mT4_T5_T6_T7_T8_P12ihipStream_tbENKUlT_T0_E_clISt17integral_constantIbLb0EES12_IbLb1EEEEDaSY_SZ_EUlSY_E_NS1_11comp_targetILNS1_3genE0ELNS1_11target_archE4294967295ELNS1_3gpuE0ELNS1_3repE0EEENS1_30default_config_static_selectorELNS0_4arch9wavefront6targetE1EEEvT1_
		.amdhsa_group_segment_fixed_size 0
		.amdhsa_private_segment_fixed_size 0
		.amdhsa_kernarg_size 144
		.amdhsa_user_sgpr_count 6
		.amdhsa_user_sgpr_private_segment_buffer 1
		.amdhsa_user_sgpr_dispatch_ptr 0
		.amdhsa_user_sgpr_queue_ptr 0
		.amdhsa_user_sgpr_kernarg_segment_ptr 1
		.amdhsa_user_sgpr_dispatch_id 0
		.amdhsa_user_sgpr_flat_scratch_init 0
		.amdhsa_user_sgpr_private_segment_size 0
		.amdhsa_uses_dynamic_stack 0
		.amdhsa_system_sgpr_private_segment_wavefront_offset 0
		.amdhsa_system_sgpr_workgroup_id_x 1
		.amdhsa_system_sgpr_workgroup_id_y 0
		.amdhsa_system_sgpr_workgroup_id_z 0
		.amdhsa_system_sgpr_workgroup_info 0
		.amdhsa_system_vgpr_workitem_id 0
		.amdhsa_next_free_vgpr 1
		.amdhsa_next_free_sgpr 0
		.amdhsa_reserve_vcc 0
		.amdhsa_reserve_flat_scratch 0
		.amdhsa_float_round_mode_32 0
		.amdhsa_float_round_mode_16_64 0
		.amdhsa_float_denorm_mode_32 3
		.amdhsa_float_denorm_mode_16_64 3
		.amdhsa_dx10_clamp 1
		.amdhsa_ieee_mode 1
		.amdhsa_fp16_overflow 0
		.amdhsa_exception_fp_ieee_invalid_op 0
		.amdhsa_exception_fp_denorm_src 0
		.amdhsa_exception_fp_ieee_div_zero 0
		.amdhsa_exception_fp_ieee_overflow 0
		.amdhsa_exception_fp_ieee_underflow 0
		.amdhsa_exception_fp_ieee_inexact 0
		.amdhsa_exception_int_div_zero 0
	.end_amdhsa_kernel
	.section	.text._ZN7rocprim17ROCPRIM_400000_NS6detail17trampoline_kernelINS0_14default_configENS1_29reduce_by_key_config_selectorIflN6thrust23THRUST_200600_302600_NS4plusIlEEEEZZNS1_33reduce_by_key_impl_wrapped_configILNS1_25lookback_scan_determinismE0ES3_S9_PfNS6_17constant_iteratorIiNS6_11use_defaultESE_EENS6_10device_ptrIfEENSG_IlEEPmS8_NS6_8equal_toIfEEEE10hipError_tPvRmT2_T3_mT4_T5_T6_T7_T8_P12ihipStream_tbENKUlT_T0_E_clISt17integral_constantIbLb0EES12_IbLb1EEEEDaSY_SZ_EUlSY_E_NS1_11comp_targetILNS1_3genE0ELNS1_11target_archE4294967295ELNS1_3gpuE0ELNS1_3repE0EEENS1_30default_config_static_selectorELNS0_4arch9wavefront6targetE1EEEvT1_,"axG",@progbits,_ZN7rocprim17ROCPRIM_400000_NS6detail17trampoline_kernelINS0_14default_configENS1_29reduce_by_key_config_selectorIflN6thrust23THRUST_200600_302600_NS4plusIlEEEEZZNS1_33reduce_by_key_impl_wrapped_configILNS1_25lookback_scan_determinismE0ES3_S9_PfNS6_17constant_iteratorIiNS6_11use_defaultESE_EENS6_10device_ptrIfEENSG_IlEEPmS8_NS6_8equal_toIfEEEE10hipError_tPvRmT2_T3_mT4_T5_T6_T7_T8_P12ihipStream_tbENKUlT_T0_E_clISt17integral_constantIbLb0EES12_IbLb1EEEEDaSY_SZ_EUlSY_E_NS1_11comp_targetILNS1_3genE0ELNS1_11target_archE4294967295ELNS1_3gpuE0ELNS1_3repE0EEENS1_30default_config_static_selectorELNS0_4arch9wavefront6targetE1EEEvT1_,comdat
.Lfunc_end1933:
	.size	_ZN7rocprim17ROCPRIM_400000_NS6detail17trampoline_kernelINS0_14default_configENS1_29reduce_by_key_config_selectorIflN6thrust23THRUST_200600_302600_NS4plusIlEEEEZZNS1_33reduce_by_key_impl_wrapped_configILNS1_25lookback_scan_determinismE0ES3_S9_PfNS6_17constant_iteratorIiNS6_11use_defaultESE_EENS6_10device_ptrIfEENSG_IlEEPmS8_NS6_8equal_toIfEEEE10hipError_tPvRmT2_T3_mT4_T5_T6_T7_T8_P12ihipStream_tbENKUlT_T0_E_clISt17integral_constantIbLb0EES12_IbLb1EEEEDaSY_SZ_EUlSY_E_NS1_11comp_targetILNS1_3genE0ELNS1_11target_archE4294967295ELNS1_3gpuE0ELNS1_3repE0EEENS1_30default_config_static_selectorELNS0_4arch9wavefront6targetE1EEEvT1_, .Lfunc_end1933-_ZN7rocprim17ROCPRIM_400000_NS6detail17trampoline_kernelINS0_14default_configENS1_29reduce_by_key_config_selectorIflN6thrust23THRUST_200600_302600_NS4plusIlEEEEZZNS1_33reduce_by_key_impl_wrapped_configILNS1_25lookback_scan_determinismE0ES3_S9_PfNS6_17constant_iteratorIiNS6_11use_defaultESE_EENS6_10device_ptrIfEENSG_IlEEPmS8_NS6_8equal_toIfEEEE10hipError_tPvRmT2_T3_mT4_T5_T6_T7_T8_P12ihipStream_tbENKUlT_T0_E_clISt17integral_constantIbLb0EES12_IbLb1EEEEDaSY_SZ_EUlSY_E_NS1_11comp_targetILNS1_3genE0ELNS1_11target_archE4294967295ELNS1_3gpuE0ELNS1_3repE0EEENS1_30default_config_static_selectorELNS0_4arch9wavefront6targetE1EEEvT1_
                                        ; -- End function
	.set _ZN7rocprim17ROCPRIM_400000_NS6detail17trampoline_kernelINS0_14default_configENS1_29reduce_by_key_config_selectorIflN6thrust23THRUST_200600_302600_NS4plusIlEEEEZZNS1_33reduce_by_key_impl_wrapped_configILNS1_25lookback_scan_determinismE0ES3_S9_PfNS6_17constant_iteratorIiNS6_11use_defaultESE_EENS6_10device_ptrIfEENSG_IlEEPmS8_NS6_8equal_toIfEEEE10hipError_tPvRmT2_T3_mT4_T5_T6_T7_T8_P12ihipStream_tbENKUlT_T0_E_clISt17integral_constantIbLb0EES12_IbLb1EEEEDaSY_SZ_EUlSY_E_NS1_11comp_targetILNS1_3genE0ELNS1_11target_archE4294967295ELNS1_3gpuE0ELNS1_3repE0EEENS1_30default_config_static_selectorELNS0_4arch9wavefront6targetE1EEEvT1_.num_vgpr, 0
	.set _ZN7rocprim17ROCPRIM_400000_NS6detail17trampoline_kernelINS0_14default_configENS1_29reduce_by_key_config_selectorIflN6thrust23THRUST_200600_302600_NS4plusIlEEEEZZNS1_33reduce_by_key_impl_wrapped_configILNS1_25lookback_scan_determinismE0ES3_S9_PfNS6_17constant_iteratorIiNS6_11use_defaultESE_EENS6_10device_ptrIfEENSG_IlEEPmS8_NS6_8equal_toIfEEEE10hipError_tPvRmT2_T3_mT4_T5_T6_T7_T8_P12ihipStream_tbENKUlT_T0_E_clISt17integral_constantIbLb0EES12_IbLb1EEEEDaSY_SZ_EUlSY_E_NS1_11comp_targetILNS1_3genE0ELNS1_11target_archE4294967295ELNS1_3gpuE0ELNS1_3repE0EEENS1_30default_config_static_selectorELNS0_4arch9wavefront6targetE1EEEvT1_.num_agpr, 0
	.set _ZN7rocprim17ROCPRIM_400000_NS6detail17trampoline_kernelINS0_14default_configENS1_29reduce_by_key_config_selectorIflN6thrust23THRUST_200600_302600_NS4plusIlEEEEZZNS1_33reduce_by_key_impl_wrapped_configILNS1_25lookback_scan_determinismE0ES3_S9_PfNS6_17constant_iteratorIiNS6_11use_defaultESE_EENS6_10device_ptrIfEENSG_IlEEPmS8_NS6_8equal_toIfEEEE10hipError_tPvRmT2_T3_mT4_T5_T6_T7_T8_P12ihipStream_tbENKUlT_T0_E_clISt17integral_constantIbLb0EES12_IbLb1EEEEDaSY_SZ_EUlSY_E_NS1_11comp_targetILNS1_3genE0ELNS1_11target_archE4294967295ELNS1_3gpuE0ELNS1_3repE0EEENS1_30default_config_static_selectorELNS0_4arch9wavefront6targetE1EEEvT1_.numbered_sgpr, 0
	.set _ZN7rocprim17ROCPRIM_400000_NS6detail17trampoline_kernelINS0_14default_configENS1_29reduce_by_key_config_selectorIflN6thrust23THRUST_200600_302600_NS4plusIlEEEEZZNS1_33reduce_by_key_impl_wrapped_configILNS1_25lookback_scan_determinismE0ES3_S9_PfNS6_17constant_iteratorIiNS6_11use_defaultESE_EENS6_10device_ptrIfEENSG_IlEEPmS8_NS6_8equal_toIfEEEE10hipError_tPvRmT2_T3_mT4_T5_T6_T7_T8_P12ihipStream_tbENKUlT_T0_E_clISt17integral_constantIbLb0EES12_IbLb1EEEEDaSY_SZ_EUlSY_E_NS1_11comp_targetILNS1_3genE0ELNS1_11target_archE4294967295ELNS1_3gpuE0ELNS1_3repE0EEENS1_30default_config_static_selectorELNS0_4arch9wavefront6targetE1EEEvT1_.num_named_barrier, 0
	.set _ZN7rocprim17ROCPRIM_400000_NS6detail17trampoline_kernelINS0_14default_configENS1_29reduce_by_key_config_selectorIflN6thrust23THRUST_200600_302600_NS4plusIlEEEEZZNS1_33reduce_by_key_impl_wrapped_configILNS1_25lookback_scan_determinismE0ES3_S9_PfNS6_17constant_iteratorIiNS6_11use_defaultESE_EENS6_10device_ptrIfEENSG_IlEEPmS8_NS6_8equal_toIfEEEE10hipError_tPvRmT2_T3_mT4_T5_T6_T7_T8_P12ihipStream_tbENKUlT_T0_E_clISt17integral_constantIbLb0EES12_IbLb1EEEEDaSY_SZ_EUlSY_E_NS1_11comp_targetILNS1_3genE0ELNS1_11target_archE4294967295ELNS1_3gpuE0ELNS1_3repE0EEENS1_30default_config_static_selectorELNS0_4arch9wavefront6targetE1EEEvT1_.private_seg_size, 0
	.set _ZN7rocprim17ROCPRIM_400000_NS6detail17trampoline_kernelINS0_14default_configENS1_29reduce_by_key_config_selectorIflN6thrust23THRUST_200600_302600_NS4plusIlEEEEZZNS1_33reduce_by_key_impl_wrapped_configILNS1_25lookback_scan_determinismE0ES3_S9_PfNS6_17constant_iteratorIiNS6_11use_defaultESE_EENS6_10device_ptrIfEENSG_IlEEPmS8_NS6_8equal_toIfEEEE10hipError_tPvRmT2_T3_mT4_T5_T6_T7_T8_P12ihipStream_tbENKUlT_T0_E_clISt17integral_constantIbLb0EES12_IbLb1EEEEDaSY_SZ_EUlSY_E_NS1_11comp_targetILNS1_3genE0ELNS1_11target_archE4294967295ELNS1_3gpuE0ELNS1_3repE0EEENS1_30default_config_static_selectorELNS0_4arch9wavefront6targetE1EEEvT1_.uses_vcc, 0
	.set _ZN7rocprim17ROCPRIM_400000_NS6detail17trampoline_kernelINS0_14default_configENS1_29reduce_by_key_config_selectorIflN6thrust23THRUST_200600_302600_NS4plusIlEEEEZZNS1_33reduce_by_key_impl_wrapped_configILNS1_25lookback_scan_determinismE0ES3_S9_PfNS6_17constant_iteratorIiNS6_11use_defaultESE_EENS6_10device_ptrIfEENSG_IlEEPmS8_NS6_8equal_toIfEEEE10hipError_tPvRmT2_T3_mT4_T5_T6_T7_T8_P12ihipStream_tbENKUlT_T0_E_clISt17integral_constantIbLb0EES12_IbLb1EEEEDaSY_SZ_EUlSY_E_NS1_11comp_targetILNS1_3genE0ELNS1_11target_archE4294967295ELNS1_3gpuE0ELNS1_3repE0EEENS1_30default_config_static_selectorELNS0_4arch9wavefront6targetE1EEEvT1_.uses_flat_scratch, 0
	.set _ZN7rocprim17ROCPRIM_400000_NS6detail17trampoline_kernelINS0_14default_configENS1_29reduce_by_key_config_selectorIflN6thrust23THRUST_200600_302600_NS4plusIlEEEEZZNS1_33reduce_by_key_impl_wrapped_configILNS1_25lookback_scan_determinismE0ES3_S9_PfNS6_17constant_iteratorIiNS6_11use_defaultESE_EENS6_10device_ptrIfEENSG_IlEEPmS8_NS6_8equal_toIfEEEE10hipError_tPvRmT2_T3_mT4_T5_T6_T7_T8_P12ihipStream_tbENKUlT_T0_E_clISt17integral_constantIbLb0EES12_IbLb1EEEEDaSY_SZ_EUlSY_E_NS1_11comp_targetILNS1_3genE0ELNS1_11target_archE4294967295ELNS1_3gpuE0ELNS1_3repE0EEENS1_30default_config_static_selectorELNS0_4arch9wavefront6targetE1EEEvT1_.has_dyn_sized_stack, 0
	.set _ZN7rocprim17ROCPRIM_400000_NS6detail17trampoline_kernelINS0_14default_configENS1_29reduce_by_key_config_selectorIflN6thrust23THRUST_200600_302600_NS4plusIlEEEEZZNS1_33reduce_by_key_impl_wrapped_configILNS1_25lookback_scan_determinismE0ES3_S9_PfNS6_17constant_iteratorIiNS6_11use_defaultESE_EENS6_10device_ptrIfEENSG_IlEEPmS8_NS6_8equal_toIfEEEE10hipError_tPvRmT2_T3_mT4_T5_T6_T7_T8_P12ihipStream_tbENKUlT_T0_E_clISt17integral_constantIbLb0EES12_IbLb1EEEEDaSY_SZ_EUlSY_E_NS1_11comp_targetILNS1_3genE0ELNS1_11target_archE4294967295ELNS1_3gpuE0ELNS1_3repE0EEENS1_30default_config_static_selectorELNS0_4arch9wavefront6targetE1EEEvT1_.has_recursion, 0
	.set _ZN7rocprim17ROCPRIM_400000_NS6detail17trampoline_kernelINS0_14default_configENS1_29reduce_by_key_config_selectorIflN6thrust23THRUST_200600_302600_NS4plusIlEEEEZZNS1_33reduce_by_key_impl_wrapped_configILNS1_25lookback_scan_determinismE0ES3_S9_PfNS6_17constant_iteratorIiNS6_11use_defaultESE_EENS6_10device_ptrIfEENSG_IlEEPmS8_NS6_8equal_toIfEEEE10hipError_tPvRmT2_T3_mT4_T5_T6_T7_T8_P12ihipStream_tbENKUlT_T0_E_clISt17integral_constantIbLb0EES12_IbLb1EEEEDaSY_SZ_EUlSY_E_NS1_11comp_targetILNS1_3genE0ELNS1_11target_archE4294967295ELNS1_3gpuE0ELNS1_3repE0EEENS1_30default_config_static_selectorELNS0_4arch9wavefront6targetE1EEEvT1_.has_indirect_call, 0
	.section	.AMDGPU.csdata,"",@progbits
; Kernel info:
; codeLenInByte = 0
; TotalNumSgprs: 4
; NumVgprs: 0
; ScratchSize: 0
; MemoryBound: 0
; FloatMode: 240
; IeeeMode: 1
; LDSByteSize: 0 bytes/workgroup (compile time only)
; SGPRBlocks: 0
; VGPRBlocks: 0
; NumSGPRsForWavesPerEU: 4
; NumVGPRsForWavesPerEU: 1
; Occupancy: 10
; WaveLimiterHint : 0
; COMPUTE_PGM_RSRC2:SCRATCH_EN: 0
; COMPUTE_PGM_RSRC2:USER_SGPR: 6
; COMPUTE_PGM_RSRC2:TRAP_HANDLER: 0
; COMPUTE_PGM_RSRC2:TGID_X_EN: 1
; COMPUTE_PGM_RSRC2:TGID_Y_EN: 0
; COMPUTE_PGM_RSRC2:TGID_Z_EN: 0
; COMPUTE_PGM_RSRC2:TIDIG_COMP_CNT: 0
	.section	.text._ZN7rocprim17ROCPRIM_400000_NS6detail17trampoline_kernelINS0_14default_configENS1_29reduce_by_key_config_selectorIflN6thrust23THRUST_200600_302600_NS4plusIlEEEEZZNS1_33reduce_by_key_impl_wrapped_configILNS1_25lookback_scan_determinismE0ES3_S9_PfNS6_17constant_iteratorIiNS6_11use_defaultESE_EENS6_10device_ptrIfEENSG_IlEEPmS8_NS6_8equal_toIfEEEE10hipError_tPvRmT2_T3_mT4_T5_T6_T7_T8_P12ihipStream_tbENKUlT_T0_E_clISt17integral_constantIbLb0EES12_IbLb1EEEEDaSY_SZ_EUlSY_E_NS1_11comp_targetILNS1_3genE5ELNS1_11target_archE942ELNS1_3gpuE9ELNS1_3repE0EEENS1_30default_config_static_selectorELNS0_4arch9wavefront6targetE1EEEvT1_,"axG",@progbits,_ZN7rocprim17ROCPRIM_400000_NS6detail17trampoline_kernelINS0_14default_configENS1_29reduce_by_key_config_selectorIflN6thrust23THRUST_200600_302600_NS4plusIlEEEEZZNS1_33reduce_by_key_impl_wrapped_configILNS1_25lookback_scan_determinismE0ES3_S9_PfNS6_17constant_iteratorIiNS6_11use_defaultESE_EENS6_10device_ptrIfEENSG_IlEEPmS8_NS6_8equal_toIfEEEE10hipError_tPvRmT2_T3_mT4_T5_T6_T7_T8_P12ihipStream_tbENKUlT_T0_E_clISt17integral_constantIbLb0EES12_IbLb1EEEEDaSY_SZ_EUlSY_E_NS1_11comp_targetILNS1_3genE5ELNS1_11target_archE942ELNS1_3gpuE9ELNS1_3repE0EEENS1_30default_config_static_selectorELNS0_4arch9wavefront6targetE1EEEvT1_,comdat
	.protected	_ZN7rocprim17ROCPRIM_400000_NS6detail17trampoline_kernelINS0_14default_configENS1_29reduce_by_key_config_selectorIflN6thrust23THRUST_200600_302600_NS4plusIlEEEEZZNS1_33reduce_by_key_impl_wrapped_configILNS1_25lookback_scan_determinismE0ES3_S9_PfNS6_17constant_iteratorIiNS6_11use_defaultESE_EENS6_10device_ptrIfEENSG_IlEEPmS8_NS6_8equal_toIfEEEE10hipError_tPvRmT2_T3_mT4_T5_T6_T7_T8_P12ihipStream_tbENKUlT_T0_E_clISt17integral_constantIbLb0EES12_IbLb1EEEEDaSY_SZ_EUlSY_E_NS1_11comp_targetILNS1_3genE5ELNS1_11target_archE942ELNS1_3gpuE9ELNS1_3repE0EEENS1_30default_config_static_selectorELNS0_4arch9wavefront6targetE1EEEvT1_ ; -- Begin function _ZN7rocprim17ROCPRIM_400000_NS6detail17trampoline_kernelINS0_14default_configENS1_29reduce_by_key_config_selectorIflN6thrust23THRUST_200600_302600_NS4plusIlEEEEZZNS1_33reduce_by_key_impl_wrapped_configILNS1_25lookback_scan_determinismE0ES3_S9_PfNS6_17constant_iteratorIiNS6_11use_defaultESE_EENS6_10device_ptrIfEENSG_IlEEPmS8_NS6_8equal_toIfEEEE10hipError_tPvRmT2_T3_mT4_T5_T6_T7_T8_P12ihipStream_tbENKUlT_T0_E_clISt17integral_constantIbLb0EES12_IbLb1EEEEDaSY_SZ_EUlSY_E_NS1_11comp_targetILNS1_3genE5ELNS1_11target_archE942ELNS1_3gpuE9ELNS1_3repE0EEENS1_30default_config_static_selectorELNS0_4arch9wavefront6targetE1EEEvT1_
	.globl	_ZN7rocprim17ROCPRIM_400000_NS6detail17trampoline_kernelINS0_14default_configENS1_29reduce_by_key_config_selectorIflN6thrust23THRUST_200600_302600_NS4plusIlEEEEZZNS1_33reduce_by_key_impl_wrapped_configILNS1_25lookback_scan_determinismE0ES3_S9_PfNS6_17constant_iteratorIiNS6_11use_defaultESE_EENS6_10device_ptrIfEENSG_IlEEPmS8_NS6_8equal_toIfEEEE10hipError_tPvRmT2_T3_mT4_T5_T6_T7_T8_P12ihipStream_tbENKUlT_T0_E_clISt17integral_constantIbLb0EES12_IbLb1EEEEDaSY_SZ_EUlSY_E_NS1_11comp_targetILNS1_3genE5ELNS1_11target_archE942ELNS1_3gpuE9ELNS1_3repE0EEENS1_30default_config_static_selectorELNS0_4arch9wavefront6targetE1EEEvT1_
	.p2align	8
	.type	_ZN7rocprim17ROCPRIM_400000_NS6detail17trampoline_kernelINS0_14default_configENS1_29reduce_by_key_config_selectorIflN6thrust23THRUST_200600_302600_NS4plusIlEEEEZZNS1_33reduce_by_key_impl_wrapped_configILNS1_25lookback_scan_determinismE0ES3_S9_PfNS6_17constant_iteratorIiNS6_11use_defaultESE_EENS6_10device_ptrIfEENSG_IlEEPmS8_NS6_8equal_toIfEEEE10hipError_tPvRmT2_T3_mT4_T5_T6_T7_T8_P12ihipStream_tbENKUlT_T0_E_clISt17integral_constantIbLb0EES12_IbLb1EEEEDaSY_SZ_EUlSY_E_NS1_11comp_targetILNS1_3genE5ELNS1_11target_archE942ELNS1_3gpuE9ELNS1_3repE0EEENS1_30default_config_static_selectorELNS0_4arch9wavefront6targetE1EEEvT1_,@function
_ZN7rocprim17ROCPRIM_400000_NS6detail17trampoline_kernelINS0_14default_configENS1_29reduce_by_key_config_selectorIflN6thrust23THRUST_200600_302600_NS4plusIlEEEEZZNS1_33reduce_by_key_impl_wrapped_configILNS1_25lookback_scan_determinismE0ES3_S9_PfNS6_17constant_iteratorIiNS6_11use_defaultESE_EENS6_10device_ptrIfEENSG_IlEEPmS8_NS6_8equal_toIfEEEE10hipError_tPvRmT2_T3_mT4_T5_T6_T7_T8_P12ihipStream_tbENKUlT_T0_E_clISt17integral_constantIbLb0EES12_IbLb1EEEEDaSY_SZ_EUlSY_E_NS1_11comp_targetILNS1_3genE5ELNS1_11target_archE942ELNS1_3gpuE9ELNS1_3repE0EEENS1_30default_config_static_selectorELNS0_4arch9wavefront6targetE1EEEvT1_: ; @_ZN7rocprim17ROCPRIM_400000_NS6detail17trampoline_kernelINS0_14default_configENS1_29reduce_by_key_config_selectorIflN6thrust23THRUST_200600_302600_NS4plusIlEEEEZZNS1_33reduce_by_key_impl_wrapped_configILNS1_25lookback_scan_determinismE0ES3_S9_PfNS6_17constant_iteratorIiNS6_11use_defaultESE_EENS6_10device_ptrIfEENSG_IlEEPmS8_NS6_8equal_toIfEEEE10hipError_tPvRmT2_T3_mT4_T5_T6_T7_T8_P12ihipStream_tbENKUlT_T0_E_clISt17integral_constantIbLb0EES12_IbLb1EEEEDaSY_SZ_EUlSY_E_NS1_11comp_targetILNS1_3genE5ELNS1_11target_archE942ELNS1_3gpuE9ELNS1_3repE0EEENS1_30default_config_static_selectorELNS0_4arch9wavefront6targetE1EEEvT1_
; %bb.0:
	.section	.rodata,"a",@progbits
	.p2align	6, 0x0
	.amdhsa_kernel _ZN7rocprim17ROCPRIM_400000_NS6detail17trampoline_kernelINS0_14default_configENS1_29reduce_by_key_config_selectorIflN6thrust23THRUST_200600_302600_NS4plusIlEEEEZZNS1_33reduce_by_key_impl_wrapped_configILNS1_25lookback_scan_determinismE0ES3_S9_PfNS6_17constant_iteratorIiNS6_11use_defaultESE_EENS6_10device_ptrIfEENSG_IlEEPmS8_NS6_8equal_toIfEEEE10hipError_tPvRmT2_T3_mT4_T5_T6_T7_T8_P12ihipStream_tbENKUlT_T0_E_clISt17integral_constantIbLb0EES12_IbLb1EEEEDaSY_SZ_EUlSY_E_NS1_11comp_targetILNS1_3genE5ELNS1_11target_archE942ELNS1_3gpuE9ELNS1_3repE0EEENS1_30default_config_static_selectorELNS0_4arch9wavefront6targetE1EEEvT1_
		.amdhsa_group_segment_fixed_size 0
		.amdhsa_private_segment_fixed_size 0
		.amdhsa_kernarg_size 144
		.amdhsa_user_sgpr_count 6
		.amdhsa_user_sgpr_private_segment_buffer 1
		.amdhsa_user_sgpr_dispatch_ptr 0
		.amdhsa_user_sgpr_queue_ptr 0
		.amdhsa_user_sgpr_kernarg_segment_ptr 1
		.amdhsa_user_sgpr_dispatch_id 0
		.amdhsa_user_sgpr_flat_scratch_init 0
		.amdhsa_user_sgpr_private_segment_size 0
		.amdhsa_uses_dynamic_stack 0
		.amdhsa_system_sgpr_private_segment_wavefront_offset 0
		.amdhsa_system_sgpr_workgroup_id_x 1
		.amdhsa_system_sgpr_workgroup_id_y 0
		.amdhsa_system_sgpr_workgroup_id_z 0
		.amdhsa_system_sgpr_workgroup_info 0
		.amdhsa_system_vgpr_workitem_id 0
		.amdhsa_next_free_vgpr 1
		.amdhsa_next_free_sgpr 0
		.amdhsa_reserve_vcc 0
		.amdhsa_reserve_flat_scratch 0
		.amdhsa_float_round_mode_32 0
		.amdhsa_float_round_mode_16_64 0
		.amdhsa_float_denorm_mode_32 3
		.amdhsa_float_denorm_mode_16_64 3
		.amdhsa_dx10_clamp 1
		.amdhsa_ieee_mode 1
		.amdhsa_fp16_overflow 0
		.amdhsa_exception_fp_ieee_invalid_op 0
		.amdhsa_exception_fp_denorm_src 0
		.amdhsa_exception_fp_ieee_div_zero 0
		.amdhsa_exception_fp_ieee_overflow 0
		.amdhsa_exception_fp_ieee_underflow 0
		.amdhsa_exception_fp_ieee_inexact 0
		.amdhsa_exception_int_div_zero 0
	.end_amdhsa_kernel
	.section	.text._ZN7rocprim17ROCPRIM_400000_NS6detail17trampoline_kernelINS0_14default_configENS1_29reduce_by_key_config_selectorIflN6thrust23THRUST_200600_302600_NS4plusIlEEEEZZNS1_33reduce_by_key_impl_wrapped_configILNS1_25lookback_scan_determinismE0ES3_S9_PfNS6_17constant_iteratorIiNS6_11use_defaultESE_EENS6_10device_ptrIfEENSG_IlEEPmS8_NS6_8equal_toIfEEEE10hipError_tPvRmT2_T3_mT4_T5_T6_T7_T8_P12ihipStream_tbENKUlT_T0_E_clISt17integral_constantIbLb0EES12_IbLb1EEEEDaSY_SZ_EUlSY_E_NS1_11comp_targetILNS1_3genE5ELNS1_11target_archE942ELNS1_3gpuE9ELNS1_3repE0EEENS1_30default_config_static_selectorELNS0_4arch9wavefront6targetE1EEEvT1_,"axG",@progbits,_ZN7rocprim17ROCPRIM_400000_NS6detail17trampoline_kernelINS0_14default_configENS1_29reduce_by_key_config_selectorIflN6thrust23THRUST_200600_302600_NS4plusIlEEEEZZNS1_33reduce_by_key_impl_wrapped_configILNS1_25lookback_scan_determinismE0ES3_S9_PfNS6_17constant_iteratorIiNS6_11use_defaultESE_EENS6_10device_ptrIfEENSG_IlEEPmS8_NS6_8equal_toIfEEEE10hipError_tPvRmT2_T3_mT4_T5_T6_T7_T8_P12ihipStream_tbENKUlT_T0_E_clISt17integral_constantIbLb0EES12_IbLb1EEEEDaSY_SZ_EUlSY_E_NS1_11comp_targetILNS1_3genE5ELNS1_11target_archE942ELNS1_3gpuE9ELNS1_3repE0EEENS1_30default_config_static_selectorELNS0_4arch9wavefront6targetE1EEEvT1_,comdat
.Lfunc_end1934:
	.size	_ZN7rocprim17ROCPRIM_400000_NS6detail17trampoline_kernelINS0_14default_configENS1_29reduce_by_key_config_selectorIflN6thrust23THRUST_200600_302600_NS4plusIlEEEEZZNS1_33reduce_by_key_impl_wrapped_configILNS1_25lookback_scan_determinismE0ES3_S9_PfNS6_17constant_iteratorIiNS6_11use_defaultESE_EENS6_10device_ptrIfEENSG_IlEEPmS8_NS6_8equal_toIfEEEE10hipError_tPvRmT2_T3_mT4_T5_T6_T7_T8_P12ihipStream_tbENKUlT_T0_E_clISt17integral_constantIbLb0EES12_IbLb1EEEEDaSY_SZ_EUlSY_E_NS1_11comp_targetILNS1_3genE5ELNS1_11target_archE942ELNS1_3gpuE9ELNS1_3repE0EEENS1_30default_config_static_selectorELNS0_4arch9wavefront6targetE1EEEvT1_, .Lfunc_end1934-_ZN7rocprim17ROCPRIM_400000_NS6detail17trampoline_kernelINS0_14default_configENS1_29reduce_by_key_config_selectorIflN6thrust23THRUST_200600_302600_NS4plusIlEEEEZZNS1_33reduce_by_key_impl_wrapped_configILNS1_25lookback_scan_determinismE0ES3_S9_PfNS6_17constant_iteratorIiNS6_11use_defaultESE_EENS6_10device_ptrIfEENSG_IlEEPmS8_NS6_8equal_toIfEEEE10hipError_tPvRmT2_T3_mT4_T5_T6_T7_T8_P12ihipStream_tbENKUlT_T0_E_clISt17integral_constantIbLb0EES12_IbLb1EEEEDaSY_SZ_EUlSY_E_NS1_11comp_targetILNS1_3genE5ELNS1_11target_archE942ELNS1_3gpuE9ELNS1_3repE0EEENS1_30default_config_static_selectorELNS0_4arch9wavefront6targetE1EEEvT1_
                                        ; -- End function
	.set _ZN7rocprim17ROCPRIM_400000_NS6detail17trampoline_kernelINS0_14default_configENS1_29reduce_by_key_config_selectorIflN6thrust23THRUST_200600_302600_NS4plusIlEEEEZZNS1_33reduce_by_key_impl_wrapped_configILNS1_25lookback_scan_determinismE0ES3_S9_PfNS6_17constant_iteratorIiNS6_11use_defaultESE_EENS6_10device_ptrIfEENSG_IlEEPmS8_NS6_8equal_toIfEEEE10hipError_tPvRmT2_T3_mT4_T5_T6_T7_T8_P12ihipStream_tbENKUlT_T0_E_clISt17integral_constantIbLb0EES12_IbLb1EEEEDaSY_SZ_EUlSY_E_NS1_11comp_targetILNS1_3genE5ELNS1_11target_archE942ELNS1_3gpuE9ELNS1_3repE0EEENS1_30default_config_static_selectorELNS0_4arch9wavefront6targetE1EEEvT1_.num_vgpr, 0
	.set _ZN7rocprim17ROCPRIM_400000_NS6detail17trampoline_kernelINS0_14default_configENS1_29reduce_by_key_config_selectorIflN6thrust23THRUST_200600_302600_NS4plusIlEEEEZZNS1_33reduce_by_key_impl_wrapped_configILNS1_25lookback_scan_determinismE0ES3_S9_PfNS6_17constant_iteratorIiNS6_11use_defaultESE_EENS6_10device_ptrIfEENSG_IlEEPmS8_NS6_8equal_toIfEEEE10hipError_tPvRmT2_T3_mT4_T5_T6_T7_T8_P12ihipStream_tbENKUlT_T0_E_clISt17integral_constantIbLb0EES12_IbLb1EEEEDaSY_SZ_EUlSY_E_NS1_11comp_targetILNS1_3genE5ELNS1_11target_archE942ELNS1_3gpuE9ELNS1_3repE0EEENS1_30default_config_static_selectorELNS0_4arch9wavefront6targetE1EEEvT1_.num_agpr, 0
	.set _ZN7rocprim17ROCPRIM_400000_NS6detail17trampoline_kernelINS0_14default_configENS1_29reduce_by_key_config_selectorIflN6thrust23THRUST_200600_302600_NS4plusIlEEEEZZNS1_33reduce_by_key_impl_wrapped_configILNS1_25lookback_scan_determinismE0ES3_S9_PfNS6_17constant_iteratorIiNS6_11use_defaultESE_EENS6_10device_ptrIfEENSG_IlEEPmS8_NS6_8equal_toIfEEEE10hipError_tPvRmT2_T3_mT4_T5_T6_T7_T8_P12ihipStream_tbENKUlT_T0_E_clISt17integral_constantIbLb0EES12_IbLb1EEEEDaSY_SZ_EUlSY_E_NS1_11comp_targetILNS1_3genE5ELNS1_11target_archE942ELNS1_3gpuE9ELNS1_3repE0EEENS1_30default_config_static_selectorELNS0_4arch9wavefront6targetE1EEEvT1_.numbered_sgpr, 0
	.set _ZN7rocprim17ROCPRIM_400000_NS6detail17trampoline_kernelINS0_14default_configENS1_29reduce_by_key_config_selectorIflN6thrust23THRUST_200600_302600_NS4plusIlEEEEZZNS1_33reduce_by_key_impl_wrapped_configILNS1_25lookback_scan_determinismE0ES3_S9_PfNS6_17constant_iteratorIiNS6_11use_defaultESE_EENS6_10device_ptrIfEENSG_IlEEPmS8_NS6_8equal_toIfEEEE10hipError_tPvRmT2_T3_mT4_T5_T6_T7_T8_P12ihipStream_tbENKUlT_T0_E_clISt17integral_constantIbLb0EES12_IbLb1EEEEDaSY_SZ_EUlSY_E_NS1_11comp_targetILNS1_3genE5ELNS1_11target_archE942ELNS1_3gpuE9ELNS1_3repE0EEENS1_30default_config_static_selectorELNS0_4arch9wavefront6targetE1EEEvT1_.num_named_barrier, 0
	.set _ZN7rocprim17ROCPRIM_400000_NS6detail17trampoline_kernelINS0_14default_configENS1_29reduce_by_key_config_selectorIflN6thrust23THRUST_200600_302600_NS4plusIlEEEEZZNS1_33reduce_by_key_impl_wrapped_configILNS1_25lookback_scan_determinismE0ES3_S9_PfNS6_17constant_iteratorIiNS6_11use_defaultESE_EENS6_10device_ptrIfEENSG_IlEEPmS8_NS6_8equal_toIfEEEE10hipError_tPvRmT2_T3_mT4_T5_T6_T7_T8_P12ihipStream_tbENKUlT_T0_E_clISt17integral_constantIbLb0EES12_IbLb1EEEEDaSY_SZ_EUlSY_E_NS1_11comp_targetILNS1_3genE5ELNS1_11target_archE942ELNS1_3gpuE9ELNS1_3repE0EEENS1_30default_config_static_selectorELNS0_4arch9wavefront6targetE1EEEvT1_.private_seg_size, 0
	.set _ZN7rocprim17ROCPRIM_400000_NS6detail17trampoline_kernelINS0_14default_configENS1_29reduce_by_key_config_selectorIflN6thrust23THRUST_200600_302600_NS4plusIlEEEEZZNS1_33reduce_by_key_impl_wrapped_configILNS1_25lookback_scan_determinismE0ES3_S9_PfNS6_17constant_iteratorIiNS6_11use_defaultESE_EENS6_10device_ptrIfEENSG_IlEEPmS8_NS6_8equal_toIfEEEE10hipError_tPvRmT2_T3_mT4_T5_T6_T7_T8_P12ihipStream_tbENKUlT_T0_E_clISt17integral_constantIbLb0EES12_IbLb1EEEEDaSY_SZ_EUlSY_E_NS1_11comp_targetILNS1_3genE5ELNS1_11target_archE942ELNS1_3gpuE9ELNS1_3repE0EEENS1_30default_config_static_selectorELNS0_4arch9wavefront6targetE1EEEvT1_.uses_vcc, 0
	.set _ZN7rocprim17ROCPRIM_400000_NS6detail17trampoline_kernelINS0_14default_configENS1_29reduce_by_key_config_selectorIflN6thrust23THRUST_200600_302600_NS4plusIlEEEEZZNS1_33reduce_by_key_impl_wrapped_configILNS1_25lookback_scan_determinismE0ES3_S9_PfNS6_17constant_iteratorIiNS6_11use_defaultESE_EENS6_10device_ptrIfEENSG_IlEEPmS8_NS6_8equal_toIfEEEE10hipError_tPvRmT2_T3_mT4_T5_T6_T7_T8_P12ihipStream_tbENKUlT_T0_E_clISt17integral_constantIbLb0EES12_IbLb1EEEEDaSY_SZ_EUlSY_E_NS1_11comp_targetILNS1_3genE5ELNS1_11target_archE942ELNS1_3gpuE9ELNS1_3repE0EEENS1_30default_config_static_selectorELNS0_4arch9wavefront6targetE1EEEvT1_.uses_flat_scratch, 0
	.set _ZN7rocprim17ROCPRIM_400000_NS6detail17trampoline_kernelINS0_14default_configENS1_29reduce_by_key_config_selectorIflN6thrust23THRUST_200600_302600_NS4plusIlEEEEZZNS1_33reduce_by_key_impl_wrapped_configILNS1_25lookback_scan_determinismE0ES3_S9_PfNS6_17constant_iteratorIiNS6_11use_defaultESE_EENS6_10device_ptrIfEENSG_IlEEPmS8_NS6_8equal_toIfEEEE10hipError_tPvRmT2_T3_mT4_T5_T6_T7_T8_P12ihipStream_tbENKUlT_T0_E_clISt17integral_constantIbLb0EES12_IbLb1EEEEDaSY_SZ_EUlSY_E_NS1_11comp_targetILNS1_3genE5ELNS1_11target_archE942ELNS1_3gpuE9ELNS1_3repE0EEENS1_30default_config_static_selectorELNS0_4arch9wavefront6targetE1EEEvT1_.has_dyn_sized_stack, 0
	.set _ZN7rocprim17ROCPRIM_400000_NS6detail17trampoline_kernelINS0_14default_configENS1_29reduce_by_key_config_selectorIflN6thrust23THRUST_200600_302600_NS4plusIlEEEEZZNS1_33reduce_by_key_impl_wrapped_configILNS1_25lookback_scan_determinismE0ES3_S9_PfNS6_17constant_iteratorIiNS6_11use_defaultESE_EENS6_10device_ptrIfEENSG_IlEEPmS8_NS6_8equal_toIfEEEE10hipError_tPvRmT2_T3_mT4_T5_T6_T7_T8_P12ihipStream_tbENKUlT_T0_E_clISt17integral_constantIbLb0EES12_IbLb1EEEEDaSY_SZ_EUlSY_E_NS1_11comp_targetILNS1_3genE5ELNS1_11target_archE942ELNS1_3gpuE9ELNS1_3repE0EEENS1_30default_config_static_selectorELNS0_4arch9wavefront6targetE1EEEvT1_.has_recursion, 0
	.set _ZN7rocprim17ROCPRIM_400000_NS6detail17trampoline_kernelINS0_14default_configENS1_29reduce_by_key_config_selectorIflN6thrust23THRUST_200600_302600_NS4plusIlEEEEZZNS1_33reduce_by_key_impl_wrapped_configILNS1_25lookback_scan_determinismE0ES3_S9_PfNS6_17constant_iteratorIiNS6_11use_defaultESE_EENS6_10device_ptrIfEENSG_IlEEPmS8_NS6_8equal_toIfEEEE10hipError_tPvRmT2_T3_mT4_T5_T6_T7_T8_P12ihipStream_tbENKUlT_T0_E_clISt17integral_constantIbLb0EES12_IbLb1EEEEDaSY_SZ_EUlSY_E_NS1_11comp_targetILNS1_3genE5ELNS1_11target_archE942ELNS1_3gpuE9ELNS1_3repE0EEENS1_30default_config_static_selectorELNS0_4arch9wavefront6targetE1EEEvT1_.has_indirect_call, 0
	.section	.AMDGPU.csdata,"",@progbits
; Kernel info:
; codeLenInByte = 0
; TotalNumSgprs: 4
; NumVgprs: 0
; ScratchSize: 0
; MemoryBound: 0
; FloatMode: 240
; IeeeMode: 1
; LDSByteSize: 0 bytes/workgroup (compile time only)
; SGPRBlocks: 0
; VGPRBlocks: 0
; NumSGPRsForWavesPerEU: 4
; NumVGPRsForWavesPerEU: 1
; Occupancy: 10
; WaveLimiterHint : 0
; COMPUTE_PGM_RSRC2:SCRATCH_EN: 0
; COMPUTE_PGM_RSRC2:USER_SGPR: 6
; COMPUTE_PGM_RSRC2:TRAP_HANDLER: 0
; COMPUTE_PGM_RSRC2:TGID_X_EN: 1
; COMPUTE_PGM_RSRC2:TGID_Y_EN: 0
; COMPUTE_PGM_RSRC2:TGID_Z_EN: 0
; COMPUTE_PGM_RSRC2:TIDIG_COMP_CNT: 0
	.section	.text._ZN7rocprim17ROCPRIM_400000_NS6detail17trampoline_kernelINS0_14default_configENS1_29reduce_by_key_config_selectorIflN6thrust23THRUST_200600_302600_NS4plusIlEEEEZZNS1_33reduce_by_key_impl_wrapped_configILNS1_25lookback_scan_determinismE0ES3_S9_PfNS6_17constant_iteratorIiNS6_11use_defaultESE_EENS6_10device_ptrIfEENSG_IlEEPmS8_NS6_8equal_toIfEEEE10hipError_tPvRmT2_T3_mT4_T5_T6_T7_T8_P12ihipStream_tbENKUlT_T0_E_clISt17integral_constantIbLb0EES12_IbLb1EEEEDaSY_SZ_EUlSY_E_NS1_11comp_targetILNS1_3genE4ELNS1_11target_archE910ELNS1_3gpuE8ELNS1_3repE0EEENS1_30default_config_static_selectorELNS0_4arch9wavefront6targetE1EEEvT1_,"axG",@progbits,_ZN7rocprim17ROCPRIM_400000_NS6detail17trampoline_kernelINS0_14default_configENS1_29reduce_by_key_config_selectorIflN6thrust23THRUST_200600_302600_NS4plusIlEEEEZZNS1_33reduce_by_key_impl_wrapped_configILNS1_25lookback_scan_determinismE0ES3_S9_PfNS6_17constant_iteratorIiNS6_11use_defaultESE_EENS6_10device_ptrIfEENSG_IlEEPmS8_NS6_8equal_toIfEEEE10hipError_tPvRmT2_T3_mT4_T5_T6_T7_T8_P12ihipStream_tbENKUlT_T0_E_clISt17integral_constantIbLb0EES12_IbLb1EEEEDaSY_SZ_EUlSY_E_NS1_11comp_targetILNS1_3genE4ELNS1_11target_archE910ELNS1_3gpuE8ELNS1_3repE0EEENS1_30default_config_static_selectorELNS0_4arch9wavefront6targetE1EEEvT1_,comdat
	.protected	_ZN7rocprim17ROCPRIM_400000_NS6detail17trampoline_kernelINS0_14default_configENS1_29reduce_by_key_config_selectorIflN6thrust23THRUST_200600_302600_NS4plusIlEEEEZZNS1_33reduce_by_key_impl_wrapped_configILNS1_25lookback_scan_determinismE0ES3_S9_PfNS6_17constant_iteratorIiNS6_11use_defaultESE_EENS6_10device_ptrIfEENSG_IlEEPmS8_NS6_8equal_toIfEEEE10hipError_tPvRmT2_T3_mT4_T5_T6_T7_T8_P12ihipStream_tbENKUlT_T0_E_clISt17integral_constantIbLb0EES12_IbLb1EEEEDaSY_SZ_EUlSY_E_NS1_11comp_targetILNS1_3genE4ELNS1_11target_archE910ELNS1_3gpuE8ELNS1_3repE0EEENS1_30default_config_static_selectorELNS0_4arch9wavefront6targetE1EEEvT1_ ; -- Begin function _ZN7rocprim17ROCPRIM_400000_NS6detail17trampoline_kernelINS0_14default_configENS1_29reduce_by_key_config_selectorIflN6thrust23THRUST_200600_302600_NS4plusIlEEEEZZNS1_33reduce_by_key_impl_wrapped_configILNS1_25lookback_scan_determinismE0ES3_S9_PfNS6_17constant_iteratorIiNS6_11use_defaultESE_EENS6_10device_ptrIfEENSG_IlEEPmS8_NS6_8equal_toIfEEEE10hipError_tPvRmT2_T3_mT4_T5_T6_T7_T8_P12ihipStream_tbENKUlT_T0_E_clISt17integral_constantIbLb0EES12_IbLb1EEEEDaSY_SZ_EUlSY_E_NS1_11comp_targetILNS1_3genE4ELNS1_11target_archE910ELNS1_3gpuE8ELNS1_3repE0EEENS1_30default_config_static_selectorELNS0_4arch9wavefront6targetE1EEEvT1_
	.globl	_ZN7rocprim17ROCPRIM_400000_NS6detail17trampoline_kernelINS0_14default_configENS1_29reduce_by_key_config_selectorIflN6thrust23THRUST_200600_302600_NS4plusIlEEEEZZNS1_33reduce_by_key_impl_wrapped_configILNS1_25lookback_scan_determinismE0ES3_S9_PfNS6_17constant_iteratorIiNS6_11use_defaultESE_EENS6_10device_ptrIfEENSG_IlEEPmS8_NS6_8equal_toIfEEEE10hipError_tPvRmT2_T3_mT4_T5_T6_T7_T8_P12ihipStream_tbENKUlT_T0_E_clISt17integral_constantIbLb0EES12_IbLb1EEEEDaSY_SZ_EUlSY_E_NS1_11comp_targetILNS1_3genE4ELNS1_11target_archE910ELNS1_3gpuE8ELNS1_3repE0EEENS1_30default_config_static_selectorELNS0_4arch9wavefront6targetE1EEEvT1_
	.p2align	8
	.type	_ZN7rocprim17ROCPRIM_400000_NS6detail17trampoline_kernelINS0_14default_configENS1_29reduce_by_key_config_selectorIflN6thrust23THRUST_200600_302600_NS4plusIlEEEEZZNS1_33reduce_by_key_impl_wrapped_configILNS1_25lookback_scan_determinismE0ES3_S9_PfNS6_17constant_iteratorIiNS6_11use_defaultESE_EENS6_10device_ptrIfEENSG_IlEEPmS8_NS6_8equal_toIfEEEE10hipError_tPvRmT2_T3_mT4_T5_T6_T7_T8_P12ihipStream_tbENKUlT_T0_E_clISt17integral_constantIbLb0EES12_IbLb1EEEEDaSY_SZ_EUlSY_E_NS1_11comp_targetILNS1_3genE4ELNS1_11target_archE910ELNS1_3gpuE8ELNS1_3repE0EEENS1_30default_config_static_selectorELNS0_4arch9wavefront6targetE1EEEvT1_,@function
_ZN7rocprim17ROCPRIM_400000_NS6detail17trampoline_kernelINS0_14default_configENS1_29reduce_by_key_config_selectorIflN6thrust23THRUST_200600_302600_NS4plusIlEEEEZZNS1_33reduce_by_key_impl_wrapped_configILNS1_25lookback_scan_determinismE0ES3_S9_PfNS6_17constant_iteratorIiNS6_11use_defaultESE_EENS6_10device_ptrIfEENSG_IlEEPmS8_NS6_8equal_toIfEEEE10hipError_tPvRmT2_T3_mT4_T5_T6_T7_T8_P12ihipStream_tbENKUlT_T0_E_clISt17integral_constantIbLb0EES12_IbLb1EEEEDaSY_SZ_EUlSY_E_NS1_11comp_targetILNS1_3genE4ELNS1_11target_archE910ELNS1_3gpuE8ELNS1_3repE0EEENS1_30default_config_static_selectorELNS0_4arch9wavefront6targetE1EEEvT1_: ; @_ZN7rocprim17ROCPRIM_400000_NS6detail17trampoline_kernelINS0_14default_configENS1_29reduce_by_key_config_selectorIflN6thrust23THRUST_200600_302600_NS4plusIlEEEEZZNS1_33reduce_by_key_impl_wrapped_configILNS1_25lookback_scan_determinismE0ES3_S9_PfNS6_17constant_iteratorIiNS6_11use_defaultESE_EENS6_10device_ptrIfEENSG_IlEEPmS8_NS6_8equal_toIfEEEE10hipError_tPvRmT2_T3_mT4_T5_T6_T7_T8_P12ihipStream_tbENKUlT_T0_E_clISt17integral_constantIbLb0EES12_IbLb1EEEEDaSY_SZ_EUlSY_E_NS1_11comp_targetILNS1_3genE4ELNS1_11target_archE910ELNS1_3gpuE8ELNS1_3repE0EEENS1_30default_config_static_selectorELNS0_4arch9wavefront6targetE1EEEvT1_
; %bb.0:
	.section	.rodata,"a",@progbits
	.p2align	6, 0x0
	.amdhsa_kernel _ZN7rocprim17ROCPRIM_400000_NS6detail17trampoline_kernelINS0_14default_configENS1_29reduce_by_key_config_selectorIflN6thrust23THRUST_200600_302600_NS4plusIlEEEEZZNS1_33reduce_by_key_impl_wrapped_configILNS1_25lookback_scan_determinismE0ES3_S9_PfNS6_17constant_iteratorIiNS6_11use_defaultESE_EENS6_10device_ptrIfEENSG_IlEEPmS8_NS6_8equal_toIfEEEE10hipError_tPvRmT2_T3_mT4_T5_T6_T7_T8_P12ihipStream_tbENKUlT_T0_E_clISt17integral_constantIbLb0EES12_IbLb1EEEEDaSY_SZ_EUlSY_E_NS1_11comp_targetILNS1_3genE4ELNS1_11target_archE910ELNS1_3gpuE8ELNS1_3repE0EEENS1_30default_config_static_selectorELNS0_4arch9wavefront6targetE1EEEvT1_
		.amdhsa_group_segment_fixed_size 0
		.amdhsa_private_segment_fixed_size 0
		.amdhsa_kernarg_size 144
		.amdhsa_user_sgpr_count 6
		.amdhsa_user_sgpr_private_segment_buffer 1
		.amdhsa_user_sgpr_dispatch_ptr 0
		.amdhsa_user_sgpr_queue_ptr 0
		.amdhsa_user_sgpr_kernarg_segment_ptr 1
		.amdhsa_user_sgpr_dispatch_id 0
		.amdhsa_user_sgpr_flat_scratch_init 0
		.amdhsa_user_sgpr_private_segment_size 0
		.amdhsa_uses_dynamic_stack 0
		.amdhsa_system_sgpr_private_segment_wavefront_offset 0
		.amdhsa_system_sgpr_workgroup_id_x 1
		.amdhsa_system_sgpr_workgroup_id_y 0
		.amdhsa_system_sgpr_workgroup_id_z 0
		.amdhsa_system_sgpr_workgroup_info 0
		.amdhsa_system_vgpr_workitem_id 0
		.amdhsa_next_free_vgpr 1
		.amdhsa_next_free_sgpr 0
		.amdhsa_reserve_vcc 0
		.amdhsa_reserve_flat_scratch 0
		.amdhsa_float_round_mode_32 0
		.amdhsa_float_round_mode_16_64 0
		.amdhsa_float_denorm_mode_32 3
		.amdhsa_float_denorm_mode_16_64 3
		.amdhsa_dx10_clamp 1
		.amdhsa_ieee_mode 1
		.amdhsa_fp16_overflow 0
		.amdhsa_exception_fp_ieee_invalid_op 0
		.amdhsa_exception_fp_denorm_src 0
		.amdhsa_exception_fp_ieee_div_zero 0
		.amdhsa_exception_fp_ieee_overflow 0
		.amdhsa_exception_fp_ieee_underflow 0
		.amdhsa_exception_fp_ieee_inexact 0
		.amdhsa_exception_int_div_zero 0
	.end_amdhsa_kernel
	.section	.text._ZN7rocprim17ROCPRIM_400000_NS6detail17trampoline_kernelINS0_14default_configENS1_29reduce_by_key_config_selectorIflN6thrust23THRUST_200600_302600_NS4plusIlEEEEZZNS1_33reduce_by_key_impl_wrapped_configILNS1_25lookback_scan_determinismE0ES3_S9_PfNS6_17constant_iteratorIiNS6_11use_defaultESE_EENS6_10device_ptrIfEENSG_IlEEPmS8_NS6_8equal_toIfEEEE10hipError_tPvRmT2_T3_mT4_T5_T6_T7_T8_P12ihipStream_tbENKUlT_T0_E_clISt17integral_constantIbLb0EES12_IbLb1EEEEDaSY_SZ_EUlSY_E_NS1_11comp_targetILNS1_3genE4ELNS1_11target_archE910ELNS1_3gpuE8ELNS1_3repE0EEENS1_30default_config_static_selectorELNS0_4arch9wavefront6targetE1EEEvT1_,"axG",@progbits,_ZN7rocprim17ROCPRIM_400000_NS6detail17trampoline_kernelINS0_14default_configENS1_29reduce_by_key_config_selectorIflN6thrust23THRUST_200600_302600_NS4plusIlEEEEZZNS1_33reduce_by_key_impl_wrapped_configILNS1_25lookback_scan_determinismE0ES3_S9_PfNS6_17constant_iteratorIiNS6_11use_defaultESE_EENS6_10device_ptrIfEENSG_IlEEPmS8_NS6_8equal_toIfEEEE10hipError_tPvRmT2_T3_mT4_T5_T6_T7_T8_P12ihipStream_tbENKUlT_T0_E_clISt17integral_constantIbLb0EES12_IbLb1EEEEDaSY_SZ_EUlSY_E_NS1_11comp_targetILNS1_3genE4ELNS1_11target_archE910ELNS1_3gpuE8ELNS1_3repE0EEENS1_30default_config_static_selectorELNS0_4arch9wavefront6targetE1EEEvT1_,comdat
.Lfunc_end1935:
	.size	_ZN7rocprim17ROCPRIM_400000_NS6detail17trampoline_kernelINS0_14default_configENS1_29reduce_by_key_config_selectorIflN6thrust23THRUST_200600_302600_NS4plusIlEEEEZZNS1_33reduce_by_key_impl_wrapped_configILNS1_25lookback_scan_determinismE0ES3_S9_PfNS6_17constant_iteratorIiNS6_11use_defaultESE_EENS6_10device_ptrIfEENSG_IlEEPmS8_NS6_8equal_toIfEEEE10hipError_tPvRmT2_T3_mT4_T5_T6_T7_T8_P12ihipStream_tbENKUlT_T0_E_clISt17integral_constantIbLb0EES12_IbLb1EEEEDaSY_SZ_EUlSY_E_NS1_11comp_targetILNS1_3genE4ELNS1_11target_archE910ELNS1_3gpuE8ELNS1_3repE0EEENS1_30default_config_static_selectorELNS0_4arch9wavefront6targetE1EEEvT1_, .Lfunc_end1935-_ZN7rocprim17ROCPRIM_400000_NS6detail17trampoline_kernelINS0_14default_configENS1_29reduce_by_key_config_selectorIflN6thrust23THRUST_200600_302600_NS4plusIlEEEEZZNS1_33reduce_by_key_impl_wrapped_configILNS1_25lookback_scan_determinismE0ES3_S9_PfNS6_17constant_iteratorIiNS6_11use_defaultESE_EENS6_10device_ptrIfEENSG_IlEEPmS8_NS6_8equal_toIfEEEE10hipError_tPvRmT2_T3_mT4_T5_T6_T7_T8_P12ihipStream_tbENKUlT_T0_E_clISt17integral_constantIbLb0EES12_IbLb1EEEEDaSY_SZ_EUlSY_E_NS1_11comp_targetILNS1_3genE4ELNS1_11target_archE910ELNS1_3gpuE8ELNS1_3repE0EEENS1_30default_config_static_selectorELNS0_4arch9wavefront6targetE1EEEvT1_
                                        ; -- End function
	.set _ZN7rocprim17ROCPRIM_400000_NS6detail17trampoline_kernelINS0_14default_configENS1_29reduce_by_key_config_selectorIflN6thrust23THRUST_200600_302600_NS4plusIlEEEEZZNS1_33reduce_by_key_impl_wrapped_configILNS1_25lookback_scan_determinismE0ES3_S9_PfNS6_17constant_iteratorIiNS6_11use_defaultESE_EENS6_10device_ptrIfEENSG_IlEEPmS8_NS6_8equal_toIfEEEE10hipError_tPvRmT2_T3_mT4_T5_T6_T7_T8_P12ihipStream_tbENKUlT_T0_E_clISt17integral_constantIbLb0EES12_IbLb1EEEEDaSY_SZ_EUlSY_E_NS1_11comp_targetILNS1_3genE4ELNS1_11target_archE910ELNS1_3gpuE8ELNS1_3repE0EEENS1_30default_config_static_selectorELNS0_4arch9wavefront6targetE1EEEvT1_.num_vgpr, 0
	.set _ZN7rocprim17ROCPRIM_400000_NS6detail17trampoline_kernelINS0_14default_configENS1_29reduce_by_key_config_selectorIflN6thrust23THRUST_200600_302600_NS4plusIlEEEEZZNS1_33reduce_by_key_impl_wrapped_configILNS1_25lookback_scan_determinismE0ES3_S9_PfNS6_17constant_iteratorIiNS6_11use_defaultESE_EENS6_10device_ptrIfEENSG_IlEEPmS8_NS6_8equal_toIfEEEE10hipError_tPvRmT2_T3_mT4_T5_T6_T7_T8_P12ihipStream_tbENKUlT_T0_E_clISt17integral_constantIbLb0EES12_IbLb1EEEEDaSY_SZ_EUlSY_E_NS1_11comp_targetILNS1_3genE4ELNS1_11target_archE910ELNS1_3gpuE8ELNS1_3repE0EEENS1_30default_config_static_selectorELNS0_4arch9wavefront6targetE1EEEvT1_.num_agpr, 0
	.set _ZN7rocprim17ROCPRIM_400000_NS6detail17trampoline_kernelINS0_14default_configENS1_29reduce_by_key_config_selectorIflN6thrust23THRUST_200600_302600_NS4plusIlEEEEZZNS1_33reduce_by_key_impl_wrapped_configILNS1_25lookback_scan_determinismE0ES3_S9_PfNS6_17constant_iteratorIiNS6_11use_defaultESE_EENS6_10device_ptrIfEENSG_IlEEPmS8_NS6_8equal_toIfEEEE10hipError_tPvRmT2_T3_mT4_T5_T6_T7_T8_P12ihipStream_tbENKUlT_T0_E_clISt17integral_constantIbLb0EES12_IbLb1EEEEDaSY_SZ_EUlSY_E_NS1_11comp_targetILNS1_3genE4ELNS1_11target_archE910ELNS1_3gpuE8ELNS1_3repE0EEENS1_30default_config_static_selectorELNS0_4arch9wavefront6targetE1EEEvT1_.numbered_sgpr, 0
	.set _ZN7rocprim17ROCPRIM_400000_NS6detail17trampoline_kernelINS0_14default_configENS1_29reduce_by_key_config_selectorIflN6thrust23THRUST_200600_302600_NS4plusIlEEEEZZNS1_33reduce_by_key_impl_wrapped_configILNS1_25lookback_scan_determinismE0ES3_S9_PfNS6_17constant_iteratorIiNS6_11use_defaultESE_EENS6_10device_ptrIfEENSG_IlEEPmS8_NS6_8equal_toIfEEEE10hipError_tPvRmT2_T3_mT4_T5_T6_T7_T8_P12ihipStream_tbENKUlT_T0_E_clISt17integral_constantIbLb0EES12_IbLb1EEEEDaSY_SZ_EUlSY_E_NS1_11comp_targetILNS1_3genE4ELNS1_11target_archE910ELNS1_3gpuE8ELNS1_3repE0EEENS1_30default_config_static_selectorELNS0_4arch9wavefront6targetE1EEEvT1_.num_named_barrier, 0
	.set _ZN7rocprim17ROCPRIM_400000_NS6detail17trampoline_kernelINS0_14default_configENS1_29reduce_by_key_config_selectorIflN6thrust23THRUST_200600_302600_NS4plusIlEEEEZZNS1_33reduce_by_key_impl_wrapped_configILNS1_25lookback_scan_determinismE0ES3_S9_PfNS6_17constant_iteratorIiNS6_11use_defaultESE_EENS6_10device_ptrIfEENSG_IlEEPmS8_NS6_8equal_toIfEEEE10hipError_tPvRmT2_T3_mT4_T5_T6_T7_T8_P12ihipStream_tbENKUlT_T0_E_clISt17integral_constantIbLb0EES12_IbLb1EEEEDaSY_SZ_EUlSY_E_NS1_11comp_targetILNS1_3genE4ELNS1_11target_archE910ELNS1_3gpuE8ELNS1_3repE0EEENS1_30default_config_static_selectorELNS0_4arch9wavefront6targetE1EEEvT1_.private_seg_size, 0
	.set _ZN7rocprim17ROCPRIM_400000_NS6detail17trampoline_kernelINS0_14default_configENS1_29reduce_by_key_config_selectorIflN6thrust23THRUST_200600_302600_NS4plusIlEEEEZZNS1_33reduce_by_key_impl_wrapped_configILNS1_25lookback_scan_determinismE0ES3_S9_PfNS6_17constant_iteratorIiNS6_11use_defaultESE_EENS6_10device_ptrIfEENSG_IlEEPmS8_NS6_8equal_toIfEEEE10hipError_tPvRmT2_T3_mT4_T5_T6_T7_T8_P12ihipStream_tbENKUlT_T0_E_clISt17integral_constantIbLb0EES12_IbLb1EEEEDaSY_SZ_EUlSY_E_NS1_11comp_targetILNS1_3genE4ELNS1_11target_archE910ELNS1_3gpuE8ELNS1_3repE0EEENS1_30default_config_static_selectorELNS0_4arch9wavefront6targetE1EEEvT1_.uses_vcc, 0
	.set _ZN7rocprim17ROCPRIM_400000_NS6detail17trampoline_kernelINS0_14default_configENS1_29reduce_by_key_config_selectorIflN6thrust23THRUST_200600_302600_NS4plusIlEEEEZZNS1_33reduce_by_key_impl_wrapped_configILNS1_25lookback_scan_determinismE0ES3_S9_PfNS6_17constant_iteratorIiNS6_11use_defaultESE_EENS6_10device_ptrIfEENSG_IlEEPmS8_NS6_8equal_toIfEEEE10hipError_tPvRmT2_T3_mT4_T5_T6_T7_T8_P12ihipStream_tbENKUlT_T0_E_clISt17integral_constantIbLb0EES12_IbLb1EEEEDaSY_SZ_EUlSY_E_NS1_11comp_targetILNS1_3genE4ELNS1_11target_archE910ELNS1_3gpuE8ELNS1_3repE0EEENS1_30default_config_static_selectorELNS0_4arch9wavefront6targetE1EEEvT1_.uses_flat_scratch, 0
	.set _ZN7rocprim17ROCPRIM_400000_NS6detail17trampoline_kernelINS0_14default_configENS1_29reduce_by_key_config_selectorIflN6thrust23THRUST_200600_302600_NS4plusIlEEEEZZNS1_33reduce_by_key_impl_wrapped_configILNS1_25lookback_scan_determinismE0ES3_S9_PfNS6_17constant_iteratorIiNS6_11use_defaultESE_EENS6_10device_ptrIfEENSG_IlEEPmS8_NS6_8equal_toIfEEEE10hipError_tPvRmT2_T3_mT4_T5_T6_T7_T8_P12ihipStream_tbENKUlT_T0_E_clISt17integral_constantIbLb0EES12_IbLb1EEEEDaSY_SZ_EUlSY_E_NS1_11comp_targetILNS1_3genE4ELNS1_11target_archE910ELNS1_3gpuE8ELNS1_3repE0EEENS1_30default_config_static_selectorELNS0_4arch9wavefront6targetE1EEEvT1_.has_dyn_sized_stack, 0
	.set _ZN7rocprim17ROCPRIM_400000_NS6detail17trampoline_kernelINS0_14default_configENS1_29reduce_by_key_config_selectorIflN6thrust23THRUST_200600_302600_NS4plusIlEEEEZZNS1_33reduce_by_key_impl_wrapped_configILNS1_25lookback_scan_determinismE0ES3_S9_PfNS6_17constant_iteratorIiNS6_11use_defaultESE_EENS6_10device_ptrIfEENSG_IlEEPmS8_NS6_8equal_toIfEEEE10hipError_tPvRmT2_T3_mT4_T5_T6_T7_T8_P12ihipStream_tbENKUlT_T0_E_clISt17integral_constantIbLb0EES12_IbLb1EEEEDaSY_SZ_EUlSY_E_NS1_11comp_targetILNS1_3genE4ELNS1_11target_archE910ELNS1_3gpuE8ELNS1_3repE0EEENS1_30default_config_static_selectorELNS0_4arch9wavefront6targetE1EEEvT1_.has_recursion, 0
	.set _ZN7rocprim17ROCPRIM_400000_NS6detail17trampoline_kernelINS0_14default_configENS1_29reduce_by_key_config_selectorIflN6thrust23THRUST_200600_302600_NS4plusIlEEEEZZNS1_33reduce_by_key_impl_wrapped_configILNS1_25lookback_scan_determinismE0ES3_S9_PfNS6_17constant_iteratorIiNS6_11use_defaultESE_EENS6_10device_ptrIfEENSG_IlEEPmS8_NS6_8equal_toIfEEEE10hipError_tPvRmT2_T3_mT4_T5_T6_T7_T8_P12ihipStream_tbENKUlT_T0_E_clISt17integral_constantIbLb0EES12_IbLb1EEEEDaSY_SZ_EUlSY_E_NS1_11comp_targetILNS1_3genE4ELNS1_11target_archE910ELNS1_3gpuE8ELNS1_3repE0EEENS1_30default_config_static_selectorELNS0_4arch9wavefront6targetE1EEEvT1_.has_indirect_call, 0
	.section	.AMDGPU.csdata,"",@progbits
; Kernel info:
; codeLenInByte = 0
; TotalNumSgprs: 4
; NumVgprs: 0
; ScratchSize: 0
; MemoryBound: 0
; FloatMode: 240
; IeeeMode: 1
; LDSByteSize: 0 bytes/workgroup (compile time only)
; SGPRBlocks: 0
; VGPRBlocks: 0
; NumSGPRsForWavesPerEU: 4
; NumVGPRsForWavesPerEU: 1
; Occupancy: 10
; WaveLimiterHint : 0
; COMPUTE_PGM_RSRC2:SCRATCH_EN: 0
; COMPUTE_PGM_RSRC2:USER_SGPR: 6
; COMPUTE_PGM_RSRC2:TRAP_HANDLER: 0
; COMPUTE_PGM_RSRC2:TGID_X_EN: 1
; COMPUTE_PGM_RSRC2:TGID_Y_EN: 0
; COMPUTE_PGM_RSRC2:TGID_Z_EN: 0
; COMPUTE_PGM_RSRC2:TIDIG_COMP_CNT: 0
	.section	.text._ZN7rocprim17ROCPRIM_400000_NS6detail17trampoline_kernelINS0_14default_configENS1_29reduce_by_key_config_selectorIflN6thrust23THRUST_200600_302600_NS4plusIlEEEEZZNS1_33reduce_by_key_impl_wrapped_configILNS1_25lookback_scan_determinismE0ES3_S9_PfNS6_17constant_iteratorIiNS6_11use_defaultESE_EENS6_10device_ptrIfEENSG_IlEEPmS8_NS6_8equal_toIfEEEE10hipError_tPvRmT2_T3_mT4_T5_T6_T7_T8_P12ihipStream_tbENKUlT_T0_E_clISt17integral_constantIbLb0EES12_IbLb1EEEEDaSY_SZ_EUlSY_E_NS1_11comp_targetILNS1_3genE3ELNS1_11target_archE908ELNS1_3gpuE7ELNS1_3repE0EEENS1_30default_config_static_selectorELNS0_4arch9wavefront6targetE1EEEvT1_,"axG",@progbits,_ZN7rocprim17ROCPRIM_400000_NS6detail17trampoline_kernelINS0_14default_configENS1_29reduce_by_key_config_selectorIflN6thrust23THRUST_200600_302600_NS4plusIlEEEEZZNS1_33reduce_by_key_impl_wrapped_configILNS1_25lookback_scan_determinismE0ES3_S9_PfNS6_17constant_iteratorIiNS6_11use_defaultESE_EENS6_10device_ptrIfEENSG_IlEEPmS8_NS6_8equal_toIfEEEE10hipError_tPvRmT2_T3_mT4_T5_T6_T7_T8_P12ihipStream_tbENKUlT_T0_E_clISt17integral_constantIbLb0EES12_IbLb1EEEEDaSY_SZ_EUlSY_E_NS1_11comp_targetILNS1_3genE3ELNS1_11target_archE908ELNS1_3gpuE7ELNS1_3repE0EEENS1_30default_config_static_selectorELNS0_4arch9wavefront6targetE1EEEvT1_,comdat
	.protected	_ZN7rocprim17ROCPRIM_400000_NS6detail17trampoline_kernelINS0_14default_configENS1_29reduce_by_key_config_selectorIflN6thrust23THRUST_200600_302600_NS4plusIlEEEEZZNS1_33reduce_by_key_impl_wrapped_configILNS1_25lookback_scan_determinismE0ES3_S9_PfNS6_17constant_iteratorIiNS6_11use_defaultESE_EENS6_10device_ptrIfEENSG_IlEEPmS8_NS6_8equal_toIfEEEE10hipError_tPvRmT2_T3_mT4_T5_T6_T7_T8_P12ihipStream_tbENKUlT_T0_E_clISt17integral_constantIbLb0EES12_IbLb1EEEEDaSY_SZ_EUlSY_E_NS1_11comp_targetILNS1_3genE3ELNS1_11target_archE908ELNS1_3gpuE7ELNS1_3repE0EEENS1_30default_config_static_selectorELNS0_4arch9wavefront6targetE1EEEvT1_ ; -- Begin function _ZN7rocprim17ROCPRIM_400000_NS6detail17trampoline_kernelINS0_14default_configENS1_29reduce_by_key_config_selectorIflN6thrust23THRUST_200600_302600_NS4plusIlEEEEZZNS1_33reduce_by_key_impl_wrapped_configILNS1_25lookback_scan_determinismE0ES3_S9_PfNS6_17constant_iteratorIiNS6_11use_defaultESE_EENS6_10device_ptrIfEENSG_IlEEPmS8_NS6_8equal_toIfEEEE10hipError_tPvRmT2_T3_mT4_T5_T6_T7_T8_P12ihipStream_tbENKUlT_T0_E_clISt17integral_constantIbLb0EES12_IbLb1EEEEDaSY_SZ_EUlSY_E_NS1_11comp_targetILNS1_3genE3ELNS1_11target_archE908ELNS1_3gpuE7ELNS1_3repE0EEENS1_30default_config_static_selectorELNS0_4arch9wavefront6targetE1EEEvT1_
	.globl	_ZN7rocprim17ROCPRIM_400000_NS6detail17trampoline_kernelINS0_14default_configENS1_29reduce_by_key_config_selectorIflN6thrust23THRUST_200600_302600_NS4plusIlEEEEZZNS1_33reduce_by_key_impl_wrapped_configILNS1_25lookback_scan_determinismE0ES3_S9_PfNS6_17constant_iteratorIiNS6_11use_defaultESE_EENS6_10device_ptrIfEENSG_IlEEPmS8_NS6_8equal_toIfEEEE10hipError_tPvRmT2_T3_mT4_T5_T6_T7_T8_P12ihipStream_tbENKUlT_T0_E_clISt17integral_constantIbLb0EES12_IbLb1EEEEDaSY_SZ_EUlSY_E_NS1_11comp_targetILNS1_3genE3ELNS1_11target_archE908ELNS1_3gpuE7ELNS1_3repE0EEENS1_30default_config_static_selectorELNS0_4arch9wavefront6targetE1EEEvT1_
	.p2align	8
	.type	_ZN7rocprim17ROCPRIM_400000_NS6detail17trampoline_kernelINS0_14default_configENS1_29reduce_by_key_config_selectorIflN6thrust23THRUST_200600_302600_NS4plusIlEEEEZZNS1_33reduce_by_key_impl_wrapped_configILNS1_25lookback_scan_determinismE0ES3_S9_PfNS6_17constant_iteratorIiNS6_11use_defaultESE_EENS6_10device_ptrIfEENSG_IlEEPmS8_NS6_8equal_toIfEEEE10hipError_tPvRmT2_T3_mT4_T5_T6_T7_T8_P12ihipStream_tbENKUlT_T0_E_clISt17integral_constantIbLb0EES12_IbLb1EEEEDaSY_SZ_EUlSY_E_NS1_11comp_targetILNS1_3genE3ELNS1_11target_archE908ELNS1_3gpuE7ELNS1_3repE0EEENS1_30default_config_static_selectorELNS0_4arch9wavefront6targetE1EEEvT1_,@function
_ZN7rocprim17ROCPRIM_400000_NS6detail17trampoline_kernelINS0_14default_configENS1_29reduce_by_key_config_selectorIflN6thrust23THRUST_200600_302600_NS4plusIlEEEEZZNS1_33reduce_by_key_impl_wrapped_configILNS1_25lookback_scan_determinismE0ES3_S9_PfNS6_17constant_iteratorIiNS6_11use_defaultESE_EENS6_10device_ptrIfEENSG_IlEEPmS8_NS6_8equal_toIfEEEE10hipError_tPvRmT2_T3_mT4_T5_T6_T7_T8_P12ihipStream_tbENKUlT_T0_E_clISt17integral_constantIbLb0EES12_IbLb1EEEEDaSY_SZ_EUlSY_E_NS1_11comp_targetILNS1_3genE3ELNS1_11target_archE908ELNS1_3gpuE7ELNS1_3repE0EEENS1_30default_config_static_selectorELNS0_4arch9wavefront6targetE1EEEvT1_: ; @_ZN7rocprim17ROCPRIM_400000_NS6detail17trampoline_kernelINS0_14default_configENS1_29reduce_by_key_config_selectorIflN6thrust23THRUST_200600_302600_NS4plusIlEEEEZZNS1_33reduce_by_key_impl_wrapped_configILNS1_25lookback_scan_determinismE0ES3_S9_PfNS6_17constant_iteratorIiNS6_11use_defaultESE_EENS6_10device_ptrIfEENSG_IlEEPmS8_NS6_8equal_toIfEEEE10hipError_tPvRmT2_T3_mT4_T5_T6_T7_T8_P12ihipStream_tbENKUlT_T0_E_clISt17integral_constantIbLb0EES12_IbLb1EEEEDaSY_SZ_EUlSY_E_NS1_11comp_targetILNS1_3genE3ELNS1_11target_archE908ELNS1_3gpuE7ELNS1_3repE0EEENS1_30default_config_static_selectorELNS0_4arch9wavefront6targetE1EEEvT1_
; %bb.0:
	.section	.rodata,"a",@progbits
	.p2align	6, 0x0
	.amdhsa_kernel _ZN7rocprim17ROCPRIM_400000_NS6detail17trampoline_kernelINS0_14default_configENS1_29reduce_by_key_config_selectorIflN6thrust23THRUST_200600_302600_NS4plusIlEEEEZZNS1_33reduce_by_key_impl_wrapped_configILNS1_25lookback_scan_determinismE0ES3_S9_PfNS6_17constant_iteratorIiNS6_11use_defaultESE_EENS6_10device_ptrIfEENSG_IlEEPmS8_NS6_8equal_toIfEEEE10hipError_tPvRmT2_T3_mT4_T5_T6_T7_T8_P12ihipStream_tbENKUlT_T0_E_clISt17integral_constantIbLb0EES12_IbLb1EEEEDaSY_SZ_EUlSY_E_NS1_11comp_targetILNS1_3genE3ELNS1_11target_archE908ELNS1_3gpuE7ELNS1_3repE0EEENS1_30default_config_static_selectorELNS0_4arch9wavefront6targetE1EEEvT1_
		.amdhsa_group_segment_fixed_size 0
		.amdhsa_private_segment_fixed_size 0
		.amdhsa_kernarg_size 144
		.amdhsa_user_sgpr_count 6
		.amdhsa_user_sgpr_private_segment_buffer 1
		.amdhsa_user_sgpr_dispatch_ptr 0
		.amdhsa_user_sgpr_queue_ptr 0
		.amdhsa_user_sgpr_kernarg_segment_ptr 1
		.amdhsa_user_sgpr_dispatch_id 0
		.amdhsa_user_sgpr_flat_scratch_init 0
		.amdhsa_user_sgpr_private_segment_size 0
		.amdhsa_uses_dynamic_stack 0
		.amdhsa_system_sgpr_private_segment_wavefront_offset 0
		.amdhsa_system_sgpr_workgroup_id_x 1
		.amdhsa_system_sgpr_workgroup_id_y 0
		.amdhsa_system_sgpr_workgroup_id_z 0
		.amdhsa_system_sgpr_workgroup_info 0
		.amdhsa_system_vgpr_workitem_id 0
		.amdhsa_next_free_vgpr 1
		.amdhsa_next_free_sgpr 0
		.amdhsa_reserve_vcc 0
		.amdhsa_reserve_flat_scratch 0
		.amdhsa_float_round_mode_32 0
		.amdhsa_float_round_mode_16_64 0
		.amdhsa_float_denorm_mode_32 3
		.amdhsa_float_denorm_mode_16_64 3
		.amdhsa_dx10_clamp 1
		.amdhsa_ieee_mode 1
		.amdhsa_fp16_overflow 0
		.amdhsa_exception_fp_ieee_invalid_op 0
		.amdhsa_exception_fp_denorm_src 0
		.amdhsa_exception_fp_ieee_div_zero 0
		.amdhsa_exception_fp_ieee_overflow 0
		.amdhsa_exception_fp_ieee_underflow 0
		.amdhsa_exception_fp_ieee_inexact 0
		.amdhsa_exception_int_div_zero 0
	.end_amdhsa_kernel
	.section	.text._ZN7rocprim17ROCPRIM_400000_NS6detail17trampoline_kernelINS0_14default_configENS1_29reduce_by_key_config_selectorIflN6thrust23THRUST_200600_302600_NS4plusIlEEEEZZNS1_33reduce_by_key_impl_wrapped_configILNS1_25lookback_scan_determinismE0ES3_S9_PfNS6_17constant_iteratorIiNS6_11use_defaultESE_EENS6_10device_ptrIfEENSG_IlEEPmS8_NS6_8equal_toIfEEEE10hipError_tPvRmT2_T3_mT4_T5_T6_T7_T8_P12ihipStream_tbENKUlT_T0_E_clISt17integral_constantIbLb0EES12_IbLb1EEEEDaSY_SZ_EUlSY_E_NS1_11comp_targetILNS1_3genE3ELNS1_11target_archE908ELNS1_3gpuE7ELNS1_3repE0EEENS1_30default_config_static_selectorELNS0_4arch9wavefront6targetE1EEEvT1_,"axG",@progbits,_ZN7rocprim17ROCPRIM_400000_NS6detail17trampoline_kernelINS0_14default_configENS1_29reduce_by_key_config_selectorIflN6thrust23THRUST_200600_302600_NS4plusIlEEEEZZNS1_33reduce_by_key_impl_wrapped_configILNS1_25lookback_scan_determinismE0ES3_S9_PfNS6_17constant_iteratorIiNS6_11use_defaultESE_EENS6_10device_ptrIfEENSG_IlEEPmS8_NS6_8equal_toIfEEEE10hipError_tPvRmT2_T3_mT4_T5_T6_T7_T8_P12ihipStream_tbENKUlT_T0_E_clISt17integral_constantIbLb0EES12_IbLb1EEEEDaSY_SZ_EUlSY_E_NS1_11comp_targetILNS1_3genE3ELNS1_11target_archE908ELNS1_3gpuE7ELNS1_3repE0EEENS1_30default_config_static_selectorELNS0_4arch9wavefront6targetE1EEEvT1_,comdat
.Lfunc_end1936:
	.size	_ZN7rocprim17ROCPRIM_400000_NS6detail17trampoline_kernelINS0_14default_configENS1_29reduce_by_key_config_selectorIflN6thrust23THRUST_200600_302600_NS4plusIlEEEEZZNS1_33reduce_by_key_impl_wrapped_configILNS1_25lookback_scan_determinismE0ES3_S9_PfNS6_17constant_iteratorIiNS6_11use_defaultESE_EENS6_10device_ptrIfEENSG_IlEEPmS8_NS6_8equal_toIfEEEE10hipError_tPvRmT2_T3_mT4_T5_T6_T7_T8_P12ihipStream_tbENKUlT_T0_E_clISt17integral_constantIbLb0EES12_IbLb1EEEEDaSY_SZ_EUlSY_E_NS1_11comp_targetILNS1_3genE3ELNS1_11target_archE908ELNS1_3gpuE7ELNS1_3repE0EEENS1_30default_config_static_selectorELNS0_4arch9wavefront6targetE1EEEvT1_, .Lfunc_end1936-_ZN7rocprim17ROCPRIM_400000_NS6detail17trampoline_kernelINS0_14default_configENS1_29reduce_by_key_config_selectorIflN6thrust23THRUST_200600_302600_NS4plusIlEEEEZZNS1_33reduce_by_key_impl_wrapped_configILNS1_25lookback_scan_determinismE0ES3_S9_PfNS6_17constant_iteratorIiNS6_11use_defaultESE_EENS6_10device_ptrIfEENSG_IlEEPmS8_NS6_8equal_toIfEEEE10hipError_tPvRmT2_T3_mT4_T5_T6_T7_T8_P12ihipStream_tbENKUlT_T0_E_clISt17integral_constantIbLb0EES12_IbLb1EEEEDaSY_SZ_EUlSY_E_NS1_11comp_targetILNS1_3genE3ELNS1_11target_archE908ELNS1_3gpuE7ELNS1_3repE0EEENS1_30default_config_static_selectorELNS0_4arch9wavefront6targetE1EEEvT1_
                                        ; -- End function
	.set _ZN7rocprim17ROCPRIM_400000_NS6detail17trampoline_kernelINS0_14default_configENS1_29reduce_by_key_config_selectorIflN6thrust23THRUST_200600_302600_NS4plusIlEEEEZZNS1_33reduce_by_key_impl_wrapped_configILNS1_25lookback_scan_determinismE0ES3_S9_PfNS6_17constant_iteratorIiNS6_11use_defaultESE_EENS6_10device_ptrIfEENSG_IlEEPmS8_NS6_8equal_toIfEEEE10hipError_tPvRmT2_T3_mT4_T5_T6_T7_T8_P12ihipStream_tbENKUlT_T0_E_clISt17integral_constantIbLb0EES12_IbLb1EEEEDaSY_SZ_EUlSY_E_NS1_11comp_targetILNS1_3genE3ELNS1_11target_archE908ELNS1_3gpuE7ELNS1_3repE0EEENS1_30default_config_static_selectorELNS0_4arch9wavefront6targetE1EEEvT1_.num_vgpr, 0
	.set _ZN7rocprim17ROCPRIM_400000_NS6detail17trampoline_kernelINS0_14default_configENS1_29reduce_by_key_config_selectorIflN6thrust23THRUST_200600_302600_NS4plusIlEEEEZZNS1_33reduce_by_key_impl_wrapped_configILNS1_25lookback_scan_determinismE0ES3_S9_PfNS6_17constant_iteratorIiNS6_11use_defaultESE_EENS6_10device_ptrIfEENSG_IlEEPmS8_NS6_8equal_toIfEEEE10hipError_tPvRmT2_T3_mT4_T5_T6_T7_T8_P12ihipStream_tbENKUlT_T0_E_clISt17integral_constantIbLb0EES12_IbLb1EEEEDaSY_SZ_EUlSY_E_NS1_11comp_targetILNS1_3genE3ELNS1_11target_archE908ELNS1_3gpuE7ELNS1_3repE0EEENS1_30default_config_static_selectorELNS0_4arch9wavefront6targetE1EEEvT1_.num_agpr, 0
	.set _ZN7rocprim17ROCPRIM_400000_NS6detail17trampoline_kernelINS0_14default_configENS1_29reduce_by_key_config_selectorIflN6thrust23THRUST_200600_302600_NS4plusIlEEEEZZNS1_33reduce_by_key_impl_wrapped_configILNS1_25lookback_scan_determinismE0ES3_S9_PfNS6_17constant_iteratorIiNS6_11use_defaultESE_EENS6_10device_ptrIfEENSG_IlEEPmS8_NS6_8equal_toIfEEEE10hipError_tPvRmT2_T3_mT4_T5_T6_T7_T8_P12ihipStream_tbENKUlT_T0_E_clISt17integral_constantIbLb0EES12_IbLb1EEEEDaSY_SZ_EUlSY_E_NS1_11comp_targetILNS1_3genE3ELNS1_11target_archE908ELNS1_3gpuE7ELNS1_3repE0EEENS1_30default_config_static_selectorELNS0_4arch9wavefront6targetE1EEEvT1_.numbered_sgpr, 0
	.set _ZN7rocprim17ROCPRIM_400000_NS6detail17trampoline_kernelINS0_14default_configENS1_29reduce_by_key_config_selectorIflN6thrust23THRUST_200600_302600_NS4plusIlEEEEZZNS1_33reduce_by_key_impl_wrapped_configILNS1_25lookback_scan_determinismE0ES3_S9_PfNS6_17constant_iteratorIiNS6_11use_defaultESE_EENS6_10device_ptrIfEENSG_IlEEPmS8_NS6_8equal_toIfEEEE10hipError_tPvRmT2_T3_mT4_T5_T6_T7_T8_P12ihipStream_tbENKUlT_T0_E_clISt17integral_constantIbLb0EES12_IbLb1EEEEDaSY_SZ_EUlSY_E_NS1_11comp_targetILNS1_3genE3ELNS1_11target_archE908ELNS1_3gpuE7ELNS1_3repE0EEENS1_30default_config_static_selectorELNS0_4arch9wavefront6targetE1EEEvT1_.num_named_barrier, 0
	.set _ZN7rocprim17ROCPRIM_400000_NS6detail17trampoline_kernelINS0_14default_configENS1_29reduce_by_key_config_selectorIflN6thrust23THRUST_200600_302600_NS4plusIlEEEEZZNS1_33reduce_by_key_impl_wrapped_configILNS1_25lookback_scan_determinismE0ES3_S9_PfNS6_17constant_iteratorIiNS6_11use_defaultESE_EENS6_10device_ptrIfEENSG_IlEEPmS8_NS6_8equal_toIfEEEE10hipError_tPvRmT2_T3_mT4_T5_T6_T7_T8_P12ihipStream_tbENKUlT_T0_E_clISt17integral_constantIbLb0EES12_IbLb1EEEEDaSY_SZ_EUlSY_E_NS1_11comp_targetILNS1_3genE3ELNS1_11target_archE908ELNS1_3gpuE7ELNS1_3repE0EEENS1_30default_config_static_selectorELNS0_4arch9wavefront6targetE1EEEvT1_.private_seg_size, 0
	.set _ZN7rocprim17ROCPRIM_400000_NS6detail17trampoline_kernelINS0_14default_configENS1_29reduce_by_key_config_selectorIflN6thrust23THRUST_200600_302600_NS4plusIlEEEEZZNS1_33reduce_by_key_impl_wrapped_configILNS1_25lookback_scan_determinismE0ES3_S9_PfNS6_17constant_iteratorIiNS6_11use_defaultESE_EENS6_10device_ptrIfEENSG_IlEEPmS8_NS6_8equal_toIfEEEE10hipError_tPvRmT2_T3_mT4_T5_T6_T7_T8_P12ihipStream_tbENKUlT_T0_E_clISt17integral_constantIbLb0EES12_IbLb1EEEEDaSY_SZ_EUlSY_E_NS1_11comp_targetILNS1_3genE3ELNS1_11target_archE908ELNS1_3gpuE7ELNS1_3repE0EEENS1_30default_config_static_selectorELNS0_4arch9wavefront6targetE1EEEvT1_.uses_vcc, 0
	.set _ZN7rocprim17ROCPRIM_400000_NS6detail17trampoline_kernelINS0_14default_configENS1_29reduce_by_key_config_selectorIflN6thrust23THRUST_200600_302600_NS4plusIlEEEEZZNS1_33reduce_by_key_impl_wrapped_configILNS1_25lookback_scan_determinismE0ES3_S9_PfNS6_17constant_iteratorIiNS6_11use_defaultESE_EENS6_10device_ptrIfEENSG_IlEEPmS8_NS6_8equal_toIfEEEE10hipError_tPvRmT2_T3_mT4_T5_T6_T7_T8_P12ihipStream_tbENKUlT_T0_E_clISt17integral_constantIbLb0EES12_IbLb1EEEEDaSY_SZ_EUlSY_E_NS1_11comp_targetILNS1_3genE3ELNS1_11target_archE908ELNS1_3gpuE7ELNS1_3repE0EEENS1_30default_config_static_selectorELNS0_4arch9wavefront6targetE1EEEvT1_.uses_flat_scratch, 0
	.set _ZN7rocprim17ROCPRIM_400000_NS6detail17trampoline_kernelINS0_14default_configENS1_29reduce_by_key_config_selectorIflN6thrust23THRUST_200600_302600_NS4plusIlEEEEZZNS1_33reduce_by_key_impl_wrapped_configILNS1_25lookback_scan_determinismE0ES3_S9_PfNS6_17constant_iteratorIiNS6_11use_defaultESE_EENS6_10device_ptrIfEENSG_IlEEPmS8_NS6_8equal_toIfEEEE10hipError_tPvRmT2_T3_mT4_T5_T6_T7_T8_P12ihipStream_tbENKUlT_T0_E_clISt17integral_constantIbLb0EES12_IbLb1EEEEDaSY_SZ_EUlSY_E_NS1_11comp_targetILNS1_3genE3ELNS1_11target_archE908ELNS1_3gpuE7ELNS1_3repE0EEENS1_30default_config_static_selectorELNS0_4arch9wavefront6targetE1EEEvT1_.has_dyn_sized_stack, 0
	.set _ZN7rocprim17ROCPRIM_400000_NS6detail17trampoline_kernelINS0_14default_configENS1_29reduce_by_key_config_selectorIflN6thrust23THRUST_200600_302600_NS4plusIlEEEEZZNS1_33reduce_by_key_impl_wrapped_configILNS1_25lookback_scan_determinismE0ES3_S9_PfNS6_17constant_iteratorIiNS6_11use_defaultESE_EENS6_10device_ptrIfEENSG_IlEEPmS8_NS6_8equal_toIfEEEE10hipError_tPvRmT2_T3_mT4_T5_T6_T7_T8_P12ihipStream_tbENKUlT_T0_E_clISt17integral_constantIbLb0EES12_IbLb1EEEEDaSY_SZ_EUlSY_E_NS1_11comp_targetILNS1_3genE3ELNS1_11target_archE908ELNS1_3gpuE7ELNS1_3repE0EEENS1_30default_config_static_selectorELNS0_4arch9wavefront6targetE1EEEvT1_.has_recursion, 0
	.set _ZN7rocprim17ROCPRIM_400000_NS6detail17trampoline_kernelINS0_14default_configENS1_29reduce_by_key_config_selectorIflN6thrust23THRUST_200600_302600_NS4plusIlEEEEZZNS1_33reduce_by_key_impl_wrapped_configILNS1_25lookback_scan_determinismE0ES3_S9_PfNS6_17constant_iteratorIiNS6_11use_defaultESE_EENS6_10device_ptrIfEENSG_IlEEPmS8_NS6_8equal_toIfEEEE10hipError_tPvRmT2_T3_mT4_T5_T6_T7_T8_P12ihipStream_tbENKUlT_T0_E_clISt17integral_constantIbLb0EES12_IbLb1EEEEDaSY_SZ_EUlSY_E_NS1_11comp_targetILNS1_3genE3ELNS1_11target_archE908ELNS1_3gpuE7ELNS1_3repE0EEENS1_30default_config_static_selectorELNS0_4arch9wavefront6targetE1EEEvT1_.has_indirect_call, 0
	.section	.AMDGPU.csdata,"",@progbits
; Kernel info:
; codeLenInByte = 0
; TotalNumSgprs: 4
; NumVgprs: 0
; ScratchSize: 0
; MemoryBound: 0
; FloatMode: 240
; IeeeMode: 1
; LDSByteSize: 0 bytes/workgroup (compile time only)
; SGPRBlocks: 0
; VGPRBlocks: 0
; NumSGPRsForWavesPerEU: 4
; NumVGPRsForWavesPerEU: 1
; Occupancy: 10
; WaveLimiterHint : 0
; COMPUTE_PGM_RSRC2:SCRATCH_EN: 0
; COMPUTE_PGM_RSRC2:USER_SGPR: 6
; COMPUTE_PGM_RSRC2:TRAP_HANDLER: 0
; COMPUTE_PGM_RSRC2:TGID_X_EN: 1
; COMPUTE_PGM_RSRC2:TGID_Y_EN: 0
; COMPUTE_PGM_RSRC2:TGID_Z_EN: 0
; COMPUTE_PGM_RSRC2:TIDIG_COMP_CNT: 0
	.section	.text._ZN7rocprim17ROCPRIM_400000_NS6detail17trampoline_kernelINS0_14default_configENS1_29reduce_by_key_config_selectorIflN6thrust23THRUST_200600_302600_NS4plusIlEEEEZZNS1_33reduce_by_key_impl_wrapped_configILNS1_25lookback_scan_determinismE0ES3_S9_PfNS6_17constant_iteratorIiNS6_11use_defaultESE_EENS6_10device_ptrIfEENSG_IlEEPmS8_NS6_8equal_toIfEEEE10hipError_tPvRmT2_T3_mT4_T5_T6_T7_T8_P12ihipStream_tbENKUlT_T0_E_clISt17integral_constantIbLb0EES12_IbLb1EEEEDaSY_SZ_EUlSY_E_NS1_11comp_targetILNS1_3genE2ELNS1_11target_archE906ELNS1_3gpuE6ELNS1_3repE0EEENS1_30default_config_static_selectorELNS0_4arch9wavefront6targetE1EEEvT1_,"axG",@progbits,_ZN7rocprim17ROCPRIM_400000_NS6detail17trampoline_kernelINS0_14default_configENS1_29reduce_by_key_config_selectorIflN6thrust23THRUST_200600_302600_NS4plusIlEEEEZZNS1_33reduce_by_key_impl_wrapped_configILNS1_25lookback_scan_determinismE0ES3_S9_PfNS6_17constant_iteratorIiNS6_11use_defaultESE_EENS6_10device_ptrIfEENSG_IlEEPmS8_NS6_8equal_toIfEEEE10hipError_tPvRmT2_T3_mT4_T5_T6_T7_T8_P12ihipStream_tbENKUlT_T0_E_clISt17integral_constantIbLb0EES12_IbLb1EEEEDaSY_SZ_EUlSY_E_NS1_11comp_targetILNS1_3genE2ELNS1_11target_archE906ELNS1_3gpuE6ELNS1_3repE0EEENS1_30default_config_static_selectorELNS0_4arch9wavefront6targetE1EEEvT1_,comdat
	.protected	_ZN7rocprim17ROCPRIM_400000_NS6detail17trampoline_kernelINS0_14default_configENS1_29reduce_by_key_config_selectorIflN6thrust23THRUST_200600_302600_NS4plusIlEEEEZZNS1_33reduce_by_key_impl_wrapped_configILNS1_25lookback_scan_determinismE0ES3_S9_PfNS6_17constant_iteratorIiNS6_11use_defaultESE_EENS6_10device_ptrIfEENSG_IlEEPmS8_NS6_8equal_toIfEEEE10hipError_tPvRmT2_T3_mT4_T5_T6_T7_T8_P12ihipStream_tbENKUlT_T0_E_clISt17integral_constantIbLb0EES12_IbLb1EEEEDaSY_SZ_EUlSY_E_NS1_11comp_targetILNS1_3genE2ELNS1_11target_archE906ELNS1_3gpuE6ELNS1_3repE0EEENS1_30default_config_static_selectorELNS0_4arch9wavefront6targetE1EEEvT1_ ; -- Begin function _ZN7rocprim17ROCPRIM_400000_NS6detail17trampoline_kernelINS0_14default_configENS1_29reduce_by_key_config_selectorIflN6thrust23THRUST_200600_302600_NS4plusIlEEEEZZNS1_33reduce_by_key_impl_wrapped_configILNS1_25lookback_scan_determinismE0ES3_S9_PfNS6_17constant_iteratorIiNS6_11use_defaultESE_EENS6_10device_ptrIfEENSG_IlEEPmS8_NS6_8equal_toIfEEEE10hipError_tPvRmT2_T3_mT4_T5_T6_T7_T8_P12ihipStream_tbENKUlT_T0_E_clISt17integral_constantIbLb0EES12_IbLb1EEEEDaSY_SZ_EUlSY_E_NS1_11comp_targetILNS1_3genE2ELNS1_11target_archE906ELNS1_3gpuE6ELNS1_3repE0EEENS1_30default_config_static_selectorELNS0_4arch9wavefront6targetE1EEEvT1_
	.globl	_ZN7rocprim17ROCPRIM_400000_NS6detail17trampoline_kernelINS0_14default_configENS1_29reduce_by_key_config_selectorIflN6thrust23THRUST_200600_302600_NS4plusIlEEEEZZNS1_33reduce_by_key_impl_wrapped_configILNS1_25lookback_scan_determinismE0ES3_S9_PfNS6_17constant_iteratorIiNS6_11use_defaultESE_EENS6_10device_ptrIfEENSG_IlEEPmS8_NS6_8equal_toIfEEEE10hipError_tPvRmT2_T3_mT4_T5_T6_T7_T8_P12ihipStream_tbENKUlT_T0_E_clISt17integral_constantIbLb0EES12_IbLb1EEEEDaSY_SZ_EUlSY_E_NS1_11comp_targetILNS1_3genE2ELNS1_11target_archE906ELNS1_3gpuE6ELNS1_3repE0EEENS1_30default_config_static_selectorELNS0_4arch9wavefront6targetE1EEEvT1_
	.p2align	8
	.type	_ZN7rocprim17ROCPRIM_400000_NS6detail17trampoline_kernelINS0_14default_configENS1_29reduce_by_key_config_selectorIflN6thrust23THRUST_200600_302600_NS4plusIlEEEEZZNS1_33reduce_by_key_impl_wrapped_configILNS1_25lookback_scan_determinismE0ES3_S9_PfNS6_17constant_iteratorIiNS6_11use_defaultESE_EENS6_10device_ptrIfEENSG_IlEEPmS8_NS6_8equal_toIfEEEE10hipError_tPvRmT2_T3_mT4_T5_T6_T7_T8_P12ihipStream_tbENKUlT_T0_E_clISt17integral_constantIbLb0EES12_IbLb1EEEEDaSY_SZ_EUlSY_E_NS1_11comp_targetILNS1_3genE2ELNS1_11target_archE906ELNS1_3gpuE6ELNS1_3repE0EEENS1_30default_config_static_selectorELNS0_4arch9wavefront6targetE1EEEvT1_,@function
_ZN7rocprim17ROCPRIM_400000_NS6detail17trampoline_kernelINS0_14default_configENS1_29reduce_by_key_config_selectorIflN6thrust23THRUST_200600_302600_NS4plusIlEEEEZZNS1_33reduce_by_key_impl_wrapped_configILNS1_25lookback_scan_determinismE0ES3_S9_PfNS6_17constant_iteratorIiNS6_11use_defaultESE_EENS6_10device_ptrIfEENSG_IlEEPmS8_NS6_8equal_toIfEEEE10hipError_tPvRmT2_T3_mT4_T5_T6_T7_T8_P12ihipStream_tbENKUlT_T0_E_clISt17integral_constantIbLb0EES12_IbLb1EEEEDaSY_SZ_EUlSY_E_NS1_11comp_targetILNS1_3genE2ELNS1_11target_archE906ELNS1_3gpuE6ELNS1_3repE0EEENS1_30default_config_static_selectorELNS0_4arch9wavefront6targetE1EEEvT1_: ; @_ZN7rocprim17ROCPRIM_400000_NS6detail17trampoline_kernelINS0_14default_configENS1_29reduce_by_key_config_selectorIflN6thrust23THRUST_200600_302600_NS4plusIlEEEEZZNS1_33reduce_by_key_impl_wrapped_configILNS1_25lookback_scan_determinismE0ES3_S9_PfNS6_17constant_iteratorIiNS6_11use_defaultESE_EENS6_10device_ptrIfEENSG_IlEEPmS8_NS6_8equal_toIfEEEE10hipError_tPvRmT2_T3_mT4_T5_T6_T7_T8_P12ihipStream_tbENKUlT_T0_E_clISt17integral_constantIbLb0EES12_IbLb1EEEEDaSY_SZ_EUlSY_E_NS1_11comp_targetILNS1_3genE2ELNS1_11target_archE906ELNS1_3gpuE6ELNS1_3repE0EEENS1_30default_config_static_selectorELNS0_4arch9wavefront6targetE1EEEvT1_
; %bb.0:
	s_load_dwordx4 s[56:59], s[4:5], 0x20
	s_load_dwordx2 s[60:61], s[4:5], 0x30
	s_load_dwordx2 s[36:37], s[4:5], 0x80
	s_add_u32 s0, s0, s7
	s_addc_u32 s1, s1, 0
	v_cmp_ne_u32_e64 s[6:7], 0, v0
	v_cmp_eq_u32_e64 s[38:39], 0, v0
	s_and_saveexec_b64 s[8:9], s[38:39]
	s_cbranch_execz .LBB1937_4
; %bb.1:
	s_mov_b64 s[12:13], exec
	v_mbcnt_lo_u32_b32 v1, s12, 0
	v_mbcnt_hi_u32_b32 v1, s13, v1
	v_cmp_eq_u32_e32 vcc, 0, v1
                                        ; implicit-def: $vgpr2
	s_and_saveexec_b64 s[10:11], vcc
	s_cbranch_execz .LBB1937_3
; %bb.2:
	s_load_dwordx2 s[14:15], s[4:5], 0x88
	s_bcnt1_i32_b64 s12, s[12:13]
	v_mov_b32_e32 v2, 0
	v_mov_b32_e32 v3, s12
	s_waitcnt lgkmcnt(0)
	global_atomic_add v2, v2, v3, s[14:15] glc
.LBB1937_3:
	s_or_b64 exec, exec, s[10:11]
	s_waitcnt vmcnt(0)
	v_readfirstlane_b32 s10, v2
	v_add_u32_e32 v1, s10, v1
	v_mov_b32_e32 v2, 0
	ds_write_b32 v2, v1
.LBB1937_4:
	s_or_b64 exec, exec, s[8:9]
	s_load_dwordx4 s[8:11], s[4:5], 0x0
	s_load_dword s12, s[4:5], 0x18
	s_load_dwordx16 s[40:55], s[4:5], 0x40
	v_mov_b32_e32 v2, 0
	s_waitcnt lgkmcnt(0)
	s_barrier
	ds_read_b32 v1, v2
	s_mul_i32 s4, s48, s47
	s_mul_hi_u32 s5, s48, s46
	s_add_i32 s4, s5, s4
	s_mul_i32 s5, s49, s46
	s_add_i32 s13, s4, s5
	s_lshl_b64 s[4:5], s[10:11], 2
	s_add_u32 s4, s8, s4
	s_movk_i32 s8, 0xf00
	s_waitcnt lgkmcnt(0)
	v_readfirstlane_b32 s64, v1
	v_mul_lo_u32 v1, v1, s8
	s_mul_i32 s14, s48, s46
	s_addc_u32 s5, s9, s5
	v_mov_b32_e32 v3, s5
	v_lshlrev_b64 v[1:2], 2, v[1:2]
	s_mov_b64 s[10:11], -1
	v_add_co_u32_e32 v43, vcc, s4, v1
	s_add_u32 s4, s14, s64
	s_addc_u32 s5, s13, 0
	s_add_u32 s14, s50, -1
	s_addc_u32 s15, s51, -1
	s_cmp_eq_u64 s[4:5], s[14:15]
	v_addc_co_u32_e32 v44, vcc, v3, v2, vcc
	s_cselect_b64 s[48:49], -1, 0
	s_cmp_lg_u64 s[4:5], s[14:15]
	s_cselect_b64 s[8:9], -1, 0
	s_mul_i32 s33, s14, 0xfffff100
	s_and_b64 vcc, exec, s[48:49]
	s_barrier
	s_cbranch_vccnz .LBB1937_6
; %bb.5:
	v_lshlrev_b32_e32 v5, 2, v0
	v_add_co_u32_e32 v3, vcc, v43, v5
	v_addc_co_u32_e32 v4, vcc, 0, v44, vcc
	v_add_co_u32_e32 v1, vcc, 0x1000, v3
	v_readfirstlane_b32 s10, v43
	v_readfirstlane_b32 s11, v44
	v_addc_co_u32_e32 v2, vcc, 0, v4, vcc
	s_nop 3
	global_load_dword v6, v5, s[10:11]
	global_load_dword v7, v5, s[10:11] offset:1024
	global_load_dword v8, v5, s[10:11] offset:2048
	;; [unrolled: 1-line block ×3, first 2 shown]
	global_load_dword v10, v[1:2], off
	global_load_dword v11, v[1:2], off offset:1024
	global_load_dword v12, v[1:2], off offset:2048
	;; [unrolled: 1-line block ×3, first 2 shown]
	v_add_co_u32_e32 v1, vcc, 0x2000, v3
	v_addc_co_u32_e32 v2, vcc, 0, v4, vcc
	v_add_co_u32_e32 v3, vcc, 0x3000, v3
	v_addc_co_u32_e32 v4, vcc, 0, v4, vcc
	global_load_dword v14, v[1:2], off
	global_load_dword v15, v[1:2], off offset:1024
	global_load_dword v16, v[1:2], off offset:2048
	;; [unrolled: 1-line block ×3, first 2 shown]
	global_load_dword v18, v[3:4], off
	global_load_dword v19, v[3:4], off offset:1024
	global_load_dword v20, v[3:4], off offset:2048
	v_mad_u32_u24 v4, v0, 56, v5
	s_ashr_i32 s13, s12, 31
	s_movk_i32 s10, 0xffcc
	v_mov_b32_e32 v2, s12
	v_mul_u32_u24_e32 v1, 15, v0
	v_mov_b32_e32 v3, s13
	v_mad_i32_i24 v21, v0, s10, v4
	s_waitcnt vmcnt(13)
	ds_write2st64_b32 v5, v6, v7 offset1:4
	s_waitcnt vmcnt(11)
	ds_write2st64_b32 v5, v8, v9 offset0:8 offset1:12
	s_waitcnt vmcnt(9)
	ds_write2st64_b32 v5, v10, v11 offset0:16 offset1:20
	;; [unrolled: 2-line block ×6, first 2 shown]
	s_waitcnt vmcnt(0)
	ds_write_b32 v5, v20 offset:14336
	s_waitcnt lgkmcnt(0)
	s_barrier
	ds_read2_b32 v[41:42], v4 offset1:1
	ds_read2_b32 v[39:40], v4 offset0:2 offset1:3
	ds_read2_b32 v[37:38], v4 offset0:4 offset1:5
	;; [unrolled: 1-line block ×6, first 2 shown]
	ds_read_b32 v81, v4 offset:56
	s_waitcnt lgkmcnt(0)
	s_barrier
	ds_write2st64_b64 v21, v[2:3], v[2:3] offset1:4
	ds_write2st64_b64 v21, v[2:3], v[2:3] offset0:8 offset1:12
	ds_write2st64_b64 v21, v[2:3], v[2:3] offset0:16 offset1:20
	;; [unrolled: 1-line block ×6, first 2 shown]
	ds_write_b64 v21, v[2:3] offset:28672
	s_waitcnt lgkmcnt(0)
	s_barrier
	s_add_i32 s33, s33, s52
	s_cbranch_execz .LBB1937_7
	s_branch .LBB1937_38
.LBB1937_6:
                                        ; implicit-def: $vgpr41
                                        ; implicit-def: $vgpr39
                                        ; implicit-def: $vgpr37
                                        ; implicit-def: $vgpr35
                                        ; implicit-def: $vgpr33
                                        ; implicit-def: $vgpr31
                                        ; implicit-def: $vgpr29
                                        ; implicit-def: $vgpr81
                                        ; implicit-def: $vgpr1
	s_andn2_b64 vcc, exec, s[10:11]
	s_add_i32 s33, s33, s52
	s_cbranch_vccnz .LBB1937_38
.LBB1937_7:
	v_cmp_gt_u32_e32 vcc, s33, v0
                                        ; implicit-def: $vgpr1
	s_and_saveexec_b64 s[10:11], vcc
	s_cbranch_execz .LBB1937_9
; %bb.8:
	v_lshlrev_b32_e32 v1, 2, v0
	v_readfirstlane_b32 s14, v43
	v_readfirstlane_b32 s15, v44
	s_nop 4
	global_load_dword v1, v1, s[14:15]
.LBB1937_9:
	s_or_b64 exec, exec, s[10:11]
	v_or_b32_e32 v2, 0x100, v0
	v_cmp_gt_u32_e32 vcc, s33, v2
                                        ; implicit-def: $vgpr2
	s_and_saveexec_b64 s[10:11], vcc
	s_cbranch_execz .LBB1937_11
; %bb.10:
	v_lshlrev_b32_e32 v2, 2, v0
	v_readfirstlane_b32 s14, v43
	v_readfirstlane_b32 s15, v44
	s_nop 4
	global_load_dword v2, v2, s[14:15] offset:1024
.LBB1937_11:
	s_or_b64 exec, exec, s[10:11]
	v_or_b32_e32 v3, 0x200, v0
	v_cmp_gt_u32_e32 vcc, s33, v3
                                        ; implicit-def: $vgpr3
	s_and_saveexec_b64 s[10:11], vcc
	s_cbranch_execz .LBB1937_13
; %bb.12:
	v_lshlrev_b32_e32 v3, 2, v0
	v_readfirstlane_b32 s14, v43
	v_readfirstlane_b32 s15, v44
	s_nop 4
	global_load_dword v3, v3, s[14:15] offset:2048
.LBB1937_13:
	s_or_b64 exec, exec, s[10:11]
	v_or_b32_e32 v4, 0x300, v0
	v_cmp_gt_u32_e32 vcc, s33, v4
                                        ; implicit-def: $vgpr4
	s_and_saveexec_b64 s[10:11], vcc
	s_cbranch_execz .LBB1937_15
; %bb.14:
	v_lshlrev_b32_e32 v4, 2, v0
	v_readfirstlane_b32 s14, v43
	v_readfirstlane_b32 s15, v44
	s_nop 4
	global_load_dword v4, v4, s[14:15] offset:3072
.LBB1937_15:
	s_or_b64 exec, exec, s[10:11]
	v_or_b32_e32 v6, 0x400, v0
	v_cmp_gt_u32_e32 vcc, s33, v6
                                        ; implicit-def: $vgpr5
	s_and_saveexec_b64 s[10:11], vcc
	s_cbranch_execz .LBB1937_17
; %bb.16:
	v_lshlrev_b32_e32 v5, 2, v6
	v_readfirstlane_b32 s14, v43
	v_readfirstlane_b32 s15, v44
	s_nop 4
	global_load_dword v5, v5, s[14:15]
.LBB1937_17:
	s_or_b64 exec, exec, s[10:11]
	v_or_b32_e32 v7, 0x500, v0
	v_cmp_gt_u32_e32 vcc, s33, v7
                                        ; implicit-def: $vgpr6
	s_and_saveexec_b64 s[10:11], vcc
	s_cbranch_execz .LBB1937_19
; %bb.18:
	v_lshlrev_b32_e32 v6, 2, v7
	v_readfirstlane_b32 s14, v43
	v_readfirstlane_b32 s15, v44
	s_nop 4
	global_load_dword v6, v6, s[14:15]
.LBB1937_19:
	s_or_b64 exec, exec, s[10:11]
	v_or_b32_e32 v8, 0x600, v0
	v_cmp_gt_u32_e32 vcc, s33, v8
                                        ; implicit-def: $vgpr7
	s_and_saveexec_b64 s[10:11], vcc
	s_cbranch_execz .LBB1937_21
; %bb.20:
	v_lshlrev_b32_e32 v7, 2, v8
	v_readfirstlane_b32 s14, v43
	v_readfirstlane_b32 s15, v44
	s_nop 4
	global_load_dword v7, v7, s[14:15]
.LBB1937_21:
	s_or_b64 exec, exec, s[10:11]
	v_or_b32_e32 v9, 0x700, v0
	v_cmp_gt_u32_e32 vcc, s33, v9
                                        ; implicit-def: $vgpr8
	s_and_saveexec_b64 s[10:11], vcc
	s_cbranch_execz .LBB1937_23
; %bb.22:
	v_lshlrev_b32_e32 v8, 2, v9
	v_readfirstlane_b32 s14, v43
	v_readfirstlane_b32 s15, v44
	s_nop 4
	global_load_dword v8, v8, s[14:15]
.LBB1937_23:
	s_or_b64 exec, exec, s[10:11]
	v_or_b32_e32 v10, 0x800, v0
	v_cmp_gt_u32_e32 vcc, s33, v10
                                        ; implicit-def: $vgpr9
	s_and_saveexec_b64 s[10:11], vcc
	s_cbranch_execz .LBB1937_25
; %bb.24:
	v_lshlrev_b32_e32 v9, 2, v10
	v_readfirstlane_b32 s14, v43
	v_readfirstlane_b32 s15, v44
	s_nop 4
	global_load_dword v9, v9, s[14:15]
.LBB1937_25:
	s_or_b64 exec, exec, s[10:11]
	v_or_b32_e32 v11, 0x900, v0
	v_cmp_gt_u32_e32 vcc, s33, v11
                                        ; implicit-def: $vgpr10
	s_and_saveexec_b64 s[10:11], vcc
	s_cbranch_execz .LBB1937_27
; %bb.26:
	v_lshlrev_b32_e32 v10, 2, v11
	v_readfirstlane_b32 s14, v43
	v_readfirstlane_b32 s15, v44
	s_nop 4
	global_load_dword v10, v10, s[14:15]
.LBB1937_27:
	s_or_b64 exec, exec, s[10:11]
	v_or_b32_e32 v12, 0xa00, v0
	v_cmp_gt_u32_e32 vcc, s33, v12
                                        ; implicit-def: $vgpr11
	s_and_saveexec_b64 s[10:11], vcc
	s_cbranch_execz .LBB1937_29
; %bb.28:
	v_lshlrev_b32_e32 v11, 2, v12
	v_readfirstlane_b32 s14, v43
	v_readfirstlane_b32 s15, v44
	s_nop 4
	global_load_dword v11, v11, s[14:15]
.LBB1937_29:
	s_or_b64 exec, exec, s[10:11]
	v_or_b32_e32 v13, 0xb00, v0
	v_cmp_gt_u32_e32 vcc, s33, v13
                                        ; implicit-def: $vgpr12
	s_and_saveexec_b64 s[10:11], vcc
	s_cbranch_execz .LBB1937_31
; %bb.30:
	v_lshlrev_b32_e32 v12, 2, v13
	v_readfirstlane_b32 s14, v43
	v_readfirstlane_b32 s15, v44
	s_nop 4
	global_load_dword v12, v12, s[14:15]
.LBB1937_31:
	s_or_b64 exec, exec, s[10:11]
	v_or_b32_e32 v14, 0xc00, v0
	v_cmp_gt_u32_e32 vcc, s33, v14
                                        ; implicit-def: $vgpr13
	s_and_saveexec_b64 s[10:11], vcc
	s_cbranch_execz .LBB1937_33
; %bb.32:
	v_lshlrev_b32_e32 v13, 2, v14
	v_readfirstlane_b32 s14, v43
	v_readfirstlane_b32 s15, v44
	s_nop 4
	global_load_dword v13, v13, s[14:15]
.LBB1937_33:
	s_or_b64 exec, exec, s[10:11]
	v_or_b32_e32 v15, 0xd00, v0
	v_cmp_gt_u32_e32 vcc, s33, v15
                                        ; implicit-def: $vgpr14
	s_and_saveexec_b64 s[10:11], vcc
	s_cbranch_execz .LBB1937_35
; %bb.34:
	v_lshlrev_b32_e32 v14, 2, v15
	v_readfirstlane_b32 s14, v43
	v_readfirstlane_b32 s15, v44
	s_nop 4
	global_load_dword v14, v14, s[14:15]
.LBB1937_35:
	s_or_b64 exec, exec, s[10:11]
	v_or_b32_e32 v16, 0xe00, v0
	v_cmp_gt_u32_e32 vcc, s33, v16
                                        ; implicit-def: $vgpr15
	s_and_saveexec_b64 s[10:11], vcc
	s_cbranch_execz .LBB1937_37
; %bb.36:
	v_lshlrev_b32_e32 v15, 2, v16
	v_readfirstlane_b32 s14, v43
	v_readfirstlane_b32 s15, v44
	s_nop 4
	global_load_dword v15, v15, s[14:15]
.LBB1937_37:
	s_or_b64 exec, exec, s[10:11]
	v_lshlrev_b32_e32 v16, 2, v0
	s_waitcnt vmcnt(0)
	ds_write2st64_b32 v16, v1, v2 offset1:4
	ds_write2st64_b32 v16, v3, v4 offset0:8 offset1:12
	ds_write2st64_b32 v16, v5, v6 offset0:16 offset1:20
	;; [unrolled: 1-line block ×6, first 2 shown]
	ds_write_b32 v16, v15 offset:14336
	v_mad_u32_u24 v2, v0, 56, v16
	s_waitcnt lgkmcnt(0)
	s_barrier
	ds_read2_b32 v[41:42], v2 offset1:1
	ds_read2_b32 v[39:40], v2 offset0:2 offset1:3
	ds_read2_b32 v[37:38], v2 offset0:4 offset1:5
	;; [unrolled: 1-line block ×6, first 2 shown]
	ds_read_b32 v81, v2 offset:56
	s_movk_i32 s10, 0xffcc
	s_ashr_i32 s13, s12, 31
	v_mad_i32_i24 v4, v0, s10, v2
	v_mov_b32_e32 v2, s12
	v_mul_u32_u24_e32 v1, 15, v0
	v_mov_b32_e32 v3, s13
	s_waitcnt lgkmcnt(0)
	s_barrier
	ds_write2st64_b64 v4, v[2:3], v[2:3] offset1:4
	ds_write2st64_b64 v4, v[2:3], v[2:3] offset0:8 offset1:12
	ds_write2st64_b64 v4, v[2:3], v[2:3] offset0:16 offset1:20
	;; [unrolled: 1-line block ×6, first 2 shown]
	ds_write_b64 v4, v[2:3] offset:28672
	s_waitcnt lgkmcnt(0)
	s_barrier
.LBB1937_38:
	v_lshlrev_b32_e32 v25, 3, v1
	ds_read_b64 v[75:76], v25 offset:112
	ds_read2_b64 v[1:4], v25 offset0:12 offset1:13
	ds_read2_b64 v[5:8], v25 offset0:10 offset1:11
	;; [unrolled: 1-line block ×6, first 2 shown]
	ds_read2_b64 v[25:28], v25 offset1:1
	s_cmp_eq_u64 s[4:5], 0
	s_cselect_b64 s[50:51], -1, 0
	s_cmp_lg_u64 s[4:5], 0
	s_mov_b64 s[62:63], 0
	s_cselect_b64 s[10:11], -1, 0
	s_and_b64 vcc, exec, s[8:9]
	s_waitcnt lgkmcnt(0)
	s_barrier
	s_cbranch_vccz .LBB1937_43
; %bb.39:
	s_and_b64 vcc, exec, s[10:11]
	s_cbranch_vccz .LBB1937_44
; %bb.40:
	global_load_dword v45, v[43:44], off offset:-4
	v_cmp_neq_f32_e32 vcc, v30, v81
	v_cndmask_b32_e64 v47, 0, 1, vcc
	v_cmp_neq_f32_e32 vcc, v29, v30
	buffer_store_dword v47, off, s[0:3], 0 offset:56
	v_cndmask_b32_e64 v47, 0, 1, vcc
	v_cmp_neq_f32_e32 vcc, v32, v29
	buffer_store_dword v47, off, s[0:3], 0 offset:52
	;; [unrolled: 3-line block ×12, first 2 shown]
	v_cndmask_b32_e64 v47, 0, 1, vcc
	v_cmp_neq_f32_e32 vcc, v41, v42
	v_lshlrev_b32_e32 v46, 2, v0
	buffer_store_dword v47, off, s[0:3], 0 offset:8
	v_cndmask_b32_e64 v47, 0, 1, vcc
	ds_write_b32 v46, v81
	buffer_store_dword v47, off, s[0:3], 0 offset:4
	s_waitcnt vmcnt(0) lgkmcnt(0)
	s_barrier
	s_and_saveexec_b64 s[8:9], s[6:7]
; %bb.41:
	v_add_u32_e32 v45, -4, v46
	ds_read_b32 v45, v45
; %bb.42:
	s_or_b64 exec, exec, s[8:9]
	s_waitcnt lgkmcnt(0)
	v_cmp_neq_f32_e64 s[8:9], v45, v41
	s_mov_b64 s[62:63], -1
	s_branch .LBB1937_48
.LBB1937_43:
                                        ; implicit-def: $sgpr8_sgpr9
	s_cbranch_execnz .LBB1937_49
	s_branch .LBB1937_57
.LBB1937_44:
                                        ; implicit-def: $sgpr8_sgpr9
	s_cbranch_execz .LBB1937_48
; %bb.45:
	v_cmp_neq_f32_e32 vcc, v30, v81
	v_cndmask_b32_e64 v46, 0, 1, vcc
	v_cmp_neq_f32_e32 vcc, v29, v30
	buffer_store_dword v46, off, s[0:3], 0 offset:56
	v_cndmask_b32_e64 v46, 0, 1, vcc
	v_cmp_neq_f32_e32 vcc, v32, v29
	buffer_store_dword v46, off, s[0:3], 0 offset:52
	;; [unrolled: 3-line block ×13, first 2 shown]
	v_cndmask_b32_e64 v46, 0, 1, vcc
	v_lshlrev_b32_e32 v45, 2, v0
	buffer_store_dword v46, off, s[0:3], 0 offset:4
	v_mov_b32_e32 v46, 1
	ds_write_b32 v45, v81
	s_waitcnt vmcnt(0) lgkmcnt(0)
	s_barrier
	buffer_store_dword v46, off, s[0:3], 0
                                        ; implicit-def: $sgpr8_sgpr9
	s_and_saveexec_b64 s[12:13], s[6:7]
	s_xor_b64 s[12:13], exec, s[12:13]
	s_cbranch_execz .LBB1937_47
; %bb.46:
	v_add_u32_e32 v45, -4, v45
	ds_read_b32 v45, v45
	s_or_b64 s[62:63], s[62:63], exec
	s_waitcnt lgkmcnt(0)
	v_cmp_neq_f32_e64 s[8:9], v45, v41
.LBB1937_47:
	s_or_b64 exec, exec, s[12:13]
.LBB1937_48:
	s_branch .LBB1937_57
.LBB1937_49:
	s_mul_hi_u32 s8, s4, 0xfffff100
	s_mulk_i32 s5, 0xf100
	s_sub_i32 s8, s8, s4
	s_add_i32 s8, s8, s5
	s_mulk_i32 s4, 0xf100
	s_add_u32 s52, s4, s52
	s_addc_u32 s53, s8, s53
	s_and_b64 vcc, exec, s[10:11]
	v_cmp_neq_f32_e64 s[4:5], v30, v81
	v_cmp_neq_f32_e64 s[34:35], v29, v30
	;; [unrolled: 1-line block ×14, first 2 shown]
	v_mad_u32_u24 v45, v0, 15, 14
	v_mad_u32_u24 v71, v0, 15, 13
	;; [unrolled: 1-line block ×14, first 2 shown]
	s_cbranch_vccz .LBB1937_53
; %bb.50:
	global_load_dword v73, v[43:44], off offset:-4
	v_mov_b32_e32 v46, 0
	v_cmp_gt_u64_e32 vcc, s[52:53], v[45:46]
	v_mov_b32_e32 v72, v46
	s_and_b64 s[4:5], vcc, s[4:5]
	v_cmp_gt_u64_e32 vcc, s[52:53], v[71:72]
	v_mov_b32_e32 v70, v46
	v_cndmask_b32_e64 v48, 0, 1, s[4:5]
	s_and_b64 s[4:5], vcc, s[34:35]
	v_cmp_gt_u64_e32 vcc, s[52:53], v[69:70]
	v_mov_b32_e32 v68, v46
	buffer_store_dword v48, off, s[0:3], 0 offset:56
	v_cndmask_b32_e64 v48, 0, 1, s[4:5]
	s_and_b64 s[4:5], vcc, s[30:31]
	v_cmp_gt_u64_e32 vcc, s[52:53], v[67:68]
	v_mov_b32_e32 v66, v46
	buffer_store_dword v48, off, s[0:3], 0 offset:52
	;; [unrolled: 5-line block ×9, first 2 shown]
	v_cndmask_b32_e64 v48, 0, 1, s[4:5]
	s_and_b64 s[4:5], vcc, s[14:15]
	v_cmp_gt_u64_e32 vcc, s[52:53], v[51:52]
	buffer_store_dword v48, off, s[0:3], 0 offset:20
	v_cndmask_b32_e64 v48, 0, 1, s[4:5]
	s_and_b64 s[4:5], vcc, s[12:13]
	v_mov_b32_e32 v50, v46
	buffer_store_dword v48, off, s[0:3], 0 offset:16
	v_cndmask_b32_e64 v48, 0, 1, s[4:5]
	v_cmp_gt_u64_e32 vcc, s[52:53], v[49:50]
	buffer_store_dword v48, off, s[0:3], 0 offset:12
	v_mov_b32_e32 v48, v46
	s_and_b64 s[4:5], vcc, s[10:11]
	v_cmp_gt_u64_e32 vcc, s[52:53], v[47:48]
	v_cndmask_b32_e64 v50, 0, 1, s[4:5]
	s_and_b64 s[4:5], vcc, s[8:9]
	v_lshlrev_b32_e32 v44, 2, v0
	v_mul_u32_u24_e32 v43, 15, v0
	v_cndmask_b32_e64 v48, 0, 1, s[4:5]
	ds_write_b32 v44, v81
	buffer_store_dword v50, off, s[0:3], 0 offset:8
	buffer_store_dword v48, off, s[0:3], 0 offset:4
	s_waitcnt vmcnt(0) lgkmcnt(0)
	s_barrier
	s_and_saveexec_b64 s[4:5], s[6:7]
; %bb.51:
	v_add_u32_e32 v44, -4, v44
	ds_read_b32 v73, v44
; %bb.52:
	s_or_b64 exec, exec, s[4:5]
	v_mov_b32_e32 v44, v46
	v_cmp_gt_u64_e32 vcc, s[52:53], v[43:44]
	s_waitcnt lgkmcnt(0)
	v_cmp_neq_f32_e64 s[4:5], v73, v41
	s_and_b64 s[8:9], vcc, s[4:5]
	s_mov_b64 s[62:63], -1
	s_branch .LBB1937_57
.LBB1937_53:
                                        ; implicit-def: $sgpr8_sgpr9
	s_cbranch_execz .LBB1937_57
; %bb.54:
	v_mov_b32_e32 v46, 0
	v_cmp_gt_u64_e32 vcc, s[52:53], v[45:46]
	v_cmp_neq_f32_e64 s[4:5], v30, v81
	v_mov_b32_e32 v72, v46
	s_and_b64 s[4:5], vcc, s[4:5]
	v_cmp_gt_u64_e32 vcc, s[52:53], v[71:72]
	v_cndmask_b32_e64 v44, 0, 1, s[4:5]
	v_cmp_neq_f32_e64 s[4:5], v29, v30
	v_mov_b32_e32 v70, v46
	s_and_b64 s[4:5], vcc, s[4:5]
	v_cmp_gt_u64_e32 vcc, s[52:53], v[69:70]
	buffer_store_dword v44, off, s[0:3], 0 offset:56
	v_cndmask_b32_e64 v44, 0, 1, s[4:5]
	v_cmp_neq_f32_e64 s[4:5], v32, v29
	v_mov_b32_e32 v68, v46
	s_and_b64 s[4:5], vcc, s[4:5]
	v_cmp_gt_u64_e32 vcc, s[52:53], v[67:68]
	buffer_store_dword v44, off, s[0:3], 0 offset:52
	;; [unrolled: 6-line block ×12, first 2 shown]
	v_cndmask_b32_e64 v44, 0, 1, s[4:5]
	v_cmp_neq_f32_e64 s[4:5], v41, v42
	s_and_b64 s[4:5], vcc, s[4:5]
	v_lshlrev_b32_e32 v43, 2, v0
	buffer_store_dword v44, off, s[0:3], 0 offset:8
	v_mov_b32_e32 v44, 1
	v_cndmask_b32_e64 v45, 0, 1, s[4:5]
	ds_write_b32 v43, v81
	buffer_store_dword v45, off, s[0:3], 0 offset:4
	s_waitcnt vmcnt(0) lgkmcnt(0)
	s_barrier
	buffer_store_dword v44, off, s[0:3], 0
                                        ; implicit-def: $sgpr8_sgpr9
	s_and_saveexec_b64 s[10:11], s[6:7]
	s_cbranch_execz .LBB1937_56
; %bb.55:
	v_add_u32_e32 v43, -4, v43
	ds_read_b32 v43, v43
	v_mul_u32_u24_e32 v45, 15, v0
	v_cmp_gt_u64_e32 vcc, s[52:53], v[45:46]
	s_or_b64 s[62:63], s[62:63], exec
	s_waitcnt lgkmcnt(0)
	v_cmp_neq_f32_e64 s[4:5], v43, v41
	s_and_b64 s[8:9], vcc, s[4:5]
.LBB1937_56:
	s_or_b64 exec, exec, s[10:11]
.LBB1937_57:
	v_mov_b32_e32 v82, 1
	s_and_saveexec_b64 s[4:5], s[62:63]
	s_cbranch_execz .LBB1937_59
; %bb.58:
	v_cndmask_b32_e64 v82, 0, 1, s[8:9]
	buffer_store_dword v82, off, s[0:3], 0
.LBB1937_59:
	s_or_b64 exec, exec, s[4:5]
	buffer_load_dword v95, off, s[0:3], 0 offset:4
	buffer_load_dword v94, off, s[0:3], 0 offset:8
	;; [unrolled: 1-line block ×14, first 2 shown]
	s_cmp_eq_u64 s[46:47], 0
	s_cselect_b64 s[46:47], -1, 0
	s_cmp_lg_u32 s64, 0
	v_mbcnt_lo_u32_b32 v97, -1, 0
	s_waitcnt vmcnt(13)
	v_cmp_eq_u32_e64 s[30:31], 0, v95
	s_waitcnt vmcnt(12)
	v_add3_u32 v43, v95, v82, v94
	v_cmp_eq_u32_e64 s[28:29], 0, v94
	s_waitcnt vmcnt(11)
	v_cmp_eq_u32_e64 s[26:27], 0, v93
	s_waitcnt vmcnt(10)
	;; [unrolled: 2-line block ×12, first 2 shown]
	v_cmp_eq_u32_e32 vcc, 0, v96
	v_add3_u32 v98, v43, v93, v83
	s_cbranch_scc0 .LBB1937_121
; %bb.60:
	v_cndmask_b32_e64 v44, 0, v25, s[30:31]
	v_cndmask_b32_e64 v43, 0, v26, s[30:31]
	v_add_co_u32_e64 v44, s[4:5], v44, v27
	v_addc_co_u32_e64 v43, s[4:5], v43, v28, s[4:5]
	v_cndmask_b32_e64 v44, 0, v44, s[28:29]
	v_cndmask_b32_e64 v43, 0, v43, s[28:29]
	v_add_co_u32_e64 v44, s[4:5], v44, v21
	v_addc_co_u32_e64 v43, s[4:5], v43, v22, s[4:5]
	;; [unrolled: 4-line block ×11, first 2 shown]
	v_cndmask_b32_e64 v44, 0, v44, s[8:9]
	v_add3_u32 v45, v98, v84, v85
	v_cndmask_b32_e64 v43, 0, v43, s[8:9]
	v_add_co_u32_e64 v44, s[4:5], v44, v1
	v_add3_u32 v45, v45, v86, v87
	v_addc_co_u32_e64 v43, s[4:5], v43, v2, s[4:5]
	v_cndmask_b32_e64 v44, 0, v44, s[6:7]
	v_add3_u32 v45, v45, v88, v89
	v_cndmask_b32_e64 v43, 0, v43, s[6:7]
	v_add_co_u32_e64 v44, s[4:5], v44, v3
	v_add3_u32 v45, v45, v90, v91
	v_addc_co_u32_e64 v43, s[4:5], v43, v4, s[4:5]
	v_cndmask_b32_e32 v44, 0, v44, vcc
	v_add3_u32 v47, v45, v92, v96
	v_cndmask_b32_e32 v43, 0, v43, vcc
	v_add_co_u32_e32 v45, vcc, v44, v75
	v_mbcnt_hi_u32_b32 v52, -1, v97
	v_addc_co_u32_e32 v46, vcc, v43, v76, vcc
	v_and_b32_e32 v43, 15, v52
	v_mov_b32_dpp v48, v47 row_shr:1 row_mask:0xf bank_mask:0xf
	v_mov_b32_dpp v44, v45 row_shr:1 row_mask:0xf bank_mask:0xf
	;; [unrolled: 1-line block ×3, first 2 shown]
	v_cmp_ne_u32_e32 vcc, 0, v43
	s_and_saveexec_b64 s[4:5], vcc
; %bb.61:
	v_cmp_eq_u32_e32 vcc, 0, v47
	v_cndmask_b32_e32 v44, 0, v44, vcc
	v_add_u32_e32 v48, v48, v47
	v_cndmask_b32_e32 v47, 0, v49, vcc
	v_add_co_u32_e32 v45, vcc, v44, v45
	v_addc_co_u32_e32 v46, vcc, v47, v46, vcc
	v_mov_b32_e32 v47, v48
; %bb.62:
	s_or_b64 exec, exec, s[4:5]
	s_nop 0
	v_mov_b32_dpp v48, v47 row_shr:2 row_mask:0xf bank_mask:0xf
	v_mov_b32_dpp v44, v45 row_shr:2 row_mask:0xf bank_mask:0xf
	v_mov_b32_dpp v49, v46 row_shr:2 row_mask:0xf bank_mask:0xf
	v_cmp_lt_u32_e32 vcc, 1, v43
	s_and_saveexec_b64 s[4:5], vcc
; %bb.63:
	v_cmp_eq_u32_e32 vcc, 0, v47
	v_cndmask_b32_e32 v44, 0, v44, vcc
	v_add_u32_e32 v48, v48, v47
	v_cndmask_b32_e32 v47, 0, v49, vcc
	v_add_co_u32_e32 v45, vcc, v44, v45
	v_addc_co_u32_e32 v46, vcc, v47, v46, vcc
	v_mov_b32_e32 v47, v48
; %bb.64:
	s_or_b64 exec, exec, s[4:5]
	s_nop 0
	v_mov_b32_dpp v48, v47 row_shr:4 row_mask:0xf bank_mask:0xf
	v_mov_b32_dpp v44, v45 row_shr:4 row_mask:0xf bank_mask:0xf
	v_mov_b32_dpp v49, v46 row_shr:4 row_mask:0xf bank_mask:0xf
	v_cmp_lt_u32_e32 vcc, 3, v43
	;; [unrolled: 16-line block ×3, first 2 shown]
	s_and_saveexec_b64 s[4:5], vcc
; %bb.67:
	v_cmp_eq_u32_e32 vcc, 0, v47
	v_cndmask_b32_e32 v44, 0, v44, vcc
	v_add_u32_e32 v43, v48, v47
	v_cndmask_b32_e32 v47, 0, v49, vcc
	v_add_co_u32_e32 v45, vcc, v44, v45
	v_addc_co_u32_e32 v46, vcc, v47, v46, vcc
	v_mov_b32_e32 v47, v43
; %bb.68:
	s_or_b64 exec, exec, s[4:5]
	v_and_b32_e32 v49, 16, v52
	v_mov_b32_dpp v44, v47 row_bcast:15 row_mask:0xf bank_mask:0xf
	v_mov_b32_dpp v43, v45 row_bcast:15 row_mask:0xf bank_mask:0xf
	;; [unrolled: 1-line block ×3, first 2 shown]
	v_cmp_ne_u32_e32 vcc, 0, v49
	s_and_saveexec_b64 s[4:5], vcc
; %bb.69:
	v_cmp_eq_u32_e32 vcc, 0, v47
	v_cndmask_b32_e32 v43, 0, v43, vcc
	v_add_u32_e32 v44, v44, v47
	v_cndmask_b32_e32 v47, 0, v48, vcc
	v_add_co_u32_e32 v45, vcc, v43, v45
	v_addc_co_u32_e32 v46, vcc, v47, v46, vcc
	v_mov_b32_e32 v47, v44
; %bb.70:
	s_or_b64 exec, exec, s[4:5]
	s_nop 0
	v_mov_b32_dpp v44, v47 row_bcast:31 row_mask:0xf bank_mask:0xf
	v_mov_b32_dpp v43, v45 row_bcast:31 row_mask:0xf bank_mask:0xf
	;; [unrolled: 1-line block ×3, first 2 shown]
	v_cmp_lt_u32_e32 vcc, 31, v52
	s_and_saveexec_b64 s[4:5], vcc
; %bb.71:
	v_cmp_eq_u32_e32 vcc, 0, v47
	v_cndmask_b32_e32 v43, 0, v43, vcc
	v_add_u32_e32 v44, v44, v47
	v_cndmask_b32_e32 v47, 0, v48, vcc
	v_add_co_u32_e32 v45, vcc, v43, v45
	v_addc_co_u32_e32 v46, vcc, v47, v46, vcc
	v_mov_b32_e32 v47, v44
; %bb.72:
	s_or_b64 exec, exec, s[4:5]
	v_lshrrev_b32_e32 v43, 6, v0
	v_or_b32_e32 v44, 63, v0
	v_cmp_eq_u32_e32 vcc, v0, v44
	v_lshlrev_b32_e32 v48, 4, v43
	s_and_saveexec_b64 s[4:5], vcc
	s_cbranch_execz .LBB1937_74
; %bb.73:
	ds_write_b32 v48, v47 offset:2080
	ds_write_b64 v48, v[45:46] offset:2088
.LBB1937_74:
	s_or_b64 exec, exec, s[4:5]
	v_cmp_gt_u32_e32 vcc, 4, v0
	s_waitcnt lgkmcnt(0)
	s_barrier
	s_and_saveexec_b64 s[4:5], vcc
	s_cbranch_execz .LBB1937_80
; %bb.75:
	v_lshlrev_b32_e32 v49, 4, v0
	ds_read_b32 v50, v49 offset:2080
	ds_read_b64 v[43:44], v49 offset:2088
	v_and_b32_e32 v51, 3, v52
	v_cmp_ne_u32_e32 vcc, 0, v51
	s_waitcnt lgkmcnt(1)
	v_mov_b32_dpp v54, v50 row_shr:1 row_mask:0xf bank_mask:0xf
	s_waitcnt lgkmcnt(0)
	v_mov_b32_dpp v53, v43 row_shr:1 row_mask:0xf bank_mask:0xf
	v_mov_b32_dpp v55, v44 row_shr:1 row_mask:0xf bank_mask:0xf
	s_and_saveexec_b64 s[34:35], vcc
; %bb.76:
	v_cmp_eq_u32_e32 vcc, 0, v50
	v_cndmask_b32_e32 v53, 0, v53, vcc
	v_add_u32_e32 v54, v54, v50
	v_cndmask_b32_e32 v50, 0, v55, vcc
	v_add_co_u32_e32 v43, vcc, v53, v43
	v_addc_co_u32_e32 v44, vcc, v50, v44, vcc
	v_mov_b32_e32 v50, v54
; %bb.77:
	s_or_b64 exec, exec, s[34:35]
	s_nop 0
	v_mov_b32_dpp v54, v50 row_shr:2 row_mask:0xf bank_mask:0xf
	v_mov_b32_dpp v53, v43 row_shr:2 row_mask:0xf bank_mask:0xf
	;; [unrolled: 1-line block ×3, first 2 shown]
	v_cmp_lt_u32_e32 vcc, 1, v51
	s_and_saveexec_b64 s[34:35], vcc
; %bb.78:
	v_cmp_eq_u32_e32 vcc, 0, v50
	v_cndmask_b32_e32 v53, 0, v53, vcc
	v_add_u32_e32 v51, v54, v50
	v_cndmask_b32_e32 v50, 0, v55, vcc
	v_add_co_u32_e32 v43, vcc, v53, v43
	v_addc_co_u32_e32 v44, vcc, v50, v44, vcc
	v_mov_b32_e32 v50, v51
; %bb.79:
	s_or_b64 exec, exec, s[34:35]
	ds_write_b32 v49, v50 offset:2080
	ds_write_b64 v49, v[43:44] offset:2088
.LBB1937_80:
	s_or_b64 exec, exec, s[4:5]
	v_mov_b32_e32 v43, 0
	v_cmp_gt_u32_e32 vcc, 64, v0
	v_cmp_lt_u32_e64 s[4:5], 63, v0
	v_mov_b32_e32 v44, 0
	v_mov_b32_e32 v55, 0
	s_waitcnt lgkmcnt(0)
	s_barrier
	s_and_saveexec_b64 s[34:35], s[4:5]
	s_cbranch_execz .LBB1937_82
; %bb.81:
	ds_read_b32 v55, v48 offset:2064
	ds_read_b64 v[43:44], v48 offset:2072
	v_cmp_eq_u32_e64 s[4:5], 0, v47
	s_waitcnt lgkmcnt(1)
	v_add_u32_e32 v48, v55, v47
	s_waitcnt lgkmcnt(0)
	v_cndmask_b32_e64 v49, 0, v43, s[4:5]
	v_cndmask_b32_e64 v47, 0, v44, s[4:5]
	v_add_co_u32_e64 v45, s[4:5], v49, v45
	v_addc_co_u32_e64 v46, s[4:5], v47, v46, s[4:5]
	v_mov_b32_e32 v47, v48
.LBB1937_82:
	s_or_b64 exec, exec, s[34:35]
	v_subrev_co_u32_e64 v48, s[34:35], 1, v52
	v_and_b32_e32 v49, 64, v52
	v_cmp_lt_i32_e64 s[4:5], v48, v49
	v_cndmask_b32_e64 v48, v48, v52, s[4:5]
	v_lshlrev_b32_e32 v48, 2, v48
	ds_bpermute_b32 v56, v48, v47
	ds_bpermute_b32 v57, v48, v45
	;; [unrolled: 1-line block ×3, first 2 shown]
	s_and_saveexec_b64 s[52:53], vcc
	s_cbranch_execz .LBB1937_126
; %bb.83:
	v_mov_b32_e32 v49, 0
	ds_read_b32 v59, v49 offset:2128
	ds_read_b64 v[45:46], v49 offset:2136
	s_and_saveexec_b64 s[4:5], s[34:35]
	s_cbranch_execz .LBB1937_85
; %bb.84:
	s_add_i32 s62, s64, 64
	s_mov_b32 s63, 0
	s_lshl_b64 s[66:67], s[62:63], 4
	s_add_u32 s66, s40, s66
	s_addc_u32 s67, s41, s67
	v_mov_b32_e32 v47, 1
	v_mov_b32_e32 v48, s62
	s_waitcnt lgkmcnt(1)
	global_store_dword v49, v59, s[66:67]
	s_waitcnt lgkmcnt(0)
	global_store_dwordx2 v49, v[45:46], s[66:67] offset:8
	s_waitcnt vmcnt(0)
	buffer_wbinvl1_vol
	global_store_byte v48, v47, s[44:45]
.LBB1937_85:
	s_or_b64 exec, exec, s[4:5]
	v_xad_u32 v47, v52, -1, s64
	v_add_u32_e32 v48, 64, v47
	global_load_ubyte v60, v48, s[44:45] glc
	s_waitcnt vmcnt(0)
	v_cmp_eq_u16_e32 vcc, 0, v60
	s_and_saveexec_b64 s[4:5], vcc
	s_cbranch_execz .LBB1937_89
; %bb.86:
	v_mov_b32_e32 v51, s45
	v_add_co_u32_e32 v50, vcc, s44, v48
	v_addc_co_u32_e32 v51, vcc, 0, v51, vcc
	s_mov_b64 s[62:63], 0
.LBB1937_87:                            ; =>This Inner Loop Header: Depth=1
	global_load_ubyte v60, v[50:51], off glc
	s_waitcnt vmcnt(0)
	v_cmp_ne_u16_e32 vcc, 0, v60
	s_or_b64 s[62:63], vcc, s[62:63]
	s_andn2_b64 exec, exec, s[62:63]
	s_cbranch_execnz .LBB1937_87
; %bb.88:
	s_or_b64 exec, exec, s[62:63]
.LBB1937_89:
	s_or_b64 exec, exec, s[4:5]
	v_mov_b32_e32 v50, s43
	v_mov_b32_e32 v51, s41
	v_cmp_eq_u16_e32 vcc, 1, v60
	v_cndmask_b32_e32 v50, v50, v51, vcc
	v_mov_b32_e32 v51, s42
	v_mov_b32_e32 v53, s40
	v_lshlrev_b64 v[48:49], 4, v[48:49]
	v_cndmask_b32_e32 v51, v51, v53, vcc
	v_add_co_u32_e32 v48, vcc, v51, v48
	v_addc_co_u32_e32 v49, vcc, v50, v49, vcc
	s_waitcnt lgkmcnt(0)
	buffer_wbinvl1_vol
	global_load_dword v77, v[48:49], off
	global_load_dwordx2 v[53:54], v[48:49], off offset:8
	v_and_b32_e32 v61, 63, v52
	v_lshlrev_b64 v[49:50], v52, -1
	v_cmp_ne_u32_e64 s[4:5], 63, v61
	v_cmp_eq_u16_e32 vcc, 2, v60
	v_addc_co_u32_e64 v48, s[4:5], 0, v52, s[4:5]
	v_and_b32_e32 v51, vcc_hi, v50
	v_lshlrev_b32_e32 v62, 2, v48
	v_or_b32_e32 v48, 0x80000000, v51
	v_and_b32_e32 v65, vcc_lo, v49
	v_ffbl_b32_e32 v48, v48
	v_add_u32_e32 v48, 32, v48
	v_ffbl_b32_e32 v65, v65
	v_min_u32_e32 v48, v65, v48
	v_cmp_lt_u32_e32 vcc, v61, v48
	s_waitcnt vmcnt(1)
	ds_bpermute_b32 v63, v62, v77
	s_waitcnt vmcnt(0)
	ds_bpermute_b32 v51, v62, v53
	ds_bpermute_b32 v64, v62, v54
	s_and_saveexec_b64 s[4:5], vcc
	s_cbranch_execz .LBB1937_91
; %bb.90:
	v_cmp_eq_u32_e32 vcc, 0, v77
	s_waitcnt lgkmcnt(1)
	v_cndmask_b32_e32 v51, 0, v51, vcc
	v_add_u32_e32 v63, v63, v77
	s_waitcnt lgkmcnt(0)
	v_cndmask_b32_e32 v64, 0, v64, vcc
	v_add_co_u32_e32 v53, vcc, v51, v53
	v_addc_co_u32_e32 v54, vcc, v64, v54, vcc
	v_mov_b32_e32 v77, v63
.LBB1937_91:
	s_or_b64 exec, exec, s[4:5]
	v_cmp_gt_u32_e32 vcc, 62, v61
	s_waitcnt lgkmcnt(1)
	v_cndmask_b32_e64 v51, 0, 2, vcc
	v_add_lshl_u32 v63, v51, v52, 2
	ds_bpermute_b32 v65, v63, v77
	ds_bpermute_b32 v51, v63, v53
	ds_bpermute_b32 v66, v63, v54
	s_waitcnt lgkmcnt(3)
	v_add_u32_e32 v64, 2, v61
	v_cmp_le_u32_e32 vcc, v64, v48
	s_and_saveexec_b64 s[4:5], vcc
	s_cbranch_execz .LBB1937_93
; %bb.92:
	v_cmp_eq_u32_e32 vcc, 0, v77
	s_waitcnt lgkmcnt(1)
	v_cndmask_b32_e32 v51, 0, v51, vcc
	v_add_u32_e32 v65, v65, v77
	s_waitcnt lgkmcnt(0)
	v_cndmask_b32_e32 v66, 0, v66, vcc
	v_add_co_u32_e32 v53, vcc, v51, v53
	v_addc_co_u32_e32 v54, vcc, v66, v54, vcc
	v_mov_b32_e32 v77, v65
.LBB1937_93:
	s_or_b64 exec, exec, s[4:5]
	v_cmp_gt_u32_e32 vcc, 60, v61
	s_waitcnt lgkmcnt(1)
	v_cndmask_b32_e64 v51, 0, 4, vcc
	v_add_lshl_u32 v65, v51, v52, 2
	ds_bpermute_b32 v67, v65, v77
	ds_bpermute_b32 v51, v65, v53
	ds_bpermute_b32 v68, v65, v54
	s_waitcnt lgkmcnt(3)
	v_add_u32_e32 v66, 4, v61
	v_cmp_le_u32_e32 vcc, v66, v48
	;; [unrolled: 24-line block ×4, first 2 shown]
	s_and_saveexec_b64 s[4:5], vcc
	s_cbranch_execz .LBB1937_99
; %bb.98:
	v_cmp_eq_u32_e32 vcc, 0, v77
	s_waitcnt lgkmcnt(1)
	v_cndmask_b32_e32 v51, 0, v51, vcc
	v_add_u32_e32 v71, v71, v77
	s_waitcnt lgkmcnt(0)
	v_cndmask_b32_e32 v72, 0, v72, vcc
	v_add_co_u32_e32 v53, vcc, v51, v53
	v_addc_co_u32_e32 v54, vcc, v72, v54, vcc
	v_mov_b32_e32 v77, v71
.LBB1937_99:
	s_or_b64 exec, exec, s[4:5]
	s_waitcnt lgkmcnt(1)
	v_mov_b32_e32 v51, 0x80
	s_waitcnt lgkmcnt(0)
	v_lshl_or_b32 v72, v52, 2, v51
	ds_bpermute_b32 v52, v72, v77
	ds_bpermute_b32 v51, v72, v53
	;; [unrolled: 1-line block ×3, first 2 shown]
	v_add_u32_e32 v73, 32, v61
	v_cmp_le_u32_e32 vcc, v73, v48
	s_and_saveexec_b64 s[4:5], vcc
	s_cbranch_execz .LBB1937_101
; %bb.100:
	v_cmp_eq_u32_e32 vcc, 0, v77
	s_waitcnt lgkmcnt(1)
	v_cndmask_b32_e32 v51, 0, v51, vcc
	v_add_u32_e32 v48, v52, v77
	s_waitcnt lgkmcnt(0)
	v_cndmask_b32_e32 v52, 0, v71, vcc
	v_add_co_u32_e32 v53, vcc, v51, v53
	v_addc_co_u32_e32 v54, vcc, v52, v54, vcc
	v_mov_b32_e32 v77, v48
.LBB1937_101:
	s_or_b64 exec, exec, s[4:5]
	v_mov_b32_e32 v48, 0
	v_mov_b32_e32 v74, 2
	s_branch .LBB1937_104
.LBB1937_102:                           ;   in Loop: Header=BB1937_104 Depth=1
	s_or_b64 exec, exec, s[4:5]
	v_cmp_eq_u32_e32 vcc, 0, v71
	v_cndmask_b32_e32 v53, 0, v53, vcc
	v_cndmask_b32_e32 v54, 0, v54, vcc
	v_add_co_u32_e32 v53, vcc, v53, v51
	v_subrev_u32_e32 v47, 64, v47
	v_add_u32_e32 v77, v78, v71
	v_addc_co_u32_e32 v54, vcc, v54, v52, vcc
	s_mov_b64 s[4:5], 0
.LBB1937_103:                           ;   in Loop: Header=BB1937_104 Depth=1
	s_and_b64 vcc, exec, s[4:5]
	s_cbranch_vccnz .LBB1937_122
.LBB1937_104:                           ; =>This Loop Header: Depth=1
                                        ;     Child Loop BB1937_107 Depth 2
	s_waitcnt lgkmcnt(1)
	v_mov_b32_e32 v51, v53
	v_cmp_ne_u16_sdwa s[4:5], v60, v74 src0_sel:BYTE_0 src1_sel:DWORD
	v_mov_b32_e32 v52, v54
	s_waitcnt lgkmcnt(0)
	v_mov_b32_e32 v71, v77
	s_cmp_lg_u64 s[4:5], exec
	s_mov_b64 s[4:5], -1
                                        ; implicit-def: $vgpr53_vgpr54
                                        ; implicit-def: $vgpr77
                                        ; implicit-def: $vgpr60
	s_cbranch_scc1 .LBB1937_103
; %bb.105:                              ;   in Loop: Header=BB1937_104 Depth=1
	global_load_ubyte v60, v47, s[44:45] glc
	s_waitcnt vmcnt(0)
	v_cmp_eq_u16_e32 vcc, 0, v60
	s_and_saveexec_b64 s[4:5], vcc
	s_cbranch_execz .LBB1937_109
; %bb.106:                              ;   in Loop: Header=BB1937_104 Depth=1
	v_mov_b32_e32 v54, s45
	v_add_co_u32_e32 v53, vcc, s44, v47
	v_addc_co_u32_e32 v54, vcc, 0, v54, vcc
	s_mov_b64 s[62:63], 0
.LBB1937_107:                           ;   Parent Loop BB1937_104 Depth=1
                                        ; =>  This Inner Loop Header: Depth=2
	global_load_ubyte v60, v[53:54], off glc
	s_waitcnt vmcnt(0)
	v_cmp_ne_u16_e32 vcc, 0, v60
	s_or_b64 s[62:63], vcc, s[62:63]
	s_andn2_b64 exec, exec, s[62:63]
	s_cbranch_execnz .LBB1937_107
; %bb.108:                              ;   in Loop: Header=BB1937_104 Depth=1
	s_or_b64 exec, exec, s[62:63]
.LBB1937_109:                           ;   in Loop: Header=BB1937_104 Depth=1
	s_or_b64 exec, exec, s[4:5]
	v_mov_b32_e32 v53, s43
	v_mov_b32_e32 v54, s41
	v_cmp_eq_u16_e32 vcc, 1, v60
	v_cndmask_b32_e32 v77, v53, v54, vcc
	v_mov_b32_e32 v53, s42
	v_mov_b32_e32 v54, s40
	v_cndmask_b32_e32 v78, v53, v54, vcc
	v_lshlrev_b64 v[53:54], 4, v[47:48]
	buffer_wbinvl1_vol
	v_add_co_u32_e32 v53, vcc, v78, v53
	v_addc_co_u32_e32 v54, vcc, v77, v54, vcc
	global_load_dword v78, v[53:54], off
	s_nop 0
	global_load_dwordx2 v[53:54], v[53:54], off offset:8
	v_cmp_eq_u16_e32 vcc, 2, v60
	v_and_b32_e32 v77, vcc_hi, v50
	v_or_b32_e32 v77, 0x80000000, v77
	v_and_b32_e32 v100, vcc_lo, v49
	v_ffbl_b32_e32 v77, v77
	v_add_u32_e32 v77, 32, v77
	v_ffbl_b32_e32 v100, v100
	v_min_u32_e32 v77, v100, v77
	v_cmp_lt_u32_e32 vcc, v61, v77
	s_waitcnt vmcnt(1)
	ds_bpermute_b32 v80, v62, v78
	s_waitcnt vmcnt(0)
	ds_bpermute_b32 v79, v62, v53
	ds_bpermute_b32 v99, v62, v54
	s_and_saveexec_b64 s[4:5], vcc
	s_cbranch_execz .LBB1937_111
; %bb.110:                              ;   in Loop: Header=BB1937_104 Depth=1
	v_cmp_eq_u32_e32 vcc, 0, v78
	s_waitcnt lgkmcnt(1)
	v_cndmask_b32_e32 v79, 0, v79, vcc
	v_add_u32_e32 v80, v80, v78
	s_waitcnt lgkmcnt(0)
	v_cndmask_b32_e32 v78, 0, v99, vcc
	v_add_co_u32_e32 v53, vcc, v79, v53
	v_addc_co_u32_e32 v54, vcc, v78, v54, vcc
	v_mov_b32_e32 v78, v80
.LBB1937_111:                           ;   in Loop: Header=BB1937_104 Depth=1
	s_or_b64 exec, exec, s[4:5]
	s_waitcnt lgkmcnt(2)
	ds_bpermute_b32 v80, v63, v78
	s_waitcnt lgkmcnt(2)
	ds_bpermute_b32 v79, v63, v53
	s_waitcnt lgkmcnt(2)
	ds_bpermute_b32 v99, v63, v54
	v_cmp_le_u32_e32 vcc, v64, v77
	s_and_saveexec_b64 s[4:5], vcc
	s_cbranch_execz .LBB1937_113
; %bb.112:                              ;   in Loop: Header=BB1937_104 Depth=1
	v_cmp_eq_u32_e32 vcc, 0, v78
	s_waitcnt lgkmcnt(1)
	v_cndmask_b32_e32 v79, 0, v79, vcc
	v_add_u32_e32 v80, v80, v78
	s_waitcnt lgkmcnt(0)
	v_cndmask_b32_e32 v78, 0, v99, vcc
	v_add_co_u32_e32 v53, vcc, v79, v53
	v_addc_co_u32_e32 v54, vcc, v78, v54, vcc
	v_mov_b32_e32 v78, v80
.LBB1937_113:                           ;   in Loop: Header=BB1937_104 Depth=1
	s_or_b64 exec, exec, s[4:5]
	s_waitcnt lgkmcnt(2)
	ds_bpermute_b32 v80, v65, v78
	s_waitcnt lgkmcnt(2)
	ds_bpermute_b32 v79, v65, v53
	s_waitcnt lgkmcnt(2)
	ds_bpermute_b32 v99, v65, v54
	v_cmp_le_u32_e32 vcc, v66, v77
	s_and_saveexec_b64 s[4:5], vcc
	s_cbranch_execz .LBB1937_115
; %bb.114:                              ;   in Loop: Header=BB1937_104 Depth=1
	v_cmp_eq_u32_e32 vcc, 0, v78
	s_waitcnt lgkmcnt(1)
	v_cndmask_b32_e32 v79, 0, v79, vcc
	v_add_u32_e32 v80, v80, v78
	s_waitcnt lgkmcnt(0)
	v_cndmask_b32_e32 v78, 0, v99, vcc
	v_add_co_u32_e32 v53, vcc, v79, v53
	v_addc_co_u32_e32 v54, vcc, v78, v54, vcc
	v_mov_b32_e32 v78, v80
.LBB1937_115:                           ;   in Loop: Header=BB1937_104 Depth=1
	s_or_b64 exec, exec, s[4:5]
	s_waitcnt lgkmcnt(2)
	ds_bpermute_b32 v80, v67, v78
	s_waitcnt lgkmcnt(2)
	ds_bpermute_b32 v79, v67, v53
	s_waitcnt lgkmcnt(2)
	ds_bpermute_b32 v99, v67, v54
	v_cmp_le_u32_e32 vcc, v68, v77
	s_and_saveexec_b64 s[4:5], vcc
	s_cbranch_execz .LBB1937_117
; %bb.116:                              ;   in Loop: Header=BB1937_104 Depth=1
	v_cmp_eq_u32_e32 vcc, 0, v78
	s_waitcnt lgkmcnt(1)
	v_cndmask_b32_e32 v79, 0, v79, vcc
	v_add_u32_e32 v80, v80, v78
	s_waitcnt lgkmcnt(0)
	v_cndmask_b32_e32 v78, 0, v99, vcc
	v_add_co_u32_e32 v53, vcc, v79, v53
	v_addc_co_u32_e32 v54, vcc, v78, v54, vcc
	v_mov_b32_e32 v78, v80
.LBB1937_117:                           ;   in Loop: Header=BB1937_104 Depth=1
	s_or_b64 exec, exec, s[4:5]
	s_waitcnt lgkmcnt(2)
	ds_bpermute_b32 v80, v69, v78
	s_waitcnt lgkmcnt(2)
	ds_bpermute_b32 v79, v69, v53
	s_waitcnt lgkmcnt(2)
	ds_bpermute_b32 v99, v69, v54
	v_cmp_le_u32_e32 vcc, v70, v77
	s_and_saveexec_b64 s[4:5], vcc
	s_cbranch_execz .LBB1937_119
; %bb.118:                              ;   in Loop: Header=BB1937_104 Depth=1
	v_cmp_eq_u32_e32 vcc, 0, v78
	s_waitcnt lgkmcnt(1)
	v_cndmask_b32_e32 v79, 0, v79, vcc
	v_add_u32_e32 v80, v80, v78
	s_waitcnt lgkmcnt(0)
	v_cndmask_b32_e32 v78, 0, v99, vcc
	v_add_co_u32_e32 v53, vcc, v79, v53
	v_addc_co_u32_e32 v54, vcc, v78, v54, vcc
	v_mov_b32_e32 v78, v80
.LBB1937_119:                           ;   in Loop: Header=BB1937_104 Depth=1
	s_or_b64 exec, exec, s[4:5]
	s_waitcnt lgkmcnt(2)
	ds_bpermute_b32 v80, v72, v78
	s_waitcnt lgkmcnt(2)
	ds_bpermute_b32 v79, v72, v53
	s_waitcnt lgkmcnt(2)
	ds_bpermute_b32 v99, v72, v54
	v_cmp_le_u32_e32 vcc, v73, v77
	s_and_saveexec_b64 s[4:5], vcc
	s_cbranch_execz .LBB1937_102
; %bb.120:                              ;   in Loop: Header=BB1937_104 Depth=1
	v_cmp_eq_u32_e32 vcc, 0, v78
	s_waitcnt lgkmcnt(1)
	v_cndmask_b32_e32 v79, 0, v79, vcc
	v_add_u32_e32 v77, v80, v78
	s_waitcnt lgkmcnt(0)
	v_cndmask_b32_e32 v78, 0, v99, vcc
	v_add_co_u32_e32 v53, vcc, v79, v53
	v_addc_co_u32_e32 v54, vcc, v78, v54, vcc
	v_mov_b32_e32 v78, v77
	s_branch .LBB1937_102
.LBB1937_121:
                                        ; implicit-def: $vgpr43
                                        ; implicit-def: $vgpr45_vgpr46
                                        ; implicit-def: $vgpr47
                                        ; implicit-def: $vgpr73_vgpr74
                                        ; implicit-def: $vgpr49_vgpr50
                                        ; implicit-def: $vgpr51_vgpr52
                                        ; implicit-def: $vgpr53_vgpr54
                                        ; implicit-def: $vgpr55_vgpr56
                                        ; implicit-def: $vgpr57_vgpr58
                                        ; implicit-def: $vgpr59_vgpr60
                                        ; implicit-def: $vgpr61_vgpr62
                                        ; implicit-def: $vgpr63_vgpr64
                                        ; implicit-def: $vgpr65_vgpr66
                                        ; implicit-def: $vgpr67_vgpr68
                                        ; implicit-def: $vgpr69_vgpr70
                                        ; implicit-def: $vgpr71_vgpr72
                                        ; implicit-def: $vgpr77_vgpr78
                                        ; implicit-def: $vgpr79_vgpr80
                                        ; implicit-def: $vgpr44
	s_cbranch_execnz .LBB1937_127
	s_branch .LBB1937_154
.LBB1937_122:
	s_and_saveexec_b64 s[4:5], s[34:35]
	s_cbranch_execz .LBB1937_124
; %bb.123:
	s_mov_b32 s41, 0
	v_cmp_eq_u32_e32 vcc, 0, v59
	s_add_i32 s40, s64, 64
	v_cndmask_b32_e32 v47, 0, v51, vcc
	s_lshl_b64 s[62:63], s[40:41], 4
	v_cndmask_b32_e32 v48, 0, v52, vcc
	v_add_co_u32_e32 v47, vcc, v47, v45
	s_add_u32 s62, s42, s62
	v_add_u32_e32 v49, v71, v59
	v_addc_co_u32_e32 v48, vcc, v48, v46, vcc
	s_addc_u32 s63, s43, s63
	v_mov_b32_e32 v50, 0
	global_store_dword v50, v49, s[62:63]
	global_store_dwordx2 v50, v[47:48], s[62:63] offset:8
	v_mov_b32_e32 v47, 2
	v_mov_b32_e32 v48, s40
	s_waitcnt vmcnt(0) lgkmcnt(0)
	buffer_wbinvl1_vol
	global_store_byte v48, v47, s[44:45]
	ds_write_b32 v50, v59 offset:2048
	ds_write_b64 v50, v[45:46] offset:2056
	ds_write_b32 v50, v71 offset:2064
	ds_write_b64 v50, v[51:52] offset:2072
.LBB1937_124:
	s_or_b64 exec, exec, s[4:5]
	s_and_b64 exec, exec, s[38:39]
	s_cbranch_execz .LBB1937_126
; %bb.125:
	v_mov_b32_e32 v45, 0
	ds_write_b32 v45, v71 offset:2128
	ds_write_b64 v45, v[51:52] offset:2136
.LBB1937_126:
	s_or_b64 exec, exec, s[52:53]
	v_mov_b32_e32 v48, 0
	s_waitcnt vmcnt(0) lgkmcnt(0)
	s_barrier
	ds_read_b32 v47, v48 offset:2128
	ds_read_b64 v[45:46], v48 offset:2136
	v_cndmask_b32_e64 v49, v56, v55, s[34:35]
	v_cmp_eq_u32_e32 vcc, 0, v49
	v_cndmask_b32_e64 v43, v57, v43, s[34:35]
	v_cndmask_b32_e64 v44, v58, v44, s[34:35]
	s_waitcnt lgkmcnt(0)
	v_cndmask_b32_e32 v51, 0, v45, vcc
	v_cndmask_b32_e32 v50, 0, v46, vcc
	v_add_co_u32_e32 v43, vcc, v51, v43
	v_addc_co_u32_e32 v50, vcc, v50, v44, vcc
	v_cndmask_b32_e64 v73, v43, v45, s[38:39]
	v_cmp_eq_u32_e32 vcc, 0, v82
	v_cndmask_b32_e64 v74, v50, v46, s[38:39]
	v_cndmask_b32_e32 v45, 0, v73, vcc
	v_cndmask_b32_e64 v44, v49, 0, s[38:39]
	v_cndmask_b32_e32 v43, 0, v74, vcc
	v_add_co_u32_e32 v49, vcc, v45, v25
	v_addc_co_u32_e32 v50, vcc, v43, v26, vcc
	v_cndmask_b32_e64 v45, 0, v49, s[30:31]
	v_cndmask_b32_e64 v43, 0, v50, s[30:31]
	v_add_co_u32_e32 v51, vcc, v45, v27
	v_addc_co_u32_e32 v52, vcc, v43, v28, vcc
	v_cndmask_b32_e64 v45, 0, v51, s[28:29]
	v_cndmask_b32_e64 v43, 0, v52, s[28:29]
	;; [unrolled: 4-line block ×11, first 2 shown]
	v_add_co_u32_e32 v71, vcc, v45, v7
	v_add_u32_e32 v44, v47, v44
	v_addc_co_u32_e32 v72, vcc, v43, v8, vcc
	s_barrier
	ds_read_b32 v43, v48 offset:2048
	ds_read_b64 v[45:46], v48 offset:2056
	ds_read_b32 v47, v48 offset:2064
	ds_read_b64 v[99:100], v48 offset:2072
	v_cndmask_b32_e64 v77, 0, v71, s[8:9]
	v_cndmask_b32_e64 v78, 0, v72, s[8:9]
	v_add_co_u32_e32 v77, vcc, v77, v1
	v_addc_co_u32_e32 v78, vcc, v78, v2, vcc
	s_waitcnt lgkmcnt(3)
	v_cmp_eq_u32_e32 vcc, 0, v43
	s_waitcnt lgkmcnt(0)
	v_cndmask_b32_e32 v99, 0, v99, vcc
	v_cndmask_b32_e32 v48, 0, v100, vcc
	v_add_co_u32_e32 v45, vcc, v99, v45
	v_cndmask_b32_e64 v80, 0, v78, s[6:7]
	v_cndmask_b32_e64 v79, 0, v77, s[6:7]
	v_addc_co_u32_e32 v46, vcc, v48, v46, vcc
	s_branch .LBB1937_154
.LBB1937_127:
	s_cmp_eq_u64 s[36:37], 0
	s_cselect_b64 s[4:5], -1, 0
	s_or_b64 s[4:5], s[46:47], s[4:5]
	v_mov_b32_e32 v48, v26
	s_and_b64 vcc, exec, s[4:5]
	v_mov_b32_e32 v47, v25
	s_cbranch_vccnz .LBB1937_129
; %bb.128:
	v_mov_b32_e32 v43, 0
	global_load_dwordx2 v[47:48], v43, s[36:37]
.LBB1937_129:
	v_cmp_eq_u32_e64 s[28:29], 0, v95
	v_cndmask_b32_e64 v44, 0, v25, s[28:29]
	v_cndmask_b32_e64 v43, 0, v26, s[28:29]
	v_add_co_u32_e32 v44, vcc, v44, v27
	v_cmp_eq_u32_e64 s[26:27], 0, v94
	v_addc_co_u32_e32 v43, vcc, v43, v28, vcc
	v_cndmask_b32_e64 v44, 0, v44, s[26:27]
	v_cndmask_b32_e64 v43, 0, v43, s[26:27]
	v_add_co_u32_e32 v44, vcc, v44, v21
	v_cmp_eq_u32_e64 s[24:25], 0, v93
	v_addc_co_u32_e32 v43, vcc, v43, v22, vcc
	;; [unrolled: 5-line block ×11, first 2 shown]
	v_cndmask_b32_e64 v44, 0, v44, s[8:9]
	v_cndmask_b32_e64 v43, 0, v43, s[8:9]
	v_add_co_u32_e32 v44, vcc, v44, v1
	v_addc_co_u32_e32 v43, vcc, v43, v2, vcc
	v_cmp_eq_u32_e32 vcc, 0, v92
	v_add3_u32 v45, v98, v84, v85
	v_cndmask_b32_e32 v44, 0, v44, vcc
	v_add3_u32 v45, v45, v86, v87
	v_cndmask_b32_e32 v43, 0, v43, vcc
	v_add_co_u32_e64 v44, s[4:5], v44, v3
	v_add3_u32 v45, v45, v88, v89
	v_addc_co_u32_e64 v43, s[4:5], v43, v4, s[4:5]
	v_add3_u32 v45, v45, v90, v91
	v_cmp_eq_u32_e64 s[4:5], 0, v96
	v_add3_u32 v50, v45, v92, v96
	v_cndmask_b32_e64 v45, 0, v43, s[4:5]
	v_cndmask_b32_e64 v43, 0, v44, s[4:5]
	v_add_co_u32_e64 v43, s[4:5], v43, v75
	v_mbcnt_hi_u32_b32 v49, -1, v97
	v_addc_co_u32_e64 v44, s[4:5], v45, v76, s[4:5]
	v_and_b32_e32 v45, 15, v49
	v_mov_b32_dpp v51, v50 row_shr:1 row_mask:0xf bank_mask:0xf
	v_mov_b32_dpp v46, v43 row_shr:1 row_mask:0xf bank_mask:0xf
	;; [unrolled: 1-line block ×3, first 2 shown]
	v_cmp_ne_u32_e64 s[4:5], 0, v45
	s_and_saveexec_b64 s[30:31], s[4:5]
; %bb.130:
	v_cmp_eq_u32_e64 s[4:5], 0, v50
	v_cndmask_b32_e64 v46, 0, v46, s[4:5]
	v_add_u32_e32 v51, v51, v50
	v_cndmask_b32_e64 v50, 0, v52, s[4:5]
	v_add_co_u32_e64 v43, s[4:5], v46, v43
	v_addc_co_u32_e64 v44, s[4:5], v50, v44, s[4:5]
	v_mov_b32_e32 v50, v51
; %bb.131:
	s_or_b64 exec, exec, s[30:31]
	s_nop 0
	v_mov_b32_dpp v51, v50 row_shr:2 row_mask:0xf bank_mask:0xf
	v_mov_b32_dpp v46, v43 row_shr:2 row_mask:0xf bank_mask:0xf
	v_mov_b32_dpp v52, v44 row_shr:2 row_mask:0xf bank_mask:0xf
	v_cmp_lt_u32_e64 s[4:5], 1, v45
	s_and_saveexec_b64 s[30:31], s[4:5]
; %bb.132:
	v_cmp_eq_u32_e64 s[4:5], 0, v50
	v_cndmask_b32_e64 v46, 0, v46, s[4:5]
	v_add_u32_e32 v51, v51, v50
	v_cndmask_b32_e64 v50, 0, v52, s[4:5]
	v_add_co_u32_e64 v43, s[4:5], v46, v43
	v_addc_co_u32_e64 v44, s[4:5], v50, v44, s[4:5]
	v_mov_b32_e32 v50, v51
; %bb.133:
	s_or_b64 exec, exec, s[30:31]
	s_nop 0
	v_mov_b32_dpp v51, v50 row_shr:4 row_mask:0xf bank_mask:0xf
	v_mov_b32_dpp v46, v43 row_shr:4 row_mask:0xf bank_mask:0xf
	v_mov_b32_dpp v52, v44 row_shr:4 row_mask:0xf bank_mask:0xf
	v_cmp_lt_u32_e64 s[4:5], 3, v45
	;; [unrolled: 16-line block ×3, first 2 shown]
	s_and_saveexec_b64 s[30:31], s[4:5]
; %bb.136:
	v_cmp_eq_u32_e64 s[4:5], 0, v50
	v_cndmask_b32_e64 v46, 0, v46, s[4:5]
	v_add_u32_e32 v45, v51, v50
	v_cndmask_b32_e64 v50, 0, v52, s[4:5]
	v_add_co_u32_e64 v43, s[4:5], v46, v43
	v_addc_co_u32_e64 v44, s[4:5], v50, v44, s[4:5]
	v_mov_b32_e32 v50, v45
; %bb.137:
	s_or_b64 exec, exec, s[30:31]
	v_and_b32_e32 v52, 16, v49
	v_mov_b32_dpp v46, v50 row_bcast:15 row_mask:0xf bank_mask:0xf
	v_mov_b32_dpp v45, v43 row_bcast:15 row_mask:0xf bank_mask:0xf
	;; [unrolled: 1-line block ×3, first 2 shown]
	v_cmp_ne_u32_e64 s[4:5], 0, v52
	s_and_saveexec_b64 s[30:31], s[4:5]
; %bb.138:
	v_cmp_eq_u32_e64 s[4:5], 0, v50
	v_cndmask_b32_e64 v45, 0, v45, s[4:5]
	v_add_u32_e32 v46, v46, v50
	v_cndmask_b32_e64 v50, 0, v51, s[4:5]
	v_add_co_u32_e64 v43, s[4:5], v45, v43
	v_addc_co_u32_e64 v44, s[4:5], v50, v44, s[4:5]
	v_mov_b32_e32 v50, v46
; %bb.139:
	s_or_b64 exec, exec, s[30:31]
	s_nop 0
	v_mov_b32_dpp v46, v50 row_bcast:31 row_mask:0xf bank_mask:0xf
	v_mov_b32_dpp v45, v43 row_bcast:31 row_mask:0xf bank_mask:0xf
	;; [unrolled: 1-line block ×3, first 2 shown]
	v_cmp_lt_u32_e64 s[4:5], 31, v49
	s_and_saveexec_b64 s[30:31], s[4:5]
; %bb.140:
	v_cmp_eq_u32_e64 s[4:5], 0, v50
	v_cndmask_b32_e64 v45, 0, v45, s[4:5]
	v_add_u32_e32 v46, v46, v50
	v_cndmask_b32_e64 v50, 0, v51, s[4:5]
	v_add_co_u32_e64 v43, s[4:5], v45, v43
	v_addc_co_u32_e64 v44, s[4:5], v50, v44, s[4:5]
	v_mov_b32_e32 v50, v46
; %bb.141:
	s_or_b64 exec, exec, s[30:31]
	v_lshrrev_b32_e32 v45, 6, v0
	v_or_b32_e32 v46, 63, v0
	v_cmp_eq_u32_e64 s[4:5], v0, v46
	v_lshlrev_b32_e32 v51, 4, v45
	s_and_saveexec_b64 s[30:31], s[4:5]
	s_cbranch_execz .LBB1937_143
; %bb.142:
	ds_write_b32 v51, v50 offset:2080
	ds_write_b64 v51, v[43:44] offset:2088
.LBB1937_143:
	s_or_b64 exec, exec, s[30:31]
	v_cmp_gt_u32_e64 s[4:5], 4, v0
	s_waitcnt vmcnt(0) lgkmcnt(0)
	s_barrier
	s_and_saveexec_b64 s[30:31], s[4:5]
	s_cbranch_execz .LBB1937_149
; %bb.144:
	v_lshlrev_b32_e32 v52, 4, v0
	ds_read_b32 v53, v52 offset:2080
	ds_read_b64 v[45:46], v52 offset:2088
	v_and_b32_e32 v54, 3, v49
	v_cmp_ne_u32_e64 s[4:5], 0, v54
	s_waitcnt lgkmcnt(1)
	v_mov_b32_dpp v56, v53 row_shr:1 row_mask:0xf bank_mask:0xf
	s_waitcnt lgkmcnt(0)
	v_mov_b32_dpp v55, v45 row_shr:1 row_mask:0xf bank_mask:0xf
	v_mov_b32_dpp v57, v46 row_shr:1 row_mask:0xf bank_mask:0xf
	s_and_saveexec_b64 s[34:35], s[4:5]
; %bb.145:
	v_cmp_eq_u32_e64 s[4:5], 0, v53
	v_cndmask_b32_e64 v55, 0, v55, s[4:5]
	v_add_u32_e32 v56, v56, v53
	v_cndmask_b32_e64 v53, 0, v57, s[4:5]
	v_add_co_u32_e64 v45, s[4:5], v55, v45
	v_addc_co_u32_e64 v46, s[4:5], v53, v46, s[4:5]
	v_mov_b32_e32 v53, v56
; %bb.146:
	s_or_b64 exec, exec, s[34:35]
	s_nop 0
	v_mov_b32_dpp v56, v53 row_shr:2 row_mask:0xf bank_mask:0xf
	v_mov_b32_dpp v55, v45 row_shr:2 row_mask:0xf bank_mask:0xf
	;; [unrolled: 1-line block ×3, first 2 shown]
	v_cmp_lt_u32_e64 s[4:5], 1, v54
	s_and_saveexec_b64 s[34:35], s[4:5]
; %bb.147:
	v_cmp_eq_u32_e64 s[4:5], 0, v53
	v_cndmask_b32_e64 v55, 0, v55, s[4:5]
	v_add_u32_e32 v54, v56, v53
	v_cndmask_b32_e64 v53, 0, v57, s[4:5]
	v_add_co_u32_e64 v45, s[4:5], v55, v45
	v_addc_co_u32_e64 v46, s[4:5], v53, v46, s[4:5]
	v_mov_b32_e32 v53, v54
; %bb.148:
	s_or_b64 exec, exec, s[34:35]
	ds_write_b32 v52, v53 offset:2080
	ds_write_b64 v52, v[45:46] offset:2088
.LBB1937_149:
	s_or_b64 exec, exec, s[30:31]
	v_mov_b32_e32 v45, v47
	v_cmp_lt_u32_e64 s[4:5], 63, v0
	v_mov_b32_e32 v75, 0
	v_mov_b32_e32 v52, 0
	;; [unrolled: 1-line block ×3, first 2 shown]
	s_waitcnt lgkmcnt(0)
	s_barrier
	s_and_saveexec_b64 s[30:31], s[4:5]
	s_cbranch_execz .LBB1937_151
; %bb.150:
	ds_read_b32 v52, v51 offset:2064
	ds_read_b64 v[45:46], v51 offset:2072
	s_waitcnt lgkmcnt(1)
	v_cmp_eq_u32_e64 s[4:5], 0, v52
	v_cndmask_b32_e64 v53, 0, v47, s[4:5]
	v_cndmask_b32_e64 v51, 0, v48, s[4:5]
	s_waitcnt lgkmcnt(0)
	v_add_co_u32_e64 v45, s[4:5], v53, v45
	v_addc_co_u32_e64 v46, s[4:5], v51, v46, s[4:5]
.LBB1937_151:
	s_or_b64 exec, exec, s[30:31]
	v_cmp_eq_u32_e64 s[4:5], 0, v50
	v_cndmask_b32_e64 v53, 0, v45, s[4:5]
	v_add_u32_e32 v51, v52, v50
	v_cndmask_b32_e64 v50, 0, v46, s[4:5]
	v_add_co_u32_e64 v43, s[4:5], v53, v43
	v_addc_co_u32_e64 v44, s[4:5], v50, v44, s[4:5]
	v_subrev_co_u32_e64 v50, s[4:5], 1, v49
	v_and_b32_e32 v53, 64, v49
	v_cmp_lt_i32_e64 s[30:31], v50, v53
	v_cndmask_b32_e64 v49, v50, v49, s[30:31]
	v_lshlrev_b32_e32 v49, 2, v49
	ds_bpermute_b32 v43, v49, v43
	ds_bpermute_b32 v50, v49, v51
	;; [unrolled: 1-line block ×3, first 2 shown]
	s_waitcnt lgkmcnt(2)
	v_cndmask_b32_e64 v73, v43, v45, s[4:5]
	s_waitcnt lgkmcnt(1)
	v_cndmask_b32_e64 v44, v50, v52, s[4:5]
	;; [unrolled: 2-line block ×3, first 2 shown]
	v_cndmask_b32_e64 v43, v73, v47, s[38:39]
	v_cmp_eq_u32_e64 s[4:5], 0, v82
	v_cndmask_b32_e64 v45, v74, v48, s[38:39]
	v_cndmask_b32_e64 v43, 0, v43, s[4:5]
	;; [unrolled: 1-line block ×3, first 2 shown]
	v_add_co_u32_e64 v49, s[4:5], v43, v25
	v_addc_co_u32_e64 v50, s[4:5], v45, v26, s[4:5]
	v_cndmask_b32_e64 v26, 0, v49, s[28:29]
	v_cndmask_b32_e64 v25, 0, v50, s[28:29]
	v_add_co_u32_e64 v51, s[4:5], v26, v27
	v_addc_co_u32_e64 v52, s[4:5], v25, v28, s[4:5]
	v_cndmask_b32_e64 v26, 0, v51, s[26:27]
	v_cndmask_b32_e64 v25, 0, v52, s[26:27]
	;; [unrolled: 4-line block ×11, first 2 shown]
	v_add_co_u32_e64 v71, s[4:5], v6, v7
	v_addc_co_u32_e64 v72, s[4:5], v5, v8, s[4:5]
	v_cndmask_b32_e64 v6, 0, v71, s[8:9]
	ds_read_b32 v43, v75 offset:2128
	v_cndmask_b32_e64 v5, 0, v72, s[8:9]
	v_add_co_u32_e64 v77, s[4:5], v6, v1
	v_addc_co_u32_e64 v78, s[4:5], v5, v2, s[4:5]
	ds_read_b64 v[1:2], v75 offset:2136
	v_cndmask_b32_e32 v80, 0, v78, vcc
	v_cndmask_b32_e32 v79, 0, v77, vcc
	s_waitcnt lgkmcnt(1)
	v_cmp_eq_u32_e32 vcc, 0, v43
	v_cndmask_b32_e32 v6, 0, v47, vcc
	v_cndmask_b32_e32 v5, 0, v48, vcc
	s_waitcnt lgkmcnt(0)
	v_add_co_u32_e32 v45, vcc, v6, v1
	v_addc_co_u32_e32 v46, vcc, v5, v2, vcc
	s_and_saveexec_b64 s[4:5], s[38:39]
	s_cbranch_execz .LBB1937_153
; %bb.152:
	v_mov_b32_e32 v74, v48
	v_mov_b32_e32 v44, 0
	;; [unrolled: 1-line block ×4, first 2 shown]
	global_store_dword v44, v43, s[42:43] offset:1024
	global_store_dwordx2 v44, v[45:46], s[42:43] offset:1032
	s_waitcnt vmcnt(0)
	buffer_wbinvl1_vol
	global_store_byte v44, v1, s[44:45] offset:64
.LBB1937_153:
	s_or_b64 exec, exec, s[4:5]
	v_mov_b32_e32 v47, 0
.LBB1937_154:
	s_cmp_eq_u64 s[54:55], 0
	s_cselect_b64 s[4:5], -1, 0
	s_or_b64 s[4:5], s[46:47], s[4:5]
	v_mov_b32_e32 v1, 0
	s_and_b64 vcc, exec, s[4:5]
	v_mov_b32_e32 v2, 0
	s_waitcnt vmcnt(0)
	s_barrier
	s_cbranch_vccnz .LBB1937_156
; %bb.155:
	v_mov_b32_e32 v1, 0
	global_load_dwordx2 v[1:2], v1, s[54:55]
.LBB1937_156:
	s_nop 0
	buffer_load_dword v23, off, s[0:3], 0
	buffer_load_dword v24, off, s[0:3], 0 offset:4
	buffer_load_dword v25, off, s[0:3], 0 offset:8
	;; [unrolled: 1-line block ×13, first 2 shown]
	v_add_u32_e32 v20, v44, v82
	buffer_load_dword v82, off, s[0:3], 0 offset:56
	s_waitcnt vmcnt(15)
	v_lshlrev_b64 v[5:6], 2, v[1:2]
	v_mov_b32_e32 v48, 0
	v_mov_b32_e32 v9, s57
	v_lshlrev_b64 v[7:8], 2, v[47:48]
	v_add_co_u32_e32 v5, vcc, s56, v5
	v_addc_co_u32_e32 v6, vcc, v9, v6, vcc
	v_add_co_u32_e32 v21, vcc, v5, v7
	v_addc_co_u32_e32 v22, vcc, v6, v8, vcc
	v_add_u32_e32 v19, v20, v95
	v_add_u32_e32 v18, v19, v94
	;; [unrolled: 1-line block ×11, first 2 shown]
	s_movk_i32 s4, 0x100
	v_add_u32_e32 v8, v9, v91
	v_add_u32_e32 v7, v8, v92
	s_mov_b64 s[40:41], -1
	s_waitcnt vmcnt(14)
	v_cmp_eq_u32_e32 vcc, 0, v23
	v_cndmask_b32_e64 v5, 1, 2, vcc
	s_waitcnt vmcnt(13)
	v_cmp_eq_u32_e32 vcc, 0, v24
	v_cndmask_b32_e64 v6, 1, 2, vcc
	s_waitcnt vmcnt(12)
	v_cmp_eq_u32_e32 vcc, 0, v25
	v_cmp_ne_u32_e64 s[36:37], 0, v23
	v_cndmask_b32_e64 v23, 1, 2, vcc
	s_waitcnt vmcnt(11)
	v_cmp_eq_u32_e32 vcc, 0, v26
	v_and_b32_e32 v5, v6, v5
	v_cmp_ne_u32_e64 s[34:35], 0, v24
	v_cndmask_b32_e64 v24, 1, 2, vcc
	s_waitcnt vmcnt(10)
	v_cmp_eq_u32_e32 vcc, 0, v27
	v_and_b32_e32 v5, v5, v23
	;; [unrolled: 5-line block ×8, first 2 shown]
	v_cndmask_b32_e64 v83, 1, 2, vcc
	s_waitcnt vmcnt(3)
	v_cmp_eq_u32_e32 vcc, 0, v99
	v_and_b32_e32 v5, v5, v76
	v_cndmask_b32_e64 v84, 1, 2, vcc
	s_waitcnt vmcnt(2)
	v_cmp_eq_u32_e32 vcc, 0, v100
	v_and_b32_e32 v5, v5, v83
	v_cndmask_b32_e64 v85, 1, 2, vcc
	v_and_b32_e32 v5, v5, v84
	s_waitcnt vmcnt(1)
	v_cmp_eq_u32_e32 vcc, 0, v101
	v_and_b32_e32 v5, v5, v85
	v_cndmask_b32_e64 v6, 1, 2, vcc
	s_waitcnt vmcnt(0)
	v_cmp_eq_u32_e32 vcc, 0, v82
	v_and_b32_e32 v5, v5, v6
	v_cndmask_b32_e64 v6, 1, 2, vcc
	v_and_b32_e32 v5, v5, v6
	v_cmp_gt_u32_e32 vcc, s4, v43
	v_cmp_ne_u32_e64 s[18:19], 0, v96
	v_cmp_ne_u32_e64 s[16:17], 0, v97
	;; [unrolled: 1-line block ×7, first 2 shown]
	v_cmp_gt_i16_e64 s[4:5], 2, v5
	s_cbranch_vccz .LBB1937_163
; %bb.157:
	s_and_saveexec_b64 s[40:41], s[4:5]
	s_cbranch_execz .LBB1937_162
; %bb.158:
	v_cmp_ne_u16_e32 vcc, 1, v5
	s_mov_b64 s[42:43], 0
	s_and_saveexec_b64 s[4:5], vcc
	s_xor_b64 s[4:5], exec, s[4:5]
	s_cbranch_execnz .LBB1937_198
; %bb.159:
	s_andn2_saveexec_b64 s[4:5], s[4:5]
	s_cbranch_execnz .LBB1937_214
.LBB1937_160:
	s_or_b64 exec, exec, s[4:5]
	s_and_b64 exec, exec, s[42:43]
	s_cbranch_execz .LBB1937_162
.LBB1937_161:
	v_sub_u32_e32 v23, v7, v47
	v_mov_b32_e32 v24, 0
	v_lshlrev_b64 v[23:24], 2, v[23:24]
	v_add_co_u32_e32 v23, vcc, v21, v23
	v_addc_co_u32_e32 v24, vcc, v22, v24, vcc
	global_store_dword v[23:24], v81, off
.LBB1937_162:
	s_or_b64 exec, exec, s[40:41]
	s_mov_b64 s[40:41], 0
.LBB1937_163:
	s_and_b64 vcc, exec, s[40:41]
	s_cbranch_vccz .LBB1937_173
; %bb.164:
	v_cmp_gt_i16_e32 vcc, 2, v5
	s_and_saveexec_b64 s[4:5], vcc
	s_cbranch_execz .LBB1937_169
; %bb.165:
	v_cmp_ne_u16_e32 vcc, 1, v5
	s_mov_b64 s[42:43], 0
	s_and_saveexec_b64 s[40:41], vcc
	s_xor_b64 s[40:41], exec, s[40:41]
	s_cbranch_execnz .LBB1937_215
; %bb.166:
	s_andn2_saveexec_b64 s[6:7], s[40:41]
	s_cbranch_execnz .LBB1937_231
.LBB1937_167:
	s_or_b64 exec, exec, s[6:7]
	s_and_b64 exec, exec, s[42:43]
.LBB1937_168:
	v_sub_u32_e32 v5, v7, v47
	v_lshlrev_b32_e32 v5, 2, v5
	ds_write_b32 v5, v81
.LBB1937_169:
	s_or_b64 exec, exec, s[4:5]
	v_cmp_lt_u32_e32 vcc, v0, v43
	s_waitcnt vmcnt(0) lgkmcnt(0)
	s_barrier
	s_and_saveexec_b64 s[6:7], vcc
	s_cbranch_execz .LBB1937_172
; %bb.170:
	v_lshlrev_b32_e32 v23, 2, v0
	s_mov_b64 s[8:9], 0
	v_mov_b32_e32 v6, 0
	v_mov_b32_e32 v5, v0
.LBB1937_171:                           ; =>This Inner Loop Header: Depth=1
	ds_read_b32 v26, v23
	v_lshlrev_b64 v[24:25], 2, v[5:6]
	v_add_u32_e32 v5, 0x100, v5
	v_cmp_ge_u32_e32 vcc, v5, v43
	v_add_co_u32_e64 v24, s[4:5], v21, v24
	v_add_u32_e32 v23, 0x400, v23
	v_addc_co_u32_e64 v25, s[4:5], v22, v25, s[4:5]
	s_or_b64 s[8:9], vcc, s[8:9]
	s_waitcnt lgkmcnt(0)
	global_store_dword v[24:25], v26, off
	s_andn2_b64 exec, exec, s[8:9]
	s_cbranch_execnz .LBB1937_171
.LBB1937_172:
	s_or_b64 exec, exec, s[6:7]
.LBB1937_173:
	s_and_b64 s[6:7], s[38:39], s[50:51]
	s_waitcnt vmcnt(0)
	s_barrier
	s_and_saveexec_b64 s[4:5], s[6:7]
	s_cbranch_execz .LBB1937_175
; %bb.174:
	v_mov_b32_e32 v5, 0
	buffer_store_dword v5, off, s[0:3], 0
.LBB1937_175:
	s_or_b64 exec, exec, s[4:5]
	s_mul_hi_u32 s4, s33, 0x88888889
	s_lshr_b32 s4, s4, 3
	v_cmp_eq_u32_e32 vcc, s4, v0
	s_and_b64 s[6:7], vcc, s[48:49]
	s_and_saveexec_b64 s[4:5], s[6:7]
	s_cbranch_execz .LBB1937_177
; %bb.176:
	s_lshl_b32 s6, s33, 2
	v_mov_b32_e32 v5, s6
	s_movk_i32 s6, 0xffc4
	v_mad_i32_i24 v5, v0, s6, v5
	v_mov_b32_e32 v6, 1
	buffer_store_dword v6, v5, s[0:3], 0 offen
.LBB1937_177:
	s_or_b64 exec, exec, s[4:5]
	buffer_load_dword v25, off, s[0:3], 0
	buffer_load_dword v26, off, s[0:3], 0 offset:4
	buffer_load_dword v27, off, s[0:3], 0 offset:8
	;; [unrolled: 1-line block ×14, first 2 shown]
	v_add_co_u32_e32 v3, vcc, v79, v3
	v_lshlrev_b64 v[5:6], 3, v[1:2]
	v_addc_co_u32_e32 v4, vcc, v80, v4, vcc
	v_mov_b32_e32 v39, s59
	v_lshlrev_b64 v[22:23], 3, v[47:48]
	v_add_co_u32_e32 v5, vcc, s58, v5
	v_addc_co_u32_e32 v6, vcc, v39, v6, vcc
	v_cndmask_b32_e64 v21, 0, 1, s[50:51]
	v_add_co_u32_e32 v5, vcc, v5, v22
	v_lshlrev_b32_e32 v42, 3, v21
	v_addc_co_u32_e32 v6, vcc, v6, v23, vcc
	v_add_co_u32_e32 v22, vcc, v5, v42
	v_addc_co_u32_e32 v23, vcc, 0, v6, vcc
	v_add_co_u32_e32 v22, vcc, -8, v22
	v_addc_co_u32_e32 v23, vcc, -1, v23, vcc
	s_cmpk_lg_i32 s33, 0xf00
	s_cselect_b64 s[4:5], -1, 0
	s_and_b64 s[4:5], s[4:5], s[48:49]
	v_sub_u32_e32 v41, v43, v21
	v_add_u32_e32 v24, v47, v21
	v_cndmask_b32_e64 v21, 0, 1, s[4:5]
	v_add_u32_e32 v21, v41, v21
	s_movk_i32 s36, 0x100
	s_mov_b64 s[38:39], -1
	s_waitcnt vmcnt(14)
	v_cmp_eq_u32_e32 vcc, 0, v25
	v_cmp_ne_u32_e64 s[34:35], 0, v25
	v_cndmask_b32_e64 v25, 1, 2, vcc
	s_waitcnt vmcnt(13)
	v_cmp_eq_u32_e32 vcc, 0, v26
	v_cmp_ne_u32_e64 s[30:31], 0, v26
	v_cndmask_b32_e64 v26, 1, 2, vcc
	;; [unrolled: 4-line block ×3, first 2 shown]
	s_waitcnt vmcnt(11)
	v_cmp_eq_u32_e32 vcc, 0, v28
	v_and_b32_e32 v25, v26, v25
	v_cmp_ne_u32_e64 s[26:27], 0, v28
	v_cndmask_b32_e64 v28, 1, 2, vcc
	s_waitcnt vmcnt(10)
	v_cmp_eq_u32_e32 vcc, 0, v29
	v_and_b32_e32 v25, v25, v27
	v_cmp_ne_u32_e64 s[24:25], 0, v29
	v_cndmask_b32_e64 v29, 1, 2, vcc
	s_waitcnt vmcnt(9)
	v_cmp_eq_u32_e32 vcc, 0, v30
	v_and_b32_e32 v25, v25, v28
	v_cmp_ne_u32_e64 s[22:23], 0, v30
	v_cndmask_b32_e64 v30, 1, 2, vcc
	s_waitcnt vmcnt(8)
	v_cmp_eq_u32_e32 vcc, 0, v31
	v_and_b32_e32 v25, v25, v29
	v_cmp_ne_u32_e64 s[20:21], 0, v31
	v_cndmask_b32_e64 v31, 1, 2, vcc
	s_waitcnt vmcnt(7)
	v_cmp_eq_u32_e32 vcc, 0, v32
	v_and_b32_e32 v25, v25, v30
	v_cmp_ne_u32_e64 s[18:19], 0, v32
	v_cndmask_b32_e64 v32, 1, 2, vcc
	s_waitcnt vmcnt(6)
	v_cmp_eq_u32_e32 vcc, 0, v33
	v_and_b32_e32 v25, v25, v31
	v_cmp_ne_u32_e64 s[16:17], 0, v33
	v_cndmask_b32_e64 v33, 1, 2, vcc
	s_waitcnt vmcnt(5)
	v_cmp_eq_u32_e32 vcc, 0, v34
	v_and_b32_e32 v25, v25, v32
	v_cmp_ne_u32_e64 s[14:15], 0, v34
	v_cndmask_b32_e64 v34, 1, 2, vcc
	s_waitcnt vmcnt(4)
	v_cmp_eq_u32_e32 vcc, 0, v35
	v_and_b32_e32 v25, v25, v33
	v_cmp_ne_u32_e64 s[12:13], 0, v35
	v_cndmask_b32_e64 v35, 1, 2, vcc
	v_and_b32_e32 v25, v25, v34
	s_waitcnt vmcnt(3)
	v_cmp_eq_u32_e32 vcc, 0, v36
	v_and_b32_e32 v25, v25, v35
	v_cndmask_b32_e64 v26, 1, 2, vcc
	s_waitcnt vmcnt(2)
	v_cmp_eq_u32_e32 vcc, 0, v37
	v_and_b32_e32 v25, v25, v26
	v_cndmask_b32_e64 v26, 1, 2, vcc
	;; [unrolled: 4-line block ×4, first 2 shown]
	v_and_b32_e32 v25, v25, v26
	v_cmp_gt_u32_e32 vcc, s36, v21
	v_cmp_ne_u32_e64 s[8:9], 0, v36
	v_cmp_ne_u32_e64 s[10:11], 0, v37
	;; [unrolled: 1-line block ×4, first 2 shown]
	v_cmp_gt_i16_e64 s[36:37], 2, v25
	s_cbranch_vccz .LBB1937_184
; %bb.178:
	s_and_saveexec_b64 s[38:39], s[36:37]
	s_cbranch_execz .LBB1937_183
; %bb.179:
	v_cmp_ne_u16_e32 vcc, 1, v25
	s_mov_b64 s[40:41], 0
	s_and_saveexec_b64 s[36:37], vcc
	s_xor_b64 s[36:37], exec, s[36:37]
	s_cbranch_execnz .LBB1937_232
; %bb.180:
	s_andn2_saveexec_b64 s[36:37], s[36:37]
	s_cbranch_execnz .LBB1937_248
.LBB1937_181:
	s_or_b64 exec, exec, s[36:37]
	s_and_b64 exec, exec, s[40:41]
	s_cbranch_execz .LBB1937_183
.LBB1937_182:
	v_sub_u32_e32 v26, v7, v24
	v_mov_b32_e32 v27, 0
	v_lshlrev_b64 v[26:27], 3, v[26:27]
	v_add_co_u32_e32 v26, vcc, v22, v26
	v_addc_co_u32_e32 v27, vcc, v23, v27, vcc
	global_store_dwordx2 v[26:27], v[3:4], off
.LBB1937_183:
	s_or_b64 exec, exec, s[38:39]
	s_mov_b64 s[38:39], 0
.LBB1937_184:
	s_and_b64 vcc, exec, s[38:39]
	s_cbranch_vccz .LBB1937_194
; %bb.185:
	v_cmp_gt_i16_e32 vcc, 2, v25
	s_and_saveexec_b64 s[36:37], vcc
	s_cbranch_execz .LBB1937_190
; %bb.186:
	v_cmp_ne_u16_e32 vcc, 1, v25
	s_mov_b64 s[40:41], 0
	s_and_saveexec_b64 s[38:39], vcc
	s_xor_b64 s[38:39], exec, s[38:39]
	s_cbranch_execnz .LBB1937_249
; %bb.187:
	s_andn2_saveexec_b64 s[4:5], s[38:39]
	s_cbranch_execnz .LBB1937_265
.LBB1937_188:
	s_or_b64 exec, exec, s[4:5]
	s_and_b64 exec, exec, s[40:41]
.LBB1937_189:
	v_sub_u32_e32 v7, v7, v24
	v_lshlrev_b32_e32 v7, 3, v7
	ds_write_b64 v7, v[3:4]
.LBB1937_190:
	s_or_b64 exec, exec, s[36:37]
	v_cmp_lt_u32_e32 vcc, v0, v21
	s_waitcnt vmcnt(0) lgkmcnt(0)
	s_barrier
	s_and_saveexec_b64 s[6:7], vcc
	s_cbranch_execz .LBB1937_193
; %bb.191:
	v_lshlrev_b32_e32 v7, 3, v0
	s_mov_b64 s[8:9], 0
	v_mov_b32_e32 v4, 0
	v_mov_b32_e32 v3, v0
.LBB1937_192:                           ; =>This Inner Loop Header: Depth=1
	ds_read_b64 v[10:11], v7
	v_lshlrev_b64 v[8:9], 3, v[3:4]
	v_add_u32_e32 v3, 0x100, v3
	v_cmp_ge_u32_e32 vcc, v3, v21
	v_add_co_u32_e64 v8, s[4:5], v22, v8
	v_add_u32_e32 v7, 0x800, v7
	v_addc_co_u32_e64 v9, s[4:5], v23, v9, s[4:5]
	s_or_b64 s[8:9], vcc, s[8:9]
	s_waitcnt lgkmcnt(0)
	global_store_dwordx2 v[8:9], v[10:11], off
	s_andn2_b64 exec, exec, s[8:9]
	s_cbranch_execnz .LBB1937_192
.LBB1937_193:
	s_or_b64 exec, exec, s[6:7]
.LBB1937_194:
	s_movk_i32 s4, 0xff
	v_cmp_eq_u32_e32 vcc, s4, v0
	s_and_b64 s[4:5], vcc, s[48:49]
	s_and_saveexec_b64 s[6:7], s[4:5]
	s_cbranch_execz .LBB1937_197
; %bb.195:
	v_add_co_u32_e32 v0, vcc, v43, v47
	v_addc_co_u32_e64 v3, s[4:5], 0, 0, vcc
	v_add_co_u32_e32 v0, vcc, v0, v1
	v_mov_b32_e32 v44, 0
	v_addc_co_u32_e32 v1, vcc, v3, v2, vcc
	s_cmpk_lg_i32 s33, 0xf00
	global_store_dwordx2 v44, v[0:1], s[60:61]
	s_cbranch_scc1 .LBB1937_197
; %bb.196:
	v_lshlrev_b64 v[0:1], 3, v[43:44]
	v_add_co_u32_e32 v0, vcc, v5, v0
	v_addc_co_u32_e32 v1, vcc, v6, v1, vcc
	global_store_dwordx2 v[0:1], v[45:46], off offset:-8
.LBB1937_197:
	s_endpgm
.LBB1937_198:
	s_and_saveexec_b64 s[42:43], s[36:37]
	s_cbranch_execnz .LBB1937_266
; %bb.199:
	s_or_b64 exec, exec, s[42:43]
	s_and_saveexec_b64 s[42:43], s[34:35]
	s_cbranch_execnz .LBB1937_267
.LBB1937_200:
	s_or_b64 exec, exec, s[42:43]
	s_and_saveexec_b64 s[42:43], s[30:31]
	s_cbranch_execnz .LBB1937_268
.LBB1937_201:
	s_or_b64 exec, exec, s[42:43]
	s_and_saveexec_b64 s[42:43], s[28:29]
	s_cbranch_execnz .LBB1937_269
.LBB1937_202:
	s_or_b64 exec, exec, s[42:43]
	s_and_saveexec_b64 s[42:43], s[26:27]
	s_cbranch_execnz .LBB1937_270
.LBB1937_203:
	s_or_b64 exec, exec, s[42:43]
	s_and_saveexec_b64 s[42:43], s[24:25]
	s_cbranch_execnz .LBB1937_271
.LBB1937_204:
	s_or_b64 exec, exec, s[42:43]
	s_and_saveexec_b64 s[42:43], s[22:23]
	s_cbranch_execnz .LBB1937_272
.LBB1937_205:
	s_or_b64 exec, exec, s[42:43]
	s_and_saveexec_b64 s[42:43], s[20:21]
	s_cbranch_execnz .LBB1937_273
.LBB1937_206:
	s_or_b64 exec, exec, s[42:43]
	s_and_saveexec_b64 s[42:43], s[18:19]
	s_cbranch_execnz .LBB1937_274
.LBB1937_207:
	s_or_b64 exec, exec, s[42:43]
	s_and_saveexec_b64 s[42:43], s[16:17]
	s_cbranch_execnz .LBB1937_275
.LBB1937_208:
	s_or_b64 exec, exec, s[42:43]
	s_and_saveexec_b64 s[42:43], s[14:15]
	s_cbranch_execnz .LBB1937_276
.LBB1937_209:
	s_or_b64 exec, exec, s[42:43]
	s_and_saveexec_b64 s[42:43], s[12:13]
	s_cbranch_execnz .LBB1937_277
.LBB1937_210:
	s_or_b64 exec, exec, s[42:43]
	s_and_saveexec_b64 s[42:43], s[10:11]
	s_cbranch_execnz .LBB1937_278
.LBB1937_211:
	s_or_b64 exec, exec, s[42:43]
	s_and_saveexec_b64 s[42:43], s[6:7]
	s_cbranch_execz .LBB1937_213
.LBB1937_212:
	v_sub_u32_e32 v23, v8, v47
	v_mov_b32_e32 v24, 0
	v_lshlrev_b64 v[23:24], 2, v[23:24]
	v_add_co_u32_e32 v23, vcc, v21, v23
	v_addc_co_u32_e32 v24, vcc, v22, v24, vcc
	global_store_dword v[23:24], v30, off
.LBB1937_213:
	s_or_b64 exec, exec, s[42:43]
	s_and_b64 s[42:43], s[8:9], exec
	s_andn2_saveexec_b64 s[4:5], s[4:5]
	s_cbranch_execz .LBB1937_160
.LBB1937_214:
	v_sub_u32_e32 v23, v44, v47
	v_mov_b32_e32 v24, 0
	v_lshlrev_b64 v[25:26], 2, v[23:24]
	v_sub_u32_e32 v23, v20, v47
	v_add_co_u32_e32 v25, vcc, v21, v25
	v_addc_co_u32_e32 v26, vcc, v22, v26, vcc
	global_store_dword v[25:26], v41, off
	v_lshlrev_b64 v[25:26], 2, v[23:24]
	v_sub_u32_e32 v23, v19, v47
	v_add_co_u32_e32 v25, vcc, v21, v25
	v_addc_co_u32_e32 v26, vcc, v22, v26, vcc
	global_store_dword v[25:26], v42, off
	;; [unrolled: 5-line block ×12, first 2 shown]
	v_lshlrev_b64 v[25:26], 2, v[23:24]
	v_sub_u32_e32 v23, v8, v47
	v_add_co_u32_e32 v25, vcc, v21, v25
	v_lshlrev_b64 v[23:24], 2, v[23:24]
	v_addc_co_u32_e32 v26, vcc, v22, v26, vcc
	v_add_co_u32_e32 v23, vcc, v21, v23
	v_addc_co_u32_e32 v24, vcc, v22, v24, vcc
	s_or_b64 s[42:43], s[42:43], exec
	global_store_dword v[25:26], v29, off
	global_store_dword v[23:24], v30, off
	s_or_b64 exec, exec, s[4:5]
	s_and_b64 exec, exec, s[42:43]
	s_cbranch_execnz .LBB1937_161
	s_branch .LBB1937_162
.LBB1937_215:
	s_and_saveexec_b64 s[42:43], s[36:37]
	s_cbranch_execnz .LBB1937_279
; %bb.216:
	s_or_b64 exec, exec, s[42:43]
	s_and_saveexec_b64 s[36:37], s[34:35]
	s_cbranch_execnz .LBB1937_280
.LBB1937_217:
	s_or_b64 exec, exec, s[36:37]
	s_and_saveexec_b64 s[34:35], s[30:31]
	s_cbranch_execnz .LBB1937_281
.LBB1937_218:
	s_or_b64 exec, exec, s[34:35]
	s_and_saveexec_b64 s[30:31], s[28:29]
	s_cbranch_execnz .LBB1937_282
.LBB1937_219:
	s_or_b64 exec, exec, s[30:31]
	s_and_saveexec_b64 s[28:29], s[26:27]
	s_cbranch_execnz .LBB1937_283
.LBB1937_220:
	s_or_b64 exec, exec, s[28:29]
	s_and_saveexec_b64 s[26:27], s[24:25]
	s_cbranch_execnz .LBB1937_284
.LBB1937_221:
	s_or_b64 exec, exec, s[26:27]
	s_and_saveexec_b64 s[24:25], s[22:23]
	s_cbranch_execnz .LBB1937_285
.LBB1937_222:
	s_or_b64 exec, exec, s[24:25]
	s_and_saveexec_b64 s[22:23], s[20:21]
	s_cbranch_execnz .LBB1937_286
.LBB1937_223:
	s_or_b64 exec, exec, s[22:23]
	s_and_saveexec_b64 s[20:21], s[18:19]
	s_cbranch_execnz .LBB1937_287
.LBB1937_224:
	s_or_b64 exec, exec, s[20:21]
	s_and_saveexec_b64 s[18:19], s[16:17]
	s_cbranch_execnz .LBB1937_288
.LBB1937_225:
	s_or_b64 exec, exec, s[18:19]
	s_and_saveexec_b64 s[16:17], s[14:15]
	s_cbranch_execnz .LBB1937_289
.LBB1937_226:
	s_or_b64 exec, exec, s[16:17]
	s_and_saveexec_b64 s[14:15], s[12:13]
	s_cbranch_execnz .LBB1937_290
.LBB1937_227:
	s_or_b64 exec, exec, s[14:15]
	s_and_saveexec_b64 s[12:13], s[10:11]
	s_cbranch_execnz .LBB1937_291
.LBB1937_228:
	s_or_b64 exec, exec, s[12:13]
	s_and_saveexec_b64 s[10:11], s[6:7]
.LBB1937_229:
	v_sub_u32_e32 v5, v8, v47
	v_lshlrev_b32_e32 v5, 2, v5
	ds_write_b32 v5, v30
.LBB1937_230:
	s_or_b64 exec, exec, s[10:11]
	s_and_b64 s[42:43], s[8:9], exec
                                        ; implicit-def: $vgpr41
                                        ; implicit-def: $vgpr39
                                        ; implicit-def: $vgpr37
                                        ; implicit-def: $vgpr35
                                        ; implicit-def: $vgpr33
                                        ; implicit-def: $vgpr31
                                        ; implicit-def: $vgpr29
	s_andn2_saveexec_b64 s[6:7], s[40:41]
	s_cbranch_execz .LBB1937_167
.LBB1937_231:
	v_sub_u32_e32 v5, v44, v47
	v_lshlrev_b32_e32 v5, 2, v5
	ds_write_b32 v5, v41
	v_sub_u32_e32 v5, v20, v47
	v_lshlrev_b32_e32 v5, 2, v5
	ds_write_b32 v5, v42
	;; [unrolled: 3-line block ×13, first 2 shown]
	v_sub_u32_e32 v5, v8, v47
	v_lshlrev_b32_e32 v5, 2, v5
	s_or_b64 s[42:43], s[42:43], exec
	ds_write_b32 v5, v30
	s_or_b64 exec, exec, s[6:7]
	s_and_b64 exec, exec, s[42:43]
	s_cbranch_execnz .LBB1937_168
	s_branch .LBB1937_169
.LBB1937_232:
	s_and_saveexec_b64 s[40:41], s[34:35]
	s_cbranch_execnz .LBB1937_292
; %bb.233:
	s_or_b64 exec, exec, s[40:41]
	s_and_saveexec_b64 s[40:41], s[30:31]
	s_cbranch_execnz .LBB1937_293
.LBB1937_234:
	s_or_b64 exec, exec, s[40:41]
	s_and_saveexec_b64 s[40:41], s[28:29]
	s_cbranch_execnz .LBB1937_294
.LBB1937_235:
	s_or_b64 exec, exec, s[40:41]
	s_and_saveexec_b64 s[40:41], s[26:27]
	s_cbranch_execnz .LBB1937_295
.LBB1937_236:
	s_or_b64 exec, exec, s[40:41]
	s_and_saveexec_b64 s[40:41], s[24:25]
	s_cbranch_execnz .LBB1937_296
.LBB1937_237:
	s_or_b64 exec, exec, s[40:41]
	s_and_saveexec_b64 s[40:41], s[22:23]
	s_cbranch_execnz .LBB1937_297
.LBB1937_238:
	s_or_b64 exec, exec, s[40:41]
	s_and_saveexec_b64 s[40:41], s[20:21]
	s_cbranch_execnz .LBB1937_298
.LBB1937_239:
	s_or_b64 exec, exec, s[40:41]
	s_and_saveexec_b64 s[40:41], s[18:19]
	s_cbranch_execnz .LBB1937_299
.LBB1937_240:
	s_or_b64 exec, exec, s[40:41]
	s_and_saveexec_b64 s[40:41], s[16:17]
	s_cbranch_execnz .LBB1937_300
.LBB1937_241:
	s_or_b64 exec, exec, s[40:41]
	s_and_saveexec_b64 s[40:41], s[14:15]
	s_cbranch_execnz .LBB1937_301
.LBB1937_242:
	s_or_b64 exec, exec, s[40:41]
	s_and_saveexec_b64 s[40:41], s[12:13]
	s_cbranch_execnz .LBB1937_302
.LBB1937_243:
	s_or_b64 exec, exec, s[40:41]
	s_and_saveexec_b64 s[40:41], s[8:9]
	s_cbranch_execnz .LBB1937_303
.LBB1937_244:
	s_or_b64 exec, exec, s[40:41]
	s_and_saveexec_b64 s[40:41], s[10:11]
	s_cbranch_execnz .LBB1937_304
.LBB1937_245:
	s_or_b64 exec, exec, s[40:41]
	s_and_saveexec_b64 s[40:41], s[6:7]
	s_cbranch_execz .LBB1937_247
.LBB1937_246:
	v_sub_u32_e32 v26, v8, v24
	v_mov_b32_e32 v27, 0
	v_lshlrev_b64 v[26:27], 3, v[26:27]
	v_add_co_u32_e32 v26, vcc, v22, v26
	v_addc_co_u32_e32 v27, vcc, v23, v27, vcc
	global_store_dwordx2 v[26:27], v[77:78], off
.LBB1937_247:
	s_or_b64 exec, exec, s[40:41]
	s_and_b64 s[40:41], s[4:5], exec
	s_andn2_saveexec_b64 s[36:37], s[36:37]
	s_cbranch_execz .LBB1937_181
.LBB1937_248:
	v_sub_u32_e32 v26, v44, v24
	v_mov_b32_e32 v27, 0
	v_lshlrev_b64 v[28:29], 3, v[26:27]
	v_sub_u32_e32 v26, v20, v24
	v_add_co_u32_e32 v28, vcc, v22, v28
	v_addc_co_u32_e32 v29, vcc, v23, v29, vcc
	global_store_dwordx2 v[28:29], v[73:74], off
	v_lshlrev_b64 v[28:29], 3, v[26:27]
	v_sub_u32_e32 v26, v19, v24
	v_add_co_u32_e32 v28, vcc, v22, v28
	v_addc_co_u32_e32 v29, vcc, v23, v29, vcc
	global_store_dwordx2 v[28:29], v[49:50], off
	;; [unrolled: 5-line block ×12, first 2 shown]
	v_lshlrev_b64 v[28:29], 3, v[26:27]
	v_sub_u32_e32 v26, v8, v24
	v_add_co_u32_e32 v28, vcc, v22, v28
	v_lshlrev_b64 v[26:27], 3, v[26:27]
	v_addc_co_u32_e32 v29, vcc, v23, v29, vcc
	v_add_co_u32_e32 v26, vcc, v22, v26
	v_addc_co_u32_e32 v27, vcc, v23, v27, vcc
	s_or_b64 s[40:41], s[40:41], exec
	global_store_dwordx2 v[28:29], v[71:72], off
	global_store_dwordx2 v[26:27], v[77:78], off
	s_or_b64 exec, exec, s[36:37]
	s_and_b64 exec, exec, s[40:41]
	s_cbranch_execnz .LBB1937_182
	s_branch .LBB1937_183
.LBB1937_249:
	s_and_saveexec_b64 s[40:41], s[34:35]
	s_cbranch_execnz .LBB1937_305
; %bb.250:
	s_or_b64 exec, exec, s[40:41]
	s_and_saveexec_b64 s[34:35], s[30:31]
	s_cbranch_execnz .LBB1937_306
.LBB1937_251:
	s_or_b64 exec, exec, s[34:35]
	s_and_saveexec_b64 s[30:31], s[28:29]
	s_cbranch_execnz .LBB1937_307
.LBB1937_252:
	s_or_b64 exec, exec, s[30:31]
	s_and_saveexec_b64 s[28:29], s[26:27]
	s_cbranch_execnz .LBB1937_308
.LBB1937_253:
	s_or_b64 exec, exec, s[28:29]
	s_and_saveexec_b64 s[26:27], s[24:25]
	s_cbranch_execnz .LBB1937_309
.LBB1937_254:
	s_or_b64 exec, exec, s[26:27]
	s_and_saveexec_b64 s[24:25], s[22:23]
	s_cbranch_execnz .LBB1937_310
.LBB1937_255:
	s_or_b64 exec, exec, s[24:25]
	s_and_saveexec_b64 s[22:23], s[20:21]
	s_cbranch_execnz .LBB1937_311
.LBB1937_256:
	s_or_b64 exec, exec, s[22:23]
	s_and_saveexec_b64 s[20:21], s[18:19]
	s_cbranch_execnz .LBB1937_312
.LBB1937_257:
	s_or_b64 exec, exec, s[20:21]
	s_and_saveexec_b64 s[18:19], s[16:17]
	s_cbranch_execnz .LBB1937_313
.LBB1937_258:
	s_or_b64 exec, exec, s[18:19]
	s_and_saveexec_b64 s[16:17], s[14:15]
	s_cbranch_execnz .LBB1937_314
.LBB1937_259:
	s_or_b64 exec, exec, s[16:17]
	s_and_saveexec_b64 s[14:15], s[12:13]
	s_cbranch_execnz .LBB1937_315
.LBB1937_260:
	s_or_b64 exec, exec, s[14:15]
	s_and_saveexec_b64 s[12:13], s[8:9]
	s_cbranch_execnz .LBB1937_316
.LBB1937_261:
	s_or_b64 exec, exec, s[12:13]
	s_and_saveexec_b64 s[8:9], s[10:11]
	s_cbranch_execnz .LBB1937_317
.LBB1937_262:
	s_or_b64 exec, exec, s[8:9]
	s_and_saveexec_b64 s[8:9], s[6:7]
.LBB1937_263:
	v_sub_u32_e32 v8, v8, v24
	v_lshlrev_b32_e32 v8, 3, v8
	ds_write_b64 v8, v[77:78]
.LBB1937_264:
	s_or_b64 exec, exec, s[8:9]
	s_and_b64 s[40:41], s[4:5], exec
                                        ; implicit-def: $vgpr73_vgpr74
                                        ; implicit-def: $vgpr49_vgpr50
                                        ; implicit-def: $vgpr51_vgpr52
                                        ; implicit-def: $vgpr53_vgpr54
                                        ; implicit-def: $vgpr55_vgpr56
                                        ; implicit-def: $vgpr57_vgpr58
                                        ; implicit-def: $vgpr59_vgpr60
                                        ; implicit-def: $vgpr61_vgpr62
                                        ; implicit-def: $vgpr63_vgpr64
                                        ; implicit-def: $vgpr65_vgpr66
                                        ; implicit-def: $vgpr67_vgpr68
                                        ; implicit-def: $vgpr69_vgpr70
                                        ; implicit-def: $vgpr71_vgpr72
                                        ; implicit-def: $vgpr77_vgpr78
                                        ; implicit-def: $vgpr44
                                        ; implicit-def: $vgpr20
                                        ; implicit-def: $vgpr19
                                        ; implicit-def: $vgpr18
                                        ; implicit-def: $vgpr17
                                        ; implicit-def: $vgpr16
                                        ; implicit-def: $vgpr15
                                        ; implicit-def: $vgpr14
                                        ; implicit-def: $vgpr13
                                        ; implicit-def: $vgpr12
                                        ; implicit-def: $vgpr11
                                        ; implicit-def: $vgpr10
                                        ; implicit-def: $vgpr9
                                        ; implicit-def: $vgpr8
	s_andn2_saveexec_b64 s[4:5], s[38:39]
	s_cbranch_execz .LBB1937_188
.LBB1937_265:
	v_sub_u32_e32 v25, v44, v24
	v_sub_u32_e32 v20, v20, v24
	;; [unrolled: 1-line block ×14, first 2 shown]
	v_lshlrev_b32_e32 v25, 3, v25
	v_lshlrev_b32_e32 v20, 3, v20
	;; [unrolled: 1-line block ×14, first 2 shown]
	s_or_b64 s[40:41], s[40:41], exec
	ds_write_b64 v25, v[73:74]
	ds_write_b64 v20, v[49:50]
	;; [unrolled: 1-line block ×14, first 2 shown]
	s_or_b64 exec, exec, s[4:5]
	s_and_b64 exec, exec, s[40:41]
	s_cbranch_execnz .LBB1937_189
	s_branch .LBB1937_190
.LBB1937_266:
	v_sub_u32_e32 v23, v44, v47
	v_mov_b32_e32 v24, 0
	v_lshlrev_b64 v[23:24], 2, v[23:24]
	v_add_co_u32_e32 v23, vcc, v21, v23
	v_addc_co_u32_e32 v24, vcc, v22, v24, vcc
	global_store_dword v[23:24], v41, off
	s_or_b64 exec, exec, s[42:43]
	s_and_saveexec_b64 s[42:43], s[34:35]
	s_cbranch_execz .LBB1937_200
.LBB1937_267:
	v_sub_u32_e32 v23, v20, v47
	v_mov_b32_e32 v24, 0
	v_lshlrev_b64 v[23:24], 2, v[23:24]
	v_add_co_u32_e32 v23, vcc, v21, v23
	v_addc_co_u32_e32 v24, vcc, v22, v24, vcc
	global_store_dword v[23:24], v42, off
	s_or_b64 exec, exec, s[42:43]
	s_and_saveexec_b64 s[42:43], s[30:31]
	s_cbranch_execz .LBB1937_201
.LBB1937_268:
	v_sub_u32_e32 v23, v19, v47
	v_mov_b32_e32 v24, 0
	v_lshlrev_b64 v[23:24], 2, v[23:24]
	v_add_co_u32_e32 v23, vcc, v21, v23
	v_addc_co_u32_e32 v24, vcc, v22, v24, vcc
	global_store_dword v[23:24], v39, off
	s_or_b64 exec, exec, s[42:43]
	s_and_saveexec_b64 s[42:43], s[28:29]
	s_cbranch_execz .LBB1937_202
.LBB1937_269:
	v_sub_u32_e32 v23, v18, v47
	v_mov_b32_e32 v24, 0
	v_lshlrev_b64 v[23:24], 2, v[23:24]
	v_add_co_u32_e32 v23, vcc, v21, v23
	v_addc_co_u32_e32 v24, vcc, v22, v24, vcc
	global_store_dword v[23:24], v40, off
	s_or_b64 exec, exec, s[42:43]
	s_and_saveexec_b64 s[42:43], s[26:27]
	s_cbranch_execz .LBB1937_203
.LBB1937_270:
	v_sub_u32_e32 v23, v17, v47
	v_mov_b32_e32 v24, 0
	v_lshlrev_b64 v[23:24], 2, v[23:24]
	v_add_co_u32_e32 v23, vcc, v21, v23
	v_addc_co_u32_e32 v24, vcc, v22, v24, vcc
	global_store_dword v[23:24], v37, off
	s_or_b64 exec, exec, s[42:43]
	s_and_saveexec_b64 s[42:43], s[24:25]
	s_cbranch_execz .LBB1937_204
.LBB1937_271:
	v_sub_u32_e32 v23, v16, v47
	v_mov_b32_e32 v24, 0
	v_lshlrev_b64 v[23:24], 2, v[23:24]
	v_add_co_u32_e32 v23, vcc, v21, v23
	v_addc_co_u32_e32 v24, vcc, v22, v24, vcc
	global_store_dword v[23:24], v38, off
	s_or_b64 exec, exec, s[42:43]
	s_and_saveexec_b64 s[42:43], s[22:23]
	s_cbranch_execz .LBB1937_205
.LBB1937_272:
	v_sub_u32_e32 v23, v15, v47
	v_mov_b32_e32 v24, 0
	v_lshlrev_b64 v[23:24], 2, v[23:24]
	v_add_co_u32_e32 v23, vcc, v21, v23
	v_addc_co_u32_e32 v24, vcc, v22, v24, vcc
	global_store_dword v[23:24], v35, off
	s_or_b64 exec, exec, s[42:43]
	s_and_saveexec_b64 s[42:43], s[20:21]
	s_cbranch_execz .LBB1937_206
.LBB1937_273:
	v_sub_u32_e32 v23, v14, v47
	v_mov_b32_e32 v24, 0
	v_lshlrev_b64 v[23:24], 2, v[23:24]
	v_add_co_u32_e32 v23, vcc, v21, v23
	v_addc_co_u32_e32 v24, vcc, v22, v24, vcc
	global_store_dword v[23:24], v36, off
	s_or_b64 exec, exec, s[42:43]
	s_and_saveexec_b64 s[42:43], s[18:19]
	s_cbranch_execz .LBB1937_207
.LBB1937_274:
	v_sub_u32_e32 v23, v13, v47
	v_mov_b32_e32 v24, 0
	v_lshlrev_b64 v[23:24], 2, v[23:24]
	v_add_co_u32_e32 v23, vcc, v21, v23
	v_addc_co_u32_e32 v24, vcc, v22, v24, vcc
	global_store_dword v[23:24], v33, off
	s_or_b64 exec, exec, s[42:43]
	s_and_saveexec_b64 s[42:43], s[16:17]
	s_cbranch_execz .LBB1937_208
.LBB1937_275:
	v_sub_u32_e32 v23, v12, v47
	v_mov_b32_e32 v24, 0
	v_lshlrev_b64 v[23:24], 2, v[23:24]
	v_add_co_u32_e32 v23, vcc, v21, v23
	v_addc_co_u32_e32 v24, vcc, v22, v24, vcc
	global_store_dword v[23:24], v34, off
	s_or_b64 exec, exec, s[42:43]
	s_and_saveexec_b64 s[42:43], s[14:15]
	s_cbranch_execz .LBB1937_209
.LBB1937_276:
	v_sub_u32_e32 v23, v11, v47
	v_mov_b32_e32 v24, 0
	v_lshlrev_b64 v[23:24], 2, v[23:24]
	v_add_co_u32_e32 v23, vcc, v21, v23
	v_addc_co_u32_e32 v24, vcc, v22, v24, vcc
	global_store_dword v[23:24], v31, off
	s_or_b64 exec, exec, s[42:43]
	s_and_saveexec_b64 s[42:43], s[12:13]
	s_cbranch_execz .LBB1937_210
.LBB1937_277:
	v_sub_u32_e32 v23, v10, v47
	v_mov_b32_e32 v24, 0
	v_lshlrev_b64 v[23:24], 2, v[23:24]
	v_add_co_u32_e32 v23, vcc, v21, v23
	v_addc_co_u32_e32 v24, vcc, v22, v24, vcc
	global_store_dword v[23:24], v32, off
	s_or_b64 exec, exec, s[42:43]
	s_and_saveexec_b64 s[42:43], s[10:11]
	s_cbranch_execz .LBB1937_211
.LBB1937_278:
	v_sub_u32_e32 v23, v9, v47
	v_mov_b32_e32 v24, 0
	v_lshlrev_b64 v[23:24], 2, v[23:24]
	v_add_co_u32_e32 v23, vcc, v21, v23
	v_addc_co_u32_e32 v24, vcc, v22, v24, vcc
	global_store_dword v[23:24], v29, off
	s_or_b64 exec, exec, s[42:43]
	s_and_saveexec_b64 s[42:43], s[6:7]
	s_cbranch_execnz .LBB1937_212
	s_branch .LBB1937_213
.LBB1937_279:
	v_sub_u32_e32 v5, v44, v47
	v_lshlrev_b32_e32 v5, 2, v5
	ds_write_b32 v5, v41
	s_or_b64 exec, exec, s[42:43]
	s_and_saveexec_b64 s[36:37], s[34:35]
	s_cbranch_execz .LBB1937_217
.LBB1937_280:
	v_sub_u32_e32 v5, v20, v47
	v_lshlrev_b32_e32 v5, 2, v5
	ds_write_b32 v5, v42
	s_or_b64 exec, exec, s[36:37]
	s_and_saveexec_b64 s[34:35], s[30:31]
	s_cbranch_execz .LBB1937_218
.LBB1937_281:
	v_sub_u32_e32 v5, v19, v47
	v_lshlrev_b32_e32 v5, 2, v5
	ds_write_b32 v5, v39
	s_or_b64 exec, exec, s[34:35]
	s_and_saveexec_b64 s[30:31], s[28:29]
	s_cbranch_execz .LBB1937_219
.LBB1937_282:
	v_sub_u32_e32 v5, v18, v47
	v_lshlrev_b32_e32 v5, 2, v5
	ds_write_b32 v5, v40
	s_or_b64 exec, exec, s[30:31]
	s_and_saveexec_b64 s[28:29], s[26:27]
	s_cbranch_execz .LBB1937_220
.LBB1937_283:
	v_sub_u32_e32 v5, v17, v47
	v_lshlrev_b32_e32 v5, 2, v5
	ds_write_b32 v5, v37
	s_or_b64 exec, exec, s[28:29]
	s_and_saveexec_b64 s[26:27], s[24:25]
	s_cbranch_execz .LBB1937_221
.LBB1937_284:
	v_sub_u32_e32 v5, v16, v47
	v_lshlrev_b32_e32 v5, 2, v5
	ds_write_b32 v5, v38
	s_or_b64 exec, exec, s[26:27]
	s_and_saveexec_b64 s[24:25], s[22:23]
	s_cbranch_execz .LBB1937_222
.LBB1937_285:
	v_sub_u32_e32 v5, v15, v47
	v_lshlrev_b32_e32 v5, 2, v5
	ds_write_b32 v5, v35
	s_or_b64 exec, exec, s[24:25]
	s_and_saveexec_b64 s[22:23], s[20:21]
	s_cbranch_execz .LBB1937_223
.LBB1937_286:
	v_sub_u32_e32 v5, v14, v47
	v_lshlrev_b32_e32 v5, 2, v5
	ds_write_b32 v5, v36
	s_or_b64 exec, exec, s[22:23]
	s_and_saveexec_b64 s[20:21], s[18:19]
	s_cbranch_execz .LBB1937_224
.LBB1937_287:
	v_sub_u32_e32 v5, v13, v47
	v_lshlrev_b32_e32 v5, 2, v5
	ds_write_b32 v5, v33
	s_or_b64 exec, exec, s[20:21]
	s_and_saveexec_b64 s[18:19], s[16:17]
	s_cbranch_execz .LBB1937_225
.LBB1937_288:
	v_sub_u32_e32 v5, v12, v47
	v_lshlrev_b32_e32 v5, 2, v5
	ds_write_b32 v5, v34
	s_or_b64 exec, exec, s[18:19]
	s_and_saveexec_b64 s[16:17], s[14:15]
	s_cbranch_execz .LBB1937_226
.LBB1937_289:
	v_sub_u32_e32 v5, v11, v47
	v_lshlrev_b32_e32 v5, 2, v5
	ds_write_b32 v5, v31
	s_or_b64 exec, exec, s[16:17]
	s_and_saveexec_b64 s[14:15], s[12:13]
	s_cbranch_execz .LBB1937_227
.LBB1937_290:
	v_sub_u32_e32 v5, v10, v47
	v_lshlrev_b32_e32 v5, 2, v5
	ds_write_b32 v5, v32
	s_or_b64 exec, exec, s[14:15]
	s_and_saveexec_b64 s[12:13], s[10:11]
	s_cbranch_execz .LBB1937_228
.LBB1937_291:
	v_sub_u32_e32 v5, v9, v47
	v_lshlrev_b32_e32 v5, 2, v5
	ds_write_b32 v5, v29
	s_or_b64 exec, exec, s[12:13]
	s_and_saveexec_b64 s[10:11], s[6:7]
	s_cbranch_execnz .LBB1937_229
	s_branch .LBB1937_230
.LBB1937_292:
	v_sub_u32_e32 v26, v44, v24
	v_mov_b32_e32 v27, 0
	v_lshlrev_b64 v[26:27], 3, v[26:27]
	v_add_co_u32_e32 v26, vcc, v22, v26
	v_addc_co_u32_e32 v27, vcc, v23, v27, vcc
	global_store_dwordx2 v[26:27], v[73:74], off
	s_or_b64 exec, exec, s[40:41]
	s_and_saveexec_b64 s[40:41], s[30:31]
	s_cbranch_execz .LBB1937_234
.LBB1937_293:
	v_sub_u32_e32 v26, v20, v24
	v_mov_b32_e32 v27, 0
	v_lshlrev_b64 v[26:27], 3, v[26:27]
	v_add_co_u32_e32 v26, vcc, v22, v26
	v_addc_co_u32_e32 v27, vcc, v23, v27, vcc
	global_store_dwordx2 v[26:27], v[49:50], off
	s_or_b64 exec, exec, s[40:41]
	s_and_saveexec_b64 s[40:41], s[28:29]
	s_cbranch_execz .LBB1937_235
.LBB1937_294:
	v_sub_u32_e32 v26, v19, v24
	v_mov_b32_e32 v27, 0
	v_lshlrev_b64 v[26:27], 3, v[26:27]
	v_add_co_u32_e32 v26, vcc, v22, v26
	v_addc_co_u32_e32 v27, vcc, v23, v27, vcc
	global_store_dwordx2 v[26:27], v[51:52], off
	s_or_b64 exec, exec, s[40:41]
	s_and_saveexec_b64 s[40:41], s[26:27]
	s_cbranch_execz .LBB1937_236
.LBB1937_295:
	v_sub_u32_e32 v26, v18, v24
	v_mov_b32_e32 v27, 0
	v_lshlrev_b64 v[26:27], 3, v[26:27]
	v_add_co_u32_e32 v26, vcc, v22, v26
	v_addc_co_u32_e32 v27, vcc, v23, v27, vcc
	global_store_dwordx2 v[26:27], v[53:54], off
	s_or_b64 exec, exec, s[40:41]
	s_and_saveexec_b64 s[40:41], s[24:25]
	s_cbranch_execz .LBB1937_237
.LBB1937_296:
	v_sub_u32_e32 v26, v17, v24
	v_mov_b32_e32 v27, 0
	v_lshlrev_b64 v[26:27], 3, v[26:27]
	v_add_co_u32_e32 v26, vcc, v22, v26
	v_addc_co_u32_e32 v27, vcc, v23, v27, vcc
	global_store_dwordx2 v[26:27], v[55:56], off
	s_or_b64 exec, exec, s[40:41]
	s_and_saveexec_b64 s[40:41], s[22:23]
	s_cbranch_execz .LBB1937_238
.LBB1937_297:
	v_sub_u32_e32 v26, v16, v24
	v_mov_b32_e32 v27, 0
	v_lshlrev_b64 v[26:27], 3, v[26:27]
	v_add_co_u32_e32 v26, vcc, v22, v26
	v_addc_co_u32_e32 v27, vcc, v23, v27, vcc
	global_store_dwordx2 v[26:27], v[57:58], off
	s_or_b64 exec, exec, s[40:41]
	s_and_saveexec_b64 s[40:41], s[20:21]
	s_cbranch_execz .LBB1937_239
.LBB1937_298:
	v_sub_u32_e32 v26, v15, v24
	v_mov_b32_e32 v27, 0
	v_lshlrev_b64 v[26:27], 3, v[26:27]
	v_add_co_u32_e32 v26, vcc, v22, v26
	v_addc_co_u32_e32 v27, vcc, v23, v27, vcc
	global_store_dwordx2 v[26:27], v[59:60], off
	s_or_b64 exec, exec, s[40:41]
	s_and_saveexec_b64 s[40:41], s[18:19]
	s_cbranch_execz .LBB1937_240
.LBB1937_299:
	v_sub_u32_e32 v26, v14, v24
	v_mov_b32_e32 v27, 0
	v_lshlrev_b64 v[26:27], 3, v[26:27]
	v_add_co_u32_e32 v26, vcc, v22, v26
	v_addc_co_u32_e32 v27, vcc, v23, v27, vcc
	global_store_dwordx2 v[26:27], v[61:62], off
	s_or_b64 exec, exec, s[40:41]
	s_and_saveexec_b64 s[40:41], s[16:17]
	s_cbranch_execz .LBB1937_241
.LBB1937_300:
	v_sub_u32_e32 v26, v13, v24
	v_mov_b32_e32 v27, 0
	v_lshlrev_b64 v[26:27], 3, v[26:27]
	v_add_co_u32_e32 v26, vcc, v22, v26
	v_addc_co_u32_e32 v27, vcc, v23, v27, vcc
	global_store_dwordx2 v[26:27], v[63:64], off
	s_or_b64 exec, exec, s[40:41]
	s_and_saveexec_b64 s[40:41], s[14:15]
	s_cbranch_execz .LBB1937_242
.LBB1937_301:
	v_sub_u32_e32 v26, v12, v24
	v_mov_b32_e32 v27, 0
	v_lshlrev_b64 v[26:27], 3, v[26:27]
	v_add_co_u32_e32 v26, vcc, v22, v26
	v_addc_co_u32_e32 v27, vcc, v23, v27, vcc
	global_store_dwordx2 v[26:27], v[65:66], off
	s_or_b64 exec, exec, s[40:41]
	s_and_saveexec_b64 s[40:41], s[12:13]
	s_cbranch_execz .LBB1937_243
.LBB1937_302:
	v_sub_u32_e32 v26, v11, v24
	v_mov_b32_e32 v27, 0
	v_lshlrev_b64 v[26:27], 3, v[26:27]
	v_add_co_u32_e32 v26, vcc, v22, v26
	v_addc_co_u32_e32 v27, vcc, v23, v27, vcc
	global_store_dwordx2 v[26:27], v[67:68], off
	s_or_b64 exec, exec, s[40:41]
	s_and_saveexec_b64 s[40:41], s[8:9]
	s_cbranch_execz .LBB1937_244
.LBB1937_303:
	v_sub_u32_e32 v26, v10, v24
	v_mov_b32_e32 v27, 0
	v_lshlrev_b64 v[26:27], 3, v[26:27]
	v_add_co_u32_e32 v26, vcc, v22, v26
	v_addc_co_u32_e32 v27, vcc, v23, v27, vcc
	global_store_dwordx2 v[26:27], v[69:70], off
	s_or_b64 exec, exec, s[40:41]
	s_and_saveexec_b64 s[40:41], s[10:11]
	s_cbranch_execz .LBB1937_245
.LBB1937_304:
	v_sub_u32_e32 v26, v9, v24
	v_mov_b32_e32 v27, 0
	v_lshlrev_b64 v[26:27], 3, v[26:27]
	v_add_co_u32_e32 v26, vcc, v22, v26
	v_addc_co_u32_e32 v27, vcc, v23, v27, vcc
	global_store_dwordx2 v[26:27], v[71:72], off
	s_or_b64 exec, exec, s[40:41]
	s_and_saveexec_b64 s[40:41], s[6:7]
	s_cbranch_execnz .LBB1937_246
	s_branch .LBB1937_247
.LBB1937_305:
	v_sub_u32_e32 v25, v44, v24
	v_lshlrev_b32_e32 v25, 3, v25
	ds_write_b64 v25, v[73:74]
	s_or_b64 exec, exec, s[40:41]
	s_and_saveexec_b64 s[34:35], s[30:31]
	s_cbranch_execz .LBB1937_251
.LBB1937_306:
	v_sub_u32_e32 v20, v20, v24
	v_lshlrev_b32_e32 v20, 3, v20
	ds_write_b64 v20, v[49:50]
	s_or_b64 exec, exec, s[34:35]
	s_and_saveexec_b64 s[30:31], s[28:29]
	s_cbranch_execz .LBB1937_252
.LBB1937_307:
	v_sub_u32_e32 v19, v19, v24
	v_lshlrev_b32_e32 v19, 3, v19
	ds_write_b64 v19, v[51:52]
	s_or_b64 exec, exec, s[30:31]
	s_and_saveexec_b64 s[28:29], s[26:27]
	s_cbranch_execz .LBB1937_253
.LBB1937_308:
	v_sub_u32_e32 v18, v18, v24
	v_lshlrev_b32_e32 v18, 3, v18
	ds_write_b64 v18, v[53:54]
	s_or_b64 exec, exec, s[28:29]
	s_and_saveexec_b64 s[26:27], s[24:25]
	s_cbranch_execz .LBB1937_254
.LBB1937_309:
	v_sub_u32_e32 v17, v17, v24
	v_lshlrev_b32_e32 v17, 3, v17
	ds_write_b64 v17, v[55:56]
	s_or_b64 exec, exec, s[26:27]
	s_and_saveexec_b64 s[24:25], s[22:23]
	s_cbranch_execz .LBB1937_255
.LBB1937_310:
	v_sub_u32_e32 v16, v16, v24
	v_lshlrev_b32_e32 v16, 3, v16
	ds_write_b64 v16, v[57:58]
	s_or_b64 exec, exec, s[24:25]
	s_and_saveexec_b64 s[22:23], s[20:21]
	s_cbranch_execz .LBB1937_256
.LBB1937_311:
	v_sub_u32_e32 v15, v15, v24
	v_lshlrev_b32_e32 v15, 3, v15
	ds_write_b64 v15, v[59:60]
	s_or_b64 exec, exec, s[22:23]
	s_and_saveexec_b64 s[20:21], s[18:19]
	s_cbranch_execz .LBB1937_257
.LBB1937_312:
	v_sub_u32_e32 v14, v14, v24
	v_lshlrev_b32_e32 v14, 3, v14
	ds_write_b64 v14, v[61:62]
	s_or_b64 exec, exec, s[20:21]
	s_and_saveexec_b64 s[18:19], s[16:17]
	s_cbranch_execz .LBB1937_258
.LBB1937_313:
	v_sub_u32_e32 v13, v13, v24
	v_lshlrev_b32_e32 v13, 3, v13
	ds_write_b64 v13, v[63:64]
	s_or_b64 exec, exec, s[18:19]
	s_and_saveexec_b64 s[16:17], s[14:15]
	s_cbranch_execz .LBB1937_259
.LBB1937_314:
	v_sub_u32_e32 v12, v12, v24
	v_lshlrev_b32_e32 v12, 3, v12
	ds_write_b64 v12, v[65:66]
	s_or_b64 exec, exec, s[16:17]
	s_and_saveexec_b64 s[14:15], s[12:13]
	s_cbranch_execz .LBB1937_260
.LBB1937_315:
	v_sub_u32_e32 v11, v11, v24
	v_lshlrev_b32_e32 v11, 3, v11
	ds_write_b64 v11, v[67:68]
	s_or_b64 exec, exec, s[14:15]
	s_and_saveexec_b64 s[12:13], s[8:9]
	s_cbranch_execz .LBB1937_261
.LBB1937_316:
	v_sub_u32_e32 v10, v10, v24
	v_lshlrev_b32_e32 v10, 3, v10
	ds_write_b64 v10, v[69:70]
	s_or_b64 exec, exec, s[12:13]
	s_and_saveexec_b64 s[8:9], s[10:11]
	s_cbranch_execz .LBB1937_262
.LBB1937_317:
	v_sub_u32_e32 v9, v9, v24
	v_lshlrev_b32_e32 v9, 3, v9
	ds_write_b64 v9, v[71:72]
	s_or_b64 exec, exec, s[8:9]
	s_and_saveexec_b64 s[8:9], s[6:7]
	s_cbranch_execnz .LBB1937_263
	s_branch .LBB1937_264
	.section	.rodata,"a",@progbits
	.p2align	6, 0x0
	.amdhsa_kernel _ZN7rocprim17ROCPRIM_400000_NS6detail17trampoline_kernelINS0_14default_configENS1_29reduce_by_key_config_selectorIflN6thrust23THRUST_200600_302600_NS4plusIlEEEEZZNS1_33reduce_by_key_impl_wrapped_configILNS1_25lookback_scan_determinismE0ES3_S9_PfNS6_17constant_iteratorIiNS6_11use_defaultESE_EENS6_10device_ptrIfEENSG_IlEEPmS8_NS6_8equal_toIfEEEE10hipError_tPvRmT2_T3_mT4_T5_T6_T7_T8_P12ihipStream_tbENKUlT_T0_E_clISt17integral_constantIbLb0EES12_IbLb1EEEEDaSY_SZ_EUlSY_E_NS1_11comp_targetILNS1_3genE2ELNS1_11target_archE906ELNS1_3gpuE6ELNS1_3repE0EEENS1_30default_config_static_selectorELNS0_4arch9wavefront6targetE1EEEvT1_
		.amdhsa_group_segment_fixed_size 30720
		.amdhsa_private_segment_fixed_size 64
		.amdhsa_kernarg_size 144
		.amdhsa_user_sgpr_count 6
		.amdhsa_user_sgpr_private_segment_buffer 1
		.amdhsa_user_sgpr_dispatch_ptr 0
		.amdhsa_user_sgpr_queue_ptr 0
		.amdhsa_user_sgpr_kernarg_segment_ptr 1
		.amdhsa_user_sgpr_dispatch_id 0
		.amdhsa_user_sgpr_flat_scratch_init 0
		.amdhsa_user_sgpr_private_segment_size 0
		.amdhsa_uses_dynamic_stack 0
		.amdhsa_system_sgpr_private_segment_wavefront_offset 1
		.amdhsa_system_sgpr_workgroup_id_x 1
		.amdhsa_system_sgpr_workgroup_id_y 0
		.amdhsa_system_sgpr_workgroup_id_z 0
		.amdhsa_system_sgpr_workgroup_info 0
		.amdhsa_system_vgpr_workitem_id 0
		.amdhsa_next_free_vgpr 102
		.amdhsa_next_free_sgpr 98
		.amdhsa_reserve_vcc 1
		.amdhsa_reserve_flat_scratch 0
		.amdhsa_float_round_mode_32 0
		.amdhsa_float_round_mode_16_64 0
		.amdhsa_float_denorm_mode_32 3
		.amdhsa_float_denorm_mode_16_64 3
		.amdhsa_dx10_clamp 1
		.amdhsa_ieee_mode 1
		.amdhsa_fp16_overflow 0
		.amdhsa_exception_fp_ieee_invalid_op 0
		.amdhsa_exception_fp_denorm_src 0
		.amdhsa_exception_fp_ieee_div_zero 0
		.amdhsa_exception_fp_ieee_overflow 0
		.amdhsa_exception_fp_ieee_underflow 0
		.amdhsa_exception_fp_ieee_inexact 0
		.amdhsa_exception_int_div_zero 0
	.end_amdhsa_kernel
	.section	.text._ZN7rocprim17ROCPRIM_400000_NS6detail17trampoline_kernelINS0_14default_configENS1_29reduce_by_key_config_selectorIflN6thrust23THRUST_200600_302600_NS4plusIlEEEEZZNS1_33reduce_by_key_impl_wrapped_configILNS1_25lookback_scan_determinismE0ES3_S9_PfNS6_17constant_iteratorIiNS6_11use_defaultESE_EENS6_10device_ptrIfEENSG_IlEEPmS8_NS6_8equal_toIfEEEE10hipError_tPvRmT2_T3_mT4_T5_T6_T7_T8_P12ihipStream_tbENKUlT_T0_E_clISt17integral_constantIbLb0EES12_IbLb1EEEEDaSY_SZ_EUlSY_E_NS1_11comp_targetILNS1_3genE2ELNS1_11target_archE906ELNS1_3gpuE6ELNS1_3repE0EEENS1_30default_config_static_selectorELNS0_4arch9wavefront6targetE1EEEvT1_,"axG",@progbits,_ZN7rocprim17ROCPRIM_400000_NS6detail17trampoline_kernelINS0_14default_configENS1_29reduce_by_key_config_selectorIflN6thrust23THRUST_200600_302600_NS4plusIlEEEEZZNS1_33reduce_by_key_impl_wrapped_configILNS1_25lookback_scan_determinismE0ES3_S9_PfNS6_17constant_iteratorIiNS6_11use_defaultESE_EENS6_10device_ptrIfEENSG_IlEEPmS8_NS6_8equal_toIfEEEE10hipError_tPvRmT2_T3_mT4_T5_T6_T7_T8_P12ihipStream_tbENKUlT_T0_E_clISt17integral_constantIbLb0EES12_IbLb1EEEEDaSY_SZ_EUlSY_E_NS1_11comp_targetILNS1_3genE2ELNS1_11target_archE906ELNS1_3gpuE6ELNS1_3repE0EEENS1_30default_config_static_selectorELNS0_4arch9wavefront6targetE1EEEvT1_,comdat
.Lfunc_end1937:
	.size	_ZN7rocprim17ROCPRIM_400000_NS6detail17trampoline_kernelINS0_14default_configENS1_29reduce_by_key_config_selectorIflN6thrust23THRUST_200600_302600_NS4plusIlEEEEZZNS1_33reduce_by_key_impl_wrapped_configILNS1_25lookback_scan_determinismE0ES3_S9_PfNS6_17constant_iteratorIiNS6_11use_defaultESE_EENS6_10device_ptrIfEENSG_IlEEPmS8_NS6_8equal_toIfEEEE10hipError_tPvRmT2_T3_mT4_T5_T6_T7_T8_P12ihipStream_tbENKUlT_T0_E_clISt17integral_constantIbLb0EES12_IbLb1EEEEDaSY_SZ_EUlSY_E_NS1_11comp_targetILNS1_3genE2ELNS1_11target_archE906ELNS1_3gpuE6ELNS1_3repE0EEENS1_30default_config_static_selectorELNS0_4arch9wavefront6targetE1EEEvT1_, .Lfunc_end1937-_ZN7rocprim17ROCPRIM_400000_NS6detail17trampoline_kernelINS0_14default_configENS1_29reduce_by_key_config_selectorIflN6thrust23THRUST_200600_302600_NS4plusIlEEEEZZNS1_33reduce_by_key_impl_wrapped_configILNS1_25lookback_scan_determinismE0ES3_S9_PfNS6_17constant_iteratorIiNS6_11use_defaultESE_EENS6_10device_ptrIfEENSG_IlEEPmS8_NS6_8equal_toIfEEEE10hipError_tPvRmT2_T3_mT4_T5_T6_T7_T8_P12ihipStream_tbENKUlT_T0_E_clISt17integral_constantIbLb0EES12_IbLb1EEEEDaSY_SZ_EUlSY_E_NS1_11comp_targetILNS1_3genE2ELNS1_11target_archE906ELNS1_3gpuE6ELNS1_3repE0EEENS1_30default_config_static_selectorELNS0_4arch9wavefront6targetE1EEEvT1_
                                        ; -- End function
	.set _ZN7rocprim17ROCPRIM_400000_NS6detail17trampoline_kernelINS0_14default_configENS1_29reduce_by_key_config_selectorIflN6thrust23THRUST_200600_302600_NS4plusIlEEEEZZNS1_33reduce_by_key_impl_wrapped_configILNS1_25lookback_scan_determinismE0ES3_S9_PfNS6_17constant_iteratorIiNS6_11use_defaultESE_EENS6_10device_ptrIfEENSG_IlEEPmS8_NS6_8equal_toIfEEEE10hipError_tPvRmT2_T3_mT4_T5_T6_T7_T8_P12ihipStream_tbENKUlT_T0_E_clISt17integral_constantIbLb0EES12_IbLb1EEEEDaSY_SZ_EUlSY_E_NS1_11comp_targetILNS1_3genE2ELNS1_11target_archE906ELNS1_3gpuE6ELNS1_3repE0EEENS1_30default_config_static_selectorELNS0_4arch9wavefront6targetE1EEEvT1_.num_vgpr, 102
	.set _ZN7rocprim17ROCPRIM_400000_NS6detail17trampoline_kernelINS0_14default_configENS1_29reduce_by_key_config_selectorIflN6thrust23THRUST_200600_302600_NS4plusIlEEEEZZNS1_33reduce_by_key_impl_wrapped_configILNS1_25lookback_scan_determinismE0ES3_S9_PfNS6_17constant_iteratorIiNS6_11use_defaultESE_EENS6_10device_ptrIfEENSG_IlEEPmS8_NS6_8equal_toIfEEEE10hipError_tPvRmT2_T3_mT4_T5_T6_T7_T8_P12ihipStream_tbENKUlT_T0_E_clISt17integral_constantIbLb0EES12_IbLb1EEEEDaSY_SZ_EUlSY_E_NS1_11comp_targetILNS1_3genE2ELNS1_11target_archE906ELNS1_3gpuE6ELNS1_3repE0EEENS1_30default_config_static_selectorELNS0_4arch9wavefront6targetE1EEEvT1_.num_agpr, 0
	.set _ZN7rocprim17ROCPRIM_400000_NS6detail17trampoline_kernelINS0_14default_configENS1_29reduce_by_key_config_selectorIflN6thrust23THRUST_200600_302600_NS4plusIlEEEEZZNS1_33reduce_by_key_impl_wrapped_configILNS1_25lookback_scan_determinismE0ES3_S9_PfNS6_17constant_iteratorIiNS6_11use_defaultESE_EENS6_10device_ptrIfEENSG_IlEEPmS8_NS6_8equal_toIfEEEE10hipError_tPvRmT2_T3_mT4_T5_T6_T7_T8_P12ihipStream_tbENKUlT_T0_E_clISt17integral_constantIbLb0EES12_IbLb1EEEEDaSY_SZ_EUlSY_E_NS1_11comp_targetILNS1_3genE2ELNS1_11target_archE906ELNS1_3gpuE6ELNS1_3repE0EEENS1_30default_config_static_selectorELNS0_4arch9wavefront6targetE1EEEvT1_.numbered_sgpr, 68
	.set _ZN7rocprim17ROCPRIM_400000_NS6detail17trampoline_kernelINS0_14default_configENS1_29reduce_by_key_config_selectorIflN6thrust23THRUST_200600_302600_NS4plusIlEEEEZZNS1_33reduce_by_key_impl_wrapped_configILNS1_25lookback_scan_determinismE0ES3_S9_PfNS6_17constant_iteratorIiNS6_11use_defaultESE_EENS6_10device_ptrIfEENSG_IlEEPmS8_NS6_8equal_toIfEEEE10hipError_tPvRmT2_T3_mT4_T5_T6_T7_T8_P12ihipStream_tbENKUlT_T0_E_clISt17integral_constantIbLb0EES12_IbLb1EEEEDaSY_SZ_EUlSY_E_NS1_11comp_targetILNS1_3genE2ELNS1_11target_archE906ELNS1_3gpuE6ELNS1_3repE0EEENS1_30default_config_static_selectorELNS0_4arch9wavefront6targetE1EEEvT1_.num_named_barrier, 0
	.set _ZN7rocprim17ROCPRIM_400000_NS6detail17trampoline_kernelINS0_14default_configENS1_29reduce_by_key_config_selectorIflN6thrust23THRUST_200600_302600_NS4plusIlEEEEZZNS1_33reduce_by_key_impl_wrapped_configILNS1_25lookback_scan_determinismE0ES3_S9_PfNS6_17constant_iteratorIiNS6_11use_defaultESE_EENS6_10device_ptrIfEENSG_IlEEPmS8_NS6_8equal_toIfEEEE10hipError_tPvRmT2_T3_mT4_T5_T6_T7_T8_P12ihipStream_tbENKUlT_T0_E_clISt17integral_constantIbLb0EES12_IbLb1EEEEDaSY_SZ_EUlSY_E_NS1_11comp_targetILNS1_3genE2ELNS1_11target_archE906ELNS1_3gpuE6ELNS1_3repE0EEENS1_30default_config_static_selectorELNS0_4arch9wavefront6targetE1EEEvT1_.private_seg_size, 64
	.set _ZN7rocprim17ROCPRIM_400000_NS6detail17trampoline_kernelINS0_14default_configENS1_29reduce_by_key_config_selectorIflN6thrust23THRUST_200600_302600_NS4plusIlEEEEZZNS1_33reduce_by_key_impl_wrapped_configILNS1_25lookback_scan_determinismE0ES3_S9_PfNS6_17constant_iteratorIiNS6_11use_defaultESE_EENS6_10device_ptrIfEENSG_IlEEPmS8_NS6_8equal_toIfEEEE10hipError_tPvRmT2_T3_mT4_T5_T6_T7_T8_P12ihipStream_tbENKUlT_T0_E_clISt17integral_constantIbLb0EES12_IbLb1EEEEDaSY_SZ_EUlSY_E_NS1_11comp_targetILNS1_3genE2ELNS1_11target_archE906ELNS1_3gpuE6ELNS1_3repE0EEENS1_30default_config_static_selectorELNS0_4arch9wavefront6targetE1EEEvT1_.uses_vcc, 1
	.set _ZN7rocprim17ROCPRIM_400000_NS6detail17trampoline_kernelINS0_14default_configENS1_29reduce_by_key_config_selectorIflN6thrust23THRUST_200600_302600_NS4plusIlEEEEZZNS1_33reduce_by_key_impl_wrapped_configILNS1_25lookback_scan_determinismE0ES3_S9_PfNS6_17constant_iteratorIiNS6_11use_defaultESE_EENS6_10device_ptrIfEENSG_IlEEPmS8_NS6_8equal_toIfEEEE10hipError_tPvRmT2_T3_mT4_T5_T6_T7_T8_P12ihipStream_tbENKUlT_T0_E_clISt17integral_constantIbLb0EES12_IbLb1EEEEDaSY_SZ_EUlSY_E_NS1_11comp_targetILNS1_3genE2ELNS1_11target_archE906ELNS1_3gpuE6ELNS1_3repE0EEENS1_30default_config_static_selectorELNS0_4arch9wavefront6targetE1EEEvT1_.uses_flat_scratch, 0
	.set _ZN7rocprim17ROCPRIM_400000_NS6detail17trampoline_kernelINS0_14default_configENS1_29reduce_by_key_config_selectorIflN6thrust23THRUST_200600_302600_NS4plusIlEEEEZZNS1_33reduce_by_key_impl_wrapped_configILNS1_25lookback_scan_determinismE0ES3_S9_PfNS6_17constant_iteratorIiNS6_11use_defaultESE_EENS6_10device_ptrIfEENSG_IlEEPmS8_NS6_8equal_toIfEEEE10hipError_tPvRmT2_T3_mT4_T5_T6_T7_T8_P12ihipStream_tbENKUlT_T0_E_clISt17integral_constantIbLb0EES12_IbLb1EEEEDaSY_SZ_EUlSY_E_NS1_11comp_targetILNS1_3genE2ELNS1_11target_archE906ELNS1_3gpuE6ELNS1_3repE0EEENS1_30default_config_static_selectorELNS0_4arch9wavefront6targetE1EEEvT1_.has_dyn_sized_stack, 0
	.set _ZN7rocprim17ROCPRIM_400000_NS6detail17trampoline_kernelINS0_14default_configENS1_29reduce_by_key_config_selectorIflN6thrust23THRUST_200600_302600_NS4plusIlEEEEZZNS1_33reduce_by_key_impl_wrapped_configILNS1_25lookback_scan_determinismE0ES3_S9_PfNS6_17constant_iteratorIiNS6_11use_defaultESE_EENS6_10device_ptrIfEENSG_IlEEPmS8_NS6_8equal_toIfEEEE10hipError_tPvRmT2_T3_mT4_T5_T6_T7_T8_P12ihipStream_tbENKUlT_T0_E_clISt17integral_constantIbLb0EES12_IbLb1EEEEDaSY_SZ_EUlSY_E_NS1_11comp_targetILNS1_3genE2ELNS1_11target_archE906ELNS1_3gpuE6ELNS1_3repE0EEENS1_30default_config_static_selectorELNS0_4arch9wavefront6targetE1EEEvT1_.has_recursion, 0
	.set _ZN7rocprim17ROCPRIM_400000_NS6detail17trampoline_kernelINS0_14default_configENS1_29reduce_by_key_config_selectorIflN6thrust23THRUST_200600_302600_NS4plusIlEEEEZZNS1_33reduce_by_key_impl_wrapped_configILNS1_25lookback_scan_determinismE0ES3_S9_PfNS6_17constant_iteratorIiNS6_11use_defaultESE_EENS6_10device_ptrIfEENSG_IlEEPmS8_NS6_8equal_toIfEEEE10hipError_tPvRmT2_T3_mT4_T5_T6_T7_T8_P12ihipStream_tbENKUlT_T0_E_clISt17integral_constantIbLb0EES12_IbLb1EEEEDaSY_SZ_EUlSY_E_NS1_11comp_targetILNS1_3genE2ELNS1_11target_archE906ELNS1_3gpuE6ELNS1_3repE0EEENS1_30default_config_static_selectorELNS0_4arch9wavefront6targetE1EEEvT1_.has_indirect_call, 0
	.section	.AMDGPU.csdata,"",@progbits
; Kernel info:
; codeLenInByte = 16384
; TotalNumSgprs: 72
; NumVgprs: 102
; ScratchSize: 64
; MemoryBound: 0
; FloatMode: 240
; IeeeMode: 1
; LDSByteSize: 30720 bytes/workgroup (compile time only)
; SGPRBlocks: 12
; VGPRBlocks: 25
; NumSGPRsForWavesPerEU: 102
; NumVGPRsForWavesPerEU: 102
; Occupancy: 2
; WaveLimiterHint : 1
; COMPUTE_PGM_RSRC2:SCRATCH_EN: 1
; COMPUTE_PGM_RSRC2:USER_SGPR: 6
; COMPUTE_PGM_RSRC2:TRAP_HANDLER: 0
; COMPUTE_PGM_RSRC2:TGID_X_EN: 1
; COMPUTE_PGM_RSRC2:TGID_Y_EN: 0
; COMPUTE_PGM_RSRC2:TGID_Z_EN: 0
; COMPUTE_PGM_RSRC2:TIDIG_COMP_CNT: 0
	.section	.text._ZN7rocprim17ROCPRIM_400000_NS6detail17trampoline_kernelINS0_14default_configENS1_29reduce_by_key_config_selectorIflN6thrust23THRUST_200600_302600_NS4plusIlEEEEZZNS1_33reduce_by_key_impl_wrapped_configILNS1_25lookback_scan_determinismE0ES3_S9_PfNS6_17constant_iteratorIiNS6_11use_defaultESE_EENS6_10device_ptrIfEENSG_IlEEPmS8_NS6_8equal_toIfEEEE10hipError_tPvRmT2_T3_mT4_T5_T6_T7_T8_P12ihipStream_tbENKUlT_T0_E_clISt17integral_constantIbLb0EES12_IbLb1EEEEDaSY_SZ_EUlSY_E_NS1_11comp_targetILNS1_3genE10ELNS1_11target_archE1201ELNS1_3gpuE5ELNS1_3repE0EEENS1_30default_config_static_selectorELNS0_4arch9wavefront6targetE1EEEvT1_,"axG",@progbits,_ZN7rocprim17ROCPRIM_400000_NS6detail17trampoline_kernelINS0_14default_configENS1_29reduce_by_key_config_selectorIflN6thrust23THRUST_200600_302600_NS4plusIlEEEEZZNS1_33reduce_by_key_impl_wrapped_configILNS1_25lookback_scan_determinismE0ES3_S9_PfNS6_17constant_iteratorIiNS6_11use_defaultESE_EENS6_10device_ptrIfEENSG_IlEEPmS8_NS6_8equal_toIfEEEE10hipError_tPvRmT2_T3_mT4_T5_T6_T7_T8_P12ihipStream_tbENKUlT_T0_E_clISt17integral_constantIbLb0EES12_IbLb1EEEEDaSY_SZ_EUlSY_E_NS1_11comp_targetILNS1_3genE10ELNS1_11target_archE1201ELNS1_3gpuE5ELNS1_3repE0EEENS1_30default_config_static_selectorELNS0_4arch9wavefront6targetE1EEEvT1_,comdat
	.protected	_ZN7rocprim17ROCPRIM_400000_NS6detail17trampoline_kernelINS0_14default_configENS1_29reduce_by_key_config_selectorIflN6thrust23THRUST_200600_302600_NS4plusIlEEEEZZNS1_33reduce_by_key_impl_wrapped_configILNS1_25lookback_scan_determinismE0ES3_S9_PfNS6_17constant_iteratorIiNS6_11use_defaultESE_EENS6_10device_ptrIfEENSG_IlEEPmS8_NS6_8equal_toIfEEEE10hipError_tPvRmT2_T3_mT4_T5_T6_T7_T8_P12ihipStream_tbENKUlT_T0_E_clISt17integral_constantIbLb0EES12_IbLb1EEEEDaSY_SZ_EUlSY_E_NS1_11comp_targetILNS1_3genE10ELNS1_11target_archE1201ELNS1_3gpuE5ELNS1_3repE0EEENS1_30default_config_static_selectorELNS0_4arch9wavefront6targetE1EEEvT1_ ; -- Begin function _ZN7rocprim17ROCPRIM_400000_NS6detail17trampoline_kernelINS0_14default_configENS1_29reduce_by_key_config_selectorIflN6thrust23THRUST_200600_302600_NS4plusIlEEEEZZNS1_33reduce_by_key_impl_wrapped_configILNS1_25lookback_scan_determinismE0ES3_S9_PfNS6_17constant_iteratorIiNS6_11use_defaultESE_EENS6_10device_ptrIfEENSG_IlEEPmS8_NS6_8equal_toIfEEEE10hipError_tPvRmT2_T3_mT4_T5_T6_T7_T8_P12ihipStream_tbENKUlT_T0_E_clISt17integral_constantIbLb0EES12_IbLb1EEEEDaSY_SZ_EUlSY_E_NS1_11comp_targetILNS1_3genE10ELNS1_11target_archE1201ELNS1_3gpuE5ELNS1_3repE0EEENS1_30default_config_static_selectorELNS0_4arch9wavefront6targetE1EEEvT1_
	.globl	_ZN7rocprim17ROCPRIM_400000_NS6detail17trampoline_kernelINS0_14default_configENS1_29reduce_by_key_config_selectorIflN6thrust23THRUST_200600_302600_NS4plusIlEEEEZZNS1_33reduce_by_key_impl_wrapped_configILNS1_25lookback_scan_determinismE0ES3_S9_PfNS6_17constant_iteratorIiNS6_11use_defaultESE_EENS6_10device_ptrIfEENSG_IlEEPmS8_NS6_8equal_toIfEEEE10hipError_tPvRmT2_T3_mT4_T5_T6_T7_T8_P12ihipStream_tbENKUlT_T0_E_clISt17integral_constantIbLb0EES12_IbLb1EEEEDaSY_SZ_EUlSY_E_NS1_11comp_targetILNS1_3genE10ELNS1_11target_archE1201ELNS1_3gpuE5ELNS1_3repE0EEENS1_30default_config_static_selectorELNS0_4arch9wavefront6targetE1EEEvT1_
	.p2align	8
	.type	_ZN7rocprim17ROCPRIM_400000_NS6detail17trampoline_kernelINS0_14default_configENS1_29reduce_by_key_config_selectorIflN6thrust23THRUST_200600_302600_NS4plusIlEEEEZZNS1_33reduce_by_key_impl_wrapped_configILNS1_25lookback_scan_determinismE0ES3_S9_PfNS6_17constant_iteratorIiNS6_11use_defaultESE_EENS6_10device_ptrIfEENSG_IlEEPmS8_NS6_8equal_toIfEEEE10hipError_tPvRmT2_T3_mT4_T5_T6_T7_T8_P12ihipStream_tbENKUlT_T0_E_clISt17integral_constantIbLb0EES12_IbLb1EEEEDaSY_SZ_EUlSY_E_NS1_11comp_targetILNS1_3genE10ELNS1_11target_archE1201ELNS1_3gpuE5ELNS1_3repE0EEENS1_30default_config_static_selectorELNS0_4arch9wavefront6targetE1EEEvT1_,@function
_ZN7rocprim17ROCPRIM_400000_NS6detail17trampoline_kernelINS0_14default_configENS1_29reduce_by_key_config_selectorIflN6thrust23THRUST_200600_302600_NS4plusIlEEEEZZNS1_33reduce_by_key_impl_wrapped_configILNS1_25lookback_scan_determinismE0ES3_S9_PfNS6_17constant_iteratorIiNS6_11use_defaultESE_EENS6_10device_ptrIfEENSG_IlEEPmS8_NS6_8equal_toIfEEEE10hipError_tPvRmT2_T3_mT4_T5_T6_T7_T8_P12ihipStream_tbENKUlT_T0_E_clISt17integral_constantIbLb0EES12_IbLb1EEEEDaSY_SZ_EUlSY_E_NS1_11comp_targetILNS1_3genE10ELNS1_11target_archE1201ELNS1_3gpuE5ELNS1_3repE0EEENS1_30default_config_static_selectorELNS0_4arch9wavefront6targetE1EEEvT1_: ; @_ZN7rocprim17ROCPRIM_400000_NS6detail17trampoline_kernelINS0_14default_configENS1_29reduce_by_key_config_selectorIflN6thrust23THRUST_200600_302600_NS4plusIlEEEEZZNS1_33reduce_by_key_impl_wrapped_configILNS1_25lookback_scan_determinismE0ES3_S9_PfNS6_17constant_iteratorIiNS6_11use_defaultESE_EENS6_10device_ptrIfEENSG_IlEEPmS8_NS6_8equal_toIfEEEE10hipError_tPvRmT2_T3_mT4_T5_T6_T7_T8_P12ihipStream_tbENKUlT_T0_E_clISt17integral_constantIbLb0EES12_IbLb1EEEEDaSY_SZ_EUlSY_E_NS1_11comp_targetILNS1_3genE10ELNS1_11target_archE1201ELNS1_3gpuE5ELNS1_3repE0EEENS1_30default_config_static_selectorELNS0_4arch9wavefront6targetE1EEEvT1_
; %bb.0:
	.section	.rodata,"a",@progbits
	.p2align	6, 0x0
	.amdhsa_kernel _ZN7rocprim17ROCPRIM_400000_NS6detail17trampoline_kernelINS0_14default_configENS1_29reduce_by_key_config_selectorIflN6thrust23THRUST_200600_302600_NS4plusIlEEEEZZNS1_33reduce_by_key_impl_wrapped_configILNS1_25lookback_scan_determinismE0ES3_S9_PfNS6_17constant_iteratorIiNS6_11use_defaultESE_EENS6_10device_ptrIfEENSG_IlEEPmS8_NS6_8equal_toIfEEEE10hipError_tPvRmT2_T3_mT4_T5_T6_T7_T8_P12ihipStream_tbENKUlT_T0_E_clISt17integral_constantIbLb0EES12_IbLb1EEEEDaSY_SZ_EUlSY_E_NS1_11comp_targetILNS1_3genE10ELNS1_11target_archE1201ELNS1_3gpuE5ELNS1_3repE0EEENS1_30default_config_static_selectorELNS0_4arch9wavefront6targetE1EEEvT1_
		.amdhsa_group_segment_fixed_size 0
		.amdhsa_private_segment_fixed_size 0
		.amdhsa_kernarg_size 144
		.amdhsa_user_sgpr_count 6
		.amdhsa_user_sgpr_private_segment_buffer 1
		.amdhsa_user_sgpr_dispatch_ptr 0
		.amdhsa_user_sgpr_queue_ptr 0
		.amdhsa_user_sgpr_kernarg_segment_ptr 1
		.amdhsa_user_sgpr_dispatch_id 0
		.amdhsa_user_sgpr_flat_scratch_init 0
		.amdhsa_user_sgpr_private_segment_size 0
		.amdhsa_uses_dynamic_stack 0
		.amdhsa_system_sgpr_private_segment_wavefront_offset 0
		.amdhsa_system_sgpr_workgroup_id_x 1
		.amdhsa_system_sgpr_workgroup_id_y 0
		.amdhsa_system_sgpr_workgroup_id_z 0
		.amdhsa_system_sgpr_workgroup_info 0
		.amdhsa_system_vgpr_workitem_id 0
		.amdhsa_next_free_vgpr 1
		.amdhsa_next_free_sgpr 0
		.amdhsa_reserve_vcc 0
		.amdhsa_reserve_flat_scratch 0
		.amdhsa_float_round_mode_32 0
		.amdhsa_float_round_mode_16_64 0
		.amdhsa_float_denorm_mode_32 3
		.amdhsa_float_denorm_mode_16_64 3
		.amdhsa_dx10_clamp 1
		.amdhsa_ieee_mode 1
		.amdhsa_fp16_overflow 0
		.amdhsa_exception_fp_ieee_invalid_op 0
		.amdhsa_exception_fp_denorm_src 0
		.amdhsa_exception_fp_ieee_div_zero 0
		.amdhsa_exception_fp_ieee_overflow 0
		.amdhsa_exception_fp_ieee_underflow 0
		.amdhsa_exception_fp_ieee_inexact 0
		.amdhsa_exception_int_div_zero 0
	.end_amdhsa_kernel
	.section	.text._ZN7rocprim17ROCPRIM_400000_NS6detail17trampoline_kernelINS0_14default_configENS1_29reduce_by_key_config_selectorIflN6thrust23THRUST_200600_302600_NS4plusIlEEEEZZNS1_33reduce_by_key_impl_wrapped_configILNS1_25lookback_scan_determinismE0ES3_S9_PfNS6_17constant_iteratorIiNS6_11use_defaultESE_EENS6_10device_ptrIfEENSG_IlEEPmS8_NS6_8equal_toIfEEEE10hipError_tPvRmT2_T3_mT4_T5_T6_T7_T8_P12ihipStream_tbENKUlT_T0_E_clISt17integral_constantIbLb0EES12_IbLb1EEEEDaSY_SZ_EUlSY_E_NS1_11comp_targetILNS1_3genE10ELNS1_11target_archE1201ELNS1_3gpuE5ELNS1_3repE0EEENS1_30default_config_static_selectorELNS0_4arch9wavefront6targetE1EEEvT1_,"axG",@progbits,_ZN7rocprim17ROCPRIM_400000_NS6detail17trampoline_kernelINS0_14default_configENS1_29reduce_by_key_config_selectorIflN6thrust23THRUST_200600_302600_NS4plusIlEEEEZZNS1_33reduce_by_key_impl_wrapped_configILNS1_25lookback_scan_determinismE0ES3_S9_PfNS6_17constant_iteratorIiNS6_11use_defaultESE_EENS6_10device_ptrIfEENSG_IlEEPmS8_NS6_8equal_toIfEEEE10hipError_tPvRmT2_T3_mT4_T5_T6_T7_T8_P12ihipStream_tbENKUlT_T0_E_clISt17integral_constantIbLb0EES12_IbLb1EEEEDaSY_SZ_EUlSY_E_NS1_11comp_targetILNS1_3genE10ELNS1_11target_archE1201ELNS1_3gpuE5ELNS1_3repE0EEENS1_30default_config_static_selectorELNS0_4arch9wavefront6targetE1EEEvT1_,comdat
.Lfunc_end1938:
	.size	_ZN7rocprim17ROCPRIM_400000_NS6detail17trampoline_kernelINS0_14default_configENS1_29reduce_by_key_config_selectorIflN6thrust23THRUST_200600_302600_NS4plusIlEEEEZZNS1_33reduce_by_key_impl_wrapped_configILNS1_25lookback_scan_determinismE0ES3_S9_PfNS6_17constant_iteratorIiNS6_11use_defaultESE_EENS6_10device_ptrIfEENSG_IlEEPmS8_NS6_8equal_toIfEEEE10hipError_tPvRmT2_T3_mT4_T5_T6_T7_T8_P12ihipStream_tbENKUlT_T0_E_clISt17integral_constantIbLb0EES12_IbLb1EEEEDaSY_SZ_EUlSY_E_NS1_11comp_targetILNS1_3genE10ELNS1_11target_archE1201ELNS1_3gpuE5ELNS1_3repE0EEENS1_30default_config_static_selectorELNS0_4arch9wavefront6targetE1EEEvT1_, .Lfunc_end1938-_ZN7rocprim17ROCPRIM_400000_NS6detail17trampoline_kernelINS0_14default_configENS1_29reduce_by_key_config_selectorIflN6thrust23THRUST_200600_302600_NS4plusIlEEEEZZNS1_33reduce_by_key_impl_wrapped_configILNS1_25lookback_scan_determinismE0ES3_S9_PfNS6_17constant_iteratorIiNS6_11use_defaultESE_EENS6_10device_ptrIfEENSG_IlEEPmS8_NS6_8equal_toIfEEEE10hipError_tPvRmT2_T3_mT4_T5_T6_T7_T8_P12ihipStream_tbENKUlT_T0_E_clISt17integral_constantIbLb0EES12_IbLb1EEEEDaSY_SZ_EUlSY_E_NS1_11comp_targetILNS1_3genE10ELNS1_11target_archE1201ELNS1_3gpuE5ELNS1_3repE0EEENS1_30default_config_static_selectorELNS0_4arch9wavefront6targetE1EEEvT1_
                                        ; -- End function
	.set _ZN7rocprim17ROCPRIM_400000_NS6detail17trampoline_kernelINS0_14default_configENS1_29reduce_by_key_config_selectorIflN6thrust23THRUST_200600_302600_NS4plusIlEEEEZZNS1_33reduce_by_key_impl_wrapped_configILNS1_25lookback_scan_determinismE0ES3_S9_PfNS6_17constant_iteratorIiNS6_11use_defaultESE_EENS6_10device_ptrIfEENSG_IlEEPmS8_NS6_8equal_toIfEEEE10hipError_tPvRmT2_T3_mT4_T5_T6_T7_T8_P12ihipStream_tbENKUlT_T0_E_clISt17integral_constantIbLb0EES12_IbLb1EEEEDaSY_SZ_EUlSY_E_NS1_11comp_targetILNS1_3genE10ELNS1_11target_archE1201ELNS1_3gpuE5ELNS1_3repE0EEENS1_30default_config_static_selectorELNS0_4arch9wavefront6targetE1EEEvT1_.num_vgpr, 0
	.set _ZN7rocprim17ROCPRIM_400000_NS6detail17trampoline_kernelINS0_14default_configENS1_29reduce_by_key_config_selectorIflN6thrust23THRUST_200600_302600_NS4plusIlEEEEZZNS1_33reduce_by_key_impl_wrapped_configILNS1_25lookback_scan_determinismE0ES3_S9_PfNS6_17constant_iteratorIiNS6_11use_defaultESE_EENS6_10device_ptrIfEENSG_IlEEPmS8_NS6_8equal_toIfEEEE10hipError_tPvRmT2_T3_mT4_T5_T6_T7_T8_P12ihipStream_tbENKUlT_T0_E_clISt17integral_constantIbLb0EES12_IbLb1EEEEDaSY_SZ_EUlSY_E_NS1_11comp_targetILNS1_3genE10ELNS1_11target_archE1201ELNS1_3gpuE5ELNS1_3repE0EEENS1_30default_config_static_selectorELNS0_4arch9wavefront6targetE1EEEvT1_.num_agpr, 0
	.set _ZN7rocprim17ROCPRIM_400000_NS6detail17trampoline_kernelINS0_14default_configENS1_29reduce_by_key_config_selectorIflN6thrust23THRUST_200600_302600_NS4plusIlEEEEZZNS1_33reduce_by_key_impl_wrapped_configILNS1_25lookback_scan_determinismE0ES3_S9_PfNS6_17constant_iteratorIiNS6_11use_defaultESE_EENS6_10device_ptrIfEENSG_IlEEPmS8_NS6_8equal_toIfEEEE10hipError_tPvRmT2_T3_mT4_T5_T6_T7_T8_P12ihipStream_tbENKUlT_T0_E_clISt17integral_constantIbLb0EES12_IbLb1EEEEDaSY_SZ_EUlSY_E_NS1_11comp_targetILNS1_3genE10ELNS1_11target_archE1201ELNS1_3gpuE5ELNS1_3repE0EEENS1_30default_config_static_selectorELNS0_4arch9wavefront6targetE1EEEvT1_.numbered_sgpr, 0
	.set _ZN7rocprim17ROCPRIM_400000_NS6detail17trampoline_kernelINS0_14default_configENS1_29reduce_by_key_config_selectorIflN6thrust23THRUST_200600_302600_NS4plusIlEEEEZZNS1_33reduce_by_key_impl_wrapped_configILNS1_25lookback_scan_determinismE0ES3_S9_PfNS6_17constant_iteratorIiNS6_11use_defaultESE_EENS6_10device_ptrIfEENSG_IlEEPmS8_NS6_8equal_toIfEEEE10hipError_tPvRmT2_T3_mT4_T5_T6_T7_T8_P12ihipStream_tbENKUlT_T0_E_clISt17integral_constantIbLb0EES12_IbLb1EEEEDaSY_SZ_EUlSY_E_NS1_11comp_targetILNS1_3genE10ELNS1_11target_archE1201ELNS1_3gpuE5ELNS1_3repE0EEENS1_30default_config_static_selectorELNS0_4arch9wavefront6targetE1EEEvT1_.num_named_barrier, 0
	.set _ZN7rocprim17ROCPRIM_400000_NS6detail17trampoline_kernelINS0_14default_configENS1_29reduce_by_key_config_selectorIflN6thrust23THRUST_200600_302600_NS4plusIlEEEEZZNS1_33reduce_by_key_impl_wrapped_configILNS1_25lookback_scan_determinismE0ES3_S9_PfNS6_17constant_iteratorIiNS6_11use_defaultESE_EENS6_10device_ptrIfEENSG_IlEEPmS8_NS6_8equal_toIfEEEE10hipError_tPvRmT2_T3_mT4_T5_T6_T7_T8_P12ihipStream_tbENKUlT_T0_E_clISt17integral_constantIbLb0EES12_IbLb1EEEEDaSY_SZ_EUlSY_E_NS1_11comp_targetILNS1_3genE10ELNS1_11target_archE1201ELNS1_3gpuE5ELNS1_3repE0EEENS1_30default_config_static_selectorELNS0_4arch9wavefront6targetE1EEEvT1_.private_seg_size, 0
	.set _ZN7rocprim17ROCPRIM_400000_NS6detail17trampoline_kernelINS0_14default_configENS1_29reduce_by_key_config_selectorIflN6thrust23THRUST_200600_302600_NS4plusIlEEEEZZNS1_33reduce_by_key_impl_wrapped_configILNS1_25lookback_scan_determinismE0ES3_S9_PfNS6_17constant_iteratorIiNS6_11use_defaultESE_EENS6_10device_ptrIfEENSG_IlEEPmS8_NS6_8equal_toIfEEEE10hipError_tPvRmT2_T3_mT4_T5_T6_T7_T8_P12ihipStream_tbENKUlT_T0_E_clISt17integral_constantIbLb0EES12_IbLb1EEEEDaSY_SZ_EUlSY_E_NS1_11comp_targetILNS1_3genE10ELNS1_11target_archE1201ELNS1_3gpuE5ELNS1_3repE0EEENS1_30default_config_static_selectorELNS0_4arch9wavefront6targetE1EEEvT1_.uses_vcc, 0
	.set _ZN7rocprim17ROCPRIM_400000_NS6detail17trampoline_kernelINS0_14default_configENS1_29reduce_by_key_config_selectorIflN6thrust23THRUST_200600_302600_NS4plusIlEEEEZZNS1_33reduce_by_key_impl_wrapped_configILNS1_25lookback_scan_determinismE0ES3_S9_PfNS6_17constant_iteratorIiNS6_11use_defaultESE_EENS6_10device_ptrIfEENSG_IlEEPmS8_NS6_8equal_toIfEEEE10hipError_tPvRmT2_T3_mT4_T5_T6_T7_T8_P12ihipStream_tbENKUlT_T0_E_clISt17integral_constantIbLb0EES12_IbLb1EEEEDaSY_SZ_EUlSY_E_NS1_11comp_targetILNS1_3genE10ELNS1_11target_archE1201ELNS1_3gpuE5ELNS1_3repE0EEENS1_30default_config_static_selectorELNS0_4arch9wavefront6targetE1EEEvT1_.uses_flat_scratch, 0
	.set _ZN7rocprim17ROCPRIM_400000_NS6detail17trampoline_kernelINS0_14default_configENS1_29reduce_by_key_config_selectorIflN6thrust23THRUST_200600_302600_NS4plusIlEEEEZZNS1_33reduce_by_key_impl_wrapped_configILNS1_25lookback_scan_determinismE0ES3_S9_PfNS6_17constant_iteratorIiNS6_11use_defaultESE_EENS6_10device_ptrIfEENSG_IlEEPmS8_NS6_8equal_toIfEEEE10hipError_tPvRmT2_T3_mT4_T5_T6_T7_T8_P12ihipStream_tbENKUlT_T0_E_clISt17integral_constantIbLb0EES12_IbLb1EEEEDaSY_SZ_EUlSY_E_NS1_11comp_targetILNS1_3genE10ELNS1_11target_archE1201ELNS1_3gpuE5ELNS1_3repE0EEENS1_30default_config_static_selectorELNS0_4arch9wavefront6targetE1EEEvT1_.has_dyn_sized_stack, 0
	.set _ZN7rocprim17ROCPRIM_400000_NS6detail17trampoline_kernelINS0_14default_configENS1_29reduce_by_key_config_selectorIflN6thrust23THRUST_200600_302600_NS4plusIlEEEEZZNS1_33reduce_by_key_impl_wrapped_configILNS1_25lookback_scan_determinismE0ES3_S9_PfNS6_17constant_iteratorIiNS6_11use_defaultESE_EENS6_10device_ptrIfEENSG_IlEEPmS8_NS6_8equal_toIfEEEE10hipError_tPvRmT2_T3_mT4_T5_T6_T7_T8_P12ihipStream_tbENKUlT_T0_E_clISt17integral_constantIbLb0EES12_IbLb1EEEEDaSY_SZ_EUlSY_E_NS1_11comp_targetILNS1_3genE10ELNS1_11target_archE1201ELNS1_3gpuE5ELNS1_3repE0EEENS1_30default_config_static_selectorELNS0_4arch9wavefront6targetE1EEEvT1_.has_recursion, 0
	.set _ZN7rocprim17ROCPRIM_400000_NS6detail17trampoline_kernelINS0_14default_configENS1_29reduce_by_key_config_selectorIflN6thrust23THRUST_200600_302600_NS4plusIlEEEEZZNS1_33reduce_by_key_impl_wrapped_configILNS1_25lookback_scan_determinismE0ES3_S9_PfNS6_17constant_iteratorIiNS6_11use_defaultESE_EENS6_10device_ptrIfEENSG_IlEEPmS8_NS6_8equal_toIfEEEE10hipError_tPvRmT2_T3_mT4_T5_T6_T7_T8_P12ihipStream_tbENKUlT_T0_E_clISt17integral_constantIbLb0EES12_IbLb1EEEEDaSY_SZ_EUlSY_E_NS1_11comp_targetILNS1_3genE10ELNS1_11target_archE1201ELNS1_3gpuE5ELNS1_3repE0EEENS1_30default_config_static_selectorELNS0_4arch9wavefront6targetE1EEEvT1_.has_indirect_call, 0
	.section	.AMDGPU.csdata,"",@progbits
; Kernel info:
; codeLenInByte = 0
; TotalNumSgprs: 4
; NumVgprs: 0
; ScratchSize: 0
; MemoryBound: 0
; FloatMode: 240
; IeeeMode: 1
; LDSByteSize: 0 bytes/workgroup (compile time only)
; SGPRBlocks: 0
; VGPRBlocks: 0
; NumSGPRsForWavesPerEU: 4
; NumVGPRsForWavesPerEU: 1
; Occupancy: 10
; WaveLimiterHint : 0
; COMPUTE_PGM_RSRC2:SCRATCH_EN: 0
; COMPUTE_PGM_RSRC2:USER_SGPR: 6
; COMPUTE_PGM_RSRC2:TRAP_HANDLER: 0
; COMPUTE_PGM_RSRC2:TGID_X_EN: 1
; COMPUTE_PGM_RSRC2:TGID_Y_EN: 0
; COMPUTE_PGM_RSRC2:TGID_Z_EN: 0
; COMPUTE_PGM_RSRC2:TIDIG_COMP_CNT: 0
	.section	.text._ZN7rocprim17ROCPRIM_400000_NS6detail17trampoline_kernelINS0_14default_configENS1_29reduce_by_key_config_selectorIflN6thrust23THRUST_200600_302600_NS4plusIlEEEEZZNS1_33reduce_by_key_impl_wrapped_configILNS1_25lookback_scan_determinismE0ES3_S9_PfNS6_17constant_iteratorIiNS6_11use_defaultESE_EENS6_10device_ptrIfEENSG_IlEEPmS8_NS6_8equal_toIfEEEE10hipError_tPvRmT2_T3_mT4_T5_T6_T7_T8_P12ihipStream_tbENKUlT_T0_E_clISt17integral_constantIbLb0EES12_IbLb1EEEEDaSY_SZ_EUlSY_E_NS1_11comp_targetILNS1_3genE10ELNS1_11target_archE1200ELNS1_3gpuE4ELNS1_3repE0EEENS1_30default_config_static_selectorELNS0_4arch9wavefront6targetE1EEEvT1_,"axG",@progbits,_ZN7rocprim17ROCPRIM_400000_NS6detail17trampoline_kernelINS0_14default_configENS1_29reduce_by_key_config_selectorIflN6thrust23THRUST_200600_302600_NS4plusIlEEEEZZNS1_33reduce_by_key_impl_wrapped_configILNS1_25lookback_scan_determinismE0ES3_S9_PfNS6_17constant_iteratorIiNS6_11use_defaultESE_EENS6_10device_ptrIfEENSG_IlEEPmS8_NS6_8equal_toIfEEEE10hipError_tPvRmT2_T3_mT4_T5_T6_T7_T8_P12ihipStream_tbENKUlT_T0_E_clISt17integral_constantIbLb0EES12_IbLb1EEEEDaSY_SZ_EUlSY_E_NS1_11comp_targetILNS1_3genE10ELNS1_11target_archE1200ELNS1_3gpuE4ELNS1_3repE0EEENS1_30default_config_static_selectorELNS0_4arch9wavefront6targetE1EEEvT1_,comdat
	.protected	_ZN7rocprim17ROCPRIM_400000_NS6detail17trampoline_kernelINS0_14default_configENS1_29reduce_by_key_config_selectorIflN6thrust23THRUST_200600_302600_NS4plusIlEEEEZZNS1_33reduce_by_key_impl_wrapped_configILNS1_25lookback_scan_determinismE0ES3_S9_PfNS6_17constant_iteratorIiNS6_11use_defaultESE_EENS6_10device_ptrIfEENSG_IlEEPmS8_NS6_8equal_toIfEEEE10hipError_tPvRmT2_T3_mT4_T5_T6_T7_T8_P12ihipStream_tbENKUlT_T0_E_clISt17integral_constantIbLb0EES12_IbLb1EEEEDaSY_SZ_EUlSY_E_NS1_11comp_targetILNS1_3genE10ELNS1_11target_archE1200ELNS1_3gpuE4ELNS1_3repE0EEENS1_30default_config_static_selectorELNS0_4arch9wavefront6targetE1EEEvT1_ ; -- Begin function _ZN7rocprim17ROCPRIM_400000_NS6detail17trampoline_kernelINS0_14default_configENS1_29reduce_by_key_config_selectorIflN6thrust23THRUST_200600_302600_NS4plusIlEEEEZZNS1_33reduce_by_key_impl_wrapped_configILNS1_25lookback_scan_determinismE0ES3_S9_PfNS6_17constant_iteratorIiNS6_11use_defaultESE_EENS6_10device_ptrIfEENSG_IlEEPmS8_NS6_8equal_toIfEEEE10hipError_tPvRmT2_T3_mT4_T5_T6_T7_T8_P12ihipStream_tbENKUlT_T0_E_clISt17integral_constantIbLb0EES12_IbLb1EEEEDaSY_SZ_EUlSY_E_NS1_11comp_targetILNS1_3genE10ELNS1_11target_archE1200ELNS1_3gpuE4ELNS1_3repE0EEENS1_30default_config_static_selectorELNS0_4arch9wavefront6targetE1EEEvT1_
	.globl	_ZN7rocprim17ROCPRIM_400000_NS6detail17trampoline_kernelINS0_14default_configENS1_29reduce_by_key_config_selectorIflN6thrust23THRUST_200600_302600_NS4plusIlEEEEZZNS1_33reduce_by_key_impl_wrapped_configILNS1_25lookback_scan_determinismE0ES3_S9_PfNS6_17constant_iteratorIiNS6_11use_defaultESE_EENS6_10device_ptrIfEENSG_IlEEPmS8_NS6_8equal_toIfEEEE10hipError_tPvRmT2_T3_mT4_T5_T6_T7_T8_P12ihipStream_tbENKUlT_T0_E_clISt17integral_constantIbLb0EES12_IbLb1EEEEDaSY_SZ_EUlSY_E_NS1_11comp_targetILNS1_3genE10ELNS1_11target_archE1200ELNS1_3gpuE4ELNS1_3repE0EEENS1_30default_config_static_selectorELNS0_4arch9wavefront6targetE1EEEvT1_
	.p2align	8
	.type	_ZN7rocprim17ROCPRIM_400000_NS6detail17trampoline_kernelINS0_14default_configENS1_29reduce_by_key_config_selectorIflN6thrust23THRUST_200600_302600_NS4plusIlEEEEZZNS1_33reduce_by_key_impl_wrapped_configILNS1_25lookback_scan_determinismE0ES3_S9_PfNS6_17constant_iteratorIiNS6_11use_defaultESE_EENS6_10device_ptrIfEENSG_IlEEPmS8_NS6_8equal_toIfEEEE10hipError_tPvRmT2_T3_mT4_T5_T6_T7_T8_P12ihipStream_tbENKUlT_T0_E_clISt17integral_constantIbLb0EES12_IbLb1EEEEDaSY_SZ_EUlSY_E_NS1_11comp_targetILNS1_3genE10ELNS1_11target_archE1200ELNS1_3gpuE4ELNS1_3repE0EEENS1_30default_config_static_selectorELNS0_4arch9wavefront6targetE1EEEvT1_,@function
_ZN7rocprim17ROCPRIM_400000_NS6detail17trampoline_kernelINS0_14default_configENS1_29reduce_by_key_config_selectorIflN6thrust23THRUST_200600_302600_NS4plusIlEEEEZZNS1_33reduce_by_key_impl_wrapped_configILNS1_25lookback_scan_determinismE0ES3_S9_PfNS6_17constant_iteratorIiNS6_11use_defaultESE_EENS6_10device_ptrIfEENSG_IlEEPmS8_NS6_8equal_toIfEEEE10hipError_tPvRmT2_T3_mT4_T5_T6_T7_T8_P12ihipStream_tbENKUlT_T0_E_clISt17integral_constantIbLb0EES12_IbLb1EEEEDaSY_SZ_EUlSY_E_NS1_11comp_targetILNS1_3genE10ELNS1_11target_archE1200ELNS1_3gpuE4ELNS1_3repE0EEENS1_30default_config_static_selectorELNS0_4arch9wavefront6targetE1EEEvT1_: ; @_ZN7rocprim17ROCPRIM_400000_NS6detail17trampoline_kernelINS0_14default_configENS1_29reduce_by_key_config_selectorIflN6thrust23THRUST_200600_302600_NS4plusIlEEEEZZNS1_33reduce_by_key_impl_wrapped_configILNS1_25lookback_scan_determinismE0ES3_S9_PfNS6_17constant_iteratorIiNS6_11use_defaultESE_EENS6_10device_ptrIfEENSG_IlEEPmS8_NS6_8equal_toIfEEEE10hipError_tPvRmT2_T3_mT4_T5_T6_T7_T8_P12ihipStream_tbENKUlT_T0_E_clISt17integral_constantIbLb0EES12_IbLb1EEEEDaSY_SZ_EUlSY_E_NS1_11comp_targetILNS1_3genE10ELNS1_11target_archE1200ELNS1_3gpuE4ELNS1_3repE0EEENS1_30default_config_static_selectorELNS0_4arch9wavefront6targetE1EEEvT1_
; %bb.0:
	.section	.rodata,"a",@progbits
	.p2align	6, 0x0
	.amdhsa_kernel _ZN7rocprim17ROCPRIM_400000_NS6detail17trampoline_kernelINS0_14default_configENS1_29reduce_by_key_config_selectorIflN6thrust23THRUST_200600_302600_NS4plusIlEEEEZZNS1_33reduce_by_key_impl_wrapped_configILNS1_25lookback_scan_determinismE0ES3_S9_PfNS6_17constant_iteratorIiNS6_11use_defaultESE_EENS6_10device_ptrIfEENSG_IlEEPmS8_NS6_8equal_toIfEEEE10hipError_tPvRmT2_T3_mT4_T5_T6_T7_T8_P12ihipStream_tbENKUlT_T0_E_clISt17integral_constantIbLb0EES12_IbLb1EEEEDaSY_SZ_EUlSY_E_NS1_11comp_targetILNS1_3genE10ELNS1_11target_archE1200ELNS1_3gpuE4ELNS1_3repE0EEENS1_30default_config_static_selectorELNS0_4arch9wavefront6targetE1EEEvT1_
		.amdhsa_group_segment_fixed_size 0
		.amdhsa_private_segment_fixed_size 0
		.amdhsa_kernarg_size 144
		.amdhsa_user_sgpr_count 6
		.amdhsa_user_sgpr_private_segment_buffer 1
		.amdhsa_user_sgpr_dispatch_ptr 0
		.amdhsa_user_sgpr_queue_ptr 0
		.amdhsa_user_sgpr_kernarg_segment_ptr 1
		.amdhsa_user_sgpr_dispatch_id 0
		.amdhsa_user_sgpr_flat_scratch_init 0
		.amdhsa_user_sgpr_private_segment_size 0
		.amdhsa_uses_dynamic_stack 0
		.amdhsa_system_sgpr_private_segment_wavefront_offset 0
		.amdhsa_system_sgpr_workgroup_id_x 1
		.amdhsa_system_sgpr_workgroup_id_y 0
		.amdhsa_system_sgpr_workgroup_id_z 0
		.amdhsa_system_sgpr_workgroup_info 0
		.amdhsa_system_vgpr_workitem_id 0
		.amdhsa_next_free_vgpr 1
		.amdhsa_next_free_sgpr 0
		.amdhsa_reserve_vcc 0
		.amdhsa_reserve_flat_scratch 0
		.amdhsa_float_round_mode_32 0
		.amdhsa_float_round_mode_16_64 0
		.amdhsa_float_denorm_mode_32 3
		.amdhsa_float_denorm_mode_16_64 3
		.amdhsa_dx10_clamp 1
		.amdhsa_ieee_mode 1
		.amdhsa_fp16_overflow 0
		.amdhsa_exception_fp_ieee_invalid_op 0
		.amdhsa_exception_fp_denorm_src 0
		.amdhsa_exception_fp_ieee_div_zero 0
		.amdhsa_exception_fp_ieee_overflow 0
		.amdhsa_exception_fp_ieee_underflow 0
		.amdhsa_exception_fp_ieee_inexact 0
		.amdhsa_exception_int_div_zero 0
	.end_amdhsa_kernel
	.section	.text._ZN7rocprim17ROCPRIM_400000_NS6detail17trampoline_kernelINS0_14default_configENS1_29reduce_by_key_config_selectorIflN6thrust23THRUST_200600_302600_NS4plusIlEEEEZZNS1_33reduce_by_key_impl_wrapped_configILNS1_25lookback_scan_determinismE0ES3_S9_PfNS6_17constant_iteratorIiNS6_11use_defaultESE_EENS6_10device_ptrIfEENSG_IlEEPmS8_NS6_8equal_toIfEEEE10hipError_tPvRmT2_T3_mT4_T5_T6_T7_T8_P12ihipStream_tbENKUlT_T0_E_clISt17integral_constantIbLb0EES12_IbLb1EEEEDaSY_SZ_EUlSY_E_NS1_11comp_targetILNS1_3genE10ELNS1_11target_archE1200ELNS1_3gpuE4ELNS1_3repE0EEENS1_30default_config_static_selectorELNS0_4arch9wavefront6targetE1EEEvT1_,"axG",@progbits,_ZN7rocprim17ROCPRIM_400000_NS6detail17trampoline_kernelINS0_14default_configENS1_29reduce_by_key_config_selectorIflN6thrust23THRUST_200600_302600_NS4plusIlEEEEZZNS1_33reduce_by_key_impl_wrapped_configILNS1_25lookback_scan_determinismE0ES3_S9_PfNS6_17constant_iteratorIiNS6_11use_defaultESE_EENS6_10device_ptrIfEENSG_IlEEPmS8_NS6_8equal_toIfEEEE10hipError_tPvRmT2_T3_mT4_T5_T6_T7_T8_P12ihipStream_tbENKUlT_T0_E_clISt17integral_constantIbLb0EES12_IbLb1EEEEDaSY_SZ_EUlSY_E_NS1_11comp_targetILNS1_3genE10ELNS1_11target_archE1200ELNS1_3gpuE4ELNS1_3repE0EEENS1_30default_config_static_selectorELNS0_4arch9wavefront6targetE1EEEvT1_,comdat
.Lfunc_end1939:
	.size	_ZN7rocprim17ROCPRIM_400000_NS6detail17trampoline_kernelINS0_14default_configENS1_29reduce_by_key_config_selectorIflN6thrust23THRUST_200600_302600_NS4plusIlEEEEZZNS1_33reduce_by_key_impl_wrapped_configILNS1_25lookback_scan_determinismE0ES3_S9_PfNS6_17constant_iteratorIiNS6_11use_defaultESE_EENS6_10device_ptrIfEENSG_IlEEPmS8_NS6_8equal_toIfEEEE10hipError_tPvRmT2_T3_mT4_T5_T6_T7_T8_P12ihipStream_tbENKUlT_T0_E_clISt17integral_constantIbLb0EES12_IbLb1EEEEDaSY_SZ_EUlSY_E_NS1_11comp_targetILNS1_3genE10ELNS1_11target_archE1200ELNS1_3gpuE4ELNS1_3repE0EEENS1_30default_config_static_selectorELNS0_4arch9wavefront6targetE1EEEvT1_, .Lfunc_end1939-_ZN7rocprim17ROCPRIM_400000_NS6detail17trampoline_kernelINS0_14default_configENS1_29reduce_by_key_config_selectorIflN6thrust23THRUST_200600_302600_NS4plusIlEEEEZZNS1_33reduce_by_key_impl_wrapped_configILNS1_25lookback_scan_determinismE0ES3_S9_PfNS6_17constant_iteratorIiNS6_11use_defaultESE_EENS6_10device_ptrIfEENSG_IlEEPmS8_NS6_8equal_toIfEEEE10hipError_tPvRmT2_T3_mT4_T5_T6_T7_T8_P12ihipStream_tbENKUlT_T0_E_clISt17integral_constantIbLb0EES12_IbLb1EEEEDaSY_SZ_EUlSY_E_NS1_11comp_targetILNS1_3genE10ELNS1_11target_archE1200ELNS1_3gpuE4ELNS1_3repE0EEENS1_30default_config_static_selectorELNS0_4arch9wavefront6targetE1EEEvT1_
                                        ; -- End function
	.set _ZN7rocprim17ROCPRIM_400000_NS6detail17trampoline_kernelINS0_14default_configENS1_29reduce_by_key_config_selectorIflN6thrust23THRUST_200600_302600_NS4plusIlEEEEZZNS1_33reduce_by_key_impl_wrapped_configILNS1_25lookback_scan_determinismE0ES3_S9_PfNS6_17constant_iteratorIiNS6_11use_defaultESE_EENS6_10device_ptrIfEENSG_IlEEPmS8_NS6_8equal_toIfEEEE10hipError_tPvRmT2_T3_mT4_T5_T6_T7_T8_P12ihipStream_tbENKUlT_T0_E_clISt17integral_constantIbLb0EES12_IbLb1EEEEDaSY_SZ_EUlSY_E_NS1_11comp_targetILNS1_3genE10ELNS1_11target_archE1200ELNS1_3gpuE4ELNS1_3repE0EEENS1_30default_config_static_selectorELNS0_4arch9wavefront6targetE1EEEvT1_.num_vgpr, 0
	.set _ZN7rocprim17ROCPRIM_400000_NS6detail17trampoline_kernelINS0_14default_configENS1_29reduce_by_key_config_selectorIflN6thrust23THRUST_200600_302600_NS4plusIlEEEEZZNS1_33reduce_by_key_impl_wrapped_configILNS1_25lookback_scan_determinismE0ES3_S9_PfNS6_17constant_iteratorIiNS6_11use_defaultESE_EENS6_10device_ptrIfEENSG_IlEEPmS8_NS6_8equal_toIfEEEE10hipError_tPvRmT2_T3_mT4_T5_T6_T7_T8_P12ihipStream_tbENKUlT_T0_E_clISt17integral_constantIbLb0EES12_IbLb1EEEEDaSY_SZ_EUlSY_E_NS1_11comp_targetILNS1_3genE10ELNS1_11target_archE1200ELNS1_3gpuE4ELNS1_3repE0EEENS1_30default_config_static_selectorELNS0_4arch9wavefront6targetE1EEEvT1_.num_agpr, 0
	.set _ZN7rocprim17ROCPRIM_400000_NS6detail17trampoline_kernelINS0_14default_configENS1_29reduce_by_key_config_selectorIflN6thrust23THRUST_200600_302600_NS4plusIlEEEEZZNS1_33reduce_by_key_impl_wrapped_configILNS1_25lookback_scan_determinismE0ES3_S9_PfNS6_17constant_iteratorIiNS6_11use_defaultESE_EENS6_10device_ptrIfEENSG_IlEEPmS8_NS6_8equal_toIfEEEE10hipError_tPvRmT2_T3_mT4_T5_T6_T7_T8_P12ihipStream_tbENKUlT_T0_E_clISt17integral_constantIbLb0EES12_IbLb1EEEEDaSY_SZ_EUlSY_E_NS1_11comp_targetILNS1_3genE10ELNS1_11target_archE1200ELNS1_3gpuE4ELNS1_3repE0EEENS1_30default_config_static_selectorELNS0_4arch9wavefront6targetE1EEEvT1_.numbered_sgpr, 0
	.set _ZN7rocprim17ROCPRIM_400000_NS6detail17trampoline_kernelINS0_14default_configENS1_29reduce_by_key_config_selectorIflN6thrust23THRUST_200600_302600_NS4plusIlEEEEZZNS1_33reduce_by_key_impl_wrapped_configILNS1_25lookback_scan_determinismE0ES3_S9_PfNS6_17constant_iteratorIiNS6_11use_defaultESE_EENS6_10device_ptrIfEENSG_IlEEPmS8_NS6_8equal_toIfEEEE10hipError_tPvRmT2_T3_mT4_T5_T6_T7_T8_P12ihipStream_tbENKUlT_T0_E_clISt17integral_constantIbLb0EES12_IbLb1EEEEDaSY_SZ_EUlSY_E_NS1_11comp_targetILNS1_3genE10ELNS1_11target_archE1200ELNS1_3gpuE4ELNS1_3repE0EEENS1_30default_config_static_selectorELNS0_4arch9wavefront6targetE1EEEvT1_.num_named_barrier, 0
	.set _ZN7rocprim17ROCPRIM_400000_NS6detail17trampoline_kernelINS0_14default_configENS1_29reduce_by_key_config_selectorIflN6thrust23THRUST_200600_302600_NS4plusIlEEEEZZNS1_33reduce_by_key_impl_wrapped_configILNS1_25lookback_scan_determinismE0ES3_S9_PfNS6_17constant_iteratorIiNS6_11use_defaultESE_EENS6_10device_ptrIfEENSG_IlEEPmS8_NS6_8equal_toIfEEEE10hipError_tPvRmT2_T3_mT4_T5_T6_T7_T8_P12ihipStream_tbENKUlT_T0_E_clISt17integral_constantIbLb0EES12_IbLb1EEEEDaSY_SZ_EUlSY_E_NS1_11comp_targetILNS1_3genE10ELNS1_11target_archE1200ELNS1_3gpuE4ELNS1_3repE0EEENS1_30default_config_static_selectorELNS0_4arch9wavefront6targetE1EEEvT1_.private_seg_size, 0
	.set _ZN7rocprim17ROCPRIM_400000_NS6detail17trampoline_kernelINS0_14default_configENS1_29reduce_by_key_config_selectorIflN6thrust23THRUST_200600_302600_NS4plusIlEEEEZZNS1_33reduce_by_key_impl_wrapped_configILNS1_25lookback_scan_determinismE0ES3_S9_PfNS6_17constant_iteratorIiNS6_11use_defaultESE_EENS6_10device_ptrIfEENSG_IlEEPmS8_NS6_8equal_toIfEEEE10hipError_tPvRmT2_T3_mT4_T5_T6_T7_T8_P12ihipStream_tbENKUlT_T0_E_clISt17integral_constantIbLb0EES12_IbLb1EEEEDaSY_SZ_EUlSY_E_NS1_11comp_targetILNS1_3genE10ELNS1_11target_archE1200ELNS1_3gpuE4ELNS1_3repE0EEENS1_30default_config_static_selectorELNS0_4arch9wavefront6targetE1EEEvT1_.uses_vcc, 0
	.set _ZN7rocprim17ROCPRIM_400000_NS6detail17trampoline_kernelINS0_14default_configENS1_29reduce_by_key_config_selectorIflN6thrust23THRUST_200600_302600_NS4plusIlEEEEZZNS1_33reduce_by_key_impl_wrapped_configILNS1_25lookback_scan_determinismE0ES3_S9_PfNS6_17constant_iteratorIiNS6_11use_defaultESE_EENS6_10device_ptrIfEENSG_IlEEPmS8_NS6_8equal_toIfEEEE10hipError_tPvRmT2_T3_mT4_T5_T6_T7_T8_P12ihipStream_tbENKUlT_T0_E_clISt17integral_constantIbLb0EES12_IbLb1EEEEDaSY_SZ_EUlSY_E_NS1_11comp_targetILNS1_3genE10ELNS1_11target_archE1200ELNS1_3gpuE4ELNS1_3repE0EEENS1_30default_config_static_selectorELNS0_4arch9wavefront6targetE1EEEvT1_.uses_flat_scratch, 0
	.set _ZN7rocprim17ROCPRIM_400000_NS6detail17trampoline_kernelINS0_14default_configENS1_29reduce_by_key_config_selectorIflN6thrust23THRUST_200600_302600_NS4plusIlEEEEZZNS1_33reduce_by_key_impl_wrapped_configILNS1_25lookback_scan_determinismE0ES3_S9_PfNS6_17constant_iteratorIiNS6_11use_defaultESE_EENS6_10device_ptrIfEENSG_IlEEPmS8_NS6_8equal_toIfEEEE10hipError_tPvRmT2_T3_mT4_T5_T6_T7_T8_P12ihipStream_tbENKUlT_T0_E_clISt17integral_constantIbLb0EES12_IbLb1EEEEDaSY_SZ_EUlSY_E_NS1_11comp_targetILNS1_3genE10ELNS1_11target_archE1200ELNS1_3gpuE4ELNS1_3repE0EEENS1_30default_config_static_selectorELNS0_4arch9wavefront6targetE1EEEvT1_.has_dyn_sized_stack, 0
	.set _ZN7rocprim17ROCPRIM_400000_NS6detail17trampoline_kernelINS0_14default_configENS1_29reduce_by_key_config_selectorIflN6thrust23THRUST_200600_302600_NS4plusIlEEEEZZNS1_33reduce_by_key_impl_wrapped_configILNS1_25lookback_scan_determinismE0ES3_S9_PfNS6_17constant_iteratorIiNS6_11use_defaultESE_EENS6_10device_ptrIfEENSG_IlEEPmS8_NS6_8equal_toIfEEEE10hipError_tPvRmT2_T3_mT4_T5_T6_T7_T8_P12ihipStream_tbENKUlT_T0_E_clISt17integral_constantIbLb0EES12_IbLb1EEEEDaSY_SZ_EUlSY_E_NS1_11comp_targetILNS1_3genE10ELNS1_11target_archE1200ELNS1_3gpuE4ELNS1_3repE0EEENS1_30default_config_static_selectorELNS0_4arch9wavefront6targetE1EEEvT1_.has_recursion, 0
	.set _ZN7rocprim17ROCPRIM_400000_NS6detail17trampoline_kernelINS0_14default_configENS1_29reduce_by_key_config_selectorIflN6thrust23THRUST_200600_302600_NS4plusIlEEEEZZNS1_33reduce_by_key_impl_wrapped_configILNS1_25lookback_scan_determinismE0ES3_S9_PfNS6_17constant_iteratorIiNS6_11use_defaultESE_EENS6_10device_ptrIfEENSG_IlEEPmS8_NS6_8equal_toIfEEEE10hipError_tPvRmT2_T3_mT4_T5_T6_T7_T8_P12ihipStream_tbENKUlT_T0_E_clISt17integral_constantIbLb0EES12_IbLb1EEEEDaSY_SZ_EUlSY_E_NS1_11comp_targetILNS1_3genE10ELNS1_11target_archE1200ELNS1_3gpuE4ELNS1_3repE0EEENS1_30default_config_static_selectorELNS0_4arch9wavefront6targetE1EEEvT1_.has_indirect_call, 0
	.section	.AMDGPU.csdata,"",@progbits
; Kernel info:
; codeLenInByte = 0
; TotalNumSgprs: 4
; NumVgprs: 0
; ScratchSize: 0
; MemoryBound: 0
; FloatMode: 240
; IeeeMode: 1
; LDSByteSize: 0 bytes/workgroup (compile time only)
; SGPRBlocks: 0
; VGPRBlocks: 0
; NumSGPRsForWavesPerEU: 4
; NumVGPRsForWavesPerEU: 1
; Occupancy: 10
; WaveLimiterHint : 0
; COMPUTE_PGM_RSRC2:SCRATCH_EN: 0
; COMPUTE_PGM_RSRC2:USER_SGPR: 6
; COMPUTE_PGM_RSRC2:TRAP_HANDLER: 0
; COMPUTE_PGM_RSRC2:TGID_X_EN: 1
; COMPUTE_PGM_RSRC2:TGID_Y_EN: 0
; COMPUTE_PGM_RSRC2:TGID_Z_EN: 0
; COMPUTE_PGM_RSRC2:TIDIG_COMP_CNT: 0
	.section	.text._ZN7rocprim17ROCPRIM_400000_NS6detail17trampoline_kernelINS0_14default_configENS1_29reduce_by_key_config_selectorIflN6thrust23THRUST_200600_302600_NS4plusIlEEEEZZNS1_33reduce_by_key_impl_wrapped_configILNS1_25lookback_scan_determinismE0ES3_S9_PfNS6_17constant_iteratorIiNS6_11use_defaultESE_EENS6_10device_ptrIfEENSG_IlEEPmS8_NS6_8equal_toIfEEEE10hipError_tPvRmT2_T3_mT4_T5_T6_T7_T8_P12ihipStream_tbENKUlT_T0_E_clISt17integral_constantIbLb0EES12_IbLb1EEEEDaSY_SZ_EUlSY_E_NS1_11comp_targetILNS1_3genE9ELNS1_11target_archE1100ELNS1_3gpuE3ELNS1_3repE0EEENS1_30default_config_static_selectorELNS0_4arch9wavefront6targetE1EEEvT1_,"axG",@progbits,_ZN7rocprim17ROCPRIM_400000_NS6detail17trampoline_kernelINS0_14default_configENS1_29reduce_by_key_config_selectorIflN6thrust23THRUST_200600_302600_NS4plusIlEEEEZZNS1_33reduce_by_key_impl_wrapped_configILNS1_25lookback_scan_determinismE0ES3_S9_PfNS6_17constant_iteratorIiNS6_11use_defaultESE_EENS6_10device_ptrIfEENSG_IlEEPmS8_NS6_8equal_toIfEEEE10hipError_tPvRmT2_T3_mT4_T5_T6_T7_T8_P12ihipStream_tbENKUlT_T0_E_clISt17integral_constantIbLb0EES12_IbLb1EEEEDaSY_SZ_EUlSY_E_NS1_11comp_targetILNS1_3genE9ELNS1_11target_archE1100ELNS1_3gpuE3ELNS1_3repE0EEENS1_30default_config_static_selectorELNS0_4arch9wavefront6targetE1EEEvT1_,comdat
	.protected	_ZN7rocprim17ROCPRIM_400000_NS6detail17trampoline_kernelINS0_14default_configENS1_29reduce_by_key_config_selectorIflN6thrust23THRUST_200600_302600_NS4plusIlEEEEZZNS1_33reduce_by_key_impl_wrapped_configILNS1_25lookback_scan_determinismE0ES3_S9_PfNS6_17constant_iteratorIiNS6_11use_defaultESE_EENS6_10device_ptrIfEENSG_IlEEPmS8_NS6_8equal_toIfEEEE10hipError_tPvRmT2_T3_mT4_T5_T6_T7_T8_P12ihipStream_tbENKUlT_T0_E_clISt17integral_constantIbLb0EES12_IbLb1EEEEDaSY_SZ_EUlSY_E_NS1_11comp_targetILNS1_3genE9ELNS1_11target_archE1100ELNS1_3gpuE3ELNS1_3repE0EEENS1_30default_config_static_selectorELNS0_4arch9wavefront6targetE1EEEvT1_ ; -- Begin function _ZN7rocprim17ROCPRIM_400000_NS6detail17trampoline_kernelINS0_14default_configENS1_29reduce_by_key_config_selectorIflN6thrust23THRUST_200600_302600_NS4plusIlEEEEZZNS1_33reduce_by_key_impl_wrapped_configILNS1_25lookback_scan_determinismE0ES3_S9_PfNS6_17constant_iteratorIiNS6_11use_defaultESE_EENS6_10device_ptrIfEENSG_IlEEPmS8_NS6_8equal_toIfEEEE10hipError_tPvRmT2_T3_mT4_T5_T6_T7_T8_P12ihipStream_tbENKUlT_T0_E_clISt17integral_constantIbLb0EES12_IbLb1EEEEDaSY_SZ_EUlSY_E_NS1_11comp_targetILNS1_3genE9ELNS1_11target_archE1100ELNS1_3gpuE3ELNS1_3repE0EEENS1_30default_config_static_selectorELNS0_4arch9wavefront6targetE1EEEvT1_
	.globl	_ZN7rocprim17ROCPRIM_400000_NS6detail17trampoline_kernelINS0_14default_configENS1_29reduce_by_key_config_selectorIflN6thrust23THRUST_200600_302600_NS4plusIlEEEEZZNS1_33reduce_by_key_impl_wrapped_configILNS1_25lookback_scan_determinismE0ES3_S9_PfNS6_17constant_iteratorIiNS6_11use_defaultESE_EENS6_10device_ptrIfEENSG_IlEEPmS8_NS6_8equal_toIfEEEE10hipError_tPvRmT2_T3_mT4_T5_T6_T7_T8_P12ihipStream_tbENKUlT_T0_E_clISt17integral_constantIbLb0EES12_IbLb1EEEEDaSY_SZ_EUlSY_E_NS1_11comp_targetILNS1_3genE9ELNS1_11target_archE1100ELNS1_3gpuE3ELNS1_3repE0EEENS1_30default_config_static_selectorELNS0_4arch9wavefront6targetE1EEEvT1_
	.p2align	8
	.type	_ZN7rocprim17ROCPRIM_400000_NS6detail17trampoline_kernelINS0_14default_configENS1_29reduce_by_key_config_selectorIflN6thrust23THRUST_200600_302600_NS4plusIlEEEEZZNS1_33reduce_by_key_impl_wrapped_configILNS1_25lookback_scan_determinismE0ES3_S9_PfNS6_17constant_iteratorIiNS6_11use_defaultESE_EENS6_10device_ptrIfEENSG_IlEEPmS8_NS6_8equal_toIfEEEE10hipError_tPvRmT2_T3_mT4_T5_T6_T7_T8_P12ihipStream_tbENKUlT_T0_E_clISt17integral_constantIbLb0EES12_IbLb1EEEEDaSY_SZ_EUlSY_E_NS1_11comp_targetILNS1_3genE9ELNS1_11target_archE1100ELNS1_3gpuE3ELNS1_3repE0EEENS1_30default_config_static_selectorELNS0_4arch9wavefront6targetE1EEEvT1_,@function
_ZN7rocprim17ROCPRIM_400000_NS6detail17trampoline_kernelINS0_14default_configENS1_29reduce_by_key_config_selectorIflN6thrust23THRUST_200600_302600_NS4plusIlEEEEZZNS1_33reduce_by_key_impl_wrapped_configILNS1_25lookback_scan_determinismE0ES3_S9_PfNS6_17constant_iteratorIiNS6_11use_defaultESE_EENS6_10device_ptrIfEENSG_IlEEPmS8_NS6_8equal_toIfEEEE10hipError_tPvRmT2_T3_mT4_T5_T6_T7_T8_P12ihipStream_tbENKUlT_T0_E_clISt17integral_constantIbLb0EES12_IbLb1EEEEDaSY_SZ_EUlSY_E_NS1_11comp_targetILNS1_3genE9ELNS1_11target_archE1100ELNS1_3gpuE3ELNS1_3repE0EEENS1_30default_config_static_selectorELNS0_4arch9wavefront6targetE1EEEvT1_: ; @_ZN7rocprim17ROCPRIM_400000_NS6detail17trampoline_kernelINS0_14default_configENS1_29reduce_by_key_config_selectorIflN6thrust23THRUST_200600_302600_NS4plusIlEEEEZZNS1_33reduce_by_key_impl_wrapped_configILNS1_25lookback_scan_determinismE0ES3_S9_PfNS6_17constant_iteratorIiNS6_11use_defaultESE_EENS6_10device_ptrIfEENSG_IlEEPmS8_NS6_8equal_toIfEEEE10hipError_tPvRmT2_T3_mT4_T5_T6_T7_T8_P12ihipStream_tbENKUlT_T0_E_clISt17integral_constantIbLb0EES12_IbLb1EEEEDaSY_SZ_EUlSY_E_NS1_11comp_targetILNS1_3genE9ELNS1_11target_archE1100ELNS1_3gpuE3ELNS1_3repE0EEENS1_30default_config_static_selectorELNS0_4arch9wavefront6targetE1EEEvT1_
; %bb.0:
	.section	.rodata,"a",@progbits
	.p2align	6, 0x0
	.amdhsa_kernel _ZN7rocprim17ROCPRIM_400000_NS6detail17trampoline_kernelINS0_14default_configENS1_29reduce_by_key_config_selectorIflN6thrust23THRUST_200600_302600_NS4plusIlEEEEZZNS1_33reduce_by_key_impl_wrapped_configILNS1_25lookback_scan_determinismE0ES3_S9_PfNS6_17constant_iteratorIiNS6_11use_defaultESE_EENS6_10device_ptrIfEENSG_IlEEPmS8_NS6_8equal_toIfEEEE10hipError_tPvRmT2_T3_mT4_T5_T6_T7_T8_P12ihipStream_tbENKUlT_T0_E_clISt17integral_constantIbLb0EES12_IbLb1EEEEDaSY_SZ_EUlSY_E_NS1_11comp_targetILNS1_3genE9ELNS1_11target_archE1100ELNS1_3gpuE3ELNS1_3repE0EEENS1_30default_config_static_selectorELNS0_4arch9wavefront6targetE1EEEvT1_
		.amdhsa_group_segment_fixed_size 0
		.amdhsa_private_segment_fixed_size 0
		.amdhsa_kernarg_size 144
		.amdhsa_user_sgpr_count 6
		.amdhsa_user_sgpr_private_segment_buffer 1
		.amdhsa_user_sgpr_dispatch_ptr 0
		.amdhsa_user_sgpr_queue_ptr 0
		.amdhsa_user_sgpr_kernarg_segment_ptr 1
		.amdhsa_user_sgpr_dispatch_id 0
		.amdhsa_user_sgpr_flat_scratch_init 0
		.amdhsa_user_sgpr_private_segment_size 0
		.amdhsa_uses_dynamic_stack 0
		.amdhsa_system_sgpr_private_segment_wavefront_offset 0
		.amdhsa_system_sgpr_workgroup_id_x 1
		.amdhsa_system_sgpr_workgroup_id_y 0
		.amdhsa_system_sgpr_workgroup_id_z 0
		.amdhsa_system_sgpr_workgroup_info 0
		.amdhsa_system_vgpr_workitem_id 0
		.amdhsa_next_free_vgpr 1
		.amdhsa_next_free_sgpr 0
		.amdhsa_reserve_vcc 0
		.amdhsa_reserve_flat_scratch 0
		.amdhsa_float_round_mode_32 0
		.amdhsa_float_round_mode_16_64 0
		.amdhsa_float_denorm_mode_32 3
		.amdhsa_float_denorm_mode_16_64 3
		.amdhsa_dx10_clamp 1
		.amdhsa_ieee_mode 1
		.amdhsa_fp16_overflow 0
		.amdhsa_exception_fp_ieee_invalid_op 0
		.amdhsa_exception_fp_denorm_src 0
		.amdhsa_exception_fp_ieee_div_zero 0
		.amdhsa_exception_fp_ieee_overflow 0
		.amdhsa_exception_fp_ieee_underflow 0
		.amdhsa_exception_fp_ieee_inexact 0
		.amdhsa_exception_int_div_zero 0
	.end_amdhsa_kernel
	.section	.text._ZN7rocprim17ROCPRIM_400000_NS6detail17trampoline_kernelINS0_14default_configENS1_29reduce_by_key_config_selectorIflN6thrust23THRUST_200600_302600_NS4plusIlEEEEZZNS1_33reduce_by_key_impl_wrapped_configILNS1_25lookback_scan_determinismE0ES3_S9_PfNS6_17constant_iteratorIiNS6_11use_defaultESE_EENS6_10device_ptrIfEENSG_IlEEPmS8_NS6_8equal_toIfEEEE10hipError_tPvRmT2_T3_mT4_T5_T6_T7_T8_P12ihipStream_tbENKUlT_T0_E_clISt17integral_constantIbLb0EES12_IbLb1EEEEDaSY_SZ_EUlSY_E_NS1_11comp_targetILNS1_3genE9ELNS1_11target_archE1100ELNS1_3gpuE3ELNS1_3repE0EEENS1_30default_config_static_selectorELNS0_4arch9wavefront6targetE1EEEvT1_,"axG",@progbits,_ZN7rocprim17ROCPRIM_400000_NS6detail17trampoline_kernelINS0_14default_configENS1_29reduce_by_key_config_selectorIflN6thrust23THRUST_200600_302600_NS4plusIlEEEEZZNS1_33reduce_by_key_impl_wrapped_configILNS1_25lookback_scan_determinismE0ES3_S9_PfNS6_17constant_iteratorIiNS6_11use_defaultESE_EENS6_10device_ptrIfEENSG_IlEEPmS8_NS6_8equal_toIfEEEE10hipError_tPvRmT2_T3_mT4_T5_T6_T7_T8_P12ihipStream_tbENKUlT_T0_E_clISt17integral_constantIbLb0EES12_IbLb1EEEEDaSY_SZ_EUlSY_E_NS1_11comp_targetILNS1_3genE9ELNS1_11target_archE1100ELNS1_3gpuE3ELNS1_3repE0EEENS1_30default_config_static_selectorELNS0_4arch9wavefront6targetE1EEEvT1_,comdat
.Lfunc_end1940:
	.size	_ZN7rocprim17ROCPRIM_400000_NS6detail17trampoline_kernelINS0_14default_configENS1_29reduce_by_key_config_selectorIflN6thrust23THRUST_200600_302600_NS4plusIlEEEEZZNS1_33reduce_by_key_impl_wrapped_configILNS1_25lookback_scan_determinismE0ES3_S9_PfNS6_17constant_iteratorIiNS6_11use_defaultESE_EENS6_10device_ptrIfEENSG_IlEEPmS8_NS6_8equal_toIfEEEE10hipError_tPvRmT2_T3_mT4_T5_T6_T7_T8_P12ihipStream_tbENKUlT_T0_E_clISt17integral_constantIbLb0EES12_IbLb1EEEEDaSY_SZ_EUlSY_E_NS1_11comp_targetILNS1_3genE9ELNS1_11target_archE1100ELNS1_3gpuE3ELNS1_3repE0EEENS1_30default_config_static_selectorELNS0_4arch9wavefront6targetE1EEEvT1_, .Lfunc_end1940-_ZN7rocprim17ROCPRIM_400000_NS6detail17trampoline_kernelINS0_14default_configENS1_29reduce_by_key_config_selectorIflN6thrust23THRUST_200600_302600_NS4plusIlEEEEZZNS1_33reduce_by_key_impl_wrapped_configILNS1_25lookback_scan_determinismE0ES3_S9_PfNS6_17constant_iteratorIiNS6_11use_defaultESE_EENS6_10device_ptrIfEENSG_IlEEPmS8_NS6_8equal_toIfEEEE10hipError_tPvRmT2_T3_mT4_T5_T6_T7_T8_P12ihipStream_tbENKUlT_T0_E_clISt17integral_constantIbLb0EES12_IbLb1EEEEDaSY_SZ_EUlSY_E_NS1_11comp_targetILNS1_3genE9ELNS1_11target_archE1100ELNS1_3gpuE3ELNS1_3repE0EEENS1_30default_config_static_selectorELNS0_4arch9wavefront6targetE1EEEvT1_
                                        ; -- End function
	.set _ZN7rocprim17ROCPRIM_400000_NS6detail17trampoline_kernelINS0_14default_configENS1_29reduce_by_key_config_selectorIflN6thrust23THRUST_200600_302600_NS4plusIlEEEEZZNS1_33reduce_by_key_impl_wrapped_configILNS1_25lookback_scan_determinismE0ES3_S9_PfNS6_17constant_iteratorIiNS6_11use_defaultESE_EENS6_10device_ptrIfEENSG_IlEEPmS8_NS6_8equal_toIfEEEE10hipError_tPvRmT2_T3_mT4_T5_T6_T7_T8_P12ihipStream_tbENKUlT_T0_E_clISt17integral_constantIbLb0EES12_IbLb1EEEEDaSY_SZ_EUlSY_E_NS1_11comp_targetILNS1_3genE9ELNS1_11target_archE1100ELNS1_3gpuE3ELNS1_3repE0EEENS1_30default_config_static_selectorELNS0_4arch9wavefront6targetE1EEEvT1_.num_vgpr, 0
	.set _ZN7rocprim17ROCPRIM_400000_NS6detail17trampoline_kernelINS0_14default_configENS1_29reduce_by_key_config_selectorIflN6thrust23THRUST_200600_302600_NS4plusIlEEEEZZNS1_33reduce_by_key_impl_wrapped_configILNS1_25lookback_scan_determinismE0ES3_S9_PfNS6_17constant_iteratorIiNS6_11use_defaultESE_EENS6_10device_ptrIfEENSG_IlEEPmS8_NS6_8equal_toIfEEEE10hipError_tPvRmT2_T3_mT4_T5_T6_T7_T8_P12ihipStream_tbENKUlT_T0_E_clISt17integral_constantIbLb0EES12_IbLb1EEEEDaSY_SZ_EUlSY_E_NS1_11comp_targetILNS1_3genE9ELNS1_11target_archE1100ELNS1_3gpuE3ELNS1_3repE0EEENS1_30default_config_static_selectorELNS0_4arch9wavefront6targetE1EEEvT1_.num_agpr, 0
	.set _ZN7rocprim17ROCPRIM_400000_NS6detail17trampoline_kernelINS0_14default_configENS1_29reduce_by_key_config_selectorIflN6thrust23THRUST_200600_302600_NS4plusIlEEEEZZNS1_33reduce_by_key_impl_wrapped_configILNS1_25lookback_scan_determinismE0ES3_S9_PfNS6_17constant_iteratorIiNS6_11use_defaultESE_EENS6_10device_ptrIfEENSG_IlEEPmS8_NS6_8equal_toIfEEEE10hipError_tPvRmT2_T3_mT4_T5_T6_T7_T8_P12ihipStream_tbENKUlT_T0_E_clISt17integral_constantIbLb0EES12_IbLb1EEEEDaSY_SZ_EUlSY_E_NS1_11comp_targetILNS1_3genE9ELNS1_11target_archE1100ELNS1_3gpuE3ELNS1_3repE0EEENS1_30default_config_static_selectorELNS0_4arch9wavefront6targetE1EEEvT1_.numbered_sgpr, 0
	.set _ZN7rocprim17ROCPRIM_400000_NS6detail17trampoline_kernelINS0_14default_configENS1_29reduce_by_key_config_selectorIflN6thrust23THRUST_200600_302600_NS4plusIlEEEEZZNS1_33reduce_by_key_impl_wrapped_configILNS1_25lookback_scan_determinismE0ES3_S9_PfNS6_17constant_iteratorIiNS6_11use_defaultESE_EENS6_10device_ptrIfEENSG_IlEEPmS8_NS6_8equal_toIfEEEE10hipError_tPvRmT2_T3_mT4_T5_T6_T7_T8_P12ihipStream_tbENKUlT_T0_E_clISt17integral_constantIbLb0EES12_IbLb1EEEEDaSY_SZ_EUlSY_E_NS1_11comp_targetILNS1_3genE9ELNS1_11target_archE1100ELNS1_3gpuE3ELNS1_3repE0EEENS1_30default_config_static_selectorELNS0_4arch9wavefront6targetE1EEEvT1_.num_named_barrier, 0
	.set _ZN7rocprim17ROCPRIM_400000_NS6detail17trampoline_kernelINS0_14default_configENS1_29reduce_by_key_config_selectorIflN6thrust23THRUST_200600_302600_NS4plusIlEEEEZZNS1_33reduce_by_key_impl_wrapped_configILNS1_25lookback_scan_determinismE0ES3_S9_PfNS6_17constant_iteratorIiNS6_11use_defaultESE_EENS6_10device_ptrIfEENSG_IlEEPmS8_NS6_8equal_toIfEEEE10hipError_tPvRmT2_T3_mT4_T5_T6_T7_T8_P12ihipStream_tbENKUlT_T0_E_clISt17integral_constantIbLb0EES12_IbLb1EEEEDaSY_SZ_EUlSY_E_NS1_11comp_targetILNS1_3genE9ELNS1_11target_archE1100ELNS1_3gpuE3ELNS1_3repE0EEENS1_30default_config_static_selectorELNS0_4arch9wavefront6targetE1EEEvT1_.private_seg_size, 0
	.set _ZN7rocprim17ROCPRIM_400000_NS6detail17trampoline_kernelINS0_14default_configENS1_29reduce_by_key_config_selectorIflN6thrust23THRUST_200600_302600_NS4plusIlEEEEZZNS1_33reduce_by_key_impl_wrapped_configILNS1_25lookback_scan_determinismE0ES3_S9_PfNS6_17constant_iteratorIiNS6_11use_defaultESE_EENS6_10device_ptrIfEENSG_IlEEPmS8_NS6_8equal_toIfEEEE10hipError_tPvRmT2_T3_mT4_T5_T6_T7_T8_P12ihipStream_tbENKUlT_T0_E_clISt17integral_constantIbLb0EES12_IbLb1EEEEDaSY_SZ_EUlSY_E_NS1_11comp_targetILNS1_3genE9ELNS1_11target_archE1100ELNS1_3gpuE3ELNS1_3repE0EEENS1_30default_config_static_selectorELNS0_4arch9wavefront6targetE1EEEvT1_.uses_vcc, 0
	.set _ZN7rocprim17ROCPRIM_400000_NS6detail17trampoline_kernelINS0_14default_configENS1_29reduce_by_key_config_selectorIflN6thrust23THRUST_200600_302600_NS4plusIlEEEEZZNS1_33reduce_by_key_impl_wrapped_configILNS1_25lookback_scan_determinismE0ES3_S9_PfNS6_17constant_iteratorIiNS6_11use_defaultESE_EENS6_10device_ptrIfEENSG_IlEEPmS8_NS6_8equal_toIfEEEE10hipError_tPvRmT2_T3_mT4_T5_T6_T7_T8_P12ihipStream_tbENKUlT_T0_E_clISt17integral_constantIbLb0EES12_IbLb1EEEEDaSY_SZ_EUlSY_E_NS1_11comp_targetILNS1_3genE9ELNS1_11target_archE1100ELNS1_3gpuE3ELNS1_3repE0EEENS1_30default_config_static_selectorELNS0_4arch9wavefront6targetE1EEEvT1_.uses_flat_scratch, 0
	.set _ZN7rocprim17ROCPRIM_400000_NS6detail17trampoline_kernelINS0_14default_configENS1_29reduce_by_key_config_selectorIflN6thrust23THRUST_200600_302600_NS4plusIlEEEEZZNS1_33reduce_by_key_impl_wrapped_configILNS1_25lookback_scan_determinismE0ES3_S9_PfNS6_17constant_iteratorIiNS6_11use_defaultESE_EENS6_10device_ptrIfEENSG_IlEEPmS8_NS6_8equal_toIfEEEE10hipError_tPvRmT2_T3_mT4_T5_T6_T7_T8_P12ihipStream_tbENKUlT_T0_E_clISt17integral_constantIbLb0EES12_IbLb1EEEEDaSY_SZ_EUlSY_E_NS1_11comp_targetILNS1_3genE9ELNS1_11target_archE1100ELNS1_3gpuE3ELNS1_3repE0EEENS1_30default_config_static_selectorELNS0_4arch9wavefront6targetE1EEEvT1_.has_dyn_sized_stack, 0
	.set _ZN7rocprim17ROCPRIM_400000_NS6detail17trampoline_kernelINS0_14default_configENS1_29reduce_by_key_config_selectorIflN6thrust23THRUST_200600_302600_NS4plusIlEEEEZZNS1_33reduce_by_key_impl_wrapped_configILNS1_25lookback_scan_determinismE0ES3_S9_PfNS6_17constant_iteratorIiNS6_11use_defaultESE_EENS6_10device_ptrIfEENSG_IlEEPmS8_NS6_8equal_toIfEEEE10hipError_tPvRmT2_T3_mT4_T5_T6_T7_T8_P12ihipStream_tbENKUlT_T0_E_clISt17integral_constantIbLb0EES12_IbLb1EEEEDaSY_SZ_EUlSY_E_NS1_11comp_targetILNS1_3genE9ELNS1_11target_archE1100ELNS1_3gpuE3ELNS1_3repE0EEENS1_30default_config_static_selectorELNS0_4arch9wavefront6targetE1EEEvT1_.has_recursion, 0
	.set _ZN7rocprim17ROCPRIM_400000_NS6detail17trampoline_kernelINS0_14default_configENS1_29reduce_by_key_config_selectorIflN6thrust23THRUST_200600_302600_NS4plusIlEEEEZZNS1_33reduce_by_key_impl_wrapped_configILNS1_25lookback_scan_determinismE0ES3_S9_PfNS6_17constant_iteratorIiNS6_11use_defaultESE_EENS6_10device_ptrIfEENSG_IlEEPmS8_NS6_8equal_toIfEEEE10hipError_tPvRmT2_T3_mT4_T5_T6_T7_T8_P12ihipStream_tbENKUlT_T0_E_clISt17integral_constantIbLb0EES12_IbLb1EEEEDaSY_SZ_EUlSY_E_NS1_11comp_targetILNS1_3genE9ELNS1_11target_archE1100ELNS1_3gpuE3ELNS1_3repE0EEENS1_30default_config_static_selectorELNS0_4arch9wavefront6targetE1EEEvT1_.has_indirect_call, 0
	.section	.AMDGPU.csdata,"",@progbits
; Kernel info:
; codeLenInByte = 0
; TotalNumSgprs: 4
; NumVgprs: 0
; ScratchSize: 0
; MemoryBound: 0
; FloatMode: 240
; IeeeMode: 1
; LDSByteSize: 0 bytes/workgroup (compile time only)
; SGPRBlocks: 0
; VGPRBlocks: 0
; NumSGPRsForWavesPerEU: 4
; NumVGPRsForWavesPerEU: 1
; Occupancy: 10
; WaveLimiterHint : 0
; COMPUTE_PGM_RSRC2:SCRATCH_EN: 0
; COMPUTE_PGM_RSRC2:USER_SGPR: 6
; COMPUTE_PGM_RSRC2:TRAP_HANDLER: 0
; COMPUTE_PGM_RSRC2:TGID_X_EN: 1
; COMPUTE_PGM_RSRC2:TGID_Y_EN: 0
; COMPUTE_PGM_RSRC2:TGID_Z_EN: 0
; COMPUTE_PGM_RSRC2:TIDIG_COMP_CNT: 0
	.section	.text._ZN7rocprim17ROCPRIM_400000_NS6detail17trampoline_kernelINS0_14default_configENS1_29reduce_by_key_config_selectorIflN6thrust23THRUST_200600_302600_NS4plusIlEEEEZZNS1_33reduce_by_key_impl_wrapped_configILNS1_25lookback_scan_determinismE0ES3_S9_PfNS6_17constant_iteratorIiNS6_11use_defaultESE_EENS6_10device_ptrIfEENSG_IlEEPmS8_NS6_8equal_toIfEEEE10hipError_tPvRmT2_T3_mT4_T5_T6_T7_T8_P12ihipStream_tbENKUlT_T0_E_clISt17integral_constantIbLb0EES12_IbLb1EEEEDaSY_SZ_EUlSY_E_NS1_11comp_targetILNS1_3genE8ELNS1_11target_archE1030ELNS1_3gpuE2ELNS1_3repE0EEENS1_30default_config_static_selectorELNS0_4arch9wavefront6targetE1EEEvT1_,"axG",@progbits,_ZN7rocprim17ROCPRIM_400000_NS6detail17trampoline_kernelINS0_14default_configENS1_29reduce_by_key_config_selectorIflN6thrust23THRUST_200600_302600_NS4plusIlEEEEZZNS1_33reduce_by_key_impl_wrapped_configILNS1_25lookback_scan_determinismE0ES3_S9_PfNS6_17constant_iteratorIiNS6_11use_defaultESE_EENS6_10device_ptrIfEENSG_IlEEPmS8_NS6_8equal_toIfEEEE10hipError_tPvRmT2_T3_mT4_T5_T6_T7_T8_P12ihipStream_tbENKUlT_T0_E_clISt17integral_constantIbLb0EES12_IbLb1EEEEDaSY_SZ_EUlSY_E_NS1_11comp_targetILNS1_3genE8ELNS1_11target_archE1030ELNS1_3gpuE2ELNS1_3repE0EEENS1_30default_config_static_selectorELNS0_4arch9wavefront6targetE1EEEvT1_,comdat
	.protected	_ZN7rocprim17ROCPRIM_400000_NS6detail17trampoline_kernelINS0_14default_configENS1_29reduce_by_key_config_selectorIflN6thrust23THRUST_200600_302600_NS4plusIlEEEEZZNS1_33reduce_by_key_impl_wrapped_configILNS1_25lookback_scan_determinismE0ES3_S9_PfNS6_17constant_iteratorIiNS6_11use_defaultESE_EENS6_10device_ptrIfEENSG_IlEEPmS8_NS6_8equal_toIfEEEE10hipError_tPvRmT2_T3_mT4_T5_T6_T7_T8_P12ihipStream_tbENKUlT_T0_E_clISt17integral_constantIbLb0EES12_IbLb1EEEEDaSY_SZ_EUlSY_E_NS1_11comp_targetILNS1_3genE8ELNS1_11target_archE1030ELNS1_3gpuE2ELNS1_3repE0EEENS1_30default_config_static_selectorELNS0_4arch9wavefront6targetE1EEEvT1_ ; -- Begin function _ZN7rocprim17ROCPRIM_400000_NS6detail17trampoline_kernelINS0_14default_configENS1_29reduce_by_key_config_selectorIflN6thrust23THRUST_200600_302600_NS4plusIlEEEEZZNS1_33reduce_by_key_impl_wrapped_configILNS1_25lookback_scan_determinismE0ES3_S9_PfNS6_17constant_iteratorIiNS6_11use_defaultESE_EENS6_10device_ptrIfEENSG_IlEEPmS8_NS6_8equal_toIfEEEE10hipError_tPvRmT2_T3_mT4_T5_T6_T7_T8_P12ihipStream_tbENKUlT_T0_E_clISt17integral_constantIbLb0EES12_IbLb1EEEEDaSY_SZ_EUlSY_E_NS1_11comp_targetILNS1_3genE8ELNS1_11target_archE1030ELNS1_3gpuE2ELNS1_3repE0EEENS1_30default_config_static_selectorELNS0_4arch9wavefront6targetE1EEEvT1_
	.globl	_ZN7rocprim17ROCPRIM_400000_NS6detail17trampoline_kernelINS0_14default_configENS1_29reduce_by_key_config_selectorIflN6thrust23THRUST_200600_302600_NS4plusIlEEEEZZNS1_33reduce_by_key_impl_wrapped_configILNS1_25lookback_scan_determinismE0ES3_S9_PfNS6_17constant_iteratorIiNS6_11use_defaultESE_EENS6_10device_ptrIfEENSG_IlEEPmS8_NS6_8equal_toIfEEEE10hipError_tPvRmT2_T3_mT4_T5_T6_T7_T8_P12ihipStream_tbENKUlT_T0_E_clISt17integral_constantIbLb0EES12_IbLb1EEEEDaSY_SZ_EUlSY_E_NS1_11comp_targetILNS1_3genE8ELNS1_11target_archE1030ELNS1_3gpuE2ELNS1_3repE0EEENS1_30default_config_static_selectorELNS0_4arch9wavefront6targetE1EEEvT1_
	.p2align	8
	.type	_ZN7rocprim17ROCPRIM_400000_NS6detail17trampoline_kernelINS0_14default_configENS1_29reduce_by_key_config_selectorIflN6thrust23THRUST_200600_302600_NS4plusIlEEEEZZNS1_33reduce_by_key_impl_wrapped_configILNS1_25lookback_scan_determinismE0ES3_S9_PfNS6_17constant_iteratorIiNS6_11use_defaultESE_EENS6_10device_ptrIfEENSG_IlEEPmS8_NS6_8equal_toIfEEEE10hipError_tPvRmT2_T3_mT4_T5_T6_T7_T8_P12ihipStream_tbENKUlT_T0_E_clISt17integral_constantIbLb0EES12_IbLb1EEEEDaSY_SZ_EUlSY_E_NS1_11comp_targetILNS1_3genE8ELNS1_11target_archE1030ELNS1_3gpuE2ELNS1_3repE0EEENS1_30default_config_static_selectorELNS0_4arch9wavefront6targetE1EEEvT1_,@function
_ZN7rocprim17ROCPRIM_400000_NS6detail17trampoline_kernelINS0_14default_configENS1_29reduce_by_key_config_selectorIflN6thrust23THRUST_200600_302600_NS4plusIlEEEEZZNS1_33reduce_by_key_impl_wrapped_configILNS1_25lookback_scan_determinismE0ES3_S9_PfNS6_17constant_iteratorIiNS6_11use_defaultESE_EENS6_10device_ptrIfEENSG_IlEEPmS8_NS6_8equal_toIfEEEE10hipError_tPvRmT2_T3_mT4_T5_T6_T7_T8_P12ihipStream_tbENKUlT_T0_E_clISt17integral_constantIbLb0EES12_IbLb1EEEEDaSY_SZ_EUlSY_E_NS1_11comp_targetILNS1_3genE8ELNS1_11target_archE1030ELNS1_3gpuE2ELNS1_3repE0EEENS1_30default_config_static_selectorELNS0_4arch9wavefront6targetE1EEEvT1_: ; @_ZN7rocprim17ROCPRIM_400000_NS6detail17trampoline_kernelINS0_14default_configENS1_29reduce_by_key_config_selectorIflN6thrust23THRUST_200600_302600_NS4plusIlEEEEZZNS1_33reduce_by_key_impl_wrapped_configILNS1_25lookback_scan_determinismE0ES3_S9_PfNS6_17constant_iteratorIiNS6_11use_defaultESE_EENS6_10device_ptrIfEENSG_IlEEPmS8_NS6_8equal_toIfEEEE10hipError_tPvRmT2_T3_mT4_T5_T6_T7_T8_P12ihipStream_tbENKUlT_T0_E_clISt17integral_constantIbLb0EES12_IbLb1EEEEDaSY_SZ_EUlSY_E_NS1_11comp_targetILNS1_3genE8ELNS1_11target_archE1030ELNS1_3gpuE2ELNS1_3repE0EEENS1_30default_config_static_selectorELNS0_4arch9wavefront6targetE1EEEvT1_
; %bb.0:
	.section	.rodata,"a",@progbits
	.p2align	6, 0x0
	.amdhsa_kernel _ZN7rocprim17ROCPRIM_400000_NS6detail17trampoline_kernelINS0_14default_configENS1_29reduce_by_key_config_selectorIflN6thrust23THRUST_200600_302600_NS4plusIlEEEEZZNS1_33reduce_by_key_impl_wrapped_configILNS1_25lookback_scan_determinismE0ES3_S9_PfNS6_17constant_iteratorIiNS6_11use_defaultESE_EENS6_10device_ptrIfEENSG_IlEEPmS8_NS6_8equal_toIfEEEE10hipError_tPvRmT2_T3_mT4_T5_T6_T7_T8_P12ihipStream_tbENKUlT_T0_E_clISt17integral_constantIbLb0EES12_IbLb1EEEEDaSY_SZ_EUlSY_E_NS1_11comp_targetILNS1_3genE8ELNS1_11target_archE1030ELNS1_3gpuE2ELNS1_3repE0EEENS1_30default_config_static_selectorELNS0_4arch9wavefront6targetE1EEEvT1_
		.amdhsa_group_segment_fixed_size 0
		.amdhsa_private_segment_fixed_size 0
		.amdhsa_kernarg_size 144
		.amdhsa_user_sgpr_count 6
		.amdhsa_user_sgpr_private_segment_buffer 1
		.amdhsa_user_sgpr_dispatch_ptr 0
		.amdhsa_user_sgpr_queue_ptr 0
		.amdhsa_user_sgpr_kernarg_segment_ptr 1
		.amdhsa_user_sgpr_dispatch_id 0
		.amdhsa_user_sgpr_flat_scratch_init 0
		.amdhsa_user_sgpr_private_segment_size 0
		.amdhsa_uses_dynamic_stack 0
		.amdhsa_system_sgpr_private_segment_wavefront_offset 0
		.amdhsa_system_sgpr_workgroup_id_x 1
		.amdhsa_system_sgpr_workgroup_id_y 0
		.amdhsa_system_sgpr_workgroup_id_z 0
		.amdhsa_system_sgpr_workgroup_info 0
		.amdhsa_system_vgpr_workitem_id 0
		.amdhsa_next_free_vgpr 1
		.amdhsa_next_free_sgpr 0
		.amdhsa_reserve_vcc 0
		.amdhsa_reserve_flat_scratch 0
		.amdhsa_float_round_mode_32 0
		.amdhsa_float_round_mode_16_64 0
		.amdhsa_float_denorm_mode_32 3
		.amdhsa_float_denorm_mode_16_64 3
		.amdhsa_dx10_clamp 1
		.amdhsa_ieee_mode 1
		.amdhsa_fp16_overflow 0
		.amdhsa_exception_fp_ieee_invalid_op 0
		.amdhsa_exception_fp_denorm_src 0
		.amdhsa_exception_fp_ieee_div_zero 0
		.amdhsa_exception_fp_ieee_overflow 0
		.amdhsa_exception_fp_ieee_underflow 0
		.amdhsa_exception_fp_ieee_inexact 0
		.amdhsa_exception_int_div_zero 0
	.end_amdhsa_kernel
	.section	.text._ZN7rocprim17ROCPRIM_400000_NS6detail17trampoline_kernelINS0_14default_configENS1_29reduce_by_key_config_selectorIflN6thrust23THRUST_200600_302600_NS4plusIlEEEEZZNS1_33reduce_by_key_impl_wrapped_configILNS1_25lookback_scan_determinismE0ES3_S9_PfNS6_17constant_iteratorIiNS6_11use_defaultESE_EENS6_10device_ptrIfEENSG_IlEEPmS8_NS6_8equal_toIfEEEE10hipError_tPvRmT2_T3_mT4_T5_T6_T7_T8_P12ihipStream_tbENKUlT_T0_E_clISt17integral_constantIbLb0EES12_IbLb1EEEEDaSY_SZ_EUlSY_E_NS1_11comp_targetILNS1_3genE8ELNS1_11target_archE1030ELNS1_3gpuE2ELNS1_3repE0EEENS1_30default_config_static_selectorELNS0_4arch9wavefront6targetE1EEEvT1_,"axG",@progbits,_ZN7rocprim17ROCPRIM_400000_NS6detail17trampoline_kernelINS0_14default_configENS1_29reduce_by_key_config_selectorIflN6thrust23THRUST_200600_302600_NS4plusIlEEEEZZNS1_33reduce_by_key_impl_wrapped_configILNS1_25lookback_scan_determinismE0ES3_S9_PfNS6_17constant_iteratorIiNS6_11use_defaultESE_EENS6_10device_ptrIfEENSG_IlEEPmS8_NS6_8equal_toIfEEEE10hipError_tPvRmT2_T3_mT4_T5_T6_T7_T8_P12ihipStream_tbENKUlT_T0_E_clISt17integral_constantIbLb0EES12_IbLb1EEEEDaSY_SZ_EUlSY_E_NS1_11comp_targetILNS1_3genE8ELNS1_11target_archE1030ELNS1_3gpuE2ELNS1_3repE0EEENS1_30default_config_static_selectorELNS0_4arch9wavefront6targetE1EEEvT1_,comdat
.Lfunc_end1941:
	.size	_ZN7rocprim17ROCPRIM_400000_NS6detail17trampoline_kernelINS0_14default_configENS1_29reduce_by_key_config_selectorIflN6thrust23THRUST_200600_302600_NS4plusIlEEEEZZNS1_33reduce_by_key_impl_wrapped_configILNS1_25lookback_scan_determinismE0ES3_S9_PfNS6_17constant_iteratorIiNS6_11use_defaultESE_EENS6_10device_ptrIfEENSG_IlEEPmS8_NS6_8equal_toIfEEEE10hipError_tPvRmT2_T3_mT4_T5_T6_T7_T8_P12ihipStream_tbENKUlT_T0_E_clISt17integral_constantIbLb0EES12_IbLb1EEEEDaSY_SZ_EUlSY_E_NS1_11comp_targetILNS1_3genE8ELNS1_11target_archE1030ELNS1_3gpuE2ELNS1_3repE0EEENS1_30default_config_static_selectorELNS0_4arch9wavefront6targetE1EEEvT1_, .Lfunc_end1941-_ZN7rocprim17ROCPRIM_400000_NS6detail17trampoline_kernelINS0_14default_configENS1_29reduce_by_key_config_selectorIflN6thrust23THRUST_200600_302600_NS4plusIlEEEEZZNS1_33reduce_by_key_impl_wrapped_configILNS1_25lookback_scan_determinismE0ES3_S9_PfNS6_17constant_iteratorIiNS6_11use_defaultESE_EENS6_10device_ptrIfEENSG_IlEEPmS8_NS6_8equal_toIfEEEE10hipError_tPvRmT2_T3_mT4_T5_T6_T7_T8_P12ihipStream_tbENKUlT_T0_E_clISt17integral_constantIbLb0EES12_IbLb1EEEEDaSY_SZ_EUlSY_E_NS1_11comp_targetILNS1_3genE8ELNS1_11target_archE1030ELNS1_3gpuE2ELNS1_3repE0EEENS1_30default_config_static_selectorELNS0_4arch9wavefront6targetE1EEEvT1_
                                        ; -- End function
	.set _ZN7rocprim17ROCPRIM_400000_NS6detail17trampoline_kernelINS0_14default_configENS1_29reduce_by_key_config_selectorIflN6thrust23THRUST_200600_302600_NS4plusIlEEEEZZNS1_33reduce_by_key_impl_wrapped_configILNS1_25lookback_scan_determinismE0ES3_S9_PfNS6_17constant_iteratorIiNS6_11use_defaultESE_EENS6_10device_ptrIfEENSG_IlEEPmS8_NS6_8equal_toIfEEEE10hipError_tPvRmT2_T3_mT4_T5_T6_T7_T8_P12ihipStream_tbENKUlT_T0_E_clISt17integral_constantIbLb0EES12_IbLb1EEEEDaSY_SZ_EUlSY_E_NS1_11comp_targetILNS1_3genE8ELNS1_11target_archE1030ELNS1_3gpuE2ELNS1_3repE0EEENS1_30default_config_static_selectorELNS0_4arch9wavefront6targetE1EEEvT1_.num_vgpr, 0
	.set _ZN7rocprim17ROCPRIM_400000_NS6detail17trampoline_kernelINS0_14default_configENS1_29reduce_by_key_config_selectorIflN6thrust23THRUST_200600_302600_NS4plusIlEEEEZZNS1_33reduce_by_key_impl_wrapped_configILNS1_25lookback_scan_determinismE0ES3_S9_PfNS6_17constant_iteratorIiNS6_11use_defaultESE_EENS6_10device_ptrIfEENSG_IlEEPmS8_NS6_8equal_toIfEEEE10hipError_tPvRmT2_T3_mT4_T5_T6_T7_T8_P12ihipStream_tbENKUlT_T0_E_clISt17integral_constantIbLb0EES12_IbLb1EEEEDaSY_SZ_EUlSY_E_NS1_11comp_targetILNS1_3genE8ELNS1_11target_archE1030ELNS1_3gpuE2ELNS1_3repE0EEENS1_30default_config_static_selectorELNS0_4arch9wavefront6targetE1EEEvT1_.num_agpr, 0
	.set _ZN7rocprim17ROCPRIM_400000_NS6detail17trampoline_kernelINS0_14default_configENS1_29reduce_by_key_config_selectorIflN6thrust23THRUST_200600_302600_NS4plusIlEEEEZZNS1_33reduce_by_key_impl_wrapped_configILNS1_25lookback_scan_determinismE0ES3_S9_PfNS6_17constant_iteratorIiNS6_11use_defaultESE_EENS6_10device_ptrIfEENSG_IlEEPmS8_NS6_8equal_toIfEEEE10hipError_tPvRmT2_T3_mT4_T5_T6_T7_T8_P12ihipStream_tbENKUlT_T0_E_clISt17integral_constantIbLb0EES12_IbLb1EEEEDaSY_SZ_EUlSY_E_NS1_11comp_targetILNS1_3genE8ELNS1_11target_archE1030ELNS1_3gpuE2ELNS1_3repE0EEENS1_30default_config_static_selectorELNS0_4arch9wavefront6targetE1EEEvT1_.numbered_sgpr, 0
	.set _ZN7rocprim17ROCPRIM_400000_NS6detail17trampoline_kernelINS0_14default_configENS1_29reduce_by_key_config_selectorIflN6thrust23THRUST_200600_302600_NS4plusIlEEEEZZNS1_33reduce_by_key_impl_wrapped_configILNS1_25lookback_scan_determinismE0ES3_S9_PfNS6_17constant_iteratorIiNS6_11use_defaultESE_EENS6_10device_ptrIfEENSG_IlEEPmS8_NS6_8equal_toIfEEEE10hipError_tPvRmT2_T3_mT4_T5_T6_T7_T8_P12ihipStream_tbENKUlT_T0_E_clISt17integral_constantIbLb0EES12_IbLb1EEEEDaSY_SZ_EUlSY_E_NS1_11comp_targetILNS1_3genE8ELNS1_11target_archE1030ELNS1_3gpuE2ELNS1_3repE0EEENS1_30default_config_static_selectorELNS0_4arch9wavefront6targetE1EEEvT1_.num_named_barrier, 0
	.set _ZN7rocprim17ROCPRIM_400000_NS6detail17trampoline_kernelINS0_14default_configENS1_29reduce_by_key_config_selectorIflN6thrust23THRUST_200600_302600_NS4plusIlEEEEZZNS1_33reduce_by_key_impl_wrapped_configILNS1_25lookback_scan_determinismE0ES3_S9_PfNS6_17constant_iteratorIiNS6_11use_defaultESE_EENS6_10device_ptrIfEENSG_IlEEPmS8_NS6_8equal_toIfEEEE10hipError_tPvRmT2_T3_mT4_T5_T6_T7_T8_P12ihipStream_tbENKUlT_T0_E_clISt17integral_constantIbLb0EES12_IbLb1EEEEDaSY_SZ_EUlSY_E_NS1_11comp_targetILNS1_3genE8ELNS1_11target_archE1030ELNS1_3gpuE2ELNS1_3repE0EEENS1_30default_config_static_selectorELNS0_4arch9wavefront6targetE1EEEvT1_.private_seg_size, 0
	.set _ZN7rocprim17ROCPRIM_400000_NS6detail17trampoline_kernelINS0_14default_configENS1_29reduce_by_key_config_selectorIflN6thrust23THRUST_200600_302600_NS4plusIlEEEEZZNS1_33reduce_by_key_impl_wrapped_configILNS1_25lookback_scan_determinismE0ES3_S9_PfNS6_17constant_iteratorIiNS6_11use_defaultESE_EENS6_10device_ptrIfEENSG_IlEEPmS8_NS6_8equal_toIfEEEE10hipError_tPvRmT2_T3_mT4_T5_T6_T7_T8_P12ihipStream_tbENKUlT_T0_E_clISt17integral_constantIbLb0EES12_IbLb1EEEEDaSY_SZ_EUlSY_E_NS1_11comp_targetILNS1_3genE8ELNS1_11target_archE1030ELNS1_3gpuE2ELNS1_3repE0EEENS1_30default_config_static_selectorELNS0_4arch9wavefront6targetE1EEEvT1_.uses_vcc, 0
	.set _ZN7rocprim17ROCPRIM_400000_NS6detail17trampoline_kernelINS0_14default_configENS1_29reduce_by_key_config_selectorIflN6thrust23THRUST_200600_302600_NS4plusIlEEEEZZNS1_33reduce_by_key_impl_wrapped_configILNS1_25lookback_scan_determinismE0ES3_S9_PfNS6_17constant_iteratorIiNS6_11use_defaultESE_EENS6_10device_ptrIfEENSG_IlEEPmS8_NS6_8equal_toIfEEEE10hipError_tPvRmT2_T3_mT4_T5_T6_T7_T8_P12ihipStream_tbENKUlT_T0_E_clISt17integral_constantIbLb0EES12_IbLb1EEEEDaSY_SZ_EUlSY_E_NS1_11comp_targetILNS1_3genE8ELNS1_11target_archE1030ELNS1_3gpuE2ELNS1_3repE0EEENS1_30default_config_static_selectorELNS0_4arch9wavefront6targetE1EEEvT1_.uses_flat_scratch, 0
	.set _ZN7rocprim17ROCPRIM_400000_NS6detail17trampoline_kernelINS0_14default_configENS1_29reduce_by_key_config_selectorIflN6thrust23THRUST_200600_302600_NS4plusIlEEEEZZNS1_33reduce_by_key_impl_wrapped_configILNS1_25lookback_scan_determinismE0ES3_S9_PfNS6_17constant_iteratorIiNS6_11use_defaultESE_EENS6_10device_ptrIfEENSG_IlEEPmS8_NS6_8equal_toIfEEEE10hipError_tPvRmT2_T3_mT4_T5_T6_T7_T8_P12ihipStream_tbENKUlT_T0_E_clISt17integral_constantIbLb0EES12_IbLb1EEEEDaSY_SZ_EUlSY_E_NS1_11comp_targetILNS1_3genE8ELNS1_11target_archE1030ELNS1_3gpuE2ELNS1_3repE0EEENS1_30default_config_static_selectorELNS0_4arch9wavefront6targetE1EEEvT1_.has_dyn_sized_stack, 0
	.set _ZN7rocprim17ROCPRIM_400000_NS6detail17trampoline_kernelINS0_14default_configENS1_29reduce_by_key_config_selectorIflN6thrust23THRUST_200600_302600_NS4plusIlEEEEZZNS1_33reduce_by_key_impl_wrapped_configILNS1_25lookback_scan_determinismE0ES3_S9_PfNS6_17constant_iteratorIiNS6_11use_defaultESE_EENS6_10device_ptrIfEENSG_IlEEPmS8_NS6_8equal_toIfEEEE10hipError_tPvRmT2_T3_mT4_T5_T6_T7_T8_P12ihipStream_tbENKUlT_T0_E_clISt17integral_constantIbLb0EES12_IbLb1EEEEDaSY_SZ_EUlSY_E_NS1_11comp_targetILNS1_3genE8ELNS1_11target_archE1030ELNS1_3gpuE2ELNS1_3repE0EEENS1_30default_config_static_selectorELNS0_4arch9wavefront6targetE1EEEvT1_.has_recursion, 0
	.set _ZN7rocprim17ROCPRIM_400000_NS6detail17trampoline_kernelINS0_14default_configENS1_29reduce_by_key_config_selectorIflN6thrust23THRUST_200600_302600_NS4plusIlEEEEZZNS1_33reduce_by_key_impl_wrapped_configILNS1_25lookback_scan_determinismE0ES3_S9_PfNS6_17constant_iteratorIiNS6_11use_defaultESE_EENS6_10device_ptrIfEENSG_IlEEPmS8_NS6_8equal_toIfEEEE10hipError_tPvRmT2_T3_mT4_T5_T6_T7_T8_P12ihipStream_tbENKUlT_T0_E_clISt17integral_constantIbLb0EES12_IbLb1EEEEDaSY_SZ_EUlSY_E_NS1_11comp_targetILNS1_3genE8ELNS1_11target_archE1030ELNS1_3gpuE2ELNS1_3repE0EEENS1_30default_config_static_selectorELNS0_4arch9wavefront6targetE1EEEvT1_.has_indirect_call, 0
	.section	.AMDGPU.csdata,"",@progbits
; Kernel info:
; codeLenInByte = 0
; TotalNumSgprs: 4
; NumVgprs: 0
; ScratchSize: 0
; MemoryBound: 0
; FloatMode: 240
; IeeeMode: 1
; LDSByteSize: 0 bytes/workgroup (compile time only)
; SGPRBlocks: 0
; VGPRBlocks: 0
; NumSGPRsForWavesPerEU: 4
; NumVGPRsForWavesPerEU: 1
; Occupancy: 10
; WaveLimiterHint : 0
; COMPUTE_PGM_RSRC2:SCRATCH_EN: 0
; COMPUTE_PGM_RSRC2:USER_SGPR: 6
; COMPUTE_PGM_RSRC2:TRAP_HANDLER: 0
; COMPUTE_PGM_RSRC2:TGID_X_EN: 1
; COMPUTE_PGM_RSRC2:TGID_Y_EN: 0
; COMPUTE_PGM_RSRC2:TGID_Z_EN: 0
; COMPUTE_PGM_RSRC2:TIDIG_COMP_CNT: 0
	.section	.text._ZN7rocprim17ROCPRIM_400000_NS6detail17trampoline_kernelINS0_14default_configENS1_22reduce_config_selectorIN6thrust23THRUST_200600_302600_NS5tupleIblNS6_9null_typeES8_S8_S8_S8_S8_S8_S8_EEEEZNS1_11reduce_implILb1ES3_NS6_12zip_iteratorINS7_INS6_11hip_rocprim26transform_input_iterator_tIbPfNS6_6detail10functional5actorINSH_9compositeIJNSH_27transparent_binary_operatorINS6_8equal_toIvEEEENSI_INSH_8argumentILj0EEEEENSH_5valueIfEEEEEEEEENSD_19counting_iterator_tIlEES8_S8_S8_S8_S8_S8_S8_S8_EEEEPS9_S9_NSD_9__find_if7functorIS9_EEEE10hipError_tPvRmT1_T2_T3_mT4_P12ihipStream_tbEUlT_E0_NS1_11comp_targetILNS1_3genE0ELNS1_11target_archE4294967295ELNS1_3gpuE0ELNS1_3repE0EEENS1_30default_config_static_selectorELNS0_4arch9wavefront6targetE1EEEvS17_,"axG",@progbits,_ZN7rocprim17ROCPRIM_400000_NS6detail17trampoline_kernelINS0_14default_configENS1_22reduce_config_selectorIN6thrust23THRUST_200600_302600_NS5tupleIblNS6_9null_typeES8_S8_S8_S8_S8_S8_S8_EEEEZNS1_11reduce_implILb1ES3_NS6_12zip_iteratorINS7_INS6_11hip_rocprim26transform_input_iterator_tIbPfNS6_6detail10functional5actorINSH_9compositeIJNSH_27transparent_binary_operatorINS6_8equal_toIvEEEENSI_INSH_8argumentILj0EEEEENSH_5valueIfEEEEEEEEENSD_19counting_iterator_tIlEES8_S8_S8_S8_S8_S8_S8_S8_EEEEPS9_S9_NSD_9__find_if7functorIS9_EEEE10hipError_tPvRmT1_T2_T3_mT4_P12ihipStream_tbEUlT_E0_NS1_11comp_targetILNS1_3genE0ELNS1_11target_archE4294967295ELNS1_3gpuE0ELNS1_3repE0EEENS1_30default_config_static_selectorELNS0_4arch9wavefront6targetE1EEEvS17_,comdat
	.protected	_ZN7rocprim17ROCPRIM_400000_NS6detail17trampoline_kernelINS0_14default_configENS1_22reduce_config_selectorIN6thrust23THRUST_200600_302600_NS5tupleIblNS6_9null_typeES8_S8_S8_S8_S8_S8_S8_EEEEZNS1_11reduce_implILb1ES3_NS6_12zip_iteratorINS7_INS6_11hip_rocprim26transform_input_iterator_tIbPfNS6_6detail10functional5actorINSH_9compositeIJNSH_27transparent_binary_operatorINS6_8equal_toIvEEEENSI_INSH_8argumentILj0EEEEENSH_5valueIfEEEEEEEEENSD_19counting_iterator_tIlEES8_S8_S8_S8_S8_S8_S8_S8_EEEEPS9_S9_NSD_9__find_if7functorIS9_EEEE10hipError_tPvRmT1_T2_T3_mT4_P12ihipStream_tbEUlT_E0_NS1_11comp_targetILNS1_3genE0ELNS1_11target_archE4294967295ELNS1_3gpuE0ELNS1_3repE0EEENS1_30default_config_static_selectorELNS0_4arch9wavefront6targetE1EEEvS17_ ; -- Begin function _ZN7rocprim17ROCPRIM_400000_NS6detail17trampoline_kernelINS0_14default_configENS1_22reduce_config_selectorIN6thrust23THRUST_200600_302600_NS5tupleIblNS6_9null_typeES8_S8_S8_S8_S8_S8_S8_EEEEZNS1_11reduce_implILb1ES3_NS6_12zip_iteratorINS7_INS6_11hip_rocprim26transform_input_iterator_tIbPfNS6_6detail10functional5actorINSH_9compositeIJNSH_27transparent_binary_operatorINS6_8equal_toIvEEEENSI_INSH_8argumentILj0EEEEENSH_5valueIfEEEEEEEEENSD_19counting_iterator_tIlEES8_S8_S8_S8_S8_S8_S8_S8_EEEEPS9_S9_NSD_9__find_if7functorIS9_EEEE10hipError_tPvRmT1_T2_T3_mT4_P12ihipStream_tbEUlT_E0_NS1_11comp_targetILNS1_3genE0ELNS1_11target_archE4294967295ELNS1_3gpuE0ELNS1_3repE0EEENS1_30default_config_static_selectorELNS0_4arch9wavefront6targetE1EEEvS17_
	.globl	_ZN7rocprim17ROCPRIM_400000_NS6detail17trampoline_kernelINS0_14default_configENS1_22reduce_config_selectorIN6thrust23THRUST_200600_302600_NS5tupleIblNS6_9null_typeES8_S8_S8_S8_S8_S8_S8_EEEEZNS1_11reduce_implILb1ES3_NS6_12zip_iteratorINS7_INS6_11hip_rocprim26transform_input_iterator_tIbPfNS6_6detail10functional5actorINSH_9compositeIJNSH_27transparent_binary_operatorINS6_8equal_toIvEEEENSI_INSH_8argumentILj0EEEEENSH_5valueIfEEEEEEEEENSD_19counting_iterator_tIlEES8_S8_S8_S8_S8_S8_S8_S8_EEEEPS9_S9_NSD_9__find_if7functorIS9_EEEE10hipError_tPvRmT1_T2_T3_mT4_P12ihipStream_tbEUlT_E0_NS1_11comp_targetILNS1_3genE0ELNS1_11target_archE4294967295ELNS1_3gpuE0ELNS1_3repE0EEENS1_30default_config_static_selectorELNS0_4arch9wavefront6targetE1EEEvS17_
	.p2align	8
	.type	_ZN7rocprim17ROCPRIM_400000_NS6detail17trampoline_kernelINS0_14default_configENS1_22reduce_config_selectorIN6thrust23THRUST_200600_302600_NS5tupleIblNS6_9null_typeES8_S8_S8_S8_S8_S8_S8_EEEEZNS1_11reduce_implILb1ES3_NS6_12zip_iteratorINS7_INS6_11hip_rocprim26transform_input_iterator_tIbPfNS6_6detail10functional5actorINSH_9compositeIJNSH_27transparent_binary_operatorINS6_8equal_toIvEEEENSI_INSH_8argumentILj0EEEEENSH_5valueIfEEEEEEEEENSD_19counting_iterator_tIlEES8_S8_S8_S8_S8_S8_S8_S8_EEEEPS9_S9_NSD_9__find_if7functorIS9_EEEE10hipError_tPvRmT1_T2_T3_mT4_P12ihipStream_tbEUlT_E0_NS1_11comp_targetILNS1_3genE0ELNS1_11target_archE4294967295ELNS1_3gpuE0ELNS1_3repE0EEENS1_30default_config_static_selectorELNS0_4arch9wavefront6targetE1EEEvS17_,@function
_ZN7rocprim17ROCPRIM_400000_NS6detail17trampoline_kernelINS0_14default_configENS1_22reduce_config_selectorIN6thrust23THRUST_200600_302600_NS5tupleIblNS6_9null_typeES8_S8_S8_S8_S8_S8_S8_EEEEZNS1_11reduce_implILb1ES3_NS6_12zip_iteratorINS7_INS6_11hip_rocprim26transform_input_iterator_tIbPfNS6_6detail10functional5actorINSH_9compositeIJNSH_27transparent_binary_operatorINS6_8equal_toIvEEEENSI_INSH_8argumentILj0EEEEENSH_5valueIfEEEEEEEEENSD_19counting_iterator_tIlEES8_S8_S8_S8_S8_S8_S8_S8_EEEEPS9_S9_NSD_9__find_if7functorIS9_EEEE10hipError_tPvRmT1_T2_T3_mT4_P12ihipStream_tbEUlT_E0_NS1_11comp_targetILNS1_3genE0ELNS1_11target_archE4294967295ELNS1_3gpuE0ELNS1_3repE0EEENS1_30default_config_static_selectorELNS0_4arch9wavefront6targetE1EEEvS17_: ; @_ZN7rocprim17ROCPRIM_400000_NS6detail17trampoline_kernelINS0_14default_configENS1_22reduce_config_selectorIN6thrust23THRUST_200600_302600_NS5tupleIblNS6_9null_typeES8_S8_S8_S8_S8_S8_S8_EEEEZNS1_11reduce_implILb1ES3_NS6_12zip_iteratorINS7_INS6_11hip_rocprim26transform_input_iterator_tIbPfNS6_6detail10functional5actorINSH_9compositeIJNSH_27transparent_binary_operatorINS6_8equal_toIvEEEENSI_INSH_8argumentILj0EEEEENSH_5valueIfEEEEEEEEENSD_19counting_iterator_tIlEES8_S8_S8_S8_S8_S8_S8_S8_EEEEPS9_S9_NSD_9__find_if7functorIS9_EEEE10hipError_tPvRmT1_T2_T3_mT4_P12ihipStream_tbEUlT_E0_NS1_11comp_targetILNS1_3genE0ELNS1_11target_archE4294967295ELNS1_3gpuE0ELNS1_3repE0EEENS1_30default_config_static_selectorELNS0_4arch9wavefront6targetE1EEEvS17_
; %bb.0:
	.section	.rodata,"a",@progbits
	.p2align	6, 0x0
	.amdhsa_kernel _ZN7rocprim17ROCPRIM_400000_NS6detail17trampoline_kernelINS0_14default_configENS1_22reduce_config_selectorIN6thrust23THRUST_200600_302600_NS5tupleIblNS6_9null_typeES8_S8_S8_S8_S8_S8_S8_EEEEZNS1_11reduce_implILb1ES3_NS6_12zip_iteratorINS7_INS6_11hip_rocprim26transform_input_iterator_tIbPfNS6_6detail10functional5actorINSH_9compositeIJNSH_27transparent_binary_operatorINS6_8equal_toIvEEEENSI_INSH_8argumentILj0EEEEENSH_5valueIfEEEEEEEEENSD_19counting_iterator_tIlEES8_S8_S8_S8_S8_S8_S8_S8_EEEEPS9_S9_NSD_9__find_if7functorIS9_EEEE10hipError_tPvRmT1_T2_T3_mT4_P12ihipStream_tbEUlT_E0_NS1_11comp_targetILNS1_3genE0ELNS1_11target_archE4294967295ELNS1_3gpuE0ELNS1_3repE0EEENS1_30default_config_static_selectorELNS0_4arch9wavefront6targetE1EEEvS17_
		.amdhsa_group_segment_fixed_size 0
		.amdhsa_private_segment_fixed_size 0
		.amdhsa_kernarg_size 88
		.amdhsa_user_sgpr_count 6
		.amdhsa_user_sgpr_private_segment_buffer 1
		.amdhsa_user_sgpr_dispatch_ptr 0
		.amdhsa_user_sgpr_queue_ptr 0
		.amdhsa_user_sgpr_kernarg_segment_ptr 1
		.amdhsa_user_sgpr_dispatch_id 0
		.amdhsa_user_sgpr_flat_scratch_init 0
		.amdhsa_user_sgpr_private_segment_size 0
		.amdhsa_uses_dynamic_stack 0
		.amdhsa_system_sgpr_private_segment_wavefront_offset 0
		.amdhsa_system_sgpr_workgroup_id_x 1
		.amdhsa_system_sgpr_workgroup_id_y 0
		.amdhsa_system_sgpr_workgroup_id_z 0
		.amdhsa_system_sgpr_workgroup_info 0
		.amdhsa_system_vgpr_workitem_id 0
		.amdhsa_next_free_vgpr 1
		.amdhsa_next_free_sgpr 0
		.amdhsa_reserve_vcc 0
		.amdhsa_reserve_flat_scratch 0
		.amdhsa_float_round_mode_32 0
		.amdhsa_float_round_mode_16_64 0
		.amdhsa_float_denorm_mode_32 3
		.amdhsa_float_denorm_mode_16_64 3
		.amdhsa_dx10_clamp 1
		.amdhsa_ieee_mode 1
		.amdhsa_fp16_overflow 0
		.amdhsa_exception_fp_ieee_invalid_op 0
		.amdhsa_exception_fp_denorm_src 0
		.amdhsa_exception_fp_ieee_div_zero 0
		.amdhsa_exception_fp_ieee_overflow 0
		.amdhsa_exception_fp_ieee_underflow 0
		.amdhsa_exception_fp_ieee_inexact 0
		.amdhsa_exception_int_div_zero 0
	.end_amdhsa_kernel
	.section	.text._ZN7rocprim17ROCPRIM_400000_NS6detail17trampoline_kernelINS0_14default_configENS1_22reduce_config_selectorIN6thrust23THRUST_200600_302600_NS5tupleIblNS6_9null_typeES8_S8_S8_S8_S8_S8_S8_EEEEZNS1_11reduce_implILb1ES3_NS6_12zip_iteratorINS7_INS6_11hip_rocprim26transform_input_iterator_tIbPfNS6_6detail10functional5actorINSH_9compositeIJNSH_27transparent_binary_operatorINS6_8equal_toIvEEEENSI_INSH_8argumentILj0EEEEENSH_5valueIfEEEEEEEEENSD_19counting_iterator_tIlEES8_S8_S8_S8_S8_S8_S8_S8_EEEEPS9_S9_NSD_9__find_if7functorIS9_EEEE10hipError_tPvRmT1_T2_T3_mT4_P12ihipStream_tbEUlT_E0_NS1_11comp_targetILNS1_3genE0ELNS1_11target_archE4294967295ELNS1_3gpuE0ELNS1_3repE0EEENS1_30default_config_static_selectorELNS0_4arch9wavefront6targetE1EEEvS17_,"axG",@progbits,_ZN7rocprim17ROCPRIM_400000_NS6detail17trampoline_kernelINS0_14default_configENS1_22reduce_config_selectorIN6thrust23THRUST_200600_302600_NS5tupleIblNS6_9null_typeES8_S8_S8_S8_S8_S8_S8_EEEEZNS1_11reduce_implILb1ES3_NS6_12zip_iteratorINS7_INS6_11hip_rocprim26transform_input_iterator_tIbPfNS6_6detail10functional5actorINSH_9compositeIJNSH_27transparent_binary_operatorINS6_8equal_toIvEEEENSI_INSH_8argumentILj0EEEEENSH_5valueIfEEEEEEEEENSD_19counting_iterator_tIlEES8_S8_S8_S8_S8_S8_S8_S8_EEEEPS9_S9_NSD_9__find_if7functorIS9_EEEE10hipError_tPvRmT1_T2_T3_mT4_P12ihipStream_tbEUlT_E0_NS1_11comp_targetILNS1_3genE0ELNS1_11target_archE4294967295ELNS1_3gpuE0ELNS1_3repE0EEENS1_30default_config_static_selectorELNS0_4arch9wavefront6targetE1EEEvS17_,comdat
.Lfunc_end1942:
	.size	_ZN7rocprim17ROCPRIM_400000_NS6detail17trampoline_kernelINS0_14default_configENS1_22reduce_config_selectorIN6thrust23THRUST_200600_302600_NS5tupleIblNS6_9null_typeES8_S8_S8_S8_S8_S8_S8_EEEEZNS1_11reduce_implILb1ES3_NS6_12zip_iteratorINS7_INS6_11hip_rocprim26transform_input_iterator_tIbPfNS6_6detail10functional5actorINSH_9compositeIJNSH_27transparent_binary_operatorINS6_8equal_toIvEEEENSI_INSH_8argumentILj0EEEEENSH_5valueIfEEEEEEEEENSD_19counting_iterator_tIlEES8_S8_S8_S8_S8_S8_S8_S8_EEEEPS9_S9_NSD_9__find_if7functorIS9_EEEE10hipError_tPvRmT1_T2_T3_mT4_P12ihipStream_tbEUlT_E0_NS1_11comp_targetILNS1_3genE0ELNS1_11target_archE4294967295ELNS1_3gpuE0ELNS1_3repE0EEENS1_30default_config_static_selectorELNS0_4arch9wavefront6targetE1EEEvS17_, .Lfunc_end1942-_ZN7rocprim17ROCPRIM_400000_NS6detail17trampoline_kernelINS0_14default_configENS1_22reduce_config_selectorIN6thrust23THRUST_200600_302600_NS5tupleIblNS6_9null_typeES8_S8_S8_S8_S8_S8_S8_EEEEZNS1_11reduce_implILb1ES3_NS6_12zip_iteratorINS7_INS6_11hip_rocprim26transform_input_iterator_tIbPfNS6_6detail10functional5actorINSH_9compositeIJNSH_27transparent_binary_operatorINS6_8equal_toIvEEEENSI_INSH_8argumentILj0EEEEENSH_5valueIfEEEEEEEEENSD_19counting_iterator_tIlEES8_S8_S8_S8_S8_S8_S8_S8_EEEEPS9_S9_NSD_9__find_if7functorIS9_EEEE10hipError_tPvRmT1_T2_T3_mT4_P12ihipStream_tbEUlT_E0_NS1_11comp_targetILNS1_3genE0ELNS1_11target_archE4294967295ELNS1_3gpuE0ELNS1_3repE0EEENS1_30default_config_static_selectorELNS0_4arch9wavefront6targetE1EEEvS17_
                                        ; -- End function
	.set _ZN7rocprim17ROCPRIM_400000_NS6detail17trampoline_kernelINS0_14default_configENS1_22reduce_config_selectorIN6thrust23THRUST_200600_302600_NS5tupleIblNS6_9null_typeES8_S8_S8_S8_S8_S8_S8_EEEEZNS1_11reduce_implILb1ES3_NS6_12zip_iteratorINS7_INS6_11hip_rocprim26transform_input_iterator_tIbPfNS6_6detail10functional5actorINSH_9compositeIJNSH_27transparent_binary_operatorINS6_8equal_toIvEEEENSI_INSH_8argumentILj0EEEEENSH_5valueIfEEEEEEEEENSD_19counting_iterator_tIlEES8_S8_S8_S8_S8_S8_S8_S8_EEEEPS9_S9_NSD_9__find_if7functorIS9_EEEE10hipError_tPvRmT1_T2_T3_mT4_P12ihipStream_tbEUlT_E0_NS1_11comp_targetILNS1_3genE0ELNS1_11target_archE4294967295ELNS1_3gpuE0ELNS1_3repE0EEENS1_30default_config_static_selectorELNS0_4arch9wavefront6targetE1EEEvS17_.num_vgpr, 0
	.set _ZN7rocprim17ROCPRIM_400000_NS6detail17trampoline_kernelINS0_14default_configENS1_22reduce_config_selectorIN6thrust23THRUST_200600_302600_NS5tupleIblNS6_9null_typeES8_S8_S8_S8_S8_S8_S8_EEEEZNS1_11reduce_implILb1ES3_NS6_12zip_iteratorINS7_INS6_11hip_rocprim26transform_input_iterator_tIbPfNS6_6detail10functional5actorINSH_9compositeIJNSH_27transparent_binary_operatorINS6_8equal_toIvEEEENSI_INSH_8argumentILj0EEEEENSH_5valueIfEEEEEEEEENSD_19counting_iterator_tIlEES8_S8_S8_S8_S8_S8_S8_S8_EEEEPS9_S9_NSD_9__find_if7functorIS9_EEEE10hipError_tPvRmT1_T2_T3_mT4_P12ihipStream_tbEUlT_E0_NS1_11comp_targetILNS1_3genE0ELNS1_11target_archE4294967295ELNS1_3gpuE0ELNS1_3repE0EEENS1_30default_config_static_selectorELNS0_4arch9wavefront6targetE1EEEvS17_.num_agpr, 0
	.set _ZN7rocprim17ROCPRIM_400000_NS6detail17trampoline_kernelINS0_14default_configENS1_22reduce_config_selectorIN6thrust23THRUST_200600_302600_NS5tupleIblNS6_9null_typeES8_S8_S8_S8_S8_S8_S8_EEEEZNS1_11reduce_implILb1ES3_NS6_12zip_iteratorINS7_INS6_11hip_rocprim26transform_input_iterator_tIbPfNS6_6detail10functional5actorINSH_9compositeIJNSH_27transparent_binary_operatorINS6_8equal_toIvEEEENSI_INSH_8argumentILj0EEEEENSH_5valueIfEEEEEEEEENSD_19counting_iterator_tIlEES8_S8_S8_S8_S8_S8_S8_S8_EEEEPS9_S9_NSD_9__find_if7functorIS9_EEEE10hipError_tPvRmT1_T2_T3_mT4_P12ihipStream_tbEUlT_E0_NS1_11comp_targetILNS1_3genE0ELNS1_11target_archE4294967295ELNS1_3gpuE0ELNS1_3repE0EEENS1_30default_config_static_selectorELNS0_4arch9wavefront6targetE1EEEvS17_.numbered_sgpr, 0
	.set _ZN7rocprim17ROCPRIM_400000_NS6detail17trampoline_kernelINS0_14default_configENS1_22reduce_config_selectorIN6thrust23THRUST_200600_302600_NS5tupleIblNS6_9null_typeES8_S8_S8_S8_S8_S8_S8_EEEEZNS1_11reduce_implILb1ES3_NS6_12zip_iteratorINS7_INS6_11hip_rocprim26transform_input_iterator_tIbPfNS6_6detail10functional5actorINSH_9compositeIJNSH_27transparent_binary_operatorINS6_8equal_toIvEEEENSI_INSH_8argumentILj0EEEEENSH_5valueIfEEEEEEEEENSD_19counting_iterator_tIlEES8_S8_S8_S8_S8_S8_S8_S8_EEEEPS9_S9_NSD_9__find_if7functorIS9_EEEE10hipError_tPvRmT1_T2_T3_mT4_P12ihipStream_tbEUlT_E0_NS1_11comp_targetILNS1_3genE0ELNS1_11target_archE4294967295ELNS1_3gpuE0ELNS1_3repE0EEENS1_30default_config_static_selectorELNS0_4arch9wavefront6targetE1EEEvS17_.num_named_barrier, 0
	.set _ZN7rocprim17ROCPRIM_400000_NS6detail17trampoline_kernelINS0_14default_configENS1_22reduce_config_selectorIN6thrust23THRUST_200600_302600_NS5tupleIblNS6_9null_typeES8_S8_S8_S8_S8_S8_S8_EEEEZNS1_11reduce_implILb1ES3_NS6_12zip_iteratorINS7_INS6_11hip_rocprim26transform_input_iterator_tIbPfNS6_6detail10functional5actorINSH_9compositeIJNSH_27transparent_binary_operatorINS6_8equal_toIvEEEENSI_INSH_8argumentILj0EEEEENSH_5valueIfEEEEEEEEENSD_19counting_iterator_tIlEES8_S8_S8_S8_S8_S8_S8_S8_EEEEPS9_S9_NSD_9__find_if7functorIS9_EEEE10hipError_tPvRmT1_T2_T3_mT4_P12ihipStream_tbEUlT_E0_NS1_11comp_targetILNS1_3genE0ELNS1_11target_archE4294967295ELNS1_3gpuE0ELNS1_3repE0EEENS1_30default_config_static_selectorELNS0_4arch9wavefront6targetE1EEEvS17_.private_seg_size, 0
	.set _ZN7rocprim17ROCPRIM_400000_NS6detail17trampoline_kernelINS0_14default_configENS1_22reduce_config_selectorIN6thrust23THRUST_200600_302600_NS5tupleIblNS6_9null_typeES8_S8_S8_S8_S8_S8_S8_EEEEZNS1_11reduce_implILb1ES3_NS6_12zip_iteratorINS7_INS6_11hip_rocprim26transform_input_iterator_tIbPfNS6_6detail10functional5actorINSH_9compositeIJNSH_27transparent_binary_operatorINS6_8equal_toIvEEEENSI_INSH_8argumentILj0EEEEENSH_5valueIfEEEEEEEEENSD_19counting_iterator_tIlEES8_S8_S8_S8_S8_S8_S8_S8_EEEEPS9_S9_NSD_9__find_if7functorIS9_EEEE10hipError_tPvRmT1_T2_T3_mT4_P12ihipStream_tbEUlT_E0_NS1_11comp_targetILNS1_3genE0ELNS1_11target_archE4294967295ELNS1_3gpuE0ELNS1_3repE0EEENS1_30default_config_static_selectorELNS0_4arch9wavefront6targetE1EEEvS17_.uses_vcc, 0
	.set _ZN7rocprim17ROCPRIM_400000_NS6detail17trampoline_kernelINS0_14default_configENS1_22reduce_config_selectorIN6thrust23THRUST_200600_302600_NS5tupleIblNS6_9null_typeES8_S8_S8_S8_S8_S8_S8_EEEEZNS1_11reduce_implILb1ES3_NS6_12zip_iteratorINS7_INS6_11hip_rocprim26transform_input_iterator_tIbPfNS6_6detail10functional5actorINSH_9compositeIJNSH_27transparent_binary_operatorINS6_8equal_toIvEEEENSI_INSH_8argumentILj0EEEEENSH_5valueIfEEEEEEEEENSD_19counting_iterator_tIlEES8_S8_S8_S8_S8_S8_S8_S8_EEEEPS9_S9_NSD_9__find_if7functorIS9_EEEE10hipError_tPvRmT1_T2_T3_mT4_P12ihipStream_tbEUlT_E0_NS1_11comp_targetILNS1_3genE0ELNS1_11target_archE4294967295ELNS1_3gpuE0ELNS1_3repE0EEENS1_30default_config_static_selectorELNS0_4arch9wavefront6targetE1EEEvS17_.uses_flat_scratch, 0
	.set _ZN7rocprim17ROCPRIM_400000_NS6detail17trampoline_kernelINS0_14default_configENS1_22reduce_config_selectorIN6thrust23THRUST_200600_302600_NS5tupleIblNS6_9null_typeES8_S8_S8_S8_S8_S8_S8_EEEEZNS1_11reduce_implILb1ES3_NS6_12zip_iteratorINS7_INS6_11hip_rocprim26transform_input_iterator_tIbPfNS6_6detail10functional5actorINSH_9compositeIJNSH_27transparent_binary_operatorINS6_8equal_toIvEEEENSI_INSH_8argumentILj0EEEEENSH_5valueIfEEEEEEEEENSD_19counting_iterator_tIlEES8_S8_S8_S8_S8_S8_S8_S8_EEEEPS9_S9_NSD_9__find_if7functorIS9_EEEE10hipError_tPvRmT1_T2_T3_mT4_P12ihipStream_tbEUlT_E0_NS1_11comp_targetILNS1_3genE0ELNS1_11target_archE4294967295ELNS1_3gpuE0ELNS1_3repE0EEENS1_30default_config_static_selectorELNS0_4arch9wavefront6targetE1EEEvS17_.has_dyn_sized_stack, 0
	.set _ZN7rocprim17ROCPRIM_400000_NS6detail17trampoline_kernelINS0_14default_configENS1_22reduce_config_selectorIN6thrust23THRUST_200600_302600_NS5tupleIblNS6_9null_typeES8_S8_S8_S8_S8_S8_S8_EEEEZNS1_11reduce_implILb1ES3_NS6_12zip_iteratorINS7_INS6_11hip_rocprim26transform_input_iterator_tIbPfNS6_6detail10functional5actorINSH_9compositeIJNSH_27transparent_binary_operatorINS6_8equal_toIvEEEENSI_INSH_8argumentILj0EEEEENSH_5valueIfEEEEEEEEENSD_19counting_iterator_tIlEES8_S8_S8_S8_S8_S8_S8_S8_EEEEPS9_S9_NSD_9__find_if7functorIS9_EEEE10hipError_tPvRmT1_T2_T3_mT4_P12ihipStream_tbEUlT_E0_NS1_11comp_targetILNS1_3genE0ELNS1_11target_archE4294967295ELNS1_3gpuE0ELNS1_3repE0EEENS1_30default_config_static_selectorELNS0_4arch9wavefront6targetE1EEEvS17_.has_recursion, 0
	.set _ZN7rocprim17ROCPRIM_400000_NS6detail17trampoline_kernelINS0_14default_configENS1_22reduce_config_selectorIN6thrust23THRUST_200600_302600_NS5tupleIblNS6_9null_typeES8_S8_S8_S8_S8_S8_S8_EEEEZNS1_11reduce_implILb1ES3_NS6_12zip_iteratorINS7_INS6_11hip_rocprim26transform_input_iterator_tIbPfNS6_6detail10functional5actorINSH_9compositeIJNSH_27transparent_binary_operatorINS6_8equal_toIvEEEENSI_INSH_8argumentILj0EEEEENSH_5valueIfEEEEEEEEENSD_19counting_iterator_tIlEES8_S8_S8_S8_S8_S8_S8_S8_EEEEPS9_S9_NSD_9__find_if7functorIS9_EEEE10hipError_tPvRmT1_T2_T3_mT4_P12ihipStream_tbEUlT_E0_NS1_11comp_targetILNS1_3genE0ELNS1_11target_archE4294967295ELNS1_3gpuE0ELNS1_3repE0EEENS1_30default_config_static_selectorELNS0_4arch9wavefront6targetE1EEEvS17_.has_indirect_call, 0
	.section	.AMDGPU.csdata,"",@progbits
; Kernel info:
; codeLenInByte = 0
; TotalNumSgprs: 4
; NumVgprs: 0
; ScratchSize: 0
; MemoryBound: 0
; FloatMode: 240
; IeeeMode: 1
; LDSByteSize: 0 bytes/workgroup (compile time only)
; SGPRBlocks: 0
; VGPRBlocks: 0
; NumSGPRsForWavesPerEU: 4
; NumVGPRsForWavesPerEU: 1
; Occupancy: 10
; WaveLimiterHint : 0
; COMPUTE_PGM_RSRC2:SCRATCH_EN: 0
; COMPUTE_PGM_RSRC2:USER_SGPR: 6
; COMPUTE_PGM_RSRC2:TRAP_HANDLER: 0
; COMPUTE_PGM_RSRC2:TGID_X_EN: 1
; COMPUTE_PGM_RSRC2:TGID_Y_EN: 0
; COMPUTE_PGM_RSRC2:TGID_Z_EN: 0
; COMPUTE_PGM_RSRC2:TIDIG_COMP_CNT: 0
	.section	.text._ZN7rocprim17ROCPRIM_400000_NS6detail17trampoline_kernelINS0_14default_configENS1_22reduce_config_selectorIN6thrust23THRUST_200600_302600_NS5tupleIblNS6_9null_typeES8_S8_S8_S8_S8_S8_S8_EEEEZNS1_11reduce_implILb1ES3_NS6_12zip_iteratorINS7_INS6_11hip_rocprim26transform_input_iterator_tIbPfNS6_6detail10functional5actorINSH_9compositeIJNSH_27transparent_binary_operatorINS6_8equal_toIvEEEENSI_INSH_8argumentILj0EEEEENSH_5valueIfEEEEEEEEENSD_19counting_iterator_tIlEES8_S8_S8_S8_S8_S8_S8_S8_EEEEPS9_S9_NSD_9__find_if7functorIS9_EEEE10hipError_tPvRmT1_T2_T3_mT4_P12ihipStream_tbEUlT_E0_NS1_11comp_targetILNS1_3genE5ELNS1_11target_archE942ELNS1_3gpuE9ELNS1_3repE0EEENS1_30default_config_static_selectorELNS0_4arch9wavefront6targetE1EEEvS17_,"axG",@progbits,_ZN7rocprim17ROCPRIM_400000_NS6detail17trampoline_kernelINS0_14default_configENS1_22reduce_config_selectorIN6thrust23THRUST_200600_302600_NS5tupleIblNS6_9null_typeES8_S8_S8_S8_S8_S8_S8_EEEEZNS1_11reduce_implILb1ES3_NS6_12zip_iteratorINS7_INS6_11hip_rocprim26transform_input_iterator_tIbPfNS6_6detail10functional5actorINSH_9compositeIJNSH_27transparent_binary_operatorINS6_8equal_toIvEEEENSI_INSH_8argumentILj0EEEEENSH_5valueIfEEEEEEEEENSD_19counting_iterator_tIlEES8_S8_S8_S8_S8_S8_S8_S8_EEEEPS9_S9_NSD_9__find_if7functorIS9_EEEE10hipError_tPvRmT1_T2_T3_mT4_P12ihipStream_tbEUlT_E0_NS1_11comp_targetILNS1_3genE5ELNS1_11target_archE942ELNS1_3gpuE9ELNS1_3repE0EEENS1_30default_config_static_selectorELNS0_4arch9wavefront6targetE1EEEvS17_,comdat
	.protected	_ZN7rocprim17ROCPRIM_400000_NS6detail17trampoline_kernelINS0_14default_configENS1_22reduce_config_selectorIN6thrust23THRUST_200600_302600_NS5tupleIblNS6_9null_typeES8_S8_S8_S8_S8_S8_S8_EEEEZNS1_11reduce_implILb1ES3_NS6_12zip_iteratorINS7_INS6_11hip_rocprim26transform_input_iterator_tIbPfNS6_6detail10functional5actorINSH_9compositeIJNSH_27transparent_binary_operatorINS6_8equal_toIvEEEENSI_INSH_8argumentILj0EEEEENSH_5valueIfEEEEEEEEENSD_19counting_iterator_tIlEES8_S8_S8_S8_S8_S8_S8_S8_EEEEPS9_S9_NSD_9__find_if7functorIS9_EEEE10hipError_tPvRmT1_T2_T3_mT4_P12ihipStream_tbEUlT_E0_NS1_11comp_targetILNS1_3genE5ELNS1_11target_archE942ELNS1_3gpuE9ELNS1_3repE0EEENS1_30default_config_static_selectorELNS0_4arch9wavefront6targetE1EEEvS17_ ; -- Begin function _ZN7rocprim17ROCPRIM_400000_NS6detail17trampoline_kernelINS0_14default_configENS1_22reduce_config_selectorIN6thrust23THRUST_200600_302600_NS5tupleIblNS6_9null_typeES8_S8_S8_S8_S8_S8_S8_EEEEZNS1_11reduce_implILb1ES3_NS6_12zip_iteratorINS7_INS6_11hip_rocprim26transform_input_iterator_tIbPfNS6_6detail10functional5actorINSH_9compositeIJNSH_27transparent_binary_operatorINS6_8equal_toIvEEEENSI_INSH_8argumentILj0EEEEENSH_5valueIfEEEEEEEEENSD_19counting_iterator_tIlEES8_S8_S8_S8_S8_S8_S8_S8_EEEEPS9_S9_NSD_9__find_if7functorIS9_EEEE10hipError_tPvRmT1_T2_T3_mT4_P12ihipStream_tbEUlT_E0_NS1_11comp_targetILNS1_3genE5ELNS1_11target_archE942ELNS1_3gpuE9ELNS1_3repE0EEENS1_30default_config_static_selectorELNS0_4arch9wavefront6targetE1EEEvS17_
	.globl	_ZN7rocprim17ROCPRIM_400000_NS6detail17trampoline_kernelINS0_14default_configENS1_22reduce_config_selectorIN6thrust23THRUST_200600_302600_NS5tupleIblNS6_9null_typeES8_S8_S8_S8_S8_S8_S8_EEEEZNS1_11reduce_implILb1ES3_NS6_12zip_iteratorINS7_INS6_11hip_rocprim26transform_input_iterator_tIbPfNS6_6detail10functional5actorINSH_9compositeIJNSH_27transparent_binary_operatorINS6_8equal_toIvEEEENSI_INSH_8argumentILj0EEEEENSH_5valueIfEEEEEEEEENSD_19counting_iterator_tIlEES8_S8_S8_S8_S8_S8_S8_S8_EEEEPS9_S9_NSD_9__find_if7functorIS9_EEEE10hipError_tPvRmT1_T2_T3_mT4_P12ihipStream_tbEUlT_E0_NS1_11comp_targetILNS1_3genE5ELNS1_11target_archE942ELNS1_3gpuE9ELNS1_3repE0EEENS1_30default_config_static_selectorELNS0_4arch9wavefront6targetE1EEEvS17_
	.p2align	8
	.type	_ZN7rocprim17ROCPRIM_400000_NS6detail17trampoline_kernelINS0_14default_configENS1_22reduce_config_selectorIN6thrust23THRUST_200600_302600_NS5tupleIblNS6_9null_typeES8_S8_S8_S8_S8_S8_S8_EEEEZNS1_11reduce_implILb1ES3_NS6_12zip_iteratorINS7_INS6_11hip_rocprim26transform_input_iterator_tIbPfNS6_6detail10functional5actorINSH_9compositeIJNSH_27transparent_binary_operatorINS6_8equal_toIvEEEENSI_INSH_8argumentILj0EEEEENSH_5valueIfEEEEEEEEENSD_19counting_iterator_tIlEES8_S8_S8_S8_S8_S8_S8_S8_EEEEPS9_S9_NSD_9__find_if7functorIS9_EEEE10hipError_tPvRmT1_T2_T3_mT4_P12ihipStream_tbEUlT_E0_NS1_11comp_targetILNS1_3genE5ELNS1_11target_archE942ELNS1_3gpuE9ELNS1_3repE0EEENS1_30default_config_static_selectorELNS0_4arch9wavefront6targetE1EEEvS17_,@function
_ZN7rocprim17ROCPRIM_400000_NS6detail17trampoline_kernelINS0_14default_configENS1_22reduce_config_selectorIN6thrust23THRUST_200600_302600_NS5tupleIblNS6_9null_typeES8_S8_S8_S8_S8_S8_S8_EEEEZNS1_11reduce_implILb1ES3_NS6_12zip_iteratorINS7_INS6_11hip_rocprim26transform_input_iterator_tIbPfNS6_6detail10functional5actorINSH_9compositeIJNSH_27transparent_binary_operatorINS6_8equal_toIvEEEENSI_INSH_8argumentILj0EEEEENSH_5valueIfEEEEEEEEENSD_19counting_iterator_tIlEES8_S8_S8_S8_S8_S8_S8_S8_EEEEPS9_S9_NSD_9__find_if7functorIS9_EEEE10hipError_tPvRmT1_T2_T3_mT4_P12ihipStream_tbEUlT_E0_NS1_11comp_targetILNS1_3genE5ELNS1_11target_archE942ELNS1_3gpuE9ELNS1_3repE0EEENS1_30default_config_static_selectorELNS0_4arch9wavefront6targetE1EEEvS17_: ; @_ZN7rocprim17ROCPRIM_400000_NS6detail17trampoline_kernelINS0_14default_configENS1_22reduce_config_selectorIN6thrust23THRUST_200600_302600_NS5tupleIblNS6_9null_typeES8_S8_S8_S8_S8_S8_S8_EEEEZNS1_11reduce_implILb1ES3_NS6_12zip_iteratorINS7_INS6_11hip_rocprim26transform_input_iterator_tIbPfNS6_6detail10functional5actorINSH_9compositeIJNSH_27transparent_binary_operatorINS6_8equal_toIvEEEENSI_INSH_8argumentILj0EEEEENSH_5valueIfEEEEEEEEENSD_19counting_iterator_tIlEES8_S8_S8_S8_S8_S8_S8_S8_EEEEPS9_S9_NSD_9__find_if7functorIS9_EEEE10hipError_tPvRmT1_T2_T3_mT4_P12ihipStream_tbEUlT_E0_NS1_11comp_targetILNS1_3genE5ELNS1_11target_archE942ELNS1_3gpuE9ELNS1_3repE0EEENS1_30default_config_static_selectorELNS0_4arch9wavefront6targetE1EEEvS17_
; %bb.0:
	.section	.rodata,"a",@progbits
	.p2align	6, 0x0
	.amdhsa_kernel _ZN7rocprim17ROCPRIM_400000_NS6detail17trampoline_kernelINS0_14default_configENS1_22reduce_config_selectorIN6thrust23THRUST_200600_302600_NS5tupleIblNS6_9null_typeES8_S8_S8_S8_S8_S8_S8_EEEEZNS1_11reduce_implILb1ES3_NS6_12zip_iteratorINS7_INS6_11hip_rocprim26transform_input_iterator_tIbPfNS6_6detail10functional5actorINSH_9compositeIJNSH_27transparent_binary_operatorINS6_8equal_toIvEEEENSI_INSH_8argumentILj0EEEEENSH_5valueIfEEEEEEEEENSD_19counting_iterator_tIlEES8_S8_S8_S8_S8_S8_S8_S8_EEEEPS9_S9_NSD_9__find_if7functorIS9_EEEE10hipError_tPvRmT1_T2_T3_mT4_P12ihipStream_tbEUlT_E0_NS1_11comp_targetILNS1_3genE5ELNS1_11target_archE942ELNS1_3gpuE9ELNS1_3repE0EEENS1_30default_config_static_selectorELNS0_4arch9wavefront6targetE1EEEvS17_
		.amdhsa_group_segment_fixed_size 0
		.amdhsa_private_segment_fixed_size 0
		.amdhsa_kernarg_size 88
		.amdhsa_user_sgpr_count 6
		.amdhsa_user_sgpr_private_segment_buffer 1
		.amdhsa_user_sgpr_dispatch_ptr 0
		.amdhsa_user_sgpr_queue_ptr 0
		.amdhsa_user_sgpr_kernarg_segment_ptr 1
		.amdhsa_user_sgpr_dispatch_id 0
		.amdhsa_user_sgpr_flat_scratch_init 0
		.amdhsa_user_sgpr_private_segment_size 0
		.amdhsa_uses_dynamic_stack 0
		.amdhsa_system_sgpr_private_segment_wavefront_offset 0
		.amdhsa_system_sgpr_workgroup_id_x 1
		.amdhsa_system_sgpr_workgroup_id_y 0
		.amdhsa_system_sgpr_workgroup_id_z 0
		.amdhsa_system_sgpr_workgroup_info 0
		.amdhsa_system_vgpr_workitem_id 0
		.amdhsa_next_free_vgpr 1
		.amdhsa_next_free_sgpr 0
		.amdhsa_reserve_vcc 0
		.amdhsa_reserve_flat_scratch 0
		.amdhsa_float_round_mode_32 0
		.amdhsa_float_round_mode_16_64 0
		.amdhsa_float_denorm_mode_32 3
		.amdhsa_float_denorm_mode_16_64 3
		.amdhsa_dx10_clamp 1
		.amdhsa_ieee_mode 1
		.amdhsa_fp16_overflow 0
		.amdhsa_exception_fp_ieee_invalid_op 0
		.amdhsa_exception_fp_denorm_src 0
		.amdhsa_exception_fp_ieee_div_zero 0
		.amdhsa_exception_fp_ieee_overflow 0
		.amdhsa_exception_fp_ieee_underflow 0
		.amdhsa_exception_fp_ieee_inexact 0
		.amdhsa_exception_int_div_zero 0
	.end_amdhsa_kernel
	.section	.text._ZN7rocprim17ROCPRIM_400000_NS6detail17trampoline_kernelINS0_14default_configENS1_22reduce_config_selectorIN6thrust23THRUST_200600_302600_NS5tupleIblNS6_9null_typeES8_S8_S8_S8_S8_S8_S8_EEEEZNS1_11reduce_implILb1ES3_NS6_12zip_iteratorINS7_INS6_11hip_rocprim26transform_input_iterator_tIbPfNS6_6detail10functional5actorINSH_9compositeIJNSH_27transparent_binary_operatorINS6_8equal_toIvEEEENSI_INSH_8argumentILj0EEEEENSH_5valueIfEEEEEEEEENSD_19counting_iterator_tIlEES8_S8_S8_S8_S8_S8_S8_S8_EEEEPS9_S9_NSD_9__find_if7functorIS9_EEEE10hipError_tPvRmT1_T2_T3_mT4_P12ihipStream_tbEUlT_E0_NS1_11comp_targetILNS1_3genE5ELNS1_11target_archE942ELNS1_3gpuE9ELNS1_3repE0EEENS1_30default_config_static_selectorELNS0_4arch9wavefront6targetE1EEEvS17_,"axG",@progbits,_ZN7rocprim17ROCPRIM_400000_NS6detail17trampoline_kernelINS0_14default_configENS1_22reduce_config_selectorIN6thrust23THRUST_200600_302600_NS5tupleIblNS6_9null_typeES8_S8_S8_S8_S8_S8_S8_EEEEZNS1_11reduce_implILb1ES3_NS6_12zip_iteratorINS7_INS6_11hip_rocprim26transform_input_iterator_tIbPfNS6_6detail10functional5actorINSH_9compositeIJNSH_27transparent_binary_operatorINS6_8equal_toIvEEEENSI_INSH_8argumentILj0EEEEENSH_5valueIfEEEEEEEEENSD_19counting_iterator_tIlEES8_S8_S8_S8_S8_S8_S8_S8_EEEEPS9_S9_NSD_9__find_if7functorIS9_EEEE10hipError_tPvRmT1_T2_T3_mT4_P12ihipStream_tbEUlT_E0_NS1_11comp_targetILNS1_3genE5ELNS1_11target_archE942ELNS1_3gpuE9ELNS1_3repE0EEENS1_30default_config_static_selectorELNS0_4arch9wavefront6targetE1EEEvS17_,comdat
.Lfunc_end1943:
	.size	_ZN7rocprim17ROCPRIM_400000_NS6detail17trampoline_kernelINS0_14default_configENS1_22reduce_config_selectorIN6thrust23THRUST_200600_302600_NS5tupleIblNS6_9null_typeES8_S8_S8_S8_S8_S8_S8_EEEEZNS1_11reduce_implILb1ES3_NS6_12zip_iteratorINS7_INS6_11hip_rocprim26transform_input_iterator_tIbPfNS6_6detail10functional5actorINSH_9compositeIJNSH_27transparent_binary_operatorINS6_8equal_toIvEEEENSI_INSH_8argumentILj0EEEEENSH_5valueIfEEEEEEEEENSD_19counting_iterator_tIlEES8_S8_S8_S8_S8_S8_S8_S8_EEEEPS9_S9_NSD_9__find_if7functorIS9_EEEE10hipError_tPvRmT1_T2_T3_mT4_P12ihipStream_tbEUlT_E0_NS1_11comp_targetILNS1_3genE5ELNS1_11target_archE942ELNS1_3gpuE9ELNS1_3repE0EEENS1_30default_config_static_selectorELNS0_4arch9wavefront6targetE1EEEvS17_, .Lfunc_end1943-_ZN7rocprim17ROCPRIM_400000_NS6detail17trampoline_kernelINS0_14default_configENS1_22reduce_config_selectorIN6thrust23THRUST_200600_302600_NS5tupleIblNS6_9null_typeES8_S8_S8_S8_S8_S8_S8_EEEEZNS1_11reduce_implILb1ES3_NS6_12zip_iteratorINS7_INS6_11hip_rocprim26transform_input_iterator_tIbPfNS6_6detail10functional5actorINSH_9compositeIJNSH_27transparent_binary_operatorINS6_8equal_toIvEEEENSI_INSH_8argumentILj0EEEEENSH_5valueIfEEEEEEEEENSD_19counting_iterator_tIlEES8_S8_S8_S8_S8_S8_S8_S8_EEEEPS9_S9_NSD_9__find_if7functorIS9_EEEE10hipError_tPvRmT1_T2_T3_mT4_P12ihipStream_tbEUlT_E0_NS1_11comp_targetILNS1_3genE5ELNS1_11target_archE942ELNS1_3gpuE9ELNS1_3repE0EEENS1_30default_config_static_selectorELNS0_4arch9wavefront6targetE1EEEvS17_
                                        ; -- End function
	.set _ZN7rocprim17ROCPRIM_400000_NS6detail17trampoline_kernelINS0_14default_configENS1_22reduce_config_selectorIN6thrust23THRUST_200600_302600_NS5tupleIblNS6_9null_typeES8_S8_S8_S8_S8_S8_S8_EEEEZNS1_11reduce_implILb1ES3_NS6_12zip_iteratorINS7_INS6_11hip_rocprim26transform_input_iterator_tIbPfNS6_6detail10functional5actorINSH_9compositeIJNSH_27transparent_binary_operatorINS6_8equal_toIvEEEENSI_INSH_8argumentILj0EEEEENSH_5valueIfEEEEEEEEENSD_19counting_iterator_tIlEES8_S8_S8_S8_S8_S8_S8_S8_EEEEPS9_S9_NSD_9__find_if7functorIS9_EEEE10hipError_tPvRmT1_T2_T3_mT4_P12ihipStream_tbEUlT_E0_NS1_11comp_targetILNS1_3genE5ELNS1_11target_archE942ELNS1_3gpuE9ELNS1_3repE0EEENS1_30default_config_static_selectorELNS0_4arch9wavefront6targetE1EEEvS17_.num_vgpr, 0
	.set _ZN7rocprim17ROCPRIM_400000_NS6detail17trampoline_kernelINS0_14default_configENS1_22reduce_config_selectorIN6thrust23THRUST_200600_302600_NS5tupleIblNS6_9null_typeES8_S8_S8_S8_S8_S8_S8_EEEEZNS1_11reduce_implILb1ES3_NS6_12zip_iteratorINS7_INS6_11hip_rocprim26transform_input_iterator_tIbPfNS6_6detail10functional5actorINSH_9compositeIJNSH_27transparent_binary_operatorINS6_8equal_toIvEEEENSI_INSH_8argumentILj0EEEEENSH_5valueIfEEEEEEEEENSD_19counting_iterator_tIlEES8_S8_S8_S8_S8_S8_S8_S8_EEEEPS9_S9_NSD_9__find_if7functorIS9_EEEE10hipError_tPvRmT1_T2_T3_mT4_P12ihipStream_tbEUlT_E0_NS1_11comp_targetILNS1_3genE5ELNS1_11target_archE942ELNS1_3gpuE9ELNS1_3repE0EEENS1_30default_config_static_selectorELNS0_4arch9wavefront6targetE1EEEvS17_.num_agpr, 0
	.set _ZN7rocprim17ROCPRIM_400000_NS6detail17trampoline_kernelINS0_14default_configENS1_22reduce_config_selectorIN6thrust23THRUST_200600_302600_NS5tupleIblNS6_9null_typeES8_S8_S8_S8_S8_S8_S8_EEEEZNS1_11reduce_implILb1ES3_NS6_12zip_iteratorINS7_INS6_11hip_rocprim26transform_input_iterator_tIbPfNS6_6detail10functional5actorINSH_9compositeIJNSH_27transparent_binary_operatorINS6_8equal_toIvEEEENSI_INSH_8argumentILj0EEEEENSH_5valueIfEEEEEEEEENSD_19counting_iterator_tIlEES8_S8_S8_S8_S8_S8_S8_S8_EEEEPS9_S9_NSD_9__find_if7functorIS9_EEEE10hipError_tPvRmT1_T2_T3_mT4_P12ihipStream_tbEUlT_E0_NS1_11comp_targetILNS1_3genE5ELNS1_11target_archE942ELNS1_3gpuE9ELNS1_3repE0EEENS1_30default_config_static_selectorELNS0_4arch9wavefront6targetE1EEEvS17_.numbered_sgpr, 0
	.set _ZN7rocprim17ROCPRIM_400000_NS6detail17trampoline_kernelINS0_14default_configENS1_22reduce_config_selectorIN6thrust23THRUST_200600_302600_NS5tupleIblNS6_9null_typeES8_S8_S8_S8_S8_S8_S8_EEEEZNS1_11reduce_implILb1ES3_NS6_12zip_iteratorINS7_INS6_11hip_rocprim26transform_input_iterator_tIbPfNS6_6detail10functional5actorINSH_9compositeIJNSH_27transparent_binary_operatorINS6_8equal_toIvEEEENSI_INSH_8argumentILj0EEEEENSH_5valueIfEEEEEEEEENSD_19counting_iterator_tIlEES8_S8_S8_S8_S8_S8_S8_S8_EEEEPS9_S9_NSD_9__find_if7functorIS9_EEEE10hipError_tPvRmT1_T2_T3_mT4_P12ihipStream_tbEUlT_E0_NS1_11comp_targetILNS1_3genE5ELNS1_11target_archE942ELNS1_3gpuE9ELNS1_3repE0EEENS1_30default_config_static_selectorELNS0_4arch9wavefront6targetE1EEEvS17_.num_named_barrier, 0
	.set _ZN7rocprim17ROCPRIM_400000_NS6detail17trampoline_kernelINS0_14default_configENS1_22reduce_config_selectorIN6thrust23THRUST_200600_302600_NS5tupleIblNS6_9null_typeES8_S8_S8_S8_S8_S8_S8_EEEEZNS1_11reduce_implILb1ES3_NS6_12zip_iteratorINS7_INS6_11hip_rocprim26transform_input_iterator_tIbPfNS6_6detail10functional5actorINSH_9compositeIJNSH_27transparent_binary_operatorINS6_8equal_toIvEEEENSI_INSH_8argumentILj0EEEEENSH_5valueIfEEEEEEEEENSD_19counting_iterator_tIlEES8_S8_S8_S8_S8_S8_S8_S8_EEEEPS9_S9_NSD_9__find_if7functorIS9_EEEE10hipError_tPvRmT1_T2_T3_mT4_P12ihipStream_tbEUlT_E0_NS1_11comp_targetILNS1_3genE5ELNS1_11target_archE942ELNS1_3gpuE9ELNS1_3repE0EEENS1_30default_config_static_selectorELNS0_4arch9wavefront6targetE1EEEvS17_.private_seg_size, 0
	.set _ZN7rocprim17ROCPRIM_400000_NS6detail17trampoline_kernelINS0_14default_configENS1_22reduce_config_selectorIN6thrust23THRUST_200600_302600_NS5tupleIblNS6_9null_typeES8_S8_S8_S8_S8_S8_S8_EEEEZNS1_11reduce_implILb1ES3_NS6_12zip_iteratorINS7_INS6_11hip_rocprim26transform_input_iterator_tIbPfNS6_6detail10functional5actorINSH_9compositeIJNSH_27transparent_binary_operatorINS6_8equal_toIvEEEENSI_INSH_8argumentILj0EEEEENSH_5valueIfEEEEEEEEENSD_19counting_iterator_tIlEES8_S8_S8_S8_S8_S8_S8_S8_EEEEPS9_S9_NSD_9__find_if7functorIS9_EEEE10hipError_tPvRmT1_T2_T3_mT4_P12ihipStream_tbEUlT_E0_NS1_11comp_targetILNS1_3genE5ELNS1_11target_archE942ELNS1_3gpuE9ELNS1_3repE0EEENS1_30default_config_static_selectorELNS0_4arch9wavefront6targetE1EEEvS17_.uses_vcc, 0
	.set _ZN7rocprim17ROCPRIM_400000_NS6detail17trampoline_kernelINS0_14default_configENS1_22reduce_config_selectorIN6thrust23THRUST_200600_302600_NS5tupleIblNS6_9null_typeES8_S8_S8_S8_S8_S8_S8_EEEEZNS1_11reduce_implILb1ES3_NS6_12zip_iteratorINS7_INS6_11hip_rocprim26transform_input_iterator_tIbPfNS6_6detail10functional5actorINSH_9compositeIJNSH_27transparent_binary_operatorINS6_8equal_toIvEEEENSI_INSH_8argumentILj0EEEEENSH_5valueIfEEEEEEEEENSD_19counting_iterator_tIlEES8_S8_S8_S8_S8_S8_S8_S8_EEEEPS9_S9_NSD_9__find_if7functorIS9_EEEE10hipError_tPvRmT1_T2_T3_mT4_P12ihipStream_tbEUlT_E0_NS1_11comp_targetILNS1_3genE5ELNS1_11target_archE942ELNS1_3gpuE9ELNS1_3repE0EEENS1_30default_config_static_selectorELNS0_4arch9wavefront6targetE1EEEvS17_.uses_flat_scratch, 0
	.set _ZN7rocprim17ROCPRIM_400000_NS6detail17trampoline_kernelINS0_14default_configENS1_22reduce_config_selectorIN6thrust23THRUST_200600_302600_NS5tupleIblNS6_9null_typeES8_S8_S8_S8_S8_S8_S8_EEEEZNS1_11reduce_implILb1ES3_NS6_12zip_iteratorINS7_INS6_11hip_rocprim26transform_input_iterator_tIbPfNS6_6detail10functional5actorINSH_9compositeIJNSH_27transparent_binary_operatorINS6_8equal_toIvEEEENSI_INSH_8argumentILj0EEEEENSH_5valueIfEEEEEEEEENSD_19counting_iterator_tIlEES8_S8_S8_S8_S8_S8_S8_S8_EEEEPS9_S9_NSD_9__find_if7functorIS9_EEEE10hipError_tPvRmT1_T2_T3_mT4_P12ihipStream_tbEUlT_E0_NS1_11comp_targetILNS1_3genE5ELNS1_11target_archE942ELNS1_3gpuE9ELNS1_3repE0EEENS1_30default_config_static_selectorELNS0_4arch9wavefront6targetE1EEEvS17_.has_dyn_sized_stack, 0
	.set _ZN7rocprim17ROCPRIM_400000_NS6detail17trampoline_kernelINS0_14default_configENS1_22reduce_config_selectorIN6thrust23THRUST_200600_302600_NS5tupleIblNS6_9null_typeES8_S8_S8_S8_S8_S8_S8_EEEEZNS1_11reduce_implILb1ES3_NS6_12zip_iteratorINS7_INS6_11hip_rocprim26transform_input_iterator_tIbPfNS6_6detail10functional5actorINSH_9compositeIJNSH_27transparent_binary_operatorINS6_8equal_toIvEEEENSI_INSH_8argumentILj0EEEEENSH_5valueIfEEEEEEEEENSD_19counting_iterator_tIlEES8_S8_S8_S8_S8_S8_S8_S8_EEEEPS9_S9_NSD_9__find_if7functorIS9_EEEE10hipError_tPvRmT1_T2_T3_mT4_P12ihipStream_tbEUlT_E0_NS1_11comp_targetILNS1_3genE5ELNS1_11target_archE942ELNS1_3gpuE9ELNS1_3repE0EEENS1_30default_config_static_selectorELNS0_4arch9wavefront6targetE1EEEvS17_.has_recursion, 0
	.set _ZN7rocprim17ROCPRIM_400000_NS6detail17trampoline_kernelINS0_14default_configENS1_22reduce_config_selectorIN6thrust23THRUST_200600_302600_NS5tupleIblNS6_9null_typeES8_S8_S8_S8_S8_S8_S8_EEEEZNS1_11reduce_implILb1ES3_NS6_12zip_iteratorINS7_INS6_11hip_rocprim26transform_input_iterator_tIbPfNS6_6detail10functional5actorINSH_9compositeIJNSH_27transparent_binary_operatorINS6_8equal_toIvEEEENSI_INSH_8argumentILj0EEEEENSH_5valueIfEEEEEEEEENSD_19counting_iterator_tIlEES8_S8_S8_S8_S8_S8_S8_S8_EEEEPS9_S9_NSD_9__find_if7functorIS9_EEEE10hipError_tPvRmT1_T2_T3_mT4_P12ihipStream_tbEUlT_E0_NS1_11comp_targetILNS1_3genE5ELNS1_11target_archE942ELNS1_3gpuE9ELNS1_3repE0EEENS1_30default_config_static_selectorELNS0_4arch9wavefront6targetE1EEEvS17_.has_indirect_call, 0
	.section	.AMDGPU.csdata,"",@progbits
; Kernel info:
; codeLenInByte = 0
; TotalNumSgprs: 4
; NumVgprs: 0
; ScratchSize: 0
; MemoryBound: 0
; FloatMode: 240
; IeeeMode: 1
; LDSByteSize: 0 bytes/workgroup (compile time only)
; SGPRBlocks: 0
; VGPRBlocks: 0
; NumSGPRsForWavesPerEU: 4
; NumVGPRsForWavesPerEU: 1
; Occupancy: 10
; WaveLimiterHint : 0
; COMPUTE_PGM_RSRC2:SCRATCH_EN: 0
; COMPUTE_PGM_RSRC2:USER_SGPR: 6
; COMPUTE_PGM_RSRC2:TRAP_HANDLER: 0
; COMPUTE_PGM_RSRC2:TGID_X_EN: 1
; COMPUTE_PGM_RSRC2:TGID_Y_EN: 0
; COMPUTE_PGM_RSRC2:TGID_Z_EN: 0
; COMPUTE_PGM_RSRC2:TIDIG_COMP_CNT: 0
	.section	.text._ZN7rocprim17ROCPRIM_400000_NS6detail17trampoline_kernelINS0_14default_configENS1_22reduce_config_selectorIN6thrust23THRUST_200600_302600_NS5tupleIblNS6_9null_typeES8_S8_S8_S8_S8_S8_S8_EEEEZNS1_11reduce_implILb1ES3_NS6_12zip_iteratorINS7_INS6_11hip_rocprim26transform_input_iterator_tIbPfNS6_6detail10functional5actorINSH_9compositeIJNSH_27transparent_binary_operatorINS6_8equal_toIvEEEENSI_INSH_8argumentILj0EEEEENSH_5valueIfEEEEEEEEENSD_19counting_iterator_tIlEES8_S8_S8_S8_S8_S8_S8_S8_EEEEPS9_S9_NSD_9__find_if7functorIS9_EEEE10hipError_tPvRmT1_T2_T3_mT4_P12ihipStream_tbEUlT_E0_NS1_11comp_targetILNS1_3genE4ELNS1_11target_archE910ELNS1_3gpuE8ELNS1_3repE0EEENS1_30default_config_static_selectorELNS0_4arch9wavefront6targetE1EEEvS17_,"axG",@progbits,_ZN7rocprim17ROCPRIM_400000_NS6detail17trampoline_kernelINS0_14default_configENS1_22reduce_config_selectorIN6thrust23THRUST_200600_302600_NS5tupleIblNS6_9null_typeES8_S8_S8_S8_S8_S8_S8_EEEEZNS1_11reduce_implILb1ES3_NS6_12zip_iteratorINS7_INS6_11hip_rocprim26transform_input_iterator_tIbPfNS6_6detail10functional5actorINSH_9compositeIJNSH_27transparent_binary_operatorINS6_8equal_toIvEEEENSI_INSH_8argumentILj0EEEEENSH_5valueIfEEEEEEEEENSD_19counting_iterator_tIlEES8_S8_S8_S8_S8_S8_S8_S8_EEEEPS9_S9_NSD_9__find_if7functorIS9_EEEE10hipError_tPvRmT1_T2_T3_mT4_P12ihipStream_tbEUlT_E0_NS1_11comp_targetILNS1_3genE4ELNS1_11target_archE910ELNS1_3gpuE8ELNS1_3repE0EEENS1_30default_config_static_selectorELNS0_4arch9wavefront6targetE1EEEvS17_,comdat
	.protected	_ZN7rocprim17ROCPRIM_400000_NS6detail17trampoline_kernelINS0_14default_configENS1_22reduce_config_selectorIN6thrust23THRUST_200600_302600_NS5tupleIblNS6_9null_typeES8_S8_S8_S8_S8_S8_S8_EEEEZNS1_11reduce_implILb1ES3_NS6_12zip_iteratorINS7_INS6_11hip_rocprim26transform_input_iterator_tIbPfNS6_6detail10functional5actorINSH_9compositeIJNSH_27transparent_binary_operatorINS6_8equal_toIvEEEENSI_INSH_8argumentILj0EEEEENSH_5valueIfEEEEEEEEENSD_19counting_iterator_tIlEES8_S8_S8_S8_S8_S8_S8_S8_EEEEPS9_S9_NSD_9__find_if7functorIS9_EEEE10hipError_tPvRmT1_T2_T3_mT4_P12ihipStream_tbEUlT_E0_NS1_11comp_targetILNS1_3genE4ELNS1_11target_archE910ELNS1_3gpuE8ELNS1_3repE0EEENS1_30default_config_static_selectorELNS0_4arch9wavefront6targetE1EEEvS17_ ; -- Begin function _ZN7rocprim17ROCPRIM_400000_NS6detail17trampoline_kernelINS0_14default_configENS1_22reduce_config_selectorIN6thrust23THRUST_200600_302600_NS5tupleIblNS6_9null_typeES8_S8_S8_S8_S8_S8_S8_EEEEZNS1_11reduce_implILb1ES3_NS6_12zip_iteratorINS7_INS6_11hip_rocprim26transform_input_iterator_tIbPfNS6_6detail10functional5actorINSH_9compositeIJNSH_27transparent_binary_operatorINS6_8equal_toIvEEEENSI_INSH_8argumentILj0EEEEENSH_5valueIfEEEEEEEEENSD_19counting_iterator_tIlEES8_S8_S8_S8_S8_S8_S8_S8_EEEEPS9_S9_NSD_9__find_if7functorIS9_EEEE10hipError_tPvRmT1_T2_T3_mT4_P12ihipStream_tbEUlT_E0_NS1_11comp_targetILNS1_3genE4ELNS1_11target_archE910ELNS1_3gpuE8ELNS1_3repE0EEENS1_30default_config_static_selectorELNS0_4arch9wavefront6targetE1EEEvS17_
	.globl	_ZN7rocprim17ROCPRIM_400000_NS6detail17trampoline_kernelINS0_14default_configENS1_22reduce_config_selectorIN6thrust23THRUST_200600_302600_NS5tupleIblNS6_9null_typeES8_S8_S8_S8_S8_S8_S8_EEEEZNS1_11reduce_implILb1ES3_NS6_12zip_iteratorINS7_INS6_11hip_rocprim26transform_input_iterator_tIbPfNS6_6detail10functional5actorINSH_9compositeIJNSH_27transparent_binary_operatorINS6_8equal_toIvEEEENSI_INSH_8argumentILj0EEEEENSH_5valueIfEEEEEEEEENSD_19counting_iterator_tIlEES8_S8_S8_S8_S8_S8_S8_S8_EEEEPS9_S9_NSD_9__find_if7functorIS9_EEEE10hipError_tPvRmT1_T2_T3_mT4_P12ihipStream_tbEUlT_E0_NS1_11comp_targetILNS1_3genE4ELNS1_11target_archE910ELNS1_3gpuE8ELNS1_3repE0EEENS1_30default_config_static_selectorELNS0_4arch9wavefront6targetE1EEEvS17_
	.p2align	8
	.type	_ZN7rocprim17ROCPRIM_400000_NS6detail17trampoline_kernelINS0_14default_configENS1_22reduce_config_selectorIN6thrust23THRUST_200600_302600_NS5tupleIblNS6_9null_typeES8_S8_S8_S8_S8_S8_S8_EEEEZNS1_11reduce_implILb1ES3_NS6_12zip_iteratorINS7_INS6_11hip_rocprim26transform_input_iterator_tIbPfNS6_6detail10functional5actorINSH_9compositeIJNSH_27transparent_binary_operatorINS6_8equal_toIvEEEENSI_INSH_8argumentILj0EEEEENSH_5valueIfEEEEEEEEENSD_19counting_iterator_tIlEES8_S8_S8_S8_S8_S8_S8_S8_EEEEPS9_S9_NSD_9__find_if7functorIS9_EEEE10hipError_tPvRmT1_T2_T3_mT4_P12ihipStream_tbEUlT_E0_NS1_11comp_targetILNS1_3genE4ELNS1_11target_archE910ELNS1_3gpuE8ELNS1_3repE0EEENS1_30default_config_static_selectorELNS0_4arch9wavefront6targetE1EEEvS17_,@function
_ZN7rocprim17ROCPRIM_400000_NS6detail17trampoline_kernelINS0_14default_configENS1_22reduce_config_selectorIN6thrust23THRUST_200600_302600_NS5tupleIblNS6_9null_typeES8_S8_S8_S8_S8_S8_S8_EEEEZNS1_11reduce_implILb1ES3_NS6_12zip_iteratorINS7_INS6_11hip_rocprim26transform_input_iterator_tIbPfNS6_6detail10functional5actorINSH_9compositeIJNSH_27transparent_binary_operatorINS6_8equal_toIvEEEENSI_INSH_8argumentILj0EEEEENSH_5valueIfEEEEEEEEENSD_19counting_iterator_tIlEES8_S8_S8_S8_S8_S8_S8_S8_EEEEPS9_S9_NSD_9__find_if7functorIS9_EEEE10hipError_tPvRmT1_T2_T3_mT4_P12ihipStream_tbEUlT_E0_NS1_11comp_targetILNS1_3genE4ELNS1_11target_archE910ELNS1_3gpuE8ELNS1_3repE0EEENS1_30default_config_static_selectorELNS0_4arch9wavefront6targetE1EEEvS17_: ; @_ZN7rocprim17ROCPRIM_400000_NS6detail17trampoline_kernelINS0_14default_configENS1_22reduce_config_selectorIN6thrust23THRUST_200600_302600_NS5tupleIblNS6_9null_typeES8_S8_S8_S8_S8_S8_S8_EEEEZNS1_11reduce_implILb1ES3_NS6_12zip_iteratorINS7_INS6_11hip_rocprim26transform_input_iterator_tIbPfNS6_6detail10functional5actorINSH_9compositeIJNSH_27transparent_binary_operatorINS6_8equal_toIvEEEENSI_INSH_8argumentILj0EEEEENSH_5valueIfEEEEEEEEENSD_19counting_iterator_tIlEES8_S8_S8_S8_S8_S8_S8_S8_EEEEPS9_S9_NSD_9__find_if7functorIS9_EEEE10hipError_tPvRmT1_T2_T3_mT4_P12ihipStream_tbEUlT_E0_NS1_11comp_targetILNS1_3genE4ELNS1_11target_archE910ELNS1_3gpuE8ELNS1_3repE0EEENS1_30default_config_static_selectorELNS0_4arch9wavefront6targetE1EEEvS17_
; %bb.0:
	.section	.rodata,"a",@progbits
	.p2align	6, 0x0
	.amdhsa_kernel _ZN7rocprim17ROCPRIM_400000_NS6detail17trampoline_kernelINS0_14default_configENS1_22reduce_config_selectorIN6thrust23THRUST_200600_302600_NS5tupleIblNS6_9null_typeES8_S8_S8_S8_S8_S8_S8_EEEEZNS1_11reduce_implILb1ES3_NS6_12zip_iteratorINS7_INS6_11hip_rocprim26transform_input_iterator_tIbPfNS6_6detail10functional5actorINSH_9compositeIJNSH_27transparent_binary_operatorINS6_8equal_toIvEEEENSI_INSH_8argumentILj0EEEEENSH_5valueIfEEEEEEEEENSD_19counting_iterator_tIlEES8_S8_S8_S8_S8_S8_S8_S8_EEEEPS9_S9_NSD_9__find_if7functorIS9_EEEE10hipError_tPvRmT1_T2_T3_mT4_P12ihipStream_tbEUlT_E0_NS1_11comp_targetILNS1_3genE4ELNS1_11target_archE910ELNS1_3gpuE8ELNS1_3repE0EEENS1_30default_config_static_selectorELNS0_4arch9wavefront6targetE1EEEvS17_
		.amdhsa_group_segment_fixed_size 0
		.amdhsa_private_segment_fixed_size 0
		.amdhsa_kernarg_size 88
		.amdhsa_user_sgpr_count 6
		.amdhsa_user_sgpr_private_segment_buffer 1
		.amdhsa_user_sgpr_dispatch_ptr 0
		.amdhsa_user_sgpr_queue_ptr 0
		.amdhsa_user_sgpr_kernarg_segment_ptr 1
		.amdhsa_user_sgpr_dispatch_id 0
		.amdhsa_user_sgpr_flat_scratch_init 0
		.amdhsa_user_sgpr_private_segment_size 0
		.amdhsa_uses_dynamic_stack 0
		.amdhsa_system_sgpr_private_segment_wavefront_offset 0
		.amdhsa_system_sgpr_workgroup_id_x 1
		.amdhsa_system_sgpr_workgroup_id_y 0
		.amdhsa_system_sgpr_workgroup_id_z 0
		.amdhsa_system_sgpr_workgroup_info 0
		.amdhsa_system_vgpr_workitem_id 0
		.amdhsa_next_free_vgpr 1
		.amdhsa_next_free_sgpr 0
		.amdhsa_reserve_vcc 0
		.amdhsa_reserve_flat_scratch 0
		.amdhsa_float_round_mode_32 0
		.amdhsa_float_round_mode_16_64 0
		.amdhsa_float_denorm_mode_32 3
		.amdhsa_float_denorm_mode_16_64 3
		.amdhsa_dx10_clamp 1
		.amdhsa_ieee_mode 1
		.amdhsa_fp16_overflow 0
		.amdhsa_exception_fp_ieee_invalid_op 0
		.amdhsa_exception_fp_denorm_src 0
		.amdhsa_exception_fp_ieee_div_zero 0
		.amdhsa_exception_fp_ieee_overflow 0
		.amdhsa_exception_fp_ieee_underflow 0
		.amdhsa_exception_fp_ieee_inexact 0
		.amdhsa_exception_int_div_zero 0
	.end_amdhsa_kernel
	.section	.text._ZN7rocprim17ROCPRIM_400000_NS6detail17trampoline_kernelINS0_14default_configENS1_22reduce_config_selectorIN6thrust23THRUST_200600_302600_NS5tupleIblNS6_9null_typeES8_S8_S8_S8_S8_S8_S8_EEEEZNS1_11reduce_implILb1ES3_NS6_12zip_iteratorINS7_INS6_11hip_rocprim26transform_input_iterator_tIbPfNS6_6detail10functional5actorINSH_9compositeIJNSH_27transparent_binary_operatorINS6_8equal_toIvEEEENSI_INSH_8argumentILj0EEEEENSH_5valueIfEEEEEEEEENSD_19counting_iterator_tIlEES8_S8_S8_S8_S8_S8_S8_S8_EEEEPS9_S9_NSD_9__find_if7functorIS9_EEEE10hipError_tPvRmT1_T2_T3_mT4_P12ihipStream_tbEUlT_E0_NS1_11comp_targetILNS1_3genE4ELNS1_11target_archE910ELNS1_3gpuE8ELNS1_3repE0EEENS1_30default_config_static_selectorELNS0_4arch9wavefront6targetE1EEEvS17_,"axG",@progbits,_ZN7rocprim17ROCPRIM_400000_NS6detail17trampoline_kernelINS0_14default_configENS1_22reduce_config_selectorIN6thrust23THRUST_200600_302600_NS5tupleIblNS6_9null_typeES8_S8_S8_S8_S8_S8_S8_EEEEZNS1_11reduce_implILb1ES3_NS6_12zip_iteratorINS7_INS6_11hip_rocprim26transform_input_iterator_tIbPfNS6_6detail10functional5actorINSH_9compositeIJNSH_27transparent_binary_operatorINS6_8equal_toIvEEEENSI_INSH_8argumentILj0EEEEENSH_5valueIfEEEEEEEEENSD_19counting_iterator_tIlEES8_S8_S8_S8_S8_S8_S8_S8_EEEEPS9_S9_NSD_9__find_if7functorIS9_EEEE10hipError_tPvRmT1_T2_T3_mT4_P12ihipStream_tbEUlT_E0_NS1_11comp_targetILNS1_3genE4ELNS1_11target_archE910ELNS1_3gpuE8ELNS1_3repE0EEENS1_30default_config_static_selectorELNS0_4arch9wavefront6targetE1EEEvS17_,comdat
.Lfunc_end1944:
	.size	_ZN7rocprim17ROCPRIM_400000_NS6detail17trampoline_kernelINS0_14default_configENS1_22reduce_config_selectorIN6thrust23THRUST_200600_302600_NS5tupleIblNS6_9null_typeES8_S8_S8_S8_S8_S8_S8_EEEEZNS1_11reduce_implILb1ES3_NS6_12zip_iteratorINS7_INS6_11hip_rocprim26transform_input_iterator_tIbPfNS6_6detail10functional5actorINSH_9compositeIJNSH_27transparent_binary_operatorINS6_8equal_toIvEEEENSI_INSH_8argumentILj0EEEEENSH_5valueIfEEEEEEEEENSD_19counting_iterator_tIlEES8_S8_S8_S8_S8_S8_S8_S8_EEEEPS9_S9_NSD_9__find_if7functorIS9_EEEE10hipError_tPvRmT1_T2_T3_mT4_P12ihipStream_tbEUlT_E0_NS1_11comp_targetILNS1_3genE4ELNS1_11target_archE910ELNS1_3gpuE8ELNS1_3repE0EEENS1_30default_config_static_selectorELNS0_4arch9wavefront6targetE1EEEvS17_, .Lfunc_end1944-_ZN7rocprim17ROCPRIM_400000_NS6detail17trampoline_kernelINS0_14default_configENS1_22reduce_config_selectorIN6thrust23THRUST_200600_302600_NS5tupleIblNS6_9null_typeES8_S8_S8_S8_S8_S8_S8_EEEEZNS1_11reduce_implILb1ES3_NS6_12zip_iteratorINS7_INS6_11hip_rocprim26transform_input_iterator_tIbPfNS6_6detail10functional5actorINSH_9compositeIJNSH_27transparent_binary_operatorINS6_8equal_toIvEEEENSI_INSH_8argumentILj0EEEEENSH_5valueIfEEEEEEEEENSD_19counting_iterator_tIlEES8_S8_S8_S8_S8_S8_S8_S8_EEEEPS9_S9_NSD_9__find_if7functorIS9_EEEE10hipError_tPvRmT1_T2_T3_mT4_P12ihipStream_tbEUlT_E0_NS1_11comp_targetILNS1_3genE4ELNS1_11target_archE910ELNS1_3gpuE8ELNS1_3repE0EEENS1_30default_config_static_selectorELNS0_4arch9wavefront6targetE1EEEvS17_
                                        ; -- End function
	.set _ZN7rocprim17ROCPRIM_400000_NS6detail17trampoline_kernelINS0_14default_configENS1_22reduce_config_selectorIN6thrust23THRUST_200600_302600_NS5tupleIblNS6_9null_typeES8_S8_S8_S8_S8_S8_S8_EEEEZNS1_11reduce_implILb1ES3_NS6_12zip_iteratorINS7_INS6_11hip_rocprim26transform_input_iterator_tIbPfNS6_6detail10functional5actorINSH_9compositeIJNSH_27transparent_binary_operatorINS6_8equal_toIvEEEENSI_INSH_8argumentILj0EEEEENSH_5valueIfEEEEEEEEENSD_19counting_iterator_tIlEES8_S8_S8_S8_S8_S8_S8_S8_EEEEPS9_S9_NSD_9__find_if7functorIS9_EEEE10hipError_tPvRmT1_T2_T3_mT4_P12ihipStream_tbEUlT_E0_NS1_11comp_targetILNS1_3genE4ELNS1_11target_archE910ELNS1_3gpuE8ELNS1_3repE0EEENS1_30default_config_static_selectorELNS0_4arch9wavefront6targetE1EEEvS17_.num_vgpr, 0
	.set _ZN7rocprim17ROCPRIM_400000_NS6detail17trampoline_kernelINS0_14default_configENS1_22reduce_config_selectorIN6thrust23THRUST_200600_302600_NS5tupleIblNS6_9null_typeES8_S8_S8_S8_S8_S8_S8_EEEEZNS1_11reduce_implILb1ES3_NS6_12zip_iteratorINS7_INS6_11hip_rocprim26transform_input_iterator_tIbPfNS6_6detail10functional5actorINSH_9compositeIJNSH_27transparent_binary_operatorINS6_8equal_toIvEEEENSI_INSH_8argumentILj0EEEEENSH_5valueIfEEEEEEEEENSD_19counting_iterator_tIlEES8_S8_S8_S8_S8_S8_S8_S8_EEEEPS9_S9_NSD_9__find_if7functorIS9_EEEE10hipError_tPvRmT1_T2_T3_mT4_P12ihipStream_tbEUlT_E0_NS1_11comp_targetILNS1_3genE4ELNS1_11target_archE910ELNS1_3gpuE8ELNS1_3repE0EEENS1_30default_config_static_selectorELNS0_4arch9wavefront6targetE1EEEvS17_.num_agpr, 0
	.set _ZN7rocprim17ROCPRIM_400000_NS6detail17trampoline_kernelINS0_14default_configENS1_22reduce_config_selectorIN6thrust23THRUST_200600_302600_NS5tupleIblNS6_9null_typeES8_S8_S8_S8_S8_S8_S8_EEEEZNS1_11reduce_implILb1ES3_NS6_12zip_iteratorINS7_INS6_11hip_rocprim26transform_input_iterator_tIbPfNS6_6detail10functional5actorINSH_9compositeIJNSH_27transparent_binary_operatorINS6_8equal_toIvEEEENSI_INSH_8argumentILj0EEEEENSH_5valueIfEEEEEEEEENSD_19counting_iterator_tIlEES8_S8_S8_S8_S8_S8_S8_S8_EEEEPS9_S9_NSD_9__find_if7functorIS9_EEEE10hipError_tPvRmT1_T2_T3_mT4_P12ihipStream_tbEUlT_E0_NS1_11comp_targetILNS1_3genE4ELNS1_11target_archE910ELNS1_3gpuE8ELNS1_3repE0EEENS1_30default_config_static_selectorELNS0_4arch9wavefront6targetE1EEEvS17_.numbered_sgpr, 0
	.set _ZN7rocprim17ROCPRIM_400000_NS6detail17trampoline_kernelINS0_14default_configENS1_22reduce_config_selectorIN6thrust23THRUST_200600_302600_NS5tupleIblNS6_9null_typeES8_S8_S8_S8_S8_S8_S8_EEEEZNS1_11reduce_implILb1ES3_NS6_12zip_iteratorINS7_INS6_11hip_rocprim26transform_input_iterator_tIbPfNS6_6detail10functional5actorINSH_9compositeIJNSH_27transparent_binary_operatorINS6_8equal_toIvEEEENSI_INSH_8argumentILj0EEEEENSH_5valueIfEEEEEEEEENSD_19counting_iterator_tIlEES8_S8_S8_S8_S8_S8_S8_S8_EEEEPS9_S9_NSD_9__find_if7functorIS9_EEEE10hipError_tPvRmT1_T2_T3_mT4_P12ihipStream_tbEUlT_E0_NS1_11comp_targetILNS1_3genE4ELNS1_11target_archE910ELNS1_3gpuE8ELNS1_3repE0EEENS1_30default_config_static_selectorELNS0_4arch9wavefront6targetE1EEEvS17_.num_named_barrier, 0
	.set _ZN7rocprim17ROCPRIM_400000_NS6detail17trampoline_kernelINS0_14default_configENS1_22reduce_config_selectorIN6thrust23THRUST_200600_302600_NS5tupleIblNS6_9null_typeES8_S8_S8_S8_S8_S8_S8_EEEEZNS1_11reduce_implILb1ES3_NS6_12zip_iteratorINS7_INS6_11hip_rocprim26transform_input_iterator_tIbPfNS6_6detail10functional5actorINSH_9compositeIJNSH_27transparent_binary_operatorINS6_8equal_toIvEEEENSI_INSH_8argumentILj0EEEEENSH_5valueIfEEEEEEEEENSD_19counting_iterator_tIlEES8_S8_S8_S8_S8_S8_S8_S8_EEEEPS9_S9_NSD_9__find_if7functorIS9_EEEE10hipError_tPvRmT1_T2_T3_mT4_P12ihipStream_tbEUlT_E0_NS1_11comp_targetILNS1_3genE4ELNS1_11target_archE910ELNS1_3gpuE8ELNS1_3repE0EEENS1_30default_config_static_selectorELNS0_4arch9wavefront6targetE1EEEvS17_.private_seg_size, 0
	.set _ZN7rocprim17ROCPRIM_400000_NS6detail17trampoline_kernelINS0_14default_configENS1_22reduce_config_selectorIN6thrust23THRUST_200600_302600_NS5tupleIblNS6_9null_typeES8_S8_S8_S8_S8_S8_S8_EEEEZNS1_11reduce_implILb1ES3_NS6_12zip_iteratorINS7_INS6_11hip_rocprim26transform_input_iterator_tIbPfNS6_6detail10functional5actorINSH_9compositeIJNSH_27transparent_binary_operatorINS6_8equal_toIvEEEENSI_INSH_8argumentILj0EEEEENSH_5valueIfEEEEEEEEENSD_19counting_iterator_tIlEES8_S8_S8_S8_S8_S8_S8_S8_EEEEPS9_S9_NSD_9__find_if7functorIS9_EEEE10hipError_tPvRmT1_T2_T3_mT4_P12ihipStream_tbEUlT_E0_NS1_11comp_targetILNS1_3genE4ELNS1_11target_archE910ELNS1_3gpuE8ELNS1_3repE0EEENS1_30default_config_static_selectorELNS0_4arch9wavefront6targetE1EEEvS17_.uses_vcc, 0
	.set _ZN7rocprim17ROCPRIM_400000_NS6detail17trampoline_kernelINS0_14default_configENS1_22reduce_config_selectorIN6thrust23THRUST_200600_302600_NS5tupleIblNS6_9null_typeES8_S8_S8_S8_S8_S8_S8_EEEEZNS1_11reduce_implILb1ES3_NS6_12zip_iteratorINS7_INS6_11hip_rocprim26transform_input_iterator_tIbPfNS6_6detail10functional5actorINSH_9compositeIJNSH_27transparent_binary_operatorINS6_8equal_toIvEEEENSI_INSH_8argumentILj0EEEEENSH_5valueIfEEEEEEEEENSD_19counting_iterator_tIlEES8_S8_S8_S8_S8_S8_S8_S8_EEEEPS9_S9_NSD_9__find_if7functorIS9_EEEE10hipError_tPvRmT1_T2_T3_mT4_P12ihipStream_tbEUlT_E0_NS1_11comp_targetILNS1_3genE4ELNS1_11target_archE910ELNS1_3gpuE8ELNS1_3repE0EEENS1_30default_config_static_selectorELNS0_4arch9wavefront6targetE1EEEvS17_.uses_flat_scratch, 0
	.set _ZN7rocprim17ROCPRIM_400000_NS6detail17trampoline_kernelINS0_14default_configENS1_22reduce_config_selectorIN6thrust23THRUST_200600_302600_NS5tupleIblNS6_9null_typeES8_S8_S8_S8_S8_S8_S8_EEEEZNS1_11reduce_implILb1ES3_NS6_12zip_iteratorINS7_INS6_11hip_rocprim26transform_input_iterator_tIbPfNS6_6detail10functional5actorINSH_9compositeIJNSH_27transparent_binary_operatorINS6_8equal_toIvEEEENSI_INSH_8argumentILj0EEEEENSH_5valueIfEEEEEEEEENSD_19counting_iterator_tIlEES8_S8_S8_S8_S8_S8_S8_S8_EEEEPS9_S9_NSD_9__find_if7functorIS9_EEEE10hipError_tPvRmT1_T2_T3_mT4_P12ihipStream_tbEUlT_E0_NS1_11comp_targetILNS1_3genE4ELNS1_11target_archE910ELNS1_3gpuE8ELNS1_3repE0EEENS1_30default_config_static_selectorELNS0_4arch9wavefront6targetE1EEEvS17_.has_dyn_sized_stack, 0
	.set _ZN7rocprim17ROCPRIM_400000_NS6detail17trampoline_kernelINS0_14default_configENS1_22reduce_config_selectorIN6thrust23THRUST_200600_302600_NS5tupleIblNS6_9null_typeES8_S8_S8_S8_S8_S8_S8_EEEEZNS1_11reduce_implILb1ES3_NS6_12zip_iteratorINS7_INS6_11hip_rocprim26transform_input_iterator_tIbPfNS6_6detail10functional5actorINSH_9compositeIJNSH_27transparent_binary_operatorINS6_8equal_toIvEEEENSI_INSH_8argumentILj0EEEEENSH_5valueIfEEEEEEEEENSD_19counting_iterator_tIlEES8_S8_S8_S8_S8_S8_S8_S8_EEEEPS9_S9_NSD_9__find_if7functorIS9_EEEE10hipError_tPvRmT1_T2_T3_mT4_P12ihipStream_tbEUlT_E0_NS1_11comp_targetILNS1_3genE4ELNS1_11target_archE910ELNS1_3gpuE8ELNS1_3repE0EEENS1_30default_config_static_selectorELNS0_4arch9wavefront6targetE1EEEvS17_.has_recursion, 0
	.set _ZN7rocprim17ROCPRIM_400000_NS6detail17trampoline_kernelINS0_14default_configENS1_22reduce_config_selectorIN6thrust23THRUST_200600_302600_NS5tupleIblNS6_9null_typeES8_S8_S8_S8_S8_S8_S8_EEEEZNS1_11reduce_implILb1ES3_NS6_12zip_iteratorINS7_INS6_11hip_rocprim26transform_input_iterator_tIbPfNS6_6detail10functional5actorINSH_9compositeIJNSH_27transparent_binary_operatorINS6_8equal_toIvEEEENSI_INSH_8argumentILj0EEEEENSH_5valueIfEEEEEEEEENSD_19counting_iterator_tIlEES8_S8_S8_S8_S8_S8_S8_S8_EEEEPS9_S9_NSD_9__find_if7functorIS9_EEEE10hipError_tPvRmT1_T2_T3_mT4_P12ihipStream_tbEUlT_E0_NS1_11comp_targetILNS1_3genE4ELNS1_11target_archE910ELNS1_3gpuE8ELNS1_3repE0EEENS1_30default_config_static_selectorELNS0_4arch9wavefront6targetE1EEEvS17_.has_indirect_call, 0
	.section	.AMDGPU.csdata,"",@progbits
; Kernel info:
; codeLenInByte = 0
; TotalNumSgprs: 4
; NumVgprs: 0
; ScratchSize: 0
; MemoryBound: 0
; FloatMode: 240
; IeeeMode: 1
; LDSByteSize: 0 bytes/workgroup (compile time only)
; SGPRBlocks: 0
; VGPRBlocks: 0
; NumSGPRsForWavesPerEU: 4
; NumVGPRsForWavesPerEU: 1
; Occupancy: 10
; WaveLimiterHint : 0
; COMPUTE_PGM_RSRC2:SCRATCH_EN: 0
; COMPUTE_PGM_RSRC2:USER_SGPR: 6
; COMPUTE_PGM_RSRC2:TRAP_HANDLER: 0
; COMPUTE_PGM_RSRC2:TGID_X_EN: 1
; COMPUTE_PGM_RSRC2:TGID_Y_EN: 0
; COMPUTE_PGM_RSRC2:TGID_Z_EN: 0
; COMPUTE_PGM_RSRC2:TIDIG_COMP_CNT: 0
	.section	.text._ZN7rocprim17ROCPRIM_400000_NS6detail17trampoline_kernelINS0_14default_configENS1_22reduce_config_selectorIN6thrust23THRUST_200600_302600_NS5tupleIblNS6_9null_typeES8_S8_S8_S8_S8_S8_S8_EEEEZNS1_11reduce_implILb1ES3_NS6_12zip_iteratorINS7_INS6_11hip_rocprim26transform_input_iterator_tIbPfNS6_6detail10functional5actorINSH_9compositeIJNSH_27transparent_binary_operatorINS6_8equal_toIvEEEENSI_INSH_8argumentILj0EEEEENSH_5valueIfEEEEEEEEENSD_19counting_iterator_tIlEES8_S8_S8_S8_S8_S8_S8_S8_EEEEPS9_S9_NSD_9__find_if7functorIS9_EEEE10hipError_tPvRmT1_T2_T3_mT4_P12ihipStream_tbEUlT_E0_NS1_11comp_targetILNS1_3genE3ELNS1_11target_archE908ELNS1_3gpuE7ELNS1_3repE0EEENS1_30default_config_static_selectorELNS0_4arch9wavefront6targetE1EEEvS17_,"axG",@progbits,_ZN7rocprim17ROCPRIM_400000_NS6detail17trampoline_kernelINS0_14default_configENS1_22reduce_config_selectorIN6thrust23THRUST_200600_302600_NS5tupleIblNS6_9null_typeES8_S8_S8_S8_S8_S8_S8_EEEEZNS1_11reduce_implILb1ES3_NS6_12zip_iteratorINS7_INS6_11hip_rocprim26transform_input_iterator_tIbPfNS6_6detail10functional5actorINSH_9compositeIJNSH_27transparent_binary_operatorINS6_8equal_toIvEEEENSI_INSH_8argumentILj0EEEEENSH_5valueIfEEEEEEEEENSD_19counting_iterator_tIlEES8_S8_S8_S8_S8_S8_S8_S8_EEEEPS9_S9_NSD_9__find_if7functorIS9_EEEE10hipError_tPvRmT1_T2_T3_mT4_P12ihipStream_tbEUlT_E0_NS1_11comp_targetILNS1_3genE3ELNS1_11target_archE908ELNS1_3gpuE7ELNS1_3repE0EEENS1_30default_config_static_selectorELNS0_4arch9wavefront6targetE1EEEvS17_,comdat
	.protected	_ZN7rocprim17ROCPRIM_400000_NS6detail17trampoline_kernelINS0_14default_configENS1_22reduce_config_selectorIN6thrust23THRUST_200600_302600_NS5tupleIblNS6_9null_typeES8_S8_S8_S8_S8_S8_S8_EEEEZNS1_11reduce_implILb1ES3_NS6_12zip_iteratorINS7_INS6_11hip_rocprim26transform_input_iterator_tIbPfNS6_6detail10functional5actorINSH_9compositeIJNSH_27transparent_binary_operatorINS6_8equal_toIvEEEENSI_INSH_8argumentILj0EEEEENSH_5valueIfEEEEEEEEENSD_19counting_iterator_tIlEES8_S8_S8_S8_S8_S8_S8_S8_EEEEPS9_S9_NSD_9__find_if7functorIS9_EEEE10hipError_tPvRmT1_T2_T3_mT4_P12ihipStream_tbEUlT_E0_NS1_11comp_targetILNS1_3genE3ELNS1_11target_archE908ELNS1_3gpuE7ELNS1_3repE0EEENS1_30default_config_static_selectorELNS0_4arch9wavefront6targetE1EEEvS17_ ; -- Begin function _ZN7rocprim17ROCPRIM_400000_NS6detail17trampoline_kernelINS0_14default_configENS1_22reduce_config_selectorIN6thrust23THRUST_200600_302600_NS5tupleIblNS6_9null_typeES8_S8_S8_S8_S8_S8_S8_EEEEZNS1_11reduce_implILb1ES3_NS6_12zip_iteratorINS7_INS6_11hip_rocprim26transform_input_iterator_tIbPfNS6_6detail10functional5actorINSH_9compositeIJNSH_27transparent_binary_operatorINS6_8equal_toIvEEEENSI_INSH_8argumentILj0EEEEENSH_5valueIfEEEEEEEEENSD_19counting_iterator_tIlEES8_S8_S8_S8_S8_S8_S8_S8_EEEEPS9_S9_NSD_9__find_if7functorIS9_EEEE10hipError_tPvRmT1_T2_T3_mT4_P12ihipStream_tbEUlT_E0_NS1_11comp_targetILNS1_3genE3ELNS1_11target_archE908ELNS1_3gpuE7ELNS1_3repE0EEENS1_30default_config_static_selectorELNS0_4arch9wavefront6targetE1EEEvS17_
	.globl	_ZN7rocprim17ROCPRIM_400000_NS6detail17trampoline_kernelINS0_14default_configENS1_22reduce_config_selectorIN6thrust23THRUST_200600_302600_NS5tupleIblNS6_9null_typeES8_S8_S8_S8_S8_S8_S8_EEEEZNS1_11reduce_implILb1ES3_NS6_12zip_iteratorINS7_INS6_11hip_rocprim26transform_input_iterator_tIbPfNS6_6detail10functional5actorINSH_9compositeIJNSH_27transparent_binary_operatorINS6_8equal_toIvEEEENSI_INSH_8argumentILj0EEEEENSH_5valueIfEEEEEEEEENSD_19counting_iterator_tIlEES8_S8_S8_S8_S8_S8_S8_S8_EEEEPS9_S9_NSD_9__find_if7functorIS9_EEEE10hipError_tPvRmT1_T2_T3_mT4_P12ihipStream_tbEUlT_E0_NS1_11comp_targetILNS1_3genE3ELNS1_11target_archE908ELNS1_3gpuE7ELNS1_3repE0EEENS1_30default_config_static_selectorELNS0_4arch9wavefront6targetE1EEEvS17_
	.p2align	8
	.type	_ZN7rocprim17ROCPRIM_400000_NS6detail17trampoline_kernelINS0_14default_configENS1_22reduce_config_selectorIN6thrust23THRUST_200600_302600_NS5tupleIblNS6_9null_typeES8_S8_S8_S8_S8_S8_S8_EEEEZNS1_11reduce_implILb1ES3_NS6_12zip_iteratorINS7_INS6_11hip_rocprim26transform_input_iterator_tIbPfNS6_6detail10functional5actorINSH_9compositeIJNSH_27transparent_binary_operatorINS6_8equal_toIvEEEENSI_INSH_8argumentILj0EEEEENSH_5valueIfEEEEEEEEENSD_19counting_iterator_tIlEES8_S8_S8_S8_S8_S8_S8_S8_EEEEPS9_S9_NSD_9__find_if7functorIS9_EEEE10hipError_tPvRmT1_T2_T3_mT4_P12ihipStream_tbEUlT_E0_NS1_11comp_targetILNS1_3genE3ELNS1_11target_archE908ELNS1_3gpuE7ELNS1_3repE0EEENS1_30default_config_static_selectorELNS0_4arch9wavefront6targetE1EEEvS17_,@function
_ZN7rocprim17ROCPRIM_400000_NS6detail17trampoline_kernelINS0_14default_configENS1_22reduce_config_selectorIN6thrust23THRUST_200600_302600_NS5tupleIblNS6_9null_typeES8_S8_S8_S8_S8_S8_S8_EEEEZNS1_11reduce_implILb1ES3_NS6_12zip_iteratorINS7_INS6_11hip_rocprim26transform_input_iterator_tIbPfNS6_6detail10functional5actorINSH_9compositeIJNSH_27transparent_binary_operatorINS6_8equal_toIvEEEENSI_INSH_8argumentILj0EEEEENSH_5valueIfEEEEEEEEENSD_19counting_iterator_tIlEES8_S8_S8_S8_S8_S8_S8_S8_EEEEPS9_S9_NSD_9__find_if7functorIS9_EEEE10hipError_tPvRmT1_T2_T3_mT4_P12ihipStream_tbEUlT_E0_NS1_11comp_targetILNS1_3genE3ELNS1_11target_archE908ELNS1_3gpuE7ELNS1_3repE0EEENS1_30default_config_static_selectorELNS0_4arch9wavefront6targetE1EEEvS17_: ; @_ZN7rocprim17ROCPRIM_400000_NS6detail17trampoline_kernelINS0_14default_configENS1_22reduce_config_selectorIN6thrust23THRUST_200600_302600_NS5tupleIblNS6_9null_typeES8_S8_S8_S8_S8_S8_S8_EEEEZNS1_11reduce_implILb1ES3_NS6_12zip_iteratorINS7_INS6_11hip_rocprim26transform_input_iterator_tIbPfNS6_6detail10functional5actorINSH_9compositeIJNSH_27transparent_binary_operatorINS6_8equal_toIvEEEENSI_INSH_8argumentILj0EEEEENSH_5valueIfEEEEEEEEENSD_19counting_iterator_tIlEES8_S8_S8_S8_S8_S8_S8_S8_EEEEPS9_S9_NSD_9__find_if7functorIS9_EEEE10hipError_tPvRmT1_T2_T3_mT4_P12ihipStream_tbEUlT_E0_NS1_11comp_targetILNS1_3genE3ELNS1_11target_archE908ELNS1_3gpuE7ELNS1_3repE0EEENS1_30default_config_static_selectorELNS0_4arch9wavefront6targetE1EEEvS17_
; %bb.0:
	.section	.rodata,"a",@progbits
	.p2align	6, 0x0
	.amdhsa_kernel _ZN7rocprim17ROCPRIM_400000_NS6detail17trampoline_kernelINS0_14default_configENS1_22reduce_config_selectorIN6thrust23THRUST_200600_302600_NS5tupleIblNS6_9null_typeES8_S8_S8_S8_S8_S8_S8_EEEEZNS1_11reduce_implILb1ES3_NS6_12zip_iteratorINS7_INS6_11hip_rocprim26transform_input_iterator_tIbPfNS6_6detail10functional5actorINSH_9compositeIJNSH_27transparent_binary_operatorINS6_8equal_toIvEEEENSI_INSH_8argumentILj0EEEEENSH_5valueIfEEEEEEEEENSD_19counting_iterator_tIlEES8_S8_S8_S8_S8_S8_S8_S8_EEEEPS9_S9_NSD_9__find_if7functorIS9_EEEE10hipError_tPvRmT1_T2_T3_mT4_P12ihipStream_tbEUlT_E0_NS1_11comp_targetILNS1_3genE3ELNS1_11target_archE908ELNS1_3gpuE7ELNS1_3repE0EEENS1_30default_config_static_selectorELNS0_4arch9wavefront6targetE1EEEvS17_
		.amdhsa_group_segment_fixed_size 0
		.amdhsa_private_segment_fixed_size 0
		.amdhsa_kernarg_size 88
		.amdhsa_user_sgpr_count 6
		.amdhsa_user_sgpr_private_segment_buffer 1
		.amdhsa_user_sgpr_dispatch_ptr 0
		.amdhsa_user_sgpr_queue_ptr 0
		.amdhsa_user_sgpr_kernarg_segment_ptr 1
		.amdhsa_user_sgpr_dispatch_id 0
		.amdhsa_user_sgpr_flat_scratch_init 0
		.amdhsa_user_sgpr_private_segment_size 0
		.amdhsa_uses_dynamic_stack 0
		.amdhsa_system_sgpr_private_segment_wavefront_offset 0
		.amdhsa_system_sgpr_workgroup_id_x 1
		.amdhsa_system_sgpr_workgroup_id_y 0
		.amdhsa_system_sgpr_workgroup_id_z 0
		.amdhsa_system_sgpr_workgroup_info 0
		.amdhsa_system_vgpr_workitem_id 0
		.amdhsa_next_free_vgpr 1
		.amdhsa_next_free_sgpr 0
		.amdhsa_reserve_vcc 0
		.amdhsa_reserve_flat_scratch 0
		.amdhsa_float_round_mode_32 0
		.amdhsa_float_round_mode_16_64 0
		.amdhsa_float_denorm_mode_32 3
		.amdhsa_float_denorm_mode_16_64 3
		.amdhsa_dx10_clamp 1
		.amdhsa_ieee_mode 1
		.amdhsa_fp16_overflow 0
		.amdhsa_exception_fp_ieee_invalid_op 0
		.amdhsa_exception_fp_denorm_src 0
		.amdhsa_exception_fp_ieee_div_zero 0
		.amdhsa_exception_fp_ieee_overflow 0
		.amdhsa_exception_fp_ieee_underflow 0
		.amdhsa_exception_fp_ieee_inexact 0
		.amdhsa_exception_int_div_zero 0
	.end_amdhsa_kernel
	.section	.text._ZN7rocprim17ROCPRIM_400000_NS6detail17trampoline_kernelINS0_14default_configENS1_22reduce_config_selectorIN6thrust23THRUST_200600_302600_NS5tupleIblNS6_9null_typeES8_S8_S8_S8_S8_S8_S8_EEEEZNS1_11reduce_implILb1ES3_NS6_12zip_iteratorINS7_INS6_11hip_rocprim26transform_input_iterator_tIbPfNS6_6detail10functional5actorINSH_9compositeIJNSH_27transparent_binary_operatorINS6_8equal_toIvEEEENSI_INSH_8argumentILj0EEEEENSH_5valueIfEEEEEEEEENSD_19counting_iterator_tIlEES8_S8_S8_S8_S8_S8_S8_S8_EEEEPS9_S9_NSD_9__find_if7functorIS9_EEEE10hipError_tPvRmT1_T2_T3_mT4_P12ihipStream_tbEUlT_E0_NS1_11comp_targetILNS1_3genE3ELNS1_11target_archE908ELNS1_3gpuE7ELNS1_3repE0EEENS1_30default_config_static_selectorELNS0_4arch9wavefront6targetE1EEEvS17_,"axG",@progbits,_ZN7rocprim17ROCPRIM_400000_NS6detail17trampoline_kernelINS0_14default_configENS1_22reduce_config_selectorIN6thrust23THRUST_200600_302600_NS5tupleIblNS6_9null_typeES8_S8_S8_S8_S8_S8_S8_EEEEZNS1_11reduce_implILb1ES3_NS6_12zip_iteratorINS7_INS6_11hip_rocprim26transform_input_iterator_tIbPfNS6_6detail10functional5actorINSH_9compositeIJNSH_27transparent_binary_operatorINS6_8equal_toIvEEEENSI_INSH_8argumentILj0EEEEENSH_5valueIfEEEEEEEEENSD_19counting_iterator_tIlEES8_S8_S8_S8_S8_S8_S8_S8_EEEEPS9_S9_NSD_9__find_if7functorIS9_EEEE10hipError_tPvRmT1_T2_T3_mT4_P12ihipStream_tbEUlT_E0_NS1_11comp_targetILNS1_3genE3ELNS1_11target_archE908ELNS1_3gpuE7ELNS1_3repE0EEENS1_30default_config_static_selectorELNS0_4arch9wavefront6targetE1EEEvS17_,comdat
.Lfunc_end1945:
	.size	_ZN7rocprim17ROCPRIM_400000_NS6detail17trampoline_kernelINS0_14default_configENS1_22reduce_config_selectorIN6thrust23THRUST_200600_302600_NS5tupleIblNS6_9null_typeES8_S8_S8_S8_S8_S8_S8_EEEEZNS1_11reduce_implILb1ES3_NS6_12zip_iteratorINS7_INS6_11hip_rocprim26transform_input_iterator_tIbPfNS6_6detail10functional5actorINSH_9compositeIJNSH_27transparent_binary_operatorINS6_8equal_toIvEEEENSI_INSH_8argumentILj0EEEEENSH_5valueIfEEEEEEEEENSD_19counting_iterator_tIlEES8_S8_S8_S8_S8_S8_S8_S8_EEEEPS9_S9_NSD_9__find_if7functorIS9_EEEE10hipError_tPvRmT1_T2_T3_mT4_P12ihipStream_tbEUlT_E0_NS1_11comp_targetILNS1_3genE3ELNS1_11target_archE908ELNS1_3gpuE7ELNS1_3repE0EEENS1_30default_config_static_selectorELNS0_4arch9wavefront6targetE1EEEvS17_, .Lfunc_end1945-_ZN7rocprim17ROCPRIM_400000_NS6detail17trampoline_kernelINS0_14default_configENS1_22reduce_config_selectorIN6thrust23THRUST_200600_302600_NS5tupleIblNS6_9null_typeES8_S8_S8_S8_S8_S8_S8_EEEEZNS1_11reduce_implILb1ES3_NS6_12zip_iteratorINS7_INS6_11hip_rocprim26transform_input_iterator_tIbPfNS6_6detail10functional5actorINSH_9compositeIJNSH_27transparent_binary_operatorINS6_8equal_toIvEEEENSI_INSH_8argumentILj0EEEEENSH_5valueIfEEEEEEEEENSD_19counting_iterator_tIlEES8_S8_S8_S8_S8_S8_S8_S8_EEEEPS9_S9_NSD_9__find_if7functorIS9_EEEE10hipError_tPvRmT1_T2_T3_mT4_P12ihipStream_tbEUlT_E0_NS1_11comp_targetILNS1_3genE3ELNS1_11target_archE908ELNS1_3gpuE7ELNS1_3repE0EEENS1_30default_config_static_selectorELNS0_4arch9wavefront6targetE1EEEvS17_
                                        ; -- End function
	.set _ZN7rocprim17ROCPRIM_400000_NS6detail17trampoline_kernelINS0_14default_configENS1_22reduce_config_selectorIN6thrust23THRUST_200600_302600_NS5tupleIblNS6_9null_typeES8_S8_S8_S8_S8_S8_S8_EEEEZNS1_11reduce_implILb1ES3_NS6_12zip_iteratorINS7_INS6_11hip_rocprim26transform_input_iterator_tIbPfNS6_6detail10functional5actorINSH_9compositeIJNSH_27transparent_binary_operatorINS6_8equal_toIvEEEENSI_INSH_8argumentILj0EEEEENSH_5valueIfEEEEEEEEENSD_19counting_iterator_tIlEES8_S8_S8_S8_S8_S8_S8_S8_EEEEPS9_S9_NSD_9__find_if7functorIS9_EEEE10hipError_tPvRmT1_T2_T3_mT4_P12ihipStream_tbEUlT_E0_NS1_11comp_targetILNS1_3genE3ELNS1_11target_archE908ELNS1_3gpuE7ELNS1_3repE0EEENS1_30default_config_static_selectorELNS0_4arch9wavefront6targetE1EEEvS17_.num_vgpr, 0
	.set _ZN7rocprim17ROCPRIM_400000_NS6detail17trampoline_kernelINS0_14default_configENS1_22reduce_config_selectorIN6thrust23THRUST_200600_302600_NS5tupleIblNS6_9null_typeES8_S8_S8_S8_S8_S8_S8_EEEEZNS1_11reduce_implILb1ES3_NS6_12zip_iteratorINS7_INS6_11hip_rocprim26transform_input_iterator_tIbPfNS6_6detail10functional5actorINSH_9compositeIJNSH_27transparent_binary_operatorINS6_8equal_toIvEEEENSI_INSH_8argumentILj0EEEEENSH_5valueIfEEEEEEEEENSD_19counting_iterator_tIlEES8_S8_S8_S8_S8_S8_S8_S8_EEEEPS9_S9_NSD_9__find_if7functorIS9_EEEE10hipError_tPvRmT1_T2_T3_mT4_P12ihipStream_tbEUlT_E0_NS1_11comp_targetILNS1_3genE3ELNS1_11target_archE908ELNS1_3gpuE7ELNS1_3repE0EEENS1_30default_config_static_selectorELNS0_4arch9wavefront6targetE1EEEvS17_.num_agpr, 0
	.set _ZN7rocprim17ROCPRIM_400000_NS6detail17trampoline_kernelINS0_14default_configENS1_22reduce_config_selectorIN6thrust23THRUST_200600_302600_NS5tupleIblNS6_9null_typeES8_S8_S8_S8_S8_S8_S8_EEEEZNS1_11reduce_implILb1ES3_NS6_12zip_iteratorINS7_INS6_11hip_rocprim26transform_input_iterator_tIbPfNS6_6detail10functional5actorINSH_9compositeIJNSH_27transparent_binary_operatorINS6_8equal_toIvEEEENSI_INSH_8argumentILj0EEEEENSH_5valueIfEEEEEEEEENSD_19counting_iterator_tIlEES8_S8_S8_S8_S8_S8_S8_S8_EEEEPS9_S9_NSD_9__find_if7functorIS9_EEEE10hipError_tPvRmT1_T2_T3_mT4_P12ihipStream_tbEUlT_E0_NS1_11comp_targetILNS1_3genE3ELNS1_11target_archE908ELNS1_3gpuE7ELNS1_3repE0EEENS1_30default_config_static_selectorELNS0_4arch9wavefront6targetE1EEEvS17_.numbered_sgpr, 0
	.set _ZN7rocprim17ROCPRIM_400000_NS6detail17trampoline_kernelINS0_14default_configENS1_22reduce_config_selectorIN6thrust23THRUST_200600_302600_NS5tupleIblNS6_9null_typeES8_S8_S8_S8_S8_S8_S8_EEEEZNS1_11reduce_implILb1ES3_NS6_12zip_iteratorINS7_INS6_11hip_rocprim26transform_input_iterator_tIbPfNS6_6detail10functional5actorINSH_9compositeIJNSH_27transparent_binary_operatorINS6_8equal_toIvEEEENSI_INSH_8argumentILj0EEEEENSH_5valueIfEEEEEEEEENSD_19counting_iterator_tIlEES8_S8_S8_S8_S8_S8_S8_S8_EEEEPS9_S9_NSD_9__find_if7functorIS9_EEEE10hipError_tPvRmT1_T2_T3_mT4_P12ihipStream_tbEUlT_E0_NS1_11comp_targetILNS1_3genE3ELNS1_11target_archE908ELNS1_3gpuE7ELNS1_3repE0EEENS1_30default_config_static_selectorELNS0_4arch9wavefront6targetE1EEEvS17_.num_named_barrier, 0
	.set _ZN7rocprim17ROCPRIM_400000_NS6detail17trampoline_kernelINS0_14default_configENS1_22reduce_config_selectorIN6thrust23THRUST_200600_302600_NS5tupleIblNS6_9null_typeES8_S8_S8_S8_S8_S8_S8_EEEEZNS1_11reduce_implILb1ES3_NS6_12zip_iteratorINS7_INS6_11hip_rocprim26transform_input_iterator_tIbPfNS6_6detail10functional5actorINSH_9compositeIJNSH_27transparent_binary_operatorINS6_8equal_toIvEEEENSI_INSH_8argumentILj0EEEEENSH_5valueIfEEEEEEEEENSD_19counting_iterator_tIlEES8_S8_S8_S8_S8_S8_S8_S8_EEEEPS9_S9_NSD_9__find_if7functorIS9_EEEE10hipError_tPvRmT1_T2_T3_mT4_P12ihipStream_tbEUlT_E0_NS1_11comp_targetILNS1_3genE3ELNS1_11target_archE908ELNS1_3gpuE7ELNS1_3repE0EEENS1_30default_config_static_selectorELNS0_4arch9wavefront6targetE1EEEvS17_.private_seg_size, 0
	.set _ZN7rocprim17ROCPRIM_400000_NS6detail17trampoline_kernelINS0_14default_configENS1_22reduce_config_selectorIN6thrust23THRUST_200600_302600_NS5tupleIblNS6_9null_typeES8_S8_S8_S8_S8_S8_S8_EEEEZNS1_11reduce_implILb1ES3_NS6_12zip_iteratorINS7_INS6_11hip_rocprim26transform_input_iterator_tIbPfNS6_6detail10functional5actorINSH_9compositeIJNSH_27transparent_binary_operatorINS6_8equal_toIvEEEENSI_INSH_8argumentILj0EEEEENSH_5valueIfEEEEEEEEENSD_19counting_iterator_tIlEES8_S8_S8_S8_S8_S8_S8_S8_EEEEPS9_S9_NSD_9__find_if7functorIS9_EEEE10hipError_tPvRmT1_T2_T3_mT4_P12ihipStream_tbEUlT_E0_NS1_11comp_targetILNS1_3genE3ELNS1_11target_archE908ELNS1_3gpuE7ELNS1_3repE0EEENS1_30default_config_static_selectorELNS0_4arch9wavefront6targetE1EEEvS17_.uses_vcc, 0
	.set _ZN7rocprim17ROCPRIM_400000_NS6detail17trampoline_kernelINS0_14default_configENS1_22reduce_config_selectorIN6thrust23THRUST_200600_302600_NS5tupleIblNS6_9null_typeES8_S8_S8_S8_S8_S8_S8_EEEEZNS1_11reduce_implILb1ES3_NS6_12zip_iteratorINS7_INS6_11hip_rocprim26transform_input_iterator_tIbPfNS6_6detail10functional5actorINSH_9compositeIJNSH_27transparent_binary_operatorINS6_8equal_toIvEEEENSI_INSH_8argumentILj0EEEEENSH_5valueIfEEEEEEEEENSD_19counting_iterator_tIlEES8_S8_S8_S8_S8_S8_S8_S8_EEEEPS9_S9_NSD_9__find_if7functorIS9_EEEE10hipError_tPvRmT1_T2_T3_mT4_P12ihipStream_tbEUlT_E0_NS1_11comp_targetILNS1_3genE3ELNS1_11target_archE908ELNS1_3gpuE7ELNS1_3repE0EEENS1_30default_config_static_selectorELNS0_4arch9wavefront6targetE1EEEvS17_.uses_flat_scratch, 0
	.set _ZN7rocprim17ROCPRIM_400000_NS6detail17trampoline_kernelINS0_14default_configENS1_22reduce_config_selectorIN6thrust23THRUST_200600_302600_NS5tupleIblNS6_9null_typeES8_S8_S8_S8_S8_S8_S8_EEEEZNS1_11reduce_implILb1ES3_NS6_12zip_iteratorINS7_INS6_11hip_rocprim26transform_input_iterator_tIbPfNS6_6detail10functional5actorINSH_9compositeIJNSH_27transparent_binary_operatorINS6_8equal_toIvEEEENSI_INSH_8argumentILj0EEEEENSH_5valueIfEEEEEEEEENSD_19counting_iterator_tIlEES8_S8_S8_S8_S8_S8_S8_S8_EEEEPS9_S9_NSD_9__find_if7functorIS9_EEEE10hipError_tPvRmT1_T2_T3_mT4_P12ihipStream_tbEUlT_E0_NS1_11comp_targetILNS1_3genE3ELNS1_11target_archE908ELNS1_3gpuE7ELNS1_3repE0EEENS1_30default_config_static_selectorELNS0_4arch9wavefront6targetE1EEEvS17_.has_dyn_sized_stack, 0
	.set _ZN7rocprim17ROCPRIM_400000_NS6detail17trampoline_kernelINS0_14default_configENS1_22reduce_config_selectorIN6thrust23THRUST_200600_302600_NS5tupleIblNS6_9null_typeES8_S8_S8_S8_S8_S8_S8_EEEEZNS1_11reduce_implILb1ES3_NS6_12zip_iteratorINS7_INS6_11hip_rocprim26transform_input_iterator_tIbPfNS6_6detail10functional5actorINSH_9compositeIJNSH_27transparent_binary_operatorINS6_8equal_toIvEEEENSI_INSH_8argumentILj0EEEEENSH_5valueIfEEEEEEEEENSD_19counting_iterator_tIlEES8_S8_S8_S8_S8_S8_S8_S8_EEEEPS9_S9_NSD_9__find_if7functorIS9_EEEE10hipError_tPvRmT1_T2_T3_mT4_P12ihipStream_tbEUlT_E0_NS1_11comp_targetILNS1_3genE3ELNS1_11target_archE908ELNS1_3gpuE7ELNS1_3repE0EEENS1_30default_config_static_selectorELNS0_4arch9wavefront6targetE1EEEvS17_.has_recursion, 0
	.set _ZN7rocprim17ROCPRIM_400000_NS6detail17trampoline_kernelINS0_14default_configENS1_22reduce_config_selectorIN6thrust23THRUST_200600_302600_NS5tupleIblNS6_9null_typeES8_S8_S8_S8_S8_S8_S8_EEEEZNS1_11reduce_implILb1ES3_NS6_12zip_iteratorINS7_INS6_11hip_rocprim26transform_input_iterator_tIbPfNS6_6detail10functional5actorINSH_9compositeIJNSH_27transparent_binary_operatorINS6_8equal_toIvEEEENSI_INSH_8argumentILj0EEEEENSH_5valueIfEEEEEEEEENSD_19counting_iterator_tIlEES8_S8_S8_S8_S8_S8_S8_S8_EEEEPS9_S9_NSD_9__find_if7functorIS9_EEEE10hipError_tPvRmT1_T2_T3_mT4_P12ihipStream_tbEUlT_E0_NS1_11comp_targetILNS1_3genE3ELNS1_11target_archE908ELNS1_3gpuE7ELNS1_3repE0EEENS1_30default_config_static_selectorELNS0_4arch9wavefront6targetE1EEEvS17_.has_indirect_call, 0
	.section	.AMDGPU.csdata,"",@progbits
; Kernel info:
; codeLenInByte = 0
; TotalNumSgprs: 4
; NumVgprs: 0
; ScratchSize: 0
; MemoryBound: 0
; FloatMode: 240
; IeeeMode: 1
; LDSByteSize: 0 bytes/workgroup (compile time only)
; SGPRBlocks: 0
; VGPRBlocks: 0
; NumSGPRsForWavesPerEU: 4
; NumVGPRsForWavesPerEU: 1
; Occupancy: 10
; WaveLimiterHint : 0
; COMPUTE_PGM_RSRC2:SCRATCH_EN: 0
; COMPUTE_PGM_RSRC2:USER_SGPR: 6
; COMPUTE_PGM_RSRC2:TRAP_HANDLER: 0
; COMPUTE_PGM_RSRC2:TGID_X_EN: 1
; COMPUTE_PGM_RSRC2:TGID_Y_EN: 0
; COMPUTE_PGM_RSRC2:TGID_Z_EN: 0
; COMPUTE_PGM_RSRC2:TIDIG_COMP_CNT: 0
	.section	.text._ZN7rocprim17ROCPRIM_400000_NS6detail17trampoline_kernelINS0_14default_configENS1_22reduce_config_selectorIN6thrust23THRUST_200600_302600_NS5tupleIblNS6_9null_typeES8_S8_S8_S8_S8_S8_S8_EEEEZNS1_11reduce_implILb1ES3_NS6_12zip_iteratorINS7_INS6_11hip_rocprim26transform_input_iterator_tIbPfNS6_6detail10functional5actorINSH_9compositeIJNSH_27transparent_binary_operatorINS6_8equal_toIvEEEENSI_INSH_8argumentILj0EEEEENSH_5valueIfEEEEEEEEENSD_19counting_iterator_tIlEES8_S8_S8_S8_S8_S8_S8_S8_EEEEPS9_S9_NSD_9__find_if7functorIS9_EEEE10hipError_tPvRmT1_T2_T3_mT4_P12ihipStream_tbEUlT_E0_NS1_11comp_targetILNS1_3genE2ELNS1_11target_archE906ELNS1_3gpuE6ELNS1_3repE0EEENS1_30default_config_static_selectorELNS0_4arch9wavefront6targetE1EEEvS17_,"axG",@progbits,_ZN7rocprim17ROCPRIM_400000_NS6detail17trampoline_kernelINS0_14default_configENS1_22reduce_config_selectorIN6thrust23THRUST_200600_302600_NS5tupleIblNS6_9null_typeES8_S8_S8_S8_S8_S8_S8_EEEEZNS1_11reduce_implILb1ES3_NS6_12zip_iteratorINS7_INS6_11hip_rocprim26transform_input_iterator_tIbPfNS6_6detail10functional5actorINSH_9compositeIJNSH_27transparent_binary_operatorINS6_8equal_toIvEEEENSI_INSH_8argumentILj0EEEEENSH_5valueIfEEEEEEEEENSD_19counting_iterator_tIlEES8_S8_S8_S8_S8_S8_S8_S8_EEEEPS9_S9_NSD_9__find_if7functorIS9_EEEE10hipError_tPvRmT1_T2_T3_mT4_P12ihipStream_tbEUlT_E0_NS1_11comp_targetILNS1_3genE2ELNS1_11target_archE906ELNS1_3gpuE6ELNS1_3repE0EEENS1_30default_config_static_selectorELNS0_4arch9wavefront6targetE1EEEvS17_,comdat
	.protected	_ZN7rocprim17ROCPRIM_400000_NS6detail17trampoline_kernelINS0_14default_configENS1_22reduce_config_selectorIN6thrust23THRUST_200600_302600_NS5tupleIblNS6_9null_typeES8_S8_S8_S8_S8_S8_S8_EEEEZNS1_11reduce_implILb1ES3_NS6_12zip_iteratorINS7_INS6_11hip_rocprim26transform_input_iterator_tIbPfNS6_6detail10functional5actorINSH_9compositeIJNSH_27transparent_binary_operatorINS6_8equal_toIvEEEENSI_INSH_8argumentILj0EEEEENSH_5valueIfEEEEEEEEENSD_19counting_iterator_tIlEES8_S8_S8_S8_S8_S8_S8_S8_EEEEPS9_S9_NSD_9__find_if7functorIS9_EEEE10hipError_tPvRmT1_T2_T3_mT4_P12ihipStream_tbEUlT_E0_NS1_11comp_targetILNS1_3genE2ELNS1_11target_archE906ELNS1_3gpuE6ELNS1_3repE0EEENS1_30default_config_static_selectorELNS0_4arch9wavefront6targetE1EEEvS17_ ; -- Begin function _ZN7rocprim17ROCPRIM_400000_NS6detail17trampoline_kernelINS0_14default_configENS1_22reduce_config_selectorIN6thrust23THRUST_200600_302600_NS5tupleIblNS6_9null_typeES8_S8_S8_S8_S8_S8_S8_EEEEZNS1_11reduce_implILb1ES3_NS6_12zip_iteratorINS7_INS6_11hip_rocprim26transform_input_iterator_tIbPfNS6_6detail10functional5actorINSH_9compositeIJNSH_27transparent_binary_operatorINS6_8equal_toIvEEEENSI_INSH_8argumentILj0EEEEENSH_5valueIfEEEEEEEEENSD_19counting_iterator_tIlEES8_S8_S8_S8_S8_S8_S8_S8_EEEEPS9_S9_NSD_9__find_if7functorIS9_EEEE10hipError_tPvRmT1_T2_T3_mT4_P12ihipStream_tbEUlT_E0_NS1_11comp_targetILNS1_3genE2ELNS1_11target_archE906ELNS1_3gpuE6ELNS1_3repE0EEENS1_30default_config_static_selectorELNS0_4arch9wavefront6targetE1EEEvS17_
	.globl	_ZN7rocprim17ROCPRIM_400000_NS6detail17trampoline_kernelINS0_14default_configENS1_22reduce_config_selectorIN6thrust23THRUST_200600_302600_NS5tupleIblNS6_9null_typeES8_S8_S8_S8_S8_S8_S8_EEEEZNS1_11reduce_implILb1ES3_NS6_12zip_iteratorINS7_INS6_11hip_rocprim26transform_input_iterator_tIbPfNS6_6detail10functional5actorINSH_9compositeIJNSH_27transparent_binary_operatorINS6_8equal_toIvEEEENSI_INSH_8argumentILj0EEEEENSH_5valueIfEEEEEEEEENSD_19counting_iterator_tIlEES8_S8_S8_S8_S8_S8_S8_S8_EEEEPS9_S9_NSD_9__find_if7functorIS9_EEEE10hipError_tPvRmT1_T2_T3_mT4_P12ihipStream_tbEUlT_E0_NS1_11comp_targetILNS1_3genE2ELNS1_11target_archE906ELNS1_3gpuE6ELNS1_3repE0EEENS1_30default_config_static_selectorELNS0_4arch9wavefront6targetE1EEEvS17_
	.p2align	8
	.type	_ZN7rocprim17ROCPRIM_400000_NS6detail17trampoline_kernelINS0_14default_configENS1_22reduce_config_selectorIN6thrust23THRUST_200600_302600_NS5tupleIblNS6_9null_typeES8_S8_S8_S8_S8_S8_S8_EEEEZNS1_11reduce_implILb1ES3_NS6_12zip_iteratorINS7_INS6_11hip_rocprim26transform_input_iterator_tIbPfNS6_6detail10functional5actorINSH_9compositeIJNSH_27transparent_binary_operatorINS6_8equal_toIvEEEENSI_INSH_8argumentILj0EEEEENSH_5valueIfEEEEEEEEENSD_19counting_iterator_tIlEES8_S8_S8_S8_S8_S8_S8_S8_EEEEPS9_S9_NSD_9__find_if7functorIS9_EEEE10hipError_tPvRmT1_T2_T3_mT4_P12ihipStream_tbEUlT_E0_NS1_11comp_targetILNS1_3genE2ELNS1_11target_archE906ELNS1_3gpuE6ELNS1_3repE0EEENS1_30default_config_static_selectorELNS0_4arch9wavefront6targetE1EEEvS17_,@function
_ZN7rocprim17ROCPRIM_400000_NS6detail17trampoline_kernelINS0_14default_configENS1_22reduce_config_selectorIN6thrust23THRUST_200600_302600_NS5tupleIblNS6_9null_typeES8_S8_S8_S8_S8_S8_S8_EEEEZNS1_11reduce_implILb1ES3_NS6_12zip_iteratorINS7_INS6_11hip_rocprim26transform_input_iterator_tIbPfNS6_6detail10functional5actorINSH_9compositeIJNSH_27transparent_binary_operatorINS6_8equal_toIvEEEENSI_INSH_8argumentILj0EEEEENSH_5valueIfEEEEEEEEENSD_19counting_iterator_tIlEES8_S8_S8_S8_S8_S8_S8_S8_EEEEPS9_S9_NSD_9__find_if7functorIS9_EEEE10hipError_tPvRmT1_T2_T3_mT4_P12ihipStream_tbEUlT_E0_NS1_11comp_targetILNS1_3genE2ELNS1_11target_archE906ELNS1_3gpuE6ELNS1_3repE0EEENS1_30default_config_static_selectorELNS0_4arch9wavefront6targetE1EEEvS17_: ; @_ZN7rocprim17ROCPRIM_400000_NS6detail17trampoline_kernelINS0_14default_configENS1_22reduce_config_selectorIN6thrust23THRUST_200600_302600_NS5tupleIblNS6_9null_typeES8_S8_S8_S8_S8_S8_S8_EEEEZNS1_11reduce_implILb1ES3_NS6_12zip_iteratorINS7_INS6_11hip_rocprim26transform_input_iterator_tIbPfNS6_6detail10functional5actorINSH_9compositeIJNSH_27transparent_binary_operatorINS6_8equal_toIvEEEENSI_INSH_8argumentILj0EEEEENSH_5valueIfEEEEEEEEENSD_19counting_iterator_tIlEES8_S8_S8_S8_S8_S8_S8_S8_EEEEPS9_S9_NSD_9__find_if7functorIS9_EEEE10hipError_tPvRmT1_T2_T3_mT4_P12ihipStream_tbEUlT_E0_NS1_11comp_targetILNS1_3genE2ELNS1_11target_archE906ELNS1_3gpuE6ELNS1_3repE0EEENS1_30default_config_static_selectorELNS0_4arch9wavefront6targetE1EEEvS17_
; %bb.0:
	s_load_dwordx8 s[12:19], s[4:5], 0x10
	s_load_dwordx2 s[0:1], s[4:5], 0x0
	s_load_dword s28, s[4:5], 0xc
	s_load_dwordx4 s[20:23], s[4:5], 0x30
	s_mov_b32 s27, 0
	s_waitcnt lgkmcnt(0)
	s_lshl_b64 s[2:3], s[14:15], 2
	s_add_u32 s8, s0, s2
	s_addc_u32 s9, s1, s3
	s_lshl_b32 s26, s6, 8
	s_lshr_b64 s[0:1], s[16:17], 8
	s_lshl_b64 s[2:3], s[26:27], 2
	s_add_u32 s24, s8, s2
	s_addc_u32 s25, s9, s3
	s_add_u32 s2, s12, s26
	s_addc_u32 s3, s13, 0
	s_add_u32 s14, s2, s14
	s_mov_b32 s7, s27
	s_addc_u32 s15, s3, s15
	s_cmp_lg_u64 s[0:1], s[6:7]
	v_lshlrev_b32_e32 v9, 2, v0
	v_mbcnt_lo_u32_b32 v8, -1, 0
	s_cbranch_scc0 .LBB1946_10
; %bb.1:
	global_load_dword v1, v9, s[24:25] offset:512
	global_load_dword v2, v9, s[24:25]
	v_mov_b32_e32 v4, s15
	v_add_co_u32_e32 v6, vcc, s14, v0
	v_addc_co_u32_e32 v4, vcc, 0, v4, vcc
	v_add_co_u32_e32 v7, vcc, 0x80, v6
	v_addc_co_u32_e32 v10, vcc, 0, v4, vcc
	v_mbcnt_hi_u32_b32 v3, -1, v8
	v_lshlrev_b32_e32 v5, 2, v3
	v_or_b32_e32 v12, 0xfc, v5
	s_waitcnt vmcnt(1)
	v_cmp_eq_f32_e32 vcc, s28, v1
	s_waitcnt vmcnt(0)
	v_cmp_eq_f32_e64 s[0:1], s28, v2
	v_cndmask_b32_e64 v2, v10, v4, s[0:1]
	v_cndmask_b32_e64 v1, v7, v6, s[0:1]
	s_or_b64 s[0:1], s[0:1], vcc
	v_mov_b32_dpp v7, v2 quad_perm:[1,0,3,2] row_mask:0xf bank_mask:0xf bound_ctrl:1
	v_mov_b32_dpp v6, v1 quad_perm:[1,0,3,2] row_mask:0xf bank_mask:0xf bound_ctrl:1
	v_cndmask_b32_e64 v4, 0, 1, s[0:1]
	v_cmp_lt_i64_e32 vcc, v[1:2], v[6:7]
	s_and_b64 vcc, s[0:1], vcc
	v_mov_b32_dpp v10, v4 quad_perm:[1,0,3,2] row_mask:0xf bank_mask:0xf bound_ctrl:1
	v_and_b32_e32 v10, 1, v10
	v_cndmask_b32_e32 v6, v6, v1, vcc
	v_cndmask_b32_e32 v7, v7, v2, vcc
	v_cmp_eq_u32_e32 vcc, 1, v10
	v_cndmask_b32_e32 v2, v2, v7, vcc
	v_cndmask_b32_e32 v1, v1, v6, vcc
	v_cndmask_b32_e64 v4, v4, 1, vcc
	v_mov_b32_dpp v7, v2 quad_perm:[2,3,0,1] row_mask:0xf bank_mask:0xf bound_ctrl:1
	v_mov_b32_dpp v6, v1 quad_perm:[2,3,0,1] row_mask:0xf bank_mask:0xf bound_ctrl:1
	v_and_b32_e32 v11, 1, v4
	v_cmp_lt_i64_e64 s[0:1], v[1:2], v[6:7]
	v_mov_b32_dpp v10, v4 quad_perm:[2,3,0,1] row_mask:0xf bank_mask:0xf bound_ctrl:1
	v_cmp_eq_u32_e32 vcc, 1, v11
	v_and_b32_e32 v10, 1, v10
	s_and_b64 vcc, vcc, s[0:1]
	v_cmp_eq_u32_e64 s[2:3], 1, v10
	v_cndmask_b32_e32 v6, v6, v1, vcc
	v_cndmask_b32_e32 v7, v7, v2, vcc
	v_cndmask_b32_e64 v1, v1, v6, s[2:3]
	v_cndmask_b32_e64 v2, v2, v7, s[2:3]
	;; [unrolled: 1-line block ×3, first 2 shown]
	v_mov_b32_dpp v6, v1 row_ror:4 row_mask:0xf bank_mask:0xf bound_ctrl:1
	v_mov_b32_dpp v7, v2 row_ror:4 row_mask:0xf bank_mask:0xf bound_ctrl:1
	v_and_b32_e32 v11, 1, v4
	v_cmp_lt_i64_e64 s[2:3], v[1:2], v[6:7]
	v_mov_b32_dpp v10, v4 row_ror:4 row_mask:0xf bank_mask:0xf bound_ctrl:1
	v_cmp_eq_u32_e32 vcc, 1, v11
	v_and_b32_e32 v10, 1, v10
	s_and_b64 vcc, vcc, s[2:3]
	v_cmp_eq_u32_e64 s[0:1], 1, v10
	v_cndmask_b32_e32 v6, v6, v1, vcc
	v_cndmask_b32_e32 v7, v7, v2, vcc
	v_cndmask_b32_e64 v1, v1, v6, s[0:1]
	v_cndmask_b32_e64 v2, v2, v7, s[0:1]
	;; [unrolled: 1-line block ×3, first 2 shown]
	v_mov_b32_dpp v6, v1 row_ror:8 row_mask:0xf bank_mask:0xf bound_ctrl:1
	v_mov_b32_dpp v7, v2 row_ror:8 row_mask:0xf bank_mask:0xf bound_ctrl:1
	v_and_b32_e32 v11, 1, v4
	v_cmp_lt_i64_e64 s[2:3], v[1:2], v[6:7]
	v_mov_b32_dpp v10, v4 row_ror:8 row_mask:0xf bank_mask:0xf bound_ctrl:1
	v_cmp_eq_u32_e64 s[8:9], 1, v11
	v_and_b32_e32 v10, 1, v10
	s_and_b64 s[2:3], s[8:9], s[2:3]
	v_cmp_eq_u32_e64 s[10:11], 1, v10
	v_cndmask_b32_e64 v6, v6, v1, s[2:3]
	v_cndmask_b32_e64 v7, v7, v2, s[2:3]
	;; [unrolled: 1-line block ×5, first 2 shown]
	v_mov_b32_dpp v10, v4 row_bcast:15 row_mask:0xf bank_mask:0xf bound_ctrl:1
	v_mov_b32_dpp v6, v1 row_bcast:15 row_mask:0xf bank_mask:0xf bound_ctrl:1
	v_mov_b32_dpp v7, v2 row_bcast:15 row_mask:0xf bank_mask:0xf bound_ctrl:1
	v_and_b32_e32 v11, 1, v4
	v_and_b32_e32 v10, 1, v10
	v_cmp_lt_i64_e64 s[2:3], v[1:2], v[6:7]
	v_cmp_eq_u32_e32 vcc, 1, v11
	v_cmp_eq_u32_e64 s[0:1], 1, v10
	v_cndmask_b32_e64 v4, v4, 1, s[0:1]
	s_and_b64 vcc, vcc, s[2:3]
	v_cndmask_b32_e32 v6, v6, v1, vcc
	v_mov_b32_dpp v10, v4 row_bcast:31 row_mask:0xf bank_mask:0xf bound_ctrl:1
	v_cndmask_b32_e32 v7, v7, v2, vcc
	v_and_b32_e32 v11, 1, v4
	v_and_b32_e32 v10, 1, v10
	v_cndmask_b32_e64 v1, v1, v6, s[0:1]
	v_cndmask_b32_e64 v2, v2, v7, s[0:1]
	v_cmp_eq_u32_e64 s[12:13], 1, v11
	v_cmp_eq_u32_e64 s[8:9], 1, v10
	v_mov_b32_dpp v10, v1 row_bcast:31 row_mask:0xf bank_mask:0xf bound_ctrl:1
	v_mov_b32_dpp v11, v2 row_bcast:31 row_mask:0xf bank_mask:0xf bound_ctrl:1
	v_cmp_lt_i64_e32 vcc, v[1:2], v[10:11]
	v_cndmask_b32_e64 v4, v4, 1, s[8:9]
	s_and_b64 vcc, s[12:13], vcc
	ds_bpermute_b32 v7, v12, v4
	v_cndmask_b32_e32 v4, v10, v1, vcc
	v_cndmask_b32_e32 v6, v11, v2, vcc
	v_cndmask_b32_e64 v1, v1, v4, s[8:9]
	v_cndmask_b32_e64 v2, v2, v6, s[8:9]
	ds_bpermute_b32 v1, v12, v1
	ds_bpermute_b32 v2, v12, v2
	v_cmp_eq_u32_e32 vcc, 0, v3
	s_and_saveexec_b64 s[0:1], vcc
	s_cbranch_execz .LBB1946_3
; %bb.2:
	v_lshrrev_b32_e32 v4, 2, v0
	v_and_b32_e32 v4, 16, v4
	s_waitcnt lgkmcnt(2)
	ds_write_b8 v4, v7
	s_waitcnt lgkmcnt(1)
	ds_write_b64 v4, v[1:2] offset:8
.LBB1946_3:
	s_or_b64 exec, exec, s[0:1]
	v_cmp_gt_u32_e32 vcc, 64, v0
	s_waitcnt lgkmcnt(0)
	s_barrier
	s_and_saveexec_b64 s[0:1], vcc
	s_cbranch_execz .LBB1946_9
; %bb.4:
	v_and_b32_e32 v1, 1, v3
	v_lshlrev_b32_e32 v1, 4, v1
	ds_read_u8 v10, v1
	ds_read_b64 v[3:4], v1 offset:8
	v_or_b32_e32 v2, 4, v5
	s_waitcnt lgkmcnt(1)
	v_and_b32_e32 v1, 0xff, v10
	ds_bpermute_b32 v11, v2, v1
	s_waitcnt lgkmcnt(1)
	ds_bpermute_b32 v5, v2, v3
	ds_bpermute_b32 v6, v2, v4
	s_waitcnt lgkmcnt(2)
	v_and_b32_e32 v1, v10, v11
	v_and_b32_e32 v1, 1, v1
	v_cmp_eq_u32_e32 vcc, 1, v1
                                        ; implicit-def: $vgpr1_vgpr2
	s_and_saveexec_b64 s[2:3], vcc
	s_xor_b64 s[2:3], exec, s[2:3]
	s_cbranch_execz .LBB1946_6
; %bb.5:
	s_waitcnt lgkmcnt(0)
	v_cmp_lt_i64_e32 vcc, v[5:6], v[3:4]
                                        ; implicit-def: $vgpr10
                                        ; implicit-def: $vgpr11
	v_cndmask_b32_e32 v2, v4, v6, vcc
	v_cndmask_b32_e32 v1, v3, v5, vcc
                                        ; implicit-def: $vgpr5_vgpr6
                                        ; implicit-def: $vgpr3_vgpr4
.LBB1946_6:
	s_or_saveexec_b64 s[2:3], s[2:3]
	v_mov_b32_e32 v7, 1
	s_xor_b64 exec, exec, s[2:3]
	s_cbranch_execz .LBB1946_8
; %bb.7:
	v_and_b32_e32 v1, 1, v10
	v_cmp_eq_u32_e32 vcc, 1, v1
	s_waitcnt lgkmcnt(0)
	v_cndmask_b32_e32 v2, v6, v4, vcc
	v_cndmask_b32_e32 v1, v5, v3, vcc
	v_cndmask_b32_e64 v7, v11, 1, vcc
.LBB1946_8:
	s_or_b64 exec, exec, s[2:3]
.LBB1946_9:
	s_or_b64 exec, exec, s[0:1]
	s_load_dword s10, s[4:5], 0x40
	s_load_dwordx2 s[8:9], s[4:5], 0x48
	s_branch .LBB1946_62
.LBB1946_10:
                                        ; implicit-def: $vgpr1_vgpr2
                                        ; implicit-def: $vgpr7
	s_load_dword s10, s[4:5], 0x40
	s_load_dwordx2 s[8:9], s[4:5], 0x48
	s_cbranch_execz .LBB1946_62
; %bb.11:
	s_sub_i32 s11, s16, s26
	v_mov_b32_e32 v3, 0
	v_mov_b32_e32 v1, 0
	v_cmp_gt_u32_e32 vcc, s11, v0
	s_waitcnt lgkmcnt(0)
	v_mov_b32_e32 v5, 0
	v_mov_b32_e32 v4, 0
	;; [unrolled: 1-line block ×4, first 2 shown]
	s_and_saveexec_b64 s[0:1], vcc
	s_cbranch_execz .LBB1946_13
; %bb.12:
	global_load_dword v6, v9, s[24:25]
	v_mov_b32_e32 v2, s15
	v_add_co_u32_e32 v1, vcc, s14, v0
	v_addc_co_u32_e32 v2, vcc, 0, v2, vcc
	s_waitcnt vmcnt(0)
	v_cmp_eq_f32_e32 vcc, s28, v6
	v_cndmask_b32_e64 v6, 0, 1, vcc
.LBB1946_13:
	s_or_b64 exec, exec, s[0:1]
	v_or_b32_e32 v7, 0x80, v0
	v_cmp_gt_u32_e32 vcc, s11, v7
	s_and_saveexec_b64 s[2:3], vcc
	s_cbranch_execz .LBB1946_15
; %bb.14:
	global_load_dword v5, v9, s[24:25] offset:512
	v_mov_b32_e32 v4, s15
	v_add_co_u32_e64 v3, s[0:1], s14, v7
	v_addc_co_u32_e64 v4, s[0:1], 0, v4, s[0:1]
	s_waitcnt vmcnt(0)
	v_cmp_eq_f32_e64 s[0:1], s28, v5
	v_cndmask_b32_e64 v5, 0, 1, s[0:1]
.LBB1946_15:
	s_or_b64 exec, exec, s[2:3]
	v_and_b32_e32 v9, 0xffff, v5
	v_and_b32_e32 v5, 1, v5
	v_cmp_eq_u32_e64 s[0:1], 1, v5
	v_and_b32_e32 v5, 1, v6
	v_cmp_lt_i64_e64 s[2:3], v[3:4], v[1:2]
	v_cmp_eq_u32_e64 s[4:5], 1, v5
	v_and_b32_e32 v7, 0xffff, v6
	v_cndmask_b32_e64 v5, v9, 1, s[4:5]
	s_and_b64 s[0:1], s[0:1], s[2:3]
	v_cndmask_b32_e64 v6, v2, v4, s[0:1]
	v_cndmask_b32_e64 v9, v1, v3, s[0:1]
	v_cndmask_b32_e32 v7, v7, v5, vcc
	v_mbcnt_hi_u32_b32 v5, -1, v8
	v_cndmask_b32_e64 v3, v3, v9, s[4:5]
	v_cndmask_b32_e64 v4, v4, v6, s[4:5]
	v_and_b32_e32 v6, 63, v5
	v_cndmask_b32_e32 v2, v2, v4, vcc
	v_cndmask_b32_e32 v1, v1, v3, vcc
	v_cmp_ne_u32_e32 vcc, 63, v6
	v_addc_co_u32_e32 v3, vcc, 0, v5, vcc
	v_lshlrev_b32_e32 v4, 2, v3
	ds_bpermute_b32 v9, v4, v7
	ds_bpermute_b32 v3, v4, v1
	;; [unrolled: 1-line block ×3, first 2 shown]
	s_min_u32 s4, s11, 0x80
	v_and_b32_e32 v8, 64, v0
	v_sub_u32_e64 v8, s4, v8 clamp
	v_add_u32_e32 v10, 1, v6
	v_cmp_lt_u32_e32 vcc, v10, v8
	s_and_saveexec_b64 s[0:1], vcc
	s_cbranch_execz .LBB1946_21
; %bb.16:
	s_waitcnt lgkmcnt(2)
	v_and_b32_e32 v10, v9, v7
	v_cmp_ne_u32_e32 vcc, 0, v10
	s_and_saveexec_b64 s[2:3], vcc
	s_xor_b64 s[2:3], exec, s[2:3]
	s_cbranch_execz .LBB1946_18
; %bb.17:
	s_waitcnt lgkmcnt(0)
	v_cmp_lt_i64_e32 vcc, v[3:4], v[1:2]
                                        ; implicit-def: $vgpr7
                                        ; implicit-def: $vgpr9
	v_cndmask_b32_e32 v2, v2, v4, vcc
	v_cndmask_b32_e32 v1, v1, v3, vcc
                                        ; implicit-def: $vgpr3_vgpr4
.LBB1946_18:
	s_or_saveexec_b64 s[2:3], s[2:3]
	v_mov_b32_e32 v10, 1
	s_xor_b64 exec, exec, s[2:3]
	s_cbranch_execz .LBB1946_20
; %bb.19:
	v_and_b32_e32 v7, 1, v7
	v_cmp_eq_u32_e32 vcc, 1, v7
	s_waitcnt lgkmcnt(1)
	v_cndmask_b32_e32 v1, v3, v1, vcc
	v_and_b32_e32 v3, 0xff, v9
	s_waitcnt lgkmcnt(0)
	v_cndmask_b32_e32 v2, v4, v2, vcc
	v_cndmask_b32_e64 v10, v3, 1, vcc
.LBB1946_20:
	s_or_b64 exec, exec, s[2:3]
	v_mov_b32_e32 v7, v10
.LBB1946_21:
	s_or_b64 exec, exec, s[0:1]
	v_cmp_gt_u32_e32 vcc, 62, v6
	s_waitcnt lgkmcnt(1)
	v_cndmask_b32_e64 v3, 0, 2, vcc
	s_waitcnt lgkmcnt(0)
	v_add_lshl_u32 v4, v3, v5, 2
	ds_bpermute_b32 v9, v4, v7
	ds_bpermute_b32 v3, v4, v1
	ds_bpermute_b32 v4, v4, v2
	v_add_u32_e32 v10, 2, v6
	v_cmp_lt_u32_e32 vcc, v10, v8
	s_and_saveexec_b64 s[0:1], vcc
	s_cbranch_execz .LBB1946_27
; %bb.22:
	s_waitcnt lgkmcnt(2)
	v_and_b32_e32 v10, v7, v9
	v_and_b32_e32 v10, 1, v10
	v_cmp_eq_u32_e32 vcc, 1, v10
	s_and_saveexec_b64 s[2:3], vcc
	s_xor_b64 s[2:3], exec, s[2:3]
	s_cbranch_execz .LBB1946_24
; %bb.23:
	s_waitcnt lgkmcnt(0)
	v_cmp_lt_i64_e32 vcc, v[3:4], v[1:2]
                                        ; implicit-def: $vgpr7
                                        ; implicit-def: $vgpr9
	v_cndmask_b32_e32 v2, v2, v4, vcc
	v_cndmask_b32_e32 v1, v1, v3, vcc
                                        ; implicit-def: $vgpr3_vgpr4
.LBB1946_24:
	s_or_saveexec_b64 s[2:3], s[2:3]
	v_mov_b32_e32 v10, 1
	s_xor_b64 exec, exec, s[2:3]
	s_cbranch_execz .LBB1946_26
; %bb.25:
	v_and_b32_e32 v7, 1, v7
	v_cmp_eq_u32_e32 vcc, 1, v7
	s_waitcnt lgkmcnt(1)
	v_cndmask_b32_e32 v1, v3, v1, vcc
	v_and_b32_e32 v3, 0xff, v9
	s_waitcnt lgkmcnt(0)
	v_cndmask_b32_e32 v2, v4, v2, vcc
	v_cndmask_b32_e64 v10, v3, 1, vcc
.LBB1946_26:
	s_or_b64 exec, exec, s[2:3]
	v_mov_b32_e32 v7, v10
.LBB1946_27:
	s_or_b64 exec, exec, s[0:1]
	v_cmp_gt_u32_e32 vcc, 60, v6
	s_waitcnt lgkmcnt(1)
	v_cndmask_b32_e64 v3, 0, 4, vcc
	s_waitcnt lgkmcnt(0)
	v_add_lshl_u32 v4, v3, v5, 2
	ds_bpermute_b32 v9, v4, v7
	ds_bpermute_b32 v3, v4, v1
	ds_bpermute_b32 v4, v4, v2
	v_add_u32_e32 v10, 4, v6
	v_cmp_lt_u32_e32 vcc, v10, v8
	s_and_saveexec_b64 s[0:1], vcc
	s_cbranch_execz .LBB1946_33
; %bb.28:
	s_waitcnt lgkmcnt(2)
	v_and_b32_e32 v10, v7, v9
	v_and_b32_e32 v10, 1, v10
	v_cmp_eq_u32_e32 vcc, 1, v10
	s_and_saveexec_b64 s[2:3], vcc
	s_xor_b64 s[2:3], exec, s[2:3]
	s_cbranch_execz .LBB1946_30
; %bb.29:
	s_waitcnt lgkmcnt(0)
	v_cmp_lt_i64_e32 vcc, v[3:4], v[1:2]
                                        ; implicit-def: $vgpr7
                                        ; implicit-def: $vgpr9
	v_cndmask_b32_e32 v2, v2, v4, vcc
	v_cndmask_b32_e32 v1, v1, v3, vcc
                                        ; implicit-def: $vgpr3_vgpr4
.LBB1946_30:
	s_or_saveexec_b64 s[2:3], s[2:3]
	v_mov_b32_e32 v10, 1
	s_xor_b64 exec, exec, s[2:3]
	s_cbranch_execz .LBB1946_32
; %bb.31:
	v_and_b32_e32 v7, 1, v7
	v_cmp_eq_u32_e32 vcc, 1, v7
	s_waitcnt lgkmcnt(1)
	v_cndmask_b32_e32 v1, v3, v1, vcc
	v_and_b32_e32 v3, 0xff, v9
	s_waitcnt lgkmcnt(0)
	v_cndmask_b32_e32 v2, v4, v2, vcc
	v_cndmask_b32_e64 v10, v3, 1, vcc
.LBB1946_32:
	s_or_b64 exec, exec, s[2:3]
	v_mov_b32_e32 v7, v10
.LBB1946_33:
	;; [unrolled: 47-line block ×4, first 2 shown]
	s_or_b64 exec, exec, s[0:1]
	s_waitcnt lgkmcnt(2)
	v_lshlrev_b32_e32 v9, 2, v5
	s_waitcnt lgkmcnt(0)
	v_or_b32_e32 v4, 0x80, v9
	ds_bpermute_b32 v10, v4, v7
	ds_bpermute_b32 v3, v4, v1
	;; [unrolled: 1-line block ×3, first 2 shown]
	v_add_u32_e32 v6, 32, v6
	v_cmp_lt_u32_e32 vcc, v6, v8
	v_mov_b32_e32 v6, v7
	s_and_saveexec_b64 s[0:1], vcc
	s_cbranch_execz .LBB1946_51
; %bb.46:
	s_waitcnt lgkmcnt(2)
	v_and_b32_e32 v6, v7, v10
	v_and_b32_e32 v6, 1, v6
	v_cmp_eq_u32_e32 vcc, 1, v6
	s_and_saveexec_b64 s[2:3], vcc
	s_xor_b64 s[2:3], exec, s[2:3]
	s_cbranch_execz .LBB1946_48
; %bb.47:
	s_waitcnt lgkmcnt(0)
	v_cmp_lt_i64_e32 vcc, v[3:4], v[1:2]
                                        ; implicit-def: $vgpr7
                                        ; implicit-def: $vgpr10
	v_cndmask_b32_e32 v2, v2, v4, vcc
	v_cndmask_b32_e32 v1, v1, v3, vcc
                                        ; implicit-def: $vgpr3_vgpr4
.LBB1946_48:
	s_or_saveexec_b64 s[2:3], s[2:3]
	v_mov_b32_e32 v6, 1
	s_xor_b64 exec, exec, s[2:3]
	s_cbranch_execz .LBB1946_50
; %bb.49:
	v_and_b32_e32 v6, 1, v7
	v_cmp_eq_u32_e32 vcc, 1, v6
	v_cndmask_b32_e64 v6, v10, 1, vcc
	s_waitcnt lgkmcnt(0)
	v_cndmask_b32_e32 v2, v4, v2, vcc
	v_cndmask_b32_e32 v1, v3, v1, vcc
.LBB1946_50:
	s_or_b64 exec, exec, s[2:3]
	v_and_b32_e32 v7, 0xff, v6
.LBB1946_51:
	s_or_b64 exec, exec, s[0:1]
	v_cmp_eq_u32_e32 vcc, 0, v5
	s_and_saveexec_b64 s[0:1], vcc
	s_cbranch_execz .LBB1946_53
; %bb.52:
	s_waitcnt lgkmcnt(1)
	v_lshrrev_b32_e32 v3, 2, v0
	v_and_b32_e32 v3, 16, v3
	ds_write_b8 v3, v6 offset:32
	ds_write_b64 v3, v[1:2] offset:40
.LBB1946_53:
	s_or_b64 exec, exec, s[0:1]
	v_cmp_gt_u32_e32 vcc, 2, v0
	s_waitcnt lgkmcnt(0)
	s_barrier
	s_and_saveexec_b64 s[0:1], vcc
	s_cbranch_execz .LBB1946_61
; %bb.54:
	v_lshlrev_b32_e32 v1, 4, v5
	ds_read_u8 v6, v1 offset:32
	ds_read_b64 v[1:2], v1 offset:40
	v_or_b32_e32 v4, 4, v9
	s_add_i32 s4, s4, 63
	v_and_b32_e32 v5, 1, v5
	s_waitcnt lgkmcnt(1)
	v_and_b32_e32 v7, 0xff, v6
	s_waitcnt lgkmcnt(0)
	ds_bpermute_b32 v3, v4, v1
	ds_bpermute_b32 v8, v4, v7
	;; [unrolled: 1-line block ×3, first 2 shown]
	s_lshr_b32 s2, s4, 6
	v_add_u32_e32 v5, 1, v5
	v_cmp_gt_u32_e32 vcc, s2, v5
	s_and_saveexec_b64 s[2:3], vcc
	s_cbranch_execz .LBB1946_60
; %bb.55:
	s_waitcnt lgkmcnt(1)
	v_and_b32_e32 v5, v7, v8
	v_and_b32_e32 v5, 1, v5
	v_cmp_eq_u32_e32 vcc, 1, v5
	s_and_saveexec_b64 s[4:5], vcc
	s_xor_b64 s[4:5], exec, s[4:5]
	s_cbranch_execz .LBB1946_57
; %bb.56:
	s_waitcnt lgkmcnt(0)
	v_cmp_lt_i64_e32 vcc, v[3:4], v[1:2]
                                        ; implicit-def: $vgpr6
                                        ; implicit-def: $vgpr8
	v_cndmask_b32_e32 v2, v2, v4, vcc
	v_cndmask_b32_e32 v1, v1, v3, vcc
                                        ; implicit-def: $vgpr3_vgpr4
.LBB1946_57:
	s_or_saveexec_b64 s[4:5], s[4:5]
	v_mov_b32_e32 v7, 1
	s_xor_b64 exec, exec, s[4:5]
	s_cbranch_execz .LBB1946_59
; %bb.58:
	v_and_b32_e32 v5, 1, v6
	v_cmp_eq_u32_e32 vcc, 1, v5
	s_waitcnt lgkmcnt(0)
	v_cndmask_b32_e32 v2, v4, v2, vcc
	v_cndmask_b32_e32 v1, v3, v1, vcc
	v_cndmask_b32_e64 v7, v8, 1, vcc
.LBB1946_59:
	s_or_b64 exec, exec, s[4:5]
.LBB1946_60:
	s_or_b64 exec, exec, s[2:3]
.LBB1946_61:
	s_or_b64 exec, exec, s[0:1]
.LBB1946_62:
	v_cmp_eq_u32_e32 vcc, 0, v0
	s_and_saveexec_b64 s[0:1], vcc
	s_cbranch_execnz .LBB1946_64
; %bb.63:
	s_endpgm
.LBB1946_64:
	s_mul_i32 s0, s22, s21
	s_mul_hi_u32 s1, s22, s20
	s_add_i32 s0, s1, s0
	s_mul_i32 s1, s23, s20
	s_add_i32 s1, s0, s1
	s_mul_i32 s0, s22, s20
	s_lshl_b64 s[0:1], s[0:1], 4
	s_add_u32 s2, s18, s0
	s_addc_u32 s3, s19, s1
	s_cmp_eq_u64 s[16:17], 0
	s_waitcnt lgkmcnt(0)
	v_mov_b32_e32 v0, s9
	s_cselect_b64 vcc, -1, 0
	v_cndmask_b32_e32 v2, v2, v0, vcc
	v_mov_b32_e32 v0, s8
	s_lshl_b64 s[0:1], s[6:7], 4
	v_cndmask_b32_e32 v1, v1, v0, vcc
	v_mov_b32_e32 v0, s10
	s_add_u32 s0, s2, s0
	v_cndmask_b32_e32 v0, v7, v0, vcc
	s_addc_u32 s1, s3, s1
	v_mov_b32_e32 v3, 0
	global_store_byte v3, v0, s[0:1]
	global_store_dwordx2 v3, v[1:2], s[0:1] offset:8
	s_endpgm
	.section	.rodata,"a",@progbits
	.p2align	6, 0x0
	.amdhsa_kernel _ZN7rocprim17ROCPRIM_400000_NS6detail17trampoline_kernelINS0_14default_configENS1_22reduce_config_selectorIN6thrust23THRUST_200600_302600_NS5tupleIblNS6_9null_typeES8_S8_S8_S8_S8_S8_S8_EEEEZNS1_11reduce_implILb1ES3_NS6_12zip_iteratorINS7_INS6_11hip_rocprim26transform_input_iterator_tIbPfNS6_6detail10functional5actorINSH_9compositeIJNSH_27transparent_binary_operatorINS6_8equal_toIvEEEENSI_INSH_8argumentILj0EEEEENSH_5valueIfEEEEEEEEENSD_19counting_iterator_tIlEES8_S8_S8_S8_S8_S8_S8_S8_EEEEPS9_S9_NSD_9__find_if7functorIS9_EEEE10hipError_tPvRmT1_T2_T3_mT4_P12ihipStream_tbEUlT_E0_NS1_11comp_targetILNS1_3genE2ELNS1_11target_archE906ELNS1_3gpuE6ELNS1_3repE0EEENS1_30default_config_static_selectorELNS0_4arch9wavefront6targetE1EEEvS17_
		.amdhsa_group_segment_fixed_size 64
		.amdhsa_private_segment_fixed_size 0
		.amdhsa_kernarg_size 88
		.amdhsa_user_sgpr_count 6
		.amdhsa_user_sgpr_private_segment_buffer 1
		.amdhsa_user_sgpr_dispatch_ptr 0
		.amdhsa_user_sgpr_queue_ptr 0
		.amdhsa_user_sgpr_kernarg_segment_ptr 1
		.amdhsa_user_sgpr_dispatch_id 0
		.amdhsa_user_sgpr_flat_scratch_init 0
		.amdhsa_user_sgpr_private_segment_size 0
		.amdhsa_uses_dynamic_stack 0
		.amdhsa_system_sgpr_private_segment_wavefront_offset 0
		.amdhsa_system_sgpr_workgroup_id_x 1
		.amdhsa_system_sgpr_workgroup_id_y 0
		.amdhsa_system_sgpr_workgroup_id_z 0
		.amdhsa_system_sgpr_workgroup_info 0
		.amdhsa_system_vgpr_workitem_id 0
		.amdhsa_next_free_vgpr 13
		.amdhsa_next_free_sgpr 29
		.amdhsa_reserve_vcc 1
		.amdhsa_reserve_flat_scratch 0
		.amdhsa_float_round_mode_32 0
		.amdhsa_float_round_mode_16_64 0
		.amdhsa_float_denorm_mode_32 3
		.amdhsa_float_denorm_mode_16_64 3
		.amdhsa_dx10_clamp 1
		.amdhsa_ieee_mode 1
		.amdhsa_fp16_overflow 0
		.amdhsa_exception_fp_ieee_invalid_op 0
		.amdhsa_exception_fp_denorm_src 0
		.amdhsa_exception_fp_ieee_div_zero 0
		.amdhsa_exception_fp_ieee_overflow 0
		.amdhsa_exception_fp_ieee_underflow 0
		.amdhsa_exception_fp_ieee_inexact 0
		.amdhsa_exception_int_div_zero 0
	.end_amdhsa_kernel
	.section	.text._ZN7rocprim17ROCPRIM_400000_NS6detail17trampoline_kernelINS0_14default_configENS1_22reduce_config_selectorIN6thrust23THRUST_200600_302600_NS5tupleIblNS6_9null_typeES8_S8_S8_S8_S8_S8_S8_EEEEZNS1_11reduce_implILb1ES3_NS6_12zip_iteratorINS7_INS6_11hip_rocprim26transform_input_iterator_tIbPfNS6_6detail10functional5actorINSH_9compositeIJNSH_27transparent_binary_operatorINS6_8equal_toIvEEEENSI_INSH_8argumentILj0EEEEENSH_5valueIfEEEEEEEEENSD_19counting_iterator_tIlEES8_S8_S8_S8_S8_S8_S8_S8_EEEEPS9_S9_NSD_9__find_if7functorIS9_EEEE10hipError_tPvRmT1_T2_T3_mT4_P12ihipStream_tbEUlT_E0_NS1_11comp_targetILNS1_3genE2ELNS1_11target_archE906ELNS1_3gpuE6ELNS1_3repE0EEENS1_30default_config_static_selectorELNS0_4arch9wavefront6targetE1EEEvS17_,"axG",@progbits,_ZN7rocprim17ROCPRIM_400000_NS6detail17trampoline_kernelINS0_14default_configENS1_22reduce_config_selectorIN6thrust23THRUST_200600_302600_NS5tupleIblNS6_9null_typeES8_S8_S8_S8_S8_S8_S8_EEEEZNS1_11reduce_implILb1ES3_NS6_12zip_iteratorINS7_INS6_11hip_rocprim26transform_input_iterator_tIbPfNS6_6detail10functional5actorINSH_9compositeIJNSH_27transparent_binary_operatorINS6_8equal_toIvEEEENSI_INSH_8argumentILj0EEEEENSH_5valueIfEEEEEEEEENSD_19counting_iterator_tIlEES8_S8_S8_S8_S8_S8_S8_S8_EEEEPS9_S9_NSD_9__find_if7functorIS9_EEEE10hipError_tPvRmT1_T2_T3_mT4_P12ihipStream_tbEUlT_E0_NS1_11comp_targetILNS1_3genE2ELNS1_11target_archE906ELNS1_3gpuE6ELNS1_3repE0EEENS1_30default_config_static_selectorELNS0_4arch9wavefront6targetE1EEEvS17_,comdat
.Lfunc_end1946:
	.size	_ZN7rocprim17ROCPRIM_400000_NS6detail17trampoline_kernelINS0_14default_configENS1_22reduce_config_selectorIN6thrust23THRUST_200600_302600_NS5tupleIblNS6_9null_typeES8_S8_S8_S8_S8_S8_S8_EEEEZNS1_11reduce_implILb1ES3_NS6_12zip_iteratorINS7_INS6_11hip_rocprim26transform_input_iterator_tIbPfNS6_6detail10functional5actorINSH_9compositeIJNSH_27transparent_binary_operatorINS6_8equal_toIvEEEENSI_INSH_8argumentILj0EEEEENSH_5valueIfEEEEEEEEENSD_19counting_iterator_tIlEES8_S8_S8_S8_S8_S8_S8_S8_EEEEPS9_S9_NSD_9__find_if7functorIS9_EEEE10hipError_tPvRmT1_T2_T3_mT4_P12ihipStream_tbEUlT_E0_NS1_11comp_targetILNS1_3genE2ELNS1_11target_archE906ELNS1_3gpuE6ELNS1_3repE0EEENS1_30default_config_static_selectorELNS0_4arch9wavefront6targetE1EEEvS17_, .Lfunc_end1946-_ZN7rocprim17ROCPRIM_400000_NS6detail17trampoline_kernelINS0_14default_configENS1_22reduce_config_selectorIN6thrust23THRUST_200600_302600_NS5tupleIblNS6_9null_typeES8_S8_S8_S8_S8_S8_S8_EEEEZNS1_11reduce_implILb1ES3_NS6_12zip_iteratorINS7_INS6_11hip_rocprim26transform_input_iterator_tIbPfNS6_6detail10functional5actorINSH_9compositeIJNSH_27transparent_binary_operatorINS6_8equal_toIvEEEENSI_INSH_8argumentILj0EEEEENSH_5valueIfEEEEEEEEENSD_19counting_iterator_tIlEES8_S8_S8_S8_S8_S8_S8_S8_EEEEPS9_S9_NSD_9__find_if7functorIS9_EEEE10hipError_tPvRmT1_T2_T3_mT4_P12ihipStream_tbEUlT_E0_NS1_11comp_targetILNS1_3genE2ELNS1_11target_archE906ELNS1_3gpuE6ELNS1_3repE0EEENS1_30default_config_static_selectorELNS0_4arch9wavefront6targetE1EEEvS17_
                                        ; -- End function
	.set _ZN7rocprim17ROCPRIM_400000_NS6detail17trampoline_kernelINS0_14default_configENS1_22reduce_config_selectorIN6thrust23THRUST_200600_302600_NS5tupleIblNS6_9null_typeES8_S8_S8_S8_S8_S8_S8_EEEEZNS1_11reduce_implILb1ES3_NS6_12zip_iteratorINS7_INS6_11hip_rocprim26transform_input_iterator_tIbPfNS6_6detail10functional5actorINSH_9compositeIJNSH_27transparent_binary_operatorINS6_8equal_toIvEEEENSI_INSH_8argumentILj0EEEEENSH_5valueIfEEEEEEEEENSD_19counting_iterator_tIlEES8_S8_S8_S8_S8_S8_S8_S8_EEEEPS9_S9_NSD_9__find_if7functorIS9_EEEE10hipError_tPvRmT1_T2_T3_mT4_P12ihipStream_tbEUlT_E0_NS1_11comp_targetILNS1_3genE2ELNS1_11target_archE906ELNS1_3gpuE6ELNS1_3repE0EEENS1_30default_config_static_selectorELNS0_4arch9wavefront6targetE1EEEvS17_.num_vgpr, 13
	.set _ZN7rocprim17ROCPRIM_400000_NS6detail17trampoline_kernelINS0_14default_configENS1_22reduce_config_selectorIN6thrust23THRUST_200600_302600_NS5tupleIblNS6_9null_typeES8_S8_S8_S8_S8_S8_S8_EEEEZNS1_11reduce_implILb1ES3_NS6_12zip_iteratorINS7_INS6_11hip_rocprim26transform_input_iterator_tIbPfNS6_6detail10functional5actorINSH_9compositeIJNSH_27transparent_binary_operatorINS6_8equal_toIvEEEENSI_INSH_8argumentILj0EEEEENSH_5valueIfEEEEEEEEENSD_19counting_iterator_tIlEES8_S8_S8_S8_S8_S8_S8_S8_EEEEPS9_S9_NSD_9__find_if7functorIS9_EEEE10hipError_tPvRmT1_T2_T3_mT4_P12ihipStream_tbEUlT_E0_NS1_11comp_targetILNS1_3genE2ELNS1_11target_archE906ELNS1_3gpuE6ELNS1_3repE0EEENS1_30default_config_static_selectorELNS0_4arch9wavefront6targetE1EEEvS17_.num_agpr, 0
	.set _ZN7rocprim17ROCPRIM_400000_NS6detail17trampoline_kernelINS0_14default_configENS1_22reduce_config_selectorIN6thrust23THRUST_200600_302600_NS5tupleIblNS6_9null_typeES8_S8_S8_S8_S8_S8_S8_EEEEZNS1_11reduce_implILb1ES3_NS6_12zip_iteratorINS7_INS6_11hip_rocprim26transform_input_iterator_tIbPfNS6_6detail10functional5actorINSH_9compositeIJNSH_27transparent_binary_operatorINS6_8equal_toIvEEEENSI_INSH_8argumentILj0EEEEENSH_5valueIfEEEEEEEEENSD_19counting_iterator_tIlEES8_S8_S8_S8_S8_S8_S8_S8_EEEEPS9_S9_NSD_9__find_if7functorIS9_EEEE10hipError_tPvRmT1_T2_T3_mT4_P12ihipStream_tbEUlT_E0_NS1_11comp_targetILNS1_3genE2ELNS1_11target_archE906ELNS1_3gpuE6ELNS1_3repE0EEENS1_30default_config_static_selectorELNS0_4arch9wavefront6targetE1EEEvS17_.numbered_sgpr, 29
	.set _ZN7rocprim17ROCPRIM_400000_NS6detail17trampoline_kernelINS0_14default_configENS1_22reduce_config_selectorIN6thrust23THRUST_200600_302600_NS5tupleIblNS6_9null_typeES8_S8_S8_S8_S8_S8_S8_EEEEZNS1_11reduce_implILb1ES3_NS6_12zip_iteratorINS7_INS6_11hip_rocprim26transform_input_iterator_tIbPfNS6_6detail10functional5actorINSH_9compositeIJNSH_27transparent_binary_operatorINS6_8equal_toIvEEEENSI_INSH_8argumentILj0EEEEENSH_5valueIfEEEEEEEEENSD_19counting_iterator_tIlEES8_S8_S8_S8_S8_S8_S8_S8_EEEEPS9_S9_NSD_9__find_if7functorIS9_EEEE10hipError_tPvRmT1_T2_T3_mT4_P12ihipStream_tbEUlT_E0_NS1_11comp_targetILNS1_3genE2ELNS1_11target_archE906ELNS1_3gpuE6ELNS1_3repE0EEENS1_30default_config_static_selectorELNS0_4arch9wavefront6targetE1EEEvS17_.num_named_barrier, 0
	.set _ZN7rocprim17ROCPRIM_400000_NS6detail17trampoline_kernelINS0_14default_configENS1_22reduce_config_selectorIN6thrust23THRUST_200600_302600_NS5tupleIblNS6_9null_typeES8_S8_S8_S8_S8_S8_S8_EEEEZNS1_11reduce_implILb1ES3_NS6_12zip_iteratorINS7_INS6_11hip_rocprim26transform_input_iterator_tIbPfNS6_6detail10functional5actorINSH_9compositeIJNSH_27transparent_binary_operatorINS6_8equal_toIvEEEENSI_INSH_8argumentILj0EEEEENSH_5valueIfEEEEEEEEENSD_19counting_iterator_tIlEES8_S8_S8_S8_S8_S8_S8_S8_EEEEPS9_S9_NSD_9__find_if7functorIS9_EEEE10hipError_tPvRmT1_T2_T3_mT4_P12ihipStream_tbEUlT_E0_NS1_11comp_targetILNS1_3genE2ELNS1_11target_archE906ELNS1_3gpuE6ELNS1_3repE0EEENS1_30default_config_static_selectorELNS0_4arch9wavefront6targetE1EEEvS17_.private_seg_size, 0
	.set _ZN7rocprim17ROCPRIM_400000_NS6detail17trampoline_kernelINS0_14default_configENS1_22reduce_config_selectorIN6thrust23THRUST_200600_302600_NS5tupleIblNS6_9null_typeES8_S8_S8_S8_S8_S8_S8_EEEEZNS1_11reduce_implILb1ES3_NS6_12zip_iteratorINS7_INS6_11hip_rocprim26transform_input_iterator_tIbPfNS6_6detail10functional5actorINSH_9compositeIJNSH_27transparent_binary_operatorINS6_8equal_toIvEEEENSI_INSH_8argumentILj0EEEEENSH_5valueIfEEEEEEEEENSD_19counting_iterator_tIlEES8_S8_S8_S8_S8_S8_S8_S8_EEEEPS9_S9_NSD_9__find_if7functorIS9_EEEE10hipError_tPvRmT1_T2_T3_mT4_P12ihipStream_tbEUlT_E0_NS1_11comp_targetILNS1_3genE2ELNS1_11target_archE906ELNS1_3gpuE6ELNS1_3repE0EEENS1_30default_config_static_selectorELNS0_4arch9wavefront6targetE1EEEvS17_.uses_vcc, 1
	.set _ZN7rocprim17ROCPRIM_400000_NS6detail17trampoline_kernelINS0_14default_configENS1_22reduce_config_selectorIN6thrust23THRUST_200600_302600_NS5tupleIblNS6_9null_typeES8_S8_S8_S8_S8_S8_S8_EEEEZNS1_11reduce_implILb1ES3_NS6_12zip_iteratorINS7_INS6_11hip_rocprim26transform_input_iterator_tIbPfNS6_6detail10functional5actorINSH_9compositeIJNSH_27transparent_binary_operatorINS6_8equal_toIvEEEENSI_INSH_8argumentILj0EEEEENSH_5valueIfEEEEEEEEENSD_19counting_iterator_tIlEES8_S8_S8_S8_S8_S8_S8_S8_EEEEPS9_S9_NSD_9__find_if7functorIS9_EEEE10hipError_tPvRmT1_T2_T3_mT4_P12ihipStream_tbEUlT_E0_NS1_11comp_targetILNS1_3genE2ELNS1_11target_archE906ELNS1_3gpuE6ELNS1_3repE0EEENS1_30default_config_static_selectorELNS0_4arch9wavefront6targetE1EEEvS17_.uses_flat_scratch, 0
	.set _ZN7rocprim17ROCPRIM_400000_NS6detail17trampoline_kernelINS0_14default_configENS1_22reduce_config_selectorIN6thrust23THRUST_200600_302600_NS5tupleIblNS6_9null_typeES8_S8_S8_S8_S8_S8_S8_EEEEZNS1_11reduce_implILb1ES3_NS6_12zip_iteratorINS7_INS6_11hip_rocprim26transform_input_iterator_tIbPfNS6_6detail10functional5actorINSH_9compositeIJNSH_27transparent_binary_operatorINS6_8equal_toIvEEEENSI_INSH_8argumentILj0EEEEENSH_5valueIfEEEEEEEEENSD_19counting_iterator_tIlEES8_S8_S8_S8_S8_S8_S8_S8_EEEEPS9_S9_NSD_9__find_if7functorIS9_EEEE10hipError_tPvRmT1_T2_T3_mT4_P12ihipStream_tbEUlT_E0_NS1_11comp_targetILNS1_3genE2ELNS1_11target_archE906ELNS1_3gpuE6ELNS1_3repE0EEENS1_30default_config_static_selectorELNS0_4arch9wavefront6targetE1EEEvS17_.has_dyn_sized_stack, 0
	.set _ZN7rocprim17ROCPRIM_400000_NS6detail17trampoline_kernelINS0_14default_configENS1_22reduce_config_selectorIN6thrust23THRUST_200600_302600_NS5tupleIblNS6_9null_typeES8_S8_S8_S8_S8_S8_S8_EEEEZNS1_11reduce_implILb1ES3_NS6_12zip_iteratorINS7_INS6_11hip_rocprim26transform_input_iterator_tIbPfNS6_6detail10functional5actorINSH_9compositeIJNSH_27transparent_binary_operatorINS6_8equal_toIvEEEENSI_INSH_8argumentILj0EEEEENSH_5valueIfEEEEEEEEENSD_19counting_iterator_tIlEES8_S8_S8_S8_S8_S8_S8_S8_EEEEPS9_S9_NSD_9__find_if7functorIS9_EEEE10hipError_tPvRmT1_T2_T3_mT4_P12ihipStream_tbEUlT_E0_NS1_11comp_targetILNS1_3genE2ELNS1_11target_archE906ELNS1_3gpuE6ELNS1_3repE0EEENS1_30default_config_static_selectorELNS0_4arch9wavefront6targetE1EEEvS17_.has_recursion, 0
	.set _ZN7rocprim17ROCPRIM_400000_NS6detail17trampoline_kernelINS0_14default_configENS1_22reduce_config_selectorIN6thrust23THRUST_200600_302600_NS5tupleIblNS6_9null_typeES8_S8_S8_S8_S8_S8_S8_EEEEZNS1_11reduce_implILb1ES3_NS6_12zip_iteratorINS7_INS6_11hip_rocprim26transform_input_iterator_tIbPfNS6_6detail10functional5actorINSH_9compositeIJNSH_27transparent_binary_operatorINS6_8equal_toIvEEEENSI_INSH_8argumentILj0EEEEENSH_5valueIfEEEEEEEEENSD_19counting_iterator_tIlEES8_S8_S8_S8_S8_S8_S8_S8_EEEEPS9_S9_NSD_9__find_if7functorIS9_EEEE10hipError_tPvRmT1_T2_T3_mT4_P12ihipStream_tbEUlT_E0_NS1_11comp_targetILNS1_3genE2ELNS1_11target_archE906ELNS1_3gpuE6ELNS1_3repE0EEENS1_30default_config_static_selectorELNS0_4arch9wavefront6targetE1EEEvS17_.has_indirect_call, 0
	.section	.AMDGPU.csdata,"",@progbits
; Kernel info:
; codeLenInByte = 2752
; TotalNumSgprs: 33
; NumVgprs: 13
; ScratchSize: 0
; MemoryBound: 0
; FloatMode: 240
; IeeeMode: 1
; LDSByteSize: 64 bytes/workgroup (compile time only)
; SGPRBlocks: 4
; VGPRBlocks: 3
; NumSGPRsForWavesPerEU: 33
; NumVGPRsForWavesPerEU: 13
; Occupancy: 10
; WaveLimiterHint : 1
; COMPUTE_PGM_RSRC2:SCRATCH_EN: 0
; COMPUTE_PGM_RSRC2:USER_SGPR: 6
; COMPUTE_PGM_RSRC2:TRAP_HANDLER: 0
; COMPUTE_PGM_RSRC2:TGID_X_EN: 1
; COMPUTE_PGM_RSRC2:TGID_Y_EN: 0
; COMPUTE_PGM_RSRC2:TGID_Z_EN: 0
; COMPUTE_PGM_RSRC2:TIDIG_COMP_CNT: 0
	.section	.text._ZN7rocprim17ROCPRIM_400000_NS6detail17trampoline_kernelINS0_14default_configENS1_22reduce_config_selectorIN6thrust23THRUST_200600_302600_NS5tupleIblNS6_9null_typeES8_S8_S8_S8_S8_S8_S8_EEEEZNS1_11reduce_implILb1ES3_NS6_12zip_iteratorINS7_INS6_11hip_rocprim26transform_input_iterator_tIbPfNS6_6detail10functional5actorINSH_9compositeIJNSH_27transparent_binary_operatorINS6_8equal_toIvEEEENSI_INSH_8argumentILj0EEEEENSH_5valueIfEEEEEEEEENSD_19counting_iterator_tIlEES8_S8_S8_S8_S8_S8_S8_S8_EEEEPS9_S9_NSD_9__find_if7functorIS9_EEEE10hipError_tPvRmT1_T2_T3_mT4_P12ihipStream_tbEUlT_E0_NS1_11comp_targetILNS1_3genE10ELNS1_11target_archE1201ELNS1_3gpuE5ELNS1_3repE0EEENS1_30default_config_static_selectorELNS0_4arch9wavefront6targetE1EEEvS17_,"axG",@progbits,_ZN7rocprim17ROCPRIM_400000_NS6detail17trampoline_kernelINS0_14default_configENS1_22reduce_config_selectorIN6thrust23THRUST_200600_302600_NS5tupleIblNS6_9null_typeES8_S8_S8_S8_S8_S8_S8_EEEEZNS1_11reduce_implILb1ES3_NS6_12zip_iteratorINS7_INS6_11hip_rocprim26transform_input_iterator_tIbPfNS6_6detail10functional5actorINSH_9compositeIJNSH_27transparent_binary_operatorINS6_8equal_toIvEEEENSI_INSH_8argumentILj0EEEEENSH_5valueIfEEEEEEEEENSD_19counting_iterator_tIlEES8_S8_S8_S8_S8_S8_S8_S8_EEEEPS9_S9_NSD_9__find_if7functorIS9_EEEE10hipError_tPvRmT1_T2_T3_mT4_P12ihipStream_tbEUlT_E0_NS1_11comp_targetILNS1_3genE10ELNS1_11target_archE1201ELNS1_3gpuE5ELNS1_3repE0EEENS1_30default_config_static_selectorELNS0_4arch9wavefront6targetE1EEEvS17_,comdat
	.protected	_ZN7rocprim17ROCPRIM_400000_NS6detail17trampoline_kernelINS0_14default_configENS1_22reduce_config_selectorIN6thrust23THRUST_200600_302600_NS5tupleIblNS6_9null_typeES8_S8_S8_S8_S8_S8_S8_EEEEZNS1_11reduce_implILb1ES3_NS6_12zip_iteratorINS7_INS6_11hip_rocprim26transform_input_iterator_tIbPfNS6_6detail10functional5actorINSH_9compositeIJNSH_27transparent_binary_operatorINS6_8equal_toIvEEEENSI_INSH_8argumentILj0EEEEENSH_5valueIfEEEEEEEEENSD_19counting_iterator_tIlEES8_S8_S8_S8_S8_S8_S8_S8_EEEEPS9_S9_NSD_9__find_if7functorIS9_EEEE10hipError_tPvRmT1_T2_T3_mT4_P12ihipStream_tbEUlT_E0_NS1_11comp_targetILNS1_3genE10ELNS1_11target_archE1201ELNS1_3gpuE5ELNS1_3repE0EEENS1_30default_config_static_selectorELNS0_4arch9wavefront6targetE1EEEvS17_ ; -- Begin function _ZN7rocprim17ROCPRIM_400000_NS6detail17trampoline_kernelINS0_14default_configENS1_22reduce_config_selectorIN6thrust23THRUST_200600_302600_NS5tupleIblNS6_9null_typeES8_S8_S8_S8_S8_S8_S8_EEEEZNS1_11reduce_implILb1ES3_NS6_12zip_iteratorINS7_INS6_11hip_rocprim26transform_input_iterator_tIbPfNS6_6detail10functional5actorINSH_9compositeIJNSH_27transparent_binary_operatorINS6_8equal_toIvEEEENSI_INSH_8argumentILj0EEEEENSH_5valueIfEEEEEEEEENSD_19counting_iterator_tIlEES8_S8_S8_S8_S8_S8_S8_S8_EEEEPS9_S9_NSD_9__find_if7functorIS9_EEEE10hipError_tPvRmT1_T2_T3_mT4_P12ihipStream_tbEUlT_E0_NS1_11comp_targetILNS1_3genE10ELNS1_11target_archE1201ELNS1_3gpuE5ELNS1_3repE0EEENS1_30default_config_static_selectorELNS0_4arch9wavefront6targetE1EEEvS17_
	.globl	_ZN7rocprim17ROCPRIM_400000_NS6detail17trampoline_kernelINS0_14default_configENS1_22reduce_config_selectorIN6thrust23THRUST_200600_302600_NS5tupleIblNS6_9null_typeES8_S8_S8_S8_S8_S8_S8_EEEEZNS1_11reduce_implILb1ES3_NS6_12zip_iteratorINS7_INS6_11hip_rocprim26transform_input_iterator_tIbPfNS6_6detail10functional5actorINSH_9compositeIJNSH_27transparent_binary_operatorINS6_8equal_toIvEEEENSI_INSH_8argumentILj0EEEEENSH_5valueIfEEEEEEEEENSD_19counting_iterator_tIlEES8_S8_S8_S8_S8_S8_S8_S8_EEEEPS9_S9_NSD_9__find_if7functorIS9_EEEE10hipError_tPvRmT1_T2_T3_mT4_P12ihipStream_tbEUlT_E0_NS1_11comp_targetILNS1_3genE10ELNS1_11target_archE1201ELNS1_3gpuE5ELNS1_3repE0EEENS1_30default_config_static_selectorELNS0_4arch9wavefront6targetE1EEEvS17_
	.p2align	8
	.type	_ZN7rocprim17ROCPRIM_400000_NS6detail17trampoline_kernelINS0_14default_configENS1_22reduce_config_selectorIN6thrust23THRUST_200600_302600_NS5tupleIblNS6_9null_typeES8_S8_S8_S8_S8_S8_S8_EEEEZNS1_11reduce_implILb1ES3_NS6_12zip_iteratorINS7_INS6_11hip_rocprim26transform_input_iterator_tIbPfNS6_6detail10functional5actorINSH_9compositeIJNSH_27transparent_binary_operatorINS6_8equal_toIvEEEENSI_INSH_8argumentILj0EEEEENSH_5valueIfEEEEEEEEENSD_19counting_iterator_tIlEES8_S8_S8_S8_S8_S8_S8_S8_EEEEPS9_S9_NSD_9__find_if7functorIS9_EEEE10hipError_tPvRmT1_T2_T3_mT4_P12ihipStream_tbEUlT_E0_NS1_11comp_targetILNS1_3genE10ELNS1_11target_archE1201ELNS1_3gpuE5ELNS1_3repE0EEENS1_30default_config_static_selectorELNS0_4arch9wavefront6targetE1EEEvS17_,@function
_ZN7rocprim17ROCPRIM_400000_NS6detail17trampoline_kernelINS0_14default_configENS1_22reduce_config_selectorIN6thrust23THRUST_200600_302600_NS5tupleIblNS6_9null_typeES8_S8_S8_S8_S8_S8_S8_EEEEZNS1_11reduce_implILb1ES3_NS6_12zip_iteratorINS7_INS6_11hip_rocprim26transform_input_iterator_tIbPfNS6_6detail10functional5actorINSH_9compositeIJNSH_27transparent_binary_operatorINS6_8equal_toIvEEEENSI_INSH_8argumentILj0EEEEENSH_5valueIfEEEEEEEEENSD_19counting_iterator_tIlEES8_S8_S8_S8_S8_S8_S8_S8_EEEEPS9_S9_NSD_9__find_if7functorIS9_EEEE10hipError_tPvRmT1_T2_T3_mT4_P12ihipStream_tbEUlT_E0_NS1_11comp_targetILNS1_3genE10ELNS1_11target_archE1201ELNS1_3gpuE5ELNS1_3repE0EEENS1_30default_config_static_selectorELNS0_4arch9wavefront6targetE1EEEvS17_: ; @_ZN7rocprim17ROCPRIM_400000_NS6detail17trampoline_kernelINS0_14default_configENS1_22reduce_config_selectorIN6thrust23THRUST_200600_302600_NS5tupleIblNS6_9null_typeES8_S8_S8_S8_S8_S8_S8_EEEEZNS1_11reduce_implILb1ES3_NS6_12zip_iteratorINS7_INS6_11hip_rocprim26transform_input_iterator_tIbPfNS6_6detail10functional5actorINSH_9compositeIJNSH_27transparent_binary_operatorINS6_8equal_toIvEEEENSI_INSH_8argumentILj0EEEEENSH_5valueIfEEEEEEEEENSD_19counting_iterator_tIlEES8_S8_S8_S8_S8_S8_S8_S8_EEEEPS9_S9_NSD_9__find_if7functorIS9_EEEE10hipError_tPvRmT1_T2_T3_mT4_P12ihipStream_tbEUlT_E0_NS1_11comp_targetILNS1_3genE10ELNS1_11target_archE1201ELNS1_3gpuE5ELNS1_3repE0EEENS1_30default_config_static_selectorELNS0_4arch9wavefront6targetE1EEEvS17_
; %bb.0:
	.section	.rodata,"a",@progbits
	.p2align	6, 0x0
	.amdhsa_kernel _ZN7rocprim17ROCPRIM_400000_NS6detail17trampoline_kernelINS0_14default_configENS1_22reduce_config_selectorIN6thrust23THRUST_200600_302600_NS5tupleIblNS6_9null_typeES8_S8_S8_S8_S8_S8_S8_EEEEZNS1_11reduce_implILb1ES3_NS6_12zip_iteratorINS7_INS6_11hip_rocprim26transform_input_iterator_tIbPfNS6_6detail10functional5actorINSH_9compositeIJNSH_27transparent_binary_operatorINS6_8equal_toIvEEEENSI_INSH_8argumentILj0EEEEENSH_5valueIfEEEEEEEEENSD_19counting_iterator_tIlEES8_S8_S8_S8_S8_S8_S8_S8_EEEEPS9_S9_NSD_9__find_if7functorIS9_EEEE10hipError_tPvRmT1_T2_T3_mT4_P12ihipStream_tbEUlT_E0_NS1_11comp_targetILNS1_3genE10ELNS1_11target_archE1201ELNS1_3gpuE5ELNS1_3repE0EEENS1_30default_config_static_selectorELNS0_4arch9wavefront6targetE1EEEvS17_
		.amdhsa_group_segment_fixed_size 0
		.amdhsa_private_segment_fixed_size 0
		.amdhsa_kernarg_size 88
		.amdhsa_user_sgpr_count 6
		.amdhsa_user_sgpr_private_segment_buffer 1
		.amdhsa_user_sgpr_dispatch_ptr 0
		.amdhsa_user_sgpr_queue_ptr 0
		.amdhsa_user_sgpr_kernarg_segment_ptr 1
		.amdhsa_user_sgpr_dispatch_id 0
		.amdhsa_user_sgpr_flat_scratch_init 0
		.amdhsa_user_sgpr_private_segment_size 0
		.amdhsa_uses_dynamic_stack 0
		.amdhsa_system_sgpr_private_segment_wavefront_offset 0
		.amdhsa_system_sgpr_workgroup_id_x 1
		.amdhsa_system_sgpr_workgroup_id_y 0
		.amdhsa_system_sgpr_workgroup_id_z 0
		.amdhsa_system_sgpr_workgroup_info 0
		.amdhsa_system_vgpr_workitem_id 0
		.amdhsa_next_free_vgpr 1
		.amdhsa_next_free_sgpr 0
		.amdhsa_reserve_vcc 0
		.amdhsa_reserve_flat_scratch 0
		.amdhsa_float_round_mode_32 0
		.amdhsa_float_round_mode_16_64 0
		.amdhsa_float_denorm_mode_32 3
		.amdhsa_float_denorm_mode_16_64 3
		.amdhsa_dx10_clamp 1
		.amdhsa_ieee_mode 1
		.amdhsa_fp16_overflow 0
		.amdhsa_exception_fp_ieee_invalid_op 0
		.amdhsa_exception_fp_denorm_src 0
		.amdhsa_exception_fp_ieee_div_zero 0
		.amdhsa_exception_fp_ieee_overflow 0
		.amdhsa_exception_fp_ieee_underflow 0
		.amdhsa_exception_fp_ieee_inexact 0
		.amdhsa_exception_int_div_zero 0
	.end_amdhsa_kernel
	.section	.text._ZN7rocprim17ROCPRIM_400000_NS6detail17trampoline_kernelINS0_14default_configENS1_22reduce_config_selectorIN6thrust23THRUST_200600_302600_NS5tupleIblNS6_9null_typeES8_S8_S8_S8_S8_S8_S8_EEEEZNS1_11reduce_implILb1ES3_NS6_12zip_iteratorINS7_INS6_11hip_rocprim26transform_input_iterator_tIbPfNS6_6detail10functional5actorINSH_9compositeIJNSH_27transparent_binary_operatorINS6_8equal_toIvEEEENSI_INSH_8argumentILj0EEEEENSH_5valueIfEEEEEEEEENSD_19counting_iterator_tIlEES8_S8_S8_S8_S8_S8_S8_S8_EEEEPS9_S9_NSD_9__find_if7functorIS9_EEEE10hipError_tPvRmT1_T2_T3_mT4_P12ihipStream_tbEUlT_E0_NS1_11comp_targetILNS1_3genE10ELNS1_11target_archE1201ELNS1_3gpuE5ELNS1_3repE0EEENS1_30default_config_static_selectorELNS0_4arch9wavefront6targetE1EEEvS17_,"axG",@progbits,_ZN7rocprim17ROCPRIM_400000_NS6detail17trampoline_kernelINS0_14default_configENS1_22reduce_config_selectorIN6thrust23THRUST_200600_302600_NS5tupleIblNS6_9null_typeES8_S8_S8_S8_S8_S8_S8_EEEEZNS1_11reduce_implILb1ES3_NS6_12zip_iteratorINS7_INS6_11hip_rocprim26transform_input_iterator_tIbPfNS6_6detail10functional5actorINSH_9compositeIJNSH_27transparent_binary_operatorINS6_8equal_toIvEEEENSI_INSH_8argumentILj0EEEEENSH_5valueIfEEEEEEEEENSD_19counting_iterator_tIlEES8_S8_S8_S8_S8_S8_S8_S8_EEEEPS9_S9_NSD_9__find_if7functorIS9_EEEE10hipError_tPvRmT1_T2_T3_mT4_P12ihipStream_tbEUlT_E0_NS1_11comp_targetILNS1_3genE10ELNS1_11target_archE1201ELNS1_3gpuE5ELNS1_3repE0EEENS1_30default_config_static_selectorELNS0_4arch9wavefront6targetE1EEEvS17_,comdat
.Lfunc_end1947:
	.size	_ZN7rocprim17ROCPRIM_400000_NS6detail17trampoline_kernelINS0_14default_configENS1_22reduce_config_selectorIN6thrust23THRUST_200600_302600_NS5tupleIblNS6_9null_typeES8_S8_S8_S8_S8_S8_S8_EEEEZNS1_11reduce_implILb1ES3_NS6_12zip_iteratorINS7_INS6_11hip_rocprim26transform_input_iterator_tIbPfNS6_6detail10functional5actorINSH_9compositeIJNSH_27transparent_binary_operatorINS6_8equal_toIvEEEENSI_INSH_8argumentILj0EEEEENSH_5valueIfEEEEEEEEENSD_19counting_iterator_tIlEES8_S8_S8_S8_S8_S8_S8_S8_EEEEPS9_S9_NSD_9__find_if7functorIS9_EEEE10hipError_tPvRmT1_T2_T3_mT4_P12ihipStream_tbEUlT_E0_NS1_11comp_targetILNS1_3genE10ELNS1_11target_archE1201ELNS1_3gpuE5ELNS1_3repE0EEENS1_30default_config_static_selectorELNS0_4arch9wavefront6targetE1EEEvS17_, .Lfunc_end1947-_ZN7rocprim17ROCPRIM_400000_NS6detail17trampoline_kernelINS0_14default_configENS1_22reduce_config_selectorIN6thrust23THRUST_200600_302600_NS5tupleIblNS6_9null_typeES8_S8_S8_S8_S8_S8_S8_EEEEZNS1_11reduce_implILb1ES3_NS6_12zip_iteratorINS7_INS6_11hip_rocprim26transform_input_iterator_tIbPfNS6_6detail10functional5actorINSH_9compositeIJNSH_27transparent_binary_operatorINS6_8equal_toIvEEEENSI_INSH_8argumentILj0EEEEENSH_5valueIfEEEEEEEEENSD_19counting_iterator_tIlEES8_S8_S8_S8_S8_S8_S8_S8_EEEEPS9_S9_NSD_9__find_if7functorIS9_EEEE10hipError_tPvRmT1_T2_T3_mT4_P12ihipStream_tbEUlT_E0_NS1_11comp_targetILNS1_3genE10ELNS1_11target_archE1201ELNS1_3gpuE5ELNS1_3repE0EEENS1_30default_config_static_selectorELNS0_4arch9wavefront6targetE1EEEvS17_
                                        ; -- End function
	.set _ZN7rocprim17ROCPRIM_400000_NS6detail17trampoline_kernelINS0_14default_configENS1_22reduce_config_selectorIN6thrust23THRUST_200600_302600_NS5tupleIblNS6_9null_typeES8_S8_S8_S8_S8_S8_S8_EEEEZNS1_11reduce_implILb1ES3_NS6_12zip_iteratorINS7_INS6_11hip_rocprim26transform_input_iterator_tIbPfNS6_6detail10functional5actorINSH_9compositeIJNSH_27transparent_binary_operatorINS6_8equal_toIvEEEENSI_INSH_8argumentILj0EEEEENSH_5valueIfEEEEEEEEENSD_19counting_iterator_tIlEES8_S8_S8_S8_S8_S8_S8_S8_EEEEPS9_S9_NSD_9__find_if7functorIS9_EEEE10hipError_tPvRmT1_T2_T3_mT4_P12ihipStream_tbEUlT_E0_NS1_11comp_targetILNS1_3genE10ELNS1_11target_archE1201ELNS1_3gpuE5ELNS1_3repE0EEENS1_30default_config_static_selectorELNS0_4arch9wavefront6targetE1EEEvS17_.num_vgpr, 0
	.set _ZN7rocprim17ROCPRIM_400000_NS6detail17trampoline_kernelINS0_14default_configENS1_22reduce_config_selectorIN6thrust23THRUST_200600_302600_NS5tupleIblNS6_9null_typeES8_S8_S8_S8_S8_S8_S8_EEEEZNS1_11reduce_implILb1ES3_NS6_12zip_iteratorINS7_INS6_11hip_rocprim26transform_input_iterator_tIbPfNS6_6detail10functional5actorINSH_9compositeIJNSH_27transparent_binary_operatorINS6_8equal_toIvEEEENSI_INSH_8argumentILj0EEEEENSH_5valueIfEEEEEEEEENSD_19counting_iterator_tIlEES8_S8_S8_S8_S8_S8_S8_S8_EEEEPS9_S9_NSD_9__find_if7functorIS9_EEEE10hipError_tPvRmT1_T2_T3_mT4_P12ihipStream_tbEUlT_E0_NS1_11comp_targetILNS1_3genE10ELNS1_11target_archE1201ELNS1_3gpuE5ELNS1_3repE0EEENS1_30default_config_static_selectorELNS0_4arch9wavefront6targetE1EEEvS17_.num_agpr, 0
	.set _ZN7rocprim17ROCPRIM_400000_NS6detail17trampoline_kernelINS0_14default_configENS1_22reduce_config_selectorIN6thrust23THRUST_200600_302600_NS5tupleIblNS6_9null_typeES8_S8_S8_S8_S8_S8_S8_EEEEZNS1_11reduce_implILb1ES3_NS6_12zip_iteratorINS7_INS6_11hip_rocprim26transform_input_iterator_tIbPfNS6_6detail10functional5actorINSH_9compositeIJNSH_27transparent_binary_operatorINS6_8equal_toIvEEEENSI_INSH_8argumentILj0EEEEENSH_5valueIfEEEEEEEEENSD_19counting_iterator_tIlEES8_S8_S8_S8_S8_S8_S8_S8_EEEEPS9_S9_NSD_9__find_if7functorIS9_EEEE10hipError_tPvRmT1_T2_T3_mT4_P12ihipStream_tbEUlT_E0_NS1_11comp_targetILNS1_3genE10ELNS1_11target_archE1201ELNS1_3gpuE5ELNS1_3repE0EEENS1_30default_config_static_selectorELNS0_4arch9wavefront6targetE1EEEvS17_.numbered_sgpr, 0
	.set _ZN7rocprim17ROCPRIM_400000_NS6detail17trampoline_kernelINS0_14default_configENS1_22reduce_config_selectorIN6thrust23THRUST_200600_302600_NS5tupleIblNS6_9null_typeES8_S8_S8_S8_S8_S8_S8_EEEEZNS1_11reduce_implILb1ES3_NS6_12zip_iteratorINS7_INS6_11hip_rocprim26transform_input_iterator_tIbPfNS6_6detail10functional5actorINSH_9compositeIJNSH_27transparent_binary_operatorINS6_8equal_toIvEEEENSI_INSH_8argumentILj0EEEEENSH_5valueIfEEEEEEEEENSD_19counting_iterator_tIlEES8_S8_S8_S8_S8_S8_S8_S8_EEEEPS9_S9_NSD_9__find_if7functorIS9_EEEE10hipError_tPvRmT1_T2_T3_mT4_P12ihipStream_tbEUlT_E0_NS1_11comp_targetILNS1_3genE10ELNS1_11target_archE1201ELNS1_3gpuE5ELNS1_3repE0EEENS1_30default_config_static_selectorELNS0_4arch9wavefront6targetE1EEEvS17_.num_named_barrier, 0
	.set _ZN7rocprim17ROCPRIM_400000_NS6detail17trampoline_kernelINS0_14default_configENS1_22reduce_config_selectorIN6thrust23THRUST_200600_302600_NS5tupleIblNS6_9null_typeES8_S8_S8_S8_S8_S8_S8_EEEEZNS1_11reduce_implILb1ES3_NS6_12zip_iteratorINS7_INS6_11hip_rocprim26transform_input_iterator_tIbPfNS6_6detail10functional5actorINSH_9compositeIJNSH_27transparent_binary_operatorINS6_8equal_toIvEEEENSI_INSH_8argumentILj0EEEEENSH_5valueIfEEEEEEEEENSD_19counting_iterator_tIlEES8_S8_S8_S8_S8_S8_S8_S8_EEEEPS9_S9_NSD_9__find_if7functorIS9_EEEE10hipError_tPvRmT1_T2_T3_mT4_P12ihipStream_tbEUlT_E0_NS1_11comp_targetILNS1_3genE10ELNS1_11target_archE1201ELNS1_3gpuE5ELNS1_3repE0EEENS1_30default_config_static_selectorELNS0_4arch9wavefront6targetE1EEEvS17_.private_seg_size, 0
	.set _ZN7rocprim17ROCPRIM_400000_NS6detail17trampoline_kernelINS0_14default_configENS1_22reduce_config_selectorIN6thrust23THRUST_200600_302600_NS5tupleIblNS6_9null_typeES8_S8_S8_S8_S8_S8_S8_EEEEZNS1_11reduce_implILb1ES3_NS6_12zip_iteratorINS7_INS6_11hip_rocprim26transform_input_iterator_tIbPfNS6_6detail10functional5actorINSH_9compositeIJNSH_27transparent_binary_operatorINS6_8equal_toIvEEEENSI_INSH_8argumentILj0EEEEENSH_5valueIfEEEEEEEEENSD_19counting_iterator_tIlEES8_S8_S8_S8_S8_S8_S8_S8_EEEEPS9_S9_NSD_9__find_if7functorIS9_EEEE10hipError_tPvRmT1_T2_T3_mT4_P12ihipStream_tbEUlT_E0_NS1_11comp_targetILNS1_3genE10ELNS1_11target_archE1201ELNS1_3gpuE5ELNS1_3repE0EEENS1_30default_config_static_selectorELNS0_4arch9wavefront6targetE1EEEvS17_.uses_vcc, 0
	.set _ZN7rocprim17ROCPRIM_400000_NS6detail17trampoline_kernelINS0_14default_configENS1_22reduce_config_selectorIN6thrust23THRUST_200600_302600_NS5tupleIblNS6_9null_typeES8_S8_S8_S8_S8_S8_S8_EEEEZNS1_11reduce_implILb1ES3_NS6_12zip_iteratorINS7_INS6_11hip_rocprim26transform_input_iterator_tIbPfNS6_6detail10functional5actorINSH_9compositeIJNSH_27transparent_binary_operatorINS6_8equal_toIvEEEENSI_INSH_8argumentILj0EEEEENSH_5valueIfEEEEEEEEENSD_19counting_iterator_tIlEES8_S8_S8_S8_S8_S8_S8_S8_EEEEPS9_S9_NSD_9__find_if7functorIS9_EEEE10hipError_tPvRmT1_T2_T3_mT4_P12ihipStream_tbEUlT_E0_NS1_11comp_targetILNS1_3genE10ELNS1_11target_archE1201ELNS1_3gpuE5ELNS1_3repE0EEENS1_30default_config_static_selectorELNS0_4arch9wavefront6targetE1EEEvS17_.uses_flat_scratch, 0
	.set _ZN7rocprim17ROCPRIM_400000_NS6detail17trampoline_kernelINS0_14default_configENS1_22reduce_config_selectorIN6thrust23THRUST_200600_302600_NS5tupleIblNS6_9null_typeES8_S8_S8_S8_S8_S8_S8_EEEEZNS1_11reduce_implILb1ES3_NS6_12zip_iteratorINS7_INS6_11hip_rocprim26transform_input_iterator_tIbPfNS6_6detail10functional5actorINSH_9compositeIJNSH_27transparent_binary_operatorINS6_8equal_toIvEEEENSI_INSH_8argumentILj0EEEEENSH_5valueIfEEEEEEEEENSD_19counting_iterator_tIlEES8_S8_S8_S8_S8_S8_S8_S8_EEEEPS9_S9_NSD_9__find_if7functorIS9_EEEE10hipError_tPvRmT1_T2_T3_mT4_P12ihipStream_tbEUlT_E0_NS1_11comp_targetILNS1_3genE10ELNS1_11target_archE1201ELNS1_3gpuE5ELNS1_3repE0EEENS1_30default_config_static_selectorELNS0_4arch9wavefront6targetE1EEEvS17_.has_dyn_sized_stack, 0
	.set _ZN7rocprim17ROCPRIM_400000_NS6detail17trampoline_kernelINS0_14default_configENS1_22reduce_config_selectorIN6thrust23THRUST_200600_302600_NS5tupleIblNS6_9null_typeES8_S8_S8_S8_S8_S8_S8_EEEEZNS1_11reduce_implILb1ES3_NS6_12zip_iteratorINS7_INS6_11hip_rocprim26transform_input_iterator_tIbPfNS6_6detail10functional5actorINSH_9compositeIJNSH_27transparent_binary_operatorINS6_8equal_toIvEEEENSI_INSH_8argumentILj0EEEEENSH_5valueIfEEEEEEEEENSD_19counting_iterator_tIlEES8_S8_S8_S8_S8_S8_S8_S8_EEEEPS9_S9_NSD_9__find_if7functorIS9_EEEE10hipError_tPvRmT1_T2_T3_mT4_P12ihipStream_tbEUlT_E0_NS1_11comp_targetILNS1_3genE10ELNS1_11target_archE1201ELNS1_3gpuE5ELNS1_3repE0EEENS1_30default_config_static_selectorELNS0_4arch9wavefront6targetE1EEEvS17_.has_recursion, 0
	.set _ZN7rocprim17ROCPRIM_400000_NS6detail17trampoline_kernelINS0_14default_configENS1_22reduce_config_selectorIN6thrust23THRUST_200600_302600_NS5tupleIblNS6_9null_typeES8_S8_S8_S8_S8_S8_S8_EEEEZNS1_11reduce_implILb1ES3_NS6_12zip_iteratorINS7_INS6_11hip_rocprim26transform_input_iterator_tIbPfNS6_6detail10functional5actorINSH_9compositeIJNSH_27transparent_binary_operatorINS6_8equal_toIvEEEENSI_INSH_8argumentILj0EEEEENSH_5valueIfEEEEEEEEENSD_19counting_iterator_tIlEES8_S8_S8_S8_S8_S8_S8_S8_EEEEPS9_S9_NSD_9__find_if7functorIS9_EEEE10hipError_tPvRmT1_T2_T3_mT4_P12ihipStream_tbEUlT_E0_NS1_11comp_targetILNS1_3genE10ELNS1_11target_archE1201ELNS1_3gpuE5ELNS1_3repE0EEENS1_30default_config_static_selectorELNS0_4arch9wavefront6targetE1EEEvS17_.has_indirect_call, 0
	.section	.AMDGPU.csdata,"",@progbits
; Kernel info:
; codeLenInByte = 0
; TotalNumSgprs: 4
; NumVgprs: 0
; ScratchSize: 0
; MemoryBound: 0
; FloatMode: 240
; IeeeMode: 1
; LDSByteSize: 0 bytes/workgroup (compile time only)
; SGPRBlocks: 0
; VGPRBlocks: 0
; NumSGPRsForWavesPerEU: 4
; NumVGPRsForWavesPerEU: 1
; Occupancy: 10
; WaveLimiterHint : 0
; COMPUTE_PGM_RSRC2:SCRATCH_EN: 0
; COMPUTE_PGM_RSRC2:USER_SGPR: 6
; COMPUTE_PGM_RSRC2:TRAP_HANDLER: 0
; COMPUTE_PGM_RSRC2:TGID_X_EN: 1
; COMPUTE_PGM_RSRC2:TGID_Y_EN: 0
; COMPUTE_PGM_RSRC2:TGID_Z_EN: 0
; COMPUTE_PGM_RSRC2:TIDIG_COMP_CNT: 0
	.section	.text._ZN7rocprim17ROCPRIM_400000_NS6detail17trampoline_kernelINS0_14default_configENS1_22reduce_config_selectorIN6thrust23THRUST_200600_302600_NS5tupleIblNS6_9null_typeES8_S8_S8_S8_S8_S8_S8_EEEEZNS1_11reduce_implILb1ES3_NS6_12zip_iteratorINS7_INS6_11hip_rocprim26transform_input_iterator_tIbPfNS6_6detail10functional5actorINSH_9compositeIJNSH_27transparent_binary_operatorINS6_8equal_toIvEEEENSI_INSH_8argumentILj0EEEEENSH_5valueIfEEEEEEEEENSD_19counting_iterator_tIlEES8_S8_S8_S8_S8_S8_S8_S8_EEEEPS9_S9_NSD_9__find_if7functorIS9_EEEE10hipError_tPvRmT1_T2_T3_mT4_P12ihipStream_tbEUlT_E0_NS1_11comp_targetILNS1_3genE10ELNS1_11target_archE1200ELNS1_3gpuE4ELNS1_3repE0EEENS1_30default_config_static_selectorELNS0_4arch9wavefront6targetE1EEEvS17_,"axG",@progbits,_ZN7rocprim17ROCPRIM_400000_NS6detail17trampoline_kernelINS0_14default_configENS1_22reduce_config_selectorIN6thrust23THRUST_200600_302600_NS5tupleIblNS6_9null_typeES8_S8_S8_S8_S8_S8_S8_EEEEZNS1_11reduce_implILb1ES3_NS6_12zip_iteratorINS7_INS6_11hip_rocprim26transform_input_iterator_tIbPfNS6_6detail10functional5actorINSH_9compositeIJNSH_27transparent_binary_operatorINS6_8equal_toIvEEEENSI_INSH_8argumentILj0EEEEENSH_5valueIfEEEEEEEEENSD_19counting_iterator_tIlEES8_S8_S8_S8_S8_S8_S8_S8_EEEEPS9_S9_NSD_9__find_if7functorIS9_EEEE10hipError_tPvRmT1_T2_T3_mT4_P12ihipStream_tbEUlT_E0_NS1_11comp_targetILNS1_3genE10ELNS1_11target_archE1200ELNS1_3gpuE4ELNS1_3repE0EEENS1_30default_config_static_selectorELNS0_4arch9wavefront6targetE1EEEvS17_,comdat
	.protected	_ZN7rocprim17ROCPRIM_400000_NS6detail17trampoline_kernelINS0_14default_configENS1_22reduce_config_selectorIN6thrust23THRUST_200600_302600_NS5tupleIblNS6_9null_typeES8_S8_S8_S8_S8_S8_S8_EEEEZNS1_11reduce_implILb1ES3_NS6_12zip_iteratorINS7_INS6_11hip_rocprim26transform_input_iterator_tIbPfNS6_6detail10functional5actorINSH_9compositeIJNSH_27transparent_binary_operatorINS6_8equal_toIvEEEENSI_INSH_8argumentILj0EEEEENSH_5valueIfEEEEEEEEENSD_19counting_iterator_tIlEES8_S8_S8_S8_S8_S8_S8_S8_EEEEPS9_S9_NSD_9__find_if7functorIS9_EEEE10hipError_tPvRmT1_T2_T3_mT4_P12ihipStream_tbEUlT_E0_NS1_11comp_targetILNS1_3genE10ELNS1_11target_archE1200ELNS1_3gpuE4ELNS1_3repE0EEENS1_30default_config_static_selectorELNS0_4arch9wavefront6targetE1EEEvS17_ ; -- Begin function _ZN7rocprim17ROCPRIM_400000_NS6detail17trampoline_kernelINS0_14default_configENS1_22reduce_config_selectorIN6thrust23THRUST_200600_302600_NS5tupleIblNS6_9null_typeES8_S8_S8_S8_S8_S8_S8_EEEEZNS1_11reduce_implILb1ES3_NS6_12zip_iteratorINS7_INS6_11hip_rocprim26transform_input_iterator_tIbPfNS6_6detail10functional5actorINSH_9compositeIJNSH_27transparent_binary_operatorINS6_8equal_toIvEEEENSI_INSH_8argumentILj0EEEEENSH_5valueIfEEEEEEEEENSD_19counting_iterator_tIlEES8_S8_S8_S8_S8_S8_S8_S8_EEEEPS9_S9_NSD_9__find_if7functorIS9_EEEE10hipError_tPvRmT1_T2_T3_mT4_P12ihipStream_tbEUlT_E0_NS1_11comp_targetILNS1_3genE10ELNS1_11target_archE1200ELNS1_3gpuE4ELNS1_3repE0EEENS1_30default_config_static_selectorELNS0_4arch9wavefront6targetE1EEEvS17_
	.globl	_ZN7rocprim17ROCPRIM_400000_NS6detail17trampoline_kernelINS0_14default_configENS1_22reduce_config_selectorIN6thrust23THRUST_200600_302600_NS5tupleIblNS6_9null_typeES8_S8_S8_S8_S8_S8_S8_EEEEZNS1_11reduce_implILb1ES3_NS6_12zip_iteratorINS7_INS6_11hip_rocprim26transform_input_iterator_tIbPfNS6_6detail10functional5actorINSH_9compositeIJNSH_27transparent_binary_operatorINS6_8equal_toIvEEEENSI_INSH_8argumentILj0EEEEENSH_5valueIfEEEEEEEEENSD_19counting_iterator_tIlEES8_S8_S8_S8_S8_S8_S8_S8_EEEEPS9_S9_NSD_9__find_if7functorIS9_EEEE10hipError_tPvRmT1_T2_T3_mT4_P12ihipStream_tbEUlT_E0_NS1_11comp_targetILNS1_3genE10ELNS1_11target_archE1200ELNS1_3gpuE4ELNS1_3repE0EEENS1_30default_config_static_selectorELNS0_4arch9wavefront6targetE1EEEvS17_
	.p2align	8
	.type	_ZN7rocprim17ROCPRIM_400000_NS6detail17trampoline_kernelINS0_14default_configENS1_22reduce_config_selectorIN6thrust23THRUST_200600_302600_NS5tupleIblNS6_9null_typeES8_S8_S8_S8_S8_S8_S8_EEEEZNS1_11reduce_implILb1ES3_NS6_12zip_iteratorINS7_INS6_11hip_rocprim26transform_input_iterator_tIbPfNS6_6detail10functional5actorINSH_9compositeIJNSH_27transparent_binary_operatorINS6_8equal_toIvEEEENSI_INSH_8argumentILj0EEEEENSH_5valueIfEEEEEEEEENSD_19counting_iterator_tIlEES8_S8_S8_S8_S8_S8_S8_S8_EEEEPS9_S9_NSD_9__find_if7functorIS9_EEEE10hipError_tPvRmT1_T2_T3_mT4_P12ihipStream_tbEUlT_E0_NS1_11comp_targetILNS1_3genE10ELNS1_11target_archE1200ELNS1_3gpuE4ELNS1_3repE0EEENS1_30default_config_static_selectorELNS0_4arch9wavefront6targetE1EEEvS17_,@function
_ZN7rocprim17ROCPRIM_400000_NS6detail17trampoline_kernelINS0_14default_configENS1_22reduce_config_selectorIN6thrust23THRUST_200600_302600_NS5tupleIblNS6_9null_typeES8_S8_S8_S8_S8_S8_S8_EEEEZNS1_11reduce_implILb1ES3_NS6_12zip_iteratorINS7_INS6_11hip_rocprim26transform_input_iterator_tIbPfNS6_6detail10functional5actorINSH_9compositeIJNSH_27transparent_binary_operatorINS6_8equal_toIvEEEENSI_INSH_8argumentILj0EEEEENSH_5valueIfEEEEEEEEENSD_19counting_iterator_tIlEES8_S8_S8_S8_S8_S8_S8_S8_EEEEPS9_S9_NSD_9__find_if7functorIS9_EEEE10hipError_tPvRmT1_T2_T3_mT4_P12ihipStream_tbEUlT_E0_NS1_11comp_targetILNS1_3genE10ELNS1_11target_archE1200ELNS1_3gpuE4ELNS1_3repE0EEENS1_30default_config_static_selectorELNS0_4arch9wavefront6targetE1EEEvS17_: ; @_ZN7rocprim17ROCPRIM_400000_NS6detail17trampoline_kernelINS0_14default_configENS1_22reduce_config_selectorIN6thrust23THRUST_200600_302600_NS5tupleIblNS6_9null_typeES8_S8_S8_S8_S8_S8_S8_EEEEZNS1_11reduce_implILb1ES3_NS6_12zip_iteratorINS7_INS6_11hip_rocprim26transform_input_iterator_tIbPfNS6_6detail10functional5actorINSH_9compositeIJNSH_27transparent_binary_operatorINS6_8equal_toIvEEEENSI_INSH_8argumentILj0EEEEENSH_5valueIfEEEEEEEEENSD_19counting_iterator_tIlEES8_S8_S8_S8_S8_S8_S8_S8_EEEEPS9_S9_NSD_9__find_if7functorIS9_EEEE10hipError_tPvRmT1_T2_T3_mT4_P12ihipStream_tbEUlT_E0_NS1_11comp_targetILNS1_3genE10ELNS1_11target_archE1200ELNS1_3gpuE4ELNS1_3repE0EEENS1_30default_config_static_selectorELNS0_4arch9wavefront6targetE1EEEvS17_
; %bb.0:
	.section	.rodata,"a",@progbits
	.p2align	6, 0x0
	.amdhsa_kernel _ZN7rocprim17ROCPRIM_400000_NS6detail17trampoline_kernelINS0_14default_configENS1_22reduce_config_selectorIN6thrust23THRUST_200600_302600_NS5tupleIblNS6_9null_typeES8_S8_S8_S8_S8_S8_S8_EEEEZNS1_11reduce_implILb1ES3_NS6_12zip_iteratorINS7_INS6_11hip_rocprim26transform_input_iterator_tIbPfNS6_6detail10functional5actorINSH_9compositeIJNSH_27transparent_binary_operatorINS6_8equal_toIvEEEENSI_INSH_8argumentILj0EEEEENSH_5valueIfEEEEEEEEENSD_19counting_iterator_tIlEES8_S8_S8_S8_S8_S8_S8_S8_EEEEPS9_S9_NSD_9__find_if7functorIS9_EEEE10hipError_tPvRmT1_T2_T3_mT4_P12ihipStream_tbEUlT_E0_NS1_11comp_targetILNS1_3genE10ELNS1_11target_archE1200ELNS1_3gpuE4ELNS1_3repE0EEENS1_30default_config_static_selectorELNS0_4arch9wavefront6targetE1EEEvS17_
		.amdhsa_group_segment_fixed_size 0
		.amdhsa_private_segment_fixed_size 0
		.amdhsa_kernarg_size 88
		.amdhsa_user_sgpr_count 6
		.amdhsa_user_sgpr_private_segment_buffer 1
		.amdhsa_user_sgpr_dispatch_ptr 0
		.amdhsa_user_sgpr_queue_ptr 0
		.amdhsa_user_sgpr_kernarg_segment_ptr 1
		.amdhsa_user_sgpr_dispatch_id 0
		.amdhsa_user_sgpr_flat_scratch_init 0
		.amdhsa_user_sgpr_private_segment_size 0
		.amdhsa_uses_dynamic_stack 0
		.amdhsa_system_sgpr_private_segment_wavefront_offset 0
		.amdhsa_system_sgpr_workgroup_id_x 1
		.amdhsa_system_sgpr_workgroup_id_y 0
		.amdhsa_system_sgpr_workgroup_id_z 0
		.amdhsa_system_sgpr_workgroup_info 0
		.amdhsa_system_vgpr_workitem_id 0
		.amdhsa_next_free_vgpr 1
		.amdhsa_next_free_sgpr 0
		.amdhsa_reserve_vcc 0
		.amdhsa_reserve_flat_scratch 0
		.amdhsa_float_round_mode_32 0
		.amdhsa_float_round_mode_16_64 0
		.amdhsa_float_denorm_mode_32 3
		.amdhsa_float_denorm_mode_16_64 3
		.amdhsa_dx10_clamp 1
		.amdhsa_ieee_mode 1
		.amdhsa_fp16_overflow 0
		.amdhsa_exception_fp_ieee_invalid_op 0
		.amdhsa_exception_fp_denorm_src 0
		.amdhsa_exception_fp_ieee_div_zero 0
		.amdhsa_exception_fp_ieee_overflow 0
		.amdhsa_exception_fp_ieee_underflow 0
		.amdhsa_exception_fp_ieee_inexact 0
		.amdhsa_exception_int_div_zero 0
	.end_amdhsa_kernel
	.section	.text._ZN7rocprim17ROCPRIM_400000_NS6detail17trampoline_kernelINS0_14default_configENS1_22reduce_config_selectorIN6thrust23THRUST_200600_302600_NS5tupleIblNS6_9null_typeES8_S8_S8_S8_S8_S8_S8_EEEEZNS1_11reduce_implILb1ES3_NS6_12zip_iteratorINS7_INS6_11hip_rocprim26transform_input_iterator_tIbPfNS6_6detail10functional5actorINSH_9compositeIJNSH_27transparent_binary_operatorINS6_8equal_toIvEEEENSI_INSH_8argumentILj0EEEEENSH_5valueIfEEEEEEEEENSD_19counting_iterator_tIlEES8_S8_S8_S8_S8_S8_S8_S8_EEEEPS9_S9_NSD_9__find_if7functorIS9_EEEE10hipError_tPvRmT1_T2_T3_mT4_P12ihipStream_tbEUlT_E0_NS1_11comp_targetILNS1_3genE10ELNS1_11target_archE1200ELNS1_3gpuE4ELNS1_3repE0EEENS1_30default_config_static_selectorELNS0_4arch9wavefront6targetE1EEEvS17_,"axG",@progbits,_ZN7rocprim17ROCPRIM_400000_NS6detail17trampoline_kernelINS0_14default_configENS1_22reduce_config_selectorIN6thrust23THRUST_200600_302600_NS5tupleIblNS6_9null_typeES8_S8_S8_S8_S8_S8_S8_EEEEZNS1_11reduce_implILb1ES3_NS6_12zip_iteratorINS7_INS6_11hip_rocprim26transform_input_iterator_tIbPfNS6_6detail10functional5actorINSH_9compositeIJNSH_27transparent_binary_operatorINS6_8equal_toIvEEEENSI_INSH_8argumentILj0EEEEENSH_5valueIfEEEEEEEEENSD_19counting_iterator_tIlEES8_S8_S8_S8_S8_S8_S8_S8_EEEEPS9_S9_NSD_9__find_if7functorIS9_EEEE10hipError_tPvRmT1_T2_T3_mT4_P12ihipStream_tbEUlT_E0_NS1_11comp_targetILNS1_3genE10ELNS1_11target_archE1200ELNS1_3gpuE4ELNS1_3repE0EEENS1_30default_config_static_selectorELNS0_4arch9wavefront6targetE1EEEvS17_,comdat
.Lfunc_end1948:
	.size	_ZN7rocprim17ROCPRIM_400000_NS6detail17trampoline_kernelINS0_14default_configENS1_22reduce_config_selectorIN6thrust23THRUST_200600_302600_NS5tupleIblNS6_9null_typeES8_S8_S8_S8_S8_S8_S8_EEEEZNS1_11reduce_implILb1ES3_NS6_12zip_iteratorINS7_INS6_11hip_rocprim26transform_input_iterator_tIbPfNS6_6detail10functional5actorINSH_9compositeIJNSH_27transparent_binary_operatorINS6_8equal_toIvEEEENSI_INSH_8argumentILj0EEEEENSH_5valueIfEEEEEEEEENSD_19counting_iterator_tIlEES8_S8_S8_S8_S8_S8_S8_S8_EEEEPS9_S9_NSD_9__find_if7functorIS9_EEEE10hipError_tPvRmT1_T2_T3_mT4_P12ihipStream_tbEUlT_E0_NS1_11comp_targetILNS1_3genE10ELNS1_11target_archE1200ELNS1_3gpuE4ELNS1_3repE0EEENS1_30default_config_static_selectorELNS0_4arch9wavefront6targetE1EEEvS17_, .Lfunc_end1948-_ZN7rocprim17ROCPRIM_400000_NS6detail17trampoline_kernelINS0_14default_configENS1_22reduce_config_selectorIN6thrust23THRUST_200600_302600_NS5tupleIblNS6_9null_typeES8_S8_S8_S8_S8_S8_S8_EEEEZNS1_11reduce_implILb1ES3_NS6_12zip_iteratorINS7_INS6_11hip_rocprim26transform_input_iterator_tIbPfNS6_6detail10functional5actorINSH_9compositeIJNSH_27transparent_binary_operatorINS6_8equal_toIvEEEENSI_INSH_8argumentILj0EEEEENSH_5valueIfEEEEEEEEENSD_19counting_iterator_tIlEES8_S8_S8_S8_S8_S8_S8_S8_EEEEPS9_S9_NSD_9__find_if7functorIS9_EEEE10hipError_tPvRmT1_T2_T3_mT4_P12ihipStream_tbEUlT_E0_NS1_11comp_targetILNS1_3genE10ELNS1_11target_archE1200ELNS1_3gpuE4ELNS1_3repE0EEENS1_30default_config_static_selectorELNS0_4arch9wavefront6targetE1EEEvS17_
                                        ; -- End function
	.set _ZN7rocprim17ROCPRIM_400000_NS6detail17trampoline_kernelINS0_14default_configENS1_22reduce_config_selectorIN6thrust23THRUST_200600_302600_NS5tupleIblNS6_9null_typeES8_S8_S8_S8_S8_S8_S8_EEEEZNS1_11reduce_implILb1ES3_NS6_12zip_iteratorINS7_INS6_11hip_rocprim26transform_input_iterator_tIbPfNS6_6detail10functional5actorINSH_9compositeIJNSH_27transparent_binary_operatorINS6_8equal_toIvEEEENSI_INSH_8argumentILj0EEEEENSH_5valueIfEEEEEEEEENSD_19counting_iterator_tIlEES8_S8_S8_S8_S8_S8_S8_S8_EEEEPS9_S9_NSD_9__find_if7functorIS9_EEEE10hipError_tPvRmT1_T2_T3_mT4_P12ihipStream_tbEUlT_E0_NS1_11comp_targetILNS1_3genE10ELNS1_11target_archE1200ELNS1_3gpuE4ELNS1_3repE0EEENS1_30default_config_static_selectorELNS0_4arch9wavefront6targetE1EEEvS17_.num_vgpr, 0
	.set _ZN7rocprim17ROCPRIM_400000_NS6detail17trampoline_kernelINS0_14default_configENS1_22reduce_config_selectorIN6thrust23THRUST_200600_302600_NS5tupleIblNS6_9null_typeES8_S8_S8_S8_S8_S8_S8_EEEEZNS1_11reduce_implILb1ES3_NS6_12zip_iteratorINS7_INS6_11hip_rocprim26transform_input_iterator_tIbPfNS6_6detail10functional5actorINSH_9compositeIJNSH_27transparent_binary_operatorINS6_8equal_toIvEEEENSI_INSH_8argumentILj0EEEEENSH_5valueIfEEEEEEEEENSD_19counting_iterator_tIlEES8_S8_S8_S8_S8_S8_S8_S8_EEEEPS9_S9_NSD_9__find_if7functorIS9_EEEE10hipError_tPvRmT1_T2_T3_mT4_P12ihipStream_tbEUlT_E0_NS1_11comp_targetILNS1_3genE10ELNS1_11target_archE1200ELNS1_3gpuE4ELNS1_3repE0EEENS1_30default_config_static_selectorELNS0_4arch9wavefront6targetE1EEEvS17_.num_agpr, 0
	.set _ZN7rocprim17ROCPRIM_400000_NS6detail17trampoline_kernelINS0_14default_configENS1_22reduce_config_selectorIN6thrust23THRUST_200600_302600_NS5tupleIblNS6_9null_typeES8_S8_S8_S8_S8_S8_S8_EEEEZNS1_11reduce_implILb1ES3_NS6_12zip_iteratorINS7_INS6_11hip_rocprim26transform_input_iterator_tIbPfNS6_6detail10functional5actorINSH_9compositeIJNSH_27transparent_binary_operatorINS6_8equal_toIvEEEENSI_INSH_8argumentILj0EEEEENSH_5valueIfEEEEEEEEENSD_19counting_iterator_tIlEES8_S8_S8_S8_S8_S8_S8_S8_EEEEPS9_S9_NSD_9__find_if7functorIS9_EEEE10hipError_tPvRmT1_T2_T3_mT4_P12ihipStream_tbEUlT_E0_NS1_11comp_targetILNS1_3genE10ELNS1_11target_archE1200ELNS1_3gpuE4ELNS1_3repE0EEENS1_30default_config_static_selectorELNS0_4arch9wavefront6targetE1EEEvS17_.numbered_sgpr, 0
	.set _ZN7rocprim17ROCPRIM_400000_NS6detail17trampoline_kernelINS0_14default_configENS1_22reduce_config_selectorIN6thrust23THRUST_200600_302600_NS5tupleIblNS6_9null_typeES8_S8_S8_S8_S8_S8_S8_EEEEZNS1_11reduce_implILb1ES3_NS6_12zip_iteratorINS7_INS6_11hip_rocprim26transform_input_iterator_tIbPfNS6_6detail10functional5actorINSH_9compositeIJNSH_27transparent_binary_operatorINS6_8equal_toIvEEEENSI_INSH_8argumentILj0EEEEENSH_5valueIfEEEEEEEEENSD_19counting_iterator_tIlEES8_S8_S8_S8_S8_S8_S8_S8_EEEEPS9_S9_NSD_9__find_if7functorIS9_EEEE10hipError_tPvRmT1_T2_T3_mT4_P12ihipStream_tbEUlT_E0_NS1_11comp_targetILNS1_3genE10ELNS1_11target_archE1200ELNS1_3gpuE4ELNS1_3repE0EEENS1_30default_config_static_selectorELNS0_4arch9wavefront6targetE1EEEvS17_.num_named_barrier, 0
	.set _ZN7rocprim17ROCPRIM_400000_NS6detail17trampoline_kernelINS0_14default_configENS1_22reduce_config_selectorIN6thrust23THRUST_200600_302600_NS5tupleIblNS6_9null_typeES8_S8_S8_S8_S8_S8_S8_EEEEZNS1_11reduce_implILb1ES3_NS6_12zip_iteratorINS7_INS6_11hip_rocprim26transform_input_iterator_tIbPfNS6_6detail10functional5actorINSH_9compositeIJNSH_27transparent_binary_operatorINS6_8equal_toIvEEEENSI_INSH_8argumentILj0EEEEENSH_5valueIfEEEEEEEEENSD_19counting_iterator_tIlEES8_S8_S8_S8_S8_S8_S8_S8_EEEEPS9_S9_NSD_9__find_if7functorIS9_EEEE10hipError_tPvRmT1_T2_T3_mT4_P12ihipStream_tbEUlT_E0_NS1_11comp_targetILNS1_3genE10ELNS1_11target_archE1200ELNS1_3gpuE4ELNS1_3repE0EEENS1_30default_config_static_selectorELNS0_4arch9wavefront6targetE1EEEvS17_.private_seg_size, 0
	.set _ZN7rocprim17ROCPRIM_400000_NS6detail17trampoline_kernelINS0_14default_configENS1_22reduce_config_selectorIN6thrust23THRUST_200600_302600_NS5tupleIblNS6_9null_typeES8_S8_S8_S8_S8_S8_S8_EEEEZNS1_11reduce_implILb1ES3_NS6_12zip_iteratorINS7_INS6_11hip_rocprim26transform_input_iterator_tIbPfNS6_6detail10functional5actorINSH_9compositeIJNSH_27transparent_binary_operatorINS6_8equal_toIvEEEENSI_INSH_8argumentILj0EEEEENSH_5valueIfEEEEEEEEENSD_19counting_iterator_tIlEES8_S8_S8_S8_S8_S8_S8_S8_EEEEPS9_S9_NSD_9__find_if7functorIS9_EEEE10hipError_tPvRmT1_T2_T3_mT4_P12ihipStream_tbEUlT_E0_NS1_11comp_targetILNS1_3genE10ELNS1_11target_archE1200ELNS1_3gpuE4ELNS1_3repE0EEENS1_30default_config_static_selectorELNS0_4arch9wavefront6targetE1EEEvS17_.uses_vcc, 0
	.set _ZN7rocprim17ROCPRIM_400000_NS6detail17trampoline_kernelINS0_14default_configENS1_22reduce_config_selectorIN6thrust23THRUST_200600_302600_NS5tupleIblNS6_9null_typeES8_S8_S8_S8_S8_S8_S8_EEEEZNS1_11reduce_implILb1ES3_NS6_12zip_iteratorINS7_INS6_11hip_rocprim26transform_input_iterator_tIbPfNS6_6detail10functional5actorINSH_9compositeIJNSH_27transparent_binary_operatorINS6_8equal_toIvEEEENSI_INSH_8argumentILj0EEEEENSH_5valueIfEEEEEEEEENSD_19counting_iterator_tIlEES8_S8_S8_S8_S8_S8_S8_S8_EEEEPS9_S9_NSD_9__find_if7functorIS9_EEEE10hipError_tPvRmT1_T2_T3_mT4_P12ihipStream_tbEUlT_E0_NS1_11comp_targetILNS1_3genE10ELNS1_11target_archE1200ELNS1_3gpuE4ELNS1_3repE0EEENS1_30default_config_static_selectorELNS0_4arch9wavefront6targetE1EEEvS17_.uses_flat_scratch, 0
	.set _ZN7rocprim17ROCPRIM_400000_NS6detail17trampoline_kernelINS0_14default_configENS1_22reduce_config_selectorIN6thrust23THRUST_200600_302600_NS5tupleIblNS6_9null_typeES8_S8_S8_S8_S8_S8_S8_EEEEZNS1_11reduce_implILb1ES3_NS6_12zip_iteratorINS7_INS6_11hip_rocprim26transform_input_iterator_tIbPfNS6_6detail10functional5actorINSH_9compositeIJNSH_27transparent_binary_operatorINS6_8equal_toIvEEEENSI_INSH_8argumentILj0EEEEENSH_5valueIfEEEEEEEEENSD_19counting_iterator_tIlEES8_S8_S8_S8_S8_S8_S8_S8_EEEEPS9_S9_NSD_9__find_if7functorIS9_EEEE10hipError_tPvRmT1_T2_T3_mT4_P12ihipStream_tbEUlT_E0_NS1_11comp_targetILNS1_3genE10ELNS1_11target_archE1200ELNS1_3gpuE4ELNS1_3repE0EEENS1_30default_config_static_selectorELNS0_4arch9wavefront6targetE1EEEvS17_.has_dyn_sized_stack, 0
	.set _ZN7rocprim17ROCPRIM_400000_NS6detail17trampoline_kernelINS0_14default_configENS1_22reduce_config_selectorIN6thrust23THRUST_200600_302600_NS5tupleIblNS6_9null_typeES8_S8_S8_S8_S8_S8_S8_EEEEZNS1_11reduce_implILb1ES3_NS6_12zip_iteratorINS7_INS6_11hip_rocprim26transform_input_iterator_tIbPfNS6_6detail10functional5actorINSH_9compositeIJNSH_27transparent_binary_operatorINS6_8equal_toIvEEEENSI_INSH_8argumentILj0EEEEENSH_5valueIfEEEEEEEEENSD_19counting_iterator_tIlEES8_S8_S8_S8_S8_S8_S8_S8_EEEEPS9_S9_NSD_9__find_if7functorIS9_EEEE10hipError_tPvRmT1_T2_T3_mT4_P12ihipStream_tbEUlT_E0_NS1_11comp_targetILNS1_3genE10ELNS1_11target_archE1200ELNS1_3gpuE4ELNS1_3repE0EEENS1_30default_config_static_selectorELNS0_4arch9wavefront6targetE1EEEvS17_.has_recursion, 0
	.set _ZN7rocprim17ROCPRIM_400000_NS6detail17trampoline_kernelINS0_14default_configENS1_22reduce_config_selectorIN6thrust23THRUST_200600_302600_NS5tupleIblNS6_9null_typeES8_S8_S8_S8_S8_S8_S8_EEEEZNS1_11reduce_implILb1ES3_NS6_12zip_iteratorINS7_INS6_11hip_rocprim26transform_input_iterator_tIbPfNS6_6detail10functional5actorINSH_9compositeIJNSH_27transparent_binary_operatorINS6_8equal_toIvEEEENSI_INSH_8argumentILj0EEEEENSH_5valueIfEEEEEEEEENSD_19counting_iterator_tIlEES8_S8_S8_S8_S8_S8_S8_S8_EEEEPS9_S9_NSD_9__find_if7functorIS9_EEEE10hipError_tPvRmT1_T2_T3_mT4_P12ihipStream_tbEUlT_E0_NS1_11comp_targetILNS1_3genE10ELNS1_11target_archE1200ELNS1_3gpuE4ELNS1_3repE0EEENS1_30default_config_static_selectorELNS0_4arch9wavefront6targetE1EEEvS17_.has_indirect_call, 0
	.section	.AMDGPU.csdata,"",@progbits
; Kernel info:
; codeLenInByte = 0
; TotalNumSgprs: 4
; NumVgprs: 0
; ScratchSize: 0
; MemoryBound: 0
; FloatMode: 240
; IeeeMode: 1
; LDSByteSize: 0 bytes/workgroup (compile time only)
; SGPRBlocks: 0
; VGPRBlocks: 0
; NumSGPRsForWavesPerEU: 4
; NumVGPRsForWavesPerEU: 1
; Occupancy: 10
; WaveLimiterHint : 0
; COMPUTE_PGM_RSRC2:SCRATCH_EN: 0
; COMPUTE_PGM_RSRC2:USER_SGPR: 6
; COMPUTE_PGM_RSRC2:TRAP_HANDLER: 0
; COMPUTE_PGM_RSRC2:TGID_X_EN: 1
; COMPUTE_PGM_RSRC2:TGID_Y_EN: 0
; COMPUTE_PGM_RSRC2:TGID_Z_EN: 0
; COMPUTE_PGM_RSRC2:TIDIG_COMP_CNT: 0
	.section	.text._ZN7rocprim17ROCPRIM_400000_NS6detail17trampoline_kernelINS0_14default_configENS1_22reduce_config_selectorIN6thrust23THRUST_200600_302600_NS5tupleIblNS6_9null_typeES8_S8_S8_S8_S8_S8_S8_EEEEZNS1_11reduce_implILb1ES3_NS6_12zip_iteratorINS7_INS6_11hip_rocprim26transform_input_iterator_tIbPfNS6_6detail10functional5actorINSH_9compositeIJNSH_27transparent_binary_operatorINS6_8equal_toIvEEEENSI_INSH_8argumentILj0EEEEENSH_5valueIfEEEEEEEEENSD_19counting_iterator_tIlEES8_S8_S8_S8_S8_S8_S8_S8_EEEEPS9_S9_NSD_9__find_if7functorIS9_EEEE10hipError_tPvRmT1_T2_T3_mT4_P12ihipStream_tbEUlT_E0_NS1_11comp_targetILNS1_3genE9ELNS1_11target_archE1100ELNS1_3gpuE3ELNS1_3repE0EEENS1_30default_config_static_selectorELNS0_4arch9wavefront6targetE1EEEvS17_,"axG",@progbits,_ZN7rocprim17ROCPRIM_400000_NS6detail17trampoline_kernelINS0_14default_configENS1_22reduce_config_selectorIN6thrust23THRUST_200600_302600_NS5tupleIblNS6_9null_typeES8_S8_S8_S8_S8_S8_S8_EEEEZNS1_11reduce_implILb1ES3_NS6_12zip_iteratorINS7_INS6_11hip_rocprim26transform_input_iterator_tIbPfNS6_6detail10functional5actorINSH_9compositeIJNSH_27transparent_binary_operatorINS6_8equal_toIvEEEENSI_INSH_8argumentILj0EEEEENSH_5valueIfEEEEEEEEENSD_19counting_iterator_tIlEES8_S8_S8_S8_S8_S8_S8_S8_EEEEPS9_S9_NSD_9__find_if7functorIS9_EEEE10hipError_tPvRmT1_T2_T3_mT4_P12ihipStream_tbEUlT_E0_NS1_11comp_targetILNS1_3genE9ELNS1_11target_archE1100ELNS1_3gpuE3ELNS1_3repE0EEENS1_30default_config_static_selectorELNS0_4arch9wavefront6targetE1EEEvS17_,comdat
	.protected	_ZN7rocprim17ROCPRIM_400000_NS6detail17trampoline_kernelINS0_14default_configENS1_22reduce_config_selectorIN6thrust23THRUST_200600_302600_NS5tupleIblNS6_9null_typeES8_S8_S8_S8_S8_S8_S8_EEEEZNS1_11reduce_implILb1ES3_NS6_12zip_iteratorINS7_INS6_11hip_rocprim26transform_input_iterator_tIbPfNS6_6detail10functional5actorINSH_9compositeIJNSH_27transparent_binary_operatorINS6_8equal_toIvEEEENSI_INSH_8argumentILj0EEEEENSH_5valueIfEEEEEEEEENSD_19counting_iterator_tIlEES8_S8_S8_S8_S8_S8_S8_S8_EEEEPS9_S9_NSD_9__find_if7functorIS9_EEEE10hipError_tPvRmT1_T2_T3_mT4_P12ihipStream_tbEUlT_E0_NS1_11comp_targetILNS1_3genE9ELNS1_11target_archE1100ELNS1_3gpuE3ELNS1_3repE0EEENS1_30default_config_static_selectorELNS0_4arch9wavefront6targetE1EEEvS17_ ; -- Begin function _ZN7rocprim17ROCPRIM_400000_NS6detail17trampoline_kernelINS0_14default_configENS1_22reduce_config_selectorIN6thrust23THRUST_200600_302600_NS5tupleIblNS6_9null_typeES8_S8_S8_S8_S8_S8_S8_EEEEZNS1_11reduce_implILb1ES3_NS6_12zip_iteratorINS7_INS6_11hip_rocprim26transform_input_iterator_tIbPfNS6_6detail10functional5actorINSH_9compositeIJNSH_27transparent_binary_operatorINS6_8equal_toIvEEEENSI_INSH_8argumentILj0EEEEENSH_5valueIfEEEEEEEEENSD_19counting_iterator_tIlEES8_S8_S8_S8_S8_S8_S8_S8_EEEEPS9_S9_NSD_9__find_if7functorIS9_EEEE10hipError_tPvRmT1_T2_T3_mT4_P12ihipStream_tbEUlT_E0_NS1_11comp_targetILNS1_3genE9ELNS1_11target_archE1100ELNS1_3gpuE3ELNS1_3repE0EEENS1_30default_config_static_selectorELNS0_4arch9wavefront6targetE1EEEvS17_
	.globl	_ZN7rocprim17ROCPRIM_400000_NS6detail17trampoline_kernelINS0_14default_configENS1_22reduce_config_selectorIN6thrust23THRUST_200600_302600_NS5tupleIblNS6_9null_typeES8_S8_S8_S8_S8_S8_S8_EEEEZNS1_11reduce_implILb1ES3_NS6_12zip_iteratorINS7_INS6_11hip_rocprim26transform_input_iterator_tIbPfNS6_6detail10functional5actorINSH_9compositeIJNSH_27transparent_binary_operatorINS6_8equal_toIvEEEENSI_INSH_8argumentILj0EEEEENSH_5valueIfEEEEEEEEENSD_19counting_iterator_tIlEES8_S8_S8_S8_S8_S8_S8_S8_EEEEPS9_S9_NSD_9__find_if7functorIS9_EEEE10hipError_tPvRmT1_T2_T3_mT4_P12ihipStream_tbEUlT_E0_NS1_11comp_targetILNS1_3genE9ELNS1_11target_archE1100ELNS1_3gpuE3ELNS1_3repE0EEENS1_30default_config_static_selectorELNS0_4arch9wavefront6targetE1EEEvS17_
	.p2align	8
	.type	_ZN7rocprim17ROCPRIM_400000_NS6detail17trampoline_kernelINS0_14default_configENS1_22reduce_config_selectorIN6thrust23THRUST_200600_302600_NS5tupleIblNS6_9null_typeES8_S8_S8_S8_S8_S8_S8_EEEEZNS1_11reduce_implILb1ES3_NS6_12zip_iteratorINS7_INS6_11hip_rocprim26transform_input_iterator_tIbPfNS6_6detail10functional5actorINSH_9compositeIJNSH_27transparent_binary_operatorINS6_8equal_toIvEEEENSI_INSH_8argumentILj0EEEEENSH_5valueIfEEEEEEEEENSD_19counting_iterator_tIlEES8_S8_S8_S8_S8_S8_S8_S8_EEEEPS9_S9_NSD_9__find_if7functorIS9_EEEE10hipError_tPvRmT1_T2_T3_mT4_P12ihipStream_tbEUlT_E0_NS1_11comp_targetILNS1_3genE9ELNS1_11target_archE1100ELNS1_3gpuE3ELNS1_3repE0EEENS1_30default_config_static_selectorELNS0_4arch9wavefront6targetE1EEEvS17_,@function
_ZN7rocprim17ROCPRIM_400000_NS6detail17trampoline_kernelINS0_14default_configENS1_22reduce_config_selectorIN6thrust23THRUST_200600_302600_NS5tupleIblNS6_9null_typeES8_S8_S8_S8_S8_S8_S8_EEEEZNS1_11reduce_implILb1ES3_NS6_12zip_iteratorINS7_INS6_11hip_rocprim26transform_input_iterator_tIbPfNS6_6detail10functional5actorINSH_9compositeIJNSH_27transparent_binary_operatorINS6_8equal_toIvEEEENSI_INSH_8argumentILj0EEEEENSH_5valueIfEEEEEEEEENSD_19counting_iterator_tIlEES8_S8_S8_S8_S8_S8_S8_S8_EEEEPS9_S9_NSD_9__find_if7functorIS9_EEEE10hipError_tPvRmT1_T2_T3_mT4_P12ihipStream_tbEUlT_E0_NS1_11comp_targetILNS1_3genE9ELNS1_11target_archE1100ELNS1_3gpuE3ELNS1_3repE0EEENS1_30default_config_static_selectorELNS0_4arch9wavefront6targetE1EEEvS17_: ; @_ZN7rocprim17ROCPRIM_400000_NS6detail17trampoline_kernelINS0_14default_configENS1_22reduce_config_selectorIN6thrust23THRUST_200600_302600_NS5tupleIblNS6_9null_typeES8_S8_S8_S8_S8_S8_S8_EEEEZNS1_11reduce_implILb1ES3_NS6_12zip_iteratorINS7_INS6_11hip_rocprim26transform_input_iterator_tIbPfNS6_6detail10functional5actorINSH_9compositeIJNSH_27transparent_binary_operatorINS6_8equal_toIvEEEENSI_INSH_8argumentILj0EEEEENSH_5valueIfEEEEEEEEENSD_19counting_iterator_tIlEES8_S8_S8_S8_S8_S8_S8_S8_EEEEPS9_S9_NSD_9__find_if7functorIS9_EEEE10hipError_tPvRmT1_T2_T3_mT4_P12ihipStream_tbEUlT_E0_NS1_11comp_targetILNS1_3genE9ELNS1_11target_archE1100ELNS1_3gpuE3ELNS1_3repE0EEENS1_30default_config_static_selectorELNS0_4arch9wavefront6targetE1EEEvS17_
; %bb.0:
	.section	.rodata,"a",@progbits
	.p2align	6, 0x0
	.amdhsa_kernel _ZN7rocprim17ROCPRIM_400000_NS6detail17trampoline_kernelINS0_14default_configENS1_22reduce_config_selectorIN6thrust23THRUST_200600_302600_NS5tupleIblNS6_9null_typeES8_S8_S8_S8_S8_S8_S8_EEEEZNS1_11reduce_implILb1ES3_NS6_12zip_iteratorINS7_INS6_11hip_rocprim26transform_input_iterator_tIbPfNS6_6detail10functional5actorINSH_9compositeIJNSH_27transparent_binary_operatorINS6_8equal_toIvEEEENSI_INSH_8argumentILj0EEEEENSH_5valueIfEEEEEEEEENSD_19counting_iterator_tIlEES8_S8_S8_S8_S8_S8_S8_S8_EEEEPS9_S9_NSD_9__find_if7functorIS9_EEEE10hipError_tPvRmT1_T2_T3_mT4_P12ihipStream_tbEUlT_E0_NS1_11comp_targetILNS1_3genE9ELNS1_11target_archE1100ELNS1_3gpuE3ELNS1_3repE0EEENS1_30default_config_static_selectorELNS0_4arch9wavefront6targetE1EEEvS17_
		.amdhsa_group_segment_fixed_size 0
		.amdhsa_private_segment_fixed_size 0
		.amdhsa_kernarg_size 88
		.amdhsa_user_sgpr_count 6
		.amdhsa_user_sgpr_private_segment_buffer 1
		.amdhsa_user_sgpr_dispatch_ptr 0
		.amdhsa_user_sgpr_queue_ptr 0
		.amdhsa_user_sgpr_kernarg_segment_ptr 1
		.amdhsa_user_sgpr_dispatch_id 0
		.amdhsa_user_sgpr_flat_scratch_init 0
		.amdhsa_user_sgpr_private_segment_size 0
		.amdhsa_uses_dynamic_stack 0
		.amdhsa_system_sgpr_private_segment_wavefront_offset 0
		.amdhsa_system_sgpr_workgroup_id_x 1
		.amdhsa_system_sgpr_workgroup_id_y 0
		.amdhsa_system_sgpr_workgroup_id_z 0
		.amdhsa_system_sgpr_workgroup_info 0
		.amdhsa_system_vgpr_workitem_id 0
		.amdhsa_next_free_vgpr 1
		.amdhsa_next_free_sgpr 0
		.amdhsa_reserve_vcc 0
		.amdhsa_reserve_flat_scratch 0
		.amdhsa_float_round_mode_32 0
		.amdhsa_float_round_mode_16_64 0
		.amdhsa_float_denorm_mode_32 3
		.amdhsa_float_denorm_mode_16_64 3
		.amdhsa_dx10_clamp 1
		.amdhsa_ieee_mode 1
		.amdhsa_fp16_overflow 0
		.amdhsa_exception_fp_ieee_invalid_op 0
		.amdhsa_exception_fp_denorm_src 0
		.amdhsa_exception_fp_ieee_div_zero 0
		.amdhsa_exception_fp_ieee_overflow 0
		.amdhsa_exception_fp_ieee_underflow 0
		.amdhsa_exception_fp_ieee_inexact 0
		.amdhsa_exception_int_div_zero 0
	.end_amdhsa_kernel
	.section	.text._ZN7rocprim17ROCPRIM_400000_NS6detail17trampoline_kernelINS0_14default_configENS1_22reduce_config_selectorIN6thrust23THRUST_200600_302600_NS5tupleIblNS6_9null_typeES8_S8_S8_S8_S8_S8_S8_EEEEZNS1_11reduce_implILb1ES3_NS6_12zip_iteratorINS7_INS6_11hip_rocprim26transform_input_iterator_tIbPfNS6_6detail10functional5actorINSH_9compositeIJNSH_27transparent_binary_operatorINS6_8equal_toIvEEEENSI_INSH_8argumentILj0EEEEENSH_5valueIfEEEEEEEEENSD_19counting_iterator_tIlEES8_S8_S8_S8_S8_S8_S8_S8_EEEEPS9_S9_NSD_9__find_if7functorIS9_EEEE10hipError_tPvRmT1_T2_T3_mT4_P12ihipStream_tbEUlT_E0_NS1_11comp_targetILNS1_3genE9ELNS1_11target_archE1100ELNS1_3gpuE3ELNS1_3repE0EEENS1_30default_config_static_selectorELNS0_4arch9wavefront6targetE1EEEvS17_,"axG",@progbits,_ZN7rocprim17ROCPRIM_400000_NS6detail17trampoline_kernelINS0_14default_configENS1_22reduce_config_selectorIN6thrust23THRUST_200600_302600_NS5tupleIblNS6_9null_typeES8_S8_S8_S8_S8_S8_S8_EEEEZNS1_11reduce_implILb1ES3_NS6_12zip_iteratorINS7_INS6_11hip_rocprim26transform_input_iterator_tIbPfNS6_6detail10functional5actorINSH_9compositeIJNSH_27transparent_binary_operatorINS6_8equal_toIvEEEENSI_INSH_8argumentILj0EEEEENSH_5valueIfEEEEEEEEENSD_19counting_iterator_tIlEES8_S8_S8_S8_S8_S8_S8_S8_EEEEPS9_S9_NSD_9__find_if7functorIS9_EEEE10hipError_tPvRmT1_T2_T3_mT4_P12ihipStream_tbEUlT_E0_NS1_11comp_targetILNS1_3genE9ELNS1_11target_archE1100ELNS1_3gpuE3ELNS1_3repE0EEENS1_30default_config_static_selectorELNS0_4arch9wavefront6targetE1EEEvS17_,comdat
.Lfunc_end1949:
	.size	_ZN7rocprim17ROCPRIM_400000_NS6detail17trampoline_kernelINS0_14default_configENS1_22reduce_config_selectorIN6thrust23THRUST_200600_302600_NS5tupleIblNS6_9null_typeES8_S8_S8_S8_S8_S8_S8_EEEEZNS1_11reduce_implILb1ES3_NS6_12zip_iteratorINS7_INS6_11hip_rocprim26transform_input_iterator_tIbPfNS6_6detail10functional5actorINSH_9compositeIJNSH_27transparent_binary_operatorINS6_8equal_toIvEEEENSI_INSH_8argumentILj0EEEEENSH_5valueIfEEEEEEEEENSD_19counting_iterator_tIlEES8_S8_S8_S8_S8_S8_S8_S8_EEEEPS9_S9_NSD_9__find_if7functorIS9_EEEE10hipError_tPvRmT1_T2_T3_mT4_P12ihipStream_tbEUlT_E0_NS1_11comp_targetILNS1_3genE9ELNS1_11target_archE1100ELNS1_3gpuE3ELNS1_3repE0EEENS1_30default_config_static_selectorELNS0_4arch9wavefront6targetE1EEEvS17_, .Lfunc_end1949-_ZN7rocprim17ROCPRIM_400000_NS6detail17trampoline_kernelINS0_14default_configENS1_22reduce_config_selectorIN6thrust23THRUST_200600_302600_NS5tupleIblNS6_9null_typeES8_S8_S8_S8_S8_S8_S8_EEEEZNS1_11reduce_implILb1ES3_NS6_12zip_iteratorINS7_INS6_11hip_rocprim26transform_input_iterator_tIbPfNS6_6detail10functional5actorINSH_9compositeIJNSH_27transparent_binary_operatorINS6_8equal_toIvEEEENSI_INSH_8argumentILj0EEEEENSH_5valueIfEEEEEEEEENSD_19counting_iterator_tIlEES8_S8_S8_S8_S8_S8_S8_S8_EEEEPS9_S9_NSD_9__find_if7functorIS9_EEEE10hipError_tPvRmT1_T2_T3_mT4_P12ihipStream_tbEUlT_E0_NS1_11comp_targetILNS1_3genE9ELNS1_11target_archE1100ELNS1_3gpuE3ELNS1_3repE0EEENS1_30default_config_static_selectorELNS0_4arch9wavefront6targetE1EEEvS17_
                                        ; -- End function
	.set _ZN7rocprim17ROCPRIM_400000_NS6detail17trampoline_kernelINS0_14default_configENS1_22reduce_config_selectorIN6thrust23THRUST_200600_302600_NS5tupleIblNS6_9null_typeES8_S8_S8_S8_S8_S8_S8_EEEEZNS1_11reduce_implILb1ES3_NS6_12zip_iteratorINS7_INS6_11hip_rocprim26transform_input_iterator_tIbPfNS6_6detail10functional5actorINSH_9compositeIJNSH_27transparent_binary_operatorINS6_8equal_toIvEEEENSI_INSH_8argumentILj0EEEEENSH_5valueIfEEEEEEEEENSD_19counting_iterator_tIlEES8_S8_S8_S8_S8_S8_S8_S8_EEEEPS9_S9_NSD_9__find_if7functorIS9_EEEE10hipError_tPvRmT1_T2_T3_mT4_P12ihipStream_tbEUlT_E0_NS1_11comp_targetILNS1_3genE9ELNS1_11target_archE1100ELNS1_3gpuE3ELNS1_3repE0EEENS1_30default_config_static_selectorELNS0_4arch9wavefront6targetE1EEEvS17_.num_vgpr, 0
	.set _ZN7rocprim17ROCPRIM_400000_NS6detail17trampoline_kernelINS0_14default_configENS1_22reduce_config_selectorIN6thrust23THRUST_200600_302600_NS5tupleIblNS6_9null_typeES8_S8_S8_S8_S8_S8_S8_EEEEZNS1_11reduce_implILb1ES3_NS6_12zip_iteratorINS7_INS6_11hip_rocprim26transform_input_iterator_tIbPfNS6_6detail10functional5actorINSH_9compositeIJNSH_27transparent_binary_operatorINS6_8equal_toIvEEEENSI_INSH_8argumentILj0EEEEENSH_5valueIfEEEEEEEEENSD_19counting_iterator_tIlEES8_S8_S8_S8_S8_S8_S8_S8_EEEEPS9_S9_NSD_9__find_if7functorIS9_EEEE10hipError_tPvRmT1_T2_T3_mT4_P12ihipStream_tbEUlT_E0_NS1_11comp_targetILNS1_3genE9ELNS1_11target_archE1100ELNS1_3gpuE3ELNS1_3repE0EEENS1_30default_config_static_selectorELNS0_4arch9wavefront6targetE1EEEvS17_.num_agpr, 0
	.set _ZN7rocprim17ROCPRIM_400000_NS6detail17trampoline_kernelINS0_14default_configENS1_22reduce_config_selectorIN6thrust23THRUST_200600_302600_NS5tupleIblNS6_9null_typeES8_S8_S8_S8_S8_S8_S8_EEEEZNS1_11reduce_implILb1ES3_NS6_12zip_iteratorINS7_INS6_11hip_rocprim26transform_input_iterator_tIbPfNS6_6detail10functional5actorINSH_9compositeIJNSH_27transparent_binary_operatorINS6_8equal_toIvEEEENSI_INSH_8argumentILj0EEEEENSH_5valueIfEEEEEEEEENSD_19counting_iterator_tIlEES8_S8_S8_S8_S8_S8_S8_S8_EEEEPS9_S9_NSD_9__find_if7functorIS9_EEEE10hipError_tPvRmT1_T2_T3_mT4_P12ihipStream_tbEUlT_E0_NS1_11comp_targetILNS1_3genE9ELNS1_11target_archE1100ELNS1_3gpuE3ELNS1_3repE0EEENS1_30default_config_static_selectorELNS0_4arch9wavefront6targetE1EEEvS17_.numbered_sgpr, 0
	.set _ZN7rocprim17ROCPRIM_400000_NS6detail17trampoline_kernelINS0_14default_configENS1_22reduce_config_selectorIN6thrust23THRUST_200600_302600_NS5tupleIblNS6_9null_typeES8_S8_S8_S8_S8_S8_S8_EEEEZNS1_11reduce_implILb1ES3_NS6_12zip_iteratorINS7_INS6_11hip_rocprim26transform_input_iterator_tIbPfNS6_6detail10functional5actorINSH_9compositeIJNSH_27transparent_binary_operatorINS6_8equal_toIvEEEENSI_INSH_8argumentILj0EEEEENSH_5valueIfEEEEEEEEENSD_19counting_iterator_tIlEES8_S8_S8_S8_S8_S8_S8_S8_EEEEPS9_S9_NSD_9__find_if7functorIS9_EEEE10hipError_tPvRmT1_T2_T3_mT4_P12ihipStream_tbEUlT_E0_NS1_11comp_targetILNS1_3genE9ELNS1_11target_archE1100ELNS1_3gpuE3ELNS1_3repE0EEENS1_30default_config_static_selectorELNS0_4arch9wavefront6targetE1EEEvS17_.num_named_barrier, 0
	.set _ZN7rocprim17ROCPRIM_400000_NS6detail17trampoline_kernelINS0_14default_configENS1_22reduce_config_selectorIN6thrust23THRUST_200600_302600_NS5tupleIblNS6_9null_typeES8_S8_S8_S8_S8_S8_S8_EEEEZNS1_11reduce_implILb1ES3_NS6_12zip_iteratorINS7_INS6_11hip_rocprim26transform_input_iterator_tIbPfNS6_6detail10functional5actorINSH_9compositeIJNSH_27transparent_binary_operatorINS6_8equal_toIvEEEENSI_INSH_8argumentILj0EEEEENSH_5valueIfEEEEEEEEENSD_19counting_iterator_tIlEES8_S8_S8_S8_S8_S8_S8_S8_EEEEPS9_S9_NSD_9__find_if7functorIS9_EEEE10hipError_tPvRmT1_T2_T3_mT4_P12ihipStream_tbEUlT_E0_NS1_11comp_targetILNS1_3genE9ELNS1_11target_archE1100ELNS1_3gpuE3ELNS1_3repE0EEENS1_30default_config_static_selectorELNS0_4arch9wavefront6targetE1EEEvS17_.private_seg_size, 0
	.set _ZN7rocprim17ROCPRIM_400000_NS6detail17trampoline_kernelINS0_14default_configENS1_22reduce_config_selectorIN6thrust23THRUST_200600_302600_NS5tupleIblNS6_9null_typeES8_S8_S8_S8_S8_S8_S8_EEEEZNS1_11reduce_implILb1ES3_NS6_12zip_iteratorINS7_INS6_11hip_rocprim26transform_input_iterator_tIbPfNS6_6detail10functional5actorINSH_9compositeIJNSH_27transparent_binary_operatorINS6_8equal_toIvEEEENSI_INSH_8argumentILj0EEEEENSH_5valueIfEEEEEEEEENSD_19counting_iterator_tIlEES8_S8_S8_S8_S8_S8_S8_S8_EEEEPS9_S9_NSD_9__find_if7functorIS9_EEEE10hipError_tPvRmT1_T2_T3_mT4_P12ihipStream_tbEUlT_E0_NS1_11comp_targetILNS1_3genE9ELNS1_11target_archE1100ELNS1_3gpuE3ELNS1_3repE0EEENS1_30default_config_static_selectorELNS0_4arch9wavefront6targetE1EEEvS17_.uses_vcc, 0
	.set _ZN7rocprim17ROCPRIM_400000_NS6detail17trampoline_kernelINS0_14default_configENS1_22reduce_config_selectorIN6thrust23THRUST_200600_302600_NS5tupleIblNS6_9null_typeES8_S8_S8_S8_S8_S8_S8_EEEEZNS1_11reduce_implILb1ES3_NS6_12zip_iteratorINS7_INS6_11hip_rocprim26transform_input_iterator_tIbPfNS6_6detail10functional5actorINSH_9compositeIJNSH_27transparent_binary_operatorINS6_8equal_toIvEEEENSI_INSH_8argumentILj0EEEEENSH_5valueIfEEEEEEEEENSD_19counting_iterator_tIlEES8_S8_S8_S8_S8_S8_S8_S8_EEEEPS9_S9_NSD_9__find_if7functorIS9_EEEE10hipError_tPvRmT1_T2_T3_mT4_P12ihipStream_tbEUlT_E0_NS1_11comp_targetILNS1_3genE9ELNS1_11target_archE1100ELNS1_3gpuE3ELNS1_3repE0EEENS1_30default_config_static_selectorELNS0_4arch9wavefront6targetE1EEEvS17_.uses_flat_scratch, 0
	.set _ZN7rocprim17ROCPRIM_400000_NS6detail17trampoline_kernelINS0_14default_configENS1_22reduce_config_selectorIN6thrust23THRUST_200600_302600_NS5tupleIblNS6_9null_typeES8_S8_S8_S8_S8_S8_S8_EEEEZNS1_11reduce_implILb1ES3_NS6_12zip_iteratorINS7_INS6_11hip_rocprim26transform_input_iterator_tIbPfNS6_6detail10functional5actorINSH_9compositeIJNSH_27transparent_binary_operatorINS6_8equal_toIvEEEENSI_INSH_8argumentILj0EEEEENSH_5valueIfEEEEEEEEENSD_19counting_iterator_tIlEES8_S8_S8_S8_S8_S8_S8_S8_EEEEPS9_S9_NSD_9__find_if7functorIS9_EEEE10hipError_tPvRmT1_T2_T3_mT4_P12ihipStream_tbEUlT_E0_NS1_11comp_targetILNS1_3genE9ELNS1_11target_archE1100ELNS1_3gpuE3ELNS1_3repE0EEENS1_30default_config_static_selectorELNS0_4arch9wavefront6targetE1EEEvS17_.has_dyn_sized_stack, 0
	.set _ZN7rocprim17ROCPRIM_400000_NS6detail17trampoline_kernelINS0_14default_configENS1_22reduce_config_selectorIN6thrust23THRUST_200600_302600_NS5tupleIblNS6_9null_typeES8_S8_S8_S8_S8_S8_S8_EEEEZNS1_11reduce_implILb1ES3_NS6_12zip_iteratorINS7_INS6_11hip_rocprim26transform_input_iterator_tIbPfNS6_6detail10functional5actorINSH_9compositeIJNSH_27transparent_binary_operatorINS6_8equal_toIvEEEENSI_INSH_8argumentILj0EEEEENSH_5valueIfEEEEEEEEENSD_19counting_iterator_tIlEES8_S8_S8_S8_S8_S8_S8_S8_EEEEPS9_S9_NSD_9__find_if7functorIS9_EEEE10hipError_tPvRmT1_T2_T3_mT4_P12ihipStream_tbEUlT_E0_NS1_11comp_targetILNS1_3genE9ELNS1_11target_archE1100ELNS1_3gpuE3ELNS1_3repE0EEENS1_30default_config_static_selectorELNS0_4arch9wavefront6targetE1EEEvS17_.has_recursion, 0
	.set _ZN7rocprim17ROCPRIM_400000_NS6detail17trampoline_kernelINS0_14default_configENS1_22reduce_config_selectorIN6thrust23THRUST_200600_302600_NS5tupleIblNS6_9null_typeES8_S8_S8_S8_S8_S8_S8_EEEEZNS1_11reduce_implILb1ES3_NS6_12zip_iteratorINS7_INS6_11hip_rocprim26transform_input_iterator_tIbPfNS6_6detail10functional5actorINSH_9compositeIJNSH_27transparent_binary_operatorINS6_8equal_toIvEEEENSI_INSH_8argumentILj0EEEEENSH_5valueIfEEEEEEEEENSD_19counting_iterator_tIlEES8_S8_S8_S8_S8_S8_S8_S8_EEEEPS9_S9_NSD_9__find_if7functorIS9_EEEE10hipError_tPvRmT1_T2_T3_mT4_P12ihipStream_tbEUlT_E0_NS1_11comp_targetILNS1_3genE9ELNS1_11target_archE1100ELNS1_3gpuE3ELNS1_3repE0EEENS1_30default_config_static_selectorELNS0_4arch9wavefront6targetE1EEEvS17_.has_indirect_call, 0
	.section	.AMDGPU.csdata,"",@progbits
; Kernel info:
; codeLenInByte = 0
; TotalNumSgprs: 4
; NumVgprs: 0
; ScratchSize: 0
; MemoryBound: 0
; FloatMode: 240
; IeeeMode: 1
; LDSByteSize: 0 bytes/workgroup (compile time only)
; SGPRBlocks: 0
; VGPRBlocks: 0
; NumSGPRsForWavesPerEU: 4
; NumVGPRsForWavesPerEU: 1
; Occupancy: 10
; WaveLimiterHint : 0
; COMPUTE_PGM_RSRC2:SCRATCH_EN: 0
; COMPUTE_PGM_RSRC2:USER_SGPR: 6
; COMPUTE_PGM_RSRC2:TRAP_HANDLER: 0
; COMPUTE_PGM_RSRC2:TGID_X_EN: 1
; COMPUTE_PGM_RSRC2:TGID_Y_EN: 0
; COMPUTE_PGM_RSRC2:TGID_Z_EN: 0
; COMPUTE_PGM_RSRC2:TIDIG_COMP_CNT: 0
	.section	.text._ZN7rocprim17ROCPRIM_400000_NS6detail17trampoline_kernelINS0_14default_configENS1_22reduce_config_selectorIN6thrust23THRUST_200600_302600_NS5tupleIblNS6_9null_typeES8_S8_S8_S8_S8_S8_S8_EEEEZNS1_11reduce_implILb1ES3_NS6_12zip_iteratorINS7_INS6_11hip_rocprim26transform_input_iterator_tIbPfNS6_6detail10functional5actorINSH_9compositeIJNSH_27transparent_binary_operatorINS6_8equal_toIvEEEENSI_INSH_8argumentILj0EEEEENSH_5valueIfEEEEEEEEENSD_19counting_iterator_tIlEES8_S8_S8_S8_S8_S8_S8_S8_EEEEPS9_S9_NSD_9__find_if7functorIS9_EEEE10hipError_tPvRmT1_T2_T3_mT4_P12ihipStream_tbEUlT_E0_NS1_11comp_targetILNS1_3genE8ELNS1_11target_archE1030ELNS1_3gpuE2ELNS1_3repE0EEENS1_30default_config_static_selectorELNS0_4arch9wavefront6targetE1EEEvS17_,"axG",@progbits,_ZN7rocprim17ROCPRIM_400000_NS6detail17trampoline_kernelINS0_14default_configENS1_22reduce_config_selectorIN6thrust23THRUST_200600_302600_NS5tupleIblNS6_9null_typeES8_S8_S8_S8_S8_S8_S8_EEEEZNS1_11reduce_implILb1ES3_NS6_12zip_iteratorINS7_INS6_11hip_rocprim26transform_input_iterator_tIbPfNS6_6detail10functional5actorINSH_9compositeIJNSH_27transparent_binary_operatorINS6_8equal_toIvEEEENSI_INSH_8argumentILj0EEEEENSH_5valueIfEEEEEEEEENSD_19counting_iterator_tIlEES8_S8_S8_S8_S8_S8_S8_S8_EEEEPS9_S9_NSD_9__find_if7functorIS9_EEEE10hipError_tPvRmT1_T2_T3_mT4_P12ihipStream_tbEUlT_E0_NS1_11comp_targetILNS1_3genE8ELNS1_11target_archE1030ELNS1_3gpuE2ELNS1_3repE0EEENS1_30default_config_static_selectorELNS0_4arch9wavefront6targetE1EEEvS17_,comdat
	.protected	_ZN7rocprim17ROCPRIM_400000_NS6detail17trampoline_kernelINS0_14default_configENS1_22reduce_config_selectorIN6thrust23THRUST_200600_302600_NS5tupleIblNS6_9null_typeES8_S8_S8_S8_S8_S8_S8_EEEEZNS1_11reduce_implILb1ES3_NS6_12zip_iteratorINS7_INS6_11hip_rocprim26transform_input_iterator_tIbPfNS6_6detail10functional5actorINSH_9compositeIJNSH_27transparent_binary_operatorINS6_8equal_toIvEEEENSI_INSH_8argumentILj0EEEEENSH_5valueIfEEEEEEEEENSD_19counting_iterator_tIlEES8_S8_S8_S8_S8_S8_S8_S8_EEEEPS9_S9_NSD_9__find_if7functorIS9_EEEE10hipError_tPvRmT1_T2_T3_mT4_P12ihipStream_tbEUlT_E0_NS1_11comp_targetILNS1_3genE8ELNS1_11target_archE1030ELNS1_3gpuE2ELNS1_3repE0EEENS1_30default_config_static_selectorELNS0_4arch9wavefront6targetE1EEEvS17_ ; -- Begin function _ZN7rocprim17ROCPRIM_400000_NS6detail17trampoline_kernelINS0_14default_configENS1_22reduce_config_selectorIN6thrust23THRUST_200600_302600_NS5tupleIblNS6_9null_typeES8_S8_S8_S8_S8_S8_S8_EEEEZNS1_11reduce_implILb1ES3_NS6_12zip_iteratorINS7_INS6_11hip_rocprim26transform_input_iterator_tIbPfNS6_6detail10functional5actorINSH_9compositeIJNSH_27transparent_binary_operatorINS6_8equal_toIvEEEENSI_INSH_8argumentILj0EEEEENSH_5valueIfEEEEEEEEENSD_19counting_iterator_tIlEES8_S8_S8_S8_S8_S8_S8_S8_EEEEPS9_S9_NSD_9__find_if7functorIS9_EEEE10hipError_tPvRmT1_T2_T3_mT4_P12ihipStream_tbEUlT_E0_NS1_11comp_targetILNS1_3genE8ELNS1_11target_archE1030ELNS1_3gpuE2ELNS1_3repE0EEENS1_30default_config_static_selectorELNS0_4arch9wavefront6targetE1EEEvS17_
	.globl	_ZN7rocprim17ROCPRIM_400000_NS6detail17trampoline_kernelINS0_14default_configENS1_22reduce_config_selectorIN6thrust23THRUST_200600_302600_NS5tupleIblNS6_9null_typeES8_S8_S8_S8_S8_S8_S8_EEEEZNS1_11reduce_implILb1ES3_NS6_12zip_iteratorINS7_INS6_11hip_rocprim26transform_input_iterator_tIbPfNS6_6detail10functional5actorINSH_9compositeIJNSH_27transparent_binary_operatorINS6_8equal_toIvEEEENSI_INSH_8argumentILj0EEEEENSH_5valueIfEEEEEEEEENSD_19counting_iterator_tIlEES8_S8_S8_S8_S8_S8_S8_S8_EEEEPS9_S9_NSD_9__find_if7functorIS9_EEEE10hipError_tPvRmT1_T2_T3_mT4_P12ihipStream_tbEUlT_E0_NS1_11comp_targetILNS1_3genE8ELNS1_11target_archE1030ELNS1_3gpuE2ELNS1_3repE0EEENS1_30default_config_static_selectorELNS0_4arch9wavefront6targetE1EEEvS17_
	.p2align	8
	.type	_ZN7rocprim17ROCPRIM_400000_NS6detail17trampoline_kernelINS0_14default_configENS1_22reduce_config_selectorIN6thrust23THRUST_200600_302600_NS5tupleIblNS6_9null_typeES8_S8_S8_S8_S8_S8_S8_EEEEZNS1_11reduce_implILb1ES3_NS6_12zip_iteratorINS7_INS6_11hip_rocprim26transform_input_iterator_tIbPfNS6_6detail10functional5actorINSH_9compositeIJNSH_27transparent_binary_operatorINS6_8equal_toIvEEEENSI_INSH_8argumentILj0EEEEENSH_5valueIfEEEEEEEEENSD_19counting_iterator_tIlEES8_S8_S8_S8_S8_S8_S8_S8_EEEEPS9_S9_NSD_9__find_if7functorIS9_EEEE10hipError_tPvRmT1_T2_T3_mT4_P12ihipStream_tbEUlT_E0_NS1_11comp_targetILNS1_3genE8ELNS1_11target_archE1030ELNS1_3gpuE2ELNS1_3repE0EEENS1_30default_config_static_selectorELNS0_4arch9wavefront6targetE1EEEvS17_,@function
_ZN7rocprim17ROCPRIM_400000_NS6detail17trampoline_kernelINS0_14default_configENS1_22reduce_config_selectorIN6thrust23THRUST_200600_302600_NS5tupleIblNS6_9null_typeES8_S8_S8_S8_S8_S8_S8_EEEEZNS1_11reduce_implILb1ES3_NS6_12zip_iteratorINS7_INS6_11hip_rocprim26transform_input_iterator_tIbPfNS6_6detail10functional5actorINSH_9compositeIJNSH_27transparent_binary_operatorINS6_8equal_toIvEEEENSI_INSH_8argumentILj0EEEEENSH_5valueIfEEEEEEEEENSD_19counting_iterator_tIlEES8_S8_S8_S8_S8_S8_S8_S8_EEEEPS9_S9_NSD_9__find_if7functorIS9_EEEE10hipError_tPvRmT1_T2_T3_mT4_P12ihipStream_tbEUlT_E0_NS1_11comp_targetILNS1_3genE8ELNS1_11target_archE1030ELNS1_3gpuE2ELNS1_3repE0EEENS1_30default_config_static_selectorELNS0_4arch9wavefront6targetE1EEEvS17_: ; @_ZN7rocprim17ROCPRIM_400000_NS6detail17trampoline_kernelINS0_14default_configENS1_22reduce_config_selectorIN6thrust23THRUST_200600_302600_NS5tupleIblNS6_9null_typeES8_S8_S8_S8_S8_S8_S8_EEEEZNS1_11reduce_implILb1ES3_NS6_12zip_iteratorINS7_INS6_11hip_rocprim26transform_input_iterator_tIbPfNS6_6detail10functional5actorINSH_9compositeIJNSH_27transparent_binary_operatorINS6_8equal_toIvEEEENSI_INSH_8argumentILj0EEEEENSH_5valueIfEEEEEEEEENSD_19counting_iterator_tIlEES8_S8_S8_S8_S8_S8_S8_S8_EEEEPS9_S9_NSD_9__find_if7functorIS9_EEEE10hipError_tPvRmT1_T2_T3_mT4_P12ihipStream_tbEUlT_E0_NS1_11comp_targetILNS1_3genE8ELNS1_11target_archE1030ELNS1_3gpuE2ELNS1_3repE0EEENS1_30default_config_static_selectorELNS0_4arch9wavefront6targetE1EEEvS17_
; %bb.0:
	.section	.rodata,"a",@progbits
	.p2align	6, 0x0
	.amdhsa_kernel _ZN7rocprim17ROCPRIM_400000_NS6detail17trampoline_kernelINS0_14default_configENS1_22reduce_config_selectorIN6thrust23THRUST_200600_302600_NS5tupleIblNS6_9null_typeES8_S8_S8_S8_S8_S8_S8_EEEEZNS1_11reduce_implILb1ES3_NS6_12zip_iteratorINS7_INS6_11hip_rocprim26transform_input_iterator_tIbPfNS6_6detail10functional5actorINSH_9compositeIJNSH_27transparent_binary_operatorINS6_8equal_toIvEEEENSI_INSH_8argumentILj0EEEEENSH_5valueIfEEEEEEEEENSD_19counting_iterator_tIlEES8_S8_S8_S8_S8_S8_S8_S8_EEEEPS9_S9_NSD_9__find_if7functorIS9_EEEE10hipError_tPvRmT1_T2_T3_mT4_P12ihipStream_tbEUlT_E0_NS1_11comp_targetILNS1_3genE8ELNS1_11target_archE1030ELNS1_3gpuE2ELNS1_3repE0EEENS1_30default_config_static_selectorELNS0_4arch9wavefront6targetE1EEEvS17_
		.amdhsa_group_segment_fixed_size 0
		.amdhsa_private_segment_fixed_size 0
		.amdhsa_kernarg_size 88
		.amdhsa_user_sgpr_count 6
		.amdhsa_user_sgpr_private_segment_buffer 1
		.amdhsa_user_sgpr_dispatch_ptr 0
		.amdhsa_user_sgpr_queue_ptr 0
		.amdhsa_user_sgpr_kernarg_segment_ptr 1
		.amdhsa_user_sgpr_dispatch_id 0
		.amdhsa_user_sgpr_flat_scratch_init 0
		.amdhsa_user_sgpr_private_segment_size 0
		.amdhsa_uses_dynamic_stack 0
		.amdhsa_system_sgpr_private_segment_wavefront_offset 0
		.amdhsa_system_sgpr_workgroup_id_x 1
		.amdhsa_system_sgpr_workgroup_id_y 0
		.amdhsa_system_sgpr_workgroup_id_z 0
		.amdhsa_system_sgpr_workgroup_info 0
		.amdhsa_system_vgpr_workitem_id 0
		.amdhsa_next_free_vgpr 1
		.amdhsa_next_free_sgpr 0
		.amdhsa_reserve_vcc 0
		.amdhsa_reserve_flat_scratch 0
		.amdhsa_float_round_mode_32 0
		.amdhsa_float_round_mode_16_64 0
		.amdhsa_float_denorm_mode_32 3
		.amdhsa_float_denorm_mode_16_64 3
		.amdhsa_dx10_clamp 1
		.amdhsa_ieee_mode 1
		.amdhsa_fp16_overflow 0
		.amdhsa_exception_fp_ieee_invalid_op 0
		.amdhsa_exception_fp_denorm_src 0
		.amdhsa_exception_fp_ieee_div_zero 0
		.amdhsa_exception_fp_ieee_overflow 0
		.amdhsa_exception_fp_ieee_underflow 0
		.amdhsa_exception_fp_ieee_inexact 0
		.amdhsa_exception_int_div_zero 0
	.end_amdhsa_kernel
	.section	.text._ZN7rocprim17ROCPRIM_400000_NS6detail17trampoline_kernelINS0_14default_configENS1_22reduce_config_selectorIN6thrust23THRUST_200600_302600_NS5tupleIblNS6_9null_typeES8_S8_S8_S8_S8_S8_S8_EEEEZNS1_11reduce_implILb1ES3_NS6_12zip_iteratorINS7_INS6_11hip_rocprim26transform_input_iterator_tIbPfNS6_6detail10functional5actorINSH_9compositeIJNSH_27transparent_binary_operatorINS6_8equal_toIvEEEENSI_INSH_8argumentILj0EEEEENSH_5valueIfEEEEEEEEENSD_19counting_iterator_tIlEES8_S8_S8_S8_S8_S8_S8_S8_EEEEPS9_S9_NSD_9__find_if7functorIS9_EEEE10hipError_tPvRmT1_T2_T3_mT4_P12ihipStream_tbEUlT_E0_NS1_11comp_targetILNS1_3genE8ELNS1_11target_archE1030ELNS1_3gpuE2ELNS1_3repE0EEENS1_30default_config_static_selectorELNS0_4arch9wavefront6targetE1EEEvS17_,"axG",@progbits,_ZN7rocprim17ROCPRIM_400000_NS6detail17trampoline_kernelINS0_14default_configENS1_22reduce_config_selectorIN6thrust23THRUST_200600_302600_NS5tupleIblNS6_9null_typeES8_S8_S8_S8_S8_S8_S8_EEEEZNS1_11reduce_implILb1ES3_NS6_12zip_iteratorINS7_INS6_11hip_rocprim26transform_input_iterator_tIbPfNS6_6detail10functional5actorINSH_9compositeIJNSH_27transparent_binary_operatorINS6_8equal_toIvEEEENSI_INSH_8argumentILj0EEEEENSH_5valueIfEEEEEEEEENSD_19counting_iterator_tIlEES8_S8_S8_S8_S8_S8_S8_S8_EEEEPS9_S9_NSD_9__find_if7functorIS9_EEEE10hipError_tPvRmT1_T2_T3_mT4_P12ihipStream_tbEUlT_E0_NS1_11comp_targetILNS1_3genE8ELNS1_11target_archE1030ELNS1_3gpuE2ELNS1_3repE0EEENS1_30default_config_static_selectorELNS0_4arch9wavefront6targetE1EEEvS17_,comdat
.Lfunc_end1950:
	.size	_ZN7rocprim17ROCPRIM_400000_NS6detail17trampoline_kernelINS0_14default_configENS1_22reduce_config_selectorIN6thrust23THRUST_200600_302600_NS5tupleIblNS6_9null_typeES8_S8_S8_S8_S8_S8_S8_EEEEZNS1_11reduce_implILb1ES3_NS6_12zip_iteratorINS7_INS6_11hip_rocprim26transform_input_iterator_tIbPfNS6_6detail10functional5actorINSH_9compositeIJNSH_27transparent_binary_operatorINS6_8equal_toIvEEEENSI_INSH_8argumentILj0EEEEENSH_5valueIfEEEEEEEEENSD_19counting_iterator_tIlEES8_S8_S8_S8_S8_S8_S8_S8_EEEEPS9_S9_NSD_9__find_if7functorIS9_EEEE10hipError_tPvRmT1_T2_T3_mT4_P12ihipStream_tbEUlT_E0_NS1_11comp_targetILNS1_3genE8ELNS1_11target_archE1030ELNS1_3gpuE2ELNS1_3repE0EEENS1_30default_config_static_selectorELNS0_4arch9wavefront6targetE1EEEvS17_, .Lfunc_end1950-_ZN7rocprim17ROCPRIM_400000_NS6detail17trampoline_kernelINS0_14default_configENS1_22reduce_config_selectorIN6thrust23THRUST_200600_302600_NS5tupleIblNS6_9null_typeES8_S8_S8_S8_S8_S8_S8_EEEEZNS1_11reduce_implILb1ES3_NS6_12zip_iteratorINS7_INS6_11hip_rocprim26transform_input_iterator_tIbPfNS6_6detail10functional5actorINSH_9compositeIJNSH_27transparent_binary_operatorINS6_8equal_toIvEEEENSI_INSH_8argumentILj0EEEEENSH_5valueIfEEEEEEEEENSD_19counting_iterator_tIlEES8_S8_S8_S8_S8_S8_S8_S8_EEEEPS9_S9_NSD_9__find_if7functorIS9_EEEE10hipError_tPvRmT1_T2_T3_mT4_P12ihipStream_tbEUlT_E0_NS1_11comp_targetILNS1_3genE8ELNS1_11target_archE1030ELNS1_3gpuE2ELNS1_3repE0EEENS1_30default_config_static_selectorELNS0_4arch9wavefront6targetE1EEEvS17_
                                        ; -- End function
	.set _ZN7rocprim17ROCPRIM_400000_NS6detail17trampoline_kernelINS0_14default_configENS1_22reduce_config_selectorIN6thrust23THRUST_200600_302600_NS5tupleIblNS6_9null_typeES8_S8_S8_S8_S8_S8_S8_EEEEZNS1_11reduce_implILb1ES3_NS6_12zip_iteratorINS7_INS6_11hip_rocprim26transform_input_iterator_tIbPfNS6_6detail10functional5actorINSH_9compositeIJNSH_27transparent_binary_operatorINS6_8equal_toIvEEEENSI_INSH_8argumentILj0EEEEENSH_5valueIfEEEEEEEEENSD_19counting_iterator_tIlEES8_S8_S8_S8_S8_S8_S8_S8_EEEEPS9_S9_NSD_9__find_if7functorIS9_EEEE10hipError_tPvRmT1_T2_T3_mT4_P12ihipStream_tbEUlT_E0_NS1_11comp_targetILNS1_3genE8ELNS1_11target_archE1030ELNS1_3gpuE2ELNS1_3repE0EEENS1_30default_config_static_selectorELNS0_4arch9wavefront6targetE1EEEvS17_.num_vgpr, 0
	.set _ZN7rocprim17ROCPRIM_400000_NS6detail17trampoline_kernelINS0_14default_configENS1_22reduce_config_selectorIN6thrust23THRUST_200600_302600_NS5tupleIblNS6_9null_typeES8_S8_S8_S8_S8_S8_S8_EEEEZNS1_11reduce_implILb1ES3_NS6_12zip_iteratorINS7_INS6_11hip_rocprim26transform_input_iterator_tIbPfNS6_6detail10functional5actorINSH_9compositeIJNSH_27transparent_binary_operatorINS6_8equal_toIvEEEENSI_INSH_8argumentILj0EEEEENSH_5valueIfEEEEEEEEENSD_19counting_iterator_tIlEES8_S8_S8_S8_S8_S8_S8_S8_EEEEPS9_S9_NSD_9__find_if7functorIS9_EEEE10hipError_tPvRmT1_T2_T3_mT4_P12ihipStream_tbEUlT_E0_NS1_11comp_targetILNS1_3genE8ELNS1_11target_archE1030ELNS1_3gpuE2ELNS1_3repE0EEENS1_30default_config_static_selectorELNS0_4arch9wavefront6targetE1EEEvS17_.num_agpr, 0
	.set _ZN7rocprim17ROCPRIM_400000_NS6detail17trampoline_kernelINS0_14default_configENS1_22reduce_config_selectorIN6thrust23THRUST_200600_302600_NS5tupleIblNS6_9null_typeES8_S8_S8_S8_S8_S8_S8_EEEEZNS1_11reduce_implILb1ES3_NS6_12zip_iteratorINS7_INS6_11hip_rocprim26transform_input_iterator_tIbPfNS6_6detail10functional5actorINSH_9compositeIJNSH_27transparent_binary_operatorINS6_8equal_toIvEEEENSI_INSH_8argumentILj0EEEEENSH_5valueIfEEEEEEEEENSD_19counting_iterator_tIlEES8_S8_S8_S8_S8_S8_S8_S8_EEEEPS9_S9_NSD_9__find_if7functorIS9_EEEE10hipError_tPvRmT1_T2_T3_mT4_P12ihipStream_tbEUlT_E0_NS1_11comp_targetILNS1_3genE8ELNS1_11target_archE1030ELNS1_3gpuE2ELNS1_3repE0EEENS1_30default_config_static_selectorELNS0_4arch9wavefront6targetE1EEEvS17_.numbered_sgpr, 0
	.set _ZN7rocprim17ROCPRIM_400000_NS6detail17trampoline_kernelINS0_14default_configENS1_22reduce_config_selectorIN6thrust23THRUST_200600_302600_NS5tupleIblNS6_9null_typeES8_S8_S8_S8_S8_S8_S8_EEEEZNS1_11reduce_implILb1ES3_NS6_12zip_iteratorINS7_INS6_11hip_rocprim26transform_input_iterator_tIbPfNS6_6detail10functional5actorINSH_9compositeIJNSH_27transparent_binary_operatorINS6_8equal_toIvEEEENSI_INSH_8argumentILj0EEEEENSH_5valueIfEEEEEEEEENSD_19counting_iterator_tIlEES8_S8_S8_S8_S8_S8_S8_S8_EEEEPS9_S9_NSD_9__find_if7functorIS9_EEEE10hipError_tPvRmT1_T2_T3_mT4_P12ihipStream_tbEUlT_E0_NS1_11comp_targetILNS1_3genE8ELNS1_11target_archE1030ELNS1_3gpuE2ELNS1_3repE0EEENS1_30default_config_static_selectorELNS0_4arch9wavefront6targetE1EEEvS17_.num_named_barrier, 0
	.set _ZN7rocprim17ROCPRIM_400000_NS6detail17trampoline_kernelINS0_14default_configENS1_22reduce_config_selectorIN6thrust23THRUST_200600_302600_NS5tupleIblNS6_9null_typeES8_S8_S8_S8_S8_S8_S8_EEEEZNS1_11reduce_implILb1ES3_NS6_12zip_iteratorINS7_INS6_11hip_rocprim26transform_input_iterator_tIbPfNS6_6detail10functional5actorINSH_9compositeIJNSH_27transparent_binary_operatorINS6_8equal_toIvEEEENSI_INSH_8argumentILj0EEEEENSH_5valueIfEEEEEEEEENSD_19counting_iterator_tIlEES8_S8_S8_S8_S8_S8_S8_S8_EEEEPS9_S9_NSD_9__find_if7functorIS9_EEEE10hipError_tPvRmT1_T2_T3_mT4_P12ihipStream_tbEUlT_E0_NS1_11comp_targetILNS1_3genE8ELNS1_11target_archE1030ELNS1_3gpuE2ELNS1_3repE0EEENS1_30default_config_static_selectorELNS0_4arch9wavefront6targetE1EEEvS17_.private_seg_size, 0
	.set _ZN7rocprim17ROCPRIM_400000_NS6detail17trampoline_kernelINS0_14default_configENS1_22reduce_config_selectorIN6thrust23THRUST_200600_302600_NS5tupleIblNS6_9null_typeES8_S8_S8_S8_S8_S8_S8_EEEEZNS1_11reduce_implILb1ES3_NS6_12zip_iteratorINS7_INS6_11hip_rocprim26transform_input_iterator_tIbPfNS6_6detail10functional5actorINSH_9compositeIJNSH_27transparent_binary_operatorINS6_8equal_toIvEEEENSI_INSH_8argumentILj0EEEEENSH_5valueIfEEEEEEEEENSD_19counting_iterator_tIlEES8_S8_S8_S8_S8_S8_S8_S8_EEEEPS9_S9_NSD_9__find_if7functorIS9_EEEE10hipError_tPvRmT1_T2_T3_mT4_P12ihipStream_tbEUlT_E0_NS1_11comp_targetILNS1_3genE8ELNS1_11target_archE1030ELNS1_3gpuE2ELNS1_3repE0EEENS1_30default_config_static_selectorELNS0_4arch9wavefront6targetE1EEEvS17_.uses_vcc, 0
	.set _ZN7rocprim17ROCPRIM_400000_NS6detail17trampoline_kernelINS0_14default_configENS1_22reduce_config_selectorIN6thrust23THRUST_200600_302600_NS5tupleIblNS6_9null_typeES8_S8_S8_S8_S8_S8_S8_EEEEZNS1_11reduce_implILb1ES3_NS6_12zip_iteratorINS7_INS6_11hip_rocprim26transform_input_iterator_tIbPfNS6_6detail10functional5actorINSH_9compositeIJNSH_27transparent_binary_operatorINS6_8equal_toIvEEEENSI_INSH_8argumentILj0EEEEENSH_5valueIfEEEEEEEEENSD_19counting_iterator_tIlEES8_S8_S8_S8_S8_S8_S8_S8_EEEEPS9_S9_NSD_9__find_if7functorIS9_EEEE10hipError_tPvRmT1_T2_T3_mT4_P12ihipStream_tbEUlT_E0_NS1_11comp_targetILNS1_3genE8ELNS1_11target_archE1030ELNS1_3gpuE2ELNS1_3repE0EEENS1_30default_config_static_selectorELNS0_4arch9wavefront6targetE1EEEvS17_.uses_flat_scratch, 0
	.set _ZN7rocprim17ROCPRIM_400000_NS6detail17trampoline_kernelINS0_14default_configENS1_22reduce_config_selectorIN6thrust23THRUST_200600_302600_NS5tupleIblNS6_9null_typeES8_S8_S8_S8_S8_S8_S8_EEEEZNS1_11reduce_implILb1ES3_NS6_12zip_iteratorINS7_INS6_11hip_rocprim26transform_input_iterator_tIbPfNS6_6detail10functional5actorINSH_9compositeIJNSH_27transparent_binary_operatorINS6_8equal_toIvEEEENSI_INSH_8argumentILj0EEEEENSH_5valueIfEEEEEEEEENSD_19counting_iterator_tIlEES8_S8_S8_S8_S8_S8_S8_S8_EEEEPS9_S9_NSD_9__find_if7functorIS9_EEEE10hipError_tPvRmT1_T2_T3_mT4_P12ihipStream_tbEUlT_E0_NS1_11comp_targetILNS1_3genE8ELNS1_11target_archE1030ELNS1_3gpuE2ELNS1_3repE0EEENS1_30default_config_static_selectorELNS0_4arch9wavefront6targetE1EEEvS17_.has_dyn_sized_stack, 0
	.set _ZN7rocprim17ROCPRIM_400000_NS6detail17trampoline_kernelINS0_14default_configENS1_22reduce_config_selectorIN6thrust23THRUST_200600_302600_NS5tupleIblNS6_9null_typeES8_S8_S8_S8_S8_S8_S8_EEEEZNS1_11reduce_implILb1ES3_NS6_12zip_iteratorINS7_INS6_11hip_rocprim26transform_input_iterator_tIbPfNS6_6detail10functional5actorINSH_9compositeIJNSH_27transparent_binary_operatorINS6_8equal_toIvEEEENSI_INSH_8argumentILj0EEEEENSH_5valueIfEEEEEEEEENSD_19counting_iterator_tIlEES8_S8_S8_S8_S8_S8_S8_S8_EEEEPS9_S9_NSD_9__find_if7functorIS9_EEEE10hipError_tPvRmT1_T2_T3_mT4_P12ihipStream_tbEUlT_E0_NS1_11comp_targetILNS1_3genE8ELNS1_11target_archE1030ELNS1_3gpuE2ELNS1_3repE0EEENS1_30default_config_static_selectorELNS0_4arch9wavefront6targetE1EEEvS17_.has_recursion, 0
	.set _ZN7rocprim17ROCPRIM_400000_NS6detail17trampoline_kernelINS0_14default_configENS1_22reduce_config_selectorIN6thrust23THRUST_200600_302600_NS5tupleIblNS6_9null_typeES8_S8_S8_S8_S8_S8_S8_EEEEZNS1_11reduce_implILb1ES3_NS6_12zip_iteratorINS7_INS6_11hip_rocprim26transform_input_iterator_tIbPfNS6_6detail10functional5actorINSH_9compositeIJNSH_27transparent_binary_operatorINS6_8equal_toIvEEEENSI_INSH_8argumentILj0EEEEENSH_5valueIfEEEEEEEEENSD_19counting_iterator_tIlEES8_S8_S8_S8_S8_S8_S8_S8_EEEEPS9_S9_NSD_9__find_if7functorIS9_EEEE10hipError_tPvRmT1_T2_T3_mT4_P12ihipStream_tbEUlT_E0_NS1_11comp_targetILNS1_3genE8ELNS1_11target_archE1030ELNS1_3gpuE2ELNS1_3repE0EEENS1_30default_config_static_selectorELNS0_4arch9wavefront6targetE1EEEvS17_.has_indirect_call, 0
	.section	.AMDGPU.csdata,"",@progbits
; Kernel info:
; codeLenInByte = 0
; TotalNumSgprs: 4
; NumVgprs: 0
; ScratchSize: 0
; MemoryBound: 0
; FloatMode: 240
; IeeeMode: 1
; LDSByteSize: 0 bytes/workgroup (compile time only)
; SGPRBlocks: 0
; VGPRBlocks: 0
; NumSGPRsForWavesPerEU: 4
; NumVGPRsForWavesPerEU: 1
; Occupancy: 10
; WaveLimiterHint : 0
; COMPUTE_PGM_RSRC2:SCRATCH_EN: 0
; COMPUTE_PGM_RSRC2:USER_SGPR: 6
; COMPUTE_PGM_RSRC2:TRAP_HANDLER: 0
; COMPUTE_PGM_RSRC2:TGID_X_EN: 1
; COMPUTE_PGM_RSRC2:TGID_Y_EN: 0
; COMPUTE_PGM_RSRC2:TGID_Z_EN: 0
; COMPUTE_PGM_RSRC2:TIDIG_COMP_CNT: 0
	.section	.text._ZN7rocprim17ROCPRIM_400000_NS6detail17trampoline_kernelINS0_14default_configENS1_22reduce_config_selectorIN6thrust23THRUST_200600_302600_NS5tupleIblNS6_9null_typeES8_S8_S8_S8_S8_S8_S8_EEEEZNS1_11reduce_implILb1ES3_NS6_12zip_iteratorINS7_INS6_11hip_rocprim26transform_input_iterator_tIbPfNS6_6detail10functional5actorINSH_9compositeIJNSH_27transparent_binary_operatorINS6_8equal_toIvEEEENSI_INSH_8argumentILj0EEEEENSH_5valueIfEEEEEEEEENSD_19counting_iterator_tIlEES8_S8_S8_S8_S8_S8_S8_S8_EEEEPS9_S9_NSD_9__find_if7functorIS9_EEEE10hipError_tPvRmT1_T2_T3_mT4_P12ihipStream_tbEUlT_E1_NS1_11comp_targetILNS1_3genE0ELNS1_11target_archE4294967295ELNS1_3gpuE0ELNS1_3repE0EEENS1_30default_config_static_selectorELNS0_4arch9wavefront6targetE1EEEvS17_,"axG",@progbits,_ZN7rocprim17ROCPRIM_400000_NS6detail17trampoline_kernelINS0_14default_configENS1_22reduce_config_selectorIN6thrust23THRUST_200600_302600_NS5tupleIblNS6_9null_typeES8_S8_S8_S8_S8_S8_S8_EEEEZNS1_11reduce_implILb1ES3_NS6_12zip_iteratorINS7_INS6_11hip_rocprim26transform_input_iterator_tIbPfNS6_6detail10functional5actorINSH_9compositeIJNSH_27transparent_binary_operatorINS6_8equal_toIvEEEENSI_INSH_8argumentILj0EEEEENSH_5valueIfEEEEEEEEENSD_19counting_iterator_tIlEES8_S8_S8_S8_S8_S8_S8_S8_EEEEPS9_S9_NSD_9__find_if7functorIS9_EEEE10hipError_tPvRmT1_T2_T3_mT4_P12ihipStream_tbEUlT_E1_NS1_11comp_targetILNS1_3genE0ELNS1_11target_archE4294967295ELNS1_3gpuE0ELNS1_3repE0EEENS1_30default_config_static_selectorELNS0_4arch9wavefront6targetE1EEEvS17_,comdat
	.protected	_ZN7rocprim17ROCPRIM_400000_NS6detail17trampoline_kernelINS0_14default_configENS1_22reduce_config_selectorIN6thrust23THRUST_200600_302600_NS5tupleIblNS6_9null_typeES8_S8_S8_S8_S8_S8_S8_EEEEZNS1_11reduce_implILb1ES3_NS6_12zip_iteratorINS7_INS6_11hip_rocprim26transform_input_iterator_tIbPfNS6_6detail10functional5actorINSH_9compositeIJNSH_27transparent_binary_operatorINS6_8equal_toIvEEEENSI_INSH_8argumentILj0EEEEENSH_5valueIfEEEEEEEEENSD_19counting_iterator_tIlEES8_S8_S8_S8_S8_S8_S8_S8_EEEEPS9_S9_NSD_9__find_if7functorIS9_EEEE10hipError_tPvRmT1_T2_T3_mT4_P12ihipStream_tbEUlT_E1_NS1_11comp_targetILNS1_3genE0ELNS1_11target_archE4294967295ELNS1_3gpuE0ELNS1_3repE0EEENS1_30default_config_static_selectorELNS0_4arch9wavefront6targetE1EEEvS17_ ; -- Begin function _ZN7rocprim17ROCPRIM_400000_NS6detail17trampoline_kernelINS0_14default_configENS1_22reduce_config_selectorIN6thrust23THRUST_200600_302600_NS5tupleIblNS6_9null_typeES8_S8_S8_S8_S8_S8_S8_EEEEZNS1_11reduce_implILb1ES3_NS6_12zip_iteratorINS7_INS6_11hip_rocprim26transform_input_iterator_tIbPfNS6_6detail10functional5actorINSH_9compositeIJNSH_27transparent_binary_operatorINS6_8equal_toIvEEEENSI_INSH_8argumentILj0EEEEENSH_5valueIfEEEEEEEEENSD_19counting_iterator_tIlEES8_S8_S8_S8_S8_S8_S8_S8_EEEEPS9_S9_NSD_9__find_if7functorIS9_EEEE10hipError_tPvRmT1_T2_T3_mT4_P12ihipStream_tbEUlT_E1_NS1_11comp_targetILNS1_3genE0ELNS1_11target_archE4294967295ELNS1_3gpuE0ELNS1_3repE0EEENS1_30default_config_static_selectorELNS0_4arch9wavefront6targetE1EEEvS17_
	.globl	_ZN7rocprim17ROCPRIM_400000_NS6detail17trampoline_kernelINS0_14default_configENS1_22reduce_config_selectorIN6thrust23THRUST_200600_302600_NS5tupleIblNS6_9null_typeES8_S8_S8_S8_S8_S8_S8_EEEEZNS1_11reduce_implILb1ES3_NS6_12zip_iteratorINS7_INS6_11hip_rocprim26transform_input_iterator_tIbPfNS6_6detail10functional5actorINSH_9compositeIJNSH_27transparent_binary_operatorINS6_8equal_toIvEEEENSI_INSH_8argumentILj0EEEEENSH_5valueIfEEEEEEEEENSD_19counting_iterator_tIlEES8_S8_S8_S8_S8_S8_S8_S8_EEEEPS9_S9_NSD_9__find_if7functorIS9_EEEE10hipError_tPvRmT1_T2_T3_mT4_P12ihipStream_tbEUlT_E1_NS1_11comp_targetILNS1_3genE0ELNS1_11target_archE4294967295ELNS1_3gpuE0ELNS1_3repE0EEENS1_30default_config_static_selectorELNS0_4arch9wavefront6targetE1EEEvS17_
	.p2align	8
	.type	_ZN7rocprim17ROCPRIM_400000_NS6detail17trampoline_kernelINS0_14default_configENS1_22reduce_config_selectorIN6thrust23THRUST_200600_302600_NS5tupleIblNS6_9null_typeES8_S8_S8_S8_S8_S8_S8_EEEEZNS1_11reduce_implILb1ES3_NS6_12zip_iteratorINS7_INS6_11hip_rocprim26transform_input_iterator_tIbPfNS6_6detail10functional5actorINSH_9compositeIJNSH_27transparent_binary_operatorINS6_8equal_toIvEEEENSI_INSH_8argumentILj0EEEEENSH_5valueIfEEEEEEEEENSD_19counting_iterator_tIlEES8_S8_S8_S8_S8_S8_S8_S8_EEEEPS9_S9_NSD_9__find_if7functorIS9_EEEE10hipError_tPvRmT1_T2_T3_mT4_P12ihipStream_tbEUlT_E1_NS1_11comp_targetILNS1_3genE0ELNS1_11target_archE4294967295ELNS1_3gpuE0ELNS1_3repE0EEENS1_30default_config_static_selectorELNS0_4arch9wavefront6targetE1EEEvS17_,@function
_ZN7rocprim17ROCPRIM_400000_NS6detail17trampoline_kernelINS0_14default_configENS1_22reduce_config_selectorIN6thrust23THRUST_200600_302600_NS5tupleIblNS6_9null_typeES8_S8_S8_S8_S8_S8_S8_EEEEZNS1_11reduce_implILb1ES3_NS6_12zip_iteratorINS7_INS6_11hip_rocprim26transform_input_iterator_tIbPfNS6_6detail10functional5actorINSH_9compositeIJNSH_27transparent_binary_operatorINS6_8equal_toIvEEEENSI_INSH_8argumentILj0EEEEENSH_5valueIfEEEEEEEEENSD_19counting_iterator_tIlEES8_S8_S8_S8_S8_S8_S8_S8_EEEEPS9_S9_NSD_9__find_if7functorIS9_EEEE10hipError_tPvRmT1_T2_T3_mT4_P12ihipStream_tbEUlT_E1_NS1_11comp_targetILNS1_3genE0ELNS1_11target_archE4294967295ELNS1_3gpuE0ELNS1_3repE0EEENS1_30default_config_static_selectorELNS0_4arch9wavefront6targetE1EEEvS17_: ; @_ZN7rocprim17ROCPRIM_400000_NS6detail17trampoline_kernelINS0_14default_configENS1_22reduce_config_selectorIN6thrust23THRUST_200600_302600_NS5tupleIblNS6_9null_typeES8_S8_S8_S8_S8_S8_S8_EEEEZNS1_11reduce_implILb1ES3_NS6_12zip_iteratorINS7_INS6_11hip_rocprim26transform_input_iterator_tIbPfNS6_6detail10functional5actorINSH_9compositeIJNSH_27transparent_binary_operatorINS6_8equal_toIvEEEENSI_INSH_8argumentILj0EEEEENSH_5valueIfEEEEEEEEENSD_19counting_iterator_tIlEES8_S8_S8_S8_S8_S8_S8_S8_EEEEPS9_S9_NSD_9__find_if7functorIS9_EEEE10hipError_tPvRmT1_T2_T3_mT4_P12ihipStream_tbEUlT_E1_NS1_11comp_targetILNS1_3genE0ELNS1_11target_archE4294967295ELNS1_3gpuE0ELNS1_3repE0EEENS1_30default_config_static_selectorELNS0_4arch9wavefront6targetE1EEEvS17_
; %bb.0:
	.section	.rodata,"a",@progbits
	.p2align	6, 0x0
	.amdhsa_kernel _ZN7rocprim17ROCPRIM_400000_NS6detail17trampoline_kernelINS0_14default_configENS1_22reduce_config_selectorIN6thrust23THRUST_200600_302600_NS5tupleIblNS6_9null_typeES8_S8_S8_S8_S8_S8_S8_EEEEZNS1_11reduce_implILb1ES3_NS6_12zip_iteratorINS7_INS6_11hip_rocprim26transform_input_iterator_tIbPfNS6_6detail10functional5actorINSH_9compositeIJNSH_27transparent_binary_operatorINS6_8equal_toIvEEEENSI_INSH_8argumentILj0EEEEENSH_5valueIfEEEEEEEEENSD_19counting_iterator_tIlEES8_S8_S8_S8_S8_S8_S8_S8_EEEEPS9_S9_NSD_9__find_if7functorIS9_EEEE10hipError_tPvRmT1_T2_T3_mT4_P12ihipStream_tbEUlT_E1_NS1_11comp_targetILNS1_3genE0ELNS1_11target_archE4294967295ELNS1_3gpuE0ELNS1_3repE0EEENS1_30default_config_static_selectorELNS0_4arch9wavefront6targetE1EEEvS17_
		.amdhsa_group_segment_fixed_size 0
		.amdhsa_private_segment_fixed_size 0
		.amdhsa_kernarg_size 72
		.amdhsa_user_sgpr_count 6
		.amdhsa_user_sgpr_private_segment_buffer 1
		.amdhsa_user_sgpr_dispatch_ptr 0
		.amdhsa_user_sgpr_queue_ptr 0
		.amdhsa_user_sgpr_kernarg_segment_ptr 1
		.amdhsa_user_sgpr_dispatch_id 0
		.amdhsa_user_sgpr_flat_scratch_init 0
		.amdhsa_user_sgpr_private_segment_size 0
		.amdhsa_uses_dynamic_stack 0
		.amdhsa_system_sgpr_private_segment_wavefront_offset 0
		.amdhsa_system_sgpr_workgroup_id_x 1
		.amdhsa_system_sgpr_workgroup_id_y 0
		.amdhsa_system_sgpr_workgroup_id_z 0
		.amdhsa_system_sgpr_workgroup_info 0
		.amdhsa_system_vgpr_workitem_id 0
		.amdhsa_next_free_vgpr 1
		.amdhsa_next_free_sgpr 0
		.amdhsa_reserve_vcc 0
		.amdhsa_reserve_flat_scratch 0
		.amdhsa_float_round_mode_32 0
		.amdhsa_float_round_mode_16_64 0
		.amdhsa_float_denorm_mode_32 3
		.amdhsa_float_denorm_mode_16_64 3
		.amdhsa_dx10_clamp 1
		.amdhsa_ieee_mode 1
		.amdhsa_fp16_overflow 0
		.amdhsa_exception_fp_ieee_invalid_op 0
		.amdhsa_exception_fp_denorm_src 0
		.amdhsa_exception_fp_ieee_div_zero 0
		.amdhsa_exception_fp_ieee_overflow 0
		.amdhsa_exception_fp_ieee_underflow 0
		.amdhsa_exception_fp_ieee_inexact 0
		.amdhsa_exception_int_div_zero 0
	.end_amdhsa_kernel
	.section	.text._ZN7rocprim17ROCPRIM_400000_NS6detail17trampoline_kernelINS0_14default_configENS1_22reduce_config_selectorIN6thrust23THRUST_200600_302600_NS5tupleIblNS6_9null_typeES8_S8_S8_S8_S8_S8_S8_EEEEZNS1_11reduce_implILb1ES3_NS6_12zip_iteratorINS7_INS6_11hip_rocprim26transform_input_iterator_tIbPfNS6_6detail10functional5actorINSH_9compositeIJNSH_27transparent_binary_operatorINS6_8equal_toIvEEEENSI_INSH_8argumentILj0EEEEENSH_5valueIfEEEEEEEEENSD_19counting_iterator_tIlEES8_S8_S8_S8_S8_S8_S8_S8_EEEEPS9_S9_NSD_9__find_if7functorIS9_EEEE10hipError_tPvRmT1_T2_T3_mT4_P12ihipStream_tbEUlT_E1_NS1_11comp_targetILNS1_3genE0ELNS1_11target_archE4294967295ELNS1_3gpuE0ELNS1_3repE0EEENS1_30default_config_static_selectorELNS0_4arch9wavefront6targetE1EEEvS17_,"axG",@progbits,_ZN7rocprim17ROCPRIM_400000_NS6detail17trampoline_kernelINS0_14default_configENS1_22reduce_config_selectorIN6thrust23THRUST_200600_302600_NS5tupleIblNS6_9null_typeES8_S8_S8_S8_S8_S8_S8_EEEEZNS1_11reduce_implILb1ES3_NS6_12zip_iteratorINS7_INS6_11hip_rocprim26transform_input_iterator_tIbPfNS6_6detail10functional5actorINSH_9compositeIJNSH_27transparent_binary_operatorINS6_8equal_toIvEEEENSI_INSH_8argumentILj0EEEEENSH_5valueIfEEEEEEEEENSD_19counting_iterator_tIlEES8_S8_S8_S8_S8_S8_S8_S8_EEEEPS9_S9_NSD_9__find_if7functorIS9_EEEE10hipError_tPvRmT1_T2_T3_mT4_P12ihipStream_tbEUlT_E1_NS1_11comp_targetILNS1_3genE0ELNS1_11target_archE4294967295ELNS1_3gpuE0ELNS1_3repE0EEENS1_30default_config_static_selectorELNS0_4arch9wavefront6targetE1EEEvS17_,comdat
.Lfunc_end1951:
	.size	_ZN7rocprim17ROCPRIM_400000_NS6detail17trampoline_kernelINS0_14default_configENS1_22reduce_config_selectorIN6thrust23THRUST_200600_302600_NS5tupleIblNS6_9null_typeES8_S8_S8_S8_S8_S8_S8_EEEEZNS1_11reduce_implILb1ES3_NS6_12zip_iteratorINS7_INS6_11hip_rocprim26transform_input_iterator_tIbPfNS6_6detail10functional5actorINSH_9compositeIJNSH_27transparent_binary_operatorINS6_8equal_toIvEEEENSI_INSH_8argumentILj0EEEEENSH_5valueIfEEEEEEEEENSD_19counting_iterator_tIlEES8_S8_S8_S8_S8_S8_S8_S8_EEEEPS9_S9_NSD_9__find_if7functorIS9_EEEE10hipError_tPvRmT1_T2_T3_mT4_P12ihipStream_tbEUlT_E1_NS1_11comp_targetILNS1_3genE0ELNS1_11target_archE4294967295ELNS1_3gpuE0ELNS1_3repE0EEENS1_30default_config_static_selectorELNS0_4arch9wavefront6targetE1EEEvS17_, .Lfunc_end1951-_ZN7rocprim17ROCPRIM_400000_NS6detail17trampoline_kernelINS0_14default_configENS1_22reduce_config_selectorIN6thrust23THRUST_200600_302600_NS5tupleIblNS6_9null_typeES8_S8_S8_S8_S8_S8_S8_EEEEZNS1_11reduce_implILb1ES3_NS6_12zip_iteratorINS7_INS6_11hip_rocprim26transform_input_iterator_tIbPfNS6_6detail10functional5actorINSH_9compositeIJNSH_27transparent_binary_operatorINS6_8equal_toIvEEEENSI_INSH_8argumentILj0EEEEENSH_5valueIfEEEEEEEEENSD_19counting_iterator_tIlEES8_S8_S8_S8_S8_S8_S8_S8_EEEEPS9_S9_NSD_9__find_if7functorIS9_EEEE10hipError_tPvRmT1_T2_T3_mT4_P12ihipStream_tbEUlT_E1_NS1_11comp_targetILNS1_3genE0ELNS1_11target_archE4294967295ELNS1_3gpuE0ELNS1_3repE0EEENS1_30default_config_static_selectorELNS0_4arch9wavefront6targetE1EEEvS17_
                                        ; -- End function
	.set _ZN7rocprim17ROCPRIM_400000_NS6detail17trampoline_kernelINS0_14default_configENS1_22reduce_config_selectorIN6thrust23THRUST_200600_302600_NS5tupleIblNS6_9null_typeES8_S8_S8_S8_S8_S8_S8_EEEEZNS1_11reduce_implILb1ES3_NS6_12zip_iteratorINS7_INS6_11hip_rocprim26transform_input_iterator_tIbPfNS6_6detail10functional5actorINSH_9compositeIJNSH_27transparent_binary_operatorINS6_8equal_toIvEEEENSI_INSH_8argumentILj0EEEEENSH_5valueIfEEEEEEEEENSD_19counting_iterator_tIlEES8_S8_S8_S8_S8_S8_S8_S8_EEEEPS9_S9_NSD_9__find_if7functorIS9_EEEE10hipError_tPvRmT1_T2_T3_mT4_P12ihipStream_tbEUlT_E1_NS1_11comp_targetILNS1_3genE0ELNS1_11target_archE4294967295ELNS1_3gpuE0ELNS1_3repE0EEENS1_30default_config_static_selectorELNS0_4arch9wavefront6targetE1EEEvS17_.num_vgpr, 0
	.set _ZN7rocprim17ROCPRIM_400000_NS6detail17trampoline_kernelINS0_14default_configENS1_22reduce_config_selectorIN6thrust23THRUST_200600_302600_NS5tupleIblNS6_9null_typeES8_S8_S8_S8_S8_S8_S8_EEEEZNS1_11reduce_implILb1ES3_NS6_12zip_iteratorINS7_INS6_11hip_rocprim26transform_input_iterator_tIbPfNS6_6detail10functional5actorINSH_9compositeIJNSH_27transparent_binary_operatorINS6_8equal_toIvEEEENSI_INSH_8argumentILj0EEEEENSH_5valueIfEEEEEEEEENSD_19counting_iterator_tIlEES8_S8_S8_S8_S8_S8_S8_S8_EEEEPS9_S9_NSD_9__find_if7functorIS9_EEEE10hipError_tPvRmT1_T2_T3_mT4_P12ihipStream_tbEUlT_E1_NS1_11comp_targetILNS1_3genE0ELNS1_11target_archE4294967295ELNS1_3gpuE0ELNS1_3repE0EEENS1_30default_config_static_selectorELNS0_4arch9wavefront6targetE1EEEvS17_.num_agpr, 0
	.set _ZN7rocprim17ROCPRIM_400000_NS6detail17trampoline_kernelINS0_14default_configENS1_22reduce_config_selectorIN6thrust23THRUST_200600_302600_NS5tupleIblNS6_9null_typeES8_S8_S8_S8_S8_S8_S8_EEEEZNS1_11reduce_implILb1ES3_NS6_12zip_iteratorINS7_INS6_11hip_rocprim26transform_input_iterator_tIbPfNS6_6detail10functional5actorINSH_9compositeIJNSH_27transparent_binary_operatorINS6_8equal_toIvEEEENSI_INSH_8argumentILj0EEEEENSH_5valueIfEEEEEEEEENSD_19counting_iterator_tIlEES8_S8_S8_S8_S8_S8_S8_S8_EEEEPS9_S9_NSD_9__find_if7functorIS9_EEEE10hipError_tPvRmT1_T2_T3_mT4_P12ihipStream_tbEUlT_E1_NS1_11comp_targetILNS1_3genE0ELNS1_11target_archE4294967295ELNS1_3gpuE0ELNS1_3repE0EEENS1_30default_config_static_selectorELNS0_4arch9wavefront6targetE1EEEvS17_.numbered_sgpr, 0
	.set _ZN7rocprim17ROCPRIM_400000_NS6detail17trampoline_kernelINS0_14default_configENS1_22reduce_config_selectorIN6thrust23THRUST_200600_302600_NS5tupleIblNS6_9null_typeES8_S8_S8_S8_S8_S8_S8_EEEEZNS1_11reduce_implILb1ES3_NS6_12zip_iteratorINS7_INS6_11hip_rocprim26transform_input_iterator_tIbPfNS6_6detail10functional5actorINSH_9compositeIJNSH_27transparent_binary_operatorINS6_8equal_toIvEEEENSI_INSH_8argumentILj0EEEEENSH_5valueIfEEEEEEEEENSD_19counting_iterator_tIlEES8_S8_S8_S8_S8_S8_S8_S8_EEEEPS9_S9_NSD_9__find_if7functorIS9_EEEE10hipError_tPvRmT1_T2_T3_mT4_P12ihipStream_tbEUlT_E1_NS1_11comp_targetILNS1_3genE0ELNS1_11target_archE4294967295ELNS1_3gpuE0ELNS1_3repE0EEENS1_30default_config_static_selectorELNS0_4arch9wavefront6targetE1EEEvS17_.num_named_barrier, 0
	.set _ZN7rocprim17ROCPRIM_400000_NS6detail17trampoline_kernelINS0_14default_configENS1_22reduce_config_selectorIN6thrust23THRUST_200600_302600_NS5tupleIblNS6_9null_typeES8_S8_S8_S8_S8_S8_S8_EEEEZNS1_11reduce_implILb1ES3_NS6_12zip_iteratorINS7_INS6_11hip_rocprim26transform_input_iterator_tIbPfNS6_6detail10functional5actorINSH_9compositeIJNSH_27transparent_binary_operatorINS6_8equal_toIvEEEENSI_INSH_8argumentILj0EEEEENSH_5valueIfEEEEEEEEENSD_19counting_iterator_tIlEES8_S8_S8_S8_S8_S8_S8_S8_EEEEPS9_S9_NSD_9__find_if7functorIS9_EEEE10hipError_tPvRmT1_T2_T3_mT4_P12ihipStream_tbEUlT_E1_NS1_11comp_targetILNS1_3genE0ELNS1_11target_archE4294967295ELNS1_3gpuE0ELNS1_3repE0EEENS1_30default_config_static_selectorELNS0_4arch9wavefront6targetE1EEEvS17_.private_seg_size, 0
	.set _ZN7rocprim17ROCPRIM_400000_NS6detail17trampoline_kernelINS0_14default_configENS1_22reduce_config_selectorIN6thrust23THRUST_200600_302600_NS5tupleIblNS6_9null_typeES8_S8_S8_S8_S8_S8_S8_EEEEZNS1_11reduce_implILb1ES3_NS6_12zip_iteratorINS7_INS6_11hip_rocprim26transform_input_iterator_tIbPfNS6_6detail10functional5actorINSH_9compositeIJNSH_27transparent_binary_operatorINS6_8equal_toIvEEEENSI_INSH_8argumentILj0EEEEENSH_5valueIfEEEEEEEEENSD_19counting_iterator_tIlEES8_S8_S8_S8_S8_S8_S8_S8_EEEEPS9_S9_NSD_9__find_if7functorIS9_EEEE10hipError_tPvRmT1_T2_T3_mT4_P12ihipStream_tbEUlT_E1_NS1_11comp_targetILNS1_3genE0ELNS1_11target_archE4294967295ELNS1_3gpuE0ELNS1_3repE0EEENS1_30default_config_static_selectorELNS0_4arch9wavefront6targetE1EEEvS17_.uses_vcc, 0
	.set _ZN7rocprim17ROCPRIM_400000_NS6detail17trampoline_kernelINS0_14default_configENS1_22reduce_config_selectorIN6thrust23THRUST_200600_302600_NS5tupleIblNS6_9null_typeES8_S8_S8_S8_S8_S8_S8_EEEEZNS1_11reduce_implILb1ES3_NS6_12zip_iteratorINS7_INS6_11hip_rocprim26transform_input_iterator_tIbPfNS6_6detail10functional5actorINSH_9compositeIJNSH_27transparent_binary_operatorINS6_8equal_toIvEEEENSI_INSH_8argumentILj0EEEEENSH_5valueIfEEEEEEEEENSD_19counting_iterator_tIlEES8_S8_S8_S8_S8_S8_S8_S8_EEEEPS9_S9_NSD_9__find_if7functorIS9_EEEE10hipError_tPvRmT1_T2_T3_mT4_P12ihipStream_tbEUlT_E1_NS1_11comp_targetILNS1_3genE0ELNS1_11target_archE4294967295ELNS1_3gpuE0ELNS1_3repE0EEENS1_30default_config_static_selectorELNS0_4arch9wavefront6targetE1EEEvS17_.uses_flat_scratch, 0
	.set _ZN7rocprim17ROCPRIM_400000_NS6detail17trampoline_kernelINS0_14default_configENS1_22reduce_config_selectorIN6thrust23THRUST_200600_302600_NS5tupleIblNS6_9null_typeES8_S8_S8_S8_S8_S8_S8_EEEEZNS1_11reduce_implILb1ES3_NS6_12zip_iteratorINS7_INS6_11hip_rocprim26transform_input_iterator_tIbPfNS6_6detail10functional5actorINSH_9compositeIJNSH_27transparent_binary_operatorINS6_8equal_toIvEEEENSI_INSH_8argumentILj0EEEEENSH_5valueIfEEEEEEEEENSD_19counting_iterator_tIlEES8_S8_S8_S8_S8_S8_S8_S8_EEEEPS9_S9_NSD_9__find_if7functorIS9_EEEE10hipError_tPvRmT1_T2_T3_mT4_P12ihipStream_tbEUlT_E1_NS1_11comp_targetILNS1_3genE0ELNS1_11target_archE4294967295ELNS1_3gpuE0ELNS1_3repE0EEENS1_30default_config_static_selectorELNS0_4arch9wavefront6targetE1EEEvS17_.has_dyn_sized_stack, 0
	.set _ZN7rocprim17ROCPRIM_400000_NS6detail17trampoline_kernelINS0_14default_configENS1_22reduce_config_selectorIN6thrust23THRUST_200600_302600_NS5tupleIblNS6_9null_typeES8_S8_S8_S8_S8_S8_S8_EEEEZNS1_11reduce_implILb1ES3_NS6_12zip_iteratorINS7_INS6_11hip_rocprim26transform_input_iterator_tIbPfNS6_6detail10functional5actorINSH_9compositeIJNSH_27transparent_binary_operatorINS6_8equal_toIvEEEENSI_INSH_8argumentILj0EEEEENSH_5valueIfEEEEEEEEENSD_19counting_iterator_tIlEES8_S8_S8_S8_S8_S8_S8_S8_EEEEPS9_S9_NSD_9__find_if7functorIS9_EEEE10hipError_tPvRmT1_T2_T3_mT4_P12ihipStream_tbEUlT_E1_NS1_11comp_targetILNS1_3genE0ELNS1_11target_archE4294967295ELNS1_3gpuE0ELNS1_3repE0EEENS1_30default_config_static_selectorELNS0_4arch9wavefront6targetE1EEEvS17_.has_recursion, 0
	.set _ZN7rocprim17ROCPRIM_400000_NS6detail17trampoline_kernelINS0_14default_configENS1_22reduce_config_selectorIN6thrust23THRUST_200600_302600_NS5tupleIblNS6_9null_typeES8_S8_S8_S8_S8_S8_S8_EEEEZNS1_11reduce_implILb1ES3_NS6_12zip_iteratorINS7_INS6_11hip_rocprim26transform_input_iterator_tIbPfNS6_6detail10functional5actorINSH_9compositeIJNSH_27transparent_binary_operatorINS6_8equal_toIvEEEENSI_INSH_8argumentILj0EEEEENSH_5valueIfEEEEEEEEENSD_19counting_iterator_tIlEES8_S8_S8_S8_S8_S8_S8_S8_EEEEPS9_S9_NSD_9__find_if7functorIS9_EEEE10hipError_tPvRmT1_T2_T3_mT4_P12ihipStream_tbEUlT_E1_NS1_11comp_targetILNS1_3genE0ELNS1_11target_archE4294967295ELNS1_3gpuE0ELNS1_3repE0EEENS1_30default_config_static_selectorELNS0_4arch9wavefront6targetE1EEEvS17_.has_indirect_call, 0
	.section	.AMDGPU.csdata,"",@progbits
; Kernel info:
; codeLenInByte = 0
; TotalNumSgprs: 4
; NumVgprs: 0
; ScratchSize: 0
; MemoryBound: 0
; FloatMode: 240
; IeeeMode: 1
; LDSByteSize: 0 bytes/workgroup (compile time only)
; SGPRBlocks: 0
; VGPRBlocks: 0
; NumSGPRsForWavesPerEU: 4
; NumVGPRsForWavesPerEU: 1
; Occupancy: 10
; WaveLimiterHint : 0
; COMPUTE_PGM_RSRC2:SCRATCH_EN: 0
; COMPUTE_PGM_RSRC2:USER_SGPR: 6
; COMPUTE_PGM_RSRC2:TRAP_HANDLER: 0
; COMPUTE_PGM_RSRC2:TGID_X_EN: 1
; COMPUTE_PGM_RSRC2:TGID_Y_EN: 0
; COMPUTE_PGM_RSRC2:TGID_Z_EN: 0
; COMPUTE_PGM_RSRC2:TIDIG_COMP_CNT: 0
	.section	.text._ZN7rocprim17ROCPRIM_400000_NS6detail17trampoline_kernelINS0_14default_configENS1_22reduce_config_selectorIN6thrust23THRUST_200600_302600_NS5tupleIblNS6_9null_typeES8_S8_S8_S8_S8_S8_S8_EEEEZNS1_11reduce_implILb1ES3_NS6_12zip_iteratorINS7_INS6_11hip_rocprim26transform_input_iterator_tIbPfNS6_6detail10functional5actorINSH_9compositeIJNSH_27transparent_binary_operatorINS6_8equal_toIvEEEENSI_INSH_8argumentILj0EEEEENSH_5valueIfEEEEEEEEENSD_19counting_iterator_tIlEES8_S8_S8_S8_S8_S8_S8_S8_EEEEPS9_S9_NSD_9__find_if7functorIS9_EEEE10hipError_tPvRmT1_T2_T3_mT4_P12ihipStream_tbEUlT_E1_NS1_11comp_targetILNS1_3genE5ELNS1_11target_archE942ELNS1_3gpuE9ELNS1_3repE0EEENS1_30default_config_static_selectorELNS0_4arch9wavefront6targetE1EEEvS17_,"axG",@progbits,_ZN7rocprim17ROCPRIM_400000_NS6detail17trampoline_kernelINS0_14default_configENS1_22reduce_config_selectorIN6thrust23THRUST_200600_302600_NS5tupleIblNS6_9null_typeES8_S8_S8_S8_S8_S8_S8_EEEEZNS1_11reduce_implILb1ES3_NS6_12zip_iteratorINS7_INS6_11hip_rocprim26transform_input_iterator_tIbPfNS6_6detail10functional5actorINSH_9compositeIJNSH_27transparent_binary_operatorINS6_8equal_toIvEEEENSI_INSH_8argumentILj0EEEEENSH_5valueIfEEEEEEEEENSD_19counting_iterator_tIlEES8_S8_S8_S8_S8_S8_S8_S8_EEEEPS9_S9_NSD_9__find_if7functorIS9_EEEE10hipError_tPvRmT1_T2_T3_mT4_P12ihipStream_tbEUlT_E1_NS1_11comp_targetILNS1_3genE5ELNS1_11target_archE942ELNS1_3gpuE9ELNS1_3repE0EEENS1_30default_config_static_selectorELNS0_4arch9wavefront6targetE1EEEvS17_,comdat
	.protected	_ZN7rocprim17ROCPRIM_400000_NS6detail17trampoline_kernelINS0_14default_configENS1_22reduce_config_selectorIN6thrust23THRUST_200600_302600_NS5tupleIblNS6_9null_typeES8_S8_S8_S8_S8_S8_S8_EEEEZNS1_11reduce_implILb1ES3_NS6_12zip_iteratorINS7_INS6_11hip_rocprim26transform_input_iterator_tIbPfNS6_6detail10functional5actorINSH_9compositeIJNSH_27transparent_binary_operatorINS6_8equal_toIvEEEENSI_INSH_8argumentILj0EEEEENSH_5valueIfEEEEEEEEENSD_19counting_iterator_tIlEES8_S8_S8_S8_S8_S8_S8_S8_EEEEPS9_S9_NSD_9__find_if7functorIS9_EEEE10hipError_tPvRmT1_T2_T3_mT4_P12ihipStream_tbEUlT_E1_NS1_11comp_targetILNS1_3genE5ELNS1_11target_archE942ELNS1_3gpuE9ELNS1_3repE0EEENS1_30default_config_static_selectorELNS0_4arch9wavefront6targetE1EEEvS17_ ; -- Begin function _ZN7rocprim17ROCPRIM_400000_NS6detail17trampoline_kernelINS0_14default_configENS1_22reduce_config_selectorIN6thrust23THRUST_200600_302600_NS5tupleIblNS6_9null_typeES8_S8_S8_S8_S8_S8_S8_EEEEZNS1_11reduce_implILb1ES3_NS6_12zip_iteratorINS7_INS6_11hip_rocprim26transform_input_iterator_tIbPfNS6_6detail10functional5actorINSH_9compositeIJNSH_27transparent_binary_operatorINS6_8equal_toIvEEEENSI_INSH_8argumentILj0EEEEENSH_5valueIfEEEEEEEEENSD_19counting_iterator_tIlEES8_S8_S8_S8_S8_S8_S8_S8_EEEEPS9_S9_NSD_9__find_if7functorIS9_EEEE10hipError_tPvRmT1_T2_T3_mT4_P12ihipStream_tbEUlT_E1_NS1_11comp_targetILNS1_3genE5ELNS1_11target_archE942ELNS1_3gpuE9ELNS1_3repE0EEENS1_30default_config_static_selectorELNS0_4arch9wavefront6targetE1EEEvS17_
	.globl	_ZN7rocprim17ROCPRIM_400000_NS6detail17trampoline_kernelINS0_14default_configENS1_22reduce_config_selectorIN6thrust23THRUST_200600_302600_NS5tupleIblNS6_9null_typeES8_S8_S8_S8_S8_S8_S8_EEEEZNS1_11reduce_implILb1ES3_NS6_12zip_iteratorINS7_INS6_11hip_rocprim26transform_input_iterator_tIbPfNS6_6detail10functional5actorINSH_9compositeIJNSH_27transparent_binary_operatorINS6_8equal_toIvEEEENSI_INSH_8argumentILj0EEEEENSH_5valueIfEEEEEEEEENSD_19counting_iterator_tIlEES8_S8_S8_S8_S8_S8_S8_S8_EEEEPS9_S9_NSD_9__find_if7functorIS9_EEEE10hipError_tPvRmT1_T2_T3_mT4_P12ihipStream_tbEUlT_E1_NS1_11comp_targetILNS1_3genE5ELNS1_11target_archE942ELNS1_3gpuE9ELNS1_3repE0EEENS1_30default_config_static_selectorELNS0_4arch9wavefront6targetE1EEEvS17_
	.p2align	8
	.type	_ZN7rocprim17ROCPRIM_400000_NS6detail17trampoline_kernelINS0_14default_configENS1_22reduce_config_selectorIN6thrust23THRUST_200600_302600_NS5tupleIblNS6_9null_typeES8_S8_S8_S8_S8_S8_S8_EEEEZNS1_11reduce_implILb1ES3_NS6_12zip_iteratorINS7_INS6_11hip_rocprim26transform_input_iterator_tIbPfNS6_6detail10functional5actorINSH_9compositeIJNSH_27transparent_binary_operatorINS6_8equal_toIvEEEENSI_INSH_8argumentILj0EEEEENSH_5valueIfEEEEEEEEENSD_19counting_iterator_tIlEES8_S8_S8_S8_S8_S8_S8_S8_EEEEPS9_S9_NSD_9__find_if7functorIS9_EEEE10hipError_tPvRmT1_T2_T3_mT4_P12ihipStream_tbEUlT_E1_NS1_11comp_targetILNS1_3genE5ELNS1_11target_archE942ELNS1_3gpuE9ELNS1_3repE0EEENS1_30default_config_static_selectorELNS0_4arch9wavefront6targetE1EEEvS17_,@function
_ZN7rocprim17ROCPRIM_400000_NS6detail17trampoline_kernelINS0_14default_configENS1_22reduce_config_selectorIN6thrust23THRUST_200600_302600_NS5tupleIblNS6_9null_typeES8_S8_S8_S8_S8_S8_S8_EEEEZNS1_11reduce_implILb1ES3_NS6_12zip_iteratorINS7_INS6_11hip_rocprim26transform_input_iterator_tIbPfNS6_6detail10functional5actorINSH_9compositeIJNSH_27transparent_binary_operatorINS6_8equal_toIvEEEENSI_INSH_8argumentILj0EEEEENSH_5valueIfEEEEEEEEENSD_19counting_iterator_tIlEES8_S8_S8_S8_S8_S8_S8_S8_EEEEPS9_S9_NSD_9__find_if7functorIS9_EEEE10hipError_tPvRmT1_T2_T3_mT4_P12ihipStream_tbEUlT_E1_NS1_11comp_targetILNS1_3genE5ELNS1_11target_archE942ELNS1_3gpuE9ELNS1_3repE0EEENS1_30default_config_static_selectorELNS0_4arch9wavefront6targetE1EEEvS17_: ; @_ZN7rocprim17ROCPRIM_400000_NS6detail17trampoline_kernelINS0_14default_configENS1_22reduce_config_selectorIN6thrust23THRUST_200600_302600_NS5tupleIblNS6_9null_typeES8_S8_S8_S8_S8_S8_S8_EEEEZNS1_11reduce_implILb1ES3_NS6_12zip_iteratorINS7_INS6_11hip_rocprim26transform_input_iterator_tIbPfNS6_6detail10functional5actorINSH_9compositeIJNSH_27transparent_binary_operatorINS6_8equal_toIvEEEENSI_INSH_8argumentILj0EEEEENSH_5valueIfEEEEEEEEENSD_19counting_iterator_tIlEES8_S8_S8_S8_S8_S8_S8_S8_EEEEPS9_S9_NSD_9__find_if7functorIS9_EEEE10hipError_tPvRmT1_T2_T3_mT4_P12ihipStream_tbEUlT_E1_NS1_11comp_targetILNS1_3genE5ELNS1_11target_archE942ELNS1_3gpuE9ELNS1_3repE0EEENS1_30default_config_static_selectorELNS0_4arch9wavefront6targetE1EEEvS17_
; %bb.0:
	.section	.rodata,"a",@progbits
	.p2align	6, 0x0
	.amdhsa_kernel _ZN7rocprim17ROCPRIM_400000_NS6detail17trampoline_kernelINS0_14default_configENS1_22reduce_config_selectorIN6thrust23THRUST_200600_302600_NS5tupleIblNS6_9null_typeES8_S8_S8_S8_S8_S8_S8_EEEEZNS1_11reduce_implILb1ES3_NS6_12zip_iteratorINS7_INS6_11hip_rocprim26transform_input_iterator_tIbPfNS6_6detail10functional5actorINSH_9compositeIJNSH_27transparent_binary_operatorINS6_8equal_toIvEEEENSI_INSH_8argumentILj0EEEEENSH_5valueIfEEEEEEEEENSD_19counting_iterator_tIlEES8_S8_S8_S8_S8_S8_S8_S8_EEEEPS9_S9_NSD_9__find_if7functorIS9_EEEE10hipError_tPvRmT1_T2_T3_mT4_P12ihipStream_tbEUlT_E1_NS1_11comp_targetILNS1_3genE5ELNS1_11target_archE942ELNS1_3gpuE9ELNS1_3repE0EEENS1_30default_config_static_selectorELNS0_4arch9wavefront6targetE1EEEvS17_
		.amdhsa_group_segment_fixed_size 0
		.amdhsa_private_segment_fixed_size 0
		.amdhsa_kernarg_size 72
		.amdhsa_user_sgpr_count 6
		.amdhsa_user_sgpr_private_segment_buffer 1
		.amdhsa_user_sgpr_dispatch_ptr 0
		.amdhsa_user_sgpr_queue_ptr 0
		.amdhsa_user_sgpr_kernarg_segment_ptr 1
		.amdhsa_user_sgpr_dispatch_id 0
		.amdhsa_user_sgpr_flat_scratch_init 0
		.amdhsa_user_sgpr_private_segment_size 0
		.amdhsa_uses_dynamic_stack 0
		.amdhsa_system_sgpr_private_segment_wavefront_offset 0
		.amdhsa_system_sgpr_workgroup_id_x 1
		.amdhsa_system_sgpr_workgroup_id_y 0
		.amdhsa_system_sgpr_workgroup_id_z 0
		.amdhsa_system_sgpr_workgroup_info 0
		.amdhsa_system_vgpr_workitem_id 0
		.amdhsa_next_free_vgpr 1
		.amdhsa_next_free_sgpr 0
		.amdhsa_reserve_vcc 0
		.amdhsa_reserve_flat_scratch 0
		.amdhsa_float_round_mode_32 0
		.amdhsa_float_round_mode_16_64 0
		.amdhsa_float_denorm_mode_32 3
		.amdhsa_float_denorm_mode_16_64 3
		.amdhsa_dx10_clamp 1
		.amdhsa_ieee_mode 1
		.amdhsa_fp16_overflow 0
		.amdhsa_exception_fp_ieee_invalid_op 0
		.amdhsa_exception_fp_denorm_src 0
		.amdhsa_exception_fp_ieee_div_zero 0
		.amdhsa_exception_fp_ieee_overflow 0
		.amdhsa_exception_fp_ieee_underflow 0
		.amdhsa_exception_fp_ieee_inexact 0
		.amdhsa_exception_int_div_zero 0
	.end_amdhsa_kernel
	.section	.text._ZN7rocprim17ROCPRIM_400000_NS6detail17trampoline_kernelINS0_14default_configENS1_22reduce_config_selectorIN6thrust23THRUST_200600_302600_NS5tupleIblNS6_9null_typeES8_S8_S8_S8_S8_S8_S8_EEEEZNS1_11reduce_implILb1ES3_NS6_12zip_iteratorINS7_INS6_11hip_rocprim26transform_input_iterator_tIbPfNS6_6detail10functional5actorINSH_9compositeIJNSH_27transparent_binary_operatorINS6_8equal_toIvEEEENSI_INSH_8argumentILj0EEEEENSH_5valueIfEEEEEEEEENSD_19counting_iterator_tIlEES8_S8_S8_S8_S8_S8_S8_S8_EEEEPS9_S9_NSD_9__find_if7functorIS9_EEEE10hipError_tPvRmT1_T2_T3_mT4_P12ihipStream_tbEUlT_E1_NS1_11comp_targetILNS1_3genE5ELNS1_11target_archE942ELNS1_3gpuE9ELNS1_3repE0EEENS1_30default_config_static_selectorELNS0_4arch9wavefront6targetE1EEEvS17_,"axG",@progbits,_ZN7rocprim17ROCPRIM_400000_NS6detail17trampoline_kernelINS0_14default_configENS1_22reduce_config_selectorIN6thrust23THRUST_200600_302600_NS5tupleIblNS6_9null_typeES8_S8_S8_S8_S8_S8_S8_EEEEZNS1_11reduce_implILb1ES3_NS6_12zip_iteratorINS7_INS6_11hip_rocprim26transform_input_iterator_tIbPfNS6_6detail10functional5actorINSH_9compositeIJNSH_27transparent_binary_operatorINS6_8equal_toIvEEEENSI_INSH_8argumentILj0EEEEENSH_5valueIfEEEEEEEEENSD_19counting_iterator_tIlEES8_S8_S8_S8_S8_S8_S8_S8_EEEEPS9_S9_NSD_9__find_if7functorIS9_EEEE10hipError_tPvRmT1_T2_T3_mT4_P12ihipStream_tbEUlT_E1_NS1_11comp_targetILNS1_3genE5ELNS1_11target_archE942ELNS1_3gpuE9ELNS1_3repE0EEENS1_30default_config_static_selectorELNS0_4arch9wavefront6targetE1EEEvS17_,comdat
.Lfunc_end1952:
	.size	_ZN7rocprim17ROCPRIM_400000_NS6detail17trampoline_kernelINS0_14default_configENS1_22reduce_config_selectorIN6thrust23THRUST_200600_302600_NS5tupleIblNS6_9null_typeES8_S8_S8_S8_S8_S8_S8_EEEEZNS1_11reduce_implILb1ES3_NS6_12zip_iteratorINS7_INS6_11hip_rocprim26transform_input_iterator_tIbPfNS6_6detail10functional5actorINSH_9compositeIJNSH_27transparent_binary_operatorINS6_8equal_toIvEEEENSI_INSH_8argumentILj0EEEEENSH_5valueIfEEEEEEEEENSD_19counting_iterator_tIlEES8_S8_S8_S8_S8_S8_S8_S8_EEEEPS9_S9_NSD_9__find_if7functorIS9_EEEE10hipError_tPvRmT1_T2_T3_mT4_P12ihipStream_tbEUlT_E1_NS1_11comp_targetILNS1_3genE5ELNS1_11target_archE942ELNS1_3gpuE9ELNS1_3repE0EEENS1_30default_config_static_selectorELNS0_4arch9wavefront6targetE1EEEvS17_, .Lfunc_end1952-_ZN7rocprim17ROCPRIM_400000_NS6detail17trampoline_kernelINS0_14default_configENS1_22reduce_config_selectorIN6thrust23THRUST_200600_302600_NS5tupleIblNS6_9null_typeES8_S8_S8_S8_S8_S8_S8_EEEEZNS1_11reduce_implILb1ES3_NS6_12zip_iteratorINS7_INS6_11hip_rocprim26transform_input_iterator_tIbPfNS6_6detail10functional5actorINSH_9compositeIJNSH_27transparent_binary_operatorINS6_8equal_toIvEEEENSI_INSH_8argumentILj0EEEEENSH_5valueIfEEEEEEEEENSD_19counting_iterator_tIlEES8_S8_S8_S8_S8_S8_S8_S8_EEEEPS9_S9_NSD_9__find_if7functorIS9_EEEE10hipError_tPvRmT1_T2_T3_mT4_P12ihipStream_tbEUlT_E1_NS1_11comp_targetILNS1_3genE5ELNS1_11target_archE942ELNS1_3gpuE9ELNS1_3repE0EEENS1_30default_config_static_selectorELNS0_4arch9wavefront6targetE1EEEvS17_
                                        ; -- End function
	.set _ZN7rocprim17ROCPRIM_400000_NS6detail17trampoline_kernelINS0_14default_configENS1_22reduce_config_selectorIN6thrust23THRUST_200600_302600_NS5tupleIblNS6_9null_typeES8_S8_S8_S8_S8_S8_S8_EEEEZNS1_11reduce_implILb1ES3_NS6_12zip_iteratorINS7_INS6_11hip_rocprim26transform_input_iterator_tIbPfNS6_6detail10functional5actorINSH_9compositeIJNSH_27transparent_binary_operatorINS6_8equal_toIvEEEENSI_INSH_8argumentILj0EEEEENSH_5valueIfEEEEEEEEENSD_19counting_iterator_tIlEES8_S8_S8_S8_S8_S8_S8_S8_EEEEPS9_S9_NSD_9__find_if7functorIS9_EEEE10hipError_tPvRmT1_T2_T3_mT4_P12ihipStream_tbEUlT_E1_NS1_11comp_targetILNS1_3genE5ELNS1_11target_archE942ELNS1_3gpuE9ELNS1_3repE0EEENS1_30default_config_static_selectorELNS0_4arch9wavefront6targetE1EEEvS17_.num_vgpr, 0
	.set _ZN7rocprim17ROCPRIM_400000_NS6detail17trampoline_kernelINS0_14default_configENS1_22reduce_config_selectorIN6thrust23THRUST_200600_302600_NS5tupleIblNS6_9null_typeES8_S8_S8_S8_S8_S8_S8_EEEEZNS1_11reduce_implILb1ES3_NS6_12zip_iteratorINS7_INS6_11hip_rocprim26transform_input_iterator_tIbPfNS6_6detail10functional5actorINSH_9compositeIJNSH_27transparent_binary_operatorINS6_8equal_toIvEEEENSI_INSH_8argumentILj0EEEEENSH_5valueIfEEEEEEEEENSD_19counting_iterator_tIlEES8_S8_S8_S8_S8_S8_S8_S8_EEEEPS9_S9_NSD_9__find_if7functorIS9_EEEE10hipError_tPvRmT1_T2_T3_mT4_P12ihipStream_tbEUlT_E1_NS1_11comp_targetILNS1_3genE5ELNS1_11target_archE942ELNS1_3gpuE9ELNS1_3repE0EEENS1_30default_config_static_selectorELNS0_4arch9wavefront6targetE1EEEvS17_.num_agpr, 0
	.set _ZN7rocprim17ROCPRIM_400000_NS6detail17trampoline_kernelINS0_14default_configENS1_22reduce_config_selectorIN6thrust23THRUST_200600_302600_NS5tupleIblNS6_9null_typeES8_S8_S8_S8_S8_S8_S8_EEEEZNS1_11reduce_implILb1ES3_NS6_12zip_iteratorINS7_INS6_11hip_rocprim26transform_input_iterator_tIbPfNS6_6detail10functional5actorINSH_9compositeIJNSH_27transparent_binary_operatorINS6_8equal_toIvEEEENSI_INSH_8argumentILj0EEEEENSH_5valueIfEEEEEEEEENSD_19counting_iterator_tIlEES8_S8_S8_S8_S8_S8_S8_S8_EEEEPS9_S9_NSD_9__find_if7functorIS9_EEEE10hipError_tPvRmT1_T2_T3_mT4_P12ihipStream_tbEUlT_E1_NS1_11comp_targetILNS1_3genE5ELNS1_11target_archE942ELNS1_3gpuE9ELNS1_3repE0EEENS1_30default_config_static_selectorELNS0_4arch9wavefront6targetE1EEEvS17_.numbered_sgpr, 0
	.set _ZN7rocprim17ROCPRIM_400000_NS6detail17trampoline_kernelINS0_14default_configENS1_22reduce_config_selectorIN6thrust23THRUST_200600_302600_NS5tupleIblNS6_9null_typeES8_S8_S8_S8_S8_S8_S8_EEEEZNS1_11reduce_implILb1ES3_NS6_12zip_iteratorINS7_INS6_11hip_rocprim26transform_input_iterator_tIbPfNS6_6detail10functional5actorINSH_9compositeIJNSH_27transparent_binary_operatorINS6_8equal_toIvEEEENSI_INSH_8argumentILj0EEEEENSH_5valueIfEEEEEEEEENSD_19counting_iterator_tIlEES8_S8_S8_S8_S8_S8_S8_S8_EEEEPS9_S9_NSD_9__find_if7functorIS9_EEEE10hipError_tPvRmT1_T2_T3_mT4_P12ihipStream_tbEUlT_E1_NS1_11comp_targetILNS1_3genE5ELNS1_11target_archE942ELNS1_3gpuE9ELNS1_3repE0EEENS1_30default_config_static_selectorELNS0_4arch9wavefront6targetE1EEEvS17_.num_named_barrier, 0
	.set _ZN7rocprim17ROCPRIM_400000_NS6detail17trampoline_kernelINS0_14default_configENS1_22reduce_config_selectorIN6thrust23THRUST_200600_302600_NS5tupleIblNS6_9null_typeES8_S8_S8_S8_S8_S8_S8_EEEEZNS1_11reduce_implILb1ES3_NS6_12zip_iteratorINS7_INS6_11hip_rocprim26transform_input_iterator_tIbPfNS6_6detail10functional5actorINSH_9compositeIJNSH_27transparent_binary_operatorINS6_8equal_toIvEEEENSI_INSH_8argumentILj0EEEEENSH_5valueIfEEEEEEEEENSD_19counting_iterator_tIlEES8_S8_S8_S8_S8_S8_S8_S8_EEEEPS9_S9_NSD_9__find_if7functorIS9_EEEE10hipError_tPvRmT1_T2_T3_mT4_P12ihipStream_tbEUlT_E1_NS1_11comp_targetILNS1_3genE5ELNS1_11target_archE942ELNS1_3gpuE9ELNS1_3repE0EEENS1_30default_config_static_selectorELNS0_4arch9wavefront6targetE1EEEvS17_.private_seg_size, 0
	.set _ZN7rocprim17ROCPRIM_400000_NS6detail17trampoline_kernelINS0_14default_configENS1_22reduce_config_selectorIN6thrust23THRUST_200600_302600_NS5tupleIblNS6_9null_typeES8_S8_S8_S8_S8_S8_S8_EEEEZNS1_11reduce_implILb1ES3_NS6_12zip_iteratorINS7_INS6_11hip_rocprim26transform_input_iterator_tIbPfNS6_6detail10functional5actorINSH_9compositeIJNSH_27transparent_binary_operatorINS6_8equal_toIvEEEENSI_INSH_8argumentILj0EEEEENSH_5valueIfEEEEEEEEENSD_19counting_iterator_tIlEES8_S8_S8_S8_S8_S8_S8_S8_EEEEPS9_S9_NSD_9__find_if7functorIS9_EEEE10hipError_tPvRmT1_T2_T3_mT4_P12ihipStream_tbEUlT_E1_NS1_11comp_targetILNS1_3genE5ELNS1_11target_archE942ELNS1_3gpuE9ELNS1_3repE0EEENS1_30default_config_static_selectorELNS0_4arch9wavefront6targetE1EEEvS17_.uses_vcc, 0
	.set _ZN7rocprim17ROCPRIM_400000_NS6detail17trampoline_kernelINS0_14default_configENS1_22reduce_config_selectorIN6thrust23THRUST_200600_302600_NS5tupleIblNS6_9null_typeES8_S8_S8_S8_S8_S8_S8_EEEEZNS1_11reduce_implILb1ES3_NS6_12zip_iteratorINS7_INS6_11hip_rocprim26transform_input_iterator_tIbPfNS6_6detail10functional5actorINSH_9compositeIJNSH_27transparent_binary_operatorINS6_8equal_toIvEEEENSI_INSH_8argumentILj0EEEEENSH_5valueIfEEEEEEEEENSD_19counting_iterator_tIlEES8_S8_S8_S8_S8_S8_S8_S8_EEEEPS9_S9_NSD_9__find_if7functorIS9_EEEE10hipError_tPvRmT1_T2_T3_mT4_P12ihipStream_tbEUlT_E1_NS1_11comp_targetILNS1_3genE5ELNS1_11target_archE942ELNS1_3gpuE9ELNS1_3repE0EEENS1_30default_config_static_selectorELNS0_4arch9wavefront6targetE1EEEvS17_.uses_flat_scratch, 0
	.set _ZN7rocprim17ROCPRIM_400000_NS6detail17trampoline_kernelINS0_14default_configENS1_22reduce_config_selectorIN6thrust23THRUST_200600_302600_NS5tupleIblNS6_9null_typeES8_S8_S8_S8_S8_S8_S8_EEEEZNS1_11reduce_implILb1ES3_NS6_12zip_iteratorINS7_INS6_11hip_rocprim26transform_input_iterator_tIbPfNS6_6detail10functional5actorINSH_9compositeIJNSH_27transparent_binary_operatorINS6_8equal_toIvEEEENSI_INSH_8argumentILj0EEEEENSH_5valueIfEEEEEEEEENSD_19counting_iterator_tIlEES8_S8_S8_S8_S8_S8_S8_S8_EEEEPS9_S9_NSD_9__find_if7functorIS9_EEEE10hipError_tPvRmT1_T2_T3_mT4_P12ihipStream_tbEUlT_E1_NS1_11comp_targetILNS1_3genE5ELNS1_11target_archE942ELNS1_3gpuE9ELNS1_3repE0EEENS1_30default_config_static_selectorELNS0_4arch9wavefront6targetE1EEEvS17_.has_dyn_sized_stack, 0
	.set _ZN7rocprim17ROCPRIM_400000_NS6detail17trampoline_kernelINS0_14default_configENS1_22reduce_config_selectorIN6thrust23THRUST_200600_302600_NS5tupleIblNS6_9null_typeES8_S8_S8_S8_S8_S8_S8_EEEEZNS1_11reduce_implILb1ES3_NS6_12zip_iteratorINS7_INS6_11hip_rocprim26transform_input_iterator_tIbPfNS6_6detail10functional5actorINSH_9compositeIJNSH_27transparent_binary_operatorINS6_8equal_toIvEEEENSI_INSH_8argumentILj0EEEEENSH_5valueIfEEEEEEEEENSD_19counting_iterator_tIlEES8_S8_S8_S8_S8_S8_S8_S8_EEEEPS9_S9_NSD_9__find_if7functorIS9_EEEE10hipError_tPvRmT1_T2_T3_mT4_P12ihipStream_tbEUlT_E1_NS1_11comp_targetILNS1_3genE5ELNS1_11target_archE942ELNS1_3gpuE9ELNS1_3repE0EEENS1_30default_config_static_selectorELNS0_4arch9wavefront6targetE1EEEvS17_.has_recursion, 0
	.set _ZN7rocprim17ROCPRIM_400000_NS6detail17trampoline_kernelINS0_14default_configENS1_22reduce_config_selectorIN6thrust23THRUST_200600_302600_NS5tupleIblNS6_9null_typeES8_S8_S8_S8_S8_S8_S8_EEEEZNS1_11reduce_implILb1ES3_NS6_12zip_iteratorINS7_INS6_11hip_rocprim26transform_input_iterator_tIbPfNS6_6detail10functional5actorINSH_9compositeIJNSH_27transparent_binary_operatorINS6_8equal_toIvEEEENSI_INSH_8argumentILj0EEEEENSH_5valueIfEEEEEEEEENSD_19counting_iterator_tIlEES8_S8_S8_S8_S8_S8_S8_S8_EEEEPS9_S9_NSD_9__find_if7functorIS9_EEEE10hipError_tPvRmT1_T2_T3_mT4_P12ihipStream_tbEUlT_E1_NS1_11comp_targetILNS1_3genE5ELNS1_11target_archE942ELNS1_3gpuE9ELNS1_3repE0EEENS1_30default_config_static_selectorELNS0_4arch9wavefront6targetE1EEEvS17_.has_indirect_call, 0
	.section	.AMDGPU.csdata,"",@progbits
; Kernel info:
; codeLenInByte = 0
; TotalNumSgprs: 4
; NumVgprs: 0
; ScratchSize: 0
; MemoryBound: 0
; FloatMode: 240
; IeeeMode: 1
; LDSByteSize: 0 bytes/workgroup (compile time only)
; SGPRBlocks: 0
; VGPRBlocks: 0
; NumSGPRsForWavesPerEU: 4
; NumVGPRsForWavesPerEU: 1
; Occupancy: 10
; WaveLimiterHint : 0
; COMPUTE_PGM_RSRC2:SCRATCH_EN: 0
; COMPUTE_PGM_RSRC2:USER_SGPR: 6
; COMPUTE_PGM_RSRC2:TRAP_HANDLER: 0
; COMPUTE_PGM_RSRC2:TGID_X_EN: 1
; COMPUTE_PGM_RSRC2:TGID_Y_EN: 0
; COMPUTE_PGM_RSRC2:TGID_Z_EN: 0
; COMPUTE_PGM_RSRC2:TIDIG_COMP_CNT: 0
	.section	.text._ZN7rocprim17ROCPRIM_400000_NS6detail17trampoline_kernelINS0_14default_configENS1_22reduce_config_selectorIN6thrust23THRUST_200600_302600_NS5tupleIblNS6_9null_typeES8_S8_S8_S8_S8_S8_S8_EEEEZNS1_11reduce_implILb1ES3_NS6_12zip_iteratorINS7_INS6_11hip_rocprim26transform_input_iterator_tIbPfNS6_6detail10functional5actorINSH_9compositeIJNSH_27transparent_binary_operatorINS6_8equal_toIvEEEENSI_INSH_8argumentILj0EEEEENSH_5valueIfEEEEEEEEENSD_19counting_iterator_tIlEES8_S8_S8_S8_S8_S8_S8_S8_EEEEPS9_S9_NSD_9__find_if7functorIS9_EEEE10hipError_tPvRmT1_T2_T3_mT4_P12ihipStream_tbEUlT_E1_NS1_11comp_targetILNS1_3genE4ELNS1_11target_archE910ELNS1_3gpuE8ELNS1_3repE0EEENS1_30default_config_static_selectorELNS0_4arch9wavefront6targetE1EEEvS17_,"axG",@progbits,_ZN7rocprim17ROCPRIM_400000_NS6detail17trampoline_kernelINS0_14default_configENS1_22reduce_config_selectorIN6thrust23THRUST_200600_302600_NS5tupleIblNS6_9null_typeES8_S8_S8_S8_S8_S8_S8_EEEEZNS1_11reduce_implILb1ES3_NS6_12zip_iteratorINS7_INS6_11hip_rocprim26transform_input_iterator_tIbPfNS6_6detail10functional5actorINSH_9compositeIJNSH_27transparent_binary_operatorINS6_8equal_toIvEEEENSI_INSH_8argumentILj0EEEEENSH_5valueIfEEEEEEEEENSD_19counting_iterator_tIlEES8_S8_S8_S8_S8_S8_S8_S8_EEEEPS9_S9_NSD_9__find_if7functorIS9_EEEE10hipError_tPvRmT1_T2_T3_mT4_P12ihipStream_tbEUlT_E1_NS1_11comp_targetILNS1_3genE4ELNS1_11target_archE910ELNS1_3gpuE8ELNS1_3repE0EEENS1_30default_config_static_selectorELNS0_4arch9wavefront6targetE1EEEvS17_,comdat
	.protected	_ZN7rocprim17ROCPRIM_400000_NS6detail17trampoline_kernelINS0_14default_configENS1_22reduce_config_selectorIN6thrust23THRUST_200600_302600_NS5tupleIblNS6_9null_typeES8_S8_S8_S8_S8_S8_S8_EEEEZNS1_11reduce_implILb1ES3_NS6_12zip_iteratorINS7_INS6_11hip_rocprim26transform_input_iterator_tIbPfNS6_6detail10functional5actorINSH_9compositeIJNSH_27transparent_binary_operatorINS6_8equal_toIvEEEENSI_INSH_8argumentILj0EEEEENSH_5valueIfEEEEEEEEENSD_19counting_iterator_tIlEES8_S8_S8_S8_S8_S8_S8_S8_EEEEPS9_S9_NSD_9__find_if7functorIS9_EEEE10hipError_tPvRmT1_T2_T3_mT4_P12ihipStream_tbEUlT_E1_NS1_11comp_targetILNS1_3genE4ELNS1_11target_archE910ELNS1_3gpuE8ELNS1_3repE0EEENS1_30default_config_static_selectorELNS0_4arch9wavefront6targetE1EEEvS17_ ; -- Begin function _ZN7rocprim17ROCPRIM_400000_NS6detail17trampoline_kernelINS0_14default_configENS1_22reduce_config_selectorIN6thrust23THRUST_200600_302600_NS5tupleIblNS6_9null_typeES8_S8_S8_S8_S8_S8_S8_EEEEZNS1_11reduce_implILb1ES3_NS6_12zip_iteratorINS7_INS6_11hip_rocprim26transform_input_iterator_tIbPfNS6_6detail10functional5actorINSH_9compositeIJNSH_27transparent_binary_operatorINS6_8equal_toIvEEEENSI_INSH_8argumentILj0EEEEENSH_5valueIfEEEEEEEEENSD_19counting_iterator_tIlEES8_S8_S8_S8_S8_S8_S8_S8_EEEEPS9_S9_NSD_9__find_if7functorIS9_EEEE10hipError_tPvRmT1_T2_T3_mT4_P12ihipStream_tbEUlT_E1_NS1_11comp_targetILNS1_3genE4ELNS1_11target_archE910ELNS1_3gpuE8ELNS1_3repE0EEENS1_30default_config_static_selectorELNS0_4arch9wavefront6targetE1EEEvS17_
	.globl	_ZN7rocprim17ROCPRIM_400000_NS6detail17trampoline_kernelINS0_14default_configENS1_22reduce_config_selectorIN6thrust23THRUST_200600_302600_NS5tupleIblNS6_9null_typeES8_S8_S8_S8_S8_S8_S8_EEEEZNS1_11reduce_implILb1ES3_NS6_12zip_iteratorINS7_INS6_11hip_rocprim26transform_input_iterator_tIbPfNS6_6detail10functional5actorINSH_9compositeIJNSH_27transparent_binary_operatorINS6_8equal_toIvEEEENSI_INSH_8argumentILj0EEEEENSH_5valueIfEEEEEEEEENSD_19counting_iterator_tIlEES8_S8_S8_S8_S8_S8_S8_S8_EEEEPS9_S9_NSD_9__find_if7functorIS9_EEEE10hipError_tPvRmT1_T2_T3_mT4_P12ihipStream_tbEUlT_E1_NS1_11comp_targetILNS1_3genE4ELNS1_11target_archE910ELNS1_3gpuE8ELNS1_3repE0EEENS1_30default_config_static_selectorELNS0_4arch9wavefront6targetE1EEEvS17_
	.p2align	8
	.type	_ZN7rocprim17ROCPRIM_400000_NS6detail17trampoline_kernelINS0_14default_configENS1_22reduce_config_selectorIN6thrust23THRUST_200600_302600_NS5tupleIblNS6_9null_typeES8_S8_S8_S8_S8_S8_S8_EEEEZNS1_11reduce_implILb1ES3_NS6_12zip_iteratorINS7_INS6_11hip_rocprim26transform_input_iterator_tIbPfNS6_6detail10functional5actorINSH_9compositeIJNSH_27transparent_binary_operatorINS6_8equal_toIvEEEENSI_INSH_8argumentILj0EEEEENSH_5valueIfEEEEEEEEENSD_19counting_iterator_tIlEES8_S8_S8_S8_S8_S8_S8_S8_EEEEPS9_S9_NSD_9__find_if7functorIS9_EEEE10hipError_tPvRmT1_T2_T3_mT4_P12ihipStream_tbEUlT_E1_NS1_11comp_targetILNS1_3genE4ELNS1_11target_archE910ELNS1_3gpuE8ELNS1_3repE0EEENS1_30default_config_static_selectorELNS0_4arch9wavefront6targetE1EEEvS17_,@function
_ZN7rocprim17ROCPRIM_400000_NS6detail17trampoline_kernelINS0_14default_configENS1_22reduce_config_selectorIN6thrust23THRUST_200600_302600_NS5tupleIblNS6_9null_typeES8_S8_S8_S8_S8_S8_S8_EEEEZNS1_11reduce_implILb1ES3_NS6_12zip_iteratorINS7_INS6_11hip_rocprim26transform_input_iterator_tIbPfNS6_6detail10functional5actorINSH_9compositeIJNSH_27transparent_binary_operatorINS6_8equal_toIvEEEENSI_INSH_8argumentILj0EEEEENSH_5valueIfEEEEEEEEENSD_19counting_iterator_tIlEES8_S8_S8_S8_S8_S8_S8_S8_EEEEPS9_S9_NSD_9__find_if7functorIS9_EEEE10hipError_tPvRmT1_T2_T3_mT4_P12ihipStream_tbEUlT_E1_NS1_11comp_targetILNS1_3genE4ELNS1_11target_archE910ELNS1_3gpuE8ELNS1_3repE0EEENS1_30default_config_static_selectorELNS0_4arch9wavefront6targetE1EEEvS17_: ; @_ZN7rocprim17ROCPRIM_400000_NS6detail17trampoline_kernelINS0_14default_configENS1_22reduce_config_selectorIN6thrust23THRUST_200600_302600_NS5tupleIblNS6_9null_typeES8_S8_S8_S8_S8_S8_S8_EEEEZNS1_11reduce_implILb1ES3_NS6_12zip_iteratorINS7_INS6_11hip_rocprim26transform_input_iterator_tIbPfNS6_6detail10functional5actorINSH_9compositeIJNSH_27transparent_binary_operatorINS6_8equal_toIvEEEENSI_INSH_8argumentILj0EEEEENSH_5valueIfEEEEEEEEENSD_19counting_iterator_tIlEES8_S8_S8_S8_S8_S8_S8_S8_EEEEPS9_S9_NSD_9__find_if7functorIS9_EEEE10hipError_tPvRmT1_T2_T3_mT4_P12ihipStream_tbEUlT_E1_NS1_11comp_targetILNS1_3genE4ELNS1_11target_archE910ELNS1_3gpuE8ELNS1_3repE0EEENS1_30default_config_static_selectorELNS0_4arch9wavefront6targetE1EEEvS17_
; %bb.0:
	.section	.rodata,"a",@progbits
	.p2align	6, 0x0
	.amdhsa_kernel _ZN7rocprim17ROCPRIM_400000_NS6detail17trampoline_kernelINS0_14default_configENS1_22reduce_config_selectorIN6thrust23THRUST_200600_302600_NS5tupleIblNS6_9null_typeES8_S8_S8_S8_S8_S8_S8_EEEEZNS1_11reduce_implILb1ES3_NS6_12zip_iteratorINS7_INS6_11hip_rocprim26transform_input_iterator_tIbPfNS6_6detail10functional5actorINSH_9compositeIJNSH_27transparent_binary_operatorINS6_8equal_toIvEEEENSI_INSH_8argumentILj0EEEEENSH_5valueIfEEEEEEEEENSD_19counting_iterator_tIlEES8_S8_S8_S8_S8_S8_S8_S8_EEEEPS9_S9_NSD_9__find_if7functorIS9_EEEE10hipError_tPvRmT1_T2_T3_mT4_P12ihipStream_tbEUlT_E1_NS1_11comp_targetILNS1_3genE4ELNS1_11target_archE910ELNS1_3gpuE8ELNS1_3repE0EEENS1_30default_config_static_selectorELNS0_4arch9wavefront6targetE1EEEvS17_
		.amdhsa_group_segment_fixed_size 0
		.amdhsa_private_segment_fixed_size 0
		.amdhsa_kernarg_size 72
		.amdhsa_user_sgpr_count 6
		.amdhsa_user_sgpr_private_segment_buffer 1
		.amdhsa_user_sgpr_dispatch_ptr 0
		.amdhsa_user_sgpr_queue_ptr 0
		.amdhsa_user_sgpr_kernarg_segment_ptr 1
		.amdhsa_user_sgpr_dispatch_id 0
		.amdhsa_user_sgpr_flat_scratch_init 0
		.amdhsa_user_sgpr_private_segment_size 0
		.amdhsa_uses_dynamic_stack 0
		.amdhsa_system_sgpr_private_segment_wavefront_offset 0
		.amdhsa_system_sgpr_workgroup_id_x 1
		.amdhsa_system_sgpr_workgroup_id_y 0
		.amdhsa_system_sgpr_workgroup_id_z 0
		.amdhsa_system_sgpr_workgroup_info 0
		.amdhsa_system_vgpr_workitem_id 0
		.amdhsa_next_free_vgpr 1
		.amdhsa_next_free_sgpr 0
		.amdhsa_reserve_vcc 0
		.amdhsa_reserve_flat_scratch 0
		.amdhsa_float_round_mode_32 0
		.amdhsa_float_round_mode_16_64 0
		.amdhsa_float_denorm_mode_32 3
		.amdhsa_float_denorm_mode_16_64 3
		.amdhsa_dx10_clamp 1
		.amdhsa_ieee_mode 1
		.amdhsa_fp16_overflow 0
		.amdhsa_exception_fp_ieee_invalid_op 0
		.amdhsa_exception_fp_denorm_src 0
		.amdhsa_exception_fp_ieee_div_zero 0
		.amdhsa_exception_fp_ieee_overflow 0
		.amdhsa_exception_fp_ieee_underflow 0
		.amdhsa_exception_fp_ieee_inexact 0
		.amdhsa_exception_int_div_zero 0
	.end_amdhsa_kernel
	.section	.text._ZN7rocprim17ROCPRIM_400000_NS6detail17trampoline_kernelINS0_14default_configENS1_22reduce_config_selectorIN6thrust23THRUST_200600_302600_NS5tupleIblNS6_9null_typeES8_S8_S8_S8_S8_S8_S8_EEEEZNS1_11reduce_implILb1ES3_NS6_12zip_iteratorINS7_INS6_11hip_rocprim26transform_input_iterator_tIbPfNS6_6detail10functional5actorINSH_9compositeIJNSH_27transparent_binary_operatorINS6_8equal_toIvEEEENSI_INSH_8argumentILj0EEEEENSH_5valueIfEEEEEEEEENSD_19counting_iterator_tIlEES8_S8_S8_S8_S8_S8_S8_S8_EEEEPS9_S9_NSD_9__find_if7functorIS9_EEEE10hipError_tPvRmT1_T2_T3_mT4_P12ihipStream_tbEUlT_E1_NS1_11comp_targetILNS1_3genE4ELNS1_11target_archE910ELNS1_3gpuE8ELNS1_3repE0EEENS1_30default_config_static_selectorELNS0_4arch9wavefront6targetE1EEEvS17_,"axG",@progbits,_ZN7rocprim17ROCPRIM_400000_NS6detail17trampoline_kernelINS0_14default_configENS1_22reduce_config_selectorIN6thrust23THRUST_200600_302600_NS5tupleIblNS6_9null_typeES8_S8_S8_S8_S8_S8_S8_EEEEZNS1_11reduce_implILb1ES3_NS6_12zip_iteratorINS7_INS6_11hip_rocprim26transform_input_iterator_tIbPfNS6_6detail10functional5actorINSH_9compositeIJNSH_27transparent_binary_operatorINS6_8equal_toIvEEEENSI_INSH_8argumentILj0EEEEENSH_5valueIfEEEEEEEEENSD_19counting_iterator_tIlEES8_S8_S8_S8_S8_S8_S8_S8_EEEEPS9_S9_NSD_9__find_if7functorIS9_EEEE10hipError_tPvRmT1_T2_T3_mT4_P12ihipStream_tbEUlT_E1_NS1_11comp_targetILNS1_3genE4ELNS1_11target_archE910ELNS1_3gpuE8ELNS1_3repE0EEENS1_30default_config_static_selectorELNS0_4arch9wavefront6targetE1EEEvS17_,comdat
.Lfunc_end1953:
	.size	_ZN7rocprim17ROCPRIM_400000_NS6detail17trampoline_kernelINS0_14default_configENS1_22reduce_config_selectorIN6thrust23THRUST_200600_302600_NS5tupleIblNS6_9null_typeES8_S8_S8_S8_S8_S8_S8_EEEEZNS1_11reduce_implILb1ES3_NS6_12zip_iteratorINS7_INS6_11hip_rocprim26transform_input_iterator_tIbPfNS6_6detail10functional5actorINSH_9compositeIJNSH_27transparent_binary_operatorINS6_8equal_toIvEEEENSI_INSH_8argumentILj0EEEEENSH_5valueIfEEEEEEEEENSD_19counting_iterator_tIlEES8_S8_S8_S8_S8_S8_S8_S8_EEEEPS9_S9_NSD_9__find_if7functorIS9_EEEE10hipError_tPvRmT1_T2_T3_mT4_P12ihipStream_tbEUlT_E1_NS1_11comp_targetILNS1_3genE4ELNS1_11target_archE910ELNS1_3gpuE8ELNS1_3repE0EEENS1_30default_config_static_selectorELNS0_4arch9wavefront6targetE1EEEvS17_, .Lfunc_end1953-_ZN7rocprim17ROCPRIM_400000_NS6detail17trampoline_kernelINS0_14default_configENS1_22reduce_config_selectorIN6thrust23THRUST_200600_302600_NS5tupleIblNS6_9null_typeES8_S8_S8_S8_S8_S8_S8_EEEEZNS1_11reduce_implILb1ES3_NS6_12zip_iteratorINS7_INS6_11hip_rocprim26transform_input_iterator_tIbPfNS6_6detail10functional5actorINSH_9compositeIJNSH_27transparent_binary_operatorINS6_8equal_toIvEEEENSI_INSH_8argumentILj0EEEEENSH_5valueIfEEEEEEEEENSD_19counting_iterator_tIlEES8_S8_S8_S8_S8_S8_S8_S8_EEEEPS9_S9_NSD_9__find_if7functorIS9_EEEE10hipError_tPvRmT1_T2_T3_mT4_P12ihipStream_tbEUlT_E1_NS1_11comp_targetILNS1_3genE4ELNS1_11target_archE910ELNS1_3gpuE8ELNS1_3repE0EEENS1_30default_config_static_selectorELNS0_4arch9wavefront6targetE1EEEvS17_
                                        ; -- End function
	.set _ZN7rocprim17ROCPRIM_400000_NS6detail17trampoline_kernelINS0_14default_configENS1_22reduce_config_selectorIN6thrust23THRUST_200600_302600_NS5tupleIblNS6_9null_typeES8_S8_S8_S8_S8_S8_S8_EEEEZNS1_11reduce_implILb1ES3_NS6_12zip_iteratorINS7_INS6_11hip_rocprim26transform_input_iterator_tIbPfNS6_6detail10functional5actorINSH_9compositeIJNSH_27transparent_binary_operatorINS6_8equal_toIvEEEENSI_INSH_8argumentILj0EEEEENSH_5valueIfEEEEEEEEENSD_19counting_iterator_tIlEES8_S8_S8_S8_S8_S8_S8_S8_EEEEPS9_S9_NSD_9__find_if7functorIS9_EEEE10hipError_tPvRmT1_T2_T3_mT4_P12ihipStream_tbEUlT_E1_NS1_11comp_targetILNS1_3genE4ELNS1_11target_archE910ELNS1_3gpuE8ELNS1_3repE0EEENS1_30default_config_static_selectorELNS0_4arch9wavefront6targetE1EEEvS17_.num_vgpr, 0
	.set _ZN7rocprim17ROCPRIM_400000_NS6detail17trampoline_kernelINS0_14default_configENS1_22reduce_config_selectorIN6thrust23THRUST_200600_302600_NS5tupleIblNS6_9null_typeES8_S8_S8_S8_S8_S8_S8_EEEEZNS1_11reduce_implILb1ES3_NS6_12zip_iteratorINS7_INS6_11hip_rocprim26transform_input_iterator_tIbPfNS6_6detail10functional5actorINSH_9compositeIJNSH_27transparent_binary_operatorINS6_8equal_toIvEEEENSI_INSH_8argumentILj0EEEEENSH_5valueIfEEEEEEEEENSD_19counting_iterator_tIlEES8_S8_S8_S8_S8_S8_S8_S8_EEEEPS9_S9_NSD_9__find_if7functorIS9_EEEE10hipError_tPvRmT1_T2_T3_mT4_P12ihipStream_tbEUlT_E1_NS1_11comp_targetILNS1_3genE4ELNS1_11target_archE910ELNS1_3gpuE8ELNS1_3repE0EEENS1_30default_config_static_selectorELNS0_4arch9wavefront6targetE1EEEvS17_.num_agpr, 0
	.set _ZN7rocprim17ROCPRIM_400000_NS6detail17trampoline_kernelINS0_14default_configENS1_22reduce_config_selectorIN6thrust23THRUST_200600_302600_NS5tupleIblNS6_9null_typeES8_S8_S8_S8_S8_S8_S8_EEEEZNS1_11reduce_implILb1ES3_NS6_12zip_iteratorINS7_INS6_11hip_rocprim26transform_input_iterator_tIbPfNS6_6detail10functional5actorINSH_9compositeIJNSH_27transparent_binary_operatorINS6_8equal_toIvEEEENSI_INSH_8argumentILj0EEEEENSH_5valueIfEEEEEEEEENSD_19counting_iterator_tIlEES8_S8_S8_S8_S8_S8_S8_S8_EEEEPS9_S9_NSD_9__find_if7functorIS9_EEEE10hipError_tPvRmT1_T2_T3_mT4_P12ihipStream_tbEUlT_E1_NS1_11comp_targetILNS1_3genE4ELNS1_11target_archE910ELNS1_3gpuE8ELNS1_3repE0EEENS1_30default_config_static_selectorELNS0_4arch9wavefront6targetE1EEEvS17_.numbered_sgpr, 0
	.set _ZN7rocprim17ROCPRIM_400000_NS6detail17trampoline_kernelINS0_14default_configENS1_22reduce_config_selectorIN6thrust23THRUST_200600_302600_NS5tupleIblNS6_9null_typeES8_S8_S8_S8_S8_S8_S8_EEEEZNS1_11reduce_implILb1ES3_NS6_12zip_iteratorINS7_INS6_11hip_rocprim26transform_input_iterator_tIbPfNS6_6detail10functional5actorINSH_9compositeIJNSH_27transparent_binary_operatorINS6_8equal_toIvEEEENSI_INSH_8argumentILj0EEEEENSH_5valueIfEEEEEEEEENSD_19counting_iterator_tIlEES8_S8_S8_S8_S8_S8_S8_S8_EEEEPS9_S9_NSD_9__find_if7functorIS9_EEEE10hipError_tPvRmT1_T2_T3_mT4_P12ihipStream_tbEUlT_E1_NS1_11comp_targetILNS1_3genE4ELNS1_11target_archE910ELNS1_3gpuE8ELNS1_3repE0EEENS1_30default_config_static_selectorELNS0_4arch9wavefront6targetE1EEEvS17_.num_named_barrier, 0
	.set _ZN7rocprim17ROCPRIM_400000_NS6detail17trampoline_kernelINS0_14default_configENS1_22reduce_config_selectorIN6thrust23THRUST_200600_302600_NS5tupleIblNS6_9null_typeES8_S8_S8_S8_S8_S8_S8_EEEEZNS1_11reduce_implILb1ES3_NS6_12zip_iteratorINS7_INS6_11hip_rocprim26transform_input_iterator_tIbPfNS6_6detail10functional5actorINSH_9compositeIJNSH_27transparent_binary_operatorINS6_8equal_toIvEEEENSI_INSH_8argumentILj0EEEEENSH_5valueIfEEEEEEEEENSD_19counting_iterator_tIlEES8_S8_S8_S8_S8_S8_S8_S8_EEEEPS9_S9_NSD_9__find_if7functorIS9_EEEE10hipError_tPvRmT1_T2_T3_mT4_P12ihipStream_tbEUlT_E1_NS1_11comp_targetILNS1_3genE4ELNS1_11target_archE910ELNS1_3gpuE8ELNS1_3repE0EEENS1_30default_config_static_selectorELNS0_4arch9wavefront6targetE1EEEvS17_.private_seg_size, 0
	.set _ZN7rocprim17ROCPRIM_400000_NS6detail17trampoline_kernelINS0_14default_configENS1_22reduce_config_selectorIN6thrust23THRUST_200600_302600_NS5tupleIblNS6_9null_typeES8_S8_S8_S8_S8_S8_S8_EEEEZNS1_11reduce_implILb1ES3_NS6_12zip_iteratorINS7_INS6_11hip_rocprim26transform_input_iterator_tIbPfNS6_6detail10functional5actorINSH_9compositeIJNSH_27transparent_binary_operatorINS6_8equal_toIvEEEENSI_INSH_8argumentILj0EEEEENSH_5valueIfEEEEEEEEENSD_19counting_iterator_tIlEES8_S8_S8_S8_S8_S8_S8_S8_EEEEPS9_S9_NSD_9__find_if7functorIS9_EEEE10hipError_tPvRmT1_T2_T3_mT4_P12ihipStream_tbEUlT_E1_NS1_11comp_targetILNS1_3genE4ELNS1_11target_archE910ELNS1_3gpuE8ELNS1_3repE0EEENS1_30default_config_static_selectorELNS0_4arch9wavefront6targetE1EEEvS17_.uses_vcc, 0
	.set _ZN7rocprim17ROCPRIM_400000_NS6detail17trampoline_kernelINS0_14default_configENS1_22reduce_config_selectorIN6thrust23THRUST_200600_302600_NS5tupleIblNS6_9null_typeES8_S8_S8_S8_S8_S8_S8_EEEEZNS1_11reduce_implILb1ES3_NS6_12zip_iteratorINS7_INS6_11hip_rocprim26transform_input_iterator_tIbPfNS6_6detail10functional5actorINSH_9compositeIJNSH_27transparent_binary_operatorINS6_8equal_toIvEEEENSI_INSH_8argumentILj0EEEEENSH_5valueIfEEEEEEEEENSD_19counting_iterator_tIlEES8_S8_S8_S8_S8_S8_S8_S8_EEEEPS9_S9_NSD_9__find_if7functorIS9_EEEE10hipError_tPvRmT1_T2_T3_mT4_P12ihipStream_tbEUlT_E1_NS1_11comp_targetILNS1_3genE4ELNS1_11target_archE910ELNS1_3gpuE8ELNS1_3repE0EEENS1_30default_config_static_selectorELNS0_4arch9wavefront6targetE1EEEvS17_.uses_flat_scratch, 0
	.set _ZN7rocprim17ROCPRIM_400000_NS6detail17trampoline_kernelINS0_14default_configENS1_22reduce_config_selectorIN6thrust23THRUST_200600_302600_NS5tupleIblNS6_9null_typeES8_S8_S8_S8_S8_S8_S8_EEEEZNS1_11reduce_implILb1ES3_NS6_12zip_iteratorINS7_INS6_11hip_rocprim26transform_input_iterator_tIbPfNS6_6detail10functional5actorINSH_9compositeIJNSH_27transparent_binary_operatorINS6_8equal_toIvEEEENSI_INSH_8argumentILj0EEEEENSH_5valueIfEEEEEEEEENSD_19counting_iterator_tIlEES8_S8_S8_S8_S8_S8_S8_S8_EEEEPS9_S9_NSD_9__find_if7functorIS9_EEEE10hipError_tPvRmT1_T2_T3_mT4_P12ihipStream_tbEUlT_E1_NS1_11comp_targetILNS1_3genE4ELNS1_11target_archE910ELNS1_3gpuE8ELNS1_3repE0EEENS1_30default_config_static_selectorELNS0_4arch9wavefront6targetE1EEEvS17_.has_dyn_sized_stack, 0
	.set _ZN7rocprim17ROCPRIM_400000_NS6detail17trampoline_kernelINS0_14default_configENS1_22reduce_config_selectorIN6thrust23THRUST_200600_302600_NS5tupleIblNS6_9null_typeES8_S8_S8_S8_S8_S8_S8_EEEEZNS1_11reduce_implILb1ES3_NS6_12zip_iteratorINS7_INS6_11hip_rocprim26transform_input_iterator_tIbPfNS6_6detail10functional5actorINSH_9compositeIJNSH_27transparent_binary_operatorINS6_8equal_toIvEEEENSI_INSH_8argumentILj0EEEEENSH_5valueIfEEEEEEEEENSD_19counting_iterator_tIlEES8_S8_S8_S8_S8_S8_S8_S8_EEEEPS9_S9_NSD_9__find_if7functorIS9_EEEE10hipError_tPvRmT1_T2_T3_mT4_P12ihipStream_tbEUlT_E1_NS1_11comp_targetILNS1_3genE4ELNS1_11target_archE910ELNS1_3gpuE8ELNS1_3repE0EEENS1_30default_config_static_selectorELNS0_4arch9wavefront6targetE1EEEvS17_.has_recursion, 0
	.set _ZN7rocprim17ROCPRIM_400000_NS6detail17trampoline_kernelINS0_14default_configENS1_22reduce_config_selectorIN6thrust23THRUST_200600_302600_NS5tupleIblNS6_9null_typeES8_S8_S8_S8_S8_S8_S8_EEEEZNS1_11reduce_implILb1ES3_NS6_12zip_iteratorINS7_INS6_11hip_rocprim26transform_input_iterator_tIbPfNS6_6detail10functional5actorINSH_9compositeIJNSH_27transparent_binary_operatorINS6_8equal_toIvEEEENSI_INSH_8argumentILj0EEEEENSH_5valueIfEEEEEEEEENSD_19counting_iterator_tIlEES8_S8_S8_S8_S8_S8_S8_S8_EEEEPS9_S9_NSD_9__find_if7functorIS9_EEEE10hipError_tPvRmT1_T2_T3_mT4_P12ihipStream_tbEUlT_E1_NS1_11comp_targetILNS1_3genE4ELNS1_11target_archE910ELNS1_3gpuE8ELNS1_3repE0EEENS1_30default_config_static_selectorELNS0_4arch9wavefront6targetE1EEEvS17_.has_indirect_call, 0
	.section	.AMDGPU.csdata,"",@progbits
; Kernel info:
; codeLenInByte = 0
; TotalNumSgprs: 4
; NumVgprs: 0
; ScratchSize: 0
; MemoryBound: 0
; FloatMode: 240
; IeeeMode: 1
; LDSByteSize: 0 bytes/workgroup (compile time only)
; SGPRBlocks: 0
; VGPRBlocks: 0
; NumSGPRsForWavesPerEU: 4
; NumVGPRsForWavesPerEU: 1
; Occupancy: 10
; WaveLimiterHint : 0
; COMPUTE_PGM_RSRC2:SCRATCH_EN: 0
; COMPUTE_PGM_RSRC2:USER_SGPR: 6
; COMPUTE_PGM_RSRC2:TRAP_HANDLER: 0
; COMPUTE_PGM_RSRC2:TGID_X_EN: 1
; COMPUTE_PGM_RSRC2:TGID_Y_EN: 0
; COMPUTE_PGM_RSRC2:TGID_Z_EN: 0
; COMPUTE_PGM_RSRC2:TIDIG_COMP_CNT: 0
	.section	.text._ZN7rocprim17ROCPRIM_400000_NS6detail17trampoline_kernelINS0_14default_configENS1_22reduce_config_selectorIN6thrust23THRUST_200600_302600_NS5tupleIblNS6_9null_typeES8_S8_S8_S8_S8_S8_S8_EEEEZNS1_11reduce_implILb1ES3_NS6_12zip_iteratorINS7_INS6_11hip_rocprim26transform_input_iterator_tIbPfNS6_6detail10functional5actorINSH_9compositeIJNSH_27transparent_binary_operatorINS6_8equal_toIvEEEENSI_INSH_8argumentILj0EEEEENSH_5valueIfEEEEEEEEENSD_19counting_iterator_tIlEES8_S8_S8_S8_S8_S8_S8_S8_EEEEPS9_S9_NSD_9__find_if7functorIS9_EEEE10hipError_tPvRmT1_T2_T3_mT4_P12ihipStream_tbEUlT_E1_NS1_11comp_targetILNS1_3genE3ELNS1_11target_archE908ELNS1_3gpuE7ELNS1_3repE0EEENS1_30default_config_static_selectorELNS0_4arch9wavefront6targetE1EEEvS17_,"axG",@progbits,_ZN7rocprim17ROCPRIM_400000_NS6detail17trampoline_kernelINS0_14default_configENS1_22reduce_config_selectorIN6thrust23THRUST_200600_302600_NS5tupleIblNS6_9null_typeES8_S8_S8_S8_S8_S8_S8_EEEEZNS1_11reduce_implILb1ES3_NS6_12zip_iteratorINS7_INS6_11hip_rocprim26transform_input_iterator_tIbPfNS6_6detail10functional5actorINSH_9compositeIJNSH_27transparent_binary_operatorINS6_8equal_toIvEEEENSI_INSH_8argumentILj0EEEEENSH_5valueIfEEEEEEEEENSD_19counting_iterator_tIlEES8_S8_S8_S8_S8_S8_S8_S8_EEEEPS9_S9_NSD_9__find_if7functorIS9_EEEE10hipError_tPvRmT1_T2_T3_mT4_P12ihipStream_tbEUlT_E1_NS1_11comp_targetILNS1_3genE3ELNS1_11target_archE908ELNS1_3gpuE7ELNS1_3repE0EEENS1_30default_config_static_selectorELNS0_4arch9wavefront6targetE1EEEvS17_,comdat
	.protected	_ZN7rocprim17ROCPRIM_400000_NS6detail17trampoline_kernelINS0_14default_configENS1_22reduce_config_selectorIN6thrust23THRUST_200600_302600_NS5tupleIblNS6_9null_typeES8_S8_S8_S8_S8_S8_S8_EEEEZNS1_11reduce_implILb1ES3_NS6_12zip_iteratorINS7_INS6_11hip_rocprim26transform_input_iterator_tIbPfNS6_6detail10functional5actorINSH_9compositeIJNSH_27transparent_binary_operatorINS6_8equal_toIvEEEENSI_INSH_8argumentILj0EEEEENSH_5valueIfEEEEEEEEENSD_19counting_iterator_tIlEES8_S8_S8_S8_S8_S8_S8_S8_EEEEPS9_S9_NSD_9__find_if7functorIS9_EEEE10hipError_tPvRmT1_T2_T3_mT4_P12ihipStream_tbEUlT_E1_NS1_11comp_targetILNS1_3genE3ELNS1_11target_archE908ELNS1_3gpuE7ELNS1_3repE0EEENS1_30default_config_static_selectorELNS0_4arch9wavefront6targetE1EEEvS17_ ; -- Begin function _ZN7rocprim17ROCPRIM_400000_NS6detail17trampoline_kernelINS0_14default_configENS1_22reduce_config_selectorIN6thrust23THRUST_200600_302600_NS5tupleIblNS6_9null_typeES8_S8_S8_S8_S8_S8_S8_EEEEZNS1_11reduce_implILb1ES3_NS6_12zip_iteratorINS7_INS6_11hip_rocprim26transform_input_iterator_tIbPfNS6_6detail10functional5actorINSH_9compositeIJNSH_27transparent_binary_operatorINS6_8equal_toIvEEEENSI_INSH_8argumentILj0EEEEENSH_5valueIfEEEEEEEEENSD_19counting_iterator_tIlEES8_S8_S8_S8_S8_S8_S8_S8_EEEEPS9_S9_NSD_9__find_if7functorIS9_EEEE10hipError_tPvRmT1_T2_T3_mT4_P12ihipStream_tbEUlT_E1_NS1_11comp_targetILNS1_3genE3ELNS1_11target_archE908ELNS1_3gpuE7ELNS1_3repE0EEENS1_30default_config_static_selectorELNS0_4arch9wavefront6targetE1EEEvS17_
	.globl	_ZN7rocprim17ROCPRIM_400000_NS6detail17trampoline_kernelINS0_14default_configENS1_22reduce_config_selectorIN6thrust23THRUST_200600_302600_NS5tupleIblNS6_9null_typeES8_S8_S8_S8_S8_S8_S8_EEEEZNS1_11reduce_implILb1ES3_NS6_12zip_iteratorINS7_INS6_11hip_rocprim26transform_input_iterator_tIbPfNS6_6detail10functional5actorINSH_9compositeIJNSH_27transparent_binary_operatorINS6_8equal_toIvEEEENSI_INSH_8argumentILj0EEEEENSH_5valueIfEEEEEEEEENSD_19counting_iterator_tIlEES8_S8_S8_S8_S8_S8_S8_S8_EEEEPS9_S9_NSD_9__find_if7functorIS9_EEEE10hipError_tPvRmT1_T2_T3_mT4_P12ihipStream_tbEUlT_E1_NS1_11comp_targetILNS1_3genE3ELNS1_11target_archE908ELNS1_3gpuE7ELNS1_3repE0EEENS1_30default_config_static_selectorELNS0_4arch9wavefront6targetE1EEEvS17_
	.p2align	8
	.type	_ZN7rocprim17ROCPRIM_400000_NS6detail17trampoline_kernelINS0_14default_configENS1_22reduce_config_selectorIN6thrust23THRUST_200600_302600_NS5tupleIblNS6_9null_typeES8_S8_S8_S8_S8_S8_S8_EEEEZNS1_11reduce_implILb1ES3_NS6_12zip_iteratorINS7_INS6_11hip_rocprim26transform_input_iterator_tIbPfNS6_6detail10functional5actorINSH_9compositeIJNSH_27transparent_binary_operatorINS6_8equal_toIvEEEENSI_INSH_8argumentILj0EEEEENSH_5valueIfEEEEEEEEENSD_19counting_iterator_tIlEES8_S8_S8_S8_S8_S8_S8_S8_EEEEPS9_S9_NSD_9__find_if7functorIS9_EEEE10hipError_tPvRmT1_T2_T3_mT4_P12ihipStream_tbEUlT_E1_NS1_11comp_targetILNS1_3genE3ELNS1_11target_archE908ELNS1_3gpuE7ELNS1_3repE0EEENS1_30default_config_static_selectorELNS0_4arch9wavefront6targetE1EEEvS17_,@function
_ZN7rocprim17ROCPRIM_400000_NS6detail17trampoline_kernelINS0_14default_configENS1_22reduce_config_selectorIN6thrust23THRUST_200600_302600_NS5tupleIblNS6_9null_typeES8_S8_S8_S8_S8_S8_S8_EEEEZNS1_11reduce_implILb1ES3_NS6_12zip_iteratorINS7_INS6_11hip_rocprim26transform_input_iterator_tIbPfNS6_6detail10functional5actorINSH_9compositeIJNSH_27transparent_binary_operatorINS6_8equal_toIvEEEENSI_INSH_8argumentILj0EEEEENSH_5valueIfEEEEEEEEENSD_19counting_iterator_tIlEES8_S8_S8_S8_S8_S8_S8_S8_EEEEPS9_S9_NSD_9__find_if7functorIS9_EEEE10hipError_tPvRmT1_T2_T3_mT4_P12ihipStream_tbEUlT_E1_NS1_11comp_targetILNS1_3genE3ELNS1_11target_archE908ELNS1_3gpuE7ELNS1_3repE0EEENS1_30default_config_static_selectorELNS0_4arch9wavefront6targetE1EEEvS17_: ; @_ZN7rocprim17ROCPRIM_400000_NS6detail17trampoline_kernelINS0_14default_configENS1_22reduce_config_selectorIN6thrust23THRUST_200600_302600_NS5tupleIblNS6_9null_typeES8_S8_S8_S8_S8_S8_S8_EEEEZNS1_11reduce_implILb1ES3_NS6_12zip_iteratorINS7_INS6_11hip_rocprim26transform_input_iterator_tIbPfNS6_6detail10functional5actorINSH_9compositeIJNSH_27transparent_binary_operatorINS6_8equal_toIvEEEENSI_INSH_8argumentILj0EEEEENSH_5valueIfEEEEEEEEENSD_19counting_iterator_tIlEES8_S8_S8_S8_S8_S8_S8_S8_EEEEPS9_S9_NSD_9__find_if7functorIS9_EEEE10hipError_tPvRmT1_T2_T3_mT4_P12ihipStream_tbEUlT_E1_NS1_11comp_targetILNS1_3genE3ELNS1_11target_archE908ELNS1_3gpuE7ELNS1_3repE0EEENS1_30default_config_static_selectorELNS0_4arch9wavefront6targetE1EEEvS17_
; %bb.0:
	.section	.rodata,"a",@progbits
	.p2align	6, 0x0
	.amdhsa_kernel _ZN7rocprim17ROCPRIM_400000_NS6detail17trampoline_kernelINS0_14default_configENS1_22reduce_config_selectorIN6thrust23THRUST_200600_302600_NS5tupleIblNS6_9null_typeES8_S8_S8_S8_S8_S8_S8_EEEEZNS1_11reduce_implILb1ES3_NS6_12zip_iteratorINS7_INS6_11hip_rocprim26transform_input_iterator_tIbPfNS6_6detail10functional5actorINSH_9compositeIJNSH_27transparent_binary_operatorINS6_8equal_toIvEEEENSI_INSH_8argumentILj0EEEEENSH_5valueIfEEEEEEEEENSD_19counting_iterator_tIlEES8_S8_S8_S8_S8_S8_S8_S8_EEEEPS9_S9_NSD_9__find_if7functorIS9_EEEE10hipError_tPvRmT1_T2_T3_mT4_P12ihipStream_tbEUlT_E1_NS1_11comp_targetILNS1_3genE3ELNS1_11target_archE908ELNS1_3gpuE7ELNS1_3repE0EEENS1_30default_config_static_selectorELNS0_4arch9wavefront6targetE1EEEvS17_
		.amdhsa_group_segment_fixed_size 0
		.amdhsa_private_segment_fixed_size 0
		.amdhsa_kernarg_size 72
		.amdhsa_user_sgpr_count 6
		.amdhsa_user_sgpr_private_segment_buffer 1
		.amdhsa_user_sgpr_dispatch_ptr 0
		.amdhsa_user_sgpr_queue_ptr 0
		.amdhsa_user_sgpr_kernarg_segment_ptr 1
		.amdhsa_user_sgpr_dispatch_id 0
		.amdhsa_user_sgpr_flat_scratch_init 0
		.amdhsa_user_sgpr_private_segment_size 0
		.amdhsa_uses_dynamic_stack 0
		.amdhsa_system_sgpr_private_segment_wavefront_offset 0
		.amdhsa_system_sgpr_workgroup_id_x 1
		.amdhsa_system_sgpr_workgroup_id_y 0
		.amdhsa_system_sgpr_workgroup_id_z 0
		.amdhsa_system_sgpr_workgroup_info 0
		.amdhsa_system_vgpr_workitem_id 0
		.amdhsa_next_free_vgpr 1
		.amdhsa_next_free_sgpr 0
		.amdhsa_reserve_vcc 0
		.amdhsa_reserve_flat_scratch 0
		.amdhsa_float_round_mode_32 0
		.amdhsa_float_round_mode_16_64 0
		.amdhsa_float_denorm_mode_32 3
		.amdhsa_float_denorm_mode_16_64 3
		.amdhsa_dx10_clamp 1
		.amdhsa_ieee_mode 1
		.amdhsa_fp16_overflow 0
		.amdhsa_exception_fp_ieee_invalid_op 0
		.amdhsa_exception_fp_denorm_src 0
		.amdhsa_exception_fp_ieee_div_zero 0
		.amdhsa_exception_fp_ieee_overflow 0
		.amdhsa_exception_fp_ieee_underflow 0
		.amdhsa_exception_fp_ieee_inexact 0
		.amdhsa_exception_int_div_zero 0
	.end_amdhsa_kernel
	.section	.text._ZN7rocprim17ROCPRIM_400000_NS6detail17trampoline_kernelINS0_14default_configENS1_22reduce_config_selectorIN6thrust23THRUST_200600_302600_NS5tupleIblNS6_9null_typeES8_S8_S8_S8_S8_S8_S8_EEEEZNS1_11reduce_implILb1ES3_NS6_12zip_iteratorINS7_INS6_11hip_rocprim26transform_input_iterator_tIbPfNS6_6detail10functional5actorINSH_9compositeIJNSH_27transparent_binary_operatorINS6_8equal_toIvEEEENSI_INSH_8argumentILj0EEEEENSH_5valueIfEEEEEEEEENSD_19counting_iterator_tIlEES8_S8_S8_S8_S8_S8_S8_S8_EEEEPS9_S9_NSD_9__find_if7functorIS9_EEEE10hipError_tPvRmT1_T2_T3_mT4_P12ihipStream_tbEUlT_E1_NS1_11comp_targetILNS1_3genE3ELNS1_11target_archE908ELNS1_3gpuE7ELNS1_3repE0EEENS1_30default_config_static_selectorELNS0_4arch9wavefront6targetE1EEEvS17_,"axG",@progbits,_ZN7rocprim17ROCPRIM_400000_NS6detail17trampoline_kernelINS0_14default_configENS1_22reduce_config_selectorIN6thrust23THRUST_200600_302600_NS5tupleIblNS6_9null_typeES8_S8_S8_S8_S8_S8_S8_EEEEZNS1_11reduce_implILb1ES3_NS6_12zip_iteratorINS7_INS6_11hip_rocprim26transform_input_iterator_tIbPfNS6_6detail10functional5actorINSH_9compositeIJNSH_27transparent_binary_operatorINS6_8equal_toIvEEEENSI_INSH_8argumentILj0EEEEENSH_5valueIfEEEEEEEEENSD_19counting_iterator_tIlEES8_S8_S8_S8_S8_S8_S8_S8_EEEEPS9_S9_NSD_9__find_if7functorIS9_EEEE10hipError_tPvRmT1_T2_T3_mT4_P12ihipStream_tbEUlT_E1_NS1_11comp_targetILNS1_3genE3ELNS1_11target_archE908ELNS1_3gpuE7ELNS1_3repE0EEENS1_30default_config_static_selectorELNS0_4arch9wavefront6targetE1EEEvS17_,comdat
.Lfunc_end1954:
	.size	_ZN7rocprim17ROCPRIM_400000_NS6detail17trampoline_kernelINS0_14default_configENS1_22reduce_config_selectorIN6thrust23THRUST_200600_302600_NS5tupleIblNS6_9null_typeES8_S8_S8_S8_S8_S8_S8_EEEEZNS1_11reduce_implILb1ES3_NS6_12zip_iteratorINS7_INS6_11hip_rocprim26transform_input_iterator_tIbPfNS6_6detail10functional5actorINSH_9compositeIJNSH_27transparent_binary_operatorINS6_8equal_toIvEEEENSI_INSH_8argumentILj0EEEEENSH_5valueIfEEEEEEEEENSD_19counting_iterator_tIlEES8_S8_S8_S8_S8_S8_S8_S8_EEEEPS9_S9_NSD_9__find_if7functorIS9_EEEE10hipError_tPvRmT1_T2_T3_mT4_P12ihipStream_tbEUlT_E1_NS1_11comp_targetILNS1_3genE3ELNS1_11target_archE908ELNS1_3gpuE7ELNS1_3repE0EEENS1_30default_config_static_selectorELNS0_4arch9wavefront6targetE1EEEvS17_, .Lfunc_end1954-_ZN7rocprim17ROCPRIM_400000_NS6detail17trampoline_kernelINS0_14default_configENS1_22reduce_config_selectorIN6thrust23THRUST_200600_302600_NS5tupleIblNS6_9null_typeES8_S8_S8_S8_S8_S8_S8_EEEEZNS1_11reduce_implILb1ES3_NS6_12zip_iteratorINS7_INS6_11hip_rocprim26transform_input_iterator_tIbPfNS6_6detail10functional5actorINSH_9compositeIJNSH_27transparent_binary_operatorINS6_8equal_toIvEEEENSI_INSH_8argumentILj0EEEEENSH_5valueIfEEEEEEEEENSD_19counting_iterator_tIlEES8_S8_S8_S8_S8_S8_S8_S8_EEEEPS9_S9_NSD_9__find_if7functorIS9_EEEE10hipError_tPvRmT1_T2_T3_mT4_P12ihipStream_tbEUlT_E1_NS1_11comp_targetILNS1_3genE3ELNS1_11target_archE908ELNS1_3gpuE7ELNS1_3repE0EEENS1_30default_config_static_selectorELNS0_4arch9wavefront6targetE1EEEvS17_
                                        ; -- End function
	.set _ZN7rocprim17ROCPRIM_400000_NS6detail17trampoline_kernelINS0_14default_configENS1_22reduce_config_selectorIN6thrust23THRUST_200600_302600_NS5tupleIblNS6_9null_typeES8_S8_S8_S8_S8_S8_S8_EEEEZNS1_11reduce_implILb1ES3_NS6_12zip_iteratorINS7_INS6_11hip_rocprim26transform_input_iterator_tIbPfNS6_6detail10functional5actorINSH_9compositeIJNSH_27transparent_binary_operatorINS6_8equal_toIvEEEENSI_INSH_8argumentILj0EEEEENSH_5valueIfEEEEEEEEENSD_19counting_iterator_tIlEES8_S8_S8_S8_S8_S8_S8_S8_EEEEPS9_S9_NSD_9__find_if7functorIS9_EEEE10hipError_tPvRmT1_T2_T3_mT4_P12ihipStream_tbEUlT_E1_NS1_11comp_targetILNS1_3genE3ELNS1_11target_archE908ELNS1_3gpuE7ELNS1_3repE0EEENS1_30default_config_static_selectorELNS0_4arch9wavefront6targetE1EEEvS17_.num_vgpr, 0
	.set _ZN7rocprim17ROCPRIM_400000_NS6detail17trampoline_kernelINS0_14default_configENS1_22reduce_config_selectorIN6thrust23THRUST_200600_302600_NS5tupleIblNS6_9null_typeES8_S8_S8_S8_S8_S8_S8_EEEEZNS1_11reduce_implILb1ES3_NS6_12zip_iteratorINS7_INS6_11hip_rocprim26transform_input_iterator_tIbPfNS6_6detail10functional5actorINSH_9compositeIJNSH_27transparent_binary_operatorINS6_8equal_toIvEEEENSI_INSH_8argumentILj0EEEEENSH_5valueIfEEEEEEEEENSD_19counting_iterator_tIlEES8_S8_S8_S8_S8_S8_S8_S8_EEEEPS9_S9_NSD_9__find_if7functorIS9_EEEE10hipError_tPvRmT1_T2_T3_mT4_P12ihipStream_tbEUlT_E1_NS1_11comp_targetILNS1_3genE3ELNS1_11target_archE908ELNS1_3gpuE7ELNS1_3repE0EEENS1_30default_config_static_selectorELNS0_4arch9wavefront6targetE1EEEvS17_.num_agpr, 0
	.set _ZN7rocprim17ROCPRIM_400000_NS6detail17trampoline_kernelINS0_14default_configENS1_22reduce_config_selectorIN6thrust23THRUST_200600_302600_NS5tupleIblNS6_9null_typeES8_S8_S8_S8_S8_S8_S8_EEEEZNS1_11reduce_implILb1ES3_NS6_12zip_iteratorINS7_INS6_11hip_rocprim26transform_input_iterator_tIbPfNS6_6detail10functional5actorINSH_9compositeIJNSH_27transparent_binary_operatorINS6_8equal_toIvEEEENSI_INSH_8argumentILj0EEEEENSH_5valueIfEEEEEEEEENSD_19counting_iterator_tIlEES8_S8_S8_S8_S8_S8_S8_S8_EEEEPS9_S9_NSD_9__find_if7functorIS9_EEEE10hipError_tPvRmT1_T2_T3_mT4_P12ihipStream_tbEUlT_E1_NS1_11comp_targetILNS1_3genE3ELNS1_11target_archE908ELNS1_3gpuE7ELNS1_3repE0EEENS1_30default_config_static_selectorELNS0_4arch9wavefront6targetE1EEEvS17_.numbered_sgpr, 0
	.set _ZN7rocprim17ROCPRIM_400000_NS6detail17trampoline_kernelINS0_14default_configENS1_22reduce_config_selectorIN6thrust23THRUST_200600_302600_NS5tupleIblNS6_9null_typeES8_S8_S8_S8_S8_S8_S8_EEEEZNS1_11reduce_implILb1ES3_NS6_12zip_iteratorINS7_INS6_11hip_rocprim26transform_input_iterator_tIbPfNS6_6detail10functional5actorINSH_9compositeIJNSH_27transparent_binary_operatorINS6_8equal_toIvEEEENSI_INSH_8argumentILj0EEEEENSH_5valueIfEEEEEEEEENSD_19counting_iterator_tIlEES8_S8_S8_S8_S8_S8_S8_S8_EEEEPS9_S9_NSD_9__find_if7functorIS9_EEEE10hipError_tPvRmT1_T2_T3_mT4_P12ihipStream_tbEUlT_E1_NS1_11comp_targetILNS1_3genE3ELNS1_11target_archE908ELNS1_3gpuE7ELNS1_3repE0EEENS1_30default_config_static_selectorELNS0_4arch9wavefront6targetE1EEEvS17_.num_named_barrier, 0
	.set _ZN7rocprim17ROCPRIM_400000_NS6detail17trampoline_kernelINS0_14default_configENS1_22reduce_config_selectorIN6thrust23THRUST_200600_302600_NS5tupleIblNS6_9null_typeES8_S8_S8_S8_S8_S8_S8_EEEEZNS1_11reduce_implILb1ES3_NS6_12zip_iteratorINS7_INS6_11hip_rocprim26transform_input_iterator_tIbPfNS6_6detail10functional5actorINSH_9compositeIJNSH_27transparent_binary_operatorINS6_8equal_toIvEEEENSI_INSH_8argumentILj0EEEEENSH_5valueIfEEEEEEEEENSD_19counting_iterator_tIlEES8_S8_S8_S8_S8_S8_S8_S8_EEEEPS9_S9_NSD_9__find_if7functorIS9_EEEE10hipError_tPvRmT1_T2_T3_mT4_P12ihipStream_tbEUlT_E1_NS1_11comp_targetILNS1_3genE3ELNS1_11target_archE908ELNS1_3gpuE7ELNS1_3repE0EEENS1_30default_config_static_selectorELNS0_4arch9wavefront6targetE1EEEvS17_.private_seg_size, 0
	.set _ZN7rocprim17ROCPRIM_400000_NS6detail17trampoline_kernelINS0_14default_configENS1_22reduce_config_selectorIN6thrust23THRUST_200600_302600_NS5tupleIblNS6_9null_typeES8_S8_S8_S8_S8_S8_S8_EEEEZNS1_11reduce_implILb1ES3_NS6_12zip_iteratorINS7_INS6_11hip_rocprim26transform_input_iterator_tIbPfNS6_6detail10functional5actorINSH_9compositeIJNSH_27transparent_binary_operatorINS6_8equal_toIvEEEENSI_INSH_8argumentILj0EEEEENSH_5valueIfEEEEEEEEENSD_19counting_iterator_tIlEES8_S8_S8_S8_S8_S8_S8_S8_EEEEPS9_S9_NSD_9__find_if7functorIS9_EEEE10hipError_tPvRmT1_T2_T3_mT4_P12ihipStream_tbEUlT_E1_NS1_11comp_targetILNS1_3genE3ELNS1_11target_archE908ELNS1_3gpuE7ELNS1_3repE0EEENS1_30default_config_static_selectorELNS0_4arch9wavefront6targetE1EEEvS17_.uses_vcc, 0
	.set _ZN7rocprim17ROCPRIM_400000_NS6detail17trampoline_kernelINS0_14default_configENS1_22reduce_config_selectorIN6thrust23THRUST_200600_302600_NS5tupleIblNS6_9null_typeES8_S8_S8_S8_S8_S8_S8_EEEEZNS1_11reduce_implILb1ES3_NS6_12zip_iteratorINS7_INS6_11hip_rocprim26transform_input_iterator_tIbPfNS6_6detail10functional5actorINSH_9compositeIJNSH_27transparent_binary_operatorINS6_8equal_toIvEEEENSI_INSH_8argumentILj0EEEEENSH_5valueIfEEEEEEEEENSD_19counting_iterator_tIlEES8_S8_S8_S8_S8_S8_S8_S8_EEEEPS9_S9_NSD_9__find_if7functorIS9_EEEE10hipError_tPvRmT1_T2_T3_mT4_P12ihipStream_tbEUlT_E1_NS1_11comp_targetILNS1_3genE3ELNS1_11target_archE908ELNS1_3gpuE7ELNS1_3repE0EEENS1_30default_config_static_selectorELNS0_4arch9wavefront6targetE1EEEvS17_.uses_flat_scratch, 0
	.set _ZN7rocprim17ROCPRIM_400000_NS6detail17trampoline_kernelINS0_14default_configENS1_22reduce_config_selectorIN6thrust23THRUST_200600_302600_NS5tupleIblNS6_9null_typeES8_S8_S8_S8_S8_S8_S8_EEEEZNS1_11reduce_implILb1ES3_NS6_12zip_iteratorINS7_INS6_11hip_rocprim26transform_input_iterator_tIbPfNS6_6detail10functional5actorINSH_9compositeIJNSH_27transparent_binary_operatorINS6_8equal_toIvEEEENSI_INSH_8argumentILj0EEEEENSH_5valueIfEEEEEEEEENSD_19counting_iterator_tIlEES8_S8_S8_S8_S8_S8_S8_S8_EEEEPS9_S9_NSD_9__find_if7functorIS9_EEEE10hipError_tPvRmT1_T2_T3_mT4_P12ihipStream_tbEUlT_E1_NS1_11comp_targetILNS1_3genE3ELNS1_11target_archE908ELNS1_3gpuE7ELNS1_3repE0EEENS1_30default_config_static_selectorELNS0_4arch9wavefront6targetE1EEEvS17_.has_dyn_sized_stack, 0
	.set _ZN7rocprim17ROCPRIM_400000_NS6detail17trampoline_kernelINS0_14default_configENS1_22reduce_config_selectorIN6thrust23THRUST_200600_302600_NS5tupleIblNS6_9null_typeES8_S8_S8_S8_S8_S8_S8_EEEEZNS1_11reduce_implILb1ES3_NS6_12zip_iteratorINS7_INS6_11hip_rocprim26transform_input_iterator_tIbPfNS6_6detail10functional5actorINSH_9compositeIJNSH_27transparent_binary_operatorINS6_8equal_toIvEEEENSI_INSH_8argumentILj0EEEEENSH_5valueIfEEEEEEEEENSD_19counting_iterator_tIlEES8_S8_S8_S8_S8_S8_S8_S8_EEEEPS9_S9_NSD_9__find_if7functorIS9_EEEE10hipError_tPvRmT1_T2_T3_mT4_P12ihipStream_tbEUlT_E1_NS1_11comp_targetILNS1_3genE3ELNS1_11target_archE908ELNS1_3gpuE7ELNS1_3repE0EEENS1_30default_config_static_selectorELNS0_4arch9wavefront6targetE1EEEvS17_.has_recursion, 0
	.set _ZN7rocprim17ROCPRIM_400000_NS6detail17trampoline_kernelINS0_14default_configENS1_22reduce_config_selectorIN6thrust23THRUST_200600_302600_NS5tupleIblNS6_9null_typeES8_S8_S8_S8_S8_S8_S8_EEEEZNS1_11reduce_implILb1ES3_NS6_12zip_iteratorINS7_INS6_11hip_rocprim26transform_input_iterator_tIbPfNS6_6detail10functional5actorINSH_9compositeIJNSH_27transparent_binary_operatorINS6_8equal_toIvEEEENSI_INSH_8argumentILj0EEEEENSH_5valueIfEEEEEEEEENSD_19counting_iterator_tIlEES8_S8_S8_S8_S8_S8_S8_S8_EEEEPS9_S9_NSD_9__find_if7functorIS9_EEEE10hipError_tPvRmT1_T2_T3_mT4_P12ihipStream_tbEUlT_E1_NS1_11comp_targetILNS1_3genE3ELNS1_11target_archE908ELNS1_3gpuE7ELNS1_3repE0EEENS1_30default_config_static_selectorELNS0_4arch9wavefront6targetE1EEEvS17_.has_indirect_call, 0
	.section	.AMDGPU.csdata,"",@progbits
; Kernel info:
; codeLenInByte = 0
; TotalNumSgprs: 4
; NumVgprs: 0
; ScratchSize: 0
; MemoryBound: 0
; FloatMode: 240
; IeeeMode: 1
; LDSByteSize: 0 bytes/workgroup (compile time only)
; SGPRBlocks: 0
; VGPRBlocks: 0
; NumSGPRsForWavesPerEU: 4
; NumVGPRsForWavesPerEU: 1
; Occupancy: 10
; WaveLimiterHint : 0
; COMPUTE_PGM_RSRC2:SCRATCH_EN: 0
; COMPUTE_PGM_RSRC2:USER_SGPR: 6
; COMPUTE_PGM_RSRC2:TRAP_HANDLER: 0
; COMPUTE_PGM_RSRC2:TGID_X_EN: 1
; COMPUTE_PGM_RSRC2:TGID_Y_EN: 0
; COMPUTE_PGM_RSRC2:TGID_Z_EN: 0
; COMPUTE_PGM_RSRC2:TIDIG_COMP_CNT: 0
	.section	.text._ZN7rocprim17ROCPRIM_400000_NS6detail17trampoline_kernelINS0_14default_configENS1_22reduce_config_selectorIN6thrust23THRUST_200600_302600_NS5tupleIblNS6_9null_typeES8_S8_S8_S8_S8_S8_S8_EEEEZNS1_11reduce_implILb1ES3_NS6_12zip_iteratorINS7_INS6_11hip_rocprim26transform_input_iterator_tIbPfNS6_6detail10functional5actorINSH_9compositeIJNSH_27transparent_binary_operatorINS6_8equal_toIvEEEENSI_INSH_8argumentILj0EEEEENSH_5valueIfEEEEEEEEENSD_19counting_iterator_tIlEES8_S8_S8_S8_S8_S8_S8_S8_EEEEPS9_S9_NSD_9__find_if7functorIS9_EEEE10hipError_tPvRmT1_T2_T3_mT4_P12ihipStream_tbEUlT_E1_NS1_11comp_targetILNS1_3genE2ELNS1_11target_archE906ELNS1_3gpuE6ELNS1_3repE0EEENS1_30default_config_static_selectorELNS0_4arch9wavefront6targetE1EEEvS17_,"axG",@progbits,_ZN7rocprim17ROCPRIM_400000_NS6detail17trampoline_kernelINS0_14default_configENS1_22reduce_config_selectorIN6thrust23THRUST_200600_302600_NS5tupleIblNS6_9null_typeES8_S8_S8_S8_S8_S8_S8_EEEEZNS1_11reduce_implILb1ES3_NS6_12zip_iteratorINS7_INS6_11hip_rocprim26transform_input_iterator_tIbPfNS6_6detail10functional5actorINSH_9compositeIJNSH_27transparent_binary_operatorINS6_8equal_toIvEEEENSI_INSH_8argumentILj0EEEEENSH_5valueIfEEEEEEEEENSD_19counting_iterator_tIlEES8_S8_S8_S8_S8_S8_S8_S8_EEEEPS9_S9_NSD_9__find_if7functorIS9_EEEE10hipError_tPvRmT1_T2_T3_mT4_P12ihipStream_tbEUlT_E1_NS1_11comp_targetILNS1_3genE2ELNS1_11target_archE906ELNS1_3gpuE6ELNS1_3repE0EEENS1_30default_config_static_selectorELNS0_4arch9wavefront6targetE1EEEvS17_,comdat
	.protected	_ZN7rocprim17ROCPRIM_400000_NS6detail17trampoline_kernelINS0_14default_configENS1_22reduce_config_selectorIN6thrust23THRUST_200600_302600_NS5tupleIblNS6_9null_typeES8_S8_S8_S8_S8_S8_S8_EEEEZNS1_11reduce_implILb1ES3_NS6_12zip_iteratorINS7_INS6_11hip_rocprim26transform_input_iterator_tIbPfNS6_6detail10functional5actorINSH_9compositeIJNSH_27transparent_binary_operatorINS6_8equal_toIvEEEENSI_INSH_8argumentILj0EEEEENSH_5valueIfEEEEEEEEENSD_19counting_iterator_tIlEES8_S8_S8_S8_S8_S8_S8_S8_EEEEPS9_S9_NSD_9__find_if7functorIS9_EEEE10hipError_tPvRmT1_T2_T3_mT4_P12ihipStream_tbEUlT_E1_NS1_11comp_targetILNS1_3genE2ELNS1_11target_archE906ELNS1_3gpuE6ELNS1_3repE0EEENS1_30default_config_static_selectorELNS0_4arch9wavefront6targetE1EEEvS17_ ; -- Begin function _ZN7rocprim17ROCPRIM_400000_NS6detail17trampoline_kernelINS0_14default_configENS1_22reduce_config_selectorIN6thrust23THRUST_200600_302600_NS5tupleIblNS6_9null_typeES8_S8_S8_S8_S8_S8_S8_EEEEZNS1_11reduce_implILb1ES3_NS6_12zip_iteratorINS7_INS6_11hip_rocprim26transform_input_iterator_tIbPfNS6_6detail10functional5actorINSH_9compositeIJNSH_27transparent_binary_operatorINS6_8equal_toIvEEEENSI_INSH_8argumentILj0EEEEENSH_5valueIfEEEEEEEEENSD_19counting_iterator_tIlEES8_S8_S8_S8_S8_S8_S8_S8_EEEEPS9_S9_NSD_9__find_if7functorIS9_EEEE10hipError_tPvRmT1_T2_T3_mT4_P12ihipStream_tbEUlT_E1_NS1_11comp_targetILNS1_3genE2ELNS1_11target_archE906ELNS1_3gpuE6ELNS1_3repE0EEENS1_30default_config_static_selectorELNS0_4arch9wavefront6targetE1EEEvS17_
	.globl	_ZN7rocprim17ROCPRIM_400000_NS6detail17trampoline_kernelINS0_14default_configENS1_22reduce_config_selectorIN6thrust23THRUST_200600_302600_NS5tupleIblNS6_9null_typeES8_S8_S8_S8_S8_S8_S8_EEEEZNS1_11reduce_implILb1ES3_NS6_12zip_iteratorINS7_INS6_11hip_rocprim26transform_input_iterator_tIbPfNS6_6detail10functional5actorINSH_9compositeIJNSH_27transparent_binary_operatorINS6_8equal_toIvEEEENSI_INSH_8argumentILj0EEEEENSH_5valueIfEEEEEEEEENSD_19counting_iterator_tIlEES8_S8_S8_S8_S8_S8_S8_S8_EEEEPS9_S9_NSD_9__find_if7functorIS9_EEEE10hipError_tPvRmT1_T2_T3_mT4_P12ihipStream_tbEUlT_E1_NS1_11comp_targetILNS1_3genE2ELNS1_11target_archE906ELNS1_3gpuE6ELNS1_3repE0EEENS1_30default_config_static_selectorELNS0_4arch9wavefront6targetE1EEEvS17_
	.p2align	8
	.type	_ZN7rocprim17ROCPRIM_400000_NS6detail17trampoline_kernelINS0_14default_configENS1_22reduce_config_selectorIN6thrust23THRUST_200600_302600_NS5tupleIblNS6_9null_typeES8_S8_S8_S8_S8_S8_S8_EEEEZNS1_11reduce_implILb1ES3_NS6_12zip_iteratorINS7_INS6_11hip_rocprim26transform_input_iterator_tIbPfNS6_6detail10functional5actorINSH_9compositeIJNSH_27transparent_binary_operatorINS6_8equal_toIvEEEENSI_INSH_8argumentILj0EEEEENSH_5valueIfEEEEEEEEENSD_19counting_iterator_tIlEES8_S8_S8_S8_S8_S8_S8_S8_EEEEPS9_S9_NSD_9__find_if7functorIS9_EEEE10hipError_tPvRmT1_T2_T3_mT4_P12ihipStream_tbEUlT_E1_NS1_11comp_targetILNS1_3genE2ELNS1_11target_archE906ELNS1_3gpuE6ELNS1_3repE0EEENS1_30default_config_static_selectorELNS0_4arch9wavefront6targetE1EEEvS17_,@function
_ZN7rocprim17ROCPRIM_400000_NS6detail17trampoline_kernelINS0_14default_configENS1_22reduce_config_selectorIN6thrust23THRUST_200600_302600_NS5tupleIblNS6_9null_typeES8_S8_S8_S8_S8_S8_S8_EEEEZNS1_11reduce_implILb1ES3_NS6_12zip_iteratorINS7_INS6_11hip_rocprim26transform_input_iterator_tIbPfNS6_6detail10functional5actorINSH_9compositeIJNSH_27transparent_binary_operatorINS6_8equal_toIvEEEENSI_INSH_8argumentILj0EEEEENSH_5valueIfEEEEEEEEENSD_19counting_iterator_tIlEES8_S8_S8_S8_S8_S8_S8_S8_EEEEPS9_S9_NSD_9__find_if7functorIS9_EEEE10hipError_tPvRmT1_T2_T3_mT4_P12ihipStream_tbEUlT_E1_NS1_11comp_targetILNS1_3genE2ELNS1_11target_archE906ELNS1_3gpuE6ELNS1_3repE0EEENS1_30default_config_static_selectorELNS0_4arch9wavefront6targetE1EEEvS17_: ; @_ZN7rocprim17ROCPRIM_400000_NS6detail17trampoline_kernelINS0_14default_configENS1_22reduce_config_selectorIN6thrust23THRUST_200600_302600_NS5tupleIblNS6_9null_typeES8_S8_S8_S8_S8_S8_S8_EEEEZNS1_11reduce_implILb1ES3_NS6_12zip_iteratorINS7_INS6_11hip_rocprim26transform_input_iterator_tIbPfNS6_6detail10functional5actorINSH_9compositeIJNSH_27transparent_binary_operatorINS6_8equal_toIvEEEENSI_INSH_8argumentILj0EEEEENSH_5valueIfEEEEEEEEENSD_19counting_iterator_tIlEES8_S8_S8_S8_S8_S8_S8_S8_EEEEPS9_S9_NSD_9__find_if7functorIS9_EEEE10hipError_tPvRmT1_T2_T3_mT4_P12ihipStream_tbEUlT_E1_NS1_11comp_targetILNS1_3genE2ELNS1_11target_archE906ELNS1_3gpuE6ELNS1_3repE0EEENS1_30default_config_static_selectorELNS0_4arch9wavefront6targetE1EEEvS17_
; %bb.0:
	s_load_dword s35, s[4:5], 0x4
	s_load_dwordx2 s[24:25], s[4:5], 0x8
	s_load_dword s34, s[4:5], 0x14
	s_load_dwordx4 s[20:23], s[4:5], 0x18
	s_load_dword s33, s[4:5], 0x30
	s_load_dwordx2 s[18:19], s[4:5], 0x38
	s_waitcnt lgkmcnt(0)
	s_cmp_lt_i32 s35, 4
	s_cbranch_scc1 .LBB1955_13
; %bb.1:
	s_cmp_gt_i32 s35, 7
	s_cbranch_scc0 .LBB1955_14
; %bb.2:
	s_cmp_eq_u32 s35, 8
	s_mov_b64 s[26:27], 0
	s_cbranch_scc0 .LBB1955_15
; %bb.3:
	s_mov_b32 s7, 0
	s_lshl_b32 s30, s6, 10
	s_mov_b32 s31, s7
	s_lshr_b64 s[0:1], s[22:23], 10
	s_lshl_b64 s[2:3], s[30:31], 2
	s_add_u32 s28, s24, s2
	s_addc_u32 s29, s25, s3
	s_add_u32 s37, s20, s30
	s_addc_u32 s38, s21, 0
	s_cmp_lg_u64 s[0:1], s[6:7]
	s_cbranch_scc0 .LBB1955_28
; %bb.4:
	v_lshlrev_b32_e32 v1, 2, v0
	global_load_dword v2, v1, s[28:29] offset:1024
	global_load_dword v4, v1, s[28:29] offset:2048
	;; [unrolled: 1-line block ×7, first 2 shown]
	global_load_dword v10, v1, s[28:29]
	v_mov_b32_e32 v1, s38
	v_add_co_u32_e32 v18, vcc, s37, v0
	v_mov_b32_e32 v11, 0x100
	v_mov_b32_e32 v12, 0x80
	v_addc_co_u32_e32 v19, vcc, 0, v1, vcc
	v_mov_b32_e32 v13, 0x200
	v_mov_b32_e32 v14, 0x180
	;; [unrolled: 1-line block ×5, first 2 shown]
	v_mbcnt_lo_u32_b32 v3, -1, 0
	v_mbcnt_hi_u32_b32 v3, -1, v3
	s_waitcnt vmcnt(7)
	v_cmp_eq_f32_e32 vcc, s34, v2
	s_waitcnt vmcnt(6)
	v_cmp_eq_f32_e64 s[0:1], s34, v4
	s_waitcnt vmcnt(5)
	v_cmp_eq_f32_e64 s[2:3], s34, v5
	;; [unrolled: 2-line block ×4, first 2 shown]
	v_cndmask_b32_e64 v1, v11, v12, s[10:11]
	s_waitcnt vmcnt(2)
	v_cmp_eq_f32_e64 s[12:13], s34, v8
	s_waitcnt vmcnt(0)
	v_cmp_eq_f32_e64 s[16:17], s34, v10
	s_or_b64 s[10:11], s[16:17], s[10:11]
	s_or_b64 vcc, s[10:11], vcc
	v_cndmask_b32_e64 v2, v13, v14, s[12:13]
	v_cndmask_b32_e64 v1, v1, 0, s[16:17]
	s_or_b64 s[10:11], vcc, s[12:13]
	v_cmp_eq_f32_e64 s[14:15], s34, v9
	v_cndmask_b32_e32 v1, v2, v1, vcc
	s_or_b64 vcc, s[10:11], s[0:1]
	v_cndmask_b32_e64 v4, v15, v16, s[14:15]
	s_or_b64 s[0:1], vcc, s[14:15]
	v_cndmask_b32_e32 v1, v4, v1, vcc
	s_or_b64 vcc, s[0:1], s[2:3]
	v_cndmask_b32_e32 v1, v17, v1, vcc
	v_add_co_u32_e64 v1, s[0:1], v18, v1
	v_addc_co_u32_e64 v2, s[0:1], 0, v19, s[0:1]
	s_or_b64 s[0:1], vcc, s[8:9]
	v_mov_b32_dpp v4, v1 quad_perm:[1,0,3,2] row_mask:0xf bank_mask:0xf bound_ctrl:1
	v_mov_b32_dpp v5, v2 quad_perm:[1,0,3,2] row_mask:0xf bank_mask:0xf bound_ctrl:1
	v_cndmask_b32_e64 v6, 0, 1, s[0:1]
	v_cmp_lt_i64_e32 vcc, v[1:2], v[4:5]
	s_and_b64 vcc, s[0:1], vcc
	v_mov_b32_dpp v7, v6 quad_perm:[1,0,3,2] row_mask:0xf bank_mask:0xf bound_ctrl:1
	v_and_b32_e32 v7, 1, v7
	v_cndmask_b32_e32 v4, v4, v1, vcc
	v_cndmask_b32_e32 v5, v5, v2, vcc
	v_cmp_eq_u32_e32 vcc, 1, v7
	v_cndmask_b32_e32 v2, v2, v5, vcc
	v_cndmask_b32_e32 v1, v1, v4, vcc
	v_cndmask_b32_e64 v6, v6, 1, vcc
	v_mov_b32_dpp v5, v2 quad_perm:[2,3,0,1] row_mask:0xf bank_mask:0xf bound_ctrl:1
	v_mov_b32_dpp v4, v1 quad_perm:[2,3,0,1] row_mask:0xf bank_mask:0xf bound_ctrl:1
	v_and_b32_e32 v8, 1, v6
	v_cmp_lt_i64_e64 s[0:1], v[1:2], v[4:5]
	v_mov_b32_dpp v7, v6 quad_perm:[2,3,0,1] row_mask:0xf bank_mask:0xf bound_ctrl:1
	v_cmp_eq_u32_e32 vcc, 1, v8
	v_and_b32_e32 v7, 1, v7
	s_and_b64 vcc, vcc, s[0:1]
	v_cmp_eq_u32_e64 s[2:3], 1, v7
	v_cndmask_b32_e32 v4, v4, v1, vcc
	v_cndmask_b32_e32 v5, v5, v2, vcc
	v_cndmask_b32_e64 v1, v1, v4, s[2:3]
	v_cndmask_b32_e64 v2, v2, v5, s[2:3]
	;; [unrolled: 1-line block ×3, first 2 shown]
	v_mov_b32_dpp v4, v1 row_ror:4 row_mask:0xf bank_mask:0xf bound_ctrl:1
	v_mov_b32_dpp v5, v2 row_ror:4 row_mask:0xf bank_mask:0xf bound_ctrl:1
	v_and_b32_e32 v8, 1, v6
	v_cmp_lt_i64_e64 s[2:3], v[1:2], v[4:5]
	v_mov_b32_dpp v7, v6 row_ror:4 row_mask:0xf bank_mask:0xf bound_ctrl:1
	v_cmp_eq_u32_e32 vcc, 1, v8
	v_and_b32_e32 v7, 1, v7
	s_and_b64 vcc, vcc, s[2:3]
	v_cmp_eq_u32_e64 s[0:1], 1, v7
	v_cndmask_b32_e32 v4, v4, v1, vcc
	v_cndmask_b32_e32 v5, v5, v2, vcc
	v_cndmask_b32_e64 v1, v1, v4, s[0:1]
	v_cndmask_b32_e64 v2, v2, v5, s[0:1]
	;; [unrolled: 1-line block ×3, first 2 shown]
	v_mov_b32_dpp v4, v1 row_ror:8 row_mask:0xf bank_mask:0xf bound_ctrl:1
	v_mov_b32_dpp v5, v2 row_ror:8 row_mask:0xf bank_mask:0xf bound_ctrl:1
	v_and_b32_e32 v8, 1, v6
	v_cmp_lt_i64_e64 s[0:1], v[1:2], v[4:5]
	v_mov_b32_dpp v7, v6 row_ror:8 row_mask:0xf bank_mask:0xf bound_ctrl:1
	v_cmp_eq_u32_e64 s[8:9], 1, v8
	v_and_b32_e32 v7, 1, v7
	s_and_b64 s[0:1], s[8:9], s[0:1]
	v_cmp_eq_u32_e64 s[10:11], 1, v7
	v_cndmask_b32_e64 v4, v4, v1, s[0:1]
	v_cndmask_b32_e64 v5, v5, v2, s[0:1]
	;; [unrolled: 1-line block ×5, first 2 shown]
	v_mov_b32_dpp v4, v1 row_bcast:15 row_mask:0xf bank_mask:0xf bound_ctrl:1
	v_mov_b32_dpp v5, v2 row_bcast:15 row_mask:0xf bank_mask:0xf bound_ctrl:1
	v_and_b32_e32 v8, 1, v6
	v_cmp_lt_i64_e64 s[0:1], v[1:2], v[4:5]
	v_mov_b32_dpp v7, v6 row_bcast:15 row_mask:0xf bank_mask:0xf bound_ctrl:1
	v_cmp_eq_u32_e32 vcc, 1, v8
	v_and_b32_e32 v7, 1, v7
	s_and_b64 vcc, vcc, s[0:1]
	v_cmp_eq_u32_e64 s[2:3], 1, v7
	v_cndmask_b32_e32 v4, v4, v1, vcc
	v_cndmask_b32_e32 v5, v5, v2, vcc
	v_cndmask_b32_e64 v1, v1, v4, s[2:3]
	v_cndmask_b32_e64 v2, v2, v5, s[2:3]
	;; [unrolled: 1-line block ×3, first 2 shown]
	v_mov_b32_dpp v4, v1 row_bcast:31 row_mask:0xf bank_mask:0xf bound_ctrl:1
	v_mov_b32_dpp v5, v2 row_bcast:31 row_mask:0xf bank_mask:0xf bound_ctrl:1
	v_and_b32_e32 v8, 1, v6
	v_cmp_lt_i64_e64 s[0:1], v[1:2], v[4:5]
	v_mov_b32_dpp v7, v6 row_bcast:31 row_mask:0xf bank_mask:0xf bound_ctrl:1
	v_cmp_eq_u32_e32 vcc, 1, v8
	v_and_b32_e32 v7, 1, v7
	s_and_b64 vcc, vcc, s[0:1]
	v_cmp_eq_u32_e64 s[2:3], 1, v7
	v_cndmask_b32_e32 v5, v5, v2, vcc
	v_cndmask_b32_e32 v4, v4, v1, vcc
	v_cndmask_b32_e64 v2, v2, v5, s[2:3]
	v_lshlrev_b32_e32 v5, 2, v3
	v_cndmask_b32_e64 v6, v6, 1, s[2:3]
	v_cndmask_b32_e64 v1, v1, v4, s[2:3]
	v_or_b32_e32 v4, 0xfc, v5
	ds_bpermute_b32 v17, v4, v6
	ds_bpermute_b32 v1, v4, v1
	;; [unrolled: 1-line block ×3, first 2 shown]
	v_cmp_eq_u32_e32 vcc, 0, v3
	s_and_saveexec_b64 s[0:1], vcc
	s_cbranch_execz .LBB1955_6
; %bb.5:
	v_lshrrev_b32_e32 v4, 2, v0
	v_and_b32_e32 v4, 16, v4
	s_waitcnt lgkmcnt(2)
	ds_write_b8 v4, v17 offset:96
	s_waitcnt lgkmcnt(1)
	ds_write_b64 v4, v[1:2] offset:104
.LBB1955_6:
	s_or_b64 exec, exec, s[0:1]
	v_cmp_gt_u32_e32 vcc, 64, v0
	s_waitcnt lgkmcnt(0)
	s_barrier
	s_and_saveexec_b64 s[0:1], vcc
	s_cbranch_execz .LBB1955_12
; %bb.7:
	v_and_b32_e32 v1, 1, v3
	v_lshlrev_b32_e32 v1, 4, v1
	ds_read_u8 v7, v1 offset:96
	ds_read_b64 v[3:4], v1 offset:104
	v_or_b32_e32 v2, 4, v5
	s_waitcnt lgkmcnt(1)
	v_and_b32_e32 v1, 0xff, v7
	ds_bpermute_b32 v8, v2, v1
	s_waitcnt lgkmcnt(1)
	ds_bpermute_b32 v5, v2, v3
	ds_bpermute_b32 v6, v2, v4
	s_waitcnt lgkmcnt(2)
	v_and_b32_e32 v1, v7, v8
	v_and_b32_e32 v1, 1, v1
	v_cmp_eq_u32_e32 vcc, 1, v1
                                        ; implicit-def: $vgpr1_vgpr2
	s_and_saveexec_b64 s[2:3], vcc
	s_xor_b64 s[2:3], exec, s[2:3]
	s_cbranch_execz .LBB1955_9
; %bb.8:
	s_waitcnt lgkmcnt(0)
	v_cmp_lt_i64_e32 vcc, v[5:6], v[3:4]
                                        ; implicit-def: $vgpr7
                                        ; implicit-def: $vgpr8
	v_cndmask_b32_e32 v2, v4, v6, vcc
	v_cndmask_b32_e32 v1, v3, v5, vcc
                                        ; implicit-def: $vgpr5_vgpr6
                                        ; implicit-def: $vgpr3_vgpr4
.LBB1955_9:
	s_or_saveexec_b64 s[2:3], s[2:3]
	v_mov_b32_e32 v17, 1
	s_xor_b64 exec, exec, s[2:3]
	s_cbranch_execz .LBB1955_11
; %bb.10:
	v_and_b32_e32 v1, 1, v7
	v_cmp_eq_u32_e32 vcc, 1, v1
	s_waitcnt lgkmcnt(0)
	v_cndmask_b32_e32 v2, v6, v4, vcc
	v_cndmask_b32_e32 v1, v5, v3, vcc
	v_cndmask_b32_e64 v17, v8, 1, vcc
.LBB1955_11:
	s_or_b64 exec, exec, s[2:3]
.LBB1955_12:
	s_or_b64 exec, exec, s[0:1]
	s_branch .LBB1955_145
.LBB1955_13:
	s_mov_b64 s[14:15], 0
                                        ; implicit-def: $vgpr3_vgpr4
                                        ; implicit-def: $vgpr5
                                        ; implicit-def: $vgpr1_vgpr2
	s_cbranch_execnz .LBB1955_219
	s_branch .LBB1955_306
.LBB1955_14:
	s_mov_b64 s[26:27], -1
.LBB1955_15:
	s_mov_b64 s[14:15], 0
                                        ; implicit-def: $vgpr3_vgpr4
                                        ; implicit-def: $vgpr5
                                        ; implicit-def: $vgpr1_vgpr2
	s_and_b64 vcc, exec, s[26:27]
	s_cbranch_vccz .LBB1955_150
.LBB1955_16:
	s_cmp_eq_u32 s35, 4
	s_cbranch_scc0 .LBB1955_27
; %bb.17:
	s_mov_b32 s7, 0
	s_lshl_b32 s26, s6, 9
	s_mov_b32 s27, s7
	s_lshr_b64 s[0:1], s[22:23], 9
	s_lshl_b64 s[2:3], s[26:27], 2
	s_add_u32 s16, s24, s2
	s_addc_u32 s17, s25, s3
	s_add_u32 s27, s20, s26
	s_addc_u32 s28, s21, 0
	s_cmp_lg_u64 s[0:1], s[6:7]
	s_cbranch_scc0 .LBB1955_51
; %bb.18:
	v_lshlrev_b32_e32 v1, 2, v0
	global_load_dword v2, v1, s[16:17] offset:1024
	s_waitcnt lgkmcnt(0)
	global_load_dword v4, v1, s[16:17] offset:1536
	global_load_dword v6, v1, s[16:17] offset:512
	global_load_dword v7, v1, s[16:17]
	v_mov_b32_e32 v1, s28
	v_add_co_u32_e32 v11, vcc, s27, v0
	v_mov_b32_e32 v8, 0x100
	v_mov_b32_e32 v9, 0x80
	v_addc_co_u32_e32 v12, vcc, 0, v1, vcc
	v_mov_b32_e32 v10, 0x180
	v_mbcnt_lo_u32_b32 v3, -1, 0
	v_mbcnt_hi_u32_b32 v3, -1, v3
	v_lshlrev_b32_e32 v5, 2, v3
	v_or_b32_e32 v13, 0xfc, v5
	s_waitcnt vmcnt(3)
	v_cmp_eq_f32_e32 vcc, s34, v2
	s_waitcnt vmcnt(2)
	v_cmp_eq_f32_e64 s[0:1], s34, v4
	s_waitcnt vmcnt(1)
	v_cmp_eq_f32_e64 s[2:3], s34, v6
	;; [unrolled: 2-line block ×3, first 2 shown]
	v_cndmask_b32_e64 v1, v8, v9, s[2:3]
	s_or_b64 s[2:3], s[8:9], s[2:3]
	v_cndmask_b32_e64 v1, v1, 0, s[8:9]
	s_or_b64 vcc, s[2:3], vcc
	v_cndmask_b32_e32 v1, v10, v1, vcc
	v_add_co_u32_e64 v1, s[2:3], v11, v1
	v_addc_co_u32_e64 v2, s[2:3], 0, v12, s[2:3]
	s_or_b64 s[0:1], vcc, s[0:1]
	v_mov_b32_dpp v6, v1 quad_perm:[1,0,3,2] row_mask:0xf bank_mask:0xf bound_ctrl:1
	v_mov_b32_dpp v7, v2 quad_perm:[1,0,3,2] row_mask:0xf bank_mask:0xf bound_ctrl:1
	v_cndmask_b32_e64 v4, 0, 1, s[0:1]
	v_cmp_lt_i64_e32 vcc, v[1:2], v[6:7]
	s_and_b64 vcc, s[0:1], vcc
	v_mov_b32_dpp v8, v4 quad_perm:[1,0,3,2] row_mask:0xf bank_mask:0xf bound_ctrl:1
	v_and_b32_e32 v8, 1, v8
	v_cndmask_b32_e32 v6, v6, v1, vcc
	v_cndmask_b32_e32 v7, v7, v2, vcc
	v_cmp_eq_u32_e32 vcc, 1, v8
	v_cndmask_b32_e32 v2, v2, v7, vcc
	v_cndmask_b32_e32 v1, v1, v6, vcc
	v_cndmask_b32_e64 v4, v4, 1, vcc
	v_mov_b32_dpp v7, v2 quad_perm:[2,3,0,1] row_mask:0xf bank_mask:0xf bound_ctrl:1
	v_mov_b32_dpp v6, v1 quad_perm:[2,3,0,1] row_mask:0xf bank_mask:0xf bound_ctrl:1
	v_and_b32_e32 v9, 1, v4
	v_cmp_lt_i64_e64 s[0:1], v[1:2], v[6:7]
	v_mov_b32_dpp v8, v4 quad_perm:[2,3,0,1] row_mask:0xf bank_mask:0xf bound_ctrl:1
	v_cmp_eq_u32_e32 vcc, 1, v9
	v_and_b32_e32 v8, 1, v8
	s_and_b64 vcc, vcc, s[0:1]
	v_cmp_eq_u32_e64 s[2:3], 1, v8
	v_cndmask_b32_e32 v6, v6, v1, vcc
	v_cndmask_b32_e32 v7, v7, v2, vcc
	v_cndmask_b32_e64 v1, v1, v6, s[2:3]
	v_cndmask_b32_e64 v2, v2, v7, s[2:3]
	v_cndmask_b32_e64 v4, v4, 1, s[2:3]
	v_mov_b32_dpp v6, v1 row_ror:4 row_mask:0xf bank_mask:0xf bound_ctrl:1
	v_mov_b32_dpp v7, v2 row_ror:4 row_mask:0xf bank_mask:0xf bound_ctrl:1
	v_and_b32_e32 v9, 1, v4
	v_cmp_lt_i64_e64 s[2:3], v[1:2], v[6:7]
	v_mov_b32_dpp v8, v4 row_ror:4 row_mask:0xf bank_mask:0xf bound_ctrl:1
	v_cmp_eq_u32_e32 vcc, 1, v9
	v_and_b32_e32 v8, 1, v8
	s_and_b64 vcc, vcc, s[2:3]
	v_cmp_eq_u32_e64 s[0:1], 1, v8
	v_cndmask_b32_e32 v6, v6, v1, vcc
	v_cndmask_b32_e32 v7, v7, v2, vcc
	v_cndmask_b32_e64 v1, v1, v6, s[0:1]
	v_cndmask_b32_e64 v2, v2, v7, s[0:1]
	;; [unrolled: 1-line block ×3, first 2 shown]
	v_mov_b32_dpp v6, v1 row_ror:8 row_mask:0xf bank_mask:0xf bound_ctrl:1
	v_mov_b32_dpp v7, v2 row_ror:8 row_mask:0xf bank_mask:0xf bound_ctrl:1
	v_and_b32_e32 v9, 1, v4
	v_cmp_lt_i64_e64 s[2:3], v[1:2], v[6:7]
	v_mov_b32_dpp v8, v4 row_ror:8 row_mask:0xf bank_mask:0xf bound_ctrl:1
	v_cmp_eq_u32_e64 s[8:9], 1, v9
	v_and_b32_e32 v8, 1, v8
	s_and_b64 s[2:3], s[8:9], s[2:3]
	v_cmp_eq_u32_e64 s[10:11], 1, v8
	v_cndmask_b32_e64 v6, v6, v1, s[2:3]
	v_cndmask_b32_e64 v7, v7, v2, s[2:3]
	;; [unrolled: 1-line block ×5, first 2 shown]
	v_mov_b32_dpp v6, v1 row_bcast:15 row_mask:0xf bank_mask:0xf bound_ctrl:1
	v_mov_b32_dpp v7, v2 row_bcast:15 row_mask:0xf bank_mask:0xf bound_ctrl:1
	v_and_b32_e32 v9, 1, v4
	v_cmp_lt_i64_e64 s[2:3], v[1:2], v[6:7]
	v_mov_b32_dpp v8, v4 row_bcast:15 row_mask:0xf bank_mask:0xf bound_ctrl:1
	v_cmp_eq_u32_e32 vcc, 1, v9
	v_and_b32_e32 v8, 1, v8
	s_and_b64 vcc, vcc, s[2:3]
	v_cmp_eq_u32_e64 s[0:1], 1, v8
	v_cndmask_b32_e32 v6, v6, v1, vcc
	v_cndmask_b32_e32 v7, v7, v2, vcc
	v_cndmask_b32_e64 v4, v4, 1, s[0:1]
	v_cndmask_b32_e64 v1, v1, v6, s[0:1]
	;; [unrolled: 1-line block ×3, first 2 shown]
	v_mov_b32_dpp v8, v4 row_bcast:31 row_mask:0xf bank_mask:0xf bound_ctrl:1
	v_mov_b32_dpp v6, v1 row_bcast:31 row_mask:0xf bank_mask:0xf bound_ctrl:1
	;; [unrolled: 1-line block ×3, first 2 shown]
	v_and_b32_e32 v9, 1, v4
	v_and_b32_e32 v8, 1, v8
	v_cmp_lt_i64_e32 vcc, v[1:2], v[6:7]
	v_cmp_eq_u32_e64 s[12:13], 1, v9
	v_cmp_eq_u32_e64 s[8:9], 1, v8
	v_cndmask_b32_e64 v4, v4, 1, s[8:9]
	s_and_b64 vcc, s[12:13], vcc
	ds_bpermute_b32 v9, v13, v4
	v_cndmask_b32_e32 v4, v6, v1, vcc
	v_cndmask_b32_e32 v6, v7, v2, vcc
	v_cndmask_b32_e64 v1, v1, v4, s[8:9]
	v_cndmask_b32_e64 v2, v2, v6, s[8:9]
	ds_bpermute_b32 v1, v13, v1
	ds_bpermute_b32 v2, v13, v2
	v_cmp_eq_u32_e32 vcc, 0, v3
	s_and_saveexec_b64 s[0:1], vcc
	s_cbranch_execz .LBB1955_20
; %bb.19:
	v_lshrrev_b32_e32 v4, 2, v0
	v_and_b32_e32 v4, 16, v4
	s_waitcnt lgkmcnt(2)
	ds_write_b8 v4, v9 offset:64
	s_waitcnt lgkmcnt(1)
	ds_write_b64 v4, v[1:2] offset:72
.LBB1955_20:
	s_or_b64 exec, exec, s[0:1]
	v_cmp_gt_u32_e32 vcc, 64, v0
	s_waitcnt lgkmcnt(0)
	s_barrier
	s_and_saveexec_b64 s[0:1], vcc
	s_cbranch_execz .LBB1955_26
; %bb.21:
	v_and_b32_e32 v1, 1, v3
	v_lshlrev_b32_e32 v1, 4, v1
	ds_read_u8 v7, v1 offset:64
	ds_read_b64 v[3:4], v1 offset:72
	v_or_b32_e32 v2, 4, v5
	s_waitcnt lgkmcnt(1)
	v_and_b32_e32 v1, 0xff, v7
	ds_bpermute_b32 v8, v2, v1
	s_waitcnt lgkmcnt(1)
	ds_bpermute_b32 v5, v2, v3
	ds_bpermute_b32 v6, v2, v4
	s_waitcnt lgkmcnt(2)
	v_and_b32_e32 v1, v7, v8
	v_and_b32_e32 v1, 1, v1
	v_cmp_eq_u32_e32 vcc, 1, v1
                                        ; implicit-def: $vgpr1_vgpr2
	s_and_saveexec_b64 s[2:3], vcc
	s_xor_b64 s[2:3], exec, s[2:3]
	s_cbranch_execz .LBB1955_23
; %bb.22:
	s_waitcnt lgkmcnt(0)
	v_cmp_lt_i64_e32 vcc, v[5:6], v[3:4]
                                        ; implicit-def: $vgpr7
                                        ; implicit-def: $vgpr8
	v_cndmask_b32_e32 v2, v4, v6, vcc
	v_cndmask_b32_e32 v1, v3, v5, vcc
                                        ; implicit-def: $vgpr5_vgpr6
                                        ; implicit-def: $vgpr3_vgpr4
.LBB1955_23:
	s_or_saveexec_b64 s[2:3], s[2:3]
	v_mov_b32_e32 v9, 1
	s_xor_b64 exec, exec, s[2:3]
	s_cbranch_execz .LBB1955_25
; %bb.24:
	v_and_b32_e32 v1, 1, v7
	v_cmp_eq_u32_e32 vcc, 1, v1
	s_waitcnt lgkmcnt(0)
	v_cndmask_b32_e32 v2, v6, v4, vcc
	v_cndmask_b32_e32 v1, v5, v3, vcc
	v_cndmask_b32_e64 v9, v8, 1, vcc
.LBB1955_25:
	s_or_b64 exec, exec, s[2:3]
.LBB1955_26:
	s_or_b64 exec, exec, s[0:1]
	s_branch .LBB1955_214
.LBB1955_27:
                                        ; implicit-def: $vgpr3_vgpr4
                                        ; implicit-def: $vgpr5
                                        ; implicit-def: $vgpr1_vgpr2
	s_branch .LBB1955_306
.LBB1955_28:
                                        ; implicit-def: $vgpr1_vgpr2
                                        ; implicit-def: $vgpr17
	s_cbranch_execz .LBB1955_145
; %bb.29:
	s_sub_i32 s36, s22, s30
	v_mov_b32_e32 v15, 0
	v_mov_b32_e32 v1, 0
	v_cmp_gt_u32_e32 vcc, s36, v0
	v_mov_b32_e32 v24, 0
	v_mov_b32_e32 v16, 0
	;; [unrolled: 1-line block ×4, first 2 shown]
	s_and_saveexec_b64 s[0:1], vcc
	s_cbranch_execz .LBB1955_31
; %bb.30:
	v_lshlrev_b32_e32 v1, 2, v0
	global_load_dword v3, v1, s[28:29]
	v_mov_b32_e32 v2, s38
	v_add_co_u32_e32 v1, vcc, s37, v0
	v_addc_co_u32_e32 v2, vcc, 0, v2, vcc
	s_waitcnt vmcnt(0)
	v_cmp_eq_f32_e32 vcc, s34, v3
	v_cndmask_b32_e64 v17, 0, 1, vcc
.LBB1955_31:
	s_or_b64 exec, exec, s[0:1]
	v_or_b32_e32 v3, 0x80, v0
	v_cmp_gt_u32_e64 s[14:15], s36, v3
	s_and_saveexec_b64 s[0:1], s[14:15]
	s_cbranch_execz .LBB1955_33
; %bb.32:
	v_lshlrev_b32_e32 v4, 2, v0
	global_load_dword v4, v4, s[28:29] offset:512
	s_waitcnt lgkmcnt(1)
	v_mov_b32_e32 v5, s38
	v_add_co_u32_e32 v15, vcc, s37, v3
	v_addc_co_u32_e32 v16, vcc, 0, v5, vcc
	s_waitcnt vmcnt(0)
	v_cmp_eq_f32_e32 vcc, s34, v4
	v_cndmask_b32_e64 v24, 0, 1, vcc
.LBB1955_33:
	s_or_b64 exec, exec, s[0:1]
	v_or_b32_e32 v3, 0x100, v0
	v_mov_b32_e32 v11, 0
	v_mov_b32_e32 v13, 0
	v_cmp_gt_u32_e64 s[12:13], s36, v3
	v_mov_b32_e32 v22, 0
	v_mov_b32_e32 v12, 0
	;; [unrolled: 1-line block ×4, first 2 shown]
	s_and_saveexec_b64 s[0:1], s[12:13]
	s_cbranch_execz .LBB1955_35
; %bb.34:
	v_lshlrev_b32_e32 v4, 2, v0
	global_load_dword v4, v4, s[28:29] offset:1024
	s_waitcnt lgkmcnt(1)
	v_mov_b32_e32 v5, s38
	v_add_co_u32_e32 v13, vcc, s37, v3
	v_addc_co_u32_e32 v14, vcc, 0, v5, vcc
	s_waitcnt vmcnt(0)
	v_cmp_eq_f32_e32 vcc, s34, v4
	v_cndmask_b32_e64 v23, 0, 1, vcc
.LBB1955_35:
	s_or_b64 exec, exec, s[0:1]
	v_or_b32_e32 v3, 0x180, v0
	v_cmp_gt_u32_e64 s[10:11], s36, v3
	s_and_saveexec_b64 s[0:1], s[10:11]
	s_cbranch_execz .LBB1955_37
; %bb.36:
	v_lshlrev_b32_e32 v4, 2, v0
	global_load_dword v4, v4, s[28:29] offset:1536
	s_waitcnt lgkmcnt(1)
	v_mov_b32_e32 v5, s38
	v_add_co_u32_e32 v11, vcc, s37, v3
	v_addc_co_u32_e32 v12, vcc, 0, v5, vcc
	s_waitcnt vmcnt(0)
	v_cmp_eq_f32_e32 vcc, s34, v4
	v_cndmask_b32_e64 v22, 0, 1, vcc
.LBB1955_37:
	s_or_b64 exec, exec, s[0:1]
	v_or_b32_e32 v3, 0x200, v0
	v_mov_b32_e32 v7, 0
	v_mov_b32_e32 v9, 0
	v_cmp_gt_u32_e64 s[8:9], s36, v3
	v_mov_b32_e32 v20, 0
	v_mov_b32_e32 v8, 0
	;; [unrolled: 1-line block ×4, first 2 shown]
	s_and_saveexec_b64 s[0:1], s[8:9]
	s_cbranch_execz .LBB1955_39
; %bb.38:
	v_lshlrev_b32_e32 v4, 2, v0
	global_load_dword v4, v4, s[28:29] offset:2048
	s_waitcnt lgkmcnt(1)
	v_mov_b32_e32 v5, s38
	v_add_co_u32_e32 v9, vcc, s37, v3
	v_addc_co_u32_e32 v10, vcc, 0, v5, vcc
	s_waitcnt vmcnt(0)
	v_cmp_eq_f32_e32 vcc, s34, v4
	v_cndmask_b32_e64 v21, 0, 1, vcc
.LBB1955_39:
	s_or_b64 exec, exec, s[0:1]
	v_or_b32_e32 v3, 0x280, v0
	v_cmp_gt_u32_e64 s[2:3], s36, v3
	s_and_saveexec_b64 s[0:1], s[2:3]
	s_cbranch_execz .LBB1955_41
; %bb.40:
	v_lshlrev_b32_e32 v4, 2, v0
	global_load_dword v4, v4, s[28:29] offset:2560
	s_waitcnt lgkmcnt(1)
	v_mov_b32_e32 v5, s38
	v_add_co_u32_e32 v7, vcc, s37, v3
	v_addc_co_u32_e32 v8, vcc, 0, v5, vcc
	s_waitcnt vmcnt(0)
	v_cmp_eq_f32_e32 vcc, s34, v4
	v_cndmask_b32_e64 v20, 0, 1, vcc
.LBB1955_41:
	s_or_b64 exec, exec, s[0:1]
	v_or_b32_e32 v25, 0x300, v0
	v_mov_b32_e32 v3, 0
	s_waitcnt lgkmcnt(0)
	v_mov_b32_e32 v5, 0
	v_cmp_gt_u32_e64 s[0:1], s36, v25
	v_mov_b32_e32 v4, 0
	v_mov_b32_e32 v18, 0
	;; [unrolled: 1-line block ×4, first 2 shown]
	s_and_saveexec_b64 s[16:17], s[0:1]
	s_cbranch_execz .LBB1955_43
; %bb.42:
	v_lshlrev_b32_e32 v5, 2, v0
	global_load_dword v19, v5, s[28:29] offset:3072
	v_mov_b32_e32 v6, s38
	v_add_co_u32_e32 v5, vcc, s37, v25
	v_addc_co_u32_e32 v6, vcc, 0, v6, vcc
	s_waitcnt vmcnt(0)
	v_cmp_eq_f32_e32 vcc, s34, v19
	v_cndmask_b32_e64 v19, 0, 1, vcc
.LBB1955_43:
	s_or_b64 exec, exec, s[16:17]
	v_or_b32_e32 v25, 0x380, v0
	v_cmp_gt_u32_e32 vcc, s36, v25
	s_and_saveexec_b64 s[30:31], vcc
	s_cbranch_execnz .LBB1955_62
; %bb.44:
	s_or_b64 exec, exec, s[30:31]
	s_and_saveexec_b64 s[28:29], s[14:15]
	s_cbranch_execnz .LBB1955_63
.LBB1955_45:
	s_or_b64 exec, exec, s[28:29]
	s_and_saveexec_b64 s[16:17], s[12:13]
	s_cbranch_execnz .LBB1955_68
.LBB1955_46:
	s_or_b64 exec, exec, s[16:17]
	s_and_saveexec_b64 s[14:15], s[10:11]
	s_cbranch_execnz .LBB1955_73
.LBB1955_47:
	s_or_b64 exec, exec, s[14:15]
	s_and_saveexec_b64 s[12:13], s[8:9]
	s_cbranch_execnz .LBB1955_78
.LBB1955_48:
	s_or_b64 exec, exec, s[12:13]
	s_and_saveexec_b64 s[10:11], s[2:3]
	s_cbranch_execnz .LBB1955_83
.LBB1955_49:
	s_or_b64 exec, exec, s[10:11]
	s_and_saveexec_b64 s[8:9], s[0:1]
	s_cbranch_execnz .LBB1955_88
.LBB1955_50:
	s_or_b64 exec, exec, s[8:9]
	s_and_saveexec_b64 s[2:3], vcc
	s_cbranch_execnz .LBB1955_93
	s_branch .LBB1955_98
.LBB1955_51:
                                        ; implicit-def: $vgpr1_vgpr2
                                        ; implicit-def: $vgpr9
	s_cbranch_execz .LBB1955_214
; %bb.52:
	s_sub_i32 s12, s22, s26
	s_waitcnt lgkmcnt(1)
	v_mov_b32_e32 v7, 0
	v_mov_b32_e32 v1, 0
	v_cmp_gt_u32_e32 vcc, s12, v0
	v_mov_b32_e32 v12, 0
	v_mov_b32_e32 v8, 0
	;; [unrolled: 1-line block ×4, first 2 shown]
	s_and_saveexec_b64 s[0:1], vcc
	s_cbranch_execz .LBB1955_54
; %bb.53:
	v_lshlrev_b32_e32 v1, 2, v0
	global_load_dword v3, v1, s[16:17]
	v_mov_b32_e32 v2, s28
	v_add_co_u32_e32 v1, vcc, s27, v0
	v_addc_co_u32_e32 v2, vcc, 0, v2, vcc
	s_waitcnt vmcnt(0)
	v_cmp_eq_f32_e32 vcc, s34, v3
	v_cndmask_b32_e64 v9, 0, 1, vcc
.LBB1955_54:
	s_or_b64 exec, exec, s[0:1]
	v_or_b32_e32 v3, 0x80, v0
	v_cmp_gt_u32_e64 s[2:3], s12, v3
	s_and_saveexec_b64 s[0:1], s[2:3]
	s_cbranch_execz .LBB1955_56
; %bb.55:
	s_waitcnt lgkmcnt(0)
	v_lshlrev_b32_e32 v4, 2, v0
	global_load_dword v4, v4, s[16:17] offset:512
	v_mov_b32_e32 v5, s28
	v_add_co_u32_e32 v7, vcc, s27, v3
	v_addc_co_u32_e32 v8, vcc, 0, v5, vcc
	s_waitcnt vmcnt(0)
	v_cmp_eq_f32_e32 vcc, s34, v4
	v_cndmask_b32_e64 v12, 0, 1, vcc
.LBB1955_56:
	s_or_b64 exec, exec, s[0:1]
	v_or_b32_e32 v13, 0x100, v0
	s_waitcnt lgkmcnt(0)
	v_mov_b32_e32 v3, 0
	v_mov_b32_e32 v5, 0
	v_cmp_gt_u32_e64 s[0:1], s12, v13
	v_mov_b32_e32 v10, 0
	v_mov_b32_e32 v4, 0
	;; [unrolled: 1-line block ×4, first 2 shown]
	s_and_saveexec_b64 s[8:9], s[0:1]
	s_cbranch_execz .LBB1955_58
; %bb.57:
	v_lshlrev_b32_e32 v5, 2, v0
	global_load_dword v11, v5, s[16:17] offset:1024
	v_mov_b32_e32 v6, s28
	v_add_co_u32_e32 v5, vcc, s27, v13
	v_addc_co_u32_e32 v6, vcc, 0, v6, vcc
	s_waitcnt vmcnt(0)
	v_cmp_eq_f32_e32 vcc, s34, v11
	v_cndmask_b32_e64 v11, 0, 1, vcc
.LBB1955_58:
	s_or_b64 exec, exec, s[8:9]
	v_or_b32_e32 v13, 0x180, v0
	v_cmp_gt_u32_e32 vcc, s12, v13
	s_and_saveexec_b64 s[10:11], vcc
	s_cbranch_execnz .LBB1955_151
; %bb.59:
	s_or_b64 exec, exec, s[10:11]
	s_and_saveexec_b64 s[10:11], s[2:3]
	s_cbranch_execnz .LBB1955_152
.LBB1955_60:
	s_or_b64 exec, exec, s[10:11]
	s_and_saveexec_b64 s[8:9], s[0:1]
	s_cbranch_execnz .LBB1955_157
.LBB1955_61:
	s_or_b64 exec, exec, s[8:9]
	s_and_saveexec_b64 s[2:3], vcc
	s_cbranch_execnz .LBB1955_162
	s_branch .LBB1955_167
.LBB1955_62:
	v_lshlrev_b32_e32 v3, 2, v0
	global_load_dword v18, v3, s[28:29] offset:3584
	v_mov_b32_e32 v4, s38
	v_add_co_u32_e64 v3, s[16:17], s37, v25
	v_addc_co_u32_e64 v4, s[16:17], 0, v4, s[16:17]
	s_waitcnt vmcnt(0)
	v_cmp_eq_f32_e64 s[16:17], s34, v18
	v_cndmask_b32_e64 v18, 0, 1, s[16:17]
	s_or_b64 exec, exec, s[30:31]
	s_and_saveexec_b64 s[28:29], s[14:15]
	s_cbranch_execz .LBB1955_45
.LBB1955_63:
	v_and_b32_e32 v17, 1, v17
	v_cmp_eq_u32_e64 s[14:15], 1, v17
	v_and_b32_e32 v17, 1, v24
	v_cmp_eq_u32_e64 s[16:17], 1, v17
	s_and_b64 s[16:17], s[14:15], s[16:17]
	s_xor_b64 s[16:17], s[16:17], -1
                                        ; implicit-def: $vgpr17
	s_and_saveexec_b64 s[30:31], s[16:17]
	s_xor_b64 s[16:17], exec, s[30:31]
; %bb.64:
	v_and_b32_e32 v17, 0xffff, v24
	v_cndmask_b32_e64 v17, v17, 1, s[14:15]
	v_cndmask_b32_e64 v2, v16, v2, s[14:15]
	;; [unrolled: 1-line block ×3, first 2 shown]
                                        ; implicit-def: $vgpr15_vgpr16
; %bb.65:
	s_andn2_saveexec_b64 s[16:17], s[16:17]
; %bb.66:
	v_cmp_lt_i64_e64 s[14:15], v[15:16], v[1:2]
	v_mov_b32_e32 v17, 1
	v_cndmask_b32_e64 v2, v2, v16, s[14:15]
	v_cndmask_b32_e64 v1, v1, v15, s[14:15]
; %bb.67:
	s_or_b64 exec, exec, s[16:17]
	s_or_b64 exec, exec, s[28:29]
	s_and_saveexec_b64 s[16:17], s[12:13]
	s_cbranch_execz .LBB1955_46
.LBB1955_68:
	v_and_b32_e32 v15, 1, v17
	v_cmp_eq_u32_e64 s[12:13], 1, v15
	v_and_b32_e32 v15, 1, v23
	v_cmp_eq_u32_e64 s[14:15], 1, v15
	s_and_b64 s[14:15], s[12:13], s[14:15]
	s_xor_b64 s[14:15], s[14:15], -1
                                        ; implicit-def: $vgpr17
	s_and_saveexec_b64 s[28:29], s[14:15]
	s_xor_b64 s[14:15], exec, s[28:29]
; %bb.69:
	v_and_b32_e32 v15, 0xffff, v23
	v_cndmask_b32_e64 v17, v15, 1, s[12:13]
	v_cndmask_b32_e64 v2, v14, v2, s[12:13]
	;; [unrolled: 1-line block ×3, first 2 shown]
                                        ; implicit-def: $vgpr13_vgpr14
; %bb.70:
	s_andn2_saveexec_b64 s[14:15], s[14:15]
; %bb.71:
	v_cmp_lt_i64_e64 s[12:13], v[13:14], v[1:2]
	v_mov_b32_e32 v17, 1
	v_cndmask_b32_e64 v2, v2, v14, s[12:13]
	v_cndmask_b32_e64 v1, v1, v13, s[12:13]
; %bb.72:
	s_or_b64 exec, exec, s[14:15]
	s_or_b64 exec, exec, s[16:17]
	s_and_saveexec_b64 s[14:15], s[10:11]
	s_cbranch_execz .LBB1955_47
.LBB1955_73:
	v_and_b32_e32 v13, 1, v17
	v_cmp_eq_u32_e64 s[10:11], 1, v13
	v_and_b32_e32 v13, 1, v22
	v_cmp_eq_u32_e64 s[12:13], 1, v13
	s_and_b64 s[12:13], s[10:11], s[12:13]
	s_xor_b64 s[12:13], s[12:13], -1
                                        ; implicit-def: $vgpr17
	s_and_saveexec_b64 s[16:17], s[12:13]
	s_xor_b64 s[12:13], exec, s[16:17]
; %bb.74:
	v_and_b32_e32 v13, 0xffff, v22
	v_cndmask_b32_e64 v17, v13, 1, s[10:11]
	v_cndmask_b32_e64 v2, v12, v2, s[10:11]
	;; [unrolled: 1-line block ×3, first 2 shown]
                                        ; implicit-def: $vgpr11_vgpr12
; %bb.75:
	s_andn2_saveexec_b64 s[12:13], s[12:13]
; %bb.76:
	v_cmp_lt_i64_e64 s[10:11], v[11:12], v[1:2]
	v_mov_b32_e32 v17, 1
	v_cndmask_b32_e64 v2, v2, v12, s[10:11]
	v_cndmask_b32_e64 v1, v1, v11, s[10:11]
; %bb.77:
	s_or_b64 exec, exec, s[12:13]
	s_or_b64 exec, exec, s[14:15]
	s_and_saveexec_b64 s[12:13], s[8:9]
	s_cbranch_execz .LBB1955_48
.LBB1955_78:
	v_and_b32_e32 v11, 1, v17
	v_cmp_eq_u32_e64 s[8:9], 1, v11
	v_and_b32_e32 v11, 1, v21
	v_cmp_eq_u32_e64 s[10:11], 1, v11
	s_and_b64 s[10:11], s[8:9], s[10:11]
	s_xor_b64 s[10:11], s[10:11], -1
                                        ; implicit-def: $vgpr17
	s_and_saveexec_b64 s[14:15], s[10:11]
	s_xor_b64 s[10:11], exec, s[14:15]
; %bb.79:
	v_and_b32_e32 v11, 0xffff, v21
	v_cndmask_b32_e64 v17, v11, 1, s[8:9]
	v_cndmask_b32_e64 v2, v10, v2, s[8:9]
	;; [unrolled: 1-line block ×3, first 2 shown]
                                        ; implicit-def: $vgpr9_vgpr10
; %bb.80:
	s_andn2_saveexec_b64 s[10:11], s[10:11]
; %bb.81:
	v_cmp_lt_i64_e64 s[8:9], v[9:10], v[1:2]
	v_mov_b32_e32 v17, 1
	v_cndmask_b32_e64 v2, v2, v10, s[8:9]
	v_cndmask_b32_e64 v1, v1, v9, s[8:9]
; %bb.82:
	s_or_b64 exec, exec, s[10:11]
	s_or_b64 exec, exec, s[12:13]
	s_and_saveexec_b64 s[10:11], s[2:3]
	s_cbranch_execz .LBB1955_49
.LBB1955_83:
	v_and_b32_e32 v9, 1, v17
	v_cmp_eq_u32_e64 s[2:3], 1, v9
	v_and_b32_e32 v9, 1, v20
	v_cmp_eq_u32_e64 s[8:9], 1, v9
	s_and_b64 s[8:9], s[2:3], s[8:9]
	s_xor_b64 s[8:9], s[8:9], -1
                                        ; implicit-def: $vgpr17
	s_and_saveexec_b64 s[12:13], s[8:9]
	s_xor_b64 s[8:9], exec, s[12:13]
; %bb.84:
	v_and_b32_e32 v9, 0xffff, v20
	v_cndmask_b32_e64 v17, v9, 1, s[2:3]
	v_cndmask_b32_e64 v2, v8, v2, s[2:3]
	;; [unrolled: 1-line block ×3, first 2 shown]
                                        ; implicit-def: $vgpr7_vgpr8
; %bb.85:
	s_andn2_saveexec_b64 s[8:9], s[8:9]
; %bb.86:
	v_cmp_lt_i64_e64 s[2:3], v[7:8], v[1:2]
	v_mov_b32_e32 v17, 1
	v_cndmask_b32_e64 v2, v2, v8, s[2:3]
	v_cndmask_b32_e64 v1, v1, v7, s[2:3]
; %bb.87:
	s_or_b64 exec, exec, s[8:9]
	s_or_b64 exec, exec, s[10:11]
	s_and_saveexec_b64 s[8:9], s[0:1]
	s_cbranch_execz .LBB1955_50
.LBB1955_88:
	v_and_b32_e32 v7, 1, v17
	v_cmp_eq_u32_e64 s[0:1], 1, v7
	v_and_b32_e32 v7, 1, v19
	v_cmp_eq_u32_e64 s[2:3], 1, v7
	s_and_b64 s[2:3], s[0:1], s[2:3]
	s_xor_b64 s[2:3], s[2:3], -1
                                        ; implicit-def: $vgpr17
	s_and_saveexec_b64 s[10:11], s[2:3]
	s_xor_b64 s[2:3], exec, s[10:11]
; %bb.89:
	v_and_b32_e32 v7, 0xffff, v19
	v_cndmask_b32_e64 v17, v7, 1, s[0:1]
	v_cndmask_b32_e64 v2, v6, v2, s[0:1]
	;; [unrolled: 1-line block ×3, first 2 shown]
                                        ; implicit-def: $vgpr5_vgpr6
; %bb.90:
	s_andn2_saveexec_b64 s[2:3], s[2:3]
; %bb.91:
	v_cmp_lt_i64_e64 s[0:1], v[5:6], v[1:2]
	v_mov_b32_e32 v17, 1
	v_cndmask_b32_e64 v2, v2, v6, s[0:1]
	v_cndmask_b32_e64 v1, v1, v5, s[0:1]
; %bb.92:
	s_or_b64 exec, exec, s[2:3]
	s_or_b64 exec, exec, s[8:9]
	s_and_saveexec_b64 s[2:3], vcc
	s_cbranch_execz .LBB1955_98
.LBB1955_93:
	v_and_b32_e32 v5, 1, v17
	v_cmp_eq_u32_e32 vcc, 1, v5
	v_and_b32_e32 v5, 1, v18
	v_cmp_eq_u32_e64 s[0:1], 1, v5
	s_and_b64 s[0:1], vcc, s[0:1]
	s_xor_b64 s[0:1], s[0:1], -1
                                        ; implicit-def: $vgpr17
	s_and_saveexec_b64 s[8:9], s[0:1]
	s_xor_b64 s[0:1], exec, s[8:9]
; %bb.94:
	v_and_b32_e32 v5, 0xffff, v18
	v_cndmask_b32_e64 v17, v5, 1, vcc
	v_cndmask_b32_e32 v2, v4, v2, vcc
	v_cndmask_b32_e32 v1, v3, v1, vcc
                                        ; implicit-def: $vgpr3_vgpr4
; %bb.95:
	s_andn2_saveexec_b64 s[0:1], s[0:1]
; %bb.96:
	v_cmp_lt_i64_e32 vcc, v[3:4], v[1:2]
	v_mov_b32_e32 v17, 1
	v_cndmask_b32_e32 v2, v2, v4, vcc
	v_cndmask_b32_e32 v1, v1, v3, vcc
; %bb.97:
	s_or_b64 exec, exec, s[0:1]
.LBB1955_98:
	s_or_b64 exec, exec, s[2:3]
	v_mbcnt_lo_u32_b32 v3, -1, 0
	v_mbcnt_hi_u32_b32 v5, -1, v3
	v_and_b32_e32 v6, 63, v5
	v_cmp_ne_u32_e32 vcc, 63, v6
	v_addc_co_u32_e32 v3, vcc, 0, v5, vcc
	v_lshlrev_b32_e32 v4, 2, v3
	ds_bpermute_b32 v8, v4, v17
	ds_bpermute_b32 v3, v4, v1
	;; [unrolled: 1-line block ×3, first 2 shown]
	s_min_u32 s8, s36, 0x80
	v_and_b32_e32 v7, 64, v0
	v_sub_u32_e64 v7, s8, v7 clamp
	v_add_u32_e32 v9, 1, v6
	v_cmp_lt_u32_e32 vcc, v9, v7
	s_and_saveexec_b64 s[0:1], vcc
	s_xor_b64 s[0:1], exec, s[0:1]
	s_cbranch_execz .LBB1955_104
; %bb.99:
	s_waitcnt lgkmcnt(2)
	v_and_b32_e32 v9, v8, v17
	v_cmp_ne_u32_e32 vcc, 0, v9
	s_and_saveexec_b64 s[2:3], vcc
	s_xor_b64 s[2:3], exec, s[2:3]
	s_cbranch_execz .LBB1955_101
; %bb.100:
	s_waitcnt lgkmcnt(0)
	v_cmp_lt_i64_e32 vcc, v[3:4], v[1:2]
                                        ; implicit-def: $vgpr17
                                        ; implicit-def: $vgpr8
	v_cndmask_b32_e32 v2, v2, v4, vcc
	v_cndmask_b32_e32 v1, v1, v3, vcc
                                        ; implicit-def: $vgpr3_vgpr4
.LBB1955_101:
	s_or_saveexec_b64 s[2:3], s[2:3]
	v_mov_b32_e32 v9, 1
	s_xor_b64 exec, exec, s[2:3]
	s_cbranch_execz .LBB1955_103
; %bb.102:
	v_and_b32_e32 v9, 1, v17
	v_cmp_eq_u32_e32 vcc, 1, v9
	s_waitcnt lgkmcnt(1)
	v_cndmask_b32_e32 v1, v3, v1, vcc
	v_and_b32_e32 v3, 0xff, v8
	s_waitcnt lgkmcnt(0)
	v_cndmask_b32_e32 v2, v4, v2, vcc
	v_cndmask_b32_e64 v9, v3, 1, vcc
.LBB1955_103:
	s_or_b64 exec, exec, s[2:3]
	v_mov_b32_e32 v17, v9
.LBB1955_104:
	s_or_b64 exec, exec, s[0:1]
	v_cmp_gt_u32_e32 vcc, 62, v6
	s_waitcnt lgkmcnt(1)
	v_cndmask_b32_e64 v3, 0, 2, vcc
	s_waitcnt lgkmcnt(0)
	v_add_lshl_u32 v4, v3, v5, 2
	ds_bpermute_b32 v8, v4, v17
	ds_bpermute_b32 v3, v4, v1
	ds_bpermute_b32 v4, v4, v2
	v_add_u32_e32 v9, 2, v6
	v_cmp_lt_u32_e32 vcc, v9, v7
	s_and_saveexec_b64 s[0:1], vcc
	s_cbranch_execz .LBB1955_110
; %bb.105:
	s_waitcnt lgkmcnt(2)
	v_and_b32_e32 v9, v17, v8
	v_and_b32_e32 v9, 1, v9
	v_cmp_eq_u32_e32 vcc, 1, v9
	s_and_saveexec_b64 s[2:3], vcc
	s_xor_b64 s[2:3], exec, s[2:3]
	s_cbranch_execz .LBB1955_107
; %bb.106:
	s_waitcnt lgkmcnt(0)
	v_cmp_lt_i64_e32 vcc, v[3:4], v[1:2]
                                        ; implicit-def: $vgpr17
                                        ; implicit-def: $vgpr8
	v_cndmask_b32_e32 v2, v2, v4, vcc
	v_cndmask_b32_e32 v1, v1, v3, vcc
                                        ; implicit-def: $vgpr3_vgpr4
.LBB1955_107:
	s_or_saveexec_b64 s[2:3], s[2:3]
	v_mov_b32_e32 v9, 1
	s_xor_b64 exec, exec, s[2:3]
	s_cbranch_execz .LBB1955_109
; %bb.108:
	v_and_b32_e32 v9, 1, v17
	v_cmp_eq_u32_e32 vcc, 1, v9
	s_waitcnt lgkmcnt(1)
	v_cndmask_b32_e32 v1, v3, v1, vcc
	v_and_b32_e32 v3, 0xff, v8
	s_waitcnt lgkmcnt(0)
	v_cndmask_b32_e32 v2, v4, v2, vcc
	v_cndmask_b32_e64 v9, v3, 1, vcc
.LBB1955_109:
	s_or_b64 exec, exec, s[2:3]
	v_mov_b32_e32 v17, v9
.LBB1955_110:
	s_or_b64 exec, exec, s[0:1]
	v_cmp_gt_u32_e32 vcc, 60, v6
	s_waitcnt lgkmcnt(1)
	v_cndmask_b32_e64 v3, 0, 4, vcc
	s_waitcnt lgkmcnt(0)
	v_add_lshl_u32 v4, v3, v5, 2
	ds_bpermute_b32 v8, v4, v17
	ds_bpermute_b32 v3, v4, v1
	ds_bpermute_b32 v4, v4, v2
	v_add_u32_e32 v9, 4, v6
	v_cmp_lt_u32_e32 vcc, v9, v7
	s_and_saveexec_b64 s[0:1], vcc
	s_cbranch_execz .LBB1955_116
; %bb.111:
	s_waitcnt lgkmcnt(2)
	v_and_b32_e32 v9, v17, v8
	v_and_b32_e32 v9, 1, v9
	v_cmp_eq_u32_e32 vcc, 1, v9
	s_and_saveexec_b64 s[2:3], vcc
	s_xor_b64 s[2:3], exec, s[2:3]
	s_cbranch_execz .LBB1955_113
; %bb.112:
	s_waitcnt lgkmcnt(0)
	v_cmp_lt_i64_e32 vcc, v[3:4], v[1:2]
                                        ; implicit-def: $vgpr17
                                        ; implicit-def: $vgpr8
	v_cndmask_b32_e32 v2, v2, v4, vcc
	v_cndmask_b32_e32 v1, v1, v3, vcc
                                        ; implicit-def: $vgpr3_vgpr4
.LBB1955_113:
	s_or_saveexec_b64 s[2:3], s[2:3]
	v_mov_b32_e32 v9, 1
	s_xor_b64 exec, exec, s[2:3]
	s_cbranch_execz .LBB1955_115
; %bb.114:
	v_and_b32_e32 v9, 1, v17
	v_cmp_eq_u32_e32 vcc, 1, v9
	s_waitcnt lgkmcnt(1)
	v_cndmask_b32_e32 v1, v3, v1, vcc
	v_and_b32_e32 v3, 0xff, v8
	s_waitcnt lgkmcnt(0)
	v_cndmask_b32_e32 v2, v4, v2, vcc
	v_cndmask_b32_e64 v9, v3, 1, vcc
.LBB1955_115:
	s_or_b64 exec, exec, s[2:3]
	v_mov_b32_e32 v17, v9
.LBB1955_116:
	s_or_b64 exec, exec, s[0:1]
	v_cmp_gt_u32_e32 vcc, 56, v6
	s_waitcnt lgkmcnt(1)
	v_cndmask_b32_e64 v3, 0, 8, vcc
	s_waitcnt lgkmcnt(0)
	v_add_lshl_u32 v4, v3, v5, 2
	ds_bpermute_b32 v8, v4, v17
	ds_bpermute_b32 v3, v4, v1
	ds_bpermute_b32 v4, v4, v2
	v_add_u32_e32 v9, 8, v6
	v_cmp_lt_u32_e32 vcc, v9, v7
	s_and_saveexec_b64 s[0:1], vcc
	s_cbranch_execz .LBB1955_122
; %bb.117:
	s_waitcnt lgkmcnt(2)
	v_and_b32_e32 v9, v17, v8
	v_and_b32_e32 v9, 1, v9
	v_cmp_eq_u32_e32 vcc, 1, v9
	s_and_saveexec_b64 s[2:3], vcc
	s_xor_b64 s[2:3], exec, s[2:3]
	s_cbranch_execz .LBB1955_119
; %bb.118:
	s_waitcnt lgkmcnt(0)
	v_cmp_lt_i64_e32 vcc, v[3:4], v[1:2]
                                        ; implicit-def: $vgpr17
                                        ; implicit-def: $vgpr8
	v_cndmask_b32_e32 v2, v2, v4, vcc
	v_cndmask_b32_e32 v1, v1, v3, vcc
                                        ; implicit-def: $vgpr3_vgpr4
.LBB1955_119:
	s_or_saveexec_b64 s[2:3], s[2:3]
	v_mov_b32_e32 v9, 1
	s_xor_b64 exec, exec, s[2:3]
	s_cbranch_execz .LBB1955_121
; %bb.120:
	v_and_b32_e32 v9, 1, v17
	v_cmp_eq_u32_e32 vcc, 1, v9
	s_waitcnt lgkmcnt(1)
	v_cndmask_b32_e32 v1, v3, v1, vcc
	v_and_b32_e32 v3, 0xff, v8
	s_waitcnt lgkmcnt(0)
	v_cndmask_b32_e32 v2, v4, v2, vcc
	v_cndmask_b32_e64 v9, v3, 1, vcc
.LBB1955_121:
	s_or_b64 exec, exec, s[2:3]
	v_mov_b32_e32 v17, v9
.LBB1955_122:
	s_or_b64 exec, exec, s[0:1]
	v_cmp_gt_u32_e32 vcc, 48, v6
	s_waitcnt lgkmcnt(1)
	v_cndmask_b32_e64 v3, 0, 16, vcc
	s_waitcnt lgkmcnt(0)
	v_add_lshl_u32 v4, v3, v5, 2
	ds_bpermute_b32 v8, v4, v17
	ds_bpermute_b32 v3, v4, v1
	ds_bpermute_b32 v4, v4, v2
	v_add_u32_e32 v9, 16, v6
	v_cmp_lt_u32_e32 vcc, v9, v7
	s_and_saveexec_b64 s[0:1], vcc
	s_cbranch_execz .LBB1955_128
; %bb.123:
	s_waitcnt lgkmcnt(2)
	v_and_b32_e32 v9, v17, v8
	v_and_b32_e32 v9, 1, v9
	v_cmp_eq_u32_e32 vcc, 1, v9
	s_and_saveexec_b64 s[2:3], vcc
	s_xor_b64 s[2:3], exec, s[2:3]
	s_cbranch_execz .LBB1955_125
; %bb.124:
	s_waitcnt lgkmcnt(0)
	v_cmp_lt_i64_e32 vcc, v[3:4], v[1:2]
                                        ; implicit-def: $vgpr17
                                        ; implicit-def: $vgpr8
	v_cndmask_b32_e32 v2, v2, v4, vcc
	v_cndmask_b32_e32 v1, v1, v3, vcc
                                        ; implicit-def: $vgpr3_vgpr4
.LBB1955_125:
	s_or_saveexec_b64 s[2:3], s[2:3]
	v_mov_b32_e32 v9, 1
	s_xor_b64 exec, exec, s[2:3]
	s_cbranch_execz .LBB1955_127
; %bb.126:
	v_and_b32_e32 v9, 1, v17
	v_cmp_eq_u32_e32 vcc, 1, v9
	s_waitcnt lgkmcnt(1)
	v_cndmask_b32_e32 v1, v3, v1, vcc
	v_and_b32_e32 v3, 0xff, v8
	s_waitcnt lgkmcnt(0)
	v_cndmask_b32_e32 v2, v4, v2, vcc
	v_cndmask_b32_e64 v9, v3, 1, vcc
.LBB1955_127:
	s_or_b64 exec, exec, s[2:3]
	v_mov_b32_e32 v17, v9
.LBB1955_128:
	s_or_b64 exec, exec, s[0:1]
	s_waitcnt lgkmcnt(2)
	v_lshlrev_b32_e32 v8, 2, v5
	s_waitcnt lgkmcnt(0)
	v_or_b32_e32 v4, 0x80, v8
	ds_bpermute_b32 v9, v4, v17
	ds_bpermute_b32 v3, v4, v1
	ds_bpermute_b32 v4, v4, v2
	v_add_u32_e32 v6, 32, v6
	v_cmp_lt_u32_e32 vcc, v6, v7
	v_mov_b32_e32 v6, v17
	s_and_saveexec_b64 s[0:1], vcc
	s_cbranch_execz .LBB1955_134
; %bb.129:
	s_waitcnt lgkmcnt(2)
	v_and_b32_e32 v6, v17, v9
	v_and_b32_e32 v6, 1, v6
	v_cmp_eq_u32_e32 vcc, 1, v6
	s_and_saveexec_b64 s[2:3], vcc
	s_xor_b64 s[2:3], exec, s[2:3]
	s_cbranch_execz .LBB1955_131
; %bb.130:
	s_waitcnt lgkmcnt(0)
	v_cmp_lt_i64_e32 vcc, v[3:4], v[1:2]
                                        ; implicit-def: $vgpr17
                                        ; implicit-def: $vgpr9
	v_cndmask_b32_e32 v2, v2, v4, vcc
	v_cndmask_b32_e32 v1, v1, v3, vcc
                                        ; implicit-def: $vgpr3_vgpr4
.LBB1955_131:
	s_or_saveexec_b64 s[2:3], s[2:3]
	v_mov_b32_e32 v6, 1
	s_xor_b64 exec, exec, s[2:3]
	s_cbranch_execz .LBB1955_133
; %bb.132:
	v_and_b32_e32 v6, 1, v17
	v_cmp_eq_u32_e32 vcc, 1, v6
	v_cndmask_b32_e64 v6, v9, 1, vcc
	s_waitcnt lgkmcnt(0)
	v_cndmask_b32_e32 v2, v4, v2, vcc
	v_cndmask_b32_e32 v1, v3, v1, vcc
.LBB1955_133:
	s_or_b64 exec, exec, s[2:3]
	v_and_b32_e32 v17, 0xff, v6
.LBB1955_134:
	s_or_b64 exec, exec, s[0:1]
	v_cmp_eq_u32_e32 vcc, 0, v5
	s_and_saveexec_b64 s[0:1], vcc
	s_cbranch_execz .LBB1955_136
; %bb.135:
	s_waitcnt lgkmcnt(1)
	v_lshrrev_b32_e32 v3, 2, v0
	v_and_b32_e32 v3, 16, v3
	ds_write_b8 v3, v6 offset:128
	ds_write_b64 v3, v[1:2] offset:136
.LBB1955_136:
	s_or_b64 exec, exec, s[0:1]
	v_cmp_gt_u32_e32 vcc, 2, v0
	s_waitcnt lgkmcnt(0)
	s_barrier
	s_and_saveexec_b64 s[0:1], vcc
	s_cbranch_execz .LBB1955_144
; %bb.137:
	v_lshlrev_b32_e32 v1, 4, v5
	ds_read_u8 v6, v1 offset:128
	ds_read_b64 v[1:2], v1 offset:136
	v_or_b32_e32 v4, 4, v8
	s_add_i32 s8, s8, 63
	v_and_b32_e32 v5, 1, v5
	s_waitcnt lgkmcnt(1)
	v_and_b32_e32 v17, 0xff, v6
	s_waitcnt lgkmcnt(0)
	ds_bpermute_b32 v3, v4, v1
	ds_bpermute_b32 v7, v4, v17
	;; [unrolled: 1-line block ×3, first 2 shown]
	s_lshr_b32 s2, s8, 6
	v_add_u32_e32 v5, 1, v5
	v_cmp_gt_u32_e32 vcc, s2, v5
	s_and_saveexec_b64 s[2:3], vcc
	s_cbranch_execz .LBB1955_143
; %bb.138:
	s_waitcnt lgkmcnt(1)
	v_and_b32_e32 v5, v17, v7
	v_and_b32_e32 v5, 1, v5
	v_cmp_eq_u32_e32 vcc, 1, v5
	s_and_saveexec_b64 s[8:9], vcc
	s_xor_b64 s[8:9], exec, s[8:9]
	s_cbranch_execz .LBB1955_140
; %bb.139:
	s_waitcnt lgkmcnt(0)
	v_cmp_lt_i64_e32 vcc, v[3:4], v[1:2]
                                        ; implicit-def: $vgpr6
                                        ; implicit-def: $vgpr7
	v_cndmask_b32_e32 v2, v2, v4, vcc
	v_cndmask_b32_e32 v1, v1, v3, vcc
                                        ; implicit-def: $vgpr3_vgpr4
.LBB1955_140:
	s_or_saveexec_b64 s[8:9], s[8:9]
	v_mov_b32_e32 v17, 1
	s_xor_b64 exec, exec, s[8:9]
	s_cbranch_execz .LBB1955_142
; %bb.141:
	v_and_b32_e32 v5, 1, v6
	v_cmp_eq_u32_e32 vcc, 1, v5
	s_waitcnt lgkmcnt(0)
	v_cndmask_b32_e32 v2, v4, v2, vcc
	v_cndmask_b32_e32 v1, v3, v1, vcc
	v_cndmask_b32_e64 v17, v7, 1, vcc
.LBB1955_142:
	s_or_b64 exec, exec, s[8:9]
.LBB1955_143:
	s_or_b64 exec, exec, s[2:3]
.LBB1955_144:
	s_or_b64 exec, exec, s[0:1]
.LBB1955_145:
	v_cmp_eq_u32_e32 vcc, 0, v0
	s_mov_b64 s[14:15], 0
                                        ; implicit-def: $vgpr3_vgpr4
                                        ; implicit-def: $vgpr5
	s_and_saveexec_b64 s[0:1], vcc
	s_xor_b64 s[8:9], exec, s[0:1]
	s_cbranch_execz .LBB1955_149
; %bb.146:
	s_waitcnt lgkmcnt(0)
	v_mov_b32_e32 v3, s18
	s_cmp_eq_u64 s[22:23], 0
	v_mov_b32_e32 v4, s19
	v_mov_b32_e32 v5, s33
	s_cbranch_scc1 .LBB1955_148
; %bb.147:
	v_and_b32_e32 v3, 1, v17
	v_cmp_gt_i64_e64 s[0:1], s[18:19], v[1:2]
	s_bitcmp1_b32 s33, 0
	v_cmp_eq_u32_e32 vcc, 1, v3
	s_cselect_b64 s[2:3], -1, 0
	v_mov_b32_e32 v3, s18
	s_and_b64 vcc, vcc, s[0:1]
	v_mov_b32_e32 v4, s19
	v_cndmask_b32_e32 v3, v3, v1, vcc
	v_cndmask_b32_e32 v4, v4, v2, vcc
	v_cndmask_b32_e64 v5, v17, 1, s[2:3]
	v_cndmask_b32_e64 v4, v2, v4, s[2:3]
	;; [unrolled: 1-line block ×3, first 2 shown]
.LBB1955_148:
	s_mov_b64 s[14:15], exec
.LBB1955_149:
	s_or_b64 exec, exec, s[8:9]
	v_mov_b32_e32 v1, s6
	v_mov_b32_e32 v2, s7
	s_and_b64 vcc, exec, s[26:27]
	s_cbranch_vccnz .LBB1955_16
.LBB1955_150:
	s_branch .LBB1955_306
.LBB1955_151:
	v_lshlrev_b32_e32 v3, 2, v0
	global_load_dword v10, v3, s[16:17] offset:1536
	v_mov_b32_e32 v4, s28
	v_add_co_u32_e64 v3, s[8:9], s27, v13
	v_addc_co_u32_e64 v4, s[8:9], 0, v4, s[8:9]
	s_waitcnt vmcnt(0)
	v_cmp_eq_f32_e64 s[8:9], s34, v10
	v_cndmask_b32_e64 v10, 0, 1, s[8:9]
	s_or_b64 exec, exec, s[10:11]
	s_and_saveexec_b64 s[10:11], s[2:3]
	s_cbranch_execz .LBB1955_60
.LBB1955_152:
	v_and_b32_e32 v9, 1, v9
	v_cmp_eq_u32_e64 s[2:3], 1, v9
	v_and_b32_e32 v9, 1, v12
	v_cmp_eq_u32_e64 s[8:9], 1, v9
	s_and_b64 s[8:9], s[2:3], s[8:9]
	s_xor_b64 s[8:9], s[8:9], -1
                                        ; implicit-def: $vgpr9
	s_and_saveexec_b64 s[16:17], s[8:9]
	s_xor_b64 s[8:9], exec, s[16:17]
; %bb.153:
	v_and_b32_e32 v9, 0xffff, v12
	v_cndmask_b32_e64 v9, v9, 1, s[2:3]
	v_cndmask_b32_e64 v2, v8, v2, s[2:3]
	;; [unrolled: 1-line block ×3, first 2 shown]
                                        ; implicit-def: $vgpr7_vgpr8
; %bb.154:
	s_andn2_saveexec_b64 s[8:9], s[8:9]
; %bb.155:
	v_cmp_lt_i64_e64 s[2:3], v[7:8], v[1:2]
	v_mov_b32_e32 v9, 1
	v_cndmask_b32_e64 v2, v2, v8, s[2:3]
	v_cndmask_b32_e64 v1, v1, v7, s[2:3]
; %bb.156:
	s_or_b64 exec, exec, s[8:9]
	s_or_b64 exec, exec, s[10:11]
	s_and_saveexec_b64 s[8:9], s[0:1]
	s_cbranch_execz .LBB1955_61
.LBB1955_157:
	v_and_b32_e32 v7, 1, v9
	v_cmp_eq_u32_e64 s[0:1], 1, v7
	v_and_b32_e32 v7, 1, v11
	v_cmp_eq_u32_e64 s[2:3], 1, v7
	s_and_b64 s[2:3], s[0:1], s[2:3]
	s_xor_b64 s[2:3], s[2:3], -1
                                        ; implicit-def: $vgpr9
	s_and_saveexec_b64 s[10:11], s[2:3]
	s_xor_b64 s[2:3], exec, s[10:11]
; %bb.158:
	v_and_b32_e32 v7, 0xffff, v11
	v_cndmask_b32_e64 v9, v7, 1, s[0:1]
	v_cndmask_b32_e64 v2, v6, v2, s[0:1]
	;; [unrolled: 1-line block ×3, first 2 shown]
                                        ; implicit-def: $vgpr5_vgpr6
; %bb.159:
	s_andn2_saveexec_b64 s[2:3], s[2:3]
; %bb.160:
	v_cmp_lt_i64_e64 s[0:1], v[5:6], v[1:2]
	v_mov_b32_e32 v9, 1
	v_cndmask_b32_e64 v2, v2, v6, s[0:1]
	v_cndmask_b32_e64 v1, v1, v5, s[0:1]
; %bb.161:
	s_or_b64 exec, exec, s[2:3]
	s_or_b64 exec, exec, s[8:9]
	s_and_saveexec_b64 s[2:3], vcc
	s_cbranch_execz .LBB1955_167
.LBB1955_162:
	v_and_b32_e32 v5, 1, v9
	v_cmp_eq_u32_e32 vcc, 1, v5
	v_and_b32_e32 v5, 1, v10
	v_cmp_eq_u32_e64 s[0:1], 1, v5
	s_and_b64 s[0:1], vcc, s[0:1]
	s_xor_b64 s[0:1], s[0:1], -1
                                        ; implicit-def: $vgpr9
	s_and_saveexec_b64 s[8:9], s[0:1]
	s_xor_b64 s[0:1], exec, s[8:9]
; %bb.163:
	v_and_b32_e32 v5, 0xffff, v10
	v_cndmask_b32_e64 v9, v5, 1, vcc
	v_cndmask_b32_e32 v2, v4, v2, vcc
	v_cndmask_b32_e32 v1, v3, v1, vcc
                                        ; implicit-def: $vgpr3_vgpr4
; %bb.164:
	s_andn2_saveexec_b64 s[0:1], s[0:1]
; %bb.165:
	v_cmp_lt_i64_e32 vcc, v[3:4], v[1:2]
	v_mov_b32_e32 v9, 1
	v_cndmask_b32_e32 v2, v2, v4, vcc
	v_cndmask_b32_e32 v1, v1, v3, vcc
; %bb.166:
	s_or_b64 exec, exec, s[0:1]
.LBB1955_167:
	s_or_b64 exec, exec, s[2:3]
	v_mbcnt_lo_u32_b32 v3, -1, 0
	v_mbcnt_hi_u32_b32 v5, -1, v3
	v_and_b32_e32 v6, 63, v5
	v_cmp_ne_u32_e32 vcc, 63, v6
	v_addc_co_u32_e32 v3, vcc, 0, v5, vcc
	v_lshlrev_b32_e32 v4, 2, v3
	ds_bpermute_b32 v8, v4, v9
	ds_bpermute_b32 v3, v4, v1
	;; [unrolled: 1-line block ×3, first 2 shown]
	s_min_u32 s8, s12, 0x80
	v_and_b32_e32 v7, 64, v0
	v_sub_u32_e64 v7, s8, v7 clamp
	v_add_u32_e32 v10, 1, v6
	v_cmp_lt_u32_e32 vcc, v10, v7
	s_and_saveexec_b64 s[0:1], vcc
	s_xor_b64 s[0:1], exec, s[0:1]
	s_cbranch_execz .LBB1955_173
; %bb.168:
	s_waitcnt lgkmcnt(2)
	v_and_b32_e32 v10, v8, v9
	v_cmp_ne_u32_e32 vcc, 0, v10
	s_and_saveexec_b64 s[2:3], vcc
	s_xor_b64 s[2:3], exec, s[2:3]
	s_cbranch_execz .LBB1955_170
; %bb.169:
	s_waitcnt lgkmcnt(0)
	v_cmp_lt_i64_e32 vcc, v[3:4], v[1:2]
                                        ; implicit-def: $vgpr9
                                        ; implicit-def: $vgpr8
	v_cndmask_b32_e32 v2, v2, v4, vcc
	v_cndmask_b32_e32 v1, v1, v3, vcc
                                        ; implicit-def: $vgpr3_vgpr4
.LBB1955_170:
	s_or_saveexec_b64 s[2:3], s[2:3]
	v_mov_b32_e32 v10, 1
	s_xor_b64 exec, exec, s[2:3]
	s_cbranch_execz .LBB1955_172
; %bb.171:
	v_and_b32_e32 v9, 1, v9
	v_cmp_eq_u32_e32 vcc, 1, v9
	s_waitcnt lgkmcnt(1)
	v_cndmask_b32_e32 v1, v3, v1, vcc
	v_and_b32_e32 v3, 0xff, v8
	s_waitcnt lgkmcnt(0)
	v_cndmask_b32_e32 v2, v4, v2, vcc
	v_cndmask_b32_e64 v10, v3, 1, vcc
.LBB1955_172:
	s_or_b64 exec, exec, s[2:3]
	v_mov_b32_e32 v9, v10
.LBB1955_173:
	s_or_b64 exec, exec, s[0:1]
	v_cmp_gt_u32_e32 vcc, 62, v6
	s_waitcnt lgkmcnt(1)
	v_cndmask_b32_e64 v3, 0, 2, vcc
	s_waitcnt lgkmcnt(0)
	v_add_lshl_u32 v4, v3, v5, 2
	ds_bpermute_b32 v8, v4, v9
	ds_bpermute_b32 v3, v4, v1
	ds_bpermute_b32 v4, v4, v2
	v_add_u32_e32 v10, 2, v6
	v_cmp_lt_u32_e32 vcc, v10, v7
	s_and_saveexec_b64 s[0:1], vcc
	s_cbranch_execz .LBB1955_179
; %bb.174:
	s_waitcnt lgkmcnt(2)
	v_and_b32_e32 v10, v9, v8
	v_and_b32_e32 v10, 1, v10
	v_cmp_eq_u32_e32 vcc, 1, v10
	s_and_saveexec_b64 s[2:3], vcc
	s_xor_b64 s[2:3], exec, s[2:3]
	s_cbranch_execz .LBB1955_176
; %bb.175:
	s_waitcnt lgkmcnt(0)
	v_cmp_lt_i64_e32 vcc, v[3:4], v[1:2]
                                        ; implicit-def: $vgpr9
                                        ; implicit-def: $vgpr8
	v_cndmask_b32_e32 v2, v2, v4, vcc
	v_cndmask_b32_e32 v1, v1, v3, vcc
                                        ; implicit-def: $vgpr3_vgpr4
.LBB1955_176:
	s_or_saveexec_b64 s[2:3], s[2:3]
	v_mov_b32_e32 v10, 1
	s_xor_b64 exec, exec, s[2:3]
	s_cbranch_execz .LBB1955_178
; %bb.177:
	v_and_b32_e32 v9, 1, v9
	v_cmp_eq_u32_e32 vcc, 1, v9
	s_waitcnt lgkmcnt(1)
	v_cndmask_b32_e32 v1, v3, v1, vcc
	v_and_b32_e32 v3, 0xff, v8
	s_waitcnt lgkmcnt(0)
	v_cndmask_b32_e32 v2, v4, v2, vcc
	v_cndmask_b32_e64 v10, v3, 1, vcc
.LBB1955_178:
	s_or_b64 exec, exec, s[2:3]
	v_mov_b32_e32 v9, v10
.LBB1955_179:
	s_or_b64 exec, exec, s[0:1]
	v_cmp_gt_u32_e32 vcc, 60, v6
	s_waitcnt lgkmcnt(1)
	v_cndmask_b32_e64 v3, 0, 4, vcc
	s_waitcnt lgkmcnt(0)
	v_add_lshl_u32 v4, v3, v5, 2
	ds_bpermute_b32 v8, v4, v9
	ds_bpermute_b32 v3, v4, v1
	ds_bpermute_b32 v4, v4, v2
	v_add_u32_e32 v10, 4, v6
	v_cmp_lt_u32_e32 vcc, v10, v7
	s_and_saveexec_b64 s[0:1], vcc
	s_cbranch_execz .LBB1955_185
; %bb.180:
	s_waitcnt lgkmcnt(2)
	v_and_b32_e32 v10, v9, v8
	v_and_b32_e32 v10, 1, v10
	v_cmp_eq_u32_e32 vcc, 1, v10
	s_and_saveexec_b64 s[2:3], vcc
	s_xor_b64 s[2:3], exec, s[2:3]
	s_cbranch_execz .LBB1955_182
; %bb.181:
	s_waitcnt lgkmcnt(0)
	v_cmp_lt_i64_e32 vcc, v[3:4], v[1:2]
                                        ; implicit-def: $vgpr9
                                        ; implicit-def: $vgpr8
	v_cndmask_b32_e32 v2, v2, v4, vcc
	v_cndmask_b32_e32 v1, v1, v3, vcc
                                        ; implicit-def: $vgpr3_vgpr4
.LBB1955_182:
	s_or_saveexec_b64 s[2:3], s[2:3]
	v_mov_b32_e32 v10, 1
	s_xor_b64 exec, exec, s[2:3]
	s_cbranch_execz .LBB1955_184
; %bb.183:
	v_and_b32_e32 v9, 1, v9
	v_cmp_eq_u32_e32 vcc, 1, v9
	s_waitcnt lgkmcnt(1)
	v_cndmask_b32_e32 v1, v3, v1, vcc
	v_and_b32_e32 v3, 0xff, v8
	s_waitcnt lgkmcnt(0)
	v_cndmask_b32_e32 v2, v4, v2, vcc
	v_cndmask_b32_e64 v10, v3, 1, vcc
.LBB1955_184:
	s_or_b64 exec, exec, s[2:3]
	v_mov_b32_e32 v9, v10
.LBB1955_185:
	;; [unrolled: 47-line block ×4, first 2 shown]
	s_or_b64 exec, exec, s[0:1]
	s_waitcnt lgkmcnt(2)
	v_lshlrev_b32_e32 v8, 2, v5
	s_waitcnt lgkmcnt(0)
	v_or_b32_e32 v4, 0x80, v8
	ds_bpermute_b32 v10, v4, v9
	ds_bpermute_b32 v3, v4, v1
	;; [unrolled: 1-line block ×3, first 2 shown]
	v_add_u32_e32 v6, 32, v6
	v_cmp_lt_u32_e32 vcc, v6, v7
	v_mov_b32_e32 v6, v9
	s_and_saveexec_b64 s[0:1], vcc
	s_cbranch_execz .LBB1955_203
; %bb.198:
	s_waitcnt lgkmcnt(2)
	v_and_b32_e32 v6, v9, v10
	v_and_b32_e32 v6, 1, v6
	v_cmp_eq_u32_e32 vcc, 1, v6
	s_and_saveexec_b64 s[2:3], vcc
	s_xor_b64 s[2:3], exec, s[2:3]
	s_cbranch_execz .LBB1955_200
; %bb.199:
	s_waitcnt lgkmcnt(0)
	v_cmp_lt_i64_e32 vcc, v[3:4], v[1:2]
                                        ; implicit-def: $vgpr9
                                        ; implicit-def: $vgpr10
	v_cndmask_b32_e32 v2, v2, v4, vcc
	v_cndmask_b32_e32 v1, v1, v3, vcc
                                        ; implicit-def: $vgpr3_vgpr4
.LBB1955_200:
	s_or_saveexec_b64 s[2:3], s[2:3]
	v_mov_b32_e32 v6, 1
	s_xor_b64 exec, exec, s[2:3]
	s_cbranch_execz .LBB1955_202
; %bb.201:
	v_and_b32_e32 v6, 1, v9
	v_cmp_eq_u32_e32 vcc, 1, v6
	v_cndmask_b32_e64 v6, v10, 1, vcc
	s_waitcnt lgkmcnt(0)
	v_cndmask_b32_e32 v2, v4, v2, vcc
	v_cndmask_b32_e32 v1, v3, v1, vcc
.LBB1955_202:
	s_or_b64 exec, exec, s[2:3]
	v_and_b32_e32 v9, 0xff, v6
.LBB1955_203:
	s_or_b64 exec, exec, s[0:1]
	v_cmp_eq_u32_e32 vcc, 0, v5
	s_and_saveexec_b64 s[0:1], vcc
	s_cbranch_execz .LBB1955_205
; %bb.204:
	s_waitcnt lgkmcnt(1)
	v_lshrrev_b32_e32 v3, 2, v0
	v_and_b32_e32 v3, 16, v3
	ds_write_b8 v3, v6 offset:128
	ds_write_b64 v3, v[1:2] offset:136
.LBB1955_205:
	s_or_b64 exec, exec, s[0:1]
	v_cmp_gt_u32_e32 vcc, 2, v0
	s_waitcnt lgkmcnt(0)
	s_barrier
	s_and_saveexec_b64 s[0:1], vcc
	s_cbranch_execz .LBB1955_213
; %bb.206:
	v_lshlrev_b32_e32 v1, 4, v5
	ds_read_u8 v6, v1 offset:128
	ds_read_b64 v[1:2], v1 offset:136
	v_or_b32_e32 v4, 4, v8
	s_add_i32 s8, s8, 63
	v_and_b32_e32 v5, 1, v5
	s_waitcnt lgkmcnt(1)
	v_and_b32_e32 v9, 0xff, v6
	s_waitcnt lgkmcnt(0)
	ds_bpermute_b32 v3, v4, v1
	ds_bpermute_b32 v7, v4, v9
	;; [unrolled: 1-line block ×3, first 2 shown]
	s_lshr_b32 s2, s8, 6
	v_add_u32_e32 v5, 1, v5
	v_cmp_gt_u32_e32 vcc, s2, v5
	s_and_saveexec_b64 s[2:3], vcc
	s_cbranch_execz .LBB1955_212
; %bb.207:
	s_waitcnt lgkmcnt(1)
	v_and_b32_e32 v5, v9, v7
	v_and_b32_e32 v5, 1, v5
	v_cmp_eq_u32_e32 vcc, 1, v5
	s_and_saveexec_b64 s[8:9], vcc
	s_xor_b64 s[8:9], exec, s[8:9]
	s_cbranch_execz .LBB1955_209
; %bb.208:
	s_waitcnt lgkmcnt(0)
	v_cmp_lt_i64_e32 vcc, v[3:4], v[1:2]
                                        ; implicit-def: $vgpr6
                                        ; implicit-def: $vgpr7
	v_cndmask_b32_e32 v2, v2, v4, vcc
	v_cndmask_b32_e32 v1, v1, v3, vcc
                                        ; implicit-def: $vgpr3_vgpr4
.LBB1955_209:
	s_or_saveexec_b64 s[8:9], s[8:9]
	v_mov_b32_e32 v9, 1
	s_xor_b64 exec, exec, s[8:9]
	s_cbranch_execz .LBB1955_211
; %bb.210:
	v_and_b32_e32 v5, 1, v6
	v_cmp_eq_u32_e32 vcc, 1, v5
	s_waitcnt lgkmcnt(0)
	v_cndmask_b32_e32 v2, v4, v2, vcc
	v_cndmask_b32_e32 v1, v3, v1, vcc
	v_cndmask_b32_e64 v9, v7, 1, vcc
.LBB1955_211:
	s_or_b64 exec, exec, s[8:9]
.LBB1955_212:
	s_or_b64 exec, exec, s[2:3]
.LBB1955_213:
	s_or_b64 exec, exec, s[0:1]
.LBB1955_214:
	v_cmp_eq_u32_e32 vcc, 0, v0
                                        ; implicit-def: $vgpr3_vgpr4
                                        ; implicit-def: $vgpr5
	s_and_saveexec_b64 s[0:1], vcc
	s_xor_b64 s[8:9], exec, s[0:1]
	s_cbranch_execz .LBB1955_218
; %bb.215:
	s_waitcnt lgkmcnt(0)
	v_mov_b32_e32 v3, s18
	s_cmp_eq_u64 s[22:23], 0
	v_mov_b32_e32 v4, s19
	v_mov_b32_e32 v5, s33
	s_cbranch_scc1 .LBB1955_217
; %bb.216:
	v_and_b32_e32 v3, 1, v9
	v_cmp_gt_i64_e64 s[0:1], s[18:19], v[1:2]
	s_bitcmp1_b32 s33, 0
	v_cmp_eq_u32_e32 vcc, 1, v3
	s_cselect_b64 s[2:3], -1, 0
	v_mov_b32_e32 v3, s18
	s_and_b64 vcc, vcc, s[0:1]
	v_mov_b32_e32 v4, s19
	v_cndmask_b32_e32 v3, v3, v1, vcc
	v_cndmask_b32_e32 v4, v4, v2, vcc
	v_cndmask_b32_e64 v5, v9, 1, s[2:3]
	v_cndmask_b32_e64 v4, v2, v4, s[2:3]
	;; [unrolled: 1-line block ×3, first 2 shown]
.LBB1955_217:
	s_or_b64 s[14:15], s[14:15], exec
.LBB1955_218:
	s_or_b64 exec, exec, s[8:9]
	v_mov_b32_e32 v1, s6
	v_mov_b32_e32 v2, s7
	s_branch .LBB1955_306
.LBB1955_219:
	s_cmp_gt_i32 s35, 1
	s_cbranch_scc0 .LBB1955_231
; %bb.220:
	s_cmp_eq_u32 s35, 2
	s_cbranch_scc0 .LBB1955_232
; %bb.221:
	s_mov_b32 s7, 0
	s_lshl_b32 s26, s6, 8
	s_mov_b32 s27, s7
	s_lshr_b64 s[0:1], s[22:23], 8
	s_lshl_b64 s[2:3], s[26:27], 2
	s_add_u32 s16, s24, s2
	s_addc_u32 s17, s25, s3
	s_add_u32 s27, s20, s26
	s_addc_u32 s28, s21, 0
	s_cmp_lg_u64 s[0:1], s[6:7]
	s_cbranch_scc0 .LBB1955_233
; %bb.222:
	v_lshlrev_b32_e32 v1, 2, v0
	global_load_dword v2, v1, s[16:17] offset:512
	s_waitcnt lgkmcnt(0)
	global_load_dword v4, v1, s[16:17]
	v_mov_b32_e32 v1, s28
	v_add_co_u32_e32 v6, vcc, s27, v0
	v_addc_co_u32_e32 v1, vcc, 0, v1, vcc
	v_add_co_u32_e32 v7, vcc, 0x80, v6
	v_addc_co_u32_e32 v8, vcc, 0, v1, vcc
	v_mbcnt_lo_u32_b32 v3, -1, 0
	v_mbcnt_hi_u32_b32 v3, -1, v3
	v_lshlrev_b32_e32 v5, 2, v3
	v_or_b32_e32 v10, 0xfc, v5
	s_waitcnt vmcnt(1)
	v_cmp_eq_f32_e32 vcc, s34, v2
	s_waitcnt vmcnt(0)
	v_cmp_eq_f32_e64 s[0:1], s34, v4
	v_cndmask_b32_e64 v2, v8, v1, s[0:1]
	v_cndmask_b32_e64 v1, v7, v6, s[0:1]
	s_or_b64 s[0:1], s[0:1], vcc
	v_mov_b32_dpp v7, v2 quad_perm:[1,0,3,2] row_mask:0xf bank_mask:0xf bound_ctrl:1
	v_mov_b32_dpp v6, v1 quad_perm:[1,0,3,2] row_mask:0xf bank_mask:0xf bound_ctrl:1
	v_cndmask_b32_e64 v4, 0, 1, s[0:1]
	v_cmp_lt_i64_e32 vcc, v[1:2], v[6:7]
	s_and_b64 vcc, s[0:1], vcc
	v_mov_b32_dpp v8, v4 quad_perm:[1,0,3,2] row_mask:0xf bank_mask:0xf bound_ctrl:1
	v_and_b32_e32 v8, 1, v8
	v_cndmask_b32_e32 v6, v6, v1, vcc
	v_cndmask_b32_e32 v7, v7, v2, vcc
	v_cmp_eq_u32_e32 vcc, 1, v8
	v_cndmask_b32_e32 v2, v2, v7, vcc
	v_cndmask_b32_e32 v1, v1, v6, vcc
	v_cndmask_b32_e64 v4, v4, 1, vcc
	v_mov_b32_dpp v7, v2 quad_perm:[2,3,0,1] row_mask:0xf bank_mask:0xf bound_ctrl:1
	v_mov_b32_dpp v6, v1 quad_perm:[2,3,0,1] row_mask:0xf bank_mask:0xf bound_ctrl:1
	v_and_b32_e32 v9, 1, v4
	v_cmp_lt_i64_e64 s[0:1], v[1:2], v[6:7]
	v_mov_b32_dpp v8, v4 quad_perm:[2,3,0,1] row_mask:0xf bank_mask:0xf bound_ctrl:1
	v_cmp_eq_u32_e32 vcc, 1, v9
	v_and_b32_e32 v8, 1, v8
	s_and_b64 vcc, vcc, s[0:1]
	v_cmp_eq_u32_e64 s[2:3], 1, v8
	v_cndmask_b32_e32 v6, v6, v1, vcc
	v_cndmask_b32_e32 v7, v7, v2, vcc
	v_cndmask_b32_e64 v1, v1, v6, s[2:3]
	v_cndmask_b32_e64 v2, v2, v7, s[2:3]
	;; [unrolled: 1-line block ×3, first 2 shown]
	v_mov_b32_dpp v6, v1 row_ror:4 row_mask:0xf bank_mask:0xf bound_ctrl:1
	v_mov_b32_dpp v7, v2 row_ror:4 row_mask:0xf bank_mask:0xf bound_ctrl:1
	v_and_b32_e32 v9, 1, v4
	v_cmp_lt_i64_e64 s[2:3], v[1:2], v[6:7]
	v_mov_b32_dpp v8, v4 row_ror:4 row_mask:0xf bank_mask:0xf bound_ctrl:1
	v_cmp_eq_u32_e32 vcc, 1, v9
	v_and_b32_e32 v8, 1, v8
	s_and_b64 vcc, vcc, s[2:3]
	v_cmp_eq_u32_e64 s[0:1], 1, v8
	v_cndmask_b32_e32 v6, v6, v1, vcc
	v_cndmask_b32_e32 v7, v7, v2, vcc
	v_cndmask_b32_e64 v1, v1, v6, s[0:1]
	v_cndmask_b32_e64 v2, v2, v7, s[0:1]
	v_cndmask_b32_e64 v4, v4, 1, s[0:1]
	v_mov_b32_dpp v6, v1 row_ror:8 row_mask:0xf bank_mask:0xf bound_ctrl:1
	v_mov_b32_dpp v7, v2 row_ror:8 row_mask:0xf bank_mask:0xf bound_ctrl:1
	v_and_b32_e32 v9, 1, v4
	v_cmp_lt_i64_e64 s[2:3], v[1:2], v[6:7]
	v_mov_b32_dpp v8, v4 row_ror:8 row_mask:0xf bank_mask:0xf bound_ctrl:1
	v_cmp_eq_u32_e64 s[8:9], 1, v9
	v_and_b32_e32 v8, 1, v8
	s_and_b64 s[2:3], s[8:9], s[2:3]
	v_cmp_eq_u32_e64 s[10:11], 1, v8
	v_cndmask_b32_e64 v6, v6, v1, s[2:3]
	v_cndmask_b32_e64 v7, v7, v2, s[2:3]
	;; [unrolled: 1-line block ×5, first 2 shown]
	v_mov_b32_dpp v8, v4 row_bcast:15 row_mask:0xf bank_mask:0xf bound_ctrl:1
	v_mov_b32_dpp v6, v1 row_bcast:15 row_mask:0xf bank_mask:0xf bound_ctrl:1
	v_mov_b32_dpp v7, v2 row_bcast:15 row_mask:0xf bank_mask:0xf bound_ctrl:1
	v_and_b32_e32 v9, 1, v4
	v_and_b32_e32 v8, 1, v8
	v_cmp_lt_i64_e64 s[2:3], v[1:2], v[6:7]
	v_cmp_eq_u32_e32 vcc, 1, v9
	v_cmp_eq_u32_e64 s[0:1], 1, v8
	v_cndmask_b32_e64 v4, v4, 1, s[0:1]
	s_and_b64 vcc, vcc, s[2:3]
	v_cndmask_b32_e32 v6, v6, v1, vcc
	v_mov_b32_dpp v8, v4 row_bcast:31 row_mask:0xf bank_mask:0xf bound_ctrl:1
	v_cndmask_b32_e32 v7, v7, v2, vcc
	v_and_b32_e32 v9, 1, v4
	v_and_b32_e32 v8, 1, v8
	v_cndmask_b32_e64 v1, v1, v6, s[0:1]
	v_cndmask_b32_e64 v2, v2, v7, s[0:1]
	v_cmp_eq_u32_e64 s[12:13], 1, v9
	v_cmp_eq_u32_e64 s[8:9], 1, v8
	v_mov_b32_dpp v8, v1 row_bcast:31 row_mask:0xf bank_mask:0xf bound_ctrl:1
	v_mov_b32_dpp v9, v2 row_bcast:31 row_mask:0xf bank_mask:0xf bound_ctrl:1
	v_cmp_lt_i64_e32 vcc, v[1:2], v[8:9]
	v_cndmask_b32_e64 v4, v4, 1, s[8:9]
	s_and_b64 vcc, s[12:13], vcc
	ds_bpermute_b32 v7, v10, v4
	v_cndmask_b32_e32 v4, v8, v1, vcc
	v_cndmask_b32_e32 v6, v9, v2, vcc
	v_cndmask_b32_e64 v1, v1, v4, s[8:9]
	v_cndmask_b32_e64 v2, v2, v6, s[8:9]
	ds_bpermute_b32 v1, v10, v1
	ds_bpermute_b32 v2, v10, v2
	v_cmp_eq_u32_e32 vcc, 0, v3
	s_and_saveexec_b64 s[0:1], vcc
	s_cbranch_execz .LBB1955_224
; %bb.223:
	v_lshrrev_b32_e32 v4, 2, v0
	v_and_b32_e32 v4, 16, v4
	s_waitcnt lgkmcnt(2)
	ds_write_b8 v4, v7 offset:32
	s_waitcnt lgkmcnt(1)
	ds_write_b64 v4, v[1:2] offset:40
.LBB1955_224:
	s_or_b64 exec, exec, s[0:1]
	v_cmp_gt_u32_e32 vcc, 64, v0
	s_waitcnt lgkmcnt(0)
	s_barrier
	s_and_saveexec_b64 s[0:1], vcc
	s_cbranch_execz .LBB1955_230
; %bb.225:
	v_and_b32_e32 v1, 1, v3
	v_lshlrev_b32_e32 v1, 4, v1
	ds_read_u8 v8, v1 offset:32
	ds_read_b64 v[3:4], v1 offset:40
	v_or_b32_e32 v2, 4, v5
	s_waitcnt lgkmcnt(1)
	v_and_b32_e32 v1, 0xff, v8
	ds_bpermute_b32 v9, v2, v1
	s_waitcnt lgkmcnt(1)
	ds_bpermute_b32 v5, v2, v3
	ds_bpermute_b32 v6, v2, v4
	s_waitcnt lgkmcnt(2)
	v_and_b32_e32 v1, v8, v9
	v_and_b32_e32 v1, 1, v1
	v_cmp_eq_u32_e32 vcc, 1, v1
                                        ; implicit-def: $vgpr1_vgpr2
	s_and_saveexec_b64 s[2:3], vcc
	s_xor_b64 s[2:3], exec, s[2:3]
	s_cbranch_execz .LBB1955_227
; %bb.226:
	s_waitcnt lgkmcnt(0)
	v_cmp_lt_i64_e32 vcc, v[5:6], v[3:4]
                                        ; implicit-def: $vgpr8
                                        ; implicit-def: $vgpr9
	v_cndmask_b32_e32 v2, v4, v6, vcc
	v_cndmask_b32_e32 v1, v3, v5, vcc
                                        ; implicit-def: $vgpr5_vgpr6
                                        ; implicit-def: $vgpr3_vgpr4
.LBB1955_227:
	s_or_saveexec_b64 s[2:3], s[2:3]
	v_mov_b32_e32 v7, 1
	s_xor_b64 exec, exec, s[2:3]
	s_cbranch_execz .LBB1955_229
; %bb.228:
	v_and_b32_e32 v1, 1, v8
	v_cmp_eq_u32_e32 vcc, 1, v1
	s_waitcnt lgkmcnt(0)
	v_cndmask_b32_e32 v2, v6, v4, vcc
	v_cndmask_b32_e32 v1, v5, v3, vcc
	v_cndmask_b32_e64 v7, v9, 1, vcc
.LBB1955_229:
	s_or_b64 exec, exec, s[2:3]
.LBB1955_230:
	s_or_b64 exec, exec, s[0:1]
	s_branch .LBB1955_285
.LBB1955_231:
                                        ; implicit-def: $vgpr3_vgpr4
                                        ; implicit-def: $vgpr5
                                        ; implicit-def: $vgpr1_vgpr2
	s_cbranch_execnz .LBB1955_290
	s_branch .LBB1955_306
.LBB1955_232:
                                        ; implicit-def: $vgpr3_vgpr4
                                        ; implicit-def: $vgpr5
                                        ; implicit-def: $vgpr1_vgpr2
	s_branch .LBB1955_306
.LBB1955_233:
                                        ; implicit-def: $vgpr1_vgpr2
                                        ; implicit-def: $vgpr7
	s_cbranch_execz .LBB1955_285
; %bb.234:
	s_sub_i32 s10, s22, s26
	s_waitcnt lgkmcnt(0)
	v_mov_b32_e32 v3, 0
	v_mov_b32_e32 v1, 0
	v_cmp_gt_u32_e32 vcc, s10, v0
	v_mov_b32_e32 v5, 0
	v_mov_b32_e32 v4, 0
	;; [unrolled: 1-line block ×4, first 2 shown]
	s_and_saveexec_b64 s[0:1], vcc
	s_cbranch_execz .LBB1955_236
; %bb.235:
	v_lshlrev_b32_e32 v1, 2, v0
	global_load_dword v6, v1, s[16:17]
	v_mov_b32_e32 v2, s28
	v_add_co_u32_e32 v1, vcc, s27, v0
	v_addc_co_u32_e32 v2, vcc, 0, v2, vcc
	s_waitcnt vmcnt(0)
	v_cmp_eq_f32_e32 vcc, s34, v6
	v_cndmask_b32_e64 v6, 0, 1, vcc
.LBB1955_236:
	s_or_b64 exec, exec, s[0:1]
	v_or_b32_e32 v7, 0x80, v0
	v_cmp_gt_u32_e32 vcc, s10, v7
	s_and_saveexec_b64 s[2:3], vcc
	s_cbranch_execz .LBB1955_238
; %bb.237:
	v_lshlrev_b32_e32 v3, 2, v0
	global_load_dword v5, v3, s[16:17] offset:512
	v_mov_b32_e32 v4, s28
	v_add_co_u32_e64 v3, s[0:1], s27, v7
	v_addc_co_u32_e64 v4, s[0:1], 0, v4, s[0:1]
	s_waitcnt vmcnt(0)
	v_cmp_eq_f32_e64 s[0:1], s34, v5
	v_cndmask_b32_e64 v5, 0, 1, s[0:1]
.LBB1955_238:
	s_or_b64 exec, exec, s[2:3]
	v_and_b32_e32 v8, 0xffff, v5
	v_and_b32_e32 v5, 1, v5
	v_cmp_lt_i64_e64 s[2:3], v[3:4], v[1:2]
	v_cmp_eq_u32_e64 s[0:1], 1, v5
	v_and_b32_e32 v5, 1, v6
	v_cmp_eq_u32_e64 s[8:9], 1, v5
	s_and_b64 s[0:1], s[0:1], s[2:3]
	v_cndmask_b32_e64 v5, v8, 1, s[8:9]
	v_cndmask_b32_e64 v8, v1, v3, s[0:1]
	;; [unrolled: 1-line block ×3, first 2 shown]
	v_and_b32_e32 v7, 0xffff, v6
	v_cndmask_b32_e32 v1, v1, v3, vcc
	v_mbcnt_lo_u32_b32 v3, -1, 0
	v_cndmask_b32_e64 v6, v2, v4, s[0:1]
	v_cndmask_b32_e32 v7, v7, v5, vcc
	v_mbcnt_hi_u32_b32 v5, -1, v3
	v_cndmask_b32_e64 v4, v4, v6, s[8:9]
	v_and_b32_e32 v6, 63, v5
	v_cndmask_b32_e32 v2, v2, v4, vcc
	v_cmp_ne_u32_e32 vcc, 63, v6
	v_addc_co_u32_e32 v3, vcc, 0, v5, vcc
	v_lshlrev_b32_e32 v4, 2, v3
	ds_bpermute_b32 v9, v4, v7
	ds_bpermute_b32 v3, v4, v1
	;; [unrolled: 1-line block ×3, first 2 shown]
	s_min_u32 s8, s10, 0x80
	v_and_b32_e32 v8, 64, v0
	v_sub_u32_e64 v8, s8, v8 clamp
	v_add_u32_e32 v10, 1, v6
	v_cmp_lt_u32_e32 vcc, v10, v8
	s_and_saveexec_b64 s[0:1], vcc
	s_cbranch_execz .LBB1955_244
; %bb.239:
	s_waitcnt lgkmcnt(2)
	v_and_b32_e32 v10, v9, v7
	v_cmp_ne_u32_e32 vcc, 0, v10
	s_and_saveexec_b64 s[2:3], vcc
	s_xor_b64 s[2:3], exec, s[2:3]
	s_cbranch_execz .LBB1955_241
; %bb.240:
	s_waitcnt lgkmcnt(0)
	v_cmp_lt_i64_e32 vcc, v[3:4], v[1:2]
                                        ; implicit-def: $vgpr7
                                        ; implicit-def: $vgpr9
	v_cndmask_b32_e32 v2, v2, v4, vcc
	v_cndmask_b32_e32 v1, v1, v3, vcc
                                        ; implicit-def: $vgpr3_vgpr4
.LBB1955_241:
	s_or_saveexec_b64 s[2:3], s[2:3]
	v_mov_b32_e32 v10, 1
	s_xor_b64 exec, exec, s[2:3]
	s_cbranch_execz .LBB1955_243
; %bb.242:
	v_and_b32_e32 v7, 1, v7
	v_cmp_eq_u32_e32 vcc, 1, v7
	s_waitcnt lgkmcnt(1)
	v_cndmask_b32_e32 v1, v3, v1, vcc
	v_and_b32_e32 v3, 0xff, v9
	s_waitcnt lgkmcnt(0)
	v_cndmask_b32_e32 v2, v4, v2, vcc
	v_cndmask_b32_e64 v10, v3, 1, vcc
.LBB1955_243:
	s_or_b64 exec, exec, s[2:3]
	v_mov_b32_e32 v7, v10
.LBB1955_244:
	s_or_b64 exec, exec, s[0:1]
	v_cmp_gt_u32_e32 vcc, 62, v6
	s_waitcnt lgkmcnt(1)
	v_cndmask_b32_e64 v3, 0, 2, vcc
	s_waitcnt lgkmcnt(0)
	v_add_lshl_u32 v4, v3, v5, 2
	ds_bpermute_b32 v9, v4, v7
	ds_bpermute_b32 v3, v4, v1
	ds_bpermute_b32 v4, v4, v2
	v_add_u32_e32 v10, 2, v6
	v_cmp_lt_u32_e32 vcc, v10, v8
	s_and_saveexec_b64 s[0:1], vcc
	s_cbranch_execz .LBB1955_250
; %bb.245:
	s_waitcnt lgkmcnt(2)
	v_and_b32_e32 v10, v7, v9
	v_and_b32_e32 v10, 1, v10
	v_cmp_eq_u32_e32 vcc, 1, v10
	s_and_saveexec_b64 s[2:3], vcc
	s_xor_b64 s[2:3], exec, s[2:3]
	s_cbranch_execz .LBB1955_247
; %bb.246:
	s_waitcnt lgkmcnt(0)
	v_cmp_lt_i64_e32 vcc, v[3:4], v[1:2]
                                        ; implicit-def: $vgpr7
                                        ; implicit-def: $vgpr9
	v_cndmask_b32_e32 v2, v2, v4, vcc
	v_cndmask_b32_e32 v1, v1, v3, vcc
                                        ; implicit-def: $vgpr3_vgpr4
.LBB1955_247:
	s_or_saveexec_b64 s[2:3], s[2:3]
	v_mov_b32_e32 v10, 1
	s_xor_b64 exec, exec, s[2:3]
	s_cbranch_execz .LBB1955_249
; %bb.248:
	v_and_b32_e32 v7, 1, v7
	v_cmp_eq_u32_e32 vcc, 1, v7
	s_waitcnt lgkmcnt(1)
	v_cndmask_b32_e32 v1, v3, v1, vcc
	v_and_b32_e32 v3, 0xff, v9
	s_waitcnt lgkmcnt(0)
	v_cndmask_b32_e32 v2, v4, v2, vcc
	v_cndmask_b32_e64 v10, v3, 1, vcc
.LBB1955_249:
	s_or_b64 exec, exec, s[2:3]
	v_mov_b32_e32 v7, v10
.LBB1955_250:
	s_or_b64 exec, exec, s[0:1]
	v_cmp_gt_u32_e32 vcc, 60, v6
	s_waitcnt lgkmcnt(1)
	v_cndmask_b32_e64 v3, 0, 4, vcc
	s_waitcnt lgkmcnt(0)
	v_add_lshl_u32 v4, v3, v5, 2
	ds_bpermute_b32 v9, v4, v7
	ds_bpermute_b32 v3, v4, v1
	ds_bpermute_b32 v4, v4, v2
	v_add_u32_e32 v10, 4, v6
	v_cmp_lt_u32_e32 vcc, v10, v8
	s_and_saveexec_b64 s[0:1], vcc
	s_cbranch_execz .LBB1955_256
; %bb.251:
	s_waitcnt lgkmcnt(2)
	v_and_b32_e32 v10, v7, v9
	v_and_b32_e32 v10, 1, v10
	v_cmp_eq_u32_e32 vcc, 1, v10
	s_and_saveexec_b64 s[2:3], vcc
	s_xor_b64 s[2:3], exec, s[2:3]
	s_cbranch_execz .LBB1955_253
; %bb.252:
	s_waitcnt lgkmcnt(0)
	v_cmp_lt_i64_e32 vcc, v[3:4], v[1:2]
                                        ; implicit-def: $vgpr7
                                        ; implicit-def: $vgpr9
	v_cndmask_b32_e32 v2, v2, v4, vcc
	v_cndmask_b32_e32 v1, v1, v3, vcc
                                        ; implicit-def: $vgpr3_vgpr4
.LBB1955_253:
	s_or_saveexec_b64 s[2:3], s[2:3]
	v_mov_b32_e32 v10, 1
	s_xor_b64 exec, exec, s[2:3]
	s_cbranch_execz .LBB1955_255
; %bb.254:
	v_and_b32_e32 v7, 1, v7
	v_cmp_eq_u32_e32 vcc, 1, v7
	s_waitcnt lgkmcnt(1)
	v_cndmask_b32_e32 v1, v3, v1, vcc
	v_and_b32_e32 v3, 0xff, v9
	s_waitcnt lgkmcnt(0)
	v_cndmask_b32_e32 v2, v4, v2, vcc
	v_cndmask_b32_e64 v10, v3, 1, vcc
.LBB1955_255:
	s_or_b64 exec, exec, s[2:3]
	v_mov_b32_e32 v7, v10
.LBB1955_256:
	;; [unrolled: 47-line block ×4, first 2 shown]
	s_or_b64 exec, exec, s[0:1]
	s_waitcnt lgkmcnt(2)
	v_lshlrev_b32_e32 v9, 2, v5
	s_waitcnt lgkmcnt(0)
	v_or_b32_e32 v4, 0x80, v9
	ds_bpermute_b32 v10, v4, v7
	ds_bpermute_b32 v3, v4, v1
	;; [unrolled: 1-line block ×3, first 2 shown]
	v_add_u32_e32 v6, 32, v6
	v_cmp_lt_u32_e32 vcc, v6, v8
	v_mov_b32_e32 v6, v7
	s_and_saveexec_b64 s[0:1], vcc
	s_cbranch_execz .LBB1955_274
; %bb.269:
	s_waitcnt lgkmcnt(2)
	v_and_b32_e32 v6, v7, v10
	v_and_b32_e32 v6, 1, v6
	v_cmp_eq_u32_e32 vcc, 1, v6
	s_and_saveexec_b64 s[2:3], vcc
	s_xor_b64 s[2:3], exec, s[2:3]
	s_cbranch_execz .LBB1955_271
; %bb.270:
	s_waitcnt lgkmcnt(0)
	v_cmp_lt_i64_e32 vcc, v[3:4], v[1:2]
                                        ; implicit-def: $vgpr7
                                        ; implicit-def: $vgpr10
	v_cndmask_b32_e32 v2, v2, v4, vcc
	v_cndmask_b32_e32 v1, v1, v3, vcc
                                        ; implicit-def: $vgpr3_vgpr4
.LBB1955_271:
	s_or_saveexec_b64 s[2:3], s[2:3]
	v_mov_b32_e32 v6, 1
	s_xor_b64 exec, exec, s[2:3]
	s_cbranch_execz .LBB1955_273
; %bb.272:
	v_and_b32_e32 v6, 1, v7
	v_cmp_eq_u32_e32 vcc, 1, v6
	v_cndmask_b32_e64 v6, v10, 1, vcc
	s_waitcnt lgkmcnt(0)
	v_cndmask_b32_e32 v2, v4, v2, vcc
	v_cndmask_b32_e32 v1, v3, v1, vcc
.LBB1955_273:
	s_or_b64 exec, exec, s[2:3]
	v_and_b32_e32 v7, 0xff, v6
.LBB1955_274:
	s_or_b64 exec, exec, s[0:1]
	v_cmp_eq_u32_e32 vcc, 0, v5
	s_and_saveexec_b64 s[0:1], vcc
	s_cbranch_execz .LBB1955_276
; %bb.275:
	s_waitcnt lgkmcnt(1)
	v_lshrrev_b32_e32 v3, 2, v0
	v_and_b32_e32 v3, 16, v3
	ds_write_b8 v3, v6 offset:128
	ds_write_b64 v3, v[1:2] offset:136
.LBB1955_276:
	s_or_b64 exec, exec, s[0:1]
	v_cmp_gt_u32_e32 vcc, 2, v0
	s_waitcnt lgkmcnt(0)
	s_barrier
	s_and_saveexec_b64 s[0:1], vcc
	s_cbranch_execz .LBB1955_284
; %bb.277:
	v_lshlrev_b32_e32 v1, 4, v5
	ds_read_u8 v6, v1 offset:128
	ds_read_b64 v[1:2], v1 offset:136
	v_or_b32_e32 v4, 4, v9
	s_add_i32 s8, s8, 63
	v_and_b32_e32 v5, 1, v5
	s_waitcnt lgkmcnt(1)
	v_and_b32_e32 v7, 0xff, v6
	s_waitcnt lgkmcnt(0)
	ds_bpermute_b32 v3, v4, v1
	ds_bpermute_b32 v8, v4, v7
	;; [unrolled: 1-line block ×3, first 2 shown]
	s_lshr_b32 s2, s8, 6
	v_add_u32_e32 v5, 1, v5
	v_cmp_gt_u32_e32 vcc, s2, v5
	s_and_saveexec_b64 s[2:3], vcc
	s_cbranch_execz .LBB1955_283
; %bb.278:
	s_waitcnt lgkmcnt(1)
	v_and_b32_e32 v5, v7, v8
	v_and_b32_e32 v5, 1, v5
	v_cmp_eq_u32_e32 vcc, 1, v5
	s_and_saveexec_b64 s[8:9], vcc
	s_xor_b64 s[8:9], exec, s[8:9]
	s_cbranch_execz .LBB1955_280
; %bb.279:
	s_waitcnt lgkmcnt(0)
	v_cmp_lt_i64_e32 vcc, v[3:4], v[1:2]
                                        ; implicit-def: $vgpr6
                                        ; implicit-def: $vgpr8
	v_cndmask_b32_e32 v2, v2, v4, vcc
	v_cndmask_b32_e32 v1, v1, v3, vcc
                                        ; implicit-def: $vgpr3_vgpr4
.LBB1955_280:
	s_or_saveexec_b64 s[8:9], s[8:9]
	v_mov_b32_e32 v7, 1
	s_xor_b64 exec, exec, s[8:9]
	s_cbranch_execz .LBB1955_282
; %bb.281:
	v_and_b32_e32 v5, 1, v6
	v_cmp_eq_u32_e32 vcc, 1, v5
	s_waitcnt lgkmcnt(0)
	v_cndmask_b32_e32 v2, v4, v2, vcc
	v_cndmask_b32_e32 v1, v3, v1, vcc
	v_cndmask_b32_e64 v7, v8, 1, vcc
.LBB1955_282:
	s_or_b64 exec, exec, s[8:9]
.LBB1955_283:
	s_or_b64 exec, exec, s[2:3]
.LBB1955_284:
	s_or_b64 exec, exec, s[0:1]
.LBB1955_285:
	v_cmp_eq_u32_e32 vcc, 0, v0
                                        ; implicit-def: $vgpr3_vgpr4
                                        ; implicit-def: $vgpr5
	s_and_saveexec_b64 s[0:1], vcc
	s_xor_b64 s[8:9], exec, s[0:1]
	s_cbranch_execz .LBB1955_289
; %bb.286:
	s_waitcnt lgkmcnt(0)
	v_mov_b32_e32 v3, s18
	s_cmp_eq_u64 s[22:23], 0
	v_mov_b32_e32 v4, s19
	v_mov_b32_e32 v5, s33
	s_cbranch_scc1 .LBB1955_288
; %bb.287:
	v_and_b32_e32 v3, 1, v7
	v_cmp_gt_i64_e64 s[0:1], s[18:19], v[1:2]
	s_bitcmp1_b32 s33, 0
	v_cmp_eq_u32_e32 vcc, 1, v3
	s_cselect_b64 s[2:3], -1, 0
	v_mov_b32_e32 v3, s18
	s_and_b64 vcc, vcc, s[0:1]
	v_mov_b32_e32 v4, s19
	v_cndmask_b32_e32 v3, v3, v1, vcc
	v_cndmask_b32_e32 v4, v4, v2, vcc
	v_cndmask_b32_e64 v5, v7, 1, s[2:3]
	v_cndmask_b32_e64 v4, v2, v4, s[2:3]
	;; [unrolled: 1-line block ×3, first 2 shown]
.LBB1955_288:
	s_or_b64 s[14:15], s[14:15], exec
.LBB1955_289:
	s_or_b64 exec, exec, s[8:9]
	v_mov_b32_e32 v1, s6
	v_mov_b32_e32 v2, s7
	s_branch .LBB1955_306
.LBB1955_290:
	s_cmp_eq_u32 s35, 1
	s_cbranch_scc0 .LBB1955_305
; %bb.291:
	s_mov_b32 s9, 0
	s_lshl_b32 s8, s6, 7
	s_mov_b32 s7, s9
	s_lshr_b64 s[0:1], s[22:23], 7
	s_cmp_lg_u64 s[0:1], s[6:7]
	s_cbranch_scc0 .LBB1955_309
; %bb.292:
	s_lshl_b64 s[0:1], s[8:9], 2
	s_add_u32 s0, s24, s0
	s_addc_u32 s1, s25, s1
	v_lshlrev_b32_e32 v1, 2, v0
	s_waitcnt lgkmcnt(1)
	global_load_dword v5, v1, s[0:1]
	s_add_u32 s0, s20, s8
	s_addc_u32 s1, s21, 0
	v_mov_b32_e32 v2, s1
	v_add_co_u32_e32 v1, vcc, s0, v0
	v_addc_co_u32_e32 v2, vcc, 0, v2, vcc
	s_nop 0
	v_mov_b32_dpp v3, v1 quad_perm:[1,0,3,2] row_mask:0xf bank_mask:0xf bound_ctrl:1
	s_waitcnt lgkmcnt(0)
	v_mov_b32_dpp v4, v2 quad_perm:[1,0,3,2] row_mask:0xf bank_mask:0xf bound_ctrl:1
	v_cmp_lt_i64_e32 vcc, v[1:2], v[3:4]
                                        ; implicit-def: $vgpr7
	s_waitcnt vmcnt(0)
	v_cmp_eq_f32_e64 s[0:1], s34, v5
	v_cndmask_b32_e64 v5, 0, 1, s[0:1]
	s_and_b64 vcc, s[0:1], vcc
	v_cndmask_b32_e32 v3, v3, v1, vcc
	v_mov_b32_dpp v5, v5 quad_perm:[1,0,3,2] row_mask:0xf bank_mask:0xf bound_ctrl:1
	v_and_b32_e32 v5, 1, v5
	v_cndmask_b32_e32 v4, v4, v2, vcc
	v_cmp_eq_u32_e32 vcc, 1, v5
	s_or_b64 s[0:1], vcc, s[0:1]
	v_cndmask_b32_e32 v3, v1, v3, vcc
	v_cndmask_b32_e64 v1, 0, 1, s[0:1]
	v_cndmask_b32_e32 v4, v2, v4, vcc
	v_mov_b32_dpp v5, v3 quad_perm:[2,3,0,1] row_mask:0xf bank_mask:0xf bound_ctrl:1
	v_mov_b32_dpp v1, v1 quad_perm:[2,3,0,1] row_mask:0xf bank_mask:0xf bound_ctrl:1
	v_and_b32_e32 v1, 1, v1
	v_cmp_eq_u32_e32 vcc, 1, v1
	s_and_b64 s[2:3], vcc, s[0:1]
	v_mov_b32_dpp v6, v4 quad_perm:[2,3,0,1] row_mask:0xf bank_mask:0xf bound_ctrl:1
	s_xor_b64 s[2:3], s[2:3], -1
                                        ; implicit-def: $vgpr1_vgpr2
	s_and_saveexec_b64 s[10:11], s[2:3]
	s_xor_b64 s[2:3], exec, s[10:11]
; %bb.293:
	s_or_b64 s[0:1], vcc, s[0:1]
	v_cndmask_b32_e32 v2, v4, v6, vcc
	v_cndmask_b32_e32 v1, v3, v5, vcc
	v_cndmask_b32_e64 v7, 0, 1, s[0:1]
                                        ; implicit-def: $vgpr3_vgpr4
                                        ; implicit-def: $vgpr5_vgpr6
; %bb.294:
	s_andn2_saveexec_b64 s[0:1], s[2:3]
; %bb.295:
	v_cmp_lt_i64_e32 vcc, v[3:4], v[5:6]
	v_mov_b32_e32 v7, 1
	v_cndmask_b32_e32 v2, v6, v4, vcc
	v_cndmask_b32_e32 v1, v5, v3, vcc
; %bb.296:
	s_or_b64 exec, exec, s[0:1]
	s_nop 0
	v_mov_b32_dpp v4, v1 row_ror:4 row_mask:0xf bank_mask:0xf bound_ctrl:1
	v_mov_b32_dpp v5, v2 row_ror:4 row_mask:0xf bank_mask:0xf bound_ctrl:1
	v_and_b32_e32 v8, 1, v7
	v_cmp_lt_i64_e64 s[0:1], v[1:2], v[4:5]
	v_mov_b32_dpp v6, v7 row_ror:4 row_mask:0xf bank_mask:0xf bound_ctrl:1
	v_cmp_eq_u32_e32 vcc, 1, v8
	v_and_b32_e32 v6, 1, v6
	s_and_b64 vcc, vcc, s[0:1]
	v_cmp_eq_u32_e64 s[2:3], 1, v6
	v_cndmask_b32_e32 v4, v4, v1, vcc
	v_cndmask_b32_e32 v5, v5, v2, vcc
	v_cndmask_b32_e64 v2, v2, v5, s[2:3]
	v_cndmask_b32_e64 v1, v1, v4, s[2:3]
	;; [unrolled: 1-line block ×3, first 2 shown]
	v_mov_b32_dpp v5, v2 row_ror:8 row_mask:0xf bank_mask:0xf bound_ctrl:1
	v_mov_b32_dpp v4, v1 row_ror:8 row_mask:0xf bank_mask:0xf bound_ctrl:1
	v_and_b32_e32 v8, 1, v6
	v_cmp_lt_i64_e64 s[0:1], v[1:2], v[4:5]
	v_mov_b32_dpp v7, v6 row_ror:8 row_mask:0xf bank_mask:0xf bound_ctrl:1
	v_cmp_eq_u32_e32 vcc, 1, v8
	v_and_b32_e32 v7, 1, v7
	s_and_b64 vcc, vcc, s[0:1]
	v_cmp_eq_u32_e64 s[2:3], 1, v7
	v_cndmask_b32_e32 v4, v4, v1, vcc
	v_cndmask_b32_e32 v5, v5, v2, vcc
	v_cndmask_b32_e64 v2, v2, v5, s[2:3]
	v_cndmask_b32_e64 v1, v1, v4, s[2:3]
	;; [unrolled: 1-line block ×3, first 2 shown]
	v_mov_b32_dpp v5, v2 row_bcast:15 row_mask:0xf bank_mask:0xf bound_ctrl:1
	v_mov_b32_dpp v4, v1 row_bcast:15 row_mask:0xf bank_mask:0xf bound_ctrl:1
	v_and_b32_e32 v8, 1, v6
	v_cmp_lt_i64_e64 s[0:1], v[1:2], v[4:5]
	v_mov_b32_dpp v7, v6 row_bcast:15 row_mask:0xf bank_mask:0xf bound_ctrl:1
	v_cmp_eq_u32_e32 vcc, 1, v8
	v_and_b32_e32 v7, 1, v7
	s_and_b64 vcc, vcc, s[0:1]
	v_cmp_eq_u32_e64 s[2:3], 1, v7
	v_cndmask_b32_e32 v4, v4, v1, vcc
	v_cndmask_b32_e32 v5, v5, v2, vcc
	v_cndmask_b32_e64 v2, v2, v5, s[2:3]
	v_cndmask_b32_e64 v1, v1, v4, s[2:3]
	;; [unrolled: 1-line block ×3, first 2 shown]
	v_mov_b32_dpp v5, v2 row_bcast:31 row_mask:0xf bank_mask:0xf bound_ctrl:1
	v_mov_b32_dpp v4, v1 row_bcast:31 row_mask:0xf bank_mask:0xf bound_ctrl:1
	v_and_b32_e32 v8, 1, v6
	v_cmp_lt_i64_e64 s[0:1], v[1:2], v[4:5]
	v_mov_b32_dpp v7, v6 row_bcast:31 row_mask:0xf bank_mask:0xf bound_ctrl:1
	v_cmp_eq_u32_e32 vcc, 1, v8
	v_mbcnt_lo_u32_b32 v3, -1, 0
	v_and_b32_e32 v7, 1, v7
	s_and_b64 vcc, vcc, s[0:1]
	v_mbcnt_hi_u32_b32 v3, -1, v3
	v_cmp_eq_u32_e64 s[2:3], 1, v7
	v_cndmask_b32_e32 v5, v5, v2, vcc
	v_cndmask_b32_e32 v4, v4, v1, vcc
	v_cndmask_b32_e64 v2, v2, v5, s[2:3]
	v_lshlrev_b32_e32 v5, 2, v3
	v_cndmask_b32_e64 v6, v6, 1, s[2:3]
	v_cndmask_b32_e64 v1, v1, v4, s[2:3]
	v_or_b32_e32 v4, 0xfc, v5
	ds_bpermute_b32 v7, v4, v6
	ds_bpermute_b32 v1, v4, v1
	;; [unrolled: 1-line block ×3, first 2 shown]
	v_cmp_eq_u32_e32 vcc, 0, v3
	s_and_saveexec_b64 s[0:1], vcc
	s_cbranch_execz .LBB1955_298
; %bb.297:
	v_lshrrev_b32_e32 v4, 2, v0
	v_and_b32_e32 v4, 16, v4
	s_waitcnt lgkmcnt(2)
	ds_write_b8 v4, v7
	s_waitcnt lgkmcnt(1)
	ds_write_b64 v4, v[1:2] offset:8
.LBB1955_298:
	s_or_b64 exec, exec, s[0:1]
	v_cmp_gt_u32_e32 vcc, 64, v0
	s_waitcnt lgkmcnt(0)
	s_barrier
	s_and_saveexec_b64 s[0:1], vcc
	s_cbranch_execz .LBB1955_304
; %bb.299:
	v_and_b32_e32 v1, 1, v3
	v_lshlrev_b32_e32 v1, 4, v1
	ds_read_u8 v8, v1
	ds_read_b64 v[3:4], v1 offset:8
	v_or_b32_e32 v2, 4, v5
	s_waitcnt lgkmcnt(1)
	v_and_b32_e32 v1, 0xff, v8
	ds_bpermute_b32 v9, v2, v1
	s_waitcnt lgkmcnt(1)
	ds_bpermute_b32 v5, v2, v3
	ds_bpermute_b32 v6, v2, v4
	s_waitcnt lgkmcnt(2)
	v_and_b32_e32 v1, v8, v9
	v_and_b32_e32 v1, 1, v1
	v_cmp_eq_u32_e32 vcc, 1, v1
                                        ; implicit-def: $vgpr1_vgpr2
	s_and_saveexec_b64 s[2:3], vcc
	s_xor_b64 s[2:3], exec, s[2:3]
	s_cbranch_execz .LBB1955_301
; %bb.300:
	s_waitcnt lgkmcnt(0)
	v_cmp_lt_i64_e32 vcc, v[5:6], v[3:4]
                                        ; implicit-def: $vgpr8
                                        ; implicit-def: $vgpr9
	v_cndmask_b32_e32 v2, v4, v6, vcc
	v_cndmask_b32_e32 v1, v3, v5, vcc
                                        ; implicit-def: $vgpr5_vgpr6
                                        ; implicit-def: $vgpr3_vgpr4
.LBB1955_301:
	s_or_saveexec_b64 s[2:3], s[2:3]
	v_mov_b32_e32 v7, 1
	s_xor_b64 exec, exec, s[2:3]
	s_cbranch_execz .LBB1955_303
; %bb.302:
	v_and_b32_e32 v1, 1, v8
	v_cmp_eq_u32_e32 vcc, 1, v1
	s_waitcnt lgkmcnt(0)
	v_cndmask_b32_e32 v2, v6, v4, vcc
	v_cndmask_b32_e32 v1, v5, v3, vcc
	v_cndmask_b32_e64 v7, v9, 1, vcc
.LBB1955_303:
	s_or_b64 exec, exec, s[2:3]
.LBB1955_304:
	s_or_b64 exec, exec, s[0:1]
	s_branch .LBB1955_359
.LBB1955_305:
                                        ; implicit-def: $vgpr3_vgpr4
                                        ; implicit-def: $vgpr5
                                        ; implicit-def: $vgpr1_vgpr2
.LBB1955_306:
	s_and_saveexec_b64 s[0:1], s[14:15]
	s_cbranch_execz .LBB1955_308
.LBB1955_307:
	s_load_dwordx2 s[0:1], s[4:5], 0x28
	v_lshlrev_b64 v[0:1], 4, v[1:2]
	s_waitcnt lgkmcnt(0)
	v_mov_b32_e32 v2, s1
	v_add_co_u32_e32 v0, vcc, s0, v0
	v_addc_co_u32_e32 v1, vcc, v2, v1, vcc
	global_store_byte v[0:1], v5, off
	global_store_dwordx2 v[0:1], v[3:4], off offset:8
.LBB1955_308:
	s_endpgm
.LBB1955_309:
                                        ; implicit-def: $vgpr1_vgpr2
                                        ; implicit-def: $vgpr7
	s_cbranch_execz .LBB1955_359
; %bb.310:
	s_sub_i32 s2, s22, s8
	v_mov_b32_e32 v1, 0
	v_cmp_gt_u32_e32 vcc, s2, v0
	v_mov_b32_e32 v2, 0
	v_mov_b32_e32 v9, 0
	s_and_saveexec_b64 s[0:1], vcc
	s_cbranch_execz .LBB1955_312
; %bb.311:
	s_lshl_b64 s[10:11], s[8:9], 2
	s_add_u32 s10, s24, s10
	s_addc_u32 s11, s25, s11
	v_lshlrev_b32_e32 v1, 2, v0
	s_waitcnt lgkmcnt(2)
	global_load_dword v3, v1, s[10:11]
	s_add_u32 s3, s20, s8
	s_addc_u32 s8, s21, 0
	v_mov_b32_e32 v2, s8
	v_add_co_u32_e32 v1, vcc, s3, v0
	v_addc_co_u32_e32 v2, vcc, 0, v2, vcc
	s_waitcnt vmcnt(0)
	v_cmp_eq_f32_e32 vcc, s34, v3
	v_cndmask_b32_e64 v9, 0, 1, vcc
.LBB1955_312:
	s_or_b64 exec, exec, s[0:1]
	s_waitcnt lgkmcnt(2)
	v_mbcnt_lo_u32_b32 v3, -1, 0
	s_waitcnt lgkmcnt(1)
	v_mbcnt_hi_u32_b32 v5, -1, v3
	s_waitcnt lgkmcnt(0)
	v_and_b32_e32 v6, 63, v5
	v_cmp_ne_u32_e32 vcc, 63, v6
	v_addc_co_u32_e32 v3, vcc, 0, v5, vcc
	v_and_b32_e32 v7, 0xffff, v9
	v_lshlrev_b32_e32 v4, 2, v3
	ds_bpermute_b32 v10, v4, v7
	ds_bpermute_b32 v3, v4, v1
	;; [unrolled: 1-line block ×3, first 2 shown]
	s_min_u32 s8, s2, 0x80
	v_and_b32_e32 v8, 64, v0
	v_sub_u32_e64 v8, s8, v8 clamp
	v_add_u32_e32 v11, 1, v6
	v_cmp_lt_u32_e32 vcc, v11, v8
	s_and_saveexec_b64 s[0:1], vcc
	s_cbranch_execz .LBB1955_318
; %bb.313:
	s_waitcnt lgkmcnt(2)
	v_and_b32_e32 v7, v10, v7
	v_and_b32_e32 v7, 1, v7
	v_cmp_eq_u32_e32 vcc, 1, v7
	s_and_saveexec_b64 s[2:3], vcc
	s_xor_b64 s[2:3], exec, s[2:3]
	s_cbranch_execz .LBB1955_315
; %bb.314:
	s_waitcnt lgkmcnt(0)
	v_cmp_lt_i64_e32 vcc, v[3:4], v[1:2]
                                        ; implicit-def: $vgpr9
                                        ; implicit-def: $vgpr10
	v_cndmask_b32_e32 v2, v2, v4, vcc
	v_cndmask_b32_e32 v1, v1, v3, vcc
                                        ; implicit-def: $vgpr3_vgpr4
.LBB1955_315:
	s_or_saveexec_b64 s[2:3], s[2:3]
	v_mov_b32_e32 v7, 1
	s_xor_b64 exec, exec, s[2:3]
	s_cbranch_execz .LBB1955_317
; %bb.316:
	v_and_b32_e32 v7, 1, v9
	v_cmp_eq_u32_e32 vcc, 1, v7
	s_waitcnt lgkmcnt(1)
	v_cndmask_b32_e32 v1, v3, v1, vcc
	v_and_b32_e32 v3, 0xff, v10
	s_waitcnt lgkmcnt(0)
	v_cndmask_b32_e32 v2, v4, v2, vcc
	v_cndmask_b32_e64 v7, v3, 1, vcc
.LBB1955_317:
	s_or_b64 exec, exec, s[2:3]
.LBB1955_318:
	s_or_b64 exec, exec, s[0:1]
	v_cmp_gt_u32_e32 vcc, 62, v6
	s_waitcnt lgkmcnt(1)
	v_cndmask_b32_e64 v3, 0, 2, vcc
	s_waitcnt lgkmcnt(0)
	v_add_lshl_u32 v4, v3, v5, 2
	ds_bpermute_b32 v9, v4, v7
	ds_bpermute_b32 v3, v4, v1
	ds_bpermute_b32 v4, v4, v2
	v_add_u32_e32 v10, 2, v6
	v_cmp_lt_u32_e32 vcc, v10, v8
	s_and_saveexec_b64 s[0:1], vcc
	s_cbranch_execz .LBB1955_324
; %bb.319:
	s_waitcnt lgkmcnt(2)
	v_and_b32_e32 v10, v7, v9
	v_and_b32_e32 v10, 1, v10
	v_cmp_eq_u32_e32 vcc, 1, v10
	s_and_saveexec_b64 s[2:3], vcc
	s_xor_b64 s[2:3], exec, s[2:3]
	s_cbranch_execz .LBB1955_321
; %bb.320:
	s_waitcnt lgkmcnt(0)
	v_cmp_lt_i64_e32 vcc, v[3:4], v[1:2]
                                        ; implicit-def: $vgpr7
                                        ; implicit-def: $vgpr9
	v_cndmask_b32_e32 v2, v2, v4, vcc
	v_cndmask_b32_e32 v1, v1, v3, vcc
                                        ; implicit-def: $vgpr3_vgpr4
.LBB1955_321:
	s_or_saveexec_b64 s[2:3], s[2:3]
	v_mov_b32_e32 v10, 1
	s_xor_b64 exec, exec, s[2:3]
	s_cbranch_execz .LBB1955_323
; %bb.322:
	v_and_b32_e32 v7, 1, v7
	v_cmp_eq_u32_e32 vcc, 1, v7
	s_waitcnt lgkmcnt(1)
	v_cndmask_b32_e32 v1, v3, v1, vcc
	v_and_b32_e32 v3, 0xff, v9
	s_waitcnt lgkmcnt(0)
	v_cndmask_b32_e32 v2, v4, v2, vcc
	v_cndmask_b32_e64 v10, v3, 1, vcc
.LBB1955_323:
	s_or_b64 exec, exec, s[2:3]
	v_mov_b32_e32 v7, v10
.LBB1955_324:
	s_or_b64 exec, exec, s[0:1]
	v_cmp_gt_u32_e32 vcc, 60, v6
	s_waitcnt lgkmcnt(1)
	v_cndmask_b32_e64 v3, 0, 4, vcc
	s_waitcnt lgkmcnt(0)
	v_add_lshl_u32 v4, v3, v5, 2
	ds_bpermute_b32 v9, v4, v7
	ds_bpermute_b32 v3, v4, v1
	ds_bpermute_b32 v4, v4, v2
	v_add_u32_e32 v10, 4, v6
	v_cmp_lt_u32_e32 vcc, v10, v8
	s_and_saveexec_b64 s[0:1], vcc
	s_cbranch_execz .LBB1955_330
; %bb.325:
	s_waitcnt lgkmcnt(2)
	v_and_b32_e32 v10, v7, v9
	v_and_b32_e32 v10, 1, v10
	v_cmp_eq_u32_e32 vcc, 1, v10
	s_and_saveexec_b64 s[2:3], vcc
	s_xor_b64 s[2:3], exec, s[2:3]
	s_cbranch_execz .LBB1955_327
; %bb.326:
	s_waitcnt lgkmcnt(0)
	v_cmp_lt_i64_e32 vcc, v[3:4], v[1:2]
                                        ; implicit-def: $vgpr7
                                        ; implicit-def: $vgpr9
	v_cndmask_b32_e32 v2, v2, v4, vcc
	v_cndmask_b32_e32 v1, v1, v3, vcc
                                        ; implicit-def: $vgpr3_vgpr4
.LBB1955_327:
	s_or_saveexec_b64 s[2:3], s[2:3]
	v_mov_b32_e32 v10, 1
	s_xor_b64 exec, exec, s[2:3]
	s_cbranch_execz .LBB1955_329
; %bb.328:
	v_and_b32_e32 v7, 1, v7
	v_cmp_eq_u32_e32 vcc, 1, v7
	s_waitcnt lgkmcnt(1)
	v_cndmask_b32_e32 v1, v3, v1, vcc
	v_and_b32_e32 v3, 0xff, v9
	s_waitcnt lgkmcnt(0)
	v_cndmask_b32_e32 v2, v4, v2, vcc
	v_cndmask_b32_e64 v10, v3, 1, vcc
.LBB1955_329:
	s_or_b64 exec, exec, s[2:3]
	v_mov_b32_e32 v7, v10
.LBB1955_330:
	;; [unrolled: 47-line block ×4, first 2 shown]
	s_or_b64 exec, exec, s[0:1]
	s_waitcnt lgkmcnt(2)
	v_lshlrev_b32_e32 v9, 2, v5
	s_waitcnt lgkmcnt(0)
	v_or_b32_e32 v4, 0x80, v9
	ds_bpermute_b32 v10, v4, v7
	ds_bpermute_b32 v3, v4, v1
	;; [unrolled: 1-line block ×3, first 2 shown]
	v_add_u32_e32 v6, 32, v6
	v_cmp_lt_u32_e32 vcc, v6, v8
	v_mov_b32_e32 v6, v7
	s_and_saveexec_b64 s[0:1], vcc
	s_cbranch_execz .LBB1955_348
; %bb.343:
	s_waitcnt lgkmcnt(2)
	v_and_b32_e32 v6, v7, v10
	v_and_b32_e32 v6, 1, v6
	v_cmp_eq_u32_e32 vcc, 1, v6
	s_and_saveexec_b64 s[2:3], vcc
	s_xor_b64 s[2:3], exec, s[2:3]
	s_cbranch_execz .LBB1955_345
; %bb.344:
	s_waitcnt lgkmcnt(0)
	v_cmp_lt_i64_e32 vcc, v[3:4], v[1:2]
                                        ; implicit-def: $vgpr7
                                        ; implicit-def: $vgpr10
	v_cndmask_b32_e32 v2, v2, v4, vcc
	v_cndmask_b32_e32 v1, v1, v3, vcc
                                        ; implicit-def: $vgpr3_vgpr4
.LBB1955_345:
	s_or_saveexec_b64 s[2:3], s[2:3]
	v_mov_b32_e32 v6, 1
	s_xor_b64 exec, exec, s[2:3]
	s_cbranch_execz .LBB1955_347
; %bb.346:
	v_and_b32_e32 v6, 1, v7
	v_cmp_eq_u32_e32 vcc, 1, v6
	v_cndmask_b32_e64 v6, v10, 1, vcc
	s_waitcnt lgkmcnt(0)
	v_cndmask_b32_e32 v2, v4, v2, vcc
	v_cndmask_b32_e32 v1, v3, v1, vcc
.LBB1955_347:
	s_or_b64 exec, exec, s[2:3]
	v_and_b32_e32 v7, 0xff, v6
.LBB1955_348:
	s_or_b64 exec, exec, s[0:1]
	v_cmp_eq_u32_e32 vcc, 0, v5
	s_and_saveexec_b64 s[0:1], vcc
	s_cbranch_execz .LBB1955_350
; %bb.349:
	s_waitcnt lgkmcnt(1)
	v_lshrrev_b32_e32 v3, 2, v0
	v_and_b32_e32 v3, 16, v3
	ds_write_b8 v3, v6 offset:128
	ds_write_b64 v3, v[1:2] offset:136
.LBB1955_350:
	s_or_b64 exec, exec, s[0:1]
	v_cmp_gt_u32_e32 vcc, 2, v0
	s_waitcnt lgkmcnt(0)
	s_barrier
	s_and_saveexec_b64 s[0:1], vcc
	s_cbranch_execz .LBB1955_358
; %bb.351:
	v_lshlrev_b32_e32 v1, 4, v5
	ds_read_u8 v6, v1 offset:128
	ds_read_b64 v[1:2], v1 offset:136
	v_or_b32_e32 v4, 4, v9
	s_add_i32 s8, s8, 63
	v_and_b32_e32 v5, 1, v5
	s_waitcnt lgkmcnt(1)
	v_and_b32_e32 v7, 0xff, v6
	s_waitcnt lgkmcnt(0)
	ds_bpermute_b32 v3, v4, v1
	ds_bpermute_b32 v8, v4, v7
	ds_bpermute_b32 v4, v4, v2
	s_lshr_b32 s2, s8, 6
	v_add_u32_e32 v5, 1, v5
	v_cmp_gt_u32_e32 vcc, s2, v5
	s_and_saveexec_b64 s[2:3], vcc
	s_cbranch_execz .LBB1955_357
; %bb.352:
	s_waitcnt lgkmcnt(1)
	v_and_b32_e32 v5, v7, v8
	v_and_b32_e32 v5, 1, v5
	v_cmp_eq_u32_e32 vcc, 1, v5
	s_and_saveexec_b64 s[8:9], vcc
	s_xor_b64 s[8:9], exec, s[8:9]
	s_cbranch_execz .LBB1955_354
; %bb.353:
	s_waitcnt lgkmcnt(0)
	v_cmp_lt_i64_e32 vcc, v[3:4], v[1:2]
                                        ; implicit-def: $vgpr6
                                        ; implicit-def: $vgpr8
	v_cndmask_b32_e32 v2, v2, v4, vcc
	v_cndmask_b32_e32 v1, v1, v3, vcc
                                        ; implicit-def: $vgpr3_vgpr4
.LBB1955_354:
	s_or_saveexec_b64 s[8:9], s[8:9]
	v_mov_b32_e32 v7, 1
	s_xor_b64 exec, exec, s[8:9]
	s_cbranch_execz .LBB1955_356
; %bb.355:
	v_and_b32_e32 v5, 1, v6
	v_cmp_eq_u32_e32 vcc, 1, v5
	s_waitcnt lgkmcnt(0)
	v_cndmask_b32_e32 v2, v4, v2, vcc
	v_cndmask_b32_e32 v1, v3, v1, vcc
	v_cndmask_b32_e64 v7, v8, 1, vcc
.LBB1955_356:
	s_or_b64 exec, exec, s[8:9]
.LBB1955_357:
	s_or_b64 exec, exec, s[2:3]
.LBB1955_358:
	s_or_b64 exec, exec, s[0:1]
.LBB1955_359:
	v_cmp_eq_u32_e32 vcc, 0, v0
                                        ; implicit-def: $vgpr3_vgpr4
                                        ; implicit-def: $vgpr5
	s_and_saveexec_b64 s[8:9], vcc
	s_cbranch_execz .LBB1955_363
; %bb.360:
	s_waitcnt lgkmcnt(0)
	v_mov_b32_e32 v3, s18
	s_cmp_eq_u64 s[22:23], 0
	v_mov_b32_e32 v4, s19
	v_mov_b32_e32 v5, s33
	s_cbranch_scc1 .LBB1955_362
; %bb.361:
	v_and_b32_e32 v0, 1, v7
	v_cmp_gt_i64_e64 s[0:1], s[18:19], v[1:2]
	s_bitcmp1_b32 s33, 0
	v_cmp_eq_u32_e32 vcc, 1, v0
	s_cselect_b64 s[2:3], -1, 0
	v_mov_b32_e32 v0, s18
	s_and_b64 vcc, vcc, s[0:1]
	v_mov_b32_e32 v3, s19
	v_cndmask_b32_e32 v0, v0, v1, vcc
	v_cndmask_b32_e32 v3, v3, v2, vcc
	v_cndmask_b32_e64 v5, v7, 1, s[2:3]
	v_cndmask_b32_e64 v4, v2, v3, s[2:3]
	;; [unrolled: 1-line block ×3, first 2 shown]
.LBB1955_362:
	s_or_b64 s[14:15], s[14:15], exec
.LBB1955_363:
	s_or_b64 exec, exec, s[8:9]
	v_mov_b32_e32 v1, s6
	v_mov_b32_e32 v2, s7
	s_and_saveexec_b64 s[0:1], s[14:15]
	s_cbranch_execnz .LBB1955_307
	s_branch .LBB1955_308
	.section	.rodata,"a",@progbits
	.p2align	6, 0x0
	.amdhsa_kernel _ZN7rocprim17ROCPRIM_400000_NS6detail17trampoline_kernelINS0_14default_configENS1_22reduce_config_selectorIN6thrust23THRUST_200600_302600_NS5tupleIblNS6_9null_typeES8_S8_S8_S8_S8_S8_S8_EEEEZNS1_11reduce_implILb1ES3_NS6_12zip_iteratorINS7_INS6_11hip_rocprim26transform_input_iterator_tIbPfNS6_6detail10functional5actorINSH_9compositeIJNSH_27transparent_binary_operatorINS6_8equal_toIvEEEENSI_INSH_8argumentILj0EEEEENSH_5valueIfEEEEEEEEENSD_19counting_iterator_tIlEES8_S8_S8_S8_S8_S8_S8_S8_EEEEPS9_S9_NSD_9__find_if7functorIS9_EEEE10hipError_tPvRmT1_T2_T3_mT4_P12ihipStream_tbEUlT_E1_NS1_11comp_targetILNS1_3genE2ELNS1_11target_archE906ELNS1_3gpuE6ELNS1_3repE0EEENS1_30default_config_static_selectorELNS0_4arch9wavefront6targetE1EEEvS17_
		.amdhsa_group_segment_fixed_size 160
		.amdhsa_private_segment_fixed_size 0
		.amdhsa_kernarg_size 72
		.amdhsa_user_sgpr_count 6
		.amdhsa_user_sgpr_private_segment_buffer 1
		.amdhsa_user_sgpr_dispatch_ptr 0
		.amdhsa_user_sgpr_queue_ptr 0
		.amdhsa_user_sgpr_kernarg_segment_ptr 1
		.amdhsa_user_sgpr_dispatch_id 0
		.amdhsa_user_sgpr_flat_scratch_init 0
		.amdhsa_user_sgpr_private_segment_size 0
		.amdhsa_uses_dynamic_stack 0
		.amdhsa_system_sgpr_private_segment_wavefront_offset 0
		.amdhsa_system_sgpr_workgroup_id_x 1
		.amdhsa_system_sgpr_workgroup_id_y 0
		.amdhsa_system_sgpr_workgroup_id_z 0
		.amdhsa_system_sgpr_workgroup_info 0
		.amdhsa_system_vgpr_workitem_id 0
		.amdhsa_next_free_vgpr 26
		.amdhsa_next_free_sgpr 39
		.amdhsa_reserve_vcc 1
		.amdhsa_reserve_flat_scratch 0
		.amdhsa_float_round_mode_32 0
		.amdhsa_float_round_mode_16_64 0
		.amdhsa_float_denorm_mode_32 3
		.amdhsa_float_denorm_mode_16_64 3
		.amdhsa_dx10_clamp 1
		.amdhsa_ieee_mode 1
		.amdhsa_fp16_overflow 0
		.amdhsa_exception_fp_ieee_invalid_op 0
		.amdhsa_exception_fp_denorm_src 0
		.amdhsa_exception_fp_ieee_div_zero 0
		.amdhsa_exception_fp_ieee_overflow 0
		.amdhsa_exception_fp_ieee_underflow 0
		.amdhsa_exception_fp_ieee_inexact 0
		.amdhsa_exception_int_div_zero 0
	.end_amdhsa_kernel
	.section	.text._ZN7rocprim17ROCPRIM_400000_NS6detail17trampoline_kernelINS0_14default_configENS1_22reduce_config_selectorIN6thrust23THRUST_200600_302600_NS5tupleIblNS6_9null_typeES8_S8_S8_S8_S8_S8_S8_EEEEZNS1_11reduce_implILb1ES3_NS6_12zip_iteratorINS7_INS6_11hip_rocprim26transform_input_iterator_tIbPfNS6_6detail10functional5actorINSH_9compositeIJNSH_27transparent_binary_operatorINS6_8equal_toIvEEEENSI_INSH_8argumentILj0EEEEENSH_5valueIfEEEEEEEEENSD_19counting_iterator_tIlEES8_S8_S8_S8_S8_S8_S8_S8_EEEEPS9_S9_NSD_9__find_if7functorIS9_EEEE10hipError_tPvRmT1_T2_T3_mT4_P12ihipStream_tbEUlT_E1_NS1_11comp_targetILNS1_3genE2ELNS1_11target_archE906ELNS1_3gpuE6ELNS1_3repE0EEENS1_30default_config_static_selectorELNS0_4arch9wavefront6targetE1EEEvS17_,"axG",@progbits,_ZN7rocprim17ROCPRIM_400000_NS6detail17trampoline_kernelINS0_14default_configENS1_22reduce_config_selectorIN6thrust23THRUST_200600_302600_NS5tupleIblNS6_9null_typeES8_S8_S8_S8_S8_S8_S8_EEEEZNS1_11reduce_implILb1ES3_NS6_12zip_iteratorINS7_INS6_11hip_rocprim26transform_input_iterator_tIbPfNS6_6detail10functional5actorINSH_9compositeIJNSH_27transparent_binary_operatorINS6_8equal_toIvEEEENSI_INSH_8argumentILj0EEEEENSH_5valueIfEEEEEEEEENSD_19counting_iterator_tIlEES8_S8_S8_S8_S8_S8_S8_S8_EEEEPS9_S9_NSD_9__find_if7functorIS9_EEEE10hipError_tPvRmT1_T2_T3_mT4_P12ihipStream_tbEUlT_E1_NS1_11comp_targetILNS1_3genE2ELNS1_11target_archE906ELNS1_3gpuE6ELNS1_3repE0EEENS1_30default_config_static_selectorELNS0_4arch9wavefront6targetE1EEEvS17_,comdat
.Lfunc_end1955:
	.size	_ZN7rocprim17ROCPRIM_400000_NS6detail17trampoline_kernelINS0_14default_configENS1_22reduce_config_selectorIN6thrust23THRUST_200600_302600_NS5tupleIblNS6_9null_typeES8_S8_S8_S8_S8_S8_S8_EEEEZNS1_11reduce_implILb1ES3_NS6_12zip_iteratorINS7_INS6_11hip_rocprim26transform_input_iterator_tIbPfNS6_6detail10functional5actorINSH_9compositeIJNSH_27transparent_binary_operatorINS6_8equal_toIvEEEENSI_INSH_8argumentILj0EEEEENSH_5valueIfEEEEEEEEENSD_19counting_iterator_tIlEES8_S8_S8_S8_S8_S8_S8_S8_EEEEPS9_S9_NSD_9__find_if7functorIS9_EEEE10hipError_tPvRmT1_T2_T3_mT4_P12ihipStream_tbEUlT_E1_NS1_11comp_targetILNS1_3genE2ELNS1_11target_archE906ELNS1_3gpuE6ELNS1_3repE0EEENS1_30default_config_static_selectorELNS0_4arch9wavefront6targetE1EEEvS17_, .Lfunc_end1955-_ZN7rocprim17ROCPRIM_400000_NS6detail17trampoline_kernelINS0_14default_configENS1_22reduce_config_selectorIN6thrust23THRUST_200600_302600_NS5tupleIblNS6_9null_typeES8_S8_S8_S8_S8_S8_S8_EEEEZNS1_11reduce_implILb1ES3_NS6_12zip_iteratorINS7_INS6_11hip_rocprim26transform_input_iterator_tIbPfNS6_6detail10functional5actorINSH_9compositeIJNSH_27transparent_binary_operatorINS6_8equal_toIvEEEENSI_INSH_8argumentILj0EEEEENSH_5valueIfEEEEEEEEENSD_19counting_iterator_tIlEES8_S8_S8_S8_S8_S8_S8_S8_EEEEPS9_S9_NSD_9__find_if7functorIS9_EEEE10hipError_tPvRmT1_T2_T3_mT4_P12ihipStream_tbEUlT_E1_NS1_11comp_targetILNS1_3genE2ELNS1_11target_archE906ELNS1_3gpuE6ELNS1_3repE0EEENS1_30default_config_static_selectorELNS0_4arch9wavefront6targetE1EEEvS17_
                                        ; -- End function
	.set _ZN7rocprim17ROCPRIM_400000_NS6detail17trampoline_kernelINS0_14default_configENS1_22reduce_config_selectorIN6thrust23THRUST_200600_302600_NS5tupleIblNS6_9null_typeES8_S8_S8_S8_S8_S8_S8_EEEEZNS1_11reduce_implILb1ES3_NS6_12zip_iteratorINS7_INS6_11hip_rocprim26transform_input_iterator_tIbPfNS6_6detail10functional5actorINSH_9compositeIJNSH_27transparent_binary_operatorINS6_8equal_toIvEEEENSI_INSH_8argumentILj0EEEEENSH_5valueIfEEEEEEEEENSD_19counting_iterator_tIlEES8_S8_S8_S8_S8_S8_S8_S8_EEEEPS9_S9_NSD_9__find_if7functorIS9_EEEE10hipError_tPvRmT1_T2_T3_mT4_P12ihipStream_tbEUlT_E1_NS1_11comp_targetILNS1_3genE2ELNS1_11target_archE906ELNS1_3gpuE6ELNS1_3repE0EEENS1_30default_config_static_selectorELNS0_4arch9wavefront6targetE1EEEvS17_.num_vgpr, 26
	.set _ZN7rocprim17ROCPRIM_400000_NS6detail17trampoline_kernelINS0_14default_configENS1_22reduce_config_selectorIN6thrust23THRUST_200600_302600_NS5tupleIblNS6_9null_typeES8_S8_S8_S8_S8_S8_S8_EEEEZNS1_11reduce_implILb1ES3_NS6_12zip_iteratorINS7_INS6_11hip_rocprim26transform_input_iterator_tIbPfNS6_6detail10functional5actorINSH_9compositeIJNSH_27transparent_binary_operatorINS6_8equal_toIvEEEENSI_INSH_8argumentILj0EEEEENSH_5valueIfEEEEEEEEENSD_19counting_iterator_tIlEES8_S8_S8_S8_S8_S8_S8_S8_EEEEPS9_S9_NSD_9__find_if7functorIS9_EEEE10hipError_tPvRmT1_T2_T3_mT4_P12ihipStream_tbEUlT_E1_NS1_11comp_targetILNS1_3genE2ELNS1_11target_archE906ELNS1_3gpuE6ELNS1_3repE0EEENS1_30default_config_static_selectorELNS0_4arch9wavefront6targetE1EEEvS17_.num_agpr, 0
	.set _ZN7rocprim17ROCPRIM_400000_NS6detail17trampoline_kernelINS0_14default_configENS1_22reduce_config_selectorIN6thrust23THRUST_200600_302600_NS5tupleIblNS6_9null_typeES8_S8_S8_S8_S8_S8_S8_EEEEZNS1_11reduce_implILb1ES3_NS6_12zip_iteratorINS7_INS6_11hip_rocprim26transform_input_iterator_tIbPfNS6_6detail10functional5actorINSH_9compositeIJNSH_27transparent_binary_operatorINS6_8equal_toIvEEEENSI_INSH_8argumentILj0EEEEENSH_5valueIfEEEEEEEEENSD_19counting_iterator_tIlEES8_S8_S8_S8_S8_S8_S8_S8_EEEEPS9_S9_NSD_9__find_if7functorIS9_EEEE10hipError_tPvRmT1_T2_T3_mT4_P12ihipStream_tbEUlT_E1_NS1_11comp_targetILNS1_3genE2ELNS1_11target_archE906ELNS1_3gpuE6ELNS1_3repE0EEENS1_30default_config_static_selectorELNS0_4arch9wavefront6targetE1EEEvS17_.numbered_sgpr, 39
	.set _ZN7rocprim17ROCPRIM_400000_NS6detail17trampoline_kernelINS0_14default_configENS1_22reduce_config_selectorIN6thrust23THRUST_200600_302600_NS5tupleIblNS6_9null_typeES8_S8_S8_S8_S8_S8_S8_EEEEZNS1_11reduce_implILb1ES3_NS6_12zip_iteratorINS7_INS6_11hip_rocprim26transform_input_iterator_tIbPfNS6_6detail10functional5actorINSH_9compositeIJNSH_27transparent_binary_operatorINS6_8equal_toIvEEEENSI_INSH_8argumentILj0EEEEENSH_5valueIfEEEEEEEEENSD_19counting_iterator_tIlEES8_S8_S8_S8_S8_S8_S8_S8_EEEEPS9_S9_NSD_9__find_if7functorIS9_EEEE10hipError_tPvRmT1_T2_T3_mT4_P12ihipStream_tbEUlT_E1_NS1_11comp_targetILNS1_3genE2ELNS1_11target_archE906ELNS1_3gpuE6ELNS1_3repE0EEENS1_30default_config_static_selectorELNS0_4arch9wavefront6targetE1EEEvS17_.num_named_barrier, 0
	.set _ZN7rocprim17ROCPRIM_400000_NS6detail17trampoline_kernelINS0_14default_configENS1_22reduce_config_selectorIN6thrust23THRUST_200600_302600_NS5tupleIblNS6_9null_typeES8_S8_S8_S8_S8_S8_S8_EEEEZNS1_11reduce_implILb1ES3_NS6_12zip_iteratorINS7_INS6_11hip_rocprim26transform_input_iterator_tIbPfNS6_6detail10functional5actorINSH_9compositeIJNSH_27transparent_binary_operatorINS6_8equal_toIvEEEENSI_INSH_8argumentILj0EEEEENSH_5valueIfEEEEEEEEENSD_19counting_iterator_tIlEES8_S8_S8_S8_S8_S8_S8_S8_EEEEPS9_S9_NSD_9__find_if7functorIS9_EEEE10hipError_tPvRmT1_T2_T3_mT4_P12ihipStream_tbEUlT_E1_NS1_11comp_targetILNS1_3genE2ELNS1_11target_archE906ELNS1_3gpuE6ELNS1_3repE0EEENS1_30default_config_static_selectorELNS0_4arch9wavefront6targetE1EEEvS17_.private_seg_size, 0
	.set _ZN7rocprim17ROCPRIM_400000_NS6detail17trampoline_kernelINS0_14default_configENS1_22reduce_config_selectorIN6thrust23THRUST_200600_302600_NS5tupleIblNS6_9null_typeES8_S8_S8_S8_S8_S8_S8_EEEEZNS1_11reduce_implILb1ES3_NS6_12zip_iteratorINS7_INS6_11hip_rocprim26transform_input_iterator_tIbPfNS6_6detail10functional5actorINSH_9compositeIJNSH_27transparent_binary_operatorINS6_8equal_toIvEEEENSI_INSH_8argumentILj0EEEEENSH_5valueIfEEEEEEEEENSD_19counting_iterator_tIlEES8_S8_S8_S8_S8_S8_S8_S8_EEEEPS9_S9_NSD_9__find_if7functorIS9_EEEE10hipError_tPvRmT1_T2_T3_mT4_P12ihipStream_tbEUlT_E1_NS1_11comp_targetILNS1_3genE2ELNS1_11target_archE906ELNS1_3gpuE6ELNS1_3repE0EEENS1_30default_config_static_selectorELNS0_4arch9wavefront6targetE1EEEvS17_.uses_vcc, 1
	.set _ZN7rocprim17ROCPRIM_400000_NS6detail17trampoline_kernelINS0_14default_configENS1_22reduce_config_selectorIN6thrust23THRUST_200600_302600_NS5tupleIblNS6_9null_typeES8_S8_S8_S8_S8_S8_S8_EEEEZNS1_11reduce_implILb1ES3_NS6_12zip_iteratorINS7_INS6_11hip_rocprim26transform_input_iterator_tIbPfNS6_6detail10functional5actorINSH_9compositeIJNSH_27transparent_binary_operatorINS6_8equal_toIvEEEENSI_INSH_8argumentILj0EEEEENSH_5valueIfEEEEEEEEENSD_19counting_iterator_tIlEES8_S8_S8_S8_S8_S8_S8_S8_EEEEPS9_S9_NSD_9__find_if7functorIS9_EEEE10hipError_tPvRmT1_T2_T3_mT4_P12ihipStream_tbEUlT_E1_NS1_11comp_targetILNS1_3genE2ELNS1_11target_archE906ELNS1_3gpuE6ELNS1_3repE0EEENS1_30default_config_static_selectorELNS0_4arch9wavefront6targetE1EEEvS17_.uses_flat_scratch, 0
	.set _ZN7rocprim17ROCPRIM_400000_NS6detail17trampoline_kernelINS0_14default_configENS1_22reduce_config_selectorIN6thrust23THRUST_200600_302600_NS5tupleIblNS6_9null_typeES8_S8_S8_S8_S8_S8_S8_EEEEZNS1_11reduce_implILb1ES3_NS6_12zip_iteratorINS7_INS6_11hip_rocprim26transform_input_iterator_tIbPfNS6_6detail10functional5actorINSH_9compositeIJNSH_27transparent_binary_operatorINS6_8equal_toIvEEEENSI_INSH_8argumentILj0EEEEENSH_5valueIfEEEEEEEEENSD_19counting_iterator_tIlEES8_S8_S8_S8_S8_S8_S8_S8_EEEEPS9_S9_NSD_9__find_if7functorIS9_EEEE10hipError_tPvRmT1_T2_T3_mT4_P12ihipStream_tbEUlT_E1_NS1_11comp_targetILNS1_3genE2ELNS1_11target_archE906ELNS1_3gpuE6ELNS1_3repE0EEENS1_30default_config_static_selectorELNS0_4arch9wavefront6targetE1EEEvS17_.has_dyn_sized_stack, 0
	.set _ZN7rocprim17ROCPRIM_400000_NS6detail17trampoline_kernelINS0_14default_configENS1_22reduce_config_selectorIN6thrust23THRUST_200600_302600_NS5tupleIblNS6_9null_typeES8_S8_S8_S8_S8_S8_S8_EEEEZNS1_11reduce_implILb1ES3_NS6_12zip_iteratorINS7_INS6_11hip_rocprim26transform_input_iterator_tIbPfNS6_6detail10functional5actorINSH_9compositeIJNSH_27transparent_binary_operatorINS6_8equal_toIvEEEENSI_INSH_8argumentILj0EEEEENSH_5valueIfEEEEEEEEENSD_19counting_iterator_tIlEES8_S8_S8_S8_S8_S8_S8_S8_EEEEPS9_S9_NSD_9__find_if7functorIS9_EEEE10hipError_tPvRmT1_T2_T3_mT4_P12ihipStream_tbEUlT_E1_NS1_11comp_targetILNS1_3genE2ELNS1_11target_archE906ELNS1_3gpuE6ELNS1_3repE0EEENS1_30default_config_static_selectorELNS0_4arch9wavefront6targetE1EEEvS17_.has_recursion, 0
	.set _ZN7rocprim17ROCPRIM_400000_NS6detail17trampoline_kernelINS0_14default_configENS1_22reduce_config_selectorIN6thrust23THRUST_200600_302600_NS5tupleIblNS6_9null_typeES8_S8_S8_S8_S8_S8_S8_EEEEZNS1_11reduce_implILb1ES3_NS6_12zip_iteratorINS7_INS6_11hip_rocprim26transform_input_iterator_tIbPfNS6_6detail10functional5actorINSH_9compositeIJNSH_27transparent_binary_operatorINS6_8equal_toIvEEEENSI_INSH_8argumentILj0EEEEENSH_5valueIfEEEEEEEEENSD_19counting_iterator_tIlEES8_S8_S8_S8_S8_S8_S8_S8_EEEEPS9_S9_NSD_9__find_if7functorIS9_EEEE10hipError_tPvRmT1_T2_T3_mT4_P12ihipStream_tbEUlT_E1_NS1_11comp_targetILNS1_3genE2ELNS1_11target_archE906ELNS1_3gpuE6ELNS1_3repE0EEENS1_30default_config_static_selectorELNS0_4arch9wavefront6targetE1EEEvS17_.has_indirect_call, 0
	.section	.AMDGPU.csdata,"",@progbits
; Kernel info:
; codeLenInByte = 12844
; TotalNumSgprs: 43
; NumVgprs: 26
; ScratchSize: 0
; MemoryBound: 0
; FloatMode: 240
; IeeeMode: 1
; LDSByteSize: 160 bytes/workgroup (compile time only)
; SGPRBlocks: 5
; VGPRBlocks: 6
; NumSGPRsForWavesPerEU: 43
; NumVGPRsForWavesPerEU: 26
; Occupancy: 9
; WaveLimiterHint : 1
; COMPUTE_PGM_RSRC2:SCRATCH_EN: 0
; COMPUTE_PGM_RSRC2:USER_SGPR: 6
; COMPUTE_PGM_RSRC2:TRAP_HANDLER: 0
; COMPUTE_PGM_RSRC2:TGID_X_EN: 1
; COMPUTE_PGM_RSRC2:TGID_Y_EN: 0
; COMPUTE_PGM_RSRC2:TGID_Z_EN: 0
; COMPUTE_PGM_RSRC2:TIDIG_COMP_CNT: 0
	.section	.text._ZN7rocprim17ROCPRIM_400000_NS6detail17trampoline_kernelINS0_14default_configENS1_22reduce_config_selectorIN6thrust23THRUST_200600_302600_NS5tupleIblNS6_9null_typeES8_S8_S8_S8_S8_S8_S8_EEEEZNS1_11reduce_implILb1ES3_NS6_12zip_iteratorINS7_INS6_11hip_rocprim26transform_input_iterator_tIbPfNS6_6detail10functional5actorINSH_9compositeIJNSH_27transparent_binary_operatorINS6_8equal_toIvEEEENSI_INSH_8argumentILj0EEEEENSH_5valueIfEEEEEEEEENSD_19counting_iterator_tIlEES8_S8_S8_S8_S8_S8_S8_S8_EEEEPS9_S9_NSD_9__find_if7functorIS9_EEEE10hipError_tPvRmT1_T2_T3_mT4_P12ihipStream_tbEUlT_E1_NS1_11comp_targetILNS1_3genE10ELNS1_11target_archE1201ELNS1_3gpuE5ELNS1_3repE0EEENS1_30default_config_static_selectorELNS0_4arch9wavefront6targetE1EEEvS17_,"axG",@progbits,_ZN7rocprim17ROCPRIM_400000_NS6detail17trampoline_kernelINS0_14default_configENS1_22reduce_config_selectorIN6thrust23THRUST_200600_302600_NS5tupleIblNS6_9null_typeES8_S8_S8_S8_S8_S8_S8_EEEEZNS1_11reduce_implILb1ES3_NS6_12zip_iteratorINS7_INS6_11hip_rocprim26transform_input_iterator_tIbPfNS6_6detail10functional5actorINSH_9compositeIJNSH_27transparent_binary_operatorINS6_8equal_toIvEEEENSI_INSH_8argumentILj0EEEEENSH_5valueIfEEEEEEEEENSD_19counting_iterator_tIlEES8_S8_S8_S8_S8_S8_S8_S8_EEEEPS9_S9_NSD_9__find_if7functorIS9_EEEE10hipError_tPvRmT1_T2_T3_mT4_P12ihipStream_tbEUlT_E1_NS1_11comp_targetILNS1_3genE10ELNS1_11target_archE1201ELNS1_3gpuE5ELNS1_3repE0EEENS1_30default_config_static_selectorELNS0_4arch9wavefront6targetE1EEEvS17_,comdat
	.protected	_ZN7rocprim17ROCPRIM_400000_NS6detail17trampoline_kernelINS0_14default_configENS1_22reduce_config_selectorIN6thrust23THRUST_200600_302600_NS5tupleIblNS6_9null_typeES8_S8_S8_S8_S8_S8_S8_EEEEZNS1_11reduce_implILb1ES3_NS6_12zip_iteratorINS7_INS6_11hip_rocprim26transform_input_iterator_tIbPfNS6_6detail10functional5actorINSH_9compositeIJNSH_27transparent_binary_operatorINS6_8equal_toIvEEEENSI_INSH_8argumentILj0EEEEENSH_5valueIfEEEEEEEEENSD_19counting_iterator_tIlEES8_S8_S8_S8_S8_S8_S8_S8_EEEEPS9_S9_NSD_9__find_if7functorIS9_EEEE10hipError_tPvRmT1_T2_T3_mT4_P12ihipStream_tbEUlT_E1_NS1_11comp_targetILNS1_3genE10ELNS1_11target_archE1201ELNS1_3gpuE5ELNS1_3repE0EEENS1_30default_config_static_selectorELNS0_4arch9wavefront6targetE1EEEvS17_ ; -- Begin function _ZN7rocprim17ROCPRIM_400000_NS6detail17trampoline_kernelINS0_14default_configENS1_22reduce_config_selectorIN6thrust23THRUST_200600_302600_NS5tupleIblNS6_9null_typeES8_S8_S8_S8_S8_S8_S8_EEEEZNS1_11reduce_implILb1ES3_NS6_12zip_iteratorINS7_INS6_11hip_rocprim26transform_input_iterator_tIbPfNS6_6detail10functional5actorINSH_9compositeIJNSH_27transparent_binary_operatorINS6_8equal_toIvEEEENSI_INSH_8argumentILj0EEEEENSH_5valueIfEEEEEEEEENSD_19counting_iterator_tIlEES8_S8_S8_S8_S8_S8_S8_S8_EEEEPS9_S9_NSD_9__find_if7functorIS9_EEEE10hipError_tPvRmT1_T2_T3_mT4_P12ihipStream_tbEUlT_E1_NS1_11comp_targetILNS1_3genE10ELNS1_11target_archE1201ELNS1_3gpuE5ELNS1_3repE0EEENS1_30default_config_static_selectorELNS0_4arch9wavefront6targetE1EEEvS17_
	.globl	_ZN7rocprim17ROCPRIM_400000_NS6detail17trampoline_kernelINS0_14default_configENS1_22reduce_config_selectorIN6thrust23THRUST_200600_302600_NS5tupleIblNS6_9null_typeES8_S8_S8_S8_S8_S8_S8_EEEEZNS1_11reduce_implILb1ES3_NS6_12zip_iteratorINS7_INS6_11hip_rocprim26transform_input_iterator_tIbPfNS6_6detail10functional5actorINSH_9compositeIJNSH_27transparent_binary_operatorINS6_8equal_toIvEEEENSI_INSH_8argumentILj0EEEEENSH_5valueIfEEEEEEEEENSD_19counting_iterator_tIlEES8_S8_S8_S8_S8_S8_S8_S8_EEEEPS9_S9_NSD_9__find_if7functorIS9_EEEE10hipError_tPvRmT1_T2_T3_mT4_P12ihipStream_tbEUlT_E1_NS1_11comp_targetILNS1_3genE10ELNS1_11target_archE1201ELNS1_3gpuE5ELNS1_3repE0EEENS1_30default_config_static_selectorELNS0_4arch9wavefront6targetE1EEEvS17_
	.p2align	8
	.type	_ZN7rocprim17ROCPRIM_400000_NS6detail17trampoline_kernelINS0_14default_configENS1_22reduce_config_selectorIN6thrust23THRUST_200600_302600_NS5tupleIblNS6_9null_typeES8_S8_S8_S8_S8_S8_S8_EEEEZNS1_11reduce_implILb1ES3_NS6_12zip_iteratorINS7_INS6_11hip_rocprim26transform_input_iterator_tIbPfNS6_6detail10functional5actorINSH_9compositeIJNSH_27transparent_binary_operatorINS6_8equal_toIvEEEENSI_INSH_8argumentILj0EEEEENSH_5valueIfEEEEEEEEENSD_19counting_iterator_tIlEES8_S8_S8_S8_S8_S8_S8_S8_EEEEPS9_S9_NSD_9__find_if7functorIS9_EEEE10hipError_tPvRmT1_T2_T3_mT4_P12ihipStream_tbEUlT_E1_NS1_11comp_targetILNS1_3genE10ELNS1_11target_archE1201ELNS1_3gpuE5ELNS1_3repE0EEENS1_30default_config_static_selectorELNS0_4arch9wavefront6targetE1EEEvS17_,@function
_ZN7rocprim17ROCPRIM_400000_NS6detail17trampoline_kernelINS0_14default_configENS1_22reduce_config_selectorIN6thrust23THRUST_200600_302600_NS5tupleIblNS6_9null_typeES8_S8_S8_S8_S8_S8_S8_EEEEZNS1_11reduce_implILb1ES3_NS6_12zip_iteratorINS7_INS6_11hip_rocprim26transform_input_iterator_tIbPfNS6_6detail10functional5actorINSH_9compositeIJNSH_27transparent_binary_operatorINS6_8equal_toIvEEEENSI_INSH_8argumentILj0EEEEENSH_5valueIfEEEEEEEEENSD_19counting_iterator_tIlEES8_S8_S8_S8_S8_S8_S8_S8_EEEEPS9_S9_NSD_9__find_if7functorIS9_EEEE10hipError_tPvRmT1_T2_T3_mT4_P12ihipStream_tbEUlT_E1_NS1_11comp_targetILNS1_3genE10ELNS1_11target_archE1201ELNS1_3gpuE5ELNS1_3repE0EEENS1_30default_config_static_selectorELNS0_4arch9wavefront6targetE1EEEvS17_: ; @_ZN7rocprim17ROCPRIM_400000_NS6detail17trampoline_kernelINS0_14default_configENS1_22reduce_config_selectorIN6thrust23THRUST_200600_302600_NS5tupleIblNS6_9null_typeES8_S8_S8_S8_S8_S8_S8_EEEEZNS1_11reduce_implILb1ES3_NS6_12zip_iteratorINS7_INS6_11hip_rocprim26transform_input_iterator_tIbPfNS6_6detail10functional5actorINSH_9compositeIJNSH_27transparent_binary_operatorINS6_8equal_toIvEEEENSI_INSH_8argumentILj0EEEEENSH_5valueIfEEEEEEEEENSD_19counting_iterator_tIlEES8_S8_S8_S8_S8_S8_S8_S8_EEEEPS9_S9_NSD_9__find_if7functorIS9_EEEE10hipError_tPvRmT1_T2_T3_mT4_P12ihipStream_tbEUlT_E1_NS1_11comp_targetILNS1_3genE10ELNS1_11target_archE1201ELNS1_3gpuE5ELNS1_3repE0EEENS1_30default_config_static_selectorELNS0_4arch9wavefront6targetE1EEEvS17_
; %bb.0:
	.section	.rodata,"a",@progbits
	.p2align	6, 0x0
	.amdhsa_kernel _ZN7rocprim17ROCPRIM_400000_NS6detail17trampoline_kernelINS0_14default_configENS1_22reduce_config_selectorIN6thrust23THRUST_200600_302600_NS5tupleIblNS6_9null_typeES8_S8_S8_S8_S8_S8_S8_EEEEZNS1_11reduce_implILb1ES3_NS6_12zip_iteratorINS7_INS6_11hip_rocprim26transform_input_iterator_tIbPfNS6_6detail10functional5actorINSH_9compositeIJNSH_27transparent_binary_operatorINS6_8equal_toIvEEEENSI_INSH_8argumentILj0EEEEENSH_5valueIfEEEEEEEEENSD_19counting_iterator_tIlEES8_S8_S8_S8_S8_S8_S8_S8_EEEEPS9_S9_NSD_9__find_if7functorIS9_EEEE10hipError_tPvRmT1_T2_T3_mT4_P12ihipStream_tbEUlT_E1_NS1_11comp_targetILNS1_3genE10ELNS1_11target_archE1201ELNS1_3gpuE5ELNS1_3repE0EEENS1_30default_config_static_selectorELNS0_4arch9wavefront6targetE1EEEvS17_
		.amdhsa_group_segment_fixed_size 0
		.amdhsa_private_segment_fixed_size 0
		.amdhsa_kernarg_size 72
		.amdhsa_user_sgpr_count 6
		.amdhsa_user_sgpr_private_segment_buffer 1
		.amdhsa_user_sgpr_dispatch_ptr 0
		.amdhsa_user_sgpr_queue_ptr 0
		.amdhsa_user_sgpr_kernarg_segment_ptr 1
		.amdhsa_user_sgpr_dispatch_id 0
		.amdhsa_user_sgpr_flat_scratch_init 0
		.amdhsa_user_sgpr_private_segment_size 0
		.amdhsa_uses_dynamic_stack 0
		.amdhsa_system_sgpr_private_segment_wavefront_offset 0
		.amdhsa_system_sgpr_workgroup_id_x 1
		.amdhsa_system_sgpr_workgroup_id_y 0
		.amdhsa_system_sgpr_workgroup_id_z 0
		.amdhsa_system_sgpr_workgroup_info 0
		.amdhsa_system_vgpr_workitem_id 0
		.amdhsa_next_free_vgpr 1
		.amdhsa_next_free_sgpr 0
		.amdhsa_reserve_vcc 0
		.amdhsa_reserve_flat_scratch 0
		.amdhsa_float_round_mode_32 0
		.amdhsa_float_round_mode_16_64 0
		.amdhsa_float_denorm_mode_32 3
		.amdhsa_float_denorm_mode_16_64 3
		.amdhsa_dx10_clamp 1
		.amdhsa_ieee_mode 1
		.amdhsa_fp16_overflow 0
		.amdhsa_exception_fp_ieee_invalid_op 0
		.amdhsa_exception_fp_denorm_src 0
		.amdhsa_exception_fp_ieee_div_zero 0
		.amdhsa_exception_fp_ieee_overflow 0
		.amdhsa_exception_fp_ieee_underflow 0
		.amdhsa_exception_fp_ieee_inexact 0
		.amdhsa_exception_int_div_zero 0
	.end_amdhsa_kernel
	.section	.text._ZN7rocprim17ROCPRIM_400000_NS6detail17trampoline_kernelINS0_14default_configENS1_22reduce_config_selectorIN6thrust23THRUST_200600_302600_NS5tupleIblNS6_9null_typeES8_S8_S8_S8_S8_S8_S8_EEEEZNS1_11reduce_implILb1ES3_NS6_12zip_iteratorINS7_INS6_11hip_rocprim26transform_input_iterator_tIbPfNS6_6detail10functional5actorINSH_9compositeIJNSH_27transparent_binary_operatorINS6_8equal_toIvEEEENSI_INSH_8argumentILj0EEEEENSH_5valueIfEEEEEEEEENSD_19counting_iterator_tIlEES8_S8_S8_S8_S8_S8_S8_S8_EEEEPS9_S9_NSD_9__find_if7functorIS9_EEEE10hipError_tPvRmT1_T2_T3_mT4_P12ihipStream_tbEUlT_E1_NS1_11comp_targetILNS1_3genE10ELNS1_11target_archE1201ELNS1_3gpuE5ELNS1_3repE0EEENS1_30default_config_static_selectorELNS0_4arch9wavefront6targetE1EEEvS17_,"axG",@progbits,_ZN7rocprim17ROCPRIM_400000_NS6detail17trampoline_kernelINS0_14default_configENS1_22reduce_config_selectorIN6thrust23THRUST_200600_302600_NS5tupleIblNS6_9null_typeES8_S8_S8_S8_S8_S8_S8_EEEEZNS1_11reduce_implILb1ES3_NS6_12zip_iteratorINS7_INS6_11hip_rocprim26transform_input_iterator_tIbPfNS6_6detail10functional5actorINSH_9compositeIJNSH_27transparent_binary_operatorINS6_8equal_toIvEEEENSI_INSH_8argumentILj0EEEEENSH_5valueIfEEEEEEEEENSD_19counting_iterator_tIlEES8_S8_S8_S8_S8_S8_S8_S8_EEEEPS9_S9_NSD_9__find_if7functorIS9_EEEE10hipError_tPvRmT1_T2_T3_mT4_P12ihipStream_tbEUlT_E1_NS1_11comp_targetILNS1_3genE10ELNS1_11target_archE1201ELNS1_3gpuE5ELNS1_3repE0EEENS1_30default_config_static_selectorELNS0_4arch9wavefront6targetE1EEEvS17_,comdat
.Lfunc_end1956:
	.size	_ZN7rocprim17ROCPRIM_400000_NS6detail17trampoline_kernelINS0_14default_configENS1_22reduce_config_selectorIN6thrust23THRUST_200600_302600_NS5tupleIblNS6_9null_typeES8_S8_S8_S8_S8_S8_S8_EEEEZNS1_11reduce_implILb1ES3_NS6_12zip_iteratorINS7_INS6_11hip_rocprim26transform_input_iterator_tIbPfNS6_6detail10functional5actorINSH_9compositeIJNSH_27transparent_binary_operatorINS6_8equal_toIvEEEENSI_INSH_8argumentILj0EEEEENSH_5valueIfEEEEEEEEENSD_19counting_iterator_tIlEES8_S8_S8_S8_S8_S8_S8_S8_EEEEPS9_S9_NSD_9__find_if7functorIS9_EEEE10hipError_tPvRmT1_T2_T3_mT4_P12ihipStream_tbEUlT_E1_NS1_11comp_targetILNS1_3genE10ELNS1_11target_archE1201ELNS1_3gpuE5ELNS1_3repE0EEENS1_30default_config_static_selectorELNS0_4arch9wavefront6targetE1EEEvS17_, .Lfunc_end1956-_ZN7rocprim17ROCPRIM_400000_NS6detail17trampoline_kernelINS0_14default_configENS1_22reduce_config_selectorIN6thrust23THRUST_200600_302600_NS5tupleIblNS6_9null_typeES8_S8_S8_S8_S8_S8_S8_EEEEZNS1_11reduce_implILb1ES3_NS6_12zip_iteratorINS7_INS6_11hip_rocprim26transform_input_iterator_tIbPfNS6_6detail10functional5actorINSH_9compositeIJNSH_27transparent_binary_operatorINS6_8equal_toIvEEEENSI_INSH_8argumentILj0EEEEENSH_5valueIfEEEEEEEEENSD_19counting_iterator_tIlEES8_S8_S8_S8_S8_S8_S8_S8_EEEEPS9_S9_NSD_9__find_if7functorIS9_EEEE10hipError_tPvRmT1_T2_T3_mT4_P12ihipStream_tbEUlT_E1_NS1_11comp_targetILNS1_3genE10ELNS1_11target_archE1201ELNS1_3gpuE5ELNS1_3repE0EEENS1_30default_config_static_selectorELNS0_4arch9wavefront6targetE1EEEvS17_
                                        ; -- End function
	.set _ZN7rocprim17ROCPRIM_400000_NS6detail17trampoline_kernelINS0_14default_configENS1_22reduce_config_selectorIN6thrust23THRUST_200600_302600_NS5tupleIblNS6_9null_typeES8_S8_S8_S8_S8_S8_S8_EEEEZNS1_11reduce_implILb1ES3_NS6_12zip_iteratorINS7_INS6_11hip_rocprim26transform_input_iterator_tIbPfNS6_6detail10functional5actorINSH_9compositeIJNSH_27transparent_binary_operatorINS6_8equal_toIvEEEENSI_INSH_8argumentILj0EEEEENSH_5valueIfEEEEEEEEENSD_19counting_iterator_tIlEES8_S8_S8_S8_S8_S8_S8_S8_EEEEPS9_S9_NSD_9__find_if7functorIS9_EEEE10hipError_tPvRmT1_T2_T3_mT4_P12ihipStream_tbEUlT_E1_NS1_11comp_targetILNS1_3genE10ELNS1_11target_archE1201ELNS1_3gpuE5ELNS1_3repE0EEENS1_30default_config_static_selectorELNS0_4arch9wavefront6targetE1EEEvS17_.num_vgpr, 0
	.set _ZN7rocprim17ROCPRIM_400000_NS6detail17trampoline_kernelINS0_14default_configENS1_22reduce_config_selectorIN6thrust23THRUST_200600_302600_NS5tupleIblNS6_9null_typeES8_S8_S8_S8_S8_S8_S8_EEEEZNS1_11reduce_implILb1ES3_NS6_12zip_iteratorINS7_INS6_11hip_rocprim26transform_input_iterator_tIbPfNS6_6detail10functional5actorINSH_9compositeIJNSH_27transparent_binary_operatorINS6_8equal_toIvEEEENSI_INSH_8argumentILj0EEEEENSH_5valueIfEEEEEEEEENSD_19counting_iterator_tIlEES8_S8_S8_S8_S8_S8_S8_S8_EEEEPS9_S9_NSD_9__find_if7functorIS9_EEEE10hipError_tPvRmT1_T2_T3_mT4_P12ihipStream_tbEUlT_E1_NS1_11comp_targetILNS1_3genE10ELNS1_11target_archE1201ELNS1_3gpuE5ELNS1_3repE0EEENS1_30default_config_static_selectorELNS0_4arch9wavefront6targetE1EEEvS17_.num_agpr, 0
	.set _ZN7rocprim17ROCPRIM_400000_NS6detail17trampoline_kernelINS0_14default_configENS1_22reduce_config_selectorIN6thrust23THRUST_200600_302600_NS5tupleIblNS6_9null_typeES8_S8_S8_S8_S8_S8_S8_EEEEZNS1_11reduce_implILb1ES3_NS6_12zip_iteratorINS7_INS6_11hip_rocprim26transform_input_iterator_tIbPfNS6_6detail10functional5actorINSH_9compositeIJNSH_27transparent_binary_operatorINS6_8equal_toIvEEEENSI_INSH_8argumentILj0EEEEENSH_5valueIfEEEEEEEEENSD_19counting_iterator_tIlEES8_S8_S8_S8_S8_S8_S8_S8_EEEEPS9_S9_NSD_9__find_if7functorIS9_EEEE10hipError_tPvRmT1_T2_T3_mT4_P12ihipStream_tbEUlT_E1_NS1_11comp_targetILNS1_3genE10ELNS1_11target_archE1201ELNS1_3gpuE5ELNS1_3repE0EEENS1_30default_config_static_selectorELNS0_4arch9wavefront6targetE1EEEvS17_.numbered_sgpr, 0
	.set _ZN7rocprim17ROCPRIM_400000_NS6detail17trampoline_kernelINS0_14default_configENS1_22reduce_config_selectorIN6thrust23THRUST_200600_302600_NS5tupleIblNS6_9null_typeES8_S8_S8_S8_S8_S8_S8_EEEEZNS1_11reduce_implILb1ES3_NS6_12zip_iteratorINS7_INS6_11hip_rocprim26transform_input_iterator_tIbPfNS6_6detail10functional5actorINSH_9compositeIJNSH_27transparent_binary_operatorINS6_8equal_toIvEEEENSI_INSH_8argumentILj0EEEEENSH_5valueIfEEEEEEEEENSD_19counting_iterator_tIlEES8_S8_S8_S8_S8_S8_S8_S8_EEEEPS9_S9_NSD_9__find_if7functorIS9_EEEE10hipError_tPvRmT1_T2_T3_mT4_P12ihipStream_tbEUlT_E1_NS1_11comp_targetILNS1_3genE10ELNS1_11target_archE1201ELNS1_3gpuE5ELNS1_3repE0EEENS1_30default_config_static_selectorELNS0_4arch9wavefront6targetE1EEEvS17_.num_named_barrier, 0
	.set _ZN7rocprim17ROCPRIM_400000_NS6detail17trampoline_kernelINS0_14default_configENS1_22reduce_config_selectorIN6thrust23THRUST_200600_302600_NS5tupleIblNS6_9null_typeES8_S8_S8_S8_S8_S8_S8_EEEEZNS1_11reduce_implILb1ES3_NS6_12zip_iteratorINS7_INS6_11hip_rocprim26transform_input_iterator_tIbPfNS6_6detail10functional5actorINSH_9compositeIJNSH_27transparent_binary_operatorINS6_8equal_toIvEEEENSI_INSH_8argumentILj0EEEEENSH_5valueIfEEEEEEEEENSD_19counting_iterator_tIlEES8_S8_S8_S8_S8_S8_S8_S8_EEEEPS9_S9_NSD_9__find_if7functorIS9_EEEE10hipError_tPvRmT1_T2_T3_mT4_P12ihipStream_tbEUlT_E1_NS1_11comp_targetILNS1_3genE10ELNS1_11target_archE1201ELNS1_3gpuE5ELNS1_3repE0EEENS1_30default_config_static_selectorELNS0_4arch9wavefront6targetE1EEEvS17_.private_seg_size, 0
	.set _ZN7rocprim17ROCPRIM_400000_NS6detail17trampoline_kernelINS0_14default_configENS1_22reduce_config_selectorIN6thrust23THRUST_200600_302600_NS5tupleIblNS6_9null_typeES8_S8_S8_S8_S8_S8_S8_EEEEZNS1_11reduce_implILb1ES3_NS6_12zip_iteratorINS7_INS6_11hip_rocprim26transform_input_iterator_tIbPfNS6_6detail10functional5actorINSH_9compositeIJNSH_27transparent_binary_operatorINS6_8equal_toIvEEEENSI_INSH_8argumentILj0EEEEENSH_5valueIfEEEEEEEEENSD_19counting_iterator_tIlEES8_S8_S8_S8_S8_S8_S8_S8_EEEEPS9_S9_NSD_9__find_if7functorIS9_EEEE10hipError_tPvRmT1_T2_T3_mT4_P12ihipStream_tbEUlT_E1_NS1_11comp_targetILNS1_3genE10ELNS1_11target_archE1201ELNS1_3gpuE5ELNS1_3repE0EEENS1_30default_config_static_selectorELNS0_4arch9wavefront6targetE1EEEvS17_.uses_vcc, 0
	.set _ZN7rocprim17ROCPRIM_400000_NS6detail17trampoline_kernelINS0_14default_configENS1_22reduce_config_selectorIN6thrust23THRUST_200600_302600_NS5tupleIblNS6_9null_typeES8_S8_S8_S8_S8_S8_S8_EEEEZNS1_11reduce_implILb1ES3_NS6_12zip_iteratorINS7_INS6_11hip_rocprim26transform_input_iterator_tIbPfNS6_6detail10functional5actorINSH_9compositeIJNSH_27transparent_binary_operatorINS6_8equal_toIvEEEENSI_INSH_8argumentILj0EEEEENSH_5valueIfEEEEEEEEENSD_19counting_iterator_tIlEES8_S8_S8_S8_S8_S8_S8_S8_EEEEPS9_S9_NSD_9__find_if7functorIS9_EEEE10hipError_tPvRmT1_T2_T3_mT4_P12ihipStream_tbEUlT_E1_NS1_11comp_targetILNS1_3genE10ELNS1_11target_archE1201ELNS1_3gpuE5ELNS1_3repE0EEENS1_30default_config_static_selectorELNS0_4arch9wavefront6targetE1EEEvS17_.uses_flat_scratch, 0
	.set _ZN7rocprim17ROCPRIM_400000_NS6detail17trampoline_kernelINS0_14default_configENS1_22reduce_config_selectorIN6thrust23THRUST_200600_302600_NS5tupleIblNS6_9null_typeES8_S8_S8_S8_S8_S8_S8_EEEEZNS1_11reduce_implILb1ES3_NS6_12zip_iteratorINS7_INS6_11hip_rocprim26transform_input_iterator_tIbPfNS6_6detail10functional5actorINSH_9compositeIJNSH_27transparent_binary_operatorINS6_8equal_toIvEEEENSI_INSH_8argumentILj0EEEEENSH_5valueIfEEEEEEEEENSD_19counting_iterator_tIlEES8_S8_S8_S8_S8_S8_S8_S8_EEEEPS9_S9_NSD_9__find_if7functorIS9_EEEE10hipError_tPvRmT1_T2_T3_mT4_P12ihipStream_tbEUlT_E1_NS1_11comp_targetILNS1_3genE10ELNS1_11target_archE1201ELNS1_3gpuE5ELNS1_3repE0EEENS1_30default_config_static_selectorELNS0_4arch9wavefront6targetE1EEEvS17_.has_dyn_sized_stack, 0
	.set _ZN7rocprim17ROCPRIM_400000_NS6detail17trampoline_kernelINS0_14default_configENS1_22reduce_config_selectorIN6thrust23THRUST_200600_302600_NS5tupleIblNS6_9null_typeES8_S8_S8_S8_S8_S8_S8_EEEEZNS1_11reduce_implILb1ES3_NS6_12zip_iteratorINS7_INS6_11hip_rocprim26transform_input_iterator_tIbPfNS6_6detail10functional5actorINSH_9compositeIJNSH_27transparent_binary_operatorINS6_8equal_toIvEEEENSI_INSH_8argumentILj0EEEEENSH_5valueIfEEEEEEEEENSD_19counting_iterator_tIlEES8_S8_S8_S8_S8_S8_S8_S8_EEEEPS9_S9_NSD_9__find_if7functorIS9_EEEE10hipError_tPvRmT1_T2_T3_mT4_P12ihipStream_tbEUlT_E1_NS1_11comp_targetILNS1_3genE10ELNS1_11target_archE1201ELNS1_3gpuE5ELNS1_3repE0EEENS1_30default_config_static_selectorELNS0_4arch9wavefront6targetE1EEEvS17_.has_recursion, 0
	.set _ZN7rocprim17ROCPRIM_400000_NS6detail17trampoline_kernelINS0_14default_configENS1_22reduce_config_selectorIN6thrust23THRUST_200600_302600_NS5tupleIblNS6_9null_typeES8_S8_S8_S8_S8_S8_S8_EEEEZNS1_11reduce_implILb1ES3_NS6_12zip_iteratorINS7_INS6_11hip_rocprim26transform_input_iterator_tIbPfNS6_6detail10functional5actorINSH_9compositeIJNSH_27transparent_binary_operatorINS6_8equal_toIvEEEENSI_INSH_8argumentILj0EEEEENSH_5valueIfEEEEEEEEENSD_19counting_iterator_tIlEES8_S8_S8_S8_S8_S8_S8_S8_EEEEPS9_S9_NSD_9__find_if7functorIS9_EEEE10hipError_tPvRmT1_T2_T3_mT4_P12ihipStream_tbEUlT_E1_NS1_11comp_targetILNS1_3genE10ELNS1_11target_archE1201ELNS1_3gpuE5ELNS1_3repE0EEENS1_30default_config_static_selectorELNS0_4arch9wavefront6targetE1EEEvS17_.has_indirect_call, 0
	.section	.AMDGPU.csdata,"",@progbits
; Kernel info:
; codeLenInByte = 0
; TotalNumSgprs: 4
; NumVgprs: 0
; ScratchSize: 0
; MemoryBound: 0
; FloatMode: 240
; IeeeMode: 1
; LDSByteSize: 0 bytes/workgroup (compile time only)
; SGPRBlocks: 0
; VGPRBlocks: 0
; NumSGPRsForWavesPerEU: 4
; NumVGPRsForWavesPerEU: 1
; Occupancy: 10
; WaveLimiterHint : 0
; COMPUTE_PGM_RSRC2:SCRATCH_EN: 0
; COMPUTE_PGM_RSRC2:USER_SGPR: 6
; COMPUTE_PGM_RSRC2:TRAP_HANDLER: 0
; COMPUTE_PGM_RSRC2:TGID_X_EN: 1
; COMPUTE_PGM_RSRC2:TGID_Y_EN: 0
; COMPUTE_PGM_RSRC2:TGID_Z_EN: 0
; COMPUTE_PGM_RSRC2:TIDIG_COMP_CNT: 0
	.section	.text._ZN7rocprim17ROCPRIM_400000_NS6detail17trampoline_kernelINS0_14default_configENS1_22reduce_config_selectorIN6thrust23THRUST_200600_302600_NS5tupleIblNS6_9null_typeES8_S8_S8_S8_S8_S8_S8_EEEEZNS1_11reduce_implILb1ES3_NS6_12zip_iteratorINS7_INS6_11hip_rocprim26transform_input_iterator_tIbPfNS6_6detail10functional5actorINSH_9compositeIJNSH_27transparent_binary_operatorINS6_8equal_toIvEEEENSI_INSH_8argumentILj0EEEEENSH_5valueIfEEEEEEEEENSD_19counting_iterator_tIlEES8_S8_S8_S8_S8_S8_S8_S8_EEEEPS9_S9_NSD_9__find_if7functorIS9_EEEE10hipError_tPvRmT1_T2_T3_mT4_P12ihipStream_tbEUlT_E1_NS1_11comp_targetILNS1_3genE10ELNS1_11target_archE1200ELNS1_3gpuE4ELNS1_3repE0EEENS1_30default_config_static_selectorELNS0_4arch9wavefront6targetE1EEEvS17_,"axG",@progbits,_ZN7rocprim17ROCPRIM_400000_NS6detail17trampoline_kernelINS0_14default_configENS1_22reduce_config_selectorIN6thrust23THRUST_200600_302600_NS5tupleIblNS6_9null_typeES8_S8_S8_S8_S8_S8_S8_EEEEZNS1_11reduce_implILb1ES3_NS6_12zip_iteratorINS7_INS6_11hip_rocprim26transform_input_iterator_tIbPfNS6_6detail10functional5actorINSH_9compositeIJNSH_27transparent_binary_operatorINS6_8equal_toIvEEEENSI_INSH_8argumentILj0EEEEENSH_5valueIfEEEEEEEEENSD_19counting_iterator_tIlEES8_S8_S8_S8_S8_S8_S8_S8_EEEEPS9_S9_NSD_9__find_if7functorIS9_EEEE10hipError_tPvRmT1_T2_T3_mT4_P12ihipStream_tbEUlT_E1_NS1_11comp_targetILNS1_3genE10ELNS1_11target_archE1200ELNS1_3gpuE4ELNS1_3repE0EEENS1_30default_config_static_selectorELNS0_4arch9wavefront6targetE1EEEvS17_,comdat
	.protected	_ZN7rocprim17ROCPRIM_400000_NS6detail17trampoline_kernelINS0_14default_configENS1_22reduce_config_selectorIN6thrust23THRUST_200600_302600_NS5tupleIblNS6_9null_typeES8_S8_S8_S8_S8_S8_S8_EEEEZNS1_11reduce_implILb1ES3_NS6_12zip_iteratorINS7_INS6_11hip_rocprim26transform_input_iterator_tIbPfNS6_6detail10functional5actorINSH_9compositeIJNSH_27transparent_binary_operatorINS6_8equal_toIvEEEENSI_INSH_8argumentILj0EEEEENSH_5valueIfEEEEEEEEENSD_19counting_iterator_tIlEES8_S8_S8_S8_S8_S8_S8_S8_EEEEPS9_S9_NSD_9__find_if7functorIS9_EEEE10hipError_tPvRmT1_T2_T3_mT4_P12ihipStream_tbEUlT_E1_NS1_11comp_targetILNS1_3genE10ELNS1_11target_archE1200ELNS1_3gpuE4ELNS1_3repE0EEENS1_30default_config_static_selectorELNS0_4arch9wavefront6targetE1EEEvS17_ ; -- Begin function _ZN7rocprim17ROCPRIM_400000_NS6detail17trampoline_kernelINS0_14default_configENS1_22reduce_config_selectorIN6thrust23THRUST_200600_302600_NS5tupleIblNS6_9null_typeES8_S8_S8_S8_S8_S8_S8_EEEEZNS1_11reduce_implILb1ES3_NS6_12zip_iteratorINS7_INS6_11hip_rocprim26transform_input_iterator_tIbPfNS6_6detail10functional5actorINSH_9compositeIJNSH_27transparent_binary_operatorINS6_8equal_toIvEEEENSI_INSH_8argumentILj0EEEEENSH_5valueIfEEEEEEEEENSD_19counting_iterator_tIlEES8_S8_S8_S8_S8_S8_S8_S8_EEEEPS9_S9_NSD_9__find_if7functorIS9_EEEE10hipError_tPvRmT1_T2_T3_mT4_P12ihipStream_tbEUlT_E1_NS1_11comp_targetILNS1_3genE10ELNS1_11target_archE1200ELNS1_3gpuE4ELNS1_3repE0EEENS1_30default_config_static_selectorELNS0_4arch9wavefront6targetE1EEEvS17_
	.globl	_ZN7rocprim17ROCPRIM_400000_NS6detail17trampoline_kernelINS0_14default_configENS1_22reduce_config_selectorIN6thrust23THRUST_200600_302600_NS5tupleIblNS6_9null_typeES8_S8_S8_S8_S8_S8_S8_EEEEZNS1_11reduce_implILb1ES3_NS6_12zip_iteratorINS7_INS6_11hip_rocprim26transform_input_iterator_tIbPfNS6_6detail10functional5actorINSH_9compositeIJNSH_27transparent_binary_operatorINS6_8equal_toIvEEEENSI_INSH_8argumentILj0EEEEENSH_5valueIfEEEEEEEEENSD_19counting_iterator_tIlEES8_S8_S8_S8_S8_S8_S8_S8_EEEEPS9_S9_NSD_9__find_if7functorIS9_EEEE10hipError_tPvRmT1_T2_T3_mT4_P12ihipStream_tbEUlT_E1_NS1_11comp_targetILNS1_3genE10ELNS1_11target_archE1200ELNS1_3gpuE4ELNS1_3repE0EEENS1_30default_config_static_selectorELNS0_4arch9wavefront6targetE1EEEvS17_
	.p2align	8
	.type	_ZN7rocprim17ROCPRIM_400000_NS6detail17trampoline_kernelINS0_14default_configENS1_22reduce_config_selectorIN6thrust23THRUST_200600_302600_NS5tupleIblNS6_9null_typeES8_S8_S8_S8_S8_S8_S8_EEEEZNS1_11reduce_implILb1ES3_NS6_12zip_iteratorINS7_INS6_11hip_rocprim26transform_input_iterator_tIbPfNS6_6detail10functional5actorINSH_9compositeIJNSH_27transparent_binary_operatorINS6_8equal_toIvEEEENSI_INSH_8argumentILj0EEEEENSH_5valueIfEEEEEEEEENSD_19counting_iterator_tIlEES8_S8_S8_S8_S8_S8_S8_S8_EEEEPS9_S9_NSD_9__find_if7functorIS9_EEEE10hipError_tPvRmT1_T2_T3_mT4_P12ihipStream_tbEUlT_E1_NS1_11comp_targetILNS1_3genE10ELNS1_11target_archE1200ELNS1_3gpuE4ELNS1_3repE0EEENS1_30default_config_static_selectorELNS0_4arch9wavefront6targetE1EEEvS17_,@function
_ZN7rocprim17ROCPRIM_400000_NS6detail17trampoline_kernelINS0_14default_configENS1_22reduce_config_selectorIN6thrust23THRUST_200600_302600_NS5tupleIblNS6_9null_typeES8_S8_S8_S8_S8_S8_S8_EEEEZNS1_11reduce_implILb1ES3_NS6_12zip_iteratorINS7_INS6_11hip_rocprim26transform_input_iterator_tIbPfNS6_6detail10functional5actorINSH_9compositeIJNSH_27transparent_binary_operatorINS6_8equal_toIvEEEENSI_INSH_8argumentILj0EEEEENSH_5valueIfEEEEEEEEENSD_19counting_iterator_tIlEES8_S8_S8_S8_S8_S8_S8_S8_EEEEPS9_S9_NSD_9__find_if7functorIS9_EEEE10hipError_tPvRmT1_T2_T3_mT4_P12ihipStream_tbEUlT_E1_NS1_11comp_targetILNS1_3genE10ELNS1_11target_archE1200ELNS1_3gpuE4ELNS1_3repE0EEENS1_30default_config_static_selectorELNS0_4arch9wavefront6targetE1EEEvS17_: ; @_ZN7rocprim17ROCPRIM_400000_NS6detail17trampoline_kernelINS0_14default_configENS1_22reduce_config_selectorIN6thrust23THRUST_200600_302600_NS5tupleIblNS6_9null_typeES8_S8_S8_S8_S8_S8_S8_EEEEZNS1_11reduce_implILb1ES3_NS6_12zip_iteratorINS7_INS6_11hip_rocprim26transform_input_iterator_tIbPfNS6_6detail10functional5actorINSH_9compositeIJNSH_27transparent_binary_operatorINS6_8equal_toIvEEEENSI_INSH_8argumentILj0EEEEENSH_5valueIfEEEEEEEEENSD_19counting_iterator_tIlEES8_S8_S8_S8_S8_S8_S8_S8_EEEEPS9_S9_NSD_9__find_if7functorIS9_EEEE10hipError_tPvRmT1_T2_T3_mT4_P12ihipStream_tbEUlT_E1_NS1_11comp_targetILNS1_3genE10ELNS1_11target_archE1200ELNS1_3gpuE4ELNS1_3repE0EEENS1_30default_config_static_selectorELNS0_4arch9wavefront6targetE1EEEvS17_
; %bb.0:
	.section	.rodata,"a",@progbits
	.p2align	6, 0x0
	.amdhsa_kernel _ZN7rocprim17ROCPRIM_400000_NS6detail17trampoline_kernelINS0_14default_configENS1_22reduce_config_selectorIN6thrust23THRUST_200600_302600_NS5tupleIblNS6_9null_typeES8_S8_S8_S8_S8_S8_S8_EEEEZNS1_11reduce_implILb1ES3_NS6_12zip_iteratorINS7_INS6_11hip_rocprim26transform_input_iterator_tIbPfNS6_6detail10functional5actorINSH_9compositeIJNSH_27transparent_binary_operatorINS6_8equal_toIvEEEENSI_INSH_8argumentILj0EEEEENSH_5valueIfEEEEEEEEENSD_19counting_iterator_tIlEES8_S8_S8_S8_S8_S8_S8_S8_EEEEPS9_S9_NSD_9__find_if7functorIS9_EEEE10hipError_tPvRmT1_T2_T3_mT4_P12ihipStream_tbEUlT_E1_NS1_11comp_targetILNS1_3genE10ELNS1_11target_archE1200ELNS1_3gpuE4ELNS1_3repE0EEENS1_30default_config_static_selectorELNS0_4arch9wavefront6targetE1EEEvS17_
		.amdhsa_group_segment_fixed_size 0
		.amdhsa_private_segment_fixed_size 0
		.amdhsa_kernarg_size 72
		.amdhsa_user_sgpr_count 6
		.amdhsa_user_sgpr_private_segment_buffer 1
		.amdhsa_user_sgpr_dispatch_ptr 0
		.amdhsa_user_sgpr_queue_ptr 0
		.amdhsa_user_sgpr_kernarg_segment_ptr 1
		.amdhsa_user_sgpr_dispatch_id 0
		.amdhsa_user_sgpr_flat_scratch_init 0
		.amdhsa_user_sgpr_private_segment_size 0
		.amdhsa_uses_dynamic_stack 0
		.amdhsa_system_sgpr_private_segment_wavefront_offset 0
		.amdhsa_system_sgpr_workgroup_id_x 1
		.amdhsa_system_sgpr_workgroup_id_y 0
		.amdhsa_system_sgpr_workgroup_id_z 0
		.amdhsa_system_sgpr_workgroup_info 0
		.amdhsa_system_vgpr_workitem_id 0
		.amdhsa_next_free_vgpr 1
		.amdhsa_next_free_sgpr 0
		.amdhsa_reserve_vcc 0
		.amdhsa_reserve_flat_scratch 0
		.amdhsa_float_round_mode_32 0
		.amdhsa_float_round_mode_16_64 0
		.amdhsa_float_denorm_mode_32 3
		.amdhsa_float_denorm_mode_16_64 3
		.amdhsa_dx10_clamp 1
		.amdhsa_ieee_mode 1
		.amdhsa_fp16_overflow 0
		.amdhsa_exception_fp_ieee_invalid_op 0
		.amdhsa_exception_fp_denorm_src 0
		.amdhsa_exception_fp_ieee_div_zero 0
		.amdhsa_exception_fp_ieee_overflow 0
		.amdhsa_exception_fp_ieee_underflow 0
		.amdhsa_exception_fp_ieee_inexact 0
		.amdhsa_exception_int_div_zero 0
	.end_amdhsa_kernel
	.section	.text._ZN7rocprim17ROCPRIM_400000_NS6detail17trampoline_kernelINS0_14default_configENS1_22reduce_config_selectorIN6thrust23THRUST_200600_302600_NS5tupleIblNS6_9null_typeES8_S8_S8_S8_S8_S8_S8_EEEEZNS1_11reduce_implILb1ES3_NS6_12zip_iteratorINS7_INS6_11hip_rocprim26transform_input_iterator_tIbPfNS6_6detail10functional5actorINSH_9compositeIJNSH_27transparent_binary_operatorINS6_8equal_toIvEEEENSI_INSH_8argumentILj0EEEEENSH_5valueIfEEEEEEEEENSD_19counting_iterator_tIlEES8_S8_S8_S8_S8_S8_S8_S8_EEEEPS9_S9_NSD_9__find_if7functorIS9_EEEE10hipError_tPvRmT1_T2_T3_mT4_P12ihipStream_tbEUlT_E1_NS1_11comp_targetILNS1_3genE10ELNS1_11target_archE1200ELNS1_3gpuE4ELNS1_3repE0EEENS1_30default_config_static_selectorELNS0_4arch9wavefront6targetE1EEEvS17_,"axG",@progbits,_ZN7rocprim17ROCPRIM_400000_NS6detail17trampoline_kernelINS0_14default_configENS1_22reduce_config_selectorIN6thrust23THRUST_200600_302600_NS5tupleIblNS6_9null_typeES8_S8_S8_S8_S8_S8_S8_EEEEZNS1_11reduce_implILb1ES3_NS6_12zip_iteratorINS7_INS6_11hip_rocprim26transform_input_iterator_tIbPfNS6_6detail10functional5actorINSH_9compositeIJNSH_27transparent_binary_operatorINS6_8equal_toIvEEEENSI_INSH_8argumentILj0EEEEENSH_5valueIfEEEEEEEEENSD_19counting_iterator_tIlEES8_S8_S8_S8_S8_S8_S8_S8_EEEEPS9_S9_NSD_9__find_if7functorIS9_EEEE10hipError_tPvRmT1_T2_T3_mT4_P12ihipStream_tbEUlT_E1_NS1_11comp_targetILNS1_3genE10ELNS1_11target_archE1200ELNS1_3gpuE4ELNS1_3repE0EEENS1_30default_config_static_selectorELNS0_4arch9wavefront6targetE1EEEvS17_,comdat
.Lfunc_end1957:
	.size	_ZN7rocprim17ROCPRIM_400000_NS6detail17trampoline_kernelINS0_14default_configENS1_22reduce_config_selectorIN6thrust23THRUST_200600_302600_NS5tupleIblNS6_9null_typeES8_S8_S8_S8_S8_S8_S8_EEEEZNS1_11reduce_implILb1ES3_NS6_12zip_iteratorINS7_INS6_11hip_rocprim26transform_input_iterator_tIbPfNS6_6detail10functional5actorINSH_9compositeIJNSH_27transparent_binary_operatorINS6_8equal_toIvEEEENSI_INSH_8argumentILj0EEEEENSH_5valueIfEEEEEEEEENSD_19counting_iterator_tIlEES8_S8_S8_S8_S8_S8_S8_S8_EEEEPS9_S9_NSD_9__find_if7functorIS9_EEEE10hipError_tPvRmT1_T2_T3_mT4_P12ihipStream_tbEUlT_E1_NS1_11comp_targetILNS1_3genE10ELNS1_11target_archE1200ELNS1_3gpuE4ELNS1_3repE0EEENS1_30default_config_static_selectorELNS0_4arch9wavefront6targetE1EEEvS17_, .Lfunc_end1957-_ZN7rocprim17ROCPRIM_400000_NS6detail17trampoline_kernelINS0_14default_configENS1_22reduce_config_selectorIN6thrust23THRUST_200600_302600_NS5tupleIblNS6_9null_typeES8_S8_S8_S8_S8_S8_S8_EEEEZNS1_11reduce_implILb1ES3_NS6_12zip_iteratorINS7_INS6_11hip_rocprim26transform_input_iterator_tIbPfNS6_6detail10functional5actorINSH_9compositeIJNSH_27transparent_binary_operatorINS6_8equal_toIvEEEENSI_INSH_8argumentILj0EEEEENSH_5valueIfEEEEEEEEENSD_19counting_iterator_tIlEES8_S8_S8_S8_S8_S8_S8_S8_EEEEPS9_S9_NSD_9__find_if7functorIS9_EEEE10hipError_tPvRmT1_T2_T3_mT4_P12ihipStream_tbEUlT_E1_NS1_11comp_targetILNS1_3genE10ELNS1_11target_archE1200ELNS1_3gpuE4ELNS1_3repE0EEENS1_30default_config_static_selectorELNS0_4arch9wavefront6targetE1EEEvS17_
                                        ; -- End function
	.set _ZN7rocprim17ROCPRIM_400000_NS6detail17trampoline_kernelINS0_14default_configENS1_22reduce_config_selectorIN6thrust23THRUST_200600_302600_NS5tupleIblNS6_9null_typeES8_S8_S8_S8_S8_S8_S8_EEEEZNS1_11reduce_implILb1ES3_NS6_12zip_iteratorINS7_INS6_11hip_rocprim26transform_input_iterator_tIbPfNS6_6detail10functional5actorINSH_9compositeIJNSH_27transparent_binary_operatorINS6_8equal_toIvEEEENSI_INSH_8argumentILj0EEEEENSH_5valueIfEEEEEEEEENSD_19counting_iterator_tIlEES8_S8_S8_S8_S8_S8_S8_S8_EEEEPS9_S9_NSD_9__find_if7functorIS9_EEEE10hipError_tPvRmT1_T2_T3_mT4_P12ihipStream_tbEUlT_E1_NS1_11comp_targetILNS1_3genE10ELNS1_11target_archE1200ELNS1_3gpuE4ELNS1_3repE0EEENS1_30default_config_static_selectorELNS0_4arch9wavefront6targetE1EEEvS17_.num_vgpr, 0
	.set _ZN7rocprim17ROCPRIM_400000_NS6detail17trampoline_kernelINS0_14default_configENS1_22reduce_config_selectorIN6thrust23THRUST_200600_302600_NS5tupleIblNS6_9null_typeES8_S8_S8_S8_S8_S8_S8_EEEEZNS1_11reduce_implILb1ES3_NS6_12zip_iteratorINS7_INS6_11hip_rocprim26transform_input_iterator_tIbPfNS6_6detail10functional5actorINSH_9compositeIJNSH_27transparent_binary_operatorINS6_8equal_toIvEEEENSI_INSH_8argumentILj0EEEEENSH_5valueIfEEEEEEEEENSD_19counting_iterator_tIlEES8_S8_S8_S8_S8_S8_S8_S8_EEEEPS9_S9_NSD_9__find_if7functorIS9_EEEE10hipError_tPvRmT1_T2_T3_mT4_P12ihipStream_tbEUlT_E1_NS1_11comp_targetILNS1_3genE10ELNS1_11target_archE1200ELNS1_3gpuE4ELNS1_3repE0EEENS1_30default_config_static_selectorELNS0_4arch9wavefront6targetE1EEEvS17_.num_agpr, 0
	.set _ZN7rocprim17ROCPRIM_400000_NS6detail17trampoline_kernelINS0_14default_configENS1_22reduce_config_selectorIN6thrust23THRUST_200600_302600_NS5tupleIblNS6_9null_typeES8_S8_S8_S8_S8_S8_S8_EEEEZNS1_11reduce_implILb1ES3_NS6_12zip_iteratorINS7_INS6_11hip_rocprim26transform_input_iterator_tIbPfNS6_6detail10functional5actorINSH_9compositeIJNSH_27transparent_binary_operatorINS6_8equal_toIvEEEENSI_INSH_8argumentILj0EEEEENSH_5valueIfEEEEEEEEENSD_19counting_iterator_tIlEES8_S8_S8_S8_S8_S8_S8_S8_EEEEPS9_S9_NSD_9__find_if7functorIS9_EEEE10hipError_tPvRmT1_T2_T3_mT4_P12ihipStream_tbEUlT_E1_NS1_11comp_targetILNS1_3genE10ELNS1_11target_archE1200ELNS1_3gpuE4ELNS1_3repE0EEENS1_30default_config_static_selectorELNS0_4arch9wavefront6targetE1EEEvS17_.numbered_sgpr, 0
	.set _ZN7rocprim17ROCPRIM_400000_NS6detail17trampoline_kernelINS0_14default_configENS1_22reduce_config_selectorIN6thrust23THRUST_200600_302600_NS5tupleIblNS6_9null_typeES8_S8_S8_S8_S8_S8_S8_EEEEZNS1_11reduce_implILb1ES3_NS6_12zip_iteratorINS7_INS6_11hip_rocprim26transform_input_iterator_tIbPfNS6_6detail10functional5actorINSH_9compositeIJNSH_27transparent_binary_operatorINS6_8equal_toIvEEEENSI_INSH_8argumentILj0EEEEENSH_5valueIfEEEEEEEEENSD_19counting_iterator_tIlEES8_S8_S8_S8_S8_S8_S8_S8_EEEEPS9_S9_NSD_9__find_if7functorIS9_EEEE10hipError_tPvRmT1_T2_T3_mT4_P12ihipStream_tbEUlT_E1_NS1_11comp_targetILNS1_3genE10ELNS1_11target_archE1200ELNS1_3gpuE4ELNS1_3repE0EEENS1_30default_config_static_selectorELNS0_4arch9wavefront6targetE1EEEvS17_.num_named_barrier, 0
	.set _ZN7rocprim17ROCPRIM_400000_NS6detail17trampoline_kernelINS0_14default_configENS1_22reduce_config_selectorIN6thrust23THRUST_200600_302600_NS5tupleIblNS6_9null_typeES8_S8_S8_S8_S8_S8_S8_EEEEZNS1_11reduce_implILb1ES3_NS6_12zip_iteratorINS7_INS6_11hip_rocprim26transform_input_iterator_tIbPfNS6_6detail10functional5actorINSH_9compositeIJNSH_27transparent_binary_operatorINS6_8equal_toIvEEEENSI_INSH_8argumentILj0EEEEENSH_5valueIfEEEEEEEEENSD_19counting_iterator_tIlEES8_S8_S8_S8_S8_S8_S8_S8_EEEEPS9_S9_NSD_9__find_if7functorIS9_EEEE10hipError_tPvRmT1_T2_T3_mT4_P12ihipStream_tbEUlT_E1_NS1_11comp_targetILNS1_3genE10ELNS1_11target_archE1200ELNS1_3gpuE4ELNS1_3repE0EEENS1_30default_config_static_selectorELNS0_4arch9wavefront6targetE1EEEvS17_.private_seg_size, 0
	.set _ZN7rocprim17ROCPRIM_400000_NS6detail17trampoline_kernelINS0_14default_configENS1_22reduce_config_selectorIN6thrust23THRUST_200600_302600_NS5tupleIblNS6_9null_typeES8_S8_S8_S8_S8_S8_S8_EEEEZNS1_11reduce_implILb1ES3_NS6_12zip_iteratorINS7_INS6_11hip_rocprim26transform_input_iterator_tIbPfNS6_6detail10functional5actorINSH_9compositeIJNSH_27transparent_binary_operatorINS6_8equal_toIvEEEENSI_INSH_8argumentILj0EEEEENSH_5valueIfEEEEEEEEENSD_19counting_iterator_tIlEES8_S8_S8_S8_S8_S8_S8_S8_EEEEPS9_S9_NSD_9__find_if7functorIS9_EEEE10hipError_tPvRmT1_T2_T3_mT4_P12ihipStream_tbEUlT_E1_NS1_11comp_targetILNS1_3genE10ELNS1_11target_archE1200ELNS1_3gpuE4ELNS1_3repE0EEENS1_30default_config_static_selectorELNS0_4arch9wavefront6targetE1EEEvS17_.uses_vcc, 0
	.set _ZN7rocprim17ROCPRIM_400000_NS6detail17trampoline_kernelINS0_14default_configENS1_22reduce_config_selectorIN6thrust23THRUST_200600_302600_NS5tupleIblNS6_9null_typeES8_S8_S8_S8_S8_S8_S8_EEEEZNS1_11reduce_implILb1ES3_NS6_12zip_iteratorINS7_INS6_11hip_rocprim26transform_input_iterator_tIbPfNS6_6detail10functional5actorINSH_9compositeIJNSH_27transparent_binary_operatorINS6_8equal_toIvEEEENSI_INSH_8argumentILj0EEEEENSH_5valueIfEEEEEEEEENSD_19counting_iterator_tIlEES8_S8_S8_S8_S8_S8_S8_S8_EEEEPS9_S9_NSD_9__find_if7functorIS9_EEEE10hipError_tPvRmT1_T2_T3_mT4_P12ihipStream_tbEUlT_E1_NS1_11comp_targetILNS1_3genE10ELNS1_11target_archE1200ELNS1_3gpuE4ELNS1_3repE0EEENS1_30default_config_static_selectorELNS0_4arch9wavefront6targetE1EEEvS17_.uses_flat_scratch, 0
	.set _ZN7rocprim17ROCPRIM_400000_NS6detail17trampoline_kernelINS0_14default_configENS1_22reduce_config_selectorIN6thrust23THRUST_200600_302600_NS5tupleIblNS6_9null_typeES8_S8_S8_S8_S8_S8_S8_EEEEZNS1_11reduce_implILb1ES3_NS6_12zip_iteratorINS7_INS6_11hip_rocprim26transform_input_iterator_tIbPfNS6_6detail10functional5actorINSH_9compositeIJNSH_27transparent_binary_operatorINS6_8equal_toIvEEEENSI_INSH_8argumentILj0EEEEENSH_5valueIfEEEEEEEEENSD_19counting_iterator_tIlEES8_S8_S8_S8_S8_S8_S8_S8_EEEEPS9_S9_NSD_9__find_if7functorIS9_EEEE10hipError_tPvRmT1_T2_T3_mT4_P12ihipStream_tbEUlT_E1_NS1_11comp_targetILNS1_3genE10ELNS1_11target_archE1200ELNS1_3gpuE4ELNS1_3repE0EEENS1_30default_config_static_selectorELNS0_4arch9wavefront6targetE1EEEvS17_.has_dyn_sized_stack, 0
	.set _ZN7rocprim17ROCPRIM_400000_NS6detail17trampoline_kernelINS0_14default_configENS1_22reduce_config_selectorIN6thrust23THRUST_200600_302600_NS5tupleIblNS6_9null_typeES8_S8_S8_S8_S8_S8_S8_EEEEZNS1_11reduce_implILb1ES3_NS6_12zip_iteratorINS7_INS6_11hip_rocprim26transform_input_iterator_tIbPfNS6_6detail10functional5actorINSH_9compositeIJNSH_27transparent_binary_operatorINS6_8equal_toIvEEEENSI_INSH_8argumentILj0EEEEENSH_5valueIfEEEEEEEEENSD_19counting_iterator_tIlEES8_S8_S8_S8_S8_S8_S8_S8_EEEEPS9_S9_NSD_9__find_if7functorIS9_EEEE10hipError_tPvRmT1_T2_T3_mT4_P12ihipStream_tbEUlT_E1_NS1_11comp_targetILNS1_3genE10ELNS1_11target_archE1200ELNS1_3gpuE4ELNS1_3repE0EEENS1_30default_config_static_selectorELNS0_4arch9wavefront6targetE1EEEvS17_.has_recursion, 0
	.set _ZN7rocprim17ROCPRIM_400000_NS6detail17trampoline_kernelINS0_14default_configENS1_22reduce_config_selectorIN6thrust23THRUST_200600_302600_NS5tupleIblNS6_9null_typeES8_S8_S8_S8_S8_S8_S8_EEEEZNS1_11reduce_implILb1ES3_NS6_12zip_iteratorINS7_INS6_11hip_rocprim26transform_input_iterator_tIbPfNS6_6detail10functional5actorINSH_9compositeIJNSH_27transparent_binary_operatorINS6_8equal_toIvEEEENSI_INSH_8argumentILj0EEEEENSH_5valueIfEEEEEEEEENSD_19counting_iterator_tIlEES8_S8_S8_S8_S8_S8_S8_S8_EEEEPS9_S9_NSD_9__find_if7functorIS9_EEEE10hipError_tPvRmT1_T2_T3_mT4_P12ihipStream_tbEUlT_E1_NS1_11comp_targetILNS1_3genE10ELNS1_11target_archE1200ELNS1_3gpuE4ELNS1_3repE0EEENS1_30default_config_static_selectorELNS0_4arch9wavefront6targetE1EEEvS17_.has_indirect_call, 0
	.section	.AMDGPU.csdata,"",@progbits
; Kernel info:
; codeLenInByte = 0
; TotalNumSgprs: 4
; NumVgprs: 0
; ScratchSize: 0
; MemoryBound: 0
; FloatMode: 240
; IeeeMode: 1
; LDSByteSize: 0 bytes/workgroup (compile time only)
; SGPRBlocks: 0
; VGPRBlocks: 0
; NumSGPRsForWavesPerEU: 4
; NumVGPRsForWavesPerEU: 1
; Occupancy: 10
; WaveLimiterHint : 0
; COMPUTE_PGM_RSRC2:SCRATCH_EN: 0
; COMPUTE_PGM_RSRC2:USER_SGPR: 6
; COMPUTE_PGM_RSRC2:TRAP_HANDLER: 0
; COMPUTE_PGM_RSRC2:TGID_X_EN: 1
; COMPUTE_PGM_RSRC2:TGID_Y_EN: 0
; COMPUTE_PGM_RSRC2:TGID_Z_EN: 0
; COMPUTE_PGM_RSRC2:TIDIG_COMP_CNT: 0
	.section	.text._ZN7rocprim17ROCPRIM_400000_NS6detail17trampoline_kernelINS0_14default_configENS1_22reduce_config_selectorIN6thrust23THRUST_200600_302600_NS5tupleIblNS6_9null_typeES8_S8_S8_S8_S8_S8_S8_EEEEZNS1_11reduce_implILb1ES3_NS6_12zip_iteratorINS7_INS6_11hip_rocprim26transform_input_iterator_tIbPfNS6_6detail10functional5actorINSH_9compositeIJNSH_27transparent_binary_operatorINS6_8equal_toIvEEEENSI_INSH_8argumentILj0EEEEENSH_5valueIfEEEEEEEEENSD_19counting_iterator_tIlEES8_S8_S8_S8_S8_S8_S8_S8_EEEEPS9_S9_NSD_9__find_if7functorIS9_EEEE10hipError_tPvRmT1_T2_T3_mT4_P12ihipStream_tbEUlT_E1_NS1_11comp_targetILNS1_3genE9ELNS1_11target_archE1100ELNS1_3gpuE3ELNS1_3repE0EEENS1_30default_config_static_selectorELNS0_4arch9wavefront6targetE1EEEvS17_,"axG",@progbits,_ZN7rocprim17ROCPRIM_400000_NS6detail17trampoline_kernelINS0_14default_configENS1_22reduce_config_selectorIN6thrust23THRUST_200600_302600_NS5tupleIblNS6_9null_typeES8_S8_S8_S8_S8_S8_S8_EEEEZNS1_11reduce_implILb1ES3_NS6_12zip_iteratorINS7_INS6_11hip_rocprim26transform_input_iterator_tIbPfNS6_6detail10functional5actorINSH_9compositeIJNSH_27transparent_binary_operatorINS6_8equal_toIvEEEENSI_INSH_8argumentILj0EEEEENSH_5valueIfEEEEEEEEENSD_19counting_iterator_tIlEES8_S8_S8_S8_S8_S8_S8_S8_EEEEPS9_S9_NSD_9__find_if7functorIS9_EEEE10hipError_tPvRmT1_T2_T3_mT4_P12ihipStream_tbEUlT_E1_NS1_11comp_targetILNS1_3genE9ELNS1_11target_archE1100ELNS1_3gpuE3ELNS1_3repE0EEENS1_30default_config_static_selectorELNS0_4arch9wavefront6targetE1EEEvS17_,comdat
	.protected	_ZN7rocprim17ROCPRIM_400000_NS6detail17trampoline_kernelINS0_14default_configENS1_22reduce_config_selectorIN6thrust23THRUST_200600_302600_NS5tupleIblNS6_9null_typeES8_S8_S8_S8_S8_S8_S8_EEEEZNS1_11reduce_implILb1ES3_NS6_12zip_iteratorINS7_INS6_11hip_rocprim26transform_input_iterator_tIbPfNS6_6detail10functional5actorINSH_9compositeIJNSH_27transparent_binary_operatorINS6_8equal_toIvEEEENSI_INSH_8argumentILj0EEEEENSH_5valueIfEEEEEEEEENSD_19counting_iterator_tIlEES8_S8_S8_S8_S8_S8_S8_S8_EEEEPS9_S9_NSD_9__find_if7functorIS9_EEEE10hipError_tPvRmT1_T2_T3_mT4_P12ihipStream_tbEUlT_E1_NS1_11comp_targetILNS1_3genE9ELNS1_11target_archE1100ELNS1_3gpuE3ELNS1_3repE0EEENS1_30default_config_static_selectorELNS0_4arch9wavefront6targetE1EEEvS17_ ; -- Begin function _ZN7rocprim17ROCPRIM_400000_NS6detail17trampoline_kernelINS0_14default_configENS1_22reduce_config_selectorIN6thrust23THRUST_200600_302600_NS5tupleIblNS6_9null_typeES8_S8_S8_S8_S8_S8_S8_EEEEZNS1_11reduce_implILb1ES3_NS6_12zip_iteratorINS7_INS6_11hip_rocprim26transform_input_iterator_tIbPfNS6_6detail10functional5actorINSH_9compositeIJNSH_27transparent_binary_operatorINS6_8equal_toIvEEEENSI_INSH_8argumentILj0EEEEENSH_5valueIfEEEEEEEEENSD_19counting_iterator_tIlEES8_S8_S8_S8_S8_S8_S8_S8_EEEEPS9_S9_NSD_9__find_if7functorIS9_EEEE10hipError_tPvRmT1_T2_T3_mT4_P12ihipStream_tbEUlT_E1_NS1_11comp_targetILNS1_3genE9ELNS1_11target_archE1100ELNS1_3gpuE3ELNS1_3repE0EEENS1_30default_config_static_selectorELNS0_4arch9wavefront6targetE1EEEvS17_
	.globl	_ZN7rocprim17ROCPRIM_400000_NS6detail17trampoline_kernelINS0_14default_configENS1_22reduce_config_selectorIN6thrust23THRUST_200600_302600_NS5tupleIblNS6_9null_typeES8_S8_S8_S8_S8_S8_S8_EEEEZNS1_11reduce_implILb1ES3_NS6_12zip_iteratorINS7_INS6_11hip_rocprim26transform_input_iterator_tIbPfNS6_6detail10functional5actorINSH_9compositeIJNSH_27transparent_binary_operatorINS6_8equal_toIvEEEENSI_INSH_8argumentILj0EEEEENSH_5valueIfEEEEEEEEENSD_19counting_iterator_tIlEES8_S8_S8_S8_S8_S8_S8_S8_EEEEPS9_S9_NSD_9__find_if7functorIS9_EEEE10hipError_tPvRmT1_T2_T3_mT4_P12ihipStream_tbEUlT_E1_NS1_11comp_targetILNS1_3genE9ELNS1_11target_archE1100ELNS1_3gpuE3ELNS1_3repE0EEENS1_30default_config_static_selectorELNS0_4arch9wavefront6targetE1EEEvS17_
	.p2align	8
	.type	_ZN7rocprim17ROCPRIM_400000_NS6detail17trampoline_kernelINS0_14default_configENS1_22reduce_config_selectorIN6thrust23THRUST_200600_302600_NS5tupleIblNS6_9null_typeES8_S8_S8_S8_S8_S8_S8_EEEEZNS1_11reduce_implILb1ES3_NS6_12zip_iteratorINS7_INS6_11hip_rocprim26transform_input_iterator_tIbPfNS6_6detail10functional5actorINSH_9compositeIJNSH_27transparent_binary_operatorINS6_8equal_toIvEEEENSI_INSH_8argumentILj0EEEEENSH_5valueIfEEEEEEEEENSD_19counting_iterator_tIlEES8_S8_S8_S8_S8_S8_S8_S8_EEEEPS9_S9_NSD_9__find_if7functorIS9_EEEE10hipError_tPvRmT1_T2_T3_mT4_P12ihipStream_tbEUlT_E1_NS1_11comp_targetILNS1_3genE9ELNS1_11target_archE1100ELNS1_3gpuE3ELNS1_3repE0EEENS1_30default_config_static_selectorELNS0_4arch9wavefront6targetE1EEEvS17_,@function
_ZN7rocprim17ROCPRIM_400000_NS6detail17trampoline_kernelINS0_14default_configENS1_22reduce_config_selectorIN6thrust23THRUST_200600_302600_NS5tupleIblNS6_9null_typeES8_S8_S8_S8_S8_S8_S8_EEEEZNS1_11reduce_implILb1ES3_NS6_12zip_iteratorINS7_INS6_11hip_rocprim26transform_input_iterator_tIbPfNS6_6detail10functional5actorINSH_9compositeIJNSH_27transparent_binary_operatorINS6_8equal_toIvEEEENSI_INSH_8argumentILj0EEEEENSH_5valueIfEEEEEEEEENSD_19counting_iterator_tIlEES8_S8_S8_S8_S8_S8_S8_S8_EEEEPS9_S9_NSD_9__find_if7functorIS9_EEEE10hipError_tPvRmT1_T2_T3_mT4_P12ihipStream_tbEUlT_E1_NS1_11comp_targetILNS1_3genE9ELNS1_11target_archE1100ELNS1_3gpuE3ELNS1_3repE0EEENS1_30default_config_static_selectorELNS0_4arch9wavefront6targetE1EEEvS17_: ; @_ZN7rocprim17ROCPRIM_400000_NS6detail17trampoline_kernelINS0_14default_configENS1_22reduce_config_selectorIN6thrust23THRUST_200600_302600_NS5tupleIblNS6_9null_typeES8_S8_S8_S8_S8_S8_S8_EEEEZNS1_11reduce_implILb1ES3_NS6_12zip_iteratorINS7_INS6_11hip_rocprim26transform_input_iterator_tIbPfNS6_6detail10functional5actorINSH_9compositeIJNSH_27transparent_binary_operatorINS6_8equal_toIvEEEENSI_INSH_8argumentILj0EEEEENSH_5valueIfEEEEEEEEENSD_19counting_iterator_tIlEES8_S8_S8_S8_S8_S8_S8_S8_EEEEPS9_S9_NSD_9__find_if7functorIS9_EEEE10hipError_tPvRmT1_T2_T3_mT4_P12ihipStream_tbEUlT_E1_NS1_11comp_targetILNS1_3genE9ELNS1_11target_archE1100ELNS1_3gpuE3ELNS1_3repE0EEENS1_30default_config_static_selectorELNS0_4arch9wavefront6targetE1EEEvS17_
; %bb.0:
	.section	.rodata,"a",@progbits
	.p2align	6, 0x0
	.amdhsa_kernel _ZN7rocprim17ROCPRIM_400000_NS6detail17trampoline_kernelINS0_14default_configENS1_22reduce_config_selectorIN6thrust23THRUST_200600_302600_NS5tupleIblNS6_9null_typeES8_S8_S8_S8_S8_S8_S8_EEEEZNS1_11reduce_implILb1ES3_NS6_12zip_iteratorINS7_INS6_11hip_rocprim26transform_input_iterator_tIbPfNS6_6detail10functional5actorINSH_9compositeIJNSH_27transparent_binary_operatorINS6_8equal_toIvEEEENSI_INSH_8argumentILj0EEEEENSH_5valueIfEEEEEEEEENSD_19counting_iterator_tIlEES8_S8_S8_S8_S8_S8_S8_S8_EEEEPS9_S9_NSD_9__find_if7functorIS9_EEEE10hipError_tPvRmT1_T2_T3_mT4_P12ihipStream_tbEUlT_E1_NS1_11comp_targetILNS1_3genE9ELNS1_11target_archE1100ELNS1_3gpuE3ELNS1_3repE0EEENS1_30default_config_static_selectorELNS0_4arch9wavefront6targetE1EEEvS17_
		.amdhsa_group_segment_fixed_size 0
		.amdhsa_private_segment_fixed_size 0
		.amdhsa_kernarg_size 72
		.amdhsa_user_sgpr_count 6
		.amdhsa_user_sgpr_private_segment_buffer 1
		.amdhsa_user_sgpr_dispatch_ptr 0
		.amdhsa_user_sgpr_queue_ptr 0
		.amdhsa_user_sgpr_kernarg_segment_ptr 1
		.amdhsa_user_sgpr_dispatch_id 0
		.amdhsa_user_sgpr_flat_scratch_init 0
		.amdhsa_user_sgpr_private_segment_size 0
		.amdhsa_uses_dynamic_stack 0
		.amdhsa_system_sgpr_private_segment_wavefront_offset 0
		.amdhsa_system_sgpr_workgroup_id_x 1
		.amdhsa_system_sgpr_workgroup_id_y 0
		.amdhsa_system_sgpr_workgroup_id_z 0
		.amdhsa_system_sgpr_workgroup_info 0
		.amdhsa_system_vgpr_workitem_id 0
		.amdhsa_next_free_vgpr 1
		.amdhsa_next_free_sgpr 0
		.amdhsa_reserve_vcc 0
		.amdhsa_reserve_flat_scratch 0
		.amdhsa_float_round_mode_32 0
		.amdhsa_float_round_mode_16_64 0
		.amdhsa_float_denorm_mode_32 3
		.amdhsa_float_denorm_mode_16_64 3
		.amdhsa_dx10_clamp 1
		.amdhsa_ieee_mode 1
		.amdhsa_fp16_overflow 0
		.amdhsa_exception_fp_ieee_invalid_op 0
		.amdhsa_exception_fp_denorm_src 0
		.amdhsa_exception_fp_ieee_div_zero 0
		.amdhsa_exception_fp_ieee_overflow 0
		.amdhsa_exception_fp_ieee_underflow 0
		.amdhsa_exception_fp_ieee_inexact 0
		.amdhsa_exception_int_div_zero 0
	.end_amdhsa_kernel
	.section	.text._ZN7rocprim17ROCPRIM_400000_NS6detail17trampoline_kernelINS0_14default_configENS1_22reduce_config_selectorIN6thrust23THRUST_200600_302600_NS5tupleIblNS6_9null_typeES8_S8_S8_S8_S8_S8_S8_EEEEZNS1_11reduce_implILb1ES3_NS6_12zip_iteratorINS7_INS6_11hip_rocprim26transform_input_iterator_tIbPfNS6_6detail10functional5actorINSH_9compositeIJNSH_27transparent_binary_operatorINS6_8equal_toIvEEEENSI_INSH_8argumentILj0EEEEENSH_5valueIfEEEEEEEEENSD_19counting_iterator_tIlEES8_S8_S8_S8_S8_S8_S8_S8_EEEEPS9_S9_NSD_9__find_if7functorIS9_EEEE10hipError_tPvRmT1_T2_T3_mT4_P12ihipStream_tbEUlT_E1_NS1_11comp_targetILNS1_3genE9ELNS1_11target_archE1100ELNS1_3gpuE3ELNS1_3repE0EEENS1_30default_config_static_selectorELNS0_4arch9wavefront6targetE1EEEvS17_,"axG",@progbits,_ZN7rocprim17ROCPRIM_400000_NS6detail17trampoline_kernelINS0_14default_configENS1_22reduce_config_selectorIN6thrust23THRUST_200600_302600_NS5tupleIblNS6_9null_typeES8_S8_S8_S8_S8_S8_S8_EEEEZNS1_11reduce_implILb1ES3_NS6_12zip_iteratorINS7_INS6_11hip_rocprim26transform_input_iterator_tIbPfNS6_6detail10functional5actorINSH_9compositeIJNSH_27transparent_binary_operatorINS6_8equal_toIvEEEENSI_INSH_8argumentILj0EEEEENSH_5valueIfEEEEEEEEENSD_19counting_iterator_tIlEES8_S8_S8_S8_S8_S8_S8_S8_EEEEPS9_S9_NSD_9__find_if7functorIS9_EEEE10hipError_tPvRmT1_T2_T3_mT4_P12ihipStream_tbEUlT_E1_NS1_11comp_targetILNS1_3genE9ELNS1_11target_archE1100ELNS1_3gpuE3ELNS1_3repE0EEENS1_30default_config_static_selectorELNS0_4arch9wavefront6targetE1EEEvS17_,comdat
.Lfunc_end1958:
	.size	_ZN7rocprim17ROCPRIM_400000_NS6detail17trampoline_kernelINS0_14default_configENS1_22reduce_config_selectorIN6thrust23THRUST_200600_302600_NS5tupleIblNS6_9null_typeES8_S8_S8_S8_S8_S8_S8_EEEEZNS1_11reduce_implILb1ES3_NS6_12zip_iteratorINS7_INS6_11hip_rocprim26transform_input_iterator_tIbPfNS6_6detail10functional5actorINSH_9compositeIJNSH_27transparent_binary_operatorINS6_8equal_toIvEEEENSI_INSH_8argumentILj0EEEEENSH_5valueIfEEEEEEEEENSD_19counting_iterator_tIlEES8_S8_S8_S8_S8_S8_S8_S8_EEEEPS9_S9_NSD_9__find_if7functorIS9_EEEE10hipError_tPvRmT1_T2_T3_mT4_P12ihipStream_tbEUlT_E1_NS1_11comp_targetILNS1_3genE9ELNS1_11target_archE1100ELNS1_3gpuE3ELNS1_3repE0EEENS1_30default_config_static_selectorELNS0_4arch9wavefront6targetE1EEEvS17_, .Lfunc_end1958-_ZN7rocprim17ROCPRIM_400000_NS6detail17trampoline_kernelINS0_14default_configENS1_22reduce_config_selectorIN6thrust23THRUST_200600_302600_NS5tupleIblNS6_9null_typeES8_S8_S8_S8_S8_S8_S8_EEEEZNS1_11reduce_implILb1ES3_NS6_12zip_iteratorINS7_INS6_11hip_rocprim26transform_input_iterator_tIbPfNS6_6detail10functional5actorINSH_9compositeIJNSH_27transparent_binary_operatorINS6_8equal_toIvEEEENSI_INSH_8argumentILj0EEEEENSH_5valueIfEEEEEEEEENSD_19counting_iterator_tIlEES8_S8_S8_S8_S8_S8_S8_S8_EEEEPS9_S9_NSD_9__find_if7functorIS9_EEEE10hipError_tPvRmT1_T2_T3_mT4_P12ihipStream_tbEUlT_E1_NS1_11comp_targetILNS1_3genE9ELNS1_11target_archE1100ELNS1_3gpuE3ELNS1_3repE0EEENS1_30default_config_static_selectorELNS0_4arch9wavefront6targetE1EEEvS17_
                                        ; -- End function
	.set _ZN7rocprim17ROCPRIM_400000_NS6detail17trampoline_kernelINS0_14default_configENS1_22reduce_config_selectorIN6thrust23THRUST_200600_302600_NS5tupleIblNS6_9null_typeES8_S8_S8_S8_S8_S8_S8_EEEEZNS1_11reduce_implILb1ES3_NS6_12zip_iteratorINS7_INS6_11hip_rocprim26transform_input_iterator_tIbPfNS6_6detail10functional5actorINSH_9compositeIJNSH_27transparent_binary_operatorINS6_8equal_toIvEEEENSI_INSH_8argumentILj0EEEEENSH_5valueIfEEEEEEEEENSD_19counting_iterator_tIlEES8_S8_S8_S8_S8_S8_S8_S8_EEEEPS9_S9_NSD_9__find_if7functorIS9_EEEE10hipError_tPvRmT1_T2_T3_mT4_P12ihipStream_tbEUlT_E1_NS1_11comp_targetILNS1_3genE9ELNS1_11target_archE1100ELNS1_3gpuE3ELNS1_3repE0EEENS1_30default_config_static_selectorELNS0_4arch9wavefront6targetE1EEEvS17_.num_vgpr, 0
	.set _ZN7rocprim17ROCPRIM_400000_NS6detail17trampoline_kernelINS0_14default_configENS1_22reduce_config_selectorIN6thrust23THRUST_200600_302600_NS5tupleIblNS6_9null_typeES8_S8_S8_S8_S8_S8_S8_EEEEZNS1_11reduce_implILb1ES3_NS6_12zip_iteratorINS7_INS6_11hip_rocprim26transform_input_iterator_tIbPfNS6_6detail10functional5actorINSH_9compositeIJNSH_27transparent_binary_operatorINS6_8equal_toIvEEEENSI_INSH_8argumentILj0EEEEENSH_5valueIfEEEEEEEEENSD_19counting_iterator_tIlEES8_S8_S8_S8_S8_S8_S8_S8_EEEEPS9_S9_NSD_9__find_if7functorIS9_EEEE10hipError_tPvRmT1_T2_T3_mT4_P12ihipStream_tbEUlT_E1_NS1_11comp_targetILNS1_3genE9ELNS1_11target_archE1100ELNS1_3gpuE3ELNS1_3repE0EEENS1_30default_config_static_selectorELNS0_4arch9wavefront6targetE1EEEvS17_.num_agpr, 0
	.set _ZN7rocprim17ROCPRIM_400000_NS6detail17trampoline_kernelINS0_14default_configENS1_22reduce_config_selectorIN6thrust23THRUST_200600_302600_NS5tupleIblNS6_9null_typeES8_S8_S8_S8_S8_S8_S8_EEEEZNS1_11reduce_implILb1ES3_NS6_12zip_iteratorINS7_INS6_11hip_rocprim26transform_input_iterator_tIbPfNS6_6detail10functional5actorINSH_9compositeIJNSH_27transparent_binary_operatorINS6_8equal_toIvEEEENSI_INSH_8argumentILj0EEEEENSH_5valueIfEEEEEEEEENSD_19counting_iterator_tIlEES8_S8_S8_S8_S8_S8_S8_S8_EEEEPS9_S9_NSD_9__find_if7functorIS9_EEEE10hipError_tPvRmT1_T2_T3_mT4_P12ihipStream_tbEUlT_E1_NS1_11comp_targetILNS1_3genE9ELNS1_11target_archE1100ELNS1_3gpuE3ELNS1_3repE0EEENS1_30default_config_static_selectorELNS0_4arch9wavefront6targetE1EEEvS17_.numbered_sgpr, 0
	.set _ZN7rocprim17ROCPRIM_400000_NS6detail17trampoline_kernelINS0_14default_configENS1_22reduce_config_selectorIN6thrust23THRUST_200600_302600_NS5tupleIblNS6_9null_typeES8_S8_S8_S8_S8_S8_S8_EEEEZNS1_11reduce_implILb1ES3_NS6_12zip_iteratorINS7_INS6_11hip_rocprim26transform_input_iterator_tIbPfNS6_6detail10functional5actorINSH_9compositeIJNSH_27transparent_binary_operatorINS6_8equal_toIvEEEENSI_INSH_8argumentILj0EEEEENSH_5valueIfEEEEEEEEENSD_19counting_iterator_tIlEES8_S8_S8_S8_S8_S8_S8_S8_EEEEPS9_S9_NSD_9__find_if7functorIS9_EEEE10hipError_tPvRmT1_T2_T3_mT4_P12ihipStream_tbEUlT_E1_NS1_11comp_targetILNS1_3genE9ELNS1_11target_archE1100ELNS1_3gpuE3ELNS1_3repE0EEENS1_30default_config_static_selectorELNS0_4arch9wavefront6targetE1EEEvS17_.num_named_barrier, 0
	.set _ZN7rocprim17ROCPRIM_400000_NS6detail17trampoline_kernelINS0_14default_configENS1_22reduce_config_selectorIN6thrust23THRUST_200600_302600_NS5tupleIblNS6_9null_typeES8_S8_S8_S8_S8_S8_S8_EEEEZNS1_11reduce_implILb1ES3_NS6_12zip_iteratorINS7_INS6_11hip_rocprim26transform_input_iterator_tIbPfNS6_6detail10functional5actorINSH_9compositeIJNSH_27transparent_binary_operatorINS6_8equal_toIvEEEENSI_INSH_8argumentILj0EEEEENSH_5valueIfEEEEEEEEENSD_19counting_iterator_tIlEES8_S8_S8_S8_S8_S8_S8_S8_EEEEPS9_S9_NSD_9__find_if7functorIS9_EEEE10hipError_tPvRmT1_T2_T3_mT4_P12ihipStream_tbEUlT_E1_NS1_11comp_targetILNS1_3genE9ELNS1_11target_archE1100ELNS1_3gpuE3ELNS1_3repE0EEENS1_30default_config_static_selectorELNS0_4arch9wavefront6targetE1EEEvS17_.private_seg_size, 0
	.set _ZN7rocprim17ROCPRIM_400000_NS6detail17trampoline_kernelINS0_14default_configENS1_22reduce_config_selectorIN6thrust23THRUST_200600_302600_NS5tupleIblNS6_9null_typeES8_S8_S8_S8_S8_S8_S8_EEEEZNS1_11reduce_implILb1ES3_NS6_12zip_iteratorINS7_INS6_11hip_rocprim26transform_input_iterator_tIbPfNS6_6detail10functional5actorINSH_9compositeIJNSH_27transparent_binary_operatorINS6_8equal_toIvEEEENSI_INSH_8argumentILj0EEEEENSH_5valueIfEEEEEEEEENSD_19counting_iterator_tIlEES8_S8_S8_S8_S8_S8_S8_S8_EEEEPS9_S9_NSD_9__find_if7functorIS9_EEEE10hipError_tPvRmT1_T2_T3_mT4_P12ihipStream_tbEUlT_E1_NS1_11comp_targetILNS1_3genE9ELNS1_11target_archE1100ELNS1_3gpuE3ELNS1_3repE0EEENS1_30default_config_static_selectorELNS0_4arch9wavefront6targetE1EEEvS17_.uses_vcc, 0
	.set _ZN7rocprim17ROCPRIM_400000_NS6detail17trampoline_kernelINS0_14default_configENS1_22reduce_config_selectorIN6thrust23THRUST_200600_302600_NS5tupleIblNS6_9null_typeES8_S8_S8_S8_S8_S8_S8_EEEEZNS1_11reduce_implILb1ES3_NS6_12zip_iteratorINS7_INS6_11hip_rocprim26transform_input_iterator_tIbPfNS6_6detail10functional5actorINSH_9compositeIJNSH_27transparent_binary_operatorINS6_8equal_toIvEEEENSI_INSH_8argumentILj0EEEEENSH_5valueIfEEEEEEEEENSD_19counting_iterator_tIlEES8_S8_S8_S8_S8_S8_S8_S8_EEEEPS9_S9_NSD_9__find_if7functorIS9_EEEE10hipError_tPvRmT1_T2_T3_mT4_P12ihipStream_tbEUlT_E1_NS1_11comp_targetILNS1_3genE9ELNS1_11target_archE1100ELNS1_3gpuE3ELNS1_3repE0EEENS1_30default_config_static_selectorELNS0_4arch9wavefront6targetE1EEEvS17_.uses_flat_scratch, 0
	.set _ZN7rocprim17ROCPRIM_400000_NS6detail17trampoline_kernelINS0_14default_configENS1_22reduce_config_selectorIN6thrust23THRUST_200600_302600_NS5tupleIblNS6_9null_typeES8_S8_S8_S8_S8_S8_S8_EEEEZNS1_11reduce_implILb1ES3_NS6_12zip_iteratorINS7_INS6_11hip_rocprim26transform_input_iterator_tIbPfNS6_6detail10functional5actorINSH_9compositeIJNSH_27transparent_binary_operatorINS6_8equal_toIvEEEENSI_INSH_8argumentILj0EEEEENSH_5valueIfEEEEEEEEENSD_19counting_iterator_tIlEES8_S8_S8_S8_S8_S8_S8_S8_EEEEPS9_S9_NSD_9__find_if7functorIS9_EEEE10hipError_tPvRmT1_T2_T3_mT4_P12ihipStream_tbEUlT_E1_NS1_11comp_targetILNS1_3genE9ELNS1_11target_archE1100ELNS1_3gpuE3ELNS1_3repE0EEENS1_30default_config_static_selectorELNS0_4arch9wavefront6targetE1EEEvS17_.has_dyn_sized_stack, 0
	.set _ZN7rocprim17ROCPRIM_400000_NS6detail17trampoline_kernelINS0_14default_configENS1_22reduce_config_selectorIN6thrust23THRUST_200600_302600_NS5tupleIblNS6_9null_typeES8_S8_S8_S8_S8_S8_S8_EEEEZNS1_11reduce_implILb1ES3_NS6_12zip_iteratorINS7_INS6_11hip_rocprim26transform_input_iterator_tIbPfNS6_6detail10functional5actorINSH_9compositeIJNSH_27transparent_binary_operatorINS6_8equal_toIvEEEENSI_INSH_8argumentILj0EEEEENSH_5valueIfEEEEEEEEENSD_19counting_iterator_tIlEES8_S8_S8_S8_S8_S8_S8_S8_EEEEPS9_S9_NSD_9__find_if7functorIS9_EEEE10hipError_tPvRmT1_T2_T3_mT4_P12ihipStream_tbEUlT_E1_NS1_11comp_targetILNS1_3genE9ELNS1_11target_archE1100ELNS1_3gpuE3ELNS1_3repE0EEENS1_30default_config_static_selectorELNS0_4arch9wavefront6targetE1EEEvS17_.has_recursion, 0
	.set _ZN7rocprim17ROCPRIM_400000_NS6detail17trampoline_kernelINS0_14default_configENS1_22reduce_config_selectorIN6thrust23THRUST_200600_302600_NS5tupleIblNS6_9null_typeES8_S8_S8_S8_S8_S8_S8_EEEEZNS1_11reduce_implILb1ES3_NS6_12zip_iteratorINS7_INS6_11hip_rocprim26transform_input_iterator_tIbPfNS6_6detail10functional5actorINSH_9compositeIJNSH_27transparent_binary_operatorINS6_8equal_toIvEEEENSI_INSH_8argumentILj0EEEEENSH_5valueIfEEEEEEEEENSD_19counting_iterator_tIlEES8_S8_S8_S8_S8_S8_S8_S8_EEEEPS9_S9_NSD_9__find_if7functorIS9_EEEE10hipError_tPvRmT1_T2_T3_mT4_P12ihipStream_tbEUlT_E1_NS1_11comp_targetILNS1_3genE9ELNS1_11target_archE1100ELNS1_3gpuE3ELNS1_3repE0EEENS1_30default_config_static_selectorELNS0_4arch9wavefront6targetE1EEEvS17_.has_indirect_call, 0
	.section	.AMDGPU.csdata,"",@progbits
; Kernel info:
; codeLenInByte = 0
; TotalNumSgprs: 4
; NumVgprs: 0
; ScratchSize: 0
; MemoryBound: 0
; FloatMode: 240
; IeeeMode: 1
; LDSByteSize: 0 bytes/workgroup (compile time only)
; SGPRBlocks: 0
; VGPRBlocks: 0
; NumSGPRsForWavesPerEU: 4
; NumVGPRsForWavesPerEU: 1
; Occupancy: 10
; WaveLimiterHint : 0
; COMPUTE_PGM_RSRC2:SCRATCH_EN: 0
; COMPUTE_PGM_RSRC2:USER_SGPR: 6
; COMPUTE_PGM_RSRC2:TRAP_HANDLER: 0
; COMPUTE_PGM_RSRC2:TGID_X_EN: 1
; COMPUTE_PGM_RSRC2:TGID_Y_EN: 0
; COMPUTE_PGM_RSRC2:TGID_Z_EN: 0
; COMPUTE_PGM_RSRC2:TIDIG_COMP_CNT: 0
	.section	.text._ZN7rocprim17ROCPRIM_400000_NS6detail17trampoline_kernelINS0_14default_configENS1_22reduce_config_selectorIN6thrust23THRUST_200600_302600_NS5tupleIblNS6_9null_typeES8_S8_S8_S8_S8_S8_S8_EEEEZNS1_11reduce_implILb1ES3_NS6_12zip_iteratorINS7_INS6_11hip_rocprim26transform_input_iterator_tIbPfNS6_6detail10functional5actorINSH_9compositeIJNSH_27transparent_binary_operatorINS6_8equal_toIvEEEENSI_INSH_8argumentILj0EEEEENSH_5valueIfEEEEEEEEENSD_19counting_iterator_tIlEES8_S8_S8_S8_S8_S8_S8_S8_EEEEPS9_S9_NSD_9__find_if7functorIS9_EEEE10hipError_tPvRmT1_T2_T3_mT4_P12ihipStream_tbEUlT_E1_NS1_11comp_targetILNS1_3genE8ELNS1_11target_archE1030ELNS1_3gpuE2ELNS1_3repE0EEENS1_30default_config_static_selectorELNS0_4arch9wavefront6targetE1EEEvS17_,"axG",@progbits,_ZN7rocprim17ROCPRIM_400000_NS6detail17trampoline_kernelINS0_14default_configENS1_22reduce_config_selectorIN6thrust23THRUST_200600_302600_NS5tupleIblNS6_9null_typeES8_S8_S8_S8_S8_S8_S8_EEEEZNS1_11reduce_implILb1ES3_NS6_12zip_iteratorINS7_INS6_11hip_rocprim26transform_input_iterator_tIbPfNS6_6detail10functional5actorINSH_9compositeIJNSH_27transparent_binary_operatorINS6_8equal_toIvEEEENSI_INSH_8argumentILj0EEEEENSH_5valueIfEEEEEEEEENSD_19counting_iterator_tIlEES8_S8_S8_S8_S8_S8_S8_S8_EEEEPS9_S9_NSD_9__find_if7functorIS9_EEEE10hipError_tPvRmT1_T2_T3_mT4_P12ihipStream_tbEUlT_E1_NS1_11comp_targetILNS1_3genE8ELNS1_11target_archE1030ELNS1_3gpuE2ELNS1_3repE0EEENS1_30default_config_static_selectorELNS0_4arch9wavefront6targetE1EEEvS17_,comdat
	.protected	_ZN7rocprim17ROCPRIM_400000_NS6detail17trampoline_kernelINS0_14default_configENS1_22reduce_config_selectorIN6thrust23THRUST_200600_302600_NS5tupleIblNS6_9null_typeES8_S8_S8_S8_S8_S8_S8_EEEEZNS1_11reduce_implILb1ES3_NS6_12zip_iteratorINS7_INS6_11hip_rocprim26transform_input_iterator_tIbPfNS6_6detail10functional5actorINSH_9compositeIJNSH_27transparent_binary_operatorINS6_8equal_toIvEEEENSI_INSH_8argumentILj0EEEEENSH_5valueIfEEEEEEEEENSD_19counting_iterator_tIlEES8_S8_S8_S8_S8_S8_S8_S8_EEEEPS9_S9_NSD_9__find_if7functorIS9_EEEE10hipError_tPvRmT1_T2_T3_mT4_P12ihipStream_tbEUlT_E1_NS1_11comp_targetILNS1_3genE8ELNS1_11target_archE1030ELNS1_3gpuE2ELNS1_3repE0EEENS1_30default_config_static_selectorELNS0_4arch9wavefront6targetE1EEEvS17_ ; -- Begin function _ZN7rocprim17ROCPRIM_400000_NS6detail17trampoline_kernelINS0_14default_configENS1_22reduce_config_selectorIN6thrust23THRUST_200600_302600_NS5tupleIblNS6_9null_typeES8_S8_S8_S8_S8_S8_S8_EEEEZNS1_11reduce_implILb1ES3_NS6_12zip_iteratorINS7_INS6_11hip_rocprim26transform_input_iterator_tIbPfNS6_6detail10functional5actorINSH_9compositeIJNSH_27transparent_binary_operatorINS6_8equal_toIvEEEENSI_INSH_8argumentILj0EEEEENSH_5valueIfEEEEEEEEENSD_19counting_iterator_tIlEES8_S8_S8_S8_S8_S8_S8_S8_EEEEPS9_S9_NSD_9__find_if7functorIS9_EEEE10hipError_tPvRmT1_T2_T3_mT4_P12ihipStream_tbEUlT_E1_NS1_11comp_targetILNS1_3genE8ELNS1_11target_archE1030ELNS1_3gpuE2ELNS1_3repE0EEENS1_30default_config_static_selectorELNS0_4arch9wavefront6targetE1EEEvS17_
	.globl	_ZN7rocprim17ROCPRIM_400000_NS6detail17trampoline_kernelINS0_14default_configENS1_22reduce_config_selectorIN6thrust23THRUST_200600_302600_NS5tupleIblNS6_9null_typeES8_S8_S8_S8_S8_S8_S8_EEEEZNS1_11reduce_implILb1ES3_NS6_12zip_iteratorINS7_INS6_11hip_rocprim26transform_input_iterator_tIbPfNS6_6detail10functional5actorINSH_9compositeIJNSH_27transparent_binary_operatorINS6_8equal_toIvEEEENSI_INSH_8argumentILj0EEEEENSH_5valueIfEEEEEEEEENSD_19counting_iterator_tIlEES8_S8_S8_S8_S8_S8_S8_S8_EEEEPS9_S9_NSD_9__find_if7functorIS9_EEEE10hipError_tPvRmT1_T2_T3_mT4_P12ihipStream_tbEUlT_E1_NS1_11comp_targetILNS1_3genE8ELNS1_11target_archE1030ELNS1_3gpuE2ELNS1_3repE0EEENS1_30default_config_static_selectorELNS0_4arch9wavefront6targetE1EEEvS17_
	.p2align	8
	.type	_ZN7rocprim17ROCPRIM_400000_NS6detail17trampoline_kernelINS0_14default_configENS1_22reduce_config_selectorIN6thrust23THRUST_200600_302600_NS5tupleIblNS6_9null_typeES8_S8_S8_S8_S8_S8_S8_EEEEZNS1_11reduce_implILb1ES3_NS6_12zip_iteratorINS7_INS6_11hip_rocprim26transform_input_iterator_tIbPfNS6_6detail10functional5actorINSH_9compositeIJNSH_27transparent_binary_operatorINS6_8equal_toIvEEEENSI_INSH_8argumentILj0EEEEENSH_5valueIfEEEEEEEEENSD_19counting_iterator_tIlEES8_S8_S8_S8_S8_S8_S8_S8_EEEEPS9_S9_NSD_9__find_if7functorIS9_EEEE10hipError_tPvRmT1_T2_T3_mT4_P12ihipStream_tbEUlT_E1_NS1_11comp_targetILNS1_3genE8ELNS1_11target_archE1030ELNS1_3gpuE2ELNS1_3repE0EEENS1_30default_config_static_selectorELNS0_4arch9wavefront6targetE1EEEvS17_,@function
_ZN7rocprim17ROCPRIM_400000_NS6detail17trampoline_kernelINS0_14default_configENS1_22reduce_config_selectorIN6thrust23THRUST_200600_302600_NS5tupleIblNS6_9null_typeES8_S8_S8_S8_S8_S8_S8_EEEEZNS1_11reduce_implILb1ES3_NS6_12zip_iteratorINS7_INS6_11hip_rocprim26transform_input_iterator_tIbPfNS6_6detail10functional5actorINSH_9compositeIJNSH_27transparent_binary_operatorINS6_8equal_toIvEEEENSI_INSH_8argumentILj0EEEEENSH_5valueIfEEEEEEEEENSD_19counting_iterator_tIlEES8_S8_S8_S8_S8_S8_S8_S8_EEEEPS9_S9_NSD_9__find_if7functorIS9_EEEE10hipError_tPvRmT1_T2_T3_mT4_P12ihipStream_tbEUlT_E1_NS1_11comp_targetILNS1_3genE8ELNS1_11target_archE1030ELNS1_3gpuE2ELNS1_3repE0EEENS1_30default_config_static_selectorELNS0_4arch9wavefront6targetE1EEEvS17_: ; @_ZN7rocprim17ROCPRIM_400000_NS6detail17trampoline_kernelINS0_14default_configENS1_22reduce_config_selectorIN6thrust23THRUST_200600_302600_NS5tupleIblNS6_9null_typeES8_S8_S8_S8_S8_S8_S8_EEEEZNS1_11reduce_implILb1ES3_NS6_12zip_iteratorINS7_INS6_11hip_rocprim26transform_input_iterator_tIbPfNS6_6detail10functional5actorINSH_9compositeIJNSH_27transparent_binary_operatorINS6_8equal_toIvEEEENSI_INSH_8argumentILj0EEEEENSH_5valueIfEEEEEEEEENSD_19counting_iterator_tIlEES8_S8_S8_S8_S8_S8_S8_S8_EEEEPS9_S9_NSD_9__find_if7functorIS9_EEEE10hipError_tPvRmT1_T2_T3_mT4_P12ihipStream_tbEUlT_E1_NS1_11comp_targetILNS1_3genE8ELNS1_11target_archE1030ELNS1_3gpuE2ELNS1_3repE0EEENS1_30default_config_static_selectorELNS0_4arch9wavefront6targetE1EEEvS17_
; %bb.0:
	.section	.rodata,"a",@progbits
	.p2align	6, 0x0
	.amdhsa_kernel _ZN7rocprim17ROCPRIM_400000_NS6detail17trampoline_kernelINS0_14default_configENS1_22reduce_config_selectorIN6thrust23THRUST_200600_302600_NS5tupleIblNS6_9null_typeES8_S8_S8_S8_S8_S8_S8_EEEEZNS1_11reduce_implILb1ES3_NS6_12zip_iteratorINS7_INS6_11hip_rocprim26transform_input_iterator_tIbPfNS6_6detail10functional5actorINSH_9compositeIJNSH_27transparent_binary_operatorINS6_8equal_toIvEEEENSI_INSH_8argumentILj0EEEEENSH_5valueIfEEEEEEEEENSD_19counting_iterator_tIlEES8_S8_S8_S8_S8_S8_S8_S8_EEEEPS9_S9_NSD_9__find_if7functorIS9_EEEE10hipError_tPvRmT1_T2_T3_mT4_P12ihipStream_tbEUlT_E1_NS1_11comp_targetILNS1_3genE8ELNS1_11target_archE1030ELNS1_3gpuE2ELNS1_3repE0EEENS1_30default_config_static_selectorELNS0_4arch9wavefront6targetE1EEEvS17_
		.amdhsa_group_segment_fixed_size 0
		.amdhsa_private_segment_fixed_size 0
		.amdhsa_kernarg_size 72
		.amdhsa_user_sgpr_count 6
		.amdhsa_user_sgpr_private_segment_buffer 1
		.amdhsa_user_sgpr_dispatch_ptr 0
		.amdhsa_user_sgpr_queue_ptr 0
		.amdhsa_user_sgpr_kernarg_segment_ptr 1
		.amdhsa_user_sgpr_dispatch_id 0
		.amdhsa_user_sgpr_flat_scratch_init 0
		.amdhsa_user_sgpr_private_segment_size 0
		.amdhsa_uses_dynamic_stack 0
		.amdhsa_system_sgpr_private_segment_wavefront_offset 0
		.amdhsa_system_sgpr_workgroup_id_x 1
		.amdhsa_system_sgpr_workgroup_id_y 0
		.amdhsa_system_sgpr_workgroup_id_z 0
		.amdhsa_system_sgpr_workgroup_info 0
		.amdhsa_system_vgpr_workitem_id 0
		.amdhsa_next_free_vgpr 1
		.amdhsa_next_free_sgpr 0
		.amdhsa_reserve_vcc 0
		.amdhsa_reserve_flat_scratch 0
		.amdhsa_float_round_mode_32 0
		.amdhsa_float_round_mode_16_64 0
		.amdhsa_float_denorm_mode_32 3
		.amdhsa_float_denorm_mode_16_64 3
		.amdhsa_dx10_clamp 1
		.amdhsa_ieee_mode 1
		.amdhsa_fp16_overflow 0
		.amdhsa_exception_fp_ieee_invalid_op 0
		.amdhsa_exception_fp_denorm_src 0
		.amdhsa_exception_fp_ieee_div_zero 0
		.amdhsa_exception_fp_ieee_overflow 0
		.amdhsa_exception_fp_ieee_underflow 0
		.amdhsa_exception_fp_ieee_inexact 0
		.amdhsa_exception_int_div_zero 0
	.end_amdhsa_kernel
	.section	.text._ZN7rocprim17ROCPRIM_400000_NS6detail17trampoline_kernelINS0_14default_configENS1_22reduce_config_selectorIN6thrust23THRUST_200600_302600_NS5tupleIblNS6_9null_typeES8_S8_S8_S8_S8_S8_S8_EEEEZNS1_11reduce_implILb1ES3_NS6_12zip_iteratorINS7_INS6_11hip_rocprim26transform_input_iterator_tIbPfNS6_6detail10functional5actorINSH_9compositeIJNSH_27transparent_binary_operatorINS6_8equal_toIvEEEENSI_INSH_8argumentILj0EEEEENSH_5valueIfEEEEEEEEENSD_19counting_iterator_tIlEES8_S8_S8_S8_S8_S8_S8_S8_EEEEPS9_S9_NSD_9__find_if7functorIS9_EEEE10hipError_tPvRmT1_T2_T3_mT4_P12ihipStream_tbEUlT_E1_NS1_11comp_targetILNS1_3genE8ELNS1_11target_archE1030ELNS1_3gpuE2ELNS1_3repE0EEENS1_30default_config_static_selectorELNS0_4arch9wavefront6targetE1EEEvS17_,"axG",@progbits,_ZN7rocprim17ROCPRIM_400000_NS6detail17trampoline_kernelINS0_14default_configENS1_22reduce_config_selectorIN6thrust23THRUST_200600_302600_NS5tupleIblNS6_9null_typeES8_S8_S8_S8_S8_S8_S8_EEEEZNS1_11reduce_implILb1ES3_NS6_12zip_iteratorINS7_INS6_11hip_rocprim26transform_input_iterator_tIbPfNS6_6detail10functional5actorINSH_9compositeIJNSH_27transparent_binary_operatorINS6_8equal_toIvEEEENSI_INSH_8argumentILj0EEEEENSH_5valueIfEEEEEEEEENSD_19counting_iterator_tIlEES8_S8_S8_S8_S8_S8_S8_S8_EEEEPS9_S9_NSD_9__find_if7functorIS9_EEEE10hipError_tPvRmT1_T2_T3_mT4_P12ihipStream_tbEUlT_E1_NS1_11comp_targetILNS1_3genE8ELNS1_11target_archE1030ELNS1_3gpuE2ELNS1_3repE0EEENS1_30default_config_static_selectorELNS0_4arch9wavefront6targetE1EEEvS17_,comdat
.Lfunc_end1959:
	.size	_ZN7rocprim17ROCPRIM_400000_NS6detail17trampoline_kernelINS0_14default_configENS1_22reduce_config_selectorIN6thrust23THRUST_200600_302600_NS5tupleIblNS6_9null_typeES8_S8_S8_S8_S8_S8_S8_EEEEZNS1_11reduce_implILb1ES3_NS6_12zip_iteratorINS7_INS6_11hip_rocprim26transform_input_iterator_tIbPfNS6_6detail10functional5actorINSH_9compositeIJNSH_27transparent_binary_operatorINS6_8equal_toIvEEEENSI_INSH_8argumentILj0EEEEENSH_5valueIfEEEEEEEEENSD_19counting_iterator_tIlEES8_S8_S8_S8_S8_S8_S8_S8_EEEEPS9_S9_NSD_9__find_if7functorIS9_EEEE10hipError_tPvRmT1_T2_T3_mT4_P12ihipStream_tbEUlT_E1_NS1_11comp_targetILNS1_3genE8ELNS1_11target_archE1030ELNS1_3gpuE2ELNS1_3repE0EEENS1_30default_config_static_selectorELNS0_4arch9wavefront6targetE1EEEvS17_, .Lfunc_end1959-_ZN7rocprim17ROCPRIM_400000_NS6detail17trampoline_kernelINS0_14default_configENS1_22reduce_config_selectorIN6thrust23THRUST_200600_302600_NS5tupleIblNS6_9null_typeES8_S8_S8_S8_S8_S8_S8_EEEEZNS1_11reduce_implILb1ES3_NS6_12zip_iteratorINS7_INS6_11hip_rocprim26transform_input_iterator_tIbPfNS6_6detail10functional5actorINSH_9compositeIJNSH_27transparent_binary_operatorINS6_8equal_toIvEEEENSI_INSH_8argumentILj0EEEEENSH_5valueIfEEEEEEEEENSD_19counting_iterator_tIlEES8_S8_S8_S8_S8_S8_S8_S8_EEEEPS9_S9_NSD_9__find_if7functorIS9_EEEE10hipError_tPvRmT1_T2_T3_mT4_P12ihipStream_tbEUlT_E1_NS1_11comp_targetILNS1_3genE8ELNS1_11target_archE1030ELNS1_3gpuE2ELNS1_3repE0EEENS1_30default_config_static_selectorELNS0_4arch9wavefront6targetE1EEEvS17_
                                        ; -- End function
	.set _ZN7rocprim17ROCPRIM_400000_NS6detail17trampoline_kernelINS0_14default_configENS1_22reduce_config_selectorIN6thrust23THRUST_200600_302600_NS5tupleIblNS6_9null_typeES8_S8_S8_S8_S8_S8_S8_EEEEZNS1_11reduce_implILb1ES3_NS6_12zip_iteratorINS7_INS6_11hip_rocprim26transform_input_iterator_tIbPfNS6_6detail10functional5actorINSH_9compositeIJNSH_27transparent_binary_operatorINS6_8equal_toIvEEEENSI_INSH_8argumentILj0EEEEENSH_5valueIfEEEEEEEEENSD_19counting_iterator_tIlEES8_S8_S8_S8_S8_S8_S8_S8_EEEEPS9_S9_NSD_9__find_if7functorIS9_EEEE10hipError_tPvRmT1_T2_T3_mT4_P12ihipStream_tbEUlT_E1_NS1_11comp_targetILNS1_3genE8ELNS1_11target_archE1030ELNS1_3gpuE2ELNS1_3repE0EEENS1_30default_config_static_selectorELNS0_4arch9wavefront6targetE1EEEvS17_.num_vgpr, 0
	.set _ZN7rocprim17ROCPRIM_400000_NS6detail17trampoline_kernelINS0_14default_configENS1_22reduce_config_selectorIN6thrust23THRUST_200600_302600_NS5tupleIblNS6_9null_typeES8_S8_S8_S8_S8_S8_S8_EEEEZNS1_11reduce_implILb1ES3_NS6_12zip_iteratorINS7_INS6_11hip_rocprim26transform_input_iterator_tIbPfNS6_6detail10functional5actorINSH_9compositeIJNSH_27transparent_binary_operatorINS6_8equal_toIvEEEENSI_INSH_8argumentILj0EEEEENSH_5valueIfEEEEEEEEENSD_19counting_iterator_tIlEES8_S8_S8_S8_S8_S8_S8_S8_EEEEPS9_S9_NSD_9__find_if7functorIS9_EEEE10hipError_tPvRmT1_T2_T3_mT4_P12ihipStream_tbEUlT_E1_NS1_11comp_targetILNS1_3genE8ELNS1_11target_archE1030ELNS1_3gpuE2ELNS1_3repE0EEENS1_30default_config_static_selectorELNS0_4arch9wavefront6targetE1EEEvS17_.num_agpr, 0
	.set _ZN7rocprim17ROCPRIM_400000_NS6detail17trampoline_kernelINS0_14default_configENS1_22reduce_config_selectorIN6thrust23THRUST_200600_302600_NS5tupleIblNS6_9null_typeES8_S8_S8_S8_S8_S8_S8_EEEEZNS1_11reduce_implILb1ES3_NS6_12zip_iteratorINS7_INS6_11hip_rocprim26transform_input_iterator_tIbPfNS6_6detail10functional5actorINSH_9compositeIJNSH_27transparent_binary_operatorINS6_8equal_toIvEEEENSI_INSH_8argumentILj0EEEEENSH_5valueIfEEEEEEEEENSD_19counting_iterator_tIlEES8_S8_S8_S8_S8_S8_S8_S8_EEEEPS9_S9_NSD_9__find_if7functorIS9_EEEE10hipError_tPvRmT1_T2_T3_mT4_P12ihipStream_tbEUlT_E1_NS1_11comp_targetILNS1_3genE8ELNS1_11target_archE1030ELNS1_3gpuE2ELNS1_3repE0EEENS1_30default_config_static_selectorELNS0_4arch9wavefront6targetE1EEEvS17_.numbered_sgpr, 0
	.set _ZN7rocprim17ROCPRIM_400000_NS6detail17trampoline_kernelINS0_14default_configENS1_22reduce_config_selectorIN6thrust23THRUST_200600_302600_NS5tupleIblNS6_9null_typeES8_S8_S8_S8_S8_S8_S8_EEEEZNS1_11reduce_implILb1ES3_NS6_12zip_iteratorINS7_INS6_11hip_rocprim26transform_input_iterator_tIbPfNS6_6detail10functional5actorINSH_9compositeIJNSH_27transparent_binary_operatorINS6_8equal_toIvEEEENSI_INSH_8argumentILj0EEEEENSH_5valueIfEEEEEEEEENSD_19counting_iterator_tIlEES8_S8_S8_S8_S8_S8_S8_S8_EEEEPS9_S9_NSD_9__find_if7functorIS9_EEEE10hipError_tPvRmT1_T2_T3_mT4_P12ihipStream_tbEUlT_E1_NS1_11comp_targetILNS1_3genE8ELNS1_11target_archE1030ELNS1_3gpuE2ELNS1_3repE0EEENS1_30default_config_static_selectorELNS0_4arch9wavefront6targetE1EEEvS17_.num_named_barrier, 0
	.set _ZN7rocprim17ROCPRIM_400000_NS6detail17trampoline_kernelINS0_14default_configENS1_22reduce_config_selectorIN6thrust23THRUST_200600_302600_NS5tupleIblNS6_9null_typeES8_S8_S8_S8_S8_S8_S8_EEEEZNS1_11reduce_implILb1ES3_NS6_12zip_iteratorINS7_INS6_11hip_rocprim26transform_input_iterator_tIbPfNS6_6detail10functional5actorINSH_9compositeIJNSH_27transparent_binary_operatorINS6_8equal_toIvEEEENSI_INSH_8argumentILj0EEEEENSH_5valueIfEEEEEEEEENSD_19counting_iterator_tIlEES8_S8_S8_S8_S8_S8_S8_S8_EEEEPS9_S9_NSD_9__find_if7functorIS9_EEEE10hipError_tPvRmT1_T2_T3_mT4_P12ihipStream_tbEUlT_E1_NS1_11comp_targetILNS1_3genE8ELNS1_11target_archE1030ELNS1_3gpuE2ELNS1_3repE0EEENS1_30default_config_static_selectorELNS0_4arch9wavefront6targetE1EEEvS17_.private_seg_size, 0
	.set _ZN7rocprim17ROCPRIM_400000_NS6detail17trampoline_kernelINS0_14default_configENS1_22reduce_config_selectorIN6thrust23THRUST_200600_302600_NS5tupleIblNS6_9null_typeES8_S8_S8_S8_S8_S8_S8_EEEEZNS1_11reduce_implILb1ES3_NS6_12zip_iteratorINS7_INS6_11hip_rocprim26transform_input_iterator_tIbPfNS6_6detail10functional5actorINSH_9compositeIJNSH_27transparent_binary_operatorINS6_8equal_toIvEEEENSI_INSH_8argumentILj0EEEEENSH_5valueIfEEEEEEEEENSD_19counting_iterator_tIlEES8_S8_S8_S8_S8_S8_S8_S8_EEEEPS9_S9_NSD_9__find_if7functorIS9_EEEE10hipError_tPvRmT1_T2_T3_mT4_P12ihipStream_tbEUlT_E1_NS1_11comp_targetILNS1_3genE8ELNS1_11target_archE1030ELNS1_3gpuE2ELNS1_3repE0EEENS1_30default_config_static_selectorELNS0_4arch9wavefront6targetE1EEEvS17_.uses_vcc, 0
	.set _ZN7rocprim17ROCPRIM_400000_NS6detail17trampoline_kernelINS0_14default_configENS1_22reduce_config_selectorIN6thrust23THRUST_200600_302600_NS5tupleIblNS6_9null_typeES8_S8_S8_S8_S8_S8_S8_EEEEZNS1_11reduce_implILb1ES3_NS6_12zip_iteratorINS7_INS6_11hip_rocprim26transform_input_iterator_tIbPfNS6_6detail10functional5actorINSH_9compositeIJNSH_27transparent_binary_operatorINS6_8equal_toIvEEEENSI_INSH_8argumentILj0EEEEENSH_5valueIfEEEEEEEEENSD_19counting_iterator_tIlEES8_S8_S8_S8_S8_S8_S8_S8_EEEEPS9_S9_NSD_9__find_if7functorIS9_EEEE10hipError_tPvRmT1_T2_T3_mT4_P12ihipStream_tbEUlT_E1_NS1_11comp_targetILNS1_3genE8ELNS1_11target_archE1030ELNS1_3gpuE2ELNS1_3repE0EEENS1_30default_config_static_selectorELNS0_4arch9wavefront6targetE1EEEvS17_.uses_flat_scratch, 0
	.set _ZN7rocprim17ROCPRIM_400000_NS6detail17trampoline_kernelINS0_14default_configENS1_22reduce_config_selectorIN6thrust23THRUST_200600_302600_NS5tupleIblNS6_9null_typeES8_S8_S8_S8_S8_S8_S8_EEEEZNS1_11reduce_implILb1ES3_NS6_12zip_iteratorINS7_INS6_11hip_rocprim26transform_input_iterator_tIbPfNS6_6detail10functional5actorINSH_9compositeIJNSH_27transparent_binary_operatorINS6_8equal_toIvEEEENSI_INSH_8argumentILj0EEEEENSH_5valueIfEEEEEEEEENSD_19counting_iterator_tIlEES8_S8_S8_S8_S8_S8_S8_S8_EEEEPS9_S9_NSD_9__find_if7functorIS9_EEEE10hipError_tPvRmT1_T2_T3_mT4_P12ihipStream_tbEUlT_E1_NS1_11comp_targetILNS1_3genE8ELNS1_11target_archE1030ELNS1_3gpuE2ELNS1_3repE0EEENS1_30default_config_static_selectorELNS0_4arch9wavefront6targetE1EEEvS17_.has_dyn_sized_stack, 0
	.set _ZN7rocprim17ROCPRIM_400000_NS6detail17trampoline_kernelINS0_14default_configENS1_22reduce_config_selectorIN6thrust23THRUST_200600_302600_NS5tupleIblNS6_9null_typeES8_S8_S8_S8_S8_S8_S8_EEEEZNS1_11reduce_implILb1ES3_NS6_12zip_iteratorINS7_INS6_11hip_rocprim26transform_input_iterator_tIbPfNS6_6detail10functional5actorINSH_9compositeIJNSH_27transparent_binary_operatorINS6_8equal_toIvEEEENSI_INSH_8argumentILj0EEEEENSH_5valueIfEEEEEEEEENSD_19counting_iterator_tIlEES8_S8_S8_S8_S8_S8_S8_S8_EEEEPS9_S9_NSD_9__find_if7functorIS9_EEEE10hipError_tPvRmT1_T2_T3_mT4_P12ihipStream_tbEUlT_E1_NS1_11comp_targetILNS1_3genE8ELNS1_11target_archE1030ELNS1_3gpuE2ELNS1_3repE0EEENS1_30default_config_static_selectorELNS0_4arch9wavefront6targetE1EEEvS17_.has_recursion, 0
	.set _ZN7rocprim17ROCPRIM_400000_NS6detail17trampoline_kernelINS0_14default_configENS1_22reduce_config_selectorIN6thrust23THRUST_200600_302600_NS5tupleIblNS6_9null_typeES8_S8_S8_S8_S8_S8_S8_EEEEZNS1_11reduce_implILb1ES3_NS6_12zip_iteratorINS7_INS6_11hip_rocprim26transform_input_iterator_tIbPfNS6_6detail10functional5actorINSH_9compositeIJNSH_27transparent_binary_operatorINS6_8equal_toIvEEEENSI_INSH_8argumentILj0EEEEENSH_5valueIfEEEEEEEEENSD_19counting_iterator_tIlEES8_S8_S8_S8_S8_S8_S8_S8_EEEEPS9_S9_NSD_9__find_if7functorIS9_EEEE10hipError_tPvRmT1_T2_T3_mT4_P12ihipStream_tbEUlT_E1_NS1_11comp_targetILNS1_3genE8ELNS1_11target_archE1030ELNS1_3gpuE2ELNS1_3repE0EEENS1_30default_config_static_selectorELNS0_4arch9wavefront6targetE1EEEvS17_.has_indirect_call, 0
	.section	.AMDGPU.csdata,"",@progbits
; Kernel info:
; codeLenInByte = 0
; TotalNumSgprs: 4
; NumVgprs: 0
; ScratchSize: 0
; MemoryBound: 0
; FloatMode: 240
; IeeeMode: 1
; LDSByteSize: 0 bytes/workgroup (compile time only)
; SGPRBlocks: 0
; VGPRBlocks: 0
; NumSGPRsForWavesPerEU: 4
; NumVGPRsForWavesPerEU: 1
; Occupancy: 10
; WaveLimiterHint : 0
; COMPUTE_PGM_RSRC2:SCRATCH_EN: 0
; COMPUTE_PGM_RSRC2:USER_SGPR: 6
; COMPUTE_PGM_RSRC2:TRAP_HANDLER: 0
; COMPUTE_PGM_RSRC2:TGID_X_EN: 1
; COMPUTE_PGM_RSRC2:TGID_Y_EN: 0
; COMPUTE_PGM_RSRC2:TGID_Z_EN: 0
; COMPUTE_PGM_RSRC2:TIDIG_COMP_CNT: 0
	.section	.text._ZN7rocprim17ROCPRIM_400000_NS6detail44device_merge_sort_compile_time_verifier_archINS1_11comp_targetILNS1_3genE0ELNS1_11target_archE4294967295ELNS1_3gpuE0ELNS1_3repE0EEES8_NS0_14default_configES9_NS1_37merge_sort_block_sort_config_selectorIN3c108BFloat16ElEENS1_38merge_sort_block_merge_config_selectorISC_lEEEEvv,"axG",@progbits,_ZN7rocprim17ROCPRIM_400000_NS6detail44device_merge_sort_compile_time_verifier_archINS1_11comp_targetILNS1_3genE0ELNS1_11target_archE4294967295ELNS1_3gpuE0ELNS1_3repE0EEES8_NS0_14default_configES9_NS1_37merge_sort_block_sort_config_selectorIN3c108BFloat16ElEENS1_38merge_sort_block_merge_config_selectorISC_lEEEEvv,comdat
	.protected	_ZN7rocprim17ROCPRIM_400000_NS6detail44device_merge_sort_compile_time_verifier_archINS1_11comp_targetILNS1_3genE0ELNS1_11target_archE4294967295ELNS1_3gpuE0ELNS1_3repE0EEES8_NS0_14default_configES9_NS1_37merge_sort_block_sort_config_selectorIN3c108BFloat16ElEENS1_38merge_sort_block_merge_config_selectorISC_lEEEEvv ; -- Begin function _ZN7rocprim17ROCPRIM_400000_NS6detail44device_merge_sort_compile_time_verifier_archINS1_11comp_targetILNS1_3genE0ELNS1_11target_archE4294967295ELNS1_3gpuE0ELNS1_3repE0EEES8_NS0_14default_configES9_NS1_37merge_sort_block_sort_config_selectorIN3c108BFloat16ElEENS1_38merge_sort_block_merge_config_selectorISC_lEEEEvv
	.globl	_ZN7rocprim17ROCPRIM_400000_NS6detail44device_merge_sort_compile_time_verifier_archINS1_11comp_targetILNS1_3genE0ELNS1_11target_archE4294967295ELNS1_3gpuE0ELNS1_3repE0EEES8_NS0_14default_configES9_NS1_37merge_sort_block_sort_config_selectorIN3c108BFloat16ElEENS1_38merge_sort_block_merge_config_selectorISC_lEEEEvv
	.p2align	8
	.type	_ZN7rocprim17ROCPRIM_400000_NS6detail44device_merge_sort_compile_time_verifier_archINS1_11comp_targetILNS1_3genE0ELNS1_11target_archE4294967295ELNS1_3gpuE0ELNS1_3repE0EEES8_NS0_14default_configES9_NS1_37merge_sort_block_sort_config_selectorIN3c108BFloat16ElEENS1_38merge_sort_block_merge_config_selectorISC_lEEEEvv,@function
_ZN7rocprim17ROCPRIM_400000_NS6detail44device_merge_sort_compile_time_verifier_archINS1_11comp_targetILNS1_3genE0ELNS1_11target_archE4294967295ELNS1_3gpuE0ELNS1_3repE0EEES8_NS0_14default_configES9_NS1_37merge_sort_block_sort_config_selectorIN3c108BFloat16ElEENS1_38merge_sort_block_merge_config_selectorISC_lEEEEvv: ; @_ZN7rocprim17ROCPRIM_400000_NS6detail44device_merge_sort_compile_time_verifier_archINS1_11comp_targetILNS1_3genE0ELNS1_11target_archE4294967295ELNS1_3gpuE0ELNS1_3repE0EEES8_NS0_14default_configES9_NS1_37merge_sort_block_sort_config_selectorIN3c108BFloat16ElEENS1_38merge_sort_block_merge_config_selectorISC_lEEEEvv
; %bb.0:
	s_endpgm
	.section	.rodata,"a",@progbits
	.p2align	6, 0x0
	.amdhsa_kernel _ZN7rocprim17ROCPRIM_400000_NS6detail44device_merge_sort_compile_time_verifier_archINS1_11comp_targetILNS1_3genE0ELNS1_11target_archE4294967295ELNS1_3gpuE0ELNS1_3repE0EEES8_NS0_14default_configES9_NS1_37merge_sort_block_sort_config_selectorIN3c108BFloat16ElEENS1_38merge_sort_block_merge_config_selectorISC_lEEEEvv
		.amdhsa_group_segment_fixed_size 0
		.amdhsa_private_segment_fixed_size 0
		.amdhsa_kernarg_size 0
		.amdhsa_user_sgpr_count 4
		.amdhsa_user_sgpr_private_segment_buffer 1
		.amdhsa_user_sgpr_dispatch_ptr 0
		.amdhsa_user_sgpr_queue_ptr 0
		.amdhsa_user_sgpr_kernarg_segment_ptr 0
		.amdhsa_user_sgpr_dispatch_id 0
		.amdhsa_user_sgpr_flat_scratch_init 0
		.amdhsa_user_sgpr_private_segment_size 0
		.amdhsa_uses_dynamic_stack 0
		.amdhsa_system_sgpr_private_segment_wavefront_offset 0
		.amdhsa_system_sgpr_workgroup_id_x 1
		.amdhsa_system_sgpr_workgroup_id_y 0
		.amdhsa_system_sgpr_workgroup_id_z 0
		.amdhsa_system_sgpr_workgroup_info 0
		.amdhsa_system_vgpr_workitem_id 0
		.amdhsa_next_free_vgpr 1
		.amdhsa_next_free_sgpr 0
		.amdhsa_reserve_vcc 0
		.amdhsa_reserve_flat_scratch 0
		.amdhsa_float_round_mode_32 0
		.amdhsa_float_round_mode_16_64 0
		.amdhsa_float_denorm_mode_32 3
		.amdhsa_float_denorm_mode_16_64 3
		.amdhsa_dx10_clamp 1
		.amdhsa_ieee_mode 1
		.amdhsa_fp16_overflow 0
		.amdhsa_exception_fp_ieee_invalid_op 0
		.amdhsa_exception_fp_denorm_src 0
		.amdhsa_exception_fp_ieee_div_zero 0
		.amdhsa_exception_fp_ieee_overflow 0
		.amdhsa_exception_fp_ieee_underflow 0
		.amdhsa_exception_fp_ieee_inexact 0
		.amdhsa_exception_int_div_zero 0
	.end_amdhsa_kernel
	.section	.text._ZN7rocprim17ROCPRIM_400000_NS6detail44device_merge_sort_compile_time_verifier_archINS1_11comp_targetILNS1_3genE0ELNS1_11target_archE4294967295ELNS1_3gpuE0ELNS1_3repE0EEES8_NS0_14default_configES9_NS1_37merge_sort_block_sort_config_selectorIN3c108BFloat16ElEENS1_38merge_sort_block_merge_config_selectorISC_lEEEEvv,"axG",@progbits,_ZN7rocprim17ROCPRIM_400000_NS6detail44device_merge_sort_compile_time_verifier_archINS1_11comp_targetILNS1_3genE0ELNS1_11target_archE4294967295ELNS1_3gpuE0ELNS1_3repE0EEES8_NS0_14default_configES9_NS1_37merge_sort_block_sort_config_selectorIN3c108BFloat16ElEENS1_38merge_sort_block_merge_config_selectorISC_lEEEEvv,comdat
.Lfunc_end1960:
	.size	_ZN7rocprim17ROCPRIM_400000_NS6detail44device_merge_sort_compile_time_verifier_archINS1_11comp_targetILNS1_3genE0ELNS1_11target_archE4294967295ELNS1_3gpuE0ELNS1_3repE0EEES8_NS0_14default_configES9_NS1_37merge_sort_block_sort_config_selectorIN3c108BFloat16ElEENS1_38merge_sort_block_merge_config_selectorISC_lEEEEvv, .Lfunc_end1960-_ZN7rocprim17ROCPRIM_400000_NS6detail44device_merge_sort_compile_time_verifier_archINS1_11comp_targetILNS1_3genE0ELNS1_11target_archE4294967295ELNS1_3gpuE0ELNS1_3repE0EEES8_NS0_14default_configES9_NS1_37merge_sort_block_sort_config_selectorIN3c108BFloat16ElEENS1_38merge_sort_block_merge_config_selectorISC_lEEEEvv
                                        ; -- End function
	.set _ZN7rocprim17ROCPRIM_400000_NS6detail44device_merge_sort_compile_time_verifier_archINS1_11comp_targetILNS1_3genE0ELNS1_11target_archE4294967295ELNS1_3gpuE0ELNS1_3repE0EEES8_NS0_14default_configES9_NS1_37merge_sort_block_sort_config_selectorIN3c108BFloat16ElEENS1_38merge_sort_block_merge_config_selectorISC_lEEEEvv.num_vgpr, 0
	.set _ZN7rocprim17ROCPRIM_400000_NS6detail44device_merge_sort_compile_time_verifier_archINS1_11comp_targetILNS1_3genE0ELNS1_11target_archE4294967295ELNS1_3gpuE0ELNS1_3repE0EEES8_NS0_14default_configES9_NS1_37merge_sort_block_sort_config_selectorIN3c108BFloat16ElEENS1_38merge_sort_block_merge_config_selectorISC_lEEEEvv.num_agpr, 0
	.set _ZN7rocprim17ROCPRIM_400000_NS6detail44device_merge_sort_compile_time_verifier_archINS1_11comp_targetILNS1_3genE0ELNS1_11target_archE4294967295ELNS1_3gpuE0ELNS1_3repE0EEES8_NS0_14default_configES9_NS1_37merge_sort_block_sort_config_selectorIN3c108BFloat16ElEENS1_38merge_sort_block_merge_config_selectorISC_lEEEEvv.numbered_sgpr, 0
	.set _ZN7rocprim17ROCPRIM_400000_NS6detail44device_merge_sort_compile_time_verifier_archINS1_11comp_targetILNS1_3genE0ELNS1_11target_archE4294967295ELNS1_3gpuE0ELNS1_3repE0EEES8_NS0_14default_configES9_NS1_37merge_sort_block_sort_config_selectorIN3c108BFloat16ElEENS1_38merge_sort_block_merge_config_selectorISC_lEEEEvv.num_named_barrier, 0
	.set _ZN7rocprim17ROCPRIM_400000_NS6detail44device_merge_sort_compile_time_verifier_archINS1_11comp_targetILNS1_3genE0ELNS1_11target_archE4294967295ELNS1_3gpuE0ELNS1_3repE0EEES8_NS0_14default_configES9_NS1_37merge_sort_block_sort_config_selectorIN3c108BFloat16ElEENS1_38merge_sort_block_merge_config_selectorISC_lEEEEvv.private_seg_size, 0
	.set _ZN7rocprim17ROCPRIM_400000_NS6detail44device_merge_sort_compile_time_verifier_archINS1_11comp_targetILNS1_3genE0ELNS1_11target_archE4294967295ELNS1_3gpuE0ELNS1_3repE0EEES8_NS0_14default_configES9_NS1_37merge_sort_block_sort_config_selectorIN3c108BFloat16ElEENS1_38merge_sort_block_merge_config_selectorISC_lEEEEvv.uses_vcc, 0
	.set _ZN7rocprim17ROCPRIM_400000_NS6detail44device_merge_sort_compile_time_verifier_archINS1_11comp_targetILNS1_3genE0ELNS1_11target_archE4294967295ELNS1_3gpuE0ELNS1_3repE0EEES8_NS0_14default_configES9_NS1_37merge_sort_block_sort_config_selectorIN3c108BFloat16ElEENS1_38merge_sort_block_merge_config_selectorISC_lEEEEvv.uses_flat_scratch, 0
	.set _ZN7rocprim17ROCPRIM_400000_NS6detail44device_merge_sort_compile_time_verifier_archINS1_11comp_targetILNS1_3genE0ELNS1_11target_archE4294967295ELNS1_3gpuE0ELNS1_3repE0EEES8_NS0_14default_configES9_NS1_37merge_sort_block_sort_config_selectorIN3c108BFloat16ElEENS1_38merge_sort_block_merge_config_selectorISC_lEEEEvv.has_dyn_sized_stack, 0
	.set _ZN7rocprim17ROCPRIM_400000_NS6detail44device_merge_sort_compile_time_verifier_archINS1_11comp_targetILNS1_3genE0ELNS1_11target_archE4294967295ELNS1_3gpuE0ELNS1_3repE0EEES8_NS0_14default_configES9_NS1_37merge_sort_block_sort_config_selectorIN3c108BFloat16ElEENS1_38merge_sort_block_merge_config_selectorISC_lEEEEvv.has_recursion, 0
	.set _ZN7rocprim17ROCPRIM_400000_NS6detail44device_merge_sort_compile_time_verifier_archINS1_11comp_targetILNS1_3genE0ELNS1_11target_archE4294967295ELNS1_3gpuE0ELNS1_3repE0EEES8_NS0_14default_configES9_NS1_37merge_sort_block_sort_config_selectorIN3c108BFloat16ElEENS1_38merge_sort_block_merge_config_selectorISC_lEEEEvv.has_indirect_call, 0
	.section	.AMDGPU.csdata,"",@progbits
; Kernel info:
; codeLenInByte = 4
; TotalNumSgprs: 4
; NumVgprs: 0
; ScratchSize: 0
; MemoryBound: 0
; FloatMode: 240
; IeeeMode: 1
; LDSByteSize: 0 bytes/workgroup (compile time only)
; SGPRBlocks: 0
; VGPRBlocks: 0
; NumSGPRsForWavesPerEU: 4
; NumVGPRsForWavesPerEU: 1
; Occupancy: 10
; WaveLimiterHint : 0
; COMPUTE_PGM_RSRC2:SCRATCH_EN: 0
; COMPUTE_PGM_RSRC2:USER_SGPR: 4
; COMPUTE_PGM_RSRC2:TRAP_HANDLER: 0
; COMPUTE_PGM_RSRC2:TGID_X_EN: 1
; COMPUTE_PGM_RSRC2:TGID_Y_EN: 0
; COMPUTE_PGM_RSRC2:TGID_Z_EN: 0
; COMPUTE_PGM_RSRC2:TIDIG_COMP_CNT: 0
	.section	.text._ZN7rocprim17ROCPRIM_400000_NS6detail44device_merge_sort_compile_time_verifier_archINS1_11comp_targetILNS1_3genE5ELNS1_11target_archE942ELNS1_3gpuE9ELNS1_3repE0EEES8_NS0_14default_configES9_NS1_37merge_sort_block_sort_config_selectorIN3c108BFloat16ElEENS1_38merge_sort_block_merge_config_selectorISC_lEEEEvv,"axG",@progbits,_ZN7rocprim17ROCPRIM_400000_NS6detail44device_merge_sort_compile_time_verifier_archINS1_11comp_targetILNS1_3genE5ELNS1_11target_archE942ELNS1_3gpuE9ELNS1_3repE0EEES8_NS0_14default_configES9_NS1_37merge_sort_block_sort_config_selectorIN3c108BFloat16ElEENS1_38merge_sort_block_merge_config_selectorISC_lEEEEvv,comdat
	.protected	_ZN7rocprim17ROCPRIM_400000_NS6detail44device_merge_sort_compile_time_verifier_archINS1_11comp_targetILNS1_3genE5ELNS1_11target_archE942ELNS1_3gpuE9ELNS1_3repE0EEES8_NS0_14default_configES9_NS1_37merge_sort_block_sort_config_selectorIN3c108BFloat16ElEENS1_38merge_sort_block_merge_config_selectorISC_lEEEEvv ; -- Begin function _ZN7rocprim17ROCPRIM_400000_NS6detail44device_merge_sort_compile_time_verifier_archINS1_11comp_targetILNS1_3genE5ELNS1_11target_archE942ELNS1_3gpuE9ELNS1_3repE0EEES8_NS0_14default_configES9_NS1_37merge_sort_block_sort_config_selectorIN3c108BFloat16ElEENS1_38merge_sort_block_merge_config_selectorISC_lEEEEvv
	.globl	_ZN7rocprim17ROCPRIM_400000_NS6detail44device_merge_sort_compile_time_verifier_archINS1_11comp_targetILNS1_3genE5ELNS1_11target_archE942ELNS1_3gpuE9ELNS1_3repE0EEES8_NS0_14default_configES9_NS1_37merge_sort_block_sort_config_selectorIN3c108BFloat16ElEENS1_38merge_sort_block_merge_config_selectorISC_lEEEEvv
	.p2align	8
	.type	_ZN7rocprim17ROCPRIM_400000_NS6detail44device_merge_sort_compile_time_verifier_archINS1_11comp_targetILNS1_3genE5ELNS1_11target_archE942ELNS1_3gpuE9ELNS1_3repE0EEES8_NS0_14default_configES9_NS1_37merge_sort_block_sort_config_selectorIN3c108BFloat16ElEENS1_38merge_sort_block_merge_config_selectorISC_lEEEEvv,@function
_ZN7rocprim17ROCPRIM_400000_NS6detail44device_merge_sort_compile_time_verifier_archINS1_11comp_targetILNS1_3genE5ELNS1_11target_archE942ELNS1_3gpuE9ELNS1_3repE0EEES8_NS0_14default_configES9_NS1_37merge_sort_block_sort_config_selectorIN3c108BFloat16ElEENS1_38merge_sort_block_merge_config_selectorISC_lEEEEvv: ; @_ZN7rocprim17ROCPRIM_400000_NS6detail44device_merge_sort_compile_time_verifier_archINS1_11comp_targetILNS1_3genE5ELNS1_11target_archE942ELNS1_3gpuE9ELNS1_3repE0EEES8_NS0_14default_configES9_NS1_37merge_sort_block_sort_config_selectorIN3c108BFloat16ElEENS1_38merge_sort_block_merge_config_selectorISC_lEEEEvv
; %bb.0:
	s_endpgm
	.section	.rodata,"a",@progbits
	.p2align	6, 0x0
	.amdhsa_kernel _ZN7rocprim17ROCPRIM_400000_NS6detail44device_merge_sort_compile_time_verifier_archINS1_11comp_targetILNS1_3genE5ELNS1_11target_archE942ELNS1_3gpuE9ELNS1_3repE0EEES8_NS0_14default_configES9_NS1_37merge_sort_block_sort_config_selectorIN3c108BFloat16ElEENS1_38merge_sort_block_merge_config_selectorISC_lEEEEvv
		.amdhsa_group_segment_fixed_size 0
		.amdhsa_private_segment_fixed_size 0
		.amdhsa_kernarg_size 0
		.amdhsa_user_sgpr_count 4
		.amdhsa_user_sgpr_private_segment_buffer 1
		.amdhsa_user_sgpr_dispatch_ptr 0
		.amdhsa_user_sgpr_queue_ptr 0
		.amdhsa_user_sgpr_kernarg_segment_ptr 0
		.amdhsa_user_sgpr_dispatch_id 0
		.amdhsa_user_sgpr_flat_scratch_init 0
		.amdhsa_user_sgpr_private_segment_size 0
		.amdhsa_uses_dynamic_stack 0
		.amdhsa_system_sgpr_private_segment_wavefront_offset 0
		.amdhsa_system_sgpr_workgroup_id_x 1
		.amdhsa_system_sgpr_workgroup_id_y 0
		.amdhsa_system_sgpr_workgroup_id_z 0
		.amdhsa_system_sgpr_workgroup_info 0
		.amdhsa_system_vgpr_workitem_id 0
		.amdhsa_next_free_vgpr 1
		.amdhsa_next_free_sgpr 0
		.amdhsa_reserve_vcc 0
		.amdhsa_reserve_flat_scratch 0
		.amdhsa_float_round_mode_32 0
		.amdhsa_float_round_mode_16_64 0
		.amdhsa_float_denorm_mode_32 3
		.amdhsa_float_denorm_mode_16_64 3
		.amdhsa_dx10_clamp 1
		.amdhsa_ieee_mode 1
		.amdhsa_fp16_overflow 0
		.amdhsa_exception_fp_ieee_invalid_op 0
		.amdhsa_exception_fp_denorm_src 0
		.amdhsa_exception_fp_ieee_div_zero 0
		.amdhsa_exception_fp_ieee_overflow 0
		.amdhsa_exception_fp_ieee_underflow 0
		.amdhsa_exception_fp_ieee_inexact 0
		.amdhsa_exception_int_div_zero 0
	.end_amdhsa_kernel
	.section	.text._ZN7rocprim17ROCPRIM_400000_NS6detail44device_merge_sort_compile_time_verifier_archINS1_11comp_targetILNS1_3genE5ELNS1_11target_archE942ELNS1_3gpuE9ELNS1_3repE0EEES8_NS0_14default_configES9_NS1_37merge_sort_block_sort_config_selectorIN3c108BFloat16ElEENS1_38merge_sort_block_merge_config_selectorISC_lEEEEvv,"axG",@progbits,_ZN7rocprim17ROCPRIM_400000_NS6detail44device_merge_sort_compile_time_verifier_archINS1_11comp_targetILNS1_3genE5ELNS1_11target_archE942ELNS1_3gpuE9ELNS1_3repE0EEES8_NS0_14default_configES9_NS1_37merge_sort_block_sort_config_selectorIN3c108BFloat16ElEENS1_38merge_sort_block_merge_config_selectorISC_lEEEEvv,comdat
.Lfunc_end1961:
	.size	_ZN7rocprim17ROCPRIM_400000_NS6detail44device_merge_sort_compile_time_verifier_archINS1_11comp_targetILNS1_3genE5ELNS1_11target_archE942ELNS1_3gpuE9ELNS1_3repE0EEES8_NS0_14default_configES9_NS1_37merge_sort_block_sort_config_selectorIN3c108BFloat16ElEENS1_38merge_sort_block_merge_config_selectorISC_lEEEEvv, .Lfunc_end1961-_ZN7rocprim17ROCPRIM_400000_NS6detail44device_merge_sort_compile_time_verifier_archINS1_11comp_targetILNS1_3genE5ELNS1_11target_archE942ELNS1_3gpuE9ELNS1_3repE0EEES8_NS0_14default_configES9_NS1_37merge_sort_block_sort_config_selectorIN3c108BFloat16ElEENS1_38merge_sort_block_merge_config_selectorISC_lEEEEvv
                                        ; -- End function
	.set _ZN7rocprim17ROCPRIM_400000_NS6detail44device_merge_sort_compile_time_verifier_archINS1_11comp_targetILNS1_3genE5ELNS1_11target_archE942ELNS1_3gpuE9ELNS1_3repE0EEES8_NS0_14default_configES9_NS1_37merge_sort_block_sort_config_selectorIN3c108BFloat16ElEENS1_38merge_sort_block_merge_config_selectorISC_lEEEEvv.num_vgpr, 0
	.set _ZN7rocprim17ROCPRIM_400000_NS6detail44device_merge_sort_compile_time_verifier_archINS1_11comp_targetILNS1_3genE5ELNS1_11target_archE942ELNS1_3gpuE9ELNS1_3repE0EEES8_NS0_14default_configES9_NS1_37merge_sort_block_sort_config_selectorIN3c108BFloat16ElEENS1_38merge_sort_block_merge_config_selectorISC_lEEEEvv.num_agpr, 0
	.set _ZN7rocprim17ROCPRIM_400000_NS6detail44device_merge_sort_compile_time_verifier_archINS1_11comp_targetILNS1_3genE5ELNS1_11target_archE942ELNS1_3gpuE9ELNS1_3repE0EEES8_NS0_14default_configES9_NS1_37merge_sort_block_sort_config_selectorIN3c108BFloat16ElEENS1_38merge_sort_block_merge_config_selectorISC_lEEEEvv.numbered_sgpr, 0
	.set _ZN7rocprim17ROCPRIM_400000_NS6detail44device_merge_sort_compile_time_verifier_archINS1_11comp_targetILNS1_3genE5ELNS1_11target_archE942ELNS1_3gpuE9ELNS1_3repE0EEES8_NS0_14default_configES9_NS1_37merge_sort_block_sort_config_selectorIN3c108BFloat16ElEENS1_38merge_sort_block_merge_config_selectorISC_lEEEEvv.num_named_barrier, 0
	.set _ZN7rocprim17ROCPRIM_400000_NS6detail44device_merge_sort_compile_time_verifier_archINS1_11comp_targetILNS1_3genE5ELNS1_11target_archE942ELNS1_3gpuE9ELNS1_3repE0EEES8_NS0_14default_configES9_NS1_37merge_sort_block_sort_config_selectorIN3c108BFloat16ElEENS1_38merge_sort_block_merge_config_selectorISC_lEEEEvv.private_seg_size, 0
	.set _ZN7rocprim17ROCPRIM_400000_NS6detail44device_merge_sort_compile_time_verifier_archINS1_11comp_targetILNS1_3genE5ELNS1_11target_archE942ELNS1_3gpuE9ELNS1_3repE0EEES8_NS0_14default_configES9_NS1_37merge_sort_block_sort_config_selectorIN3c108BFloat16ElEENS1_38merge_sort_block_merge_config_selectorISC_lEEEEvv.uses_vcc, 0
	.set _ZN7rocprim17ROCPRIM_400000_NS6detail44device_merge_sort_compile_time_verifier_archINS1_11comp_targetILNS1_3genE5ELNS1_11target_archE942ELNS1_3gpuE9ELNS1_3repE0EEES8_NS0_14default_configES9_NS1_37merge_sort_block_sort_config_selectorIN3c108BFloat16ElEENS1_38merge_sort_block_merge_config_selectorISC_lEEEEvv.uses_flat_scratch, 0
	.set _ZN7rocprim17ROCPRIM_400000_NS6detail44device_merge_sort_compile_time_verifier_archINS1_11comp_targetILNS1_3genE5ELNS1_11target_archE942ELNS1_3gpuE9ELNS1_3repE0EEES8_NS0_14default_configES9_NS1_37merge_sort_block_sort_config_selectorIN3c108BFloat16ElEENS1_38merge_sort_block_merge_config_selectorISC_lEEEEvv.has_dyn_sized_stack, 0
	.set _ZN7rocprim17ROCPRIM_400000_NS6detail44device_merge_sort_compile_time_verifier_archINS1_11comp_targetILNS1_3genE5ELNS1_11target_archE942ELNS1_3gpuE9ELNS1_3repE0EEES8_NS0_14default_configES9_NS1_37merge_sort_block_sort_config_selectorIN3c108BFloat16ElEENS1_38merge_sort_block_merge_config_selectorISC_lEEEEvv.has_recursion, 0
	.set _ZN7rocprim17ROCPRIM_400000_NS6detail44device_merge_sort_compile_time_verifier_archINS1_11comp_targetILNS1_3genE5ELNS1_11target_archE942ELNS1_3gpuE9ELNS1_3repE0EEES8_NS0_14default_configES9_NS1_37merge_sort_block_sort_config_selectorIN3c108BFloat16ElEENS1_38merge_sort_block_merge_config_selectorISC_lEEEEvv.has_indirect_call, 0
	.section	.AMDGPU.csdata,"",@progbits
; Kernel info:
; codeLenInByte = 4
; TotalNumSgprs: 4
; NumVgprs: 0
; ScratchSize: 0
; MemoryBound: 0
; FloatMode: 240
; IeeeMode: 1
; LDSByteSize: 0 bytes/workgroup (compile time only)
; SGPRBlocks: 0
; VGPRBlocks: 0
; NumSGPRsForWavesPerEU: 4
; NumVGPRsForWavesPerEU: 1
; Occupancy: 10
; WaveLimiterHint : 0
; COMPUTE_PGM_RSRC2:SCRATCH_EN: 0
; COMPUTE_PGM_RSRC2:USER_SGPR: 4
; COMPUTE_PGM_RSRC2:TRAP_HANDLER: 0
; COMPUTE_PGM_RSRC2:TGID_X_EN: 1
; COMPUTE_PGM_RSRC2:TGID_Y_EN: 0
; COMPUTE_PGM_RSRC2:TGID_Z_EN: 0
; COMPUTE_PGM_RSRC2:TIDIG_COMP_CNT: 0
	.section	.text._ZN7rocprim17ROCPRIM_400000_NS6detail44device_merge_sort_compile_time_verifier_archINS1_11comp_targetILNS1_3genE4ELNS1_11target_archE910ELNS1_3gpuE8ELNS1_3repE0EEES8_NS0_14default_configES9_NS1_37merge_sort_block_sort_config_selectorIN3c108BFloat16ElEENS1_38merge_sort_block_merge_config_selectorISC_lEEEEvv,"axG",@progbits,_ZN7rocprim17ROCPRIM_400000_NS6detail44device_merge_sort_compile_time_verifier_archINS1_11comp_targetILNS1_3genE4ELNS1_11target_archE910ELNS1_3gpuE8ELNS1_3repE0EEES8_NS0_14default_configES9_NS1_37merge_sort_block_sort_config_selectorIN3c108BFloat16ElEENS1_38merge_sort_block_merge_config_selectorISC_lEEEEvv,comdat
	.protected	_ZN7rocprim17ROCPRIM_400000_NS6detail44device_merge_sort_compile_time_verifier_archINS1_11comp_targetILNS1_3genE4ELNS1_11target_archE910ELNS1_3gpuE8ELNS1_3repE0EEES8_NS0_14default_configES9_NS1_37merge_sort_block_sort_config_selectorIN3c108BFloat16ElEENS1_38merge_sort_block_merge_config_selectorISC_lEEEEvv ; -- Begin function _ZN7rocprim17ROCPRIM_400000_NS6detail44device_merge_sort_compile_time_verifier_archINS1_11comp_targetILNS1_3genE4ELNS1_11target_archE910ELNS1_3gpuE8ELNS1_3repE0EEES8_NS0_14default_configES9_NS1_37merge_sort_block_sort_config_selectorIN3c108BFloat16ElEENS1_38merge_sort_block_merge_config_selectorISC_lEEEEvv
	.globl	_ZN7rocprim17ROCPRIM_400000_NS6detail44device_merge_sort_compile_time_verifier_archINS1_11comp_targetILNS1_3genE4ELNS1_11target_archE910ELNS1_3gpuE8ELNS1_3repE0EEES8_NS0_14default_configES9_NS1_37merge_sort_block_sort_config_selectorIN3c108BFloat16ElEENS1_38merge_sort_block_merge_config_selectorISC_lEEEEvv
	.p2align	8
	.type	_ZN7rocprim17ROCPRIM_400000_NS6detail44device_merge_sort_compile_time_verifier_archINS1_11comp_targetILNS1_3genE4ELNS1_11target_archE910ELNS1_3gpuE8ELNS1_3repE0EEES8_NS0_14default_configES9_NS1_37merge_sort_block_sort_config_selectorIN3c108BFloat16ElEENS1_38merge_sort_block_merge_config_selectorISC_lEEEEvv,@function
_ZN7rocprim17ROCPRIM_400000_NS6detail44device_merge_sort_compile_time_verifier_archINS1_11comp_targetILNS1_3genE4ELNS1_11target_archE910ELNS1_3gpuE8ELNS1_3repE0EEES8_NS0_14default_configES9_NS1_37merge_sort_block_sort_config_selectorIN3c108BFloat16ElEENS1_38merge_sort_block_merge_config_selectorISC_lEEEEvv: ; @_ZN7rocprim17ROCPRIM_400000_NS6detail44device_merge_sort_compile_time_verifier_archINS1_11comp_targetILNS1_3genE4ELNS1_11target_archE910ELNS1_3gpuE8ELNS1_3repE0EEES8_NS0_14default_configES9_NS1_37merge_sort_block_sort_config_selectorIN3c108BFloat16ElEENS1_38merge_sort_block_merge_config_selectorISC_lEEEEvv
; %bb.0:
	s_endpgm
	.section	.rodata,"a",@progbits
	.p2align	6, 0x0
	.amdhsa_kernel _ZN7rocprim17ROCPRIM_400000_NS6detail44device_merge_sort_compile_time_verifier_archINS1_11comp_targetILNS1_3genE4ELNS1_11target_archE910ELNS1_3gpuE8ELNS1_3repE0EEES8_NS0_14default_configES9_NS1_37merge_sort_block_sort_config_selectorIN3c108BFloat16ElEENS1_38merge_sort_block_merge_config_selectorISC_lEEEEvv
		.amdhsa_group_segment_fixed_size 0
		.amdhsa_private_segment_fixed_size 0
		.amdhsa_kernarg_size 0
		.amdhsa_user_sgpr_count 4
		.amdhsa_user_sgpr_private_segment_buffer 1
		.amdhsa_user_sgpr_dispatch_ptr 0
		.amdhsa_user_sgpr_queue_ptr 0
		.amdhsa_user_sgpr_kernarg_segment_ptr 0
		.amdhsa_user_sgpr_dispatch_id 0
		.amdhsa_user_sgpr_flat_scratch_init 0
		.amdhsa_user_sgpr_private_segment_size 0
		.amdhsa_uses_dynamic_stack 0
		.amdhsa_system_sgpr_private_segment_wavefront_offset 0
		.amdhsa_system_sgpr_workgroup_id_x 1
		.amdhsa_system_sgpr_workgroup_id_y 0
		.amdhsa_system_sgpr_workgroup_id_z 0
		.amdhsa_system_sgpr_workgroup_info 0
		.amdhsa_system_vgpr_workitem_id 0
		.amdhsa_next_free_vgpr 1
		.amdhsa_next_free_sgpr 0
		.amdhsa_reserve_vcc 0
		.amdhsa_reserve_flat_scratch 0
		.amdhsa_float_round_mode_32 0
		.amdhsa_float_round_mode_16_64 0
		.amdhsa_float_denorm_mode_32 3
		.amdhsa_float_denorm_mode_16_64 3
		.amdhsa_dx10_clamp 1
		.amdhsa_ieee_mode 1
		.amdhsa_fp16_overflow 0
		.amdhsa_exception_fp_ieee_invalid_op 0
		.amdhsa_exception_fp_denorm_src 0
		.amdhsa_exception_fp_ieee_div_zero 0
		.amdhsa_exception_fp_ieee_overflow 0
		.amdhsa_exception_fp_ieee_underflow 0
		.amdhsa_exception_fp_ieee_inexact 0
		.amdhsa_exception_int_div_zero 0
	.end_amdhsa_kernel
	.section	.text._ZN7rocprim17ROCPRIM_400000_NS6detail44device_merge_sort_compile_time_verifier_archINS1_11comp_targetILNS1_3genE4ELNS1_11target_archE910ELNS1_3gpuE8ELNS1_3repE0EEES8_NS0_14default_configES9_NS1_37merge_sort_block_sort_config_selectorIN3c108BFloat16ElEENS1_38merge_sort_block_merge_config_selectorISC_lEEEEvv,"axG",@progbits,_ZN7rocprim17ROCPRIM_400000_NS6detail44device_merge_sort_compile_time_verifier_archINS1_11comp_targetILNS1_3genE4ELNS1_11target_archE910ELNS1_3gpuE8ELNS1_3repE0EEES8_NS0_14default_configES9_NS1_37merge_sort_block_sort_config_selectorIN3c108BFloat16ElEENS1_38merge_sort_block_merge_config_selectorISC_lEEEEvv,comdat
.Lfunc_end1962:
	.size	_ZN7rocprim17ROCPRIM_400000_NS6detail44device_merge_sort_compile_time_verifier_archINS1_11comp_targetILNS1_3genE4ELNS1_11target_archE910ELNS1_3gpuE8ELNS1_3repE0EEES8_NS0_14default_configES9_NS1_37merge_sort_block_sort_config_selectorIN3c108BFloat16ElEENS1_38merge_sort_block_merge_config_selectorISC_lEEEEvv, .Lfunc_end1962-_ZN7rocprim17ROCPRIM_400000_NS6detail44device_merge_sort_compile_time_verifier_archINS1_11comp_targetILNS1_3genE4ELNS1_11target_archE910ELNS1_3gpuE8ELNS1_3repE0EEES8_NS0_14default_configES9_NS1_37merge_sort_block_sort_config_selectorIN3c108BFloat16ElEENS1_38merge_sort_block_merge_config_selectorISC_lEEEEvv
                                        ; -- End function
	.set _ZN7rocprim17ROCPRIM_400000_NS6detail44device_merge_sort_compile_time_verifier_archINS1_11comp_targetILNS1_3genE4ELNS1_11target_archE910ELNS1_3gpuE8ELNS1_3repE0EEES8_NS0_14default_configES9_NS1_37merge_sort_block_sort_config_selectorIN3c108BFloat16ElEENS1_38merge_sort_block_merge_config_selectorISC_lEEEEvv.num_vgpr, 0
	.set _ZN7rocprim17ROCPRIM_400000_NS6detail44device_merge_sort_compile_time_verifier_archINS1_11comp_targetILNS1_3genE4ELNS1_11target_archE910ELNS1_3gpuE8ELNS1_3repE0EEES8_NS0_14default_configES9_NS1_37merge_sort_block_sort_config_selectorIN3c108BFloat16ElEENS1_38merge_sort_block_merge_config_selectorISC_lEEEEvv.num_agpr, 0
	.set _ZN7rocprim17ROCPRIM_400000_NS6detail44device_merge_sort_compile_time_verifier_archINS1_11comp_targetILNS1_3genE4ELNS1_11target_archE910ELNS1_3gpuE8ELNS1_3repE0EEES8_NS0_14default_configES9_NS1_37merge_sort_block_sort_config_selectorIN3c108BFloat16ElEENS1_38merge_sort_block_merge_config_selectorISC_lEEEEvv.numbered_sgpr, 0
	.set _ZN7rocprim17ROCPRIM_400000_NS6detail44device_merge_sort_compile_time_verifier_archINS1_11comp_targetILNS1_3genE4ELNS1_11target_archE910ELNS1_3gpuE8ELNS1_3repE0EEES8_NS0_14default_configES9_NS1_37merge_sort_block_sort_config_selectorIN3c108BFloat16ElEENS1_38merge_sort_block_merge_config_selectorISC_lEEEEvv.num_named_barrier, 0
	.set _ZN7rocprim17ROCPRIM_400000_NS6detail44device_merge_sort_compile_time_verifier_archINS1_11comp_targetILNS1_3genE4ELNS1_11target_archE910ELNS1_3gpuE8ELNS1_3repE0EEES8_NS0_14default_configES9_NS1_37merge_sort_block_sort_config_selectorIN3c108BFloat16ElEENS1_38merge_sort_block_merge_config_selectorISC_lEEEEvv.private_seg_size, 0
	.set _ZN7rocprim17ROCPRIM_400000_NS6detail44device_merge_sort_compile_time_verifier_archINS1_11comp_targetILNS1_3genE4ELNS1_11target_archE910ELNS1_3gpuE8ELNS1_3repE0EEES8_NS0_14default_configES9_NS1_37merge_sort_block_sort_config_selectorIN3c108BFloat16ElEENS1_38merge_sort_block_merge_config_selectorISC_lEEEEvv.uses_vcc, 0
	.set _ZN7rocprim17ROCPRIM_400000_NS6detail44device_merge_sort_compile_time_verifier_archINS1_11comp_targetILNS1_3genE4ELNS1_11target_archE910ELNS1_3gpuE8ELNS1_3repE0EEES8_NS0_14default_configES9_NS1_37merge_sort_block_sort_config_selectorIN3c108BFloat16ElEENS1_38merge_sort_block_merge_config_selectorISC_lEEEEvv.uses_flat_scratch, 0
	.set _ZN7rocprim17ROCPRIM_400000_NS6detail44device_merge_sort_compile_time_verifier_archINS1_11comp_targetILNS1_3genE4ELNS1_11target_archE910ELNS1_3gpuE8ELNS1_3repE0EEES8_NS0_14default_configES9_NS1_37merge_sort_block_sort_config_selectorIN3c108BFloat16ElEENS1_38merge_sort_block_merge_config_selectorISC_lEEEEvv.has_dyn_sized_stack, 0
	.set _ZN7rocprim17ROCPRIM_400000_NS6detail44device_merge_sort_compile_time_verifier_archINS1_11comp_targetILNS1_3genE4ELNS1_11target_archE910ELNS1_3gpuE8ELNS1_3repE0EEES8_NS0_14default_configES9_NS1_37merge_sort_block_sort_config_selectorIN3c108BFloat16ElEENS1_38merge_sort_block_merge_config_selectorISC_lEEEEvv.has_recursion, 0
	.set _ZN7rocprim17ROCPRIM_400000_NS6detail44device_merge_sort_compile_time_verifier_archINS1_11comp_targetILNS1_3genE4ELNS1_11target_archE910ELNS1_3gpuE8ELNS1_3repE0EEES8_NS0_14default_configES9_NS1_37merge_sort_block_sort_config_selectorIN3c108BFloat16ElEENS1_38merge_sort_block_merge_config_selectorISC_lEEEEvv.has_indirect_call, 0
	.section	.AMDGPU.csdata,"",@progbits
; Kernel info:
; codeLenInByte = 4
; TotalNumSgprs: 4
; NumVgprs: 0
; ScratchSize: 0
; MemoryBound: 0
; FloatMode: 240
; IeeeMode: 1
; LDSByteSize: 0 bytes/workgroup (compile time only)
; SGPRBlocks: 0
; VGPRBlocks: 0
; NumSGPRsForWavesPerEU: 4
; NumVGPRsForWavesPerEU: 1
; Occupancy: 10
; WaveLimiterHint : 0
; COMPUTE_PGM_RSRC2:SCRATCH_EN: 0
; COMPUTE_PGM_RSRC2:USER_SGPR: 4
; COMPUTE_PGM_RSRC2:TRAP_HANDLER: 0
; COMPUTE_PGM_RSRC2:TGID_X_EN: 1
; COMPUTE_PGM_RSRC2:TGID_Y_EN: 0
; COMPUTE_PGM_RSRC2:TGID_Z_EN: 0
; COMPUTE_PGM_RSRC2:TIDIG_COMP_CNT: 0
	.section	.text._ZN7rocprim17ROCPRIM_400000_NS6detail44device_merge_sort_compile_time_verifier_archINS1_11comp_targetILNS1_3genE3ELNS1_11target_archE908ELNS1_3gpuE7ELNS1_3repE0EEES8_NS0_14default_configES9_NS1_37merge_sort_block_sort_config_selectorIN3c108BFloat16ElEENS1_38merge_sort_block_merge_config_selectorISC_lEEEEvv,"axG",@progbits,_ZN7rocprim17ROCPRIM_400000_NS6detail44device_merge_sort_compile_time_verifier_archINS1_11comp_targetILNS1_3genE3ELNS1_11target_archE908ELNS1_3gpuE7ELNS1_3repE0EEES8_NS0_14default_configES9_NS1_37merge_sort_block_sort_config_selectorIN3c108BFloat16ElEENS1_38merge_sort_block_merge_config_selectorISC_lEEEEvv,comdat
	.protected	_ZN7rocprim17ROCPRIM_400000_NS6detail44device_merge_sort_compile_time_verifier_archINS1_11comp_targetILNS1_3genE3ELNS1_11target_archE908ELNS1_3gpuE7ELNS1_3repE0EEES8_NS0_14default_configES9_NS1_37merge_sort_block_sort_config_selectorIN3c108BFloat16ElEENS1_38merge_sort_block_merge_config_selectorISC_lEEEEvv ; -- Begin function _ZN7rocprim17ROCPRIM_400000_NS6detail44device_merge_sort_compile_time_verifier_archINS1_11comp_targetILNS1_3genE3ELNS1_11target_archE908ELNS1_3gpuE7ELNS1_3repE0EEES8_NS0_14default_configES9_NS1_37merge_sort_block_sort_config_selectorIN3c108BFloat16ElEENS1_38merge_sort_block_merge_config_selectorISC_lEEEEvv
	.globl	_ZN7rocprim17ROCPRIM_400000_NS6detail44device_merge_sort_compile_time_verifier_archINS1_11comp_targetILNS1_3genE3ELNS1_11target_archE908ELNS1_3gpuE7ELNS1_3repE0EEES8_NS0_14default_configES9_NS1_37merge_sort_block_sort_config_selectorIN3c108BFloat16ElEENS1_38merge_sort_block_merge_config_selectorISC_lEEEEvv
	.p2align	8
	.type	_ZN7rocprim17ROCPRIM_400000_NS6detail44device_merge_sort_compile_time_verifier_archINS1_11comp_targetILNS1_3genE3ELNS1_11target_archE908ELNS1_3gpuE7ELNS1_3repE0EEES8_NS0_14default_configES9_NS1_37merge_sort_block_sort_config_selectorIN3c108BFloat16ElEENS1_38merge_sort_block_merge_config_selectorISC_lEEEEvv,@function
_ZN7rocprim17ROCPRIM_400000_NS6detail44device_merge_sort_compile_time_verifier_archINS1_11comp_targetILNS1_3genE3ELNS1_11target_archE908ELNS1_3gpuE7ELNS1_3repE0EEES8_NS0_14default_configES9_NS1_37merge_sort_block_sort_config_selectorIN3c108BFloat16ElEENS1_38merge_sort_block_merge_config_selectorISC_lEEEEvv: ; @_ZN7rocprim17ROCPRIM_400000_NS6detail44device_merge_sort_compile_time_verifier_archINS1_11comp_targetILNS1_3genE3ELNS1_11target_archE908ELNS1_3gpuE7ELNS1_3repE0EEES8_NS0_14default_configES9_NS1_37merge_sort_block_sort_config_selectorIN3c108BFloat16ElEENS1_38merge_sort_block_merge_config_selectorISC_lEEEEvv
; %bb.0:
	s_endpgm
	.section	.rodata,"a",@progbits
	.p2align	6, 0x0
	.amdhsa_kernel _ZN7rocprim17ROCPRIM_400000_NS6detail44device_merge_sort_compile_time_verifier_archINS1_11comp_targetILNS1_3genE3ELNS1_11target_archE908ELNS1_3gpuE7ELNS1_3repE0EEES8_NS0_14default_configES9_NS1_37merge_sort_block_sort_config_selectorIN3c108BFloat16ElEENS1_38merge_sort_block_merge_config_selectorISC_lEEEEvv
		.amdhsa_group_segment_fixed_size 0
		.amdhsa_private_segment_fixed_size 0
		.amdhsa_kernarg_size 0
		.amdhsa_user_sgpr_count 4
		.amdhsa_user_sgpr_private_segment_buffer 1
		.amdhsa_user_sgpr_dispatch_ptr 0
		.amdhsa_user_sgpr_queue_ptr 0
		.amdhsa_user_sgpr_kernarg_segment_ptr 0
		.amdhsa_user_sgpr_dispatch_id 0
		.amdhsa_user_sgpr_flat_scratch_init 0
		.amdhsa_user_sgpr_private_segment_size 0
		.amdhsa_uses_dynamic_stack 0
		.amdhsa_system_sgpr_private_segment_wavefront_offset 0
		.amdhsa_system_sgpr_workgroup_id_x 1
		.amdhsa_system_sgpr_workgroup_id_y 0
		.amdhsa_system_sgpr_workgroup_id_z 0
		.amdhsa_system_sgpr_workgroup_info 0
		.amdhsa_system_vgpr_workitem_id 0
		.amdhsa_next_free_vgpr 1
		.amdhsa_next_free_sgpr 0
		.amdhsa_reserve_vcc 0
		.amdhsa_reserve_flat_scratch 0
		.amdhsa_float_round_mode_32 0
		.amdhsa_float_round_mode_16_64 0
		.amdhsa_float_denorm_mode_32 3
		.amdhsa_float_denorm_mode_16_64 3
		.amdhsa_dx10_clamp 1
		.amdhsa_ieee_mode 1
		.amdhsa_fp16_overflow 0
		.amdhsa_exception_fp_ieee_invalid_op 0
		.amdhsa_exception_fp_denorm_src 0
		.amdhsa_exception_fp_ieee_div_zero 0
		.amdhsa_exception_fp_ieee_overflow 0
		.amdhsa_exception_fp_ieee_underflow 0
		.amdhsa_exception_fp_ieee_inexact 0
		.amdhsa_exception_int_div_zero 0
	.end_amdhsa_kernel
	.section	.text._ZN7rocprim17ROCPRIM_400000_NS6detail44device_merge_sort_compile_time_verifier_archINS1_11comp_targetILNS1_3genE3ELNS1_11target_archE908ELNS1_3gpuE7ELNS1_3repE0EEES8_NS0_14default_configES9_NS1_37merge_sort_block_sort_config_selectorIN3c108BFloat16ElEENS1_38merge_sort_block_merge_config_selectorISC_lEEEEvv,"axG",@progbits,_ZN7rocprim17ROCPRIM_400000_NS6detail44device_merge_sort_compile_time_verifier_archINS1_11comp_targetILNS1_3genE3ELNS1_11target_archE908ELNS1_3gpuE7ELNS1_3repE0EEES8_NS0_14default_configES9_NS1_37merge_sort_block_sort_config_selectorIN3c108BFloat16ElEENS1_38merge_sort_block_merge_config_selectorISC_lEEEEvv,comdat
.Lfunc_end1963:
	.size	_ZN7rocprim17ROCPRIM_400000_NS6detail44device_merge_sort_compile_time_verifier_archINS1_11comp_targetILNS1_3genE3ELNS1_11target_archE908ELNS1_3gpuE7ELNS1_3repE0EEES8_NS0_14default_configES9_NS1_37merge_sort_block_sort_config_selectorIN3c108BFloat16ElEENS1_38merge_sort_block_merge_config_selectorISC_lEEEEvv, .Lfunc_end1963-_ZN7rocprim17ROCPRIM_400000_NS6detail44device_merge_sort_compile_time_verifier_archINS1_11comp_targetILNS1_3genE3ELNS1_11target_archE908ELNS1_3gpuE7ELNS1_3repE0EEES8_NS0_14default_configES9_NS1_37merge_sort_block_sort_config_selectorIN3c108BFloat16ElEENS1_38merge_sort_block_merge_config_selectorISC_lEEEEvv
                                        ; -- End function
	.set _ZN7rocprim17ROCPRIM_400000_NS6detail44device_merge_sort_compile_time_verifier_archINS1_11comp_targetILNS1_3genE3ELNS1_11target_archE908ELNS1_3gpuE7ELNS1_3repE0EEES8_NS0_14default_configES9_NS1_37merge_sort_block_sort_config_selectorIN3c108BFloat16ElEENS1_38merge_sort_block_merge_config_selectorISC_lEEEEvv.num_vgpr, 0
	.set _ZN7rocprim17ROCPRIM_400000_NS6detail44device_merge_sort_compile_time_verifier_archINS1_11comp_targetILNS1_3genE3ELNS1_11target_archE908ELNS1_3gpuE7ELNS1_3repE0EEES8_NS0_14default_configES9_NS1_37merge_sort_block_sort_config_selectorIN3c108BFloat16ElEENS1_38merge_sort_block_merge_config_selectorISC_lEEEEvv.num_agpr, 0
	.set _ZN7rocprim17ROCPRIM_400000_NS6detail44device_merge_sort_compile_time_verifier_archINS1_11comp_targetILNS1_3genE3ELNS1_11target_archE908ELNS1_3gpuE7ELNS1_3repE0EEES8_NS0_14default_configES9_NS1_37merge_sort_block_sort_config_selectorIN3c108BFloat16ElEENS1_38merge_sort_block_merge_config_selectorISC_lEEEEvv.numbered_sgpr, 0
	.set _ZN7rocprim17ROCPRIM_400000_NS6detail44device_merge_sort_compile_time_verifier_archINS1_11comp_targetILNS1_3genE3ELNS1_11target_archE908ELNS1_3gpuE7ELNS1_3repE0EEES8_NS0_14default_configES9_NS1_37merge_sort_block_sort_config_selectorIN3c108BFloat16ElEENS1_38merge_sort_block_merge_config_selectorISC_lEEEEvv.num_named_barrier, 0
	.set _ZN7rocprim17ROCPRIM_400000_NS6detail44device_merge_sort_compile_time_verifier_archINS1_11comp_targetILNS1_3genE3ELNS1_11target_archE908ELNS1_3gpuE7ELNS1_3repE0EEES8_NS0_14default_configES9_NS1_37merge_sort_block_sort_config_selectorIN3c108BFloat16ElEENS1_38merge_sort_block_merge_config_selectorISC_lEEEEvv.private_seg_size, 0
	.set _ZN7rocprim17ROCPRIM_400000_NS6detail44device_merge_sort_compile_time_verifier_archINS1_11comp_targetILNS1_3genE3ELNS1_11target_archE908ELNS1_3gpuE7ELNS1_3repE0EEES8_NS0_14default_configES9_NS1_37merge_sort_block_sort_config_selectorIN3c108BFloat16ElEENS1_38merge_sort_block_merge_config_selectorISC_lEEEEvv.uses_vcc, 0
	.set _ZN7rocprim17ROCPRIM_400000_NS6detail44device_merge_sort_compile_time_verifier_archINS1_11comp_targetILNS1_3genE3ELNS1_11target_archE908ELNS1_3gpuE7ELNS1_3repE0EEES8_NS0_14default_configES9_NS1_37merge_sort_block_sort_config_selectorIN3c108BFloat16ElEENS1_38merge_sort_block_merge_config_selectorISC_lEEEEvv.uses_flat_scratch, 0
	.set _ZN7rocprim17ROCPRIM_400000_NS6detail44device_merge_sort_compile_time_verifier_archINS1_11comp_targetILNS1_3genE3ELNS1_11target_archE908ELNS1_3gpuE7ELNS1_3repE0EEES8_NS0_14default_configES9_NS1_37merge_sort_block_sort_config_selectorIN3c108BFloat16ElEENS1_38merge_sort_block_merge_config_selectorISC_lEEEEvv.has_dyn_sized_stack, 0
	.set _ZN7rocprim17ROCPRIM_400000_NS6detail44device_merge_sort_compile_time_verifier_archINS1_11comp_targetILNS1_3genE3ELNS1_11target_archE908ELNS1_3gpuE7ELNS1_3repE0EEES8_NS0_14default_configES9_NS1_37merge_sort_block_sort_config_selectorIN3c108BFloat16ElEENS1_38merge_sort_block_merge_config_selectorISC_lEEEEvv.has_recursion, 0
	.set _ZN7rocprim17ROCPRIM_400000_NS6detail44device_merge_sort_compile_time_verifier_archINS1_11comp_targetILNS1_3genE3ELNS1_11target_archE908ELNS1_3gpuE7ELNS1_3repE0EEES8_NS0_14default_configES9_NS1_37merge_sort_block_sort_config_selectorIN3c108BFloat16ElEENS1_38merge_sort_block_merge_config_selectorISC_lEEEEvv.has_indirect_call, 0
	.section	.AMDGPU.csdata,"",@progbits
; Kernel info:
; codeLenInByte = 4
; TotalNumSgprs: 4
; NumVgprs: 0
; ScratchSize: 0
; MemoryBound: 0
; FloatMode: 240
; IeeeMode: 1
; LDSByteSize: 0 bytes/workgroup (compile time only)
; SGPRBlocks: 0
; VGPRBlocks: 0
; NumSGPRsForWavesPerEU: 4
; NumVGPRsForWavesPerEU: 1
; Occupancy: 10
; WaveLimiterHint : 0
; COMPUTE_PGM_RSRC2:SCRATCH_EN: 0
; COMPUTE_PGM_RSRC2:USER_SGPR: 4
; COMPUTE_PGM_RSRC2:TRAP_HANDLER: 0
; COMPUTE_PGM_RSRC2:TGID_X_EN: 1
; COMPUTE_PGM_RSRC2:TGID_Y_EN: 0
; COMPUTE_PGM_RSRC2:TGID_Z_EN: 0
; COMPUTE_PGM_RSRC2:TIDIG_COMP_CNT: 0
	.section	.text._ZN7rocprim17ROCPRIM_400000_NS6detail44device_merge_sort_compile_time_verifier_archINS1_11comp_targetILNS1_3genE2ELNS1_11target_archE906ELNS1_3gpuE6ELNS1_3repE0EEES8_NS0_14default_configES9_NS1_37merge_sort_block_sort_config_selectorIN3c108BFloat16ElEENS1_38merge_sort_block_merge_config_selectorISC_lEEEEvv,"axG",@progbits,_ZN7rocprim17ROCPRIM_400000_NS6detail44device_merge_sort_compile_time_verifier_archINS1_11comp_targetILNS1_3genE2ELNS1_11target_archE906ELNS1_3gpuE6ELNS1_3repE0EEES8_NS0_14default_configES9_NS1_37merge_sort_block_sort_config_selectorIN3c108BFloat16ElEENS1_38merge_sort_block_merge_config_selectorISC_lEEEEvv,comdat
	.protected	_ZN7rocprim17ROCPRIM_400000_NS6detail44device_merge_sort_compile_time_verifier_archINS1_11comp_targetILNS1_3genE2ELNS1_11target_archE906ELNS1_3gpuE6ELNS1_3repE0EEES8_NS0_14default_configES9_NS1_37merge_sort_block_sort_config_selectorIN3c108BFloat16ElEENS1_38merge_sort_block_merge_config_selectorISC_lEEEEvv ; -- Begin function _ZN7rocprim17ROCPRIM_400000_NS6detail44device_merge_sort_compile_time_verifier_archINS1_11comp_targetILNS1_3genE2ELNS1_11target_archE906ELNS1_3gpuE6ELNS1_3repE0EEES8_NS0_14default_configES9_NS1_37merge_sort_block_sort_config_selectorIN3c108BFloat16ElEENS1_38merge_sort_block_merge_config_selectorISC_lEEEEvv
	.globl	_ZN7rocprim17ROCPRIM_400000_NS6detail44device_merge_sort_compile_time_verifier_archINS1_11comp_targetILNS1_3genE2ELNS1_11target_archE906ELNS1_3gpuE6ELNS1_3repE0EEES8_NS0_14default_configES9_NS1_37merge_sort_block_sort_config_selectorIN3c108BFloat16ElEENS1_38merge_sort_block_merge_config_selectorISC_lEEEEvv
	.p2align	8
	.type	_ZN7rocprim17ROCPRIM_400000_NS6detail44device_merge_sort_compile_time_verifier_archINS1_11comp_targetILNS1_3genE2ELNS1_11target_archE906ELNS1_3gpuE6ELNS1_3repE0EEES8_NS0_14default_configES9_NS1_37merge_sort_block_sort_config_selectorIN3c108BFloat16ElEENS1_38merge_sort_block_merge_config_selectorISC_lEEEEvv,@function
_ZN7rocprim17ROCPRIM_400000_NS6detail44device_merge_sort_compile_time_verifier_archINS1_11comp_targetILNS1_3genE2ELNS1_11target_archE906ELNS1_3gpuE6ELNS1_3repE0EEES8_NS0_14default_configES9_NS1_37merge_sort_block_sort_config_selectorIN3c108BFloat16ElEENS1_38merge_sort_block_merge_config_selectorISC_lEEEEvv: ; @_ZN7rocprim17ROCPRIM_400000_NS6detail44device_merge_sort_compile_time_verifier_archINS1_11comp_targetILNS1_3genE2ELNS1_11target_archE906ELNS1_3gpuE6ELNS1_3repE0EEES8_NS0_14default_configES9_NS1_37merge_sort_block_sort_config_selectorIN3c108BFloat16ElEENS1_38merge_sort_block_merge_config_selectorISC_lEEEEvv
; %bb.0:
	s_endpgm
	.section	.rodata,"a",@progbits
	.p2align	6, 0x0
	.amdhsa_kernel _ZN7rocprim17ROCPRIM_400000_NS6detail44device_merge_sort_compile_time_verifier_archINS1_11comp_targetILNS1_3genE2ELNS1_11target_archE906ELNS1_3gpuE6ELNS1_3repE0EEES8_NS0_14default_configES9_NS1_37merge_sort_block_sort_config_selectorIN3c108BFloat16ElEENS1_38merge_sort_block_merge_config_selectorISC_lEEEEvv
		.amdhsa_group_segment_fixed_size 0
		.amdhsa_private_segment_fixed_size 0
		.amdhsa_kernarg_size 0
		.amdhsa_user_sgpr_count 4
		.amdhsa_user_sgpr_private_segment_buffer 1
		.amdhsa_user_sgpr_dispatch_ptr 0
		.amdhsa_user_sgpr_queue_ptr 0
		.amdhsa_user_sgpr_kernarg_segment_ptr 0
		.amdhsa_user_sgpr_dispatch_id 0
		.amdhsa_user_sgpr_flat_scratch_init 0
		.amdhsa_user_sgpr_private_segment_size 0
		.amdhsa_uses_dynamic_stack 0
		.amdhsa_system_sgpr_private_segment_wavefront_offset 0
		.amdhsa_system_sgpr_workgroup_id_x 1
		.amdhsa_system_sgpr_workgroup_id_y 0
		.amdhsa_system_sgpr_workgroup_id_z 0
		.amdhsa_system_sgpr_workgroup_info 0
		.amdhsa_system_vgpr_workitem_id 0
		.amdhsa_next_free_vgpr 1
		.amdhsa_next_free_sgpr 0
		.amdhsa_reserve_vcc 0
		.amdhsa_reserve_flat_scratch 0
		.amdhsa_float_round_mode_32 0
		.amdhsa_float_round_mode_16_64 0
		.amdhsa_float_denorm_mode_32 3
		.amdhsa_float_denorm_mode_16_64 3
		.amdhsa_dx10_clamp 1
		.amdhsa_ieee_mode 1
		.amdhsa_fp16_overflow 0
		.amdhsa_exception_fp_ieee_invalid_op 0
		.amdhsa_exception_fp_denorm_src 0
		.amdhsa_exception_fp_ieee_div_zero 0
		.amdhsa_exception_fp_ieee_overflow 0
		.amdhsa_exception_fp_ieee_underflow 0
		.amdhsa_exception_fp_ieee_inexact 0
		.amdhsa_exception_int_div_zero 0
	.end_amdhsa_kernel
	.section	.text._ZN7rocprim17ROCPRIM_400000_NS6detail44device_merge_sort_compile_time_verifier_archINS1_11comp_targetILNS1_3genE2ELNS1_11target_archE906ELNS1_3gpuE6ELNS1_3repE0EEES8_NS0_14default_configES9_NS1_37merge_sort_block_sort_config_selectorIN3c108BFloat16ElEENS1_38merge_sort_block_merge_config_selectorISC_lEEEEvv,"axG",@progbits,_ZN7rocprim17ROCPRIM_400000_NS6detail44device_merge_sort_compile_time_verifier_archINS1_11comp_targetILNS1_3genE2ELNS1_11target_archE906ELNS1_3gpuE6ELNS1_3repE0EEES8_NS0_14default_configES9_NS1_37merge_sort_block_sort_config_selectorIN3c108BFloat16ElEENS1_38merge_sort_block_merge_config_selectorISC_lEEEEvv,comdat
.Lfunc_end1964:
	.size	_ZN7rocprim17ROCPRIM_400000_NS6detail44device_merge_sort_compile_time_verifier_archINS1_11comp_targetILNS1_3genE2ELNS1_11target_archE906ELNS1_3gpuE6ELNS1_3repE0EEES8_NS0_14default_configES9_NS1_37merge_sort_block_sort_config_selectorIN3c108BFloat16ElEENS1_38merge_sort_block_merge_config_selectorISC_lEEEEvv, .Lfunc_end1964-_ZN7rocprim17ROCPRIM_400000_NS6detail44device_merge_sort_compile_time_verifier_archINS1_11comp_targetILNS1_3genE2ELNS1_11target_archE906ELNS1_3gpuE6ELNS1_3repE0EEES8_NS0_14default_configES9_NS1_37merge_sort_block_sort_config_selectorIN3c108BFloat16ElEENS1_38merge_sort_block_merge_config_selectorISC_lEEEEvv
                                        ; -- End function
	.set _ZN7rocprim17ROCPRIM_400000_NS6detail44device_merge_sort_compile_time_verifier_archINS1_11comp_targetILNS1_3genE2ELNS1_11target_archE906ELNS1_3gpuE6ELNS1_3repE0EEES8_NS0_14default_configES9_NS1_37merge_sort_block_sort_config_selectorIN3c108BFloat16ElEENS1_38merge_sort_block_merge_config_selectorISC_lEEEEvv.num_vgpr, 0
	.set _ZN7rocprim17ROCPRIM_400000_NS6detail44device_merge_sort_compile_time_verifier_archINS1_11comp_targetILNS1_3genE2ELNS1_11target_archE906ELNS1_3gpuE6ELNS1_3repE0EEES8_NS0_14default_configES9_NS1_37merge_sort_block_sort_config_selectorIN3c108BFloat16ElEENS1_38merge_sort_block_merge_config_selectorISC_lEEEEvv.num_agpr, 0
	.set _ZN7rocprim17ROCPRIM_400000_NS6detail44device_merge_sort_compile_time_verifier_archINS1_11comp_targetILNS1_3genE2ELNS1_11target_archE906ELNS1_3gpuE6ELNS1_3repE0EEES8_NS0_14default_configES9_NS1_37merge_sort_block_sort_config_selectorIN3c108BFloat16ElEENS1_38merge_sort_block_merge_config_selectorISC_lEEEEvv.numbered_sgpr, 0
	.set _ZN7rocprim17ROCPRIM_400000_NS6detail44device_merge_sort_compile_time_verifier_archINS1_11comp_targetILNS1_3genE2ELNS1_11target_archE906ELNS1_3gpuE6ELNS1_3repE0EEES8_NS0_14default_configES9_NS1_37merge_sort_block_sort_config_selectorIN3c108BFloat16ElEENS1_38merge_sort_block_merge_config_selectorISC_lEEEEvv.num_named_barrier, 0
	.set _ZN7rocprim17ROCPRIM_400000_NS6detail44device_merge_sort_compile_time_verifier_archINS1_11comp_targetILNS1_3genE2ELNS1_11target_archE906ELNS1_3gpuE6ELNS1_3repE0EEES8_NS0_14default_configES9_NS1_37merge_sort_block_sort_config_selectorIN3c108BFloat16ElEENS1_38merge_sort_block_merge_config_selectorISC_lEEEEvv.private_seg_size, 0
	.set _ZN7rocprim17ROCPRIM_400000_NS6detail44device_merge_sort_compile_time_verifier_archINS1_11comp_targetILNS1_3genE2ELNS1_11target_archE906ELNS1_3gpuE6ELNS1_3repE0EEES8_NS0_14default_configES9_NS1_37merge_sort_block_sort_config_selectorIN3c108BFloat16ElEENS1_38merge_sort_block_merge_config_selectorISC_lEEEEvv.uses_vcc, 0
	.set _ZN7rocprim17ROCPRIM_400000_NS6detail44device_merge_sort_compile_time_verifier_archINS1_11comp_targetILNS1_3genE2ELNS1_11target_archE906ELNS1_3gpuE6ELNS1_3repE0EEES8_NS0_14default_configES9_NS1_37merge_sort_block_sort_config_selectorIN3c108BFloat16ElEENS1_38merge_sort_block_merge_config_selectorISC_lEEEEvv.uses_flat_scratch, 0
	.set _ZN7rocprim17ROCPRIM_400000_NS6detail44device_merge_sort_compile_time_verifier_archINS1_11comp_targetILNS1_3genE2ELNS1_11target_archE906ELNS1_3gpuE6ELNS1_3repE0EEES8_NS0_14default_configES9_NS1_37merge_sort_block_sort_config_selectorIN3c108BFloat16ElEENS1_38merge_sort_block_merge_config_selectorISC_lEEEEvv.has_dyn_sized_stack, 0
	.set _ZN7rocprim17ROCPRIM_400000_NS6detail44device_merge_sort_compile_time_verifier_archINS1_11comp_targetILNS1_3genE2ELNS1_11target_archE906ELNS1_3gpuE6ELNS1_3repE0EEES8_NS0_14default_configES9_NS1_37merge_sort_block_sort_config_selectorIN3c108BFloat16ElEENS1_38merge_sort_block_merge_config_selectorISC_lEEEEvv.has_recursion, 0
	.set _ZN7rocprim17ROCPRIM_400000_NS6detail44device_merge_sort_compile_time_verifier_archINS1_11comp_targetILNS1_3genE2ELNS1_11target_archE906ELNS1_3gpuE6ELNS1_3repE0EEES8_NS0_14default_configES9_NS1_37merge_sort_block_sort_config_selectorIN3c108BFloat16ElEENS1_38merge_sort_block_merge_config_selectorISC_lEEEEvv.has_indirect_call, 0
	.section	.AMDGPU.csdata,"",@progbits
; Kernel info:
; codeLenInByte = 4
; TotalNumSgprs: 4
; NumVgprs: 0
; ScratchSize: 0
; MemoryBound: 0
; FloatMode: 240
; IeeeMode: 1
; LDSByteSize: 0 bytes/workgroup (compile time only)
; SGPRBlocks: 0
; VGPRBlocks: 0
; NumSGPRsForWavesPerEU: 4
; NumVGPRsForWavesPerEU: 1
; Occupancy: 10
; WaveLimiterHint : 0
; COMPUTE_PGM_RSRC2:SCRATCH_EN: 0
; COMPUTE_PGM_RSRC2:USER_SGPR: 4
; COMPUTE_PGM_RSRC2:TRAP_HANDLER: 0
; COMPUTE_PGM_RSRC2:TGID_X_EN: 1
; COMPUTE_PGM_RSRC2:TGID_Y_EN: 0
; COMPUTE_PGM_RSRC2:TGID_Z_EN: 0
; COMPUTE_PGM_RSRC2:TIDIG_COMP_CNT: 0
	.section	.text._ZN7rocprim17ROCPRIM_400000_NS6detail44device_merge_sort_compile_time_verifier_archINS1_11comp_targetILNS1_3genE10ELNS1_11target_archE1201ELNS1_3gpuE5ELNS1_3repE0EEES8_NS0_14default_configES9_NS1_37merge_sort_block_sort_config_selectorIN3c108BFloat16ElEENS1_38merge_sort_block_merge_config_selectorISC_lEEEEvv,"axG",@progbits,_ZN7rocprim17ROCPRIM_400000_NS6detail44device_merge_sort_compile_time_verifier_archINS1_11comp_targetILNS1_3genE10ELNS1_11target_archE1201ELNS1_3gpuE5ELNS1_3repE0EEES8_NS0_14default_configES9_NS1_37merge_sort_block_sort_config_selectorIN3c108BFloat16ElEENS1_38merge_sort_block_merge_config_selectorISC_lEEEEvv,comdat
	.protected	_ZN7rocprim17ROCPRIM_400000_NS6detail44device_merge_sort_compile_time_verifier_archINS1_11comp_targetILNS1_3genE10ELNS1_11target_archE1201ELNS1_3gpuE5ELNS1_3repE0EEES8_NS0_14default_configES9_NS1_37merge_sort_block_sort_config_selectorIN3c108BFloat16ElEENS1_38merge_sort_block_merge_config_selectorISC_lEEEEvv ; -- Begin function _ZN7rocprim17ROCPRIM_400000_NS6detail44device_merge_sort_compile_time_verifier_archINS1_11comp_targetILNS1_3genE10ELNS1_11target_archE1201ELNS1_3gpuE5ELNS1_3repE0EEES8_NS0_14default_configES9_NS1_37merge_sort_block_sort_config_selectorIN3c108BFloat16ElEENS1_38merge_sort_block_merge_config_selectorISC_lEEEEvv
	.globl	_ZN7rocprim17ROCPRIM_400000_NS6detail44device_merge_sort_compile_time_verifier_archINS1_11comp_targetILNS1_3genE10ELNS1_11target_archE1201ELNS1_3gpuE5ELNS1_3repE0EEES8_NS0_14default_configES9_NS1_37merge_sort_block_sort_config_selectorIN3c108BFloat16ElEENS1_38merge_sort_block_merge_config_selectorISC_lEEEEvv
	.p2align	8
	.type	_ZN7rocprim17ROCPRIM_400000_NS6detail44device_merge_sort_compile_time_verifier_archINS1_11comp_targetILNS1_3genE10ELNS1_11target_archE1201ELNS1_3gpuE5ELNS1_3repE0EEES8_NS0_14default_configES9_NS1_37merge_sort_block_sort_config_selectorIN3c108BFloat16ElEENS1_38merge_sort_block_merge_config_selectorISC_lEEEEvv,@function
_ZN7rocprim17ROCPRIM_400000_NS6detail44device_merge_sort_compile_time_verifier_archINS1_11comp_targetILNS1_3genE10ELNS1_11target_archE1201ELNS1_3gpuE5ELNS1_3repE0EEES8_NS0_14default_configES9_NS1_37merge_sort_block_sort_config_selectorIN3c108BFloat16ElEENS1_38merge_sort_block_merge_config_selectorISC_lEEEEvv: ; @_ZN7rocprim17ROCPRIM_400000_NS6detail44device_merge_sort_compile_time_verifier_archINS1_11comp_targetILNS1_3genE10ELNS1_11target_archE1201ELNS1_3gpuE5ELNS1_3repE0EEES8_NS0_14default_configES9_NS1_37merge_sort_block_sort_config_selectorIN3c108BFloat16ElEENS1_38merge_sort_block_merge_config_selectorISC_lEEEEvv
; %bb.0:
	s_endpgm
	.section	.rodata,"a",@progbits
	.p2align	6, 0x0
	.amdhsa_kernel _ZN7rocprim17ROCPRIM_400000_NS6detail44device_merge_sort_compile_time_verifier_archINS1_11comp_targetILNS1_3genE10ELNS1_11target_archE1201ELNS1_3gpuE5ELNS1_3repE0EEES8_NS0_14default_configES9_NS1_37merge_sort_block_sort_config_selectorIN3c108BFloat16ElEENS1_38merge_sort_block_merge_config_selectorISC_lEEEEvv
		.amdhsa_group_segment_fixed_size 0
		.amdhsa_private_segment_fixed_size 0
		.amdhsa_kernarg_size 0
		.amdhsa_user_sgpr_count 4
		.amdhsa_user_sgpr_private_segment_buffer 1
		.amdhsa_user_sgpr_dispatch_ptr 0
		.amdhsa_user_sgpr_queue_ptr 0
		.amdhsa_user_sgpr_kernarg_segment_ptr 0
		.amdhsa_user_sgpr_dispatch_id 0
		.amdhsa_user_sgpr_flat_scratch_init 0
		.amdhsa_user_sgpr_private_segment_size 0
		.amdhsa_uses_dynamic_stack 0
		.amdhsa_system_sgpr_private_segment_wavefront_offset 0
		.amdhsa_system_sgpr_workgroup_id_x 1
		.amdhsa_system_sgpr_workgroup_id_y 0
		.amdhsa_system_sgpr_workgroup_id_z 0
		.amdhsa_system_sgpr_workgroup_info 0
		.amdhsa_system_vgpr_workitem_id 0
		.amdhsa_next_free_vgpr 1
		.amdhsa_next_free_sgpr 0
		.amdhsa_reserve_vcc 0
		.amdhsa_reserve_flat_scratch 0
		.amdhsa_float_round_mode_32 0
		.amdhsa_float_round_mode_16_64 0
		.amdhsa_float_denorm_mode_32 3
		.amdhsa_float_denorm_mode_16_64 3
		.amdhsa_dx10_clamp 1
		.amdhsa_ieee_mode 1
		.amdhsa_fp16_overflow 0
		.amdhsa_exception_fp_ieee_invalid_op 0
		.amdhsa_exception_fp_denorm_src 0
		.amdhsa_exception_fp_ieee_div_zero 0
		.amdhsa_exception_fp_ieee_overflow 0
		.amdhsa_exception_fp_ieee_underflow 0
		.amdhsa_exception_fp_ieee_inexact 0
		.amdhsa_exception_int_div_zero 0
	.end_amdhsa_kernel
	.section	.text._ZN7rocprim17ROCPRIM_400000_NS6detail44device_merge_sort_compile_time_verifier_archINS1_11comp_targetILNS1_3genE10ELNS1_11target_archE1201ELNS1_3gpuE5ELNS1_3repE0EEES8_NS0_14default_configES9_NS1_37merge_sort_block_sort_config_selectorIN3c108BFloat16ElEENS1_38merge_sort_block_merge_config_selectorISC_lEEEEvv,"axG",@progbits,_ZN7rocprim17ROCPRIM_400000_NS6detail44device_merge_sort_compile_time_verifier_archINS1_11comp_targetILNS1_3genE10ELNS1_11target_archE1201ELNS1_3gpuE5ELNS1_3repE0EEES8_NS0_14default_configES9_NS1_37merge_sort_block_sort_config_selectorIN3c108BFloat16ElEENS1_38merge_sort_block_merge_config_selectorISC_lEEEEvv,comdat
.Lfunc_end1965:
	.size	_ZN7rocprim17ROCPRIM_400000_NS6detail44device_merge_sort_compile_time_verifier_archINS1_11comp_targetILNS1_3genE10ELNS1_11target_archE1201ELNS1_3gpuE5ELNS1_3repE0EEES8_NS0_14default_configES9_NS1_37merge_sort_block_sort_config_selectorIN3c108BFloat16ElEENS1_38merge_sort_block_merge_config_selectorISC_lEEEEvv, .Lfunc_end1965-_ZN7rocprim17ROCPRIM_400000_NS6detail44device_merge_sort_compile_time_verifier_archINS1_11comp_targetILNS1_3genE10ELNS1_11target_archE1201ELNS1_3gpuE5ELNS1_3repE0EEES8_NS0_14default_configES9_NS1_37merge_sort_block_sort_config_selectorIN3c108BFloat16ElEENS1_38merge_sort_block_merge_config_selectorISC_lEEEEvv
                                        ; -- End function
	.set _ZN7rocprim17ROCPRIM_400000_NS6detail44device_merge_sort_compile_time_verifier_archINS1_11comp_targetILNS1_3genE10ELNS1_11target_archE1201ELNS1_3gpuE5ELNS1_3repE0EEES8_NS0_14default_configES9_NS1_37merge_sort_block_sort_config_selectorIN3c108BFloat16ElEENS1_38merge_sort_block_merge_config_selectorISC_lEEEEvv.num_vgpr, 0
	.set _ZN7rocprim17ROCPRIM_400000_NS6detail44device_merge_sort_compile_time_verifier_archINS1_11comp_targetILNS1_3genE10ELNS1_11target_archE1201ELNS1_3gpuE5ELNS1_3repE0EEES8_NS0_14default_configES9_NS1_37merge_sort_block_sort_config_selectorIN3c108BFloat16ElEENS1_38merge_sort_block_merge_config_selectorISC_lEEEEvv.num_agpr, 0
	.set _ZN7rocprim17ROCPRIM_400000_NS6detail44device_merge_sort_compile_time_verifier_archINS1_11comp_targetILNS1_3genE10ELNS1_11target_archE1201ELNS1_3gpuE5ELNS1_3repE0EEES8_NS0_14default_configES9_NS1_37merge_sort_block_sort_config_selectorIN3c108BFloat16ElEENS1_38merge_sort_block_merge_config_selectorISC_lEEEEvv.numbered_sgpr, 0
	.set _ZN7rocprim17ROCPRIM_400000_NS6detail44device_merge_sort_compile_time_verifier_archINS1_11comp_targetILNS1_3genE10ELNS1_11target_archE1201ELNS1_3gpuE5ELNS1_3repE0EEES8_NS0_14default_configES9_NS1_37merge_sort_block_sort_config_selectorIN3c108BFloat16ElEENS1_38merge_sort_block_merge_config_selectorISC_lEEEEvv.num_named_barrier, 0
	.set _ZN7rocprim17ROCPRIM_400000_NS6detail44device_merge_sort_compile_time_verifier_archINS1_11comp_targetILNS1_3genE10ELNS1_11target_archE1201ELNS1_3gpuE5ELNS1_3repE0EEES8_NS0_14default_configES9_NS1_37merge_sort_block_sort_config_selectorIN3c108BFloat16ElEENS1_38merge_sort_block_merge_config_selectorISC_lEEEEvv.private_seg_size, 0
	.set _ZN7rocprim17ROCPRIM_400000_NS6detail44device_merge_sort_compile_time_verifier_archINS1_11comp_targetILNS1_3genE10ELNS1_11target_archE1201ELNS1_3gpuE5ELNS1_3repE0EEES8_NS0_14default_configES9_NS1_37merge_sort_block_sort_config_selectorIN3c108BFloat16ElEENS1_38merge_sort_block_merge_config_selectorISC_lEEEEvv.uses_vcc, 0
	.set _ZN7rocprim17ROCPRIM_400000_NS6detail44device_merge_sort_compile_time_verifier_archINS1_11comp_targetILNS1_3genE10ELNS1_11target_archE1201ELNS1_3gpuE5ELNS1_3repE0EEES8_NS0_14default_configES9_NS1_37merge_sort_block_sort_config_selectorIN3c108BFloat16ElEENS1_38merge_sort_block_merge_config_selectorISC_lEEEEvv.uses_flat_scratch, 0
	.set _ZN7rocprim17ROCPRIM_400000_NS6detail44device_merge_sort_compile_time_verifier_archINS1_11comp_targetILNS1_3genE10ELNS1_11target_archE1201ELNS1_3gpuE5ELNS1_3repE0EEES8_NS0_14default_configES9_NS1_37merge_sort_block_sort_config_selectorIN3c108BFloat16ElEENS1_38merge_sort_block_merge_config_selectorISC_lEEEEvv.has_dyn_sized_stack, 0
	.set _ZN7rocprim17ROCPRIM_400000_NS6detail44device_merge_sort_compile_time_verifier_archINS1_11comp_targetILNS1_3genE10ELNS1_11target_archE1201ELNS1_3gpuE5ELNS1_3repE0EEES8_NS0_14default_configES9_NS1_37merge_sort_block_sort_config_selectorIN3c108BFloat16ElEENS1_38merge_sort_block_merge_config_selectorISC_lEEEEvv.has_recursion, 0
	.set _ZN7rocprim17ROCPRIM_400000_NS6detail44device_merge_sort_compile_time_verifier_archINS1_11comp_targetILNS1_3genE10ELNS1_11target_archE1201ELNS1_3gpuE5ELNS1_3repE0EEES8_NS0_14default_configES9_NS1_37merge_sort_block_sort_config_selectorIN3c108BFloat16ElEENS1_38merge_sort_block_merge_config_selectorISC_lEEEEvv.has_indirect_call, 0
	.section	.AMDGPU.csdata,"",@progbits
; Kernel info:
; codeLenInByte = 4
; TotalNumSgprs: 4
; NumVgprs: 0
; ScratchSize: 0
; MemoryBound: 0
; FloatMode: 240
; IeeeMode: 1
; LDSByteSize: 0 bytes/workgroup (compile time only)
; SGPRBlocks: 0
; VGPRBlocks: 0
; NumSGPRsForWavesPerEU: 4
; NumVGPRsForWavesPerEU: 1
; Occupancy: 10
; WaveLimiterHint : 0
; COMPUTE_PGM_RSRC2:SCRATCH_EN: 0
; COMPUTE_PGM_RSRC2:USER_SGPR: 4
; COMPUTE_PGM_RSRC2:TRAP_HANDLER: 0
; COMPUTE_PGM_RSRC2:TGID_X_EN: 1
; COMPUTE_PGM_RSRC2:TGID_Y_EN: 0
; COMPUTE_PGM_RSRC2:TGID_Z_EN: 0
; COMPUTE_PGM_RSRC2:TIDIG_COMP_CNT: 0
	.section	.text._ZN7rocprim17ROCPRIM_400000_NS6detail44device_merge_sort_compile_time_verifier_archINS1_11comp_targetILNS1_3genE10ELNS1_11target_archE1200ELNS1_3gpuE4ELNS1_3repE0EEENS3_ILS4_10ELS5_1201ELS6_5ELS7_0EEENS0_14default_configESA_NS1_37merge_sort_block_sort_config_selectorIN3c108BFloat16ElEENS1_38merge_sort_block_merge_config_selectorISD_lEEEEvv,"axG",@progbits,_ZN7rocprim17ROCPRIM_400000_NS6detail44device_merge_sort_compile_time_verifier_archINS1_11comp_targetILNS1_3genE10ELNS1_11target_archE1200ELNS1_3gpuE4ELNS1_3repE0EEENS3_ILS4_10ELS5_1201ELS6_5ELS7_0EEENS0_14default_configESA_NS1_37merge_sort_block_sort_config_selectorIN3c108BFloat16ElEENS1_38merge_sort_block_merge_config_selectorISD_lEEEEvv,comdat
	.protected	_ZN7rocprim17ROCPRIM_400000_NS6detail44device_merge_sort_compile_time_verifier_archINS1_11comp_targetILNS1_3genE10ELNS1_11target_archE1200ELNS1_3gpuE4ELNS1_3repE0EEENS3_ILS4_10ELS5_1201ELS6_5ELS7_0EEENS0_14default_configESA_NS1_37merge_sort_block_sort_config_selectorIN3c108BFloat16ElEENS1_38merge_sort_block_merge_config_selectorISD_lEEEEvv ; -- Begin function _ZN7rocprim17ROCPRIM_400000_NS6detail44device_merge_sort_compile_time_verifier_archINS1_11comp_targetILNS1_3genE10ELNS1_11target_archE1200ELNS1_3gpuE4ELNS1_3repE0EEENS3_ILS4_10ELS5_1201ELS6_5ELS7_0EEENS0_14default_configESA_NS1_37merge_sort_block_sort_config_selectorIN3c108BFloat16ElEENS1_38merge_sort_block_merge_config_selectorISD_lEEEEvv
	.globl	_ZN7rocprim17ROCPRIM_400000_NS6detail44device_merge_sort_compile_time_verifier_archINS1_11comp_targetILNS1_3genE10ELNS1_11target_archE1200ELNS1_3gpuE4ELNS1_3repE0EEENS3_ILS4_10ELS5_1201ELS6_5ELS7_0EEENS0_14default_configESA_NS1_37merge_sort_block_sort_config_selectorIN3c108BFloat16ElEENS1_38merge_sort_block_merge_config_selectorISD_lEEEEvv
	.p2align	8
	.type	_ZN7rocprim17ROCPRIM_400000_NS6detail44device_merge_sort_compile_time_verifier_archINS1_11comp_targetILNS1_3genE10ELNS1_11target_archE1200ELNS1_3gpuE4ELNS1_3repE0EEENS3_ILS4_10ELS5_1201ELS6_5ELS7_0EEENS0_14default_configESA_NS1_37merge_sort_block_sort_config_selectorIN3c108BFloat16ElEENS1_38merge_sort_block_merge_config_selectorISD_lEEEEvv,@function
_ZN7rocprim17ROCPRIM_400000_NS6detail44device_merge_sort_compile_time_verifier_archINS1_11comp_targetILNS1_3genE10ELNS1_11target_archE1200ELNS1_3gpuE4ELNS1_3repE0EEENS3_ILS4_10ELS5_1201ELS6_5ELS7_0EEENS0_14default_configESA_NS1_37merge_sort_block_sort_config_selectorIN3c108BFloat16ElEENS1_38merge_sort_block_merge_config_selectorISD_lEEEEvv: ; @_ZN7rocprim17ROCPRIM_400000_NS6detail44device_merge_sort_compile_time_verifier_archINS1_11comp_targetILNS1_3genE10ELNS1_11target_archE1200ELNS1_3gpuE4ELNS1_3repE0EEENS3_ILS4_10ELS5_1201ELS6_5ELS7_0EEENS0_14default_configESA_NS1_37merge_sort_block_sort_config_selectorIN3c108BFloat16ElEENS1_38merge_sort_block_merge_config_selectorISD_lEEEEvv
; %bb.0:
	s_endpgm
	.section	.rodata,"a",@progbits
	.p2align	6, 0x0
	.amdhsa_kernel _ZN7rocprim17ROCPRIM_400000_NS6detail44device_merge_sort_compile_time_verifier_archINS1_11comp_targetILNS1_3genE10ELNS1_11target_archE1200ELNS1_3gpuE4ELNS1_3repE0EEENS3_ILS4_10ELS5_1201ELS6_5ELS7_0EEENS0_14default_configESA_NS1_37merge_sort_block_sort_config_selectorIN3c108BFloat16ElEENS1_38merge_sort_block_merge_config_selectorISD_lEEEEvv
		.amdhsa_group_segment_fixed_size 0
		.amdhsa_private_segment_fixed_size 0
		.amdhsa_kernarg_size 0
		.amdhsa_user_sgpr_count 4
		.amdhsa_user_sgpr_private_segment_buffer 1
		.amdhsa_user_sgpr_dispatch_ptr 0
		.amdhsa_user_sgpr_queue_ptr 0
		.amdhsa_user_sgpr_kernarg_segment_ptr 0
		.amdhsa_user_sgpr_dispatch_id 0
		.amdhsa_user_sgpr_flat_scratch_init 0
		.amdhsa_user_sgpr_private_segment_size 0
		.amdhsa_uses_dynamic_stack 0
		.amdhsa_system_sgpr_private_segment_wavefront_offset 0
		.amdhsa_system_sgpr_workgroup_id_x 1
		.amdhsa_system_sgpr_workgroup_id_y 0
		.amdhsa_system_sgpr_workgroup_id_z 0
		.amdhsa_system_sgpr_workgroup_info 0
		.amdhsa_system_vgpr_workitem_id 0
		.amdhsa_next_free_vgpr 1
		.amdhsa_next_free_sgpr 0
		.amdhsa_reserve_vcc 0
		.amdhsa_reserve_flat_scratch 0
		.amdhsa_float_round_mode_32 0
		.amdhsa_float_round_mode_16_64 0
		.amdhsa_float_denorm_mode_32 3
		.amdhsa_float_denorm_mode_16_64 3
		.amdhsa_dx10_clamp 1
		.amdhsa_ieee_mode 1
		.amdhsa_fp16_overflow 0
		.amdhsa_exception_fp_ieee_invalid_op 0
		.amdhsa_exception_fp_denorm_src 0
		.amdhsa_exception_fp_ieee_div_zero 0
		.amdhsa_exception_fp_ieee_overflow 0
		.amdhsa_exception_fp_ieee_underflow 0
		.amdhsa_exception_fp_ieee_inexact 0
		.amdhsa_exception_int_div_zero 0
	.end_amdhsa_kernel
	.section	.text._ZN7rocprim17ROCPRIM_400000_NS6detail44device_merge_sort_compile_time_verifier_archINS1_11comp_targetILNS1_3genE10ELNS1_11target_archE1200ELNS1_3gpuE4ELNS1_3repE0EEENS3_ILS4_10ELS5_1201ELS6_5ELS7_0EEENS0_14default_configESA_NS1_37merge_sort_block_sort_config_selectorIN3c108BFloat16ElEENS1_38merge_sort_block_merge_config_selectorISD_lEEEEvv,"axG",@progbits,_ZN7rocprim17ROCPRIM_400000_NS6detail44device_merge_sort_compile_time_verifier_archINS1_11comp_targetILNS1_3genE10ELNS1_11target_archE1200ELNS1_3gpuE4ELNS1_3repE0EEENS3_ILS4_10ELS5_1201ELS6_5ELS7_0EEENS0_14default_configESA_NS1_37merge_sort_block_sort_config_selectorIN3c108BFloat16ElEENS1_38merge_sort_block_merge_config_selectorISD_lEEEEvv,comdat
.Lfunc_end1966:
	.size	_ZN7rocprim17ROCPRIM_400000_NS6detail44device_merge_sort_compile_time_verifier_archINS1_11comp_targetILNS1_3genE10ELNS1_11target_archE1200ELNS1_3gpuE4ELNS1_3repE0EEENS3_ILS4_10ELS5_1201ELS6_5ELS7_0EEENS0_14default_configESA_NS1_37merge_sort_block_sort_config_selectorIN3c108BFloat16ElEENS1_38merge_sort_block_merge_config_selectorISD_lEEEEvv, .Lfunc_end1966-_ZN7rocprim17ROCPRIM_400000_NS6detail44device_merge_sort_compile_time_verifier_archINS1_11comp_targetILNS1_3genE10ELNS1_11target_archE1200ELNS1_3gpuE4ELNS1_3repE0EEENS3_ILS4_10ELS5_1201ELS6_5ELS7_0EEENS0_14default_configESA_NS1_37merge_sort_block_sort_config_selectorIN3c108BFloat16ElEENS1_38merge_sort_block_merge_config_selectorISD_lEEEEvv
                                        ; -- End function
	.set _ZN7rocprim17ROCPRIM_400000_NS6detail44device_merge_sort_compile_time_verifier_archINS1_11comp_targetILNS1_3genE10ELNS1_11target_archE1200ELNS1_3gpuE4ELNS1_3repE0EEENS3_ILS4_10ELS5_1201ELS6_5ELS7_0EEENS0_14default_configESA_NS1_37merge_sort_block_sort_config_selectorIN3c108BFloat16ElEENS1_38merge_sort_block_merge_config_selectorISD_lEEEEvv.num_vgpr, 0
	.set _ZN7rocprim17ROCPRIM_400000_NS6detail44device_merge_sort_compile_time_verifier_archINS1_11comp_targetILNS1_3genE10ELNS1_11target_archE1200ELNS1_3gpuE4ELNS1_3repE0EEENS3_ILS4_10ELS5_1201ELS6_5ELS7_0EEENS0_14default_configESA_NS1_37merge_sort_block_sort_config_selectorIN3c108BFloat16ElEENS1_38merge_sort_block_merge_config_selectorISD_lEEEEvv.num_agpr, 0
	.set _ZN7rocprim17ROCPRIM_400000_NS6detail44device_merge_sort_compile_time_verifier_archINS1_11comp_targetILNS1_3genE10ELNS1_11target_archE1200ELNS1_3gpuE4ELNS1_3repE0EEENS3_ILS4_10ELS5_1201ELS6_5ELS7_0EEENS0_14default_configESA_NS1_37merge_sort_block_sort_config_selectorIN3c108BFloat16ElEENS1_38merge_sort_block_merge_config_selectorISD_lEEEEvv.numbered_sgpr, 0
	.set _ZN7rocprim17ROCPRIM_400000_NS6detail44device_merge_sort_compile_time_verifier_archINS1_11comp_targetILNS1_3genE10ELNS1_11target_archE1200ELNS1_3gpuE4ELNS1_3repE0EEENS3_ILS4_10ELS5_1201ELS6_5ELS7_0EEENS0_14default_configESA_NS1_37merge_sort_block_sort_config_selectorIN3c108BFloat16ElEENS1_38merge_sort_block_merge_config_selectorISD_lEEEEvv.num_named_barrier, 0
	.set _ZN7rocprim17ROCPRIM_400000_NS6detail44device_merge_sort_compile_time_verifier_archINS1_11comp_targetILNS1_3genE10ELNS1_11target_archE1200ELNS1_3gpuE4ELNS1_3repE0EEENS3_ILS4_10ELS5_1201ELS6_5ELS7_0EEENS0_14default_configESA_NS1_37merge_sort_block_sort_config_selectorIN3c108BFloat16ElEENS1_38merge_sort_block_merge_config_selectorISD_lEEEEvv.private_seg_size, 0
	.set _ZN7rocprim17ROCPRIM_400000_NS6detail44device_merge_sort_compile_time_verifier_archINS1_11comp_targetILNS1_3genE10ELNS1_11target_archE1200ELNS1_3gpuE4ELNS1_3repE0EEENS3_ILS4_10ELS5_1201ELS6_5ELS7_0EEENS0_14default_configESA_NS1_37merge_sort_block_sort_config_selectorIN3c108BFloat16ElEENS1_38merge_sort_block_merge_config_selectorISD_lEEEEvv.uses_vcc, 0
	.set _ZN7rocprim17ROCPRIM_400000_NS6detail44device_merge_sort_compile_time_verifier_archINS1_11comp_targetILNS1_3genE10ELNS1_11target_archE1200ELNS1_3gpuE4ELNS1_3repE0EEENS3_ILS4_10ELS5_1201ELS6_5ELS7_0EEENS0_14default_configESA_NS1_37merge_sort_block_sort_config_selectorIN3c108BFloat16ElEENS1_38merge_sort_block_merge_config_selectorISD_lEEEEvv.uses_flat_scratch, 0
	.set _ZN7rocprim17ROCPRIM_400000_NS6detail44device_merge_sort_compile_time_verifier_archINS1_11comp_targetILNS1_3genE10ELNS1_11target_archE1200ELNS1_3gpuE4ELNS1_3repE0EEENS3_ILS4_10ELS5_1201ELS6_5ELS7_0EEENS0_14default_configESA_NS1_37merge_sort_block_sort_config_selectorIN3c108BFloat16ElEENS1_38merge_sort_block_merge_config_selectorISD_lEEEEvv.has_dyn_sized_stack, 0
	.set _ZN7rocprim17ROCPRIM_400000_NS6detail44device_merge_sort_compile_time_verifier_archINS1_11comp_targetILNS1_3genE10ELNS1_11target_archE1200ELNS1_3gpuE4ELNS1_3repE0EEENS3_ILS4_10ELS5_1201ELS6_5ELS7_0EEENS0_14default_configESA_NS1_37merge_sort_block_sort_config_selectorIN3c108BFloat16ElEENS1_38merge_sort_block_merge_config_selectorISD_lEEEEvv.has_recursion, 0
	.set _ZN7rocprim17ROCPRIM_400000_NS6detail44device_merge_sort_compile_time_verifier_archINS1_11comp_targetILNS1_3genE10ELNS1_11target_archE1200ELNS1_3gpuE4ELNS1_3repE0EEENS3_ILS4_10ELS5_1201ELS6_5ELS7_0EEENS0_14default_configESA_NS1_37merge_sort_block_sort_config_selectorIN3c108BFloat16ElEENS1_38merge_sort_block_merge_config_selectorISD_lEEEEvv.has_indirect_call, 0
	.section	.AMDGPU.csdata,"",@progbits
; Kernel info:
; codeLenInByte = 4
; TotalNumSgprs: 4
; NumVgprs: 0
; ScratchSize: 0
; MemoryBound: 0
; FloatMode: 240
; IeeeMode: 1
; LDSByteSize: 0 bytes/workgroup (compile time only)
; SGPRBlocks: 0
; VGPRBlocks: 0
; NumSGPRsForWavesPerEU: 4
; NumVGPRsForWavesPerEU: 1
; Occupancy: 10
; WaveLimiterHint : 0
; COMPUTE_PGM_RSRC2:SCRATCH_EN: 0
; COMPUTE_PGM_RSRC2:USER_SGPR: 4
; COMPUTE_PGM_RSRC2:TRAP_HANDLER: 0
; COMPUTE_PGM_RSRC2:TGID_X_EN: 1
; COMPUTE_PGM_RSRC2:TGID_Y_EN: 0
; COMPUTE_PGM_RSRC2:TGID_Z_EN: 0
; COMPUTE_PGM_RSRC2:TIDIG_COMP_CNT: 0
	.section	.text._ZN7rocprim17ROCPRIM_400000_NS6detail44device_merge_sort_compile_time_verifier_archINS1_11comp_targetILNS1_3genE9ELNS1_11target_archE1100ELNS1_3gpuE3ELNS1_3repE0EEES8_NS0_14default_configES9_NS1_37merge_sort_block_sort_config_selectorIN3c108BFloat16ElEENS1_38merge_sort_block_merge_config_selectorISC_lEEEEvv,"axG",@progbits,_ZN7rocprim17ROCPRIM_400000_NS6detail44device_merge_sort_compile_time_verifier_archINS1_11comp_targetILNS1_3genE9ELNS1_11target_archE1100ELNS1_3gpuE3ELNS1_3repE0EEES8_NS0_14default_configES9_NS1_37merge_sort_block_sort_config_selectorIN3c108BFloat16ElEENS1_38merge_sort_block_merge_config_selectorISC_lEEEEvv,comdat
	.protected	_ZN7rocprim17ROCPRIM_400000_NS6detail44device_merge_sort_compile_time_verifier_archINS1_11comp_targetILNS1_3genE9ELNS1_11target_archE1100ELNS1_3gpuE3ELNS1_3repE0EEES8_NS0_14default_configES9_NS1_37merge_sort_block_sort_config_selectorIN3c108BFloat16ElEENS1_38merge_sort_block_merge_config_selectorISC_lEEEEvv ; -- Begin function _ZN7rocprim17ROCPRIM_400000_NS6detail44device_merge_sort_compile_time_verifier_archINS1_11comp_targetILNS1_3genE9ELNS1_11target_archE1100ELNS1_3gpuE3ELNS1_3repE0EEES8_NS0_14default_configES9_NS1_37merge_sort_block_sort_config_selectorIN3c108BFloat16ElEENS1_38merge_sort_block_merge_config_selectorISC_lEEEEvv
	.globl	_ZN7rocprim17ROCPRIM_400000_NS6detail44device_merge_sort_compile_time_verifier_archINS1_11comp_targetILNS1_3genE9ELNS1_11target_archE1100ELNS1_3gpuE3ELNS1_3repE0EEES8_NS0_14default_configES9_NS1_37merge_sort_block_sort_config_selectorIN3c108BFloat16ElEENS1_38merge_sort_block_merge_config_selectorISC_lEEEEvv
	.p2align	8
	.type	_ZN7rocprim17ROCPRIM_400000_NS6detail44device_merge_sort_compile_time_verifier_archINS1_11comp_targetILNS1_3genE9ELNS1_11target_archE1100ELNS1_3gpuE3ELNS1_3repE0EEES8_NS0_14default_configES9_NS1_37merge_sort_block_sort_config_selectorIN3c108BFloat16ElEENS1_38merge_sort_block_merge_config_selectorISC_lEEEEvv,@function
_ZN7rocprim17ROCPRIM_400000_NS6detail44device_merge_sort_compile_time_verifier_archINS1_11comp_targetILNS1_3genE9ELNS1_11target_archE1100ELNS1_3gpuE3ELNS1_3repE0EEES8_NS0_14default_configES9_NS1_37merge_sort_block_sort_config_selectorIN3c108BFloat16ElEENS1_38merge_sort_block_merge_config_selectorISC_lEEEEvv: ; @_ZN7rocprim17ROCPRIM_400000_NS6detail44device_merge_sort_compile_time_verifier_archINS1_11comp_targetILNS1_3genE9ELNS1_11target_archE1100ELNS1_3gpuE3ELNS1_3repE0EEES8_NS0_14default_configES9_NS1_37merge_sort_block_sort_config_selectorIN3c108BFloat16ElEENS1_38merge_sort_block_merge_config_selectorISC_lEEEEvv
; %bb.0:
	s_endpgm
	.section	.rodata,"a",@progbits
	.p2align	6, 0x0
	.amdhsa_kernel _ZN7rocprim17ROCPRIM_400000_NS6detail44device_merge_sort_compile_time_verifier_archINS1_11comp_targetILNS1_3genE9ELNS1_11target_archE1100ELNS1_3gpuE3ELNS1_3repE0EEES8_NS0_14default_configES9_NS1_37merge_sort_block_sort_config_selectorIN3c108BFloat16ElEENS1_38merge_sort_block_merge_config_selectorISC_lEEEEvv
		.amdhsa_group_segment_fixed_size 0
		.amdhsa_private_segment_fixed_size 0
		.amdhsa_kernarg_size 0
		.amdhsa_user_sgpr_count 4
		.amdhsa_user_sgpr_private_segment_buffer 1
		.amdhsa_user_sgpr_dispatch_ptr 0
		.amdhsa_user_sgpr_queue_ptr 0
		.amdhsa_user_sgpr_kernarg_segment_ptr 0
		.amdhsa_user_sgpr_dispatch_id 0
		.amdhsa_user_sgpr_flat_scratch_init 0
		.amdhsa_user_sgpr_private_segment_size 0
		.amdhsa_uses_dynamic_stack 0
		.amdhsa_system_sgpr_private_segment_wavefront_offset 0
		.amdhsa_system_sgpr_workgroup_id_x 1
		.amdhsa_system_sgpr_workgroup_id_y 0
		.amdhsa_system_sgpr_workgroup_id_z 0
		.amdhsa_system_sgpr_workgroup_info 0
		.amdhsa_system_vgpr_workitem_id 0
		.amdhsa_next_free_vgpr 1
		.amdhsa_next_free_sgpr 0
		.amdhsa_reserve_vcc 0
		.amdhsa_reserve_flat_scratch 0
		.amdhsa_float_round_mode_32 0
		.amdhsa_float_round_mode_16_64 0
		.amdhsa_float_denorm_mode_32 3
		.amdhsa_float_denorm_mode_16_64 3
		.amdhsa_dx10_clamp 1
		.amdhsa_ieee_mode 1
		.amdhsa_fp16_overflow 0
		.amdhsa_exception_fp_ieee_invalid_op 0
		.amdhsa_exception_fp_denorm_src 0
		.amdhsa_exception_fp_ieee_div_zero 0
		.amdhsa_exception_fp_ieee_overflow 0
		.amdhsa_exception_fp_ieee_underflow 0
		.amdhsa_exception_fp_ieee_inexact 0
		.amdhsa_exception_int_div_zero 0
	.end_amdhsa_kernel
	.section	.text._ZN7rocprim17ROCPRIM_400000_NS6detail44device_merge_sort_compile_time_verifier_archINS1_11comp_targetILNS1_3genE9ELNS1_11target_archE1100ELNS1_3gpuE3ELNS1_3repE0EEES8_NS0_14default_configES9_NS1_37merge_sort_block_sort_config_selectorIN3c108BFloat16ElEENS1_38merge_sort_block_merge_config_selectorISC_lEEEEvv,"axG",@progbits,_ZN7rocprim17ROCPRIM_400000_NS6detail44device_merge_sort_compile_time_verifier_archINS1_11comp_targetILNS1_3genE9ELNS1_11target_archE1100ELNS1_3gpuE3ELNS1_3repE0EEES8_NS0_14default_configES9_NS1_37merge_sort_block_sort_config_selectorIN3c108BFloat16ElEENS1_38merge_sort_block_merge_config_selectorISC_lEEEEvv,comdat
.Lfunc_end1967:
	.size	_ZN7rocprim17ROCPRIM_400000_NS6detail44device_merge_sort_compile_time_verifier_archINS1_11comp_targetILNS1_3genE9ELNS1_11target_archE1100ELNS1_3gpuE3ELNS1_3repE0EEES8_NS0_14default_configES9_NS1_37merge_sort_block_sort_config_selectorIN3c108BFloat16ElEENS1_38merge_sort_block_merge_config_selectorISC_lEEEEvv, .Lfunc_end1967-_ZN7rocprim17ROCPRIM_400000_NS6detail44device_merge_sort_compile_time_verifier_archINS1_11comp_targetILNS1_3genE9ELNS1_11target_archE1100ELNS1_3gpuE3ELNS1_3repE0EEES8_NS0_14default_configES9_NS1_37merge_sort_block_sort_config_selectorIN3c108BFloat16ElEENS1_38merge_sort_block_merge_config_selectorISC_lEEEEvv
                                        ; -- End function
	.set _ZN7rocprim17ROCPRIM_400000_NS6detail44device_merge_sort_compile_time_verifier_archINS1_11comp_targetILNS1_3genE9ELNS1_11target_archE1100ELNS1_3gpuE3ELNS1_3repE0EEES8_NS0_14default_configES9_NS1_37merge_sort_block_sort_config_selectorIN3c108BFloat16ElEENS1_38merge_sort_block_merge_config_selectorISC_lEEEEvv.num_vgpr, 0
	.set _ZN7rocprim17ROCPRIM_400000_NS6detail44device_merge_sort_compile_time_verifier_archINS1_11comp_targetILNS1_3genE9ELNS1_11target_archE1100ELNS1_3gpuE3ELNS1_3repE0EEES8_NS0_14default_configES9_NS1_37merge_sort_block_sort_config_selectorIN3c108BFloat16ElEENS1_38merge_sort_block_merge_config_selectorISC_lEEEEvv.num_agpr, 0
	.set _ZN7rocprim17ROCPRIM_400000_NS6detail44device_merge_sort_compile_time_verifier_archINS1_11comp_targetILNS1_3genE9ELNS1_11target_archE1100ELNS1_3gpuE3ELNS1_3repE0EEES8_NS0_14default_configES9_NS1_37merge_sort_block_sort_config_selectorIN3c108BFloat16ElEENS1_38merge_sort_block_merge_config_selectorISC_lEEEEvv.numbered_sgpr, 0
	.set _ZN7rocprim17ROCPRIM_400000_NS6detail44device_merge_sort_compile_time_verifier_archINS1_11comp_targetILNS1_3genE9ELNS1_11target_archE1100ELNS1_3gpuE3ELNS1_3repE0EEES8_NS0_14default_configES9_NS1_37merge_sort_block_sort_config_selectorIN3c108BFloat16ElEENS1_38merge_sort_block_merge_config_selectorISC_lEEEEvv.num_named_barrier, 0
	.set _ZN7rocprim17ROCPRIM_400000_NS6detail44device_merge_sort_compile_time_verifier_archINS1_11comp_targetILNS1_3genE9ELNS1_11target_archE1100ELNS1_3gpuE3ELNS1_3repE0EEES8_NS0_14default_configES9_NS1_37merge_sort_block_sort_config_selectorIN3c108BFloat16ElEENS1_38merge_sort_block_merge_config_selectorISC_lEEEEvv.private_seg_size, 0
	.set _ZN7rocprim17ROCPRIM_400000_NS6detail44device_merge_sort_compile_time_verifier_archINS1_11comp_targetILNS1_3genE9ELNS1_11target_archE1100ELNS1_3gpuE3ELNS1_3repE0EEES8_NS0_14default_configES9_NS1_37merge_sort_block_sort_config_selectorIN3c108BFloat16ElEENS1_38merge_sort_block_merge_config_selectorISC_lEEEEvv.uses_vcc, 0
	.set _ZN7rocprim17ROCPRIM_400000_NS6detail44device_merge_sort_compile_time_verifier_archINS1_11comp_targetILNS1_3genE9ELNS1_11target_archE1100ELNS1_3gpuE3ELNS1_3repE0EEES8_NS0_14default_configES9_NS1_37merge_sort_block_sort_config_selectorIN3c108BFloat16ElEENS1_38merge_sort_block_merge_config_selectorISC_lEEEEvv.uses_flat_scratch, 0
	.set _ZN7rocprim17ROCPRIM_400000_NS6detail44device_merge_sort_compile_time_verifier_archINS1_11comp_targetILNS1_3genE9ELNS1_11target_archE1100ELNS1_3gpuE3ELNS1_3repE0EEES8_NS0_14default_configES9_NS1_37merge_sort_block_sort_config_selectorIN3c108BFloat16ElEENS1_38merge_sort_block_merge_config_selectorISC_lEEEEvv.has_dyn_sized_stack, 0
	.set _ZN7rocprim17ROCPRIM_400000_NS6detail44device_merge_sort_compile_time_verifier_archINS1_11comp_targetILNS1_3genE9ELNS1_11target_archE1100ELNS1_3gpuE3ELNS1_3repE0EEES8_NS0_14default_configES9_NS1_37merge_sort_block_sort_config_selectorIN3c108BFloat16ElEENS1_38merge_sort_block_merge_config_selectorISC_lEEEEvv.has_recursion, 0
	.set _ZN7rocprim17ROCPRIM_400000_NS6detail44device_merge_sort_compile_time_verifier_archINS1_11comp_targetILNS1_3genE9ELNS1_11target_archE1100ELNS1_3gpuE3ELNS1_3repE0EEES8_NS0_14default_configES9_NS1_37merge_sort_block_sort_config_selectorIN3c108BFloat16ElEENS1_38merge_sort_block_merge_config_selectorISC_lEEEEvv.has_indirect_call, 0
	.section	.AMDGPU.csdata,"",@progbits
; Kernel info:
; codeLenInByte = 4
; TotalNumSgprs: 4
; NumVgprs: 0
; ScratchSize: 0
; MemoryBound: 0
; FloatMode: 240
; IeeeMode: 1
; LDSByteSize: 0 bytes/workgroup (compile time only)
; SGPRBlocks: 0
; VGPRBlocks: 0
; NumSGPRsForWavesPerEU: 4
; NumVGPRsForWavesPerEU: 1
; Occupancy: 10
; WaveLimiterHint : 0
; COMPUTE_PGM_RSRC2:SCRATCH_EN: 0
; COMPUTE_PGM_RSRC2:USER_SGPR: 4
; COMPUTE_PGM_RSRC2:TRAP_HANDLER: 0
; COMPUTE_PGM_RSRC2:TGID_X_EN: 1
; COMPUTE_PGM_RSRC2:TGID_Y_EN: 0
; COMPUTE_PGM_RSRC2:TGID_Z_EN: 0
; COMPUTE_PGM_RSRC2:TIDIG_COMP_CNT: 0
	.section	.text._ZN7rocprim17ROCPRIM_400000_NS6detail44device_merge_sort_compile_time_verifier_archINS1_11comp_targetILNS1_3genE8ELNS1_11target_archE1030ELNS1_3gpuE2ELNS1_3repE0EEES8_NS0_14default_configES9_NS1_37merge_sort_block_sort_config_selectorIN3c108BFloat16ElEENS1_38merge_sort_block_merge_config_selectorISC_lEEEEvv,"axG",@progbits,_ZN7rocprim17ROCPRIM_400000_NS6detail44device_merge_sort_compile_time_verifier_archINS1_11comp_targetILNS1_3genE8ELNS1_11target_archE1030ELNS1_3gpuE2ELNS1_3repE0EEES8_NS0_14default_configES9_NS1_37merge_sort_block_sort_config_selectorIN3c108BFloat16ElEENS1_38merge_sort_block_merge_config_selectorISC_lEEEEvv,comdat
	.protected	_ZN7rocprim17ROCPRIM_400000_NS6detail44device_merge_sort_compile_time_verifier_archINS1_11comp_targetILNS1_3genE8ELNS1_11target_archE1030ELNS1_3gpuE2ELNS1_3repE0EEES8_NS0_14default_configES9_NS1_37merge_sort_block_sort_config_selectorIN3c108BFloat16ElEENS1_38merge_sort_block_merge_config_selectorISC_lEEEEvv ; -- Begin function _ZN7rocprim17ROCPRIM_400000_NS6detail44device_merge_sort_compile_time_verifier_archINS1_11comp_targetILNS1_3genE8ELNS1_11target_archE1030ELNS1_3gpuE2ELNS1_3repE0EEES8_NS0_14default_configES9_NS1_37merge_sort_block_sort_config_selectorIN3c108BFloat16ElEENS1_38merge_sort_block_merge_config_selectorISC_lEEEEvv
	.globl	_ZN7rocprim17ROCPRIM_400000_NS6detail44device_merge_sort_compile_time_verifier_archINS1_11comp_targetILNS1_3genE8ELNS1_11target_archE1030ELNS1_3gpuE2ELNS1_3repE0EEES8_NS0_14default_configES9_NS1_37merge_sort_block_sort_config_selectorIN3c108BFloat16ElEENS1_38merge_sort_block_merge_config_selectorISC_lEEEEvv
	.p2align	8
	.type	_ZN7rocprim17ROCPRIM_400000_NS6detail44device_merge_sort_compile_time_verifier_archINS1_11comp_targetILNS1_3genE8ELNS1_11target_archE1030ELNS1_3gpuE2ELNS1_3repE0EEES8_NS0_14default_configES9_NS1_37merge_sort_block_sort_config_selectorIN3c108BFloat16ElEENS1_38merge_sort_block_merge_config_selectorISC_lEEEEvv,@function
_ZN7rocprim17ROCPRIM_400000_NS6detail44device_merge_sort_compile_time_verifier_archINS1_11comp_targetILNS1_3genE8ELNS1_11target_archE1030ELNS1_3gpuE2ELNS1_3repE0EEES8_NS0_14default_configES9_NS1_37merge_sort_block_sort_config_selectorIN3c108BFloat16ElEENS1_38merge_sort_block_merge_config_selectorISC_lEEEEvv: ; @_ZN7rocprim17ROCPRIM_400000_NS6detail44device_merge_sort_compile_time_verifier_archINS1_11comp_targetILNS1_3genE8ELNS1_11target_archE1030ELNS1_3gpuE2ELNS1_3repE0EEES8_NS0_14default_configES9_NS1_37merge_sort_block_sort_config_selectorIN3c108BFloat16ElEENS1_38merge_sort_block_merge_config_selectorISC_lEEEEvv
; %bb.0:
	s_endpgm
	.section	.rodata,"a",@progbits
	.p2align	6, 0x0
	.amdhsa_kernel _ZN7rocprim17ROCPRIM_400000_NS6detail44device_merge_sort_compile_time_verifier_archINS1_11comp_targetILNS1_3genE8ELNS1_11target_archE1030ELNS1_3gpuE2ELNS1_3repE0EEES8_NS0_14default_configES9_NS1_37merge_sort_block_sort_config_selectorIN3c108BFloat16ElEENS1_38merge_sort_block_merge_config_selectorISC_lEEEEvv
		.amdhsa_group_segment_fixed_size 0
		.amdhsa_private_segment_fixed_size 0
		.amdhsa_kernarg_size 0
		.amdhsa_user_sgpr_count 4
		.amdhsa_user_sgpr_private_segment_buffer 1
		.amdhsa_user_sgpr_dispatch_ptr 0
		.amdhsa_user_sgpr_queue_ptr 0
		.amdhsa_user_sgpr_kernarg_segment_ptr 0
		.amdhsa_user_sgpr_dispatch_id 0
		.amdhsa_user_sgpr_flat_scratch_init 0
		.amdhsa_user_sgpr_private_segment_size 0
		.amdhsa_uses_dynamic_stack 0
		.amdhsa_system_sgpr_private_segment_wavefront_offset 0
		.amdhsa_system_sgpr_workgroup_id_x 1
		.amdhsa_system_sgpr_workgroup_id_y 0
		.amdhsa_system_sgpr_workgroup_id_z 0
		.amdhsa_system_sgpr_workgroup_info 0
		.amdhsa_system_vgpr_workitem_id 0
		.amdhsa_next_free_vgpr 1
		.amdhsa_next_free_sgpr 0
		.amdhsa_reserve_vcc 0
		.amdhsa_reserve_flat_scratch 0
		.amdhsa_float_round_mode_32 0
		.amdhsa_float_round_mode_16_64 0
		.amdhsa_float_denorm_mode_32 3
		.amdhsa_float_denorm_mode_16_64 3
		.amdhsa_dx10_clamp 1
		.amdhsa_ieee_mode 1
		.amdhsa_fp16_overflow 0
		.amdhsa_exception_fp_ieee_invalid_op 0
		.amdhsa_exception_fp_denorm_src 0
		.amdhsa_exception_fp_ieee_div_zero 0
		.amdhsa_exception_fp_ieee_overflow 0
		.amdhsa_exception_fp_ieee_underflow 0
		.amdhsa_exception_fp_ieee_inexact 0
		.amdhsa_exception_int_div_zero 0
	.end_amdhsa_kernel
	.section	.text._ZN7rocprim17ROCPRIM_400000_NS6detail44device_merge_sort_compile_time_verifier_archINS1_11comp_targetILNS1_3genE8ELNS1_11target_archE1030ELNS1_3gpuE2ELNS1_3repE0EEES8_NS0_14default_configES9_NS1_37merge_sort_block_sort_config_selectorIN3c108BFloat16ElEENS1_38merge_sort_block_merge_config_selectorISC_lEEEEvv,"axG",@progbits,_ZN7rocprim17ROCPRIM_400000_NS6detail44device_merge_sort_compile_time_verifier_archINS1_11comp_targetILNS1_3genE8ELNS1_11target_archE1030ELNS1_3gpuE2ELNS1_3repE0EEES8_NS0_14default_configES9_NS1_37merge_sort_block_sort_config_selectorIN3c108BFloat16ElEENS1_38merge_sort_block_merge_config_selectorISC_lEEEEvv,comdat
.Lfunc_end1968:
	.size	_ZN7rocprim17ROCPRIM_400000_NS6detail44device_merge_sort_compile_time_verifier_archINS1_11comp_targetILNS1_3genE8ELNS1_11target_archE1030ELNS1_3gpuE2ELNS1_3repE0EEES8_NS0_14default_configES9_NS1_37merge_sort_block_sort_config_selectorIN3c108BFloat16ElEENS1_38merge_sort_block_merge_config_selectorISC_lEEEEvv, .Lfunc_end1968-_ZN7rocprim17ROCPRIM_400000_NS6detail44device_merge_sort_compile_time_verifier_archINS1_11comp_targetILNS1_3genE8ELNS1_11target_archE1030ELNS1_3gpuE2ELNS1_3repE0EEES8_NS0_14default_configES9_NS1_37merge_sort_block_sort_config_selectorIN3c108BFloat16ElEENS1_38merge_sort_block_merge_config_selectorISC_lEEEEvv
                                        ; -- End function
	.set _ZN7rocprim17ROCPRIM_400000_NS6detail44device_merge_sort_compile_time_verifier_archINS1_11comp_targetILNS1_3genE8ELNS1_11target_archE1030ELNS1_3gpuE2ELNS1_3repE0EEES8_NS0_14default_configES9_NS1_37merge_sort_block_sort_config_selectorIN3c108BFloat16ElEENS1_38merge_sort_block_merge_config_selectorISC_lEEEEvv.num_vgpr, 0
	.set _ZN7rocprim17ROCPRIM_400000_NS6detail44device_merge_sort_compile_time_verifier_archINS1_11comp_targetILNS1_3genE8ELNS1_11target_archE1030ELNS1_3gpuE2ELNS1_3repE0EEES8_NS0_14default_configES9_NS1_37merge_sort_block_sort_config_selectorIN3c108BFloat16ElEENS1_38merge_sort_block_merge_config_selectorISC_lEEEEvv.num_agpr, 0
	.set _ZN7rocprim17ROCPRIM_400000_NS6detail44device_merge_sort_compile_time_verifier_archINS1_11comp_targetILNS1_3genE8ELNS1_11target_archE1030ELNS1_3gpuE2ELNS1_3repE0EEES8_NS0_14default_configES9_NS1_37merge_sort_block_sort_config_selectorIN3c108BFloat16ElEENS1_38merge_sort_block_merge_config_selectorISC_lEEEEvv.numbered_sgpr, 0
	.set _ZN7rocprim17ROCPRIM_400000_NS6detail44device_merge_sort_compile_time_verifier_archINS1_11comp_targetILNS1_3genE8ELNS1_11target_archE1030ELNS1_3gpuE2ELNS1_3repE0EEES8_NS0_14default_configES9_NS1_37merge_sort_block_sort_config_selectorIN3c108BFloat16ElEENS1_38merge_sort_block_merge_config_selectorISC_lEEEEvv.num_named_barrier, 0
	.set _ZN7rocprim17ROCPRIM_400000_NS6detail44device_merge_sort_compile_time_verifier_archINS1_11comp_targetILNS1_3genE8ELNS1_11target_archE1030ELNS1_3gpuE2ELNS1_3repE0EEES8_NS0_14default_configES9_NS1_37merge_sort_block_sort_config_selectorIN3c108BFloat16ElEENS1_38merge_sort_block_merge_config_selectorISC_lEEEEvv.private_seg_size, 0
	.set _ZN7rocprim17ROCPRIM_400000_NS6detail44device_merge_sort_compile_time_verifier_archINS1_11comp_targetILNS1_3genE8ELNS1_11target_archE1030ELNS1_3gpuE2ELNS1_3repE0EEES8_NS0_14default_configES9_NS1_37merge_sort_block_sort_config_selectorIN3c108BFloat16ElEENS1_38merge_sort_block_merge_config_selectorISC_lEEEEvv.uses_vcc, 0
	.set _ZN7rocprim17ROCPRIM_400000_NS6detail44device_merge_sort_compile_time_verifier_archINS1_11comp_targetILNS1_3genE8ELNS1_11target_archE1030ELNS1_3gpuE2ELNS1_3repE0EEES8_NS0_14default_configES9_NS1_37merge_sort_block_sort_config_selectorIN3c108BFloat16ElEENS1_38merge_sort_block_merge_config_selectorISC_lEEEEvv.uses_flat_scratch, 0
	.set _ZN7rocprim17ROCPRIM_400000_NS6detail44device_merge_sort_compile_time_verifier_archINS1_11comp_targetILNS1_3genE8ELNS1_11target_archE1030ELNS1_3gpuE2ELNS1_3repE0EEES8_NS0_14default_configES9_NS1_37merge_sort_block_sort_config_selectorIN3c108BFloat16ElEENS1_38merge_sort_block_merge_config_selectorISC_lEEEEvv.has_dyn_sized_stack, 0
	.set _ZN7rocprim17ROCPRIM_400000_NS6detail44device_merge_sort_compile_time_verifier_archINS1_11comp_targetILNS1_3genE8ELNS1_11target_archE1030ELNS1_3gpuE2ELNS1_3repE0EEES8_NS0_14default_configES9_NS1_37merge_sort_block_sort_config_selectorIN3c108BFloat16ElEENS1_38merge_sort_block_merge_config_selectorISC_lEEEEvv.has_recursion, 0
	.set _ZN7rocprim17ROCPRIM_400000_NS6detail44device_merge_sort_compile_time_verifier_archINS1_11comp_targetILNS1_3genE8ELNS1_11target_archE1030ELNS1_3gpuE2ELNS1_3repE0EEES8_NS0_14default_configES9_NS1_37merge_sort_block_sort_config_selectorIN3c108BFloat16ElEENS1_38merge_sort_block_merge_config_selectorISC_lEEEEvv.has_indirect_call, 0
	.section	.AMDGPU.csdata,"",@progbits
; Kernel info:
; codeLenInByte = 4
; TotalNumSgprs: 4
; NumVgprs: 0
; ScratchSize: 0
; MemoryBound: 0
; FloatMode: 240
; IeeeMode: 1
; LDSByteSize: 0 bytes/workgroup (compile time only)
; SGPRBlocks: 0
; VGPRBlocks: 0
; NumSGPRsForWavesPerEU: 4
; NumVGPRsForWavesPerEU: 1
; Occupancy: 10
; WaveLimiterHint : 0
; COMPUTE_PGM_RSRC2:SCRATCH_EN: 0
; COMPUTE_PGM_RSRC2:USER_SGPR: 4
; COMPUTE_PGM_RSRC2:TRAP_HANDLER: 0
; COMPUTE_PGM_RSRC2:TGID_X_EN: 1
; COMPUTE_PGM_RSRC2:TGID_Y_EN: 0
; COMPUTE_PGM_RSRC2:TGID_Z_EN: 0
; COMPUTE_PGM_RSRC2:TIDIG_COMP_CNT: 0
	.section	.text._ZN7rocprim17ROCPRIM_400000_NS6detail17trampoline_kernelINS0_14default_configENS1_37merge_sort_block_sort_config_selectorIN3c108BFloat16ElEEZNS1_21merge_sort_block_sortIS3_PS6_S9_N6thrust23THRUST_200600_302600_NS10device_ptrIlEESD_NSB_4lessIS6_EEEE10hipError_tT0_T1_T2_T3_mRjT4_P12ihipStream_tbNS1_7vsmem_tEEUlT_E_NS1_11comp_targetILNS1_3genE0ELNS1_11target_archE4294967295ELNS1_3gpuE0ELNS1_3repE0EEENS1_30default_config_static_selectorELNS0_4arch9wavefront6targetE1EEEvSI_,"axG",@progbits,_ZN7rocprim17ROCPRIM_400000_NS6detail17trampoline_kernelINS0_14default_configENS1_37merge_sort_block_sort_config_selectorIN3c108BFloat16ElEEZNS1_21merge_sort_block_sortIS3_PS6_S9_N6thrust23THRUST_200600_302600_NS10device_ptrIlEESD_NSB_4lessIS6_EEEE10hipError_tT0_T1_T2_T3_mRjT4_P12ihipStream_tbNS1_7vsmem_tEEUlT_E_NS1_11comp_targetILNS1_3genE0ELNS1_11target_archE4294967295ELNS1_3gpuE0ELNS1_3repE0EEENS1_30default_config_static_selectorELNS0_4arch9wavefront6targetE1EEEvSI_,comdat
	.protected	_ZN7rocprim17ROCPRIM_400000_NS6detail17trampoline_kernelINS0_14default_configENS1_37merge_sort_block_sort_config_selectorIN3c108BFloat16ElEEZNS1_21merge_sort_block_sortIS3_PS6_S9_N6thrust23THRUST_200600_302600_NS10device_ptrIlEESD_NSB_4lessIS6_EEEE10hipError_tT0_T1_T2_T3_mRjT4_P12ihipStream_tbNS1_7vsmem_tEEUlT_E_NS1_11comp_targetILNS1_3genE0ELNS1_11target_archE4294967295ELNS1_3gpuE0ELNS1_3repE0EEENS1_30default_config_static_selectorELNS0_4arch9wavefront6targetE1EEEvSI_ ; -- Begin function _ZN7rocprim17ROCPRIM_400000_NS6detail17trampoline_kernelINS0_14default_configENS1_37merge_sort_block_sort_config_selectorIN3c108BFloat16ElEEZNS1_21merge_sort_block_sortIS3_PS6_S9_N6thrust23THRUST_200600_302600_NS10device_ptrIlEESD_NSB_4lessIS6_EEEE10hipError_tT0_T1_T2_T3_mRjT4_P12ihipStream_tbNS1_7vsmem_tEEUlT_E_NS1_11comp_targetILNS1_3genE0ELNS1_11target_archE4294967295ELNS1_3gpuE0ELNS1_3repE0EEENS1_30default_config_static_selectorELNS0_4arch9wavefront6targetE1EEEvSI_
	.globl	_ZN7rocprim17ROCPRIM_400000_NS6detail17trampoline_kernelINS0_14default_configENS1_37merge_sort_block_sort_config_selectorIN3c108BFloat16ElEEZNS1_21merge_sort_block_sortIS3_PS6_S9_N6thrust23THRUST_200600_302600_NS10device_ptrIlEESD_NSB_4lessIS6_EEEE10hipError_tT0_T1_T2_T3_mRjT4_P12ihipStream_tbNS1_7vsmem_tEEUlT_E_NS1_11comp_targetILNS1_3genE0ELNS1_11target_archE4294967295ELNS1_3gpuE0ELNS1_3repE0EEENS1_30default_config_static_selectorELNS0_4arch9wavefront6targetE1EEEvSI_
	.p2align	8
	.type	_ZN7rocprim17ROCPRIM_400000_NS6detail17trampoline_kernelINS0_14default_configENS1_37merge_sort_block_sort_config_selectorIN3c108BFloat16ElEEZNS1_21merge_sort_block_sortIS3_PS6_S9_N6thrust23THRUST_200600_302600_NS10device_ptrIlEESD_NSB_4lessIS6_EEEE10hipError_tT0_T1_T2_T3_mRjT4_P12ihipStream_tbNS1_7vsmem_tEEUlT_E_NS1_11comp_targetILNS1_3genE0ELNS1_11target_archE4294967295ELNS1_3gpuE0ELNS1_3repE0EEENS1_30default_config_static_selectorELNS0_4arch9wavefront6targetE1EEEvSI_,@function
_ZN7rocprim17ROCPRIM_400000_NS6detail17trampoline_kernelINS0_14default_configENS1_37merge_sort_block_sort_config_selectorIN3c108BFloat16ElEEZNS1_21merge_sort_block_sortIS3_PS6_S9_N6thrust23THRUST_200600_302600_NS10device_ptrIlEESD_NSB_4lessIS6_EEEE10hipError_tT0_T1_T2_T3_mRjT4_P12ihipStream_tbNS1_7vsmem_tEEUlT_E_NS1_11comp_targetILNS1_3genE0ELNS1_11target_archE4294967295ELNS1_3gpuE0ELNS1_3repE0EEENS1_30default_config_static_selectorELNS0_4arch9wavefront6targetE1EEEvSI_: ; @_ZN7rocprim17ROCPRIM_400000_NS6detail17trampoline_kernelINS0_14default_configENS1_37merge_sort_block_sort_config_selectorIN3c108BFloat16ElEEZNS1_21merge_sort_block_sortIS3_PS6_S9_N6thrust23THRUST_200600_302600_NS10device_ptrIlEESD_NSB_4lessIS6_EEEE10hipError_tT0_T1_T2_T3_mRjT4_P12ihipStream_tbNS1_7vsmem_tEEUlT_E_NS1_11comp_targetILNS1_3genE0ELNS1_11target_archE4294967295ELNS1_3gpuE0ELNS1_3repE0EEENS1_30default_config_static_selectorELNS0_4arch9wavefront6targetE1EEEvSI_
; %bb.0:
	.section	.rodata,"a",@progbits
	.p2align	6, 0x0
	.amdhsa_kernel _ZN7rocprim17ROCPRIM_400000_NS6detail17trampoline_kernelINS0_14default_configENS1_37merge_sort_block_sort_config_selectorIN3c108BFloat16ElEEZNS1_21merge_sort_block_sortIS3_PS6_S9_N6thrust23THRUST_200600_302600_NS10device_ptrIlEESD_NSB_4lessIS6_EEEE10hipError_tT0_T1_T2_T3_mRjT4_P12ihipStream_tbNS1_7vsmem_tEEUlT_E_NS1_11comp_targetILNS1_3genE0ELNS1_11target_archE4294967295ELNS1_3gpuE0ELNS1_3repE0EEENS1_30default_config_static_selectorELNS0_4arch9wavefront6targetE1EEEvSI_
		.amdhsa_group_segment_fixed_size 0
		.amdhsa_private_segment_fixed_size 0
		.amdhsa_kernarg_size 64
		.amdhsa_user_sgpr_count 6
		.amdhsa_user_sgpr_private_segment_buffer 1
		.amdhsa_user_sgpr_dispatch_ptr 0
		.amdhsa_user_sgpr_queue_ptr 0
		.amdhsa_user_sgpr_kernarg_segment_ptr 1
		.amdhsa_user_sgpr_dispatch_id 0
		.amdhsa_user_sgpr_flat_scratch_init 0
		.amdhsa_user_sgpr_private_segment_size 0
		.amdhsa_uses_dynamic_stack 0
		.amdhsa_system_sgpr_private_segment_wavefront_offset 0
		.amdhsa_system_sgpr_workgroup_id_x 1
		.amdhsa_system_sgpr_workgroup_id_y 0
		.amdhsa_system_sgpr_workgroup_id_z 0
		.amdhsa_system_sgpr_workgroup_info 0
		.amdhsa_system_vgpr_workitem_id 0
		.amdhsa_next_free_vgpr 1
		.amdhsa_next_free_sgpr 0
		.amdhsa_reserve_vcc 0
		.amdhsa_reserve_flat_scratch 0
		.amdhsa_float_round_mode_32 0
		.amdhsa_float_round_mode_16_64 0
		.amdhsa_float_denorm_mode_32 3
		.amdhsa_float_denorm_mode_16_64 3
		.amdhsa_dx10_clamp 1
		.amdhsa_ieee_mode 1
		.amdhsa_fp16_overflow 0
		.amdhsa_exception_fp_ieee_invalid_op 0
		.amdhsa_exception_fp_denorm_src 0
		.amdhsa_exception_fp_ieee_div_zero 0
		.amdhsa_exception_fp_ieee_overflow 0
		.amdhsa_exception_fp_ieee_underflow 0
		.amdhsa_exception_fp_ieee_inexact 0
		.amdhsa_exception_int_div_zero 0
	.end_amdhsa_kernel
	.section	.text._ZN7rocprim17ROCPRIM_400000_NS6detail17trampoline_kernelINS0_14default_configENS1_37merge_sort_block_sort_config_selectorIN3c108BFloat16ElEEZNS1_21merge_sort_block_sortIS3_PS6_S9_N6thrust23THRUST_200600_302600_NS10device_ptrIlEESD_NSB_4lessIS6_EEEE10hipError_tT0_T1_T2_T3_mRjT4_P12ihipStream_tbNS1_7vsmem_tEEUlT_E_NS1_11comp_targetILNS1_3genE0ELNS1_11target_archE4294967295ELNS1_3gpuE0ELNS1_3repE0EEENS1_30default_config_static_selectorELNS0_4arch9wavefront6targetE1EEEvSI_,"axG",@progbits,_ZN7rocprim17ROCPRIM_400000_NS6detail17trampoline_kernelINS0_14default_configENS1_37merge_sort_block_sort_config_selectorIN3c108BFloat16ElEEZNS1_21merge_sort_block_sortIS3_PS6_S9_N6thrust23THRUST_200600_302600_NS10device_ptrIlEESD_NSB_4lessIS6_EEEE10hipError_tT0_T1_T2_T3_mRjT4_P12ihipStream_tbNS1_7vsmem_tEEUlT_E_NS1_11comp_targetILNS1_3genE0ELNS1_11target_archE4294967295ELNS1_3gpuE0ELNS1_3repE0EEENS1_30default_config_static_selectorELNS0_4arch9wavefront6targetE1EEEvSI_,comdat
.Lfunc_end1969:
	.size	_ZN7rocprim17ROCPRIM_400000_NS6detail17trampoline_kernelINS0_14default_configENS1_37merge_sort_block_sort_config_selectorIN3c108BFloat16ElEEZNS1_21merge_sort_block_sortIS3_PS6_S9_N6thrust23THRUST_200600_302600_NS10device_ptrIlEESD_NSB_4lessIS6_EEEE10hipError_tT0_T1_T2_T3_mRjT4_P12ihipStream_tbNS1_7vsmem_tEEUlT_E_NS1_11comp_targetILNS1_3genE0ELNS1_11target_archE4294967295ELNS1_3gpuE0ELNS1_3repE0EEENS1_30default_config_static_selectorELNS0_4arch9wavefront6targetE1EEEvSI_, .Lfunc_end1969-_ZN7rocprim17ROCPRIM_400000_NS6detail17trampoline_kernelINS0_14default_configENS1_37merge_sort_block_sort_config_selectorIN3c108BFloat16ElEEZNS1_21merge_sort_block_sortIS3_PS6_S9_N6thrust23THRUST_200600_302600_NS10device_ptrIlEESD_NSB_4lessIS6_EEEE10hipError_tT0_T1_T2_T3_mRjT4_P12ihipStream_tbNS1_7vsmem_tEEUlT_E_NS1_11comp_targetILNS1_3genE0ELNS1_11target_archE4294967295ELNS1_3gpuE0ELNS1_3repE0EEENS1_30default_config_static_selectorELNS0_4arch9wavefront6targetE1EEEvSI_
                                        ; -- End function
	.set _ZN7rocprim17ROCPRIM_400000_NS6detail17trampoline_kernelINS0_14default_configENS1_37merge_sort_block_sort_config_selectorIN3c108BFloat16ElEEZNS1_21merge_sort_block_sortIS3_PS6_S9_N6thrust23THRUST_200600_302600_NS10device_ptrIlEESD_NSB_4lessIS6_EEEE10hipError_tT0_T1_T2_T3_mRjT4_P12ihipStream_tbNS1_7vsmem_tEEUlT_E_NS1_11comp_targetILNS1_3genE0ELNS1_11target_archE4294967295ELNS1_3gpuE0ELNS1_3repE0EEENS1_30default_config_static_selectorELNS0_4arch9wavefront6targetE1EEEvSI_.num_vgpr, 0
	.set _ZN7rocprim17ROCPRIM_400000_NS6detail17trampoline_kernelINS0_14default_configENS1_37merge_sort_block_sort_config_selectorIN3c108BFloat16ElEEZNS1_21merge_sort_block_sortIS3_PS6_S9_N6thrust23THRUST_200600_302600_NS10device_ptrIlEESD_NSB_4lessIS6_EEEE10hipError_tT0_T1_T2_T3_mRjT4_P12ihipStream_tbNS1_7vsmem_tEEUlT_E_NS1_11comp_targetILNS1_3genE0ELNS1_11target_archE4294967295ELNS1_3gpuE0ELNS1_3repE0EEENS1_30default_config_static_selectorELNS0_4arch9wavefront6targetE1EEEvSI_.num_agpr, 0
	.set _ZN7rocprim17ROCPRIM_400000_NS6detail17trampoline_kernelINS0_14default_configENS1_37merge_sort_block_sort_config_selectorIN3c108BFloat16ElEEZNS1_21merge_sort_block_sortIS3_PS6_S9_N6thrust23THRUST_200600_302600_NS10device_ptrIlEESD_NSB_4lessIS6_EEEE10hipError_tT0_T1_T2_T3_mRjT4_P12ihipStream_tbNS1_7vsmem_tEEUlT_E_NS1_11comp_targetILNS1_3genE0ELNS1_11target_archE4294967295ELNS1_3gpuE0ELNS1_3repE0EEENS1_30default_config_static_selectorELNS0_4arch9wavefront6targetE1EEEvSI_.numbered_sgpr, 0
	.set _ZN7rocprim17ROCPRIM_400000_NS6detail17trampoline_kernelINS0_14default_configENS1_37merge_sort_block_sort_config_selectorIN3c108BFloat16ElEEZNS1_21merge_sort_block_sortIS3_PS6_S9_N6thrust23THRUST_200600_302600_NS10device_ptrIlEESD_NSB_4lessIS6_EEEE10hipError_tT0_T1_T2_T3_mRjT4_P12ihipStream_tbNS1_7vsmem_tEEUlT_E_NS1_11comp_targetILNS1_3genE0ELNS1_11target_archE4294967295ELNS1_3gpuE0ELNS1_3repE0EEENS1_30default_config_static_selectorELNS0_4arch9wavefront6targetE1EEEvSI_.num_named_barrier, 0
	.set _ZN7rocprim17ROCPRIM_400000_NS6detail17trampoline_kernelINS0_14default_configENS1_37merge_sort_block_sort_config_selectorIN3c108BFloat16ElEEZNS1_21merge_sort_block_sortIS3_PS6_S9_N6thrust23THRUST_200600_302600_NS10device_ptrIlEESD_NSB_4lessIS6_EEEE10hipError_tT0_T1_T2_T3_mRjT4_P12ihipStream_tbNS1_7vsmem_tEEUlT_E_NS1_11comp_targetILNS1_3genE0ELNS1_11target_archE4294967295ELNS1_3gpuE0ELNS1_3repE0EEENS1_30default_config_static_selectorELNS0_4arch9wavefront6targetE1EEEvSI_.private_seg_size, 0
	.set _ZN7rocprim17ROCPRIM_400000_NS6detail17trampoline_kernelINS0_14default_configENS1_37merge_sort_block_sort_config_selectorIN3c108BFloat16ElEEZNS1_21merge_sort_block_sortIS3_PS6_S9_N6thrust23THRUST_200600_302600_NS10device_ptrIlEESD_NSB_4lessIS6_EEEE10hipError_tT0_T1_T2_T3_mRjT4_P12ihipStream_tbNS1_7vsmem_tEEUlT_E_NS1_11comp_targetILNS1_3genE0ELNS1_11target_archE4294967295ELNS1_3gpuE0ELNS1_3repE0EEENS1_30default_config_static_selectorELNS0_4arch9wavefront6targetE1EEEvSI_.uses_vcc, 0
	.set _ZN7rocprim17ROCPRIM_400000_NS6detail17trampoline_kernelINS0_14default_configENS1_37merge_sort_block_sort_config_selectorIN3c108BFloat16ElEEZNS1_21merge_sort_block_sortIS3_PS6_S9_N6thrust23THRUST_200600_302600_NS10device_ptrIlEESD_NSB_4lessIS6_EEEE10hipError_tT0_T1_T2_T3_mRjT4_P12ihipStream_tbNS1_7vsmem_tEEUlT_E_NS1_11comp_targetILNS1_3genE0ELNS1_11target_archE4294967295ELNS1_3gpuE0ELNS1_3repE0EEENS1_30default_config_static_selectorELNS0_4arch9wavefront6targetE1EEEvSI_.uses_flat_scratch, 0
	.set _ZN7rocprim17ROCPRIM_400000_NS6detail17trampoline_kernelINS0_14default_configENS1_37merge_sort_block_sort_config_selectorIN3c108BFloat16ElEEZNS1_21merge_sort_block_sortIS3_PS6_S9_N6thrust23THRUST_200600_302600_NS10device_ptrIlEESD_NSB_4lessIS6_EEEE10hipError_tT0_T1_T2_T3_mRjT4_P12ihipStream_tbNS1_7vsmem_tEEUlT_E_NS1_11comp_targetILNS1_3genE0ELNS1_11target_archE4294967295ELNS1_3gpuE0ELNS1_3repE0EEENS1_30default_config_static_selectorELNS0_4arch9wavefront6targetE1EEEvSI_.has_dyn_sized_stack, 0
	.set _ZN7rocprim17ROCPRIM_400000_NS6detail17trampoline_kernelINS0_14default_configENS1_37merge_sort_block_sort_config_selectorIN3c108BFloat16ElEEZNS1_21merge_sort_block_sortIS3_PS6_S9_N6thrust23THRUST_200600_302600_NS10device_ptrIlEESD_NSB_4lessIS6_EEEE10hipError_tT0_T1_T2_T3_mRjT4_P12ihipStream_tbNS1_7vsmem_tEEUlT_E_NS1_11comp_targetILNS1_3genE0ELNS1_11target_archE4294967295ELNS1_3gpuE0ELNS1_3repE0EEENS1_30default_config_static_selectorELNS0_4arch9wavefront6targetE1EEEvSI_.has_recursion, 0
	.set _ZN7rocprim17ROCPRIM_400000_NS6detail17trampoline_kernelINS0_14default_configENS1_37merge_sort_block_sort_config_selectorIN3c108BFloat16ElEEZNS1_21merge_sort_block_sortIS3_PS6_S9_N6thrust23THRUST_200600_302600_NS10device_ptrIlEESD_NSB_4lessIS6_EEEE10hipError_tT0_T1_T2_T3_mRjT4_P12ihipStream_tbNS1_7vsmem_tEEUlT_E_NS1_11comp_targetILNS1_3genE0ELNS1_11target_archE4294967295ELNS1_3gpuE0ELNS1_3repE0EEENS1_30default_config_static_selectorELNS0_4arch9wavefront6targetE1EEEvSI_.has_indirect_call, 0
	.section	.AMDGPU.csdata,"",@progbits
; Kernel info:
; codeLenInByte = 0
; TotalNumSgprs: 4
; NumVgprs: 0
; ScratchSize: 0
; MemoryBound: 0
; FloatMode: 240
; IeeeMode: 1
; LDSByteSize: 0 bytes/workgroup (compile time only)
; SGPRBlocks: 0
; VGPRBlocks: 0
; NumSGPRsForWavesPerEU: 4
; NumVGPRsForWavesPerEU: 1
; Occupancy: 10
; WaveLimiterHint : 0
; COMPUTE_PGM_RSRC2:SCRATCH_EN: 0
; COMPUTE_PGM_RSRC2:USER_SGPR: 6
; COMPUTE_PGM_RSRC2:TRAP_HANDLER: 0
; COMPUTE_PGM_RSRC2:TGID_X_EN: 1
; COMPUTE_PGM_RSRC2:TGID_Y_EN: 0
; COMPUTE_PGM_RSRC2:TGID_Z_EN: 0
; COMPUTE_PGM_RSRC2:TIDIG_COMP_CNT: 0
	.section	.text._ZN7rocprim17ROCPRIM_400000_NS6detail17trampoline_kernelINS0_14default_configENS1_37merge_sort_block_sort_config_selectorIN3c108BFloat16ElEEZNS1_21merge_sort_block_sortIS3_PS6_S9_N6thrust23THRUST_200600_302600_NS10device_ptrIlEESD_NSB_4lessIS6_EEEE10hipError_tT0_T1_T2_T3_mRjT4_P12ihipStream_tbNS1_7vsmem_tEEUlT_E_NS1_11comp_targetILNS1_3genE5ELNS1_11target_archE942ELNS1_3gpuE9ELNS1_3repE0EEENS1_30default_config_static_selectorELNS0_4arch9wavefront6targetE1EEEvSI_,"axG",@progbits,_ZN7rocprim17ROCPRIM_400000_NS6detail17trampoline_kernelINS0_14default_configENS1_37merge_sort_block_sort_config_selectorIN3c108BFloat16ElEEZNS1_21merge_sort_block_sortIS3_PS6_S9_N6thrust23THRUST_200600_302600_NS10device_ptrIlEESD_NSB_4lessIS6_EEEE10hipError_tT0_T1_T2_T3_mRjT4_P12ihipStream_tbNS1_7vsmem_tEEUlT_E_NS1_11comp_targetILNS1_3genE5ELNS1_11target_archE942ELNS1_3gpuE9ELNS1_3repE0EEENS1_30default_config_static_selectorELNS0_4arch9wavefront6targetE1EEEvSI_,comdat
	.protected	_ZN7rocprim17ROCPRIM_400000_NS6detail17trampoline_kernelINS0_14default_configENS1_37merge_sort_block_sort_config_selectorIN3c108BFloat16ElEEZNS1_21merge_sort_block_sortIS3_PS6_S9_N6thrust23THRUST_200600_302600_NS10device_ptrIlEESD_NSB_4lessIS6_EEEE10hipError_tT0_T1_T2_T3_mRjT4_P12ihipStream_tbNS1_7vsmem_tEEUlT_E_NS1_11comp_targetILNS1_3genE5ELNS1_11target_archE942ELNS1_3gpuE9ELNS1_3repE0EEENS1_30default_config_static_selectorELNS0_4arch9wavefront6targetE1EEEvSI_ ; -- Begin function _ZN7rocprim17ROCPRIM_400000_NS6detail17trampoline_kernelINS0_14default_configENS1_37merge_sort_block_sort_config_selectorIN3c108BFloat16ElEEZNS1_21merge_sort_block_sortIS3_PS6_S9_N6thrust23THRUST_200600_302600_NS10device_ptrIlEESD_NSB_4lessIS6_EEEE10hipError_tT0_T1_T2_T3_mRjT4_P12ihipStream_tbNS1_7vsmem_tEEUlT_E_NS1_11comp_targetILNS1_3genE5ELNS1_11target_archE942ELNS1_3gpuE9ELNS1_3repE0EEENS1_30default_config_static_selectorELNS0_4arch9wavefront6targetE1EEEvSI_
	.globl	_ZN7rocprim17ROCPRIM_400000_NS6detail17trampoline_kernelINS0_14default_configENS1_37merge_sort_block_sort_config_selectorIN3c108BFloat16ElEEZNS1_21merge_sort_block_sortIS3_PS6_S9_N6thrust23THRUST_200600_302600_NS10device_ptrIlEESD_NSB_4lessIS6_EEEE10hipError_tT0_T1_T2_T3_mRjT4_P12ihipStream_tbNS1_7vsmem_tEEUlT_E_NS1_11comp_targetILNS1_3genE5ELNS1_11target_archE942ELNS1_3gpuE9ELNS1_3repE0EEENS1_30default_config_static_selectorELNS0_4arch9wavefront6targetE1EEEvSI_
	.p2align	8
	.type	_ZN7rocprim17ROCPRIM_400000_NS6detail17trampoline_kernelINS0_14default_configENS1_37merge_sort_block_sort_config_selectorIN3c108BFloat16ElEEZNS1_21merge_sort_block_sortIS3_PS6_S9_N6thrust23THRUST_200600_302600_NS10device_ptrIlEESD_NSB_4lessIS6_EEEE10hipError_tT0_T1_T2_T3_mRjT4_P12ihipStream_tbNS1_7vsmem_tEEUlT_E_NS1_11comp_targetILNS1_3genE5ELNS1_11target_archE942ELNS1_3gpuE9ELNS1_3repE0EEENS1_30default_config_static_selectorELNS0_4arch9wavefront6targetE1EEEvSI_,@function
_ZN7rocprim17ROCPRIM_400000_NS6detail17trampoline_kernelINS0_14default_configENS1_37merge_sort_block_sort_config_selectorIN3c108BFloat16ElEEZNS1_21merge_sort_block_sortIS3_PS6_S9_N6thrust23THRUST_200600_302600_NS10device_ptrIlEESD_NSB_4lessIS6_EEEE10hipError_tT0_T1_T2_T3_mRjT4_P12ihipStream_tbNS1_7vsmem_tEEUlT_E_NS1_11comp_targetILNS1_3genE5ELNS1_11target_archE942ELNS1_3gpuE9ELNS1_3repE0EEENS1_30default_config_static_selectorELNS0_4arch9wavefront6targetE1EEEvSI_: ; @_ZN7rocprim17ROCPRIM_400000_NS6detail17trampoline_kernelINS0_14default_configENS1_37merge_sort_block_sort_config_selectorIN3c108BFloat16ElEEZNS1_21merge_sort_block_sortIS3_PS6_S9_N6thrust23THRUST_200600_302600_NS10device_ptrIlEESD_NSB_4lessIS6_EEEE10hipError_tT0_T1_T2_T3_mRjT4_P12ihipStream_tbNS1_7vsmem_tEEUlT_E_NS1_11comp_targetILNS1_3genE5ELNS1_11target_archE942ELNS1_3gpuE9ELNS1_3repE0EEENS1_30default_config_static_selectorELNS0_4arch9wavefront6targetE1EEEvSI_
; %bb.0:
	.section	.rodata,"a",@progbits
	.p2align	6, 0x0
	.amdhsa_kernel _ZN7rocprim17ROCPRIM_400000_NS6detail17trampoline_kernelINS0_14default_configENS1_37merge_sort_block_sort_config_selectorIN3c108BFloat16ElEEZNS1_21merge_sort_block_sortIS3_PS6_S9_N6thrust23THRUST_200600_302600_NS10device_ptrIlEESD_NSB_4lessIS6_EEEE10hipError_tT0_T1_T2_T3_mRjT4_P12ihipStream_tbNS1_7vsmem_tEEUlT_E_NS1_11comp_targetILNS1_3genE5ELNS1_11target_archE942ELNS1_3gpuE9ELNS1_3repE0EEENS1_30default_config_static_selectorELNS0_4arch9wavefront6targetE1EEEvSI_
		.amdhsa_group_segment_fixed_size 0
		.amdhsa_private_segment_fixed_size 0
		.amdhsa_kernarg_size 64
		.amdhsa_user_sgpr_count 6
		.amdhsa_user_sgpr_private_segment_buffer 1
		.amdhsa_user_sgpr_dispatch_ptr 0
		.amdhsa_user_sgpr_queue_ptr 0
		.amdhsa_user_sgpr_kernarg_segment_ptr 1
		.amdhsa_user_sgpr_dispatch_id 0
		.amdhsa_user_sgpr_flat_scratch_init 0
		.amdhsa_user_sgpr_private_segment_size 0
		.amdhsa_uses_dynamic_stack 0
		.amdhsa_system_sgpr_private_segment_wavefront_offset 0
		.amdhsa_system_sgpr_workgroup_id_x 1
		.amdhsa_system_sgpr_workgroup_id_y 0
		.amdhsa_system_sgpr_workgroup_id_z 0
		.amdhsa_system_sgpr_workgroup_info 0
		.amdhsa_system_vgpr_workitem_id 0
		.amdhsa_next_free_vgpr 1
		.amdhsa_next_free_sgpr 0
		.amdhsa_reserve_vcc 0
		.amdhsa_reserve_flat_scratch 0
		.amdhsa_float_round_mode_32 0
		.amdhsa_float_round_mode_16_64 0
		.amdhsa_float_denorm_mode_32 3
		.amdhsa_float_denorm_mode_16_64 3
		.amdhsa_dx10_clamp 1
		.amdhsa_ieee_mode 1
		.amdhsa_fp16_overflow 0
		.amdhsa_exception_fp_ieee_invalid_op 0
		.amdhsa_exception_fp_denorm_src 0
		.amdhsa_exception_fp_ieee_div_zero 0
		.amdhsa_exception_fp_ieee_overflow 0
		.amdhsa_exception_fp_ieee_underflow 0
		.amdhsa_exception_fp_ieee_inexact 0
		.amdhsa_exception_int_div_zero 0
	.end_amdhsa_kernel
	.section	.text._ZN7rocprim17ROCPRIM_400000_NS6detail17trampoline_kernelINS0_14default_configENS1_37merge_sort_block_sort_config_selectorIN3c108BFloat16ElEEZNS1_21merge_sort_block_sortIS3_PS6_S9_N6thrust23THRUST_200600_302600_NS10device_ptrIlEESD_NSB_4lessIS6_EEEE10hipError_tT0_T1_T2_T3_mRjT4_P12ihipStream_tbNS1_7vsmem_tEEUlT_E_NS1_11comp_targetILNS1_3genE5ELNS1_11target_archE942ELNS1_3gpuE9ELNS1_3repE0EEENS1_30default_config_static_selectorELNS0_4arch9wavefront6targetE1EEEvSI_,"axG",@progbits,_ZN7rocprim17ROCPRIM_400000_NS6detail17trampoline_kernelINS0_14default_configENS1_37merge_sort_block_sort_config_selectorIN3c108BFloat16ElEEZNS1_21merge_sort_block_sortIS3_PS6_S9_N6thrust23THRUST_200600_302600_NS10device_ptrIlEESD_NSB_4lessIS6_EEEE10hipError_tT0_T1_T2_T3_mRjT4_P12ihipStream_tbNS1_7vsmem_tEEUlT_E_NS1_11comp_targetILNS1_3genE5ELNS1_11target_archE942ELNS1_3gpuE9ELNS1_3repE0EEENS1_30default_config_static_selectorELNS0_4arch9wavefront6targetE1EEEvSI_,comdat
.Lfunc_end1970:
	.size	_ZN7rocprim17ROCPRIM_400000_NS6detail17trampoline_kernelINS0_14default_configENS1_37merge_sort_block_sort_config_selectorIN3c108BFloat16ElEEZNS1_21merge_sort_block_sortIS3_PS6_S9_N6thrust23THRUST_200600_302600_NS10device_ptrIlEESD_NSB_4lessIS6_EEEE10hipError_tT0_T1_T2_T3_mRjT4_P12ihipStream_tbNS1_7vsmem_tEEUlT_E_NS1_11comp_targetILNS1_3genE5ELNS1_11target_archE942ELNS1_3gpuE9ELNS1_3repE0EEENS1_30default_config_static_selectorELNS0_4arch9wavefront6targetE1EEEvSI_, .Lfunc_end1970-_ZN7rocprim17ROCPRIM_400000_NS6detail17trampoline_kernelINS0_14default_configENS1_37merge_sort_block_sort_config_selectorIN3c108BFloat16ElEEZNS1_21merge_sort_block_sortIS3_PS6_S9_N6thrust23THRUST_200600_302600_NS10device_ptrIlEESD_NSB_4lessIS6_EEEE10hipError_tT0_T1_T2_T3_mRjT4_P12ihipStream_tbNS1_7vsmem_tEEUlT_E_NS1_11comp_targetILNS1_3genE5ELNS1_11target_archE942ELNS1_3gpuE9ELNS1_3repE0EEENS1_30default_config_static_selectorELNS0_4arch9wavefront6targetE1EEEvSI_
                                        ; -- End function
	.set _ZN7rocprim17ROCPRIM_400000_NS6detail17trampoline_kernelINS0_14default_configENS1_37merge_sort_block_sort_config_selectorIN3c108BFloat16ElEEZNS1_21merge_sort_block_sortIS3_PS6_S9_N6thrust23THRUST_200600_302600_NS10device_ptrIlEESD_NSB_4lessIS6_EEEE10hipError_tT0_T1_T2_T3_mRjT4_P12ihipStream_tbNS1_7vsmem_tEEUlT_E_NS1_11comp_targetILNS1_3genE5ELNS1_11target_archE942ELNS1_3gpuE9ELNS1_3repE0EEENS1_30default_config_static_selectorELNS0_4arch9wavefront6targetE1EEEvSI_.num_vgpr, 0
	.set _ZN7rocprim17ROCPRIM_400000_NS6detail17trampoline_kernelINS0_14default_configENS1_37merge_sort_block_sort_config_selectorIN3c108BFloat16ElEEZNS1_21merge_sort_block_sortIS3_PS6_S9_N6thrust23THRUST_200600_302600_NS10device_ptrIlEESD_NSB_4lessIS6_EEEE10hipError_tT0_T1_T2_T3_mRjT4_P12ihipStream_tbNS1_7vsmem_tEEUlT_E_NS1_11comp_targetILNS1_3genE5ELNS1_11target_archE942ELNS1_3gpuE9ELNS1_3repE0EEENS1_30default_config_static_selectorELNS0_4arch9wavefront6targetE1EEEvSI_.num_agpr, 0
	.set _ZN7rocprim17ROCPRIM_400000_NS6detail17trampoline_kernelINS0_14default_configENS1_37merge_sort_block_sort_config_selectorIN3c108BFloat16ElEEZNS1_21merge_sort_block_sortIS3_PS6_S9_N6thrust23THRUST_200600_302600_NS10device_ptrIlEESD_NSB_4lessIS6_EEEE10hipError_tT0_T1_T2_T3_mRjT4_P12ihipStream_tbNS1_7vsmem_tEEUlT_E_NS1_11comp_targetILNS1_3genE5ELNS1_11target_archE942ELNS1_3gpuE9ELNS1_3repE0EEENS1_30default_config_static_selectorELNS0_4arch9wavefront6targetE1EEEvSI_.numbered_sgpr, 0
	.set _ZN7rocprim17ROCPRIM_400000_NS6detail17trampoline_kernelINS0_14default_configENS1_37merge_sort_block_sort_config_selectorIN3c108BFloat16ElEEZNS1_21merge_sort_block_sortIS3_PS6_S9_N6thrust23THRUST_200600_302600_NS10device_ptrIlEESD_NSB_4lessIS6_EEEE10hipError_tT0_T1_T2_T3_mRjT4_P12ihipStream_tbNS1_7vsmem_tEEUlT_E_NS1_11comp_targetILNS1_3genE5ELNS1_11target_archE942ELNS1_3gpuE9ELNS1_3repE0EEENS1_30default_config_static_selectorELNS0_4arch9wavefront6targetE1EEEvSI_.num_named_barrier, 0
	.set _ZN7rocprim17ROCPRIM_400000_NS6detail17trampoline_kernelINS0_14default_configENS1_37merge_sort_block_sort_config_selectorIN3c108BFloat16ElEEZNS1_21merge_sort_block_sortIS3_PS6_S9_N6thrust23THRUST_200600_302600_NS10device_ptrIlEESD_NSB_4lessIS6_EEEE10hipError_tT0_T1_T2_T3_mRjT4_P12ihipStream_tbNS1_7vsmem_tEEUlT_E_NS1_11comp_targetILNS1_3genE5ELNS1_11target_archE942ELNS1_3gpuE9ELNS1_3repE0EEENS1_30default_config_static_selectorELNS0_4arch9wavefront6targetE1EEEvSI_.private_seg_size, 0
	.set _ZN7rocprim17ROCPRIM_400000_NS6detail17trampoline_kernelINS0_14default_configENS1_37merge_sort_block_sort_config_selectorIN3c108BFloat16ElEEZNS1_21merge_sort_block_sortIS3_PS6_S9_N6thrust23THRUST_200600_302600_NS10device_ptrIlEESD_NSB_4lessIS6_EEEE10hipError_tT0_T1_T2_T3_mRjT4_P12ihipStream_tbNS1_7vsmem_tEEUlT_E_NS1_11comp_targetILNS1_3genE5ELNS1_11target_archE942ELNS1_3gpuE9ELNS1_3repE0EEENS1_30default_config_static_selectorELNS0_4arch9wavefront6targetE1EEEvSI_.uses_vcc, 0
	.set _ZN7rocprim17ROCPRIM_400000_NS6detail17trampoline_kernelINS0_14default_configENS1_37merge_sort_block_sort_config_selectorIN3c108BFloat16ElEEZNS1_21merge_sort_block_sortIS3_PS6_S9_N6thrust23THRUST_200600_302600_NS10device_ptrIlEESD_NSB_4lessIS6_EEEE10hipError_tT0_T1_T2_T3_mRjT4_P12ihipStream_tbNS1_7vsmem_tEEUlT_E_NS1_11comp_targetILNS1_3genE5ELNS1_11target_archE942ELNS1_3gpuE9ELNS1_3repE0EEENS1_30default_config_static_selectorELNS0_4arch9wavefront6targetE1EEEvSI_.uses_flat_scratch, 0
	.set _ZN7rocprim17ROCPRIM_400000_NS6detail17trampoline_kernelINS0_14default_configENS1_37merge_sort_block_sort_config_selectorIN3c108BFloat16ElEEZNS1_21merge_sort_block_sortIS3_PS6_S9_N6thrust23THRUST_200600_302600_NS10device_ptrIlEESD_NSB_4lessIS6_EEEE10hipError_tT0_T1_T2_T3_mRjT4_P12ihipStream_tbNS1_7vsmem_tEEUlT_E_NS1_11comp_targetILNS1_3genE5ELNS1_11target_archE942ELNS1_3gpuE9ELNS1_3repE0EEENS1_30default_config_static_selectorELNS0_4arch9wavefront6targetE1EEEvSI_.has_dyn_sized_stack, 0
	.set _ZN7rocprim17ROCPRIM_400000_NS6detail17trampoline_kernelINS0_14default_configENS1_37merge_sort_block_sort_config_selectorIN3c108BFloat16ElEEZNS1_21merge_sort_block_sortIS3_PS6_S9_N6thrust23THRUST_200600_302600_NS10device_ptrIlEESD_NSB_4lessIS6_EEEE10hipError_tT0_T1_T2_T3_mRjT4_P12ihipStream_tbNS1_7vsmem_tEEUlT_E_NS1_11comp_targetILNS1_3genE5ELNS1_11target_archE942ELNS1_3gpuE9ELNS1_3repE0EEENS1_30default_config_static_selectorELNS0_4arch9wavefront6targetE1EEEvSI_.has_recursion, 0
	.set _ZN7rocprim17ROCPRIM_400000_NS6detail17trampoline_kernelINS0_14default_configENS1_37merge_sort_block_sort_config_selectorIN3c108BFloat16ElEEZNS1_21merge_sort_block_sortIS3_PS6_S9_N6thrust23THRUST_200600_302600_NS10device_ptrIlEESD_NSB_4lessIS6_EEEE10hipError_tT0_T1_T2_T3_mRjT4_P12ihipStream_tbNS1_7vsmem_tEEUlT_E_NS1_11comp_targetILNS1_3genE5ELNS1_11target_archE942ELNS1_3gpuE9ELNS1_3repE0EEENS1_30default_config_static_selectorELNS0_4arch9wavefront6targetE1EEEvSI_.has_indirect_call, 0
	.section	.AMDGPU.csdata,"",@progbits
; Kernel info:
; codeLenInByte = 0
; TotalNumSgprs: 4
; NumVgprs: 0
; ScratchSize: 0
; MemoryBound: 0
; FloatMode: 240
; IeeeMode: 1
; LDSByteSize: 0 bytes/workgroup (compile time only)
; SGPRBlocks: 0
; VGPRBlocks: 0
; NumSGPRsForWavesPerEU: 4
; NumVGPRsForWavesPerEU: 1
; Occupancy: 10
; WaveLimiterHint : 0
; COMPUTE_PGM_RSRC2:SCRATCH_EN: 0
; COMPUTE_PGM_RSRC2:USER_SGPR: 6
; COMPUTE_PGM_RSRC2:TRAP_HANDLER: 0
; COMPUTE_PGM_RSRC2:TGID_X_EN: 1
; COMPUTE_PGM_RSRC2:TGID_Y_EN: 0
; COMPUTE_PGM_RSRC2:TGID_Z_EN: 0
; COMPUTE_PGM_RSRC2:TIDIG_COMP_CNT: 0
	.section	.text._ZN7rocprim17ROCPRIM_400000_NS6detail17trampoline_kernelINS0_14default_configENS1_37merge_sort_block_sort_config_selectorIN3c108BFloat16ElEEZNS1_21merge_sort_block_sortIS3_PS6_S9_N6thrust23THRUST_200600_302600_NS10device_ptrIlEESD_NSB_4lessIS6_EEEE10hipError_tT0_T1_T2_T3_mRjT4_P12ihipStream_tbNS1_7vsmem_tEEUlT_E_NS1_11comp_targetILNS1_3genE4ELNS1_11target_archE910ELNS1_3gpuE8ELNS1_3repE0EEENS1_30default_config_static_selectorELNS0_4arch9wavefront6targetE1EEEvSI_,"axG",@progbits,_ZN7rocprim17ROCPRIM_400000_NS6detail17trampoline_kernelINS0_14default_configENS1_37merge_sort_block_sort_config_selectorIN3c108BFloat16ElEEZNS1_21merge_sort_block_sortIS3_PS6_S9_N6thrust23THRUST_200600_302600_NS10device_ptrIlEESD_NSB_4lessIS6_EEEE10hipError_tT0_T1_T2_T3_mRjT4_P12ihipStream_tbNS1_7vsmem_tEEUlT_E_NS1_11comp_targetILNS1_3genE4ELNS1_11target_archE910ELNS1_3gpuE8ELNS1_3repE0EEENS1_30default_config_static_selectorELNS0_4arch9wavefront6targetE1EEEvSI_,comdat
	.protected	_ZN7rocprim17ROCPRIM_400000_NS6detail17trampoline_kernelINS0_14default_configENS1_37merge_sort_block_sort_config_selectorIN3c108BFloat16ElEEZNS1_21merge_sort_block_sortIS3_PS6_S9_N6thrust23THRUST_200600_302600_NS10device_ptrIlEESD_NSB_4lessIS6_EEEE10hipError_tT0_T1_T2_T3_mRjT4_P12ihipStream_tbNS1_7vsmem_tEEUlT_E_NS1_11comp_targetILNS1_3genE4ELNS1_11target_archE910ELNS1_3gpuE8ELNS1_3repE0EEENS1_30default_config_static_selectorELNS0_4arch9wavefront6targetE1EEEvSI_ ; -- Begin function _ZN7rocprim17ROCPRIM_400000_NS6detail17trampoline_kernelINS0_14default_configENS1_37merge_sort_block_sort_config_selectorIN3c108BFloat16ElEEZNS1_21merge_sort_block_sortIS3_PS6_S9_N6thrust23THRUST_200600_302600_NS10device_ptrIlEESD_NSB_4lessIS6_EEEE10hipError_tT0_T1_T2_T3_mRjT4_P12ihipStream_tbNS1_7vsmem_tEEUlT_E_NS1_11comp_targetILNS1_3genE4ELNS1_11target_archE910ELNS1_3gpuE8ELNS1_3repE0EEENS1_30default_config_static_selectorELNS0_4arch9wavefront6targetE1EEEvSI_
	.globl	_ZN7rocprim17ROCPRIM_400000_NS6detail17trampoline_kernelINS0_14default_configENS1_37merge_sort_block_sort_config_selectorIN3c108BFloat16ElEEZNS1_21merge_sort_block_sortIS3_PS6_S9_N6thrust23THRUST_200600_302600_NS10device_ptrIlEESD_NSB_4lessIS6_EEEE10hipError_tT0_T1_T2_T3_mRjT4_P12ihipStream_tbNS1_7vsmem_tEEUlT_E_NS1_11comp_targetILNS1_3genE4ELNS1_11target_archE910ELNS1_3gpuE8ELNS1_3repE0EEENS1_30default_config_static_selectorELNS0_4arch9wavefront6targetE1EEEvSI_
	.p2align	8
	.type	_ZN7rocprim17ROCPRIM_400000_NS6detail17trampoline_kernelINS0_14default_configENS1_37merge_sort_block_sort_config_selectorIN3c108BFloat16ElEEZNS1_21merge_sort_block_sortIS3_PS6_S9_N6thrust23THRUST_200600_302600_NS10device_ptrIlEESD_NSB_4lessIS6_EEEE10hipError_tT0_T1_T2_T3_mRjT4_P12ihipStream_tbNS1_7vsmem_tEEUlT_E_NS1_11comp_targetILNS1_3genE4ELNS1_11target_archE910ELNS1_3gpuE8ELNS1_3repE0EEENS1_30default_config_static_selectorELNS0_4arch9wavefront6targetE1EEEvSI_,@function
_ZN7rocprim17ROCPRIM_400000_NS6detail17trampoline_kernelINS0_14default_configENS1_37merge_sort_block_sort_config_selectorIN3c108BFloat16ElEEZNS1_21merge_sort_block_sortIS3_PS6_S9_N6thrust23THRUST_200600_302600_NS10device_ptrIlEESD_NSB_4lessIS6_EEEE10hipError_tT0_T1_T2_T3_mRjT4_P12ihipStream_tbNS1_7vsmem_tEEUlT_E_NS1_11comp_targetILNS1_3genE4ELNS1_11target_archE910ELNS1_3gpuE8ELNS1_3repE0EEENS1_30default_config_static_selectorELNS0_4arch9wavefront6targetE1EEEvSI_: ; @_ZN7rocprim17ROCPRIM_400000_NS6detail17trampoline_kernelINS0_14default_configENS1_37merge_sort_block_sort_config_selectorIN3c108BFloat16ElEEZNS1_21merge_sort_block_sortIS3_PS6_S9_N6thrust23THRUST_200600_302600_NS10device_ptrIlEESD_NSB_4lessIS6_EEEE10hipError_tT0_T1_T2_T3_mRjT4_P12ihipStream_tbNS1_7vsmem_tEEUlT_E_NS1_11comp_targetILNS1_3genE4ELNS1_11target_archE910ELNS1_3gpuE8ELNS1_3repE0EEENS1_30default_config_static_selectorELNS0_4arch9wavefront6targetE1EEEvSI_
; %bb.0:
	.section	.rodata,"a",@progbits
	.p2align	6, 0x0
	.amdhsa_kernel _ZN7rocprim17ROCPRIM_400000_NS6detail17trampoline_kernelINS0_14default_configENS1_37merge_sort_block_sort_config_selectorIN3c108BFloat16ElEEZNS1_21merge_sort_block_sortIS3_PS6_S9_N6thrust23THRUST_200600_302600_NS10device_ptrIlEESD_NSB_4lessIS6_EEEE10hipError_tT0_T1_T2_T3_mRjT4_P12ihipStream_tbNS1_7vsmem_tEEUlT_E_NS1_11comp_targetILNS1_3genE4ELNS1_11target_archE910ELNS1_3gpuE8ELNS1_3repE0EEENS1_30default_config_static_selectorELNS0_4arch9wavefront6targetE1EEEvSI_
		.amdhsa_group_segment_fixed_size 0
		.amdhsa_private_segment_fixed_size 0
		.amdhsa_kernarg_size 64
		.amdhsa_user_sgpr_count 6
		.amdhsa_user_sgpr_private_segment_buffer 1
		.amdhsa_user_sgpr_dispatch_ptr 0
		.amdhsa_user_sgpr_queue_ptr 0
		.amdhsa_user_sgpr_kernarg_segment_ptr 1
		.amdhsa_user_sgpr_dispatch_id 0
		.amdhsa_user_sgpr_flat_scratch_init 0
		.amdhsa_user_sgpr_private_segment_size 0
		.amdhsa_uses_dynamic_stack 0
		.amdhsa_system_sgpr_private_segment_wavefront_offset 0
		.amdhsa_system_sgpr_workgroup_id_x 1
		.amdhsa_system_sgpr_workgroup_id_y 0
		.amdhsa_system_sgpr_workgroup_id_z 0
		.amdhsa_system_sgpr_workgroup_info 0
		.amdhsa_system_vgpr_workitem_id 0
		.amdhsa_next_free_vgpr 1
		.amdhsa_next_free_sgpr 0
		.amdhsa_reserve_vcc 0
		.amdhsa_reserve_flat_scratch 0
		.amdhsa_float_round_mode_32 0
		.amdhsa_float_round_mode_16_64 0
		.amdhsa_float_denorm_mode_32 3
		.amdhsa_float_denorm_mode_16_64 3
		.amdhsa_dx10_clamp 1
		.amdhsa_ieee_mode 1
		.amdhsa_fp16_overflow 0
		.amdhsa_exception_fp_ieee_invalid_op 0
		.amdhsa_exception_fp_denorm_src 0
		.amdhsa_exception_fp_ieee_div_zero 0
		.amdhsa_exception_fp_ieee_overflow 0
		.amdhsa_exception_fp_ieee_underflow 0
		.amdhsa_exception_fp_ieee_inexact 0
		.amdhsa_exception_int_div_zero 0
	.end_amdhsa_kernel
	.section	.text._ZN7rocprim17ROCPRIM_400000_NS6detail17trampoline_kernelINS0_14default_configENS1_37merge_sort_block_sort_config_selectorIN3c108BFloat16ElEEZNS1_21merge_sort_block_sortIS3_PS6_S9_N6thrust23THRUST_200600_302600_NS10device_ptrIlEESD_NSB_4lessIS6_EEEE10hipError_tT0_T1_T2_T3_mRjT4_P12ihipStream_tbNS1_7vsmem_tEEUlT_E_NS1_11comp_targetILNS1_3genE4ELNS1_11target_archE910ELNS1_3gpuE8ELNS1_3repE0EEENS1_30default_config_static_selectorELNS0_4arch9wavefront6targetE1EEEvSI_,"axG",@progbits,_ZN7rocprim17ROCPRIM_400000_NS6detail17trampoline_kernelINS0_14default_configENS1_37merge_sort_block_sort_config_selectorIN3c108BFloat16ElEEZNS1_21merge_sort_block_sortIS3_PS6_S9_N6thrust23THRUST_200600_302600_NS10device_ptrIlEESD_NSB_4lessIS6_EEEE10hipError_tT0_T1_T2_T3_mRjT4_P12ihipStream_tbNS1_7vsmem_tEEUlT_E_NS1_11comp_targetILNS1_3genE4ELNS1_11target_archE910ELNS1_3gpuE8ELNS1_3repE0EEENS1_30default_config_static_selectorELNS0_4arch9wavefront6targetE1EEEvSI_,comdat
.Lfunc_end1971:
	.size	_ZN7rocprim17ROCPRIM_400000_NS6detail17trampoline_kernelINS0_14default_configENS1_37merge_sort_block_sort_config_selectorIN3c108BFloat16ElEEZNS1_21merge_sort_block_sortIS3_PS6_S9_N6thrust23THRUST_200600_302600_NS10device_ptrIlEESD_NSB_4lessIS6_EEEE10hipError_tT0_T1_T2_T3_mRjT4_P12ihipStream_tbNS1_7vsmem_tEEUlT_E_NS1_11comp_targetILNS1_3genE4ELNS1_11target_archE910ELNS1_3gpuE8ELNS1_3repE0EEENS1_30default_config_static_selectorELNS0_4arch9wavefront6targetE1EEEvSI_, .Lfunc_end1971-_ZN7rocprim17ROCPRIM_400000_NS6detail17trampoline_kernelINS0_14default_configENS1_37merge_sort_block_sort_config_selectorIN3c108BFloat16ElEEZNS1_21merge_sort_block_sortIS3_PS6_S9_N6thrust23THRUST_200600_302600_NS10device_ptrIlEESD_NSB_4lessIS6_EEEE10hipError_tT0_T1_T2_T3_mRjT4_P12ihipStream_tbNS1_7vsmem_tEEUlT_E_NS1_11comp_targetILNS1_3genE4ELNS1_11target_archE910ELNS1_3gpuE8ELNS1_3repE0EEENS1_30default_config_static_selectorELNS0_4arch9wavefront6targetE1EEEvSI_
                                        ; -- End function
	.set _ZN7rocprim17ROCPRIM_400000_NS6detail17trampoline_kernelINS0_14default_configENS1_37merge_sort_block_sort_config_selectorIN3c108BFloat16ElEEZNS1_21merge_sort_block_sortIS3_PS6_S9_N6thrust23THRUST_200600_302600_NS10device_ptrIlEESD_NSB_4lessIS6_EEEE10hipError_tT0_T1_T2_T3_mRjT4_P12ihipStream_tbNS1_7vsmem_tEEUlT_E_NS1_11comp_targetILNS1_3genE4ELNS1_11target_archE910ELNS1_3gpuE8ELNS1_3repE0EEENS1_30default_config_static_selectorELNS0_4arch9wavefront6targetE1EEEvSI_.num_vgpr, 0
	.set _ZN7rocprim17ROCPRIM_400000_NS6detail17trampoline_kernelINS0_14default_configENS1_37merge_sort_block_sort_config_selectorIN3c108BFloat16ElEEZNS1_21merge_sort_block_sortIS3_PS6_S9_N6thrust23THRUST_200600_302600_NS10device_ptrIlEESD_NSB_4lessIS6_EEEE10hipError_tT0_T1_T2_T3_mRjT4_P12ihipStream_tbNS1_7vsmem_tEEUlT_E_NS1_11comp_targetILNS1_3genE4ELNS1_11target_archE910ELNS1_3gpuE8ELNS1_3repE0EEENS1_30default_config_static_selectorELNS0_4arch9wavefront6targetE1EEEvSI_.num_agpr, 0
	.set _ZN7rocprim17ROCPRIM_400000_NS6detail17trampoline_kernelINS0_14default_configENS1_37merge_sort_block_sort_config_selectorIN3c108BFloat16ElEEZNS1_21merge_sort_block_sortIS3_PS6_S9_N6thrust23THRUST_200600_302600_NS10device_ptrIlEESD_NSB_4lessIS6_EEEE10hipError_tT0_T1_T2_T3_mRjT4_P12ihipStream_tbNS1_7vsmem_tEEUlT_E_NS1_11comp_targetILNS1_3genE4ELNS1_11target_archE910ELNS1_3gpuE8ELNS1_3repE0EEENS1_30default_config_static_selectorELNS0_4arch9wavefront6targetE1EEEvSI_.numbered_sgpr, 0
	.set _ZN7rocprim17ROCPRIM_400000_NS6detail17trampoline_kernelINS0_14default_configENS1_37merge_sort_block_sort_config_selectorIN3c108BFloat16ElEEZNS1_21merge_sort_block_sortIS3_PS6_S9_N6thrust23THRUST_200600_302600_NS10device_ptrIlEESD_NSB_4lessIS6_EEEE10hipError_tT0_T1_T2_T3_mRjT4_P12ihipStream_tbNS1_7vsmem_tEEUlT_E_NS1_11comp_targetILNS1_3genE4ELNS1_11target_archE910ELNS1_3gpuE8ELNS1_3repE0EEENS1_30default_config_static_selectorELNS0_4arch9wavefront6targetE1EEEvSI_.num_named_barrier, 0
	.set _ZN7rocprim17ROCPRIM_400000_NS6detail17trampoline_kernelINS0_14default_configENS1_37merge_sort_block_sort_config_selectorIN3c108BFloat16ElEEZNS1_21merge_sort_block_sortIS3_PS6_S9_N6thrust23THRUST_200600_302600_NS10device_ptrIlEESD_NSB_4lessIS6_EEEE10hipError_tT0_T1_T2_T3_mRjT4_P12ihipStream_tbNS1_7vsmem_tEEUlT_E_NS1_11comp_targetILNS1_3genE4ELNS1_11target_archE910ELNS1_3gpuE8ELNS1_3repE0EEENS1_30default_config_static_selectorELNS0_4arch9wavefront6targetE1EEEvSI_.private_seg_size, 0
	.set _ZN7rocprim17ROCPRIM_400000_NS6detail17trampoline_kernelINS0_14default_configENS1_37merge_sort_block_sort_config_selectorIN3c108BFloat16ElEEZNS1_21merge_sort_block_sortIS3_PS6_S9_N6thrust23THRUST_200600_302600_NS10device_ptrIlEESD_NSB_4lessIS6_EEEE10hipError_tT0_T1_T2_T3_mRjT4_P12ihipStream_tbNS1_7vsmem_tEEUlT_E_NS1_11comp_targetILNS1_3genE4ELNS1_11target_archE910ELNS1_3gpuE8ELNS1_3repE0EEENS1_30default_config_static_selectorELNS0_4arch9wavefront6targetE1EEEvSI_.uses_vcc, 0
	.set _ZN7rocprim17ROCPRIM_400000_NS6detail17trampoline_kernelINS0_14default_configENS1_37merge_sort_block_sort_config_selectorIN3c108BFloat16ElEEZNS1_21merge_sort_block_sortIS3_PS6_S9_N6thrust23THRUST_200600_302600_NS10device_ptrIlEESD_NSB_4lessIS6_EEEE10hipError_tT0_T1_T2_T3_mRjT4_P12ihipStream_tbNS1_7vsmem_tEEUlT_E_NS1_11comp_targetILNS1_3genE4ELNS1_11target_archE910ELNS1_3gpuE8ELNS1_3repE0EEENS1_30default_config_static_selectorELNS0_4arch9wavefront6targetE1EEEvSI_.uses_flat_scratch, 0
	.set _ZN7rocprim17ROCPRIM_400000_NS6detail17trampoline_kernelINS0_14default_configENS1_37merge_sort_block_sort_config_selectorIN3c108BFloat16ElEEZNS1_21merge_sort_block_sortIS3_PS6_S9_N6thrust23THRUST_200600_302600_NS10device_ptrIlEESD_NSB_4lessIS6_EEEE10hipError_tT0_T1_T2_T3_mRjT4_P12ihipStream_tbNS1_7vsmem_tEEUlT_E_NS1_11comp_targetILNS1_3genE4ELNS1_11target_archE910ELNS1_3gpuE8ELNS1_3repE0EEENS1_30default_config_static_selectorELNS0_4arch9wavefront6targetE1EEEvSI_.has_dyn_sized_stack, 0
	.set _ZN7rocprim17ROCPRIM_400000_NS6detail17trampoline_kernelINS0_14default_configENS1_37merge_sort_block_sort_config_selectorIN3c108BFloat16ElEEZNS1_21merge_sort_block_sortIS3_PS6_S9_N6thrust23THRUST_200600_302600_NS10device_ptrIlEESD_NSB_4lessIS6_EEEE10hipError_tT0_T1_T2_T3_mRjT4_P12ihipStream_tbNS1_7vsmem_tEEUlT_E_NS1_11comp_targetILNS1_3genE4ELNS1_11target_archE910ELNS1_3gpuE8ELNS1_3repE0EEENS1_30default_config_static_selectorELNS0_4arch9wavefront6targetE1EEEvSI_.has_recursion, 0
	.set _ZN7rocprim17ROCPRIM_400000_NS6detail17trampoline_kernelINS0_14default_configENS1_37merge_sort_block_sort_config_selectorIN3c108BFloat16ElEEZNS1_21merge_sort_block_sortIS3_PS6_S9_N6thrust23THRUST_200600_302600_NS10device_ptrIlEESD_NSB_4lessIS6_EEEE10hipError_tT0_T1_T2_T3_mRjT4_P12ihipStream_tbNS1_7vsmem_tEEUlT_E_NS1_11comp_targetILNS1_3genE4ELNS1_11target_archE910ELNS1_3gpuE8ELNS1_3repE0EEENS1_30default_config_static_selectorELNS0_4arch9wavefront6targetE1EEEvSI_.has_indirect_call, 0
	.section	.AMDGPU.csdata,"",@progbits
; Kernel info:
; codeLenInByte = 0
; TotalNumSgprs: 4
; NumVgprs: 0
; ScratchSize: 0
; MemoryBound: 0
; FloatMode: 240
; IeeeMode: 1
; LDSByteSize: 0 bytes/workgroup (compile time only)
; SGPRBlocks: 0
; VGPRBlocks: 0
; NumSGPRsForWavesPerEU: 4
; NumVGPRsForWavesPerEU: 1
; Occupancy: 10
; WaveLimiterHint : 0
; COMPUTE_PGM_RSRC2:SCRATCH_EN: 0
; COMPUTE_PGM_RSRC2:USER_SGPR: 6
; COMPUTE_PGM_RSRC2:TRAP_HANDLER: 0
; COMPUTE_PGM_RSRC2:TGID_X_EN: 1
; COMPUTE_PGM_RSRC2:TGID_Y_EN: 0
; COMPUTE_PGM_RSRC2:TGID_Z_EN: 0
; COMPUTE_PGM_RSRC2:TIDIG_COMP_CNT: 0
	.section	.text._ZN7rocprim17ROCPRIM_400000_NS6detail17trampoline_kernelINS0_14default_configENS1_37merge_sort_block_sort_config_selectorIN3c108BFloat16ElEEZNS1_21merge_sort_block_sortIS3_PS6_S9_N6thrust23THRUST_200600_302600_NS10device_ptrIlEESD_NSB_4lessIS6_EEEE10hipError_tT0_T1_T2_T3_mRjT4_P12ihipStream_tbNS1_7vsmem_tEEUlT_E_NS1_11comp_targetILNS1_3genE3ELNS1_11target_archE908ELNS1_3gpuE7ELNS1_3repE0EEENS1_30default_config_static_selectorELNS0_4arch9wavefront6targetE1EEEvSI_,"axG",@progbits,_ZN7rocprim17ROCPRIM_400000_NS6detail17trampoline_kernelINS0_14default_configENS1_37merge_sort_block_sort_config_selectorIN3c108BFloat16ElEEZNS1_21merge_sort_block_sortIS3_PS6_S9_N6thrust23THRUST_200600_302600_NS10device_ptrIlEESD_NSB_4lessIS6_EEEE10hipError_tT0_T1_T2_T3_mRjT4_P12ihipStream_tbNS1_7vsmem_tEEUlT_E_NS1_11comp_targetILNS1_3genE3ELNS1_11target_archE908ELNS1_3gpuE7ELNS1_3repE0EEENS1_30default_config_static_selectorELNS0_4arch9wavefront6targetE1EEEvSI_,comdat
	.protected	_ZN7rocprim17ROCPRIM_400000_NS6detail17trampoline_kernelINS0_14default_configENS1_37merge_sort_block_sort_config_selectorIN3c108BFloat16ElEEZNS1_21merge_sort_block_sortIS3_PS6_S9_N6thrust23THRUST_200600_302600_NS10device_ptrIlEESD_NSB_4lessIS6_EEEE10hipError_tT0_T1_T2_T3_mRjT4_P12ihipStream_tbNS1_7vsmem_tEEUlT_E_NS1_11comp_targetILNS1_3genE3ELNS1_11target_archE908ELNS1_3gpuE7ELNS1_3repE0EEENS1_30default_config_static_selectorELNS0_4arch9wavefront6targetE1EEEvSI_ ; -- Begin function _ZN7rocprim17ROCPRIM_400000_NS6detail17trampoline_kernelINS0_14default_configENS1_37merge_sort_block_sort_config_selectorIN3c108BFloat16ElEEZNS1_21merge_sort_block_sortIS3_PS6_S9_N6thrust23THRUST_200600_302600_NS10device_ptrIlEESD_NSB_4lessIS6_EEEE10hipError_tT0_T1_T2_T3_mRjT4_P12ihipStream_tbNS1_7vsmem_tEEUlT_E_NS1_11comp_targetILNS1_3genE3ELNS1_11target_archE908ELNS1_3gpuE7ELNS1_3repE0EEENS1_30default_config_static_selectorELNS0_4arch9wavefront6targetE1EEEvSI_
	.globl	_ZN7rocprim17ROCPRIM_400000_NS6detail17trampoline_kernelINS0_14default_configENS1_37merge_sort_block_sort_config_selectorIN3c108BFloat16ElEEZNS1_21merge_sort_block_sortIS3_PS6_S9_N6thrust23THRUST_200600_302600_NS10device_ptrIlEESD_NSB_4lessIS6_EEEE10hipError_tT0_T1_T2_T3_mRjT4_P12ihipStream_tbNS1_7vsmem_tEEUlT_E_NS1_11comp_targetILNS1_3genE3ELNS1_11target_archE908ELNS1_3gpuE7ELNS1_3repE0EEENS1_30default_config_static_selectorELNS0_4arch9wavefront6targetE1EEEvSI_
	.p2align	8
	.type	_ZN7rocprim17ROCPRIM_400000_NS6detail17trampoline_kernelINS0_14default_configENS1_37merge_sort_block_sort_config_selectorIN3c108BFloat16ElEEZNS1_21merge_sort_block_sortIS3_PS6_S9_N6thrust23THRUST_200600_302600_NS10device_ptrIlEESD_NSB_4lessIS6_EEEE10hipError_tT0_T1_T2_T3_mRjT4_P12ihipStream_tbNS1_7vsmem_tEEUlT_E_NS1_11comp_targetILNS1_3genE3ELNS1_11target_archE908ELNS1_3gpuE7ELNS1_3repE0EEENS1_30default_config_static_selectorELNS0_4arch9wavefront6targetE1EEEvSI_,@function
_ZN7rocprim17ROCPRIM_400000_NS6detail17trampoline_kernelINS0_14default_configENS1_37merge_sort_block_sort_config_selectorIN3c108BFloat16ElEEZNS1_21merge_sort_block_sortIS3_PS6_S9_N6thrust23THRUST_200600_302600_NS10device_ptrIlEESD_NSB_4lessIS6_EEEE10hipError_tT0_T1_T2_T3_mRjT4_P12ihipStream_tbNS1_7vsmem_tEEUlT_E_NS1_11comp_targetILNS1_3genE3ELNS1_11target_archE908ELNS1_3gpuE7ELNS1_3repE0EEENS1_30default_config_static_selectorELNS0_4arch9wavefront6targetE1EEEvSI_: ; @_ZN7rocprim17ROCPRIM_400000_NS6detail17trampoline_kernelINS0_14default_configENS1_37merge_sort_block_sort_config_selectorIN3c108BFloat16ElEEZNS1_21merge_sort_block_sortIS3_PS6_S9_N6thrust23THRUST_200600_302600_NS10device_ptrIlEESD_NSB_4lessIS6_EEEE10hipError_tT0_T1_T2_T3_mRjT4_P12ihipStream_tbNS1_7vsmem_tEEUlT_E_NS1_11comp_targetILNS1_3genE3ELNS1_11target_archE908ELNS1_3gpuE7ELNS1_3repE0EEENS1_30default_config_static_selectorELNS0_4arch9wavefront6targetE1EEEvSI_
; %bb.0:
	.section	.rodata,"a",@progbits
	.p2align	6, 0x0
	.amdhsa_kernel _ZN7rocprim17ROCPRIM_400000_NS6detail17trampoline_kernelINS0_14default_configENS1_37merge_sort_block_sort_config_selectorIN3c108BFloat16ElEEZNS1_21merge_sort_block_sortIS3_PS6_S9_N6thrust23THRUST_200600_302600_NS10device_ptrIlEESD_NSB_4lessIS6_EEEE10hipError_tT0_T1_T2_T3_mRjT4_P12ihipStream_tbNS1_7vsmem_tEEUlT_E_NS1_11comp_targetILNS1_3genE3ELNS1_11target_archE908ELNS1_3gpuE7ELNS1_3repE0EEENS1_30default_config_static_selectorELNS0_4arch9wavefront6targetE1EEEvSI_
		.amdhsa_group_segment_fixed_size 0
		.amdhsa_private_segment_fixed_size 0
		.amdhsa_kernarg_size 64
		.amdhsa_user_sgpr_count 6
		.amdhsa_user_sgpr_private_segment_buffer 1
		.amdhsa_user_sgpr_dispatch_ptr 0
		.amdhsa_user_sgpr_queue_ptr 0
		.amdhsa_user_sgpr_kernarg_segment_ptr 1
		.amdhsa_user_sgpr_dispatch_id 0
		.amdhsa_user_sgpr_flat_scratch_init 0
		.amdhsa_user_sgpr_private_segment_size 0
		.amdhsa_uses_dynamic_stack 0
		.amdhsa_system_sgpr_private_segment_wavefront_offset 0
		.amdhsa_system_sgpr_workgroup_id_x 1
		.amdhsa_system_sgpr_workgroup_id_y 0
		.amdhsa_system_sgpr_workgroup_id_z 0
		.amdhsa_system_sgpr_workgroup_info 0
		.amdhsa_system_vgpr_workitem_id 0
		.amdhsa_next_free_vgpr 1
		.amdhsa_next_free_sgpr 0
		.amdhsa_reserve_vcc 0
		.amdhsa_reserve_flat_scratch 0
		.amdhsa_float_round_mode_32 0
		.amdhsa_float_round_mode_16_64 0
		.amdhsa_float_denorm_mode_32 3
		.amdhsa_float_denorm_mode_16_64 3
		.amdhsa_dx10_clamp 1
		.amdhsa_ieee_mode 1
		.amdhsa_fp16_overflow 0
		.amdhsa_exception_fp_ieee_invalid_op 0
		.amdhsa_exception_fp_denorm_src 0
		.amdhsa_exception_fp_ieee_div_zero 0
		.amdhsa_exception_fp_ieee_overflow 0
		.amdhsa_exception_fp_ieee_underflow 0
		.amdhsa_exception_fp_ieee_inexact 0
		.amdhsa_exception_int_div_zero 0
	.end_amdhsa_kernel
	.section	.text._ZN7rocprim17ROCPRIM_400000_NS6detail17trampoline_kernelINS0_14default_configENS1_37merge_sort_block_sort_config_selectorIN3c108BFloat16ElEEZNS1_21merge_sort_block_sortIS3_PS6_S9_N6thrust23THRUST_200600_302600_NS10device_ptrIlEESD_NSB_4lessIS6_EEEE10hipError_tT0_T1_T2_T3_mRjT4_P12ihipStream_tbNS1_7vsmem_tEEUlT_E_NS1_11comp_targetILNS1_3genE3ELNS1_11target_archE908ELNS1_3gpuE7ELNS1_3repE0EEENS1_30default_config_static_selectorELNS0_4arch9wavefront6targetE1EEEvSI_,"axG",@progbits,_ZN7rocprim17ROCPRIM_400000_NS6detail17trampoline_kernelINS0_14default_configENS1_37merge_sort_block_sort_config_selectorIN3c108BFloat16ElEEZNS1_21merge_sort_block_sortIS3_PS6_S9_N6thrust23THRUST_200600_302600_NS10device_ptrIlEESD_NSB_4lessIS6_EEEE10hipError_tT0_T1_T2_T3_mRjT4_P12ihipStream_tbNS1_7vsmem_tEEUlT_E_NS1_11comp_targetILNS1_3genE3ELNS1_11target_archE908ELNS1_3gpuE7ELNS1_3repE0EEENS1_30default_config_static_selectorELNS0_4arch9wavefront6targetE1EEEvSI_,comdat
.Lfunc_end1972:
	.size	_ZN7rocprim17ROCPRIM_400000_NS6detail17trampoline_kernelINS0_14default_configENS1_37merge_sort_block_sort_config_selectorIN3c108BFloat16ElEEZNS1_21merge_sort_block_sortIS3_PS6_S9_N6thrust23THRUST_200600_302600_NS10device_ptrIlEESD_NSB_4lessIS6_EEEE10hipError_tT0_T1_T2_T3_mRjT4_P12ihipStream_tbNS1_7vsmem_tEEUlT_E_NS1_11comp_targetILNS1_3genE3ELNS1_11target_archE908ELNS1_3gpuE7ELNS1_3repE0EEENS1_30default_config_static_selectorELNS0_4arch9wavefront6targetE1EEEvSI_, .Lfunc_end1972-_ZN7rocprim17ROCPRIM_400000_NS6detail17trampoline_kernelINS0_14default_configENS1_37merge_sort_block_sort_config_selectorIN3c108BFloat16ElEEZNS1_21merge_sort_block_sortIS3_PS6_S9_N6thrust23THRUST_200600_302600_NS10device_ptrIlEESD_NSB_4lessIS6_EEEE10hipError_tT0_T1_T2_T3_mRjT4_P12ihipStream_tbNS1_7vsmem_tEEUlT_E_NS1_11comp_targetILNS1_3genE3ELNS1_11target_archE908ELNS1_3gpuE7ELNS1_3repE0EEENS1_30default_config_static_selectorELNS0_4arch9wavefront6targetE1EEEvSI_
                                        ; -- End function
	.set _ZN7rocprim17ROCPRIM_400000_NS6detail17trampoline_kernelINS0_14default_configENS1_37merge_sort_block_sort_config_selectorIN3c108BFloat16ElEEZNS1_21merge_sort_block_sortIS3_PS6_S9_N6thrust23THRUST_200600_302600_NS10device_ptrIlEESD_NSB_4lessIS6_EEEE10hipError_tT0_T1_T2_T3_mRjT4_P12ihipStream_tbNS1_7vsmem_tEEUlT_E_NS1_11comp_targetILNS1_3genE3ELNS1_11target_archE908ELNS1_3gpuE7ELNS1_3repE0EEENS1_30default_config_static_selectorELNS0_4arch9wavefront6targetE1EEEvSI_.num_vgpr, 0
	.set _ZN7rocprim17ROCPRIM_400000_NS6detail17trampoline_kernelINS0_14default_configENS1_37merge_sort_block_sort_config_selectorIN3c108BFloat16ElEEZNS1_21merge_sort_block_sortIS3_PS6_S9_N6thrust23THRUST_200600_302600_NS10device_ptrIlEESD_NSB_4lessIS6_EEEE10hipError_tT0_T1_T2_T3_mRjT4_P12ihipStream_tbNS1_7vsmem_tEEUlT_E_NS1_11comp_targetILNS1_3genE3ELNS1_11target_archE908ELNS1_3gpuE7ELNS1_3repE0EEENS1_30default_config_static_selectorELNS0_4arch9wavefront6targetE1EEEvSI_.num_agpr, 0
	.set _ZN7rocprim17ROCPRIM_400000_NS6detail17trampoline_kernelINS0_14default_configENS1_37merge_sort_block_sort_config_selectorIN3c108BFloat16ElEEZNS1_21merge_sort_block_sortIS3_PS6_S9_N6thrust23THRUST_200600_302600_NS10device_ptrIlEESD_NSB_4lessIS6_EEEE10hipError_tT0_T1_T2_T3_mRjT4_P12ihipStream_tbNS1_7vsmem_tEEUlT_E_NS1_11comp_targetILNS1_3genE3ELNS1_11target_archE908ELNS1_3gpuE7ELNS1_3repE0EEENS1_30default_config_static_selectorELNS0_4arch9wavefront6targetE1EEEvSI_.numbered_sgpr, 0
	.set _ZN7rocprim17ROCPRIM_400000_NS6detail17trampoline_kernelINS0_14default_configENS1_37merge_sort_block_sort_config_selectorIN3c108BFloat16ElEEZNS1_21merge_sort_block_sortIS3_PS6_S9_N6thrust23THRUST_200600_302600_NS10device_ptrIlEESD_NSB_4lessIS6_EEEE10hipError_tT0_T1_T2_T3_mRjT4_P12ihipStream_tbNS1_7vsmem_tEEUlT_E_NS1_11comp_targetILNS1_3genE3ELNS1_11target_archE908ELNS1_3gpuE7ELNS1_3repE0EEENS1_30default_config_static_selectorELNS0_4arch9wavefront6targetE1EEEvSI_.num_named_barrier, 0
	.set _ZN7rocprim17ROCPRIM_400000_NS6detail17trampoline_kernelINS0_14default_configENS1_37merge_sort_block_sort_config_selectorIN3c108BFloat16ElEEZNS1_21merge_sort_block_sortIS3_PS6_S9_N6thrust23THRUST_200600_302600_NS10device_ptrIlEESD_NSB_4lessIS6_EEEE10hipError_tT0_T1_T2_T3_mRjT4_P12ihipStream_tbNS1_7vsmem_tEEUlT_E_NS1_11comp_targetILNS1_3genE3ELNS1_11target_archE908ELNS1_3gpuE7ELNS1_3repE0EEENS1_30default_config_static_selectorELNS0_4arch9wavefront6targetE1EEEvSI_.private_seg_size, 0
	.set _ZN7rocprim17ROCPRIM_400000_NS6detail17trampoline_kernelINS0_14default_configENS1_37merge_sort_block_sort_config_selectorIN3c108BFloat16ElEEZNS1_21merge_sort_block_sortIS3_PS6_S9_N6thrust23THRUST_200600_302600_NS10device_ptrIlEESD_NSB_4lessIS6_EEEE10hipError_tT0_T1_T2_T3_mRjT4_P12ihipStream_tbNS1_7vsmem_tEEUlT_E_NS1_11comp_targetILNS1_3genE3ELNS1_11target_archE908ELNS1_3gpuE7ELNS1_3repE0EEENS1_30default_config_static_selectorELNS0_4arch9wavefront6targetE1EEEvSI_.uses_vcc, 0
	.set _ZN7rocprim17ROCPRIM_400000_NS6detail17trampoline_kernelINS0_14default_configENS1_37merge_sort_block_sort_config_selectorIN3c108BFloat16ElEEZNS1_21merge_sort_block_sortIS3_PS6_S9_N6thrust23THRUST_200600_302600_NS10device_ptrIlEESD_NSB_4lessIS6_EEEE10hipError_tT0_T1_T2_T3_mRjT4_P12ihipStream_tbNS1_7vsmem_tEEUlT_E_NS1_11comp_targetILNS1_3genE3ELNS1_11target_archE908ELNS1_3gpuE7ELNS1_3repE0EEENS1_30default_config_static_selectorELNS0_4arch9wavefront6targetE1EEEvSI_.uses_flat_scratch, 0
	.set _ZN7rocprim17ROCPRIM_400000_NS6detail17trampoline_kernelINS0_14default_configENS1_37merge_sort_block_sort_config_selectorIN3c108BFloat16ElEEZNS1_21merge_sort_block_sortIS3_PS6_S9_N6thrust23THRUST_200600_302600_NS10device_ptrIlEESD_NSB_4lessIS6_EEEE10hipError_tT0_T1_T2_T3_mRjT4_P12ihipStream_tbNS1_7vsmem_tEEUlT_E_NS1_11comp_targetILNS1_3genE3ELNS1_11target_archE908ELNS1_3gpuE7ELNS1_3repE0EEENS1_30default_config_static_selectorELNS0_4arch9wavefront6targetE1EEEvSI_.has_dyn_sized_stack, 0
	.set _ZN7rocprim17ROCPRIM_400000_NS6detail17trampoline_kernelINS0_14default_configENS1_37merge_sort_block_sort_config_selectorIN3c108BFloat16ElEEZNS1_21merge_sort_block_sortIS3_PS6_S9_N6thrust23THRUST_200600_302600_NS10device_ptrIlEESD_NSB_4lessIS6_EEEE10hipError_tT0_T1_T2_T3_mRjT4_P12ihipStream_tbNS1_7vsmem_tEEUlT_E_NS1_11comp_targetILNS1_3genE3ELNS1_11target_archE908ELNS1_3gpuE7ELNS1_3repE0EEENS1_30default_config_static_selectorELNS0_4arch9wavefront6targetE1EEEvSI_.has_recursion, 0
	.set _ZN7rocprim17ROCPRIM_400000_NS6detail17trampoline_kernelINS0_14default_configENS1_37merge_sort_block_sort_config_selectorIN3c108BFloat16ElEEZNS1_21merge_sort_block_sortIS3_PS6_S9_N6thrust23THRUST_200600_302600_NS10device_ptrIlEESD_NSB_4lessIS6_EEEE10hipError_tT0_T1_T2_T3_mRjT4_P12ihipStream_tbNS1_7vsmem_tEEUlT_E_NS1_11comp_targetILNS1_3genE3ELNS1_11target_archE908ELNS1_3gpuE7ELNS1_3repE0EEENS1_30default_config_static_selectorELNS0_4arch9wavefront6targetE1EEEvSI_.has_indirect_call, 0
	.section	.AMDGPU.csdata,"",@progbits
; Kernel info:
; codeLenInByte = 0
; TotalNumSgprs: 4
; NumVgprs: 0
; ScratchSize: 0
; MemoryBound: 0
; FloatMode: 240
; IeeeMode: 1
; LDSByteSize: 0 bytes/workgroup (compile time only)
; SGPRBlocks: 0
; VGPRBlocks: 0
; NumSGPRsForWavesPerEU: 4
; NumVGPRsForWavesPerEU: 1
; Occupancy: 10
; WaveLimiterHint : 0
; COMPUTE_PGM_RSRC2:SCRATCH_EN: 0
; COMPUTE_PGM_RSRC2:USER_SGPR: 6
; COMPUTE_PGM_RSRC2:TRAP_HANDLER: 0
; COMPUTE_PGM_RSRC2:TGID_X_EN: 1
; COMPUTE_PGM_RSRC2:TGID_Y_EN: 0
; COMPUTE_PGM_RSRC2:TGID_Z_EN: 0
; COMPUTE_PGM_RSRC2:TIDIG_COMP_CNT: 0
	.section	.text._ZN7rocprim17ROCPRIM_400000_NS6detail17trampoline_kernelINS0_14default_configENS1_37merge_sort_block_sort_config_selectorIN3c108BFloat16ElEEZNS1_21merge_sort_block_sortIS3_PS6_S9_N6thrust23THRUST_200600_302600_NS10device_ptrIlEESD_NSB_4lessIS6_EEEE10hipError_tT0_T1_T2_T3_mRjT4_P12ihipStream_tbNS1_7vsmem_tEEUlT_E_NS1_11comp_targetILNS1_3genE2ELNS1_11target_archE906ELNS1_3gpuE6ELNS1_3repE0EEENS1_30default_config_static_selectorELNS0_4arch9wavefront6targetE1EEEvSI_,"axG",@progbits,_ZN7rocprim17ROCPRIM_400000_NS6detail17trampoline_kernelINS0_14default_configENS1_37merge_sort_block_sort_config_selectorIN3c108BFloat16ElEEZNS1_21merge_sort_block_sortIS3_PS6_S9_N6thrust23THRUST_200600_302600_NS10device_ptrIlEESD_NSB_4lessIS6_EEEE10hipError_tT0_T1_T2_T3_mRjT4_P12ihipStream_tbNS1_7vsmem_tEEUlT_E_NS1_11comp_targetILNS1_3genE2ELNS1_11target_archE906ELNS1_3gpuE6ELNS1_3repE0EEENS1_30default_config_static_selectorELNS0_4arch9wavefront6targetE1EEEvSI_,comdat
	.protected	_ZN7rocprim17ROCPRIM_400000_NS6detail17trampoline_kernelINS0_14default_configENS1_37merge_sort_block_sort_config_selectorIN3c108BFloat16ElEEZNS1_21merge_sort_block_sortIS3_PS6_S9_N6thrust23THRUST_200600_302600_NS10device_ptrIlEESD_NSB_4lessIS6_EEEE10hipError_tT0_T1_T2_T3_mRjT4_P12ihipStream_tbNS1_7vsmem_tEEUlT_E_NS1_11comp_targetILNS1_3genE2ELNS1_11target_archE906ELNS1_3gpuE6ELNS1_3repE0EEENS1_30default_config_static_selectorELNS0_4arch9wavefront6targetE1EEEvSI_ ; -- Begin function _ZN7rocprim17ROCPRIM_400000_NS6detail17trampoline_kernelINS0_14default_configENS1_37merge_sort_block_sort_config_selectorIN3c108BFloat16ElEEZNS1_21merge_sort_block_sortIS3_PS6_S9_N6thrust23THRUST_200600_302600_NS10device_ptrIlEESD_NSB_4lessIS6_EEEE10hipError_tT0_T1_T2_T3_mRjT4_P12ihipStream_tbNS1_7vsmem_tEEUlT_E_NS1_11comp_targetILNS1_3genE2ELNS1_11target_archE906ELNS1_3gpuE6ELNS1_3repE0EEENS1_30default_config_static_selectorELNS0_4arch9wavefront6targetE1EEEvSI_
	.globl	_ZN7rocprim17ROCPRIM_400000_NS6detail17trampoline_kernelINS0_14default_configENS1_37merge_sort_block_sort_config_selectorIN3c108BFloat16ElEEZNS1_21merge_sort_block_sortIS3_PS6_S9_N6thrust23THRUST_200600_302600_NS10device_ptrIlEESD_NSB_4lessIS6_EEEE10hipError_tT0_T1_T2_T3_mRjT4_P12ihipStream_tbNS1_7vsmem_tEEUlT_E_NS1_11comp_targetILNS1_3genE2ELNS1_11target_archE906ELNS1_3gpuE6ELNS1_3repE0EEENS1_30default_config_static_selectorELNS0_4arch9wavefront6targetE1EEEvSI_
	.p2align	8
	.type	_ZN7rocprim17ROCPRIM_400000_NS6detail17trampoline_kernelINS0_14default_configENS1_37merge_sort_block_sort_config_selectorIN3c108BFloat16ElEEZNS1_21merge_sort_block_sortIS3_PS6_S9_N6thrust23THRUST_200600_302600_NS10device_ptrIlEESD_NSB_4lessIS6_EEEE10hipError_tT0_T1_T2_T3_mRjT4_P12ihipStream_tbNS1_7vsmem_tEEUlT_E_NS1_11comp_targetILNS1_3genE2ELNS1_11target_archE906ELNS1_3gpuE6ELNS1_3repE0EEENS1_30default_config_static_selectorELNS0_4arch9wavefront6targetE1EEEvSI_,@function
_ZN7rocprim17ROCPRIM_400000_NS6detail17trampoline_kernelINS0_14default_configENS1_37merge_sort_block_sort_config_selectorIN3c108BFloat16ElEEZNS1_21merge_sort_block_sortIS3_PS6_S9_N6thrust23THRUST_200600_302600_NS10device_ptrIlEESD_NSB_4lessIS6_EEEE10hipError_tT0_T1_T2_T3_mRjT4_P12ihipStream_tbNS1_7vsmem_tEEUlT_E_NS1_11comp_targetILNS1_3genE2ELNS1_11target_archE906ELNS1_3gpuE6ELNS1_3repE0EEENS1_30default_config_static_selectorELNS0_4arch9wavefront6targetE1EEEvSI_: ; @_ZN7rocprim17ROCPRIM_400000_NS6detail17trampoline_kernelINS0_14default_configENS1_37merge_sort_block_sort_config_selectorIN3c108BFloat16ElEEZNS1_21merge_sort_block_sortIS3_PS6_S9_N6thrust23THRUST_200600_302600_NS10device_ptrIlEESD_NSB_4lessIS6_EEEE10hipError_tT0_T1_T2_T3_mRjT4_P12ihipStream_tbNS1_7vsmem_tEEUlT_E_NS1_11comp_targetILNS1_3genE2ELNS1_11target_archE906ELNS1_3gpuE6ELNS1_3repE0EEENS1_30default_config_static_selectorELNS0_4arch9wavefront6targetE1EEEvSI_
; %bb.0:
	s_load_dwordx2 s[14:15], s[4:5], 0x40
	s_load_dword s0, s[4:5], 0x0
	s_add_u32 s12, s4, 64
	s_addc_u32 s13, s5, 0
	s_waitcnt lgkmcnt(0)
	s_mul_i32 s1, s15, s8
	s_add_i32 s1, s1, s7
	s_mul_i32 s1, s1, s14
	s_add_i32 s20, s1, s6
	s_cmp_ge_u32 s20, s0
	s_cbranch_scc1 .LBB1973_198
; %bb.1:
	s_load_dwordx2 s[22:23], s[4:5], 0x8
	s_load_dwordx8 s[24:31], s[4:5], 0x18
	s_mov_b32 s21, 0
	s_lshl_b64 s[0:1], s[20:21], 11
	v_lshlrev_b32_e32 v21, 2, v0
	s_waitcnt lgkmcnt(0)
	s_lshr_b64 s[2:3], s[22:23], 10
	s_add_u32 s18, s24, s0
	s_addc_u32 s19, s25, s1
	s_add_u32 s16, s26, s0
	s_addc_u32 s17, s27, s1
	s_lshl_b64 s[0:1], s[20:21], 13
	s_add_u32 s27, s28, s0
	s_addc_u32 s28, s29, s1
	s_add_u32 s23, s30, s0
	s_addc_u32 s26, s31, s1
	v_mov_b32_e32 v3, v1
	s_cmp_lg_u64 s[2:3], s[20:21]
	v_or_b32_e32 v11, 1, v21
	v_or_b32_e32 v12, 2, v21
	;; [unrolled: 1-line block ×3, first 2 shown]
	v_lshlrev_b32_e32 v22, 1, v0
	v_lshrrev_b32_e32 v23, 4, v0
	v_lshrrev_b32_e32 v10, 2, v0
	v_lshlrev_b32_e32 v20, 3, v0
	s_cbranch_scc0 .LBB1973_95
; %bb.2:
	global_load_ushort v1, v22, s[18:19]
	global_load_ushort v4, v22, s[18:19] offset:512
	global_load_ushort v5, v22, s[18:19] offset:1024
	;; [unrolled: 1-line block ×3, first 2 shown]
	v_and_b32_e32 v7, 12, v23
	v_or_b32_e32 v31, 0x100, v0
	v_or_b32_e32 v32, 0x200, v0
	v_or_b32_e32 v33, 0x300, v0
	v_and_b32_e32 v28, 60, v10
	v_add_u32_e32 v24, v7, v22
	v_lshrrev_b32_e32 v7, 4, v31
	v_lshrrev_b32_e32 v8, 4, v32
	;; [unrolled: 1-line block ×3, first 2 shown]
	v_add_u32_e32 v14, v28, v20
	v_and_b32_e32 v7, 28, v7
	v_and_b32_e32 v8, 44, v8
	;; [unrolled: 1-line block ×3, first 2 shown]
	v_add_u32_e32 v25, v7, v22
	v_add_u32_e32 v26, v8, v22
	;; [unrolled: 1-line block ×3, first 2 shown]
	v_mov_b32_e32 v9, v13
	s_waitcnt vmcnt(3)
	ds_write_b16 v24, v1
	s_waitcnt vmcnt(2)
	ds_write_b16 v25, v4 offset:512
	s_waitcnt vmcnt(1)
	ds_write_b16 v26, v5 offset:1024
	;; [unrolled: 2-line block ×3, first 2 shown]
	s_waitcnt lgkmcnt(0)
	s_barrier
	ds_read2_b32 v[18:19], v14 offset1:1
	s_waitcnt lgkmcnt(0)
	s_barrier
	s_load_dword s0, s[12:13], 0xc
	v_mov_b32_e32 v1, 0
	v_mov_b32_e32 v6, v12
	v_lshrrev_b32_e32 v29, 16, v19
	v_lshrrev_b32_e32 v30, 16, v18
	s_waitcnt lgkmcnt(0)
	s_lshr_b32 s2, s0, 16
	s_cmp_lt_u32 s6, s14
	s_cselect_b32 s0, 12, 18
	s_add_u32 s0, s12, s0
	s_addc_u32 s1, s13, 0
	global_load_ushort v4, v1, s[0:1]
	v_mad_u32_u24 v5, v2, s2, v3
	s_movk_i32 s0, 0x400
	s_waitcnt vmcnt(0)
	v_mul_lo_u32 v4, v5, v4
	v_mov_b32_e32 v5, v11
	v_add_lshl_u32 v34, v4, v0, 2
	v_cmp_gt_u32_e32 vcc, s0, v34
	v_mov_b32_e32 v4, v21
	s_and_saveexec_b64 s[2:3], vcc
	s_cbranch_execz .LBB1973_14
; %bb.3:
	v_and_b32_e32 v6, 0xffff0000, v18
	v_lshlrev_b32_e32 v7, 16, v18
	v_mov_b32_e32 v4, v11
	v_cmp_lt_f32_e32 vcc, v6, v7
	v_cndmask_b32_e32 v7, v4, v21, vcc
	v_cndmask_b32_e32 v6, v21, v4, vcc
	v_lshlrev_b32_e32 v14, 16, v29
	v_lshlrev_b32_e32 v4, 16, v19
	v_mov_b32_e32 v5, v12
	v_cmp_lt_f32_e64 s[0:1], v14, v4
	v_mov_b32_e32 v35, v19
	v_mov_b32_e32 v8, v12
	;; [unrolled: 1-line block ×3, first 2 shown]
	s_and_saveexec_b64 s[4:5], s[0:1]
; %bb.4:
	v_mov_b32_e32 v35, v29
	v_mov_b32_e32 v29, v19
	;; [unrolled: 1-line block ×5, first 2 shown]
; %bb.5:
	s_or_b64 exec, exec, s[4:5]
	v_cndmask_b32_e32 v5, v30, v18, vcc
	v_lshlrev_b32_e32 v36, 16, v5
	v_mov_b32_e32 v17, v9
	v_cmp_nlt_f32_e64 s[0:1], v4, v36
	v_mov_b32_e32 v14, v6
                                        ; implicit-def: $vgpr19
	v_mov_b32_e32 v16, v8
	v_mov_b32_e32 v15, v7
	s_and_saveexec_b64 s[4:5], s[0:1]
	s_xor_b64 s[0:1], exec, s[4:5]
; %bb.6:
	v_lshlrev_b32_e32 v19, 16, v35
                                        ; implicit-def: $vgpr14_vgpr15_vgpr16_vgpr17
                                        ; implicit-def: $vgpr4
; %bb.7:
	s_or_saveexec_b64 s[0:1], s[0:1]
	v_mov_b32_e32 v15, v5
	s_xor_b64 exec, exec, s[0:1]
	s_cbranch_execz .LBB1973_9
; %bb.8:
	v_mov_b32_e32 v15, v8
	v_mov_b32_e32 v16, v7
	;; [unrolled: 1-line block ×11, first 2 shown]
.LBB1973_9:
	s_or_b64 exec, exec, s[0:1]
	v_cndmask_b32_e32 v14, v18, v30, vcc
	v_lshlrev_b32_e32 v4, 16, v14
	v_cmp_lt_f32_e32 vcc, v36, v4
	v_cndmask_b32_e32 v5, v7, v6, vcc
	v_cndmask_b32_e32 v4, v6, v7, vcc
	v_lshlrev_b32_e32 v6, 16, v29
	v_cmp_gt_f32_e64 s[0:1], v19, v6
	v_mov_b32_e32 v7, v35
	s_and_saveexec_b64 s[4:5], s[0:1]
; %bb.10:
	v_mov_b32_e32 v16, v8
	v_swap_b32 v8, v9
	v_mov_b32_e32 v7, v29
	v_mov_b32_e32 v29, v35
	;; [unrolled: 1-line block ×3, first 2 shown]
; %bb.11:
	s_or_b64 exec, exec, s[4:5]
	v_cndmask_b32_e32 v30, v15, v14, vcc
	v_lshlrev_b32_e32 v6, 16, v30
	v_cmp_lt_f32_e64 s[0:1], v19, v6
	v_mov_b32_e32 v6, v8
	v_mov_b32_e32 v19, v7
	s_and_saveexec_b64 s[4:5], s[0:1]
; %bb.12:
	v_mov_b32_e32 v6, v5
	v_mov_b32_e32 v5, v8
	;; [unrolled: 1-line block ×4, first 2 shown]
; %bb.13:
	s_or_b64 exec, exec, s[4:5]
	v_cndmask_b32_e32 v18, v14, v15, vcc
.LBB1973_14:
	s_or_b64 exec, exec, s[2:3]
	v_and_b32_e32 v17, 0xffffff00, v34
	v_lshrrev_b32_e32 v16, 5, v31
	v_mbcnt_lo_u32_b32 v7, -1, 0
	s_movk_i32 s0, 0x400
	v_lshlrev_b32_e32 v31, 1, v17
	v_lshrrev_b32_e32 v15, 5, v32
	v_mbcnt_hi_u32_b32 v7, -1, v7
	v_sub_u32_e64 v32, s0, v17 clamp
	v_add_u32_e32 v17, v31, v31
	v_lshrrev_b32_e32 v14, 5, v33
	v_lshlrev_b32_e32 v33, 2, v7
	v_lshl_add_u32 v35, v7, 3, v31
	v_lshl_add_u32 v34, v7, 4, v17
	v_mov_b32_e32 v7, v9
	s_mov_b32 s0, 0x5040100
	ds_write_b128 v34, v[4:7] offset:2048
	v_or_b32_e32 v7, 4, v33
	v_perm_b32 v37, v29, v19, s0
	v_perm_b32 v36, v30, v18, s0
	v_min_u32_e32 v7, v32, v7
	ds_write_b64 v35, v[36:37]
	v_add_u32_e32 v36, 4, v7
	v_and_b32_e32 v37, 0x1f8, v33
	v_min_u32_e32 v36, v32, v36
	v_and_b32_e32 v38, 4, v33
	v_min_u32_e32 v39, v32, v38
	v_sub_u32_e32 v41, v7, v37
	v_sub_u32_e32 v40, v36, v7
	v_sub_u32_e64 v40, v39, v40 clamp
	v_min_u32_e32 v41, v39, v41
	v_lshrrev_b32_e32 v8, 3, v0
	v_lshl_add_u32 v38, v37, 1, v31
	v_cmp_lt_u32_e32 vcc, v40, v41
	; wave barrier
	s_and_saveexec_b64 s[0:1], vcc
	s_cbranch_execz .LBB1973_18
; %bb.15:
	v_lshlrev_b32_e32 v42, 1, v7
	v_lshlrev_b32_e32 v43, 1, v39
	v_add3_u32 v42, v31, v42, v43
	s_mov_b64 s[2:3], 0
.LBB1973_16:                            ; =>This Inner Loop Header: Depth=1
	v_add_u32_e32 v43, v41, v40
	v_lshrrev_b32_e32 v44, 1, v43
	v_and_b32_e32 v43, -2, v43
	v_not_b32_e32 v45, v44
	v_add_u32_e32 v43, v38, v43
	v_lshl_add_u32 v45, v45, 1, v42
	ds_read_u16 v43, v43
	ds_read_u16 v45, v45
	v_add_u32_e32 v46, 1, v44
	s_waitcnt lgkmcnt(1)
	v_lshlrev_b32_e32 v43, 16, v43
	s_waitcnt lgkmcnt(0)
	v_lshlrev_b32_e32 v45, 16, v45
	v_cmp_lt_f32_e32 vcc, v45, v43
	v_cndmask_b32_e32 v41, v41, v44, vcc
	v_cndmask_b32_e32 v40, v46, v40, vcc
	v_cmp_ge_u32_e32 vcc, v40, v41
	s_or_b64 s[2:3], vcc, s[2:3]
	s_andn2_b64 exec, exec, s[2:3]
	s_cbranch_execnz .LBB1973_16
; %bb.17:
	s_or_b64 exec, exec, s[2:3]
.LBB1973_18:
	s_or_b64 exec, exec, s[0:1]
	v_add_u32_e32 v39, v7, v39
	v_add_u32_e32 v37, v40, v37
	v_sub_u32_e32 v39, v39, v40
	v_cmp_le_u32_e32 vcc, v37, v7
	v_cmp_le_u32_e64 s[0:1], v39, v36
	s_or_b64 s[0:1], vcc, s[0:1]
	s_and_saveexec_b64 s[24:25], s[0:1]
	s_cbranch_execz .LBB1973_24
; %bb.19:
	v_cmp_lt_u32_e32 vcc, v37, v7
                                        ; implicit-def: $vgpr18
	s_and_saveexec_b64 s[0:1], vcc
; %bb.20:
	v_lshl_add_u32 v4, v40, 1, v38
	ds_read_u16 v18, v4
; %bb.21:
	s_or_b64 exec, exec, s[0:1]
	v_cmp_ge_u32_e64 s[0:1], v39, v36
	v_cmp_lt_u32_e64 s[2:3], v39, v36
                                        ; implicit-def: $vgpr19
	s_and_saveexec_b64 s[4:5], s[2:3]
; %bb.22:
	v_lshl_add_u32 v4, v39, 1, v31
	ds_read_u16 v19, v4
; %bb.23:
	s_or_b64 exec, exec, s[4:5]
	s_waitcnt lgkmcnt(0)
	v_lshlrev_b32_e32 v4, 16, v18
	v_lshlrev_b32_e32 v5, 16, v19
	v_cmp_nlt_f32_e64 s[2:3], v5, v4
	s_and_b64 s[2:3], vcc, s[2:3]
	s_or_b64 vcc, s[0:1], s[2:3]
	v_cndmask_b32_e32 v4, v39, v37, vcc
	v_cndmask_b32_e32 v5, v36, v7, vcc
	v_add_u32_e32 v6, 1, v4
	v_add_u32_e32 v5, -1, v5
	v_min_u32_e32 v5, v6, v5
	v_lshl_add_u32 v5, v5, 1, v31
	ds_read_u16 v5, v5
	v_lshl_add_u32 v4, v4, 2, v17
	ds_read_b32 v4, v4 offset:2048
	v_cndmask_b32_e32 v9, v6, v39, vcc
	v_cndmask_b32_e32 v6, v37, v6, vcc
	s_waitcnt lgkmcnt(1)
	v_cndmask_b32_e32 v29, v5, v19, vcc
	v_cndmask_b32_e32 v30, v18, v5, vcc
	v_lshlrev_b32_e32 v5, 16, v29
	v_lshlrev_b32_e32 v37, 16, v30
	v_cmp_lt_u32_e64 s[2:3], v6, v7
	v_cmp_nlt_f32_e64 s[4:5], v5, v37
	v_cmp_ge_u32_e64 s[0:1], v9, v36
	s_and_b64 s[2:3], s[2:3], s[4:5]
	s_or_b64 s[0:1], s[0:1], s[2:3]
	v_cndmask_b32_e64 v5, v9, v6, s[0:1]
	v_cndmask_b32_e64 v37, v36, v7, s[0:1]
	v_add_u32_e32 v38, 1, v5
	v_add_u32_e32 v37, -1, v37
	v_min_u32_e32 v37, v38, v37
	v_lshl_add_u32 v37, v37, 1, v31
	ds_read_u16 v37, v37
	v_cndmask_b32_e64 v9, v38, v9, s[0:1]
	v_cndmask_b32_e64 v38, v6, v38, s[0:1]
	v_cmp_lt_u32_e64 s[4:5], v38, v7
	v_cmp_ge_u32_e64 s[2:3], v9, v36
	s_waitcnt lgkmcnt(0)
	v_cndmask_b32_e64 v39, v37, v29, s[0:1]
	v_cndmask_b32_e64 v37, v30, v37, s[0:1]
	v_lshlrev_b32_e32 v6, 16, v39
	v_lshlrev_b32_e32 v40, 16, v37
	v_cmp_nlt_f32_e64 s[8:9], v6, v40
	s_and_b64 s[4:5], s[4:5], s[8:9]
	s_or_b64 s[2:3], s[2:3], s[4:5]
	v_cndmask_b32_e64 v6, v9, v38, s[2:3]
	v_cndmask_b32_e64 v40, v36, v7, s[2:3]
	v_add_u32_e32 v41, 1, v6
	v_add_u32_e32 v40, -1, v40
	v_min_u32_e32 v40, v41, v40
	v_lshl_add_u32 v40, v40, 1, v31
	ds_read_u16 v40, v40
	v_cndmask_b32_e64 v9, v41, v9, s[2:3]
	v_cndmask_b32_e64 v38, v38, v41, s[2:3]
	v_cmp_ge_u32_e64 s[4:5], v9, v36
	v_cmp_lt_u32_e64 s[8:9], v38, v7
	s_waitcnt lgkmcnt(0)
	v_cndmask_b32_e64 v42, v40, v39, s[2:3]
	v_cndmask_b32_e64 v40, v37, v40, s[2:3]
	v_lshlrev_b32_e32 v7, 16, v42
	v_lshlrev_b32_e32 v36, 16, v40
	v_cmp_nlt_f32_e64 s[10:11], v7, v36
	s_and_b64 s[8:9], s[8:9], s[10:11]
	s_or_b64 s[4:5], s[4:5], s[8:9]
	v_cndmask_b32_e64 v7, v9, v38, s[4:5]
	v_lshl_add_u32 v5, v5, 2, v17
	v_lshl_add_u32 v6, v6, 2, v17
	;; [unrolled: 1-line block ×3, first 2 shown]
	ds_read_b32 v5, v5 offset:2048
	ds_read_b32 v6, v6 offset:2048
	;; [unrolled: 1-line block ×3, first 2 shown]
	v_cndmask_b32_e32 v18, v19, v18, vcc
	v_cndmask_b32_e64 v30, v29, v30, s[0:1]
	v_cndmask_b32_e64 v19, v39, v37, s[2:3]
	;; [unrolled: 1-line block ×3, first 2 shown]
.LBB1973_24:
	s_or_b64 exec, exec, s[24:25]
	s_mov_b32 s0, 0x5040100
	v_perm_b32 v37, v29, v19, s0
	v_perm_b32 v36, v30, v18, s0
	; wave barrier
	ds_write_b64 v35, v[36:37]
	s_waitcnt lgkmcnt(1)
	v_mov_b32_e32 v7, v9
	v_and_b32_e32 v37, 0x1f0, v33
	ds_write_b128 v34, v[4:7] offset:2048
	v_or_b32_e32 v7, 8, v37
	v_min_u32_e32 v7, v32, v7
	v_add_u32_e32 v36, 8, v7
	v_min_u32_e32 v36, v32, v36
	v_and_b32_e32 v38, 12, v33
	v_min_u32_e32 v39, v32, v38
	v_sub_u32_e32 v41, v7, v37
	v_sub_u32_e32 v40, v36, v7
	v_sub_u32_e64 v40, v39, v40 clamp
	v_min_u32_e32 v41, v39, v41
	v_lshl_add_u32 v38, v37, 1, v31
	v_cmp_lt_u32_e32 vcc, v40, v41
	; wave barrier
	s_and_saveexec_b64 s[0:1], vcc
	s_cbranch_execz .LBB1973_28
; %bb.25:
	v_lshlrev_b32_e32 v42, 1, v7
	v_lshlrev_b32_e32 v43, 1, v39
	v_add3_u32 v42, v31, v42, v43
	s_mov_b64 s[2:3], 0
.LBB1973_26:                            ; =>This Inner Loop Header: Depth=1
	v_add_u32_e32 v43, v41, v40
	v_lshrrev_b32_e32 v44, 1, v43
	v_and_b32_e32 v43, -2, v43
	v_not_b32_e32 v45, v44
	v_add_u32_e32 v43, v38, v43
	v_lshl_add_u32 v45, v45, 1, v42
	ds_read_u16 v43, v43
	ds_read_u16 v45, v45
	v_add_u32_e32 v46, 1, v44
	s_waitcnt lgkmcnt(1)
	v_lshlrev_b32_e32 v43, 16, v43
	s_waitcnt lgkmcnt(0)
	v_lshlrev_b32_e32 v45, 16, v45
	v_cmp_lt_f32_e32 vcc, v45, v43
	v_cndmask_b32_e32 v41, v41, v44, vcc
	v_cndmask_b32_e32 v40, v46, v40, vcc
	v_cmp_ge_u32_e32 vcc, v40, v41
	s_or_b64 s[2:3], vcc, s[2:3]
	s_andn2_b64 exec, exec, s[2:3]
	s_cbranch_execnz .LBB1973_26
; %bb.27:
	s_or_b64 exec, exec, s[2:3]
.LBB1973_28:
	s_or_b64 exec, exec, s[0:1]
	v_add_u32_e32 v39, v7, v39
	v_add_u32_e32 v37, v40, v37
	v_sub_u32_e32 v39, v39, v40
	v_cmp_le_u32_e32 vcc, v37, v7
	v_cmp_le_u32_e64 s[0:1], v39, v36
	s_or_b64 s[0:1], vcc, s[0:1]
	s_and_saveexec_b64 s[24:25], s[0:1]
	s_cbranch_execz .LBB1973_34
; %bb.29:
	v_cmp_lt_u32_e32 vcc, v37, v7
                                        ; implicit-def: $vgpr18
	s_and_saveexec_b64 s[0:1], vcc
; %bb.30:
	v_lshl_add_u32 v4, v40, 1, v38
	ds_read_u16 v18, v4
; %bb.31:
	s_or_b64 exec, exec, s[0:1]
	v_cmp_ge_u32_e64 s[0:1], v39, v36
	v_cmp_lt_u32_e64 s[2:3], v39, v36
                                        ; implicit-def: $vgpr19
	s_and_saveexec_b64 s[4:5], s[2:3]
; %bb.32:
	v_lshl_add_u32 v4, v39, 1, v31
	ds_read_u16 v19, v4
; %bb.33:
	s_or_b64 exec, exec, s[4:5]
	s_waitcnt lgkmcnt(0)
	v_lshlrev_b32_e32 v4, 16, v18
	v_lshlrev_b32_e32 v5, 16, v19
	v_cmp_nlt_f32_e64 s[2:3], v5, v4
	s_and_b64 s[2:3], vcc, s[2:3]
	s_or_b64 vcc, s[0:1], s[2:3]
	v_cndmask_b32_e32 v4, v39, v37, vcc
	v_cndmask_b32_e32 v5, v36, v7, vcc
	v_add_u32_e32 v6, 1, v4
	v_add_u32_e32 v5, -1, v5
	v_min_u32_e32 v5, v6, v5
	v_lshl_add_u32 v5, v5, 1, v31
	ds_read_u16 v5, v5
	v_lshl_add_u32 v4, v4, 2, v17
	ds_read_b32 v4, v4 offset:2048
	v_cndmask_b32_e32 v9, v6, v39, vcc
	v_cndmask_b32_e32 v6, v37, v6, vcc
	s_waitcnt lgkmcnt(1)
	v_cndmask_b32_e32 v29, v5, v19, vcc
	v_cndmask_b32_e32 v30, v18, v5, vcc
	v_lshlrev_b32_e32 v5, 16, v29
	v_lshlrev_b32_e32 v37, 16, v30
	v_cmp_lt_u32_e64 s[2:3], v6, v7
	v_cmp_nlt_f32_e64 s[4:5], v5, v37
	v_cmp_ge_u32_e64 s[0:1], v9, v36
	s_and_b64 s[2:3], s[2:3], s[4:5]
	s_or_b64 s[0:1], s[0:1], s[2:3]
	v_cndmask_b32_e64 v5, v9, v6, s[0:1]
	v_cndmask_b32_e64 v37, v36, v7, s[0:1]
	v_add_u32_e32 v38, 1, v5
	v_add_u32_e32 v37, -1, v37
	v_min_u32_e32 v37, v38, v37
	v_lshl_add_u32 v37, v37, 1, v31
	ds_read_u16 v37, v37
	v_cndmask_b32_e64 v9, v38, v9, s[0:1]
	v_cndmask_b32_e64 v38, v6, v38, s[0:1]
	v_cmp_lt_u32_e64 s[4:5], v38, v7
	v_cmp_ge_u32_e64 s[2:3], v9, v36
	s_waitcnt lgkmcnt(0)
	v_cndmask_b32_e64 v39, v37, v29, s[0:1]
	v_cndmask_b32_e64 v37, v30, v37, s[0:1]
	v_lshlrev_b32_e32 v6, 16, v39
	v_lshlrev_b32_e32 v40, 16, v37
	v_cmp_nlt_f32_e64 s[8:9], v6, v40
	s_and_b64 s[4:5], s[4:5], s[8:9]
	s_or_b64 s[2:3], s[2:3], s[4:5]
	v_cndmask_b32_e64 v6, v9, v38, s[2:3]
	v_cndmask_b32_e64 v40, v36, v7, s[2:3]
	v_add_u32_e32 v41, 1, v6
	v_add_u32_e32 v40, -1, v40
	v_min_u32_e32 v40, v41, v40
	v_lshl_add_u32 v40, v40, 1, v31
	ds_read_u16 v40, v40
	v_cndmask_b32_e64 v9, v41, v9, s[2:3]
	v_cndmask_b32_e64 v38, v38, v41, s[2:3]
	v_cmp_ge_u32_e64 s[4:5], v9, v36
	v_cmp_lt_u32_e64 s[8:9], v38, v7
	s_waitcnt lgkmcnt(0)
	v_cndmask_b32_e64 v42, v40, v39, s[2:3]
	v_cndmask_b32_e64 v40, v37, v40, s[2:3]
	v_lshlrev_b32_e32 v7, 16, v42
	v_lshlrev_b32_e32 v36, 16, v40
	v_cmp_nlt_f32_e64 s[10:11], v7, v36
	s_and_b64 s[8:9], s[8:9], s[10:11]
	s_or_b64 s[4:5], s[4:5], s[8:9]
	v_cndmask_b32_e64 v7, v9, v38, s[4:5]
	v_lshl_add_u32 v5, v5, 2, v17
	v_lshl_add_u32 v6, v6, 2, v17
	;; [unrolled: 1-line block ×3, first 2 shown]
	ds_read_b32 v5, v5 offset:2048
	ds_read_b32 v6, v6 offset:2048
	;; [unrolled: 1-line block ×3, first 2 shown]
	v_cndmask_b32_e32 v18, v19, v18, vcc
	v_cndmask_b32_e64 v30, v29, v30, s[0:1]
	v_cndmask_b32_e64 v19, v39, v37, s[2:3]
	;; [unrolled: 1-line block ×3, first 2 shown]
.LBB1973_34:
	s_or_b64 exec, exec, s[24:25]
	s_waitcnt lgkmcnt(0)
	v_mov_b32_e32 v7, v9
	v_and_b32_e32 v39, 0x1e0, v33
	; wave barrier
	s_mov_b32 s0, 0x5040100
	ds_write_b128 v34, v[4:7] offset:2048
	v_or_b32_e32 v7, 16, v39
	v_perm_b32 v37, v29, v19, s0
	v_perm_b32 v36, v30, v18, s0
	v_min_u32_e32 v7, v32, v7
	ds_write_b64 v35, v[36:37]
	v_add_u32_e32 v36, 16, v7
	v_min_u32_e32 v36, v32, v36
	v_and_b32_e32 v37, 28, v33
	v_min_u32_e32 v40, v32, v37
	v_sub_u32_e32 v41, v7, v39
	v_sub_u32_e32 v38, v36, v7
	v_sub_u32_e64 v38, v40, v38 clamp
	v_min_u32_e32 v41, v40, v41
	v_lshl_add_u32 v37, v39, 1, v31
	v_cmp_lt_u32_e32 vcc, v38, v41
	; wave barrier
	s_and_saveexec_b64 s[0:1], vcc
	s_cbranch_execz .LBB1973_38
; %bb.35:
	v_lshlrev_b32_e32 v42, 1, v7
	v_lshlrev_b32_e32 v43, 1, v40
	v_add3_u32 v42, v31, v42, v43
	s_mov_b64 s[2:3], 0
.LBB1973_36:                            ; =>This Inner Loop Header: Depth=1
	v_add_u32_e32 v43, v41, v38
	v_lshrrev_b32_e32 v44, 1, v43
	v_and_b32_e32 v43, -2, v43
	v_not_b32_e32 v45, v44
	v_add_u32_e32 v43, v37, v43
	v_lshl_add_u32 v45, v45, 1, v42
	ds_read_u16 v43, v43
	ds_read_u16 v45, v45
	v_add_u32_e32 v46, 1, v44
	s_waitcnt lgkmcnt(1)
	v_lshlrev_b32_e32 v43, 16, v43
	s_waitcnt lgkmcnt(0)
	v_lshlrev_b32_e32 v45, 16, v45
	v_cmp_lt_f32_e32 vcc, v45, v43
	v_cndmask_b32_e32 v41, v41, v44, vcc
	v_cndmask_b32_e32 v38, v46, v38, vcc
	v_cmp_ge_u32_e32 vcc, v38, v41
	s_or_b64 s[2:3], vcc, s[2:3]
	s_andn2_b64 exec, exec, s[2:3]
	s_cbranch_execnz .LBB1973_36
; %bb.37:
	s_or_b64 exec, exec, s[2:3]
.LBB1973_38:
	s_or_b64 exec, exec, s[0:1]
	v_add_u32_e32 v40, v7, v40
	v_add_u32_e32 v39, v38, v39
	v_sub_u32_e32 v40, v40, v38
	v_cmp_le_u32_e32 vcc, v39, v7
	v_cmp_le_u32_e64 s[0:1], v40, v36
	s_or_b64 s[0:1], vcc, s[0:1]
	s_and_saveexec_b64 s[24:25], s[0:1]
	s_cbranch_execz .LBB1973_44
; %bb.39:
	v_cmp_lt_u32_e32 vcc, v39, v7
                                        ; implicit-def: $vgpr18
	s_and_saveexec_b64 s[0:1], vcc
; %bb.40:
	v_lshl_add_u32 v4, v38, 1, v37
	ds_read_u16 v18, v4
; %bb.41:
	s_or_b64 exec, exec, s[0:1]
	v_cmp_ge_u32_e64 s[0:1], v40, v36
	v_cmp_lt_u32_e64 s[2:3], v40, v36
                                        ; implicit-def: $vgpr19
	s_and_saveexec_b64 s[4:5], s[2:3]
; %bb.42:
	v_lshl_add_u32 v4, v40, 1, v31
	ds_read_u16 v19, v4
; %bb.43:
	s_or_b64 exec, exec, s[4:5]
	s_waitcnt lgkmcnt(0)
	v_lshlrev_b32_e32 v4, 16, v18
	v_lshlrev_b32_e32 v5, 16, v19
	v_cmp_nlt_f32_e64 s[2:3], v5, v4
	s_and_b64 s[2:3], vcc, s[2:3]
	s_or_b64 vcc, s[0:1], s[2:3]
	v_cndmask_b32_e32 v4, v40, v39, vcc
	v_cndmask_b32_e32 v5, v36, v7, vcc
	v_add_u32_e32 v6, 1, v4
	v_add_u32_e32 v5, -1, v5
	v_min_u32_e32 v5, v6, v5
	v_lshl_add_u32 v5, v5, 1, v31
	ds_read_u16 v5, v5
	v_lshl_add_u32 v4, v4, 2, v17
	ds_read_b32 v4, v4 offset:2048
	s_waitcnt lgkmcnt(1)
	v_cndmask_b32_e32 v29, v5, v19, vcc
	v_cndmask_b32_e32 v30, v18, v5, vcc
	;; [unrolled: 1-line block ×4, first 2 shown]
	v_lshlrev_b32_e32 v9, 16, v29
	v_lshlrev_b32_e32 v37, 16, v30
	v_cmp_lt_u32_e64 s[2:3], v6, v7
	v_cmp_nlt_f32_e64 s[4:5], v9, v37
	v_cmp_ge_u32_e64 s[0:1], v5, v36
	s_and_b64 s[2:3], s[2:3], s[4:5]
	s_or_b64 s[0:1], s[0:1], s[2:3]
	v_cndmask_b32_e64 v9, v5, v6, s[0:1]
	v_cndmask_b32_e64 v37, v36, v7, s[0:1]
	v_add_u32_e32 v38, 1, v9
	v_add_u32_e32 v37, -1, v37
	v_min_u32_e32 v37, v38, v37
	v_lshl_add_u32 v37, v37, 1, v31
	ds_read_u16 v37, v37
	v_cndmask_b32_e64 v40, v38, v5, s[0:1]
	v_cndmask_b32_e64 v38, v6, v38, s[0:1]
	v_cmp_lt_u32_e64 s[4:5], v38, v7
	v_cmp_ge_u32_e64 s[2:3], v40, v36
	s_waitcnt lgkmcnt(0)
	v_cndmask_b32_e64 v39, v37, v29, s[0:1]
	v_cndmask_b32_e64 v37, v30, v37, s[0:1]
	v_lshlrev_b32_e32 v5, 16, v39
	v_lshlrev_b32_e32 v6, 16, v37
	v_cmp_nlt_f32_e64 s[8:9], v5, v6
	s_and_b64 s[4:5], s[4:5], s[8:9]
	s_or_b64 s[2:3], s[2:3], s[4:5]
	v_cndmask_b32_e64 v6, v40, v38, s[2:3]
	v_cndmask_b32_e64 v5, v36, v7, s[2:3]
	v_add_u32_e32 v41, 1, v6
	v_add_u32_e32 v5, -1, v5
	v_min_u32_e32 v5, v41, v5
	v_lshl_add_u32 v5, v5, 1, v31
	ds_read_u16 v42, v5
	v_lshl_add_u32 v6, v6, 2, v17
	ds_read_b32 v6, v6 offset:2048
	v_lshl_add_u32 v5, v9, 2, v17
	v_cndmask_b32_e64 v9, v41, v40, s[2:3]
	s_waitcnt lgkmcnt(1)
	v_cndmask_b32_e64 v43, v42, v39, s[2:3]
	v_cndmask_b32_e64 v42, v37, v42, s[2:3]
	;; [unrolled: 1-line block ×3, first 2 shown]
	v_cmp_ge_u32_e64 s[4:5], v9, v36
	v_cmp_lt_u32_e64 s[8:9], v38, v7
	v_lshlrev_b32_e32 v7, 16, v43
	v_lshlrev_b32_e32 v36, 16, v42
	v_cmp_nlt_f32_e64 s[10:11], v7, v36
	s_and_b64 s[8:9], s[8:9], s[10:11]
	s_or_b64 s[4:5], s[4:5], s[8:9]
	v_cndmask_b32_e64 v7, v9, v38, s[4:5]
	v_lshl_add_u32 v7, v7, 2, v17
	ds_read_b32 v5, v5 offset:2048
	ds_read_b32 v9, v7 offset:2048
	v_cndmask_b32_e32 v18, v19, v18, vcc
	v_cndmask_b32_e64 v30, v29, v30, s[0:1]
	v_cndmask_b32_e64 v19, v39, v37, s[2:3]
	;; [unrolled: 1-line block ×3, first 2 shown]
.LBB1973_44:
	s_or_b64 exec, exec, s[24:25]
	s_mov_b32 s0, 0x5040100
	v_perm_b32 v37, v29, v19, s0
	v_perm_b32 v36, v30, v18, s0
	; wave barrier
	ds_write_b64 v35, v[36:37]
	s_waitcnt lgkmcnt(1)
	v_mov_b32_e32 v7, v9
	v_and_b32_e32 v35, 0x1c0, v33
	ds_write_b128 v34, v[4:7] offset:2048
	v_or_b32_e32 v7, 32, v35
	v_min_u32_e32 v7, v32, v7
	v_add_u32_e32 v34, 32, v7
	v_min_u32_e32 v34, v32, v34
	v_and_b32_e32 v33, 60, v33
	v_min_u32_e32 v36, v32, v33
	v_sub_u32_e32 v37, v7, v35
	v_sub_u32_e32 v33, v34, v7
	v_sub_u32_e64 v33, v36, v33 clamp
	v_min_u32_e32 v37, v36, v37
	v_lshl_add_u32 v32, v35, 1, v31
	v_cmp_lt_u32_e32 vcc, v33, v37
	; wave barrier
	s_and_saveexec_b64 s[0:1], vcc
	s_cbranch_execz .LBB1973_48
; %bb.45:
	v_lshlrev_b32_e32 v38, 1, v7
	v_lshlrev_b32_e32 v39, 1, v36
	v_add3_u32 v38, v31, v38, v39
	s_mov_b64 s[2:3], 0
.LBB1973_46:                            ; =>This Inner Loop Header: Depth=1
	v_add_u32_e32 v39, v37, v33
	v_lshrrev_b32_e32 v40, 1, v39
	v_and_b32_e32 v39, -2, v39
	v_not_b32_e32 v41, v40
	v_add_u32_e32 v39, v32, v39
	v_lshl_add_u32 v41, v41, 1, v38
	ds_read_u16 v39, v39
	ds_read_u16 v41, v41
	v_add_u32_e32 v42, 1, v40
	s_waitcnt lgkmcnt(1)
	v_lshlrev_b32_e32 v39, 16, v39
	s_waitcnt lgkmcnt(0)
	v_lshlrev_b32_e32 v41, 16, v41
	v_cmp_lt_f32_e32 vcc, v41, v39
	v_cndmask_b32_e32 v37, v37, v40, vcc
	v_cndmask_b32_e32 v33, v42, v33, vcc
	v_cmp_ge_u32_e32 vcc, v33, v37
	s_or_b64 s[2:3], vcc, s[2:3]
	s_andn2_b64 exec, exec, s[2:3]
	s_cbranch_execnz .LBB1973_46
; %bb.47:
	s_or_b64 exec, exec, s[2:3]
.LBB1973_48:
	s_or_b64 exec, exec, s[0:1]
	v_add_u32_e32 v36, v7, v36
	v_add_u32_e32 v35, v33, v35
	v_sub_u32_e32 v36, v36, v33
	v_cmp_le_u32_e32 vcc, v35, v7
	v_cmp_le_u32_e64 s[0:1], v36, v34
	s_or_b64 s[0:1], vcc, s[0:1]
	s_and_saveexec_b64 s[24:25], s[0:1]
	s_cbranch_execz .LBB1973_54
; %bb.49:
	v_cmp_lt_u32_e32 vcc, v35, v7
                                        ; implicit-def: $vgpr18
	s_and_saveexec_b64 s[0:1], vcc
; %bb.50:
	v_lshl_add_u32 v4, v33, 1, v32
	ds_read_u16 v18, v4
; %bb.51:
	s_or_b64 exec, exec, s[0:1]
	v_cmp_ge_u32_e64 s[0:1], v36, v34
	v_cmp_lt_u32_e64 s[2:3], v36, v34
                                        ; implicit-def: $vgpr19
	s_and_saveexec_b64 s[4:5], s[2:3]
; %bb.52:
	v_lshl_add_u32 v4, v36, 1, v31
	ds_read_u16 v19, v4
; %bb.53:
	s_or_b64 exec, exec, s[4:5]
	s_waitcnt lgkmcnt(0)
	v_lshlrev_b32_e32 v4, 16, v18
	v_lshlrev_b32_e32 v5, 16, v19
	v_cmp_nlt_f32_e64 s[2:3], v5, v4
	s_and_b64 s[2:3], vcc, s[2:3]
	s_or_b64 vcc, s[0:1], s[2:3]
	v_cndmask_b32_e32 v4, v36, v35, vcc
	v_cndmask_b32_e32 v5, v34, v7, vcc
	v_add_u32_e32 v6, 1, v4
	v_add_u32_e32 v5, -1, v5
	v_min_u32_e32 v5, v6, v5
	v_lshl_add_u32 v5, v5, 1, v31
	ds_read_u16 v5, v5
	v_lshl_add_u32 v4, v4, 2, v17
	ds_read_b32 v4, v4 offset:2048
	s_waitcnt lgkmcnt(1)
	v_cndmask_b32_e32 v29, v5, v19, vcc
	v_cndmask_b32_e32 v30, v18, v5, vcc
	;; [unrolled: 1-line block ×4, first 2 shown]
	v_lshlrev_b32_e32 v9, 16, v29
	v_lshlrev_b32_e32 v32, 16, v30
	v_cmp_lt_u32_e64 s[2:3], v6, v7
	v_cmp_nlt_f32_e64 s[4:5], v9, v32
	v_cmp_ge_u32_e64 s[0:1], v5, v34
	s_and_b64 s[2:3], s[2:3], s[4:5]
	s_or_b64 s[0:1], s[0:1], s[2:3]
	v_cndmask_b32_e64 v9, v5, v6, s[0:1]
	v_cndmask_b32_e64 v32, v34, v7, s[0:1]
	v_add_u32_e32 v33, 1, v9
	v_add_u32_e32 v32, -1, v32
	v_min_u32_e32 v32, v33, v32
	v_lshl_add_u32 v32, v32, 1, v31
	ds_read_u16 v32, v32
	v_cndmask_b32_e64 v36, v33, v5, s[0:1]
	v_cndmask_b32_e64 v33, v6, v33, s[0:1]
	v_cmp_lt_u32_e64 s[4:5], v33, v7
	v_cmp_ge_u32_e64 s[2:3], v36, v34
	s_waitcnt lgkmcnt(0)
	v_cndmask_b32_e64 v35, v32, v29, s[0:1]
	v_cndmask_b32_e64 v32, v30, v32, s[0:1]
	v_lshlrev_b32_e32 v5, 16, v35
	v_lshlrev_b32_e32 v6, 16, v32
	v_cmp_nlt_f32_e64 s[8:9], v5, v6
	s_and_b64 s[4:5], s[4:5], s[8:9]
	s_or_b64 s[2:3], s[2:3], s[4:5]
	v_cndmask_b32_e64 v6, v36, v33, s[2:3]
	v_cndmask_b32_e64 v5, v34, v7, s[2:3]
	v_add_u32_e32 v37, 1, v6
	v_add_u32_e32 v5, -1, v5
	v_min_u32_e32 v5, v37, v5
	v_lshl_add_u32 v5, v5, 1, v31
	ds_read_u16 v31, v5
	v_lshl_add_u32 v6, v6, 2, v17
	ds_read_b32 v6, v6 offset:2048
	v_lshl_add_u32 v5, v9, 2, v17
	v_cndmask_b32_e64 v9, v37, v36, s[2:3]
	s_waitcnt lgkmcnt(1)
	v_cndmask_b32_e64 v38, v31, v35, s[2:3]
	v_cndmask_b32_e64 v31, v32, v31, s[2:3]
	v_cndmask_b32_e64 v33, v33, v37, s[2:3]
	v_cmp_ge_u32_e64 s[4:5], v9, v34
	v_cmp_lt_u32_e64 s[8:9], v33, v7
	v_lshlrev_b32_e32 v7, 16, v38
	v_lshlrev_b32_e32 v34, 16, v31
	v_cmp_nlt_f32_e64 s[10:11], v7, v34
	s_and_b64 s[8:9], s[8:9], s[10:11]
	s_or_b64 s[4:5], s[4:5], s[8:9]
	v_cndmask_b32_e64 v7, v9, v33, s[4:5]
	v_lshl_add_u32 v7, v7, 2, v17
	ds_read_b32 v5, v5 offset:2048
	ds_read_b32 v9, v7 offset:2048
	v_cndmask_b32_e32 v18, v19, v18, vcc
	v_cndmask_b32_e64 v30, v29, v30, s[0:1]
	v_cndmask_b32_e64 v19, v35, v32, s[2:3]
	;; [unrolled: 1-line block ×3, first 2 shown]
.LBB1973_54:
	s_or_b64 exec, exec, s[24:25]
	v_lshlrev_b32_e32 v31, 1, v21
	s_mov_b32 s0, 0x5040100
	v_add_u32_e32 v17, v31, v20
	v_perm_b32 v33, v29, v19, s0
	v_perm_b32 v32, v30, v18, s0
	s_waitcnt lgkmcnt(0)
	v_mov_b32_e32 v7, v9
	v_and_b32_e32 v35, 0x380, v21
	; wave barrier
	s_barrier
	ds_write_b64 v31, v[32:33]
	ds_write_b128 v17, v[4:7] offset:2048
	v_or_b32_e32 v7, 64, v35
	v_add_u32_e32 v32, 0x80, v35
	v_and_b32_e32 v36, 0x7c, v21
	v_sub_u32_e32 v37, v7, v35
	v_sub_u32_e32 v34, v32, v7
	v_sub_u32_e64 v34, v36, v34 clamp
	v_min_u32_e32 v37, v36, v37
	v_lshlrev_b32_e32 v33, 1, v35
	v_cmp_lt_u32_e32 vcc, v34, v37
	s_waitcnt lgkmcnt(0)
	s_barrier
	s_and_saveexec_b64 s[0:1], vcc
	s_cbranch_execz .LBB1973_58
; %bb.55:
	v_lshlrev_b32_e32 v38, 1, v36
	v_lshl_add_u32 v38, v7, 1, v38
	s_mov_b64 s[2:3], 0
.LBB1973_56:                            ; =>This Inner Loop Header: Depth=1
	v_add_u32_e32 v39, v37, v34
	v_lshrrev_b32_e32 v40, 1, v39
	v_and_b32_e32 v39, -2, v39
	v_not_b32_e32 v41, v40
	v_add_u32_e32 v39, v33, v39
	v_lshl_add_u32 v41, v41, 1, v38
	ds_read_u16 v39, v39
	ds_read_u16 v41, v41
	v_add_u32_e32 v42, 1, v40
	s_waitcnt lgkmcnt(1)
	v_lshlrev_b32_e32 v39, 16, v39
	s_waitcnt lgkmcnt(0)
	v_lshlrev_b32_e32 v41, 16, v41
	v_cmp_lt_f32_e32 vcc, v41, v39
	v_cndmask_b32_e32 v37, v37, v40, vcc
	v_cndmask_b32_e32 v34, v42, v34, vcc
	v_cmp_ge_u32_e32 vcc, v34, v37
	s_or_b64 s[2:3], vcc, s[2:3]
	s_andn2_b64 exec, exec, s[2:3]
	s_cbranch_execnz .LBB1973_56
; %bb.57:
	s_or_b64 exec, exec, s[2:3]
.LBB1973_58:
	s_or_b64 exec, exec, s[0:1]
	v_sub_u32_e32 v36, v36, v34
	v_add_u32_e32 v35, v34, v35
	v_add_u32_e32 v36, v36, v7
	v_cmp_le_u32_e32 vcc, v35, v7
	v_cmp_le_u32_e64 s[0:1], v36, v32
	s_or_b64 s[0:1], vcc, s[0:1]
	s_and_saveexec_b64 s[24:25], s[0:1]
	s_cbranch_execz .LBB1973_64
; %bb.59:
	v_cmp_lt_u32_e32 vcc, v35, v7
                                        ; implicit-def: $vgpr18
	s_and_saveexec_b64 s[0:1], vcc
; %bb.60:
	v_lshl_add_u32 v4, v34, 1, v33
	ds_read_u16 v18, v4
; %bb.61:
	s_or_b64 exec, exec, s[0:1]
	v_cmp_ge_u32_e64 s[0:1], v36, v32
	v_cmp_lt_u32_e64 s[2:3], v36, v32
                                        ; implicit-def: $vgpr19
	s_and_saveexec_b64 s[4:5], s[2:3]
; %bb.62:
	v_lshlrev_b32_e32 v4, 1, v36
	ds_read_u16 v19, v4
; %bb.63:
	s_or_b64 exec, exec, s[4:5]
	s_waitcnt lgkmcnt(0)
	v_lshlrev_b32_e32 v4, 16, v18
	v_lshlrev_b32_e32 v5, 16, v19
	v_cmp_nlt_f32_e64 s[2:3], v5, v4
	s_and_b64 s[2:3], vcc, s[2:3]
	s_or_b64 vcc, s[0:1], s[2:3]
	v_cndmask_b32_e32 v4, v36, v35, vcc
	v_cndmask_b32_e32 v5, v32, v7, vcc
	v_add_u32_e32 v6, 1, v4
	v_add_u32_e32 v5, -1, v5
	v_min_u32_e32 v5, v6, v5
	v_lshlrev_b32_e32 v5, 1, v5
	ds_read_u16 v5, v5
	v_lshlrev_b32_e32 v4, 2, v4
	ds_read_b32 v4, v4 offset:2048
	s_waitcnt lgkmcnt(1)
	v_cndmask_b32_e32 v29, v5, v19, vcc
	v_cndmask_b32_e32 v30, v18, v5, vcc
	;; [unrolled: 1-line block ×4, first 2 shown]
	v_lshlrev_b32_e32 v9, 16, v29
	v_lshlrev_b32_e32 v33, 16, v30
	v_cmp_lt_u32_e64 s[2:3], v6, v7
	v_cmp_nlt_f32_e64 s[4:5], v9, v33
	v_cmp_ge_u32_e64 s[0:1], v5, v32
	s_and_b64 s[2:3], s[2:3], s[4:5]
	s_or_b64 s[0:1], s[0:1], s[2:3]
	v_cndmask_b32_e64 v9, v5, v6, s[0:1]
	v_cndmask_b32_e64 v33, v32, v7, s[0:1]
	v_add_u32_e32 v34, 1, v9
	v_add_u32_e32 v33, -1, v33
	v_min_u32_e32 v33, v34, v33
	v_lshlrev_b32_e32 v33, 1, v33
	ds_read_u16 v33, v33
	v_cndmask_b32_e64 v36, v34, v5, s[0:1]
	v_cndmask_b32_e64 v34, v6, v34, s[0:1]
	v_cmp_lt_u32_e64 s[4:5], v34, v7
	v_cmp_ge_u32_e64 s[2:3], v36, v32
	s_waitcnt lgkmcnt(0)
	v_cndmask_b32_e64 v35, v33, v29, s[0:1]
	v_cndmask_b32_e64 v33, v30, v33, s[0:1]
	v_lshlrev_b32_e32 v5, 16, v35
	v_lshlrev_b32_e32 v6, 16, v33
	v_cmp_nlt_f32_e64 s[8:9], v5, v6
	s_and_b64 s[4:5], s[4:5], s[8:9]
	s_or_b64 s[2:3], s[2:3], s[4:5]
	v_cndmask_b32_e64 v6, v36, v34, s[2:3]
	v_cndmask_b32_e64 v5, v32, v7, s[2:3]
	v_add_u32_e32 v37, 1, v6
	v_add_u32_e32 v5, -1, v5
	v_min_u32_e32 v5, v37, v5
	v_lshlrev_b32_e32 v5, 1, v5
	ds_read_u16 v38, v5
	v_lshlrev_b32_e32 v6, 2, v6
	ds_read_b32 v6, v6 offset:2048
	v_lshlrev_b32_e32 v5, 2, v9
	v_cndmask_b32_e64 v9, v37, v36, s[2:3]
	s_waitcnt lgkmcnt(1)
	v_cndmask_b32_e64 v39, v38, v35, s[2:3]
	v_cndmask_b32_e64 v38, v33, v38, s[2:3]
	;; [unrolled: 1-line block ×3, first 2 shown]
	v_cmp_ge_u32_e64 s[4:5], v9, v32
	v_cmp_lt_u32_e64 s[8:9], v34, v7
	v_lshlrev_b32_e32 v7, 16, v39
	v_lshlrev_b32_e32 v32, 16, v38
	v_cmp_nlt_f32_e64 s[10:11], v7, v32
	s_and_b64 s[8:9], s[8:9], s[10:11]
	s_or_b64 s[4:5], s[4:5], s[8:9]
	v_cndmask_b32_e64 v7, v9, v34, s[4:5]
	v_lshlrev_b32_e32 v7, 2, v7
	ds_read_b32 v5, v5 offset:2048
	ds_read_b32 v9, v7 offset:2048
	v_cndmask_b32_e32 v18, v19, v18, vcc
	v_cndmask_b32_e64 v30, v29, v30, s[0:1]
	v_cndmask_b32_e64 v19, v35, v33, s[2:3]
	;; [unrolled: 1-line block ×3, first 2 shown]
.LBB1973_64:
	s_or_b64 exec, exec, s[24:25]
	s_mov_b32 s0, 0x5040100
	v_perm_b32 v33, v29, v19, s0
	v_perm_b32 v32, v30, v18, s0
	s_waitcnt lgkmcnt(0)
	v_mov_b32_e32 v7, v9
	v_and_b32_e32 v35, 0x300, v21
	s_barrier
	ds_write_b64 v31, v[32:33]
	ds_write_b128 v17, v[4:7] offset:2048
	v_or_b32_e32 v7, 0x80, v35
	v_add_u32_e32 v32, 0x100, v35
	v_and_b32_e32 v36, 0xfc, v21
	v_sub_u32_e32 v37, v7, v35
	v_sub_u32_e32 v34, v32, v7
	v_sub_u32_e64 v34, v36, v34 clamp
	v_min_u32_e32 v37, v36, v37
	v_lshlrev_b32_e32 v33, 1, v35
	v_cmp_lt_u32_e32 vcc, v34, v37
	s_waitcnt lgkmcnt(0)
	s_barrier
	s_and_saveexec_b64 s[0:1], vcc
	s_cbranch_execz .LBB1973_68
; %bb.65:
	v_lshlrev_b32_e32 v38, 1, v36
	v_lshl_add_u32 v38, v7, 1, v38
	s_mov_b64 s[2:3], 0
.LBB1973_66:                            ; =>This Inner Loop Header: Depth=1
	v_add_u32_e32 v39, v37, v34
	v_lshrrev_b32_e32 v40, 1, v39
	v_and_b32_e32 v39, -2, v39
	v_not_b32_e32 v41, v40
	v_add_u32_e32 v39, v33, v39
	v_lshl_add_u32 v41, v41, 1, v38
	ds_read_u16 v39, v39
	ds_read_u16 v41, v41
	v_add_u32_e32 v42, 1, v40
	s_waitcnt lgkmcnt(1)
	v_lshlrev_b32_e32 v39, 16, v39
	s_waitcnt lgkmcnt(0)
	v_lshlrev_b32_e32 v41, 16, v41
	v_cmp_lt_f32_e32 vcc, v41, v39
	v_cndmask_b32_e32 v37, v37, v40, vcc
	v_cndmask_b32_e32 v34, v42, v34, vcc
	v_cmp_ge_u32_e32 vcc, v34, v37
	s_or_b64 s[2:3], vcc, s[2:3]
	s_andn2_b64 exec, exec, s[2:3]
	s_cbranch_execnz .LBB1973_66
; %bb.67:
	s_or_b64 exec, exec, s[2:3]
.LBB1973_68:
	s_or_b64 exec, exec, s[0:1]
	v_sub_u32_e32 v36, v36, v34
	v_add_u32_e32 v35, v34, v35
	v_add_u32_e32 v36, v36, v7
	v_cmp_le_u32_e32 vcc, v35, v7
	v_cmp_le_u32_e64 s[0:1], v36, v32
	s_or_b64 s[0:1], vcc, s[0:1]
	s_and_saveexec_b64 s[24:25], s[0:1]
	s_cbranch_execz .LBB1973_74
; %bb.69:
	v_cmp_lt_u32_e32 vcc, v35, v7
                                        ; implicit-def: $vgpr18
	s_and_saveexec_b64 s[0:1], vcc
; %bb.70:
	v_lshl_add_u32 v4, v34, 1, v33
	ds_read_u16 v18, v4
; %bb.71:
	s_or_b64 exec, exec, s[0:1]
	v_cmp_ge_u32_e64 s[0:1], v36, v32
	v_cmp_lt_u32_e64 s[2:3], v36, v32
                                        ; implicit-def: $vgpr19
	s_and_saveexec_b64 s[4:5], s[2:3]
; %bb.72:
	v_lshlrev_b32_e32 v4, 1, v36
	ds_read_u16 v19, v4
; %bb.73:
	s_or_b64 exec, exec, s[4:5]
	s_waitcnt lgkmcnt(0)
	v_lshlrev_b32_e32 v4, 16, v18
	v_lshlrev_b32_e32 v5, 16, v19
	v_cmp_nlt_f32_e64 s[2:3], v5, v4
	s_and_b64 s[2:3], vcc, s[2:3]
	s_or_b64 vcc, s[0:1], s[2:3]
	v_cndmask_b32_e32 v4, v36, v35, vcc
	v_cndmask_b32_e32 v5, v32, v7, vcc
	v_add_u32_e32 v6, 1, v4
	v_add_u32_e32 v5, -1, v5
	v_min_u32_e32 v5, v6, v5
	v_lshlrev_b32_e32 v5, 1, v5
	ds_read_u16 v5, v5
	v_lshlrev_b32_e32 v4, 2, v4
	ds_read_b32 v4, v4 offset:2048
	s_waitcnt lgkmcnt(1)
	v_cndmask_b32_e32 v29, v5, v19, vcc
	v_cndmask_b32_e32 v30, v18, v5, vcc
	;; [unrolled: 1-line block ×4, first 2 shown]
	v_lshlrev_b32_e32 v9, 16, v29
	v_lshlrev_b32_e32 v33, 16, v30
	v_cmp_lt_u32_e64 s[2:3], v6, v7
	v_cmp_nlt_f32_e64 s[4:5], v9, v33
	v_cmp_ge_u32_e64 s[0:1], v5, v32
	s_and_b64 s[2:3], s[2:3], s[4:5]
	s_or_b64 s[0:1], s[0:1], s[2:3]
	v_cndmask_b32_e64 v9, v5, v6, s[0:1]
	v_cndmask_b32_e64 v33, v32, v7, s[0:1]
	v_add_u32_e32 v34, 1, v9
	v_add_u32_e32 v33, -1, v33
	v_min_u32_e32 v33, v34, v33
	v_lshlrev_b32_e32 v33, 1, v33
	ds_read_u16 v33, v33
	v_cndmask_b32_e64 v36, v34, v5, s[0:1]
	v_cndmask_b32_e64 v34, v6, v34, s[0:1]
	v_cmp_lt_u32_e64 s[4:5], v34, v7
	v_cmp_ge_u32_e64 s[2:3], v36, v32
	s_waitcnt lgkmcnt(0)
	v_cndmask_b32_e64 v35, v33, v29, s[0:1]
	v_cndmask_b32_e64 v33, v30, v33, s[0:1]
	v_lshlrev_b32_e32 v5, 16, v35
	v_lshlrev_b32_e32 v6, 16, v33
	v_cmp_nlt_f32_e64 s[8:9], v5, v6
	s_and_b64 s[4:5], s[4:5], s[8:9]
	s_or_b64 s[2:3], s[2:3], s[4:5]
	v_cndmask_b32_e64 v6, v36, v34, s[2:3]
	v_cndmask_b32_e64 v5, v32, v7, s[2:3]
	v_add_u32_e32 v37, 1, v6
	v_add_u32_e32 v5, -1, v5
	v_min_u32_e32 v5, v37, v5
	v_lshlrev_b32_e32 v5, 1, v5
	ds_read_u16 v38, v5
	v_lshlrev_b32_e32 v6, 2, v6
	ds_read_b32 v6, v6 offset:2048
	v_lshlrev_b32_e32 v5, 2, v9
	v_cndmask_b32_e64 v9, v37, v36, s[2:3]
	s_waitcnt lgkmcnt(1)
	v_cndmask_b32_e64 v39, v38, v35, s[2:3]
	v_cndmask_b32_e64 v38, v33, v38, s[2:3]
	;; [unrolled: 1-line block ×3, first 2 shown]
	v_cmp_ge_u32_e64 s[4:5], v9, v32
	v_cmp_lt_u32_e64 s[8:9], v34, v7
	v_lshlrev_b32_e32 v7, 16, v39
	v_lshlrev_b32_e32 v32, 16, v38
	v_cmp_nlt_f32_e64 s[10:11], v7, v32
	s_and_b64 s[8:9], s[8:9], s[10:11]
	s_or_b64 s[4:5], s[4:5], s[8:9]
	v_cndmask_b32_e64 v7, v9, v34, s[4:5]
	v_lshlrev_b32_e32 v7, 2, v7
	ds_read_b32 v5, v5 offset:2048
	ds_read_b32 v9, v7 offset:2048
	v_cndmask_b32_e32 v18, v19, v18, vcc
	v_cndmask_b32_e64 v30, v29, v30, s[0:1]
	v_cndmask_b32_e64 v19, v35, v33, s[2:3]
	;; [unrolled: 1-line block ×3, first 2 shown]
.LBB1973_74:
	s_or_b64 exec, exec, s[24:25]
	s_mov_b32 s0, 0x5040100
	v_perm_b32 v33, v29, v19, s0
	v_perm_b32 v32, v30, v18, s0
	s_waitcnt lgkmcnt(0)
	v_mov_b32_e32 v7, v9
	v_and_b32_e32 v35, 0x200, v21
	s_barrier
	ds_write_b64 v31, v[32:33]
	ds_write_b128 v17, v[4:7] offset:2048
	v_or_b32_e32 v7, 0x100, v35
	v_add_u32_e32 v32, 0x200, v35
	v_and_b32_e32 v36, 0x1fc, v21
	v_sub_u32_e32 v37, v7, v35
	v_sub_u32_e32 v34, v32, v7
	v_sub_u32_e64 v34, v36, v34 clamp
	v_min_u32_e32 v37, v36, v37
	v_lshlrev_b32_e32 v33, 1, v35
	v_cmp_lt_u32_e32 vcc, v34, v37
	s_waitcnt lgkmcnt(0)
	s_barrier
	s_and_saveexec_b64 s[0:1], vcc
	s_cbranch_execz .LBB1973_78
; %bb.75:
	v_lshlrev_b32_e32 v38, 1, v36
	v_lshl_add_u32 v38, v7, 1, v38
	s_mov_b64 s[2:3], 0
.LBB1973_76:                            ; =>This Inner Loop Header: Depth=1
	v_add_u32_e32 v39, v37, v34
	v_lshrrev_b32_e32 v40, 1, v39
	v_and_b32_e32 v39, -2, v39
	v_not_b32_e32 v41, v40
	v_add_u32_e32 v39, v33, v39
	v_lshl_add_u32 v41, v41, 1, v38
	ds_read_u16 v39, v39
	ds_read_u16 v41, v41
	v_add_u32_e32 v42, 1, v40
	s_waitcnt lgkmcnt(1)
	v_lshlrev_b32_e32 v39, 16, v39
	s_waitcnt lgkmcnt(0)
	v_lshlrev_b32_e32 v41, 16, v41
	v_cmp_lt_f32_e32 vcc, v41, v39
	v_cndmask_b32_e32 v37, v37, v40, vcc
	v_cndmask_b32_e32 v34, v42, v34, vcc
	v_cmp_ge_u32_e32 vcc, v34, v37
	s_or_b64 s[2:3], vcc, s[2:3]
	s_andn2_b64 exec, exec, s[2:3]
	s_cbranch_execnz .LBB1973_76
; %bb.77:
	s_or_b64 exec, exec, s[2:3]
.LBB1973_78:
	s_or_b64 exec, exec, s[0:1]
	v_sub_u32_e32 v36, v36, v34
	v_add_u32_e32 v35, v34, v35
	v_add_u32_e32 v36, v36, v7
	v_cmp_le_u32_e32 vcc, v35, v7
	v_cmp_le_u32_e64 s[0:1], v36, v32
	s_or_b64 s[0:1], vcc, s[0:1]
	s_and_saveexec_b64 s[24:25], s[0:1]
	s_cbranch_execz .LBB1973_84
; %bb.79:
	v_cmp_lt_u32_e32 vcc, v35, v7
                                        ; implicit-def: $vgpr18
	s_and_saveexec_b64 s[0:1], vcc
; %bb.80:
	v_lshl_add_u32 v4, v34, 1, v33
	ds_read_u16 v18, v4
; %bb.81:
	s_or_b64 exec, exec, s[0:1]
	v_cmp_ge_u32_e64 s[0:1], v36, v32
	v_cmp_lt_u32_e64 s[2:3], v36, v32
                                        ; implicit-def: $vgpr19
	s_and_saveexec_b64 s[4:5], s[2:3]
; %bb.82:
	v_lshlrev_b32_e32 v4, 1, v36
	ds_read_u16 v19, v4
; %bb.83:
	s_or_b64 exec, exec, s[4:5]
	s_waitcnt lgkmcnt(0)
	v_lshlrev_b32_e32 v4, 16, v18
	v_lshlrev_b32_e32 v5, 16, v19
	v_cmp_nlt_f32_e64 s[2:3], v5, v4
	s_and_b64 s[2:3], vcc, s[2:3]
	s_or_b64 vcc, s[0:1], s[2:3]
	v_cndmask_b32_e32 v4, v36, v35, vcc
	v_cndmask_b32_e32 v5, v32, v7, vcc
	v_add_u32_e32 v6, 1, v4
	v_add_u32_e32 v5, -1, v5
	v_min_u32_e32 v5, v6, v5
	v_lshlrev_b32_e32 v5, 1, v5
	ds_read_u16 v5, v5
	v_lshlrev_b32_e32 v4, 2, v4
	ds_read_b32 v4, v4 offset:2048
	s_waitcnt lgkmcnt(1)
	v_cndmask_b32_e32 v29, v5, v19, vcc
	v_cndmask_b32_e32 v30, v18, v5, vcc
	;; [unrolled: 1-line block ×4, first 2 shown]
	v_lshlrev_b32_e32 v9, 16, v29
	v_lshlrev_b32_e32 v33, 16, v30
	v_cmp_lt_u32_e64 s[2:3], v6, v7
	v_cmp_nlt_f32_e64 s[4:5], v9, v33
	v_cmp_ge_u32_e64 s[0:1], v5, v32
	s_and_b64 s[2:3], s[2:3], s[4:5]
	s_or_b64 s[0:1], s[0:1], s[2:3]
	v_cndmask_b32_e64 v9, v5, v6, s[0:1]
	v_cndmask_b32_e64 v33, v32, v7, s[0:1]
	v_add_u32_e32 v34, 1, v9
	v_add_u32_e32 v33, -1, v33
	v_min_u32_e32 v33, v34, v33
	v_lshlrev_b32_e32 v33, 1, v33
	ds_read_u16 v33, v33
	v_cndmask_b32_e64 v36, v34, v5, s[0:1]
	v_cndmask_b32_e64 v34, v6, v34, s[0:1]
	v_cmp_lt_u32_e64 s[4:5], v34, v7
	v_cmp_ge_u32_e64 s[2:3], v36, v32
	s_waitcnt lgkmcnt(0)
	v_cndmask_b32_e64 v35, v33, v29, s[0:1]
	v_cndmask_b32_e64 v33, v30, v33, s[0:1]
	v_lshlrev_b32_e32 v5, 16, v35
	v_lshlrev_b32_e32 v6, 16, v33
	v_cmp_nlt_f32_e64 s[8:9], v5, v6
	s_and_b64 s[4:5], s[4:5], s[8:9]
	s_or_b64 s[2:3], s[2:3], s[4:5]
	v_cndmask_b32_e64 v6, v36, v34, s[2:3]
	v_cndmask_b32_e64 v5, v32, v7, s[2:3]
	v_add_u32_e32 v37, 1, v6
	v_add_u32_e32 v5, -1, v5
	v_min_u32_e32 v5, v37, v5
	v_lshlrev_b32_e32 v5, 1, v5
	ds_read_u16 v38, v5
	v_lshlrev_b32_e32 v6, 2, v6
	ds_read_b32 v6, v6 offset:2048
	v_lshlrev_b32_e32 v5, 2, v9
	v_cndmask_b32_e64 v9, v37, v36, s[2:3]
	s_waitcnt lgkmcnt(1)
	v_cndmask_b32_e64 v39, v38, v35, s[2:3]
	v_cndmask_b32_e64 v38, v33, v38, s[2:3]
	;; [unrolled: 1-line block ×3, first 2 shown]
	v_cmp_ge_u32_e64 s[4:5], v9, v32
	v_cmp_lt_u32_e64 s[8:9], v34, v7
	v_lshlrev_b32_e32 v7, 16, v39
	v_lshlrev_b32_e32 v32, 16, v38
	v_cmp_nlt_f32_e64 s[10:11], v7, v32
	s_and_b64 s[8:9], s[8:9], s[10:11]
	s_or_b64 s[4:5], s[4:5], s[8:9]
	v_cndmask_b32_e64 v7, v9, v34, s[4:5]
	v_lshlrev_b32_e32 v7, 2, v7
	ds_read_b32 v5, v5 offset:2048
	ds_read_b32 v9, v7 offset:2048
	v_cndmask_b32_e32 v18, v19, v18, vcc
	v_cndmask_b32_e64 v30, v29, v30, s[0:1]
	v_cndmask_b32_e64 v19, v35, v33, s[2:3]
	;; [unrolled: 1-line block ×3, first 2 shown]
.LBB1973_84:
	s_or_b64 exec, exec, s[24:25]
	s_mov_b32 s0, 0x5040100
	v_perm_b32 v33, v29, v19, s0
	v_perm_b32 v32, v30, v18, s0
	s_waitcnt lgkmcnt(0)
	v_mov_b32_e32 v7, v9
	s_barrier
	ds_write_b64 v31, v[32:33]
	ds_write_b128 v17, v[4:7] offset:2048
	v_mov_b32_e32 v7, 0x200
	v_and_b32_e32 v31, 0x3fc, v21
	v_sub_u32_e64 v17, v31, v7 clamp
	v_min_u32_e32 v32, 0x200, v31
	v_cmp_lt_u32_e32 vcc, v17, v32
	s_waitcnt lgkmcnt(0)
	s_barrier
	s_and_saveexec_b64 s[0:1], vcc
	s_cbranch_execz .LBB1973_88
; %bb.85:
	v_lshlrev_b32_e32 v33, 1, v31
	v_lshl_add_u32 v33, v7, 1, v33
	s_mov_b64 s[2:3], 0
.LBB1973_86:                            ; =>This Inner Loop Header: Depth=1
	v_add_u32_e32 v34, v32, v17
	v_lshrrev_b32_e32 v35, 1, v34
	v_not_b32_e32 v36, v35
	v_and_b32_e32 v34, -2, v34
	v_lshl_add_u32 v36, v36, 1, v33
	ds_read_u16 v34, v34
	ds_read_u16 v36, v36
	v_add_u32_e32 v37, 1, v35
	s_waitcnt lgkmcnt(1)
	v_lshlrev_b32_e32 v34, 16, v34
	s_waitcnt lgkmcnt(0)
	v_lshlrev_b32_e32 v36, 16, v36
	v_cmp_lt_f32_e32 vcc, v36, v34
	v_cndmask_b32_e32 v32, v32, v35, vcc
	v_cndmask_b32_e32 v17, v37, v17, vcc
	v_cmp_ge_u32_e32 vcc, v17, v32
	s_or_b64 s[2:3], vcc, s[2:3]
	s_andn2_b64 exec, exec, s[2:3]
	s_cbranch_execnz .LBB1973_86
; %bb.87:
	s_or_b64 exec, exec, s[2:3]
.LBB1973_88:
	s_or_b64 exec, exec, s[0:1]
	v_sub_u32_e32 v31, v31, v17
	v_add_u32_e32 v31, 0x200, v31
	s_movk_i32 s0, 0x401
	v_cmp_le_u32_e32 vcc, v17, v7
	v_cmp_gt_u32_e64 s[0:1], s0, v31
	s_or_b64 s[0:1], vcc, s[0:1]
	s_and_saveexec_b64 s[24:25], s[0:1]
	s_cbranch_execz .LBB1973_94
; %bb.89:
	v_cmp_lt_u32_e32 vcc, v17, v7
                                        ; implicit-def: $vgpr18
	s_and_saveexec_b64 s[0:1], vcc
; %bb.90:
	v_lshlrev_b32_e32 v4, 1, v17
	ds_read_u16 v18, v4
; %bb.91:
	s_or_b64 exec, exec, s[0:1]
	s_movk_i32 s7, 0x3ff
	s_movk_i32 s2, 0x400
	v_cmp_lt_u32_e64 s[0:1], s7, v31
	v_cmp_gt_u32_e64 s[2:3], s2, v31
                                        ; implicit-def: $vgpr19
	s_and_saveexec_b64 s[4:5], s[2:3]
; %bb.92:
	v_lshlrev_b32_e32 v4, 1, v31
	ds_read_u16 v19, v4
; %bb.93:
	s_or_b64 exec, exec, s[4:5]
	s_waitcnt lgkmcnt(0)
	v_lshlrev_b32_e32 v4, 16, v18
	v_lshlrev_b32_e32 v5, 16, v19
	v_cmp_nlt_f32_e64 s[2:3], v5, v4
	s_and_b64 s[2:3], vcc, s[2:3]
	s_or_b64 vcc, s[0:1], s[2:3]
	v_cndmask_b32_e32 v4, v31, v17, vcc
	v_add_u32_e32 v6, -1, v7
	v_mov_b32_e32 v9, 0x3ff
	v_add_u32_e32 v5, 1, v4
	v_cndmask_b32_e32 v29, v9, v6, vcc
	v_min_u32_e32 v29, v5, v29
	v_lshlrev_b32_e32 v29, 1, v29
	ds_read_u16 v29, v29
	v_cndmask_b32_e32 v31, v5, v31, vcc
	v_cndmask_b32_e32 v5, v17, v5, vcc
	v_cmp_lt_u32_e64 s[2:3], v5, v7
	v_cmp_lt_u32_e64 s[0:1], s7, v31
	s_waitcnt lgkmcnt(0)
	v_cndmask_b32_e32 v30, v29, v19, vcc
	v_cndmask_b32_e32 v29, v18, v29, vcc
	v_lshlrev_b32_e32 v17, 16, v30
	v_lshlrev_b32_e32 v32, 16, v29
	v_cmp_nlt_f32_e64 s[4:5], v17, v32
	s_and_b64 s[2:3], s[2:3], s[4:5]
	s_or_b64 s[0:1], s[0:1], s[2:3]
	v_cndmask_b32_e64 v17, v31, v5, s[0:1]
	v_add_u32_e32 v32, 1, v17
	v_cndmask_b32_e64 v33, v9, v6, s[0:1]
	v_min_u32_e32 v33, v32, v33
	v_lshlrev_b32_e32 v33, 1, v33
	ds_read_u16 v33, v33
	v_cndmask_b32_e64 v31, v32, v31, s[0:1]
	v_cndmask_b32_e64 v32, v5, v32, s[0:1]
	v_cmp_lt_u32_e64 s[4:5], v32, v7
	v_cmp_lt_u32_e64 s[2:3], s7, v31
	s_waitcnt lgkmcnt(0)
	v_cndmask_b32_e64 v34, v33, v30, s[0:1]
	v_cndmask_b32_e64 v33, v29, v33, s[0:1]
	v_lshlrev_b32_e32 v5, 16, v34
	v_lshlrev_b32_e32 v35, 16, v33
	v_cmp_nlt_f32_e64 s[8:9], v5, v35
	s_and_b64 s[4:5], s[4:5], s[8:9]
	s_or_b64 s[2:3], s[2:3], s[4:5]
	v_cndmask_b32_e64 v35, v31, v32, s[2:3]
	v_add_u32_e32 v36, 1, v35
	v_cndmask_b32_e64 v5, v9, v6, s[2:3]
	v_min_u32_e32 v5, v36, v5
	v_lshlrev_b32_e32 v4, 2, v4
	v_lshlrev_b32_e32 v5, 1, v5
	ds_read_b32 v4, v4 offset:2048
	ds_read_u16 v9, v5
	v_lshlrev_b32_e32 v6, 2, v35
	ds_read_b32 v6, v6 offset:2048
	v_lshlrev_b32_e32 v5, 2, v17
	ds_read_b32 v5, v5 offset:2048
	s_waitcnt lgkmcnt(2)
	v_cndmask_b32_e64 v17, v9, v34, s[2:3]
	v_cndmask_b32_e64 v35, v33, v9, s[2:3]
	;; [unrolled: 1-line block ×4, first 2 shown]
	v_cmp_lt_u32_e64 s[8:9], v31, v7
	v_lshlrev_b32_e32 v7, 16, v17
	v_lshlrev_b32_e32 v32, 16, v35
	v_cmp_nlt_f32_e64 s[10:11], v7, v32
	v_cmp_lt_u32_e64 s[4:5], s7, v9
	s_and_b64 s[8:9], s[8:9], s[10:11]
	s_or_b64 s[4:5], s[4:5], s[8:9]
	v_cndmask_b32_e64 v7, v9, v31, s[4:5]
	v_lshlrev_b32_e32 v7, 2, v7
	ds_read_b32 v9, v7 offset:2048
	v_cndmask_b32_e32 v18, v19, v18, vcc
	v_cndmask_b32_e64 v30, v30, v29, s[0:1]
	v_cndmask_b32_e64 v19, v34, v33, s[2:3]
	;; [unrolled: 1-line block ×3, first 2 shown]
.LBB1973_94:
	s_or_b64 exec, exec, s[24:25]
	s_mov_b32 s0, 0x5040100
	v_lshl_add_u32 v7, v21, 1, v28
	v_perm_b32 v17, v29, v19, s0
	v_perm_b32 v18, v30, v18, s0
	s_waitcnt lgkmcnt(0)
	s_barrier
	s_barrier
	ds_write2_b32 v7, v18, v17 offset1:1
	s_waitcnt lgkmcnt(0)
	s_barrier
	ds_read_u16 v7, v24
	ds_read_u16 v17, v25 offset:512
	ds_read_u16 v18, v26 offset:1024
	;; [unrolled: 1-line block ×3, first 2 shown]
	s_waitcnt lgkmcnt(3)
	global_store_short v22, v7, s[16:17]
	s_waitcnt lgkmcnt(2)
	global_store_short v22, v17, s[16:17] offset:512
	s_waitcnt lgkmcnt(1)
	global_store_short v22, v18, s[16:17] offset:1024
	;; [unrolled: 2-line block ×3, first 2 shown]
	v_mov_b32_e32 v7, s28
	v_add_co_u32_e32 v17, vcc, s27, v20
	v_addc_co_u32_e32 v18, vcc, 0, v7, vcc
	s_movk_i32 s0, 0x1000
	v_add_co_u32_e32 v24, vcc, s0, v17
	s_waitcnt vmcnt(0)
	s_barrier
	v_addc_co_u32_e32 v25, vcc, 0, v18, vcc
	flat_load_dwordx2 v[26:27], v[17:18]
	flat_load_dwordx2 v[28:29], v[17:18] offset:2048
	flat_load_dwordx2 v[30:31], v[24:25]
	flat_load_dwordx2 v[32:33], v[24:25] offset:2048
	v_lshrrev_b32_e32 v7, 5, v0
	v_lshl_add_u32 v19, v7, 3, v20
	v_lshl_add_u32 v36, v14, 3, v20
	v_lshrrev_b32_e32 v7, 2, v4
	v_lshrrev_b32_e32 v14, 2, v5
	v_lshl_add_u32 v34, v16, 3, v20
	v_lshl_add_u32 v35, v15, 3, v20
	v_lshrrev_b32_e32 v15, 2, v6
	v_lshrrev_b32_e32 v16, 2, v9
	v_lshlrev_b32_e32 v17, 3, v21
	v_and_b32_e32 v24, 0x3ffffff8, v7
	v_and_b32_e32 v25, 0x3ffffff8, v14
	v_mov_b32_e32 v18, s26
	v_and_b32_e32 v15, 0x3ffffff8, v15
	v_and_b32_e32 v16, 0x3ffffff8, v16
	v_lshl_add_u32 v37, v8, 3, v17
	v_add_co_u32_e32 v7, vcc, s23, v20
	v_lshl_add_u32 v4, v4, 3, v24
	v_lshl_add_u32 v17, v5, 3, v25
	v_addc_co_u32_e32 v8, vcc, 0, v18, vcc
	v_lshl_add_u32 v6, v6, 3, v15
	v_lshl_add_u32 v9, v9, 3, v16
	v_add_co_u32_e32 v14, vcc, 0x1000, v7
	s_mov_b64 s[24:25], -1
	s_waitcnt vmcnt(0) lgkmcnt(0)
	ds_write_b64 v19, v[26:27]
	ds_write_b64 v34, v[28:29] offset:2048
	ds_write_b64 v35, v[30:31] offset:4096
	;; [unrolled: 1-line block ×3, first 2 shown]
	s_waitcnt lgkmcnt(0)
	s_barrier
	ds_read_b64 v[4:5], v4
	ds_read_b64 v[15:16], v17
	;; [unrolled: 1-line block ×4, first 2 shown]
	s_waitcnt lgkmcnt(0)
	s_barrier
	ds_write2_b64 v37, v[4:5], v[15:16] offset1:1
	ds_write2_b64 v37, v[17:18], v[24:25] offset0:2 offset1:3
	s_waitcnt lgkmcnt(0)
	s_barrier
	ds_read_b64 v[16:17], v19
	ds_read_b64 v[18:19], v34 offset:2048
	ds_read_b64 v[24:25], v35 offset:4096
	;; [unrolled: 1-line block ×3, first 2 shown]
	v_addc_co_u32_e32 v15, vcc, 0, v8, vcc
	s_waitcnt lgkmcnt(3)
	flat_store_dwordx2 v[7:8], v[16:17]
	s_waitcnt lgkmcnt(0)
	flat_store_dwordx2 v[7:8], v[18:19] offset:2048
	flat_store_dwordx2 v[14:15], v[24:25]
	s_branch .LBB1973_196
.LBB1973_95:
	s_mov_b64 s[24:25], 0
                                        ; implicit-def: $vgpr4_vgpr5
	s_cbranch_execz .LBB1973_196
; %bb.96:
	s_lshl_b64 s[0:1], s[20:21], 10
	s_sub_i32 s20, s22, s0
	v_cmp_gt_u32_e32 vcc, s20, v0
                                        ; implicit-def: $vgpr1
	s_and_saveexec_b64 s[0:1], vcc
	s_cbranch_execz .LBB1973_98
; %bb.97:
	global_load_ushort v1, v22, s[18:19]
.LBB1973_98:
	s_or_b64 exec, exec, s[0:1]
	v_or_b32_e32 v16, 0x100, v0
	v_cmp_gt_u32_e64 s[0:1], s20, v16
                                        ; implicit-def: $vgpr4
	s_and_saveexec_b64 s[2:3], s[0:1]
	s_cbranch_execz .LBB1973_100
; %bb.99:
	global_load_ushort v4, v22, s[18:19] offset:512
.LBB1973_100:
	s_or_b64 exec, exec, s[2:3]
	v_or_b32_e32 v15, 0x200, v0
	v_cmp_gt_u32_e64 s[2:3], s20, v15
                                        ; implicit-def: $vgpr5
	s_and_saveexec_b64 s[4:5], s[2:3]
	s_cbranch_execz .LBB1973_102
; %bb.101:
	global_load_ushort v5, v22, s[18:19] offset:1024
.LBB1973_102:
	s_or_b64 exec, exec, s[4:5]
	v_or_b32_e32 v14, 0x300, v0
	v_cmp_gt_u32_e64 s[24:25], s20, v14
                                        ; implicit-def: $vgpr9
	s_and_saveexec_b64 s[4:5], s[24:25]
	s_cbranch_execz .LBB1973_104
; %bb.103:
	global_load_ushort v9, v22, s[18:19] offset:1536
.LBB1973_104:
	s_or_b64 exec, exec, s[4:5]
	v_and_b32_e32 v6, 12, v23
	v_add_u32_e32 v6, v6, v22
	s_waitcnt vmcnt(0)
	ds_write_b16 v6, v1
	v_lshrrev_b32_e32 v1, 4, v16
	v_and_b32_e32 v1, 28, v1
	v_add_u32_e32 v1, v1, v22
	ds_write_b16 v1, v4 offset:512
	v_lshrrev_b32_e32 v4, 4, v15
	v_and_b32_e32 v4, 60, v4
	v_add_u32_e32 v7, v4, v22
	v_lshrrev_b32_e32 v4, 4, v14
	v_and_b32_e32 v4, 60, v4
	v_add_u32_e32 v8, v4, v22
	ds_write_b16 v8, v9 offset:1536
	v_and_b32_e32 v9, 60, v10
	v_add_u32_e32 v4, v9, v20
	ds_write_b16 v7, v5 offset:1024
	s_waitcnt lgkmcnt(0)
	s_barrier
	ds_read2_b32 v[4:5], v4 offset1:1
	s_waitcnt lgkmcnt(0)
	s_barrier
	s_load_dword s4, s[12:13], 0xc
	v_mov_b32_e32 v10, 0
	s_waitcnt lgkmcnt(0)
	s_lshr_b32 s7, s4, 16
	s_cmp_lt_u32 s6, s14
	s_cselect_b32 s4, 12, 18
	s_add_u32 s4, s12, s4
	s_addc_u32 s5, s13, 0
	global_load_ushort v10, v10, s[4:5]
	v_mad_u32_u24 v2, v2, s7, v3
	s_waitcnt vmcnt(0)
	v_mul_lo_u32 v3, v2, v10
	v_lshrrev_b32_e32 v2, 16, v4
	v_mov_b32_e32 v10, v21
	v_add_lshl_u32 v17, v3, v0, 2
	v_sub_u32_e64 v18, s20, v17 clamp
	v_cmp_lt_u32_e64 s[4:5], 1, v18
	s_and_saveexec_b64 s[8:9], s[4:5]
	s_cbranch_execz .LBB1973_108
; %bb.105:
	v_lshlrev_b32_e32 v3, 16, v2
	v_lshlrev_b32_e32 v10, 16, v4
	v_cmp_lt_f32_e64 s[6:7], v3, v10
	v_mov_b32_e32 v3, v11
	v_mov_b32_e32 v10, v21
	s_and_saveexec_b64 s[10:11], s[6:7]
; %bb.106:
	v_mov_b32_e32 v10, v11
	v_mov_b32_e32 v11, v4
	v_swap_b32 v4, v2
	v_mov_b32_e32 v3, v21
; %bb.107:
	s_or_b64 exec, exec, s[10:11]
	v_mov_b32_e32 v11, v3
.LBB1973_108:
	s_or_b64 exec, exec, s[8:9]
	v_lshrrev_b32_e32 v3, 16, v5
	v_cmp_lt_u32_e64 s[6:7], 3, v18
	s_and_saveexec_b64 s[10:11], s[6:7]
	s_cbranch_execz .LBB1973_112
; %bb.109:
	v_lshlrev_b32_e32 v19, 16, v3
	v_lshlrev_b32_e32 v23, 16, v5
	v_cmp_lt_f32_e64 s[8:9], v19, v23
	v_mov_b32_e32 v19, v13
	s_and_saveexec_b64 s[12:13], s[8:9]
; %bb.110:
	v_mov_b32_e32 v19, v12
	v_mov_b32_e32 v12, v13
	;; [unrolled: 1-line block ×3, first 2 shown]
	v_swap_b32 v5, v3
; %bb.111:
	s_or_b64 exec, exec, s[12:13]
	v_mov_b32_e32 v13, v19
.LBB1973_112:
	s_or_b64 exec, exec, s[10:11]
	v_cmp_lt_u32_e64 s[8:9], 2, v18
	s_and_saveexec_b64 s[10:11], s[8:9]
	s_xor_b64 s[12:13], exec, s[10:11]
	s_cbranch_execnz .LBB1973_116
; %bb.113:
	s_or_b64 exec, exec, s[12:13]
	s_and_saveexec_b64 s[10:11], s[4:5]
	s_cbranch_execnz .LBB1973_119
.LBB1973_114:
	s_or_b64 exec, exec, s[10:11]
	s_and_saveexec_b64 s[10:11], s[6:7]
	s_cbranch_execnz .LBB1973_122
.LBB1973_115:
	s_or_b64 exec, exec, s[10:11]
	s_and_saveexec_b64 s[6:7], s[8:9]
	s_cbranch_execnz .LBB1973_125
	s_branch .LBB1973_128
.LBB1973_116:
	v_lshlrev_b32_e32 v18, 16, v5
	v_lshlrev_b32_e32 v19, 16, v2
	v_cmp_lt_f32_e64 s[10:11], v18, v19
	v_mov_b32_e32 v18, v12
	v_mov_b32_e32 v19, v5
	s_and_saveexec_b64 s[14:15], s[10:11]
; %bb.117:
	v_mov_b32_e32 v18, v11
	v_mov_b32_e32 v11, v12
	;; [unrolled: 1-line block ×4, first 2 shown]
; %bb.118:
	s_or_b64 exec, exec, s[14:15]
	v_mov_b32_e32 v5, v19
	v_mov_b32_e32 v12, v18
	s_or_b64 exec, exec, s[12:13]
	s_and_saveexec_b64 s[10:11], s[4:5]
	s_cbranch_execz .LBB1973_114
.LBB1973_119:
	v_lshlrev_b32_e32 v18, 16, v2
	v_lshlrev_b32_e32 v19, 16, v4
	v_cmp_lt_f32_e64 s[4:5], v18, v19
	v_mov_b32_e32 v18, v11
	s_and_saveexec_b64 s[12:13], s[4:5]
; %bb.120:
	v_mov_b32_e32 v18, v10
	v_mov_b32_e32 v10, v11
	;; [unrolled: 1-line block ×3, first 2 shown]
	v_swap_b32 v4, v2
; %bb.121:
	s_or_b64 exec, exec, s[12:13]
	v_mov_b32_e32 v11, v18
	s_or_b64 exec, exec, s[10:11]
	s_and_saveexec_b64 s[10:11], s[6:7]
	s_cbranch_execz .LBB1973_115
.LBB1973_122:
	v_lshlrev_b32_e32 v18, 16, v3
	v_lshlrev_b32_e32 v19, 16, v5
	v_cmp_lt_f32_e64 s[4:5], v18, v19
	v_mov_b32_e32 v18, v13
	s_and_saveexec_b64 s[6:7], s[4:5]
; %bb.123:
	v_mov_b32_e32 v18, v12
	v_mov_b32_e32 v12, v13
	;; [unrolled: 1-line block ×3, first 2 shown]
	v_swap_b32 v5, v3
; %bb.124:
	s_or_b64 exec, exec, s[6:7]
	v_mov_b32_e32 v13, v18
	s_or_b64 exec, exec, s[10:11]
	s_and_saveexec_b64 s[6:7], s[8:9]
	s_cbranch_execz .LBB1973_128
.LBB1973_125:
	v_lshlrev_b32_e32 v18, 16, v5
	v_lshlrev_b32_e32 v19, 16, v2
	v_cmp_lt_f32_e64 s[4:5], v18, v19
	v_mov_b32_e32 v18, v12
	v_mov_b32_e32 v19, v5
	s_and_saveexec_b64 s[8:9], s[4:5]
; %bb.126:
	v_mov_b32_e32 v18, v11
	v_mov_b32_e32 v11, v12
	;; [unrolled: 1-line block ×4, first 2 shown]
; %bb.127:
	s_or_b64 exec, exec, s[8:9]
	v_mov_b32_e32 v5, v19
	v_mov_b32_e32 v12, v18
.LBB1973_128:
	s_or_b64 exec, exec, s[6:7]
	v_and_b32_e32 v17, 0xffffff00, v17
	v_mbcnt_lo_u32_b32 v18, -1, 0
	v_lshlrev_b32_e32 v25, 1, v17
	v_mbcnt_hi_u32_b32 v18, -1, v18
	v_add_u32_e32 v24, v25, v25
	s_mov_b32 s4, 0x5040100
	v_sub_u32_e64 v26, s20, v17 clamp
	v_lshlrev_b32_e32 v27, 2, v18
	v_lshl_add_u32 v29, v18, 3, v25
	v_lshl_add_u32 v28, v18, 4, v24
	v_perm_b32 v18, v3, v5, s4
	v_perm_b32 v17, v2, v4, s4
	ds_write_b64 v29, v[17:18]
	ds_write_b128 v28, v[10:13] offset:2048
	v_or_b32_e32 v17, 4, v27
	v_min_u32_e32 v30, v26, v17
	v_add_u32_e32 v17, 4, v30
	v_and_b32_e32 v34, 0x1f8, v27
	v_min_u32_e32 v31, v26, v17
	v_and_b32_e32 v17, 4, v27
	v_min_u32_e32 v35, v26, v17
	v_sub_u32_e32 v17, v30, v34
	v_sub_u32_e32 v18, v31, v30
	v_sub_u32_e64 v33, v35, v18 clamp
	v_min_u32_e32 v17, v35, v17
	v_lshl_add_u32 v32, v34, 1, v25
	v_cmp_lt_u32_e64 s[4:5], v33, v17
	; wave barrier
	s_and_saveexec_b64 s[6:7], s[4:5]
	s_cbranch_execz .LBB1973_132
; %bb.129:
	v_lshlrev_b32_e32 v18, 1, v30
	v_lshlrev_b32_e32 v19, 1, v35
	v_add3_u32 v18, v25, v18, v19
	s_mov_b64 s[8:9], 0
.LBB1973_130:                           ; =>This Inner Loop Header: Depth=1
	v_add_u32_e32 v19, v17, v33
	v_lshrrev_b32_e32 v23, 1, v19
	v_and_b32_e32 v19, -2, v19
	v_not_b32_e32 v36, v23
	v_add_u32_e32 v19, v32, v19
	v_lshl_add_u32 v36, v36, 1, v18
	ds_read_u16 v19, v19
	ds_read_u16 v36, v36
	v_add_u32_e32 v37, 1, v23
	s_waitcnt lgkmcnt(1)
	v_lshlrev_b32_e32 v19, 16, v19
	s_waitcnt lgkmcnt(0)
	v_lshlrev_b32_e32 v36, 16, v36
	v_cmp_lt_f32_e64 s[4:5], v36, v19
	v_cndmask_b32_e64 v17, v17, v23, s[4:5]
	v_cndmask_b32_e64 v33, v37, v33, s[4:5]
	v_cmp_ge_u32_e64 s[4:5], v33, v17
	s_or_b64 s[8:9], s[4:5], s[8:9]
	s_andn2_b64 exec, exec, s[8:9]
	s_cbranch_execnz .LBB1973_130
; %bb.131:
	s_or_b64 exec, exec, s[8:9]
.LBB1973_132:
	s_or_b64 exec, exec, s[6:7]
	v_add_u32_e32 v35, v30, v35
	v_add_u32_e32 v34, v33, v34
	v_sub_u32_e32 v35, v35, v33
	v_cmp_le_u32_e64 s[4:5], v34, v30
	v_cmp_le_u32_e64 s[6:7], v35, v31
	v_lshrrev_b32_e32 v23, 5, v0
	v_lshrrev_b32_e32 v19, 5, v16
	;; [unrolled: 1-line block ×5, first 2 shown]
	s_or_b64 s[4:5], s[4:5], s[6:7]
	s_and_saveexec_b64 s[18:19], s[4:5]
	s_cbranch_execz .LBB1973_138
; %bb.133:
	v_cmp_lt_u32_e64 s[4:5], v34, v30
                                        ; implicit-def: $vgpr2
	s_and_saveexec_b64 s[6:7], s[4:5]
; %bb.134:
	v_lshl_add_u32 v2, v33, 1, v32
	ds_read_u16 v2, v2
; %bb.135:
	s_or_b64 exec, exec, s[6:7]
	v_cmp_ge_u32_e64 s[6:7], v35, v31
	v_cmp_lt_u32_e64 s[8:9], v35, v31
                                        ; implicit-def: $vgpr3
	s_and_saveexec_b64 s[10:11], s[8:9]
; %bb.136:
	v_lshl_add_u32 v3, v35, 1, v25
	ds_read_u16 v3, v3
; %bb.137:
	s_or_b64 exec, exec, s[10:11]
	s_waitcnt lgkmcnt(0)
	v_lshlrev_b32_e32 v4, 16, v2
	v_lshlrev_b32_e32 v5, 16, v3
	v_cmp_nlt_f32_e64 s[8:9], v5, v4
	s_and_b64 s[4:5], s[4:5], s[8:9]
	s_or_b64 s[4:5], s[6:7], s[4:5]
	v_cndmask_b32_e64 v4, v35, v34, s[4:5]
	v_cndmask_b32_e64 v5, v31, v30, s[4:5]
	v_add_u32_e32 v10, 1, v4
	v_add_u32_e32 v5, -1, v5
	v_min_u32_e32 v5, v10, v5
	v_lshl_add_u32 v5, v5, 1, v25
	ds_read_u16 v5, v5
	v_cndmask_b32_e64 v11, v10, v35, s[4:5]
	v_cndmask_b32_e64 v12, v34, v10, s[4:5]
	v_cmp_lt_u32_e64 s[8:9], v12, v30
	v_cmp_ge_u32_e64 s[6:7], v11, v31
	s_waitcnt lgkmcnt(0)
	v_cndmask_b32_e64 v32, v5, v3, s[4:5]
	v_cndmask_b32_e64 v5, v2, v5, s[4:5]
	v_lshlrev_b32_e32 v10, 16, v32
	v_lshlrev_b32_e32 v13, 16, v5
	v_cmp_nlt_f32_e64 s[10:11], v10, v13
	s_and_b64 s[8:9], s[8:9], s[10:11]
	s_or_b64 s[6:7], s[6:7], s[8:9]
	v_cndmask_b32_e64 v13, v11, v12, s[6:7]
	v_cndmask_b32_e64 v10, v31, v30, s[6:7]
	v_add_u32_e32 v33, 1, v13
	v_add_u32_e32 v10, -1, v10
	v_min_u32_e32 v10, v33, v10
	v_lshl_add_u32 v10, v10, 1, v25
	ds_read_u16 v34, v10
	v_lshl_add_u32 v4, v4, 2, v24
	ds_read_b32 v10, v4 offset:2048
	v_cndmask_b32_e64 v4, v33, v11, s[6:7]
	v_cndmask_b32_e64 v33, v12, v33, s[6:7]
	s_waitcnt lgkmcnt(1)
	v_cndmask_b32_e64 v35, v34, v32, s[6:7]
	v_cndmask_b32_e64 v34, v5, v34, s[6:7]
	v_lshlrev_b32_e32 v11, 16, v35
	v_lshlrev_b32_e32 v12, 16, v34
	v_cmp_lt_u32_e64 s[10:11], v33, v30
	v_cmp_nlt_f32_e64 s[12:13], v11, v12
	v_cmp_ge_u32_e64 s[8:9], v4, v31
	s_and_b64 s[10:11], s[10:11], s[12:13]
	s_or_b64 s[8:9], s[8:9], s[10:11]
	v_cndmask_b32_e64 v12, v4, v33, s[8:9]
	v_cndmask_b32_e64 v11, v31, v30, s[8:9]
	v_add_u32_e32 v36, 1, v12
	v_add_u32_e32 v11, -1, v11
	v_min_u32_e32 v11, v36, v11
	v_lshl_add_u32 v11, v11, 1, v25
	ds_read_u16 v37, v11
	v_lshl_add_u32 v12, v12, 2, v24
	ds_read_b32 v12, v12 offset:2048
	v_lshl_add_u32 v11, v13, 2, v24
	v_cndmask_b32_e64 v4, v36, v4, s[8:9]
	s_waitcnt lgkmcnt(1)
	v_cndmask_b32_e64 v38, v37, v35, s[8:9]
	v_cndmask_b32_e64 v37, v34, v37, s[8:9]
	v_cndmask_b32_e64 v13, v33, v36, s[8:9]
	v_cmp_ge_u32_e64 s[10:11], v4, v31
	v_cmp_lt_u32_e64 s[12:13], v13, v30
	v_lshlrev_b32_e32 v30, 16, v38
	v_lshlrev_b32_e32 v31, 16, v37
	v_cmp_nlt_f32_e64 s[14:15], v30, v31
	s_and_b64 s[12:13], s[12:13], s[14:15]
	s_or_b64 s[10:11], s[10:11], s[12:13]
	v_cndmask_b32_e64 v4, v4, v13, s[10:11]
	v_lshl_add_u32 v4, v4, 2, v24
	ds_read_b32 v11, v11 offset:2048
	ds_read_b32 v13, v4 offset:2048
	v_cndmask_b32_e64 v4, v3, v2, s[4:5]
	v_cndmask_b32_e64 v2, v32, v5, s[6:7]
	v_cndmask_b32_e64 v5, v35, v34, s[8:9]
	v_cndmask_b32_e64 v3, v38, v37, s[10:11]
.LBB1973_138:
	s_or_b64 exec, exec, s[18:19]
	s_mov_b32 s4, 0x5040100
	v_perm_b32 v31, v3, v5, s4
	v_perm_b32 v30, v2, v4, s4
	v_and_b32_e32 v34, 0x1f0, v27
	; wave barrier
	ds_write_b64 v29, v[30:31]
	s_waitcnt lgkmcnt(1)
	ds_write_b128 v28, v[10:13] offset:2048
	v_or_b32_e32 v30, 8, v34
	v_min_u32_e32 v30, v26, v30
	v_add_u32_e32 v31, 8, v30
	v_min_u32_e32 v31, v26, v31
	v_and_b32_e32 v32, 12, v27
	v_min_u32_e32 v35, v26, v32
	v_sub_u32_e32 v36, v30, v34
	v_sub_u32_e32 v33, v31, v30
	v_sub_u32_e64 v33, v35, v33 clamp
	v_min_u32_e32 v36, v35, v36
	v_lshl_add_u32 v32, v34, 1, v25
	v_cmp_lt_u32_e64 s[4:5], v33, v36
	; wave barrier
	s_and_saveexec_b64 s[6:7], s[4:5]
	s_cbranch_execz .LBB1973_142
; %bb.139:
	v_lshlrev_b32_e32 v37, 1, v30
	v_lshlrev_b32_e32 v38, 1, v35
	v_add3_u32 v37, v25, v37, v38
	s_mov_b64 s[8:9], 0
.LBB1973_140:                           ; =>This Inner Loop Header: Depth=1
	v_add_u32_e32 v38, v36, v33
	v_lshrrev_b32_e32 v39, 1, v38
	v_and_b32_e32 v38, -2, v38
	v_not_b32_e32 v40, v39
	v_add_u32_e32 v38, v32, v38
	v_lshl_add_u32 v40, v40, 1, v37
	ds_read_u16 v38, v38
	ds_read_u16 v40, v40
	v_add_u32_e32 v41, 1, v39
	s_waitcnt lgkmcnt(1)
	v_lshlrev_b32_e32 v38, 16, v38
	s_waitcnt lgkmcnt(0)
	v_lshlrev_b32_e32 v40, 16, v40
	v_cmp_lt_f32_e64 s[4:5], v40, v38
	v_cndmask_b32_e64 v36, v36, v39, s[4:5]
	v_cndmask_b32_e64 v33, v41, v33, s[4:5]
	v_cmp_ge_u32_e64 s[4:5], v33, v36
	s_or_b64 s[8:9], s[4:5], s[8:9]
	s_andn2_b64 exec, exec, s[8:9]
	s_cbranch_execnz .LBB1973_140
; %bb.141:
	s_or_b64 exec, exec, s[8:9]
.LBB1973_142:
	s_or_b64 exec, exec, s[6:7]
	v_add_u32_e32 v35, v30, v35
	v_add_u32_e32 v34, v33, v34
	v_sub_u32_e32 v35, v35, v33
	v_cmp_le_u32_e64 s[4:5], v34, v30
	v_cmp_le_u32_e64 s[6:7], v35, v31
	s_or_b64 s[4:5], s[4:5], s[6:7]
	s_and_saveexec_b64 s[18:19], s[4:5]
	s_cbranch_execz .LBB1973_148
; %bb.143:
	v_cmp_lt_u32_e64 s[4:5], v34, v30
                                        ; implicit-def: $vgpr2
	s_and_saveexec_b64 s[6:7], s[4:5]
; %bb.144:
	v_lshl_add_u32 v2, v33, 1, v32
	ds_read_u16 v2, v2
; %bb.145:
	s_or_b64 exec, exec, s[6:7]
	v_cmp_ge_u32_e64 s[6:7], v35, v31
	v_cmp_lt_u32_e64 s[8:9], v35, v31
                                        ; implicit-def: $vgpr3
	s_and_saveexec_b64 s[10:11], s[8:9]
; %bb.146:
	v_lshl_add_u32 v3, v35, 1, v25
	ds_read_u16 v3, v3
; %bb.147:
	s_or_b64 exec, exec, s[10:11]
	s_waitcnt lgkmcnt(0)
	v_lshlrev_b32_e32 v4, 16, v2
	v_lshlrev_b32_e32 v5, 16, v3
	v_cmp_nlt_f32_e64 s[8:9], v5, v4
	s_and_b64 s[4:5], s[4:5], s[8:9]
	s_or_b64 s[4:5], s[6:7], s[4:5]
	v_cndmask_b32_e64 v4, v35, v34, s[4:5]
	v_cndmask_b32_e64 v5, v31, v30, s[4:5]
	v_add_u32_e32 v10, 1, v4
	v_add_u32_e32 v5, -1, v5
	v_min_u32_e32 v5, v10, v5
	v_lshl_add_u32 v5, v5, 1, v25
	ds_read_u16 v5, v5
	v_cndmask_b32_e64 v11, v10, v35, s[4:5]
	v_cndmask_b32_e64 v12, v34, v10, s[4:5]
	v_cmp_lt_u32_e64 s[8:9], v12, v30
	v_cmp_ge_u32_e64 s[6:7], v11, v31
	s_waitcnt lgkmcnt(0)
	v_cndmask_b32_e64 v32, v5, v3, s[4:5]
	v_cndmask_b32_e64 v5, v2, v5, s[4:5]
	v_lshlrev_b32_e32 v10, 16, v32
	v_lshlrev_b32_e32 v13, 16, v5
	v_cmp_nlt_f32_e64 s[10:11], v10, v13
	s_and_b64 s[8:9], s[8:9], s[10:11]
	s_or_b64 s[6:7], s[6:7], s[8:9]
	v_cndmask_b32_e64 v13, v11, v12, s[6:7]
	v_cndmask_b32_e64 v10, v31, v30, s[6:7]
	v_add_u32_e32 v33, 1, v13
	v_add_u32_e32 v10, -1, v10
	v_min_u32_e32 v10, v33, v10
	v_lshl_add_u32 v10, v10, 1, v25
	ds_read_u16 v34, v10
	v_lshl_add_u32 v4, v4, 2, v24
	ds_read_b32 v10, v4 offset:2048
	v_cndmask_b32_e64 v4, v33, v11, s[6:7]
	v_cndmask_b32_e64 v33, v12, v33, s[6:7]
	s_waitcnt lgkmcnt(1)
	v_cndmask_b32_e64 v35, v34, v32, s[6:7]
	v_cndmask_b32_e64 v34, v5, v34, s[6:7]
	v_lshlrev_b32_e32 v11, 16, v35
	v_lshlrev_b32_e32 v12, 16, v34
	v_cmp_lt_u32_e64 s[10:11], v33, v30
	v_cmp_nlt_f32_e64 s[12:13], v11, v12
	v_cmp_ge_u32_e64 s[8:9], v4, v31
	s_and_b64 s[10:11], s[10:11], s[12:13]
	s_or_b64 s[8:9], s[8:9], s[10:11]
	v_cndmask_b32_e64 v12, v4, v33, s[8:9]
	v_cndmask_b32_e64 v11, v31, v30, s[8:9]
	v_add_u32_e32 v36, 1, v12
	v_add_u32_e32 v11, -1, v11
	v_min_u32_e32 v11, v36, v11
	v_lshl_add_u32 v11, v11, 1, v25
	ds_read_u16 v37, v11
	v_lshl_add_u32 v12, v12, 2, v24
	ds_read_b32 v12, v12 offset:2048
	v_lshl_add_u32 v11, v13, 2, v24
	v_cndmask_b32_e64 v4, v36, v4, s[8:9]
	s_waitcnt lgkmcnt(1)
	v_cndmask_b32_e64 v38, v37, v35, s[8:9]
	v_cndmask_b32_e64 v37, v34, v37, s[8:9]
	v_cndmask_b32_e64 v13, v33, v36, s[8:9]
	v_cmp_ge_u32_e64 s[10:11], v4, v31
	v_cmp_lt_u32_e64 s[12:13], v13, v30
	v_lshlrev_b32_e32 v30, 16, v38
	v_lshlrev_b32_e32 v31, 16, v37
	v_cmp_nlt_f32_e64 s[14:15], v30, v31
	s_and_b64 s[12:13], s[12:13], s[14:15]
	s_or_b64 s[10:11], s[10:11], s[12:13]
	v_cndmask_b32_e64 v4, v4, v13, s[10:11]
	v_lshl_add_u32 v4, v4, 2, v24
	ds_read_b32 v11, v11 offset:2048
	ds_read_b32 v13, v4 offset:2048
	v_cndmask_b32_e64 v4, v3, v2, s[4:5]
	v_cndmask_b32_e64 v2, v32, v5, s[6:7]
	;; [unrolled: 1-line block ×4, first 2 shown]
.LBB1973_148:
	s_or_b64 exec, exec, s[18:19]
	s_mov_b32 s4, 0x5040100
	v_perm_b32 v31, v3, v5, s4
	v_perm_b32 v30, v2, v4, s4
	v_and_b32_e32 v34, 0x1e0, v27
	; wave barrier
	ds_write_b64 v29, v[30:31]
	s_waitcnt lgkmcnt(1)
	ds_write_b128 v28, v[10:13] offset:2048
	v_or_b32_e32 v30, 16, v34
	v_min_u32_e32 v30, v26, v30
	v_add_u32_e32 v31, 16, v30
	v_min_u32_e32 v31, v26, v31
	v_and_b32_e32 v32, 28, v27
	v_min_u32_e32 v35, v26, v32
	v_sub_u32_e32 v36, v30, v34
	v_sub_u32_e32 v33, v31, v30
	v_sub_u32_e64 v33, v35, v33 clamp
	v_min_u32_e32 v36, v35, v36
	v_lshl_add_u32 v32, v34, 1, v25
	v_cmp_lt_u32_e64 s[4:5], v33, v36
	; wave barrier
	s_and_saveexec_b64 s[6:7], s[4:5]
	s_cbranch_execz .LBB1973_152
; %bb.149:
	v_lshlrev_b32_e32 v37, 1, v30
	v_lshlrev_b32_e32 v38, 1, v35
	v_add3_u32 v37, v25, v37, v38
	s_mov_b64 s[8:9], 0
.LBB1973_150:                           ; =>This Inner Loop Header: Depth=1
	v_add_u32_e32 v38, v36, v33
	v_lshrrev_b32_e32 v39, 1, v38
	v_and_b32_e32 v38, -2, v38
	v_not_b32_e32 v40, v39
	v_add_u32_e32 v38, v32, v38
	v_lshl_add_u32 v40, v40, 1, v37
	ds_read_u16 v38, v38
	ds_read_u16 v40, v40
	v_add_u32_e32 v41, 1, v39
	s_waitcnt lgkmcnt(1)
	v_lshlrev_b32_e32 v38, 16, v38
	s_waitcnt lgkmcnt(0)
	v_lshlrev_b32_e32 v40, 16, v40
	v_cmp_lt_f32_e64 s[4:5], v40, v38
	v_cndmask_b32_e64 v36, v36, v39, s[4:5]
	v_cndmask_b32_e64 v33, v41, v33, s[4:5]
	v_cmp_ge_u32_e64 s[4:5], v33, v36
	s_or_b64 s[8:9], s[4:5], s[8:9]
	s_andn2_b64 exec, exec, s[8:9]
	s_cbranch_execnz .LBB1973_150
; %bb.151:
	s_or_b64 exec, exec, s[8:9]
.LBB1973_152:
	s_or_b64 exec, exec, s[6:7]
	v_add_u32_e32 v35, v30, v35
	v_add_u32_e32 v34, v33, v34
	v_sub_u32_e32 v35, v35, v33
	v_cmp_le_u32_e64 s[4:5], v34, v30
	v_cmp_le_u32_e64 s[6:7], v35, v31
	s_or_b64 s[4:5], s[4:5], s[6:7]
	s_and_saveexec_b64 s[18:19], s[4:5]
	s_cbranch_execz .LBB1973_158
; %bb.153:
	v_cmp_lt_u32_e64 s[4:5], v34, v30
                                        ; implicit-def: $vgpr2
	s_and_saveexec_b64 s[6:7], s[4:5]
; %bb.154:
	v_lshl_add_u32 v2, v33, 1, v32
	ds_read_u16 v2, v2
; %bb.155:
	s_or_b64 exec, exec, s[6:7]
	v_cmp_ge_u32_e64 s[6:7], v35, v31
	v_cmp_lt_u32_e64 s[8:9], v35, v31
                                        ; implicit-def: $vgpr3
	s_and_saveexec_b64 s[10:11], s[8:9]
; %bb.156:
	v_lshl_add_u32 v3, v35, 1, v25
	ds_read_u16 v3, v3
; %bb.157:
	s_or_b64 exec, exec, s[10:11]
	s_waitcnt lgkmcnt(0)
	v_lshlrev_b32_e32 v4, 16, v2
	v_lshlrev_b32_e32 v5, 16, v3
	v_cmp_nlt_f32_e64 s[8:9], v5, v4
	s_and_b64 s[4:5], s[4:5], s[8:9]
	s_or_b64 s[4:5], s[6:7], s[4:5]
	v_cndmask_b32_e64 v4, v35, v34, s[4:5]
	v_cndmask_b32_e64 v5, v31, v30, s[4:5]
	v_add_u32_e32 v10, 1, v4
	v_add_u32_e32 v5, -1, v5
	v_min_u32_e32 v5, v10, v5
	v_lshl_add_u32 v5, v5, 1, v25
	ds_read_u16 v5, v5
	v_cndmask_b32_e64 v11, v10, v35, s[4:5]
	v_cndmask_b32_e64 v12, v34, v10, s[4:5]
	v_cmp_lt_u32_e64 s[8:9], v12, v30
	v_cmp_ge_u32_e64 s[6:7], v11, v31
	s_waitcnt lgkmcnt(0)
	v_cndmask_b32_e64 v32, v5, v3, s[4:5]
	v_cndmask_b32_e64 v5, v2, v5, s[4:5]
	v_lshlrev_b32_e32 v10, 16, v32
	v_lshlrev_b32_e32 v13, 16, v5
	v_cmp_nlt_f32_e64 s[10:11], v10, v13
	s_and_b64 s[8:9], s[8:9], s[10:11]
	s_or_b64 s[6:7], s[6:7], s[8:9]
	v_cndmask_b32_e64 v13, v11, v12, s[6:7]
	v_cndmask_b32_e64 v10, v31, v30, s[6:7]
	v_add_u32_e32 v33, 1, v13
	v_add_u32_e32 v10, -1, v10
	v_min_u32_e32 v10, v33, v10
	v_lshl_add_u32 v10, v10, 1, v25
	ds_read_u16 v34, v10
	v_lshl_add_u32 v4, v4, 2, v24
	ds_read_b32 v10, v4 offset:2048
	v_cndmask_b32_e64 v4, v33, v11, s[6:7]
	v_cndmask_b32_e64 v33, v12, v33, s[6:7]
	s_waitcnt lgkmcnt(1)
	v_cndmask_b32_e64 v35, v34, v32, s[6:7]
	v_cndmask_b32_e64 v34, v5, v34, s[6:7]
	v_lshlrev_b32_e32 v11, 16, v35
	v_lshlrev_b32_e32 v12, 16, v34
	v_cmp_lt_u32_e64 s[10:11], v33, v30
	v_cmp_nlt_f32_e64 s[12:13], v11, v12
	v_cmp_ge_u32_e64 s[8:9], v4, v31
	s_and_b64 s[10:11], s[10:11], s[12:13]
	s_or_b64 s[8:9], s[8:9], s[10:11]
	v_cndmask_b32_e64 v12, v4, v33, s[8:9]
	v_cndmask_b32_e64 v11, v31, v30, s[8:9]
	v_add_u32_e32 v36, 1, v12
	v_add_u32_e32 v11, -1, v11
	v_min_u32_e32 v11, v36, v11
	v_lshl_add_u32 v11, v11, 1, v25
	ds_read_u16 v37, v11
	v_lshl_add_u32 v12, v12, 2, v24
	ds_read_b32 v12, v12 offset:2048
	v_lshl_add_u32 v11, v13, 2, v24
	v_cndmask_b32_e64 v4, v36, v4, s[8:9]
	s_waitcnt lgkmcnt(1)
	v_cndmask_b32_e64 v38, v37, v35, s[8:9]
	v_cndmask_b32_e64 v37, v34, v37, s[8:9]
	v_cndmask_b32_e64 v13, v33, v36, s[8:9]
	v_cmp_ge_u32_e64 s[10:11], v4, v31
	v_cmp_lt_u32_e64 s[12:13], v13, v30
	v_lshlrev_b32_e32 v30, 16, v38
	v_lshlrev_b32_e32 v31, 16, v37
	v_cmp_nlt_f32_e64 s[14:15], v30, v31
	s_and_b64 s[12:13], s[12:13], s[14:15]
	s_or_b64 s[10:11], s[10:11], s[12:13]
	v_cndmask_b32_e64 v4, v4, v13, s[10:11]
	v_lshl_add_u32 v4, v4, 2, v24
	ds_read_b32 v11, v11 offset:2048
	ds_read_b32 v13, v4 offset:2048
	v_cndmask_b32_e64 v4, v3, v2, s[4:5]
	v_cndmask_b32_e64 v2, v32, v5, s[6:7]
	;; [unrolled: 1-line block ×4, first 2 shown]
.LBB1973_158:
	s_or_b64 exec, exec, s[18:19]
	s_mov_b32 s4, 0x5040100
	v_perm_b32 v31, v3, v5, s4
	v_perm_b32 v30, v2, v4, s4
	; wave barrier
	ds_write_b64 v29, v[30:31]
	s_waitcnt lgkmcnt(1)
	ds_write_b128 v28, v[10:13] offset:2048
	v_and_b32_e32 v30, 0x1c0, v27
	v_or_b32_e32 v28, 32, v30
	v_min_u32_e32 v28, v26, v28
	v_add_u32_e32 v29, 32, v28
	v_min_u32_e32 v29, v26, v29
	v_and_b32_e32 v27, 60, v27
	v_min_u32_e32 v31, v26, v27
	v_sub_u32_e32 v32, v28, v30
	v_sub_u32_e32 v27, v29, v28
	v_sub_u32_e64 v27, v31, v27 clamp
	v_min_u32_e32 v32, v31, v32
	v_lshl_add_u32 v26, v30, 1, v25
	v_cmp_lt_u32_e64 s[4:5], v27, v32
	; wave barrier
	s_and_saveexec_b64 s[6:7], s[4:5]
	s_cbranch_execz .LBB1973_162
; %bb.159:
	v_lshlrev_b32_e32 v33, 1, v28
	v_lshlrev_b32_e32 v34, 1, v31
	v_add3_u32 v33, v25, v33, v34
	s_mov_b64 s[8:9], 0
.LBB1973_160:                           ; =>This Inner Loop Header: Depth=1
	v_add_u32_e32 v34, v32, v27
	v_lshrrev_b32_e32 v35, 1, v34
	v_and_b32_e32 v34, -2, v34
	v_not_b32_e32 v36, v35
	v_add_u32_e32 v34, v26, v34
	v_lshl_add_u32 v36, v36, 1, v33
	ds_read_u16 v34, v34
	ds_read_u16 v36, v36
	v_add_u32_e32 v37, 1, v35
	s_waitcnt lgkmcnt(1)
	v_lshlrev_b32_e32 v34, 16, v34
	s_waitcnt lgkmcnt(0)
	v_lshlrev_b32_e32 v36, 16, v36
	v_cmp_lt_f32_e64 s[4:5], v36, v34
	v_cndmask_b32_e64 v32, v32, v35, s[4:5]
	v_cndmask_b32_e64 v27, v37, v27, s[4:5]
	v_cmp_ge_u32_e64 s[4:5], v27, v32
	s_or_b64 s[8:9], s[4:5], s[8:9]
	s_andn2_b64 exec, exec, s[8:9]
	s_cbranch_execnz .LBB1973_160
; %bb.161:
	s_or_b64 exec, exec, s[8:9]
.LBB1973_162:
	s_or_b64 exec, exec, s[6:7]
	v_add_u32_e32 v31, v28, v31
	v_add_u32_e32 v30, v27, v30
	v_sub_u32_e32 v31, v31, v27
	v_cmp_le_u32_e64 s[4:5], v30, v28
	v_cmp_le_u32_e64 s[6:7], v31, v29
	s_or_b64 s[4:5], s[4:5], s[6:7]
	s_and_saveexec_b64 s[18:19], s[4:5]
	s_cbranch_execz .LBB1973_168
; %bb.163:
	v_cmp_lt_u32_e64 s[4:5], v30, v28
                                        ; implicit-def: $vgpr2
	s_and_saveexec_b64 s[6:7], s[4:5]
; %bb.164:
	v_lshl_add_u32 v2, v27, 1, v26
	ds_read_u16 v2, v2
; %bb.165:
	s_or_b64 exec, exec, s[6:7]
	v_cmp_ge_u32_e64 s[6:7], v31, v29
	v_cmp_lt_u32_e64 s[8:9], v31, v29
                                        ; implicit-def: $vgpr3
	s_and_saveexec_b64 s[10:11], s[8:9]
; %bb.166:
	v_lshl_add_u32 v3, v31, 1, v25
	ds_read_u16 v3, v3
; %bb.167:
	s_or_b64 exec, exec, s[10:11]
	s_waitcnt lgkmcnt(0)
	v_lshlrev_b32_e32 v4, 16, v2
	v_lshlrev_b32_e32 v5, 16, v3
	v_cmp_nlt_f32_e64 s[8:9], v5, v4
	s_and_b64 s[4:5], s[4:5], s[8:9]
	s_or_b64 s[4:5], s[6:7], s[4:5]
	v_cndmask_b32_e64 v4, v31, v30, s[4:5]
	v_cndmask_b32_e64 v5, v29, v28, s[4:5]
	v_add_u32_e32 v10, 1, v4
	v_add_u32_e32 v5, -1, v5
	v_min_u32_e32 v5, v10, v5
	v_lshl_add_u32 v5, v5, 1, v25
	ds_read_u16 v5, v5
	v_cndmask_b32_e64 v11, v10, v31, s[4:5]
	v_cndmask_b32_e64 v12, v30, v10, s[4:5]
	v_cmp_lt_u32_e64 s[8:9], v12, v28
	v_cmp_ge_u32_e64 s[6:7], v11, v29
	s_waitcnt lgkmcnt(0)
	v_cndmask_b32_e64 v26, v5, v3, s[4:5]
	v_cndmask_b32_e64 v5, v2, v5, s[4:5]
	v_lshlrev_b32_e32 v10, 16, v26
	v_lshlrev_b32_e32 v13, 16, v5
	v_cmp_nlt_f32_e64 s[10:11], v10, v13
	s_and_b64 s[8:9], s[8:9], s[10:11]
	s_or_b64 s[6:7], s[6:7], s[8:9]
	v_cndmask_b32_e64 v13, v11, v12, s[6:7]
	v_cndmask_b32_e64 v10, v29, v28, s[6:7]
	v_add_u32_e32 v27, 1, v13
	v_add_u32_e32 v10, -1, v10
	v_min_u32_e32 v10, v27, v10
	v_lshl_add_u32 v10, v10, 1, v25
	ds_read_u16 v30, v10
	v_lshl_add_u32 v4, v4, 2, v24
	ds_read_b32 v10, v4 offset:2048
	v_cndmask_b32_e64 v4, v27, v11, s[6:7]
	v_cndmask_b32_e64 v27, v12, v27, s[6:7]
	s_waitcnt lgkmcnt(1)
	v_cndmask_b32_e64 v31, v30, v26, s[6:7]
	v_cndmask_b32_e64 v30, v5, v30, s[6:7]
	v_lshlrev_b32_e32 v11, 16, v31
	v_lshlrev_b32_e32 v12, 16, v30
	v_cmp_lt_u32_e64 s[10:11], v27, v28
	v_cmp_nlt_f32_e64 s[12:13], v11, v12
	v_cmp_ge_u32_e64 s[8:9], v4, v29
	s_and_b64 s[10:11], s[10:11], s[12:13]
	s_or_b64 s[8:9], s[8:9], s[10:11]
	v_cndmask_b32_e64 v12, v4, v27, s[8:9]
	v_cndmask_b32_e64 v11, v29, v28, s[8:9]
	v_add_u32_e32 v32, 1, v12
	v_add_u32_e32 v11, -1, v11
	v_min_u32_e32 v11, v32, v11
	v_lshl_add_u32 v11, v11, 1, v25
	ds_read_u16 v25, v11
	v_lshl_add_u32 v12, v12, 2, v24
	ds_read_b32 v12, v12 offset:2048
	v_lshl_add_u32 v11, v13, 2, v24
	v_cndmask_b32_e64 v13, v27, v32, s[8:9]
	s_waitcnt lgkmcnt(1)
	v_cndmask_b32_e64 v33, v25, v31, s[8:9]
	v_cndmask_b32_e64 v25, v30, v25, s[8:9]
	v_cmp_lt_u32_e64 s[12:13], v13, v28
	v_lshlrev_b32_e32 v27, 16, v33
	v_lshlrev_b32_e32 v28, 16, v25
	v_cndmask_b32_e64 v4, v32, v4, s[8:9]
	v_cmp_nlt_f32_e64 s[14:15], v27, v28
	v_cmp_ge_u32_e64 s[10:11], v4, v29
	s_and_b64 s[12:13], s[12:13], s[14:15]
	s_or_b64 s[10:11], s[10:11], s[12:13]
	v_cndmask_b32_e64 v4, v4, v13, s[10:11]
	v_lshl_add_u32 v4, v4, 2, v24
	ds_read_b32 v11, v11 offset:2048
	ds_read_b32 v13, v4 offset:2048
	v_cndmask_b32_e64 v4, v3, v2, s[4:5]
	v_cndmask_b32_e64 v2, v26, v5, s[6:7]
	;; [unrolled: 1-line block ×4, first 2 shown]
.LBB1973_168:
	s_or_b64 exec, exec, s[18:19]
	s_cmpk_lt_u32 s20, 0x41
	; wave barrier
	s_waitcnt lgkmcnt(0)
	s_barrier
	s_cbranch_scc1 .LBB1973_181
; %bb.169:
	v_lshlrev_b32_e32 v24, 1, v21
	s_mov_b32 s22, 64
	v_add_u32_e32 v25, v24, v20
	s_mov_b32 s21, 0x5040100
	s_branch .LBB1973_172
.LBB1973_170:                           ;   in Loop: Header=BB1973_172 Depth=1
	s_or_b64 exec, exec, s[10:11]
	s_waitcnt lgkmcnt(0)
	v_lshlrev_b32_e32 v4, 16, v2
	v_lshlrev_b32_e32 v5, 16, v3
	v_cmp_nlt_f32_e64 s[8:9], v5, v4
	s_and_b64 s[4:5], s[4:5], s[8:9]
	s_or_b64 s[4:5], s[6:7], s[4:5]
	v_cndmask_b32_e64 v4, v31, v30, s[4:5]
	v_cndmask_b32_e64 v5, v27, v26, s[4:5]
	v_add_u32_e32 v10, 1, v4
	v_add_u32_e32 v5, -1, v5
	v_min_u32_e32 v5, v10, v5
	v_lshlrev_b32_e32 v5, 1, v5
	ds_read_u16 v5, v5
	v_cndmask_b32_e64 v11, v10, v31, s[4:5]
	v_cndmask_b32_e64 v12, v30, v10, s[4:5]
	v_cmp_lt_u32_e64 s[8:9], v12, v26
	v_cmp_ge_u32_e64 s[6:7], v11, v27
	s_waitcnt lgkmcnt(0)
	v_cndmask_b32_e64 v28, v5, v3, s[4:5]
	v_cndmask_b32_e64 v5, v2, v5, s[4:5]
	v_lshlrev_b32_e32 v10, 16, v28
	v_lshlrev_b32_e32 v13, 16, v5
	v_cmp_nlt_f32_e64 s[10:11], v10, v13
	s_and_b64 s[8:9], s[8:9], s[10:11]
	s_or_b64 s[6:7], s[6:7], s[8:9]
	v_cndmask_b32_e64 v13, v11, v12, s[6:7]
	v_cndmask_b32_e64 v10, v27, v26, s[6:7]
	v_add_u32_e32 v29, 1, v13
	v_add_u32_e32 v10, -1, v10
	v_min_u32_e32 v10, v29, v10
	v_lshlrev_b32_e32 v10, 1, v10
	ds_read_u16 v30, v10
	v_lshlrev_b32_e32 v4, 2, v4
	ds_read_b32 v10, v4 offset:2048
	v_cndmask_b32_e64 v4, v29, v11, s[6:7]
	v_cndmask_b32_e64 v29, v12, v29, s[6:7]
	s_waitcnt lgkmcnt(1)
	v_cndmask_b32_e64 v31, v30, v28, s[6:7]
	v_cndmask_b32_e64 v30, v5, v30, s[6:7]
	v_lshlrev_b32_e32 v11, 16, v31
	v_lshlrev_b32_e32 v12, 16, v30
	v_cmp_lt_u32_e64 s[10:11], v29, v26
	v_cmp_nlt_f32_e64 s[12:13], v11, v12
	v_cmp_ge_u32_e64 s[8:9], v4, v27
	s_and_b64 s[10:11], s[10:11], s[12:13]
	s_or_b64 s[8:9], s[8:9], s[10:11]
	v_cndmask_b32_e64 v12, v4, v29, s[8:9]
	v_cndmask_b32_e64 v11, v27, v26, s[8:9]
	v_add_u32_e32 v32, 1, v12
	v_add_u32_e32 v11, -1, v11
	v_min_u32_e32 v11, v32, v11
	v_lshlrev_b32_e32 v11, 1, v11
	ds_read_u16 v33, v11
	v_lshlrev_b32_e32 v12, 2, v12
	ds_read_b32 v12, v12 offset:2048
	v_lshlrev_b32_e32 v11, 2, v13
	v_cndmask_b32_e64 v4, v32, v4, s[8:9]
	s_waitcnt lgkmcnt(1)
	v_cndmask_b32_e64 v34, v33, v31, s[8:9]
	v_cndmask_b32_e64 v33, v30, v33, s[8:9]
	v_cndmask_b32_e64 v13, v29, v32, s[8:9]
	v_cmp_ge_u32_e64 s[10:11], v4, v27
	v_cmp_lt_u32_e64 s[12:13], v13, v26
	v_lshlrev_b32_e32 v26, 16, v34
	v_lshlrev_b32_e32 v27, 16, v33
	v_cmp_nlt_f32_e64 s[14:15], v26, v27
	s_and_b64 s[12:13], s[12:13], s[14:15]
	s_or_b64 s[10:11], s[10:11], s[12:13]
	v_cndmask_b32_e64 v4, v4, v13, s[10:11]
	v_lshlrev_b32_e32 v4, 2, v4
	ds_read_b32 v11, v11 offset:2048
	ds_read_b32 v13, v4 offset:2048
	v_cndmask_b32_e64 v4, v3, v2, s[4:5]
	v_cndmask_b32_e64 v2, v28, v5, s[6:7]
	;; [unrolled: 1-line block ×4, first 2 shown]
.LBB1973_171:                           ;   in Loop: Header=BB1973_172 Depth=1
	s_or_b64 exec, exec, s[18:19]
	s_cmp_lt_u32 s22, s20
	s_waitcnt lgkmcnt(0)
	s_barrier
	s_cbranch_scc0 .LBB1973_181
.LBB1973_172:                           ; =>This Loop Header: Depth=1
                                        ;     Child Loop BB1973_174 Depth 2
	s_mov_b32 s4, s22
	s_lshl_b32 s22, s22, 1
	s_sub_i32 s6, 0, s22
	v_perm_b32 v27, v3, v5, s21
	v_perm_b32 v26, v2, v4, s21
	v_and_b32_e32 v30, s6, v21
	ds_write_b64 v24, v[26:27]
	ds_write_b128 v25, v[10:13] offset:2048
	v_add_u32_e32 v26, s4, v30
	v_min_u32_e32 v26, s20, v26
	s_add_i32 s5, s22, -1
	v_add_u32_e32 v27, s4, v26
	v_min_u32_e32 v27, s20, v27
	v_and_b32_e32 v28, s5, v21
	v_min_u32_e32 v31, s20, v28
	v_sub_u32_e32 v32, v26, v30
	v_sub_u32_e32 v29, v27, v26
	v_sub_u32_e64 v29, v31, v29 clamp
	v_min_u32_e32 v32, v31, v32
	v_lshlrev_b32_e32 v28, 1, v30
	v_cmp_lt_u32_e64 s[4:5], v29, v32
	s_waitcnt lgkmcnt(0)
	s_barrier
	s_and_saveexec_b64 s[6:7], s[4:5]
	s_cbranch_execz .LBB1973_176
; %bb.173:                              ;   in Loop: Header=BB1973_172 Depth=1
	v_lshlrev_b32_e32 v33, 1, v31
	v_lshl_add_u32 v33, v26, 1, v33
	s_mov_b64 s[8:9], 0
.LBB1973_174:                           ;   Parent Loop BB1973_172 Depth=1
                                        ; =>  This Inner Loop Header: Depth=2
	v_add_u32_e32 v34, v32, v29
	v_lshrrev_b32_e32 v35, 1, v34
	v_and_b32_e32 v34, -2, v34
	v_not_b32_e32 v36, v35
	v_add_u32_e32 v34, v28, v34
	v_lshl_add_u32 v36, v36, 1, v33
	ds_read_u16 v34, v34
	ds_read_u16 v36, v36
	v_add_u32_e32 v37, 1, v35
	s_waitcnt lgkmcnt(1)
	v_lshlrev_b32_e32 v34, 16, v34
	s_waitcnt lgkmcnt(0)
	v_lshlrev_b32_e32 v36, 16, v36
	v_cmp_lt_f32_e64 s[4:5], v36, v34
	v_cndmask_b32_e64 v32, v32, v35, s[4:5]
	v_cndmask_b32_e64 v29, v37, v29, s[4:5]
	v_cmp_ge_u32_e64 s[4:5], v29, v32
	s_or_b64 s[8:9], s[4:5], s[8:9]
	s_andn2_b64 exec, exec, s[8:9]
	s_cbranch_execnz .LBB1973_174
; %bb.175:                              ;   in Loop: Header=BB1973_172 Depth=1
	s_or_b64 exec, exec, s[8:9]
.LBB1973_176:                           ;   in Loop: Header=BB1973_172 Depth=1
	s_or_b64 exec, exec, s[6:7]
	v_sub_u32_e32 v31, v31, v29
	v_add_u32_e32 v30, v29, v30
	v_add_u32_e32 v31, v31, v26
	v_cmp_le_u32_e64 s[4:5], v30, v26
	v_cmp_le_u32_e64 s[6:7], v31, v27
	s_or_b64 s[4:5], s[4:5], s[6:7]
	s_and_saveexec_b64 s[18:19], s[4:5]
	s_cbranch_execz .LBB1973_171
; %bb.177:                              ;   in Loop: Header=BB1973_172 Depth=1
	v_cmp_lt_u32_e64 s[4:5], v30, v26
                                        ; implicit-def: $vgpr2
	s_and_saveexec_b64 s[6:7], s[4:5]
; %bb.178:                              ;   in Loop: Header=BB1973_172 Depth=1
	v_lshl_add_u32 v2, v29, 1, v28
	ds_read_u16 v2, v2
; %bb.179:                              ;   in Loop: Header=BB1973_172 Depth=1
	s_or_b64 exec, exec, s[6:7]
	v_cmp_ge_u32_e64 s[6:7], v31, v27
	v_cmp_lt_u32_e64 s[8:9], v31, v27
                                        ; implicit-def: $vgpr3
	s_and_saveexec_b64 s[10:11], s[8:9]
	s_cbranch_execz .LBB1973_170
; %bb.180:                              ;   in Loop: Header=BB1973_172 Depth=1
	v_lshlrev_b32_e32 v3, 1, v31
	ds_read_u16 v3, v3
	s_branch .LBB1973_170
.LBB1973_181:
	s_mov_b32 s4, 0x5040100
	v_lshl_add_u32 v9, v21, 1, v9
	v_perm_b32 v3, v3, v5, s4
	v_perm_b32 v2, v2, v4, s4
	s_barrier
	ds_write2_b32 v9, v2, v3 offset1:1
	s_waitcnt lgkmcnt(0)
	s_barrier
	ds_read_u16 v9, v1 offset:512
	ds_read_u16 v5, v7 offset:1024
	;; [unrolled: 1-line block ×3, first 2 shown]
	v_mov_b32_e32 v3, s17
	v_add_co_u32_e64 v2, s[4:5], s16, v22
	v_mov_b32_e32 v1, 0
	v_addc_co_u32_e64 v3, s[4:5], 0, v3, s[4:5]
	s_and_saveexec_b64 s[4:5], vcc
	s_cbranch_execnz .LBB1973_199
; %bb.182:
	s_or_b64 exec, exec, s[4:5]
	s_and_saveexec_b64 s[4:5], s[0:1]
	s_cbranch_execnz .LBB1973_200
.LBB1973_183:
	s_or_b64 exec, exec, s[4:5]
	s_and_saveexec_b64 s[4:5], s[2:3]
	s_cbranch_execnz .LBB1973_201
.LBB1973_184:
	s_or_b64 exec, exec, s[4:5]
	s_and_saveexec_b64 s[4:5], s[24:25]
	s_cbranch_execz .LBB1973_186
.LBB1973_185:
	s_waitcnt lgkmcnt(0)
	global_store_short v[2:3], v4, off offset:1536
.LBB1973_186:
	s_or_b64 exec, exec, s[4:5]
	v_mov_b32_e32 v2, 0
	v_mov_b32_e32 v3, v2
	s_waitcnt lgkmcnt(0)
	v_mov_b32_e32 v4, v2
	v_mov_b32_e32 v5, v2
	;; [unrolled: 1-line block ×6, first 2 shown]
	s_waitcnt vmcnt(0)
	s_barrier
	s_and_saveexec_b64 s[6:7], vcc
	s_cbranch_execnz .LBB1973_202
; %bb.187:
	s_or_b64 exec, exec, s[6:7]
	s_and_saveexec_b64 s[6:7], s[0:1]
	s_cbranch_execnz .LBB1973_203
.LBB1973_188:
	s_or_b64 exec, exec, s[6:7]
	s_and_saveexec_b64 s[6:7], s[2:3]
	s_cbranch_execnz .LBB1973_204
.LBB1973_189:
	s_or_b64 exec, exec, s[6:7]
	s_and_saveexec_b64 s[6:7], s[24:25]
	s_cbranch_execz .LBB1973_191
.LBB1973_190:
	v_lshlrev_b32_e32 v8, 3, v14
	v_mov_b32_e32 v9, s28
	v_add_co_u32_e64 v8, s[4:5], s27, v8
	v_addc_co_u32_e64 v9, s[4:5], 0, v9, s[4:5]
	flat_load_dwordx2 v[8:9], v[8:9]
.LBB1973_191:
	s_or_b64 exec, exec, s[6:7]
	v_lshl_add_u32 v14, v23, 3, v20
	ds_write_b64 v14, v[2:3]
	v_lshrrev_b32_e32 v3, 2, v11
	v_lshl_add_u32 v15, v19, 3, v20
	v_and_b32_e32 v3, 0x3ffffff8, v3
	s_waitcnt vmcnt(0) lgkmcnt(0)
	ds_write_b64 v15, v[4:5] offset:2048
	v_lshl_add_u32 v4, v11, 3, v3
	v_lshrrev_b32_e32 v3, 2, v12
	v_lshl_add_u32 v18, v18, 3, v20
	v_and_b32_e32 v3, 0x3ffffff8, v3
	ds_write_b64 v18, v[6:7] offset:4096
	v_lshrrev_b32_e32 v2, 2, v10
	v_lshl_add_u32 v6, v12, 3, v3
	v_lshrrev_b32_e32 v3, 2, v13
	v_lshl_add_u32 v17, v17, 3, v20
	v_and_b32_e32 v2, 0x3ffffff8, v2
	v_and_b32_e32 v3, 0x3ffffff8, v3
	ds_write_b64 v17, v[8:9] offset:6144
	v_lshl_add_u32 v2, v10, 3, v2
	v_lshl_add_u32 v8, v13, 3, v3
	s_waitcnt lgkmcnt(0)
	s_barrier
	ds_read_b64 v[2:3], v2
	ds_read_b64 v[4:5], v4
	ds_read_b64 v[6:7], v6
	ds_read_b64 v[8:9], v8
	v_lshlrev_b32_e32 v10, 3, v21
	v_lshl_add_u32 v10, v16, 3, v10
	s_waitcnt lgkmcnt(0)
	s_barrier
	ds_write2_b64 v10, v[2:3], v[4:5] offset1:1
	ds_write2_b64 v10, v[6:7], v[8:9] offset0:2 offset1:3
	s_waitcnt lgkmcnt(0)
	s_barrier
	ds_read_b64 v[8:9], v15 offset:2048
	ds_read_b64 v[2:3], v18 offset:4096
	;; [unrolled: 1-line block ×3, first 2 shown]
	v_mov_b32_e32 v7, s26
	v_add_co_u32_e64 v6, s[4:5], s23, v20
	v_addc_co_u32_e64 v7, s[4:5], 0, v7, s[4:5]
	s_and_saveexec_b64 s[4:5], vcc
	s_cbranch_execnz .LBB1973_205
; %bb.192:
	s_or_b64 exec, exec, s[4:5]
	s_and_saveexec_b64 s[4:5], s[0:1]
	s_cbranch_execnz .LBB1973_206
.LBB1973_193:
	s_or_b64 exec, exec, s[4:5]
	s_and_saveexec_b64 s[0:1], s[2:3]
	s_cbranch_execz .LBB1973_195
.LBB1973_194:
	v_add_co_u32_e32 v6, vcc, 0x1000, v6
	v_addc_co_u32_e32 v7, vcc, 0, v7, vcc
	s_waitcnt lgkmcnt(0)
	flat_store_dwordx2 v[6:7], v[2:3]
.LBB1973_195:
	s_or_b64 exec, exec, s[0:1]
.LBB1973_196:
	s_and_saveexec_b64 s[0:1], s[24:25]
	s_cbranch_execz .LBB1973_198
; %bb.197:
	v_lshlrev_b64 v[0:1], 3, v[0:1]
	s_waitcnt lgkmcnt(0)
	v_mov_b32_e32 v2, s26
	v_add_co_u32_e32 v0, vcc, s23, v0
	v_addc_co_u32_e32 v1, vcc, v2, v1, vcc
	v_add_co_u32_e32 v0, vcc, 0x1000, v0
	v_addc_co_u32_e32 v1, vcc, 0, v1, vcc
	flat_store_dwordx2 v[0:1], v[4:5] offset:2048
.LBB1973_198:
	s_endpgm
.LBB1973_199:
	ds_read_u16 v6, v6
	s_waitcnt lgkmcnt(0)
	global_store_short v[2:3], v6, off
	s_or_b64 exec, exec, s[4:5]
	s_and_saveexec_b64 s[4:5], s[0:1]
	s_cbranch_execz .LBB1973_183
.LBB1973_200:
	s_waitcnt lgkmcnt(2)
	global_store_short v[2:3], v9, off offset:512
	s_or_b64 exec, exec, s[4:5]
	s_and_saveexec_b64 s[4:5], s[2:3]
	s_cbranch_execz .LBB1973_184
.LBB1973_201:
	s_waitcnt lgkmcnt(1)
	global_store_short v[2:3], v5, off offset:1024
	s_or_b64 exec, exec, s[4:5]
	s_and_saveexec_b64 s[4:5], s[24:25]
	s_cbranch_execnz .LBB1973_185
	s_branch .LBB1973_186
.LBB1973_202:
	v_mov_b32_e32 v4, s28
	v_add_co_u32_e64 v3, s[4:5], s27, v20
	v_addc_co_u32_e64 v4, s[4:5], 0, v4, s[4:5]
	flat_load_dwordx2 v[24:25], v[3:4]
	v_mov_b32_e32 v26, v2
	v_mov_b32_e32 v27, v2
	;; [unrolled: 1-line block ×6, first 2 shown]
	s_waitcnt vmcnt(0) lgkmcnt(0)
	v_mov_b32_e32 v2, v24
	v_mov_b32_e32 v3, v25
	;; [unrolled: 1-line block ×8, first 2 shown]
	s_or_b64 exec, exec, s[6:7]
	s_and_saveexec_b64 s[6:7], s[0:1]
	s_cbranch_execz .LBB1973_188
.LBB1973_203:
	v_mov_b32_e32 v5, s28
	v_add_co_u32_e64 v4, s[4:5], s27, v20
	v_addc_co_u32_e64 v5, s[4:5], 0, v5, s[4:5]
	flat_load_dwordx2 v[4:5], v[4:5] offset:2048
	s_or_b64 exec, exec, s[6:7]
	s_and_saveexec_b64 s[6:7], s[2:3]
	s_cbranch_execz .LBB1973_189
.LBB1973_204:
	v_lshlrev_b32_e32 v6, 3, v15
	v_mov_b32_e32 v7, s28
	v_add_co_u32_e64 v6, s[4:5], s27, v6
	v_addc_co_u32_e64 v7, s[4:5], 0, v7, s[4:5]
	flat_load_dwordx2 v[6:7], v[6:7]
	s_or_b64 exec, exec, s[6:7]
	s_and_saveexec_b64 s[6:7], s[24:25]
	s_cbranch_execnz .LBB1973_190
	s_branch .LBB1973_191
.LBB1973_205:
	ds_read_b64 v[10:11], v14
	s_waitcnt lgkmcnt(0)
	flat_store_dwordx2 v[6:7], v[10:11]
	s_or_b64 exec, exec, s[4:5]
	s_and_saveexec_b64 s[4:5], s[0:1]
	s_cbranch_execz .LBB1973_193
.LBB1973_206:
	s_waitcnt lgkmcnt(0)
	flat_store_dwordx2 v[6:7], v[8:9] offset:2048
	s_or_b64 exec, exec, s[4:5]
	s_and_saveexec_b64 s[0:1], s[2:3]
	s_cbranch_execnz .LBB1973_194
	s_branch .LBB1973_195
	.section	.rodata,"a",@progbits
	.p2align	6, 0x0
	.amdhsa_kernel _ZN7rocprim17ROCPRIM_400000_NS6detail17trampoline_kernelINS0_14default_configENS1_37merge_sort_block_sort_config_selectorIN3c108BFloat16ElEEZNS1_21merge_sort_block_sortIS3_PS6_S9_N6thrust23THRUST_200600_302600_NS10device_ptrIlEESD_NSB_4lessIS6_EEEE10hipError_tT0_T1_T2_T3_mRjT4_P12ihipStream_tbNS1_7vsmem_tEEUlT_E_NS1_11comp_targetILNS1_3genE2ELNS1_11target_archE906ELNS1_3gpuE6ELNS1_3repE0EEENS1_30default_config_static_selectorELNS0_4arch9wavefront6targetE1EEEvSI_
		.amdhsa_group_segment_fixed_size 8448
		.amdhsa_private_segment_fixed_size 0
		.amdhsa_kernarg_size 320
		.amdhsa_user_sgpr_count 6
		.amdhsa_user_sgpr_private_segment_buffer 1
		.amdhsa_user_sgpr_dispatch_ptr 0
		.amdhsa_user_sgpr_queue_ptr 0
		.amdhsa_user_sgpr_kernarg_segment_ptr 1
		.amdhsa_user_sgpr_dispatch_id 0
		.amdhsa_user_sgpr_flat_scratch_init 0
		.amdhsa_user_sgpr_private_segment_size 0
		.amdhsa_uses_dynamic_stack 0
		.amdhsa_system_sgpr_private_segment_wavefront_offset 0
		.amdhsa_system_sgpr_workgroup_id_x 1
		.amdhsa_system_sgpr_workgroup_id_y 1
		.amdhsa_system_sgpr_workgroup_id_z 1
		.amdhsa_system_sgpr_workgroup_info 0
		.amdhsa_system_vgpr_workitem_id 2
		.amdhsa_next_free_vgpr 47
		.amdhsa_next_free_sgpr 77
		.amdhsa_reserve_vcc 1
		.amdhsa_reserve_flat_scratch 0
		.amdhsa_float_round_mode_32 0
		.amdhsa_float_round_mode_16_64 0
		.amdhsa_float_denorm_mode_32 3
		.amdhsa_float_denorm_mode_16_64 3
		.amdhsa_dx10_clamp 1
		.amdhsa_ieee_mode 1
		.amdhsa_fp16_overflow 0
		.amdhsa_exception_fp_ieee_invalid_op 0
		.amdhsa_exception_fp_denorm_src 0
		.amdhsa_exception_fp_ieee_div_zero 0
		.amdhsa_exception_fp_ieee_overflow 0
		.amdhsa_exception_fp_ieee_underflow 0
		.amdhsa_exception_fp_ieee_inexact 0
		.amdhsa_exception_int_div_zero 0
	.end_amdhsa_kernel
	.section	.text._ZN7rocprim17ROCPRIM_400000_NS6detail17trampoline_kernelINS0_14default_configENS1_37merge_sort_block_sort_config_selectorIN3c108BFloat16ElEEZNS1_21merge_sort_block_sortIS3_PS6_S9_N6thrust23THRUST_200600_302600_NS10device_ptrIlEESD_NSB_4lessIS6_EEEE10hipError_tT0_T1_T2_T3_mRjT4_P12ihipStream_tbNS1_7vsmem_tEEUlT_E_NS1_11comp_targetILNS1_3genE2ELNS1_11target_archE906ELNS1_3gpuE6ELNS1_3repE0EEENS1_30default_config_static_selectorELNS0_4arch9wavefront6targetE1EEEvSI_,"axG",@progbits,_ZN7rocprim17ROCPRIM_400000_NS6detail17trampoline_kernelINS0_14default_configENS1_37merge_sort_block_sort_config_selectorIN3c108BFloat16ElEEZNS1_21merge_sort_block_sortIS3_PS6_S9_N6thrust23THRUST_200600_302600_NS10device_ptrIlEESD_NSB_4lessIS6_EEEE10hipError_tT0_T1_T2_T3_mRjT4_P12ihipStream_tbNS1_7vsmem_tEEUlT_E_NS1_11comp_targetILNS1_3genE2ELNS1_11target_archE906ELNS1_3gpuE6ELNS1_3repE0EEENS1_30default_config_static_selectorELNS0_4arch9wavefront6targetE1EEEvSI_,comdat
.Lfunc_end1973:
	.size	_ZN7rocprim17ROCPRIM_400000_NS6detail17trampoline_kernelINS0_14default_configENS1_37merge_sort_block_sort_config_selectorIN3c108BFloat16ElEEZNS1_21merge_sort_block_sortIS3_PS6_S9_N6thrust23THRUST_200600_302600_NS10device_ptrIlEESD_NSB_4lessIS6_EEEE10hipError_tT0_T1_T2_T3_mRjT4_P12ihipStream_tbNS1_7vsmem_tEEUlT_E_NS1_11comp_targetILNS1_3genE2ELNS1_11target_archE906ELNS1_3gpuE6ELNS1_3repE0EEENS1_30default_config_static_selectorELNS0_4arch9wavefront6targetE1EEEvSI_, .Lfunc_end1973-_ZN7rocprim17ROCPRIM_400000_NS6detail17trampoline_kernelINS0_14default_configENS1_37merge_sort_block_sort_config_selectorIN3c108BFloat16ElEEZNS1_21merge_sort_block_sortIS3_PS6_S9_N6thrust23THRUST_200600_302600_NS10device_ptrIlEESD_NSB_4lessIS6_EEEE10hipError_tT0_T1_T2_T3_mRjT4_P12ihipStream_tbNS1_7vsmem_tEEUlT_E_NS1_11comp_targetILNS1_3genE2ELNS1_11target_archE906ELNS1_3gpuE6ELNS1_3repE0EEENS1_30default_config_static_selectorELNS0_4arch9wavefront6targetE1EEEvSI_
                                        ; -- End function
	.set _ZN7rocprim17ROCPRIM_400000_NS6detail17trampoline_kernelINS0_14default_configENS1_37merge_sort_block_sort_config_selectorIN3c108BFloat16ElEEZNS1_21merge_sort_block_sortIS3_PS6_S9_N6thrust23THRUST_200600_302600_NS10device_ptrIlEESD_NSB_4lessIS6_EEEE10hipError_tT0_T1_T2_T3_mRjT4_P12ihipStream_tbNS1_7vsmem_tEEUlT_E_NS1_11comp_targetILNS1_3genE2ELNS1_11target_archE906ELNS1_3gpuE6ELNS1_3repE0EEENS1_30default_config_static_selectorELNS0_4arch9wavefront6targetE1EEEvSI_.num_vgpr, 47
	.set _ZN7rocprim17ROCPRIM_400000_NS6detail17trampoline_kernelINS0_14default_configENS1_37merge_sort_block_sort_config_selectorIN3c108BFloat16ElEEZNS1_21merge_sort_block_sortIS3_PS6_S9_N6thrust23THRUST_200600_302600_NS10device_ptrIlEESD_NSB_4lessIS6_EEEE10hipError_tT0_T1_T2_T3_mRjT4_P12ihipStream_tbNS1_7vsmem_tEEUlT_E_NS1_11comp_targetILNS1_3genE2ELNS1_11target_archE906ELNS1_3gpuE6ELNS1_3repE0EEENS1_30default_config_static_selectorELNS0_4arch9wavefront6targetE1EEEvSI_.num_agpr, 0
	.set _ZN7rocprim17ROCPRIM_400000_NS6detail17trampoline_kernelINS0_14default_configENS1_37merge_sort_block_sort_config_selectorIN3c108BFloat16ElEEZNS1_21merge_sort_block_sortIS3_PS6_S9_N6thrust23THRUST_200600_302600_NS10device_ptrIlEESD_NSB_4lessIS6_EEEE10hipError_tT0_T1_T2_T3_mRjT4_P12ihipStream_tbNS1_7vsmem_tEEUlT_E_NS1_11comp_targetILNS1_3genE2ELNS1_11target_archE906ELNS1_3gpuE6ELNS1_3repE0EEENS1_30default_config_static_selectorELNS0_4arch9wavefront6targetE1EEEvSI_.numbered_sgpr, 32
	.set _ZN7rocprim17ROCPRIM_400000_NS6detail17trampoline_kernelINS0_14default_configENS1_37merge_sort_block_sort_config_selectorIN3c108BFloat16ElEEZNS1_21merge_sort_block_sortIS3_PS6_S9_N6thrust23THRUST_200600_302600_NS10device_ptrIlEESD_NSB_4lessIS6_EEEE10hipError_tT0_T1_T2_T3_mRjT4_P12ihipStream_tbNS1_7vsmem_tEEUlT_E_NS1_11comp_targetILNS1_3genE2ELNS1_11target_archE906ELNS1_3gpuE6ELNS1_3repE0EEENS1_30default_config_static_selectorELNS0_4arch9wavefront6targetE1EEEvSI_.num_named_barrier, 0
	.set _ZN7rocprim17ROCPRIM_400000_NS6detail17trampoline_kernelINS0_14default_configENS1_37merge_sort_block_sort_config_selectorIN3c108BFloat16ElEEZNS1_21merge_sort_block_sortIS3_PS6_S9_N6thrust23THRUST_200600_302600_NS10device_ptrIlEESD_NSB_4lessIS6_EEEE10hipError_tT0_T1_T2_T3_mRjT4_P12ihipStream_tbNS1_7vsmem_tEEUlT_E_NS1_11comp_targetILNS1_3genE2ELNS1_11target_archE906ELNS1_3gpuE6ELNS1_3repE0EEENS1_30default_config_static_selectorELNS0_4arch9wavefront6targetE1EEEvSI_.private_seg_size, 0
	.set _ZN7rocprim17ROCPRIM_400000_NS6detail17trampoline_kernelINS0_14default_configENS1_37merge_sort_block_sort_config_selectorIN3c108BFloat16ElEEZNS1_21merge_sort_block_sortIS3_PS6_S9_N6thrust23THRUST_200600_302600_NS10device_ptrIlEESD_NSB_4lessIS6_EEEE10hipError_tT0_T1_T2_T3_mRjT4_P12ihipStream_tbNS1_7vsmem_tEEUlT_E_NS1_11comp_targetILNS1_3genE2ELNS1_11target_archE906ELNS1_3gpuE6ELNS1_3repE0EEENS1_30default_config_static_selectorELNS0_4arch9wavefront6targetE1EEEvSI_.uses_vcc, 1
	.set _ZN7rocprim17ROCPRIM_400000_NS6detail17trampoline_kernelINS0_14default_configENS1_37merge_sort_block_sort_config_selectorIN3c108BFloat16ElEEZNS1_21merge_sort_block_sortIS3_PS6_S9_N6thrust23THRUST_200600_302600_NS10device_ptrIlEESD_NSB_4lessIS6_EEEE10hipError_tT0_T1_T2_T3_mRjT4_P12ihipStream_tbNS1_7vsmem_tEEUlT_E_NS1_11comp_targetILNS1_3genE2ELNS1_11target_archE906ELNS1_3gpuE6ELNS1_3repE0EEENS1_30default_config_static_selectorELNS0_4arch9wavefront6targetE1EEEvSI_.uses_flat_scratch, 0
	.set _ZN7rocprim17ROCPRIM_400000_NS6detail17trampoline_kernelINS0_14default_configENS1_37merge_sort_block_sort_config_selectorIN3c108BFloat16ElEEZNS1_21merge_sort_block_sortIS3_PS6_S9_N6thrust23THRUST_200600_302600_NS10device_ptrIlEESD_NSB_4lessIS6_EEEE10hipError_tT0_T1_T2_T3_mRjT4_P12ihipStream_tbNS1_7vsmem_tEEUlT_E_NS1_11comp_targetILNS1_3genE2ELNS1_11target_archE906ELNS1_3gpuE6ELNS1_3repE0EEENS1_30default_config_static_selectorELNS0_4arch9wavefront6targetE1EEEvSI_.has_dyn_sized_stack, 0
	.set _ZN7rocprim17ROCPRIM_400000_NS6detail17trampoline_kernelINS0_14default_configENS1_37merge_sort_block_sort_config_selectorIN3c108BFloat16ElEEZNS1_21merge_sort_block_sortIS3_PS6_S9_N6thrust23THRUST_200600_302600_NS10device_ptrIlEESD_NSB_4lessIS6_EEEE10hipError_tT0_T1_T2_T3_mRjT4_P12ihipStream_tbNS1_7vsmem_tEEUlT_E_NS1_11comp_targetILNS1_3genE2ELNS1_11target_archE906ELNS1_3gpuE6ELNS1_3repE0EEENS1_30default_config_static_selectorELNS0_4arch9wavefront6targetE1EEEvSI_.has_recursion, 0
	.set _ZN7rocprim17ROCPRIM_400000_NS6detail17trampoline_kernelINS0_14default_configENS1_37merge_sort_block_sort_config_selectorIN3c108BFloat16ElEEZNS1_21merge_sort_block_sortIS3_PS6_S9_N6thrust23THRUST_200600_302600_NS10device_ptrIlEESD_NSB_4lessIS6_EEEE10hipError_tT0_T1_T2_T3_mRjT4_P12ihipStream_tbNS1_7vsmem_tEEUlT_E_NS1_11comp_targetILNS1_3genE2ELNS1_11target_archE906ELNS1_3gpuE6ELNS1_3repE0EEENS1_30default_config_static_selectorELNS0_4arch9wavefront6targetE1EEEvSI_.has_indirect_call, 0
	.section	.AMDGPU.csdata,"",@progbits
; Kernel info:
; codeLenInByte = 13988
; TotalNumSgprs: 36
; NumVgprs: 47
; ScratchSize: 0
; MemoryBound: 0
; FloatMode: 240
; IeeeMode: 1
; LDSByteSize: 8448 bytes/workgroup (compile time only)
; SGPRBlocks: 10
; VGPRBlocks: 11
; NumSGPRsForWavesPerEU: 81
; NumVGPRsForWavesPerEU: 47
; Occupancy: 5
; WaveLimiterHint : 1
; COMPUTE_PGM_RSRC2:SCRATCH_EN: 0
; COMPUTE_PGM_RSRC2:USER_SGPR: 6
; COMPUTE_PGM_RSRC2:TRAP_HANDLER: 0
; COMPUTE_PGM_RSRC2:TGID_X_EN: 1
; COMPUTE_PGM_RSRC2:TGID_Y_EN: 1
; COMPUTE_PGM_RSRC2:TGID_Z_EN: 1
; COMPUTE_PGM_RSRC2:TIDIG_COMP_CNT: 2
	.section	.text._ZN7rocprim17ROCPRIM_400000_NS6detail17trampoline_kernelINS0_14default_configENS1_37merge_sort_block_sort_config_selectorIN3c108BFloat16ElEEZNS1_21merge_sort_block_sortIS3_PS6_S9_N6thrust23THRUST_200600_302600_NS10device_ptrIlEESD_NSB_4lessIS6_EEEE10hipError_tT0_T1_T2_T3_mRjT4_P12ihipStream_tbNS1_7vsmem_tEEUlT_E_NS1_11comp_targetILNS1_3genE10ELNS1_11target_archE1201ELNS1_3gpuE5ELNS1_3repE0EEENS1_30default_config_static_selectorELNS0_4arch9wavefront6targetE1EEEvSI_,"axG",@progbits,_ZN7rocprim17ROCPRIM_400000_NS6detail17trampoline_kernelINS0_14default_configENS1_37merge_sort_block_sort_config_selectorIN3c108BFloat16ElEEZNS1_21merge_sort_block_sortIS3_PS6_S9_N6thrust23THRUST_200600_302600_NS10device_ptrIlEESD_NSB_4lessIS6_EEEE10hipError_tT0_T1_T2_T3_mRjT4_P12ihipStream_tbNS1_7vsmem_tEEUlT_E_NS1_11comp_targetILNS1_3genE10ELNS1_11target_archE1201ELNS1_3gpuE5ELNS1_3repE0EEENS1_30default_config_static_selectorELNS0_4arch9wavefront6targetE1EEEvSI_,comdat
	.protected	_ZN7rocprim17ROCPRIM_400000_NS6detail17trampoline_kernelINS0_14default_configENS1_37merge_sort_block_sort_config_selectorIN3c108BFloat16ElEEZNS1_21merge_sort_block_sortIS3_PS6_S9_N6thrust23THRUST_200600_302600_NS10device_ptrIlEESD_NSB_4lessIS6_EEEE10hipError_tT0_T1_T2_T3_mRjT4_P12ihipStream_tbNS1_7vsmem_tEEUlT_E_NS1_11comp_targetILNS1_3genE10ELNS1_11target_archE1201ELNS1_3gpuE5ELNS1_3repE0EEENS1_30default_config_static_selectorELNS0_4arch9wavefront6targetE1EEEvSI_ ; -- Begin function _ZN7rocprim17ROCPRIM_400000_NS6detail17trampoline_kernelINS0_14default_configENS1_37merge_sort_block_sort_config_selectorIN3c108BFloat16ElEEZNS1_21merge_sort_block_sortIS3_PS6_S9_N6thrust23THRUST_200600_302600_NS10device_ptrIlEESD_NSB_4lessIS6_EEEE10hipError_tT0_T1_T2_T3_mRjT4_P12ihipStream_tbNS1_7vsmem_tEEUlT_E_NS1_11comp_targetILNS1_3genE10ELNS1_11target_archE1201ELNS1_3gpuE5ELNS1_3repE0EEENS1_30default_config_static_selectorELNS0_4arch9wavefront6targetE1EEEvSI_
	.globl	_ZN7rocprim17ROCPRIM_400000_NS6detail17trampoline_kernelINS0_14default_configENS1_37merge_sort_block_sort_config_selectorIN3c108BFloat16ElEEZNS1_21merge_sort_block_sortIS3_PS6_S9_N6thrust23THRUST_200600_302600_NS10device_ptrIlEESD_NSB_4lessIS6_EEEE10hipError_tT0_T1_T2_T3_mRjT4_P12ihipStream_tbNS1_7vsmem_tEEUlT_E_NS1_11comp_targetILNS1_3genE10ELNS1_11target_archE1201ELNS1_3gpuE5ELNS1_3repE0EEENS1_30default_config_static_selectorELNS0_4arch9wavefront6targetE1EEEvSI_
	.p2align	8
	.type	_ZN7rocprim17ROCPRIM_400000_NS6detail17trampoline_kernelINS0_14default_configENS1_37merge_sort_block_sort_config_selectorIN3c108BFloat16ElEEZNS1_21merge_sort_block_sortIS3_PS6_S9_N6thrust23THRUST_200600_302600_NS10device_ptrIlEESD_NSB_4lessIS6_EEEE10hipError_tT0_T1_T2_T3_mRjT4_P12ihipStream_tbNS1_7vsmem_tEEUlT_E_NS1_11comp_targetILNS1_3genE10ELNS1_11target_archE1201ELNS1_3gpuE5ELNS1_3repE0EEENS1_30default_config_static_selectorELNS0_4arch9wavefront6targetE1EEEvSI_,@function
_ZN7rocprim17ROCPRIM_400000_NS6detail17trampoline_kernelINS0_14default_configENS1_37merge_sort_block_sort_config_selectorIN3c108BFloat16ElEEZNS1_21merge_sort_block_sortIS3_PS6_S9_N6thrust23THRUST_200600_302600_NS10device_ptrIlEESD_NSB_4lessIS6_EEEE10hipError_tT0_T1_T2_T3_mRjT4_P12ihipStream_tbNS1_7vsmem_tEEUlT_E_NS1_11comp_targetILNS1_3genE10ELNS1_11target_archE1201ELNS1_3gpuE5ELNS1_3repE0EEENS1_30default_config_static_selectorELNS0_4arch9wavefront6targetE1EEEvSI_: ; @_ZN7rocprim17ROCPRIM_400000_NS6detail17trampoline_kernelINS0_14default_configENS1_37merge_sort_block_sort_config_selectorIN3c108BFloat16ElEEZNS1_21merge_sort_block_sortIS3_PS6_S9_N6thrust23THRUST_200600_302600_NS10device_ptrIlEESD_NSB_4lessIS6_EEEE10hipError_tT0_T1_T2_T3_mRjT4_P12ihipStream_tbNS1_7vsmem_tEEUlT_E_NS1_11comp_targetILNS1_3genE10ELNS1_11target_archE1201ELNS1_3gpuE5ELNS1_3repE0EEENS1_30default_config_static_selectorELNS0_4arch9wavefront6targetE1EEEvSI_
; %bb.0:
	.section	.rodata,"a",@progbits
	.p2align	6, 0x0
	.amdhsa_kernel _ZN7rocprim17ROCPRIM_400000_NS6detail17trampoline_kernelINS0_14default_configENS1_37merge_sort_block_sort_config_selectorIN3c108BFloat16ElEEZNS1_21merge_sort_block_sortIS3_PS6_S9_N6thrust23THRUST_200600_302600_NS10device_ptrIlEESD_NSB_4lessIS6_EEEE10hipError_tT0_T1_T2_T3_mRjT4_P12ihipStream_tbNS1_7vsmem_tEEUlT_E_NS1_11comp_targetILNS1_3genE10ELNS1_11target_archE1201ELNS1_3gpuE5ELNS1_3repE0EEENS1_30default_config_static_selectorELNS0_4arch9wavefront6targetE1EEEvSI_
		.amdhsa_group_segment_fixed_size 0
		.amdhsa_private_segment_fixed_size 0
		.amdhsa_kernarg_size 64
		.amdhsa_user_sgpr_count 6
		.amdhsa_user_sgpr_private_segment_buffer 1
		.amdhsa_user_sgpr_dispatch_ptr 0
		.amdhsa_user_sgpr_queue_ptr 0
		.amdhsa_user_sgpr_kernarg_segment_ptr 1
		.amdhsa_user_sgpr_dispatch_id 0
		.amdhsa_user_sgpr_flat_scratch_init 0
		.amdhsa_user_sgpr_private_segment_size 0
		.amdhsa_uses_dynamic_stack 0
		.amdhsa_system_sgpr_private_segment_wavefront_offset 0
		.amdhsa_system_sgpr_workgroup_id_x 1
		.amdhsa_system_sgpr_workgroup_id_y 0
		.amdhsa_system_sgpr_workgroup_id_z 0
		.amdhsa_system_sgpr_workgroup_info 0
		.amdhsa_system_vgpr_workitem_id 0
		.amdhsa_next_free_vgpr 1
		.amdhsa_next_free_sgpr 0
		.amdhsa_reserve_vcc 0
		.amdhsa_reserve_flat_scratch 0
		.amdhsa_float_round_mode_32 0
		.amdhsa_float_round_mode_16_64 0
		.amdhsa_float_denorm_mode_32 3
		.amdhsa_float_denorm_mode_16_64 3
		.amdhsa_dx10_clamp 1
		.amdhsa_ieee_mode 1
		.amdhsa_fp16_overflow 0
		.amdhsa_exception_fp_ieee_invalid_op 0
		.amdhsa_exception_fp_denorm_src 0
		.amdhsa_exception_fp_ieee_div_zero 0
		.amdhsa_exception_fp_ieee_overflow 0
		.amdhsa_exception_fp_ieee_underflow 0
		.amdhsa_exception_fp_ieee_inexact 0
		.amdhsa_exception_int_div_zero 0
	.end_amdhsa_kernel
	.section	.text._ZN7rocprim17ROCPRIM_400000_NS6detail17trampoline_kernelINS0_14default_configENS1_37merge_sort_block_sort_config_selectorIN3c108BFloat16ElEEZNS1_21merge_sort_block_sortIS3_PS6_S9_N6thrust23THRUST_200600_302600_NS10device_ptrIlEESD_NSB_4lessIS6_EEEE10hipError_tT0_T1_T2_T3_mRjT4_P12ihipStream_tbNS1_7vsmem_tEEUlT_E_NS1_11comp_targetILNS1_3genE10ELNS1_11target_archE1201ELNS1_3gpuE5ELNS1_3repE0EEENS1_30default_config_static_selectorELNS0_4arch9wavefront6targetE1EEEvSI_,"axG",@progbits,_ZN7rocprim17ROCPRIM_400000_NS6detail17trampoline_kernelINS0_14default_configENS1_37merge_sort_block_sort_config_selectorIN3c108BFloat16ElEEZNS1_21merge_sort_block_sortIS3_PS6_S9_N6thrust23THRUST_200600_302600_NS10device_ptrIlEESD_NSB_4lessIS6_EEEE10hipError_tT0_T1_T2_T3_mRjT4_P12ihipStream_tbNS1_7vsmem_tEEUlT_E_NS1_11comp_targetILNS1_3genE10ELNS1_11target_archE1201ELNS1_3gpuE5ELNS1_3repE0EEENS1_30default_config_static_selectorELNS0_4arch9wavefront6targetE1EEEvSI_,comdat
.Lfunc_end1974:
	.size	_ZN7rocprim17ROCPRIM_400000_NS6detail17trampoline_kernelINS0_14default_configENS1_37merge_sort_block_sort_config_selectorIN3c108BFloat16ElEEZNS1_21merge_sort_block_sortIS3_PS6_S9_N6thrust23THRUST_200600_302600_NS10device_ptrIlEESD_NSB_4lessIS6_EEEE10hipError_tT0_T1_T2_T3_mRjT4_P12ihipStream_tbNS1_7vsmem_tEEUlT_E_NS1_11comp_targetILNS1_3genE10ELNS1_11target_archE1201ELNS1_3gpuE5ELNS1_3repE0EEENS1_30default_config_static_selectorELNS0_4arch9wavefront6targetE1EEEvSI_, .Lfunc_end1974-_ZN7rocprim17ROCPRIM_400000_NS6detail17trampoline_kernelINS0_14default_configENS1_37merge_sort_block_sort_config_selectorIN3c108BFloat16ElEEZNS1_21merge_sort_block_sortIS3_PS6_S9_N6thrust23THRUST_200600_302600_NS10device_ptrIlEESD_NSB_4lessIS6_EEEE10hipError_tT0_T1_T2_T3_mRjT4_P12ihipStream_tbNS1_7vsmem_tEEUlT_E_NS1_11comp_targetILNS1_3genE10ELNS1_11target_archE1201ELNS1_3gpuE5ELNS1_3repE0EEENS1_30default_config_static_selectorELNS0_4arch9wavefront6targetE1EEEvSI_
                                        ; -- End function
	.set _ZN7rocprim17ROCPRIM_400000_NS6detail17trampoline_kernelINS0_14default_configENS1_37merge_sort_block_sort_config_selectorIN3c108BFloat16ElEEZNS1_21merge_sort_block_sortIS3_PS6_S9_N6thrust23THRUST_200600_302600_NS10device_ptrIlEESD_NSB_4lessIS6_EEEE10hipError_tT0_T1_T2_T3_mRjT4_P12ihipStream_tbNS1_7vsmem_tEEUlT_E_NS1_11comp_targetILNS1_3genE10ELNS1_11target_archE1201ELNS1_3gpuE5ELNS1_3repE0EEENS1_30default_config_static_selectorELNS0_4arch9wavefront6targetE1EEEvSI_.num_vgpr, 0
	.set _ZN7rocprim17ROCPRIM_400000_NS6detail17trampoline_kernelINS0_14default_configENS1_37merge_sort_block_sort_config_selectorIN3c108BFloat16ElEEZNS1_21merge_sort_block_sortIS3_PS6_S9_N6thrust23THRUST_200600_302600_NS10device_ptrIlEESD_NSB_4lessIS6_EEEE10hipError_tT0_T1_T2_T3_mRjT4_P12ihipStream_tbNS1_7vsmem_tEEUlT_E_NS1_11comp_targetILNS1_3genE10ELNS1_11target_archE1201ELNS1_3gpuE5ELNS1_3repE0EEENS1_30default_config_static_selectorELNS0_4arch9wavefront6targetE1EEEvSI_.num_agpr, 0
	.set _ZN7rocprim17ROCPRIM_400000_NS6detail17trampoline_kernelINS0_14default_configENS1_37merge_sort_block_sort_config_selectorIN3c108BFloat16ElEEZNS1_21merge_sort_block_sortIS3_PS6_S9_N6thrust23THRUST_200600_302600_NS10device_ptrIlEESD_NSB_4lessIS6_EEEE10hipError_tT0_T1_T2_T3_mRjT4_P12ihipStream_tbNS1_7vsmem_tEEUlT_E_NS1_11comp_targetILNS1_3genE10ELNS1_11target_archE1201ELNS1_3gpuE5ELNS1_3repE0EEENS1_30default_config_static_selectorELNS0_4arch9wavefront6targetE1EEEvSI_.numbered_sgpr, 0
	.set _ZN7rocprim17ROCPRIM_400000_NS6detail17trampoline_kernelINS0_14default_configENS1_37merge_sort_block_sort_config_selectorIN3c108BFloat16ElEEZNS1_21merge_sort_block_sortIS3_PS6_S9_N6thrust23THRUST_200600_302600_NS10device_ptrIlEESD_NSB_4lessIS6_EEEE10hipError_tT0_T1_T2_T3_mRjT4_P12ihipStream_tbNS1_7vsmem_tEEUlT_E_NS1_11comp_targetILNS1_3genE10ELNS1_11target_archE1201ELNS1_3gpuE5ELNS1_3repE0EEENS1_30default_config_static_selectorELNS0_4arch9wavefront6targetE1EEEvSI_.num_named_barrier, 0
	.set _ZN7rocprim17ROCPRIM_400000_NS6detail17trampoline_kernelINS0_14default_configENS1_37merge_sort_block_sort_config_selectorIN3c108BFloat16ElEEZNS1_21merge_sort_block_sortIS3_PS6_S9_N6thrust23THRUST_200600_302600_NS10device_ptrIlEESD_NSB_4lessIS6_EEEE10hipError_tT0_T1_T2_T3_mRjT4_P12ihipStream_tbNS1_7vsmem_tEEUlT_E_NS1_11comp_targetILNS1_3genE10ELNS1_11target_archE1201ELNS1_3gpuE5ELNS1_3repE0EEENS1_30default_config_static_selectorELNS0_4arch9wavefront6targetE1EEEvSI_.private_seg_size, 0
	.set _ZN7rocprim17ROCPRIM_400000_NS6detail17trampoline_kernelINS0_14default_configENS1_37merge_sort_block_sort_config_selectorIN3c108BFloat16ElEEZNS1_21merge_sort_block_sortIS3_PS6_S9_N6thrust23THRUST_200600_302600_NS10device_ptrIlEESD_NSB_4lessIS6_EEEE10hipError_tT0_T1_T2_T3_mRjT4_P12ihipStream_tbNS1_7vsmem_tEEUlT_E_NS1_11comp_targetILNS1_3genE10ELNS1_11target_archE1201ELNS1_3gpuE5ELNS1_3repE0EEENS1_30default_config_static_selectorELNS0_4arch9wavefront6targetE1EEEvSI_.uses_vcc, 0
	.set _ZN7rocprim17ROCPRIM_400000_NS6detail17trampoline_kernelINS0_14default_configENS1_37merge_sort_block_sort_config_selectorIN3c108BFloat16ElEEZNS1_21merge_sort_block_sortIS3_PS6_S9_N6thrust23THRUST_200600_302600_NS10device_ptrIlEESD_NSB_4lessIS6_EEEE10hipError_tT0_T1_T2_T3_mRjT4_P12ihipStream_tbNS1_7vsmem_tEEUlT_E_NS1_11comp_targetILNS1_3genE10ELNS1_11target_archE1201ELNS1_3gpuE5ELNS1_3repE0EEENS1_30default_config_static_selectorELNS0_4arch9wavefront6targetE1EEEvSI_.uses_flat_scratch, 0
	.set _ZN7rocprim17ROCPRIM_400000_NS6detail17trampoline_kernelINS0_14default_configENS1_37merge_sort_block_sort_config_selectorIN3c108BFloat16ElEEZNS1_21merge_sort_block_sortIS3_PS6_S9_N6thrust23THRUST_200600_302600_NS10device_ptrIlEESD_NSB_4lessIS6_EEEE10hipError_tT0_T1_T2_T3_mRjT4_P12ihipStream_tbNS1_7vsmem_tEEUlT_E_NS1_11comp_targetILNS1_3genE10ELNS1_11target_archE1201ELNS1_3gpuE5ELNS1_3repE0EEENS1_30default_config_static_selectorELNS0_4arch9wavefront6targetE1EEEvSI_.has_dyn_sized_stack, 0
	.set _ZN7rocprim17ROCPRIM_400000_NS6detail17trampoline_kernelINS0_14default_configENS1_37merge_sort_block_sort_config_selectorIN3c108BFloat16ElEEZNS1_21merge_sort_block_sortIS3_PS6_S9_N6thrust23THRUST_200600_302600_NS10device_ptrIlEESD_NSB_4lessIS6_EEEE10hipError_tT0_T1_T2_T3_mRjT4_P12ihipStream_tbNS1_7vsmem_tEEUlT_E_NS1_11comp_targetILNS1_3genE10ELNS1_11target_archE1201ELNS1_3gpuE5ELNS1_3repE0EEENS1_30default_config_static_selectorELNS0_4arch9wavefront6targetE1EEEvSI_.has_recursion, 0
	.set _ZN7rocprim17ROCPRIM_400000_NS6detail17trampoline_kernelINS0_14default_configENS1_37merge_sort_block_sort_config_selectorIN3c108BFloat16ElEEZNS1_21merge_sort_block_sortIS3_PS6_S9_N6thrust23THRUST_200600_302600_NS10device_ptrIlEESD_NSB_4lessIS6_EEEE10hipError_tT0_T1_T2_T3_mRjT4_P12ihipStream_tbNS1_7vsmem_tEEUlT_E_NS1_11comp_targetILNS1_3genE10ELNS1_11target_archE1201ELNS1_3gpuE5ELNS1_3repE0EEENS1_30default_config_static_selectorELNS0_4arch9wavefront6targetE1EEEvSI_.has_indirect_call, 0
	.section	.AMDGPU.csdata,"",@progbits
; Kernel info:
; codeLenInByte = 0
; TotalNumSgprs: 4
; NumVgprs: 0
; ScratchSize: 0
; MemoryBound: 0
; FloatMode: 240
; IeeeMode: 1
; LDSByteSize: 0 bytes/workgroup (compile time only)
; SGPRBlocks: 0
; VGPRBlocks: 0
; NumSGPRsForWavesPerEU: 4
; NumVGPRsForWavesPerEU: 1
; Occupancy: 10
; WaveLimiterHint : 0
; COMPUTE_PGM_RSRC2:SCRATCH_EN: 0
; COMPUTE_PGM_RSRC2:USER_SGPR: 6
; COMPUTE_PGM_RSRC2:TRAP_HANDLER: 0
; COMPUTE_PGM_RSRC2:TGID_X_EN: 1
; COMPUTE_PGM_RSRC2:TGID_Y_EN: 0
; COMPUTE_PGM_RSRC2:TGID_Z_EN: 0
; COMPUTE_PGM_RSRC2:TIDIG_COMP_CNT: 0
	.section	.text._ZN7rocprim17ROCPRIM_400000_NS6detail17trampoline_kernelINS0_14default_configENS1_37merge_sort_block_sort_config_selectorIN3c108BFloat16ElEEZNS1_21merge_sort_block_sortIS3_PS6_S9_N6thrust23THRUST_200600_302600_NS10device_ptrIlEESD_NSB_4lessIS6_EEEE10hipError_tT0_T1_T2_T3_mRjT4_P12ihipStream_tbNS1_7vsmem_tEEUlT_E_NS1_11comp_targetILNS1_3genE10ELNS1_11target_archE1200ELNS1_3gpuE4ELNS1_3repE0EEENS1_30default_config_static_selectorELNS0_4arch9wavefront6targetE1EEEvSI_,"axG",@progbits,_ZN7rocprim17ROCPRIM_400000_NS6detail17trampoline_kernelINS0_14default_configENS1_37merge_sort_block_sort_config_selectorIN3c108BFloat16ElEEZNS1_21merge_sort_block_sortIS3_PS6_S9_N6thrust23THRUST_200600_302600_NS10device_ptrIlEESD_NSB_4lessIS6_EEEE10hipError_tT0_T1_T2_T3_mRjT4_P12ihipStream_tbNS1_7vsmem_tEEUlT_E_NS1_11comp_targetILNS1_3genE10ELNS1_11target_archE1200ELNS1_3gpuE4ELNS1_3repE0EEENS1_30default_config_static_selectorELNS0_4arch9wavefront6targetE1EEEvSI_,comdat
	.protected	_ZN7rocprim17ROCPRIM_400000_NS6detail17trampoline_kernelINS0_14default_configENS1_37merge_sort_block_sort_config_selectorIN3c108BFloat16ElEEZNS1_21merge_sort_block_sortIS3_PS6_S9_N6thrust23THRUST_200600_302600_NS10device_ptrIlEESD_NSB_4lessIS6_EEEE10hipError_tT0_T1_T2_T3_mRjT4_P12ihipStream_tbNS1_7vsmem_tEEUlT_E_NS1_11comp_targetILNS1_3genE10ELNS1_11target_archE1200ELNS1_3gpuE4ELNS1_3repE0EEENS1_30default_config_static_selectorELNS0_4arch9wavefront6targetE1EEEvSI_ ; -- Begin function _ZN7rocprim17ROCPRIM_400000_NS6detail17trampoline_kernelINS0_14default_configENS1_37merge_sort_block_sort_config_selectorIN3c108BFloat16ElEEZNS1_21merge_sort_block_sortIS3_PS6_S9_N6thrust23THRUST_200600_302600_NS10device_ptrIlEESD_NSB_4lessIS6_EEEE10hipError_tT0_T1_T2_T3_mRjT4_P12ihipStream_tbNS1_7vsmem_tEEUlT_E_NS1_11comp_targetILNS1_3genE10ELNS1_11target_archE1200ELNS1_3gpuE4ELNS1_3repE0EEENS1_30default_config_static_selectorELNS0_4arch9wavefront6targetE1EEEvSI_
	.globl	_ZN7rocprim17ROCPRIM_400000_NS6detail17trampoline_kernelINS0_14default_configENS1_37merge_sort_block_sort_config_selectorIN3c108BFloat16ElEEZNS1_21merge_sort_block_sortIS3_PS6_S9_N6thrust23THRUST_200600_302600_NS10device_ptrIlEESD_NSB_4lessIS6_EEEE10hipError_tT0_T1_T2_T3_mRjT4_P12ihipStream_tbNS1_7vsmem_tEEUlT_E_NS1_11comp_targetILNS1_3genE10ELNS1_11target_archE1200ELNS1_3gpuE4ELNS1_3repE0EEENS1_30default_config_static_selectorELNS0_4arch9wavefront6targetE1EEEvSI_
	.p2align	8
	.type	_ZN7rocprim17ROCPRIM_400000_NS6detail17trampoline_kernelINS0_14default_configENS1_37merge_sort_block_sort_config_selectorIN3c108BFloat16ElEEZNS1_21merge_sort_block_sortIS3_PS6_S9_N6thrust23THRUST_200600_302600_NS10device_ptrIlEESD_NSB_4lessIS6_EEEE10hipError_tT0_T1_T2_T3_mRjT4_P12ihipStream_tbNS1_7vsmem_tEEUlT_E_NS1_11comp_targetILNS1_3genE10ELNS1_11target_archE1200ELNS1_3gpuE4ELNS1_3repE0EEENS1_30default_config_static_selectorELNS0_4arch9wavefront6targetE1EEEvSI_,@function
_ZN7rocprim17ROCPRIM_400000_NS6detail17trampoline_kernelINS0_14default_configENS1_37merge_sort_block_sort_config_selectorIN3c108BFloat16ElEEZNS1_21merge_sort_block_sortIS3_PS6_S9_N6thrust23THRUST_200600_302600_NS10device_ptrIlEESD_NSB_4lessIS6_EEEE10hipError_tT0_T1_T2_T3_mRjT4_P12ihipStream_tbNS1_7vsmem_tEEUlT_E_NS1_11comp_targetILNS1_3genE10ELNS1_11target_archE1200ELNS1_3gpuE4ELNS1_3repE0EEENS1_30default_config_static_selectorELNS0_4arch9wavefront6targetE1EEEvSI_: ; @_ZN7rocprim17ROCPRIM_400000_NS6detail17trampoline_kernelINS0_14default_configENS1_37merge_sort_block_sort_config_selectorIN3c108BFloat16ElEEZNS1_21merge_sort_block_sortIS3_PS6_S9_N6thrust23THRUST_200600_302600_NS10device_ptrIlEESD_NSB_4lessIS6_EEEE10hipError_tT0_T1_T2_T3_mRjT4_P12ihipStream_tbNS1_7vsmem_tEEUlT_E_NS1_11comp_targetILNS1_3genE10ELNS1_11target_archE1200ELNS1_3gpuE4ELNS1_3repE0EEENS1_30default_config_static_selectorELNS0_4arch9wavefront6targetE1EEEvSI_
; %bb.0:
	.section	.rodata,"a",@progbits
	.p2align	6, 0x0
	.amdhsa_kernel _ZN7rocprim17ROCPRIM_400000_NS6detail17trampoline_kernelINS0_14default_configENS1_37merge_sort_block_sort_config_selectorIN3c108BFloat16ElEEZNS1_21merge_sort_block_sortIS3_PS6_S9_N6thrust23THRUST_200600_302600_NS10device_ptrIlEESD_NSB_4lessIS6_EEEE10hipError_tT0_T1_T2_T3_mRjT4_P12ihipStream_tbNS1_7vsmem_tEEUlT_E_NS1_11comp_targetILNS1_3genE10ELNS1_11target_archE1200ELNS1_3gpuE4ELNS1_3repE0EEENS1_30default_config_static_selectorELNS0_4arch9wavefront6targetE1EEEvSI_
		.amdhsa_group_segment_fixed_size 0
		.amdhsa_private_segment_fixed_size 0
		.amdhsa_kernarg_size 64
		.amdhsa_user_sgpr_count 6
		.amdhsa_user_sgpr_private_segment_buffer 1
		.amdhsa_user_sgpr_dispatch_ptr 0
		.amdhsa_user_sgpr_queue_ptr 0
		.amdhsa_user_sgpr_kernarg_segment_ptr 1
		.amdhsa_user_sgpr_dispatch_id 0
		.amdhsa_user_sgpr_flat_scratch_init 0
		.amdhsa_user_sgpr_private_segment_size 0
		.amdhsa_uses_dynamic_stack 0
		.amdhsa_system_sgpr_private_segment_wavefront_offset 0
		.amdhsa_system_sgpr_workgroup_id_x 1
		.amdhsa_system_sgpr_workgroup_id_y 0
		.amdhsa_system_sgpr_workgroup_id_z 0
		.amdhsa_system_sgpr_workgroup_info 0
		.amdhsa_system_vgpr_workitem_id 0
		.amdhsa_next_free_vgpr 1
		.amdhsa_next_free_sgpr 0
		.amdhsa_reserve_vcc 0
		.amdhsa_reserve_flat_scratch 0
		.amdhsa_float_round_mode_32 0
		.amdhsa_float_round_mode_16_64 0
		.amdhsa_float_denorm_mode_32 3
		.amdhsa_float_denorm_mode_16_64 3
		.amdhsa_dx10_clamp 1
		.amdhsa_ieee_mode 1
		.amdhsa_fp16_overflow 0
		.amdhsa_exception_fp_ieee_invalid_op 0
		.amdhsa_exception_fp_denorm_src 0
		.amdhsa_exception_fp_ieee_div_zero 0
		.amdhsa_exception_fp_ieee_overflow 0
		.amdhsa_exception_fp_ieee_underflow 0
		.amdhsa_exception_fp_ieee_inexact 0
		.amdhsa_exception_int_div_zero 0
	.end_amdhsa_kernel
	.section	.text._ZN7rocprim17ROCPRIM_400000_NS6detail17trampoline_kernelINS0_14default_configENS1_37merge_sort_block_sort_config_selectorIN3c108BFloat16ElEEZNS1_21merge_sort_block_sortIS3_PS6_S9_N6thrust23THRUST_200600_302600_NS10device_ptrIlEESD_NSB_4lessIS6_EEEE10hipError_tT0_T1_T2_T3_mRjT4_P12ihipStream_tbNS1_7vsmem_tEEUlT_E_NS1_11comp_targetILNS1_3genE10ELNS1_11target_archE1200ELNS1_3gpuE4ELNS1_3repE0EEENS1_30default_config_static_selectorELNS0_4arch9wavefront6targetE1EEEvSI_,"axG",@progbits,_ZN7rocprim17ROCPRIM_400000_NS6detail17trampoline_kernelINS0_14default_configENS1_37merge_sort_block_sort_config_selectorIN3c108BFloat16ElEEZNS1_21merge_sort_block_sortIS3_PS6_S9_N6thrust23THRUST_200600_302600_NS10device_ptrIlEESD_NSB_4lessIS6_EEEE10hipError_tT0_T1_T2_T3_mRjT4_P12ihipStream_tbNS1_7vsmem_tEEUlT_E_NS1_11comp_targetILNS1_3genE10ELNS1_11target_archE1200ELNS1_3gpuE4ELNS1_3repE0EEENS1_30default_config_static_selectorELNS0_4arch9wavefront6targetE1EEEvSI_,comdat
.Lfunc_end1975:
	.size	_ZN7rocprim17ROCPRIM_400000_NS6detail17trampoline_kernelINS0_14default_configENS1_37merge_sort_block_sort_config_selectorIN3c108BFloat16ElEEZNS1_21merge_sort_block_sortIS3_PS6_S9_N6thrust23THRUST_200600_302600_NS10device_ptrIlEESD_NSB_4lessIS6_EEEE10hipError_tT0_T1_T2_T3_mRjT4_P12ihipStream_tbNS1_7vsmem_tEEUlT_E_NS1_11comp_targetILNS1_3genE10ELNS1_11target_archE1200ELNS1_3gpuE4ELNS1_3repE0EEENS1_30default_config_static_selectorELNS0_4arch9wavefront6targetE1EEEvSI_, .Lfunc_end1975-_ZN7rocprim17ROCPRIM_400000_NS6detail17trampoline_kernelINS0_14default_configENS1_37merge_sort_block_sort_config_selectorIN3c108BFloat16ElEEZNS1_21merge_sort_block_sortIS3_PS6_S9_N6thrust23THRUST_200600_302600_NS10device_ptrIlEESD_NSB_4lessIS6_EEEE10hipError_tT0_T1_T2_T3_mRjT4_P12ihipStream_tbNS1_7vsmem_tEEUlT_E_NS1_11comp_targetILNS1_3genE10ELNS1_11target_archE1200ELNS1_3gpuE4ELNS1_3repE0EEENS1_30default_config_static_selectorELNS0_4arch9wavefront6targetE1EEEvSI_
                                        ; -- End function
	.set _ZN7rocprim17ROCPRIM_400000_NS6detail17trampoline_kernelINS0_14default_configENS1_37merge_sort_block_sort_config_selectorIN3c108BFloat16ElEEZNS1_21merge_sort_block_sortIS3_PS6_S9_N6thrust23THRUST_200600_302600_NS10device_ptrIlEESD_NSB_4lessIS6_EEEE10hipError_tT0_T1_T2_T3_mRjT4_P12ihipStream_tbNS1_7vsmem_tEEUlT_E_NS1_11comp_targetILNS1_3genE10ELNS1_11target_archE1200ELNS1_3gpuE4ELNS1_3repE0EEENS1_30default_config_static_selectorELNS0_4arch9wavefront6targetE1EEEvSI_.num_vgpr, 0
	.set _ZN7rocprim17ROCPRIM_400000_NS6detail17trampoline_kernelINS0_14default_configENS1_37merge_sort_block_sort_config_selectorIN3c108BFloat16ElEEZNS1_21merge_sort_block_sortIS3_PS6_S9_N6thrust23THRUST_200600_302600_NS10device_ptrIlEESD_NSB_4lessIS6_EEEE10hipError_tT0_T1_T2_T3_mRjT4_P12ihipStream_tbNS1_7vsmem_tEEUlT_E_NS1_11comp_targetILNS1_3genE10ELNS1_11target_archE1200ELNS1_3gpuE4ELNS1_3repE0EEENS1_30default_config_static_selectorELNS0_4arch9wavefront6targetE1EEEvSI_.num_agpr, 0
	.set _ZN7rocprim17ROCPRIM_400000_NS6detail17trampoline_kernelINS0_14default_configENS1_37merge_sort_block_sort_config_selectorIN3c108BFloat16ElEEZNS1_21merge_sort_block_sortIS3_PS6_S9_N6thrust23THRUST_200600_302600_NS10device_ptrIlEESD_NSB_4lessIS6_EEEE10hipError_tT0_T1_T2_T3_mRjT4_P12ihipStream_tbNS1_7vsmem_tEEUlT_E_NS1_11comp_targetILNS1_3genE10ELNS1_11target_archE1200ELNS1_3gpuE4ELNS1_3repE0EEENS1_30default_config_static_selectorELNS0_4arch9wavefront6targetE1EEEvSI_.numbered_sgpr, 0
	.set _ZN7rocprim17ROCPRIM_400000_NS6detail17trampoline_kernelINS0_14default_configENS1_37merge_sort_block_sort_config_selectorIN3c108BFloat16ElEEZNS1_21merge_sort_block_sortIS3_PS6_S9_N6thrust23THRUST_200600_302600_NS10device_ptrIlEESD_NSB_4lessIS6_EEEE10hipError_tT0_T1_T2_T3_mRjT4_P12ihipStream_tbNS1_7vsmem_tEEUlT_E_NS1_11comp_targetILNS1_3genE10ELNS1_11target_archE1200ELNS1_3gpuE4ELNS1_3repE0EEENS1_30default_config_static_selectorELNS0_4arch9wavefront6targetE1EEEvSI_.num_named_barrier, 0
	.set _ZN7rocprim17ROCPRIM_400000_NS6detail17trampoline_kernelINS0_14default_configENS1_37merge_sort_block_sort_config_selectorIN3c108BFloat16ElEEZNS1_21merge_sort_block_sortIS3_PS6_S9_N6thrust23THRUST_200600_302600_NS10device_ptrIlEESD_NSB_4lessIS6_EEEE10hipError_tT0_T1_T2_T3_mRjT4_P12ihipStream_tbNS1_7vsmem_tEEUlT_E_NS1_11comp_targetILNS1_3genE10ELNS1_11target_archE1200ELNS1_3gpuE4ELNS1_3repE0EEENS1_30default_config_static_selectorELNS0_4arch9wavefront6targetE1EEEvSI_.private_seg_size, 0
	.set _ZN7rocprim17ROCPRIM_400000_NS6detail17trampoline_kernelINS0_14default_configENS1_37merge_sort_block_sort_config_selectorIN3c108BFloat16ElEEZNS1_21merge_sort_block_sortIS3_PS6_S9_N6thrust23THRUST_200600_302600_NS10device_ptrIlEESD_NSB_4lessIS6_EEEE10hipError_tT0_T1_T2_T3_mRjT4_P12ihipStream_tbNS1_7vsmem_tEEUlT_E_NS1_11comp_targetILNS1_3genE10ELNS1_11target_archE1200ELNS1_3gpuE4ELNS1_3repE0EEENS1_30default_config_static_selectorELNS0_4arch9wavefront6targetE1EEEvSI_.uses_vcc, 0
	.set _ZN7rocprim17ROCPRIM_400000_NS6detail17trampoline_kernelINS0_14default_configENS1_37merge_sort_block_sort_config_selectorIN3c108BFloat16ElEEZNS1_21merge_sort_block_sortIS3_PS6_S9_N6thrust23THRUST_200600_302600_NS10device_ptrIlEESD_NSB_4lessIS6_EEEE10hipError_tT0_T1_T2_T3_mRjT4_P12ihipStream_tbNS1_7vsmem_tEEUlT_E_NS1_11comp_targetILNS1_3genE10ELNS1_11target_archE1200ELNS1_3gpuE4ELNS1_3repE0EEENS1_30default_config_static_selectorELNS0_4arch9wavefront6targetE1EEEvSI_.uses_flat_scratch, 0
	.set _ZN7rocprim17ROCPRIM_400000_NS6detail17trampoline_kernelINS0_14default_configENS1_37merge_sort_block_sort_config_selectorIN3c108BFloat16ElEEZNS1_21merge_sort_block_sortIS3_PS6_S9_N6thrust23THRUST_200600_302600_NS10device_ptrIlEESD_NSB_4lessIS6_EEEE10hipError_tT0_T1_T2_T3_mRjT4_P12ihipStream_tbNS1_7vsmem_tEEUlT_E_NS1_11comp_targetILNS1_3genE10ELNS1_11target_archE1200ELNS1_3gpuE4ELNS1_3repE0EEENS1_30default_config_static_selectorELNS0_4arch9wavefront6targetE1EEEvSI_.has_dyn_sized_stack, 0
	.set _ZN7rocprim17ROCPRIM_400000_NS6detail17trampoline_kernelINS0_14default_configENS1_37merge_sort_block_sort_config_selectorIN3c108BFloat16ElEEZNS1_21merge_sort_block_sortIS3_PS6_S9_N6thrust23THRUST_200600_302600_NS10device_ptrIlEESD_NSB_4lessIS6_EEEE10hipError_tT0_T1_T2_T3_mRjT4_P12ihipStream_tbNS1_7vsmem_tEEUlT_E_NS1_11comp_targetILNS1_3genE10ELNS1_11target_archE1200ELNS1_3gpuE4ELNS1_3repE0EEENS1_30default_config_static_selectorELNS0_4arch9wavefront6targetE1EEEvSI_.has_recursion, 0
	.set _ZN7rocprim17ROCPRIM_400000_NS6detail17trampoline_kernelINS0_14default_configENS1_37merge_sort_block_sort_config_selectorIN3c108BFloat16ElEEZNS1_21merge_sort_block_sortIS3_PS6_S9_N6thrust23THRUST_200600_302600_NS10device_ptrIlEESD_NSB_4lessIS6_EEEE10hipError_tT0_T1_T2_T3_mRjT4_P12ihipStream_tbNS1_7vsmem_tEEUlT_E_NS1_11comp_targetILNS1_3genE10ELNS1_11target_archE1200ELNS1_3gpuE4ELNS1_3repE0EEENS1_30default_config_static_selectorELNS0_4arch9wavefront6targetE1EEEvSI_.has_indirect_call, 0
	.section	.AMDGPU.csdata,"",@progbits
; Kernel info:
; codeLenInByte = 0
; TotalNumSgprs: 4
; NumVgprs: 0
; ScratchSize: 0
; MemoryBound: 0
; FloatMode: 240
; IeeeMode: 1
; LDSByteSize: 0 bytes/workgroup (compile time only)
; SGPRBlocks: 0
; VGPRBlocks: 0
; NumSGPRsForWavesPerEU: 4
; NumVGPRsForWavesPerEU: 1
; Occupancy: 10
; WaveLimiterHint : 0
; COMPUTE_PGM_RSRC2:SCRATCH_EN: 0
; COMPUTE_PGM_RSRC2:USER_SGPR: 6
; COMPUTE_PGM_RSRC2:TRAP_HANDLER: 0
; COMPUTE_PGM_RSRC2:TGID_X_EN: 1
; COMPUTE_PGM_RSRC2:TGID_Y_EN: 0
; COMPUTE_PGM_RSRC2:TGID_Z_EN: 0
; COMPUTE_PGM_RSRC2:TIDIG_COMP_CNT: 0
	.section	.text._ZN7rocprim17ROCPRIM_400000_NS6detail17trampoline_kernelINS0_14default_configENS1_37merge_sort_block_sort_config_selectorIN3c108BFloat16ElEEZNS1_21merge_sort_block_sortIS3_PS6_S9_N6thrust23THRUST_200600_302600_NS10device_ptrIlEESD_NSB_4lessIS6_EEEE10hipError_tT0_T1_T2_T3_mRjT4_P12ihipStream_tbNS1_7vsmem_tEEUlT_E_NS1_11comp_targetILNS1_3genE9ELNS1_11target_archE1100ELNS1_3gpuE3ELNS1_3repE0EEENS1_30default_config_static_selectorELNS0_4arch9wavefront6targetE1EEEvSI_,"axG",@progbits,_ZN7rocprim17ROCPRIM_400000_NS6detail17trampoline_kernelINS0_14default_configENS1_37merge_sort_block_sort_config_selectorIN3c108BFloat16ElEEZNS1_21merge_sort_block_sortIS3_PS6_S9_N6thrust23THRUST_200600_302600_NS10device_ptrIlEESD_NSB_4lessIS6_EEEE10hipError_tT0_T1_T2_T3_mRjT4_P12ihipStream_tbNS1_7vsmem_tEEUlT_E_NS1_11comp_targetILNS1_3genE9ELNS1_11target_archE1100ELNS1_3gpuE3ELNS1_3repE0EEENS1_30default_config_static_selectorELNS0_4arch9wavefront6targetE1EEEvSI_,comdat
	.protected	_ZN7rocprim17ROCPRIM_400000_NS6detail17trampoline_kernelINS0_14default_configENS1_37merge_sort_block_sort_config_selectorIN3c108BFloat16ElEEZNS1_21merge_sort_block_sortIS3_PS6_S9_N6thrust23THRUST_200600_302600_NS10device_ptrIlEESD_NSB_4lessIS6_EEEE10hipError_tT0_T1_T2_T3_mRjT4_P12ihipStream_tbNS1_7vsmem_tEEUlT_E_NS1_11comp_targetILNS1_3genE9ELNS1_11target_archE1100ELNS1_3gpuE3ELNS1_3repE0EEENS1_30default_config_static_selectorELNS0_4arch9wavefront6targetE1EEEvSI_ ; -- Begin function _ZN7rocprim17ROCPRIM_400000_NS6detail17trampoline_kernelINS0_14default_configENS1_37merge_sort_block_sort_config_selectorIN3c108BFloat16ElEEZNS1_21merge_sort_block_sortIS3_PS6_S9_N6thrust23THRUST_200600_302600_NS10device_ptrIlEESD_NSB_4lessIS6_EEEE10hipError_tT0_T1_T2_T3_mRjT4_P12ihipStream_tbNS1_7vsmem_tEEUlT_E_NS1_11comp_targetILNS1_3genE9ELNS1_11target_archE1100ELNS1_3gpuE3ELNS1_3repE0EEENS1_30default_config_static_selectorELNS0_4arch9wavefront6targetE1EEEvSI_
	.globl	_ZN7rocprim17ROCPRIM_400000_NS6detail17trampoline_kernelINS0_14default_configENS1_37merge_sort_block_sort_config_selectorIN3c108BFloat16ElEEZNS1_21merge_sort_block_sortIS3_PS6_S9_N6thrust23THRUST_200600_302600_NS10device_ptrIlEESD_NSB_4lessIS6_EEEE10hipError_tT0_T1_T2_T3_mRjT4_P12ihipStream_tbNS1_7vsmem_tEEUlT_E_NS1_11comp_targetILNS1_3genE9ELNS1_11target_archE1100ELNS1_3gpuE3ELNS1_3repE0EEENS1_30default_config_static_selectorELNS0_4arch9wavefront6targetE1EEEvSI_
	.p2align	8
	.type	_ZN7rocprim17ROCPRIM_400000_NS6detail17trampoline_kernelINS0_14default_configENS1_37merge_sort_block_sort_config_selectorIN3c108BFloat16ElEEZNS1_21merge_sort_block_sortIS3_PS6_S9_N6thrust23THRUST_200600_302600_NS10device_ptrIlEESD_NSB_4lessIS6_EEEE10hipError_tT0_T1_T2_T3_mRjT4_P12ihipStream_tbNS1_7vsmem_tEEUlT_E_NS1_11comp_targetILNS1_3genE9ELNS1_11target_archE1100ELNS1_3gpuE3ELNS1_3repE0EEENS1_30default_config_static_selectorELNS0_4arch9wavefront6targetE1EEEvSI_,@function
_ZN7rocprim17ROCPRIM_400000_NS6detail17trampoline_kernelINS0_14default_configENS1_37merge_sort_block_sort_config_selectorIN3c108BFloat16ElEEZNS1_21merge_sort_block_sortIS3_PS6_S9_N6thrust23THRUST_200600_302600_NS10device_ptrIlEESD_NSB_4lessIS6_EEEE10hipError_tT0_T1_T2_T3_mRjT4_P12ihipStream_tbNS1_7vsmem_tEEUlT_E_NS1_11comp_targetILNS1_3genE9ELNS1_11target_archE1100ELNS1_3gpuE3ELNS1_3repE0EEENS1_30default_config_static_selectorELNS0_4arch9wavefront6targetE1EEEvSI_: ; @_ZN7rocprim17ROCPRIM_400000_NS6detail17trampoline_kernelINS0_14default_configENS1_37merge_sort_block_sort_config_selectorIN3c108BFloat16ElEEZNS1_21merge_sort_block_sortIS3_PS6_S9_N6thrust23THRUST_200600_302600_NS10device_ptrIlEESD_NSB_4lessIS6_EEEE10hipError_tT0_T1_T2_T3_mRjT4_P12ihipStream_tbNS1_7vsmem_tEEUlT_E_NS1_11comp_targetILNS1_3genE9ELNS1_11target_archE1100ELNS1_3gpuE3ELNS1_3repE0EEENS1_30default_config_static_selectorELNS0_4arch9wavefront6targetE1EEEvSI_
; %bb.0:
	.section	.rodata,"a",@progbits
	.p2align	6, 0x0
	.amdhsa_kernel _ZN7rocprim17ROCPRIM_400000_NS6detail17trampoline_kernelINS0_14default_configENS1_37merge_sort_block_sort_config_selectorIN3c108BFloat16ElEEZNS1_21merge_sort_block_sortIS3_PS6_S9_N6thrust23THRUST_200600_302600_NS10device_ptrIlEESD_NSB_4lessIS6_EEEE10hipError_tT0_T1_T2_T3_mRjT4_P12ihipStream_tbNS1_7vsmem_tEEUlT_E_NS1_11comp_targetILNS1_3genE9ELNS1_11target_archE1100ELNS1_3gpuE3ELNS1_3repE0EEENS1_30default_config_static_selectorELNS0_4arch9wavefront6targetE1EEEvSI_
		.amdhsa_group_segment_fixed_size 0
		.amdhsa_private_segment_fixed_size 0
		.amdhsa_kernarg_size 64
		.amdhsa_user_sgpr_count 6
		.amdhsa_user_sgpr_private_segment_buffer 1
		.amdhsa_user_sgpr_dispatch_ptr 0
		.amdhsa_user_sgpr_queue_ptr 0
		.amdhsa_user_sgpr_kernarg_segment_ptr 1
		.amdhsa_user_sgpr_dispatch_id 0
		.amdhsa_user_sgpr_flat_scratch_init 0
		.amdhsa_user_sgpr_private_segment_size 0
		.amdhsa_uses_dynamic_stack 0
		.amdhsa_system_sgpr_private_segment_wavefront_offset 0
		.amdhsa_system_sgpr_workgroup_id_x 1
		.amdhsa_system_sgpr_workgroup_id_y 0
		.amdhsa_system_sgpr_workgroup_id_z 0
		.amdhsa_system_sgpr_workgroup_info 0
		.amdhsa_system_vgpr_workitem_id 0
		.amdhsa_next_free_vgpr 1
		.amdhsa_next_free_sgpr 0
		.amdhsa_reserve_vcc 0
		.amdhsa_reserve_flat_scratch 0
		.amdhsa_float_round_mode_32 0
		.amdhsa_float_round_mode_16_64 0
		.amdhsa_float_denorm_mode_32 3
		.amdhsa_float_denorm_mode_16_64 3
		.amdhsa_dx10_clamp 1
		.amdhsa_ieee_mode 1
		.amdhsa_fp16_overflow 0
		.amdhsa_exception_fp_ieee_invalid_op 0
		.amdhsa_exception_fp_denorm_src 0
		.amdhsa_exception_fp_ieee_div_zero 0
		.amdhsa_exception_fp_ieee_overflow 0
		.amdhsa_exception_fp_ieee_underflow 0
		.amdhsa_exception_fp_ieee_inexact 0
		.amdhsa_exception_int_div_zero 0
	.end_amdhsa_kernel
	.section	.text._ZN7rocprim17ROCPRIM_400000_NS6detail17trampoline_kernelINS0_14default_configENS1_37merge_sort_block_sort_config_selectorIN3c108BFloat16ElEEZNS1_21merge_sort_block_sortIS3_PS6_S9_N6thrust23THRUST_200600_302600_NS10device_ptrIlEESD_NSB_4lessIS6_EEEE10hipError_tT0_T1_T2_T3_mRjT4_P12ihipStream_tbNS1_7vsmem_tEEUlT_E_NS1_11comp_targetILNS1_3genE9ELNS1_11target_archE1100ELNS1_3gpuE3ELNS1_3repE0EEENS1_30default_config_static_selectorELNS0_4arch9wavefront6targetE1EEEvSI_,"axG",@progbits,_ZN7rocprim17ROCPRIM_400000_NS6detail17trampoline_kernelINS0_14default_configENS1_37merge_sort_block_sort_config_selectorIN3c108BFloat16ElEEZNS1_21merge_sort_block_sortIS3_PS6_S9_N6thrust23THRUST_200600_302600_NS10device_ptrIlEESD_NSB_4lessIS6_EEEE10hipError_tT0_T1_T2_T3_mRjT4_P12ihipStream_tbNS1_7vsmem_tEEUlT_E_NS1_11comp_targetILNS1_3genE9ELNS1_11target_archE1100ELNS1_3gpuE3ELNS1_3repE0EEENS1_30default_config_static_selectorELNS0_4arch9wavefront6targetE1EEEvSI_,comdat
.Lfunc_end1976:
	.size	_ZN7rocprim17ROCPRIM_400000_NS6detail17trampoline_kernelINS0_14default_configENS1_37merge_sort_block_sort_config_selectorIN3c108BFloat16ElEEZNS1_21merge_sort_block_sortIS3_PS6_S9_N6thrust23THRUST_200600_302600_NS10device_ptrIlEESD_NSB_4lessIS6_EEEE10hipError_tT0_T1_T2_T3_mRjT4_P12ihipStream_tbNS1_7vsmem_tEEUlT_E_NS1_11comp_targetILNS1_3genE9ELNS1_11target_archE1100ELNS1_3gpuE3ELNS1_3repE0EEENS1_30default_config_static_selectorELNS0_4arch9wavefront6targetE1EEEvSI_, .Lfunc_end1976-_ZN7rocprim17ROCPRIM_400000_NS6detail17trampoline_kernelINS0_14default_configENS1_37merge_sort_block_sort_config_selectorIN3c108BFloat16ElEEZNS1_21merge_sort_block_sortIS3_PS6_S9_N6thrust23THRUST_200600_302600_NS10device_ptrIlEESD_NSB_4lessIS6_EEEE10hipError_tT0_T1_T2_T3_mRjT4_P12ihipStream_tbNS1_7vsmem_tEEUlT_E_NS1_11comp_targetILNS1_3genE9ELNS1_11target_archE1100ELNS1_3gpuE3ELNS1_3repE0EEENS1_30default_config_static_selectorELNS0_4arch9wavefront6targetE1EEEvSI_
                                        ; -- End function
	.set _ZN7rocprim17ROCPRIM_400000_NS6detail17trampoline_kernelINS0_14default_configENS1_37merge_sort_block_sort_config_selectorIN3c108BFloat16ElEEZNS1_21merge_sort_block_sortIS3_PS6_S9_N6thrust23THRUST_200600_302600_NS10device_ptrIlEESD_NSB_4lessIS6_EEEE10hipError_tT0_T1_T2_T3_mRjT4_P12ihipStream_tbNS1_7vsmem_tEEUlT_E_NS1_11comp_targetILNS1_3genE9ELNS1_11target_archE1100ELNS1_3gpuE3ELNS1_3repE0EEENS1_30default_config_static_selectorELNS0_4arch9wavefront6targetE1EEEvSI_.num_vgpr, 0
	.set _ZN7rocprim17ROCPRIM_400000_NS6detail17trampoline_kernelINS0_14default_configENS1_37merge_sort_block_sort_config_selectorIN3c108BFloat16ElEEZNS1_21merge_sort_block_sortIS3_PS6_S9_N6thrust23THRUST_200600_302600_NS10device_ptrIlEESD_NSB_4lessIS6_EEEE10hipError_tT0_T1_T2_T3_mRjT4_P12ihipStream_tbNS1_7vsmem_tEEUlT_E_NS1_11comp_targetILNS1_3genE9ELNS1_11target_archE1100ELNS1_3gpuE3ELNS1_3repE0EEENS1_30default_config_static_selectorELNS0_4arch9wavefront6targetE1EEEvSI_.num_agpr, 0
	.set _ZN7rocprim17ROCPRIM_400000_NS6detail17trampoline_kernelINS0_14default_configENS1_37merge_sort_block_sort_config_selectorIN3c108BFloat16ElEEZNS1_21merge_sort_block_sortIS3_PS6_S9_N6thrust23THRUST_200600_302600_NS10device_ptrIlEESD_NSB_4lessIS6_EEEE10hipError_tT0_T1_T2_T3_mRjT4_P12ihipStream_tbNS1_7vsmem_tEEUlT_E_NS1_11comp_targetILNS1_3genE9ELNS1_11target_archE1100ELNS1_3gpuE3ELNS1_3repE0EEENS1_30default_config_static_selectorELNS0_4arch9wavefront6targetE1EEEvSI_.numbered_sgpr, 0
	.set _ZN7rocprim17ROCPRIM_400000_NS6detail17trampoline_kernelINS0_14default_configENS1_37merge_sort_block_sort_config_selectorIN3c108BFloat16ElEEZNS1_21merge_sort_block_sortIS3_PS6_S9_N6thrust23THRUST_200600_302600_NS10device_ptrIlEESD_NSB_4lessIS6_EEEE10hipError_tT0_T1_T2_T3_mRjT4_P12ihipStream_tbNS1_7vsmem_tEEUlT_E_NS1_11comp_targetILNS1_3genE9ELNS1_11target_archE1100ELNS1_3gpuE3ELNS1_3repE0EEENS1_30default_config_static_selectorELNS0_4arch9wavefront6targetE1EEEvSI_.num_named_barrier, 0
	.set _ZN7rocprim17ROCPRIM_400000_NS6detail17trampoline_kernelINS0_14default_configENS1_37merge_sort_block_sort_config_selectorIN3c108BFloat16ElEEZNS1_21merge_sort_block_sortIS3_PS6_S9_N6thrust23THRUST_200600_302600_NS10device_ptrIlEESD_NSB_4lessIS6_EEEE10hipError_tT0_T1_T2_T3_mRjT4_P12ihipStream_tbNS1_7vsmem_tEEUlT_E_NS1_11comp_targetILNS1_3genE9ELNS1_11target_archE1100ELNS1_3gpuE3ELNS1_3repE0EEENS1_30default_config_static_selectorELNS0_4arch9wavefront6targetE1EEEvSI_.private_seg_size, 0
	.set _ZN7rocprim17ROCPRIM_400000_NS6detail17trampoline_kernelINS0_14default_configENS1_37merge_sort_block_sort_config_selectorIN3c108BFloat16ElEEZNS1_21merge_sort_block_sortIS3_PS6_S9_N6thrust23THRUST_200600_302600_NS10device_ptrIlEESD_NSB_4lessIS6_EEEE10hipError_tT0_T1_T2_T3_mRjT4_P12ihipStream_tbNS1_7vsmem_tEEUlT_E_NS1_11comp_targetILNS1_3genE9ELNS1_11target_archE1100ELNS1_3gpuE3ELNS1_3repE0EEENS1_30default_config_static_selectorELNS0_4arch9wavefront6targetE1EEEvSI_.uses_vcc, 0
	.set _ZN7rocprim17ROCPRIM_400000_NS6detail17trampoline_kernelINS0_14default_configENS1_37merge_sort_block_sort_config_selectorIN3c108BFloat16ElEEZNS1_21merge_sort_block_sortIS3_PS6_S9_N6thrust23THRUST_200600_302600_NS10device_ptrIlEESD_NSB_4lessIS6_EEEE10hipError_tT0_T1_T2_T3_mRjT4_P12ihipStream_tbNS1_7vsmem_tEEUlT_E_NS1_11comp_targetILNS1_3genE9ELNS1_11target_archE1100ELNS1_3gpuE3ELNS1_3repE0EEENS1_30default_config_static_selectorELNS0_4arch9wavefront6targetE1EEEvSI_.uses_flat_scratch, 0
	.set _ZN7rocprim17ROCPRIM_400000_NS6detail17trampoline_kernelINS0_14default_configENS1_37merge_sort_block_sort_config_selectorIN3c108BFloat16ElEEZNS1_21merge_sort_block_sortIS3_PS6_S9_N6thrust23THRUST_200600_302600_NS10device_ptrIlEESD_NSB_4lessIS6_EEEE10hipError_tT0_T1_T2_T3_mRjT4_P12ihipStream_tbNS1_7vsmem_tEEUlT_E_NS1_11comp_targetILNS1_3genE9ELNS1_11target_archE1100ELNS1_3gpuE3ELNS1_3repE0EEENS1_30default_config_static_selectorELNS0_4arch9wavefront6targetE1EEEvSI_.has_dyn_sized_stack, 0
	.set _ZN7rocprim17ROCPRIM_400000_NS6detail17trampoline_kernelINS0_14default_configENS1_37merge_sort_block_sort_config_selectorIN3c108BFloat16ElEEZNS1_21merge_sort_block_sortIS3_PS6_S9_N6thrust23THRUST_200600_302600_NS10device_ptrIlEESD_NSB_4lessIS6_EEEE10hipError_tT0_T1_T2_T3_mRjT4_P12ihipStream_tbNS1_7vsmem_tEEUlT_E_NS1_11comp_targetILNS1_3genE9ELNS1_11target_archE1100ELNS1_3gpuE3ELNS1_3repE0EEENS1_30default_config_static_selectorELNS0_4arch9wavefront6targetE1EEEvSI_.has_recursion, 0
	.set _ZN7rocprim17ROCPRIM_400000_NS6detail17trampoline_kernelINS0_14default_configENS1_37merge_sort_block_sort_config_selectorIN3c108BFloat16ElEEZNS1_21merge_sort_block_sortIS3_PS6_S9_N6thrust23THRUST_200600_302600_NS10device_ptrIlEESD_NSB_4lessIS6_EEEE10hipError_tT0_T1_T2_T3_mRjT4_P12ihipStream_tbNS1_7vsmem_tEEUlT_E_NS1_11comp_targetILNS1_3genE9ELNS1_11target_archE1100ELNS1_3gpuE3ELNS1_3repE0EEENS1_30default_config_static_selectorELNS0_4arch9wavefront6targetE1EEEvSI_.has_indirect_call, 0
	.section	.AMDGPU.csdata,"",@progbits
; Kernel info:
; codeLenInByte = 0
; TotalNumSgprs: 4
; NumVgprs: 0
; ScratchSize: 0
; MemoryBound: 0
; FloatMode: 240
; IeeeMode: 1
; LDSByteSize: 0 bytes/workgroup (compile time only)
; SGPRBlocks: 0
; VGPRBlocks: 0
; NumSGPRsForWavesPerEU: 4
; NumVGPRsForWavesPerEU: 1
; Occupancy: 10
; WaveLimiterHint : 0
; COMPUTE_PGM_RSRC2:SCRATCH_EN: 0
; COMPUTE_PGM_RSRC2:USER_SGPR: 6
; COMPUTE_PGM_RSRC2:TRAP_HANDLER: 0
; COMPUTE_PGM_RSRC2:TGID_X_EN: 1
; COMPUTE_PGM_RSRC2:TGID_Y_EN: 0
; COMPUTE_PGM_RSRC2:TGID_Z_EN: 0
; COMPUTE_PGM_RSRC2:TIDIG_COMP_CNT: 0
	.section	.text._ZN7rocprim17ROCPRIM_400000_NS6detail17trampoline_kernelINS0_14default_configENS1_37merge_sort_block_sort_config_selectorIN3c108BFloat16ElEEZNS1_21merge_sort_block_sortIS3_PS6_S9_N6thrust23THRUST_200600_302600_NS10device_ptrIlEESD_NSB_4lessIS6_EEEE10hipError_tT0_T1_T2_T3_mRjT4_P12ihipStream_tbNS1_7vsmem_tEEUlT_E_NS1_11comp_targetILNS1_3genE8ELNS1_11target_archE1030ELNS1_3gpuE2ELNS1_3repE0EEENS1_30default_config_static_selectorELNS0_4arch9wavefront6targetE1EEEvSI_,"axG",@progbits,_ZN7rocprim17ROCPRIM_400000_NS6detail17trampoline_kernelINS0_14default_configENS1_37merge_sort_block_sort_config_selectorIN3c108BFloat16ElEEZNS1_21merge_sort_block_sortIS3_PS6_S9_N6thrust23THRUST_200600_302600_NS10device_ptrIlEESD_NSB_4lessIS6_EEEE10hipError_tT0_T1_T2_T3_mRjT4_P12ihipStream_tbNS1_7vsmem_tEEUlT_E_NS1_11comp_targetILNS1_3genE8ELNS1_11target_archE1030ELNS1_3gpuE2ELNS1_3repE0EEENS1_30default_config_static_selectorELNS0_4arch9wavefront6targetE1EEEvSI_,comdat
	.protected	_ZN7rocprim17ROCPRIM_400000_NS6detail17trampoline_kernelINS0_14default_configENS1_37merge_sort_block_sort_config_selectorIN3c108BFloat16ElEEZNS1_21merge_sort_block_sortIS3_PS6_S9_N6thrust23THRUST_200600_302600_NS10device_ptrIlEESD_NSB_4lessIS6_EEEE10hipError_tT0_T1_T2_T3_mRjT4_P12ihipStream_tbNS1_7vsmem_tEEUlT_E_NS1_11comp_targetILNS1_3genE8ELNS1_11target_archE1030ELNS1_3gpuE2ELNS1_3repE0EEENS1_30default_config_static_selectorELNS0_4arch9wavefront6targetE1EEEvSI_ ; -- Begin function _ZN7rocprim17ROCPRIM_400000_NS6detail17trampoline_kernelINS0_14default_configENS1_37merge_sort_block_sort_config_selectorIN3c108BFloat16ElEEZNS1_21merge_sort_block_sortIS3_PS6_S9_N6thrust23THRUST_200600_302600_NS10device_ptrIlEESD_NSB_4lessIS6_EEEE10hipError_tT0_T1_T2_T3_mRjT4_P12ihipStream_tbNS1_7vsmem_tEEUlT_E_NS1_11comp_targetILNS1_3genE8ELNS1_11target_archE1030ELNS1_3gpuE2ELNS1_3repE0EEENS1_30default_config_static_selectorELNS0_4arch9wavefront6targetE1EEEvSI_
	.globl	_ZN7rocprim17ROCPRIM_400000_NS6detail17trampoline_kernelINS0_14default_configENS1_37merge_sort_block_sort_config_selectorIN3c108BFloat16ElEEZNS1_21merge_sort_block_sortIS3_PS6_S9_N6thrust23THRUST_200600_302600_NS10device_ptrIlEESD_NSB_4lessIS6_EEEE10hipError_tT0_T1_T2_T3_mRjT4_P12ihipStream_tbNS1_7vsmem_tEEUlT_E_NS1_11comp_targetILNS1_3genE8ELNS1_11target_archE1030ELNS1_3gpuE2ELNS1_3repE0EEENS1_30default_config_static_selectorELNS0_4arch9wavefront6targetE1EEEvSI_
	.p2align	8
	.type	_ZN7rocprim17ROCPRIM_400000_NS6detail17trampoline_kernelINS0_14default_configENS1_37merge_sort_block_sort_config_selectorIN3c108BFloat16ElEEZNS1_21merge_sort_block_sortIS3_PS6_S9_N6thrust23THRUST_200600_302600_NS10device_ptrIlEESD_NSB_4lessIS6_EEEE10hipError_tT0_T1_T2_T3_mRjT4_P12ihipStream_tbNS1_7vsmem_tEEUlT_E_NS1_11comp_targetILNS1_3genE8ELNS1_11target_archE1030ELNS1_3gpuE2ELNS1_3repE0EEENS1_30default_config_static_selectorELNS0_4arch9wavefront6targetE1EEEvSI_,@function
_ZN7rocprim17ROCPRIM_400000_NS6detail17trampoline_kernelINS0_14default_configENS1_37merge_sort_block_sort_config_selectorIN3c108BFloat16ElEEZNS1_21merge_sort_block_sortIS3_PS6_S9_N6thrust23THRUST_200600_302600_NS10device_ptrIlEESD_NSB_4lessIS6_EEEE10hipError_tT0_T1_T2_T3_mRjT4_P12ihipStream_tbNS1_7vsmem_tEEUlT_E_NS1_11comp_targetILNS1_3genE8ELNS1_11target_archE1030ELNS1_3gpuE2ELNS1_3repE0EEENS1_30default_config_static_selectorELNS0_4arch9wavefront6targetE1EEEvSI_: ; @_ZN7rocprim17ROCPRIM_400000_NS6detail17trampoline_kernelINS0_14default_configENS1_37merge_sort_block_sort_config_selectorIN3c108BFloat16ElEEZNS1_21merge_sort_block_sortIS3_PS6_S9_N6thrust23THRUST_200600_302600_NS10device_ptrIlEESD_NSB_4lessIS6_EEEE10hipError_tT0_T1_T2_T3_mRjT4_P12ihipStream_tbNS1_7vsmem_tEEUlT_E_NS1_11comp_targetILNS1_3genE8ELNS1_11target_archE1030ELNS1_3gpuE2ELNS1_3repE0EEENS1_30default_config_static_selectorELNS0_4arch9wavefront6targetE1EEEvSI_
; %bb.0:
	.section	.rodata,"a",@progbits
	.p2align	6, 0x0
	.amdhsa_kernel _ZN7rocprim17ROCPRIM_400000_NS6detail17trampoline_kernelINS0_14default_configENS1_37merge_sort_block_sort_config_selectorIN3c108BFloat16ElEEZNS1_21merge_sort_block_sortIS3_PS6_S9_N6thrust23THRUST_200600_302600_NS10device_ptrIlEESD_NSB_4lessIS6_EEEE10hipError_tT0_T1_T2_T3_mRjT4_P12ihipStream_tbNS1_7vsmem_tEEUlT_E_NS1_11comp_targetILNS1_3genE8ELNS1_11target_archE1030ELNS1_3gpuE2ELNS1_3repE0EEENS1_30default_config_static_selectorELNS0_4arch9wavefront6targetE1EEEvSI_
		.amdhsa_group_segment_fixed_size 0
		.amdhsa_private_segment_fixed_size 0
		.amdhsa_kernarg_size 64
		.amdhsa_user_sgpr_count 6
		.amdhsa_user_sgpr_private_segment_buffer 1
		.amdhsa_user_sgpr_dispatch_ptr 0
		.amdhsa_user_sgpr_queue_ptr 0
		.amdhsa_user_sgpr_kernarg_segment_ptr 1
		.amdhsa_user_sgpr_dispatch_id 0
		.amdhsa_user_sgpr_flat_scratch_init 0
		.amdhsa_user_sgpr_private_segment_size 0
		.amdhsa_uses_dynamic_stack 0
		.amdhsa_system_sgpr_private_segment_wavefront_offset 0
		.amdhsa_system_sgpr_workgroup_id_x 1
		.amdhsa_system_sgpr_workgroup_id_y 0
		.amdhsa_system_sgpr_workgroup_id_z 0
		.amdhsa_system_sgpr_workgroup_info 0
		.amdhsa_system_vgpr_workitem_id 0
		.amdhsa_next_free_vgpr 1
		.amdhsa_next_free_sgpr 0
		.amdhsa_reserve_vcc 0
		.amdhsa_reserve_flat_scratch 0
		.amdhsa_float_round_mode_32 0
		.amdhsa_float_round_mode_16_64 0
		.amdhsa_float_denorm_mode_32 3
		.amdhsa_float_denorm_mode_16_64 3
		.amdhsa_dx10_clamp 1
		.amdhsa_ieee_mode 1
		.amdhsa_fp16_overflow 0
		.amdhsa_exception_fp_ieee_invalid_op 0
		.amdhsa_exception_fp_denorm_src 0
		.amdhsa_exception_fp_ieee_div_zero 0
		.amdhsa_exception_fp_ieee_overflow 0
		.amdhsa_exception_fp_ieee_underflow 0
		.amdhsa_exception_fp_ieee_inexact 0
		.amdhsa_exception_int_div_zero 0
	.end_amdhsa_kernel
	.section	.text._ZN7rocprim17ROCPRIM_400000_NS6detail17trampoline_kernelINS0_14default_configENS1_37merge_sort_block_sort_config_selectorIN3c108BFloat16ElEEZNS1_21merge_sort_block_sortIS3_PS6_S9_N6thrust23THRUST_200600_302600_NS10device_ptrIlEESD_NSB_4lessIS6_EEEE10hipError_tT0_T1_T2_T3_mRjT4_P12ihipStream_tbNS1_7vsmem_tEEUlT_E_NS1_11comp_targetILNS1_3genE8ELNS1_11target_archE1030ELNS1_3gpuE2ELNS1_3repE0EEENS1_30default_config_static_selectorELNS0_4arch9wavefront6targetE1EEEvSI_,"axG",@progbits,_ZN7rocprim17ROCPRIM_400000_NS6detail17trampoline_kernelINS0_14default_configENS1_37merge_sort_block_sort_config_selectorIN3c108BFloat16ElEEZNS1_21merge_sort_block_sortIS3_PS6_S9_N6thrust23THRUST_200600_302600_NS10device_ptrIlEESD_NSB_4lessIS6_EEEE10hipError_tT0_T1_T2_T3_mRjT4_P12ihipStream_tbNS1_7vsmem_tEEUlT_E_NS1_11comp_targetILNS1_3genE8ELNS1_11target_archE1030ELNS1_3gpuE2ELNS1_3repE0EEENS1_30default_config_static_selectorELNS0_4arch9wavefront6targetE1EEEvSI_,comdat
.Lfunc_end1977:
	.size	_ZN7rocprim17ROCPRIM_400000_NS6detail17trampoline_kernelINS0_14default_configENS1_37merge_sort_block_sort_config_selectorIN3c108BFloat16ElEEZNS1_21merge_sort_block_sortIS3_PS6_S9_N6thrust23THRUST_200600_302600_NS10device_ptrIlEESD_NSB_4lessIS6_EEEE10hipError_tT0_T1_T2_T3_mRjT4_P12ihipStream_tbNS1_7vsmem_tEEUlT_E_NS1_11comp_targetILNS1_3genE8ELNS1_11target_archE1030ELNS1_3gpuE2ELNS1_3repE0EEENS1_30default_config_static_selectorELNS0_4arch9wavefront6targetE1EEEvSI_, .Lfunc_end1977-_ZN7rocprim17ROCPRIM_400000_NS6detail17trampoline_kernelINS0_14default_configENS1_37merge_sort_block_sort_config_selectorIN3c108BFloat16ElEEZNS1_21merge_sort_block_sortIS3_PS6_S9_N6thrust23THRUST_200600_302600_NS10device_ptrIlEESD_NSB_4lessIS6_EEEE10hipError_tT0_T1_T2_T3_mRjT4_P12ihipStream_tbNS1_7vsmem_tEEUlT_E_NS1_11comp_targetILNS1_3genE8ELNS1_11target_archE1030ELNS1_3gpuE2ELNS1_3repE0EEENS1_30default_config_static_selectorELNS0_4arch9wavefront6targetE1EEEvSI_
                                        ; -- End function
	.set _ZN7rocprim17ROCPRIM_400000_NS6detail17trampoline_kernelINS0_14default_configENS1_37merge_sort_block_sort_config_selectorIN3c108BFloat16ElEEZNS1_21merge_sort_block_sortIS3_PS6_S9_N6thrust23THRUST_200600_302600_NS10device_ptrIlEESD_NSB_4lessIS6_EEEE10hipError_tT0_T1_T2_T3_mRjT4_P12ihipStream_tbNS1_7vsmem_tEEUlT_E_NS1_11comp_targetILNS1_3genE8ELNS1_11target_archE1030ELNS1_3gpuE2ELNS1_3repE0EEENS1_30default_config_static_selectorELNS0_4arch9wavefront6targetE1EEEvSI_.num_vgpr, 0
	.set _ZN7rocprim17ROCPRIM_400000_NS6detail17trampoline_kernelINS0_14default_configENS1_37merge_sort_block_sort_config_selectorIN3c108BFloat16ElEEZNS1_21merge_sort_block_sortIS3_PS6_S9_N6thrust23THRUST_200600_302600_NS10device_ptrIlEESD_NSB_4lessIS6_EEEE10hipError_tT0_T1_T2_T3_mRjT4_P12ihipStream_tbNS1_7vsmem_tEEUlT_E_NS1_11comp_targetILNS1_3genE8ELNS1_11target_archE1030ELNS1_3gpuE2ELNS1_3repE0EEENS1_30default_config_static_selectorELNS0_4arch9wavefront6targetE1EEEvSI_.num_agpr, 0
	.set _ZN7rocprim17ROCPRIM_400000_NS6detail17trampoline_kernelINS0_14default_configENS1_37merge_sort_block_sort_config_selectorIN3c108BFloat16ElEEZNS1_21merge_sort_block_sortIS3_PS6_S9_N6thrust23THRUST_200600_302600_NS10device_ptrIlEESD_NSB_4lessIS6_EEEE10hipError_tT0_T1_T2_T3_mRjT4_P12ihipStream_tbNS1_7vsmem_tEEUlT_E_NS1_11comp_targetILNS1_3genE8ELNS1_11target_archE1030ELNS1_3gpuE2ELNS1_3repE0EEENS1_30default_config_static_selectorELNS0_4arch9wavefront6targetE1EEEvSI_.numbered_sgpr, 0
	.set _ZN7rocprim17ROCPRIM_400000_NS6detail17trampoline_kernelINS0_14default_configENS1_37merge_sort_block_sort_config_selectorIN3c108BFloat16ElEEZNS1_21merge_sort_block_sortIS3_PS6_S9_N6thrust23THRUST_200600_302600_NS10device_ptrIlEESD_NSB_4lessIS6_EEEE10hipError_tT0_T1_T2_T3_mRjT4_P12ihipStream_tbNS1_7vsmem_tEEUlT_E_NS1_11comp_targetILNS1_3genE8ELNS1_11target_archE1030ELNS1_3gpuE2ELNS1_3repE0EEENS1_30default_config_static_selectorELNS0_4arch9wavefront6targetE1EEEvSI_.num_named_barrier, 0
	.set _ZN7rocprim17ROCPRIM_400000_NS6detail17trampoline_kernelINS0_14default_configENS1_37merge_sort_block_sort_config_selectorIN3c108BFloat16ElEEZNS1_21merge_sort_block_sortIS3_PS6_S9_N6thrust23THRUST_200600_302600_NS10device_ptrIlEESD_NSB_4lessIS6_EEEE10hipError_tT0_T1_T2_T3_mRjT4_P12ihipStream_tbNS1_7vsmem_tEEUlT_E_NS1_11comp_targetILNS1_3genE8ELNS1_11target_archE1030ELNS1_3gpuE2ELNS1_3repE0EEENS1_30default_config_static_selectorELNS0_4arch9wavefront6targetE1EEEvSI_.private_seg_size, 0
	.set _ZN7rocprim17ROCPRIM_400000_NS6detail17trampoline_kernelINS0_14default_configENS1_37merge_sort_block_sort_config_selectorIN3c108BFloat16ElEEZNS1_21merge_sort_block_sortIS3_PS6_S9_N6thrust23THRUST_200600_302600_NS10device_ptrIlEESD_NSB_4lessIS6_EEEE10hipError_tT0_T1_T2_T3_mRjT4_P12ihipStream_tbNS1_7vsmem_tEEUlT_E_NS1_11comp_targetILNS1_3genE8ELNS1_11target_archE1030ELNS1_3gpuE2ELNS1_3repE0EEENS1_30default_config_static_selectorELNS0_4arch9wavefront6targetE1EEEvSI_.uses_vcc, 0
	.set _ZN7rocprim17ROCPRIM_400000_NS6detail17trampoline_kernelINS0_14default_configENS1_37merge_sort_block_sort_config_selectorIN3c108BFloat16ElEEZNS1_21merge_sort_block_sortIS3_PS6_S9_N6thrust23THRUST_200600_302600_NS10device_ptrIlEESD_NSB_4lessIS6_EEEE10hipError_tT0_T1_T2_T3_mRjT4_P12ihipStream_tbNS1_7vsmem_tEEUlT_E_NS1_11comp_targetILNS1_3genE8ELNS1_11target_archE1030ELNS1_3gpuE2ELNS1_3repE0EEENS1_30default_config_static_selectorELNS0_4arch9wavefront6targetE1EEEvSI_.uses_flat_scratch, 0
	.set _ZN7rocprim17ROCPRIM_400000_NS6detail17trampoline_kernelINS0_14default_configENS1_37merge_sort_block_sort_config_selectorIN3c108BFloat16ElEEZNS1_21merge_sort_block_sortIS3_PS6_S9_N6thrust23THRUST_200600_302600_NS10device_ptrIlEESD_NSB_4lessIS6_EEEE10hipError_tT0_T1_T2_T3_mRjT4_P12ihipStream_tbNS1_7vsmem_tEEUlT_E_NS1_11comp_targetILNS1_3genE8ELNS1_11target_archE1030ELNS1_3gpuE2ELNS1_3repE0EEENS1_30default_config_static_selectorELNS0_4arch9wavefront6targetE1EEEvSI_.has_dyn_sized_stack, 0
	.set _ZN7rocprim17ROCPRIM_400000_NS6detail17trampoline_kernelINS0_14default_configENS1_37merge_sort_block_sort_config_selectorIN3c108BFloat16ElEEZNS1_21merge_sort_block_sortIS3_PS6_S9_N6thrust23THRUST_200600_302600_NS10device_ptrIlEESD_NSB_4lessIS6_EEEE10hipError_tT0_T1_T2_T3_mRjT4_P12ihipStream_tbNS1_7vsmem_tEEUlT_E_NS1_11comp_targetILNS1_3genE8ELNS1_11target_archE1030ELNS1_3gpuE2ELNS1_3repE0EEENS1_30default_config_static_selectorELNS0_4arch9wavefront6targetE1EEEvSI_.has_recursion, 0
	.set _ZN7rocprim17ROCPRIM_400000_NS6detail17trampoline_kernelINS0_14default_configENS1_37merge_sort_block_sort_config_selectorIN3c108BFloat16ElEEZNS1_21merge_sort_block_sortIS3_PS6_S9_N6thrust23THRUST_200600_302600_NS10device_ptrIlEESD_NSB_4lessIS6_EEEE10hipError_tT0_T1_T2_T3_mRjT4_P12ihipStream_tbNS1_7vsmem_tEEUlT_E_NS1_11comp_targetILNS1_3genE8ELNS1_11target_archE1030ELNS1_3gpuE2ELNS1_3repE0EEENS1_30default_config_static_selectorELNS0_4arch9wavefront6targetE1EEEvSI_.has_indirect_call, 0
	.section	.AMDGPU.csdata,"",@progbits
; Kernel info:
; codeLenInByte = 0
; TotalNumSgprs: 4
; NumVgprs: 0
; ScratchSize: 0
; MemoryBound: 0
; FloatMode: 240
; IeeeMode: 1
; LDSByteSize: 0 bytes/workgroup (compile time only)
; SGPRBlocks: 0
; VGPRBlocks: 0
; NumSGPRsForWavesPerEU: 4
; NumVGPRsForWavesPerEU: 1
; Occupancy: 10
; WaveLimiterHint : 0
; COMPUTE_PGM_RSRC2:SCRATCH_EN: 0
; COMPUTE_PGM_RSRC2:USER_SGPR: 6
; COMPUTE_PGM_RSRC2:TRAP_HANDLER: 0
; COMPUTE_PGM_RSRC2:TGID_X_EN: 1
; COMPUTE_PGM_RSRC2:TGID_Y_EN: 0
; COMPUTE_PGM_RSRC2:TGID_Z_EN: 0
; COMPUTE_PGM_RSRC2:TIDIG_COMP_CNT: 0
	.section	.text._ZN7rocprim17ROCPRIM_400000_NS6detail17trampoline_kernelINS0_14default_configENS1_38merge_sort_block_merge_config_selectorIN3c108BFloat16ElEEZZNS1_27merge_sort_block_merge_implIS3_PS6_N6thrust23THRUST_200600_302600_NS10device_ptrIlEEmNSB_4lessIS6_EEEE10hipError_tT0_T1_T2_jT3_P12ihipStream_tbPNSt15iterator_traitsISH_E10value_typeEPNSN_ISI_E10value_typeEPSJ_NS1_7vsmem_tEENKUlT_SH_SI_SJ_E_clIS9_S9_PlSD_EESG_SW_SH_SI_SJ_EUlSW_E_NS1_11comp_targetILNS1_3genE0ELNS1_11target_archE4294967295ELNS1_3gpuE0ELNS1_3repE0EEENS1_48merge_mergepath_partition_config_static_selectorELNS0_4arch9wavefront6targetE1EEEvSI_,"axG",@progbits,_ZN7rocprim17ROCPRIM_400000_NS6detail17trampoline_kernelINS0_14default_configENS1_38merge_sort_block_merge_config_selectorIN3c108BFloat16ElEEZZNS1_27merge_sort_block_merge_implIS3_PS6_N6thrust23THRUST_200600_302600_NS10device_ptrIlEEmNSB_4lessIS6_EEEE10hipError_tT0_T1_T2_jT3_P12ihipStream_tbPNSt15iterator_traitsISH_E10value_typeEPNSN_ISI_E10value_typeEPSJ_NS1_7vsmem_tEENKUlT_SH_SI_SJ_E_clIS9_S9_PlSD_EESG_SW_SH_SI_SJ_EUlSW_E_NS1_11comp_targetILNS1_3genE0ELNS1_11target_archE4294967295ELNS1_3gpuE0ELNS1_3repE0EEENS1_48merge_mergepath_partition_config_static_selectorELNS0_4arch9wavefront6targetE1EEEvSI_,comdat
	.protected	_ZN7rocprim17ROCPRIM_400000_NS6detail17trampoline_kernelINS0_14default_configENS1_38merge_sort_block_merge_config_selectorIN3c108BFloat16ElEEZZNS1_27merge_sort_block_merge_implIS3_PS6_N6thrust23THRUST_200600_302600_NS10device_ptrIlEEmNSB_4lessIS6_EEEE10hipError_tT0_T1_T2_jT3_P12ihipStream_tbPNSt15iterator_traitsISH_E10value_typeEPNSN_ISI_E10value_typeEPSJ_NS1_7vsmem_tEENKUlT_SH_SI_SJ_E_clIS9_S9_PlSD_EESG_SW_SH_SI_SJ_EUlSW_E_NS1_11comp_targetILNS1_3genE0ELNS1_11target_archE4294967295ELNS1_3gpuE0ELNS1_3repE0EEENS1_48merge_mergepath_partition_config_static_selectorELNS0_4arch9wavefront6targetE1EEEvSI_ ; -- Begin function _ZN7rocprim17ROCPRIM_400000_NS6detail17trampoline_kernelINS0_14default_configENS1_38merge_sort_block_merge_config_selectorIN3c108BFloat16ElEEZZNS1_27merge_sort_block_merge_implIS3_PS6_N6thrust23THRUST_200600_302600_NS10device_ptrIlEEmNSB_4lessIS6_EEEE10hipError_tT0_T1_T2_jT3_P12ihipStream_tbPNSt15iterator_traitsISH_E10value_typeEPNSN_ISI_E10value_typeEPSJ_NS1_7vsmem_tEENKUlT_SH_SI_SJ_E_clIS9_S9_PlSD_EESG_SW_SH_SI_SJ_EUlSW_E_NS1_11comp_targetILNS1_3genE0ELNS1_11target_archE4294967295ELNS1_3gpuE0ELNS1_3repE0EEENS1_48merge_mergepath_partition_config_static_selectorELNS0_4arch9wavefront6targetE1EEEvSI_
	.globl	_ZN7rocprim17ROCPRIM_400000_NS6detail17trampoline_kernelINS0_14default_configENS1_38merge_sort_block_merge_config_selectorIN3c108BFloat16ElEEZZNS1_27merge_sort_block_merge_implIS3_PS6_N6thrust23THRUST_200600_302600_NS10device_ptrIlEEmNSB_4lessIS6_EEEE10hipError_tT0_T1_T2_jT3_P12ihipStream_tbPNSt15iterator_traitsISH_E10value_typeEPNSN_ISI_E10value_typeEPSJ_NS1_7vsmem_tEENKUlT_SH_SI_SJ_E_clIS9_S9_PlSD_EESG_SW_SH_SI_SJ_EUlSW_E_NS1_11comp_targetILNS1_3genE0ELNS1_11target_archE4294967295ELNS1_3gpuE0ELNS1_3repE0EEENS1_48merge_mergepath_partition_config_static_selectorELNS0_4arch9wavefront6targetE1EEEvSI_
	.p2align	8
	.type	_ZN7rocprim17ROCPRIM_400000_NS6detail17trampoline_kernelINS0_14default_configENS1_38merge_sort_block_merge_config_selectorIN3c108BFloat16ElEEZZNS1_27merge_sort_block_merge_implIS3_PS6_N6thrust23THRUST_200600_302600_NS10device_ptrIlEEmNSB_4lessIS6_EEEE10hipError_tT0_T1_T2_jT3_P12ihipStream_tbPNSt15iterator_traitsISH_E10value_typeEPNSN_ISI_E10value_typeEPSJ_NS1_7vsmem_tEENKUlT_SH_SI_SJ_E_clIS9_S9_PlSD_EESG_SW_SH_SI_SJ_EUlSW_E_NS1_11comp_targetILNS1_3genE0ELNS1_11target_archE4294967295ELNS1_3gpuE0ELNS1_3repE0EEENS1_48merge_mergepath_partition_config_static_selectorELNS0_4arch9wavefront6targetE1EEEvSI_,@function
_ZN7rocprim17ROCPRIM_400000_NS6detail17trampoline_kernelINS0_14default_configENS1_38merge_sort_block_merge_config_selectorIN3c108BFloat16ElEEZZNS1_27merge_sort_block_merge_implIS3_PS6_N6thrust23THRUST_200600_302600_NS10device_ptrIlEEmNSB_4lessIS6_EEEE10hipError_tT0_T1_T2_jT3_P12ihipStream_tbPNSt15iterator_traitsISH_E10value_typeEPNSN_ISI_E10value_typeEPSJ_NS1_7vsmem_tEENKUlT_SH_SI_SJ_E_clIS9_S9_PlSD_EESG_SW_SH_SI_SJ_EUlSW_E_NS1_11comp_targetILNS1_3genE0ELNS1_11target_archE4294967295ELNS1_3gpuE0ELNS1_3repE0EEENS1_48merge_mergepath_partition_config_static_selectorELNS0_4arch9wavefront6targetE1EEEvSI_: ; @_ZN7rocprim17ROCPRIM_400000_NS6detail17trampoline_kernelINS0_14default_configENS1_38merge_sort_block_merge_config_selectorIN3c108BFloat16ElEEZZNS1_27merge_sort_block_merge_implIS3_PS6_N6thrust23THRUST_200600_302600_NS10device_ptrIlEEmNSB_4lessIS6_EEEE10hipError_tT0_T1_T2_jT3_P12ihipStream_tbPNSt15iterator_traitsISH_E10value_typeEPNSN_ISI_E10value_typeEPSJ_NS1_7vsmem_tEENKUlT_SH_SI_SJ_E_clIS9_S9_PlSD_EESG_SW_SH_SI_SJ_EUlSW_E_NS1_11comp_targetILNS1_3genE0ELNS1_11target_archE4294967295ELNS1_3gpuE0ELNS1_3repE0EEENS1_48merge_mergepath_partition_config_static_selectorELNS0_4arch9wavefront6targetE1EEEvSI_
; %bb.0:
	.section	.rodata,"a",@progbits
	.p2align	6, 0x0
	.amdhsa_kernel _ZN7rocprim17ROCPRIM_400000_NS6detail17trampoline_kernelINS0_14default_configENS1_38merge_sort_block_merge_config_selectorIN3c108BFloat16ElEEZZNS1_27merge_sort_block_merge_implIS3_PS6_N6thrust23THRUST_200600_302600_NS10device_ptrIlEEmNSB_4lessIS6_EEEE10hipError_tT0_T1_T2_jT3_P12ihipStream_tbPNSt15iterator_traitsISH_E10value_typeEPNSN_ISI_E10value_typeEPSJ_NS1_7vsmem_tEENKUlT_SH_SI_SJ_E_clIS9_S9_PlSD_EESG_SW_SH_SI_SJ_EUlSW_E_NS1_11comp_targetILNS1_3genE0ELNS1_11target_archE4294967295ELNS1_3gpuE0ELNS1_3repE0EEENS1_48merge_mergepath_partition_config_static_selectorELNS0_4arch9wavefront6targetE1EEEvSI_
		.amdhsa_group_segment_fixed_size 0
		.amdhsa_private_segment_fixed_size 0
		.amdhsa_kernarg_size 48
		.amdhsa_user_sgpr_count 6
		.amdhsa_user_sgpr_private_segment_buffer 1
		.amdhsa_user_sgpr_dispatch_ptr 0
		.amdhsa_user_sgpr_queue_ptr 0
		.amdhsa_user_sgpr_kernarg_segment_ptr 1
		.amdhsa_user_sgpr_dispatch_id 0
		.amdhsa_user_sgpr_flat_scratch_init 0
		.amdhsa_user_sgpr_private_segment_size 0
		.amdhsa_uses_dynamic_stack 0
		.amdhsa_system_sgpr_private_segment_wavefront_offset 0
		.amdhsa_system_sgpr_workgroup_id_x 1
		.amdhsa_system_sgpr_workgroup_id_y 0
		.amdhsa_system_sgpr_workgroup_id_z 0
		.amdhsa_system_sgpr_workgroup_info 0
		.amdhsa_system_vgpr_workitem_id 0
		.amdhsa_next_free_vgpr 1
		.amdhsa_next_free_sgpr 0
		.amdhsa_reserve_vcc 0
		.amdhsa_reserve_flat_scratch 0
		.amdhsa_float_round_mode_32 0
		.amdhsa_float_round_mode_16_64 0
		.amdhsa_float_denorm_mode_32 3
		.amdhsa_float_denorm_mode_16_64 3
		.amdhsa_dx10_clamp 1
		.amdhsa_ieee_mode 1
		.amdhsa_fp16_overflow 0
		.amdhsa_exception_fp_ieee_invalid_op 0
		.amdhsa_exception_fp_denorm_src 0
		.amdhsa_exception_fp_ieee_div_zero 0
		.amdhsa_exception_fp_ieee_overflow 0
		.amdhsa_exception_fp_ieee_underflow 0
		.amdhsa_exception_fp_ieee_inexact 0
		.amdhsa_exception_int_div_zero 0
	.end_amdhsa_kernel
	.section	.text._ZN7rocprim17ROCPRIM_400000_NS6detail17trampoline_kernelINS0_14default_configENS1_38merge_sort_block_merge_config_selectorIN3c108BFloat16ElEEZZNS1_27merge_sort_block_merge_implIS3_PS6_N6thrust23THRUST_200600_302600_NS10device_ptrIlEEmNSB_4lessIS6_EEEE10hipError_tT0_T1_T2_jT3_P12ihipStream_tbPNSt15iterator_traitsISH_E10value_typeEPNSN_ISI_E10value_typeEPSJ_NS1_7vsmem_tEENKUlT_SH_SI_SJ_E_clIS9_S9_PlSD_EESG_SW_SH_SI_SJ_EUlSW_E_NS1_11comp_targetILNS1_3genE0ELNS1_11target_archE4294967295ELNS1_3gpuE0ELNS1_3repE0EEENS1_48merge_mergepath_partition_config_static_selectorELNS0_4arch9wavefront6targetE1EEEvSI_,"axG",@progbits,_ZN7rocprim17ROCPRIM_400000_NS6detail17trampoline_kernelINS0_14default_configENS1_38merge_sort_block_merge_config_selectorIN3c108BFloat16ElEEZZNS1_27merge_sort_block_merge_implIS3_PS6_N6thrust23THRUST_200600_302600_NS10device_ptrIlEEmNSB_4lessIS6_EEEE10hipError_tT0_T1_T2_jT3_P12ihipStream_tbPNSt15iterator_traitsISH_E10value_typeEPNSN_ISI_E10value_typeEPSJ_NS1_7vsmem_tEENKUlT_SH_SI_SJ_E_clIS9_S9_PlSD_EESG_SW_SH_SI_SJ_EUlSW_E_NS1_11comp_targetILNS1_3genE0ELNS1_11target_archE4294967295ELNS1_3gpuE0ELNS1_3repE0EEENS1_48merge_mergepath_partition_config_static_selectorELNS0_4arch9wavefront6targetE1EEEvSI_,comdat
.Lfunc_end1978:
	.size	_ZN7rocprim17ROCPRIM_400000_NS6detail17trampoline_kernelINS0_14default_configENS1_38merge_sort_block_merge_config_selectorIN3c108BFloat16ElEEZZNS1_27merge_sort_block_merge_implIS3_PS6_N6thrust23THRUST_200600_302600_NS10device_ptrIlEEmNSB_4lessIS6_EEEE10hipError_tT0_T1_T2_jT3_P12ihipStream_tbPNSt15iterator_traitsISH_E10value_typeEPNSN_ISI_E10value_typeEPSJ_NS1_7vsmem_tEENKUlT_SH_SI_SJ_E_clIS9_S9_PlSD_EESG_SW_SH_SI_SJ_EUlSW_E_NS1_11comp_targetILNS1_3genE0ELNS1_11target_archE4294967295ELNS1_3gpuE0ELNS1_3repE0EEENS1_48merge_mergepath_partition_config_static_selectorELNS0_4arch9wavefront6targetE1EEEvSI_, .Lfunc_end1978-_ZN7rocprim17ROCPRIM_400000_NS6detail17trampoline_kernelINS0_14default_configENS1_38merge_sort_block_merge_config_selectorIN3c108BFloat16ElEEZZNS1_27merge_sort_block_merge_implIS3_PS6_N6thrust23THRUST_200600_302600_NS10device_ptrIlEEmNSB_4lessIS6_EEEE10hipError_tT0_T1_T2_jT3_P12ihipStream_tbPNSt15iterator_traitsISH_E10value_typeEPNSN_ISI_E10value_typeEPSJ_NS1_7vsmem_tEENKUlT_SH_SI_SJ_E_clIS9_S9_PlSD_EESG_SW_SH_SI_SJ_EUlSW_E_NS1_11comp_targetILNS1_3genE0ELNS1_11target_archE4294967295ELNS1_3gpuE0ELNS1_3repE0EEENS1_48merge_mergepath_partition_config_static_selectorELNS0_4arch9wavefront6targetE1EEEvSI_
                                        ; -- End function
	.set _ZN7rocprim17ROCPRIM_400000_NS6detail17trampoline_kernelINS0_14default_configENS1_38merge_sort_block_merge_config_selectorIN3c108BFloat16ElEEZZNS1_27merge_sort_block_merge_implIS3_PS6_N6thrust23THRUST_200600_302600_NS10device_ptrIlEEmNSB_4lessIS6_EEEE10hipError_tT0_T1_T2_jT3_P12ihipStream_tbPNSt15iterator_traitsISH_E10value_typeEPNSN_ISI_E10value_typeEPSJ_NS1_7vsmem_tEENKUlT_SH_SI_SJ_E_clIS9_S9_PlSD_EESG_SW_SH_SI_SJ_EUlSW_E_NS1_11comp_targetILNS1_3genE0ELNS1_11target_archE4294967295ELNS1_3gpuE0ELNS1_3repE0EEENS1_48merge_mergepath_partition_config_static_selectorELNS0_4arch9wavefront6targetE1EEEvSI_.num_vgpr, 0
	.set _ZN7rocprim17ROCPRIM_400000_NS6detail17trampoline_kernelINS0_14default_configENS1_38merge_sort_block_merge_config_selectorIN3c108BFloat16ElEEZZNS1_27merge_sort_block_merge_implIS3_PS6_N6thrust23THRUST_200600_302600_NS10device_ptrIlEEmNSB_4lessIS6_EEEE10hipError_tT0_T1_T2_jT3_P12ihipStream_tbPNSt15iterator_traitsISH_E10value_typeEPNSN_ISI_E10value_typeEPSJ_NS1_7vsmem_tEENKUlT_SH_SI_SJ_E_clIS9_S9_PlSD_EESG_SW_SH_SI_SJ_EUlSW_E_NS1_11comp_targetILNS1_3genE0ELNS1_11target_archE4294967295ELNS1_3gpuE0ELNS1_3repE0EEENS1_48merge_mergepath_partition_config_static_selectorELNS0_4arch9wavefront6targetE1EEEvSI_.num_agpr, 0
	.set _ZN7rocprim17ROCPRIM_400000_NS6detail17trampoline_kernelINS0_14default_configENS1_38merge_sort_block_merge_config_selectorIN3c108BFloat16ElEEZZNS1_27merge_sort_block_merge_implIS3_PS6_N6thrust23THRUST_200600_302600_NS10device_ptrIlEEmNSB_4lessIS6_EEEE10hipError_tT0_T1_T2_jT3_P12ihipStream_tbPNSt15iterator_traitsISH_E10value_typeEPNSN_ISI_E10value_typeEPSJ_NS1_7vsmem_tEENKUlT_SH_SI_SJ_E_clIS9_S9_PlSD_EESG_SW_SH_SI_SJ_EUlSW_E_NS1_11comp_targetILNS1_3genE0ELNS1_11target_archE4294967295ELNS1_3gpuE0ELNS1_3repE0EEENS1_48merge_mergepath_partition_config_static_selectorELNS0_4arch9wavefront6targetE1EEEvSI_.numbered_sgpr, 0
	.set _ZN7rocprim17ROCPRIM_400000_NS6detail17trampoline_kernelINS0_14default_configENS1_38merge_sort_block_merge_config_selectorIN3c108BFloat16ElEEZZNS1_27merge_sort_block_merge_implIS3_PS6_N6thrust23THRUST_200600_302600_NS10device_ptrIlEEmNSB_4lessIS6_EEEE10hipError_tT0_T1_T2_jT3_P12ihipStream_tbPNSt15iterator_traitsISH_E10value_typeEPNSN_ISI_E10value_typeEPSJ_NS1_7vsmem_tEENKUlT_SH_SI_SJ_E_clIS9_S9_PlSD_EESG_SW_SH_SI_SJ_EUlSW_E_NS1_11comp_targetILNS1_3genE0ELNS1_11target_archE4294967295ELNS1_3gpuE0ELNS1_3repE0EEENS1_48merge_mergepath_partition_config_static_selectorELNS0_4arch9wavefront6targetE1EEEvSI_.num_named_barrier, 0
	.set _ZN7rocprim17ROCPRIM_400000_NS6detail17trampoline_kernelINS0_14default_configENS1_38merge_sort_block_merge_config_selectorIN3c108BFloat16ElEEZZNS1_27merge_sort_block_merge_implIS3_PS6_N6thrust23THRUST_200600_302600_NS10device_ptrIlEEmNSB_4lessIS6_EEEE10hipError_tT0_T1_T2_jT3_P12ihipStream_tbPNSt15iterator_traitsISH_E10value_typeEPNSN_ISI_E10value_typeEPSJ_NS1_7vsmem_tEENKUlT_SH_SI_SJ_E_clIS9_S9_PlSD_EESG_SW_SH_SI_SJ_EUlSW_E_NS1_11comp_targetILNS1_3genE0ELNS1_11target_archE4294967295ELNS1_3gpuE0ELNS1_3repE0EEENS1_48merge_mergepath_partition_config_static_selectorELNS0_4arch9wavefront6targetE1EEEvSI_.private_seg_size, 0
	.set _ZN7rocprim17ROCPRIM_400000_NS6detail17trampoline_kernelINS0_14default_configENS1_38merge_sort_block_merge_config_selectorIN3c108BFloat16ElEEZZNS1_27merge_sort_block_merge_implIS3_PS6_N6thrust23THRUST_200600_302600_NS10device_ptrIlEEmNSB_4lessIS6_EEEE10hipError_tT0_T1_T2_jT3_P12ihipStream_tbPNSt15iterator_traitsISH_E10value_typeEPNSN_ISI_E10value_typeEPSJ_NS1_7vsmem_tEENKUlT_SH_SI_SJ_E_clIS9_S9_PlSD_EESG_SW_SH_SI_SJ_EUlSW_E_NS1_11comp_targetILNS1_3genE0ELNS1_11target_archE4294967295ELNS1_3gpuE0ELNS1_3repE0EEENS1_48merge_mergepath_partition_config_static_selectorELNS0_4arch9wavefront6targetE1EEEvSI_.uses_vcc, 0
	.set _ZN7rocprim17ROCPRIM_400000_NS6detail17trampoline_kernelINS0_14default_configENS1_38merge_sort_block_merge_config_selectorIN3c108BFloat16ElEEZZNS1_27merge_sort_block_merge_implIS3_PS6_N6thrust23THRUST_200600_302600_NS10device_ptrIlEEmNSB_4lessIS6_EEEE10hipError_tT0_T1_T2_jT3_P12ihipStream_tbPNSt15iterator_traitsISH_E10value_typeEPNSN_ISI_E10value_typeEPSJ_NS1_7vsmem_tEENKUlT_SH_SI_SJ_E_clIS9_S9_PlSD_EESG_SW_SH_SI_SJ_EUlSW_E_NS1_11comp_targetILNS1_3genE0ELNS1_11target_archE4294967295ELNS1_3gpuE0ELNS1_3repE0EEENS1_48merge_mergepath_partition_config_static_selectorELNS0_4arch9wavefront6targetE1EEEvSI_.uses_flat_scratch, 0
	.set _ZN7rocprim17ROCPRIM_400000_NS6detail17trampoline_kernelINS0_14default_configENS1_38merge_sort_block_merge_config_selectorIN3c108BFloat16ElEEZZNS1_27merge_sort_block_merge_implIS3_PS6_N6thrust23THRUST_200600_302600_NS10device_ptrIlEEmNSB_4lessIS6_EEEE10hipError_tT0_T1_T2_jT3_P12ihipStream_tbPNSt15iterator_traitsISH_E10value_typeEPNSN_ISI_E10value_typeEPSJ_NS1_7vsmem_tEENKUlT_SH_SI_SJ_E_clIS9_S9_PlSD_EESG_SW_SH_SI_SJ_EUlSW_E_NS1_11comp_targetILNS1_3genE0ELNS1_11target_archE4294967295ELNS1_3gpuE0ELNS1_3repE0EEENS1_48merge_mergepath_partition_config_static_selectorELNS0_4arch9wavefront6targetE1EEEvSI_.has_dyn_sized_stack, 0
	.set _ZN7rocprim17ROCPRIM_400000_NS6detail17trampoline_kernelINS0_14default_configENS1_38merge_sort_block_merge_config_selectorIN3c108BFloat16ElEEZZNS1_27merge_sort_block_merge_implIS3_PS6_N6thrust23THRUST_200600_302600_NS10device_ptrIlEEmNSB_4lessIS6_EEEE10hipError_tT0_T1_T2_jT3_P12ihipStream_tbPNSt15iterator_traitsISH_E10value_typeEPNSN_ISI_E10value_typeEPSJ_NS1_7vsmem_tEENKUlT_SH_SI_SJ_E_clIS9_S9_PlSD_EESG_SW_SH_SI_SJ_EUlSW_E_NS1_11comp_targetILNS1_3genE0ELNS1_11target_archE4294967295ELNS1_3gpuE0ELNS1_3repE0EEENS1_48merge_mergepath_partition_config_static_selectorELNS0_4arch9wavefront6targetE1EEEvSI_.has_recursion, 0
	.set _ZN7rocprim17ROCPRIM_400000_NS6detail17trampoline_kernelINS0_14default_configENS1_38merge_sort_block_merge_config_selectorIN3c108BFloat16ElEEZZNS1_27merge_sort_block_merge_implIS3_PS6_N6thrust23THRUST_200600_302600_NS10device_ptrIlEEmNSB_4lessIS6_EEEE10hipError_tT0_T1_T2_jT3_P12ihipStream_tbPNSt15iterator_traitsISH_E10value_typeEPNSN_ISI_E10value_typeEPSJ_NS1_7vsmem_tEENKUlT_SH_SI_SJ_E_clIS9_S9_PlSD_EESG_SW_SH_SI_SJ_EUlSW_E_NS1_11comp_targetILNS1_3genE0ELNS1_11target_archE4294967295ELNS1_3gpuE0ELNS1_3repE0EEENS1_48merge_mergepath_partition_config_static_selectorELNS0_4arch9wavefront6targetE1EEEvSI_.has_indirect_call, 0
	.section	.AMDGPU.csdata,"",@progbits
; Kernel info:
; codeLenInByte = 0
; TotalNumSgprs: 4
; NumVgprs: 0
; ScratchSize: 0
; MemoryBound: 0
; FloatMode: 240
; IeeeMode: 1
; LDSByteSize: 0 bytes/workgroup (compile time only)
; SGPRBlocks: 0
; VGPRBlocks: 0
; NumSGPRsForWavesPerEU: 4
; NumVGPRsForWavesPerEU: 1
; Occupancy: 10
; WaveLimiterHint : 0
; COMPUTE_PGM_RSRC2:SCRATCH_EN: 0
; COMPUTE_PGM_RSRC2:USER_SGPR: 6
; COMPUTE_PGM_RSRC2:TRAP_HANDLER: 0
; COMPUTE_PGM_RSRC2:TGID_X_EN: 1
; COMPUTE_PGM_RSRC2:TGID_Y_EN: 0
; COMPUTE_PGM_RSRC2:TGID_Z_EN: 0
; COMPUTE_PGM_RSRC2:TIDIG_COMP_CNT: 0
	.section	.text._ZN7rocprim17ROCPRIM_400000_NS6detail17trampoline_kernelINS0_14default_configENS1_38merge_sort_block_merge_config_selectorIN3c108BFloat16ElEEZZNS1_27merge_sort_block_merge_implIS3_PS6_N6thrust23THRUST_200600_302600_NS10device_ptrIlEEmNSB_4lessIS6_EEEE10hipError_tT0_T1_T2_jT3_P12ihipStream_tbPNSt15iterator_traitsISH_E10value_typeEPNSN_ISI_E10value_typeEPSJ_NS1_7vsmem_tEENKUlT_SH_SI_SJ_E_clIS9_S9_PlSD_EESG_SW_SH_SI_SJ_EUlSW_E_NS1_11comp_targetILNS1_3genE10ELNS1_11target_archE1201ELNS1_3gpuE5ELNS1_3repE0EEENS1_48merge_mergepath_partition_config_static_selectorELNS0_4arch9wavefront6targetE1EEEvSI_,"axG",@progbits,_ZN7rocprim17ROCPRIM_400000_NS6detail17trampoline_kernelINS0_14default_configENS1_38merge_sort_block_merge_config_selectorIN3c108BFloat16ElEEZZNS1_27merge_sort_block_merge_implIS3_PS6_N6thrust23THRUST_200600_302600_NS10device_ptrIlEEmNSB_4lessIS6_EEEE10hipError_tT0_T1_T2_jT3_P12ihipStream_tbPNSt15iterator_traitsISH_E10value_typeEPNSN_ISI_E10value_typeEPSJ_NS1_7vsmem_tEENKUlT_SH_SI_SJ_E_clIS9_S9_PlSD_EESG_SW_SH_SI_SJ_EUlSW_E_NS1_11comp_targetILNS1_3genE10ELNS1_11target_archE1201ELNS1_3gpuE5ELNS1_3repE0EEENS1_48merge_mergepath_partition_config_static_selectorELNS0_4arch9wavefront6targetE1EEEvSI_,comdat
	.protected	_ZN7rocprim17ROCPRIM_400000_NS6detail17trampoline_kernelINS0_14default_configENS1_38merge_sort_block_merge_config_selectorIN3c108BFloat16ElEEZZNS1_27merge_sort_block_merge_implIS3_PS6_N6thrust23THRUST_200600_302600_NS10device_ptrIlEEmNSB_4lessIS6_EEEE10hipError_tT0_T1_T2_jT3_P12ihipStream_tbPNSt15iterator_traitsISH_E10value_typeEPNSN_ISI_E10value_typeEPSJ_NS1_7vsmem_tEENKUlT_SH_SI_SJ_E_clIS9_S9_PlSD_EESG_SW_SH_SI_SJ_EUlSW_E_NS1_11comp_targetILNS1_3genE10ELNS1_11target_archE1201ELNS1_3gpuE5ELNS1_3repE0EEENS1_48merge_mergepath_partition_config_static_selectorELNS0_4arch9wavefront6targetE1EEEvSI_ ; -- Begin function _ZN7rocprim17ROCPRIM_400000_NS6detail17trampoline_kernelINS0_14default_configENS1_38merge_sort_block_merge_config_selectorIN3c108BFloat16ElEEZZNS1_27merge_sort_block_merge_implIS3_PS6_N6thrust23THRUST_200600_302600_NS10device_ptrIlEEmNSB_4lessIS6_EEEE10hipError_tT0_T1_T2_jT3_P12ihipStream_tbPNSt15iterator_traitsISH_E10value_typeEPNSN_ISI_E10value_typeEPSJ_NS1_7vsmem_tEENKUlT_SH_SI_SJ_E_clIS9_S9_PlSD_EESG_SW_SH_SI_SJ_EUlSW_E_NS1_11comp_targetILNS1_3genE10ELNS1_11target_archE1201ELNS1_3gpuE5ELNS1_3repE0EEENS1_48merge_mergepath_partition_config_static_selectorELNS0_4arch9wavefront6targetE1EEEvSI_
	.globl	_ZN7rocprim17ROCPRIM_400000_NS6detail17trampoline_kernelINS0_14default_configENS1_38merge_sort_block_merge_config_selectorIN3c108BFloat16ElEEZZNS1_27merge_sort_block_merge_implIS3_PS6_N6thrust23THRUST_200600_302600_NS10device_ptrIlEEmNSB_4lessIS6_EEEE10hipError_tT0_T1_T2_jT3_P12ihipStream_tbPNSt15iterator_traitsISH_E10value_typeEPNSN_ISI_E10value_typeEPSJ_NS1_7vsmem_tEENKUlT_SH_SI_SJ_E_clIS9_S9_PlSD_EESG_SW_SH_SI_SJ_EUlSW_E_NS1_11comp_targetILNS1_3genE10ELNS1_11target_archE1201ELNS1_3gpuE5ELNS1_3repE0EEENS1_48merge_mergepath_partition_config_static_selectorELNS0_4arch9wavefront6targetE1EEEvSI_
	.p2align	8
	.type	_ZN7rocprim17ROCPRIM_400000_NS6detail17trampoline_kernelINS0_14default_configENS1_38merge_sort_block_merge_config_selectorIN3c108BFloat16ElEEZZNS1_27merge_sort_block_merge_implIS3_PS6_N6thrust23THRUST_200600_302600_NS10device_ptrIlEEmNSB_4lessIS6_EEEE10hipError_tT0_T1_T2_jT3_P12ihipStream_tbPNSt15iterator_traitsISH_E10value_typeEPNSN_ISI_E10value_typeEPSJ_NS1_7vsmem_tEENKUlT_SH_SI_SJ_E_clIS9_S9_PlSD_EESG_SW_SH_SI_SJ_EUlSW_E_NS1_11comp_targetILNS1_3genE10ELNS1_11target_archE1201ELNS1_3gpuE5ELNS1_3repE0EEENS1_48merge_mergepath_partition_config_static_selectorELNS0_4arch9wavefront6targetE1EEEvSI_,@function
_ZN7rocprim17ROCPRIM_400000_NS6detail17trampoline_kernelINS0_14default_configENS1_38merge_sort_block_merge_config_selectorIN3c108BFloat16ElEEZZNS1_27merge_sort_block_merge_implIS3_PS6_N6thrust23THRUST_200600_302600_NS10device_ptrIlEEmNSB_4lessIS6_EEEE10hipError_tT0_T1_T2_jT3_P12ihipStream_tbPNSt15iterator_traitsISH_E10value_typeEPNSN_ISI_E10value_typeEPSJ_NS1_7vsmem_tEENKUlT_SH_SI_SJ_E_clIS9_S9_PlSD_EESG_SW_SH_SI_SJ_EUlSW_E_NS1_11comp_targetILNS1_3genE10ELNS1_11target_archE1201ELNS1_3gpuE5ELNS1_3repE0EEENS1_48merge_mergepath_partition_config_static_selectorELNS0_4arch9wavefront6targetE1EEEvSI_: ; @_ZN7rocprim17ROCPRIM_400000_NS6detail17trampoline_kernelINS0_14default_configENS1_38merge_sort_block_merge_config_selectorIN3c108BFloat16ElEEZZNS1_27merge_sort_block_merge_implIS3_PS6_N6thrust23THRUST_200600_302600_NS10device_ptrIlEEmNSB_4lessIS6_EEEE10hipError_tT0_T1_T2_jT3_P12ihipStream_tbPNSt15iterator_traitsISH_E10value_typeEPNSN_ISI_E10value_typeEPSJ_NS1_7vsmem_tEENKUlT_SH_SI_SJ_E_clIS9_S9_PlSD_EESG_SW_SH_SI_SJ_EUlSW_E_NS1_11comp_targetILNS1_3genE10ELNS1_11target_archE1201ELNS1_3gpuE5ELNS1_3repE0EEENS1_48merge_mergepath_partition_config_static_selectorELNS0_4arch9wavefront6targetE1EEEvSI_
; %bb.0:
	.section	.rodata,"a",@progbits
	.p2align	6, 0x0
	.amdhsa_kernel _ZN7rocprim17ROCPRIM_400000_NS6detail17trampoline_kernelINS0_14default_configENS1_38merge_sort_block_merge_config_selectorIN3c108BFloat16ElEEZZNS1_27merge_sort_block_merge_implIS3_PS6_N6thrust23THRUST_200600_302600_NS10device_ptrIlEEmNSB_4lessIS6_EEEE10hipError_tT0_T1_T2_jT3_P12ihipStream_tbPNSt15iterator_traitsISH_E10value_typeEPNSN_ISI_E10value_typeEPSJ_NS1_7vsmem_tEENKUlT_SH_SI_SJ_E_clIS9_S9_PlSD_EESG_SW_SH_SI_SJ_EUlSW_E_NS1_11comp_targetILNS1_3genE10ELNS1_11target_archE1201ELNS1_3gpuE5ELNS1_3repE0EEENS1_48merge_mergepath_partition_config_static_selectorELNS0_4arch9wavefront6targetE1EEEvSI_
		.amdhsa_group_segment_fixed_size 0
		.amdhsa_private_segment_fixed_size 0
		.amdhsa_kernarg_size 48
		.amdhsa_user_sgpr_count 6
		.amdhsa_user_sgpr_private_segment_buffer 1
		.amdhsa_user_sgpr_dispatch_ptr 0
		.amdhsa_user_sgpr_queue_ptr 0
		.amdhsa_user_sgpr_kernarg_segment_ptr 1
		.amdhsa_user_sgpr_dispatch_id 0
		.amdhsa_user_sgpr_flat_scratch_init 0
		.amdhsa_user_sgpr_private_segment_size 0
		.amdhsa_uses_dynamic_stack 0
		.amdhsa_system_sgpr_private_segment_wavefront_offset 0
		.amdhsa_system_sgpr_workgroup_id_x 1
		.amdhsa_system_sgpr_workgroup_id_y 0
		.amdhsa_system_sgpr_workgroup_id_z 0
		.amdhsa_system_sgpr_workgroup_info 0
		.amdhsa_system_vgpr_workitem_id 0
		.amdhsa_next_free_vgpr 1
		.amdhsa_next_free_sgpr 0
		.amdhsa_reserve_vcc 0
		.amdhsa_reserve_flat_scratch 0
		.amdhsa_float_round_mode_32 0
		.amdhsa_float_round_mode_16_64 0
		.amdhsa_float_denorm_mode_32 3
		.amdhsa_float_denorm_mode_16_64 3
		.amdhsa_dx10_clamp 1
		.amdhsa_ieee_mode 1
		.amdhsa_fp16_overflow 0
		.amdhsa_exception_fp_ieee_invalid_op 0
		.amdhsa_exception_fp_denorm_src 0
		.amdhsa_exception_fp_ieee_div_zero 0
		.amdhsa_exception_fp_ieee_overflow 0
		.amdhsa_exception_fp_ieee_underflow 0
		.amdhsa_exception_fp_ieee_inexact 0
		.amdhsa_exception_int_div_zero 0
	.end_amdhsa_kernel
	.section	.text._ZN7rocprim17ROCPRIM_400000_NS6detail17trampoline_kernelINS0_14default_configENS1_38merge_sort_block_merge_config_selectorIN3c108BFloat16ElEEZZNS1_27merge_sort_block_merge_implIS3_PS6_N6thrust23THRUST_200600_302600_NS10device_ptrIlEEmNSB_4lessIS6_EEEE10hipError_tT0_T1_T2_jT3_P12ihipStream_tbPNSt15iterator_traitsISH_E10value_typeEPNSN_ISI_E10value_typeEPSJ_NS1_7vsmem_tEENKUlT_SH_SI_SJ_E_clIS9_S9_PlSD_EESG_SW_SH_SI_SJ_EUlSW_E_NS1_11comp_targetILNS1_3genE10ELNS1_11target_archE1201ELNS1_3gpuE5ELNS1_3repE0EEENS1_48merge_mergepath_partition_config_static_selectorELNS0_4arch9wavefront6targetE1EEEvSI_,"axG",@progbits,_ZN7rocprim17ROCPRIM_400000_NS6detail17trampoline_kernelINS0_14default_configENS1_38merge_sort_block_merge_config_selectorIN3c108BFloat16ElEEZZNS1_27merge_sort_block_merge_implIS3_PS6_N6thrust23THRUST_200600_302600_NS10device_ptrIlEEmNSB_4lessIS6_EEEE10hipError_tT0_T1_T2_jT3_P12ihipStream_tbPNSt15iterator_traitsISH_E10value_typeEPNSN_ISI_E10value_typeEPSJ_NS1_7vsmem_tEENKUlT_SH_SI_SJ_E_clIS9_S9_PlSD_EESG_SW_SH_SI_SJ_EUlSW_E_NS1_11comp_targetILNS1_3genE10ELNS1_11target_archE1201ELNS1_3gpuE5ELNS1_3repE0EEENS1_48merge_mergepath_partition_config_static_selectorELNS0_4arch9wavefront6targetE1EEEvSI_,comdat
.Lfunc_end1979:
	.size	_ZN7rocprim17ROCPRIM_400000_NS6detail17trampoline_kernelINS0_14default_configENS1_38merge_sort_block_merge_config_selectorIN3c108BFloat16ElEEZZNS1_27merge_sort_block_merge_implIS3_PS6_N6thrust23THRUST_200600_302600_NS10device_ptrIlEEmNSB_4lessIS6_EEEE10hipError_tT0_T1_T2_jT3_P12ihipStream_tbPNSt15iterator_traitsISH_E10value_typeEPNSN_ISI_E10value_typeEPSJ_NS1_7vsmem_tEENKUlT_SH_SI_SJ_E_clIS9_S9_PlSD_EESG_SW_SH_SI_SJ_EUlSW_E_NS1_11comp_targetILNS1_3genE10ELNS1_11target_archE1201ELNS1_3gpuE5ELNS1_3repE0EEENS1_48merge_mergepath_partition_config_static_selectorELNS0_4arch9wavefront6targetE1EEEvSI_, .Lfunc_end1979-_ZN7rocprim17ROCPRIM_400000_NS6detail17trampoline_kernelINS0_14default_configENS1_38merge_sort_block_merge_config_selectorIN3c108BFloat16ElEEZZNS1_27merge_sort_block_merge_implIS3_PS6_N6thrust23THRUST_200600_302600_NS10device_ptrIlEEmNSB_4lessIS6_EEEE10hipError_tT0_T1_T2_jT3_P12ihipStream_tbPNSt15iterator_traitsISH_E10value_typeEPNSN_ISI_E10value_typeEPSJ_NS1_7vsmem_tEENKUlT_SH_SI_SJ_E_clIS9_S9_PlSD_EESG_SW_SH_SI_SJ_EUlSW_E_NS1_11comp_targetILNS1_3genE10ELNS1_11target_archE1201ELNS1_3gpuE5ELNS1_3repE0EEENS1_48merge_mergepath_partition_config_static_selectorELNS0_4arch9wavefront6targetE1EEEvSI_
                                        ; -- End function
	.set _ZN7rocprim17ROCPRIM_400000_NS6detail17trampoline_kernelINS0_14default_configENS1_38merge_sort_block_merge_config_selectorIN3c108BFloat16ElEEZZNS1_27merge_sort_block_merge_implIS3_PS6_N6thrust23THRUST_200600_302600_NS10device_ptrIlEEmNSB_4lessIS6_EEEE10hipError_tT0_T1_T2_jT3_P12ihipStream_tbPNSt15iterator_traitsISH_E10value_typeEPNSN_ISI_E10value_typeEPSJ_NS1_7vsmem_tEENKUlT_SH_SI_SJ_E_clIS9_S9_PlSD_EESG_SW_SH_SI_SJ_EUlSW_E_NS1_11comp_targetILNS1_3genE10ELNS1_11target_archE1201ELNS1_3gpuE5ELNS1_3repE0EEENS1_48merge_mergepath_partition_config_static_selectorELNS0_4arch9wavefront6targetE1EEEvSI_.num_vgpr, 0
	.set _ZN7rocprim17ROCPRIM_400000_NS6detail17trampoline_kernelINS0_14default_configENS1_38merge_sort_block_merge_config_selectorIN3c108BFloat16ElEEZZNS1_27merge_sort_block_merge_implIS3_PS6_N6thrust23THRUST_200600_302600_NS10device_ptrIlEEmNSB_4lessIS6_EEEE10hipError_tT0_T1_T2_jT3_P12ihipStream_tbPNSt15iterator_traitsISH_E10value_typeEPNSN_ISI_E10value_typeEPSJ_NS1_7vsmem_tEENKUlT_SH_SI_SJ_E_clIS9_S9_PlSD_EESG_SW_SH_SI_SJ_EUlSW_E_NS1_11comp_targetILNS1_3genE10ELNS1_11target_archE1201ELNS1_3gpuE5ELNS1_3repE0EEENS1_48merge_mergepath_partition_config_static_selectorELNS0_4arch9wavefront6targetE1EEEvSI_.num_agpr, 0
	.set _ZN7rocprim17ROCPRIM_400000_NS6detail17trampoline_kernelINS0_14default_configENS1_38merge_sort_block_merge_config_selectorIN3c108BFloat16ElEEZZNS1_27merge_sort_block_merge_implIS3_PS6_N6thrust23THRUST_200600_302600_NS10device_ptrIlEEmNSB_4lessIS6_EEEE10hipError_tT0_T1_T2_jT3_P12ihipStream_tbPNSt15iterator_traitsISH_E10value_typeEPNSN_ISI_E10value_typeEPSJ_NS1_7vsmem_tEENKUlT_SH_SI_SJ_E_clIS9_S9_PlSD_EESG_SW_SH_SI_SJ_EUlSW_E_NS1_11comp_targetILNS1_3genE10ELNS1_11target_archE1201ELNS1_3gpuE5ELNS1_3repE0EEENS1_48merge_mergepath_partition_config_static_selectorELNS0_4arch9wavefront6targetE1EEEvSI_.numbered_sgpr, 0
	.set _ZN7rocprim17ROCPRIM_400000_NS6detail17trampoline_kernelINS0_14default_configENS1_38merge_sort_block_merge_config_selectorIN3c108BFloat16ElEEZZNS1_27merge_sort_block_merge_implIS3_PS6_N6thrust23THRUST_200600_302600_NS10device_ptrIlEEmNSB_4lessIS6_EEEE10hipError_tT0_T1_T2_jT3_P12ihipStream_tbPNSt15iterator_traitsISH_E10value_typeEPNSN_ISI_E10value_typeEPSJ_NS1_7vsmem_tEENKUlT_SH_SI_SJ_E_clIS9_S9_PlSD_EESG_SW_SH_SI_SJ_EUlSW_E_NS1_11comp_targetILNS1_3genE10ELNS1_11target_archE1201ELNS1_3gpuE5ELNS1_3repE0EEENS1_48merge_mergepath_partition_config_static_selectorELNS0_4arch9wavefront6targetE1EEEvSI_.num_named_barrier, 0
	.set _ZN7rocprim17ROCPRIM_400000_NS6detail17trampoline_kernelINS0_14default_configENS1_38merge_sort_block_merge_config_selectorIN3c108BFloat16ElEEZZNS1_27merge_sort_block_merge_implIS3_PS6_N6thrust23THRUST_200600_302600_NS10device_ptrIlEEmNSB_4lessIS6_EEEE10hipError_tT0_T1_T2_jT3_P12ihipStream_tbPNSt15iterator_traitsISH_E10value_typeEPNSN_ISI_E10value_typeEPSJ_NS1_7vsmem_tEENKUlT_SH_SI_SJ_E_clIS9_S9_PlSD_EESG_SW_SH_SI_SJ_EUlSW_E_NS1_11comp_targetILNS1_3genE10ELNS1_11target_archE1201ELNS1_3gpuE5ELNS1_3repE0EEENS1_48merge_mergepath_partition_config_static_selectorELNS0_4arch9wavefront6targetE1EEEvSI_.private_seg_size, 0
	.set _ZN7rocprim17ROCPRIM_400000_NS6detail17trampoline_kernelINS0_14default_configENS1_38merge_sort_block_merge_config_selectorIN3c108BFloat16ElEEZZNS1_27merge_sort_block_merge_implIS3_PS6_N6thrust23THRUST_200600_302600_NS10device_ptrIlEEmNSB_4lessIS6_EEEE10hipError_tT0_T1_T2_jT3_P12ihipStream_tbPNSt15iterator_traitsISH_E10value_typeEPNSN_ISI_E10value_typeEPSJ_NS1_7vsmem_tEENKUlT_SH_SI_SJ_E_clIS9_S9_PlSD_EESG_SW_SH_SI_SJ_EUlSW_E_NS1_11comp_targetILNS1_3genE10ELNS1_11target_archE1201ELNS1_3gpuE5ELNS1_3repE0EEENS1_48merge_mergepath_partition_config_static_selectorELNS0_4arch9wavefront6targetE1EEEvSI_.uses_vcc, 0
	.set _ZN7rocprim17ROCPRIM_400000_NS6detail17trampoline_kernelINS0_14default_configENS1_38merge_sort_block_merge_config_selectorIN3c108BFloat16ElEEZZNS1_27merge_sort_block_merge_implIS3_PS6_N6thrust23THRUST_200600_302600_NS10device_ptrIlEEmNSB_4lessIS6_EEEE10hipError_tT0_T1_T2_jT3_P12ihipStream_tbPNSt15iterator_traitsISH_E10value_typeEPNSN_ISI_E10value_typeEPSJ_NS1_7vsmem_tEENKUlT_SH_SI_SJ_E_clIS9_S9_PlSD_EESG_SW_SH_SI_SJ_EUlSW_E_NS1_11comp_targetILNS1_3genE10ELNS1_11target_archE1201ELNS1_3gpuE5ELNS1_3repE0EEENS1_48merge_mergepath_partition_config_static_selectorELNS0_4arch9wavefront6targetE1EEEvSI_.uses_flat_scratch, 0
	.set _ZN7rocprim17ROCPRIM_400000_NS6detail17trampoline_kernelINS0_14default_configENS1_38merge_sort_block_merge_config_selectorIN3c108BFloat16ElEEZZNS1_27merge_sort_block_merge_implIS3_PS6_N6thrust23THRUST_200600_302600_NS10device_ptrIlEEmNSB_4lessIS6_EEEE10hipError_tT0_T1_T2_jT3_P12ihipStream_tbPNSt15iterator_traitsISH_E10value_typeEPNSN_ISI_E10value_typeEPSJ_NS1_7vsmem_tEENKUlT_SH_SI_SJ_E_clIS9_S9_PlSD_EESG_SW_SH_SI_SJ_EUlSW_E_NS1_11comp_targetILNS1_3genE10ELNS1_11target_archE1201ELNS1_3gpuE5ELNS1_3repE0EEENS1_48merge_mergepath_partition_config_static_selectorELNS0_4arch9wavefront6targetE1EEEvSI_.has_dyn_sized_stack, 0
	.set _ZN7rocprim17ROCPRIM_400000_NS6detail17trampoline_kernelINS0_14default_configENS1_38merge_sort_block_merge_config_selectorIN3c108BFloat16ElEEZZNS1_27merge_sort_block_merge_implIS3_PS6_N6thrust23THRUST_200600_302600_NS10device_ptrIlEEmNSB_4lessIS6_EEEE10hipError_tT0_T1_T2_jT3_P12ihipStream_tbPNSt15iterator_traitsISH_E10value_typeEPNSN_ISI_E10value_typeEPSJ_NS1_7vsmem_tEENKUlT_SH_SI_SJ_E_clIS9_S9_PlSD_EESG_SW_SH_SI_SJ_EUlSW_E_NS1_11comp_targetILNS1_3genE10ELNS1_11target_archE1201ELNS1_3gpuE5ELNS1_3repE0EEENS1_48merge_mergepath_partition_config_static_selectorELNS0_4arch9wavefront6targetE1EEEvSI_.has_recursion, 0
	.set _ZN7rocprim17ROCPRIM_400000_NS6detail17trampoline_kernelINS0_14default_configENS1_38merge_sort_block_merge_config_selectorIN3c108BFloat16ElEEZZNS1_27merge_sort_block_merge_implIS3_PS6_N6thrust23THRUST_200600_302600_NS10device_ptrIlEEmNSB_4lessIS6_EEEE10hipError_tT0_T1_T2_jT3_P12ihipStream_tbPNSt15iterator_traitsISH_E10value_typeEPNSN_ISI_E10value_typeEPSJ_NS1_7vsmem_tEENKUlT_SH_SI_SJ_E_clIS9_S9_PlSD_EESG_SW_SH_SI_SJ_EUlSW_E_NS1_11comp_targetILNS1_3genE10ELNS1_11target_archE1201ELNS1_3gpuE5ELNS1_3repE0EEENS1_48merge_mergepath_partition_config_static_selectorELNS0_4arch9wavefront6targetE1EEEvSI_.has_indirect_call, 0
	.section	.AMDGPU.csdata,"",@progbits
; Kernel info:
; codeLenInByte = 0
; TotalNumSgprs: 4
; NumVgprs: 0
; ScratchSize: 0
; MemoryBound: 0
; FloatMode: 240
; IeeeMode: 1
; LDSByteSize: 0 bytes/workgroup (compile time only)
; SGPRBlocks: 0
; VGPRBlocks: 0
; NumSGPRsForWavesPerEU: 4
; NumVGPRsForWavesPerEU: 1
; Occupancy: 10
; WaveLimiterHint : 0
; COMPUTE_PGM_RSRC2:SCRATCH_EN: 0
; COMPUTE_PGM_RSRC2:USER_SGPR: 6
; COMPUTE_PGM_RSRC2:TRAP_HANDLER: 0
; COMPUTE_PGM_RSRC2:TGID_X_EN: 1
; COMPUTE_PGM_RSRC2:TGID_Y_EN: 0
; COMPUTE_PGM_RSRC2:TGID_Z_EN: 0
; COMPUTE_PGM_RSRC2:TIDIG_COMP_CNT: 0
	.section	.text._ZN7rocprim17ROCPRIM_400000_NS6detail17trampoline_kernelINS0_14default_configENS1_38merge_sort_block_merge_config_selectorIN3c108BFloat16ElEEZZNS1_27merge_sort_block_merge_implIS3_PS6_N6thrust23THRUST_200600_302600_NS10device_ptrIlEEmNSB_4lessIS6_EEEE10hipError_tT0_T1_T2_jT3_P12ihipStream_tbPNSt15iterator_traitsISH_E10value_typeEPNSN_ISI_E10value_typeEPSJ_NS1_7vsmem_tEENKUlT_SH_SI_SJ_E_clIS9_S9_PlSD_EESG_SW_SH_SI_SJ_EUlSW_E_NS1_11comp_targetILNS1_3genE5ELNS1_11target_archE942ELNS1_3gpuE9ELNS1_3repE0EEENS1_48merge_mergepath_partition_config_static_selectorELNS0_4arch9wavefront6targetE1EEEvSI_,"axG",@progbits,_ZN7rocprim17ROCPRIM_400000_NS6detail17trampoline_kernelINS0_14default_configENS1_38merge_sort_block_merge_config_selectorIN3c108BFloat16ElEEZZNS1_27merge_sort_block_merge_implIS3_PS6_N6thrust23THRUST_200600_302600_NS10device_ptrIlEEmNSB_4lessIS6_EEEE10hipError_tT0_T1_T2_jT3_P12ihipStream_tbPNSt15iterator_traitsISH_E10value_typeEPNSN_ISI_E10value_typeEPSJ_NS1_7vsmem_tEENKUlT_SH_SI_SJ_E_clIS9_S9_PlSD_EESG_SW_SH_SI_SJ_EUlSW_E_NS1_11comp_targetILNS1_3genE5ELNS1_11target_archE942ELNS1_3gpuE9ELNS1_3repE0EEENS1_48merge_mergepath_partition_config_static_selectorELNS0_4arch9wavefront6targetE1EEEvSI_,comdat
	.protected	_ZN7rocprim17ROCPRIM_400000_NS6detail17trampoline_kernelINS0_14default_configENS1_38merge_sort_block_merge_config_selectorIN3c108BFloat16ElEEZZNS1_27merge_sort_block_merge_implIS3_PS6_N6thrust23THRUST_200600_302600_NS10device_ptrIlEEmNSB_4lessIS6_EEEE10hipError_tT0_T1_T2_jT3_P12ihipStream_tbPNSt15iterator_traitsISH_E10value_typeEPNSN_ISI_E10value_typeEPSJ_NS1_7vsmem_tEENKUlT_SH_SI_SJ_E_clIS9_S9_PlSD_EESG_SW_SH_SI_SJ_EUlSW_E_NS1_11comp_targetILNS1_3genE5ELNS1_11target_archE942ELNS1_3gpuE9ELNS1_3repE0EEENS1_48merge_mergepath_partition_config_static_selectorELNS0_4arch9wavefront6targetE1EEEvSI_ ; -- Begin function _ZN7rocprim17ROCPRIM_400000_NS6detail17trampoline_kernelINS0_14default_configENS1_38merge_sort_block_merge_config_selectorIN3c108BFloat16ElEEZZNS1_27merge_sort_block_merge_implIS3_PS6_N6thrust23THRUST_200600_302600_NS10device_ptrIlEEmNSB_4lessIS6_EEEE10hipError_tT0_T1_T2_jT3_P12ihipStream_tbPNSt15iterator_traitsISH_E10value_typeEPNSN_ISI_E10value_typeEPSJ_NS1_7vsmem_tEENKUlT_SH_SI_SJ_E_clIS9_S9_PlSD_EESG_SW_SH_SI_SJ_EUlSW_E_NS1_11comp_targetILNS1_3genE5ELNS1_11target_archE942ELNS1_3gpuE9ELNS1_3repE0EEENS1_48merge_mergepath_partition_config_static_selectorELNS0_4arch9wavefront6targetE1EEEvSI_
	.globl	_ZN7rocprim17ROCPRIM_400000_NS6detail17trampoline_kernelINS0_14default_configENS1_38merge_sort_block_merge_config_selectorIN3c108BFloat16ElEEZZNS1_27merge_sort_block_merge_implIS3_PS6_N6thrust23THRUST_200600_302600_NS10device_ptrIlEEmNSB_4lessIS6_EEEE10hipError_tT0_T1_T2_jT3_P12ihipStream_tbPNSt15iterator_traitsISH_E10value_typeEPNSN_ISI_E10value_typeEPSJ_NS1_7vsmem_tEENKUlT_SH_SI_SJ_E_clIS9_S9_PlSD_EESG_SW_SH_SI_SJ_EUlSW_E_NS1_11comp_targetILNS1_3genE5ELNS1_11target_archE942ELNS1_3gpuE9ELNS1_3repE0EEENS1_48merge_mergepath_partition_config_static_selectorELNS0_4arch9wavefront6targetE1EEEvSI_
	.p2align	8
	.type	_ZN7rocprim17ROCPRIM_400000_NS6detail17trampoline_kernelINS0_14default_configENS1_38merge_sort_block_merge_config_selectorIN3c108BFloat16ElEEZZNS1_27merge_sort_block_merge_implIS3_PS6_N6thrust23THRUST_200600_302600_NS10device_ptrIlEEmNSB_4lessIS6_EEEE10hipError_tT0_T1_T2_jT3_P12ihipStream_tbPNSt15iterator_traitsISH_E10value_typeEPNSN_ISI_E10value_typeEPSJ_NS1_7vsmem_tEENKUlT_SH_SI_SJ_E_clIS9_S9_PlSD_EESG_SW_SH_SI_SJ_EUlSW_E_NS1_11comp_targetILNS1_3genE5ELNS1_11target_archE942ELNS1_3gpuE9ELNS1_3repE0EEENS1_48merge_mergepath_partition_config_static_selectorELNS0_4arch9wavefront6targetE1EEEvSI_,@function
_ZN7rocprim17ROCPRIM_400000_NS6detail17trampoline_kernelINS0_14default_configENS1_38merge_sort_block_merge_config_selectorIN3c108BFloat16ElEEZZNS1_27merge_sort_block_merge_implIS3_PS6_N6thrust23THRUST_200600_302600_NS10device_ptrIlEEmNSB_4lessIS6_EEEE10hipError_tT0_T1_T2_jT3_P12ihipStream_tbPNSt15iterator_traitsISH_E10value_typeEPNSN_ISI_E10value_typeEPSJ_NS1_7vsmem_tEENKUlT_SH_SI_SJ_E_clIS9_S9_PlSD_EESG_SW_SH_SI_SJ_EUlSW_E_NS1_11comp_targetILNS1_3genE5ELNS1_11target_archE942ELNS1_3gpuE9ELNS1_3repE0EEENS1_48merge_mergepath_partition_config_static_selectorELNS0_4arch9wavefront6targetE1EEEvSI_: ; @_ZN7rocprim17ROCPRIM_400000_NS6detail17trampoline_kernelINS0_14default_configENS1_38merge_sort_block_merge_config_selectorIN3c108BFloat16ElEEZZNS1_27merge_sort_block_merge_implIS3_PS6_N6thrust23THRUST_200600_302600_NS10device_ptrIlEEmNSB_4lessIS6_EEEE10hipError_tT0_T1_T2_jT3_P12ihipStream_tbPNSt15iterator_traitsISH_E10value_typeEPNSN_ISI_E10value_typeEPSJ_NS1_7vsmem_tEENKUlT_SH_SI_SJ_E_clIS9_S9_PlSD_EESG_SW_SH_SI_SJ_EUlSW_E_NS1_11comp_targetILNS1_3genE5ELNS1_11target_archE942ELNS1_3gpuE9ELNS1_3repE0EEENS1_48merge_mergepath_partition_config_static_selectorELNS0_4arch9wavefront6targetE1EEEvSI_
; %bb.0:
	.section	.rodata,"a",@progbits
	.p2align	6, 0x0
	.amdhsa_kernel _ZN7rocprim17ROCPRIM_400000_NS6detail17trampoline_kernelINS0_14default_configENS1_38merge_sort_block_merge_config_selectorIN3c108BFloat16ElEEZZNS1_27merge_sort_block_merge_implIS3_PS6_N6thrust23THRUST_200600_302600_NS10device_ptrIlEEmNSB_4lessIS6_EEEE10hipError_tT0_T1_T2_jT3_P12ihipStream_tbPNSt15iterator_traitsISH_E10value_typeEPNSN_ISI_E10value_typeEPSJ_NS1_7vsmem_tEENKUlT_SH_SI_SJ_E_clIS9_S9_PlSD_EESG_SW_SH_SI_SJ_EUlSW_E_NS1_11comp_targetILNS1_3genE5ELNS1_11target_archE942ELNS1_3gpuE9ELNS1_3repE0EEENS1_48merge_mergepath_partition_config_static_selectorELNS0_4arch9wavefront6targetE1EEEvSI_
		.amdhsa_group_segment_fixed_size 0
		.amdhsa_private_segment_fixed_size 0
		.amdhsa_kernarg_size 48
		.amdhsa_user_sgpr_count 6
		.amdhsa_user_sgpr_private_segment_buffer 1
		.amdhsa_user_sgpr_dispatch_ptr 0
		.amdhsa_user_sgpr_queue_ptr 0
		.amdhsa_user_sgpr_kernarg_segment_ptr 1
		.amdhsa_user_sgpr_dispatch_id 0
		.amdhsa_user_sgpr_flat_scratch_init 0
		.amdhsa_user_sgpr_private_segment_size 0
		.amdhsa_uses_dynamic_stack 0
		.amdhsa_system_sgpr_private_segment_wavefront_offset 0
		.amdhsa_system_sgpr_workgroup_id_x 1
		.amdhsa_system_sgpr_workgroup_id_y 0
		.amdhsa_system_sgpr_workgroup_id_z 0
		.amdhsa_system_sgpr_workgroup_info 0
		.amdhsa_system_vgpr_workitem_id 0
		.amdhsa_next_free_vgpr 1
		.amdhsa_next_free_sgpr 0
		.amdhsa_reserve_vcc 0
		.amdhsa_reserve_flat_scratch 0
		.amdhsa_float_round_mode_32 0
		.amdhsa_float_round_mode_16_64 0
		.amdhsa_float_denorm_mode_32 3
		.amdhsa_float_denorm_mode_16_64 3
		.amdhsa_dx10_clamp 1
		.amdhsa_ieee_mode 1
		.amdhsa_fp16_overflow 0
		.amdhsa_exception_fp_ieee_invalid_op 0
		.amdhsa_exception_fp_denorm_src 0
		.amdhsa_exception_fp_ieee_div_zero 0
		.amdhsa_exception_fp_ieee_overflow 0
		.amdhsa_exception_fp_ieee_underflow 0
		.amdhsa_exception_fp_ieee_inexact 0
		.amdhsa_exception_int_div_zero 0
	.end_amdhsa_kernel
	.section	.text._ZN7rocprim17ROCPRIM_400000_NS6detail17trampoline_kernelINS0_14default_configENS1_38merge_sort_block_merge_config_selectorIN3c108BFloat16ElEEZZNS1_27merge_sort_block_merge_implIS3_PS6_N6thrust23THRUST_200600_302600_NS10device_ptrIlEEmNSB_4lessIS6_EEEE10hipError_tT0_T1_T2_jT3_P12ihipStream_tbPNSt15iterator_traitsISH_E10value_typeEPNSN_ISI_E10value_typeEPSJ_NS1_7vsmem_tEENKUlT_SH_SI_SJ_E_clIS9_S9_PlSD_EESG_SW_SH_SI_SJ_EUlSW_E_NS1_11comp_targetILNS1_3genE5ELNS1_11target_archE942ELNS1_3gpuE9ELNS1_3repE0EEENS1_48merge_mergepath_partition_config_static_selectorELNS0_4arch9wavefront6targetE1EEEvSI_,"axG",@progbits,_ZN7rocprim17ROCPRIM_400000_NS6detail17trampoline_kernelINS0_14default_configENS1_38merge_sort_block_merge_config_selectorIN3c108BFloat16ElEEZZNS1_27merge_sort_block_merge_implIS3_PS6_N6thrust23THRUST_200600_302600_NS10device_ptrIlEEmNSB_4lessIS6_EEEE10hipError_tT0_T1_T2_jT3_P12ihipStream_tbPNSt15iterator_traitsISH_E10value_typeEPNSN_ISI_E10value_typeEPSJ_NS1_7vsmem_tEENKUlT_SH_SI_SJ_E_clIS9_S9_PlSD_EESG_SW_SH_SI_SJ_EUlSW_E_NS1_11comp_targetILNS1_3genE5ELNS1_11target_archE942ELNS1_3gpuE9ELNS1_3repE0EEENS1_48merge_mergepath_partition_config_static_selectorELNS0_4arch9wavefront6targetE1EEEvSI_,comdat
.Lfunc_end1980:
	.size	_ZN7rocprim17ROCPRIM_400000_NS6detail17trampoline_kernelINS0_14default_configENS1_38merge_sort_block_merge_config_selectorIN3c108BFloat16ElEEZZNS1_27merge_sort_block_merge_implIS3_PS6_N6thrust23THRUST_200600_302600_NS10device_ptrIlEEmNSB_4lessIS6_EEEE10hipError_tT0_T1_T2_jT3_P12ihipStream_tbPNSt15iterator_traitsISH_E10value_typeEPNSN_ISI_E10value_typeEPSJ_NS1_7vsmem_tEENKUlT_SH_SI_SJ_E_clIS9_S9_PlSD_EESG_SW_SH_SI_SJ_EUlSW_E_NS1_11comp_targetILNS1_3genE5ELNS1_11target_archE942ELNS1_3gpuE9ELNS1_3repE0EEENS1_48merge_mergepath_partition_config_static_selectorELNS0_4arch9wavefront6targetE1EEEvSI_, .Lfunc_end1980-_ZN7rocprim17ROCPRIM_400000_NS6detail17trampoline_kernelINS0_14default_configENS1_38merge_sort_block_merge_config_selectorIN3c108BFloat16ElEEZZNS1_27merge_sort_block_merge_implIS3_PS6_N6thrust23THRUST_200600_302600_NS10device_ptrIlEEmNSB_4lessIS6_EEEE10hipError_tT0_T1_T2_jT3_P12ihipStream_tbPNSt15iterator_traitsISH_E10value_typeEPNSN_ISI_E10value_typeEPSJ_NS1_7vsmem_tEENKUlT_SH_SI_SJ_E_clIS9_S9_PlSD_EESG_SW_SH_SI_SJ_EUlSW_E_NS1_11comp_targetILNS1_3genE5ELNS1_11target_archE942ELNS1_3gpuE9ELNS1_3repE0EEENS1_48merge_mergepath_partition_config_static_selectorELNS0_4arch9wavefront6targetE1EEEvSI_
                                        ; -- End function
	.set _ZN7rocprim17ROCPRIM_400000_NS6detail17trampoline_kernelINS0_14default_configENS1_38merge_sort_block_merge_config_selectorIN3c108BFloat16ElEEZZNS1_27merge_sort_block_merge_implIS3_PS6_N6thrust23THRUST_200600_302600_NS10device_ptrIlEEmNSB_4lessIS6_EEEE10hipError_tT0_T1_T2_jT3_P12ihipStream_tbPNSt15iterator_traitsISH_E10value_typeEPNSN_ISI_E10value_typeEPSJ_NS1_7vsmem_tEENKUlT_SH_SI_SJ_E_clIS9_S9_PlSD_EESG_SW_SH_SI_SJ_EUlSW_E_NS1_11comp_targetILNS1_3genE5ELNS1_11target_archE942ELNS1_3gpuE9ELNS1_3repE0EEENS1_48merge_mergepath_partition_config_static_selectorELNS0_4arch9wavefront6targetE1EEEvSI_.num_vgpr, 0
	.set _ZN7rocprim17ROCPRIM_400000_NS6detail17trampoline_kernelINS0_14default_configENS1_38merge_sort_block_merge_config_selectorIN3c108BFloat16ElEEZZNS1_27merge_sort_block_merge_implIS3_PS6_N6thrust23THRUST_200600_302600_NS10device_ptrIlEEmNSB_4lessIS6_EEEE10hipError_tT0_T1_T2_jT3_P12ihipStream_tbPNSt15iterator_traitsISH_E10value_typeEPNSN_ISI_E10value_typeEPSJ_NS1_7vsmem_tEENKUlT_SH_SI_SJ_E_clIS9_S9_PlSD_EESG_SW_SH_SI_SJ_EUlSW_E_NS1_11comp_targetILNS1_3genE5ELNS1_11target_archE942ELNS1_3gpuE9ELNS1_3repE0EEENS1_48merge_mergepath_partition_config_static_selectorELNS0_4arch9wavefront6targetE1EEEvSI_.num_agpr, 0
	.set _ZN7rocprim17ROCPRIM_400000_NS6detail17trampoline_kernelINS0_14default_configENS1_38merge_sort_block_merge_config_selectorIN3c108BFloat16ElEEZZNS1_27merge_sort_block_merge_implIS3_PS6_N6thrust23THRUST_200600_302600_NS10device_ptrIlEEmNSB_4lessIS6_EEEE10hipError_tT0_T1_T2_jT3_P12ihipStream_tbPNSt15iterator_traitsISH_E10value_typeEPNSN_ISI_E10value_typeEPSJ_NS1_7vsmem_tEENKUlT_SH_SI_SJ_E_clIS9_S9_PlSD_EESG_SW_SH_SI_SJ_EUlSW_E_NS1_11comp_targetILNS1_3genE5ELNS1_11target_archE942ELNS1_3gpuE9ELNS1_3repE0EEENS1_48merge_mergepath_partition_config_static_selectorELNS0_4arch9wavefront6targetE1EEEvSI_.numbered_sgpr, 0
	.set _ZN7rocprim17ROCPRIM_400000_NS6detail17trampoline_kernelINS0_14default_configENS1_38merge_sort_block_merge_config_selectorIN3c108BFloat16ElEEZZNS1_27merge_sort_block_merge_implIS3_PS6_N6thrust23THRUST_200600_302600_NS10device_ptrIlEEmNSB_4lessIS6_EEEE10hipError_tT0_T1_T2_jT3_P12ihipStream_tbPNSt15iterator_traitsISH_E10value_typeEPNSN_ISI_E10value_typeEPSJ_NS1_7vsmem_tEENKUlT_SH_SI_SJ_E_clIS9_S9_PlSD_EESG_SW_SH_SI_SJ_EUlSW_E_NS1_11comp_targetILNS1_3genE5ELNS1_11target_archE942ELNS1_3gpuE9ELNS1_3repE0EEENS1_48merge_mergepath_partition_config_static_selectorELNS0_4arch9wavefront6targetE1EEEvSI_.num_named_barrier, 0
	.set _ZN7rocprim17ROCPRIM_400000_NS6detail17trampoline_kernelINS0_14default_configENS1_38merge_sort_block_merge_config_selectorIN3c108BFloat16ElEEZZNS1_27merge_sort_block_merge_implIS3_PS6_N6thrust23THRUST_200600_302600_NS10device_ptrIlEEmNSB_4lessIS6_EEEE10hipError_tT0_T1_T2_jT3_P12ihipStream_tbPNSt15iterator_traitsISH_E10value_typeEPNSN_ISI_E10value_typeEPSJ_NS1_7vsmem_tEENKUlT_SH_SI_SJ_E_clIS9_S9_PlSD_EESG_SW_SH_SI_SJ_EUlSW_E_NS1_11comp_targetILNS1_3genE5ELNS1_11target_archE942ELNS1_3gpuE9ELNS1_3repE0EEENS1_48merge_mergepath_partition_config_static_selectorELNS0_4arch9wavefront6targetE1EEEvSI_.private_seg_size, 0
	.set _ZN7rocprim17ROCPRIM_400000_NS6detail17trampoline_kernelINS0_14default_configENS1_38merge_sort_block_merge_config_selectorIN3c108BFloat16ElEEZZNS1_27merge_sort_block_merge_implIS3_PS6_N6thrust23THRUST_200600_302600_NS10device_ptrIlEEmNSB_4lessIS6_EEEE10hipError_tT0_T1_T2_jT3_P12ihipStream_tbPNSt15iterator_traitsISH_E10value_typeEPNSN_ISI_E10value_typeEPSJ_NS1_7vsmem_tEENKUlT_SH_SI_SJ_E_clIS9_S9_PlSD_EESG_SW_SH_SI_SJ_EUlSW_E_NS1_11comp_targetILNS1_3genE5ELNS1_11target_archE942ELNS1_3gpuE9ELNS1_3repE0EEENS1_48merge_mergepath_partition_config_static_selectorELNS0_4arch9wavefront6targetE1EEEvSI_.uses_vcc, 0
	.set _ZN7rocprim17ROCPRIM_400000_NS6detail17trampoline_kernelINS0_14default_configENS1_38merge_sort_block_merge_config_selectorIN3c108BFloat16ElEEZZNS1_27merge_sort_block_merge_implIS3_PS6_N6thrust23THRUST_200600_302600_NS10device_ptrIlEEmNSB_4lessIS6_EEEE10hipError_tT0_T1_T2_jT3_P12ihipStream_tbPNSt15iterator_traitsISH_E10value_typeEPNSN_ISI_E10value_typeEPSJ_NS1_7vsmem_tEENKUlT_SH_SI_SJ_E_clIS9_S9_PlSD_EESG_SW_SH_SI_SJ_EUlSW_E_NS1_11comp_targetILNS1_3genE5ELNS1_11target_archE942ELNS1_3gpuE9ELNS1_3repE0EEENS1_48merge_mergepath_partition_config_static_selectorELNS0_4arch9wavefront6targetE1EEEvSI_.uses_flat_scratch, 0
	.set _ZN7rocprim17ROCPRIM_400000_NS6detail17trampoline_kernelINS0_14default_configENS1_38merge_sort_block_merge_config_selectorIN3c108BFloat16ElEEZZNS1_27merge_sort_block_merge_implIS3_PS6_N6thrust23THRUST_200600_302600_NS10device_ptrIlEEmNSB_4lessIS6_EEEE10hipError_tT0_T1_T2_jT3_P12ihipStream_tbPNSt15iterator_traitsISH_E10value_typeEPNSN_ISI_E10value_typeEPSJ_NS1_7vsmem_tEENKUlT_SH_SI_SJ_E_clIS9_S9_PlSD_EESG_SW_SH_SI_SJ_EUlSW_E_NS1_11comp_targetILNS1_3genE5ELNS1_11target_archE942ELNS1_3gpuE9ELNS1_3repE0EEENS1_48merge_mergepath_partition_config_static_selectorELNS0_4arch9wavefront6targetE1EEEvSI_.has_dyn_sized_stack, 0
	.set _ZN7rocprim17ROCPRIM_400000_NS6detail17trampoline_kernelINS0_14default_configENS1_38merge_sort_block_merge_config_selectorIN3c108BFloat16ElEEZZNS1_27merge_sort_block_merge_implIS3_PS6_N6thrust23THRUST_200600_302600_NS10device_ptrIlEEmNSB_4lessIS6_EEEE10hipError_tT0_T1_T2_jT3_P12ihipStream_tbPNSt15iterator_traitsISH_E10value_typeEPNSN_ISI_E10value_typeEPSJ_NS1_7vsmem_tEENKUlT_SH_SI_SJ_E_clIS9_S9_PlSD_EESG_SW_SH_SI_SJ_EUlSW_E_NS1_11comp_targetILNS1_3genE5ELNS1_11target_archE942ELNS1_3gpuE9ELNS1_3repE0EEENS1_48merge_mergepath_partition_config_static_selectorELNS0_4arch9wavefront6targetE1EEEvSI_.has_recursion, 0
	.set _ZN7rocprim17ROCPRIM_400000_NS6detail17trampoline_kernelINS0_14default_configENS1_38merge_sort_block_merge_config_selectorIN3c108BFloat16ElEEZZNS1_27merge_sort_block_merge_implIS3_PS6_N6thrust23THRUST_200600_302600_NS10device_ptrIlEEmNSB_4lessIS6_EEEE10hipError_tT0_T1_T2_jT3_P12ihipStream_tbPNSt15iterator_traitsISH_E10value_typeEPNSN_ISI_E10value_typeEPSJ_NS1_7vsmem_tEENKUlT_SH_SI_SJ_E_clIS9_S9_PlSD_EESG_SW_SH_SI_SJ_EUlSW_E_NS1_11comp_targetILNS1_3genE5ELNS1_11target_archE942ELNS1_3gpuE9ELNS1_3repE0EEENS1_48merge_mergepath_partition_config_static_selectorELNS0_4arch9wavefront6targetE1EEEvSI_.has_indirect_call, 0
	.section	.AMDGPU.csdata,"",@progbits
; Kernel info:
; codeLenInByte = 0
; TotalNumSgprs: 4
; NumVgprs: 0
; ScratchSize: 0
; MemoryBound: 0
; FloatMode: 240
; IeeeMode: 1
; LDSByteSize: 0 bytes/workgroup (compile time only)
; SGPRBlocks: 0
; VGPRBlocks: 0
; NumSGPRsForWavesPerEU: 4
; NumVGPRsForWavesPerEU: 1
; Occupancy: 10
; WaveLimiterHint : 0
; COMPUTE_PGM_RSRC2:SCRATCH_EN: 0
; COMPUTE_PGM_RSRC2:USER_SGPR: 6
; COMPUTE_PGM_RSRC2:TRAP_HANDLER: 0
; COMPUTE_PGM_RSRC2:TGID_X_EN: 1
; COMPUTE_PGM_RSRC2:TGID_Y_EN: 0
; COMPUTE_PGM_RSRC2:TGID_Z_EN: 0
; COMPUTE_PGM_RSRC2:TIDIG_COMP_CNT: 0
	.section	.text._ZN7rocprim17ROCPRIM_400000_NS6detail17trampoline_kernelINS0_14default_configENS1_38merge_sort_block_merge_config_selectorIN3c108BFloat16ElEEZZNS1_27merge_sort_block_merge_implIS3_PS6_N6thrust23THRUST_200600_302600_NS10device_ptrIlEEmNSB_4lessIS6_EEEE10hipError_tT0_T1_T2_jT3_P12ihipStream_tbPNSt15iterator_traitsISH_E10value_typeEPNSN_ISI_E10value_typeEPSJ_NS1_7vsmem_tEENKUlT_SH_SI_SJ_E_clIS9_S9_PlSD_EESG_SW_SH_SI_SJ_EUlSW_E_NS1_11comp_targetILNS1_3genE4ELNS1_11target_archE910ELNS1_3gpuE8ELNS1_3repE0EEENS1_48merge_mergepath_partition_config_static_selectorELNS0_4arch9wavefront6targetE1EEEvSI_,"axG",@progbits,_ZN7rocprim17ROCPRIM_400000_NS6detail17trampoline_kernelINS0_14default_configENS1_38merge_sort_block_merge_config_selectorIN3c108BFloat16ElEEZZNS1_27merge_sort_block_merge_implIS3_PS6_N6thrust23THRUST_200600_302600_NS10device_ptrIlEEmNSB_4lessIS6_EEEE10hipError_tT0_T1_T2_jT3_P12ihipStream_tbPNSt15iterator_traitsISH_E10value_typeEPNSN_ISI_E10value_typeEPSJ_NS1_7vsmem_tEENKUlT_SH_SI_SJ_E_clIS9_S9_PlSD_EESG_SW_SH_SI_SJ_EUlSW_E_NS1_11comp_targetILNS1_3genE4ELNS1_11target_archE910ELNS1_3gpuE8ELNS1_3repE0EEENS1_48merge_mergepath_partition_config_static_selectorELNS0_4arch9wavefront6targetE1EEEvSI_,comdat
	.protected	_ZN7rocprim17ROCPRIM_400000_NS6detail17trampoline_kernelINS0_14default_configENS1_38merge_sort_block_merge_config_selectorIN3c108BFloat16ElEEZZNS1_27merge_sort_block_merge_implIS3_PS6_N6thrust23THRUST_200600_302600_NS10device_ptrIlEEmNSB_4lessIS6_EEEE10hipError_tT0_T1_T2_jT3_P12ihipStream_tbPNSt15iterator_traitsISH_E10value_typeEPNSN_ISI_E10value_typeEPSJ_NS1_7vsmem_tEENKUlT_SH_SI_SJ_E_clIS9_S9_PlSD_EESG_SW_SH_SI_SJ_EUlSW_E_NS1_11comp_targetILNS1_3genE4ELNS1_11target_archE910ELNS1_3gpuE8ELNS1_3repE0EEENS1_48merge_mergepath_partition_config_static_selectorELNS0_4arch9wavefront6targetE1EEEvSI_ ; -- Begin function _ZN7rocprim17ROCPRIM_400000_NS6detail17trampoline_kernelINS0_14default_configENS1_38merge_sort_block_merge_config_selectorIN3c108BFloat16ElEEZZNS1_27merge_sort_block_merge_implIS3_PS6_N6thrust23THRUST_200600_302600_NS10device_ptrIlEEmNSB_4lessIS6_EEEE10hipError_tT0_T1_T2_jT3_P12ihipStream_tbPNSt15iterator_traitsISH_E10value_typeEPNSN_ISI_E10value_typeEPSJ_NS1_7vsmem_tEENKUlT_SH_SI_SJ_E_clIS9_S9_PlSD_EESG_SW_SH_SI_SJ_EUlSW_E_NS1_11comp_targetILNS1_3genE4ELNS1_11target_archE910ELNS1_3gpuE8ELNS1_3repE0EEENS1_48merge_mergepath_partition_config_static_selectorELNS0_4arch9wavefront6targetE1EEEvSI_
	.globl	_ZN7rocprim17ROCPRIM_400000_NS6detail17trampoline_kernelINS0_14default_configENS1_38merge_sort_block_merge_config_selectorIN3c108BFloat16ElEEZZNS1_27merge_sort_block_merge_implIS3_PS6_N6thrust23THRUST_200600_302600_NS10device_ptrIlEEmNSB_4lessIS6_EEEE10hipError_tT0_T1_T2_jT3_P12ihipStream_tbPNSt15iterator_traitsISH_E10value_typeEPNSN_ISI_E10value_typeEPSJ_NS1_7vsmem_tEENKUlT_SH_SI_SJ_E_clIS9_S9_PlSD_EESG_SW_SH_SI_SJ_EUlSW_E_NS1_11comp_targetILNS1_3genE4ELNS1_11target_archE910ELNS1_3gpuE8ELNS1_3repE0EEENS1_48merge_mergepath_partition_config_static_selectorELNS0_4arch9wavefront6targetE1EEEvSI_
	.p2align	8
	.type	_ZN7rocprim17ROCPRIM_400000_NS6detail17trampoline_kernelINS0_14default_configENS1_38merge_sort_block_merge_config_selectorIN3c108BFloat16ElEEZZNS1_27merge_sort_block_merge_implIS3_PS6_N6thrust23THRUST_200600_302600_NS10device_ptrIlEEmNSB_4lessIS6_EEEE10hipError_tT0_T1_T2_jT3_P12ihipStream_tbPNSt15iterator_traitsISH_E10value_typeEPNSN_ISI_E10value_typeEPSJ_NS1_7vsmem_tEENKUlT_SH_SI_SJ_E_clIS9_S9_PlSD_EESG_SW_SH_SI_SJ_EUlSW_E_NS1_11comp_targetILNS1_3genE4ELNS1_11target_archE910ELNS1_3gpuE8ELNS1_3repE0EEENS1_48merge_mergepath_partition_config_static_selectorELNS0_4arch9wavefront6targetE1EEEvSI_,@function
_ZN7rocprim17ROCPRIM_400000_NS6detail17trampoline_kernelINS0_14default_configENS1_38merge_sort_block_merge_config_selectorIN3c108BFloat16ElEEZZNS1_27merge_sort_block_merge_implIS3_PS6_N6thrust23THRUST_200600_302600_NS10device_ptrIlEEmNSB_4lessIS6_EEEE10hipError_tT0_T1_T2_jT3_P12ihipStream_tbPNSt15iterator_traitsISH_E10value_typeEPNSN_ISI_E10value_typeEPSJ_NS1_7vsmem_tEENKUlT_SH_SI_SJ_E_clIS9_S9_PlSD_EESG_SW_SH_SI_SJ_EUlSW_E_NS1_11comp_targetILNS1_3genE4ELNS1_11target_archE910ELNS1_3gpuE8ELNS1_3repE0EEENS1_48merge_mergepath_partition_config_static_selectorELNS0_4arch9wavefront6targetE1EEEvSI_: ; @_ZN7rocprim17ROCPRIM_400000_NS6detail17trampoline_kernelINS0_14default_configENS1_38merge_sort_block_merge_config_selectorIN3c108BFloat16ElEEZZNS1_27merge_sort_block_merge_implIS3_PS6_N6thrust23THRUST_200600_302600_NS10device_ptrIlEEmNSB_4lessIS6_EEEE10hipError_tT0_T1_T2_jT3_P12ihipStream_tbPNSt15iterator_traitsISH_E10value_typeEPNSN_ISI_E10value_typeEPSJ_NS1_7vsmem_tEENKUlT_SH_SI_SJ_E_clIS9_S9_PlSD_EESG_SW_SH_SI_SJ_EUlSW_E_NS1_11comp_targetILNS1_3genE4ELNS1_11target_archE910ELNS1_3gpuE8ELNS1_3repE0EEENS1_48merge_mergepath_partition_config_static_selectorELNS0_4arch9wavefront6targetE1EEEvSI_
; %bb.0:
	.section	.rodata,"a",@progbits
	.p2align	6, 0x0
	.amdhsa_kernel _ZN7rocprim17ROCPRIM_400000_NS6detail17trampoline_kernelINS0_14default_configENS1_38merge_sort_block_merge_config_selectorIN3c108BFloat16ElEEZZNS1_27merge_sort_block_merge_implIS3_PS6_N6thrust23THRUST_200600_302600_NS10device_ptrIlEEmNSB_4lessIS6_EEEE10hipError_tT0_T1_T2_jT3_P12ihipStream_tbPNSt15iterator_traitsISH_E10value_typeEPNSN_ISI_E10value_typeEPSJ_NS1_7vsmem_tEENKUlT_SH_SI_SJ_E_clIS9_S9_PlSD_EESG_SW_SH_SI_SJ_EUlSW_E_NS1_11comp_targetILNS1_3genE4ELNS1_11target_archE910ELNS1_3gpuE8ELNS1_3repE0EEENS1_48merge_mergepath_partition_config_static_selectorELNS0_4arch9wavefront6targetE1EEEvSI_
		.amdhsa_group_segment_fixed_size 0
		.amdhsa_private_segment_fixed_size 0
		.amdhsa_kernarg_size 48
		.amdhsa_user_sgpr_count 6
		.amdhsa_user_sgpr_private_segment_buffer 1
		.amdhsa_user_sgpr_dispatch_ptr 0
		.amdhsa_user_sgpr_queue_ptr 0
		.amdhsa_user_sgpr_kernarg_segment_ptr 1
		.amdhsa_user_sgpr_dispatch_id 0
		.amdhsa_user_sgpr_flat_scratch_init 0
		.amdhsa_user_sgpr_private_segment_size 0
		.amdhsa_uses_dynamic_stack 0
		.amdhsa_system_sgpr_private_segment_wavefront_offset 0
		.amdhsa_system_sgpr_workgroup_id_x 1
		.amdhsa_system_sgpr_workgroup_id_y 0
		.amdhsa_system_sgpr_workgroup_id_z 0
		.amdhsa_system_sgpr_workgroup_info 0
		.amdhsa_system_vgpr_workitem_id 0
		.amdhsa_next_free_vgpr 1
		.amdhsa_next_free_sgpr 0
		.amdhsa_reserve_vcc 0
		.amdhsa_reserve_flat_scratch 0
		.amdhsa_float_round_mode_32 0
		.amdhsa_float_round_mode_16_64 0
		.amdhsa_float_denorm_mode_32 3
		.amdhsa_float_denorm_mode_16_64 3
		.amdhsa_dx10_clamp 1
		.amdhsa_ieee_mode 1
		.amdhsa_fp16_overflow 0
		.amdhsa_exception_fp_ieee_invalid_op 0
		.amdhsa_exception_fp_denorm_src 0
		.amdhsa_exception_fp_ieee_div_zero 0
		.amdhsa_exception_fp_ieee_overflow 0
		.amdhsa_exception_fp_ieee_underflow 0
		.amdhsa_exception_fp_ieee_inexact 0
		.amdhsa_exception_int_div_zero 0
	.end_amdhsa_kernel
	.section	.text._ZN7rocprim17ROCPRIM_400000_NS6detail17trampoline_kernelINS0_14default_configENS1_38merge_sort_block_merge_config_selectorIN3c108BFloat16ElEEZZNS1_27merge_sort_block_merge_implIS3_PS6_N6thrust23THRUST_200600_302600_NS10device_ptrIlEEmNSB_4lessIS6_EEEE10hipError_tT0_T1_T2_jT3_P12ihipStream_tbPNSt15iterator_traitsISH_E10value_typeEPNSN_ISI_E10value_typeEPSJ_NS1_7vsmem_tEENKUlT_SH_SI_SJ_E_clIS9_S9_PlSD_EESG_SW_SH_SI_SJ_EUlSW_E_NS1_11comp_targetILNS1_3genE4ELNS1_11target_archE910ELNS1_3gpuE8ELNS1_3repE0EEENS1_48merge_mergepath_partition_config_static_selectorELNS0_4arch9wavefront6targetE1EEEvSI_,"axG",@progbits,_ZN7rocprim17ROCPRIM_400000_NS6detail17trampoline_kernelINS0_14default_configENS1_38merge_sort_block_merge_config_selectorIN3c108BFloat16ElEEZZNS1_27merge_sort_block_merge_implIS3_PS6_N6thrust23THRUST_200600_302600_NS10device_ptrIlEEmNSB_4lessIS6_EEEE10hipError_tT0_T1_T2_jT3_P12ihipStream_tbPNSt15iterator_traitsISH_E10value_typeEPNSN_ISI_E10value_typeEPSJ_NS1_7vsmem_tEENKUlT_SH_SI_SJ_E_clIS9_S9_PlSD_EESG_SW_SH_SI_SJ_EUlSW_E_NS1_11comp_targetILNS1_3genE4ELNS1_11target_archE910ELNS1_3gpuE8ELNS1_3repE0EEENS1_48merge_mergepath_partition_config_static_selectorELNS0_4arch9wavefront6targetE1EEEvSI_,comdat
.Lfunc_end1981:
	.size	_ZN7rocprim17ROCPRIM_400000_NS6detail17trampoline_kernelINS0_14default_configENS1_38merge_sort_block_merge_config_selectorIN3c108BFloat16ElEEZZNS1_27merge_sort_block_merge_implIS3_PS6_N6thrust23THRUST_200600_302600_NS10device_ptrIlEEmNSB_4lessIS6_EEEE10hipError_tT0_T1_T2_jT3_P12ihipStream_tbPNSt15iterator_traitsISH_E10value_typeEPNSN_ISI_E10value_typeEPSJ_NS1_7vsmem_tEENKUlT_SH_SI_SJ_E_clIS9_S9_PlSD_EESG_SW_SH_SI_SJ_EUlSW_E_NS1_11comp_targetILNS1_3genE4ELNS1_11target_archE910ELNS1_3gpuE8ELNS1_3repE0EEENS1_48merge_mergepath_partition_config_static_selectorELNS0_4arch9wavefront6targetE1EEEvSI_, .Lfunc_end1981-_ZN7rocprim17ROCPRIM_400000_NS6detail17trampoline_kernelINS0_14default_configENS1_38merge_sort_block_merge_config_selectorIN3c108BFloat16ElEEZZNS1_27merge_sort_block_merge_implIS3_PS6_N6thrust23THRUST_200600_302600_NS10device_ptrIlEEmNSB_4lessIS6_EEEE10hipError_tT0_T1_T2_jT3_P12ihipStream_tbPNSt15iterator_traitsISH_E10value_typeEPNSN_ISI_E10value_typeEPSJ_NS1_7vsmem_tEENKUlT_SH_SI_SJ_E_clIS9_S9_PlSD_EESG_SW_SH_SI_SJ_EUlSW_E_NS1_11comp_targetILNS1_3genE4ELNS1_11target_archE910ELNS1_3gpuE8ELNS1_3repE0EEENS1_48merge_mergepath_partition_config_static_selectorELNS0_4arch9wavefront6targetE1EEEvSI_
                                        ; -- End function
	.set _ZN7rocprim17ROCPRIM_400000_NS6detail17trampoline_kernelINS0_14default_configENS1_38merge_sort_block_merge_config_selectorIN3c108BFloat16ElEEZZNS1_27merge_sort_block_merge_implIS3_PS6_N6thrust23THRUST_200600_302600_NS10device_ptrIlEEmNSB_4lessIS6_EEEE10hipError_tT0_T1_T2_jT3_P12ihipStream_tbPNSt15iterator_traitsISH_E10value_typeEPNSN_ISI_E10value_typeEPSJ_NS1_7vsmem_tEENKUlT_SH_SI_SJ_E_clIS9_S9_PlSD_EESG_SW_SH_SI_SJ_EUlSW_E_NS1_11comp_targetILNS1_3genE4ELNS1_11target_archE910ELNS1_3gpuE8ELNS1_3repE0EEENS1_48merge_mergepath_partition_config_static_selectorELNS0_4arch9wavefront6targetE1EEEvSI_.num_vgpr, 0
	.set _ZN7rocprim17ROCPRIM_400000_NS6detail17trampoline_kernelINS0_14default_configENS1_38merge_sort_block_merge_config_selectorIN3c108BFloat16ElEEZZNS1_27merge_sort_block_merge_implIS3_PS6_N6thrust23THRUST_200600_302600_NS10device_ptrIlEEmNSB_4lessIS6_EEEE10hipError_tT0_T1_T2_jT3_P12ihipStream_tbPNSt15iterator_traitsISH_E10value_typeEPNSN_ISI_E10value_typeEPSJ_NS1_7vsmem_tEENKUlT_SH_SI_SJ_E_clIS9_S9_PlSD_EESG_SW_SH_SI_SJ_EUlSW_E_NS1_11comp_targetILNS1_3genE4ELNS1_11target_archE910ELNS1_3gpuE8ELNS1_3repE0EEENS1_48merge_mergepath_partition_config_static_selectorELNS0_4arch9wavefront6targetE1EEEvSI_.num_agpr, 0
	.set _ZN7rocprim17ROCPRIM_400000_NS6detail17trampoline_kernelINS0_14default_configENS1_38merge_sort_block_merge_config_selectorIN3c108BFloat16ElEEZZNS1_27merge_sort_block_merge_implIS3_PS6_N6thrust23THRUST_200600_302600_NS10device_ptrIlEEmNSB_4lessIS6_EEEE10hipError_tT0_T1_T2_jT3_P12ihipStream_tbPNSt15iterator_traitsISH_E10value_typeEPNSN_ISI_E10value_typeEPSJ_NS1_7vsmem_tEENKUlT_SH_SI_SJ_E_clIS9_S9_PlSD_EESG_SW_SH_SI_SJ_EUlSW_E_NS1_11comp_targetILNS1_3genE4ELNS1_11target_archE910ELNS1_3gpuE8ELNS1_3repE0EEENS1_48merge_mergepath_partition_config_static_selectorELNS0_4arch9wavefront6targetE1EEEvSI_.numbered_sgpr, 0
	.set _ZN7rocprim17ROCPRIM_400000_NS6detail17trampoline_kernelINS0_14default_configENS1_38merge_sort_block_merge_config_selectorIN3c108BFloat16ElEEZZNS1_27merge_sort_block_merge_implIS3_PS6_N6thrust23THRUST_200600_302600_NS10device_ptrIlEEmNSB_4lessIS6_EEEE10hipError_tT0_T1_T2_jT3_P12ihipStream_tbPNSt15iterator_traitsISH_E10value_typeEPNSN_ISI_E10value_typeEPSJ_NS1_7vsmem_tEENKUlT_SH_SI_SJ_E_clIS9_S9_PlSD_EESG_SW_SH_SI_SJ_EUlSW_E_NS1_11comp_targetILNS1_3genE4ELNS1_11target_archE910ELNS1_3gpuE8ELNS1_3repE0EEENS1_48merge_mergepath_partition_config_static_selectorELNS0_4arch9wavefront6targetE1EEEvSI_.num_named_barrier, 0
	.set _ZN7rocprim17ROCPRIM_400000_NS6detail17trampoline_kernelINS0_14default_configENS1_38merge_sort_block_merge_config_selectorIN3c108BFloat16ElEEZZNS1_27merge_sort_block_merge_implIS3_PS6_N6thrust23THRUST_200600_302600_NS10device_ptrIlEEmNSB_4lessIS6_EEEE10hipError_tT0_T1_T2_jT3_P12ihipStream_tbPNSt15iterator_traitsISH_E10value_typeEPNSN_ISI_E10value_typeEPSJ_NS1_7vsmem_tEENKUlT_SH_SI_SJ_E_clIS9_S9_PlSD_EESG_SW_SH_SI_SJ_EUlSW_E_NS1_11comp_targetILNS1_3genE4ELNS1_11target_archE910ELNS1_3gpuE8ELNS1_3repE0EEENS1_48merge_mergepath_partition_config_static_selectorELNS0_4arch9wavefront6targetE1EEEvSI_.private_seg_size, 0
	.set _ZN7rocprim17ROCPRIM_400000_NS6detail17trampoline_kernelINS0_14default_configENS1_38merge_sort_block_merge_config_selectorIN3c108BFloat16ElEEZZNS1_27merge_sort_block_merge_implIS3_PS6_N6thrust23THRUST_200600_302600_NS10device_ptrIlEEmNSB_4lessIS6_EEEE10hipError_tT0_T1_T2_jT3_P12ihipStream_tbPNSt15iterator_traitsISH_E10value_typeEPNSN_ISI_E10value_typeEPSJ_NS1_7vsmem_tEENKUlT_SH_SI_SJ_E_clIS9_S9_PlSD_EESG_SW_SH_SI_SJ_EUlSW_E_NS1_11comp_targetILNS1_3genE4ELNS1_11target_archE910ELNS1_3gpuE8ELNS1_3repE0EEENS1_48merge_mergepath_partition_config_static_selectorELNS0_4arch9wavefront6targetE1EEEvSI_.uses_vcc, 0
	.set _ZN7rocprim17ROCPRIM_400000_NS6detail17trampoline_kernelINS0_14default_configENS1_38merge_sort_block_merge_config_selectorIN3c108BFloat16ElEEZZNS1_27merge_sort_block_merge_implIS3_PS6_N6thrust23THRUST_200600_302600_NS10device_ptrIlEEmNSB_4lessIS6_EEEE10hipError_tT0_T1_T2_jT3_P12ihipStream_tbPNSt15iterator_traitsISH_E10value_typeEPNSN_ISI_E10value_typeEPSJ_NS1_7vsmem_tEENKUlT_SH_SI_SJ_E_clIS9_S9_PlSD_EESG_SW_SH_SI_SJ_EUlSW_E_NS1_11comp_targetILNS1_3genE4ELNS1_11target_archE910ELNS1_3gpuE8ELNS1_3repE0EEENS1_48merge_mergepath_partition_config_static_selectorELNS0_4arch9wavefront6targetE1EEEvSI_.uses_flat_scratch, 0
	.set _ZN7rocprim17ROCPRIM_400000_NS6detail17trampoline_kernelINS0_14default_configENS1_38merge_sort_block_merge_config_selectorIN3c108BFloat16ElEEZZNS1_27merge_sort_block_merge_implIS3_PS6_N6thrust23THRUST_200600_302600_NS10device_ptrIlEEmNSB_4lessIS6_EEEE10hipError_tT0_T1_T2_jT3_P12ihipStream_tbPNSt15iterator_traitsISH_E10value_typeEPNSN_ISI_E10value_typeEPSJ_NS1_7vsmem_tEENKUlT_SH_SI_SJ_E_clIS9_S9_PlSD_EESG_SW_SH_SI_SJ_EUlSW_E_NS1_11comp_targetILNS1_3genE4ELNS1_11target_archE910ELNS1_3gpuE8ELNS1_3repE0EEENS1_48merge_mergepath_partition_config_static_selectorELNS0_4arch9wavefront6targetE1EEEvSI_.has_dyn_sized_stack, 0
	.set _ZN7rocprim17ROCPRIM_400000_NS6detail17trampoline_kernelINS0_14default_configENS1_38merge_sort_block_merge_config_selectorIN3c108BFloat16ElEEZZNS1_27merge_sort_block_merge_implIS3_PS6_N6thrust23THRUST_200600_302600_NS10device_ptrIlEEmNSB_4lessIS6_EEEE10hipError_tT0_T1_T2_jT3_P12ihipStream_tbPNSt15iterator_traitsISH_E10value_typeEPNSN_ISI_E10value_typeEPSJ_NS1_7vsmem_tEENKUlT_SH_SI_SJ_E_clIS9_S9_PlSD_EESG_SW_SH_SI_SJ_EUlSW_E_NS1_11comp_targetILNS1_3genE4ELNS1_11target_archE910ELNS1_3gpuE8ELNS1_3repE0EEENS1_48merge_mergepath_partition_config_static_selectorELNS0_4arch9wavefront6targetE1EEEvSI_.has_recursion, 0
	.set _ZN7rocprim17ROCPRIM_400000_NS6detail17trampoline_kernelINS0_14default_configENS1_38merge_sort_block_merge_config_selectorIN3c108BFloat16ElEEZZNS1_27merge_sort_block_merge_implIS3_PS6_N6thrust23THRUST_200600_302600_NS10device_ptrIlEEmNSB_4lessIS6_EEEE10hipError_tT0_T1_T2_jT3_P12ihipStream_tbPNSt15iterator_traitsISH_E10value_typeEPNSN_ISI_E10value_typeEPSJ_NS1_7vsmem_tEENKUlT_SH_SI_SJ_E_clIS9_S9_PlSD_EESG_SW_SH_SI_SJ_EUlSW_E_NS1_11comp_targetILNS1_3genE4ELNS1_11target_archE910ELNS1_3gpuE8ELNS1_3repE0EEENS1_48merge_mergepath_partition_config_static_selectorELNS0_4arch9wavefront6targetE1EEEvSI_.has_indirect_call, 0
	.section	.AMDGPU.csdata,"",@progbits
; Kernel info:
; codeLenInByte = 0
; TotalNumSgprs: 4
; NumVgprs: 0
; ScratchSize: 0
; MemoryBound: 0
; FloatMode: 240
; IeeeMode: 1
; LDSByteSize: 0 bytes/workgroup (compile time only)
; SGPRBlocks: 0
; VGPRBlocks: 0
; NumSGPRsForWavesPerEU: 4
; NumVGPRsForWavesPerEU: 1
; Occupancy: 10
; WaveLimiterHint : 0
; COMPUTE_PGM_RSRC2:SCRATCH_EN: 0
; COMPUTE_PGM_RSRC2:USER_SGPR: 6
; COMPUTE_PGM_RSRC2:TRAP_HANDLER: 0
; COMPUTE_PGM_RSRC2:TGID_X_EN: 1
; COMPUTE_PGM_RSRC2:TGID_Y_EN: 0
; COMPUTE_PGM_RSRC2:TGID_Z_EN: 0
; COMPUTE_PGM_RSRC2:TIDIG_COMP_CNT: 0
	.section	.text._ZN7rocprim17ROCPRIM_400000_NS6detail17trampoline_kernelINS0_14default_configENS1_38merge_sort_block_merge_config_selectorIN3c108BFloat16ElEEZZNS1_27merge_sort_block_merge_implIS3_PS6_N6thrust23THRUST_200600_302600_NS10device_ptrIlEEmNSB_4lessIS6_EEEE10hipError_tT0_T1_T2_jT3_P12ihipStream_tbPNSt15iterator_traitsISH_E10value_typeEPNSN_ISI_E10value_typeEPSJ_NS1_7vsmem_tEENKUlT_SH_SI_SJ_E_clIS9_S9_PlSD_EESG_SW_SH_SI_SJ_EUlSW_E_NS1_11comp_targetILNS1_3genE3ELNS1_11target_archE908ELNS1_3gpuE7ELNS1_3repE0EEENS1_48merge_mergepath_partition_config_static_selectorELNS0_4arch9wavefront6targetE1EEEvSI_,"axG",@progbits,_ZN7rocprim17ROCPRIM_400000_NS6detail17trampoline_kernelINS0_14default_configENS1_38merge_sort_block_merge_config_selectorIN3c108BFloat16ElEEZZNS1_27merge_sort_block_merge_implIS3_PS6_N6thrust23THRUST_200600_302600_NS10device_ptrIlEEmNSB_4lessIS6_EEEE10hipError_tT0_T1_T2_jT3_P12ihipStream_tbPNSt15iterator_traitsISH_E10value_typeEPNSN_ISI_E10value_typeEPSJ_NS1_7vsmem_tEENKUlT_SH_SI_SJ_E_clIS9_S9_PlSD_EESG_SW_SH_SI_SJ_EUlSW_E_NS1_11comp_targetILNS1_3genE3ELNS1_11target_archE908ELNS1_3gpuE7ELNS1_3repE0EEENS1_48merge_mergepath_partition_config_static_selectorELNS0_4arch9wavefront6targetE1EEEvSI_,comdat
	.protected	_ZN7rocprim17ROCPRIM_400000_NS6detail17trampoline_kernelINS0_14default_configENS1_38merge_sort_block_merge_config_selectorIN3c108BFloat16ElEEZZNS1_27merge_sort_block_merge_implIS3_PS6_N6thrust23THRUST_200600_302600_NS10device_ptrIlEEmNSB_4lessIS6_EEEE10hipError_tT0_T1_T2_jT3_P12ihipStream_tbPNSt15iterator_traitsISH_E10value_typeEPNSN_ISI_E10value_typeEPSJ_NS1_7vsmem_tEENKUlT_SH_SI_SJ_E_clIS9_S9_PlSD_EESG_SW_SH_SI_SJ_EUlSW_E_NS1_11comp_targetILNS1_3genE3ELNS1_11target_archE908ELNS1_3gpuE7ELNS1_3repE0EEENS1_48merge_mergepath_partition_config_static_selectorELNS0_4arch9wavefront6targetE1EEEvSI_ ; -- Begin function _ZN7rocprim17ROCPRIM_400000_NS6detail17trampoline_kernelINS0_14default_configENS1_38merge_sort_block_merge_config_selectorIN3c108BFloat16ElEEZZNS1_27merge_sort_block_merge_implIS3_PS6_N6thrust23THRUST_200600_302600_NS10device_ptrIlEEmNSB_4lessIS6_EEEE10hipError_tT0_T1_T2_jT3_P12ihipStream_tbPNSt15iterator_traitsISH_E10value_typeEPNSN_ISI_E10value_typeEPSJ_NS1_7vsmem_tEENKUlT_SH_SI_SJ_E_clIS9_S9_PlSD_EESG_SW_SH_SI_SJ_EUlSW_E_NS1_11comp_targetILNS1_3genE3ELNS1_11target_archE908ELNS1_3gpuE7ELNS1_3repE0EEENS1_48merge_mergepath_partition_config_static_selectorELNS0_4arch9wavefront6targetE1EEEvSI_
	.globl	_ZN7rocprim17ROCPRIM_400000_NS6detail17trampoline_kernelINS0_14default_configENS1_38merge_sort_block_merge_config_selectorIN3c108BFloat16ElEEZZNS1_27merge_sort_block_merge_implIS3_PS6_N6thrust23THRUST_200600_302600_NS10device_ptrIlEEmNSB_4lessIS6_EEEE10hipError_tT0_T1_T2_jT3_P12ihipStream_tbPNSt15iterator_traitsISH_E10value_typeEPNSN_ISI_E10value_typeEPSJ_NS1_7vsmem_tEENKUlT_SH_SI_SJ_E_clIS9_S9_PlSD_EESG_SW_SH_SI_SJ_EUlSW_E_NS1_11comp_targetILNS1_3genE3ELNS1_11target_archE908ELNS1_3gpuE7ELNS1_3repE0EEENS1_48merge_mergepath_partition_config_static_selectorELNS0_4arch9wavefront6targetE1EEEvSI_
	.p2align	8
	.type	_ZN7rocprim17ROCPRIM_400000_NS6detail17trampoline_kernelINS0_14default_configENS1_38merge_sort_block_merge_config_selectorIN3c108BFloat16ElEEZZNS1_27merge_sort_block_merge_implIS3_PS6_N6thrust23THRUST_200600_302600_NS10device_ptrIlEEmNSB_4lessIS6_EEEE10hipError_tT0_T1_T2_jT3_P12ihipStream_tbPNSt15iterator_traitsISH_E10value_typeEPNSN_ISI_E10value_typeEPSJ_NS1_7vsmem_tEENKUlT_SH_SI_SJ_E_clIS9_S9_PlSD_EESG_SW_SH_SI_SJ_EUlSW_E_NS1_11comp_targetILNS1_3genE3ELNS1_11target_archE908ELNS1_3gpuE7ELNS1_3repE0EEENS1_48merge_mergepath_partition_config_static_selectorELNS0_4arch9wavefront6targetE1EEEvSI_,@function
_ZN7rocprim17ROCPRIM_400000_NS6detail17trampoline_kernelINS0_14default_configENS1_38merge_sort_block_merge_config_selectorIN3c108BFloat16ElEEZZNS1_27merge_sort_block_merge_implIS3_PS6_N6thrust23THRUST_200600_302600_NS10device_ptrIlEEmNSB_4lessIS6_EEEE10hipError_tT0_T1_T2_jT3_P12ihipStream_tbPNSt15iterator_traitsISH_E10value_typeEPNSN_ISI_E10value_typeEPSJ_NS1_7vsmem_tEENKUlT_SH_SI_SJ_E_clIS9_S9_PlSD_EESG_SW_SH_SI_SJ_EUlSW_E_NS1_11comp_targetILNS1_3genE3ELNS1_11target_archE908ELNS1_3gpuE7ELNS1_3repE0EEENS1_48merge_mergepath_partition_config_static_selectorELNS0_4arch9wavefront6targetE1EEEvSI_: ; @_ZN7rocprim17ROCPRIM_400000_NS6detail17trampoline_kernelINS0_14default_configENS1_38merge_sort_block_merge_config_selectorIN3c108BFloat16ElEEZZNS1_27merge_sort_block_merge_implIS3_PS6_N6thrust23THRUST_200600_302600_NS10device_ptrIlEEmNSB_4lessIS6_EEEE10hipError_tT0_T1_T2_jT3_P12ihipStream_tbPNSt15iterator_traitsISH_E10value_typeEPNSN_ISI_E10value_typeEPSJ_NS1_7vsmem_tEENKUlT_SH_SI_SJ_E_clIS9_S9_PlSD_EESG_SW_SH_SI_SJ_EUlSW_E_NS1_11comp_targetILNS1_3genE3ELNS1_11target_archE908ELNS1_3gpuE7ELNS1_3repE0EEENS1_48merge_mergepath_partition_config_static_selectorELNS0_4arch9wavefront6targetE1EEEvSI_
; %bb.0:
	.section	.rodata,"a",@progbits
	.p2align	6, 0x0
	.amdhsa_kernel _ZN7rocprim17ROCPRIM_400000_NS6detail17trampoline_kernelINS0_14default_configENS1_38merge_sort_block_merge_config_selectorIN3c108BFloat16ElEEZZNS1_27merge_sort_block_merge_implIS3_PS6_N6thrust23THRUST_200600_302600_NS10device_ptrIlEEmNSB_4lessIS6_EEEE10hipError_tT0_T1_T2_jT3_P12ihipStream_tbPNSt15iterator_traitsISH_E10value_typeEPNSN_ISI_E10value_typeEPSJ_NS1_7vsmem_tEENKUlT_SH_SI_SJ_E_clIS9_S9_PlSD_EESG_SW_SH_SI_SJ_EUlSW_E_NS1_11comp_targetILNS1_3genE3ELNS1_11target_archE908ELNS1_3gpuE7ELNS1_3repE0EEENS1_48merge_mergepath_partition_config_static_selectorELNS0_4arch9wavefront6targetE1EEEvSI_
		.amdhsa_group_segment_fixed_size 0
		.amdhsa_private_segment_fixed_size 0
		.amdhsa_kernarg_size 48
		.amdhsa_user_sgpr_count 6
		.amdhsa_user_sgpr_private_segment_buffer 1
		.amdhsa_user_sgpr_dispatch_ptr 0
		.amdhsa_user_sgpr_queue_ptr 0
		.amdhsa_user_sgpr_kernarg_segment_ptr 1
		.amdhsa_user_sgpr_dispatch_id 0
		.amdhsa_user_sgpr_flat_scratch_init 0
		.amdhsa_user_sgpr_private_segment_size 0
		.amdhsa_uses_dynamic_stack 0
		.amdhsa_system_sgpr_private_segment_wavefront_offset 0
		.amdhsa_system_sgpr_workgroup_id_x 1
		.amdhsa_system_sgpr_workgroup_id_y 0
		.amdhsa_system_sgpr_workgroup_id_z 0
		.amdhsa_system_sgpr_workgroup_info 0
		.amdhsa_system_vgpr_workitem_id 0
		.amdhsa_next_free_vgpr 1
		.amdhsa_next_free_sgpr 0
		.amdhsa_reserve_vcc 0
		.amdhsa_reserve_flat_scratch 0
		.amdhsa_float_round_mode_32 0
		.amdhsa_float_round_mode_16_64 0
		.amdhsa_float_denorm_mode_32 3
		.amdhsa_float_denorm_mode_16_64 3
		.amdhsa_dx10_clamp 1
		.amdhsa_ieee_mode 1
		.amdhsa_fp16_overflow 0
		.amdhsa_exception_fp_ieee_invalid_op 0
		.amdhsa_exception_fp_denorm_src 0
		.amdhsa_exception_fp_ieee_div_zero 0
		.amdhsa_exception_fp_ieee_overflow 0
		.amdhsa_exception_fp_ieee_underflow 0
		.amdhsa_exception_fp_ieee_inexact 0
		.amdhsa_exception_int_div_zero 0
	.end_amdhsa_kernel
	.section	.text._ZN7rocprim17ROCPRIM_400000_NS6detail17trampoline_kernelINS0_14default_configENS1_38merge_sort_block_merge_config_selectorIN3c108BFloat16ElEEZZNS1_27merge_sort_block_merge_implIS3_PS6_N6thrust23THRUST_200600_302600_NS10device_ptrIlEEmNSB_4lessIS6_EEEE10hipError_tT0_T1_T2_jT3_P12ihipStream_tbPNSt15iterator_traitsISH_E10value_typeEPNSN_ISI_E10value_typeEPSJ_NS1_7vsmem_tEENKUlT_SH_SI_SJ_E_clIS9_S9_PlSD_EESG_SW_SH_SI_SJ_EUlSW_E_NS1_11comp_targetILNS1_3genE3ELNS1_11target_archE908ELNS1_3gpuE7ELNS1_3repE0EEENS1_48merge_mergepath_partition_config_static_selectorELNS0_4arch9wavefront6targetE1EEEvSI_,"axG",@progbits,_ZN7rocprim17ROCPRIM_400000_NS6detail17trampoline_kernelINS0_14default_configENS1_38merge_sort_block_merge_config_selectorIN3c108BFloat16ElEEZZNS1_27merge_sort_block_merge_implIS3_PS6_N6thrust23THRUST_200600_302600_NS10device_ptrIlEEmNSB_4lessIS6_EEEE10hipError_tT0_T1_T2_jT3_P12ihipStream_tbPNSt15iterator_traitsISH_E10value_typeEPNSN_ISI_E10value_typeEPSJ_NS1_7vsmem_tEENKUlT_SH_SI_SJ_E_clIS9_S9_PlSD_EESG_SW_SH_SI_SJ_EUlSW_E_NS1_11comp_targetILNS1_3genE3ELNS1_11target_archE908ELNS1_3gpuE7ELNS1_3repE0EEENS1_48merge_mergepath_partition_config_static_selectorELNS0_4arch9wavefront6targetE1EEEvSI_,comdat
.Lfunc_end1982:
	.size	_ZN7rocprim17ROCPRIM_400000_NS6detail17trampoline_kernelINS0_14default_configENS1_38merge_sort_block_merge_config_selectorIN3c108BFloat16ElEEZZNS1_27merge_sort_block_merge_implIS3_PS6_N6thrust23THRUST_200600_302600_NS10device_ptrIlEEmNSB_4lessIS6_EEEE10hipError_tT0_T1_T2_jT3_P12ihipStream_tbPNSt15iterator_traitsISH_E10value_typeEPNSN_ISI_E10value_typeEPSJ_NS1_7vsmem_tEENKUlT_SH_SI_SJ_E_clIS9_S9_PlSD_EESG_SW_SH_SI_SJ_EUlSW_E_NS1_11comp_targetILNS1_3genE3ELNS1_11target_archE908ELNS1_3gpuE7ELNS1_3repE0EEENS1_48merge_mergepath_partition_config_static_selectorELNS0_4arch9wavefront6targetE1EEEvSI_, .Lfunc_end1982-_ZN7rocprim17ROCPRIM_400000_NS6detail17trampoline_kernelINS0_14default_configENS1_38merge_sort_block_merge_config_selectorIN3c108BFloat16ElEEZZNS1_27merge_sort_block_merge_implIS3_PS6_N6thrust23THRUST_200600_302600_NS10device_ptrIlEEmNSB_4lessIS6_EEEE10hipError_tT0_T1_T2_jT3_P12ihipStream_tbPNSt15iterator_traitsISH_E10value_typeEPNSN_ISI_E10value_typeEPSJ_NS1_7vsmem_tEENKUlT_SH_SI_SJ_E_clIS9_S9_PlSD_EESG_SW_SH_SI_SJ_EUlSW_E_NS1_11comp_targetILNS1_3genE3ELNS1_11target_archE908ELNS1_3gpuE7ELNS1_3repE0EEENS1_48merge_mergepath_partition_config_static_selectorELNS0_4arch9wavefront6targetE1EEEvSI_
                                        ; -- End function
	.set _ZN7rocprim17ROCPRIM_400000_NS6detail17trampoline_kernelINS0_14default_configENS1_38merge_sort_block_merge_config_selectorIN3c108BFloat16ElEEZZNS1_27merge_sort_block_merge_implIS3_PS6_N6thrust23THRUST_200600_302600_NS10device_ptrIlEEmNSB_4lessIS6_EEEE10hipError_tT0_T1_T2_jT3_P12ihipStream_tbPNSt15iterator_traitsISH_E10value_typeEPNSN_ISI_E10value_typeEPSJ_NS1_7vsmem_tEENKUlT_SH_SI_SJ_E_clIS9_S9_PlSD_EESG_SW_SH_SI_SJ_EUlSW_E_NS1_11comp_targetILNS1_3genE3ELNS1_11target_archE908ELNS1_3gpuE7ELNS1_3repE0EEENS1_48merge_mergepath_partition_config_static_selectorELNS0_4arch9wavefront6targetE1EEEvSI_.num_vgpr, 0
	.set _ZN7rocprim17ROCPRIM_400000_NS6detail17trampoline_kernelINS0_14default_configENS1_38merge_sort_block_merge_config_selectorIN3c108BFloat16ElEEZZNS1_27merge_sort_block_merge_implIS3_PS6_N6thrust23THRUST_200600_302600_NS10device_ptrIlEEmNSB_4lessIS6_EEEE10hipError_tT0_T1_T2_jT3_P12ihipStream_tbPNSt15iterator_traitsISH_E10value_typeEPNSN_ISI_E10value_typeEPSJ_NS1_7vsmem_tEENKUlT_SH_SI_SJ_E_clIS9_S9_PlSD_EESG_SW_SH_SI_SJ_EUlSW_E_NS1_11comp_targetILNS1_3genE3ELNS1_11target_archE908ELNS1_3gpuE7ELNS1_3repE0EEENS1_48merge_mergepath_partition_config_static_selectorELNS0_4arch9wavefront6targetE1EEEvSI_.num_agpr, 0
	.set _ZN7rocprim17ROCPRIM_400000_NS6detail17trampoline_kernelINS0_14default_configENS1_38merge_sort_block_merge_config_selectorIN3c108BFloat16ElEEZZNS1_27merge_sort_block_merge_implIS3_PS6_N6thrust23THRUST_200600_302600_NS10device_ptrIlEEmNSB_4lessIS6_EEEE10hipError_tT0_T1_T2_jT3_P12ihipStream_tbPNSt15iterator_traitsISH_E10value_typeEPNSN_ISI_E10value_typeEPSJ_NS1_7vsmem_tEENKUlT_SH_SI_SJ_E_clIS9_S9_PlSD_EESG_SW_SH_SI_SJ_EUlSW_E_NS1_11comp_targetILNS1_3genE3ELNS1_11target_archE908ELNS1_3gpuE7ELNS1_3repE0EEENS1_48merge_mergepath_partition_config_static_selectorELNS0_4arch9wavefront6targetE1EEEvSI_.numbered_sgpr, 0
	.set _ZN7rocprim17ROCPRIM_400000_NS6detail17trampoline_kernelINS0_14default_configENS1_38merge_sort_block_merge_config_selectorIN3c108BFloat16ElEEZZNS1_27merge_sort_block_merge_implIS3_PS6_N6thrust23THRUST_200600_302600_NS10device_ptrIlEEmNSB_4lessIS6_EEEE10hipError_tT0_T1_T2_jT3_P12ihipStream_tbPNSt15iterator_traitsISH_E10value_typeEPNSN_ISI_E10value_typeEPSJ_NS1_7vsmem_tEENKUlT_SH_SI_SJ_E_clIS9_S9_PlSD_EESG_SW_SH_SI_SJ_EUlSW_E_NS1_11comp_targetILNS1_3genE3ELNS1_11target_archE908ELNS1_3gpuE7ELNS1_3repE0EEENS1_48merge_mergepath_partition_config_static_selectorELNS0_4arch9wavefront6targetE1EEEvSI_.num_named_barrier, 0
	.set _ZN7rocprim17ROCPRIM_400000_NS6detail17trampoline_kernelINS0_14default_configENS1_38merge_sort_block_merge_config_selectorIN3c108BFloat16ElEEZZNS1_27merge_sort_block_merge_implIS3_PS6_N6thrust23THRUST_200600_302600_NS10device_ptrIlEEmNSB_4lessIS6_EEEE10hipError_tT0_T1_T2_jT3_P12ihipStream_tbPNSt15iterator_traitsISH_E10value_typeEPNSN_ISI_E10value_typeEPSJ_NS1_7vsmem_tEENKUlT_SH_SI_SJ_E_clIS9_S9_PlSD_EESG_SW_SH_SI_SJ_EUlSW_E_NS1_11comp_targetILNS1_3genE3ELNS1_11target_archE908ELNS1_3gpuE7ELNS1_3repE0EEENS1_48merge_mergepath_partition_config_static_selectorELNS0_4arch9wavefront6targetE1EEEvSI_.private_seg_size, 0
	.set _ZN7rocprim17ROCPRIM_400000_NS6detail17trampoline_kernelINS0_14default_configENS1_38merge_sort_block_merge_config_selectorIN3c108BFloat16ElEEZZNS1_27merge_sort_block_merge_implIS3_PS6_N6thrust23THRUST_200600_302600_NS10device_ptrIlEEmNSB_4lessIS6_EEEE10hipError_tT0_T1_T2_jT3_P12ihipStream_tbPNSt15iterator_traitsISH_E10value_typeEPNSN_ISI_E10value_typeEPSJ_NS1_7vsmem_tEENKUlT_SH_SI_SJ_E_clIS9_S9_PlSD_EESG_SW_SH_SI_SJ_EUlSW_E_NS1_11comp_targetILNS1_3genE3ELNS1_11target_archE908ELNS1_3gpuE7ELNS1_3repE0EEENS1_48merge_mergepath_partition_config_static_selectorELNS0_4arch9wavefront6targetE1EEEvSI_.uses_vcc, 0
	.set _ZN7rocprim17ROCPRIM_400000_NS6detail17trampoline_kernelINS0_14default_configENS1_38merge_sort_block_merge_config_selectorIN3c108BFloat16ElEEZZNS1_27merge_sort_block_merge_implIS3_PS6_N6thrust23THRUST_200600_302600_NS10device_ptrIlEEmNSB_4lessIS6_EEEE10hipError_tT0_T1_T2_jT3_P12ihipStream_tbPNSt15iterator_traitsISH_E10value_typeEPNSN_ISI_E10value_typeEPSJ_NS1_7vsmem_tEENKUlT_SH_SI_SJ_E_clIS9_S9_PlSD_EESG_SW_SH_SI_SJ_EUlSW_E_NS1_11comp_targetILNS1_3genE3ELNS1_11target_archE908ELNS1_3gpuE7ELNS1_3repE0EEENS1_48merge_mergepath_partition_config_static_selectorELNS0_4arch9wavefront6targetE1EEEvSI_.uses_flat_scratch, 0
	.set _ZN7rocprim17ROCPRIM_400000_NS6detail17trampoline_kernelINS0_14default_configENS1_38merge_sort_block_merge_config_selectorIN3c108BFloat16ElEEZZNS1_27merge_sort_block_merge_implIS3_PS6_N6thrust23THRUST_200600_302600_NS10device_ptrIlEEmNSB_4lessIS6_EEEE10hipError_tT0_T1_T2_jT3_P12ihipStream_tbPNSt15iterator_traitsISH_E10value_typeEPNSN_ISI_E10value_typeEPSJ_NS1_7vsmem_tEENKUlT_SH_SI_SJ_E_clIS9_S9_PlSD_EESG_SW_SH_SI_SJ_EUlSW_E_NS1_11comp_targetILNS1_3genE3ELNS1_11target_archE908ELNS1_3gpuE7ELNS1_3repE0EEENS1_48merge_mergepath_partition_config_static_selectorELNS0_4arch9wavefront6targetE1EEEvSI_.has_dyn_sized_stack, 0
	.set _ZN7rocprim17ROCPRIM_400000_NS6detail17trampoline_kernelINS0_14default_configENS1_38merge_sort_block_merge_config_selectorIN3c108BFloat16ElEEZZNS1_27merge_sort_block_merge_implIS3_PS6_N6thrust23THRUST_200600_302600_NS10device_ptrIlEEmNSB_4lessIS6_EEEE10hipError_tT0_T1_T2_jT3_P12ihipStream_tbPNSt15iterator_traitsISH_E10value_typeEPNSN_ISI_E10value_typeEPSJ_NS1_7vsmem_tEENKUlT_SH_SI_SJ_E_clIS9_S9_PlSD_EESG_SW_SH_SI_SJ_EUlSW_E_NS1_11comp_targetILNS1_3genE3ELNS1_11target_archE908ELNS1_3gpuE7ELNS1_3repE0EEENS1_48merge_mergepath_partition_config_static_selectorELNS0_4arch9wavefront6targetE1EEEvSI_.has_recursion, 0
	.set _ZN7rocprim17ROCPRIM_400000_NS6detail17trampoline_kernelINS0_14default_configENS1_38merge_sort_block_merge_config_selectorIN3c108BFloat16ElEEZZNS1_27merge_sort_block_merge_implIS3_PS6_N6thrust23THRUST_200600_302600_NS10device_ptrIlEEmNSB_4lessIS6_EEEE10hipError_tT0_T1_T2_jT3_P12ihipStream_tbPNSt15iterator_traitsISH_E10value_typeEPNSN_ISI_E10value_typeEPSJ_NS1_7vsmem_tEENKUlT_SH_SI_SJ_E_clIS9_S9_PlSD_EESG_SW_SH_SI_SJ_EUlSW_E_NS1_11comp_targetILNS1_3genE3ELNS1_11target_archE908ELNS1_3gpuE7ELNS1_3repE0EEENS1_48merge_mergepath_partition_config_static_selectorELNS0_4arch9wavefront6targetE1EEEvSI_.has_indirect_call, 0
	.section	.AMDGPU.csdata,"",@progbits
; Kernel info:
; codeLenInByte = 0
; TotalNumSgprs: 4
; NumVgprs: 0
; ScratchSize: 0
; MemoryBound: 0
; FloatMode: 240
; IeeeMode: 1
; LDSByteSize: 0 bytes/workgroup (compile time only)
; SGPRBlocks: 0
; VGPRBlocks: 0
; NumSGPRsForWavesPerEU: 4
; NumVGPRsForWavesPerEU: 1
; Occupancy: 10
; WaveLimiterHint : 0
; COMPUTE_PGM_RSRC2:SCRATCH_EN: 0
; COMPUTE_PGM_RSRC2:USER_SGPR: 6
; COMPUTE_PGM_RSRC2:TRAP_HANDLER: 0
; COMPUTE_PGM_RSRC2:TGID_X_EN: 1
; COMPUTE_PGM_RSRC2:TGID_Y_EN: 0
; COMPUTE_PGM_RSRC2:TGID_Z_EN: 0
; COMPUTE_PGM_RSRC2:TIDIG_COMP_CNT: 0
	.section	.text._ZN7rocprim17ROCPRIM_400000_NS6detail17trampoline_kernelINS0_14default_configENS1_38merge_sort_block_merge_config_selectorIN3c108BFloat16ElEEZZNS1_27merge_sort_block_merge_implIS3_PS6_N6thrust23THRUST_200600_302600_NS10device_ptrIlEEmNSB_4lessIS6_EEEE10hipError_tT0_T1_T2_jT3_P12ihipStream_tbPNSt15iterator_traitsISH_E10value_typeEPNSN_ISI_E10value_typeEPSJ_NS1_7vsmem_tEENKUlT_SH_SI_SJ_E_clIS9_S9_PlSD_EESG_SW_SH_SI_SJ_EUlSW_E_NS1_11comp_targetILNS1_3genE2ELNS1_11target_archE906ELNS1_3gpuE6ELNS1_3repE0EEENS1_48merge_mergepath_partition_config_static_selectorELNS0_4arch9wavefront6targetE1EEEvSI_,"axG",@progbits,_ZN7rocprim17ROCPRIM_400000_NS6detail17trampoline_kernelINS0_14default_configENS1_38merge_sort_block_merge_config_selectorIN3c108BFloat16ElEEZZNS1_27merge_sort_block_merge_implIS3_PS6_N6thrust23THRUST_200600_302600_NS10device_ptrIlEEmNSB_4lessIS6_EEEE10hipError_tT0_T1_T2_jT3_P12ihipStream_tbPNSt15iterator_traitsISH_E10value_typeEPNSN_ISI_E10value_typeEPSJ_NS1_7vsmem_tEENKUlT_SH_SI_SJ_E_clIS9_S9_PlSD_EESG_SW_SH_SI_SJ_EUlSW_E_NS1_11comp_targetILNS1_3genE2ELNS1_11target_archE906ELNS1_3gpuE6ELNS1_3repE0EEENS1_48merge_mergepath_partition_config_static_selectorELNS0_4arch9wavefront6targetE1EEEvSI_,comdat
	.protected	_ZN7rocprim17ROCPRIM_400000_NS6detail17trampoline_kernelINS0_14default_configENS1_38merge_sort_block_merge_config_selectorIN3c108BFloat16ElEEZZNS1_27merge_sort_block_merge_implIS3_PS6_N6thrust23THRUST_200600_302600_NS10device_ptrIlEEmNSB_4lessIS6_EEEE10hipError_tT0_T1_T2_jT3_P12ihipStream_tbPNSt15iterator_traitsISH_E10value_typeEPNSN_ISI_E10value_typeEPSJ_NS1_7vsmem_tEENKUlT_SH_SI_SJ_E_clIS9_S9_PlSD_EESG_SW_SH_SI_SJ_EUlSW_E_NS1_11comp_targetILNS1_3genE2ELNS1_11target_archE906ELNS1_3gpuE6ELNS1_3repE0EEENS1_48merge_mergepath_partition_config_static_selectorELNS0_4arch9wavefront6targetE1EEEvSI_ ; -- Begin function _ZN7rocprim17ROCPRIM_400000_NS6detail17trampoline_kernelINS0_14default_configENS1_38merge_sort_block_merge_config_selectorIN3c108BFloat16ElEEZZNS1_27merge_sort_block_merge_implIS3_PS6_N6thrust23THRUST_200600_302600_NS10device_ptrIlEEmNSB_4lessIS6_EEEE10hipError_tT0_T1_T2_jT3_P12ihipStream_tbPNSt15iterator_traitsISH_E10value_typeEPNSN_ISI_E10value_typeEPSJ_NS1_7vsmem_tEENKUlT_SH_SI_SJ_E_clIS9_S9_PlSD_EESG_SW_SH_SI_SJ_EUlSW_E_NS1_11comp_targetILNS1_3genE2ELNS1_11target_archE906ELNS1_3gpuE6ELNS1_3repE0EEENS1_48merge_mergepath_partition_config_static_selectorELNS0_4arch9wavefront6targetE1EEEvSI_
	.globl	_ZN7rocprim17ROCPRIM_400000_NS6detail17trampoline_kernelINS0_14default_configENS1_38merge_sort_block_merge_config_selectorIN3c108BFloat16ElEEZZNS1_27merge_sort_block_merge_implIS3_PS6_N6thrust23THRUST_200600_302600_NS10device_ptrIlEEmNSB_4lessIS6_EEEE10hipError_tT0_T1_T2_jT3_P12ihipStream_tbPNSt15iterator_traitsISH_E10value_typeEPNSN_ISI_E10value_typeEPSJ_NS1_7vsmem_tEENKUlT_SH_SI_SJ_E_clIS9_S9_PlSD_EESG_SW_SH_SI_SJ_EUlSW_E_NS1_11comp_targetILNS1_3genE2ELNS1_11target_archE906ELNS1_3gpuE6ELNS1_3repE0EEENS1_48merge_mergepath_partition_config_static_selectorELNS0_4arch9wavefront6targetE1EEEvSI_
	.p2align	8
	.type	_ZN7rocprim17ROCPRIM_400000_NS6detail17trampoline_kernelINS0_14default_configENS1_38merge_sort_block_merge_config_selectorIN3c108BFloat16ElEEZZNS1_27merge_sort_block_merge_implIS3_PS6_N6thrust23THRUST_200600_302600_NS10device_ptrIlEEmNSB_4lessIS6_EEEE10hipError_tT0_T1_T2_jT3_P12ihipStream_tbPNSt15iterator_traitsISH_E10value_typeEPNSN_ISI_E10value_typeEPSJ_NS1_7vsmem_tEENKUlT_SH_SI_SJ_E_clIS9_S9_PlSD_EESG_SW_SH_SI_SJ_EUlSW_E_NS1_11comp_targetILNS1_3genE2ELNS1_11target_archE906ELNS1_3gpuE6ELNS1_3repE0EEENS1_48merge_mergepath_partition_config_static_selectorELNS0_4arch9wavefront6targetE1EEEvSI_,@function
_ZN7rocprim17ROCPRIM_400000_NS6detail17trampoline_kernelINS0_14default_configENS1_38merge_sort_block_merge_config_selectorIN3c108BFloat16ElEEZZNS1_27merge_sort_block_merge_implIS3_PS6_N6thrust23THRUST_200600_302600_NS10device_ptrIlEEmNSB_4lessIS6_EEEE10hipError_tT0_T1_T2_jT3_P12ihipStream_tbPNSt15iterator_traitsISH_E10value_typeEPNSN_ISI_E10value_typeEPSJ_NS1_7vsmem_tEENKUlT_SH_SI_SJ_E_clIS9_S9_PlSD_EESG_SW_SH_SI_SJ_EUlSW_E_NS1_11comp_targetILNS1_3genE2ELNS1_11target_archE906ELNS1_3gpuE6ELNS1_3repE0EEENS1_48merge_mergepath_partition_config_static_selectorELNS0_4arch9wavefront6targetE1EEEvSI_: ; @_ZN7rocprim17ROCPRIM_400000_NS6detail17trampoline_kernelINS0_14default_configENS1_38merge_sort_block_merge_config_selectorIN3c108BFloat16ElEEZZNS1_27merge_sort_block_merge_implIS3_PS6_N6thrust23THRUST_200600_302600_NS10device_ptrIlEEmNSB_4lessIS6_EEEE10hipError_tT0_T1_T2_jT3_P12ihipStream_tbPNSt15iterator_traitsISH_E10value_typeEPNSN_ISI_E10value_typeEPSJ_NS1_7vsmem_tEENKUlT_SH_SI_SJ_E_clIS9_S9_PlSD_EESG_SW_SH_SI_SJ_EUlSW_E_NS1_11comp_targetILNS1_3genE2ELNS1_11target_archE906ELNS1_3gpuE6ELNS1_3repE0EEENS1_48merge_mergepath_partition_config_static_selectorELNS0_4arch9wavefront6targetE1EEEvSI_
; %bb.0:
	s_load_dword s0, s[4:5], 0x0
	v_lshl_or_b32 v0, s6, 7, v0
	s_waitcnt lgkmcnt(0)
	v_cmp_gt_u32_e32 vcc, s0, v0
	s_and_saveexec_b64 s[0:1], vcc
	s_cbranch_execz .LBB1983_6
; %bb.1:
	s_load_dwordx4 s[0:3], s[4:5], 0x8
	s_load_dwordx2 s[6:7], s[4:5], 0x28
	v_mov_b32_e32 v3, 0
	s_waitcnt lgkmcnt(0)
	s_lshr_b64 s[8:9], s[0:1], 9
	s_and_b32 s8, s8, -2
	s_add_i32 s9, s8, -1
	s_sub_i32 s8, 0, s8
	v_and_b32_e32 v2, s8, v0
	v_lshlrev_b64 v[4:5], 10, v[2:3]
	v_mov_b32_e32 v6, s3
	v_cmp_lt_u64_e32 vcc, s[2:3], v[4:5]
	v_mov_b32_e32 v10, s2
	v_cndmask_b32_e32 v2, v5, v6, vcc
	v_cndmask_b32_e32 v1, v4, v10, vcc
	v_mov_b32_e32 v7, s1
	v_add_co_u32_e32 v4, vcc, s0, v4
	v_addc_co_u32_e32 v5, vcc, v5, v7, vcc
	v_cmp_lt_u64_e32 vcc, s[2:3], v[4:5]
	v_and_b32_e32 v9, s9, v0
	v_cndmask_b32_e32 v7, v4, v10, vcc
	v_cndmask_b32_e32 v8, v5, v6, vcc
	v_mov_b32_e32 v5, s1
	v_add_co_u32_e32 v4, vcc, s0, v7
	v_addc_co_u32_e32 v5, vcc, v8, v5, vcc
	v_cmp_lt_u64_e32 vcc, s[2:3], v[4:5]
	v_cndmask_b32_e32 v12, v4, v10, vcc
	v_mov_b32_e32 v10, v3
	v_cndmask_b32_e32 v11, v5, v6, vcc
	v_lshlrev_b64 v[3:4], 10, v[9:10]
	v_sub_co_u32_e32 v5, vcc, v12, v1
	v_subb_co_u32_e32 v6, vcc, v11, v2, vcc
	v_cmp_lt_u64_e32 vcc, v[5:6], v[3:4]
	v_cndmask_b32_e32 v10, v4, v6, vcc
	v_cndmask_b32_e32 v9, v3, v5, vcc
	v_sub_co_u32_e32 v5, vcc, v7, v1
	v_subb_co_u32_e32 v6, vcc, v8, v2, vcc
	v_sub_co_u32_e32 v3, vcc, v7, v12
	v_subb_co_u32_e32 v4, vcc, v8, v11, vcc
	v_add_co_u32_e32 v3, vcc, v9, v3
	v_addc_co_u32_e32 v4, vcc, v10, v4, vcc
	v_cmp_gt_u64_e32 vcc, v[3:4], v[9:10]
	v_cndmask_b32_e64 v4, v4, 0, vcc
	v_cndmask_b32_e64 v3, v3, 0, vcc
	v_cmp_lt_u64_e32 vcc, v[9:10], v[5:6]
	v_cndmask_b32_e32 v6, v6, v10, vcc
	v_cndmask_b32_e32 v5, v5, v9, vcc
	v_cmp_lt_u64_e32 vcc, v[3:4], v[5:6]
	s_and_saveexec_b64 s[0:1], vcc
	s_cbranch_execz .LBB1983_5
; %bb.2:
	s_load_dwordx2 s[2:3], s[4:5], 0x18
	v_lshlrev_b64 v[11:12], 1, v[1:2]
	v_lshlrev_b64 v[7:8], 1, v[7:8]
	s_waitcnt lgkmcnt(0)
	v_mov_b32_e32 v13, s3
	v_add_co_u32_e32 v11, vcc, s2, v11
	v_addc_co_u32_e32 v12, vcc, v13, v12, vcc
	v_add_co_u32_e32 v14, vcc, s2, v7
	v_addc_co_u32_e32 v13, vcc, v13, v8, vcc
	v_lshlrev_b64 v[7:8], 1, v[9:10]
	s_mov_b64 s[2:3], 0
	v_add_co_u32_e32 v7, vcc, v14, v7
	v_addc_co_u32_e32 v8, vcc, v13, v8, vcc
.LBB1983_3:                             ; =>This Inner Loop Header: Depth=1
	v_add_co_u32_e32 v9, vcc, v5, v3
	v_addc_co_u32_e32 v10, vcc, v6, v4, vcc
	v_and_b32_e32 v15, -2, v9
	v_add_co_u32_e32 v13, vcc, v11, v15
	v_addc_co_u32_e32 v14, vcc, v12, v10, vcc
	v_xor_b32_e32 v15, -2, v15
	v_xor_b32_e32 v16, -1, v10
	v_add_co_u32_e32 v15, vcc, v7, v15
	v_addc_co_u32_e32 v16, vcc, v8, v16, vcc
	global_load_ushort v17, v[15:16], off
	global_load_ushort v18, v[13:14], off
	v_lshrrev_b64 v[9:10], 1, v[9:10]
	v_add_co_u32_e32 v13, vcc, 1, v9
	v_addc_co_u32_e32 v14, vcc, 0, v10, vcc
	s_waitcnt vmcnt(1)
	v_lshlrev_b32_e32 v15, 16, v17
	s_waitcnt vmcnt(0)
	v_lshlrev_b32_e32 v16, 16, v18
	v_cmp_lt_f32_e32 vcc, v15, v16
	v_cndmask_b32_e32 v6, v6, v10, vcc
	v_cndmask_b32_e32 v5, v5, v9, vcc
	;; [unrolled: 1-line block ×4, first 2 shown]
	v_cmp_ge_u64_e32 vcc, v[3:4], v[5:6]
	s_or_b64 s[2:3], vcc, s[2:3]
	s_andn2_b64 exec, exec, s[2:3]
	s_cbranch_execnz .LBB1983_3
; %bb.4:
	s_or_b64 exec, exec, s[2:3]
.LBB1983_5:
	s_or_b64 exec, exec, s[0:1]
	v_add_co_u32_e32 v3, vcc, v3, v1
	v_mov_b32_e32 v1, 0
	v_lshlrev_b64 v[0:1], 3, v[0:1]
	v_addc_co_u32_e32 v4, vcc, v4, v2, vcc
	v_mov_b32_e32 v2, s7
	v_add_co_u32_e32 v0, vcc, s6, v0
	v_addc_co_u32_e32 v1, vcc, v2, v1, vcc
	global_store_dwordx2 v[0:1], v[3:4], off
.LBB1983_6:
	s_endpgm
	.section	.rodata,"a",@progbits
	.p2align	6, 0x0
	.amdhsa_kernel _ZN7rocprim17ROCPRIM_400000_NS6detail17trampoline_kernelINS0_14default_configENS1_38merge_sort_block_merge_config_selectorIN3c108BFloat16ElEEZZNS1_27merge_sort_block_merge_implIS3_PS6_N6thrust23THRUST_200600_302600_NS10device_ptrIlEEmNSB_4lessIS6_EEEE10hipError_tT0_T1_T2_jT3_P12ihipStream_tbPNSt15iterator_traitsISH_E10value_typeEPNSN_ISI_E10value_typeEPSJ_NS1_7vsmem_tEENKUlT_SH_SI_SJ_E_clIS9_S9_PlSD_EESG_SW_SH_SI_SJ_EUlSW_E_NS1_11comp_targetILNS1_3genE2ELNS1_11target_archE906ELNS1_3gpuE6ELNS1_3repE0EEENS1_48merge_mergepath_partition_config_static_selectorELNS0_4arch9wavefront6targetE1EEEvSI_
		.amdhsa_group_segment_fixed_size 0
		.amdhsa_private_segment_fixed_size 0
		.amdhsa_kernarg_size 48
		.amdhsa_user_sgpr_count 6
		.amdhsa_user_sgpr_private_segment_buffer 1
		.amdhsa_user_sgpr_dispatch_ptr 0
		.amdhsa_user_sgpr_queue_ptr 0
		.amdhsa_user_sgpr_kernarg_segment_ptr 1
		.amdhsa_user_sgpr_dispatch_id 0
		.amdhsa_user_sgpr_flat_scratch_init 0
		.amdhsa_user_sgpr_private_segment_size 0
		.amdhsa_uses_dynamic_stack 0
		.amdhsa_system_sgpr_private_segment_wavefront_offset 0
		.amdhsa_system_sgpr_workgroup_id_x 1
		.amdhsa_system_sgpr_workgroup_id_y 0
		.amdhsa_system_sgpr_workgroup_id_z 0
		.amdhsa_system_sgpr_workgroup_info 0
		.amdhsa_system_vgpr_workitem_id 0
		.amdhsa_next_free_vgpr 19
		.amdhsa_next_free_sgpr 10
		.amdhsa_reserve_vcc 1
		.amdhsa_reserve_flat_scratch 0
		.amdhsa_float_round_mode_32 0
		.amdhsa_float_round_mode_16_64 0
		.amdhsa_float_denorm_mode_32 3
		.amdhsa_float_denorm_mode_16_64 3
		.amdhsa_dx10_clamp 1
		.amdhsa_ieee_mode 1
		.amdhsa_fp16_overflow 0
		.amdhsa_exception_fp_ieee_invalid_op 0
		.amdhsa_exception_fp_denorm_src 0
		.amdhsa_exception_fp_ieee_div_zero 0
		.amdhsa_exception_fp_ieee_overflow 0
		.amdhsa_exception_fp_ieee_underflow 0
		.amdhsa_exception_fp_ieee_inexact 0
		.amdhsa_exception_int_div_zero 0
	.end_amdhsa_kernel
	.section	.text._ZN7rocprim17ROCPRIM_400000_NS6detail17trampoline_kernelINS0_14default_configENS1_38merge_sort_block_merge_config_selectorIN3c108BFloat16ElEEZZNS1_27merge_sort_block_merge_implIS3_PS6_N6thrust23THRUST_200600_302600_NS10device_ptrIlEEmNSB_4lessIS6_EEEE10hipError_tT0_T1_T2_jT3_P12ihipStream_tbPNSt15iterator_traitsISH_E10value_typeEPNSN_ISI_E10value_typeEPSJ_NS1_7vsmem_tEENKUlT_SH_SI_SJ_E_clIS9_S9_PlSD_EESG_SW_SH_SI_SJ_EUlSW_E_NS1_11comp_targetILNS1_3genE2ELNS1_11target_archE906ELNS1_3gpuE6ELNS1_3repE0EEENS1_48merge_mergepath_partition_config_static_selectorELNS0_4arch9wavefront6targetE1EEEvSI_,"axG",@progbits,_ZN7rocprim17ROCPRIM_400000_NS6detail17trampoline_kernelINS0_14default_configENS1_38merge_sort_block_merge_config_selectorIN3c108BFloat16ElEEZZNS1_27merge_sort_block_merge_implIS3_PS6_N6thrust23THRUST_200600_302600_NS10device_ptrIlEEmNSB_4lessIS6_EEEE10hipError_tT0_T1_T2_jT3_P12ihipStream_tbPNSt15iterator_traitsISH_E10value_typeEPNSN_ISI_E10value_typeEPSJ_NS1_7vsmem_tEENKUlT_SH_SI_SJ_E_clIS9_S9_PlSD_EESG_SW_SH_SI_SJ_EUlSW_E_NS1_11comp_targetILNS1_3genE2ELNS1_11target_archE906ELNS1_3gpuE6ELNS1_3repE0EEENS1_48merge_mergepath_partition_config_static_selectorELNS0_4arch9wavefront6targetE1EEEvSI_,comdat
.Lfunc_end1983:
	.size	_ZN7rocprim17ROCPRIM_400000_NS6detail17trampoline_kernelINS0_14default_configENS1_38merge_sort_block_merge_config_selectorIN3c108BFloat16ElEEZZNS1_27merge_sort_block_merge_implIS3_PS6_N6thrust23THRUST_200600_302600_NS10device_ptrIlEEmNSB_4lessIS6_EEEE10hipError_tT0_T1_T2_jT3_P12ihipStream_tbPNSt15iterator_traitsISH_E10value_typeEPNSN_ISI_E10value_typeEPSJ_NS1_7vsmem_tEENKUlT_SH_SI_SJ_E_clIS9_S9_PlSD_EESG_SW_SH_SI_SJ_EUlSW_E_NS1_11comp_targetILNS1_3genE2ELNS1_11target_archE906ELNS1_3gpuE6ELNS1_3repE0EEENS1_48merge_mergepath_partition_config_static_selectorELNS0_4arch9wavefront6targetE1EEEvSI_, .Lfunc_end1983-_ZN7rocprim17ROCPRIM_400000_NS6detail17trampoline_kernelINS0_14default_configENS1_38merge_sort_block_merge_config_selectorIN3c108BFloat16ElEEZZNS1_27merge_sort_block_merge_implIS3_PS6_N6thrust23THRUST_200600_302600_NS10device_ptrIlEEmNSB_4lessIS6_EEEE10hipError_tT0_T1_T2_jT3_P12ihipStream_tbPNSt15iterator_traitsISH_E10value_typeEPNSN_ISI_E10value_typeEPSJ_NS1_7vsmem_tEENKUlT_SH_SI_SJ_E_clIS9_S9_PlSD_EESG_SW_SH_SI_SJ_EUlSW_E_NS1_11comp_targetILNS1_3genE2ELNS1_11target_archE906ELNS1_3gpuE6ELNS1_3repE0EEENS1_48merge_mergepath_partition_config_static_selectorELNS0_4arch9wavefront6targetE1EEEvSI_
                                        ; -- End function
	.set _ZN7rocprim17ROCPRIM_400000_NS6detail17trampoline_kernelINS0_14default_configENS1_38merge_sort_block_merge_config_selectorIN3c108BFloat16ElEEZZNS1_27merge_sort_block_merge_implIS3_PS6_N6thrust23THRUST_200600_302600_NS10device_ptrIlEEmNSB_4lessIS6_EEEE10hipError_tT0_T1_T2_jT3_P12ihipStream_tbPNSt15iterator_traitsISH_E10value_typeEPNSN_ISI_E10value_typeEPSJ_NS1_7vsmem_tEENKUlT_SH_SI_SJ_E_clIS9_S9_PlSD_EESG_SW_SH_SI_SJ_EUlSW_E_NS1_11comp_targetILNS1_3genE2ELNS1_11target_archE906ELNS1_3gpuE6ELNS1_3repE0EEENS1_48merge_mergepath_partition_config_static_selectorELNS0_4arch9wavefront6targetE1EEEvSI_.num_vgpr, 19
	.set _ZN7rocprim17ROCPRIM_400000_NS6detail17trampoline_kernelINS0_14default_configENS1_38merge_sort_block_merge_config_selectorIN3c108BFloat16ElEEZZNS1_27merge_sort_block_merge_implIS3_PS6_N6thrust23THRUST_200600_302600_NS10device_ptrIlEEmNSB_4lessIS6_EEEE10hipError_tT0_T1_T2_jT3_P12ihipStream_tbPNSt15iterator_traitsISH_E10value_typeEPNSN_ISI_E10value_typeEPSJ_NS1_7vsmem_tEENKUlT_SH_SI_SJ_E_clIS9_S9_PlSD_EESG_SW_SH_SI_SJ_EUlSW_E_NS1_11comp_targetILNS1_3genE2ELNS1_11target_archE906ELNS1_3gpuE6ELNS1_3repE0EEENS1_48merge_mergepath_partition_config_static_selectorELNS0_4arch9wavefront6targetE1EEEvSI_.num_agpr, 0
	.set _ZN7rocprim17ROCPRIM_400000_NS6detail17trampoline_kernelINS0_14default_configENS1_38merge_sort_block_merge_config_selectorIN3c108BFloat16ElEEZZNS1_27merge_sort_block_merge_implIS3_PS6_N6thrust23THRUST_200600_302600_NS10device_ptrIlEEmNSB_4lessIS6_EEEE10hipError_tT0_T1_T2_jT3_P12ihipStream_tbPNSt15iterator_traitsISH_E10value_typeEPNSN_ISI_E10value_typeEPSJ_NS1_7vsmem_tEENKUlT_SH_SI_SJ_E_clIS9_S9_PlSD_EESG_SW_SH_SI_SJ_EUlSW_E_NS1_11comp_targetILNS1_3genE2ELNS1_11target_archE906ELNS1_3gpuE6ELNS1_3repE0EEENS1_48merge_mergepath_partition_config_static_selectorELNS0_4arch9wavefront6targetE1EEEvSI_.numbered_sgpr, 10
	.set _ZN7rocprim17ROCPRIM_400000_NS6detail17trampoline_kernelINS0_14default_configENS1_38merge_sort_block_merge_config_selectorIN3c108BFloat16ElEEZZNS1_27merge_sort_block_merge_implIS3_PS6_N6thrust23THRUST_200600_302600_NS10device_ptrIlEEmNSB_4lessIS6_EEEE10hipError_tT0_T1_T2_jT3_P12ihipStream_tbPNSt15iterator_traitsISH_E10value_typeEPNSN_ISI_E10value_typeEPSJ_NS1_7vsmem_tEENKUlT_SH_SI_SJ_E_clIS9_S9_PlSD_EESG_SW_SH_SI_SJ_EUlSW_E_NS1_11comp_targetILNS1_3genE2ELNS1_11target_archE906ELNS1_3gpuE6ELNS1_3repE0EEENS1_48merge_mergepath_partition_config_static_selectorELNS0_4arch9wavefront6targetE1EEEvSI_.num_named_barrier, 0
	.set _ZN7rocprim17ROCPRIM_400000_NS6detail17trampoline_kernelINS0_14default_configENS1_38merge_sort_block_merge_config_selectorIN3c108BFloat16ElEEZZNS1_27merge_sort_block_merge_implIS3_PS6_N6thrust23THRUST_200600_302600_NS10device_ptrIlEEmNSB_4lessIS6_EEEE10hipError_tT0_T1_T2_jT3_P12ihipStream_tbPNSt15iterator_traitsISH_E10value_typeEPNSN_ISI_E10value_typeEPSJ_NS1_7vsmem_tEENKUlT_SH_SI_SJ_E_clIS9_S9_PlSD_EESG_SW_SH_SI_SJ_EUlSW_E_NS1_11comp_targetILNS1_3genE2ELNS1_11target_archE906ELNS1_3gpuE6ELNS1_3repE0EEENS1_48merge_mergepath_partition_config_static_selectorELNS0_4arch9wavefront6targetE1EEEvSI_.private_seg_size, 0
	.set _ZN7rocprim17ROCPRIM_400000_NS6detail17trampoline_kernelINS0_14default_configENS1_38merge_sort_block_merge_config_selectorIN3c108BFloat16ElEEZZNS1_27merge_sort_block_merge_implIS3_PS6_N6thrust23THRUST_200600_302600_NS10device_ptrIlEEmNSB_4lessIS6_EEEE10hipError_tT0_T1_T2_jT3_P12ihipStream_tbPNSt15iterator_traitsISH_E10value_typeEPNSN_ISI_E10value_typeEPSJ_NS1_7vsmem_tEENKUlT_SH_SI_SJ_E_clIS9_S9_PlSD_EESG_SW_SH_SI_SJ_EUlSW_E_NS1_11comp_targetILNS1_3genE2ELNS1_11target_archE906ELNS1_3gpuE6ELNS1_3repE0EEENS1_48merge_mergepath_partition_config_static_selectorELNS0_4arch9wavefront6targetE1EEEvSI_.uses_vcc, 1
	.set _ZN7rocprim17ROCPRIM_400000_NS6detail17trampoline_kernelINS0_14default_configENS1_38merge_sort_block_merge_config_selectorIN3c108BFloat16ElEEZZNS1_27merge_sort_block_merge_implIS3_PS6_N6thrust23THRUST_200600_302600_NS10device_ptrIlEEmNSB_4lessIS6_EEEE10hipError_tT0_T1_T2_jT3_P12ihipStream_tbPNSt15iterator_traitsISH_E10value_typeEPNSN_ISI_E10value_typeEPSJ_NS1_7vsmem_tEENKUlT_SH_SI_SJ_E_clIS9_S9_PlSD_EESG_SW_SH_SI_SJ_EUlSW_E_NS1_11comp_targetILNS1_3genE2ELNS1_11target_archE906ELNS1_3gpuE6ELNS1_3repE0EEENS1_48merge_mergepath_partition_config_static_selectorELNS0_4arch9wavefront6targetE1EEEvSI_.uses_flat_scratch, 0
	.set _ZN7rocprim17ROCPRIM_400000_NS6detail17trampoline_kernelINS0_14default_configENS1_38merge_sort_block_merge_config_selectorIN3c108BFloat16ElEEZZNS1_27merge_sort_block_merge_implIS3_PS6_N6thrust23THRUST_200600_302600_NS10device_ptrIlEEmNSB_4lessIS6_EEEE10hipError_tT0_T1_T2_jT3_P12ihipStream_tbPNSt15iterator_traitsISH_E10value_typeEPNSN_ISI_E10value_typeEPSJ_NS1_7vsmem_tEENKUlT_SH_SI_SJ_E_clIS9_S9_PlSD_EESG_SW_SH_SI_SJ_EUlSW_E_NS1_11comp_targetILNS1_3genE2ELNS1_11target_archE906ELNS1_3gpuE6ELNS1_3repE0EEENS1_48merge_mergepath_partition_config_static_selectorELNS0_4arch9wavefront6targetE1EEEvSI_.has_dyn_sized_stack, 0
	.set _ZN7rocprim17ROCPRIM_400000_NS6detail17trampoline_kernelINS0_14default_configENS1_38merge_sort_block_merge_config_selectorIN3c108BFloat16ElEEZZNS1_27merge_sort_block_merge_implIS3_PS6_N6thrust23THRUST_200600_302600_NS10device_ptrIlEEmNSB_4lessIS6_EEEE10hipError_tT0_T1_T2_jT3_P12ihipStream_tbPNSt15iterator_traitsISH_E10value_typeEPNSN_ISI_E10value_typeEPSJ_NS1_7vsmem_tEENKUlT_SH_SI_SJ_E_clIS9_S9_PlSD_EESG_SW_SH_SI_SJ_EUlSW_E_NS1_11comp_targetILNS1_3genE2ELNS1_11target_archE906ELNS1_3gpuE6ELNS1_3repE0EEENS1_48merge_mergepath_partition_config_static_selectorELNS0_4arch9wavefront6targetE1EEEvSI_.has_recursion, 0
	.set _ZN7rocprim17ROCPRIM_400000_NS6detail17trampoline_kernelINS0_14default_configENS1_38merge_sort_block_merge_config_selectorIN3c108BFloat16ElEEZZNS1_27merge_sort_block_merge_implIS3_PS6_N6thrust23THRUST_200600_302600_NS10device_ptrIlEEmNSB_4lessIS6_EEEE10hipError_tT0_T1_T2_jT3_P12ihipStream_tbPNSt15iterator_traitsISH_E10value_typeEPNSN_ISI_E10value_typeEPSJ_NS1_7vsmem_tEENKUlT_SH_SI_SJ_E_clIS9_S9_PlSD_EESG_SW_SH_SI_SJ_EUlSW_E_NS1_11comp_targetILNS1_3genE2ELNS1_11target_archE906ELNS1_3gpuE6ELNS1_3repE0EEENS1_48merge_mergepath_partition_config_static_selectorELNS0_4arch9wavefront6targetE1EEEvSI_.has_indirect_call, 0
	.section	.AMDGPU.csdata,"",@progbits
; Kernel info:
; codeLenInByte = 496
; TotalNumSgprs: 14
; NumVgprs: 19
; ScratchSize: 0
; MemoryBound: 0
; FloatMode: 240
; IeeeMode: 1
; LDSByteSize: 0 bytes/workgroup (compile time only)
; SGPRBlocks: 1
; VGPRBlocks: 4
; NumSGPRsForWavesPerEU: 14
; NumVGPRsForWavesPerEU: 19
; Occupancy: 10
; WaveLimiterHint : 0
; COMPUTE_PGM_RSRC2:SCRATCH_EN: 0
; COMPUTE_PGM_RSRC2:USER_SGPR: 6
; COMPUTE_PGM_RSRC2:TRAP_HANDLER: 0
; COMPUTE_PGM_RSRC2:TGID_X_EN: 1
; COMPUTE_PGM_RSRC2:TGID_Y_EN: 0
; COMPUTE_PGM_RSRC2:TGID_Z_EN: 0
; COMPUTE_PGM_RSRC2:TIDIG_COMP_CNT: 0
	.section	.text._ZN7rocprim17ROCPRIM_400000_NS6detail17trampoline_kernelINS0_14default_configENS1_38merge_sort_block_merge_config_selectorIN3c108BFloat16ElEEZZNS1_27merge_sort_block_merge_implIS3_PS6_N6thrust23THRUST_200600_302600_NS10device_ptrIlEEmNSB_4lessIS6_EEEE10hipError_tT0_T1_T2_jT3_P12ihipStream_tbPNSt15iterator_traitsISH_E10value_typeEPNSN_ISI_E10value_typeEPSJ_NS1_7vsmem_tEENKUlT_SH_SI_SJ_E_clIS9_S9_PlSD_EESG_SW_SH_SI_SJ_EUlSW_E_NS1_11comp_targetILNS1_3genE9ELNS1_11target_archE1100ELNS1_3gpuE3ELNS1_3repE0EEENS1_48merge_mergepath_partition_config_static_selectorELNS0_4arch9wavefront6targetE1EEEvSI_,"axG",@progbits,_ZN7rocprim17ROCPRIM_400000_NS6detail17trampoline_kernelINS0_14default_configENS1_38merge_sort_block_merge_config_selectorIN3c108BFloat16ElEEZZNS1_27merge_sort_block_merge_implIS3_PS6_N6thrust23THRUST_200600_302600_NS10device_ptrIlEEmNSB_4lessIS6_EEEE10hipError_tT0_T1_T2_jT3_P12ihipStream_tbPNSt15iterator_traitsISH_E10value_typeEPNSN_ISI_E10value_typeEPSJ_NS1_7vsmem_tEENKUlT_SH_SI_SJ_E_clIS9_S9_PlSD_EESG_SW_SH_SI_SJ_EUlSW_E_NS1_11comp_targetILNS1_3genE9ELNS1_11target_archE1100ELNS1_3gpuE3ELNS1_3repE0EEENS1_48merge_mergepath_partition_config_static_selectorELNS0_4arch9wavefront6targetE1EEEvSI_,comdat
	.protected	_ZN7rocprim17ROCPRIM_400000_NS6detail17trampoline_kernelINS0_14default_configENS1_38merge_sort_block_merge_config_selectorIN3c108BFloat16ElEEZZNS1_27merge_sort_block_merge_implIS3_PS6_N6thrust23THRUST_200600_302600_NS10device_ptrIlEEmNSB_4lessIS6_EEEE10hipError_tT0_T1_T2_jT3_P12ihipStream_tbPNSt15iterator_traitsISH_E10value_typeEPNSN_ISI_E10value_typeEPSJ_NS1_7vsmem_tEENKUlT_SH_SI_SJ_E_clIS9_S9_PlSD_EESG_SW_SH_SI_SJ_EUlSW_E_NS1_11comp_targetILNS1_3genE9ELNS1_11target_archE1100ELNS1_3gpuE3ELNS1_3repE0EEENS1_48merge_mergepath_partition_config_static_selectorELNS0_4arch9wavefront6targetE1EEEvSI_ ; -- Begin function _ZN7rocprim17ROCPRIM_400000_NS6detail17trampoline_kernelINS0_14default_configENS1_38merge_sort_block_merge_config_selectorIN3c108BFloat16ElEEZZNS1_27merge_sort_block_merge_implIS3_PS6_N6thrust23THRUST_200600_302600_NS10device_ptrIlEEmNSB_4lessIS6_EEEE10hipError_tT0_T1_T2_jT3_P12ihipStream_tbPNSt15iterator_traitsISH_E10value_typeEPNSN_ISI_E10value_typeEPSJ_NS1_7vsmem_tEENKUlT_SH_SI_SJ_E_clIS9_S9_PlSD_EESG_SW_SH_SI_SJ_EUlSW_E_NS1_11comp_targetILNS1_3genE9ELNS1_11target_archE1100ELNS1_3gpuE3ELNS1_3repE0EEENS1_48merge_mergepath_partition_config_static_selectorELNS0_4arch9wavefront6targetE1EEEvSI_
	.globl	_ZN7rocprim17ROCPRIM_400000_NS6detail17trampoline_kernelINS0_14default_configENS1_38merge_sort_block_merge_config_selectorIN3c108BFloat16ElEEZZNS1_27merge_sort_block_merge_implIS3_PS6_N6thrust23THRUST_200600_302600_NS10device_ptrIlEEmNSB_4lessIS6_EEEE10hipError_tT0_T1_T2_jT3_P12ihipStream_tbPNSt15iterator_traitsISH_E10value_typeEPNSN_ISI_E10value_typeEPSJ_NS1_7vsmem_tEENKUlT_SH_SI_SJ_E_clIS9_S9_PlSD_EESG_SW_SH_SI_SJ_EUlSW_E_NS1_11comp_targetILNS1_3genE9ELNS1_11target_archE1100ELNS1_3gpuE3ELNS1_3repE0EEENS1_48merge_mergepath_partition_config_static_selectorELNS0_4arch9wavefront6targetE1EEEvSI_
	.p2align	8
	.type	_ZN7rocprim17ROCPRIM_400000_NS6detail17trampoline_kernelINS0_14default_configENS1_38merge_sort_block_merge_config_selectorIN3c108BFloat16ElEEZZNS1_27merge_sort_block_merge_implIS3_PS6_N6thrust23THRUST_200600_302600_NS10device_ptrIlEEmNSB_4lessIS6_EEEE10hipError_tT0_T1_T2_jT3_P12ihipStream_tbPNSt15iterator_traitsISH_E10value_typeEPNSN_ISI_E10value_typeEPSJ_NS1_7vsmem_tEENKUlT_SH_SI_SJ_E_clIS9_S9_PlSD_EESG_SW_SH_SI_SJ_EUlSW_E_NS1_11comp_targetILNS1_3genE9ELNS1_11target_archE1100ELNS1_3gpuE3ELNS1_3repE0EEENS1_48merge_mergepath_partition_config_static_selectorELNS0_4arch9wavefront6targetE1EEEvSI_,@function
_ZN7rocprim17ROCPRIM_400000_NS6detail17trampoline_kernelINS0_14default_configENS1_38merge_sort_block_merge_config_selectorIN3c108BFloat16ElEEZZNS1_27merge_sort_block_merge_implIS3_PS6_N6thrust23THRUST_200600_302600_NS10device_ptrIlEEmNSB_4lessIS6_EEEE10hipError_tT0_T1_T2_jT3_P12ihipStream_tbPNSt15iterator_traitsISH_E10value_typeEPNSN_ISI_E10value_typeEPSJ_NS1_7vsmem_tEENKUlT_SH_SI_SJ_E_clIS9_S9_PlSD_EESG_SW_SH_SI_SJ_EUlSW_E_NS1_11comp_targetILNS1_3genE9ELNS1_11target_archE1100ELNS1_3gpuE3ELNS1_3repE0EEENS1_48merge_mergepath_partition_config_static_selectorELNS0_4arch9wavefront6targetE1EEEvSI_: ; @_ZN7rocprim17ROCPRIM_400000_NS6detail17trampoline_kernelINS0_14default_configENS1_38merge_sort_block_merge_config_selectorIN3c108BFloat16ElEEZZNS1_27merge_sort_block_merge_implIS3_PS6_N6thrust23THRUST_200600_302600_NS10device_ptrIlEEmNSB_4lessIS6_EEEE10hipError_tT0_T1_T2_jT3_P12ihipStream_tbPNSt15iterator_traitsISH_E10value_typeEPNSN_ISI_E10value_typeEPSJ_NS1_7vsmem_tEENKUlT_SH_SI_SJ_E_clIS9_S9_PlSD_EESG_SW_SH_SI_SJ_EUlSW_E_NS1_11comp_targetILNS1_3genE9ELNS1_11target_archE1100ELNS1_3gpuE3ELNS1_3repE0EEENS1_48merge_mergepath_partition_config_static_selectorELNS0_4arch9wavefront6targetE1EEEvSI_
; %bb.0:
	.section	.rodata,"a",@progbits
	.p2align	6, 0x0
	.amdhsa_kernel _ZN7rocprim17ROCPRIM_400000_NS6detail17trampoline_kernelINS0_14default_configENS1_38merge_sort_block_merge_config_selectorIN3c108BFloat16ElEEZZNS1_27merge_sort_block_merge_implIS3_PS6_N6thrust23THRUST_200600_302600_NS10device_ptrIlEEmNSB_4lessIS6_EEEE10hipError_tT0_T1_T2_jT3_P12ihipStream_tbPNSt15iterator_traitsISH_E10value_typeEPNSN_ISI_E10value_typeEPSJ_NS1_7vsmem_tEENKUlT_SH_SI_SJ_E_clIS9_S9_PlSD_EESG_SW_SH_SI_SJ_EUlSW_E_NS1_11comp_targetILNS1_3genE9ELNS1_11target_archE1100ELNS1_3gpuE3ELNS1_3repE0EEENS1_48merge_mergepath_partition_config_static_selectorELNS0_4arch9wavefront6targetE1EEEvSI_
		.amdhsa_group_segment_fixed_size 0
		.amdhsa_private_segment_fixed_size 0
		.amdhsa_kernarg_size 48
		.amdhsa_user_sgpr_count 6
		.amdhsa_user_sgpr_private_segment_buffer 1
		.amdhsa_user_sgpr_dispatch_ptr 0
		.amdhsa_user_sgpr_queue_ptr 0
		.amdhsa_user_sgpr_kernarg_segment_ptr 1
		.amdhsa_user_sgpr_dispatch_id 0
		.amdhsa_user_sgpr_flat_scratch_init 0
		.amdhsa_user_sgpr_private_segment_size 0
		.amdhsa_uses_dynamic_stack 0
		.amdhsa_system_sgpr_private_segment_wavefront_offset 0
		.amdhsa_system_sgpr_workgroup_id_x 1
		.amdhsa_system_sgpr_workgroup_id_y 0
		.amdhsa_system_sgpr_workgroup_id_z 0
		.amdhsa_system_sgpr_workgroup_info 0
		.amdhsa_system_vgpr_workitem_id 0
		.amdhsa_next_free_vgpr 1
		.amdhsa_next_free_sgpr 0
		.amdhsa_reserve_vcc 0
		.amdhsa_reserve_flat_scratch 0
		.amdhsa_float_round_mode_32 0
		.amdhsa_float_round_mode_16_64 0
		.amdhsa_float_denorm_mode_32 3
		.amdhsa_float_denorm_mode_16_64 3
		.amdhsa_dx10_clamp 1
		.amdhsa_ieee_mode 1
		.amdhsa_fp16_overflow 0
		.amdhsa_exception_fp_ieee_invalid_op 0
		.amdhsa_exception_fp_denorm_src 0
		.amdhsa_exception_fp_ieee_div_zero 0
		.amdhsa_exception_fp_ieee_overflow 0
		.amdhsa_exception_fp_ieee_underflow 0
		.amdhsa_exception_fp_ieee_inexact 0
		.amdhsa_exception_int_div_zero 0
	.end_amdhsa_kernel
	.section	.text._ZN7rocprim17ROCPRIM_400000_NS6detail17trampoline_kernelINS0_14default_configENS1_38merge_sort_block_merge_config_selectorIN3c108BFloat16ElEEZZNS1_27merge_sort_block_merge_implIS3_PS6_N6thrust23THRUST_200600_302600_NS10device_ptrIlEEmNSB_4lessIS6_EEEE10hipError_tT0_T1_T2_jT3_P12ihipStream_tbPNSt15iterator_traitsISH_E10value_typeEPNSN_ISI_E10value_typeEPSJ_NS1_7vsmem_tEENKUlT_SH_SI_SJ_E_clIS9_S9_PlSD_EESG_SW_SH_SI_SJ_EUlSW_E_NS1_11comp_targetILNS1_3genE9ELNS1_11target_archE1100ELNS1_3gpuE3ELNS1_3repE0EEENS1_48merge_mergepath_partition_config_static_selectorELNS0_4arch9wavefront6targetE1EEEvSI_,"axG",@progbits,_ZN7rocprim17ROCPRIM_400000_NS6detail17trampoline_kernelINS0_14default_configENS1_38merge_sort_block_merge_config_selectorIN3c108BFloat16ElEEZZNS1_27merge_sort_block_merge_implIS3_PS6_N6thrust23THRUST_200600_302600_NS10device_ptrIlEEmNSB_4lessIS6_EEEE10hipError_tT0_T1_T2_jT3_P12ihipStream_tbPNSt15iterator_traitsISH_E10value_typeEPNSN_ISI_E10value_typeEPSJ_NS1_7vsmem_tEENKUlT_SH_SI_SJ_E_clIS9_S9_PlSD_EESG_SW_SH_SI_SJ_EUlSW_E_NS1_11comp_targetILNS1_3genE9ELNS1_11target_archE1100ELNS1_3gpuE3ELNS1_3repE0EEENS1_48merge_mergepath_partition_config_static_selectorELNS0_4arch9wavefront6targetE1EEEvSI_,comdat
.Lfunc_end1984:
	.size	_ZN7rocprim17ROCPRIM_400000_NS6detail17trampoline_kernelINS0_14default_configENS1_38merge_sort_block_merge_config_selectorIN3c108BFloat16ElEEZZNS1_27merge_sort_block_merge_implIS3_PS6_N6thrust23THRUST_200600_302600_NS10device_ptrIlEEmNSB_4lessIS6_EEEE10hipError_tT0_T1_T2_jT3_P12ihipStream_tbPNSt15iterator_traitsISH_E10value_typeEPNSN_ISI_E10value_typeEPSJ_NS1_7vsmem_tEENKUlT_SH_SI_SJ_E_clIS9_S9_PlSD_EESG_SW_SH_SI_SJ_EUlSW_E_NS1_11comp_targetILNS1_3genE9ELNS1_11target_archE1100ELNS1_3gpuE3ELNS1_3repE0EEENS1_48merge_mergepath_partition_config_static_selectorELNS0_4arch9wavefront6targetE1EEEvSI_, .Lfunc_end1984-_ZN7rocprim17ROCPRIM_400000_NS6detail17trampoline_kernelINS0_14default_configENS1_38merge_sort_block_merge_config_selectorIN3c108BFloat16ElEEZZNS1_27merge_sort_block_merge_implIS3_PS6_N6thrust23THRUST_200600_302600_NS10device_ptrIlEEmNSB_4lessIS6_EEEE10hipError_tT0_T1_T2_jT3_P12ihipStream_tbPNSt15iterator_traitsISH_E10value_typeEPNSN_ISI_E10value_typeEPSJ_NS1_7vsmem_tEENKUlT_SH_SI_SJ_E_clIS9_S9_PlSD_EESG_SW_SH_SI_SJ_EUlSW_E_NS1_11comp_targetILNS1_3genE9ELNS1_11target_archE1100ELNS1_3gpuE3ELNS1_3repE0EEENS1_48merge_mergepath_partition_config_static_selectorELNS0_4arch9wavefront6targetE1EEEvSI_
                                        ; -- End function
	.set _ZN7rocprim17ROCPRIM_400000_NS6detail17trampoline_kernelINS0_14default_configENS1_38merge_sort_block_merge_config_selectorIN3c108BFloat16ElEEZZNS1_27merge_sort_block_merge_implIS3_PS6_N6thrust23THRUST_200600_302600_NS10device_ptrIlEEmNSB_4lessIS6_EEEE10hipError_tT0_T1_T2_jT3_P12ihipStream_tbPNSt15iterator_traitsISH_E10value_typeEPNSN_ISI_E10value_typeEPSJ_NS1_7vsmem_tEENKUlT_SH_SI_SJ_E_clIS9_S9_PlSD_EESG_SW_SH_SI_SJ_EUlSW_E_NS1_11comp_targetILNS1_3genE9ELNS1_11target_archE1100ELNS1_3gpuE3ELNS1_3repE0EEENS1_48merge_mergepath_partition_config_static_selectorELNS0_4arch9wavefront6targetE1EEEvSI_.num_vgpr, 0
	.set _ZN7rocprim17ROCPRIM_400000_NS6detail17trampoline_kernelINS0_14default_configENS1_38merge_sort_block_merge_config_selectorIN3c108BFloat16ElEEZZNS1_27merge_sort_block_merge_implIS3_PS6_N6thrust23THRUST_200600_302600_NS10device_ptrIlEEmNSB_4lessIS6_EEEE10hipError_tT0_T1_T2_jT3_P12ihipStream_tbPNSt15iterator_traitsISH_E10value_typeEPNSN_ISI_E10value_typeEPSJ_NS1_7vsmem_tEENKUlT_SH_SI_SJ_E_clIS9_S9_PlSD_EESG_SW_SH_SI_SJ_EUlSW_E_NS1_11comp_targetILNS1_3genE9ELNS1_11target_archE1100ELNS1_3gpuE3ELNS1_3repE0EEENS1_48merge_mergepath_partition_config_static_selectorELNS0_4arch9wavefront6targetE1EEEvSI_.num_agpr, 0
	.set _ZN7rocprim17ROCPRIM_400000_NS6detail17trampoline_kernelINS0_14default_configENS1_38merge_sort_block_merge_config_selectorIN3c108BFloat16ElEEZZNS1_27merge_sort_block_merge_implIS3_PS6_N6thrust23THRUST_200600_302600_NS10device_ptrIlEEmNSB_4lessIS6_EEEE10hipError_tT0_T1_T2_jT3_P12ihipStream_tbPNSt15iterator_traitsISH_E10value_typeEPNSN_ISI_E10value_typeEPSJ_NS1_7vsmem_tEENKUlT_SH_SI_SJ_E_clIS9_S9_PlSD_EESG_SW_SH_SI_SJ_EUlSW_E_NS1_11comp_targetILNS1_3genE9ELNS1_11target_archE1100ELNS1_3gpuE3ELNS1_3repE0EEENS1_48merge_mergepath_partition_config_static_selectorELNS0_4arch9wavefront6targetE1EEEvSI_.numbered_sgpr, 0
	.set _ZN7rocprim17ROCPRIM_400000_NS6detail17trampoline_kernelINS0_14default_configENS1_38merge_sort_block_merge_config_selectorIN3c108BFloat16ElEEZZNS1_27merge_sort_block_merge_implIS3_PS6_N6thrust23THRUST_200600_302600_NS10device_ptrIlEEmNSB_4lessIS6_EEEE10hipError_tT0_T1_T2_jT3_P12ihipStream_tbPNSt15iterator_traitsISH_E10value_typeEPNSN_ISI_E10value_typeEPSJ_NS1_7vsmem_tEENKUlT_SH_SI_SJ_E_clIS9_S9_PlSD_EESG_SW_SH_SI_SJ_EUlSW_E_NS1_11comp_targetILNS1_3genE9ELNS1_11target_archE1100ELNS1_3gpuE3ELNS1_3repE0EEENS1_48merge_mergepath_partition_config_static_selectorELNS0_4arch9wavefront6targetE1EEEvSI_.num_named_barrier, 0
	.set _ZN7rocprim17ROCPRIM_400000_NS6detail17trampoline_kernelINS0_14default_configENS1_38merge_sort_block_merge_config_selectorIN3c108BFloat16ElEEZZNS1_27merge_sort_block_merge_implIS3_PS6_N6thrust23THRUST_200600_302600_NS10device_ptrIlEEmNSB_4lessIS6_EEEE10hipError_tT0_T1_T2_jT3_P12ihipStream_tbPNSt15iterator_traitsISH_E10value_typeEPNSN_ISI_E10value_typeEPSJ_NS1_7vsmem_tEENKUlT_SH_SI_SJ_E_clIS9_S9_PlSD_EESG_SW_SH_SI_SJ_EUlSW_E_NS1_11comp_targetILNS1_3genE9ELNS1_11target_archE1100ELNS1_3gpuE3ELNS1_3repE0EEENS1_48merge_mergepath_partition_config_static_selectorELNS0_4arch9wavefront6targetE1EEEvSI_.private_seg_size, 0
	.set _ZN7rocprim17ROCPRIM_400000_NS6detail17trampoline_kernelINS0_14default_configENS1_38merge_sort_block_merge_config_selectorIN3c108BFloat16ElEEZZNS1_27merge_sort_block_merge_implIS3_PS6_N6thrust23THRUST_200600_302600_NS10device_ptrIlEEmNSB_4lessIS6_EEEE10hipError_tT0_T1_T2_jT3_P12ihipStream_tbPNSt15iterator_traitsISH_E10value_typeEPNSN_ISI_E10value_typeEPSJ_NS1_7vsmem_tEENKUlT_SH_SI_SJ_E_clIS9_S9_PlSD_EESG_SW_SH_SI_SJ_EUlSW_E_NS1_11comp_targetILNS1_3genE9ELNS1_11target_archE1100ELNS1_3gpuE3ELNS1_3repE0EEENS1_48merge_mergepath_partition_config_static_selectorELNS0_4arch9wavefront6targetE1EEEvSI_.uses_vcc, 0
	.set _ZN7rocprim17ROCPRIM_400000_NS6detail17trampoline_kernelINS0_14default_configENS1_38merge_sort_block_merge_config_selectorIN3c108BFloat16ElEEZZNS1_27merge_sort_block_merge_implIS3_PS6_N6thrust23THRUST_200600_302600_NS10device_ptrIlEEmNSB_4lessIS6_EEEE10hipError_tT0_T1_T2_jT3_P12ihipStream_tbPNSt15iterator_traitsISH_E10value_typeEPNSN_ISI_E10value_typeEPSJ_NS1_7vsmem_tEENKUlT_SH_SI_SJ_E_clIS9_S9_PlSD_EESG_SW_SH_SI_SJ_EUlSW_E_NS1_11comp_targetILNS1_3genE9ELNS1_11target_archE1100ELNS1_3gpuE3ELNS1_3repE0EEENS1_48merge_mergepath_partition_config_static_selectorELNS0_4arch9wavefront6targetE1EEEvSI_.uses_flat_scratch, 0
	.set _ZN7rocprim17ROCPRIM_400000_NS6detail17trampoline_kernelINS0_14default_configENS1_38merge_sort_block_merge_config_selectorIN3c108BFloat16ElEEZZNS1_27merge_sort_block_merge_implIS3_PS6_N6thrust23THRUST_200600_302600_NS10device_ptrIlEEmNSB_4lessIS6_EEEE10hipError_tT0_T1_T2_jT3_P12ihipStream_tbPNSt15iterator_traitsISH_E10value_typeEPNSN_ISI_E10value_typeEPSJ_NS1_7vsmem_tEENKUlT_SH_SI_SJ_E_clIS9_S9_PlSD_EESG_SW_SH_SI_SJ_EUlSW_E_NS1_11comp_targetILNS1_3genE9ELNS1_11target_archE1100ELNS1_3gpuE3ELNS1_3repE0EEENS1_48merge_mergepath_partition_config_static_selectorELNS0_4arch9wavefront6targetE1EEEvSI_.has_dyn_sized_stack, 0
	.set _ZN7rocprim17ROCPRIM_400000_NS6detail17trampoline_kernelINS0_14default_configENS1_38merge_sort_block_merge_config_selectorIN3c108BFloat16ElEEZZNS1_27merge_sort_block_merge_implIS3_PS6_N6thrust23THRUST_200600_302600_NS10device_ptrIlEEmNSB_4lessIS6_EEEE10hipError_tT0_T1_T2_jT3_P12ihipStream_tbPNSt15iterator_traitsISH_E10value_typeEPNSN_ISI_E10value_typeEPSJ_NS1_7vsmem_tEENKUlT_SH_SI_SJ_E_clIS9_S9_PlSD_EESG_SW_SH_SI_SJ_EUlSW_E_NS1_11comp_targetILNS1_3genE9ELNS1_11target_archE1100ELNS1_3gpuE3ELNS1_3repE0EEENS1_48merge_mergepath_partition_config_static_selectorELNS0_4arch9wavefront6targetE1EEEvSI_.has_recursion, 0
	.set _ZN7rocprim17ROCPRIM_400000_NS6detail17trampoline_kernelINS0_14default_configENS1_38merge_sort_block_merge_config_selectorIN3c108BFloat16ElEEZZNS1_27merge_sort_block_merge_implIS3_PS6_N6thrust23THRUST_200600_302600_NS10device_ptrIlEEmNSB_4lessIS6_EEEE10hipError_tT0_T1_T2_jT3_P12ihipStream_tbPNSt15iterator_traitsISH_E10value_typeEPNSN_ISI_E10value_typeEPSJ_NS1_7vsmem_tEENKUlT_SH_SI_SJ_E_clIS9_S9_PlSD_EESG_SW_SH_SI_SJ_EUlSW_E_NS1_11comp_targetILNS1_3genE9ELNS1_11target_archE1100ELNS1_3gpuE3ELNS1_3repE0EEENS1_48merge_mergepath_partition_config_static_selectorELNS0_4arch9wavefront6targetE1EEEvSI_.has_indirect_call, 0
	.section	.AMDGPU.csdata,"",@progbits
; Kernel info:
; codeLenInByte = 0
; TotalNumSgprs: 4
; NumVgprs: 0
; ScratchSize: 0
; MemoryBound: 0
; FloatMode: 240
; IeeeMode: 1
; LDSByteSize: 0 bytes/workgroup (compile time only)
; SGPRBlocks: 0
; VGPRBlocks: 0
; NumSGPRsForWavesPerEU: 4
; NumVGPRsForWavesPerEU: 1
; Occupancy: 10
; WaveLimiterHint : 0
; COMPUTE_PGM_RSRC2:SCRATCH_EN: 0
; COMPUTE_PGM_RSRC2:USER_SGPR: 6
; COMPUTE_PGM_RSRC2:TRAP_HANDLER: 0
; COMPUTE_PGM_RSRC2:TGID_X_EN: 1
; COMPUTE_PGM_RSRC2:TGID_Y_EN: 0
; COMPUTE_PGM_RSRC2:TGID_Z_EN: 0
; COMPUTE_PGM_RSRC2:TIDIG_COMP_CNT: 0
	.section	.text._ZN7rocprim17ROCPRIM_400000_NS6detail17trampoline_kernelINS0_14default_configENS1_38merge_sort_block_merge_config_selectorIN3c108BFloat16ElEEZZNS1_27merge_sort_block_merge_implIS3_PS6_N6thrust23THRUST_200600_302600_NS10device_ptrIlEEmNSB_4lessIS6_EEEE10hipError_tT0_T1_T2_jT3_P12ihipStream_tbPNSt15iterator_traitsISH_E10value_typeEPNSN_ISI_E10value_typeEPSJ_NS1_7vsmem_tEENKUlT_SH_SI_SJ_E_clIS9_S9_PlSD_EESG_SW_SH_SI_SJ_EUlSW_E_NS1_11comp_targetILNS1_3genE8ELNS1_11target_archE1030ELNS1_3gpuE2ELNS1_3repE0EEENS1_48merge_mergepath_partition_config_static_selectorELNS0_4arch9wavefront6targetE1EEEvSI_,"axG",@progbits,_ZN7rocprim17ROCPRIM_400000_NS6detail17trampoline_kernelINS0_14default_configENS1_38merge_sort_block_merge_config_selectorIN3c108BFloat16ElEEZZNS1_27merge_sort_block_merge_implIS3_PS6_N6thrust23THRUST_200600_302600_NS10device_ptrIlEEmNSB_4lessIS6_EEEE10hipError_tT0_T1_T2_jT3_P12ihipStream_tbPNSt15iterator_traitsISH_E10value_typeEPNSN_ISI_E10value_typeEPSJ_NS1_7vsmem_tEENKUlT_SH_SI_SJ_E_clIS9_S9_PlSD_EESG_SW_SH_SI_SJ_EUlSW_E_NS1_11comp_targetILNS1_3genE8ELNS1_11target_archE1030ELNS1_3gpuE2ELNS1_3repE0EEENS1_48merge_mergepath_partition_config_static_selectorELNS0_4arch9wavefront6targetE1EEEvSI_,comdat
	.protected	_ZN7rocprim17ROCPRIM_400000_NS6detail17trampoline_kernelINS0_14default_configENS1_38merge_sort_block_merge_config_selectorIN3c108BFloat16ElEEZZNS1_27merge_sort_block_merge_implIS3_PS6_N6thrust23THRUST_200600_302600_NS10device_ptrIlEEmNSB_4lessIS6_EEEE10hipError_tT0_T1_T2_jT3_P12ihipStream_tbPNSt15iterator_traitsISH_E10value_typeEPNSN_ISI_E10value_typeEPSJ_NS1_7vsmem_tEENKUlT_SH_SI_SJ_E_clIS9_S9_PlSD_EESG_SW_SH_SI_SJ_EUlSW_E_NS1_11comp_targetILNS1_3genE8ELNS1_11target_archE1030ELNS1_3gpuE2ELNS1_3repE0EEENS1_48merge_mergepath_partition_config_static_selectorELNS0_4arch9wavefront6targetE1EEEvSI_ ; -- Begin function _ZN7rocprim17ROCPRIM_400000_NS6detail17trampoline_kernelINS0_14default_configENS1_38merge_sort_block_merge_config_selectorIN3c108BFloat16ElEEZZNS1_27merge_sort_block_merge_implIS3_PS6_N6thrust23THRUST_200600_302600_NS10device_ptrIlEEmNSB_4lessIS6_EEEE10hipError_tT0_T1_T2_jT3_P12ihipStream_tbPNSt15iterator_traitsISH_E10value_typeEPNSN_ISI_E10value_typeEPSJ_NS1_7vsmem_tEENKUlT_SH_SI_SJ_E_clIS9_S9_PlSD_EESG_SW_SH_SI_SJ_EUlSW_E_NS1_11comp_targetILNS1_3genE8ELNS1_11target_archE1030ELNS1_3gpuE2ELNS1_3repE0EEENS1_48merge_mergepath_partition_config_static_selectorELNS0_4arch9wavefront6targetE1EEEvSI_
	.globl	_ZN7rocprim17ROCPRIM_400000_NS6detail17trampoline_kernelINS0_14default_configENS1_38merge_sort_block_merge_config_selectorIN3c108BFloat16ElEEZZNS1_27merge_sort_block_merge_implIS3_PS6_N6thrust23THRUST_200600_302600_NS10device_ptrIlEEmNSB_4lessIS6_EEEE10hipError_tT0_T1_T2_jT3_P12ihipStream_tbPNSt15iterator_traitsISH_E10value_typeEPNSN_ISI_E10value_typeEPSJ_NS1_7vsmem_tEENKUlT_SH_SI_SJ_E_clIS9_S9_PlSD_EESG_SW_SH_SI_SJ_EUlSW_E_NS1_11comp_targetILNS1_3genE8ELNS1_11target_archE1030ELNS1_3gpuE2ELNS1_3repE0EEENS1_48merge_mergepath_partition_config_static_selectorELNS0_4arch9wavefront6targetE1EEEvSI_
	.p2align	8
	.type	_ZN7rocprim17ROCPRIM_400000_NS6detail17trampoline_kernelINS0_14default_configENS1_38merge_sort_block_merge_config_selectorIN3c108BFloat16ElEEZZNS1_27merge_sort_block_merge_implIS3_PS6_N6thrust23THRUST_200600_302600_NS10device_ptrIlEEmNSB_4lessIS6_EEEE10hipError_tT0_T1_T2_jT3_P12ihipStream_tbPNSt15iterator_traitsISH_E10value_typeEPNSN_ISI_E10value_typeEPSJ_NS1_7vsmem_tEENKUlT_SH_SI_SJ_E_clIS9_S9_PlSD_EESG_SW_SH_SI_SJ_EUlSW_E_NS1_11comp_targetILNS1_3genE8ELNS1_11target_archE1030ELNS1_3gpuE2ELNS1_3repE0EEENS1_48merge_mergepath_partition_config_static_selectorELNS0_4arch9wavefront6targetE1EEEvSI_,@function
_ZN7rocprim17ROCPRIM_400000_NS6detail17trampoline_kernelINS0_14default_configENS1_38merge_sort_block_merge_config_selectorIN3c108BFloat16ElEEZZNS1_27merge_sort_block_merge_implIS3_PS6_N6thrust23THRUST_200600_302600_NS10device_ptrIlEEmNSB_4lessIS6_EEEE10hipError_tT0_T1_T2_jT3_P12ihipStream_tbPNSt15iterator_traitsISH_E10value_typeEPNSN_ISI_E10value_typeEPSJ_NS1_7vsmem_tEENKUlT_SH_SI_SJ_E_clIS9_S9_PlSD_EESG_SW_SH_SI_SJ_EUlSW_E_NS1_11comp_targetILNS1_3genE8ELNS1_11target_archE1030ELNS1_3gpuE2ELNS1_3repE0EEENS1_48merge_mergepath_partition_config_static_selectorELNS0_4arch9wavefront6targetE1EEEvSI_: ; @_ZN7rocprim17ROCPRIM_400000_NS6detail17trampoline_kernelINS0_14default_configENS1_38merge_sort_block_merge_config_selectorIN3c108BFloat16ElEEZZNS1_27merge_sort_block_merge_implIS3_PS6_N6thrust23THRUST_200600_302600_NS10device_ptrIlEEmNSB_4lessIS6_EEEE10hipError_tT0_T1_T2_jT3_P12ihipStream_tbPNSt15iterator_traitsISH_E10value_typeEPNSN_ISI_E10value_typeEPSJ_NS1_7vsmem_tEENKUlT_SH_SI_SJ_E_clIS9_S9_PlSD_EESG_SW_SH_SI_SJ_EUlSW_E_NS1_11comp_targetILNS1_3genE8ELNS1_11target_archE1030ELNS1_3gpuE2ELNS1_3repE0EEENS1_48merge_mergepath_partition_config_static_selectorELNS0_4arch9wavefront6targetE1EEEvSI_
; %bb.0:
	.section	.rodata,"a",@progbits
	.p2align	6, 0x0
	.amdhsa_kernel _ZN7rocprim17ROCPRIM_400000_NS6detail17trampoline_kernelINS0_14default_configENS1_38merge_sort_block_merge_config_selectorIN3c108BFloat16ElEEZZNS1_27merge_sort_block_merge_implIS3_PS6_N6thrust23THRUST_200600_302600_NS10device_ptrIlEEmNSB_4lessIS6_EEEE10hipError_tT0_T1_T2_jT3_P12ihipStream_tbPNSt15iterator_traitsISH_E10value_typeEPNSN_ISI_E10value_typeEPSJ_NS1_7vsmem_tEENKUlT_SH_SI_SJ_E_clIS9_S9_PlSD_EESG_SW_SH_SI_SJ_EUlSW_E_NS1_11comp_targetILNS1_3genE8ELNS1_11target_archE1030ELNS1_3gpuE2ELNS1_3repE0EEENS1_48merge_mergepath_partition_config_static_selectorELNS0_4arch9wavefront6targetE1EEEvSI_
		.amdhsa_group_segment_fixed_size 0
		.amdhsa_private_segment_fixed_size 0
		.amdhsa_kernarg_size 48
		.amdhsa_user_sgpr_count 6
		.amdhsa_user_sgpr_private_segment_buffer 1
		.amdhsa_user_sgpr_dispatch_ptr 0
		.amdhsa_user_sgpr_queue_ptr 0
		.amdhsa_user_sgpr_kernarg_segment_ptr 1
		.amdhsa_user_sgpr_dispatch_id 0
		.amdhsa_user_sgpr_flat_scratch_init 0
		.amdhsa_user_sgpr_private_segment_size 0
		.amdhsa_uses_dynamic_stack 0
		.amdhsa_system_sgpr_private_segment_wavefront_offset 0
		.amdhsa_system_sgpr_workgroup_id_x 1
		.amdhsa_system_sgpr_workgroup_id_y 0
		.amdhsa_system_sgpr_workgroup_id_z 0
		.amdhsa_system_sgpr_workgroup_info 0
		.amdhsa_system_vgpr_workitem_id 0
		.amdhsa_next_free_vgpr 1
		.amdhsa_next_free_sgpr 0
		.amdhsa_reserve_vcc 0
		.amdhsa_reserve_flat_scratch 0
		.amdhsa_float_round_mode_32 0
		.amdhsa_float_round_mode_16_64 0
		.amdhsa_float_denorm_mode_32 3
		.amdhsa_float_denorm_mode_16_64 3
		.amdhsa_dx10_clamp 1
		.amdhsa_ieee_mode 1
		.amdhsa_fp16_overflow 0
		.amdhsa_exception_fp_ieee_invalid_op 0
		.amdhsa_exception_fp_denorm_src 0
		.amdhsa_exception_fp_ieee_div_zero 0
		.amdhsa_exception_fp_ieee_overflow 0
		.amdhsa_exception_fp_ieee_underflow 0
		.amdhsa_exception_fp_ieee_inexact 0
		.amdhsa_exception_int_div_zero 0
	.end_amdhsa_kernel
	.section	.text._ZN7rocprim17ROCPRIM_400000_NS6detail17trampoline_kernelINS0_14default_configENS1_38merge_sort_block_merge_config_selectorIN3c108BFloat16ElEEZZNS1_27merge_sort_block_merge_implIS3_PS6_N6thrust23THRUST_200600_302600_NS10device_ptrIlEEmNSB_4lessIS6_EEEE10hipError_tT0_T1_T2_jT3_P12ihipStream_tbPNSt15iterator_traitsISH_E10value_typeEPNSN_ISI_E10value_typeEPSJ_NS1_7vsmem_tEENKUlT_SH_SI_SJ_E_clIS9_S9_PlSD_EESG_SW_SH_SI_SJ_EUlSW_E_NS1_11comp_targetILNS1_3genE8ELNS1_11target_archE1030ELNS1_3gpuE2ELNS1_3repE0EEENS1_48merge_mergepath_partition_config_static_selectorELNS0_4arch9wavefront6targetE1EEEvSI_,"axG",@progbits,_ZN7rocprim17ROCPRIM_400000_NS6detail17trampoline_kernelINS0_14default_configENS1_38merge_sort_block_merge_config_selectorIN3c108BFloat16ElEEZZNS1_27merge_sort_block_merge_implIS3_PS6_N6thrust23THRUST_200600_302600_NS10device_ptrIlEEmNSB_4lessIS6_EEEE10hipError_tT0_T1_T2_jT3_P12ihipStream_tbPNSt15iterator_traitsISH_E10value_typeEPNSN_ISI_E10value_typeEPSJ_NS1_7vsmem_tEENKUlT_SH_SI_SJ_E_clIS9_S9_PlSD_EESG_SW_SH_SI_SJ_EUlSW_E_NS1_11comp_targetILNS1_3genE8ELNS1_11target_archE1030ELNS1_3gpuE2ELNS1_3repE0EEENS1_48merge_mergepath_partition_config_static_selectorELNS0_4arch9wavefront6targetE1EEEvSI_,comdat
.Lfunc_end1985:
	.size	_ZN7rocprim17ROCPRIM_400000_NS6detail17trampoline_kernelINS0_14default_configENS1_38merge_sort_block_merge_config_selectorIN3c108BFloat16ElEEZZNS1_27merge_sort_block_merge_implIS3_PS6_N6thrust23THRUST_200600_302600_NS10device_ptrIlEEmNSB_4lessIS6_EEEE10hipError_tT0_T1_T2_jT3_P12ihipStream_tbPNSt15iterator_traitsISH_E10value_typeEPNSN_ISI_E10value_typeEPSJ_NS1_7vsmem_tEENKUlT_SH_SI_SJ_E_clIS9_S9_PlSD_EESG_SW_SH_SI_SJ_EUlSW_E_NS1_11comp_targetILNS1_3genE8ELNS1_11target_archE1030ELNS1_3gpuE2ELNS1_3repE0EEENS1_48merge_mergepath_partition_config_static_selectorELNS0_4arch9wavefront6targetE1EEEvSI_, .Lfunc_end1985-_ZN7rocprim17ROCPRIM_400000_NS6detail17trampoline_kernelINS0_14default_configENS1_38merge_sort_block_merge_config_selectorIN3c108BFloat16ElEEZZNS1_27merge_sort_block_merge_implIS3_PS6_N6thrust23THRUST_200600_302600_NS10device_ptrIlEEmNSB_4lessIS6_EEEE10hipError_tT0_T1_T2_jT3_P12ihipStream_tbPNSt15iterator_traitsISH_E10value_typeEPNSN_ISI_E10value_typeEPSJ_NS1_7vsmem_tEENKUlT_SH_SI_SJ_E_clIS9_S9_PlSD_EESG_SW_SH_SI_SJ_EUlSW_E_NS1_11comp_targetILNS1_3genE8ELNS1_11target_archE1030ELNS1_3gpuE2ELNS1_3repE0EEENS1_48merge_mergepath_partition_config_static_selectorELNS0_4arch9wavefront6targetE1EEEvSI_
                                        ; -- End function
	.set _ZN7rocprim17ROCPRIM_400000_NS6detail17trampoline_kernelINS0_14default_configENS1_38merge_sort_block_merge_config_selectorIN3c108BFloat16ElEEZZNS1_27merge_sort_block_merge_implIS3_PS6_N6thrust23THRUST_200600_302600_NS10device_ptrIlEEmNSB_4lessIS6_EEEE10hipError_tT0_T1_T2_jT3_P12ihipStream_tbPNSt15iterator_traitsISH_E10value_typeEPNSN_ISI_E10value_typeEPSJ_NS1_7vsmem_tEENKUlT_SH_SI_SJ_E_clIS9_S9_PlSD_EESG_SW_SH_SI_SJ_EUlSW_E_NS1_11comp_targetILNS1_3genE8ELNS1_11target_archE1030ELNS1_3gpuE2ELNS1_3repE0EEENS1_48merge_mergepath_partition_config_static_selectorELNS0_4arch9wavefront6targetE1EEEvSI_.num_vgpr, 0
	.set _ZN7rocprim17ROCPRIM_400000_NS6detail17trampoline_kernelINS0_14default_configENS1_38merge_sort_block_merge_config_selectorIN3c108BFloat16ElEEZZNS1_27merge_sort_block_merge_implIS3_PS6_N6thrust23THRUST_200600_302600_NS10device_ptrIlEEmNSB_4lessIS6_EEEE10hipError_tT0_T1_T2_jT3_P12ihipStream_tbPNSt15iterator_traitsISH_E10value_typeEPNSN_ISI_E10value_typeEPSJ_NS1_7vsmem_tEENKUlT_SH_SI_SJ_E_clIS9_S9_PlSD_EESG_SW_SH_SI_SJ_EUlSW_E_NS1_11comp_targetILNS1_3genE8ELNS1_11target_archE1030ELNS1_3gpuE2ELNS1_3repE0EEENS1_48merge_mergepath_partition_config_static_selectorELNS0_4arch9wavefront6targetE1EEEvSI_.num_agpr, 0
	.set _ZN7rocprim17ROCPRIM_400000_NS6detail17trampoline_kernelINS0_14default_configENS1_38merge_sort_block_merge_config_selectorIN3c108BFloat16ElEEZZNS1_27merge_sort_block_merge_implIS3_PS6_N6thrust23THRUST_200600_302600_NS10device_ptrIlEEmNSB_4lessIS6_EEEE10hipError_tT0_T1_T2_jT3_P12ihipStream_tbPNSt15iterator_traitsISH_E10value_typeEPNSN_ISI_E10value_typeEPSJ_NS1_7vsmem_tEENKUlT_SH_SI_SJ_E_clIS9_S9_PlSD_EESG_SW_SH_SI_SJ_EUlSW_E_NS1_11comp_targetILNS1_3genE8ELNS1_11target_archE1030ELNS1_3gpuE2ELNS1_3repE0EEENS1_48merge_mergepath_partition_config_static_selectorELNS0_4arch9wavefront6targetE1EEEvSI_.numbered_sgpr, 0
	.set _ZN7rocprim17ROCPRIM_400000_NS6detail17trampoline_kernelINS0_14default_configENS1_38merge_sort_block_merge_config_selectorIN3c108BFloat16ElEEZZNS1_27merge_sort_block_merge_implIS3_PS6_N6thrust23THRUST_200600_302600_NS10device_ptrIlEEmNSB_4lessIS6_EEEE10hipError_tT0_T1_T2_jT3_P12ihipStream_tbPNSt15iterator_traitsISH_E10value_typeEPNSN_ISI_E10value_typeEPSJ_NS1_7vsmem_tEENKUlT_SH_SI_SJ_E_clIS9_S9_PlSD_EESG_SW_SH_SI_SJ_EUlSW_E_NS1_11comp_targetILNS1_3genE8ELNS1_11target_archE1030ELNS1_3gpuE2ELNS1_3repE0EEENS1_48merge_mergepath_partition_config_static_selectorELNS0_4arch9wavefront6targetE1EEEvSI_.num_named_barrier, 0
	.set _ZN7rocprim17ROCPRIM_400000_NS6detail17trampoline_kernelINS0_14default_configENS1_38merge_sort_block_merge_config_selectorIN3c108BFloat16ElEEZZNS1_27merge_sort_block_merge_implIS3_PS6_N6thrust23THRUST_200600_302600_NS10device_ptrIlEEmNSB_4lessIS6_EEEE10hipError_tT0_T1_T2_jT3_P12ihipStream_tbPNSt15iterator_traitsISH_E10value_typeEPNSN_ISI_E10value_typeEPSJ_NS1_7vsmem_tEENKUlT_SH_SI_SJ_E_clIS9_S9_PlSD_EESG_SW_SH_SI_SJ_EUlSW_E_NS1_11comp_targetILNS1_3genE8ELNS1_11target_archE1030ELNS1_3gpuE2ELNS1_3repE0EEENS1_48merge_mergepath_partition_config_static_selectorELNS0_4arch9wavefront6targetE1EEEvSI_.private_seg_size, 0
	.set _ZN7rocprim17ROCPRIM_400000_NS6detail17trampoline_kernelINS0_14default_configENS1_38merge_sort_block_merge_config_selectorIN3c108BFloat16ElEEZZNS1_27merge_sort_block_merge_implIS3_PS6_N6thrust23THRUST_200600_302600_NS10device_ptrIlEEmNSB_4lessIS6_EEEE10hipError_tT0_T1_T2_jT3_P12ihipStream_tbPNSt15iterator_traitsISH_E10value_typeEPNSN_ISI_E10value_typeEPSJ_NS1_7vsmem_tEENKUlT_SH_SI_SJ_E_clIS9_S9_PlSD_EESG_SW_SH_SI_SJ_EUlSW_E_NS1_11comp_targetILNS1_3genE8ELNS1_11target_archE1030ELNS1_3gpuE2ELNS1_3repE0EEENS1_48merge_mergepath_partition_config_static_selectorELNS0_4arch9wavefront6targetE1EEEvSI_.uses_vcc, 0
	.set _ZN7rocprim17ROCPRIM_400000_NS6detail17trampoline_kernelINS0_14default_configENS1_38merge_sort_block_merge_config_selectorIN3c108BFloat16ElEEZZNS1_27merge_sort_block_merge_implIS3_PS6_N6thrust23THRUST_200600_302600_NS10device_ptrIlEEmNSB_4lessIS6_EEEE10hipError_tT0_T1_T2_jT3_P12ihipStream_tbPNSt15iterator_traitsISH_E10value_typeEPNSN_ISI_E10value_typeEPSJ_NS1_7vsmem_tEENKUlT_SH_SI_SJ_E_clIS9_S9_PlSD_EESG_SW_SH_SI_SJ_EUlSW_E_NS1_11comp_targetILNS1_3genE8ELNS1_11target_archE1030ELNS1_3gpuE2ELNS1_3repE0EEENS1_48merge_mergepath_partition_config_static_selectorELNS0_4arch9wavefront6targetE1EEEvSI_.uses_flat_scratch, 0
	.set _ZN7rocprim17ROCPRIM_400000_NS6detail17trampoline_kernelINS0_14default_configENS1_38merge_sort_block_merge_config_selectorIN3c108BFloat16ElEEZZNS1_27merge_sort_block_merge_implIS3_PS6_N6thrust23THRUST_200600_302600_NS10device_ptrIlEEmNSB_4lessIS6_EEEE10hipError_tT0_T1_T2_jT3_P12ihipStream_tbPNSt15iterator_traitsISH_E10value_typeEPNSN_ISI_E10value_typeEPSJ_NS1_7vsmem_tEENKUlT_SH_SI_SJ_E_clIS9_S9_PlSD_EESG_SW_SH_SI_SJ_EUlSW_E_NS1_11comp_targetILNS1_3genE8ELNS1_11target_archE1030ELNS1_3gpuE2ELNS1_3repE0EEENS1_48merge_mergepath_partition_config_static_selectorELNS0_4arch9wavefront6targetE1EEEvSI_.has_dyn_sized_stack, 0
	.set _ZN7rocprim17ROCPRIM_400000_NS6detail17trampoline_kernelINS0_14default_configENS1_38merge_sort_block_merge_config_selectorIN3c108BFloat16ElEEZZNS1_27merge_sort_block_merge_implIS3_PS6_N6thrust23THRUST_200600_302600_NS10device_ptrIlEEmNSB_4lessIS6_EEEE10hipError_tT0_T1_T2_jT3_P12ihipStream_tbPNSt15iterator_traitsISH_E10value_typeEPNSN_ISI_E10value_typeEPSJ_NS1_7vsmem_tEENKUlT_SH_SI_SJ_E_clIS9_S9_PlSD_EESG_SW_SH_SI_SJ_EUlSW_E_NS1_11comp_targetILNS1_3genE8ELNS1_11target_archE1030ELNS1_3gpuE2ELNS1_3repE0EEENS1_48merge_mergepath_partition_config_static_selectorELNS0_4arch9wavefront6targetE1EEEvSI_.has_recursion, 0
	.set _ZN7rocprim17ROCPRIM_400000_NS6detail17trampoline_kernelINS0_14default_configENS1_38merge_sort_block_merge_config_selectorIN3c108BFloat16ElEEZZNS1_27merge_sort_block_merge_implIS3_PS6_N6thrust23THRUST_200600_302600_NS10device_ptrIlEEmNSB_4lessIS6_EEEE10hipError_tT0_T1_T2_jT3_P12ihipStream_tbPNSt15iterator_traitsISH_E10value_typeEPNSN_ISI_E10value_typeEPSJ_NS1_7vsmem_tEENKUlT_SH_SI_SJ_E_clIS9_S9_PlSD_EESG_SW_SH_SI_SJ_EUlSW_E_NS1_11comp_targetILNS1_3genE8ELNS1_11target_archE1030ELNS1_3gpuE2ELNS1_3repE0EEENS1_48merge_mergepath_partition_config_static_selectorELNS0_4arch9wavefront6targetE1EEEvSI_.has_indirect_call, 0
	.section	.AMDGPU.csdata,"",@progbits
; Kernel info:
; codeLenInByte = 0
; TotalNumSgprs: 4
; NumVgprs: 0
; ScratchSize: 0
; MemoryBound: 0
; FloatMode: 240
; IeeeMode: 1
; LDSByteSize: 0 bytes/workgroup (compile time only)
; SGPRBlocks: 0
; VGPRBlocks: 0
; NumSGPRsForWavesPerEU: 4
; NumVGPRsForWavesPerEU: 1
; Occupancy: 10
; WaveLimiterHint : 0
; COMPUTE_PGM_RSRC2:SCRATCH_EN: 0
; COMPUTE_PGM_RSRC2:USER_SGPR: 6
; COMPUTE_PGM_RSRC2:TRAP_HANDLER: 0
; COMPUTE_PGM_RSRC2:TGID_X_EN: 1
; COMPUTE_PGM_RSRC2:TGID_Y_EN: 0
; COMPUTE_PGM_RSRC2:TGID_Z_EN: 0
; COMPUTE_PGM_RSRC2:TIDIG_COMP_CNT: 0
	.section	.text._ZN7rocprim17ROCPRIM_400000_NS6detail17trampoline_kernelINS0_14default_configENS1_38merge_sort_block_merge_config_selectorIN3c108BFloat16ElEEZZNS1_27merge_sort_block_merge_implIS3_PS6_N6thrust23THRUST_200600_302600_NS10device_ptrIlEEmNSB_4lessIS6_EEEE10hipError_tT0_T1_T2_jT3_P12ihipStream_tbPNSt15iterator_traitsISH_E10value_typeEPNSN_ISI_E10value_typeEPSJ_NS1_7vsmem_tEENKUlT_SH_SI_SJ_E_clIS9_S9_PlSD_EESG_SW_SH_SI_SJ_EUlSW_E0_NS1_11comp_targetILNS1_3genE0ELNS1_11target_archE4294967295ELNS1_3gpuE0ELNS1_3repE0EEENS1_38merge_mergepath_config_static_selectorELNS0_4arch9wavefront6targetE1EEEvSI_,"axG",@progbits,_ZN7rocprim17ROCPRIM_400000_NS6detail17trampoline_kernelINS0_14default_configENS1_38merge_sort_block_merge_config_selectorIN3c108BFloat16ElEEZZNS1_27merge_sort_block_merge_implIS3_PS6_N6thrust23THRUST_200600_302600_NS10device_ptrIlEEmNSB_4lessIS6_EEEE10hipError_tT0_T1_T2_jT3_P12ihipStream_tbPNSt15iterator_traitsISH_E10value_typeEPNSN_ISI_E10value_typeEPSJ_NS1_7vsmem_tEENKUlT_SH_SI_SJ_E_clIS9_S9_PlSD_EESG_SW_SH_SI_SJ_EUlSW_E0_NS1_11comp_targetILNS1_3genE0ELNS1_11target_archE4294967295ELNS1_3gpuE0ELNS1_3repE0EEENS1_38merge_mergepath_config_static_selectorELNS0_4arch9wavefront6targetE1EEEvSI_,comdat
	.protected	_ZN7rocprim17ROCPRIM_400000_NS6detail17trampoline_kernelINS0_14default_configENS1_38merge_sort_block_merge_config_selectorIN3c108BFloat16ElEEZZNS1_27merge_sort_block_merge_implIS3_PS6_N6thrust23THRUST_200600_302600_NS10device_ptrIlEEmNSB_4lessIS6_EEEE10hipError_tT0_T1_T2_jT3_P12ihipStream_tbPNSt15iterator_traitsISH_E10value_typeEPNSN_ISI_E10value_typeEPSJ_NS1_7vsmem_tEENKUlT_SH_SI_SJ_E_clIS9_S9_PlSD_EESG_SW_SH_SI_SJ_EUlSW_E0_NS1_11comp_targetILNS1_3genE0ELNS1_11target_archE4294967295ELNS1_3gpuE0ELNS1_3repE0EEENS1_38merge_mergepath_config_static_selectorELNS0_4arch9wavefront6targetE1EEEvSI_ ; -- Begin function _ZN7rocprim17ROCPRIM_400000_NS6detail17trampoline_kernelINS0_14default_configENS1_38merge_sort_block_merge_config_selectorIN3c108BFloat16ElEEZZNS1_27merge_sort_block_merge_implIS3_PS6_N6thrust23THRUST_200600_302600_NS10device_ptrIlEEmNSB_4lessIS6_EEEE10hipError_tT0_T1_T2_jT3_P12ihipStream_tbPNSt15iterator_traitsISH_E10value_typeEPNSN_ISI_E10value_typeEPSJ_NS1_7vsmem_tEENKUlT_SH_SI_SJ_E_clIS9_S9_PlSD_EESG_SW_SH_SI_SJ_EUlSW_E0_NS1_11comp_targetILNS1_3genE0ELNS1_11target_archE4294967295ELNS1_3gpuE0ELNS1_3repE0EEENS1_38merge_mergepath_config_static_selectorELNS0_4arch9wavefront6targetE1EEEvSI_
	.globl	_ZN7rocprim17ROCPRIM_400000_NS6detail17trampoline_kernelINS0_14default_configENS1_38merge_sort_block_merge_config_selectorIN3c108BFloat16ElEEZZNS1_27merge_sort_block_merge_implIS3_PS6_N6thrust23THRUST_200600_302600_NS10device_ptrIlEEmNSB_4lessIS6_EEEE10hipError_tT0_T1_T2_jT3_P12ihipStream_tbPNSt15iterator_traitsISH_E10value_typeEPNSN_ISI_E10value_typeEPSJ_NS1_7vsmem_tEENKUlT_SH_SI_SJ_E_clIS9_S9_PlSD_EESG_SW_SH_SI_SJ_EUlSW_E0_NS1_11comp_targetILNS1_3genE0ELNS1_11target_archE4294967295ELNS1_3gpuE0ELNS1_3repE0EEENS1_38merge_mergepath_config_static_selectorELNS0_4arch9wavefront6targetE1EEEvSI_
	.p2align	8
	.type	_ZN7rocprim17ROCPRIM_400000_NS6detail17trampoline_kernelINS0_14default_configENS1_38merge_sort_block_merge_config_selectorIN3c108BFloat16ElEEZZNS1_27merge_sort_block_merge_implIS3_PS6_N6thrust23THRUST_200600_302600_NS10device_ptrIlEEmNSB_4lessIS6_EEEE10hipError_tT0_T1_T2_jT3_P12ihipStream_tbPNSt15iterator_traitsISH_E10value_typeEPNSN_ISI_E10value_typeEPSJ_NS1_7vsmem_tEENKUlT_SH_SI_SJ_E_clIS9_S9_PlSD_EESG_SW_SH_SI_SJ_EUlSW_E0_NS1_11comp_targetILNS1_3genE0ELNS1_11target_archE4294967295ELNS1_3gpuE0ELNS1_3repE0EEENS1_38merge_mergepath_config_static_selectorELNS0_4arch9wavefront6targetE1EEEvSI_,@function
_ZN7rocprim17ROCPRIM_400000_NS6detail17trampoline_kernelINS0_14default_configENS1_38merge_sort_block_merge_config_selectorIN3c108BFloat16ElEEZZNS1_27merge_sort_block_merge_implIS3_PS6_N6thrust23THRUST_200600_302600_NS10device_ptrIlEEmNSB_4lessIS6_EEEE10hipError_tT0_T1_T2_jT3_P12ihipStream_tbPNSt15iterator_traitsISH_E10value_typeEPNSN_ISI_E10value_typeEPSJ_NS1_7vsmem_tEENKUlT_SH_SI_SJ_E_clIS9_S9_PlSD_EESG_SW_SH_SI_SJ_EUlSW_E0_NS1_11comp_targetILNS1_3genE0ELNS1_11target_archE4294967295ELNS1_3gpuE0ELNS1_3repE0EEENS1_38merge_mergepath_config_static_selectorELNS0_4arch9wavefront6targetE1EEEvSI_: ; @_ZN7rocprim17ROCPRIM_400000_NS6detail17trampoline_kernelINS0_14default_configENS1_38merge_sort_block_merge_config_selectorIN3c108BFloat16ElEEZZNS1_27merge_sort_block_merge_implIS3_PS6_N6thrust23THRUST_200600_302600_NS10device_ptrIlEEmNSB_4lessIS6_EEEE10hipError_tT0_T1_T2_jT3_P12ihipStream_tbPNSt15iterator_traitsISH_E10value_typeEPNSN_ISI_E10value_typeEPSJ_NS1_7vsmem_tEENKUlT_SH_SI_SJ_E_clIS9_S9_PlSD_EESG_SW_SH_SI_SJ_EUlSW_E0_NS1_11comp_targetILNS1_3genE0ELNS1_11target_archE4294967295ELNS1_3gpuE0ELNS1_3repE0EEENS1_38merge_mergepath_config_static_selectorELNS0_4arch9wavefront6targetE1EEEvSI_
; %bb.0:
	.section	.rodata,"a",@progbits
	.p2align	6, 0x0
	.amdhsa_kernel _ZN7rocprim17ROCPRIM_400000_NS6detail17trampoline_kernelINS0_14default_configENS1_38merge_sort_block_merge_config_selectorIN3c108BFloat16ElEEZZNS1_27merge_sort_block_merge_implIS3_PS6_N6thrust23THRUST_200600_302600_NS10device_ptrIlEEmNSB_4lessIS6_EEEE10hipError_tT0_T1_T2_jT3_P12ihipStream_tbPNSt15iterator_traitsISH_E10value_typeEPNSN_ISI_E10value_typeEPSJ_NS1_7vsmem_tEENKUlT_SH_SI_SJ_E_clIS9_S9_PlSD_EESG_SW_SH_SI_SJ_EUlSW_E0_NS1_11comp_targetILNS1_3genE0ELNS1_11target_archE4294967295ELNS1_3gpuE0ELNS1_3repE0EEENS1_38merge_mergepath_config_static_selectorELNS0_4arch9wavefront6targetE1EEEvSI_
		.amdhsa_group_segment_fixed_size 0
		.amdhsa_private_segment_fixed_size 0
		.amdhsa_kernarg_size 72
		.amdhsa_user_sgpr_count 6
		.amdhsa_user_sgpr_private_segment_buffer 1
		.amdhsa_user_sgpr_dispatch_ptr 0
		.amdhsa_user_sgpr_queue_ptr 0
		.amdhsa_user_sgpr_kernarg_segment_ptr 1
		.amdhsa_user_sgpr_dispatch_id 0
		.amdhsa_user_sgpr_flat_scratch_init 0
		.amdhsa_user_sgpr_private_segment_size 0
		.amdhsa_uses_dynamic_stack 0
		.amdhsa_system_sgpr_private_segment_wavefront_offset 0
		.amdhsa_system_sgpr_workgroup_id_x 1
		.amdhsa_system_sgpr_workgroup_id_y 0
		.amdhsa_system_sgpr_workgroup_id_z 0
		.amdhsa_system_sgpr_workgroup_info 0
		.amdhsa_system_vgpr_workitem_id 0
		.amdhsa_next_free_vgpr 1
		.amdhsa_next_free_sgpr 0
		.amdhsa_reserve_vcc 0
		.amdhsa_reserve_flat_scratch 0
		.amdhsa_float_round_mode_32 0
		.amdhsa_float_round_mode_16_64 0
		.amdhsa_float_denorm_mode_32 3
		.amdhsa_float_denorm_mode_16_64 3
		.amdhsa_dx10_clamp 1
		.amdhsa_ieee_mode 1
		.amdhsa_fp16_overflow 0
		.amdhsa_exception_fp_ieee_invalid_op 0
		.amdhsa_exception_fp_denorm_src 0
		.amdhsa_exception_fp_ieee_div_zero 0
		.amdhsa_exception_fp_ieee_overflow 0
		.amdhsa_exception_fp_ieee_underflow 0
		.amdhsa_exception_fp_ieee_inexact 0
		.amdhsa_exception_int_div_zero 0
	.end_amdhsa_kernel
	.section	.text._ZN7rocprim17ROCPRIM_400000_NS6detail17trampoline_kernelINS0_14default_configENS1_38merge_sort_block_merge_config_selectorIN3c108BFloat16ElEEZZNS1_27merge_sort_block_merge_implIS3_PS6_N6thrust23THRUST_200600_302600_NS10device_ptrIlEEmNSB_4lessIS6_EEEE10hipError_tT0_T1_T2_jT3_P12ihipStream_tbPNSt15iterator_traitsISH_E10value_typeEPNSN_ISI_E10value_typeEPSJ_NS1_7vsmem_tEENKUlT_SH_SI_SJ_E_clIS9_S9_PlSD_EESG_SW_SH_SI_SJ_EUlSW_E0_NS1_11comp_targetILNS1_3genE0ELNS1_11target_archE4294967295ELNS1_3gpuE0ELNS1_3repE0EEENS1_38merge_mergepath_config_static_selectorELNS0_4arch9wavefront6targetE1EEEvSI_,"axG",@progbits,_ZN7rocprim17ROCPRIM_400000_NS6detail17trampoline_kernelINS0_14default_configENS1_38merge_sort_block_merge_config_selectorIN3c108BFloat16ElEEZZNS1_27merge_sort_block_merge_implIS3_PS6_N6thrust23THRUST_200600_302600_NS10device_ptrIlEEmNSB_4lessIS6_EEEE10hipError_tT0_T1_T2_jT3_P12ihipStream_tbPNSt15iterator_traitsISH_E10value_typeEPNSN_ISI_E10value_typeEPSJ_NS1_7vsmem_tEENKUlT_SH_SI_SJ_E_clIS9_S9_PlSD_EESG_SW_SH_SI_SJ_EUlSW_E0_NS1_11comp_targetILNS1_3genE0ELNS1_11target_archE4294967295ELNS1_3gpuE0ELNS1_3repE0EEENS1_38merge_mergepath_config_static_selectorELNS0_4arch9wavefront6targetE1EEEvSI_,comdat
.Lfunc_end1986:
	.size	_ZN7rocprim17ROCPRIM_400000_NS6detail17trampoline_kernelINS0_14default_configENS1_38merge_sort_block_merge_config_selectorIN3c108BFloat16ElEEZZNS1_27merge_sort_block_merge_implIS3_PS6_N6thrust23THRUST_200600_302600_NS10device_ptrIlEEmNSB_4lessIS6_EEEE10hipError_tT0_T1_T2_jT3_P12ihipStream_tbPNSt15iterator_traitsISH_E10value_typeEPNSN_ISI_E10value_typeEPSJ_NS1_7vsmem_tEENKUlT_SH_SI_SJ_E_clIS9_S9_PlSD_EESG_SW_SH_SI_SJ_EUlSW_E0_NS1_11comp_targetILNS1_3genE0ELNS1_11target_archE4294967295ELNS1_3gpuE0ELNS1_3repE0EEENS1_38merge_mergepath_config_static_selectorELNS0_4arch9wavefront6targetE1EEEvSI_, .Lfunc_end1986-_ZN7rocprim17ROCPRIM_400000_NS6detail17trampoline_kernelINS0_14default_configENS1_38merge_sort_block_merge_config_selectorIN3c108BFloat16ElEEZZNS1_27merge_sort_block_merge_implIS3_PS6_N6thrust23THRUST_200600_302600_NS10device_ptrIlEEmNSB_4lessIS6_EEEE10hipError_tT0_T1_T2_jT3_P12ihipStream_tbPNSt15iterator_traitsISH_E10value_typeEPNSN_ISI_E10value_typeEPSJ_NS1_7vsmem_tEENKUlT_SH_SI_SJ_E_clIS9_S9_PlSD_EESG_SW_SH_SI_SJ_EUlSW_E0_NS1_11comp_targetILNS1_3genE0ELNS1_11target_archE4294967295ELNS1_3gpuE0ELNS1_3repE0EEENS1_38merge_mergepath_config_static_selectorELNS0_4arch9wavefront6targetE1EEEvSI_
                                        ; -- End function
	.set _ZN7rocprim17ROCPRIM_400000_NS6detail17trampoline_kernelINS0_14default_configENS1_38merge_sort_block_merge_config_selectorIN3c108BFloat16ElEEZZNS1_27merge_sort_block_merge_implIS3_PS6_N6thrust23THRUST_200600_302600_NS10device_ptrIlEEmNSB_4lessIS6_EEEE10hipError_tT0_T1_T2_jT3_P12ihipStream_tbPNSt15iterator_traitsISH_E10value_typeEPNSN_ISI_E10value_typeEPSJ_NS1_7vsmem_tEENKUlT_SH_SI_SJ_E_clIS9_S9_PlSD_EESG_SW_SH_SI_SJ_EUlSW_E0_NS1_11comp_targetILNS1_3genE0ELNS1_11target_archE4294967295ELNS1_3gpuE0ELNS1_3repE0EEENS1_38merge_mergepath_config_static_selectorELNS0_4arch9wavefront6targetE1EEEvSI_.num_vgpr, 0
	.set _ZN7rocprim17ROCPRIM_400000_NS6detail17trampoline_kernelINS0_14default_configENS1_38merge_sort_block_merge_config_selectorIN3c108BFloat16ElEEZZNS1_27merge_sort_block_merge_implIS3_PS6_N6thrust23THRUST_200600_302600_NS10device_ptrIlEEmNSB_4lessIS6_EEEE10hipError_tT0_T1_T2_jT3_P12ihipStream_tbPNSt15iterator_traitsISH_E10value_typeEPNSN_ISI_E10value_typeEPSJ_NS1_7vsmem_tEENKUlT_SH_SI_SJ_E_clIS9_S9_PlSD_EESG_SW_SH_SI_SJ_EUlSW_E0_NS1_11comp_targetILNS1_3genE0ELNS1_11target_archE4294967295ELNS1_3gpuE0ELNS1_3repE0EEENS1_38merge_mergepath_config_static_selectorELNS0_4arch9wavefront6targetE1EEEvSI_.num_agpr, 0
	.set _ZN7rocprim17ROCPRIM_400000_NS6detail17trampoline_kernelINS0_14default_configENS1_38merge_sort_block_merge_config_selectorIN3c108BFloat16ElEEZZNS1_27merge_sort_block_merge_implIS3_PS6_N6thrust23THRUST_200600_302600_NS10device_ptrIlEEmNSB_4lessIS6_EEEE10hipError_tT0_T1_T2_jT3_P12ihipStream_tbPNSt15iterator_traitsISH_E10value_typeEPNSN_ISI_E10value_typeEPSJ_NS1_7vsmem_tEENKUlT_SH_SI_SJ_E_clIS9_S9_PlSD_EESG_SW_SH_SI_SJ_EUlSW_E0_NS1_11comp_targetILNS1_3genE0ELNS1_11target_archE4294967295ELNS1_3gpuE0ELNS1_3repE0EEENS1_38merge_mergepath_config_static_selectorELNS0_4arch9wavefront6targetE1EEEvSI_.numbered_sgpr, 0
	.set _ZN7rocprim17ROCPRIM_400000_NS6detail17trampoline_kernelINS0_14default_configENS1_38merge_sort_block_merge_config_selectorIN3c108BFloat16ElEEZZNS1_27merge_sort_block_merge_implIS3_PS6_N6thrust23THRUST_200600_302600_NS10device_ptrIlEEmNSB_4lessIS6_EEEE10hipError_tT0_T1_T2_jT3_P12ihipStream_tbPNSt15iterator_traitsISH_E10value_typeEPNSN_ISI_E10value_typeEPSJ_NS1_7vsmem_tEENKUlT_SH_SI_SJ_E_clIS9_S9_PlSD_EESG_SW_SH_SI_SJ_EUlSW_E0_NS1_11comp_targetILNS1_3genE0ELNS1_11target_archE4294967295ELNS1_3gpuE0ELNS1_3repE0EEENS1_38merge_mergepath_config_static_selectorELNS0_4arch9wavefront6targetE1EEEvSI_.num_named_barrier, 0
	.set _ZN7rocprim17ROCPRIM_400000_NS6detail17trampoline_kernelINS0_14default_configENS1_38merge_sort_block_merge_config_selectorIN3c108BFloat16ElEEZZNS1_27merge_sort_block_merge_implIS3_PS6_N6thrust23THRUST_200600_302600_NS10device_ptrIlEEmNSB_4lessIS6_EEEE10hipError_tT0_T1_T2_jT3_P12ihipStream_tbPNSt15iterator_traitsISH_E10value_typeEPNSN_ISI_E10value_typeEPSJ_NS1_7vsmem_tEENKUlT_SH_SI_SJ_E_clIS9_S9_PlSD_EESG_SW_SH_SI_SJ_EUlSW_E0_NS1_11comp_targetILNS1_3genE0ELNS1_11target_archE4294967295ELNS1_3gpuE0ELNS1_3repE0EEENS1_38merge_mergepath_config_static_selectorELNS0_4arch9wavefront6targetE1EEEvSI_.private_seg_size, 0
	.set _ZN7rocprim17ROCPRIM_400000_NS6detail17trampoline_kernelINS0_14default_configENS1_38merge_sort_block_merge_config_selectorIN3c108BFloat16ElEEZZNS1_27merge_sort_block_merge_implIS3_PS6_N6thrust23THRUST_200600_302600_NS10device_ptrIlEEmNSB_4lessIS6_EEEE10hipError_tT0_T1_T2_jT3_P12ihipStream_tbPNSt15iterator_traitsISH_E10value_typeEPNSN_ISI_E10value_typeEPSJ_NS1_7vsmem_tEENKUlT_SH_SI_SJ_E_clIS9_S9_PlSD_EESG_SW_SH_SI_SJ_EUlSW_E0_NS1_11comp_targetILNS1_3genE0ELNS1_11target_archE4294967295ELNS1_3gpuE0ELNS1_3repE0EEENS1_38merge_mergepath_config_static_selectorELNS0_4arch9wavefront6targetE1EEEvSI_.uses_vcc, 0
	.set _ZN7rocprim17ROCPRIM_400000_NS6detail17trampoline_kernelINS0_14default_configENS1_38merge_sort_block_merge_config_selectorIN3c108BFloat16ElEEZZNS1_27merge_sort_block_merge_implIS3_PS6_N6thrust23THRUST_200600_302600_NS10device_ptrIlEEmNSB_4lessIS6_EEEE10hipError_tT0_T1_T2_jT3_P12ihipStream_tbPNSt15iterator_traitsISH_E10value_typeEPNSN_ISI_E10value_typeEPSJ_NS1_7vsmem_tEENKUlT_SH_SI_SJ_E_clIS9_S9_PlSD_EESG_SW_SH_SI_SJ_EUlSW_E0_NS1_11comp_targetILNS1_3genE0ELNS1_11target_archE4294967295ELNS1_3gpuE0ELNS1_3repE0EEENS1_38merge_mergepath_config_static_selectorELNS0_4arch9wavefront6targetE1EEEvSI_.uses_flat_scratch, 0
	.set _ZN7rocprim17ROCPRIM_400000_NS6detail17trampoline_kernelINS0_14default_configENS1_38merge_sort_block_merge_config_selectorIN3c108BFloat16ElEEZZNS1_27merge_sort_block_merge_implIS3_PS6_N6thrust23THRUST_200600_302600_NS10device_ptrIlEEmNSB_4lessIS6_EEEE10hipError_tT0_T1_T2_jT3_P12ihipStream_tbPNSt15iterator_traitsISH_E10value_typeEPNSN_ISI_E10value_typeEPSJ_NS1_7vsmem_tEENKUlT_SH_SI_SJ_E_clIS9_S9_PlSD_EESG_SW_SH_SI_SJ_EUlSW_E0_NS1_11comp_targetILNS1_3genE0ELNS1_11target_archE4294967295ELNS1_3gpuE0ELNS1_3repE0EEENS1_38merge_mergepath_config_static_selectorELNS0_4arch9wavefront6targetE1EEEvSI_.has_dyn_sized_stack, 0
	.set _ZN7rocprim17ROCPRIM_400000_NS6detail17trampoline_kernelINS0_14default_configENS1_38merge_sort_block_merge_config_selectorIN3c108BFloat16ElEEZZNS1_27merge_sort_block_merge_implIS3_PS6_N6thrust23THRUST_200600_302600_NS10device_ptrIlEEmNSB_4lessIS6_EEEE10hipError_tT0_T1_T2_jT3_P12ihipStream_tbPNSt15iterator_traitsISH_E10value_typeEPNSN_ISI_E10value_typeEPSJ_NS1_7vsmem_tEENKUlT_SH_SI_SJ_E_clIS9_S9_PlSD_EESG_SW_SH_SI_SJ_EUlSW_E0_NS1_11comp_targetILNS1_3genE0ELNS1_11target_archE4294967295ELNS1_3gpuE0ELNS1_3repE0EEENS1_38merge_mergepath_config_static_selectorELNS0_4arch9wavefront6targetE1EEEvSI_.has_recursion, 0
	.set _ZN7rocprim17ROCPRIM_400000_NS6detail17trampoline_kernelINS0_14default_configENS1_38merge_sort_block_merge_config_selectorIN3c108BFloat16ElEEZZNS1_27merge_sort_block_merge_implIS3_PS6_N6thrust23THRUST_200600_302600_NS10device_ptrIlEEmNSB_4lessIS6_EEEE10hipError_tT0_T1_T2_jT3_P12ihipStream_tbPNSt15iterator_traitsISH_E10value_typeEPNSN_ISI_E10value_typeEPSJ_NS1_7vsmem_tEENKUlT_SH_SI_SJ_E_clIS9_S9_PlSD_EESG_SW_SH_SI_SJ_EUlSW_E0_NS1_11comp_targetILNS1_3genE0ELNS1_11target_archE4294967295ELNS1_3gpuE0ELNS1_3repE0EEENS1_38merge_mergepath_config_static_selectorELNS0_4arch9wavefront6targetE1EEEvSI_.has_indirect_call, 0
	.section	.AMDGPU.csdata,"",@progbits
; Kernel info:
; codeLenInByte = 0
; TotalNumSgprs: 4
; NumVgprs: 0
; ScratchSize: 0
; MemoryBound: 0
; FloatMode: 240
; IeeeMode: 1
; LDSByteSize: 0 bytes/workgroup (compile time only)
; SGPRBlocks: 0
; VGPRBlocks: 0
; NumSGPRsForWavesPerEU: 4
; NumVGPRsForWavesPerEU: 1
; Occupancy: 10
; WaveLimiterHint : 0
; COMPUTE_PGM_RSRC2:SCRATCH_EN: 0
; COMPUTE_PGM_RSRC2:USER_SGPR: 6
; COMPUTE_PGM_RSRC2:TRAP_HANDLER: 0
; COMPUTE_PGM_RSRC2:TGID_X_EN: 1
; COMPUTE_PGM_RSRC2:TGID_Y_EN: 0
; COMPUTE_PGM_RSRC2:TGID_Z_EN: 0
; COMPUTE_PGM_RSRC2:TIDIG_COMP_CNT: 0
	.section	.text._ZN7rocprim17ROCPRIM_400000_NS6detail17trampoline_kernelINS0_14default_configENS1_38merge_sort_block_merge_config_selectorIN3c108BFloat16ElEEZZNS1_27merge_sort_block_merge_implIS3_PS6_N6thrust23THRUST_200600_302600_NS10device_ptrIlEEmNSB_4lessIS6_EEEE10hipError_tT0_T1_T2_jT3_P12ihipStream_tbPNSt15iterator_traitsISH_E10value_typeEPNSN_ISI_E10value_typeEPSJ_NS1_7vsmem_tEENKUlT_SH_SI_SJ_E_clIS9_S9_PlSD_EESG_SW_SH_SI_SJ_EUlSW_E0_NS1_11comp_targetILNS1_3genE10ELNS1_11target_archE1201ELNS1_3gpuE5ELNS1_3repE0EEENS1_38merge_mergepath_config_static_selectorELNS0_4arch9wavefront6targetE1EEEvSI_,"axG",@progbits,_ZN7rocprim17ROCPRIM_400000_NS6detail17trampoline_kernelINS0_14default_configENS1_38merge_sort_block_merge_config_selectorIN3c108BFloat16ElEEZZNS1_27merge_sort_block_merge_implIS3_PS6_N6thrust23THRUST_200600_302600_NS10device_ptrIlEEmNSB_4lessIS6_EEEE10hipError_tT0_T1_T2_jT3_P12ihipStream_tbPNSt15iterator_traitsISH_E10value_typeEPNSN_ISI_E10value_typeEPSJ_NS1_7vsmem_tEENKUlT_SH_SI_SJ_E_clIS9_S9_PlSD_EESG_SW_SH_SI_SJ_EUlSW_E0_NS1_11comp_targetILNS1_3genE10ELNS1_11target_archE1201ELNS1_3gpuE5ELNS1_3repE0EEENS1_38merge_mergepath_config_static_selectorELNS0_4arch9wavefront6targetE1EEEvSI_,comdat
	.protected	_ZN7rocprim17ROCPRIM_400000_NS6detail17trampoline_kernelINS0_14default_configENS1_38merge_sort_block_merge_config_selectorIN3c108BFloat16ElEEZZNS1_27merge_sort_block_merge_implIS3_PS6_N6thrust23THRUST_200600_302600_NS10device_ptrIlEEmNSB_4lessIS6_EEEE10hipError_tT0_T1_T2_jT3_P12ihipStream_tbPNSt15iterator_traitsISH_E10value_typeEPNSN_ISI_E10value_typeEPSJ_NS1_7vsmem_tEENKUlT_SH_SI_SJ_E_clIS9_S9_PlSD_EESG_SW_SH_SI_SJ_EUlSW_E0_NS1_11comp_targetILNS1_3genE10ELNS1_11target_archE1201ELNS1_3gpuE5ELNS1_3repE0EEENS1_38merge_mergepath_config_static_selectorELNS0_4arch9wavefront6targetE1EEEvSI_ ; -- Begin function _ZN7rocprim17ROCPRIM_400000_NS6detail17trampoline_kernelINS0_14default_configENS1_38merge_sort_block_merge_config_selectorIN3c108BFloat16ElEEZZNS1_27merge_sort_block_merge_implIS3_PS6_N6thrust23THRUST_200600_302600_NS10device_ptrIlEEmNSB_4lessIS6_EEEE10hipError_tT0_T1_T2_jT3_P12ihipStream_tbPNSt15iterator_traitsISH_E10value_typeEPNSN_ISI_E10value_typeEPSJ_NS1_7vsmem_tEENKUlT_SH_SI_SJ_E_clIS9_S9_PlSD_EESG_SW_SH_SI_SJ_EUlSW_E0_NS1_11comp_targetILNS1_3genE10ELNS1_11target_archE1201ELNS1_3gpuE5ELNS1_3repE0EEENS1_38merge_mergepath_config_static_selectorELNS0_4arch9wavefront6targetE1EEEvSI_
	.globl	_ZN7rocprim17ROCPRIM_400000_NS6detail17trampoline_kernelINS0_14default_configENS1_38merge_sort_block_merge_config_selectorIN3c108BFloat16ElEEZZNS1_27merge_sort_block_merge_implIS3_PS6_N6thrust23THRUST_200600_302600_NS10device_ptrIlEEmNSB_4lessIS6_EEEE10hipError_tT0_T1_T2_jT3_P12ihipStream_tbPNSt15iterator_traitsISH_E10value_typeEPNSN_ISI_E10value_typeEPSJ_NS1_7vsmem_tEENKUlT_SH_SI_SJ_E_clIS9_S9_PlSD_EESG_SW_SH_SI_SJ_EUlSW_E0_NS1_11comp_targetILNS1_3genE10ELNS1_11target_archE1201ELNS1_3gpuE5ELNS1_3repE0EEENS1_38merge_mergepath_config_static_selectorELNS0_4arch9wavefront6targetE1EEEvSI_
	.p2align	8
	.type	_ZN7rocprim17ROCPRIM_400000_NS6detail17trampoline_kernelINS0_14default_configENS1_38merge_sort_block_merge_config_selectorIN3c108BFloat16ElEEZZNS1_27merge_sort_block_merge_implIS3_PS6_N6thrust23THRUST_200600_302600_NS10device_ptrIlEEmNSB_4lessIS6_EEEE10hipError_tT0_T1_T2_jT3_P12ihipStream_tbPNSt15iterator_traitsISH_E10value_typeEPNSN_ISI_E10value_typeEPSJ_NS1_7vsmem_tEENKUlT_SH_SI_SJ_E_clIS9_S9_PlSD_EESG_SW_SH_SI_SJ_EUlSW_E0_NS1_11comp_targetILNS1_3genE10ELNS1_11target_archE1201ELNS1_3gpuE5ELNS1_3repE0EEENS1_38merge_mergepath_config_static_selectorELNS0_4arch9wavefront6targetE1EEEvSI_,@function
_ZN7rocprim17ROCPRIM_400000_NS6detail17trampoline_kernelINS0_14default_configENS1_38merge_sort_block_merge_config_selectorIN3c108BFloat16ElEEZZNS1_27merge_sort_block_merge_implIS3_PS6_N6thrust23THRUST_200600_302600_NS10device_ptrIlEEmNSB_4lessIS6_EEEE10hipError_tT0_T1_T2_jT3_P12ihipStream_tbPNSt15iterator_traitsISH_E10value_typeEPNSN_ISI_E10value_typeEPSJ_NS1_7vsmem_tEENKUlT_SH_SI_SJ_E_clIS9_S9_PlSD_EESG_SW_SH_SI_SJ_EUlSW_E0_NS1_11comp_targetILNS1_3genE10ELNS1_11target_archE1201ELNS1_3gpuE5ELNS1_3repE0EEENS1_38merge_mergepath_config_static_selectorELNS0_4arch9wavefront6targetE1EEEvSI_: ; @_ZN7rocprim17ROCPRIM_400000_NS6detail17trampoline_kernelINS0_14default_configENS1_38merge_sort_block_merge_config_selectorIN3c108BFloat16ElEEZZNS1_27merge_sort_block_merge_implIS3_PS6_N6thrust23THRUST_200600_302600_NS10device_ptrIlEEmNSB_4lessIS6_EEEE10hipError_tT0_T1_T2_jT3_P12ihipStream_tbPNSt15iterator_traitsISH_E10value_typeEPNSN_ISI_E10value_typeEPSJ_NS1_7vsmem_tEENKUlT_SH_SI_SJ_E_clIS9_S9_PlSD_EESG_SW_SH_SI_SJ_EUlSW_E0_NS1_11comp_targetILNS1_3genE10ELNS1_11target_archE1201ELNS1_3gpuE5ELNS1_3repE0EEENS1_38merge_mergepath_config_static_selectorELNS0_4arch9wavefront6targetE1EEEvSI_
; %bb.0:
	.section	.rodata,"a",@progbits
	.p2align	6, 0x0
	.amdhsa_kernel _ZN7rocprim17ROCPRIM_400000_NS6detail17trampoline_kernelINS0_14default_configENS1_38merge_sort_block_merge_config_selectorIN3c108BFloat16ElEEZZNS1_27merge_sort_block_merge_implIS3_PS6_N6thrust23THRUST_200600_302600_NS10device_ptrIlEEmNSB_4lessIS6_EEEE10hipError_tT0_T1_T2_jT3_P12ihipStream_tbPNSt15iterator_traitsISH_E10value_typeEPNSN_ISI_E10value_typeEPSJ_NS1_7vsmem_tEENKUlT_SH_SI_SJ_E_clIS9_S9_PlSD_EESG_SW_SH_SI_SJ_EUlSW_E0_NS1_11comp_targetILNS1_3genE10ELNS1_11target_archE1201ELNS1_3gpuE5ELNS1_3repE0EEENS1_38merge_mergepath_config_static_selectorELNS0_4arch9wavefront6targetE1EEEvSI_
		.amdhsa_group_segment_fixed_size 0
		.amdhsa_private_segment_fixed_size 0
		.amdhsa_kernarg_size 72
		.amdhsa_user_sgpr_count 6
		.amdhsa_user_sgpr_private_segment_buffer 1
		.amdhsa_user_sgpr_dispatch_ptr 0
		.amdhsa_user_sgpr_queue_ptr 0
		.amdhsa_user_sgpr_kernarg_segment_ptr 1
		.amdhsa_user_sgpr_dispatch_id 0
		.amdhsa_user_sgpr_flat_scratch_init 0
		.amdhsa_user_sgpr_private_segment_size 0
		.amdhsa_uses_dynamic_stack 0
		.amdhsa_system_sgpr_private_segment_wavefront_offset 0
		.amdhsa_system_sgpr_workgroup_id_x 1
		.amdhsa_system_sgpr_workgroup_id_y 0
		.amdhsa_system_sgpr_workgroup_id_z 0
		.amdhsa_system_sgpr_workgroup_info 0
		.amdhsa_system_vgpr_workitem_id 0
		.amdhsa_next_free_vgpr 1
		.amdhsa_next_free_sgpr 0
		.amdhsa_reserve_vcc 0
		.amdhsa_reserve_flat_scratch 0
		.amdhsa_float_round_mode_32 0
		.amdhsa_float_round_mode_16_64 0
		.amdhsa_float_denorm_mode_32 3
		.amdhsa_float_denorm_mode_16_64 3
		.amdhsa_dx10_clamp 1
		.amdhsa_ieee_mode 1
		.amdhsa_fp16_overflow 0
		.amdhsa_exception_fp_ieee_invalid_op 0
		.amdhsa_exception_fp_denorm_src 0
		.amdhsa_exception_fp_ieee_div_zero 0
		.amdhsa_exception_fp_ieee_overflow 0
		.amdhsa_exception_fp_ieee_underflow 0
		.amdhsa_exception_fp_ieee_inexact 0
		.amdhsa_exception_int_div_zero 0
	.end_amdhsa_kernel
	.section	.text._ZN7rocprim17ROCPRIM_400000_NS6detail17trampoline_kernelINS0_14default_configENS1_38merge_sort_block_merge_config_selectorIN3c108BFloat16ElEEZZNS1_27merge_sort_block_merge_implIS3_PS6_N6thrust23THRUST_200600_302600_NS10device_ptrIlEEmNSB_4lessIS6_EEEE10hipError_tT0_T1_T2_jT3_P12ihipStream_tbPNSt15iterator_traitsISH_E10value_typeEPNSN_ISI_E10value_typeEPSJ_NS1_7vsmem_tEENKUlT_SH_SI_SJ_E_clIS9_S9_PlSD_EESG_SW_SH_SI_SJ_EUlSW_E0_NS1_11comp_targetILNS1_3genE10ELNS1_11target_archE1201ELNS1_3gpuE5ELNS1_3repE0EEENS1_38merge_mergepath_config_static_selectorELNS0_4arch9wavefront6targetE1EEEvSI_,"axG",@progbits,_ZN7rocprim17ROCPRIM_400000_NS6detail17trampoline_kernelINS0_14default_configENS1_38merge_sort_block_merge_config_selectorIN3c108BFloat16ElEEZZNS1_27merge_sort_block_merge_implIS3_PS6_N6thrust23THRUST_200600_302600_NS10device_ptrIlEEmNSB_4lessIS6_EEEE10hipError_tT0_T1_T2_jT3_P12ihipStream_tbPNSt15iterator_traitsISH_E10value_typeEPNSN_ISI_E10value_typeEPSJ_NS1_7vsmem_tEENKUlT_SH_SI_SJ_E_clIS9_S9_PlSD_EESG_SW_SH_SI_SJ_EUlSW_E0_NS1_11comp_targetILNS1_3genE10ELNS1_11target_archE1201ELNS1_3gpuE5ELNS1_3repE0EEENS1_38merge_mergepath_config_static_selectorELNS0_4arch9wavefront6targetE1EEEvSI_,comdat
.Lfunc_end1987:
	.size	_ZN7rocprim17ROCPRIM_400000_NS6detail17trampoline_kernelINS0_14default_configENS1_38merge_sort_block_merge_config_selectorIN3c108BFloat16ElEEZZNS1_27merge_sort_block_merge_implIS3_PS6_N6thrust23THRUST_200600_302600_NS10device_ptrIlEEmNSB_4lessIS6_EEEE10hipError_tT0_T1_T2_jT3_P12ihipStream_tbPNSt15iterator_traitsISH_E10value_typeEPNSN_ISI_E10value_typeEPSJ_NS1_7vsmem_tEENKUlT_SH_SI_SJ_E_clIS9_S9_PlSD_EESG_SW_SH_SI_SJ_EUlSW_E0_NS1_11comp_targetILNS1_3genE10ELNS1_11target_archE1201ELNS1_3gpuE5ELNS1_3repE0EEENS1_38merge_mergepath_config_static_selectorELNS0_4arch9wavefront6targetE1EEEvSI_, .Lfunc_end1987-_ZN7rocprim17ROCPRIM_400000_NS6detail17trampoline_kernelINS0_14default_configENS1_38merge_sort_block_merge_config_selectorIN3c108BFloat16ElEEZZNS1_27merge_sort_block_merge_implIS3_PS6_N6thrust23THRUST_200600_302600_NS10device_ptrIlEEmNSB_4lessIS6_EEEE10hipError_tT0_T1_T2_jT3_P12ihipStream_tbPNSt15iterator_traitsISH_E10value_typeEPNSN_ISI_E10value_typeEPSJ_NS1_7vsmem_tEENKUlT_SH_SI_SJ_E_clIS9_S9_PlSD_EESG_SW_SH_SI_SJ_EUlSW_E0_NS1_11comp_targetILNS1_3genE10ELNS1_11target_archE1201ELNS1_3gpuE5ELNS1_3repE0EEENS1_38merge_mergepath_config_static_selectorELNS0_4arch9wavefront6targetE1EEEvSI_
                                        ; -- End function
	.set _ZN7rocprim17ROCPRIM_400000_NS6detail17trampoline_kernelINS0_14default_configENS1_38merge_sort_block_merge_config_selectorIN3c108BFloat16ElEEZZNS1_27merge_sort_block_merge_implIS3_PS6_N6thrust23THRUST_200600_302600_NS10device_ptrIlEEmNSB_4lessIS6_EEEE10hipError_tT0_T1_T2_jT3_P12ihipStream_tbPNSt15iterator_traitsISH_E10value_typeEPNSN_ISI_E10value_typeEPSJ_NS1_7vsmem_tEENKUlT_SH_SI_SJ_E_clIS9_S9_PlSD_EESG_SW_SH_SI_SJ_EUlSW_E0_NS1_11comp_targetILNS1_3genE10ELNS1_11target_archE1201ELNS1_3gpuE5ELNS1_3repE0EEENS1_38merge_mergepath_config_static_selectorELNS0_4arch9wavefront6targetE1EEEvSI_.num_vgpr, 0
	.set _ZN7rocprim17ROCPRIM_400000_NS6detail17trampoline_kernelINS0_14default_configENS1_38merge_sort_block_merge_config_selectorIN3c108BFloat16ElEEZZNS1_27merge_sort_block_merge_implIS3_PS6_N6thrust23THRUST_200600_302600_NS10device_ptrIlEEmNSB_4lessIS6_EEEE10hipError_tT0_T1_T2_jT3_P12ihipStream_tbPNSt15iterator_traitsISH_E10value_typeEPNSN_ISI_E10value_typeEPSJ_NS1_7vsmem_tEENKUlT_SH_SI_SJ_E_clIS9_S9_PlSD_EESG_SW_SH_SI_SJ_EUlSW_E0_NS1_11comp_targetILNS1_3genE10ELNS1_11target_archE1201ELNS1_3gpuE5ELNS1_3repE0EEENS1_38merge_mergepath_config_static_selectorELNS0_4arch9wavefront6targetE1EEEvSI_.num_agpr, 0
	.set _ZN7rocprim17ROCPRIM_400000_NS6detail17trampoline_kernelINS0_14default_configENS1_38merge_sort_block_merge_config_selectorIN3c108BFloat16ElEEZZNS1_27merge_sort_block_merge_implIS3_PS6_N6thrust23THRUST_200600_302600_NS10device_ptrIlEEmNSB_4lessIS6_EEEE10hipError_tT0_T1_T2_jT3_P12ihipStream_tbPNSt15iterator_traitsISH_E10value_typeEPNSN_ISI_E10value_typeEPSJ_NS1_7vsmem_tEENKUlT_SH_SI_SJ_E_clIS9_S9_PlSD_EESG_SW_SH_SI_SJ_EUlSW_E0_NS1_11comp_targetILNS1_3genE10ELNS1_11target_archE1201ELNS1_3gpuE5ELNS1_3repE0EEENS1_38merge_mergepath_config_static_selectorELNS0_4arch9wavefront6targetE1EEEvSI_.numbered_sgpr, 0
	.set _ZN7rocprim17ROCPRIM_400000_NS6detail17trampoline_kernelINS0_14default_configENS1_38merge_sort_block_merge_config_selectorIN3c108BFloat16ElEEZZNS1_27merge_sort_block_merge_implIS3_PS6_N6thrust23THRUST_200600_302600_NS10device_ptrIlEEmNSB_4lessIS6_EEEE10hipError_tT0_T1_T2_jT3_P12ihipStream_tbPNSt15iterator_traitsISH_E10value_typeEPNSN_ISI_E10value_typeEPSJ_NS1_7vsmem_tEENKUlT_SH_SI_SJ_E_clIS9_S9_PlSD_EESG_SW_SH_SI_SJ_EUlSW_E0_NS1_11comp_targetILNS1_3genE10ELNS1_11target_archE1201ELNS1_3gpuE5ELNS1_3repE0EEENS1_38merge_mergepath_config_static_selectorELNS0_4arch9wavefront6targetE1EEEvSI_.num_named_barrier, 0
	.set _ZN7rocprim17ROCPRIM_400000_NS6detail17trampoline_kernelINS0_14default_configENS1_38merge_sort_block_merge_config_selectorIN3c108BFloat16ElEEZZNS1_27merge_sort_block_merge_implIS3_PS6_N6thrust23THRUST_200600_302600_NS10device_ptrIlEEmNSB_4lessIS6_EEEE10hipError_tT0_T1_T2_jT3_P12ihipStream_tbPNSt15iterator_traitsISH_E10value_typeEPNSN_ISI_E10value_typeEPSJ_NS1_7vsmem_tEENKUlT_SH_SI_SJ_E_clIS9_S9_PlSD_EESG_SW_SH_SI_SJ_EUlSW_E0_NS1_11comp_targetILNS1_3genE10ELNS1_11target_archE1201ELNS1_3gpuE5ELNS1_3repE0EEENS1_38merge_mergepath_config_static_selectorELNS0_4arch9wavefront6targetE1EEEvSI_.private_seg_size, 0
	.set _ZN7rocprim17ROCPRIM_400000_NS6detail17trampoline_kernelINS0_14default_configENS1_38merge_sort_block_merge_config_selectorIN3c108BFloat16ElEEZZNS1_27merge_sort_block_merge_implIS3_PS6_N6thrust23THRUST_200600_302600_NS10device_ptrIlEEmNSB_4lessIS6_EEEE10hipError_tT0_T1_T2_jT3_P12ihipStream_tbPNSt15iterator_traitsISH_E10value_typeEPNSN_ISI_E10value_typeEPSJ_NS1_7vsmem_tEENKUlT_SH_SI_SJ_E_clIS9_S9_PlSD_EESG_SW_SH_SI_SJ_EUlSW_E0_NS1_11comp_targetILNS1_3genE10ELNS1_11target_archE1201ELNS1_3gpuE5ELNS1_3repE0EEENS1_38merge_mergepath_config_static_selectorELNS0_4arch9wavefront6targetE1EEEvSI_.uses_vcc, 0
	.set _ZN7rocprim17ROCPRIM_400000_NS6detail17trampoline_kernelINS0_14default_configENS1_38merge_sort_block_merge_config_selectorIN3c108BFloat16ElEEZZNS1_27merge_sort_block_merge_implIS3_PS6_N6thrust23THRUST_200600_302600_NS10device_ptrIlEEmNSB_4lessIS6_EEEE10hipError_tT0_T1_T2_jT3_P12ihipStream_tbPNSt15iterator_traitsISH_E10value_typeEPNSN_ISI_E10value_typeEPSJ_NS1_7vsmem_tEENKUlT_SH_SI_SJ_E_clIS9_S9_PlSD_EESG_SW_SH_SI_SJ_EUlSW_E0_NS1_11comp_targetILNS1_3genE10ELNS1_11target_archE1201ELNS1_3gpuE5ELNS1_3repE0EEENS1_38merge_mergepath_config_static_selectorELNS0_4arch9wavefront6targetE1EEEvSI_.uses_flat_scratch, 0
	.set _ZN7rocprim17ROCPRIM_400000_NS6detail17trampoline_kernelINS0_14default_configENS1_38merge_sort_block_merge_config_selectorIN3c108BFloat16ElEEZZNS1_27merge_sort_block_merge_implIS3_PS6_N6thrust23THRUST_200600_302600_NS10device_ptrIlEEmNSB_4lessIS6_EEEE10hipError_tT0_T1_T2_jT3_P12ihipStream_tbPNSt15iterator_traitsISH_E10value_typeEPNSN_ISI_E10value_typeEPSJ_NS1_7vsmem_tEENKUlT_SH_SI_SJ_E_clIS9_S9_PlSD_EESG_SW_SH_SI_SJ_EUlSW_E0_NS1_11comp_targetILNS1_3genE10ELNS1_11target_archE1201ELNS1_3gpuE5ELNS1_3repE0EEENS1_38merge_mergepath_config_static_selectorELNS0_4arch9wavefront6targetE1EEEvSI_.has_dyn_sized_stack, 0
	.set _ZN7rocprim17ROCPRIM_400000_NS6detail17trampoline_kernelINS0_14default_configENS1_38merge_sort_block_merge_config_selectorIN3c108BFloat16ElEEZZNS1_27merge_sort_block_merge_implIS3_PS6_N6thrust23THRUST_200600_302600_NS10device_ptrIlEEmNSB_4lessIS6_EEEE10hipError_tT0_T1_T2_jT3_P12ihipStream_tbPNSt15iterator_traitsISH_E10value_typeEPNSN_ISI_E10value_typeEPSJ_NS1_7vsmem_tEENKUlT_SH_SI_SJ_E_clIS9_S9_PlSD_EESG_SW_SH_SI_SJ_EUlSW_E0_NS1_11comp_targetILNS1_3genE10ELNS1_11target_archE1201ELNS1_3gpuE5ELNS1_3repE0EEENS1_38merge_mergepath_config_static_selectorELNS0_4arch9wavefront6targetE1EEEvSI_.has_recursion, 0
	.set _ZN7rocprim17ROCPRIM_400000_NS6detail17trampoline_kernelINS0_14default_configENS1_38merge_sort_block_merge_config_selectorIN3c108BFloat16ElEEZZNS1_27merge_sort_block_merge_implIS3_PS6_N6thrust23THRUST_200600_302600_NS10device_ptrIlEEmNSB_4lessIS6_EEEE10hipError_tT0_T1_T2_jT3_P12ihipStream_tbPNSt15iterator_traitsISH_E10value_typeEPNSN_ISI_E10value_typeEPSJ_NS1_7vsmem_tEENKUlT_SH_SI_SJ_E_clIS9_S9_PlSD_EESG_SW_SH_SI_SJ_EUlSW_E0_NS1_11comp_targetILNS1_3genE10ELNS1_11target_archE1201ELNS1_3gpuE5ELNS1_3repE0EEENS1_38merge_mergepath_config_static_selectorELNS0_4arch9wavefront6targetE1EEEvSI_.has_indirect_call, 0
	.section	.AMDGPU.csdata,"",@progbits
; Kernel info:
; codeLenInByte = 0
; TotalNumSgprs: 4
; NumVgprs: 0
; ScratchSize: 0
; MemoryBound: 0
; FloatMode: 240
; IeeeMode: 1
; LDSByteSize: 0 bytes/workgroup (compile time only)
; SGPRBlocks: 0
; VGPRBlocks: 0
; NumSGPRsForWavesPerEU: 4
; NumVGPRsForWavesPerEU: 1
; Occupancy: 10
; WaveLimiterHint : 0
; COMPUTE_PGM_RSRC2:SCRATCH_EN: 0
; COMPUTE_PGM_RSRC2:USER_SGPR: 6
; COMPUTE_PGM_RSRC2:TRAP_HANDLER: 0
; COMPUTE_PGM_RSRC2:TGID_X_EN: 1
; COMPUTE_PGM_RSRC2:TGID_Y_EN: 0
; COMPUTE_PGM_RSRC2:TGID_Z_EN: 0
; COMPUTE_PGM_RSRC2:TIDIG_COMP_CNT: 0
	.section	.text._ZN7rocprim17ROCPRIM_400000_NS6detail17trampoline_kernelINS0_14default_configENS1_38merge_sort_block_merge_config_selectorIN3c108BFloat16ElEEZZNS1_27merge_sort_block_merge_implIS3_PS6_N6thrust23THRUST_200600_302600_NS10device_ptrIlEEmNSB_4lessIS6_EEEE10hipError_tT0_T1_T2_jT3_P12ihipStream_tbPNSt15iterator_traitsISH_E10value_typeEPNSN_ISI_E10value_typeEPSJ_NS1_7vsmem_tEENKUlT_SH_SI_SJ_E_clIS9_S9_PlSD_EESG_SW_SH_SI_SJ_EUlSW_E0_NS1_11comp_targetILNS1_3genE5ELNS1_11target_archE942ELNS1_3gpuE9ELNS1_3repE0EEENS1_38merge_mergepath_config_static_selectorELNS0_4arch9wavefront6targetE1EEEvSI_,"axG",@progbits,_ZN7rocprim17ROCPRIM_400000_NS6detail17trampoline_kernelINS0_14default_configENS1_38merge_sort_block_merge_config_selectorIN3c108BFloat16ElEEZZNS1_27merge_sort_block_merge_implIS3_PS6_N6thrust23THRUST_200600_302600_NS10device_ptrIlEEmNSB_4lessIS6_EEEE10hipError_tT0_T1_T2_jT3_P12ihipStream_tbPNSt15iterator_traitsISH_E10value_typeEPNSN_ISI_E10value_typeEPSJ_NS1_7vsmem_tEENKUlT_SH_SI_SJ_E_clIS9_S9_PlSD_EESG_SW_SH_SI_SJ_EUlSW_E0_NS1_11comp_targetILNS1_3genE5ELNS1_11target_archE942ELNS1_3gpuE9ELNS1_3repE0EEENS1_38merge_mergepath_config_static_selectorELNS0_4arch9wavefront6targetE1EEEvSI_,comdat
	.protected	_ZN7rocprim17ROCPRIM_400000_NS6detail17trampoline_kernelINS0_14default_configENS1_38merge_sort_block_merge_config_selectorIN3c108BFloat16ElEEZZNS1_27merge_sort_block_merge_implIS3_PS6_N6thrust23THRUST_200600_302600_NS10device_ptrIlEEmNSB_4lessIS6_EEEE10hipError_tT0_T1_T2_jT3_P12ihipStream_tbPNSt15iterator_traitsISH_E10value_typeEPNSN_ISI_E10value_typeEPSJ_NS1_7vsmem_tEENKUlT_SH_SI_SJ_E_clIS9_S9_PlSD_EESG_SW_SH_SI_SJ_EUlSW_E0_NS1_11comp_targetILNS1_3genE5ELNS1_11target_archE942ELNS1_3gpuE9ELNS1_3repE0EEENS1_38merge_mergepath_config_static_selectorELNS0_4arch9wavefront6targetE1EEEvSI_ ; -- Begin function _ZN7rocprim17ROCPRIM_400000_NS6detail17trampoline_kernelINS0_14default_configENS1_38merge_sort_block_merge_config_selectorIN3c108BFloat16ElEEZZNS1_27merge_sort_block_merge_implIS3_PS6_N6thrust23THRUST_200600_302600_NS10device_ptrIlEEmNSB_4lessIS6_EEEE10hipError_tT0_T1_T2_jT3_P12ihipStream_tbPNSt15iterator_traitsISH_E10value_typeEPNSN_ISI_E10value_typeEPSJ_NS1_7vsmem_tEENKUlT_SH_SI_SJ_E_clIS9_S9_PlSD_EESG_SW_SH_SI_SJ_EUlSW_E0_NS1_11comp_targetILNS1_3genE5ELNS1_11target_archE942ELNS1_3gpuE9ELNS1_3repE0EEENS1_38merge_mergepath_config_static_selectorELNS0_4arch9wavefront6targetE1EEEvSI_
	.globl	_ZN7rocprim17ROCPRIM_400000_NS6detail17trampoline_kernelINS0_14default_configENS1_38merge_sort_block_merge_config_selectorIN3c108BFloat16ElEEZZNS1_27merge_sort_block_merge_implIS3_PS6_N6thrust23THRUST_200600_302600_NS10device_ptrIlEEmNSB_4lessIS6_EEEE10hipError_tT0_T1_T2_jT3_P12ihipStream_tbPNSt15iterator_traitsISH_E10value_typeEPNSN_ISI_E10value_typeEPSJ_NS1_7vsmem_tEENKUlT_SH_SI_SJ_E_clIS9_S9_PlSD_EESG_SW_SH_SI_SJ_EUlSW_E0_NS1_11comp_targetILNS1_3genE5ELNS1_11target_archE942ELNS1_3gpuE9ELNS1_3repE0EEENS1_38merge_mergepath_config_static_selectorELNS0_4arch9wavefront6targetE1EEEvSI_
	.p2align	8
	.type	_ZN7rocprim17ROCPRIM_400000_NS6detail17trampoline_kernelINS0_14default_configENS1_38merge_sort_block_merge_config_selectorIN3c108BFloat16ElEEZZNS1_27merge_sort_block_merge_implIS3_PS6_N6thrust23THRUST_200600_302600_NS10device_ptrIlEEmNSB_4lessIS6_EEEE10hipError_tT0_T1_T2_jT3_P12ihipStream_tbPNSt15iterator_traitsISH_E10value_typeEPNSN_ISI_E10value_typeEPSJ_NS1_7vsmem_tEENKUlT_SH_SI_SJ_E_clIS9_S9_PlSD_EESG_SW_SH_SI_SJ_EUlSW_E0_NS1_11comp_targetILNS1_3genE5ELNS1_11target_archE942ELNS1_3gpuE9ELNS1_3repE0EEENS1_38merge_mergepath_config_static_selectorELNS0_4arch9wavefront6targetE1EEEvSI_,@function
_ZN7rocprim17ROCPRIM_400000_NS6detail17trampoline_kernelINS0_14default_configENS1_38merge_sort_block_merge_config_selectorIN3c108BFloat16ElEEZZNS1_27merge_sort_block_merge_implIS3_PS6_N6thrust23THRUST_200600_302600_NS10device_ptrIlEEmNSB_4lessIS6_EEEE10hipError_tT0_T1_T2_jT3_P12ihipStream_tbPNSt15iterator_traitsISH_E10value_typeEPNSN_ISI_E10value_typeEPSJ_NS1_7vsmem_tEENKUlT_SH_SI_SJ_E_clIS9_S9_PlSD_EESG_SW_SH_SI_SJ_EUlSW_E0_NS1_11comp_targetILNS1_3genE5ELNS1_11target_archE942ELNS1_3gpuE9ELNS1_3repE0EEENS1_38merge_mergepath_config_static_selectorELNS0_4arch9wavefront6targetE1EEEvSI_: ; @_ZN7rocprim17ROCPRIM_400000_NS6detail17trampoline_kernelINS0_14default_configENS1_38merge_sort_block_merge_config_selectorIN3c108BFloat16ElEEZZNS1_27merge_sort_block_merge_implIS3_PS6_N6thrust23THRUST_200600_302600_NS10device_ptrIlEEmNSB_4lessIS6_EEEE10hipError_tT0_T1_T2_jT3_P12ihipStream_tbPNSt15iterator_traitsISH_E10value_typeEPNSN_ISI_E10value_typeEPSJ_NS1_7vsmem_tEENKUlT_SH_SI_SJ_E_clIS9_S9_PlSD_EESG_SW_SH_SI_SJ_EUlSW_E0_NS1_11comp_targetILNS1_3genE5ELNS1_11target_archE942ELNS1_3gpuE9ELNS1_3repE0EEENS1_38merge_mergepath_config_static_selectorELNS0_4arch9wavefront6targetE1EEEvSI_
; %bb.0:
	.section	.rodata,"a",@progbits
	.p2align	6, 0x0
	.amdhsa_kernel _ZN7rocprim17ROCPRIM_400000_NS6detail17trampoline_kernelINS0_14default_configENS1_38merge_sort_block_merge_config_selectorIN3c108BFloat16ElEEZZNS1_27merge_sort_block_merge_implIS3_PS6_N6thrust23THRUST_200600_302600_NS10device_ptrIlEEmNSB_4lessIS6_EEEE10hipError_tT0_T1_T2_jT3_P12ihipStream_tbPNSt15iterator_traitsISH_E10value_typeEPNSN_ISI_E10value_typeEPSJ_NS1_7vsmem_tEENKUlT_SH_SI_SJ_E_clIS9_S9_PlSD_EESG_SW_SH_SI_SJ_EUlSW_E0_NS1_11comp_targetILNS1_3genE5ELNS1_11target_archE942ELNS1_3gpuE9ELNS1_3repE0EEENS1_38merge_mergepath_config_static_selectorELNS0_4arch9wavefront6targetE1EEEvSI_
		.amdhsa_group_segment_fixed_size 0
		.amdhsa_private_segment_fixed_size 0
		.amdhsa_kernarg_size 72
		.amdhsa_user_sgpr_count 6
		.amdhsa_user_sgpr_private_segment_buffer 1
		.amdhsa_user_sgpr_dispatch_ptr 0
		.amdhsa_user_sgpr_queue_ptr 0
		.amdhsa_user_sgpr_kernarg_segment_ptr 1
		.amdhsa_user_sgpr_dispatch_id 0
		.amdhsa_user_sgpr_flat_scratch_init 0
		.amdhsa_user_sgpr_private_segment_size 0
		.amdhsa_uses_dynamic_stack 0
		.amdhsa_system_sgpr_private_segment_wavefront_offset 0
		.amdhsa_system_sgpr_workgroup_id_x 1
		.amdhsa_system_sgpr_workgroup_id_y 0
		.amdhsa_system_sgpr_workgroup_id_z 0
		.amdhsa_system_sgpr_workgroup_info 0
		.amdhsa_system_vgpr_workitem_id 0
		.amdhsa_next_free_vgpr 1
		.amdhsa_next_free_sgpr 0
		.amdhsa_reserve_vcc 0
		.amdhsa_reserve_flat_scratch 0
		.amdhsa_float_round_mode_32 0
		.amdhsa_float_round_mode_16_64 0
		.amdhsa_float_denorm_mode_32 3
		.amdhsa_float_denorm_mode_16_64 3
		.amdhsa_dx10_clamp 1
		.amdhsa_ieee_mode 1
		.amdhsa_fp16_overflow 0
		.amdhsa_exception_fp_ieee_invalid_op 0
		.amdhsa_exception_fp_denorm_src 0
		.amdhsa_exception_fp_ieee_div_zero 0
		.amdhsa_exception_fp_ieee_overflow 0
		.amdhsa_exception_fp_ieee_underflow 0
		.amdhsa_exception_fp_ieee_inexact 0
		.amdhsa_exception_int_div_zero 0
	.end_amdhsa_kernel
	.section	.text._ZN7rocprim17ROCPRIM_400000_NS6detail17trampoline_kernelINS0_14default_configENS1_38merge_sort_block_merge_config_selectorIN3c108BFloat16ElEEZZNS1_27merge_sort_block_merge_implIS3_PS6_N6thrust23THRUST_200600_302600_NS10device_ptrIlEEmNSB_4lessIS6_EEEE10hipError_tT0_T1_T2_jT3_P12ihipStream_tbPNSt15iterator_traitsISH_E10value_typeEPNSN_ISI_E10value_typeEPSJ_NS1_7vsmem_tEENKUlT_SH_SI_SJ_E_clIS9_S9_PlSD_EESG_SW_SH_SI_SJ_EUlSW_E0_NS1_11comp_targetILNS1_3genE5ELNS1_11target_archE942ELNS1_3gpuE9ELNS1_3repE0EEENS1_38merge_mergepath_config_static_selectorELNS0_4arch9wavefront6targetE1EEEvSI_,"axG",@progbits,_ZN7rocprim17ROCPRIM_400000_NS6detail17trampoline_kernelINS0_14default_configENS1_38merge_sort_block_merge_config_selectorIN3c108BFloat16ElEEZZNS1_27merge_sort_block_merge_implIS3_PS6_N6thrust23THRUST_200600_302600_NS10device_ptrIlEEmNSB_4lessIS6_EEEE10hipError_tT0_T1_T2_jT3_P12ihipStream_tbPNSt15iterator_traitsISH_E10value_typeEPNSN_ISI_E10value_typeEPSJ_NS1_7vsmem_tEENKUlT_SH_SI_SJ_E_clIS9_S9_PlSD_EESG_SW_SH_SI_SJ_EUlSW_E0_NS1_11comp_targetILNS1_3genE5ELNS1_11target_archE942ELNS1_3gpuE9ELNS1_3repE0EEENS1_38merge_mergepath_config_static_selectorELNS0_4arch9wavefront6targetE1EEEvSI_,comdat
.Lfunc_end1988:
	.size	_ZN7rocprim17ROCPRIM_400000_NS6detail17trampoline_kernelINS0_14default_configENS1_38merge_sort_block_merge_config_selectorIN3c108BFloat16ElEEZZNS1_27merge_sort_block_merge_implIS3_PS6_N6thrust23THRUST_200600_302600_NS10device_ptrIlEEmNSB_4lessIS6_EEEE10hipError_tT0_T1_T2_jT3_P12ihipStream_tbPNSt15iterator_traitsISH_E10value_typeEPNSN_ISI_E10value_typeEPSJ_NS1_7vsmem_tEENKUlT_SH_SI_SJ_E_clIS9_S9_PlSD_EESG_SW_SH_SI_SJ_EUlSW_E0_NS1_11comp_targetILNS1_3genE5ELNS1_11target_archE942ELNS1_3gpuE9ELNS1_3repE0EEENS1_38merge_mergepath_config_static_selectorELNS0_4arch9wavefront6targetE1EEEvSI_, .Lfunc_end1988-_ZN7rocprim17ROCPRIM_400000_NS6detail17trampoline_kernelINS0_14default_configENS1_38merge_sort_block_merge_config_selectorIN3c108BFloat16ElEEZZNS1_27merge_sort_block_merge_implIS3_PS6_N6thrust23THRUST_200600_302600_NS10device_ptrIlEEmNSB_4lessIS6_EEEE10hipError_tT0_T1_T2_jT3_P12ihipStream_tbPNSt15iterator_traitsISH_E10value_typeEPNSN_ISI_E10value_typeEPSJ_NS1_7vsmem_tEENKUlT_SH_SI_SJ_E_clIS9_S9_PlSD_EESG_SW_SH_SI_SJ_EUlSW_E0_NS1_11comp_targetILNS1_3genE5ELNS1_11target_archE942ELNS1_3gpuE9ELNS1_3repE0EEENS1_38merge_mergepath_config_static_selectorELNS0_4arch9wavefront6targetE1EEEvSI_
                                        ; -- End function
	.set _ZN7rocprim17ROCPRIM_400000_NS6detail17trampoline_kernelINS0_14default_configENS1_38merge_sort_block_merge_config_selectorIN3c108BFloat16ElEEZZNS1_27merge_sort_block_merge_implIS3_PS6_N6thrust23THRUST_200600_302600_NS10device_ptrIlEEmNSB_4lessIS6_EEEE10hipError_tT0_T1_T2_jT3_P12ihipStream_tbPNSt15iterator_traitsISH_E10value_typeEPNSN_ISI_E10value_typeEPSJ_NS1_7vsmem_tEENKUlT_SH_SI_SJ_E_clIS9_S9_PlSD_EESG_SW_SH_SI_SJ_EUlSW_E0_NS1_11comp_targetILNS1_3genE5ELNS1_11target_archE942ELNS1_3gpuE9ELNS1_3repE0EEENS1_38merge_mergepath_config_static_selectorELNS0_4arch9wavefront6targetE1EEEvSI_.num_vgpr, 0
	.set _ZN7rocprim17ROCPRIM_400000_NS6detail17trampoline_kernelINS0_14default_configENS1_38merge_sort_block_merge_config_selectorIN3c108BFloat16ElEEZZNS1_27merge_sort_block_merge_implIS3_PS6_N6thrust23THRUST_200600_302600_NS10device_ptrIlEEmNSB_4lessIS6_EEEE10hipError_tT0_T1_T2_jT3_P12ihipStream_tbPNSt15iterator_traitsISH_E10value_typeEPNSN_ISI_E10value_typeEPSJ_NS1_7vsmem_tEENKUlT_SH_SI_SJ_E_clIS9_S9_PlSD_EESG_SW_SH_SI_SJ_EUlSW_E0_NS1_11comp_targetILNS1_3genE5ELNS1_11target_archE942ELNS1_3gpuE9ELNS1_3repE0EEENS1_38merge_mergepath_config_static_selectorELNS0_4arch9wavefront6targetE1EEEvSI_.num_agpr, 0
	.set _ZN7rocprim17ROCPRIM_400000_NS6detail17trampoline_kernelINS0_14default_configENS1_38merge_sort_block_merge_config_selectorIN3c108BFloat16ElEEZZNS1_27merge_sort_block_merge_implIS3_PS6_N6thrust23THRUST_200600_302600_NS10device_ptrIlEEmNSB_4lessIS6_EEEE10hipError_tT0_T1_T2_jT3_P12ihipStream_tbPNSt15iterator_traitsISH_E10value_typeEPNSN_ISI_E10value_typeEPSJ_NS1_7vsmem_tEENKUlT_SH_SI_SJ_E_clIS9_S9_PlSD_EESG_SW_SH_SI_SJ_EUlSW_E0_NS1_11comp_targetILNS1_3genE5ELNS1_11target_archE942ELNS1_3gpuE9ELNS1_3repE0EEENS1_38merge_mergepath_config_static_selectorELNS0_4arch9wavefront6targetE1EEEvSI_.numbered_sgpr, 0
	.set _ZN7rocprim17ROCPRIM_400000_NS6detail17trampoline_kernelINS0_14default_configENS1_38merge_sort_block_merge_config_selectorIN3c108BFloat16ElEEZZNS1_27merge_sort_block_merge_implIS3_PS6_N6thrust23THRUST_200600_302600_NS10device_ptrIlEEmNSB_4lessIS6_EEEE10hipError_tT0_T1_T2_jT3_P12ihipStream_tbPNSt15iterator_traitsISH_E10value_typeEPNSN_ISI_E10value_typeEPSJ_NS1_7vsmem_tEENKUlT_SH_SI_SJ_E_clIS9_S9_PlSD_EESG_SW_SH_SI_SJ_EUlSW_E0_NS1_11comp_targetILNS1_3genE5ELNS1_11target_archE942ELNS1_3gpuE9ELNS1_3repE0EEENS1_38merge_mergepath_config_static_selectorELNS0_4arch9wavefront6targetE1EEEvSI_.num_named_barrier, 0
	.set _ZN7rocprim17ROCPRIM_400000_NS6detail17trampoline_kernelINS0_14default_configENS1_38merge_sort_block_merge_config_selectorIN3c108BFloat16ElEEZZNS1_27merge_sort_block_merge_implIS3_PS6_N6thrust23THRUST_200600_302600_NS10device_ptrIlEEmNSB_4lessIS6_EEEE10hipError_tT0_T1_T2_jT3_P12ihipStream_tbPNSt15iterator_traitsISH_E10value_typeEPNSN_ISI_E10value_typeEPSJ_NS1_7vsmem_tEENKUlT_SH_SI_SJ_E_clIS9_S9_PlSD_EESG_SW_SH_SI_SJ_EUlSW_E0_NS1_11comp_targetILNS1_3genE5ELNS1_11target_archE942ELNS1_3gpuE9ELNS1_3repE0EEENS1_38merge_mergepath_config_static_selectorELNS0_4arch9wavefront6targetE1EEEvSI_.private_seg_size, 0
	.set _ZN7rocprim17ROCPRIM_400000_NS6detail17trampoline_kernelINS0_14default_configENS1_38merge_sort_block_merge_config_selectorIN3c108BFloat16ElEEZZNS1_27merge_sort_block_merge_implIS3_PS6_N6thrust23THRUST_200600_302600_NS10device_ptrIlEEmNSB_4lessIS6_EEEE10hipError_tT0_T1_T2_jT3_P12ihipStream_tbPNSt15iterator_traitsISH_E10value_typeEPNSN_ISI_E10value_typeEPSJ_NS1_7vsmem_tEENKUlT_SH_SI_SJ_E_clIS9_S9_PlSD_EESG_SW_SH_SI_SJ_EUlSW_E0_NS1_11comp_targetILNS1_3genE5ELNS1_11target_archE942ELNS1_3gpuE9ELNS1_3repE0EEENS1_38merge_mergepath_config_static_selectorELNS0_4arch9wavefront6targetE1EEEvSI_.uses_vcc, 0
	.set _ZN7rocprim17ROCPRIM_400000_NS6detail17trampoline_kernelINS0_14default_configENS1_38merge_sort_block_merge_config_selectorIN3c108BFloat16ElEEZZNS1_27merge_sort_block_merge_implIS3_PS6_N6thrust23THRUST_200600_302600_NS10device_ptrIlEEmNSB_4lessIS6_EEEE10hipError_tT0_T1_T2_jT3_P12ihipStream_tbPNSt15iterator_traitsISH_E10value_typeEPNSN_ISI_E10value_typeEPSJ_NS1_7vsmem_tEENKUlT_SH_SI_SJ_E_clIS9_S9_PlSD_EESG_SW_SH_SI_SJ_EUlSW_E0_NS1_11comp_targetILNS1_3genE5ELNS1_11target_archE942ELNS1_3gpuE9ELNS1_3repE0EEENS1_38merge_mergepath_config_static_selectorELNS0_4arch9wavefront6targetE1EEEvSI_.uses_flat_scratch, 0
	.set _ZN7rocprim17ROCPRIM_400000_NS6detail17trampoline_kernelINS0_14default_configENS1_38merge_sort_block_merge_config_selectorIN3c108BFloat16ElEEZZNS1_27merge_sort_block_merge_implIS3_PS6_N6thrust23THRUST_200600_302600_NS10device_ptrIlEEmNSB_4lessIS6_EEEE10hipError_tT0_T1_T2_jT3_P12ihipStream_tbPNSt15iterator_traitsISH_E10value_typeEPNSN_ISI_E10value_typeEPSJ_NS1_7vsmem_tEENKUlT_SH_SI_SJ_E_clIS9_S9_PlSD_EESG_SW_SH_SI_SJ_EUlSW_E0_NS1_11comp_targetILNS1_3genE5ELNS1_11target_archE942ELNS1_3gpuE9ELNS1_3repE0EEENS1_38merge_mergepath_config_static_selectorELNS0_4arch9wavefront6targetE1EEEvSI_.has_dyn_sized_stack, 0
	.set _ZN7rocprim17ROCPRIM_400000_NS6detail17trampoline_kernelINS0_14default_configENS1_38merge_sort_block_merge_config_selectorIN3c108BFloat16ElEEZZNS1_27merge_sort_block_merge_implIS3_PS6_N6thrust23THRUST_200600_302600_NS10device_ptrIlEEmNSB_4lessIS6_EEEE10hipError_tT0_T1_T2_jT3_P12ihipStream_tbPNSt15iterator_traitsISH_E10value_typeEPNSN_ISI_E10value_typeEPSJ_NS1_7vsmem_tEENKUlT_SH_SI_SJ_E_clIS9_S9_PlSD_EESG_SW_SH_SI_SJ_EUlSW_E0_NS1_11comp_targetILNS1_3genE5ELNS1_11target_archE942ELNS1_3gpuE9ELNS1_3repE0EEENS1_38merge_mergepath_config_static_selectorELNS0_4arch9wavefront6targetE1EEEvSI_.has_recursion, 0
	.set _ZN7rocprim17ROCPRIM_400000_NS6detail17trampoline_kernelINS0_14default_configENS1_38merge_sort_block_merge_config_selectorIN3c108BFloat16ElEEZZNS1_27merge_sort_block_merge_implIS3_PS6_N6thrust23THRUST_200600_302600_NS10device_ptrIlEEmNSB_4lessIS6_EEEE10hipError_tT0_T1_T2_jT3_P12ihipStream_tbPNSt15iterator_traitsISH_E10value_typeEPNSN_ISI_E10value_typeEPSJ_NS1_7vsmem_tEENKUlT_SH_SI_SJ_E_clIS9_S9_PlSD_EESG_SW_SH_SI_SJ_EUlSW_E0_NS1_11comp_targetILNS1_3genE5ELNS1_11target_archE942ELNS1_3gpuE9ELNS1_3repE0EEENS1_38merge_mergepath_config_static_selectorELNS0_4arch9wavefront6targetE1EEEvSI_.has_indirect_call, 0
	.section	.AMDGPU.csdata,"",@progbits
; Kernel info:
; codeLenInByte = 0
; TotalNumSgprs: 4
; NumVgprs: 0
; ScratchSize: 0
; MemoryBound: 0
; FloatMode: 240
; IeeeMode: 1
; LDSByteSize: 0 bytes/workgroup (compile time only)
; SGPRBlocks: 0
; VGPRBlocks: 0
; NumSGPRsForWavesPerEU: 4
; NumVGPRsForWavesPerEU: 1
; Occupancy: 10
; WaveLimiterHint : 0
; COMPUTE_PGM_RSRC2:SCRATCH_EN: 0
; COMPUTE_PGM_RSRC2:USER_SGPR: 6
; COMPUTE_PGM_RSRC2:TRAP_HANDLER: 0
; COMPUTE_PGM_RSRC2:TGID_X_EN: 1
; COMPUTE_PGM_RSRC2:TGID_Y_EN: 0
; COMPUTE_PGM_RSRC2:TGID_Z_EN: 0
; COMPUTE_PGM_RSRC2:TIDIG_COMP_CNT: 0
	.section	.text._ZN7rocprim17ROCPRIM_400000_NS6detail17trampoline_kernelINS0_14default_configENS1_38merge_sort_block_merge_config_selectorIN3c108BFloat16ElEEZZNS1_27merge_sort_block_merge_implIS3_PS6_N6thrust23THRUST_200600_302600_NS10device_ptrIlEEmNSB_4lessIS6_EEEE10hipError_tT0_T1_T2_jT3_P12ihipStream_tbPNSt15iterator_traitsISH_E10value_typeEPNSN_ISI_E10value_typeEPSJ_NS1_7vsmem_tEENKUlT_SH_SI_SJ_E_clIS9_S9_PlSD_EESG_SW_SH_SI_SJ_EUlSW_E0_NS1_11comp_targetILNS1_3genE4ELNS1_11target_archE910ELNS1_3gpuE8ELNS1_3repE0EEENS1_38merge_mergepath_config_static_selectorELNS0_4arch9wavefront6targetE1EEEvSI_,"axG",@progbits,_ZN7rocprim17ROCPRIM_400000_NS6detail17trampoline_kernelINS0_14default_configENS1_38merge_sort_block_merge_config_selectorIN3c108BFloat16ElEEZZNS1_27merge_sort_block_merge_implIS3_PS6_N6thrust23THRUST_200600_302600_NS10device_ptrIlEEmNSB_4lessIS6_EEEE10hipError_tT0_T1_T2_jT3_P12ihipStream_tbPNSt15iterator_traitsISH_E10value_typeEPNSN_ISI_E10value_typeEPSJ_NS1_7vsmem_tEENKUlT_SH_SI_SJ_E_clIS9_S9_PlSD_EESG_SW_SH_SI_SJ_EUlSW_E0_NS1_11comp_targetILNS1_3genE4ELNS1_11target_archE910ELNS1_3gpuE8ELNS1_3repE0EEENS1_38merge_mergepath_config_static_selectorELNS0_4arch9wavefront6targetE1EEEvSI_,comdat
	.protected	_ZN7rocprim17ROCPRIM_400000_NS6detail17trampoline_kernelINS0_14default_configENS1_38merge_sort_block_merge_config_selectorIN3c108BFloat16ElEEZZNS1_27merge_sort_block_merge_implIS3_PS6_N6thrust23THRUST_200600_302600_NS10device_ptrIlEEmNSB_4lessIS6_EEEE10hipError_tT0_T1_T2_jT3_P12ihipStream_tbPNSt15iterator_traitsISH_E10value_typeEPNSN_ISI_E10value_typeEPSJ_NS1_7vsmem_tEENKUlT_SH_SI_SJ_E_clIS9_S9_PlSD_EESG_SW_SH_SI_SJ_EUlSW_E0_NS1_11comp_targetILNS1_3genE4ELNS1_11target_archE910ELNS1_3gpuE8ELNS1_3repE0EEENS1_38merge_mergepath_config_static_selectorELNS0_4arch9wavefront6targetE1EEEvSI_ ; -- Begin function _ZN7rocprim17ROCPRIM_400000_NS6detail17trampoline_kernelINS0_14default_configENS1_38merge_sort_block_merge_config_selectorIN3c108BFloat16ElEEZZNS1_27merge_sort_block_merge_implIS3_PS6_N6thrust23THRUST_200600_302600_NS10device_ptrIlEEmNSB_4lessIS6_EEEE10hipError_tT0_T1_T2_jT3_P12ihipStream_tbPNSt15iterator_traitsISH_E10value_typeEPNSN_ISI_E10value_typeEPSJ_NS1_7vsmem_tEENKUlT_SH_SI_SJ_E_clIS9_S9_PlSD_EESG_SW_SH_SI_SJ_EUlSW_E0_NS1_11comp_targetILNS1_3genE4ELNS1_11target_archE910ELNS1_3gpuE8ELNS1_3repE0EEENS1_38merge_mergepath_config_static_selectorELNS0_4arch9wavefront6targetE1EEEvSI_
	.globl	_ZN7rocprim17ROCPRIM_400000_NS6detail17trampoline_kernelINS0_14default_configENS1_38merge_sort_block_merge_config_selectorIN3c108BFloat16ElEEZZNS1_27merge_sort_block_merge_implIS3_PS6_N6thrust23THRUST_200600_302600_NS10device_ptrIlEEmNSB_4lessIS6_EEEE10hipError_tT0_T1_T2_jT3_P12ihipStream_tbPNSt15iterator_traitsISH_E10value_typeEPNSN_ISI_E10value_typeEPSJ_NS1_7vsmem_tEENKUlT_SH_SI_SJ_E_clIS9_S9_PlSD_EESG_SW_SH_SI_SJ_EUlSW_E0_NS1_11comp_targetILNS1_3genE4ELNS1_11target_archE910ELNS1_3gpuE8ELNS1_3repE0EEENS1_38merge_mergepath_config_static_selectorELNS0_4arch9wavefront6targetE1EEEvSI_
	.p2align	8
	.type	_ZN7rocprim17ROCPRIM_400000_NS6detail17trampoline_kernelINS0_14default_configENS1_38merge_sort_block_merge_config_selectorIN3c108BFloat16ElEEZZNS1_27merge_sort_block_merge_implIS3_PS6_N6thrust23THRUST_200600_302600_NS10device_ptrIlEEmNSB_4lessIS6_EEEE10hipError_tT0_T1_T2_jT3_P12ihipStream_tbPNSt15iterator_traitsISH_E10value_typeEPNSN_ISI_E10value_typeEPSJ_NS1_7vsmem_tEENKUlT_SH_SI_SJ_E_clIS9_S9_PlSD_EESG_SW_SH_SI_SJ_EUlSW_E0_NS1_11comp_targetILNS1_3genE4ELNS1_11target_archE910ELNS1_3gpuE8ELNS1_3repE0EEENS1_38merge_mergepath_config_static_selectorELNS0_4arch9wavefront6targetE1EEEvSI_,@function
_ZN7rocprim17ROCPRIM_400000_NS6detail17trampoline_kernelINS0_14default_configENS1_38merge_sort_block_merge_config_selectorIN3c108BFloat16ElEEZZNS1_27merge_sort_block_merge_implIS3_PS6_N6thrust23THRUST_200600_302600_NS10device_ptrIlEEmNSB_4lessIS6_EEEE10hipError_tT0_T1_T2_jT3_P12ihipStream_tbPNSt15iterator_traitsISH_E10value_typeEPNSN_ISI_E10value_typeEPSJ_NS1_7vsmem_tEENKUlT_SH_SI_SJ_E_clIS9_S9_PlSD_EESG_SW_SH_SI_SJ_EUlSW_E0_NS1_11comp_targetILNS1_3genE4ELNS1_11target_archE910ELNS1_3gpuE8ELNS1_3repE0EEENS1_38merge_mergepath_config_static_selectorELNS0_4arch9wavefront6targetE1EEEvSI_: ; @_ZN7rocprim17ROCPRIM_400000_NS6detail17trampoline_kernelINS0_14default_configENS1_38merge_sort_block_merge_config_selectorIN3c108BFloat16ElEEZZNS1_27merge_sort_block_merge_implIS3_PS6_N6thrust23THRUST_200600_302600_NS10device_ptrIlEEmNSB_4lessIS6_EEEE10hipError_tT0_T1_T2_jT3_P12ihipStream_tbPNSt15iterator_traitsISH_E10value_typeEPNSN_ISI_E10value_typeEPSJ_NS1_7vsmem_tEENKUlT_SH_SI_SJ_E_clIS9_S9_PlSD_EESG_SW_SH_SI_SJ_EUlSW_E0_NS1_11comp_targetILNS1_3genE4ELNS1_11target_archE910ELNS1_3gpuE8ELNS1_3repE0EEENS1_38merge_mergepath_config_static_selectorELNS0_4arch9wavefront6targetE1EEEvSI_
; %bb.0:
	.section	.rodata,"a",@progbits
	.p2align	6, 0x0
	.amdhsa_kernel _ZN7rocprim17ROCPRIM_400000_NS6detail17trampoline_kernelINS0_14default_configENS1_38merge_sort_block_merge_config_selectorIN3c108BFloat16ElEEZZNS1_27merge_sort_block_merge_implIS3_PS6_N6thrust23THRUST_200600_302600_NS10device_ptrIlEEmNSB_4lessIS6_EEEE10hipError_tT0_T1_T2_jT3_P12ihipStream_tbPNSt15iterator_traitsISH_E10value_typeEPNSN_ISI_E10value_typeEPSJ_NS1_7vsmem_tEENKUlT_SH_SI_SJ_E_clIS9_S9_PlSD_EESG_SW_SH_SI_SJ_EUlSW_E0_NS1_11comp_targetILNS1_3genE4ELNS1_11target_archE910ELNS1_3gpuE8ELNS1_3repE0EEENS1_38merge_mergepath_config_static_selectorELNS0_4arch9wavefront6targetE1EEEvSI_
		.amdhsa_group_segment_fixed_size 0
		.amdhsa_private_segment_fixed_size 0
		.amdhsa_kernarg_size 72
		.amdhsa_user_sgpr_count 6
		.amdhsa_user_sgpr_private_segment_buffer 1
		.amdhsa_user_sgpr_dispatch_ptr 0
		.amdhsa_user_sgpr_queue_ptr 0
		.amdhsa_user_sgpr_kernarg_segment_ptr 1
		.amdhsa_user_sgpr_dispatch_id 0
		.amdhsa_user_sgpr_flat_scratch_init 0
		.amdhsa_user_sgpr_private_segment_size 0
		.amdhsa_uses_dynamic_stack 0
		.amdhsa_system_sgpr_private_segment_wavefront_offset 0
		.amdhsa_system_sgpr_workgroup_id_x 1
		.amdhsa_system_sgpr_workgroup_id_y 0
		.amdhsa_system_sgpr_workgroup_id_z 0
		.amdhsa_system_sgpr_workgroup_info 0
		.amdhsa_system_vgpr_workitem_id 0
		.amdhsa_next_free_vgpr 1
		.amdhsa_next_free_sgpr 0
		.amdhsa_reserve_vcc 0
		.amdhsa_reserve_flat_scratch 0
		.amdhsa_float_round_mode_32 0
		.amdhsa_float_round_mode_16_64 0
		.amdhsa_float_denorm_mode_32 3
		.amdhsa_float_denorm_mode_16_64 3
		.amdhsa_dx10_clamp 1
		.amdhsa_ieee_mode 1
		.amdhsa_fp16_overflow 0
		.amdhsa_exception_fp_ieee_invalid_op 0
		.amdhsa_exception_fp_denorm_src 0
		.amdhsa_exception_fp_ieee_div_zero 0
		.amdhsa_exception_fp_ieee_overflow 0
		.amdhsa_exception_fp_ieee_underflow 0
		.amdhsa_exception_fp_ieee_inexact 0
		.amdhsa_exception_int_div_zero 0
	.end_amdhsa_kernel
	.section	.text._ZN7rocprim17ROCPRIM_400000_NS6detail17trampoline_kernelINS0_14default_configENS1_38merge_sort_block_merge_config_selectorIN3c108BFloat16ElEEZZNS1_27merge_sort_block_merge_implIS3_PS6_N6thrust23THRUST_200600_302600_NS10device_ptrIlEEmNSB_4lessIS6_EEEE10hipError_tT0_T1_T2_jT3_P12ihipStream_tbPNSt15iterator_traitsISH_E10value_typeEPNSN_ISI_E10value_typeEPSJ_NS1_7vsmem_tEENKUlT_SH_SI_SJ_E_clIS9_S9_PlSD_EESG_SW_SH_SI_SJ_EUlSW_E0_NS1_11comp_targetILNS1_3genE4ELNS1_11target_archE910ELNS1_3gpuE8ELNS1_3repE0EEENS1_38merge_mergepath_config_static_selectorELNS0_4arch9wavefront6targetE1EEEvSI_,"axG",@progbits,_ZN7rocprim17ROCPRIM_400000_NS6detail17trampoline_kernelINS0_14default_configENS1_38merge_sort_block_merge_config_selectorIN3c108BFloat16ElEEZZNS1_27merge_sort_block_merge_implIS3_PS6_N6thrust23THRUST_200600_302600_NS10device_ptrIlEEmNSB_4lessIS6_EEEE10hipError_tT0_T1_T2_jT3_P12ihipStream_tbPNSt15iterator_traitsISH_E10value_typeEPNSN_ISI_E10value_typeEPSJ_NS1_7vsmem_tEENKUlT_SH_SI_SJ_E_clIS9_S9_PlSD_EESG_SW_SH_SI_SJ_EUlSW_E0_NS1_11comp_targetILNS1_3genE4ELNS1_11target_archE910ELNS1_3gpuE8ELNS1_3repE0EEENS1_38merge_mergepath_config_static_selectorELNS0_4arch9wavefront6targetE1EEEvSI_,comdat
.Lfunc_end1989:
	.size	_ZN7rocprim17ROCPRIM_400000_NS6detail17trampoline_kernelINS0_14default_configENS1_38merge_sort_block_merge_config_selectorIN3c108BFloat16ElEEZZNS1_27merge_sort_block_merge_implIS3_PS6_N6thrust23THRUST_200600_302600_NS10device_ptrIlEEmNSB_4lessIS6_EEEE10hipError_tT0_T1_T2_jT3_P12ihipStream_tbPNSt15iterator_traitsISH_E10value_typeEPNSN_ISI_E10value_typeEPSJ_NS1_7vsmem_tEENKUlT_SH_SI_SJ_E_clIS9_S9_PlSD_EESG_SW_SH_SI_SJ_EUlSW_E0_NS1_11comp_targetILNS1_3genE4ELNS1_11target_archE910ELNS1_3gpuE8ELNS1_3repE0EEENS1_38merge_mergepath_config_static_selectorELNS0_4arch9wavefront6targetE1EEEvSI_, .Lfunc_end1989-_ZN7rocprim17ROCPRIM_400000_NS6detail17trampoline_kernelINS0_14default_configENS1_38merge_sort_block_merge_config_selectorIN3c108BFloat16ElEEZZNS1_27merge_sort_block_merge_implIS3_PS6_N6thrust23THRUST_200600_302600_NS10device_ptrIlEEmNSB_4lessIS6_EEEE10hipError_tT0_T1_T2_jT3_P12ihipStream_tbPNSt15iterator_traitsISH_E10value_typeEPNSN_ISI_E10value_typeEPSJ_NS1_7vsmem_tEENKUlT_SH_SI_SJ_E_clIS9_S9_PlSD_EESG_SW_SH_SI_SJ_EUlSW_E0_NS1_11comp_targetILNS1_3genE4ELNS1_11target_archE910ELNS1_3gpuE8ELNS1_3repE0EEENS1_38merge_mergepath_config_static_selectorELNS0_4arch9wavefront6targetE1EEEvSI_
                                        ; -- End function
	.set _ZN7rocprim17ROCPRIM_400000_NS6detail17trampoline_kernelINS0_14default_configENS1_38merge_sort_block_merge_config_selectorIN3c108BFloat16ElEEZZNS1_27merge_sort_block_merge_implIS3_PS6_N6thrust23THRUST_200600_302600_NS10device_ptrIlEEmNSB_4lessIS6_EEEE10hipError_tT0_T1_T2_jT3_P12ihipStream_tbPNSt15iterator_traitsISH_E10value_typeEPNSN_ISI_E10value_typeEPSJ_NS1_7vsmem_tEENKUlT_SH_SI_SJ_E_clIS9_S9_PlSD_EESG_SW_SH_SI_SJ_EUlSW_E0_NS1_11comp_targetILNS1_3genE4ELNS1_11target_archE910ELNS1_3gpuE8ELNS1_3repE0EEENS1_38merge_mergepath_config_static_selectorELNS0_4arch9wavefront6targetE1EEEvSI_.num_vgpr, 0
	.set _ZN7rocprim17ROCPRIM_400000_NS6detail17trampoline_kernelINS0_14default_configENS1_38merge_sort_block_merge_config_selectorIN3c108BFloat16ElEEZZNS1_27merge_sort_block_merge_implIS3_PS6_N6thrust23THRUST_200600_302600_NS10device_ptrIlEEmNSB_4lessIS6_EEEE10hipError_tT0_T1_T2_jT3_P12ihipStream_tbPNSt15iterator_traitsISH_E10value_typeEPNSN_ISI_E10value_typeEPSJ_NS1_7vsmem_tEENKUlT_SH_SI_SJ_E_clIS9_S9_PlSD_EESG_SW_SH_SI_SJ_EUlSW_E0_NS1_11comp_targetILNS1_3genE4ELNS1_11target_archE910ELNS1_3gpuE8ELNS1_3repE0EEENS1_38merge_mergepath_config_static_selectorELNS0_4arch9wavefront6targetE1EEEvSI_.num_agpr, 0
	.set _ZN7rocprim17ROCPRIM_400000_NS6detail17trampoline_kernelINS0_14default_configENS1_38merge_sort_block_merge_config_selectorIN3c108BFloat16ElEEZZNS1_27merge_sort_block_merge_implIS3_PS6_N6thrust23THRUST_200600_302600_NS10device_ptrIlEEmNSB_4lessIS6_EEEE10hipError_tT0_T1_T2_jT3_P12ihipStream_tbPNSt15iterator_traitsISH_E10value_typeEPNSN_ISI_E10value_typeEPSJ_NS1_7vsmem_tEENKUlT_SH_SI_SJ_E_clIS9_S9_PlSD_EESG_SW_SH_SI_SJ_EUlSW_E0_NS1_11comp_targetILNS1_3genE4ELNS1_11target_archE910ELNS1_3gpuE8ELNS1_3repE0EEENS1_38merge_mergepath_config_static_selectorELNS0_4arch9wavefront6targetE1EEEvSI_.numbered_sgpr, 0
	.set _ZN7rocprim17ROCPRIM_400000_NS6detail17trampoline_kernelINS0_14default_configENS1_38merge_sort_block_merge_config_selectorIN3c108BFloat16ElEEZZNS1_27merge_sort_block_merge_implIS3_PS6_N6thrust23THRUST_200600_302600_NS10device_ptrIlEEmNSB_4lessIS6_EEEE10hipError_tT0_T1_T2_jT3_P12ihipStream_tbPNSt15iterator_traitsISH_E10value_typeEPNSN_ISI_E10value_typeEPSJ_NS1_7vsmem_tEENKUlT_SH_SI_SJ_E_clIS9_S9_PlSD_EESG_SW_SH_SI_SJ_EUlSW_E0_NS1_11comp_targetILNS1_3genE4ELNS1_11target_archE910ELNS1_3gpuE8ELNS1_3repE0EEENS1_38merge_mergepath_config_static_selectorELNS0_4arch9wavefront6targetE1EEEvSI_.num_named_barrier, 0
	.set _ZN7rocprim17ROCPRIM_400000_NS6detail17trampoline_kernelINS0_14default_configENS1_38merge_sort_block_merge_config_selectorIN3c108BFloat16ElEEZZNS1_27merge_sort_block_merge_implIS3_PS6_N6thrust23THRUST_200600_302600_NS10device_ptrIlEEmNSB_4lessIS6_EEEE10hipError_tT0_T1_T2_jT3_P12ihipStream_tbPNSt15iterator_traitsISH_E10value_typeEPNSN_ISI_E10value_typeEPSJ_NS1_7vsmem_tEENKUlT_SH_SI_SJ_E_clIS9_S9_PlSD_EESG_SW_SH_SI_SJ_EUlSW_E0_NS1_11comp_targetILNS1_3genE4ELNS1_11target_archE910ELNS1_3gpuE8ELNS1_3repE0EEENS1_38merge_mergepath_config_static_selectorELNS0_4arch9wavefront6targetE1EEEvSI_.private_seg_size, 0
	.set _ZN7rocprim17ROCPRIM_400000_NS6detail17trampoline_kernelINS0_14default_configENS1_38merge_sort_block_merge_config_selectorIN3c108BFloat16ElEEZZNS1_27merge_sort_block_merge_implIS3_PS6_N6thrust23THRUST_200600_302600_NS10device_ptrIlEEmNSB_4lessIS6_EEEE10hipError_tT0_T1_T2_jT3_P12ihipStream_tbPNSt15iterator_traitsISH_E10value_typeEPNSN_ISI_E10value_typeEPSJ_NS1_7vsmem_tEENKUlT_SH_SI_SJ_E_clIS9_S9_PlSD_EESG_SW_SH_SI_SJ_EUlSW_E0_NS1_11comp_targetILNS1_3genE4ELNS1_11target_archE910ELNS1_3gpuE8ELNS1_3repE0EEENS1_38merge_mergepath_config_static_selectorELNS0_4arch9wavefront6targetE1EEEvSI_.uses_vcc, 0
	.set _ZN7rocprim17ROCPRIM_400000_NS6detail17trampoline_kernelINS0_14default_configENS1_38merge_sort_block_merge_config_selectorIN3c108BFloat16ElEEZZNS1_27merge_sort_block_merge_implIS3_PS6_N6thrust23THRUST_200600_302600_NS10device_ptrIlEEmNSB_4lessIS6_EEEE10hipError_tT0_T1_T2_jT3_P12ihipStream_tbPNSt15iterator_traitsISH_E10value_typeEPNSN_ISI_E10value_typeEPSJ_NS1_7vsmem_tEENKUlT_SH_SI_SJ_E_clIS9_S9_PlSD_EESG_SW_SH_SI_SJ_EUlSW_E0_NS1_11comp_targetILNS1_3genE4ELNS1_11target_archE910ELNS1_3gpuE8ELNS1_3repE0EEENS1_38merge_mergepath_config_static_selectorELNS0_4arch9wavefront6targetE1EEEvSI_.uses_flat_scratch, 0
	.set _ZN7rocprim17ROCPRIM_400000_NS6detail17trampoline_kernelINS0_14default_configENS1_38merge_sort_block_merge_config_selectorIN3c108BFloat16ElEEZZNS1_27merge_sort_block_merge_implIS3_PS6_N6thrust23THRUST_200600_302600_NS10device_ptrIlEEmNSB_4lessIS6_EEEE10hipError_tT0_T1_T2_jT3_P12ihipStream_tbPNSt15iterator_traitsISH_E10value_typeEPNSN_ISI_E10value_typeEPSJ_NS1_7vsmem_tEENKUlT_SH_SI_SJ_E_clIS9_S9_PlSD_EESG_SW_SH_SI_SJ_EUlSW_E0_NS1_11comp_targetILNS1_3genE4ELNS1_11target_archE910ELNS1_3gpuE8ELNS1_3repE0EEENS1_38merge_mergepath_config_static_selectorELNS0_4arch9wavefront6targetE1EEEvSI_.has_dyn_sized_stack, 0
	.set _ZN7rocprim17ROCPRIM_400000_NS6detail17trampoline_kernelINS0_14default_configENS1_38merge_sort_block_merge_config_selectorIN3c108BFloat16ElEEZZNS1_27merge_sort_block_merge_implIS3_PS6_N6thrust23THRUST_200600_302600_NS10device_ptrIlEEmNSB_4lessIS6_EEEE10hipError_tT0_T1_T2_jT3_P12ihipStream_tbPNSt15iterator_traitsISH_E10value_typeEPNSN_ISI_E10value_typeEPSJ_NS1_7vsmem_tEENKUlT_SH_SI_SJ_E_clIS9_S9_PlSD_EESG_SW_SH_SI_SJ_EUlSW_E0_NS1_11comp_targetILNS1_3genE4ELNS1_11target_archE910ELNS1_3gpuE8ELNS1_3repE0EEENS1_38merge_mergepath_config_static_selectorELNS0_4arch9wavefront6targetE1EEEvSI_.has_recursion, 0
	.set _ZN7rocprim17ROCPRIM_400000_NS6detail17trampoline_kernelINS0_14default_configENS1_38merge_sort_block_merge_config_selectorIN3c108BFloat16ElEEZZNS1_27merge_sort_block_merge_implIS3_PS6_N6thrust23THRUST_200600_302600_NS10device_ptrIlEEmNSB_4lessIS6_EEEE10hipError_tT0_T1_T2_jT3_P12ihipStream_tbPNSt15iterator_traitsISH_E10value_typeEPNSN_ISI_E10value_typeEPSJ_NS1_7vsmem_tEENKUlT_SH_SI_SJ_E_clIS9_S9_PlSD_EESG_SW_SH_SI_SJ_EUlSW_E0_NS1_11comp_targetILNS1_3genE4ELNS1_11target_archE910ELNS1_3gpuE8ELNS1_3repE0EEENS1_38merge_mergepath_config_static_selectorELNS0_4arch9wavefront6targetE1EEEvSI_.has_indirect_call, 0
	.section	.AMDGPU.csdata,"",@progbits
; Kernel info:
; codeLenInByte = 0
; TotalNumSgprs: 4
; NumVgprs: 0
; ScratchSize: 0
; MemoryBound: 0
; FloatMode: 240
; IeeeMode: 1
; LDSByteSize: 0 bytes/workgroup (compile time only)
; SGPRBlocks: 0
; VGPRBlocks: 0
; NumSGPRsForWavesPerEU: 4
; NumVGPRsForWavesPerEU: 1
; Occupancy: 10
; WaveLimiterHint : 0
; COMPUTE_PGM_RSRC2:SCRATCH_EN: 0
; COMPUTE_PGM_RSRC2:USER_SGPR: 6
; COMPUTE_PGM_RSRC2:TRAP_HANDLER: 0
; COMPUTE_PGM_RSRC2:TGID_X_EN: 1
; COMPUTE_PGM_RSRC2:TGID_Y_EN: 0
; COMPUTE_PGM_RSRC2:TGID_Z_EN: 0
; COMPUTE_PGM_RSRC2:TIDIG_COMP_CNT: 0
	.section	.text._ZN7rocprim17ROCPRIM_400000_NS6detail17trampoline_kernelINS0_14default_configENS1_38merge_sort_block_merge_config_selectorIN3c108BFloat16ElEEZZNS1_27merge_sort_block_merge_implIS3_PS6_N6thrust23THRUST_200600_302600_NS10device_ptrIlEEmNSB_4lessIS6_EEEE10hipError_tT0_T1_T2_jT3_P12ihipStream_tbPNSt15iterator_traitsISH_E10value_typeEPNSN_ISI_E10value_typeEPSJ_NS1_7vsmem_tEENKUlT_SH_SI_SJ_E_clIS9_S9_PlSD_EESG_SW_SH_SI_SJ_EUlSW_E0_NS1_11comp_targetILNS1_3genE3ELNS1_11target_archE908ELNS1_3gpuE7ELNS1_3repE0EEENS1_38merge_mergepath_config_static_selectorELNS0_4arch9wavefront6targetE1EEEvSI_,"axG",@progbits,_ZN7rocprim17ROCPRIM_400000_NS6detail17trampoline_kernelINS0_14default_configENS1_38merge_sort_block_merge_config_selectorIN3c108BFloat16ElEEZZNS1_27merge_sort_block_merge_implIS3_PS6_N6thrust23THRUST_200600_302600_NS10device_ptrIlEEmNSB_4lessIS6_EEEE10hipError_tT0_T1_T2_jT3_P12ihipStream_tbPNSt15iterator_traitsISH_E10value_typeEPNSN_ISI_E10value_typeEPSJ_NS1_7vsmem_tEENKUlT_SH_SI_SJ_E_clIS9_S9_PlSD_EESG_SW_SH_SI_SJ_EUlSW_E0_NS1_11comp_targetILNS1_3genE3ELNS1_11target_archE908ELNS1_3gpuE7ELNS1_3repE0EEENS1_38merge_mergepath_config_static_selectorELNS0_4arch9wavefront6targetE1EEEvSI_,comdat
	.protected	_ZN7rocprim17ROCPRIM_400000_NS6detail17trampoline_kernelINS0_14default_configENS1_38merge_sort_block_merge_config_selectorIN3c108BFloat16ElEEZZNS1_27merge_sort_block_merge_implIS3_PS6_N6thrust23THRUST_200600_302600_NS10device_ptrIlEEmNSB_4lessIS6_EEEE10hipError_tT0_T1_T2_jT3_P12ihipStream_tbPNSt15iterator_traitsISH_E10value_typeEPNSN_ISI_E10value_typeEPSJ_NS1_7vsmem_tEENKUlT_SH_SI_SJ_E_clIS9_S9_PlSD_EESG_SW_SH_SI_SJ_EUlSW_E0_NS1_11comp_targetILNS1_3genE3ELNS1_11target_archE908ELNS1_3gpuE7ELNS1_3repE0EEENS1_38merge_mergepath_config_static_selectorELNS0_4arch9wavefront6targetE1EEEvSI_ ; -- Begin function _ZN7rocprim17ROCPRIM_400000_NS6detail17trampoline_kernelINS0_14default_configENS1_38merge_sort_block_merge_config_selectorIN3c108BFloat16ElEEZZNS1_27merge_sort_block_merge_implIS3_PS6_N6thrust23THRUST_200600_302600_NS10device_ptrIlEEmNSB_4lessIS6_EEEE10hipError_tT0_T1_T2_jT3_P12ihipStream_tbPNSt15iterator_traitsISH_E10value_typeEPNSN_ISI_E10value_typeEPSJ_NS1_7vsmem_tEENKUlT_SH_SI_SJ_E_clIS9_S9_PlSD_EESG_SW_SH_SI_SJ_EUlSW_E0_NS1_11comp_targetILNS1_3genE3ELNS1_11target_archE908ELNS1_3gpuE7ELNS1_3repE0EEENS1_38merge_mergepath_config_static_selectorELNS0_4arch9wavefront6targetE1EEEvSI_
	.globl	_ZN7rocprim17ROCPRIM_400000_NS6detail17trampoline_kernelINS0_14default_configENS1_38merge_sort_block_merge_config_selectorIN3c108BFloat16ElEEZZNS1_27merge_sort_block_merge_implIS3_PS6_N6thrust23THRUST_200600_302600_NS10device_ptrIlEEmNSB_4lessIS6_EEEE10hipError_tT0_T1_T2_jT3_P12ihipStream_tbPNSt15iterator_traitsISH_E10value_typeEPNSN_ISI_E10value_typeEPSJ_NS1_7vsmem_tEENKUlT_SH_SI_SJ_E_clIS9_S9_PlSD_EESG_SW_SH_SI_SJ_EUlSW_E0_NS1_11comp_targetILNS1_3genE3ELNS1_11target_archE908ELNS1_3gpuE7ELNS1_3repE0EEENS1_38merge_mergepath_config_static_selectorELNS0_4arch9wavefront6targetE1EEEvSI_
	.p2align	8
	.type	_ZN7rocprim17ROCPRIM_400000_NS6detail17trampoline_kernelINS0_14default_configENS1_38merge_sort_block_merge_config_selectorIN3c108BFloat16ElEEZZNS1_27merge_sort_block_merge_implIS3_PS6_N6thrust23THRUST_200600_302600_NS10device_ptrIlEEmNSB_4lessIS6_EEEE10hipError_tT0_T1_T2_jT3_P12ihipStream_tbPNSt15iterator_traitsISH_E10value_typeEPNSN_ISI_E10value_typeEPSJ_NS1_7vsmem_tEENKUlT_SH_SI_SJ_E_clIS9_S9_PlSD_EESG_SW_SH_SI_SJ_EUlSW_E0_NS1_11comp_targetILNS1_3genE3ELNS1_11target_archE908ELNS1_3gpuE7ELNS1_3repE0EEENS1_38merge_mergepath_config_static_selectorELNS0_4arch9wavefront6targetE1EEEvSI_,@function
_ZN7rocprim17ROCPRIM_400000_NS6detail17trampoline_kernelINS0_14default_configENS1_38merge_sort_block_merge_config_selectorIN3c108BFloat16ElEEZZNS1_27merge_sort_block_merge_implIS3_PS6_N6thrust23THRUST_200600_302600_NS10device_ptrIlEEmNSB_4lessIS6_EEEE10hipError_tT0_T1_T2_jT3_P12ihipStream_tbPNSt15iterator_traitsISH_E10value_typeEPNSN_ISI_E10value_typeEPSJ_NS1_7vsmem_tEENKUlT_SH_SI_SJ_E_clIS9_S9_PlSD_EESG_SW_SH_SI_SJ_EUlSW_E0_NS1_11comp_targetILNS1_3genE3ELNS1_11target_archE908ELNS1_3gpuE7ELNS1_3repE0EEENS1_38merge_mergepath_config_static_selectorELNS0_4arch9wavefront6targetE1EEEvSI_: ; @_ZN7rocprim17ROCPRIM_400000_NS6detail17trampoline_kernelINS0_14default_configENS1_38merge_sort_block_merge_config_selectorIN3c108BFloat16ElEEZZNS1_27merge_sort_block_merge_implIS3_PS6_N6thrust23THRUST_200600_302600_NS10device_ptrIlEEmNSB_4lessIS6_EEEE10hipError_tT0_T1_T2_jT3_P12ihipStream_tbPNSt15iterator_traitsISH_E10value_typeEPNSN_ISI_E10value_typeEPSJ_NS1_7vsmem_tEENKUlT_SH_SI_SJ_E_clIS9_S9_PlSD_EESG_SW_SH_SI_SJ_EUlSW_E0_NS1_11comp_targetILNS1_3genE3ELNS1_11target_archE908ELNS1_3gpuE7ELNS1_3repE0EEENS1_38merge_mergepath_config_static_selectorELNS0_4arch9wavefront6targetE1EEEvSI_
; %bb.0:
	.section	.rodata,"a",@progbits
	.p2align	6, 0x0
	.amdhsa_kernel _ZN7rocprim17ROCPRIM_400000_NS6detail17trampoline_kernelINS0_14default_configENS1_38merge_sort_block_merge_config_selectorIN3c108BFloat16ElEEZZNS1_27merge_sort_block_merge_implIS3_PS6_N6thrust23THRUST_200600_302600_NS10device_ptrIlEEmNSB_4lessIS6_EEEE10hipError_tT0_T1_T2_jT3_P12ihipStream_tbPNSt15iterator_traitsISH_E10value_typeEPNSN_ISI_E10value_typeEPSJ_NS1_7vsmem_tEENKUlT_SH_SI_SJ_E_clIS9_S9_PlSD_EESG_SW_SH_SI_SJ_EUlSW_E0_NS1_11comp_targetILNS1_3genE3ELNS1_11target_archE908ELNS1_3gpuE7ELNS1_3repE0EEENS1_38merge_mergepath_config_static_selectorELNS0_4arch9wavefront6targetE1EEEvSI_
		.amdhsa_group_segment_fixed_size 0
		.amdhsa_private_segment_fixed_size 0
		.amdhsa_kernarg_size 72
		.amdhsa_user_sgpr_count 6
		.amdhsa_user_sgpr_private_segment_buffer 1
		.amdhsa_user_sgpr_dispatch_ptr 0
		.amdhsa_user_sgpr_queue_ptr 0
		.amdhsa_user_sgpr_kernarg_segment_ptr 1
		.amdhsa_user_sgpr_dispatch_id 0
		.amdhsa_user_sgpr_flat_scratch_init 0
		.amdhsa_user_sgpr_private_segment_size 0
		.amdhsa_uses_dynamic_stack 0
		.amdhsa_system_sgpr_private_segment_wavefront_offset 0
		.amdhsa_system_sgpr_workgroup_id_x 1
		.amdhsa_system_sgpr_workgroup_id_y 0
		.amdhsa_system_sgpr_workgroup_id_z 0
		.amdhsa_system_sgpr_workgroup_info 0
		.amdhsa_system_vgpr_workitem_id 0
		.amdhsa_next_free_vgpr 1
		.amdhsa_next_free_sgpr 0
		.amdhsa_reserve_vcc 0
		.amdhsa_reserve_flat_scratch 0
		.amdhsa_float_round_mode_32 0
		.amdhsa_float_round_mode_16_64 0
		.amdhsa_float_denorm_mode_32 3
		.amdhsa_float_denorm_mode_16_64 3
		.amdhsa_dx10_clamp 1
		.amdhsa_ieee_mode 1
		.amdhsa_fp16_overflow 0
		.amdhsa_exception_fp_ieee_invalid_op 0
		.amdhsa_exception_fp_denorm_src 0
		.amdhsa_exception_fp_ieee_div_zero 0
		.amdhsa_exception_fp_ieee_overflow 0
		.amdhsa_exception_fp_ieee_underflow 0
		.amdhsa_exception_fp_ieee_inexact 0
		.amdhsa_exception_int_div_zero 0
	.end_amdhsa_kernel
	.section	.text._ZN7rocprim17ROCPRIM_400000_NS6detail17trampoline_kernelINS0_14default_configENS1_38merge_sort_block_merge_config_selectorIN3c108BFloat16ElEEZZNS1_27merge_sort_block_merge_implIS3_PS6_N6thrust23THRUST_200600_302600_NS10device_ptrIlEEmNSB_4lessIS6_EEEE10hipError_tT0_T1_T2_jT3_P12ihipStream_tbPNSt15iterator_traitsISH_E10value_typeEPNSN_ISI_E10value_typeEPSJ_NS1_7vsmem_tEENKUlT_SH_SI_SJ_E_clIS9_S9_PlSD_EESG_SW_SH_SI_SJ_EUlSW_E0_NS1_11comp_targetILNS1_3genE3ELNS1_11target_archE908ELNS1_3gpuE7ELNS1_3repE0EEENS1_38merge_mergepath_config_static_selectorELNS0_4arch9wavefront6targetE1EEEvSI_,"axG",@progbits,_ZN7rocprim17ROCPRIM_400000_NS6detail17trampoline_kernelINS0_14default_configENS1_38merge_sort_block_merge_config_selectorIN3c108BFloat16ElEEZZNS1_27merge_sort_block_merge_implIS3_PS6_N6thrust23THRUST_200600_302600_NS10device_ptrIlEEmNSB_4lessIS6_EEEE10hipError_tT0_T1_T2_jT3_P12ihipStream_tbPNSt15iterator_traitsISH_E10value_typeEPNSN_ISI_E10value_typeEPSJ_NS1_7vsmem_tEENKUlT_SH_SI_SJ_E_clIS9_S9_PlSD_EESG_SW_SH_SI_SJ_EUlSW_E0_NS1_11comp_targetILNS1_3genE3ELNS1_11target_archE908ELNS1_3gpuE7ELNS1_3repE0EEENS1_38merge_mergepath_config_static_selectorELNS0_4arch9wavefront6targetE1EEEvSI_,comdat
.Lfunc_end1990:
	.size	_ZN7rocprim17ROCPRIM_400000_NS6detail17trampoline_kernelINS0_14default_configENS1_38merge_sort_block_merge_config_selectorIN3c108BFloat16ElEEZZNS1_27merge_sort_block_merge_implIS3_PS6_N6thrust23THRUST_200600_302600_NS10device_ptrIlEEmNSB_4lessIS6_EEEE10hipError_tT0_T1_T2_jT3_P12ihipStream_tbPNSt15iterator_traitsISH_E10value_typeEPNSN_ISI_E10value_typeEPSJ_NS1_7vsmem_tEENKUlT_SH_SI_SJ_E_clIS9_S9_PlSD_EESG_SW_SH_SI_SJ_EUlSW_E0_NS1_11comp_targetILNS1_3genE3ELNS1_11target_archE908ELNS1_3gpuE7ELNS1_3repE0EEENS1_38merge_mergepath_config_static_selectorELNS0_4arch9wavefront6targetE1EEEvSI_, .Lfunc_end1990-_ZN7rocprim17ROCPRIM_400000_NS6detail17trampoline_kernelINS0_14default_configENS1_38merge_sort_block_merge_config_selectorIN3c108BFloat16ElEEZZNS1_27merge_sort_block_merge_implIS3_PS6_N6thrust23THRUST_200600_302600_NS10device_ptrIlEEmNSB_4lessIS6_EEEE10hipError_tT0_T1_T2_jT3_P12ihipStream_tbPNSt15iterator_traitsISH_E10value_typeEPNSN_ISI_E10value_typeEPSJ_NS1_7vsmem_tEENKUlT_SH_SI_SJ_E_clIS9_S9_PlSD_EESG_SW_SH_SI_SJ_EUlSW_E0_NS1_11comp_targetILNS1_3genE3ELNS1_11target_archE908ELNS1_3gpuE7ELNS1_3repE0EEENS1_38merge_mergepath_config_static_selectorELNS0_4arch9wavefront6targetE1EEEvSI_
                                        ; -- End function
	.set _ZN7rocprim17ROCPRIM_400000_NS6detail17trampoline_kernelINS0_14default_configENS1_38merge_sort_block_merge_config_selectorIN3c108BFloat16ElEEZZNS1_27merge_sort_block_merge_implIS3_PS6_N6thrust23THRUST_200600_302600_NS10device_ptrIlEEmNSB_4lessIS6_EEEE10hipError_tT0_T1_T2_jT3_P12ihipStream_tbPNSt15iterator_traitsISH_E10value_typeEPNSN_ISI_E10value_typeEPSJ_NS1_7vsmem_tEENKUlT_SH_SI_SJ_E_clIS9_S9_PlSD_EESG_SW_SH_SI_SJ_EUlSW_E0_NS1_11comp_targetILNS1_3genE3ELNS1_11target_archE908ELNS1_3gpuE7ELNS1_3repE0EEENS1_38merge_mergepath_config_static_selectorELNS0_4arch9wavefront6targetE1EEEvSI_.num_vgpr, 0
	.set _ZN7rocprim17ROCPRIM_400000_NS6detail17trampoline_kernelINS0_14default_configENS1_38merge_sort_block_merge_config_selectorIN3c108BFloat16ElEEZZNS1_27merge_sort_block_merge_implIS3_PS6_N6thrust23THRUST_200600_302600_NS10device_ptrIlEEmNSB_4lessIS6_EEEE10hipError_tT0_T1_T2_jT3_P12ihipStream_tbPNSt15iterator_traitsISH_E10value_typeEPNSN_ISI_E10value_typeEPSJ_NS1_7vsmem_tEENKUlT_SH_SI_SJ_E_clIS9_S9_PlSD_EESG_SW_SH_SI_SJ_EUlSW_E0_NS1_11comp_targetILNS1_3genE3ELNS1_11target_archE908ELNS1_3gpuE7ELNS1_3repE0EEENS1_38merge_mergepath_config_static_selectorELNS0_4arch9wavefront6targetE1EEEvSI_.num_agpr, 0
	.set _ZN7rocprim17ROCPRIM_400000_NS6detail17trampoline_kernelINS0_14default_configENS1_38merge_sort_block_merge_config_selectorIN3c108BFloat16ElEEZZNS1_27merge_sort_block_merge_implIS3_PS6_N6thrust23THRUST_200600_302600_NS10device_ptrIlEEmNSB_4lessIS6_EEEE10hipError_tT0_T1_T2_jT3_P12ihipStream_tbPNSt15iterator_traitsISH_E10value_typeEPNSN_ISI_E10value_typeEPSJ_NS1_7vsmem_tEENKUlT_SH_SI_SJ_E_clIS9_S9_PlSD_EESG_SW_SH_SI_SJ_EUlSW_E0_NS1_11comp_targetILNS1_3genE3ELNS1_11target_archE908ELNS1_3gpuE7ELNS1_3repE0EEENS1_38merge_mergepath_config_static_selectorELNS0_4arch9wavefront6targetE1EEEvSI_.numbered_sgpr, 0
	.set _ZN7rocprim17ROCPRIM_400000_NS6detail17trampoline_kernelINS0_14default_configENS1_38merge_sort_block_merge_config_selectorIN3c108BFloat16ElEEZZNS1_27merge_sort_block_merge_implIS3_PS6_N6thrust23THRUST_200600_302600_NS10device_ptrIlEEmNSB_4lessIS6_EEEE10hipError_tT0_T1_T2_jT3_P12ihipStream_tbPNSt15iterator_traitsISH_E10value_typeEPNSN_ISI_E10value_typeEPSJ_NS1_7vsmem_tEENKUlT_SH_SI_SJ_E_clIS9_S9_PlSD_EESG_SW_SH_SI_SJ_EUlSW_E0_NS1_11comp_targetILNS1_3genE3ELNS1_11target_archE908ELNS1_3gpuE7ELNS1_3repE0EEENS1_38merge_mergepath_config_static_selectorELNS0_4arch9wavefront6targetE1EEEvSI_.num_named_barrier, 0
	.set _ZN7rocprim17ROCPRIM_400000_NS6detail17trampoline_kernelINS0_14default_configENS1_38merge_sort_block_merge_config_selectorIN3c108BFloat16ElEEZZNS1_27merge_sort_block_merge_implIS3_PS6_N6thrust23THRUST_200600_302600_NS10device_ptrIlEEmNSB_4lessIS6_EEEE10hipError_tT0_T1_T2_jT3_P12ihipStream_tbPNSt15iterator_traitsISH_E10value_typeEPNSN_ISI_E10value_typeEPSJ_NS1_7vsmem_tEENKUlT_SH_SI_SJ_E_clIS9_S9_PlSD_EESG_SW_SH_SI_SJ_EUlSW_E0_NS1_11comp_targetILNS1_3genE3ELNS1_11target_archE908ELNS1_3gpuE7ELNS1_3repE0EEENS1_38merge_mergepath_config_static_selectorELNS0_4arch9wavefront6targetE1EEEvSI_.private_seg_size, 0
	.set _ZN7rocprim17ROCPRIM_400000_NS6detail17trampoline_kernelINS0_14default_configENS1_38merge_sort_block_merge_config_selectorIN3c108BFloat16ElEEZZNS1_27merge_sort_block_merge_implIS3_PS6_N6thrust23THRUST_200600_302600_NS10device_ptrIlEEmNSB_4lessIS6_EEEE10hipError_tT0_T1_T2_jT3_P12ihipStream_tbPNSt15iterator_traitsISH_E10value_typeEPNSN_ISI_E10value_typeEPSJ_NS1_7vsmem_tEENKUlT_SH_SI_SJ_E_clIS9_S9_PlSD_EESG_SW_SH_SI_SJ_EUlSW_E0_NS1_11comp_targetILNS1_3genE3ELNS1_11target_archE908ELNS1_3gpuE7ELNS1_3repE0EEENS1_38merge_mergepath_config_static_selectorELNS0_4arch9wavefront6targetE1EEEvSI_.uses_vcc, 0
	.set _ZN7rocprim17ROCPRIM_400000_NS6detail17trampoline_kernelINS0_14default_configENS1_38merge_sort_block_merge_config_selectorIN3c108BFloat16ElEEZZNS1_27merge_sort_block_merge_implIS3_PS6_N6thrust23THRUST_200600_302600_NS10device_ptrIlEEmNSB_4lessIS6_EEEE10hipError_tT0_T1_T2_jT3_P12ihipStream_tbPNSt15iterator_traitsISH_E10value_typeEPNSN_ISI_E10value_typeEPSJ_NS1_7vsmem_tEENKUlT_SH_SI_SJ_E_clIS9_S9_PlSD_EESG_SW_SH_SI_SJ_EUlSW_E0_NS1_11comp_targetILNS1_3genE3ELNS1_11target_archE908ELNS1_3gpuE7ELNS1_3repE0EEENS1_38merge_mergepath_config_static_selectorELNS0_4arch9wavefront6targetE1EEEvSI_.uses_flat_scratch, 0
	.set _ZN7rocprim17ROCPRIM_400000_NS6detail17trampoline_kernelINS0_14default_configENS1_38merge_sort_block_merge_config_selectorIN3c108BFloat16ElEEZZNS1_27merge_sort_block_merge_implIS3_PS6_N6thrust23THRUST_200600_302600_NS10device_ptrIlEEmNSB_4lessIS6_EEEE10hipError_tT0_T1_T2_jT3_P12ihipStream_tbPNSt15iterator_traitsISH_E10value_typeEPNSN_ISI_E10value_typeEPSJ_NS1_7vsmem_tEENKUlT_SH_SI_SJ_E_clIS9_S9_PlSD_EESG_SW_SH_SI_SJ_EUlSW_E0_NS1_11comp_targetILNS1_3genE3ELNS1_11target_archE908ELNS1_3gpuE7ELNS1_3repE0EEENS1_38merge_mergepath_config_static_selectorELNS0_4arch9wavefront6targetE1EEEvSI_.has_dyn_sized_stack, 0
	.set _ZN7rocprim17ROCPRIM_400000_NS6detail17trampoline_kernelINS0_14default_configENS1_38merge_sort_block_merge_config_selectorIN3c108BFloat16ElEEZZNS1_27merge_sort_block_merge_implIS3_PS6_N6thrust23THRUST_200600_302600_NS10device_ptrIlEEmNSB_4lessIS6_EEEE10hipError_tT0_T1_T2_jT3_P12ihipStream_tbPNSt15iterator_traitsISH_E10value_typeEPNSN_ISI_E10value_typeEPSJ_NS1_7vsmem_tEENKUlT_SH_SI_SJ_E_clIS9_S9_PlSD_EESG_SW_SH_SI_SJ_EUlSW_E0_NS1_11comp_targetILNS1_3genE3ELNS1_11target_archE908ELNS1_3gpuE7ELNS1_3repE0EEENS1_38merge_mergepath_config_static_selectorELNS0_4arch9wavefront6targetE1EEEvSI_.has_recursion, 0
	.set _ZN7rocprim17ROCPRIM_400000_NS6detail17trampoline_kernelINS0_14default_configENS1_38merge_sort_block_merge_config_selectorIN3c108BFloat16ElEEZZNS1_27merge_sort_block_merge_implIS3_PS6_N6thrust23THRUST_200600_302600_NS10device_ptrIlEEmNSB_4lessIS6_EEEE10hipError_tT0_T1_T2_jT3_P12ihipStream_tbPNSt15iterator_traitsISH_E10value_typeEPNSN_ISI_E10value_typeEPSJ_NS1_7vsmem_tEENKUlT_SH_SI_SJ_E_clIS9_S9_PlSD_EESG_SW_SH_SI_SJ_EUlSW_E0_NS1_11comp_targetILNS1_3genE3ELNS1_11target_archE908ELNS1_3gpuE7ELNS1_3repE0EEENS1_38merge_mergepath_config_static_selectorELNS0_4arch9wavefront6targetE1EEEvSI_.has_indirect_call, 0
	.section	.AMDGPU.csdata,"",@progbits
; Kernel info:
; codeLenInByte = 0
; TotalNumSgprs: 4
; NumVgprs: 0
; ScratchSize: 0
; MemoryBound: 0
; FloatMode: 240
; IeeeMode: 1
; LDSByteSize: 0 bytes/workgroup (compile time only)
; SGPRBlocks: 0
; VGPRBlocks: 0
; NumSGPRsForWavesPerEU: 4
; NumVGPRsForWavesPerEU: 1
; Occupancy: 10
; WaveLimiterHint : 0
; COMPUTE_PGM_RSRC2:SCRATCH_EN: 0
; COMPUTE_PGM_RSRC2:USER_SGPR: 6
; COMPUTE_PGM_RSRC2:TRAP_HANDLER: 0
; COMPUTE_PGM_RSRC2:TGID_X_EN: 1
; COMPUTE_PGM_RSRC2:TGID_Y_EN: 0
; COMPUTE_PGM_RSRC2:TGID_Z_EN: 0
; COMPUTE_PGM_RSRC2:TIDIG_COMP_CNT: 0
	.section	.text._ZN7rocprim17ROCPRIM_400000_NS6detail17trampoline_kernelINS0_14default_configENS1_38merge_sort_block_merge_config_selectorIN3c108BFloat16ElEEZZNS1_27merge_sort_block_merge_implIS3_PS6_N6thrust23THRUST_200600_302600_NS10device_ptrIlEEmNSB_4lessIS6_EEEE10hipError_tT0_T1_T2_jT3_P12ihipStream_tbPNSt15iterator_traitsISH_E10value_typeEPNSN_ISI_E10value_typeEPSJ_NS1_7vsmem_tEENKUlT_SH_SI_SJ_E_clIS9_S9_PlSD_EESG_SW_SH_SI_SJ_EUlSW_E0_NS1_11comp_targetILNS1_3genE2ELNS1_11target_archE906ELNS1_3gpuE6ELNS1_3repE0EEENS1_38merge_mergepath_config_static_selectorELNS0_4arch9wavefront6targetE1EEEvSI_,"axG",@progbits,_ZN7rocprim17ROCPRIM_400000_NS6detail17trampoline_kernelINS0_14default_configENS1_38merge_sort_block_merge_config_selectorIN3c108BFloat16ElEEZZNS1_27merge_sort_block_merge_implIS3_PS6_N6thrust23THRUST_200600_302600_NS10device_ptrIlEEmNSB_4lessIS6_EEEE10hipError_tT0_T1_T2_jT3_P12ihipStream_tbPNSt15iterator_traitsISH_E10value_typeEPNSN_ISI_E10value_typeEPSJ_NS1_7vsmem_tEENKUlT_SH_SI_SJ_E_clIS9_S9_PlSD_EESG_SW_SH_SI_SJ_EUlSW_E0_NS1_11comp_targetILNS1_3genE2ELNS1_11target_archE906ELNS1_3gpuE6ELNS1_3repE0EEENS1_38merge_mergepath_config_static_selectorELNS0_4arch9wavefront6targetE1EEEvSI_,comdat
	.protected	_ZN7rocprim17ROCPRIM_400000_NS6detail17trampoline_kernelINS0_14default_configENS1_38merge_sort_block_merge_config_selectorIN3c108BFloat16ElEEZZNS1_27merge_sort_block_merge_implIS3_PS6_N6thrust23THRUST_200600_302600_NS10device_ptrIlEEmNSB_4lessIS6_EEEE10hipError_tT0_T1_T2_jT3_P12ihipStream_tbPNSt15iterator_traitsISH_E10value_typeEPNSN_ISI_E10value_typeEPSJ_NS1_7vsmem_tEENKUlT_SH_SI_SJ_E_clIS9_S9_PlSD_EESG_SW_SH_SI_SJ_EUlSW_E0_NS1_11comp_targetILNS1_3genE2ELNS1_11target_archE906ELNS1_3gpuE6ELNS1_3repE0EEENS1_38merge_mergepath_config_static_selectorELNS0_4arch9wavefront6targetE1EEEvSI_ ; -- Begin function _ZN7rocprim17ROCPRIM_400000_NS6detail17trampoline_kernelINS0_14default_configENS1_38merge_sort_block_merge_config_selectorIN3c108BFloat16ElEEZZNS1_27merge_sort_block_merge_implIS3_PS6_N6thrust23THRUST_200600_302600_NS10device_ptrIlEEmNSB_4lessIS6_EEEE10hipError_tT0_T1_T2_jT3_P12ihipStream_tbPNSt15iterator_traitsISH_E10value_typeEPNSN_ISI_E10value_typeEPSJ_NS1_7vsmem_tEENKUlT_SH_SI_SJ_E_clIS9_S9_PlSD_EESG_SW_SH_SI_SJ_EUlSW_E0_NS1_11comp_targetILNS1_3genE2ELNS1_11target_archE906ELNS1_3gpuE6ELNS1_3repE0EEENS1_38merge_mergepath_config_static_selectorELNS0_4arch9wavefront6targetE1EEEvSI_
	.globl	_ZN7rocprim17ROCPRIM_400000_NS6detail17trampoline_kernelINS0_14default_configENS1_38merge_sort_block_merge_config_selectorIN3c108BFloat16ElEEZZNS1_27merge_sort_block_merge_implIS3_PS6_N6thrust23THRUST_200600_302600_NS10device_ptrIlEEmNSB_4lessIS6_EEEE10hipError_tT0_T1_T2_jT3_P12ihipStream_tbPNSt15iterator_traitsISH_E10value_typeEPNSN_ISI_E10value_typeEPSJ_NS1_7vsmem_tEENKUlT_SH_SI_SJ_E_clIS9_S9_PlSD_EESG_SW_SH_SI_SJ_EUlSW_E0_NS1_11comp_targetILNS1_3genE2ELNS1_11target_archE906ELNS1_3gpuE6ELNS1_3repE0EEENS1_38merge_mergepath_config_static_selectorELNS0_4arch9wavefront6targetE1EEEvSI_
	.p2align	8
	.type	_ZN7rocprim17ROCPRIM_400000_NS6detail17trampoline_kernelINS0_14default_configENS1_38merge_sort_block_merge_config_selectorIN3c108BFloat16ElEEZZNS1_27merge_sort_block_merge_implIS3_PS6_N6thrust23THRUST_200600_302600_NS10device_ptrIlEEmNSB_4lessIS6_EEEE10hipError_tT0_T1_T2_jT3_P12ihipStream_tbPNSt15iterator_traitsISH_E10value_typeEPNSN_ISI_E10value_typeEPSJ_NS1_7vsmem_tEENKUlT_SH_SI_SJ_E_clIS9_S9_PlSD_EESG_SW_SH_SI_SJ_EUlSW_E0_NS1_11comp_targetILNS1_3genE2ELNS1_11target_archE906ELNS1_3gpuE6ELNS1_3repE0EEENS1_38merge_mergepath_config_static_selectorELNS0_4arch9wavefront6targetE1EEEvSI_,@function
_ZN7rocprim17ROCPRIM_400000_NS6detail17trampoline_kernelINS0_14default_configENS1_38merge_sort_block_merge_config_selectorIN3c108BFloat16ElEEZZNS1_27merge_sort_block_merge_implIS3_PS6_N6thrust23THRUST_200600_302600_NS10device_ptrIlEEmNSB_4lessIS6_EEEE10hipError_tT0_T1_T2_jT3_P12ihipStream_tbPNSt15iterator_traitsISH_E10value_typeEPNSN_ISI_E10value_typeEPSJ_NS1_7vsmem_tEENKUlT_SH_SI_SJ_E_clIS9_S9_PlSD_EESG_SW_SH_SI_SJ_EUlSW_E0_NS1_11comp_targetILNS1_3genE2ELNS1_11target_archE906ELNS1_3gpuE6ELNS1_3repE0EEENS1_38merge_mergepath_config_static_selectorELNS0_4arch9wavefront6targetE1EEEvSI_: ; @_ZN7rocprim17ROCPRIM_400000_NS6detail17trampoline_kernelINS0_14default_configENS1_38merge_sort_block_merge_config_selectorIN3c108BFloat16ElEEZZNS1_27merge_sort_block_merge_implIS3_PS6_N6thrust23THRUST_200600_302600_NS10device_ptrIlEEmNSB_4lessIS6_EEEE10hipError_tT0_T1_T2_jT3_P12ihipStream_tbPNSt15iterator_traitsISH_E10value_typeEPNSN_ISI_E10value_typeEPSJ_NS1_7vsmem_tEENKUlT_SH_SI_SJ_E_clIS9_S9_PlSD_EESG_SW_SH_SI_SJ_EUlSW_E0_NS1_11comp_targetILNS1_3genE2ELNS1_11target_archE906ELNS1_3gpuE6ELNS1_3repE0EEENS1_38merge_mergepath_config_static_selectorELNS0_4arch9wavefront6targetE1EEEvSI_
; %bb.0:
	s_load_dwordx2 s[28:29], s[4:5], 0x48
	s_load_dword s1, s[4:5], 0x38
	s_add_u32 s26, s4, 0x48
	s_addc_u32 s27, s5, 0
	s_waitcnt lgkmcnt(0)
	s_mul_i32 s0, s29, s8
	s_add_i32 s0, s0, s7
	s_mul_i32 s0, s0, s28
	s_add_i32 s0, s0, s6
	s_cmp_ge_u32 s0, s1
	s_cbranch_scc1 .LBB1991_55
; %bb.1:
	s_load_dwordx2 s[2:3], s[4:5], 0x40
	s_load_dwordx4 s[16:19], s[4:5], 0x28
	s_mov_b32 s1, 0
	s_lshl_b64 s[8:9], s[0:1], 3
	s_waitcnt lgkmcnt(0)
	s_add_u32 s2, s2, s8
	s_addc_u32 s3, s3, s9
	s_lshr_b64 s[8:9], s[18:19], 9
	s_load_dwordx4 s[20:23], s[2:3], 0x0
	s_and_b32 s2, s8, -2
	s_sub_i32 s36, 0, s2
	s_and_b32 s8, s0, s36
	s_mov_b32 s9, s1
	s_lshl_b64 s[2:3], s[8:9], 10
	s_lshl_b64 s[24:25], s[0:1], 10
	s_sub_u32 s7, s24, s2
	s_subb_u32 s10, s25, s3
	s_lshl_b64 s[8:9], s[8:9], 11
	s_add_u32 s31, s8, s18
	s_addc_u32 s33, s9, s19
	s_add_u32 s7, s31, s7
	s_addc_u32 s30, s33, s10
	s_waitcnt lgkmcnt(0)
	s_sub_u32 s8, s7, s22
	s_subb_u32 s9, s30, s23
	s_add_u32 s34, s8, 0x400
	s_addc_u32 s35, s9, 0
	v_mov_b32_e32 v1, s34
	v_mov_b32_e32 v2, s35
	v_cmp_lt_u64_e32 vcc, s[16:17], v[1:2]
	s_load_dwordx8 s[8:15], s[4:5], 0x8
	s_and_b64 s[4:5], vcc, exec
	s_cselect_b32 s29, s16, s34
	s_or_b32 s4, s0, s36
	s_cmp_lg_u32 s4, -1
	s_cbranch_scc1 .LBB1991_3
; %bb.2:
	s_sub_u32 s2, s31, s2
	s_subb_u32 s3, s33, s3
	v_mov_b32_e32 v1, s2
	v_mov_b32_e32 v2, s3
	v_cmp_lt_u64_e32 vcc, s[16:17], v[1:2]
	s_and_b64 s[4:5], vcc, exec
	s_cselect_b32 s22, s16, s2
	s_add_u32 s2, s2, s18
	s_addc_u32 s3, s3, s19
	v_mov_b32_e32 v1, s2
	v_mov_b32_e32 v2, s3
	v_cmp_lt_u64_e32 vcc, s[16:17], v[1:2]
	s_and_b64 s[4:5], vcc, exec
	s_cselect_b32 s29, s16, s2
.LBB1991_3:
	s_lshr_b64 s[4:5], s[16:17], 10
	s_cmp_lg_u64 s[4:5], s[0:1]
	s_cselect_b64 s[18:19], -1, 0
	s_sub_u32 s2, s7, s20
	s_subb_u32 s3, s30, s21
	v_mov_b32_e32 v1, s2
	v_mov_b32_e32 v2, s3
	v_cmp_lt_u64_e32 vcc, s[16:17], v[1:2]
	v_mov_b32_e32 v2, 0
	s_and_b64 s[30:31], vcc, exec
	s_cselect_b32 s3, s17, s3
	s_cselect_b32 s2, s16, s2
	s_sub_i32 s17, s22, s20
	s_lshl_b64 s[22:23], s[20:21], 1
	s_waitcnt lgkmcnt(0)
	s_add_u32 s22, s8, s22
	s_addc_u32 s23, s9, s23
	s_lshl_b64 s[30:31], s[2:3], 1
	s_add_u32 s7, s8, s30
	global_load_dword v1, v2, s[26:27] offset:14
	s_addc_u32 s8, s9, s31
	s_cmp_lt_u32 s6, s28
	s_cselect_b32 s6, 12, 18
	s_add_u32 s26, s26, s6
	s_addc_u32 s27, s27, 0
	global_load_ushort v3, v2, s[26:27]
	s_cmp_eq_u64 s[4:5], s[0:1]
	v_lshlrev_b32_e32 v13, 1, v0
	s_waitcnt vmcnt(1)
	v_lshrrev_b32_e32 v4, 16, v1
	v_and_b32_e32 v1, 0xffff, v1
	v_mul_lo_u32 v1, v1, v4
	s_waitcnt vmcnt(0)
	v_mul_lo_u32 v18, v1, v3
	v_add_u32_e32 v11, v18, v0
	v_add_u32_e32 v9, v11, v18
	s_cbranch_scc1 .LBB1991_5
; %bb.4:
	v_mov_b32_e32 v1, s23
	v_add_co_u32_e32 v5, vcc, s22, v13
	v_addc_co_u32_e32 v6, vcc, 0, v1, vcc
	v_subrev_co_u32_e32 v1, vcc, s17, v0
	v_lshlrev_b64 v[3:4], 1, v[1:2]
	v_mov_b32_e32 v1, s8
	v_add_co_u32_e64 v3, s[0:1], s7, v3
	v_addc_co_u32_e64 v1, s[0:1], v1, v4, s[0:1]
	v_cndmask_b32_e32 v4, v1, v6, vcc
	v_cndmask_b32_e32 v3, v3, v5, vcc
	v_mov_b32_e32 v12, v2
	global_load_ushort v15, v[3:4], off
	v_lshlrev_b64 v[3:4], 1, v[11:12]
	v_mov_b32_e32 v1, s23
	v_add_co_u32_e32 v5, vcc, s22, v3
	v_addc_co_u32_e32 v6, vcc, v1, v4, vcc
	v_subrev_co_u32_e32 v1, vcc, s17, v11
	v_lshlrev_b64 v[3:4], 1, v[1:2]
	v_mov_b32_e32 v1, s8
	v_add_co_u32_e64 v3, s[0:1], s7, v3
	v_addc_co_u32_e64 v1, s[0:1], v1, v4, s[0:1]
	v_cndmask_b32_e32 v4, v1, v6, vcc
	v_cndmask_b32_e32 v3, v3, v5, vcc
	v_mov_b32_e32 v10, v2
	global_load_ushort v16, v[3:4], off
	v_lshlrev_b64 v[3:4], 1, v[9:10]
	v_mov_b32_e32 v1, s23
	v_add_co_u32_e32 v3, vcc, s22, v3
	v_addc_co_u32_e32 v4, vcc, v1, v4, vcc
	v_subrev_co_u32_e32 v1, vcc, s17, v9
	v_lshlrev_b64 v[1:2], 1, v[1:2]
	v_mov_b32_e32 v5, s8
	v_add_co_u32_e64 v1, s[0:1], s7, v1
	v_addc_co_u32_e64 v2, s[0:1], v5, v2, s[0:1]
	v_cndmask_b32_e32 v2, v2, v4, vcc
	v_cndmask_b32_e32 v1, v1, v3, vcc
	global_load_ushort v17, v[1:2], off
	v_add_u32_e32 v1, v9, v18
	s_mov_b64 s[0:1], -1
	s_sub_i32 s6, s29, s2
	s_cbranch_execz .LBB1991_6
	s_branch .LBB1991_13
.LBB1991_5:
	s_mov_b64 s[0:1], 0
                                        ; implicit-def: $vgpr1
                                        ; implicit-def: $vgpr17
                                        ; implicit-def: $vgpr16
                                        ; implicit-def: $vgpr15
	s_sub_i32 s6, s29, s2
.LBB1991_6:
	s_add_i32 s9, s17, s6
	v_cmp_gt_u32_e32 vcc, s9, v0
                                        ; implicit-def: $vgpr15
	s_and_saveexec_b64 s[4:5], vcc
	s_cbranch_execz .LBB1991_8
; %bb.7:
	v_mov_b32_e32 v1, s23
	v_add_co_u32_e32 v3, vcc, s22, v13
	v_addc_co_u32_e32 v4, vcc, 0, v1, vcc
	v_subrev_co_u32_e32 v1, vcc, s17, v0
	v_mov_b32_e32 v2, 0
	v_lshlrev_b64 v[1:2], 1, v[1:2]
	v_mov_b32_e32 v5, s8
	v_add_co_u32_e64 v1, s[0:1], s7, v1
	v_addc_co_u32_e64 v2, s[0:1], v5, v2, s[0:1]
	v_cndmask_b32_e32 v2, v2, v4, vcc
	v_cndmask_b32_e32 v1, v1, v3, vcc
	global_load_ushort v15, v[1:2], off
.LBB1991_8:
	s_or_b64 exec, exec, s[4:5]
	v_cmp_gt_u32_e32 vcc, s9, v11
                                        ; implicit-def: $vgpr16
	s_and_saveexec_b64 s[4:5], vcc
	s_cbranch_execz .LBB1991_10
; %bb.9:
	v_mov_b32_e32 v12, 0
	v_lshlrev_b64 v[1:2], 1, v[11:12]
	v_mov_b32_e32 v3, s23
	v_add_co_u32_e32 v4, vcc, s22, v1
	v_addc_co_u32_e32 v3, vcc, v3, v2, vcc
	v_subrev_co_u32_e32 v1, vcc, s17, v11
	v_mov_b32_e32 v2, v12
	v_lshlrev_b64 v[1:2], 1, v[1:2]
	v_mov_b32_e32 v5, s8
	v_add_co_u32_e64 v1, s[0:1], s7, v1
	v_addc_co_u32_e64 v2, s[0:1], v5, v2, s[0:1]
	v_cndmask_b32_e32 v2, v2, v3, vcc
	v_cndmask_b32_e32 v1, v1, v4, vcc
	global_load_ushort v16, v[1:2], off
.LBB1991_10:
	s_or_b64 exec, exec, s[4:5]
	v_cmp_gt_u32_e32 vcc, s9, v9
                                        ; implicit-def: $vgpr17
	s_and_saveexec_b64 s[4:5], vcc
	s_cbranch_execz .LBB1991_12
; %bb.11:
	v_mov_b32_e32 v10, 0
	v_lshlrev_b64 v[1:2], 1, v[9:10]
	v_mov_b32_e32 v3, s23
	v_add_co_u32_e32 v4, vcc, s22, v1
	v_addc_co_u32_e32 v3, vcc, v3, v2, vcc
	v_subrev_co_u32_e32 v1, vcc, s17, v9
	v_mov_b32_e32 v2, v10
	v_lshlrev_b64 v[1:2], 1, v[1:2]
	v_mov_b32_e32 v5, s8
	v_add_co_u32_e64 v1, s[0:1], s7, v1
	v_addc_co_u32_e64 v2, s[0:1], v5, v2, s[0:1]
	v_cndmask_b32_e32 v2, v2, v3, vcc
	v_cndmask_b32_e32 v1, v1, v4, vcc
	global_load_ushort v17, v[1:2], off
.LBB1991_12:
	s_or_b64 exec, exec, s[4:5]
	v_add_u32_e32 v1, v9, v18
	v_cmp_gt_u32_e64 s[0:1], s9, v1
.LBB1991_13:
                                        ; implicit-def: $vgpr19
	s_and_saveexec_b64 s[4:5], s[0:1]
	s_cbranch_execz .LBB1991_15
; %bb.14:
	v_mov_b32_e32 v2, 0
	v_lshlrev_b64 v[3:4], 1, v[1:2]
	v_mov_b32_e32 v5, s23
	v_add_co_u32_e32 v3, vcc, s22, v3
	v_addc_co_u32_e32 v4, vcc, v5, v4, vcc
	v_subrev_co_u32_e32 v1, vcc, s17, v1
	v_lshlrev_b64 v[1:2], 1, v[1:2]
	v_mov_b32_e32 v5, s8
	v_add_co_u32_e64 v1, s[0:1], s7, v1
	v_addc_co_u32_e64 v2, s[0:1], v5, v2, s[0:1]
	v_cndmask_b32_e32 v2, v2, v4, vcc
	v_cndmask_b32_e32 v1, v1, v3, vcc
	global_load_ushort v19, v[1:2], off
.LBB1991_15:
	s_or_b64 exec, exec, s[4:5]
	s_lshl_b64 s[0:1], s[20:21], 3
	s_add_u32 s7, s12, s0
	s_addc_u32 s8, s13, s1
	s_lshl_b64 s[0:1], s[2:3], 3
	s_add_u32 s4, s12, s0
	v_mov_b32_e32 v8, 0
	s_addc_u32 s5, s13, s1
	s_andn2_b64 vcc, exec, s[18:19]
	v_lshlrev_b32_e32 v14, 3, v0
	s_waitcnt vmcnt(0)
	ds_write_b16 v13, v15
	ds_write_b16 v13, v16 offset:512
	ds_write_b16 v13, v17 offset:1024
	;; [unrolled: 1-line block ×3, first 2 shown]
	s_cbranch_vccnz .LBB1991_17
; %bb.16:
	v_mov_b32_e32 v1, s8
	v_add_co_u32_e32 v3, vcc, s7, v14
	v_addc_co_u32_e32 v4, vcc, 0, v1, vcc
	v_subrev_co_u32_e32 v7, vcc, s17, v0
	v_lshlrev_b64 v[1:2], 3, v[7:8]
	v_mov_b32_e32 v5, s5
	v_add_co_u32_e64 v1, s[0:1], s4, v1
	v_addc_co_u32_e64 v2, s[0:1], v5, v2, s[0:1]
	v_mov_b32_e32 v12, v8
	v_cndmask_b32_e32 v2, v2, v4, vcc
	v_cndmask_b32_e32 v1, v1, v3, vcc
	v_lshlrev_b64 v[3:4], 3, v[11:12]
	v_mov_b32_e32 v5, s8
	v_add_co_u32_e32 v6, vcc, s7, v3
	v_addc_co_u32_e32 v5, vcc, v5, v4, vcc
	v_subrev_co_u32_e32 v7, vcc, s17, v11
	v_lshlrev_b64 v[3:4], 3, v[7:8]
	v_mov_b32_e32 v7, s5
	v_add_co_u32_e64 v3, s[0:1], s4, v3
	v_addc_co_u32_e64 v4, s[0:1], v7, v4, s[0:1]
	v_mov_b32_e32 v10, v8
	v_cndmask_b32_e32 v4, v4, v5, vcc
	v_cndmask_b32_e32 v3, v3, v6, vcc
	v_lshlrev_b64 v[5:6], 3, v[9:10]
	v_mov_b32_e32 v7, s8
	v_add_co_u32_e32 v10, vcc, s7, v5
	v_addc_co_u32_e32 v12, vcc, v7, v6, vcc
	v_subrev_co_u32_e32 v7, vcc, s17, v9
	v_lshlrev_b64 v[5:6], 3, v[7:8]
	v_mov_b32_e32 v7, s5
	v_add_co_u32_e64 v5, s[0:1], s4, v5
	v_addc_co_u32_e64 v6, s[0:1], v7, v6, s[0:1]
	v_add_u32_e32 v7, v9, v18
	v_lshlrev_b64 v[20:21], 3, v[7:8]
	v_cndmask_b32_e32 v6, v6, v12, vcc
	v_cndmask_b32_e32 v5, v5, v10, vcc
	v_mov_b32_e32 v10, s8
	v_add_co_u32_e32 v12, vcc, s7, v20
	v_addc_co_u32_e32 v10, vcc, v10, v21, vcc
	v_subrev_co_u32_e32 v7, vcc, s17, v7
	v_lshlrev_b64 v[7:8], 3, v[7:8]
	v_mov_b32_e32 v20, s5
	v_add_co_u32_e64 v7, s[0:1], s4, v7
	v_addc_co_u32_e64 v8, s[0:1], v20, v8, s[0:1]
	v_cndmask_b32_e32 v8, v8, v10, vcc
	v_cndmask_b32_e32 v7, v7, v12, vcc
	global_load_dwordx2 v[1:2], v[1:2], off
	s_add_i32 s12, s17, s6
	global_load_dwordx2 v[3:4], v[3:4], off
	s_nop 0
	global_load_dwordx2 v[5:6], v[5:6], off
	s_nop 0
	global_load_dwordx2 v[7:8], v[7:8], off
	s_cbranch_execz .LBB1991_18
	s_branch .LBB1991_25
.LBB1991_17:
                                        ; implicit-def: $vgpr1_vgpr2_vgpr3_vgpr4_vgpr5_vgpr6_vgpr7_vgpr8
                                        ; implicit-def: $sgpr12
.LBB1991_18:
	s_add_i32 s12, s17, s6
	s_waitcnt vmcnt(3)
	v_mov_b32_e32 v1, 0
	v_cmp_gt_u32_e32 vcc, s12, v0
	v_mov_b32_e32 v2, v1
	s_waitcnt vmcnt(2)
	v_mov_b32_e32 v3, v1
	v_mov_b32_e32 v4, v1
	s_waitcnt vmcnt(1)
	v_mov_b32_e32 v5, v1
	;; [unrolled: 3-line block ×3, first 2 shown]
	v_mov_b32_e32 v8, v1
	s_and_saveexec_b64 s[2:3], vcc
	s_cbranch_execz .LBB1991_37
; %bb.19:
	v_mov_b32_e32 v2, s8
	v_add_co_u32_e32 v4, vcc, s7, v14
	v_addc_co_u32_e32 v5, vcc, 0, v2, vcc
	v_subrev_co_u32_e32 v2, vcc, s17, v0
	v_mov_b32_e32 v3, v1
	v_lshlrev_b64 v[2:3], 3, v[2:3]
	v_mov_b32_e32 v6, s5
	v_add_co_u32_e64 v2, s[0:1], s4, v2
	v_addc_co_u32_e64 v3, s[0:1], v6, v3, s[0:1]
	v_cndmask_b32_e32 v3, v3, v5, vcc
	v_cndmask_b32_e32 v2, v2, v4, vcc
	global_load_dwordx2 v[20:21], v[2:3], off
	v_mov_b32_e32 v22, v1
	v_mov_b32_e32 v23, v1
	v_mov_b32_e32 v24, v1
	v_mov_b32_e32 v25, v1
	v_mov_b32_e32 v26, v1
	v_mov_b32_e32 v27, v1
	s_waitcnt vmcnt(0)
	v_mov_b32_e32 v1, v20
	v_mov_b32_e32 v2, v21
	;; [unrolled: 1-line block ×8, first 2 shown]
	s_or_b64 exec, exec, s[2:3]
	v_cmp_gt_u32_e32 vcc, s12, v11
	s_and_saveexec_b64 s[2:3], vcc
	s_cbranch_execnz .LBB1991_38
.LBB1991_20:
	s_or_b64 exec, exec, s[2:3]
	v_cmp_gt_u32_e32 vcc, s12, v9
	s_and_saveexec_b64 s[2:3], vcc
	s_cbranch_execz .LBB1991_22
.LBB1991_21:
	v_mov_b32_e32 v10, 0
	v_lshlrev_b64 v[5:6], 3, v[9:10]
	v_mov_b32_e32 v11, s8
	v_add_co_u32_e32 v12, vcc, s7, v5
	v_addc_co_u32_e32 v11, vcc, v11, v6, vcc
	v_subrev_co_u32_e32 v5, vcc, s17, v9
	v_mov_b32_e32 v6, v10
	v_lshlrev_b64 v[5:6], 3, v[5:6]
	v_mov_b32_e32 v10, s5
	v_add_co_u32_e64 v5, s[0:1], s4, v5
	v_addc_co_u32_e64 v6, s[0:1], v10, v6, s[0:1]
	v_cndmask_b32_e32 v6, v6, v11, vcc
	v_cndmask_b32_e32 v5, v5, v12, vcc
	global_load_dwordx2 v[5:6], v[5:6], off
.LBB1991_22:
	s_or_b64 exec, exec, s[2:3]
	v_add_u32_e32 v9, v9, v18
	v_cmp_gt_u32_e32 vcc, s12, v9
	s_and_saveexec_b64 s[2:3], vcc
	s_cbranch_execz .LBB1991_24
; %bb.23:
	v_mov_b32_e32 v10, 0
	v_lshlrev_b64 v[7:8], 3, v[9:10]
	v_mov_b32_e32 v11, s8
	v_add_co_u32_e32 v12, vcc, s7, v7
	v_addc_co_u32_e32 v11, vcc, v11, v8, vcc
	v_subrev_co_u32_e32 v9, vcc, s17, v9
	v_lshlrev_b64 v[7:8], 3, v[9:10]
	v_mov_b32_e32 v9, s5
	v_add_co_u32_e64 v7, s[0:1], s4, v7
	v_addc_co_u32_e64 v8, s[0:1], v9, v8, s[0:1]
	v_cndmask_b32_e32 v8, v8, v11, vcc
	v_cndmask_b32_e32 v7, v7, v12, vcc
	global_load_dwordx2 v[7:8], v[7:8], off
.LBB1991_24:
	s_or_b64 exec, exec, s[2:3]
.LBB1991_25:
	v_lshlrev_b32_e32 v11, 2, v0
	v_min_u32_e32 v10, s12, v11
	v_sub_u32_e64 v9, v10, s6 clamp
	v_min_u32_e32 v12, s17, v10
	v_cmp_lt_u32_e32 vcc, v9, v12
	s_waitcnt vmcnt(0) lgkmcnt(0)
	s_barrier
	s_and_saveexec_b64 s[0:1], vcc
	s_cbranch_execz .LBB1991_29
; %bb.26:
	v_lshlrev_b32_e32 v18, 1, v10
	v_lshl_add_u32 v18, s17, 1, v18
	s_mov_b64 s[2:3], 0
.LBB1991_27:                            ; =>This Inner Loop Header: Depth=1
	v_add_u32_e32 v20, v12, v9
	v_lshrrev_b32_e32 v21, 1, v20
	v_not_b32_e32 v22, v21
	v_and_b32_e32 v20, -2, v20
	v_lshl_add_u32 v22, v22, 1, v18
	ds_read_u16 v20, v20
	ds_read_u16 v22, v22
	v_add_u32_e32 v23, 1, v21
	s_waitcnt lgkmcnt(1)
	v_lshlrev_b32_e32 v20, 16, v20
	s_waitcnt lgkmcnt(0)
	v_lshlrev_b32_e32 v22, 16, v22
	v_cmp_lt_f32_e32 vcc, v22, v20
	v_cndmask_b32_e32 v12, v12, v21, vcc
	v_cndmask_b32_e32 v9, v23, v9, vcc
	v_cmp_ge_u32_e32 vcc, v9, v12
	s_or_b64 s[2:3], vcc, s[2:3]
	s_andn2_b64 exec, exec, s[2:3]
	s_cbranch_execnz .LBB1991_27
; %bb.28:
	s_or_b64 exec, exec, s[2:3]
.LBB1991_29:
	s_or_b64 exec, exec, s[0:1]
	v_sub_u32_e32 v10, v10, v9
	v_add_u32_e32 v20, s17, v10
	v_cmp_ge_u32_e32 vcc, s17, v9
	v_cmp_ge_u32_e64 s[0:1], s12, v20
	s_or_b64 s[0:1], vcc, s[0:1]
	v_mov_b32_e32 v21, 0
	v_mov_b32_e32 v18, 0
	;; [unrolled: 1-line block ×4, first 2 shown]
	s_and_saveexec_b64 s[8:9], s[0:1]
	s_cbranch_execz .LBB1991_35
; %bb.30:
	v_cmp_gt_u32_e32 vcc, s17, v9
                                        ; implicit-def: $vgpr15
	s_and_saveexec_b64 s[0:1], vcc
; %bb.31:
	v_lshlrev_b32_e32 v10, 1, v9
	ds_read_u16 v15, v10
; %bb.32:
	s_or_b64 exec, exec, s[0:1]
	v_cmp_le_u32_e64 s[0:1], s12, v20
	v_cmp_gt_u32_e64 s[2:3], s12, v20
                                        ; implicit-def: $vgpr16
	s_and_saveexec_b64 s[4:5], s[2:3]
; %bb.33:
	v_lshlrev_b32_e32 v10, 1, v20
	ds_read_u16 v16, v10
; %bb.34:
	s_or_b64 exec, exec, s[4:5]
	s_waitcnt lgkmcnt(0)
	v_lshlrev_b32_e32 v10, 16, v15
	v_lshlrev_b32_e32 v12, 16, v16
	v_cmp_nlt_f32_e64 s[2:3], v12, v10
	s_and_b64 s[2:3], vcc, s[2:3]
	s_or_b64 vcc, s[0:1], s[2:3]
	v_mov_b32_e32 v17, s12
	v_mov_b32_e32 v19, s17
	v_cndmask_b32_e32 v10, v20, v9, vcc
	v_cndmask_b32_e32 v12, v17, v19, vcc
	v_add_u32_e32 v18, 1, v10
	v_add_u32_e32 v12, -1, v12
	v_min_u32_e32 v12, v18, v12
	v_lshlrev_b32_e32 v12, 1, v12
	ds_read_u16 v12, v12
	v_cndmask_b32_e32 v20, v18, v20, vcc
	v_cndmask_b32_e32 v9, v9, v18, vcc
	v_cmp_gt_u32_e64 s[2:3], s17, v9
	v_cmp_le_u32_e64 s[0:1], s12, v20
	s_waitcnt lgkmcnt(0)
	v_cndmask_b32_e32 v21, v12, v16, vcc
	v_cndmask_b32_e32 v22, v15, v12, vcc
	v_lshlrev_b32_e32 v12, 16, v21
	v_lshlrev_b32_e32 v18, 16, v22
	v_cmp_nlt_f32_e64 s[4:5], v12, v18
	s_and_b64 s[2:3], s[2:3], s[4:5]
	s_or_b64 s[0:1], s[0:1], s[2:3]
	v_cndmask_b32_e64 v12, v20, v9, s[0:1]
	v_cndmask_b32_e64 v18, v17, v19, s[0:1]
	v_add_u32_e32 v23, 1, v12
	v_add_u32_e32 v18, -1, v18
	v_min_u32_e32 v18, v23, v18
	v_lshlrev_b32_e32 v18, 1, v18
	ds_read_u16 v18, v18
	v_cndmask_b32_e64 v20, v23, v20, s[0:1]
	v_cndmask_b32_e64 v9, v9, v23, s[0:1]
	v_cmp_gt_u32_e64 s[4:5], s17, v9
	v_cmp_le_u32_e64 s[2:3], s12, v20
	s_waitcnt lgkmcnt(0)
	v_cndmask_b32_e64 v24, v18, v21, s[0:1]
	v_cndmask_b32_e64 v25, v22, v18, s[0:1]
	v_lshlrev_b32_e32 v18, 16, v24
	v_lshlrev_b32_e32 v23, 16, v25
	v_cmp_nlt_f32_e64 s[6:7], v18, v23
	s_and_b64 s[4:5], s[4:5], s[6:7]
	s_or_b64 s[2:3], s[2:3], s[4:5]
	v_cndmask_b32_e64 v18, v20, v9, s[2:3]
	v_cndmask_b32_e64 v17, v17, v19, s[2:3]
	v_add_u32_e32 v19, 1, v18
	v_add_u32_e32 v17, -1, v17
	v_min_u32_e32 v17, v19, v17
	v_lshlrev_b32_e32 v17, 1, v17
	ds_read_u16 v23, v17
	v_cndmask_b32_e32 v15, v16, v15, vcc
	v_cndmask_b32_e64 v16, v21, v22, s[0:1]
	v_cndmask_b32_e64 v20, v19, v20, s[2:3]
	;; [unrolled: 1-line block ×3, first 2 shown]
	s_waitcnt lgkmcnt(0)
	v_cndmask_b32_e64 v22, v23, v24, s[2:3]
	v_cndmask_b32_e64 v23, v25, v23, s[2:3]
	v_lshlrev_b32_e32 v19, 16, v22
	v_lshlrev_b32_e32 v21, 16, v23
	v_cndmask_b32_e64 v17, v24, v25, s[2:3]
	v_cmp_gt_u32_e64 s[0:1], s17, v9
	v_cmp_nlt_f32_e64 s[2:3], v19, v21
	v_cmp_le_u32_e32 vcc, s12, v20
	s_and_b64 s[0:1], s[0:1], s[2:3]
	s_or_b64 vcc, vcc, s[0:1]
	v_cndmask_b32_e32 v21, v20, v9, vcc
	v_cndmask_b32_e32 v19, v22, v23, vcc
.LBB1991_35:
	s_or_b64 exec, exec, s[8:9]
	v_mad_u32_u24 v9, v0, 6, v13
	s_barrier
	ds_write2st64_b64 v9, v[1:2], v[3:4] offset1:4
	ds_write2st64_b64 v9, v[5:6], v[7:8] offset0:8 offset1:12
	v_lshrrev_b32_e32 v9, 2, v0
	v_and_b32_e32 v9, 60, v9
	s_mov_b32 s2, 0x5040100
	v_lshlrev_b32_e32 v1, 3, v10
	v_lshlrev_b32_e32 v2, 3, v12
	;; [unrolled: 1-line block ×4, first 2 shown]
	v_lshl_add_u32 v9, v11, 1, v9
	v_perm_b32 v10, v19, v17, s2
	v_perm_b32 v12, v16, v15, s2
	s_waitcnt lgkmcnt(0)
	s_barrier
	ds_read_b64 v[5:6], v1
	ds_read_b64 v[7:8], v2
	;; [unrolled: 1-line block ×4, first 2 shown]
	s_waitcnt lgkmcnt(0)
	s_barrier
	s_barrier
	ds_write2_b32 v9, v12, v10 offset1:1
	v_lshrrev_b32_e32 v9, 4, v0
	v_and_b32_e32 v9, 12, v9
	v_or_b32_e32 v22, 0x100, v0
	v_add_u32_e32 v23, v9, v13
	v_lshrrev_b32_e32 v9, 4, v22
	v_and_b32_e32 v9, 28, v9
	v_or_b32_e32 v21, 0x200, v0
	v_add_u32_e32 v24, v9, v13
	v_lshrrev_b32_e32 v9, 4, v21
	s_lshl_b64 s[0:1], s[24:25], 1
	v_and_b32_e32 v9, 44, v9
	v_or_b32_e32 v20, 0x300, v0
	s_add_u32 s0, s10, s0
	v_add_u32_e32 v25, v9, v13
	v_lshrrev_b32_e32 v9, 4, v20
	s_addc_u32 s1, s11, s1
	v_and_b32_e32 v9, 60, v9
	v_add_u32_e32 v26, v9, v13
	v_mov_b32_e32 v10, s1
	v_add_co_u32_e32 v9, vcc, s0, v13
	v_addc_co_u32_e32 v10, vcc, 0, v10, vcc
	v_lshrrev_b32_e32 v18, 3, v0
	v_lshrrev_b32_e32 v15, 5, v0
	;; [unrolled: 1-line block ×5, first 2 shown]
	s_and_b64 vcc, exec, s[18:19]
	v_lshlrev_b32_e32 v13, 3, v11
	s_waitcnt lgkmcnt(0)
	s_cbranch_vccz .LBB1991_39
; %bb.36:
	s_barrier
	ds_read_u16 v11, v23
	ds_read_u16 v12, v24 offset:512
	ds_read_u16 v27, v25 offset:1024
	;; [unrolled: 1-line block ×3, first 2 shown]
	s_lshl_b64 s[0:1], s[24:25], 3
	s_add_u32 s0, s14, s0
	s_waitcnt lgkmcnt(3)
	global_store_short v[9:10], v11, off
	s_waitcnt lgkmcnt(2)
	global_store_short v[9:10], v12, off offset:512
	s_waitcnt lgkmcnt(1)
	global_store_short v[9:10], v27, off offset:1024
	;; [unrolled: 2-line block ×3, first 2 shown]
	v_lshl_add_u32 v11, v18, 3, v13
	s_waitcnt vmcnt(0)
	s_barrier
	ds_write2_b64 v11, v[5:6], v[7:8] offset1:1
	ds_write2_b64 v11, v[1:2], v[3:4] offset0:2 offset1:3
	v_lshl_add_u32 v11, v15, 3, v14
	v_lshl_add_u32 v12, v16, 3, v14
	;; [unrolled: 1-line block ×3, first 2 shown]
	s_addc_u32 s1, s15, s1
	s_waitcnt lgkmcnt(0)
	s_barrier
	v_lshl_add_u32 v33, v19, 3, v14
	ds_read_b64 v[27:28], v11
	ds_read_b64 v[29:30], v12 offset:2048
	ds_read_b64 v[31:32], v31 offset:4096
	;; [unrolled: 1-line block ×3, first 2 shown]
	v_mov_b32_e32 v33, s1
	v_add_co_u32_e32 v34, vcc, s0, v14
	v_addc_co_u32_e32 v33, vcc, 0, v33, vcc
	s_waitcnt lgkmcnt(3)
	global_store_dwordx2 v14, v[27:28], s[0:1]
	s_waitcnt lgkmcnt(2)
	global_store_dwordx2 v14, v[29:30], s[0:1] offset:2048
	v_add_co_u32_e32 v27, vcc, 0x1000, v34
	v_addc_co_u32_e32 v28, vcc, 0, v33, vcc
	s_waitcnt lgkmcnt(1)
	global_store_dwordx2 v[27:28], v[31:32], off
	s_mov_b64 s[6:7], -1
	s_cbranch_execz .LBB1991_40
	s_branch .LBB1991_53
.LBB1991_37:
	s_or_b64 exec, exec, s[2:3]
	v_cmp_gt_u32_e32 vcc, s12, v11
	s_and_saveexec_b64 s[2:3], vcc
	s_cbranch_execz .LBB1991_20
.LBB1991_38:
	v_mov_b32_e32 v12, 0
	v_lshlrev_b64 v[3:4], 3, v[11:12]
	v_mov_b32_e32 v10, s8
	v_add_co_u32_e32 v20, vcc, s7, v3
	v_addc_co_u32_e32 v10, vcc, v10, v4, vcc
	v_subrev_co_u32_e32 v11, vcc, s17, v11
	v_lshlrev_b64 v[3:4], 3, v[11:12]
	v_mov_b32_e32 v11, s5
	v_add_co_u32_e64 v3, s[0:1], s4, v3
	v_addc_co_u32_e64 v4, s[0:1], v11, v4, s[0:1]
	v_cndmask_b32_e32 v4, v4, v10, vcc
	v_cndmask_b32_e32 v3, v3, v20, vcc
	global_load_dwordx2 v[3:4], v[3:4], off
	s_or_b64 exec, exec, s[2:3]
	v_cmp_gt_u32_e32 vcc, s12, v9
	s_and_saveexec_b64 s[2:3], vcc
	s_cbranch_execnz .LBB1991_21
	s_branch .LBB1991_22
.LBB1991_39:
	s_mov_b64 s[6:7], 0
                                        ; implicit-def: $vgpr11_vgpr12
.LBB1991_40:
	s_waitcnt vmcnt(0) lgkmcnt(0)
	s_barrier
	ds_read_u16 v24, v24 offset:512
	ds_read_u16 v12, v25 offset:1024
	ds_read_u16 v11, v26 offset:1536
	s_sub_i32 s6, s16, s24
	v_cmp_gt_u32_e32 vcc, s6, v0
	s_and_saveexec_b64 s[0:1], vcc
	s_cbranch_execz .LBB1991_44
; %bb.41:
	ds_read_u16 v0, v23
	s_waitcnt lgkmcnt(0)
	global_store_short v[9:10], v0, off
	s_or_b64 exec, exec, s[0:1]
	v_cmp_gt_u32_e64 s[0:1], s6, v22
	s_and_saveexec_b64 s[2:3], s[0:1]
	s_cbranch_execnz .LBB1991_45
.LBB1991_42:
	s_or_b64 exec, exec, s[2:3]
	v_cmp_gt_u32_e64 s[2:3], s6, v21
	s_and_saveexec_b64 s[4:5], s[2:3]
	s_cbranch_execz .LBB1991_46
.LBB1991_43:
	s_waitcnt lgkmcnt(1)
	global_store_short v[9:10], v12, off offset:1024
	s_or_b64 exec, exec, s[4:5]
	v_cmp_gt_u32_e64 s[6:7], s6, v20
	s_and_saveexec_b64 s[4:5], s[6:7]
	s_cbranch_execnz .LBB1991_47
	s_branch .LBB1991_48
.LBB1991_44:
	s_or_b64 exec, exec, s[0:1]
	v_cmp_gt_u32_e64 s[0:1], s6, v22
	s_and_saveexec_b64 s[2:3], s[0:1]
	s_cbranch_execz .LBB1991_42
.LBB1991_45:
	s_waitcnt lgkmcnt(2)
	global_store_short v[9:10], v24, off offset:512
	s_or_b64 exec, exec, s[2:3]
	v_cmp_gt_u32_e64 s[2:3], s6, v21
	s_and_saveexec_b64 s[4:5], s[2:3]
	s_cbranch_execnz .LBB1991_43
.LBB1991_46:
	s_or_b64 exec, exec, s[4:5]
	v_cmp_gt_u32_e64 s[6:7], s6, v20
	s_and_saveexec_b64 s[4:5], s[6:7]
	s_cbranch_execz .LBB1991_48
.LBB1991_47:
	s_waitcnt lgkmcnt(0)
	global_store_short v[9:10], v11, off offset:1536
.LBB1991_48:
	s_or_b64 exec, exec, s[4:5]
	v_lshl_add_u32 v0, v18, 3, v13
	s_waitcnt vmcnt(0) lgkmcnt(0)
	s_barrier
	ds_write2_b64 v0, v[5:6], v[7:8] offset1:1
	ds_write2_b64 v0, v[1:2], v[3:4] offset0:2 offset1:3
	v_lshl_add_u32 v0, v16, 3, v14
	v_lshl_add_u32 v1, v17, 3, v14
	s_waitcnt lgkmcnt(0)
	s_barrier
	v_lshl_add_u32 v2, v19, 3, v14
	ds_read_b64 v[4:5], v0 offset:2048
	ds_read_b64 v[0:1], v1 offset:4096
	;; [unrolled: 1-line block ×3, first 2 shown]
	s_lshl_b64 s[4:5], s[24:25], 3
	s_add_u32 s4, s14, s4
	s_addc_u32 s5, s15, s5
	v_mov_b32_e32 v3, s5
	v_add_co_u32_e64 v2, s[4:5], s4, v14
	v_addc_co_u32_e64 v3, s[4:5], 0, v3, s[4:5]
	s_and_saveexec_b64 s[4:5], vcc
	s_cbranch_execz .LBB1991_56
; %bb.49:
	v_lshl_add_u32 v6, v15, 3, v14
	ds_read_b64 v[6:7], v6
	s_waitcnt lgkmcnt(0)
	global_store_dwordx2 v[2:3], v[6:7], off
	s_or_b64 exec, exec, s[4:5]
	s_and_saveexec_b64 s[4:5], s[0:1]
	s_cbranch_execnz .LBB1991_57
.LBB1991_50:
	s_or_b64 exec, exec, s[4:5]
	s_and_saveexec_b64 s[0:1], s[2:3]
	s_cbranch_execz .LBB1991_52
.LBB1991_51:
	v_add_co_u32_e32 v2, vcc, 0x1000, v2
	v_addc_co_u32_e32 v3, vcc, 0, v3, vcc
	s_waitcnt lgkmcnt(1)
	global_store_dwordx2 v[2:3], v[0:1], off
.LBB1991_52:
	s_or_b64 exec, exec, s[0:1]
.LBB1991_53:
	s_and_saveexec_b64 s[0:1], s[6:7]
	s_cbranch_execz .LBB1991_55
; %bb.54:
	s_lshl_b64 s[0:1], s[24:25], 3
	s_add_u32 s0, s14, s0
	s_addc_u32 s1, s15, s1
	s_waitcnt lgkmcnt(1)
	v_mov_b32_e32 v0, s1
	v_add_co_u32_e32 v1, vcc, s0, v14
	v_addc_co_u32_e32 v2, vcc, 0, v0, vcc
	v_add_co_u32_e32 v0, vcc, 0x1000, v1
	v_addc_co_u32_e32 v1, vcc, 0, v2, vcc
	s_waitcnt lgkmcnt(0)
	global_store_dwordx2 v[0:1], v[11:12], off offset:2048
.LBB1991_55:
	s_endpgm
.LBB1991_56:
	s_or_b64 exec, exec, s[4:5]
	s_and_saveexec_b64 s[4:5], s[0:1]
	s_cbranch_execz .LBB1991_50
.LBB1991_57:
	s_waitcnt lgkmcnt(2)
	global_store_dwordx2 v[2:3], v[4:5], off offset:2048
	s_or_b64 exec, exec, s[4:5]
	s_and_saveexec_b64 s[0:1], s[2:3]
	s_cbranch_execnz .LBB1991_51
	s_branch .LBB1991_52
	.section	.rodata,"a",@progbits
	.p2align	6, 0x0
	.amdhsa_kernel _ZN7rocprim17ROCPRIM_400000_NS6detail17trampoline_kernelINS0_14default_configENS1_38merge_sort_block_merge_config_selectorIN3c108BFloat16ElEEZZNS1_27merge_sort_block_merge_implIS3_PS6_N6thrust23THRUST_200600_302600_NS10device_ptrIlEEmNSB_4lessIS6_EEEE10hipError_tT0_T1_T2_jT3_P12ihipStream_tbPNSt15iterator_traitsISH_E10value_typeEPNSN_ISI_E10value_typeEPSJ_NS1_7vsmem_tEENKUlT_SH_SI_SJ_E_clIS9_S9_PlSD_EESG_SW_SH_SI_SJ_EUlSW_E0_NS1_11comp_targetILNS1_3genE2ELNS1_11target_archE906ELNS1_3gpuE6ELNS1_3repE0EEENS1_38merge_mergepath_config_static_selectorELNS0_4arch9wavefront6targetE1EEEvSI_
		.amdhsa_group_segment_fixed_size 8448
		.amdhsa_private_segment_fixed_size 0
		.amdhsa_kernarg_size 328
		.amdhsa_user_sgpr_count 6
		.amdhsa_user_sgpr_private_segment_buffer 1
		.amdhsa_user_sgpr_dispatch_ptr 0
		.amdhsa_user_sgpr_queue_ptr 0
		.amdhsa_user_sgpr_kernarg_segment_ptr 1
		.amdhsa_user_sgpr_dispatch_id 0
		.amdhsa_user_sgpr_flat_scratch_init 0
		.amdhsa_user_sgpr_private_segment_size 0
		.amdhsa_uses_dynamic_stack 0
		.amdhsa_system_sgpr_private_segment_wavefront_offset 0
		.amdhsa_system_sgpr_workgroup_id_x 1
		.amdhsa_system_sgpr_workgroup_id_y 1
		.amdhsa_system_sgpr_workgroup_id_z 1
		.amdhsa_system_sgpr_workgroup_info 0
		.amdhsa_system_vgpr_workitem_id 0
		.amdhsa_next_free_vgpr 35
		.amdhsa_next_free_sgpr 77
		.amdhsa_reserve_vcc 1
		.amdhsa_reserve_flat_scratch 0
		.amdhsa_float_round_mode_32 0
		.amdhsa_float_round_mode_16_64 0
		.amdhsa_float_denorm_mode_32 3
		.amdhsa_float_denorm_mode_16_64 3
		.amdhsa_dx10_clamp 1
		.amdhsa_ieee_mode 1
		.amdhsa_fp16_overflow 0
		.amdhsa_exception_fp_ieee_invalid_op 0
		.amdhsa_exception_fp_denorm_src 0
		.amdhsa_exception_fp_ieee_div_zero 0
		.amdhsa_exception_fp_ieee_overflow 0
		.amdhsa_exception_fp_ieee_underflow 0
		.amdhsa_exception_fp_ieee_inexact 0
		.amdhsa_exception_int_div_zero 0
	.end_amdhsa_kernel
	.section	.text._ZN7rocprim17ROCPRIM_400000_NS6detail17trampoline_kernelINS0_14default_configENS1_38merge_sort_block_merge_config_selectorIN3c108BFloat16ElEEZZNS1_27merge_sort_block_merge_implIS3_PS6_N6thrust23THRUST_200600_302600_NS10device_ptrIlEEmNSB_4lessIS6_EEEE10hipError_tT0_T1_T2_jT3_P12ihipStream_tbPNSt15iterator_traitsISH_E10value_typeEPNSN_ISI_E10value_typeEPSJ_NS1_7vsmem_tEENKUlT_SH_SI_SJ_E_clIS9_S9_PlSD_EESG_SW_SH_SI_SJ_EUlSW_E0_NS1_11comp_targetILNS1_3genE2ELNS1_11target_archE906ELNS1_3gpuE6ELNS1_3repE0EEENS1_38merge_mergepath_config_static_selectorELNS0_4arch9wavefront6targetE1EEEvSI_,"axG",@progbits,_ZN7rocprim17ROCPRIM_400000_NS6detail17trampoline_kernelINS0_14default_configENS1_38merge_sort_block_merge_config_selectorIN3c108BFloat16ElEEZZNS1_27merge_sort_block_merge_implIS3_PS6_N6thrust23THRUST_200600_302600_NS10device_ptrIlEEmNSB_4lessIS6_EEEE10hipError_tT0_T1_T2_jT3_P12ihipStream_tbPNSt15iterator_traitsISH_E10value_typeEPNSN_ISI_E10value_typeEPSJ_NS1_7vsmem_tEENKUlT_SH_SI_SJ_E_clIS9_S9_PlSD_EESG_SW_SH_SI_SJ_EUlSW_E0_NS1_11comp_targetILNS1_3genE2ELNS1_11target_archE906ELNS1_3gpuE6ELNS1_3repE0EEENS1_38merge_mergepath_config_static_selectorELNS0_4arch9wavefront6targetE1EEEvSI_,comdat
.Lfunc_end1991:
	.size	_ZN7rocprim17ROCPRIM_400000_NS6detail17trampoline_kernelINS0_14default_configENS1_38merge_sort_block_merge_config_selectorIN3c108BFloat16ElEEZZNS1_27merge_sort_block_merge_implIS3_PS6_N6thrust23THRUST_200600_302600_NS10device_ptrIlEEmNSB_4lessIS6_EEEE10hipError_tT0_T1_T2_jT3_P12ihipStream_tbPNSt15iterator_traitsISH_E10value_typeEPNSN_ISI_E10value_typeEPSJ_NS1_7vsmem_tEENKUlT_SH_SI_SJ_E_clIS9_S9_PlSD_EESG_SW_SH_SI_SJ_EUlSW_E0_NS1_11comp_targetILNS1_3genE2ELNS1_11target_archE906ELNS1_3gpuE6ELNS1_3repE0EEENS1_38merge_mergepath_config_static_selectorELNS0_4arch9wavefront6targetE1EEEvSI_, .Lfunc_end1991-_ZN7rocprim17ROCPRIM_400000_NS6detail17trampoline_kernelINS0_14default_configENS1_38merge_sort_block_merge_config_selectorIN3c108BFloat16ElEEZZNS1_27merge_sort_block_merge_implIS3_PS6_N6thrust23THRUST_200600_302600_NS10device_ptrIlEEmNSB_4lessIS6_EEEE10hipError_tT0_T1_T2_jT3_P12ihipStream_tbPNSt15iterator_traitsISH_E10value_typeEPNSN_ISI_E10value_typeEPSJ_NS1_7vsmem_tEENKUlT_SH_SI_SJ_E_clIS9_S9_PlSD_EESG_SW_SH_SI_SJ_EUlSW_E0_NS1_11comp_targetILNS1_3genE2ELNS1_11target_archE906ELNS1_3gpuE6ELNS1_3repE0EEENS1_38merge_mergepath_config_static_selectorELNS0_4arch9wavefront6targetE1EEEvSI_
                                        ; -- End function
	.set _ZN7rocprim17ROCPRIM_400000_NS6detail17trampoline_kernelINS0_14default_configENS1_38merge_sort_block_merge_config_selectorIN3c108BFloat16ElEEZZNS1_27merge_sort_block_merge_implIS3_PS6_N6thrust23THRUST_200600_302600_NS10device_ptrIlEEmNSB_4lessIS6_EEEE10hipError_tT0_T1_T2_jT3_P12ihipStream_tbPNSt15iterator_traitsISH_E10value_typeEPNSN_ISI_E10value_typeEPSJ_NS1_7vsmem_tEENKUlT_SH_SI_SJ_E_clIS9_S9_PlSD_EESG_SW_SH_SI_SJ_EUlSW_E0_NS1_11comp_targetILNS1_3genE2ELNS1_11target_archE906ELNS1_3gpuE6ELNS1_3repE0EEENS1_38merge_mergepath_config_static_selectorELNS0_4arch9wavefront6targetE1EEEvSI_.num_vgpr, 35
	.set _ZN7rocprim17ROCPRIM_400000_NS6detail17trampoline_kernelINS0_14default_configENS1_38merge_sort_block_merge_config_selectorIN3c108BFloat16ElEEZZNS1_27merge_sort_block_merge_implIS3_PS6_N6thrust23THRUST_200600_302600_NS10device_ptrIlEEmNSB_4lessIS6_EEEE10hipError_tT0_T1_T2_jT3_P12ihipStream_tbPNSt15iterator_traitsISH_E10value_typeEPNSN_ISI_E10value_typeEPSJ_NS1_7vsmem_tEENKUlT_SH_SI_SJ_E_clIS9_S9_PlSD_EESG_SW_SH_SI_SJ_EUlSW_E0_NS1_11comp_targetILNS1_3genE2ELNS1_11target_archE906ELNS1_3gpuE6ELNS1_3repE0EEENS1_38merge_mergepath_config_static_selectorELNS0_4arch9wavefront6targetE1EEEvSI_.num_agpr, 0
	.set _ZN7rocprim17ROCPRIM_400000_NS6detail17trampoline_kernelINS0_14default_configENS1_38merge_sort_block_merge_config_selectorIN3c108BFloat16ElEEZZNS1_27merge_sort_block_merge_implIS3_PS6_N6thrust23THRUST_200600_302600_NS10device_ptrIlEEmNSB_4lessIS6_EEEE10hipError_tT0_T1_T2_jT3_P12ihipStream_tbPNSt15iterator_traitsISH_E10value_typeEPNSN_ISI_E10value_typeEPSJ_NS1_7vsmem_tEENKUlT_SH_SI_SJ_E_clIS9_S9_PlSD_EESG_SW_SH_SI_SJ_EUlSW_E0_NS1_11comp_targetILNS1_3genE2ELNS1_11target_archE906ELNS1_3gpuE6ELNS1_3repE0EEENS1_38merge_mergepath_config_static_selectorELNS0_4arch9wavefront6targetE1EEEvSI_.numbered_sgpr, 37
	.set _ZN7rocprim17ROCPRIM_400000_NS6detail17trampoline_kernelINS0_14default_configENS1_38merge_sort_block_merge_config_selectorIN3c108BFloat16ElEEZZNS1_27merge_sort_block_merge_implIS3_PS6_N6thrust23THRUST_200600_302600_NS10device_ptrIlEEmNSB_4lessIS6_EEEE10hipError_tT0_T1_T2_jT3_P12ihipStream_tbPNSt15iterator_traitsISH_E10value_typeEPNSN_ISI_E10value_typeEPSJ_NS1_7vsmem_tEENKUlT_SH_SI_SJ_E_clIS9_S9_PlSD_EESG_SW_SH_SI_SJ_EUlSW_E0_NS1_11comp_targetILNS1_3genE2ELNS1_11target_archE906ELNS1_3gpuE6ELNS1_3repE0EEENS1_38merge_mergepath_config_static_selectorELNS0_4arch9wavefront6targetE1EEEvSI_.num_named_barrier, 0
	.set _ZN7rocprim17ROCPRIM_400000_NS6detail17trampoline_kernelINS0_14default_configENS1_38merge_sort_block_merge_config_selectorIN3c108BFloat16ElEEZZNS1_27merge_sort_block_merge_implIS3_PS6_N6thrust23THRUST_200600_302600_NS10device_ptrIlEEmNSB_4lessIS6_EEEE10hipError_tT0_T1_T2_jT3_P12ihipStream_tbPNSt15iterator_traitsISH_E10value_typeEPNSN_ISI_E10value_typeEPSJ_NS1_7vsmem_tEENKUlT_SH_SI_SJ_E_clIS9_S9_PlSD_EESG_SW_SH_SI_SJ_EUlSW_E0_NS1_11comp_targetILNS1_3genE2ELNS1_11target_archE906ELNS1_3gpuE6ELNS1_3repE0EEENS1_38merge_mergepath_config_static_selectorELNS0_4arch9wavefront6targetE1EEEvSI_.private_seg_size, 0
	.set _ZN7rocprim17ROCPRIM_400000_NS6detail17trampoline_kernelINS0_14default_configENS1_38merge_sort_block_merge_config_selectorIN3c108BFloat16ElEEZZNS1_27merge_sort_block_merge_implIS3_PS6_N6thrust23THRUST_200600_302600_NS10device_ptrIlEEmNSB_4lessIS6_EEEE10hipError_tT0_T1_T2_jT3_P12ihipStream_tbPNSt15iterator_traitsISH_E10value_typeEPNSN_ISI_E10value_typeEPSJ_NS1_7vsmem_tEENKUlT_SH_SI_SJ_E_clIS9_S9_PlSD_EESG_SW_SH_SI_SJ_EUlSW_E0_NS1_11comp_targetILNS1_3genE2ELNS1_11target_archE906ELNS1_3gpuE6ELNS1_3repE0EEENS1_38merge_mergepath_config_static_selectorELNS0_4arch9wavefront6targetE1EEEvSI_.uses_vcc, 1
	.set _ZN7rocprim17ROCPRIM_400000_NS6detail17trampoline_kernelINS0_14default_configENS1_38merge_sort_block_merge_config_selectorIN3c108BFloat16ElEEZZNS1_27merge_sort_block_merge_implIS3_PS6_N6thrust23THRUST_200600_302600_NS10device_ptrIlEEmNSB_4lessIS6_EEEE10hipError_tT0_T1_T2_jT3_P12ihipStream_tbPNSt15iterator_traitsISH_E10value_typeEPNSN_ISI_E10value_typeEPSJ_NS1_7vsmem_tEENKUlT_SH_SI_SJ_E_clIS9_S9_PlSD_EESG_SW_SH_SI_SJ_EUlSW_E0_NS1_11comp_targetILNS1_3genE2ELNS1_11target_archE906ELNS1_3gpuE6ELNS1_3repE0EEENS1_38merge_mergepath_config_static_selectorELNS0_4arch9wavefront6targetE1EEEvSI_.uses_flat_scratch, 0
	.set _ZN7rocprim17ROCPRIM_400000_NS6detail17trampoline_kernelINS0_14default_configENS1_38merge_sort_block_merge_config_selectorIN3c108BFloat16ElEEZZNS1_27merge_sort_block_merge_implIS3_PS6_N6thrust23THRUST_200600_302600_NS10device_ptrIlEEmNSB_4lessIS6_EEEE10hipError_tT0_T1_T2_jT3_P12ihipStream_tbPNSt15iterator_traitsISH_E10value_typeEPNSN_ISI_E10value_typeEPSJ_NS1_7vsmem_tEENKUlT_SH_SI_SJ_E_clIS9_S9_PlSD_EESG_SW_SH_SI_SJ_EUlSW_E0_NS1_11comp_targetILNS1_3genE2ELNS1_11target_archE906ELNS1_3gpuE6ELNS1_3repE0EEENS1_38merge_mergepath_config_static_selectorELNS0_4arch9wavefront6targetE1EEEvSI_.has_dyn_sized_stack, 0
	.set _ZN7rocprim17ROCPRIM_400000_NS6detail17trampoline_kernelINS0_14default_configENS1_38merge_sort_block_merge_config_selectorIN3c108BFloat16ElEEZZNS1_27merge_sort_block_merge_implIS3_PS6_N6thrust23THRUST_200600_302600_NS10device_ptrIlEEmNSB_4lessIS6_EEEE10hipError_tT0_T1_T2_jT3_P12ihipStream_tbPNSt15iterator_traitsISH_E10value_typeEPNSN_ISI_E10value_typeEPSJ_NS1_7vsmem_tEENKUlT_SH_SI_SJ_E_clIS9_S9_PlSD_EESG_SW_SH_SI_SJ_EUlSW_E0_NS1_11comp_targetILNS1_3genE2ELNS1_11target_archE906ELNS1_3gpuE6ELNS1_3repE0EEENS1_38merge_mergepath_config_static_selectorELNS0_4arch9wavefront6targetE1EEEvSI_.has_recursion, 0
	.set _ZN7rocprim17ROCPRIM_400000_NS6detail17trampoline_kernelINS0_14default_configENS1_38merge_sort_block_merge_config_selectorIN3c108BFloat16ElEEZZNS1_27merge_sort_block_merge_implIS3_PS6_N6thrust23THRUST_200600_302600_NS10device_ptrIlEEmNSB_4lessIS6_EEEE10hipError_tT0_T1_T2_jT3_P12ihipStream_tbPNSt15iterator_traitsISH_E10value_typeEPNSN_ISI_E10value_typeEPSJ_NS1_7vsmem_tEENKUlT_SH_SI_SJ_E_clIS9_S9_PlSD_EESG_SW_SH_SI_SJ_EUlSW_E0_NS1_11comp_targetILNS1_3genE2ELNS1_11target_archE906ELNS1_3gpuE6ELNS1_3repE0EEENS1_38merge_mergepath_config_static_selectorELNS0_4arch9wavefront6targetE1EEEvSI_.has_indirect_call, 0
	.section	.AMDGPU.csdata,"",@progbits
; Kernel info:
; codeLenInByte = 3656
; TotalNumSgprs: 41
; NumVgprs: 35
; ScratchSize: 0
; MemoryBound: 0
; FloatMode: 240
; IeeeMode: 1
; LDSByteSize: 8448 bytes/workgroup (compile time only)
; SGPRBlocks: 10
; VGPRBlocks: 8
; NumSGPRsForWavesPerEU: 81
; NumVGPRsForWavesPerEU: 35
; Occupancy: 7
; WaveLimiterHint : 1
; COMPUTE_PGM_RSRC2:SCRATCH_EN: 0
; COMPUTE_PGM_RSRC2:USER_SGPR: 6
; COMPUTE_PGM_RSRC2:TRAP_HANDLER: 0
; COMPUTE_PGM_RSRC2:TGID_X_EN: 1
; COMPUTE_PGM_RSRC2:TGID_Y_EN: 1
; COMPUTE_PGM_RSRC2:TGID_Z_EN: 1
; COMPUTE_PGM_RSRC2:TIDIG_COMP_CNT: 0
	.section	.text._ZN7rocprim17ROCPRIM_400000_NS6detail17trampoline_kernelINS0_14default_configENS1_38merge_sort_block_merge_config_selectorIN3c108BFloat16ElEEZZNS1_27merge_sort_block_merge_implIS3_PS6_N6thrust23THRUST_200600_302600_NS10device_ptrIlEEmNSB_4lessIS6_EEEE10hipError_tT0_T1_T2_jT3_P12ihipStream_tbPNSt15iterator_traitsISH_E10value_typeEPNSN_ISI_E10value_typeEPSJ_NS1_7vsmem_tEENKUlT_SH_SI_SJ_E_clIS9_S9_PlSD_EESG_SW_SH_SI_SJ_EUlSW_E0_NS1_11comp_targetILNS1_3genE9ELNS1_11target_archE1100ELNS1_3gpuE3ELNS1_3repE0EEENS1_38merge_mergepath_config_static_selectorELNS0_4arch9wavefront6targetE1EEEvSI_,"axG",@progbits,_ZN7rocprim17ROCPRIM_400000_NS6detail17trampoline_kernelINS0_14default_configENS1_38merge_sort_block_merge_config_selectorIN3c108BFloat16ElEEZZNS1_27merge_sort_block_merge_implIS3_PS6_N6thrust23THRUST_200600_302600_NS10device_ptrIlEEmNSB_4lessIS6_EEEE10hipError_tT0_T1_T2_jT3_P12ihipStream_tbPNSt15iterator_traitsISH_E10value_typeEPNSN_ISI_E10value_typeEPSJ_NS1_7vsmem_tEENKUlT_SH_SI_SJ_E_clIS9_S9_PlSD_EESG_SW_SH_SI_SJ_EUlSW_E0_NS1_11comp_targetILNS1_3genE9ELNS1_11target_archE1100ELNS1_3gpuE3ELNS1_3repE0EEENS1_38merge_mergepath_config_static_selectorELNS0_4arch9wavefront6targetE1EEEvSI_,comdat
	.protected	_ZN7rocprim17ROCPRIM_400000_NS6detail17trampoline_kernelINS0_14default_configENS1_38merge_sort_block_merge_config_selectorIN3c108BFloat16ElEEZZNS1_27merge_sort_block_merge_implIS3_PS6_N6thrust23THRUST_200600_302600_NS10device_ptrIlEEmNSB_4lessIS6_EEEE10hipError_tT0_T1_T2_jT3_P12ihipStream_tbPNSt15iterator_traitsISH_E10value_typeEPNSN_ISI_E10value_typeEPSJ_NS1_7vsmem_tEENKUlT_SH_SI_SJ_E_clIS9_S9_PlSD_EESG_SW_SH_SI_SJ_EUlSW_E0_NS1_11comp_targetILNS1_3genE9ELNS1_11target_archE1100ELNS1_3gpuE3ELNS1_3repE0EEENS1_38merge_mergepath_config_static_selectorELNS0_4arch9wavefront6targetE1EEEvSI_ ; -- Begin function _ZN7rocprim17ROCPRIM_400000_NS6detail17trampoline_kernelINS0_14default_configENS1_38merge_sort_block_merge_config_selectorIN3c108BFloat16ElEEZZNS1_27merge_sort_block_merge_implIS3_PS6_N6thrust23THRUST_200600_302600_NS10device_ptrIlEEmNSB_4lessIS6_EEEE10hipError_tT0_T1_T2_jT3_P12ihipStream_tbPNSt15iterator_traitsISH_E10value_typeEPNSN_ISI_E10value_typeEPSJ_NS1_7vsmem_tEENKUlT_SH_SI_SJ_E_clIS9_S9_PlSD_EESG_SW_SH_SI_SJ_EUlSW_E0_NS1_11comp_targetILNS1_3genE9ELNS1_11target_archE1100ELNS1_3gpuE3ELNS1_3repE0EEENS1_38merge_mergepath_config_static_selectorELNS0_4arch9wavefront6targetE1EEEvSI_
	.globl	_ZN7rocprim17ROCPRIM_400000_NS6detail17trampoline_kernelINS0_14default_configENS1_38merge_sort_block_merge_config_selectorIN3c108BFloat16ElEEZZNS1_27merge_sort_block_merge_implIS3_PS6_N6thrust23THRUST_200600_302600_NS10device_ptrIlEEmNSB_4lessIS6_EEEE10hipError_tT0_T1_T2_jT3_P12ihipStream_tbPNSt15iterator_traitsISH_E10value_typeEPNSN_ISI_E10value_typeEPSJ_NS1_7vsmem_tEENKUlT_SH_SI_SJ_E_clIS9_S9_PlSD_EESG_SW_SH_SI_SJ_EUlSW_E0_NS1_11comp_targetILNS1_3genE9ELNS1_11target_archE1100ELNS1_3gpuE3ELNS1_3repE0EEENS1_38merge_mergepath_config_static_selectorELNS0_4arch9wavefront6targetE1EEEvSI_
	.p2align	8
	.type	_ZN7rocprim17ROCPRIM_400000_NS6detail17trampoline_kernelINS0_14default_configENS1_38merge_sort_block_merge_config_selectorIN3c108BFloat16ElEEZZNS1_27merge_sort_block_merge_implIS3_PS6_N6thrust23THRUST_200600_302600_NS10device_ptrIlEEmNSB_4lessIS6_EEEE10hipError_tT0_T1_T2_jT3_P12ihipStream_tbPNSt15iterator_traitsISH_E10value_typeEPNSN_ISI_E10value_typeEPSJ_NS1_7vsmem_tEENKUlT_SH_SI_SJ_E_clIS9_S9_PlSD_EESG_SW_SH_SI_SJ_EUlSW_E0_NS1_11comp_targetILNS1_3genE9ELNS1_11target_archE1100ELNS1_3gpuE3ELNS1_3repE0EEENS1_38merge_mergepath_config_static_selectorELNS0_4arch9wavefront6targetE1EEEvSI_,@function
_ZN7rocprim17ROCPRIM_400000_NS6detail17trampoline_kernelINS0_14default_configENS1_38merge_sort_block_merge_config_selectorIN3c108BFloat16ElEEZZNS1_27merge_sort_block_merge_implIS3_PS6_N6thrust23THRUST_200600_302600_NS10device_ptrIlEEmNSB_4lessIS6_EEEE10hipError_tT0_T1_T2_jT3_P12ihipStream_tbPNSt15iterator_traitsISH_E10value_typeEPNSN_ISI_E10value_typeEPSJ_NS1_7vsmem_tEENKUlT_SH_SI_SJ_E_clIS9_S9_PlSD_EESG_SW_SH_SI_SJ_EUlSW_E0_NS1_11comp_targetILNS1_3genE9ELNS1_11target_archE1100ELNS1_3gpuE3ELNS1_3repE0EEENS1_38merge_mergepath_config_static_selectorELNS0_4arch9wavefront6targetE1EEEvSI_: ; @_ZN7rocprim17ROCPRIM_400000_NS6detail17trampoline_kernelINS0_14default_configENS1_38merge_sort_block_merge_config_selectorIN3c108BFloat16ElEEZZNS1_27merge_sort_block_merge_implIS3_PS6_N6thrust23THRUST_200600_302600_NS10device_ptrIlEEmNSB_4lessIS6_EEEE10hipError_tT0_T1_T2_jT3_P12ihipStream_tbPNSt15iterator_traitsISH_E10value_typeEPNSN_ISI_E10value_typeEPSJ_NS1_7vsmem_tEENKUlT_SH_SI_SJ_E_clIS9_S9_PlSD_EESG_SW_SH_SI_SJ_EUlSW_E0_NS1_11comp_targetILNS1_3genE9ELNS1_11target_archE1100ELNS1_3gpuE3ELNS1_3repE0EEENS1_38merge_mergepath_config_static_selectorELNS0_4arch9wavefront6targetE1EEEvSI_
; %bb.0:
	.section	.rodata,"a",@progbits
	.p2align	6, 0x0
	.amdhsa_kernel _ZN7rocprim17ROCPRIM_400000_NS6detail17trampoline_kernelINS0_14default_configENS1_38merge_sort_block_merge_config_selectorIN3c108BFloat16ElEEZZNS1_27merge_sort_block_merge_implIS3_PS6_N6thrust23THRUST_200600_302600_NS10device_ptrIlEEmNSB_4lessIS6_EEEE10hipError_tT0_T1_T2_jT3_P12ihipStream_tbPNSt15iterator_traitsISH_E10value_typeEPNSN_ISI_E10value_typeEPSJ_NS1_7vsmem_tEENKUlT_SH_SI_SJ_E_clIS9_S9_PlSD_EESG_SW_SH_SI_SJ_EUlSW_E0_NS1_11comp_targetILNS1_3genE9ELNS1_11target_archE1100ELNS1_3gpuE3ELNS1_3repE0EEENS1_38merge_mergepath_config_static_selectorELNS0_4arch9wavefront6targetE1EEEvSI_
		.amdhsa_group_segment_fixed_size 0
		.amdhsa_private_segment_fixed_size 0
		.amdhsa_kernarg_size 72
		.amdhsa_user_sgpr_count 6
		.amdhsa_user_sgpr_private_segment_buffer 1
		.amdhsa_user_sgpr_dispatch_ptr 0
		.amdhsa_user_sgpr_queue_ptr 0
		.amdhsa_user_sgpr_kernarg_segment_ptr 1
		.amdhsa_user_sgpr_dispatch_id 0
		.amdhsa_user_sgpr_flat_scratch_init 0
		.amdhsa_user_sgpr_private_segment_size 0
		.amdhsa_uses_dynamic_stack 0
		.amdhsa_system_sgpr_private_segment_wavefront_offset 0
		.amdhsa_system_sgpr_workgroup_id_x 1
		.amdhsa_system_sgpr_workgroup_id_y 0
		.amdhsa_system_sgpr_workgroup_id_z 0
		.amdhsa_system_sgpr_workgroup_info 0
		.amdhsa_system_vgpr_workitem_id 0
		.amdhsa_next_free_vgpr 1
		.amdhsa_next_free_sgpr 0
		.amdhsa_reserve_vcc 0
		.amdhsa_reserve_flat_scratch 0
		.amdhsa_float_round_mode_32 0
		.amdhsa_float_round_mode_16_64 0
		.amdhsa_float_denorm_mode_32 3
		.amdhsa_float_denorm_mode_16_64 3
		.amdhsa_dx10_clamp 1
		.amdhsa_ieee_mode 1
		.amdhsa_fp16_overflow 0
		.amdhsa_exception_fp_ieee_invalid_op 0
		.amdhsa_exception_fp_denorm_src 0
		.amdhsa_exception_fp_ieee_div_zero 0
		.amdhsa_exception_fp_ieee_overflow 0
		.amdhsa_exception_fp_ieee_underflow 0
		.amdhsa_exception_fp_ieee_inexact 0
		.amdhsa_exception_int_div_zero 0
	.end_amdhsa_kernel
	.section	.text._ZN7rocprim17ROCPRIM_400000_NS6detail17trampoline_kernelINS0_14default_configENS1_38merge_sort_block_merge_config_selectorIN3c108BFloat16ElEEZZNS1_27merge_sort_block_merge_implIS3_PS6_N6thrust23THRUST_200600_302600_NS10device_ptrIlEEmNSB_4lessIS6_EEEE10hipError_tT0_T1_T2_jT3_P12ihipStream_tbPNSt15iterator_traitsISH_E10value_typeEPNSN_ISI_E10value_typeEPSJ_NS1_7vsmem_tEENKUlT_SH_SI_SJ_E_clIS9_S9_PlSD_EESG_SW_SH_SI_SJ_EUlSW_E0_NS1_11comp_targetILNS1_3genE9ELNS1_11target_archE1100ELNS1_3gpuE3ELNS1_3repE0EEENS1_38merge_mergepath_config_static_selectorELNS0_4arch9wavefront6targetE1EEEvSI_,"axG",@progbits,_ZN7rocprim17ROCPRIM_400000_NS6detail17trampoline_kernelINS0_14default_configENS1_38merge_sort_block_merge_config_selectorIN3c108BFloat16ElEEZZNS1_27merge_sort_block_merge_implIS3_PS6_N6thrust23THRUST_200600_302600_NS10device_ptrIlEEmNSB_4lessIS6_EEEE10hipError_tT0_T1_T2_jT3_P12ihipStream_tbPNSt15iterator_traitsISH_E10value_typeEPNSN_ISI_E10value_typeEPSJ_NS1_7vsmem_tEENKUlT_SH_SI_SJ_E_clIS9_S9_PlSD_EESG_SW_SH_SI_SJ_EUlSW_E0_NS1_11comp_targetILNS1_3genE9ELNS1_11target_archE1100ELNS1_3gpuE3ELNS1_3repE0EEENS1_38merge_mergepath_config_static_selectorELNS0_4arch9wavefront6targetE1EEEvSI_,comdat
.Lfunc_end1992:
	.size	_ZN7rocprim17ROCPRIM_400000_NS6detail17trampoline_kernelINS0_14default_configENS1_38merge_sort_block_merge_config_selectorIN3c108BFloat16ElEEZZNS1_27merge_sort_block_merge_implIS3_PS6_N6thrust23THRUST_200600_302600_NS10device_ptrIlEEmNSB_4lessIS6_EEEE10hipError_tT0_T1_T2_jT3_P12ihipStream_tbPNSt15iterator_traitsISH_E10value_typeEPNSN_ISI_E10value_typeEPSJ_NS1_7vsmem_tEENKUlT_SH_SI_SJ_E_clIS9_S9_PlSD_EESG_SW_SH_SI_SJ_EUlSW_E0_NS1_11comp_targetILNS1_3genE9ELNS1_11target_archE1100ELNS1_3gpuE3ELNS1_3repE0EEENS1_38merge_mergepath_config_static_selectorELNS0_4arch9wavefront6targetE1EEEvSI_, .Lfunc_end1992-_ZN7rocprim17ROCPRIM_400000_NS6detail17trampoline_kernelINS0_14default_configENS1_38merge_sort_block_merge_config_selectorIN3c108BFloat16ElEEZZNS1_27merge_sort_block_merge_implIS3_PS6_N6thrust23THRUST_200600_302600_NS10device_ptrIlEEmNSB_4lessIS6_EEEE10hipError_tT0_T1_T2_jT3_P12ihipStream_tbPNSt15iterator_traitsISH_E10value_typeEPNSN_ISI_E10value_typeEPSJ_NS1_7vsmem_tEENKUlT_SH_SI_SJ_E_clIS9_S9_PlSD_EESG_SW_SH_SI_SJ_EUlSW_E0_NS1_11comp_targetILNS1_3genE9ELNS1_11target_archE1100ELNS1_3gpuE3ELNS1_3repE0EEENS1_38merge_mergepath_config_static_selectorELNS0_4arch9wavefront6targetE1EEEvSI_
                                        ; -- End function
	.set _ZN7rocprim17ROCPRIM_400000_NS6detail17trampoline_kernelINS0_14default_configENS1_38merge_sort_block_merge_config_selectorIN3c108BFloat16ElEEZZNS1_27merge_sort_block_merge_implIS3_PS6_N6thrust23THRUST_200600_302600_NS10device_ptrIlEEmNSB_4lessIS6_EEEE10hipError_tT0_T1_T2_jT3_P12ihipStream_tbPNSt15iterator_traitsISH_E10value_typeEPNSN_ISI_E10value_typeEPSJ_NS1_7vsmem_tEENKUlT_SH_SI_SJ_E_clIS9_S9_PlSD_EESG_SW_SH_SI_SJ_EUlSW_E0_NS1_11comp_targetILNS1_3genE9ELNS1_11target_archE1100ELNS1_3gpuE3ELNS1_3repE0EEENS1_38merge_mergepath_config_static_selectorELNS0_4arch9wavefront6targetE1EEEvSI_.num_vgpr, 0
	.set _ZN7rocprim17ROCPRIM_400000_NS6detail17trampoline_kernelINS0_14default_configENS1_38merge_sort_block_merge_config_selectorIN3c108BFloat16ElEEZZNS1_27merge_sort_block_merge_implIS3_PS6_N6thrust23THRUST_200600_302600_NS10device_ptrIlEEmNSB_4lessIS6_EEEE10hipError_tT0_T1_T2_jT3_P12ihipStream_tbPNSt15iterator_traitsISH_E10value_typeEPNSN_ISI_E10value_typeEPSJ_NS1_7vsmem_tEENKUlT_SH_SI_SJ_E_clIS9_S9_PlSD_EESG_SW_SH_SI_SJ_EUlSW_E0_NS1_11comp_targetILNS1_3genE9ELNS1_11target_archE1100ELNS1_3gpuE3ELNS1_3repE0EEENS1_38merge_mergepath_config_static_selectorELNS0_4arch9wavefront6targetE1EEEvSI_.num_agpr, 0
	.set _ZN7rocprim17ROCPRIM_400000_NS6detail17trampoline_kernelINS0_14default_configENS1_38merge_sort_block_merge_config_selectorIN3c108BFloat16ElEEZZNS1_27merge_sort_block_merge_implIS3_PS6_N6thrust23THRUST_200600_302600_NS10device_ptrIlEEmNSB_4lessIS6_EEEE10hipError_tT0_T1_T2_jT3_P12ihipStream_tbPNSt15iterator_traitsISH_E10value_typeEPNSN_ISI_E10value_typeEPSJ_NS1_7vsmem_tEENKUlT_SH_SI_SJ_E_clIS9_S9_PlSD_EESG_SW_SH_SI_SJ_EUlSW_E0_NS1_11comp_targetILNS1_3genE9ELNS1_11target_archE1100ELNS1_3gpuE3ELNS1_3repE0EEENS1_38merge_mergepath_config_static_selectorELNS0_4arch9wavefront6targetE1EEEvSI_.numbered_sgpr, 0
	.set _ZN7rocprim17ROCPRIM_400000_NS6detail17trampoline_kernelINS0_14default_configENS1_38merge_sort_block_merge_config_selectorIN3c108BFloat16ElEEZZNS1_27merge_sort_block_merge_implIS3_PS6_N6thrust23THRUST_200600_302600_NS10device_ptrIlEEmNSB_4lessIS6_EEEE10hipError_tT0_T1_T2_jT3_P12ihipStream_tbPNSt15iterator_traitsISH_E10value_typeEPNSN_ISI_E10value_typeEPSJ_NS1_7vsmem_tEENKUlT_SH_SI_SJ_E_clIS9_S9_PlSD_EESG_SW_SH_SI_SJ_EUlSW_E0_NS1_11comp_targetILNS1_3genE9ELNS1_11target_archE1100ELNS1_3gpuE3ELNS1_3repE0EEENS1_38merge_mergepath_config_static_selectorELNS0_4arch9wavefront6targetE1EEEvSI_.num_named_barrier, 0
	.set _ZN7rocprim17ROCPRIM_400000_NS6detail17trampoline_kernelINS0_14default_configENS1_38merge_sort_block_merge_config_selectorIN3c108BFloat16ElEEZZNS1_27merge_sort_block_merge_implIS3_PS6_N6thrust23THRUST_200600_302600_NS10device_ptrIlEEmNSB_4lessIS6_EEEE10hipError_tT0_T1_T2_jT3_P12ihipStream_tbPNSt15iterator_traitsISH_E10value_typeEPNSN_ISI_E10value_typeEPSJ_NS1_7vsmem_tEENKUlT_SH_SI_SJ_E_clIS9_S9_PlSD_EESG_SW_SH_SI_SJ_EUlSW_E0_NS1_11comp_targetILNS1_3genE9ELNS1_11target_archE1100ELNS1_3gpuE3ELNS1_3repE0EEENS1_38merge_mergepath_config_static_selectorELNS0_4arch9wavefront6targetE1EEEvSI_.private_seg_size, 0
	.set _ZN7rocprim17ROCPRIM_400000_NS6detail17trampoline_kernelINS0_14default_configENS1_38merge_sort_block_merge_config_selectorIN3c108BFloat16ElEEZZNS1_27merge_sort_block_merge_implIS3_PS6_N6thrust23THRUST_200600_302600_NS10device_ptrIlEEmNSB_4lessIS6_EEEE10hipError_tT0_T1_T2_jT3_P12ihipStream_tbPNSt15iterator_traitsISH_E10value_typeEPNSN_ISI_E10value_typeEPSJ_NS1_7vsmem_tEENKUlT_SH_SI_SJ_E_clIS9_S9_PlSD_EESG_SW_SH_SI_SJ_EUlSW_E0_NS1_11comp_targetILNS1_3genE9ELNS1_11target_archE1100ELNS1_3gpuE3ELNS1_3repE0EEENS1_38merge_mergepath_config_static_selectorELNS0_4arch9wavefront6targetE1EEEvSI_.uses_vcc, 0
	.set _ZN7rocprim17ROCPRIM_400000_NS6detail17trampoline_kernelINS0_14default_configENS1_38merge_sort_block_merge_config_selectorIN3c108BFloat16ElEEZZNS1_27merge_sort_block_merge_implIS3_PS6_N6thrust23THRUST_200600_302600_NS10device_ptrIlEEmNSB_4lessIS6_EEEE10hipError_tT0_T1_T2_jT3_P12ihipStream_tbPNSt15iterator_traitsISH_E10value_typeEPNSN_ISI_E10value_typeEPSJ_NS1_7vsmem_tEENKUlT_SH_SI_SJ_E_clIS9_S9_PlSD_EESG_SW_SH_SI_SJ_EUlSW_E0_NS1_11comp_targetILNS1_3genE9ELNS1_11target_archE1100ELNS1_3gpuE3ELNS1_3repE0EEENS1_38merge_mergepath_config_static_selectorELNS0_4arch9wavefront6targetE1EEEvSI_.uses_flat_scratch, 0
	.set _ZN7rocprim17ROCPRIM_400000_NS6detail17trampoline_kernelINS0_14default_configENS1_38merge_sort_block_merge_config_selectorIN3c108BFloat16ElEEZZNS1_27merge_sort_block_merge_implIS3_PS6_N6thrust23THRUST_200600_302600_NS10device_ptrIlEEmNSB_4lessIS6_EEEE10hipError_tT0_T1_T2_jT3_P12ihipStream_tbPNSt15iterator_traitsISH_E10value_typeEPNSN_ISI_E10value_typeEPSJ_NS1_7vsmem_tEENKUlT_SH_SI_SJ_E_clIS9_S9_PlSD_EESG_SW_SH_SI_SJ_EUlSW_E0_NS1_11comp_targetILNS1_3genE9ELNS1_11target_archE1100ELNS1_3gpuE3ELNS1_3repE0EEENS1_38merge_mergepath_config_static_selectorELNS0_4arch9wavefront6targetE1EEEvSI_.has_dyn_sized_stack, 0
	.set _ZN7rocprim17ROCPRIM_400000_NS6detail17trampoline_kernelINS0_14default_configENS1_38merge_sort_block_merge_config_selectorIN3c108BFloat16ElEEZZNS1_27merge_sort_block_merge_implIS3_PS6_N6thrust23THRUST_200600_302600_NS10device_ptrIlEEmNSB_4lessIS6_EEEE10hipError_tT0_T1_T2_jT3_P12ihipStream_tbPNSt15iterator_traitsISH_E10value_typeEPNSN_ISI_E10value_typeEPSJ_NS1_7vsmem_tEENKUlT_SH_SI_SJ_E_clIS9_S9_PlSD_EESG_SW_SH_SI_SJ_EUlSW_E0_NS1_11comp_targetILNS1_3genE9ELNS1_11target_archE1100ELNS1_3gpuE3ELNS1_3repE0EEENS1_38merge_mergepath_config_static_selectorELNS0_4arch9wavefront6targetE1EEEvSI_.has_recursion, 0
	.set _ZN7rocprim17ROCPRIM_400000_NS6detail17trampoline_kernelINS0_14default_configENS1_38merge_sort_block_merge_config_selectorIN3c108BFloat16ElEEZZNS1_27merge_sort_block_merge_implIS3_PS6_N6thrust23THRUST_200600_302600_NS10device_ptrIlEEmNSB_4lessIS6_EEEE10hipError_tT0_T1_T2_jT3_P12ihipStream_tbPNSt15iterator_traitsISH_E10value_typeEPNSN_ISI_E10value_typeEPSJ_NS1_7vsmem_tEENKUlT_SH_SI_SJ_E_clIS9_S9_PlSD_EESG_SW_SH_SI_SJ_EUlSW_E0_NS1_11comp_targetILNS1_3genE9ELNS1_11target_archE1100ELNS1_3gpuE3ELNS1_3repE0EEENS1_38merge_mergepath_config_static_selectorELNS0_4arch9wavefront6targetE1EEEvSI_.has_indirect_call, 0
	.section	.AMDGPU.csdata,"",@progbits
; Kernel info:
; codeLenInByte = 0
; TotalNumSgprs: 4
; NumVgprs: 0
; ScratchSize: 0
; MemoryBound: 0
; FloatMode: 240
; IeeeMode: 1
; LDSByteSize: 0 bytes/workgroup (compile time only)
; SGPRBlocks: 0
; VGPRBlocks: 0
; NumSGPRsForWavesPerEU: 4
; NumVGPRsForWavesPerEU: 1
; Occupancy: 10
; WaveLimiterHint : 0
; COMPUTE_PGM_RSRC2:SCRATCH_EN: 0
; COMPUTE_PGM_RSRC2:USER_SGPR: 6
; COMPUTE_PGM_RSRC2:TRAP_HANDLER: 0
; COMPUTE_PGM_RSRC2:TGID_X_EN: 1
; COMPUTE_PGM_RSRC2:TGID_Y_EN: 0
; COMPUTE_PGM_RSRC2:TGID_Z_EN: 0
; COMPUTE_PGM_RSRC2:TIDIG_COMP_CNT: 0
	.section	.text._ZN7rocprim17ROCPRIM_400000_NS6detail17trampoline_kernelINS0_14default_configENS1_38merge_sort_block_merge_config_selectorIN3c108BFloat16ElEEZZNS1_27merge_sort_block_merge_implIS3_PS6_N6thrust23THRUST_200600_302600_NS10device_ptrIlEEmNSB_4lessIS6_EEEE10hipError_tT0_T1_T2_jT3_P12ihipStream_tbPNSt15iterator_traitsISH_E10value_typeEPNSN_ISI_E10value_typeEPSJ_NS1_7vsmem_tEENKUlT_SH_SI_SJ_E_clIS9_S9_PlSD_EESG_SW_SH_SI_SJ_EUlSW_E0_NS1_11comp_targetILNS1_3genE8ELNS1_11target_archE1030ELNS1_3gpuE2ELNS1_3repE0EEENS1_38merge_mergepath_config_static_selectorELNS0_4arch9wavefront6targetE1EEEvSI_,"axG",@progbits,_ZN7rocprim17ROCPRIM_400000_NS6detail17trampoline_kernelINS0_14default_configENS1_38merge_sort_block_merge_config_selectorIN3c108BFloat16ElEEZZNS1_27merge_sort_block_merge_implIS3_PS6_N6thrust23THRUST_200600_302600_NS10device_ptrIlEEmNSB_4lessIS6_EEEE10hipError_tT0_T1_T2_jT3_P12ihipStream_tbPNSt15iterator_traitsISH_E10value_typeEPNSN_ISI_E10value_typeEPSJ_NS1_7vsmem_tEENKUlT_SH_SI_SJ_E_clIS9_S9_PlSD_EESG_SW_SH_SI_SJ_EUlSW_E0_NS1_11comp_targetILNS1_3genE8ELNS1_11target_archE1030ELNS1_3gpuE2ELNS1_3repE0EEENS1_38merge_mergepath_config_static_selectorELNS0_4arch9wavefront6targetE1EEEvSI_,comdat
	.protected	_ZN7rocprim17ROCPRIM_400000_NS6detail17trampoline_kernelINS0_14default_configENS1_38merge_sort_block_merge_config_selectorIN3c108BFloat16ElEEZZNS1_27merge_sort_block_merge_implIS3_PS6_N6thrust23THRUST_200600_302600_NS10device_ptrIlEEmNSB_4lessIS6_EEEE10hipError_tT0_T1_T2_jT3_P12ihipStream_tbPNSt15iterator_traitsISH_E10value_typeEPNSN_ISI_E10value_typeEPSJ_NS1_7vsmem_tEENKUlT_SH_SI_SJ_E_clIS9_S9_PlSD_EESG_SW_SH_SI_SJ_EUlSW_E0_NS1_11comp_targetILNS1_3genE8ELNS1_11target_archE1030ELNS1_3gpuE2ELNS1_3repE0EEENS1_38merge_mergepath_config_static_selectorELNS0_4arch9wavefront6targetE1EEEvSI_ ; -- Begin function _ZN7rocprim17ROCPRIM_400000_NS6detail17trampoline_kernelINS0_14default_configENS1_38merge_sort_block_merge_config_selectorIN3c108BFloat16ElEEZZNS1_27merge_sort_block_merge_implIS3_PS6_N6thrust23THRUST_200600_302600_NS10device_ptrIlEEmNSB_4lessIS6_EEEE10hipError_tT0_T1_T2_jT3_P12ihipStream_tbPNSt15iterator_traitsISH_E10value_typeEPNSN_ISI_E10value_typeEPSJ_NS1_7vsmem_tEENKUlT_SH_SI_SJ_E_clIS9_S9_PlSD_EESG_SW_SH_SI_SJ_EUlSW_E0_NS1_11comp_targetILNS1_3genE8ELNS1_11target_archE1030ELNS1_3gpuE2ELNS1_3repE0EEENS1_38merge_mergepath_config_static_selectorELNS0_4arch9wavefront6targetE1EEEvSI_
	.globl	_ZN7rocprim17ROCPRIM_400000_NS6detail17trampoline_kernelINS0_14default_configENS1_38merge_sort_block_merge_config_selectorIN3c108BFloat16ElEEZZNS1_27merge_sort_block_merge_implIS3_PS6_N6thrust23THRUST_200600_302600_NS10device_ptrIlEEmNSB_4lessIS6_EEEE10hipError_tT0_T1_T2_jT3_P12ihipStream_tbPNSt15iterator_traitsISH_E10value_typeEPNSN_ISI_E10value_typeEPSJ_NS1_7vsmem_tEENKUlT_SH_SI_SJ_E_clIS9_S9_PlSD_EESG_SW_SH_SI_SJ_EUlSW_E0_NS1_11comp_targetILNS1_3genE8ELNS1_11target_archE1030ELNS1_3gpuE2ELNS1_3repE0EEENS1_38merge_mergepath_config_static_selectorELNS0_4arch9wavefront6targetE1EEEvSI_
	.p2align	8
	.type	_ZN7rocprim17ROCPRIM_400000_NS6detail17trampoline_kernelINS0_14default_configENS1_38merge_sort_block_merge_config_selectorIN3c108BFloat16ElEEZZNS1_27merge_sort_block_merge_implIS3_PS6_N6thrust23THRUST_200600_302600_NS10device_ptrIlEEmNSB_4lessIS6_EEEE10hipError_tT0_T1_T2_jT3_P12ihipStream_tbPNSt15iterator_traitsISH_E10value_typeEPNSN_ISI_E10value_typeEPSJ_NS1_7vsmem_tEENKUlT_SH_SI_SJ_E_clIS9_S9_PlSD_EESG_SW_SH_SI_SJ_EUlSW_E0_NS1_11comp_targetILNS1_3genE8ELNS1_11target_archE1030ELNS1_3gpuE2ELNS1_3repE0EEENS1_38merge_mergepath_config_static_selectorELNS0_4arch9wavefront6targetE1EEEvSI_,@function
_ZN7rocprim17ROCPRIM_400000_NS6detail17trampoline_kernelINS0_14default_configENS1_38merge_sort_block_merge_config_selectorIN3c108BFloat16ElEEZZNS1_27merge_sort_block_merge_implIS3_PS6_N6thrust23THRUST_200600_302600_NS10device_ptrIlEEmNSB_4lessIS6_EEEE10hipError_tT0_T1_T2_jT3_P12ihipStream_tbPNSt15iterator_traitsISH_E10value_typeEPNSN_ISI_E10value_typeEPSJ_NS1_7vsmem_tEENKUlT_SH_SI_SJ_E_clIS9_S9_PlSD_EESG_SW_SH_SI_SJ_EUlSW_E0_NS1_11comp_targetILNS1_3genE8ELNS1_11target_archE1030ELNS1_3gpuE2ELNS1_3repE0EEENS1_38merge_mergepath_config_static_selectorELNS0_4arch9wavefront6targetE1EEEvSI_: ; @_ZN7rocprim17ROCPRIM_400000_NS6detail17trampoline_kernelINS0_14default_configENS1_38merge_sort_block_merge_config_selectorIN3c108BFloat16ElEEZZNS1_27merge_sort_block_merge_implIS3_PS6_N6thrust23THRUST_200600_302600_NS10device_ptrIlEEmNSB_4lessIS6_EEEE10hipError_tT0_T1_T2_jT3_P12ihipStream_tbPNSt15iterator_traitsISH_E10value_typeEPNSN_ISI_E10value_typeEPSJ_NS1_7vsmem_tEENKUlT_SH_SI_SJ_E_clIS9_S9_PlSD_EESG_SW_SH_SI_SJ_EUlSW_E0_NS1_11comp_targetILNS1_3genE8ELNS1_11target_archE1030ELNS1_3gpuE2ELNS1_3repE0EEENS1_38merge_mergepath_config_static_selectorELNS0_4arch9wavefront6targetE1EEEvSI_
; %bb.0:
	.section	.rodata,"a",@progbits
	.p2align	6, 0x0
	.amdhsa_kernel _ZN7rocprim17ROCPRIM_400000_NS6detail17trampoline_kernelINS0_14default_configENS1_38merge_sort_block_merge_config_selectorIN3c108BFloat16ElEEZZNS1_27merge_sort_block_merge_implIS3_PS6_N6thrust23THRUST_200600_302600_NS10device_ptrIlEEmNSB_4lessIS6_EEEE10hipError_tT0_T1_T2_jT3_P12ihipStream_tbPNSt15iterator_traitsISH_E10value_typeEPNSN_ISI_E10value_typeEPSJ_NS1_7vsmem_tEENKUlT_SH_SI_SJ_E_clIS9_S9_PlSD_EESG_SW_SH_SI_SJ_EUlSW_E0_NS1_11comp_targetILNS1_3genE8ELNS1_11target_archE1030ELNS1_3gpuE2ELNS1_3repE0EEENS1_38merge_mergepath_config_static_selectorELNS0_4arch9wavefront6targetE1EEEvSI_
		.amdhsa_group_segment_fixed_size 0
		.amdhsa_private_segment_fixed_size 0
		.amdhsa_kernarg_size 72
		.amdhsa_user_sgpr_count 6
		.amdhsa_user_sgpr_private_segment_buffer 1
		.amdhsa_user_sgpr_dispatch_ptr 0
		.amdhsa_user_sgpr_queue_ptr 0
		.amdhsa_user_sgpr_kernarg_segment_ptr 1
		.amdhsa_user_sgpr_dispatch_id 0
		.amdhsa_user_sgpr_flat_scratch_init 0
		.amdhsa_user_sgpr_private_segment_size 0
		.amdhsa_uses_dynamic_stack 0
		.amdhsa_system_sgpr_private_segment_wavefront_offset 0
		.amdhsa_system_sgpr_workgroup_id_x 1
		.amdhsa_system_sgpr_workgroup_id_y 0
		.amdhsa_system_sgpr_workgroup_id_z 0
		.amdhsa_system_sgpr_workgroup_info 0
		.amdhsa_system_vgpr_workitem_id 0
		.amdhsa_next_free_vgpr 1
		.amdhsa_next_free_sgpr 0
		.amdhsa_reserve_vcc 0
		.amdhsa_reserve_flat_scratch 0
		.amdhsa_float_round_mode_32 0
		.amdhsa_float_round_mode_16_64 0
		.amdhsa_float_denorm_mode_32 3
		.amdhsa_float_denorm_mode_16_64 3
		.amdhsa_dx10_clamp 1
		.amdhsa_ieee_mode 1
		.amdhsa_fp16_overflow 0
		.amdhsa_exception_fp_ieee_invalid_op 0
		.amdhsa_exception_fp_denorm_src 0
		.amdhsa_exception_fp_ieee_div_zero 0
		.amdhsa_exception_fp_ieee_overflow 0
		.amdhsa_exception_fp_ieee_underflow 0
		.amdhsa_exception_fp_ieee_inexact 0
		.amdhsa_exception_int_div_zero 0
	.end_amdhsa_kernel
	.section	.text._ZN7rocprim17ROCPRIM_400000_NS6detail17trampoline_kernelINS0_14default_configENS1_38merge_sort_block_merge_config_selectorIN3c108BFloat16ElEEZZNS1_27merge_sort_block_merge_implIS3_PS6_N6thrust23THRUST_200600_302600_NS10device_ptrIlEEmNSB_4lessIS6_EEEE10hipError_tT0_T1_T2_jT3_P12ihipStream_tbPNSt15iterator_traitsISH_E10value_typeEPNSN_ISI_E10value_typeEPSJ_NS1_7vsmem_tEENKUlT_SH_SI_SJ_E_clIS9_S9_PlSD_EESG_SW_SH_SI_SJ_EUlSW_E0_NS1_11comp_targetILNS1_3genE8ELNS1_11target_archE1030ELNS1_3gpuE2ELNS1_3repE0EEENS1_38merge_mergepath_config_static_selectorELNS0_4arch9wavefront6targetE1EEEvSI_,"axG",@progbits,_ZN7rocprim17ROCPRIM_400000_NS6detail17trampoline_kernelINS0_14default_configENS1_38merge_sort_block_merge_config_selectorIN3c108BFloat16ElEEZZNS1_27merge_sort_block_merge_implIS3_PS6_N6thrust23THRUST_200600_302600_NS10device_ptrIlEEmNSB_4lessIS6_EEEE10hipError_tT0_T1_T2_jT3_P12ihipStream_tbPNSt15iterator_traitsISH_E10value_typeEPNSN_ISI_E10value_typeEPSJ_NS1_7vsmem_tEENKUlT_SH_SI_SJ_E_clIS9_S9_PlSD_EESG_SW_SH_SI_SJ_EUlSW_E0_NS1_11comp_targetILNS1_3genE8ELNS1_11target_archE1030ELNS1_3gpuE2ELNS1_3repE0EEENS1_38merge_mergepath_config_static_selectorELNS0_4arch9wavefront6targetE1EEEvSI_,comdat
.Lfunc_end1993:
	.size	_ZN7rocprim17ROCPRIM_400000_NS6detail17trampoline_kernelINS0_14default_configENS1_38merge_sort_block_merge_config_selectorIN3c108BFloat16ElEEZZNS1_27merge_sort_block_merge_implIS3_PS6_N6thrust23THRUST_200600_302600_NS10device_ptrIlEEmNSB_4lessIS6_EEEE10hipError_tT0_T1_T2_jT3_P12ihipStream_tbPNSt15iterator_traitsISH_E10value_typeEPNSN_ISI_E10value_typeEPSJ_NS1_7vsmem_tEENKUlT_SH_SI_SJ_E_clIS9_S9_PlSD_EESG_SW_SH_SI_SJ_EUlSW_E0_NS1_11comp_targetILNS1_3genE8ELNS1_11target_archE1030ELNS1_3gpuE2ELNS1_3repE0EEENS1_38merge_mergepath_config_static_selectorELNS0_4arch9wavefront6targetE1EEEvSI_, .Lfunc_end1993-_ZN7rocprim17ROCPRIM_400000_NS6detail17trampoline_kernelINS0_14default_configENS1_38merge_sort_block_merge_config_selectorIN3c108BFloat16ElEEZZNS1_27merge_sort_block_merge_implIS3_PS6_N6thrust23THRUST_200600_302600_NS10device_ptrIlEEmNSB_4lessIS6_EEEE10hipError_tT0_T1_T2_jT3_P12ihipStream_tbPNSt15iterator_traitsISH_E10value_typeEPNSN_ISI_E10value_typeEPSJ_NS1_7vsmem_tEENKUlT_SH_SI_SJ_E_clIS9_S9_PlSD_EESG_SW_SH_SI_SJ_EUlSW_E0_NS1_11comp_targetILNS1_3genE8ELNS1_11target_archE1030ELNS1_3gpuE2ELNS1_3repE0EEENS1_38merge_mergepath_config_static_selectorELNS0_4arch9wavefront6targetE1EEEvSI_
                                        ; -- End function
	.set _ZN7rocprim17ROCPRIM_400000_NS6detail17trampoline_kernelINS0_14default_configENS1_38merge_sort_block_merge_config_selectorIN3c108BFloat16ElEEZZNS1_27merge_sort_block_merge_implIS3_PS6_N6thrust23THRUST_200600_302600_NS10device_ptrIlEEmNSB_4lessIS6_EEEE10hipError_tT0_T1_T2_jT3_P12ihipStream_tbPNSt15iterator_traitsISH_E10value_typeEPNSN_ISI_E10value_typeEPSJ_NS1_7vsmem_tEENKUlT_SH_SI_SJ_E_clIS9_S9_PlSD_EESG_SW_SH_SI_SJ_EUlSW_E0_NS1_11comp_targetILNS1_3genE8ELNS1_11target_archE1030ELNS1_3gpuE2ELNS1_3repE0EEENS1_38merge_mergepath_config_static_selectorELNS0_4arch9wavefront6targetE1EEEvSI_.num_vgpr, 0
	.set _ZN7rocprim17ROCPRIM_400000_NS6detail17trampoline_kernelINS0_14default_configENS1_38merge_sort_block_merge_config_selectorIN3c108BFloat16ElEEZZNS1_27merge_sort_block_merge_implIS3_PS6_N6thrust23THRUST_200600_302600_NS10device_ptrIlEEmNSB_4lessIS6_EEEE10hipError_tT0_T1_T2_jT3_P12ihipStream_tbPNSt15iterator_traitsISH_E10value_typeEPNSN_ISI_E10value_typeEPSJ_NS1_7vsmem_tEENKUlT_SH_SI_SJ_E_clIS9_S9_PlSD_EESG_SW_SH_SI_SJ_EUlSW_E0_NS1_11comp_targetILNS1_3genE8ELNS1_11target_archE1030ELNS1_3gpuE2ELNS1_3repE0EEENS1_38merge_mergepath_config_static_selectorELNS0_4arch9wavefront6targetE1EEEvSI_.num_agpr, 0
	.set _ZN7rocprim17ROCPRIM_400000_NS6detail17trampoline_kernelINS0_14default_configENS1_38merge_sort_block_merge_config_selectorIN3c108BFloat16ElEEZZNS1_27merge_sort_block_merge_implIS3_PS6_N6thrust23THRUST_200600_302600_NS10device_ptrIlEEmNSB_4lessIS6_EEEE10hipError_tT0_T1_T2_jT3_P12ihipStream_tbPNSt15iterator_traitsISH_E10value_typeEPNSN_ISI_E10value_typeEPSJ_NS1_7vsmem_tEENKUlT_SH_SI_SJ_E_clIS9_S9_PlSD_EESG_SW_SH_SI_SJ_EUlSW_E0_NS1_11comp_targetILNS1_3genE8ELNS1_11target_archE1030ELNS1_3gpuE2ELNS1_3repE0EEENS1_38merge_mergepath_config_static_selectorELNS0_4arch9wavefront6targetE1EEEvSI_.numbered_sgpr, 0
	.set _ZN7rocprim17ROCPRIM_400000_NS6detail17trampoline_kernelINS0_14default_configENS1_38merge_sort_block_merge_config_selectorIN3c108BFloat16ElEEZZNS1_27merge_sort_block_merge_implIS3_PS6_N6thrust23THRUST_200600_302600_NS10device_ptrIlEEmNSB_4lessIS6_EEEE10hipError_tT0_T1_T2_jT3_P12ihipStream_tbPNSt15iterator_traitsISH_E10value_typeEPNSN_ISI_E10value_typeEPSJ_NS1_7vsmem_tEENKUlT_SH_SI_SJ_E_clIS9_S9_PlSD_EESG_SW_SH_SI_SJ_EUlSW_E0_NS1_11comp_targetILNS1_3genE8ELNS1_11target_archE1030ELNS1_3gpuE2ELNS1_3repE0EEENS1_38merge_mergepath_config_static_selectorELNS0_4arch9wavefront6targetE1EEEvSI_.num_named_barrier, 0
	.set _ZN7rocprim17ROCPRIM_400000_NS6detail17trampoline_kernelINS0_14default_configENS1_38merge_sort_block_merge_config_selectorIN3c108BFloat16ElEEZZNS1_27merge_sort_block_merge_implIS3_PS6_N6thrust23THRUST_200600_302600_NS10device_ptrIlEEmNSB_4lessIS6_EEEE10hipError_tT0_T1_T2_jT3_P12ihipStream_tbPNSt15iterator_traitsISH_E10value_typeEPNSN_ISI_E10value_typeEPSJ_NS1_7vsmem_tEENKUlT_SH_SI_SJ_E_clIS9_S9_PlSD_EESG_SW_SH_SI_SJ_EUlSW_E0_NS1_11comp_targetILNS1_3genE8ELNS1_11target_archE1030ELNS1_3gpuE2ELNS1_3repE0EEENS1_38merge_mergepath_config_static_selectorELNS0_4arch9wavefront6targetE1EEEvSI_.private_seg_size, 0
	.set _ZN7rocprim17ROCPRIM_400000_NS6detail17trampoline_kernelINS0_14default_configENS1_38merge_sort_block_merge_config_selectorIN3c108BFloat16ElEEZZNS1_27merge_sort_block_merge_implIS3_PS6_N6thrust23THRUST_200600_302600_NS10device_ptrIlEEmNSB_4lessIS6_EEEE10hipError_tT0_T1_T2_jT3_P12ihipStream_tbPNSt15iterator_traitsISH_E10value_typeEPNSN_ISI_E10value_typeEPSJ_NS1_7vsmem_tEENKUlT_SH_SI_SJ_E_clIS9_S9_PlSD_EESG_SW_SH_SI_SJ_EUlSW_E0_NS1_11comp_targetILNS1_3genE8ELNS1_11target_archE1030ELNS1_3gpuE2ELNS1_3repE0EEENS1_38merge_mergepath_config_static_selectorELNS0_4arch9wavefront6targetE1EEEvSI_.uses_vcc, 0
	.set _ZN7rocprim17ROCPRIM_400000_NS6detail17trampoline_kernelINS0_14default_configENS1_38merge_sort_block_merge_config_selectorIN3c108BFloat16ElEEZZNS1_27merge_sort_block_merge_implIS3_PS6_N6thrust23THRUST_200600_302600_NS10device_ptrIlEEmNSB_4lessIS6_EEEE10hipError_tT0_T1_T2_jT3_P12ihipStream_tbPNSt15iterator_traitsISH_E10value_typeEPNSN_ISI_E10value_typeEPSJ_NS1_7vsmem_tEENKUlT_SH_SI_SJ_E_clIS9_S9_PlSD_EESG_SW_SH_SI_SJ_EUlSW_E0_NS1_11comp_targetILNS1_3genE8ELNS1_11target_archE1030ELNS1_3gpuE2ELNS1_3repE0EEENS1_38merge_mergepath_config_static_selectorELNS0_4arch9wavefront6targetE1EEEvSI_.uses_flat_scratch, 0
	.set _ZN7rocprim17ROCPRIM_400000_NS6detail17trampoline_kernelINS0_14default_configENS1_38merge_sort_block_merge_config_selectorIN3c108BFloat16ElEEZZNS1_27merge_sort_block_merge_implIS3_PS6_N6thrust23THRUST_200600_302600_NS10device_ptrIlEEmNSB_4lessIS6_EEEE10hipError_tT0_T1_T2_jT3_P12ihipStream_tbPNSt15iterator_traitsISH_E10value_typeEPNSN_ISI_E10value_typeEPSJ_NS1_7vsmem_tEENKUlT_SH_SI_SJ_E_clIS9_S9_PlSD_EESG_SW_SH_SI_SJ_EUlSW_E0_NS1_11comp_targetILNS1_3genE8ELNS1_11target_archE1030ELNS1_3gpuE2ELNS1_3repE0EEENS1_38merge_mergepath_config_static_selectorELNS0_4arch9wavefront6targetE1EEEvSI_.has_dyn_sized_stack, 0
	.set _ZN7rocprim17ROCPRIM_400000_NS6detail17trampoline_kernelINS0_14default_configENS1_38merge_sort_block_merge_config_selectorIN3c108BFloat16ElEEZZNS1_27merge_sort_block_merge_implIS3_PS6_N6thrust23THRUST_200600_302600_NS10device_ptrIlEEmNSB_4lessIS6_EEEE10hipError_tT0_T1_T2_jT3_P12ihipStream_tbPNSt15iterator_traitsISH_E10value_typeEPNSN_ISI_E10value_typeEPSJ_NS1_7vsmem_tEENKUlT_SH_SI_SJ_E_clIS9_S9_PlSD_EESG_SW_SH_SI_SJ_EUlSW_E0_NS1_11comp_targetILNS1_3genE8ELNS1_11target_archE1030ELNS1_3gpuE2ELNS1_3repE0EEENS1_38merge_mergepath_config_static_selectorELNS0_4arch9wavefront6targetE1EEEvSI_.has_recursion, 0
	.set _ZN7rocprim17ROCPRIM_400000_NS6detail17trampoline_kernelINS0_14default_configENS1_38merge_sort_block_merge_config_selectorIN3c108BFloat16ElEEZZNS1_27merge_sort_block_merge_implIS3_PS6_N6thrust23THRUST_200600_302600_NS10device_ptrIlEEmNSB_4lessIS6_EEEE10hipError_tT0_T1_T2_jT3_P12ihipStream_tbPNSt15iterator_traitsISH_E10value_typeEPNSN_ISI_E10value_typeEPSJ_NS1_7vsmem_tEENKUlT_SH_SI_SJ_E_clIS9_S9_PlSD_EESG_SW_SH_SI_SJ_EUlSW_E0_NS1_11comp_targetILNS1_3genE8ELNS1_11target_archE1030ELNS1_3gpuE2ELNS1_3repE0EEENS1_38merge_mergepath_config_static_selectorELNS0_4arch9wavefront6targetE1EEEvSI_.has_indirect_call, 0
	.section	.AMDGPU.csdata,"",@progbits
; Kernel info:
; codeLenInByte = 0
; TotalNumSgprs: 4
; NumVgprs: 0
; ScratchSize: 0
; MemoryBound: 0
; FloatMode: 240
; IeeeMode: 1
; LDSByteSize: 0 bytes/workgroup (compile time only)
; SGPRBlocks: 0
; VGPRBlocks: 0
; NumSGPRsForWavesPerEU: 4
; NumVGPRsForWavesPerEU: 1
; Occupancy: 10
; WaveLimiterHint : 0
; COMPUTE_PGM_RSRC2:SCRATCH_EN: 0
; COMPUTE_PGM_RSRC2:USER_SGPR: 6
; COMPUTE_PGM_RSRC2:TRAP_HANDLER: 0
; COMPUTE_PGM_RSRC2:TGID_X_EN: 1
; COMPUTE_PGM_RSRC2:TGID_Y_EN: 0
; COMPUTE_PGM_RSRC2:TGID_Z_EN: 0
; COMPUTE_PGM_RSRC2:TIDIG_COMP_CNT: 0
	.section	.text._ZN7rocprim17ROCPRIM_400000_NS6detail17trampoline_kernelINS0_14default_configENS1_38merge_sort_block_merge_config_selectorIN3c108BFloat16ElEEZZNS1_27merge_sort_block_merge_implIS3_PS6_N6thrust23THRUST_200600_302600_NS10device_ptrIlEEmNSB_4lessIS6_EEEE10hipError_tT0_T1_T2_jT3_P12ihipStream_tbPNSt15iterator_traitsISH_E10value_typeEPNSN_ISI_E10value_typeEPSJ_NS1_7vsmem_tEENKUlT_SH_SI_SJ_E_clIS9_S9_PlSD_EESG_SW_SH_SI_SJ_EUlSW_E1_NS1_11comp_targetILNS1_3genE0ELNS1_11target_archE4294967295ELNS1_3gpuE0ELNS1_3repE0EEENS1_36merge_oddeven_config_static_selectorELNS0_4arch9wavefront6targetE1EEEvSI_,"axG",@progbits,_ZN7rocprim17ROCPRIM_400000_NS6detail17trampoline_kernelINS0_14default_configENS1_38merge_sort_block_merge_config_selectorIN3c108BFloat16ElEEZZNS1_27merge_sort_block_merge_implIS3_PS6_N6thrust23THRUST_200600_302600_NS10device_ptrIlEEmNSB_4lessIS6_EEEE10hipError_tT0_T1_T2_jT3_P12ihipStream_tbPNSt15iterator_traitsISH_E10value_typeEPNSN_ISI_E10value_typeEPSJ_NS1_7vsmem_tEENKUlT_SH_SI_SJ_E_clIS9_S9_PlSD_EESG_SW_SH_SI_SJ_EUlSW_E1_NS1_11comp_targetILNS1_3genE0ELNS1_11target_archE4294967295ELNS1_3gpuE0ELNS1_3repE0EEENS1_36merge_oddeven_config_static_selectorELNS0_4arch9wavefront6targetE1EEEvSI_,comdat
	.protected	_ZN7rocprim17ROCPRIM_400000_NS6detail17trampoline_kernelINS0_14default_configENS1_38merge_sort_block_merge_config_selectorIN3c108BFloat16ElEEZZNS1_27merge_sort_block_merge_implIS3_PS6_N6thrust23THRUST_200600_302600_NS10device_ptrIlEEmNSB_4lessIS6_EEEE10hipError_tT0_T1_T2_jT3_P12ihipStream_tbPNSt15iterator_traitsISH_E10value_typeEPNSN_ISI_E10value_typeEPSJ_NS1_7vsmem_tEENKUlT_SH_SI_SJ_E_clIS9_S9_PlSD_EESG_SW_SH_SI_SJ_EUlSW_E1_NS1_11comp_targetILNS1_3genE0ELNS1_11target_archE4294967295ELNS1_3gpuE0ELNS1_3repE0EEENS1_36merge_oddeven_config_static_selectorELNS0_4arch9wavefront6targetE1EEEvSI_ ; -- Begin function _ZN7rocprim17ROCPRIM_400000_NS6detail17trampoline_kernelINS0_14default_configENS1_38merge_sort_block_merge_config_selectorIN3c108BFloat16ElEEZZNS1_27merge_sort_block_merge_implIS3_PS6_N6thrust23THRUST_200600_302600_NS10device_ptrIlEEmNSB_4lessIS6_EEEE10hipError_tT0_T1_T2_jT3_P12ihipStream_tbPNSt15iterator_traitsISH_E10value_typeEPNSN_ISI_E10value_typeEPSJ_NS1_7vsmem_tEENKUlT_SH_SI_SJ_E_clIS9_S9_PlSD_EESG_SW_SH_SI_SJ_EUlSW_E1_NS1_11comp_targetILNS1_3genE0ELNS1_11target_archE4294967295ELNS1_3gpuE0ELNS1_3repE0EEENS1_36merge_oddeven_config_static_selectorELNS0_4arch9wavefront6targetE1EEEvSI_
	.globl	_ZN7rocprim17ROCPRIM_400000_NS6detail17trampoline_kernelINS0_14default_configENS1_38merge_sort_block_merge_config_selectorIN3c108BFloat16ElEEZZNS1_27merge_sort_block_merge_implIS3_PS6_N6thrust23THRUST_200600_302600_NS10device_ptrIlEEmNSB_4lessIS6_EEEE10hipError_tT0_T1_T2_jT3_P12ihipStream_tbPNSt15iterator_traitsISH_E10value_typeEPNSN_ISI_E10value_typeEPSJ_NS1_7vsmem_tEENKUlT_SH_SI_SJ_E_clIS9_S9_PlSD_EESG_SW_SH_SI_SJ_EUlSW_E1_NS1_11comp_targetILNS1_3genE0ELNS1_11target_archE4294967295ELNS1_3gpuE0ELNS1_3repE0EEENS1_36merge_oddeven_config_static_selectorELNS0_4arch9wavefront6targetE1EEEvSI_
	.p2align	8
	.type	_ZN7rocprim17ROCPRIM_400000_NS6detail17trampoline_kernelINS0_14default_configENS1_38merge_sort_block_merge_config_selectorIN3c108BFloat16ElEEZZNS1_27merge_sort_block_merge_implIS3_PS6_N6thrust23THRUST_200600_302600_NS10device_ptrIlEEmNSB_4lessIS6_EEEE10hipError_tT0_T1_T2_jT3_P12ihipStream_tbPNSt15iterator_traitsISH_E10value_typeEPNSN_ISI_E10value_typeEPSJ_NS1_7vsmem_tEENKUlT_SH_SI_SJ_E_clIS9_S9_PlSD_EESG_SW_SH_SI_SJ_EUlSW_E1_NS1_11comp_targetILNS1_3genE0ELNS1_11target_archE4294967295ELNS1_3gpuE0ELNS1_3repE0EEENS1_36merge_oddeven_config_static_selectorELNS0_4arch9wavefront6targetE1EEEvSI_,@function
_ZN7rocprim17ROCPRIM_400000_NS6detail17trampoline_kernelINS0_14default_configENS1_38merge_sort_block_merge_config_selectorIN3c108BFloat16ElEEZZNS1_27merge_sort_block_merge_implIS3_PS6_N6thrust23THRUST_200600_302600_NS10device_ptrIlEEmNSB_4lessIS6_EEEE10hipError_tT0_T1_T2_jT3_P12ihipStream_tbPNSt15iterator_traitsISH_E10value_typeEPNSN_ISI_E10value_typeEPSJ_NS1_7vsmem_tEENKUlT_SH_SI_SJ_E_clIS9_S9_PlSD_EESG_SW_SH_SI_SJ_EUlSW_E1_NS1_11comp_targetILNS1_3genE0ELNS1_11target_archE4294967295ELNS1_3gpuE0ELNS1_3repE0EEENS1_36merge_oddeven_config_static_selectorELNS0_4arch9wavefront6targetE1EEEvSI_: ; @_ZN7rocprim17ROCPRIM_400000_NS6detail17trampoline_kernelINS0_14default_configENS1_38merge_sort_block_merge_config_selectorIN3c108BFloat16ElEEZZNS1_27merge_sort_block_merge_implIS3_PS6_N6thrust23THRUST_200600_302600_NS10device_ptrIlEEmNSB_4lessIS6_EEEE10hipError_tT0_T1_T2_jT3_P12ihipStream_tbPNSt15iterator_traitsISH_E10value_typeEPNSN_ISI_E10value_typeEPSJ_NS1_7vsmem_tEENKUlT_SH_SI_SJ_E_clIS9_S9_PlSD_EESG_SW_SH_SI_SJ_EUlSW_E1_NS1_11comp_targetILNS1_3genE0ELNS1_11target_archE4294967295ELNS1_3gpuE0ELNS1_3repE0EEENS1_36merge_oddeven_config_static_selectorELNS0_4arch9wavefront6targetE1EEEvSI_
; %bb.0:
	.section	.rodata,"a",@progbits
	.p2align	6, 0x0
	.amdhsa_kernel _ZN7rocprim17ROCPRIM_400000_NS6detail17trampoline_kernelINS0_14default_configENS1_38merge_sort_block_merge_config_selectorIN3c108BFloat16ElEEZZNS1_27merge_sort_block_merge_implIS3_PS6_N6thrust23THRUST_200600_302600_NS10device_ptrIlEEmNSB_4lessIS6_EEEE10hipError_tT0_T1_T2_jT3_P12ihipStream_tbPNSt15iterator_traitsISH_E10value_typeEPNSN_ISI_E10value_typeEPSJ_NS1_7vsmem_tEENKUlT_SH_SI_SJ_E_clIS9_S9_PlSD_EESG_SW_SH_SI_SJ_EUlSW_E1_NS1_11comp_targetILNS1_3genE0ELNS1_11target_archE4294967295ELNS1_3gpuE0ELNS1_3repE0EEENS1_36merge_oddeven_config_static_selectorELNS0_4arch9wavefront6targetE1EEEvSI_
		.amdhsa_group_segment_fixed_size 0
		.amdhsa_private_segment_fixed_size 0
		.amdhsa_kernarg_size 56
		.amdhsa_user_sgpr_count 6
		.amdhsa_user_sgpr_private_segment_buffer 1
		.amdhsa_user_sgpr_dispatch_ptr 0
		.amdhsa_user_sgpr_queue_ptr 0
		.amdhsa_user_sgpr_kernarg_segment_ptr 1
		.amdhsa_user_sgpr_dispatch_id 0
		.amdhsa_user_sgpr_flat_scratch_init 0
		.amdhsa_user_sgpr_private_segment_size 0
		.amdhsa_uses_dynamic_stack 0
		.amdhsa_system_sgpr_private_segment_wavefront_offset 0
		.amdhsa_system_sgpr_workgroup_id_x 1
		.amdhsa_system_sgpr_workgroup_id_y 0
		.amdhsa_system_sgpr_workgroup_id_z 0
		.amdhsa_system_sgpr_workgroup_info 0
		.amdhsa_system_vgpr_workitem_id 0
		.amdhsa_next_free_vgpr 1
		.amdhsa_next_free_sgpr 0
		.amdhsa_reserve_vcc 0
		.amdhsa_reserve_flat_scratch 0
		.amdhsa_float_round_mode_32 0
		.amdhsa_float_round_mode_16_64 0
		.amdhsa_float_denorm_mode_32 3
		.amdhsa_float_denorm_mode_16_64 3
		.amdhsa_dx10_clamp 1
		.amdhsa_ieee_mode 1
		.amdhsa_fp16_overflow 0
		.amdhsa_exception_fp_ieee_invalid_op 0
		.amdhsa_exception_fp_denorm_src 0
		.amdhsa_exception_fp_ieee_div_zero 0
		.amdhsa_exception_fp_ieee_overflow 0
		.amdhsa_exception_fp_ieee_underflow 0
		.amdhsa_exception_fp_ieee_inexact 0
		.amdhsa_exception_int_div_zero 0
	.end_amdhsa_kernel
	.section	.text._ZN7rocprim17ROCPRIM_400000_NS6detail17trampoline_kernelINS0_14default_configENS1_38merge_sort_block_merge_config_selectorIN3c108BFloat16ElEEZZNS1_27merge_sort_block_merge_implIS3_PS6_N6thrust23THRUST_200600_302600_NS10device_ptrIlEEmNSB_4lessIS6_EEEE10hipError_tT0_T1_T2_jT3_P12ihipStream_tbPNSt15iterator_traitsISH_E10value_typeEPNSN_ISI_E10value_typeEPSJ_NS1_7vsmem_tEENKUlT_SH_SI_SJ_E_clIS9_S9_PlSD_EESG_SW_SH_SI_SJ_EUlSW_E1_NS1_11comp_targetILNS1_3genE0ELNS1_11target_archE4294967295ELNS1_3gpuE0ELNS1_3repE0EEENS1_36merge_oddeven_config_static_selectorELNS0_4arch9wavefront6targetE1EEEvSI_,"axG",@progbits,_ZN7rocprim17ROCPRIM_400000_NS6detail17trampoline_kernelINS0_14default_configENS1_38merge_sort_block_merge_config_selectorIN3c108BFloat16ElEEZZNS1_27merge_sort_block_merge_implIS3_PS6_N6thrust23THRUST_200600_302600_NS10device_ptrIlEEmNSB_4lessIS6_EEEE10hipError_tT0_T1_T2_jT3_P12ihipStream_tbPNSt15iterator_traitsISH_E10value_typeEPNSN_ISI_E10value_typeEPSJ_NS1_7vsmem_tEENKUlT_SH_SI_SJ_E_clIS9_S9_PlSD_EESG_SW_SH_SI_SJ_EUlSW_E1_NS1_11comp_targetILNS1_3genE0ELNS1_11target_archE4294967295ELNS1_3gpuE0ELNS1_3repE0EEENS1_36merge_oddeven_config_static_selectorELNS0_4arch9wavefront6targetE1EEEvSI_,comdat
.Lfunc_end1994:
	.size	_ZN7rocprim17ROCPRIM_400000_NS6detail17trampoline_kernelINS0_14default_configENS1_38merge_sort_block_merge_config_selectorIN3c108BFloat16ElEEZZNS1_27merge_sort_block_merge_implIS3_PS6_N6thrust23THRUST_200600_302600_NS10device_ptrIlEEmNSB_4lessIS6_EEEE10hipError_tT0_T1_T2_jT3_P12ihipStream_tbPNSt15iterator_traitsISH_E10value_typeEPNSN_ISI_E10value_typeEPSJ_NS1_7vsmem_tEENKUlT_SH_SI_SJ_E_clIS9_S9_PlSD_EESG_SW_SH_SI_SJ_EUlSW_E1_NS1_11comp_targetILNS1_3genE0ELNS1_11target_archE4294967295ELNS1_3gpuE0ELNS1_3repE0EEENS1_36merge_oddeven_config_static_selectorELNS0_4arch9wavefront6targetE1EEEvSI_, .Lfunc_end1994-_ZN7rocprim17ROCPRIM_400000_NS6detail17trampoline_kernelINS0_14default_configENS1_38merge_sort_block_merge_config_selectorIN3c108BFloat16ElEEZZNS1_27merge_sort_block_merge_implIS3_PS6_N6thrust23THRUST_200600_302600_NS10device_ptrIlEEmNSB_4lessIS6_EEEE10hipError_tT0_T1_T2_jT3_P12ihipStream_tbPNSt15iterator_traitsISH_E10value_typeEPNSN_ISI_E10value_typeEPSJ_NS1_7vsmem_tEENKUlT_SH_SI_SJ_E_clIS9_S9_PlSD_EESG_SW_SH_SI_SJ_EUlSW_E1_NS1_11comp_targetILNS1_3genE0ELNS1_11target_archE4294967295ELNS1_3gpuE0ELNS1_3repE0EEENS1_36merge_oddeven_config_static_selectorELNS0_4arch9wavefront6targetE1EEEvSI_
                                        ; -- End function
	.set _ZN7rocprim17ROCPRIM_400000_NS6detail17trampoline_kernelINS0_14default_configENS1_38merge_sort_block_merge_config_selectorIN3c108BFloat16ElEEZZNS1_27merge_sort_block_merge_implIS3_PS6_N6thrust23THRUST_200600_302600_NS10device_ptrIlEEmNSB_4lessIS6_EEEE10hipError_tT0_T1_T2_jT3_P12ihipStream_tbPNSt15iterator_traitsISH_E10value_typeEPNSN_ISI_E10value_typeEPSJ_NS1_7vsmem_tEENKUlT_SH_SI_SJ_E_clIS9_S9_PlSD_EESG_SW_SH_SI_SJ_EUlSW_E1_NS1_11comp_targetILNS1_3genE0ELNS1_11target_archE4294967295ELNS1_3gpuE0ELNS1_3repE0EEENS1_36merge_oddeven_config_static_selectorELNS0_4arch9wavefront6targetE1EEEvSI_.num_vgpr, 0
	.set _ZN7rocprim17ROCPRIM_400000_NS6detail17trampoline_kernelINS0_14default_configENS1_38merge_sort_block_merge_config_selectorIN3c108BFloat16ElEEZZNS1_27merge_sort_block_merge_implIS3_PS6_N6thrust23THRUST_200600_302600_NS10device_ptrIlEEmNSB_4lessIS6_EEEE10hipError_tT0_T1_T2_jT3_P12ihipStream_tbPNSt15iterator_traitsISH_E10value_typeEPNSN_ISI_E10value_typeEPSJ_NS1_7vsmem_tEENKUlT_SH_SI_SJ_E_clIS9_S9_PlSD_EESG_SW_SH_SI_SJ_EUlSW_E1_NS1_11comp_targetILNS1_3genE0ELNS1_11target_archE4294967295ELNS1_3gpuE0ELNS1_3repE0EEENS1_36merge_oddeven_config_static_selectorELNS0_4arch9wavefront6targetE1EEEvSI_.num_agpr, 0
	.set _ZN7rocprim17ROCPRIM_400000_NS6detail17trampoline_kernelINS0_14default_configENS1_38merge_sort_block_merge_config_selectorIN3c108BFloat16ElEEZZNS1_27merge_sort_block_merge_implIS3_PS6_N6thrust23THRUST_200600_302600_NS10device_ptrIlEEmNSB_4lessIS6_EEEE10hipError_tT0_T1_T2_jT3_P12ihipStream_tbPNSt15iterator_traitsISH_E10value_typeEPNSN_ISI_E10value_typeEPSJ_NS1_7vsmem_tEENKUlT_SH_SI_SJ_E_clIS9_S9_PlSD_EESG_SW_SH_SI_SJ_EUlSW_E1_NS1_11comp_targetILNS1_3genE0ELNS1_11target_archE4294967295ELNS1_3gpuE0ELNS1_3repE0EEENS1_36merge_oddeven_config_static_selectorELNS0_4arch9wavefront6targetE1EEEvSI_.numbered_sgpr, 0
	.set _ZN7rocprim17ROCPRIM_400000_NS6detail17trampoline_kernelINS0_14default_configENS1_38merge_sort_block_merge_config_selectorIN3c108BFloat16ElEEZZNS1_27merge_sort_block_merge_implIS3_PS6_N6thrust23THRUST_200600_302600_NS10device_ptrIlEEmNSB_4lessIS6_EEEE10hipError_tT0_T1_T2_jT3_P12ihipStream_tbPNSt15iterator_traitsISH_E10value_typeEPNSN_ISI_E10value_typeEPSJ_NS1_7vsmem_tEENKUlT_SH_SI_SJ_E_clIS9_S9_PlSD_EESG_SW_SH_SI_SJ_EUlSW_E1_NS1_11comp_targetILNS1_3genE0ELNS1_11target_archE4294967295ELNS1_3gpuE0ELNS1_3repE0EEENS1_36merge_oddeven_config_static_selectorELNS0_4arch9wavefront6targetE1EEEvSI_.num_named_barrier, 0
	.set _ZN7rocprim17ROCPRIM_400000_NS6detail17trampoline_kernelINS0_14default_configENS1_38merge_sort_block_merge_config_selectorIN3c108BFloat16ElEEZZNS1_27merge_sort_block_merge_implIS3_PS6_N6thrust23THRUST_200600_302600_NS10device_ptrIlEEmNSB_4lessIS6_EEEE10hipError_tT0_T1_T2_jT3_P12ihipStream_tbPNSt15iterator_traitsISH_E10value_typeEPNSN_ISI_E10value_typeEPSJ_NS1_7vsmem_tEENKUlT_SH_SI_SJ_E_clIS9_S9_PlSD_EESG_SW_SH_SI_SJ_EUlSW_E1_NS1_11comp_targetILNS1_3genE0ELNS1_11target_archE4294967295ELNS1_3gpuE0ELNS1_3repE0EEENS1_36merge_oddeven_config_static_selectorELNS0_4arch9wavefront6targetE1EEEvSI_.private_seg_size, 0
	.set _ZN7rocprim17ROCPRIM_400000_NS6detail17trampoline_kernelINS0_14default_configENS1_38merge_sort_block_merge_config_selectorIN3c108BFloat16ElEEZZNS1_27merge_sort_block_merge_implIS3_PS6_N6thrust23THRUST_200600_302600_NS10device_ptrIlEEmNSB_4lessIS6_EEEE10hipError_tT0_T1_T2_jT3_P12ihipStream_tbPNSt15iterator_traitsISH_E10value_typeEPNSN_ISI_E10value_typeEPSJ_NS1_7vsmem_tEENKUlT_SH_SI_SJ_E_clIS9_S9_PlSD_EESG_SW_SH_SI_SJ_EUlSW_E1_NS1_11comp_targetILNS1_3genE0ELNS1_11target_archE4294967295ELNS1_3gpuE0ELNS1_3repE0EEENS1_36merge_oddeven_config_static_selectorELNS0_4arch9wavefront6targetE1EEEvSI_.uses_vcc, 0
	.set _ZN7rocprim17ROCPRIM_400000_NS6detail17trampoline_kernelINS0_14default_configENS1_38merge_sort_block_merge_config_selectorIN3c108BFloat16ElEEZZNS1_27merge_sort_block_merge_implIS3_PS6_N6thrust23THRUST_200600_302600_NS10device_ptrIlEEmNSB_4lessIS6_EEEE10hipError_tT0_T1_T2_jT3_P12ihipStream_tbPNSt15iterator_traitsISH_E10value_typeEPNSN_ISI_E10value_typeEPSJ_NS1_7vsmem_tEENKUlT_SH_SI_SJ_E_clIS9_S9_PlSD_EESG_SW_SH_SI_SJ_EUlSW_E1_NS1_11comp_targetILNS1_3genE0ELNS1_11target_archE4294967295ELNS1_3gpuE0ELNS1_3repE0EEENS1_36merge_oddeven_config_static_selectorELNS0_4arch9wavefront6targetE1EEEvSI_.uses_flat_scratch, 0
	.set _ZN7rocprim17ROCPRIM_400000_NS6detail17trampoline_kernelINS0_14default_configENS1_38merge_sort_block_merge_config_selectorIN3c108BFloat16ElEEZZNS1_27merge_sort_block_merge_implIS3_PS6_N6thrust23THRUST_200600_302600_NS10device_ptrIlEEmNSB_4lessIS6_EEEE10hipError_tT0_T1_T2_jT3_P12ihipStream_tbPNSt15iterator_traitsISH_E10value_typeEPNSN_ISI_E10value_typeEPSJ_NS1_7vsmem_tEENKUlT_SH_SI_SJ_E_clIS9_S9_PlSD_EESG_SW_SH_SI_SJ_EUlSW_E1_NS1_11comp_targetILNS1_3genE0ELNS1_11target_archE4294967295ELNS1_3gpuE0ELNS1_3repE0EEENS1_36merge_oddeven_config_static_selectorELNS0_4arch9wavefront6targetE1EEEvSI_.has_dyn_sized_stack, 0
	.set _ZN7rocprim17ROCPRIM_400000_NS6detail17trampoline_kernelINS0_14default_configENS1_38merge_sort_block_merge_config_selectorIN3c108BFloat16ElEEZZNS1_27merge_sort_block_merge_implIS3_PS6_N6thrust23THRUST_200600_302600_NS10device_ptrIlEEmNSB_4lessIS6_EEEE10hipError_tT0_T1_T2_jT3_P12ihipStream_tbPNSt15iterator_traitsISH_E10value_typeEPNSN_ISI_E10value_typeEPSJ_NS1_7vsmem_tEENKUlT_SH_SI_SJ_E_clIS9_S9_PlSD_EESG_SW_SH_SI_SJ_EUlSW_E1_NS1_11comp_targetILNS1_3genE0ELNS1_11target_archE4294967295ELNS1_3gpuE0ELNS1_3repE0EEENS1_36merge_oddeven_config_static_selectorELNS0_4arch9wavefront6targetE1EEEvSI_.has_recursion, 0
	.set _ZN7rocprim17ROCPRIM_400000_NS6detail17trampoline_kernelINS0_14default_configENS1_38merge_sort_block_merge_config_selectorIN3c108BFloat16ElEEZZNS1_27merge_sort_block_merge_implIS3_PS6_N6thrust23THRUST_200600_302600_NS10device_ptrIlEEmNSB_4lessIS6_EEEE10hipError_tT0_T1_T2_jT3_P12ihipStream_tbPNSt15iterator_traitsISH_E10value_typeEPNSN_ISI_E10value_typeEPSJ_NS1_7vsmem_tEENKUlT_SH_SI_SJ_E_clIS9_S9_PlSD_EESG_SW_SH_SI_SJ_EUlSW_E1_NS1_11comp_targetILNS1_3genE0ELNS1_11target_archE4294967295ELNS1_3gpuE0ELNS1_3repE0EEENS1_36merge_oddeven_config_static_selectorELNS0_4arch9wavefront6targetE1EEEvSI_.has_indirect_call, 0
	.section	.AMDGPU.csdata,"",@progbits
; Kernel info:
; codeLenInByte = 0
; TotalNumSgprs: 4
; NumVgprs: 0
; ScratchSize: 0
; MemoryBound: 0
; FloatMode: 240
; IeeeMode: 1
; LDSByteSize: 0 bytes/workgroup (compile time only)
; SGPRBlocks: 0
; VGPRBlocks: 0
; NumSGPRsForWavesPerEU: 4
; NumVGPRsForWavesPerEU: 1
; Occupancy: 10
; WaveLimiterHint : 0
; COMPUTE_PGM_RSRC2:SCRATCH_EN: 0
; COMPUTE_PGM_RSRC2:USER_SGPR: 6
; COMPUTE_PGM_RSRC2:TRAP_HANDLER: 0
; COMPUTE_PGM_RSRC2:TGID_X_EN: 1
; COMPUTE_PGM_RSRC2:TGID_Y_EN: 0
; COMPUTE_PGM_RSRC2:TGID_Z_EN: 0
; COMPUTE_PGM_RSRC2:TIDIG_COMP_CNT: 0
	.section	.text._ZN7rocprim17ROCPRIM_400000_NS6detail17trampoline_kernelINS0_14default_configENS1_38merge_sort_block_merge_config_selectorIN3c108BFloat16ElEEZZNS1_27merge_sort_block_merge_implIS3_PS6_N6thrust23THRUST_200600_302600_NS10device_ptrIlEEmNSB_4lessIS6_EEEE10hipError_tT0_T1_T2_jT3_P12ihipStream_tbPNSt15iterator_traitsISH_E10value_typeEPNSN_ISI_E10value_typeEPSJ_NS1_7vsmem_tEENKUlT_SH_SI_SJ_E_clIS9_S9_PlSD_EESG_SW_SH_SI_SJ_EUlSW_E1_NS1_11comp_targetILNS1_3genE10ELNS1_11target_archE1201ELNS1_3gpuE5ELNS1_3repE0EEENS1_36merge_oddeven_config_static_selectorELNS0_4arch9wavefront6targetE1EEEvSI_,"axG",@progbits,_ZN7rocprim17ROCPRIM_400000_NS6detail17trampoline_kernelINS0_14default_configENS1_38merge_sort_block_merge_config_selectorIN3c108BFloat16ElEEZZNS1_27merge_sort_block_merge_implIS3_PS6_N6thrust23THRUST_200600_302600_NS10device_ptrIlEEmNSB_4lessIS6_EEEE10hipError_tT0_T1_T2_jT3_P12ihipStream_tbPNSt15iterator_traitsISH_E10value_typeEPNSN_ISI_E10value_typeEPSJ_NS1_7vsmem_tEENKUlT_SH_SI_SJ_E_clIS9_S9_PlSD_EESG_SW_SH_SI_SJ_EUlSW_E1_NS1_11comp_targetILNS1_3genE10ELNS1_11target_archE1201ELNS1_3gpuE5ELNS1_3repE0EEENS1_36merge_oddeven_config_static_selectorELNS0_4arch9wavefront6targetE1EEEvSI_,comdat
	.protected	_ZN7rocprim17ROCPRIM_400000_NS6detail17trampoline_kernelINS0_14default_configENS1_38merge_sort_block_merge_config_selectorIN3c108BFloat16ElEEZZNS1_27merge_sort_block_merge_implIS3_PS6_N6thrust23THRUST_200600_302600_NS10device_ptrIlEEmNSB_4lessIS6_EEEE10hipError_tT0_T1_T2_jT3_P12ihipStream_tbPNSt15iterator_traitsISH_E10value_typeEPNSN_ISI_E10value_typeEPSJ_NS1_7vsmem_tEENKUlT_SH_SI_SJ_E_clIS9_S9_PlSD_EESG_SW_SH_SI_SJ_EUlSW_E1_NS1_11comp_targetILNS1_3genE10ELNS1_11target_archE1201ELNS1_3gpuE5ELNS1_3repE0EEENS1_36merge_oddeven_config_static_selectorELNS0_4arch9wavefront6targetE1EEEvSI_ ; -- Begin function _ZN7rocprim17ROCPRIM_400000_NS6detail17trampoline_kernelINS0_14default_configENS1_38merge_sort_block_merge_config_selectorIN3c108BFloat16ElEEZZNS1_27merge_sort_block_merge_implIS3_PS6_N6thrust23THRUST_200600_302600_NS10device_ptrIlEEmNSB_4lessIS6_EEEE10hipError_tT0_T1_T2_jT3_P12ihipStream_tbPNSt15iterator_traitsISH_E10value_typeEPNSN_ISI_E10value_typeEPSJ_NS1_7vsmem_tEENKUlT_SH_SI_SJ_E_clIS9_S9_PlSD_EESG_SW_SH_SI_SJ_EUlSW_E1_NS1_11comp_targetILNS1_3genE10ELNS1_11target_archE1201ELNS1_3gpuE5ELNS1_3repE0EEENS1_36merge_oddeven_config_static_selectorELNS0_4arch9wavefront6targetE1EEEvSI_
	.globl	_ZN7rocprim17ROCPRIM_400000_NS6detail17trampoline_kernelINS0_14default_configENS1_38merge_sort_block_merge_config_selectorIN3c108BFloat16ElEEZZNS1_27merge_sort_block_merge_implIS3_PS6_N6thrust23THRUST_200600_302600_NS10device_ptrIlEEmNSB_4lessIS6_EEEE10hipError_tT0_T1_T2_jT3_P12ihipStream_tbPNSt15iterator_traitsISH_E10value_typeEPNSN_ISI_E10value_typeEPSJ_NS1_7vsmem_tEENKUlT_SH_SI_SJ_E_clIS9_S9_PlSD_EESG_SW_SH_SI_SJ_EUlSW_E1_NS1_11comp_targetILNS1_3genE10ELNS1_11target_archE1201ELNS1_3gpuE5ELNS1_3repE0EEENS1_36merge_oddeven_config_static_selectorELNS0_4arch9wavefront6targetE1EEEvSI_
	.p2align	8
	.type	_ZN7rocprim17ROCPRIM_400000_NS6detail17trampoline_kernelINS0_14default_configENS1_38merge_sort_block_merge_config_selectorIN3c108BFloat16ElEEZZNS1_27merge_sort_block_merge_implIS3_PS6_N6thrust23THRUST_200600_302600_NS10device_ptrIlEEmNSB_4lessIS6_EEEE10hipError_tT0_T1_T2_jT3_P12ihipStream_tbPNSt15iterator_traitsISH_E10value_typeEPNSN_ISI_E10value_typeEPSJ_NS1_7vsmem_tEENKUlT_SH_SI_SJ_E_clIS9_S9_PlSD_EESG_SW_SH_SI_SJ_EUlSW_E1_NS1_11comp_targetILNS1_3genE10ELNS1_11target_archE1201ELNS1_3gpuE5ELNS1_3repE0EEENS1_36merge_oddeven_config_static_selectorELNS0_4arch9wavefront6targetE1EEEvSI_,@function
_ZN7rocprim17ROCPRIM_400000_NS6detail17trampoline_kernelINS0_14default_configENS1_38merge_sort_block_merge_config_selectorIN3c108BFloat16ElEEZZNS1_27merge_sort_block_merge_implIS3_PS6_N6thrust23THRUST_200600_302600_NS10device_ptrIlEEmNSB_4lessIS6_EEEE10hipError_tT0_T1_T2_jT3_P12ihipStream_tbPNSt15iterator_traitsISH_E10value_typeEPNSN_ISI_E10value_typeEPSJ_NS1_7vsmem_tEENKUlT_SH_SI_SJ_E_clIS9_S9_PlSD_EESG_SW_SH_SI_SJ_EUlSW_E1_NS1_11comp_targetILNS1_3genE10ELNS1_11target_archE1201ELNS1_3gpuE5ELNS1_3repE0EEENS1_36merge_oddeven_config_static_selectorELNS0_4arch9wavefront6targetE1EEEvSI_: ; @_ZN7rocprim17ROCPRIM_400000_NS6detail17trampoline_kernelINS0_14default_configENS1_38merge_sort_block_merge_config_selectorIN3c108BFloat16ElEEZZNS1_27merge_sort_block_merge_implIS3_PS6_N6thrust23THRUST_200600_302600_NS10device_ptrIlEEmNSB_4lessIS6_EEEE10hipError_tT0_T1_T2_jT3_P12ihipStream_tbPNSt15iterator_traitsISH_E10value_typeEPNSN_ISI_E10value_typeEPSJ_NS1_7vsmem_tEENKUlT_SH_SI_SJ_E_clIS9_S9_PlSD_EESG_SW_SH_SI_SJ_EUlSW_E1_NS1_11comp_targetILNS1_3genE10ELNS1_11target_archE1201ELNS1_3gpuE5ELNS1_3repE0EEENS1_36merge_oddeven_config_static_selectorELNS0_4arch9wavefront6targetE1EEEvSI_
; %bb.0:
	.section	.rodata,"a",@progbits
	.p2align	6, 0x0
	.amdhsa_kernel _ZN7rocprim17ROCPRIM_400000_NS6detail17trampoline_kernelINS0_14default_configENS1_38merge_sort_block_merge_config_selectorIN3c108BFloat16ElEEZZNS1_27merge_sort_block_merge_implIS3_PS6_N6thrust23THRUST_200600_302600_NS10device_ptrIlEEmNSB_4lessIS6_EEEE10hipError_tT0_T1_T2_jT3_P12ihipStream_tbPNSt15iterator_traitsISH_E10value_typeEPNSN_ISI_E10value_typeEPSJ_NS1_7vsmem_tEENKUlT_SH_SI_SJ_E_clIS9_S9_PlSD_EESG_SW_SH_SI_SJ_EUlSW_E1_NS1_11comp_targetILNS1_3genE10ELNS1_11target_archE1201ELNS1_3gpuE5ELNS1_3repE0EEENS1_36merge_oddeven_config_static_selectorELNS0_4arch9wavefront6targetE1EEEvSI_
		.amdhsa_group_segment_fixed_size 0
		.amdhsa_private_segment_fixed_size 0
		.amdhsa_kernarg_size 56
		.amdhsa_user_sgpr_count 6
		.amdhsa_user_sgpr_private_segment_buffer 1
		.amdhsa_user_sgpr_dispatch_ptr 0
		.amdhsa_user_sgpr_queue_ptr 0
		.amdhsa_user_sgpr_kernarg_segment_ptr 1
		.amdhsa_user_sgpr_dispatch_id 0
		.amdhsa_user_sgpr_flat_scratch_init 0
		.amdhsa_user_sgpr_private_segment_size 0
		.amdhsa_uses_dynamic_stack 0
		.amdhsa_system_sgpr_private_segment_wavefront_offset 0
		.amdhsa_system_sgpr_workgroup_id_x 1
		.amdhsa_system_sgpr_workgroup_id_y 0
		.amdhsa_system_sgpr_workgroup_id_z 0
		.amdhsa_system_sgpr_workgroup_info 0
		.amdhsa_system_vgpr_workitem_id 0
		.amdhsa_next_free_vgpr 1
		.amdhsa_next_free_sgpr 0
		.amdhsa_reserve_vcc 0
		.amdhsa_reserve_flat_scratch 0
		.amdhsa_float_round_mode_32 0
		.amdhsa_float_round_mode_16_64 0
		.amdhsa_float_denorm_mode_32 3
		.amdhsa_float_denorm_mode_16_64 3
		.amdhsa_dx10_clamp 1
		.amdhsa_ieee_mode 1
		.amdhsa_fp16_overflow 0
		.amdhsa_exception_fp_ieee_invalid_op 0
		.amdhsa_exception_fp_denorm_src 0
		.amdhsa_exception_fp_ieee_div_zero 0
		.amdhsa_exception_fp_ieee_overflow 0
		.amdhsa_exception_fp_ieee_underflow 0
		.amdhsa_exception_fp_ieee_inexact 0
		.amdhsa_exception_int_div_zero 0
	.end_amdhsa_kernel
	.section	.text._ZN7rocprim17ROCPRIM_400000_NS6detail17trampoline_kernelINS0_14default_configENS1_38merge_sort_block_merge_config_selectorIN3c108BFloat16ElEEZZNS1_27merge_sort_block_merge_implIS3_PS6_N6thrust23THRUST_200600_302600_NS10device_ptrIlEEmNSB_4lessIS6_EEEE10hipError_tT0_T1_T2_jT3_P12ihipStream_tbPNSt15iterator_traitsISH_E10value_typeEPNSN_ISI_E10value_typeEPSJ_NS1_7vsmem_tEENKUlT_SH_SI_SJ_E_clIS9_S9_PlSD_EESG_SW_SH_SI_SJ_EUlSW_E1_NS1_11comp_targetILNS1_3genE10ELNS1_11target_archE1201ELNS1_3gpuE5ELNS1_3repE0EEENS1_36merge_oddeven_config_static_selectorELNS0_4arch9wavefront6targetE1EEEvSI_,"axG",@progbits,_ZN7rocprim17ROCPRIM_400000_NS6detail17trampoline_kernelINS0_14default_configENS1_38merge_sort_block_merge_config_selectorIN3c108BFloat16ElEEZZNS1_27merge_sort_block_merge_implIS3_PS6_N6thrust23THRUST_200600_302600_NS10device_ptrIlEEmNSB_4lessIS6_EEEE10hipError_tT0_T1_T2_jT3_P12ihipStream_tbPNSt15iterator_traitsISH_E10value_typeEPNSN_ISI_E10value_typeEPSJ_NS1_7vsmem_tEENKUlT_SH_SI_SJ_E_clIS9_S9_PlSD_EESG_SW_SH_SI_SJ_EUlSW_E1_NS1_11comp_targetILNS1_3genE10ELNS1_11target_archE1201ELNS1_3gpuE5ELNS1_3repE0EEENS1_36merge_oddeven_config_static_selectorELNS0_4arch9wavefront6targetE1EEEvSI_,comdat
.Lfunc_end1995:
	.size	_ZN7rocprim17ROCPRIM_400000_NS6detail17trampoline_kernelINS0_14default_configENS1_38merge_sort_block_merge_config_selectorIN3c108BFloat16ElEEZZNS1_27merge_sort_block_merge_implIS3_PS6_N6thrust23THRUST_200600_302600_NS10device_ptrIlEEmNSB_4lessIS6_EEEE10hipError_tT0_T1_T2_jT3_P12ihipStream_tbPNSt15iterator_traitsISH_E10value_typeEPNSN_ISI_E10value_typeEPSJ_NS1_7vsmem_tEENKUlT_SH_SI_SJ_E_clIS9_S9_PlSD_EESG_SW_SH_SI_SJ_EUlSW_E1_NS1_11comp_targetILNS1_3genE10ELNS1_11target_archE1201ELNS1_3gpuE5ELNS1_3repE0EEENS1_36merge_oddeven_config_static_selectorELNS0_4arch9wavefront6targetE1EEEvSI_, .Lfunc_end1995-_ZN7rocprim17ROCPRIM_400000_NS6detail17trampoline_kernelINS0_14default_configENS1_38merge_sort_block_merge_config_selectorIN3c108BFloat16ElEEZZNS1_27merge_sort_block_merge_implIS3_PS6_N6thrust23THRUST_200600_302600_NS10device_ptrIlEEmNSB_4lessIS6_EEEE10hipError_tT0_T1_T2_jT3_P12ihipStream_tbPNSt15iterator_traitsISH_E10value_typeEPNSN_ISI_E10value_typeEPSJ_NS1_7vsmem_tEENKUlT_SH_SI_SJ_E_clIS9_S9_PlSD_EESG_SW_SH_SI_SJ_EUlSW_E1_NS1_11comp_targetILNS1_3genE10ELNS1_11target_archE1201ELNS1_3gpuE5ELNS1_3repE0EEENS1_36merge_oddeven_config_static_selectorELNS0_4arch9wavefront6targetE1EEEvSI_
                                        ; -- End function
	.set _ZN7rocprim17ROCPRIM_400000_NS6detail17trampoline_kernelINS0_14default_configENS1_38merge_sort_block_merge_config_selectorIN3c108BFloat16ElEEZZNS1_27merge_sort_block_merge_implIS3_PS6_N6thrust23THRUST_200600_302600_NS10device_ptrIlEEmNSB_4lessIS6_EEEE10hipError_tT0_T1_T2_jT3_P12ihipStream_tbPNSt15iterator_traitsISH_E10value_typeEPNSN_ISI_E10value_typeEPSJ_NS1_7vsmem_tEENKUlT_SH_SI_SJ_E_clIS9_S9_PlSD_EESG_SW_SH_SI_SJ_EUlSW_E1_NS1_11comp_targetILNS1_3genE10ELNS1_11target_archE1201ELNS1_3gpuE5ELNS1_3repE0EEENS1_36merge_oddeven_config_static_selectorELNS0_4arch9wavefront6targetE1EEEvSI_.num_vgpr, 0
	.set _ZN7rocprim17ROCPRIM_400000_NS6detail17trampoline_kernelINS0_14default_configENS1_38merge_sort_block_merge_config_selectorIN3c108BFloat16ElEEZZNS1_27merge_sort_block_merge_implIS3_PS6_N6thrust23THRUST_200600_302600_NS10device_ptrIlEEmNSB_4lessIS6_EEEE10hipError_tT0_T1_T2_jT3_P12ihipStream_tbPNSt15iterator_traitsISH_E10value_typeEPNSN_ISI_E10value_typeEPSJ_NS1_7vsmem_tEENKUlT_SH_SI_SJ_E_clIS9_S9_PlSD_EESG_SW_SH_SI_SJ_EUlSW_E1_NS1_11comp_targetILNS1_3genE10ELNS1_11target_archE1201ELNS1_3gpuE5ELNS1_3repE0EEENS1_36merge_oddeven_config_static_selectorELNS0_4arch9wavefront6targetE1EEEvSI_.num_agpr, 0
	.set _ZN7rocprim17ROCPRIM_400000_NS6detail17trampoline_kernelINS0_14default_configENS1_38merge_sort_block_merge_config_selectorIN3c108BFloat16ElEEZZNS1_27merge_sort_block_merge_implIS3_PS6_N6thrust23THRUST_200600_302600_NS10device_ptrIlEEmNSB_4lessIS6_EEEE10hipError_tT0_T1_T2_jT3_P12ihipStream_tbPNSt15iterator_traitsISH_E10value_typeEPNSN_ISI_E10value_typeEPSJ_NS1_7vsmem_tEENKUlT_SH_SI_SJ_E_clIS9_S9_PlSD_EESG_SW_SH_SI_SJ_EUlSW_E1_NS1_11comp_targetILNS1_3genE10ELNS1_11target_archE1201ELNS1_3gpuE5ELNS1_3repE0EEENS1_36merge_oddeven_config_static_selectorELNS0_4arch9wavefront6targetE1EEEvSI_.numbered_sgpr, 0
	.set _ZN7rocprim17ROCPRIM_400000_NS6detail17trampoline_kernelINS0_14default_configENS1_38merge_sort_block_merge_config_selectorIN3c108BFloat16ElEEZZNS1_27merge_sort_block_merge_implIS3_PS6_N6thrust23THRUST_200600_302600_NS10device_ptrIlEEmNSB_4lessIS6_EEEE10hipError_tT0_T1_T2_jT3_P12ihipStream_tbPNSt15iterator_traitsISH_E10value_typeEPNSN_ISI_E10value_typeEPSJ_NS1_7vsmem_tEENKUlT_SH_SI_SJ_E_clIS9_S9_PlSD_EESG_SW_SH_SI_SJ_EUlSW_E1_NS1_11comp_targetILNS1_3genE10ELNS1_11target_archE1201ELNS1_3gpuE5ELNS1_3repE0EEENS1_36merge_oddeven_config_static_selectorELNS0_4arch9wavefront6targetE1EEEvSI_.num_named_barrier, 0
	.set _ZN7rocprim17ROCPRIM_400000_NS6detail17trampoline_kernelINS0_14default_configENS1_38merge_sort_block_merge_config_selectorIN3c108BFloat16ElEEZZNS1_27merge_sort_block_merge_implIS3_PS6_N6thrust23THRUST_200600_302600_NS10device_ptrIlEEmNSB_4lessIS6_EEEE10hipError_tT0_T1_T2_jT3_P12ihipStream_tbPNSt15iterator_traitsISH_E10value_typeEPNSN_ISI_E10value_typeEPSJ_NS1_7vsmem_tEENKUlT_SH_SI_SJ_E_clIS9_S9_PlSD_EESG_SW_SH_SI_SJ_EUlSW_E1_NS1_11comp_targetILNS1_3genE10ELNS1_11target_archE1201ELNS1_3gpuE5ELNS1_3repE0EEENS1_36merge_oddeven_config_static_selectorELNS0_4arch9wavefront6targetE1EEEvSI_.private_seg_size, 0
	.set _ZN7rocprim17ROCPRIM_400000_NS6detail17trampoline_kernelINS0_14default_configENS1_38merge_sort_block_merge_config_selectorIN3c108BFloat16ElEEZZNS1_27merge_sort_block_merge_implIS3_PS6_N6thrust23THRUST_200600_302600_NS10device_ptrIlEEmNSB_4lessIS6_EEEE10hipError_tT0_T1_T2_jT3_P12ihipStream_tbPNSt15iterator_traitsISH_E10value_typeEPNSN_ISI_E10value_typeEPSJ_NS1_7vsmem_tEENKUlT_SH_SI_SJ_E_clIS9_S9_PlSD_EESG_SW_SH_SI_SJ_EUlSW_E1_NS1_11comp_targetILNS1_3genE10ELNS1_11target_archE1201ELNS1_3gpuE5ELNS1_3repE0EEENS1_36merge_oddeven_config_static_selectorELNS0_4arch9wavefront6targetE1EEEvSI_.uses_vcc, 0
	.set _ZN7rocprim17ROCPRIM_400000_NS6detail17trampoline_kernelINS0_14default_configENS1_38merge_sort_block_merge_config_selectorIN3c108BFloat16ElEEZZNS1_27merge_sort_block_merge_implIS3_PS6_N6thrust23THRUST_200600_302600_NS10device_ptrIlEEmNSB_4lessIS6_EEEE10hipError_tT0_T1_T2_jT3_P12ihipStream_tbPNSt15iterator_traitsISH_E10value_typeEPNSN_ISI_E10value_typeEPSJ_NS1_7vsmem_tEENKUlT_SH_SI_SJ_E_clIS9_S9_PlSD_EESG_SW_SH_SI_SJ_EUlSW_E1_NS1_11comp_targetILNS1_3genE10ELNS1_11target_archE1201ELNS1_3gpuE5ELNS1_3repE0EEENS1_36merge_oddeven_config_static_selectorELNS0_4arch9wavefront6targetE1EEEvSI_.uses_flat_scratch, 0
	.set _ZN7rocprim17ROCPRIM_400000_NS6detail17trampoline_kernelINS0_14default_configENS1_38merge_sort_block_merge_config_selectorIN3c108BFloat16ElEEZZNS1_27merge_sort_block_merge_implIS3_PS6_N6thrust23THRUST_200600_302600_NS10device_ptrIlEEmNSB_4lessIS6_EEEE10hipError_tT0_T1_T2_jT3_P12ihipStream_tbPNSt15iterator_traitsISH_E10value_typeEPNSN_ISI_E10value_typeEPSJ_NS1_7vsmem_tEENKUlT_SH_SI_SJ_E_clIS9_S9_PlSD_EESG_SW_SH_SI_SJ_EUlSW_E1_NS1_11comp_targetILNS1_3genE10ELNS1_11target_archE1201ELNS1_3gpuE5ELNS1_3repE0EEENS1_36merge_oddeven_config_static_selectorELNS0_4arch9wavefront6targetE1EEEvSI_.has_dyn_sized_stack, 0
	.set _ZN7rocprim17ROCPRIM_400000_NS6detail17trampoline_kernelINS0_14default_configENS1_38merge_sort_block_merge_config_selectorIN3c108BFloat16ElEEZZNS1_27merge_sort_block_merge_implIS3_PS6_N6thrust23THRUST_200600_302600_NS10device_ptrIlEEmNSB_4lessIS6_EEEE10hipError_tT0_T1_T2_jT3_P12ihipStream_tbPNSt15iterator_traitsISH_E10value_typeEPNSN_ISI_E10value_typeEPSJ_NS1_7vsmem_tEENKUlT_SH_SI_SJ_E_clIS9_S9_PlSD_EESG_SW_SH_SI_SJ_EUlSW_E1_NS1_11comp_targetILNS1_3genE10ELNS1_11target_archE1201ELNS1_3gpuE5ELNS1_3repE0EEENS1_36merge_oddeven_config_static_selectorELNS0_4arch9wavefront6targetE1EEEvSI_.has_recursion, 0
	.set _ZN7rocprim17ROCPRIM_400000_NS6detail17trampoline_kernelINS0_14default_configENS1_38merge_sort_block_merge_config_selectorIN3c108BFloat16ElEEZZNS1_27merge_sort_block_merge_implIS3_PS6_N6thrust23THRUST_200600_302600_NS10device_ptrIlEEmNSB_4lessIS6_EEEE10hipError_tT0_T1_T2_jT3_P12ihipStream_tbPNSt15iterator_traitsISH_E10value_typeEPNSN_ISI_E10value_typeEPSJ_NS1_7vsmem_tEENKUlT_SH_SI_SJ_E_clIS9_S9_PlSD_EESG_SW_SH_SI_SJ_EUlSW_E1_NS1_11comp_targetILNS1_3genE10ELNS1_11target_archE1201ELNS1_3gpuE5ELNS1_3repE0EEENS1_36merge_oddeven_config_static_selectorELNS0_4arch9wavefront6targetE1EEEvSI_.has_indirect_call, 0
	.section	.AMDGPU.csdata,"",@progbits
; Kernel info:
; codeLenInByte = 0
; TotalNumSgprs: 4
; NumVgprs: 0
; ScratchSize: 0
; MemoryBound: 0
; FloatMode: 240
; IeeeMode: 1
; LDSByteSize: 0 bytes/workgroup (compile time only)
; SGPRBlocks: 0
; VGPRBlocks: 0
; NumSGPRsForWavesPerEU: 4
; NumVGPRsForWavesPerEU: 1
; Occupancy: 10
; WaveLimiterHint : 0
; COMPUTE_PGM_RSRC2:SCRATCH_EN: 0
; COMPUTE_PGM_RSRC2:USER_SGPR: 6
; COMPUTE_PGM_RSRC2:TRAP_HANDLER: 0
; COMPUTE_PGM_RSRC2:TGID_X_EN: 1
; COMPUTE_PGM_RSRC2:TGID_Y_EN: 0
; COMPUTE_PGM_RSRC2:TGID_Z_EN: 0
; COMPUTE_PGM_RSRC2:TIDIG_COMP_CNT: 0
	.section	.text._ZN7rocprim17ROCPRIM_400000_NS6detail17trampoline_kernelINS0_14default_configENS1_38merge_sort_block_merge_config_selectorIN3c108BFloat16ElEEZZNS1_27merge_sort_block_merge_implIS3_PS6_N6thrust23THRUST_200600_302600_NS10device_ptrIlEEmNSB_4lessIS6_EEEE10hipError_tT0_T1_T2_jT3_P12ihipStream_tbPNSt15iterator_traitsISH_E10value_typeEPNSN_ISI_E10value_typeEPSJ_NS1_7vsmem_tEENKUlT_SH_SI_SJ_E_clIS9_S9_PlSD_EESG_SW_SH_SI_SJ_EUlSW_E1_NS1_11comp_targetILNS1_3genE5ELNS1_11target_archE942ELNS1_3gpuE9ELNS1_3repE0EEENS1_36merge_oddeven_config_static_selectorELNS0_4arch9wavefront6targetE1EEEvSI_,"axG",@progbits,_ZN7rocprim17ROCPRIM_400000_NS6detail17trampoline_kernelINS0_14default_configENS1_38merge_sort_block_merge_config_selectorIN3c108BFloat16ElEEZZNS1_27merge_sort_block_merge_implIS3_PS6_N6thrust23THRUST_200600_302600_NS10device_ptrIlEEmNSB_4lessIS6_EEEE10hipError_tT0_T1_T2_jT3_P12ihipStream_tbPNSt15iterator_traitsISH_E10value_typeEPNSN_ISI_E10value_typeEPSJ_NS1_7vsmem_tEENKUlT_SH_SI_SJ_E_clIS9_S9_PlSD_EESG_SW_SH_SI_SJ_EUlSW_E1_NS1_11comp_targetILNS1_3genE5ELNS1_11target_archE942ELNS1_3gpuE9ELNS1_3repE0EEENS1_36merge_oddeven_config_static_selectorELNS0_4arch9wavefront6targetE1EEEvSI_,comdat
	.protected	_ZN7rocprim17ROCPRIM_400000_NS6detail17trampoline_kernelINS0_14default_configENS1_38merge_sort_block_merge_config_selectorIN3c108BFloat16ElEEZZNS1_27merge_sort_block_merge_implIS3_PS6_N6thrust23THRUST_200600_302600_NS10device_ptrIlEEmNSB_4lessIS6_EEEE10hipError_tT0_T1_T2_jT3_P12ihipStream_tbPNSt15iterator_traitsISH_E10value_typeEPNSN_ISI_E10value_typeEPSJ_NS1_7vsmem_tEENKUlT_SH_SI_SJ_E_clIS9_S9_PlSD_EESG_SW_SH_SI_SJ_EUlSW_E1_NS1_11comp_targetILNS1_3genE5ELNS1_11target_archE942ELNS1_3gpuE9ELNS1_3repE0EEENS1_36merge_oddeven_config_static_selectorELNS0_4arch9wavefront6targetE1EEEvSI_ ; -- Begin function _ZN7rocprim17ROCPRIM_400000_NS6detail17trampoline_kernelINS0_14default_configENS1_38merge_sort_block_merge_config_selectorIN3c108BFloat16ElEEZZNS1_27merge_sort_block_merge_implIS3_PS6_N6thrust23THRUST_200600_302600_NS10device_ptrIlEEmNSB_4lessIS6_EEEE10hipError_tT0_T1_T2_jT3_P12ihipStream_tbPNSt15iterator_traitsISH_E10value_typeEPNSN_ISI_E10value_typeEPSJ_NS1_7vsmem_tEENKUlT_SH_SI_SJ_E_clIS9_S9_PlSD_EESG_SW_SH_SI_SJ_EUlSW_E1_NS1_11comp_targetILNS1_3genE5ELNS1_11target_archE942ELNS1_3gpuE9ELNS1_3repE0EEENS1_36merge_oddeven_config_static_selectorELNS0_4arch9wavefront6targetE1EEEvSI_
	.globl	_ZN7rocprim17ROCPRIM_400000_NS6detail17trampoline_kernelINS0_14default_configENS1_38merge_sort_block_merge_config_selectorIN3c108BFloat16ElEEZZNS1_27merge_sort_block_merge_implIS3_PS6_N6thrust23THRUST_200600_302600_NS10device_ptrIlEEmNSB_4lessIS6_EEEE10hipError_tT0_T1_T2_jT3_P12ihipStream_tbPNSt15iterator_traitsISH_E10value_typeEPNSN_ISI_E10value_typeEPSJ_NS1_7vsmem_tEENKUlT_SH_SI_SJ_E_clIS9_S9_PlSD_EESG_SW_SH_SI_SJ_EUlSW_E1_NS1_11comp_targetILNS1_3genE5ELNS1_11target_archE942ELNS1_3gpuE9ELNS1_3repE0EEENS1_36merge_oddeven_config_static_selectorELNS0_4arch9wavefront6targetE1EEEvSI_
	.p2align	8
	.type	_ZN7rocprim17ROCPRIM_400000_NS6detail17trampoline_kernelINS0_14default_configENS1_38merge_sort_block_merge_config_selectorIN3c108BFloat16ElEEZZNS1_27merge_sort_block_merge_implIS3_PS6_N6thrust23THRUST_200600_302600_NS10device_ptrIlEEmNSB_4lessIS6_EEEE10hipError_tT0_T1_T2_jT3_P12ihipStream_tbPNSt15iterator_traitsISH_E10value_typeEPNSN_ISI_E10value_typeEPSJ_NS1_7vsmem_tEENKUlT_SH_SI_SJ_E_clIS9_S9_PlSD_EESG_SW_SH_SI_SJ_EUlSW_E1_NS1_11comp_targetILNS1_3genE5ELNS1_11target_archE942ELNS1_3gpuE9ELNS1_3repE0EEENS1_36merge_oddeven_config_static_selectorELNS0_4arch9wavefront6targetE1EEEvSI_,@function
_ZN7rocprim17ROCPRIM_400000_NS6detail17trampoline_kernelINS0_14default_configENS1_38merge_sort_block_merge_config_selectorIN3c108BFloat16ElEEZZNS1_27merge_sort_block_merge_implIS3_PS6_N6thrust23THRUST_200600_302600_NS10device_ptrIlEEmNSB_4lessIS6_EEEE10hipError_tT0_T1_T2_jT3_P12ihipStream_tbPNSt15iterator_traitsISH_E10value_typeEPNSN_ISI_E10value_typeEPSJ_NS1_7vsmem_tEENKUlT_SH_SI_SJ_E_clIS9_S9_PlSD_EESG_SW_SH_SI_SJ_EUlSW_E1_NS1_11comp_targetILNS1_3genE5ELNS1_11target_archE942ELNS1_3gpuE9ELNS1_3repE0EEENS1_36merge_oddeven_config_static_selectorELNS0_4arch9wavefront6targetE1EEEvSI_: ; @_ZN7rocprim17ROCPRIM_400000_NS6detail17trampoline_kernelINS0_14default_configENS1_38merge_sort_block_merge_config_selectorIN3c108BFloat16ElEEZZNS1_27merge_sort_block_merge_implIS3_PS6_N6thrust23THRUST_200600_302600_NS10device_ptrIlEEmNSB_4lessIS6_EEEE10hipError_tT0_T1_T2_jT3_P12ihipStream_tbPNSt15iterator_traitsISH_E10value_typeEPNSN_ISI_E10value_typeEPSJ_NS1_7vsmem_tEENKUlT_SH_SI_SJ_E_clIS9_S9_PlSD_EESG_SW_SH_SI_SJ_EUlSW_E1_NS1_11comp_targetILNS1_3genE5ELNS1_11target_archE942ELNS1_3gpuE9ELNS1_3repE0EEENS1_36merge_oddeven_config_static_selectorELNS0_4arch9wavefront6targetE1EEEvSI_
; %bb.0:
	.section	.rodata,"a",@progbits
	.p2align	6, 0x0
	.amdhsa_kernel _ZN7rocprim17ROCPRIM_400000_NS6detail17trampoline_kernelINS0_14default_configENS1_38merge_sort_block_merge_config_selectorIN3c108BFloat16ElEEZZNS1_27merge_sort_block_merge_implIS3_PS6_N6thrust23THRUST_200600_302600_NS10device_ptrIlEEmNSB_4lessIS6_EEEE10hipError_tT0_T1_T2_jT3_P12ihipStream_tbPNSt15iterator_traitsISH_E10value_typeEPNSN_ISI_E10value_typeEPSJ_NS1_7vsmem_tEENKUlT_SH_SI_SJ_E_clIS9_S9_PlSD_EESG_SW_SH_SI_SJ_EUlSW_E1_NS1_11comp_targetILNS1_3genE5ELNS1_11target_archE942ELNS1_3gpuE9ELNS1_3repE0EEENS1_36merge_oddeven_config_static_selectorELNS0_4arch9wavefront6targetE1EEEvSI_
		.amdhsa_group_segment_fixed_size 0
		.amdhsa_private_segment_fixed_size 0
		.amdhsa_kernarg_size 56
		.amdhsa_user_sgpr_count 6
		.amdhsa_user_sgpr_private_segment_buffer 1
		.amdhsa_user_sgpr_dispatch_ptr 0
		.amdhsa_user_sgpr_queue_ptr 0
		.amdhsa_user_sgpr_kernarg_segment_ptr 1
		.amdhsa_user_sgpr_dispatch_id 0
		.amdhsa_user_sgpr_flat_scratch_init 0
		.amdhsa_user_sgpr_private_segment_size 0
		.amdhsa_uses_dynamic_stack 0
		.amdhsa_system_sgpr_private_segment_wavefront_offset 0
		.amdhsa_system_sgpr_workgroup_id_x 1
		.amdhsa_system_sgpr_workgroup_id_y 0
		.amdhsa_system_sgpr_workgroup_id_z 0
		.amdhsa_system_sgpr_workgroup_info 0
		.amdhsa_system_vgpr_workitem_id 0
		.amdhsa_next_free_vgpr 1
		.amdhsa_next_free_sgpr 0
		.amdhsa_reserve_vcc 0
		.amdhsa_reserve_flat_scratch 0
		.amdhsa_float_round_mode_32 0
		.amdhsa_float_round_mode_16_64 0
		.amdhsa_float_denorm_mode_32 3
		.amdhsa_float_denorm_mode_16_64 3
		.amdhsa_dx10_clamp 1
		.amdhsa_ieee_mode 1
		.amdhsa_fp16_overflow 0
		.amdhsa_exception_fp_ieee_invalid_op 0
		.amdhsa_exception_fp_denorm_src 0
		.amdhsa_exception_fp_ieee_div_zero 0
		.amdhsa_exception_fp_ieee_overflow 0
		.amdhsa_exception_fp_ieee_underflow 0
		.amdhsa_exception_fp_ieee_inexact 0
		.amdhsa_exception_int_div_zero 0
	.end_amdhsa_kernel
	.section	.text._ZN7rocprim17ROCPRIM_400000_NS6detail17trampoline_kernelINS0_14default_configENS1_38merge_sort_block_merge_config_selectorIN3c108BFloat16ElEEZZNS1_27merge_sort_block_merge_implIS3_PS6_N6thrust23THRUST_200600_302600_NS10device_ptrIlEEmNSB_4lessIS6_EEEE10hipError_tT0_T1_T2_jT3_P12ihipStream_tbPNSt15iterator_traitsISH_E10value_typeEPNSN_ISI_E10value_typeEPSJ_NS1_7vsmem_tEENKUlT_SH_SI_SJ_E_clIS9_S9_PlSD_EESG_SW_SH_SI_SJ_EUlSW_E1_NS1_11comp_targetILNS1_3genE5ELNS1_11target_archE942ELNS1_3gpuE9ELNS1_3repE0EEENS1_36merge_oddeven_config_static_selectorELNS0_4arch9wavefront6targetE1EEEvSI_,"axG",@progbits,_ZN7rocprim17ROCPRIM_400000_NS6detail17trampoline_kernelINS0_14default_configENS1_38merge_sort_block_merge_config_selectorIN3c108BFloat16ElEEZZNS1_27merge_sort_block_merge_implIS3_PS6_N6thrust23THRUST_200600_302600_NS10device_ptrIlEEmNSB_4lessIS6_EEEE10hipError_tT0_T1_T2_jT3_P12ihipStream_tbPNSt15iterator_traitsISH_E10value_typeEPNSN_ISI_E10value_typeEPSJ_NS1_7vsmem_tEENKUlT_SH_SI_SJ_E_clIS9_S9_PlSD_EESG_SW_SH_SI_SJ_EUlSW_E1_NS1_11comp_targetILNS1_3genE5ELNS1_11target_archE942ELNS1_3gpuE9ELNS1_3repE0EEENS1_36merge_oddeven_config_static_selectorELNS0_4arch9wavefront6targetE1EEEvSI_,comdat
.Lfunc_end1996:
	.size	_ZN7rocprim17ROCPRIM_400000_NS6detail17trampoline_kernelINS0_14default_configENS1_38merge_sort_block_merge_config_selectorIN3c108BFloat16ElEEZZNS1_27merge_sort_block_merge_implIS3_PS6_N6thrust23THRUST_200600_302600_NS10device_ptrIlEEmNSB_4lessIS6_EEEE10hipError_tT0_T1_T2_jT3_P12ihipStream_tbPNSt15iterator_traitsISH_E10value_typeEPNSN_ISI_E10value_typeEPSJ_NS1_7vsmem_tEENKUlT_SH_SI_SJ_E_clIS9_S9_PlSD_EESG_SW_SH_SI_SJ_EUlSW_E1_NS1_11comp_targetILNS1_3genE5ELNS1_11target_archE942ELNS1_3gpuE9ELNS1_3repE0EEENS1_36merge_oddeven_config_static_selectorELNS0_4arch9wavefront6targetE1EEEvSI_, .Lfunc_end1996-_ZN7rocprim17ROCPRIM_400000_NS6detail17trampoline_kernelINS0_14default_configENS1_38merge_sort_block_merge_config_selectorIN3c108BFloat16ElEEZZNS1_27merge_sort_block_merge_implIS3_PS6_N6thrust23THRUST_200600_302600_NS10device_ptrIlEEmNSB_4lessIS6_EEEE10hipError_tT0_T1_T2_jT3_P12ihipStream_tbPNSt15iterator_traitsISH_E10value_typeEPNSN_ISI_E10value_typeEPSJ_NS1_7vsmem_tEENKUlT_SH_SI_SJ_E_clIS9_S9_PlSD_EESG_SW_SH_SI_SJ_EUlSW_E1_NS1_11comp_targetILNS1_3genE5ELNS1_11target_archE942ELNS1_3gpuE9ELNS1_3repE0EEENS1_36merge_oddeven_config_static_selectorELNS0_4arch9wavefront6targetE1EEEvSI_
                                        ; -- End function
	.set _ZN7rocprim17ROCPRIM_400000_NS6detail17trampoline_kernelINS0_14default_configENS1_38merge_sort_block_merge_config_selectorIN3c108BFloat16ElEEZZNS1_27merge_sort_block_merge_implIS3_PS6_N6thrust23THRUST_200600_302600_NS10device_ptrIlEEmNSB_4lessIS6_EEEE10hipError_tT0_T1_T2_jT3_P12ihipStream_tbPNSt15iterator_traitsISH_E10value_typeEPNSN_ISI_E10value_typeEPSJ_NS1_7vsmem_tEENKUlT_SH_SI_SJ_E_clIS9_S9_PlSD_EESG_SW_SH_SI_SJ_EUlSW_E1_NS1_11comp_targetILNS1_3genE5ELNS1_11target_archE942ELNS1_3gpuE9ELNS1_3repE0EEENS1_36merge_oddeven_config_static_selectorELNS0_4arch9wavefront6targetE1EEEvSI_.num_vgpr, 0
	.set _ZN7rocprim17ROCPRIM_400000_NS6detail17trampoline_kernelINS0_14default_configENS1_38merge_sort_block_merge_config_selectorIN3c108BFloat16ElEEZZNS1_27merge_sort_block_merge_implIS3_PS6_N6thrust23THRUST_200600_302600_NS10device_ptrIlEEmNSB_4lessIS6_EEEE10hipError_tT0_T1_T2_jT3_P12ihipStream_tbPNSt15iterator_traitsISH_E10value_typeEPNSN_ISI_E10value_typeEPSJ_NS1_7vsmem_tEENKUlT_SH_SI_SJ_E_clIS9_S9_PlSD_EESG_SW_SH_SI_SJ_EUlSW_E1_NS1_11comp_targetILNS1_3genE5ELNS1_11target_archE942ELNS1_3gpuE9ELNS1_3repE0EEENS1_36merge_oddeven_config_static_selectorELNS0_4arch9wavefront6targetE1EEEvSI_.num_agpr, 0
	.set _ZN7rocprim17ROCPRIM_400000_NS6detail17trampoline_kernelINS0_14default_configENS1_38merge_sort_block_merge_config_selectorIN3c108BFloat16ElEEZZNS1_27merge_sort_block_merge_implIS3_PS6_N6thrust23THRUST_200600_302600_NS10device_ptrIlEEmNSB_4lessIS6_EEEE10hipError_tT0_T1_T2_jT3_P12ihipStream_tbPNSt15iterator_traitsISH_E10value_typeEPNSN_ISI_E10value_typeEPSJ_NS1_7vsmem_tEENKUlT_SH_SI_SJ_E_clIS9_S9_PlSD_EESG_SW_SH_SI_SJ_EUlSW_E1_NS1_11comp_targetILNS1_3genE5ELNS1_11target_archE942ELNS1_3gpuE9ELNS1_3repE0EEENS1_36merge_oddeven_config_static_selectorELNS0_4arch9wavefront6targetE1EEEvSI_.numbered_sgpr, 0
	.set _ZN7rocprim17ROCPRIM_400000_NS6detail17trampoline_kernelINS0_14default_configENS1_38merge_sort_block_merge_config_selectorIN3c108BFloat16ElEEZZNS1_27merge_sort_block_merge_implIS3_PS6_N6thrust23THRUST_200600_302600_NS10device_ptrIlEEmNSB_4lessIS6_EEEE10hipError_tT0_T1_T2_jT3_P12ihipStream_tbPNSt15iterator_traitsISH_E10value_typeEPNSN_ISI_E10value_typeEPSJ_NS1_7vsmem_tEENKUlT_SH_SI_SJ_E_clIS9_S9_PlSD_EESG_SW_SH_SI_SJ_EUlSW_E1_NS1_11comp_targetILNS1_3genE5ELNS1_11target_archE942ELNS1_3gpuE9ELNS1_3repE0EEENS1_36merge_oddeven_config_static_selectorELNS0_4arch9wavefront6targetE1EEEvSI_.num_named_barrier, 0
	.set _ZN7rocprim17ROCPRIM_400000_NS6detail17trampoline_kernelINS0_14default_configENS1_38merge_sort_block_merge_config_selectorIN3c108BFloat16ElEEZZNS1_27merge_sort_block_merge_implIS3_PS6_N6thrust23THRUST_200600_302600_NS10device_ptrIlEEmNSB_4lessIS6_EEEE10hipError_tT0_T1_T2_jT3_P12ihipStream_tbPNSt15iterator_traitsISH_E10value_typeEPNSN_ISI_E10value_typeEPSJ_NS1_7vsmem_tEENKUlT_SH_SI_SJ_E_clIS9_S9_PlSD_EESG_SW_SH_SI_SJ_EUlSW_E1_NS1_11comp_targetILNS1_3genE5ELNS1_11target_archE942ELNS1_3gpuE9ELNS1_3repE0EEENS1_36merge_oddeven_config_static_selectorELNS0_4arch9wavefront6targetE1EEEvSI_.private_seg_size, 0
	.set _ZN7rocprim17ROCPRIM_400000_NS6detail17trampoline_kernelINS0_14default_configENS1_38merge_sort_block_merge_config_selectorIN3c108BFloat16ElEEZZNS1_27merge_sort_block_merge_implIS3_PS6_N6thrust23THRUST_200600_302600_NS10device_ptrIlEEmNSB_4lessIS6_EEEE10hipError_tT0_T1_T2_jT3_P12ihipStream_tbPNSt15iterator_traitsISH_E10value_typeEPNSN_ISI_E10value_typeEPSJ_NS1_7vsmem_tEENKUlT_SH_SI_SJ_E_clIS9_S9_PlSD_EESG_SW_SH_SI_SJ_EUlSW_E1_NS1_11comp_targetILNS1_3genE5ELNS1_11target_archE942ELNS1_3gpuE9ELNS1_3repE0EEENS1_36merge_oddeven_config_static_selectorELNS0_4arch9wavefront6targetE1EEEvSI_.uses_vcc, 0
	.set _ZN7rocprim17ROCPRIM_400000_NS6detail17trampoline_kernelINS0_14default_configENS1_38merge_sort_block_merge_config_selectorIN3c108BFloat16ElEEZZNS1_27merge_sort_block_merge_implIS3_PS6_N6thrust23THRUST_200600_302600_NS10device_ptrIlEEmNSB_4lessIS6_EEEE10hipError_tT0_T1_T2_jT3_P12ihipStream_tbPNSt15iterator_traitsISH_E10value_typeEPNSN_ISI_E10value_typeEPSJ_NS1_7vsmem_tEENKUlT_SH_SI_SJ_E_clIS9_S9_PlSD_EESG_SW_SH_SI_SJ_EUlSW_E1_NS1_11comp_targetILNS1_3genE5ELNS1_11target_archE942ELNS1_3gpuE9ELNS1_3repE0EEENS1_36merge_oddeven_config_static_selectorELNS0_4arch9wavefront6targetE1EEEvSI_.uses_flat_scratch, 0
	.set _ZN7rocprim17ROCPRIM_400000_NS6detail17trampoline_kernelINS0_14default_configENS1_38merge_sort_block_merge_config_selectorIN3c108BFloat16ElEEZZNS1_27merge_sort_block_merge_implIS3_PS6_N6thrust23THRUST_200600_302600_NS10device_ptrIlEEmNSB_4lessIS6_EEEE10hipError_tT0_T1_T2_jT3_P12ihipStream_tbPNSt15iterator_traitsISH_E10value_typeEPNSN_ISI_E10value_typeEPSJ_NS1_7vsmem_tEENKUlT_SH_SI_SJ_E_clIS9_S9_PlSD_EESG_SW_SH_SI_SJ_EUlSW_E1_NS1_11comp_targetILNS1_3genE5ELNS1_11target_archE942ELNS1_3gpuE9ELNS1_3repE0EEENS1_36merge_oddeven_config_static_selectorELNS0_4arch9wavefront6targetE1EEEvSI_.has_dyn_sized_stack, 0
	.set _ZN7rocprim17ROCPRIM_400000_NS6detail17trampoline_kernelINS0_14default_configENS1_38merge_sort_block_merge_config_selectorIN3c108BFloat16ElEEZZNS1_27merge_sort_block_merge_implIS3_PS6_N6thrust23THRUST_200600_302600_NS10device_ptrIlEEmNSB_4lessIS6_EEEE10hipError_tT0_T1_T2_jT3_P12ihipStream_tbPNSt15iterator_traitsISH_E10value_typeEPNSN_ISI_E10value_typeEPSJ_NS1_7vsmem_tEENKUlT_SH_SI_SJ_E_clIS9_S9_PlSD_EESG_SW_SH_SI_SJ_EUlSW_E1_NS1_11comp_targetILNS1_3genE5ELNS1_11target_archE942ELNS1_3gpuE9ELNS1_3repE0EEENS1_36merge_oddeven_config_static_selectorELNS0_4arch9wavefront6targetE1EEEvSI_.has_recursion, 0
	.set _ZN7rocprim17ROCPRIM_400000_NS6detail17trampoline_kernelINS0_14default_configENS1_38merge_sort_block_merge_config_selectorIN3c108BFloat16ElEEZZNS1_27merge_sort_block_merge_implIS3_PS6_N6thrust23THRUST_200600_302600_NS10device_ptrIlEEmNSB_4lessIS6_EEEE10hipError_tT0_T1_T2_jT3_P12ihipStream_tbPNSt15iterator_traitsISH_E10value_typeEPNSN_ISI_E10value_typeEPSJ_NS1_7vsmem_tEENKUlT_SH_SI_SJ_E_clIS9_S9_PlSD_EESG_SW_SH_SI_SJ_EUlSW_E1_NS1_11comp_targetILNS1_3genE5ELNS1_11target_archE942ELNS1_3gpuE9ELNS1_3repE0EEENS1_36merge_oddeven_config_static_selectorELNS0_4arch9wavefront6targetE1EEEvSI_.has_indirect_call, 0
	.section	.AMDGPU.csdata,"",@progbits
; Kernel info:
; codeLenInByte = 0
; TotalNumSgprs: 4
; NumVgprs: 0
; ScratchSize: 0
; MemoryBound: 0
; FloatMode: 240
; IeeeMode: 1
; LDSByteSize: 0 bytes/workgroup (compile time only)
; SGPRBlocks: 0
; VGPRBlocks: 0
; NumSGPRsForWavesPerEU: 4
; NumVGPRsForWavesPerEU: 1
; Occupancy: 10
; WaveLimiterHint : 0
; COMPUTE_PGM_RSRC2:SCRATCH_EN: 0
; COMPUTE_PGM_RSRC2:USER_SGPR: 6
; COMPUTE_PGM_RSRC2:TRAP_HANDLER: 0
; COMPUTE_PGM_RSRC2:TGID_X_EN: 1
; COMPUTE_PGM_RSRC2:TGID_Y_EN: 0
; COMPUTE_PGM_RSRC2:TGID_Z_EN: 0
; COMPUTE_PGM_RSRC2:TIDIG_COMP_CNT: 0
	.section	.text._ZN7rocprim17ROCPRIM_400000_NS6detail17trampoline_kernelINS0_14default_configENS1_38merge_sort_block_merge_config_selectorIN3c108BFloat16ElEEZZNS1_27merge_sort_block_merge_implIS3_PS6_N6thrust23THRUST_200600_302600_NS10device_ptrIlEEmNSB_4lessIS6_EEEE10hipError_tT0_T1_T2_jT3_P12ihipStream_tbPNSt15iterator_traitsISH_E10value_typeEPNSN_ISI_E10value_typeEPSJ_NS1_7vsmem_tEENKUlT_SH_SI_SJ_E_clIS9_S9_PlSD_EESG_SW_SH_SI_SJ_EUlSW_E1_NS1_11comp_targetILNS1_3genE4ELNS1_11target_archE910ELNS1_3gpuE8ELNS1_3repE0EEENS1_36merge_oddeven_config_static_selectorELNS0_4arch9wavefront6targetE1EEEvSI_,"axG",@progbits,_ZN7rocprim17ROCPRIM_400000_NS6detail17trampoline_kernelINS0_14default_configENS1_38merge_sort_block_merge_config_selectorIN3c108BFloat16ElEEZZNS1_27merge_sort_block_merge_implIS3_PS6_N6thrust23THRUST_200600_302600_NS10device_ptrIlEEmNSB_4lessIS6_EEEE10hipError_tT0_T1_T2_jT3_P12ihipStream_tbPNSt15iterator_traitsISH_E10value_typeEPNSN_ISI_E10value_typeEPSJ_NS1_7vsmem_tEENKUlT_SH_SI_SJ_E_clIS9_S9_PlSD_EESG_SW_SH_SI_SJ_EUlSW_E1_NS1_11comp_targetILNS1_3genE4ELNS1_11target_archE910ELNS1_3gpuE8ELNS1_3repE0EEENS1_36merge_oddeven_config_static_selectorELNS0_4arch9wavefront6targetE1EEEvSI_,comdat
	.protected	_ZN7rocprim17ROCPRIM_400000_NS6detail17trampoline_kernelINS0_14default_configENS1_38merge_sort_block_merge_config_selectorIN3c108BFloat16ElEEZZNS1_27merge_sort_block_merge_implIS3_PS6_N6thrust23THRUST_200600_302600_NS10device_ptrIlEEmNSB_4lessIS6_EEEE10hipError_tT0_T1_T2_jT3_P12ihipStream_tbPNSt15iterator_traitsISH_E10value_typeEPNSN_ISI_E10value_typeEPSJ_NS1_7vsmem_tEENKUlT_SH_SI_SJ_E_clIS9_S9_PlSD_EESG_SW_SH_SI_SJ_EUlSW_E1_NS1_11comp_targetILNS1_3genE4ELNS1_11target_archE910ELNS1_3gpuE8ELNS1_3repE0EEENS1_36merge_oddeven_config_static_selectorELNS0_4arch9wavefront6targetE1EEEvSI_ ; -- Begin function _ZN7rocprim17ROCPRIM_400000_NS6detail17trampoline_kernelINS0_14default_configENS1_38merge_sort_block_merge_config_selectorIN3c108BFloat16ElEEZZNS1_27merge_sort_block_merge_implIS3_PS6_N6thrust23THRUST_200600_302600_NS10device_ptrIlEEmNSB_4lessIS6_EEEE10hipError_tT0_T1_T2_jT3_P12ihipStream_tbPNSt15iterator_traitsISH_E10value_typeEPNSN_ISI_E10value_typeEPSJ_NS1_7vsmem_tEENKUlT_SH_SI_SJ_E_clIS9_S9_PlSD_EESG_SW_SH_SI_SJ_EUlSW_E1_NS1_11comp_targetILNS1_3genE4ELNS1_11target_archE910ELNS1_3gpuE8ELNS1_3repE0EEENS1_36merge_oddeven_config_static_selectorELNS0_4arch9wavefront6targetE1EEEvSI_
	.globl	_ZN7rocprim17ROCPRIM_400000_NS6detail17trampoline_kernelINS0_14default_configENS1_38merge_sort_block_merge_config_selectorIN3c108BFloat16ElEEZZNS1_27merge_sort_block_merge_implIS3_PS6_N6thrust23THRUST_200600_302600_NS10device_ptrIlEEmNSB_4lessIS6_EEEE10hipError_tT0_T1_T2_jT3_P12ihipStream_tbPNSt15iterator_traitsISH_E10value_typeEPNSN_ISI_E10value_typeEPSJ_NS1_7vsmem_tEENKUlT_SH_SI_SJ_E_clIS9_S9_PlSD_EESG_SW_SH_SI_SJ_EUlSW_E1_NS1_11comp_targetILNS1_3genE4ELNS1_11target_archE910ELNS1_3gpuE8ELNS1_3repE0EEENS1_36merge_oddeven_config_static_selectorELNS0_4arch9wavefront6targetE1EEEvSI_
	.p2align	8
	.type	_ZN7rocprim17ROCPRIM_400000_NS6detail17trampoline_kernelINS0_14default_configENS1_38merge_sort_block_merge_config_selectorIN3c108BFloat16ElEEZZNS1_27merge_sort_block_merge_implIS3_PS6_N6thrust23THRUST_200600_302600_NS10device_ptrIlEEmNSB_4lessIS6_EEEE10hipError_tT0_T1_T2_jT3_P12ihipStream_tbPNSt15iterator_traitsISH_E10value_typeEPNSN_ISI_E10value_typeEPSJ_NS1_7vsmem_tEENKUlT_SH_SI_SJ_E_clIS9_S9_PlSD_EESG_SW_SH_SI_SJ_EUlSW_E1_NS1_11comp_targetILNS1_3genE4ELNS1_11target_archE910ELNS1_3gpuE8ELNS1_3repE0EEENS1_36merge_oddeven_config_static_selectorELNS0_4arch9wavefront6targetE1EEEvSI_,@function
_ZN7rocprim17ROCPRIM_400000_NS6detail17trampoline_kernelINS0_14default_configENS1_38merge_sort_block_merge_config_selectorIN3c108BFloat16ElEEZZNS1_27merge_sort_block_merge_implIS3_PS6_N6thrust23THRUST_200600_302600_NS10device_ptrIlEEmNSB_4lessIS6_EEEE10hipError_tT0_T1_T2_jT3_P12ihipStream_tbPNSt15iterator_traitsISH_E10value_typeEPNSN_ISI_E10value_typeEPSJ_NS1_7vsmem_tEENKUlT_SH_SI_SJ_E_clIS9_S9_PlSD_EESG_SW_SH_SI_SJ_EUlSW_E1_NS1_11comp_targetILNS1_3genE4ELNS1_11target_archE910ELNS1_3gpuE8ELNS1_3repE0EEENS1_36merge_oddeven_config_static_selectorELNS0_4arch9wavefront6targetE1EEEvSI_: ; @_ZN7rocprim17ROCPRIM_400000_NS6detail17trampoline_kernelINS0_14default_configENS1_38merge_sort_block_merge_config_selectorIN3c108BFloat16ElEEZZNS1_27merge_sort_block_merge_implIS3_PS6_N6thrust23THRUST_200600_302600_NS10device_ptrIlEEmNSB_4lessIS6_EEEE10hipError_tT0_T1_T2_jT3_P12ihipStream_tbPNSt15iterator_traitsISH_E10value_typeEPNSN_ISI_E10value_typeEPSJ_NS1_7vsmem_tEENKUlT_SH_SI_SJ_E_clIS9_S9_PlSD_EESG_SW_SH_SI_SJ_EUlSW_E1_NS1_11comp_targetILNS1_3genE4ELNS1_11target_archE910ELNS1_3gpuE8ELNS1_3repE0EEENS1_36merge_oddeven_config_static_selectorELNS0_4arch9wavefront6targetE1EEEvSI_
; %bb.0:
	.section	.rodata,"a",@progbits
	.p2align	6, 0x0
	.amdhsa_kernel _ZN7rocprim17ROCPRIM_400000_NS6detail17trampoline_kernelINS0_14default_configENS1_38merge_sort_block_merge_config_selectorIN3c108BFloat16ElEEZZNS1_27merge_sort_block_merge_implIS3_PS6_N6thrust23THRUST_200600_302600_NS10device_ptrIlEEmNSB_4lessIS6_EEEE10hipError_tT0_T1_T2_jT3_P12ihipStream_tbPNSt15iterator_traitsISH_E10value_typeEPNSN_ISI_E10value_typeEPSJ_NS1_7vsmem_tEENKUlT_SH_SI_SJ_E_clIS9_S9_PlSD_EESG_SW_SH_SI_SJ_EUlSW_E1_NS1_11comp_targetILNS1_3genE4ELNS1_11target_archE910ELNS1_3gpuE8ELNS1_3repE0EEENS1_36merge_oddeven_config_static_selectorELNS0_4arch9wavefront6targetE1EEEvSI_
		.amdhsa_group_segment_fixed_size 0
		.amdhsa_private_segment_fixed_size 0
		.amdhsa_kernarg_size 56
		.amdhsa_user_sgpr_count 6
		.amdhsa_user_sgpr_private_segment_buffer 1
		.amdhsa_user_sgpr_dispatch_ptr 0
		.amdhsa_user_sgpr_queue_ptr 0
		.amdhsa_user_sgpr_kernarg_segment_ptr 1
		.amdhsa_user_sgpr_dispatch_id 0
		.amdhsa_user_sgpr_flat_scratch_init 0
		.amdhsa_user_sgpr_private_segment_size 0
		.amdhsa_uses_dynamic_stack 0
		.amdhsa_system_sgpr_private_segment_wavefront_offset 0
		.amdhsa_system_sgpr_workgroup_id_x 1
		.amdhsa_system_sgpr_workgroup_id_y 0
		.amdhsa_system_sgpr_workgroup_id_z 0
		.amdhsa_system_sgpr_workgroup_info 0
		.amdhsa_system_vgpr_workitem_id 0
		.amdhsa_next_free_vgpr 1
		.amdhsa_next_free_sgpr 0
		.amdhsa_reserve_vcc 0
		.amdhsa_reserve_flat_scratch 0
		.amdhsa_float_round_mode_32 0
		.amdhsa_float_round_mode_16_64 0
		.amdhsa_float_denorm_mode_32 3
		.amdhsa_float_denorm_mode_16_64 3
		.amdhsa_dx10_clamp 1
		.amdhsa_ieee_mode 1
		.amdhsa_fp16_overflow 0
		.amdhsa_exception_fp_ieee_invalid_op 0
		.amdhsa_exception_fp_denorm_src 0
		.amdhsa_exception_fp_ieee_div_zero 0
		.amdhsa_exception_fp_ieee_overflow 0
		.amdhsa_exception_fp_ieee_underflow 0
		.amdhsa_exception_fp_ieee_inexact 0
		.amdhsa_exception_int_div_zero 0
	.end_amdhsa_kernel
	.section	.text._ZN7rocprim17ROCPRIM_400000_NS6detail17trampoline_kernelINS0_14default_configENS1_38merge_sort_block_merge_config_selectorIN3c108BFloat16ElEEZZNS1_27merge_sort_block_merge_implIS3_PS6_N6thrust23THRUST_200600_302600_NS10device_ptrIlEEmNSB_4lessIS6_EEEE10hipError_tT0_T1_T2_jT3_P12ihipStream_tbPNSt15iterator_traitsISH_E10value_typeEPNSN_ISI_E10value_typeEPSJ_NS1_7vsmem_tEENKUlT_SH_SI_SJ_E_clIS9_S9_PlSD_EESG_SW_SH_SI_SJ_EUlSW_E1_NS1_11comp_targetILNS1_3genE4ELNS1_11target_archE910ELNS1_3gpuE8ELNS1_3repE0EEENS1_36merge_oddeven_config_static_selectorELNS0_4arch9wavefront6targetE1EEEvSI_,"axG",@progbits,_ZN7rocprim17ROCPRIM_400000_NS6detail17trampoline_kernelINS0_14default_configENS1_38merge_sort_block_merge_config_selectorIN3c108BFloat16ElEEZZNS1_27merge_sort_block_merge_implIS3_PS6_N6thrust23THRUST_200600_302600_NS10device_ptrIlEEmNSB_4lessIS6_EEEE10hipError_tT0_T1_T2_jT3_P12ihipStream_tbPNSt15iterator_traitsISH_E10value_typeEPNSN_ISI_E10value_typeEPSJ_NS1_7vsmem_tEENKUlT_SH_SI_SJ_E_clIS9_S9_PlSD_EESG_SW_SH_SI_SJ_EUlSW_E1_NS1_11comp_targetILNS1_3genE4ELNS1_11target_archE910ELNS1_3gpuE8ELNS1_3repE0EEENS1_36merge_oddeven_config_static_selectorELNS0_4arch9wavefront6targetE1EEEvSI_,comdat
.Lfunc_end1997:
	.size	_ZN7rocprim17ROCPRIM_400000_NS6detail17trampoline_kernelINS0_14default_configENS1_38merge_sort_block_merge_config_selectorIN3c108BFloat16ElEEZZNS1_27merge_sort_block_merge_implIS3_PS6_N6thrust23THRUST_200600_302600_NS10device_ptrIlEEmNSB_4lessIS6_EEEE10hipError_tT0_T1_T2_jT3_P12ihipStream_tbPNSt15iterator_traitsISH_E10value_typeEPNSN_ISI_E10value_typeEPSJ_NS1_7vsmem_tEENKUlT_SH_SI_SJ_E_clIS9_S9_PlSD_EESG_SW_SH_SI_SJ_EUlSW_E1_NS1_11comp_targetILNS1_3genE4ELNS1_11target_archE910ELNS1_3gpuE8ELNS1_3repE0EEENS1_36merge_oddeven_config_static_selectorELNS0_4arch9wavefront6targetE1EEEvSI_, .Lfunc_end1997-_ZN7rocprim17ROCPRIM_400000_NS6detail17trampoline_kernelINS0_14default_configENS1_38merge_sort_block_merge_config_selectorIN3c108BFloat16ElEEZZNS1_27merge_sort_block_merge_implIS3_PS6_N6thrust23THRUST_200600_302600_NS10device_ptrIlEEmNSB_4lessIS6_EEEE10hipError_tT0_T1_T2_jT3_P12ihipStream_tbPNSt15iterator_traitsISH_E10value_typeEPNSN_ISI_E10value_typeEPSJ_NS1_7vsmem_tEENKUlT_SH_SI_SJ_E_clIS9_S9_PlSD_EESG_SW_SH_SI_SJ_EUlSW_E1_NS1_11comp_targetILNS1_3genE4ELNS1_11target_archE910ELNS1_3gpuE8ELNS1_3repE0EEENS1_36merge_oddeven_config_static_selectorELNS0_4arch9wavefront6targetE1EEEvSI_
                                        ; -- End function
	.set _ZN7rocprim17ROCPRIM_400000_NS6detail17trampoline_kernelINS0_14default_configENS1_38merge_sort_block_merge_config_selectorIN3c108BFloat16ElEEZZNS1_27merge_sort_block_merge_implIS3_PS6_N6thrust23THRUST_200600_302600_NS10device_ptrIlEEmNSB_4lessIS6_EEEE10hipError_tT0_T1_T2_jT3_P12ihipStream_tbPNSt15iterator_traitsISH_E10value_typeEPNSN_ISI_E10value_typeEPSJ_NS1_7vsmem_tEENKUlT_SH_SI_SJ_E_clIS9_S9_PlSD_EESG_SW_SH_SI_SJ_EUlSW_E1_NS1_11comp_targetILNS1_3genE4ELNS1_11target_archE910ELNS1_3gpuE8ELNS1_3repE0EEENS1_36merge_oddeven_config_static_selectorELNS0_4arch9wavefront6targetE1EEEvSI_.num_vgpr, 0
	.set _ZN7rocprim17ROCPRIM_400000_NS6detail17trampoline_kernelINS0_14default_configENS1_38merge_sort_block_merge_config_selectorIN3c108BFloat16ElEEZZNS1_27merge_sort_block_merge_implIS3_PS6_N6thrust23THRUST_200600_302600_NS10device_ptrIlEEmNSB_4lessIS6_EEEE10hipError_tT0_T1_T2_jT3_P12ihipStream_tbPNSt15iterator_traitsISH_E10value_typeEPNSN_ISI_E10value_typeEPSJ_NS1_7vsmem_tEENKUlT_SH_SI_SJ_E_clIS9_S9_PlSD_EESG_SW_SH_SI_SJ_EUlSW_E1_NS1_11comp_targetILNS1_3genE4ELNS1_11target_archE910ELNS1_3gpuE8ELNS1_3repE0EEENS1_36merge_oddeven_config_static_selectorELNS0_4arch9wavefront6targetE1EEEvSI_.num_agpr, 0
	.set _ZN7rocprim17ROCPRIM_400000_NS6detail17trampoline_kernelINS0_14default_configENS1_38merge_sort_block_merge_config_selectorIN3c108BFloat16ElEEZZNS1_27merge_sort_block_merge_implIS3_PS6_N6thrust23THRUST_200600_302600_NS10device_ptrIlEEmNSB_4lessIS6_EEEE10hipError_tT0_T1_T2_jT3_P12ihipStream_tbPNSt15iterator_traitsISH_E10value_typeEPNSN_ISI_E10value_typeEPSJ_NS1_7vsmem_tEENKUlT_SH_SI_SJ_E_clIS9_S9_PlSD_EESG_SW_SH_SI_SJ_EUlSW_E1_NS1_11comp_targetILNS1_3genE4ELNS1_11target_archE910ELNS1_3gpuE8ELNS1_3repE0EEENS1_36merge_oddeven_config_static_selectorELNS0_4arch9wavefront6targetE1EEEvSI_.numbered_sgpr, 0
	.set _ZN7rocprim17ROCPRIM_400000_NS6detail17trampoline_kernelINS0_14default_configENS1_38merge_sort_block_merge_config_selectorIN3c108BFloat16ElEEZZNS1_27merge_sort_block_merge_implIS3_PS6_N6thrust23THRUST_200600_302600_NS10device_ptrIlEEmNSB_4lessIS6_EEEE10hipError_tT0_T1_T2_jT3_P12ihipStream_tbPNSt15iterator_traitsISH_E10value_typeEPNSN_ISI_E10value_typeEPSJ_NS1_7vsmem_tEENKUlT_SH_SI_SJ_E_clIS9_S9_PlSD_EESG_SW_SH_SI_SJ_EUlSW_E1_NS1_11comp_targetILNS1_3genE4ELNS1_11target_archE910ELNS1_3gpuE8ELNS1_3repE0EEENS1_36merge_oddeven_config_static_selectorELNS0_4arch9wavefront6targetE1EEEvSI_.num_named_barrier, 0
	.set _ZN7rocprim17ROCPRIM_400000_NS6detail17trampoline_kernelINS0_14default_configENS1_38merge_sort_block_merge_config_selectorIN3c108BFloat16ElEEZZNS1_27merge_sort_block_merge_implIS3_PS6_N6thrust23THRUST_200600_302600_NS10device_ptrIlEEmNSB_4lessIS6_EEEE10hipError_tT0_T1_T2_jT3_P12ihipStream_tbPNSt15iterator_traitsISH_E10value_typeEPNSN_ISI_E10value_typeEPSJ_NS1_7vsmem_tEENKUlT_SH_SI_SJ_E_clIS9_S9_PlSD_EESG_SW_SH_SI_SJ_EUlSW_E1_NS1_11comp_targetILNS1_3genE4ELNS1_11target_archE910ELNS1_3gpuE8ELNS1_3repE0EEENS1_36merge_oddeven_config_static_selectorELNS0_4arch9wavefront6targetE1EEEvSI_.private_seg_size, 0
	.set _ZN7rocprim17ROCPRIM_400000_NS6detail17trampoline_kernelINS0_14default_configENS1_38merge_sort_block_merge_config_selectorIN3c108BFloat16ElEEZZNS1_27merge_sort_block_merge_implIS3_PS6_N6thrust23THRUST_200600_302600_NS10device_ptrIlEEmNSB_4lessIS6_EEEE10hipError_tT0_T1_T2_jT3_P12ihipStream_tbPNSt15iterator_traitsISH_E10value_typeEPNSN_ISI_E10value_typeEPSJ_NS1_7vsmem_tEENKUlT_SH_SI_SJ_E_clIS9_S9_PlSD_EESG_SW_SH_SI_SJ_EUlSW_E1_NS1_11comp_targetILNS1_3genE4ELNS1_11target_archE910ELNS1_3gpuE8ELNS1_3repE0EEENS1_36merge_oddeven_config_static_selectorELNS0_4arch9wavefront6targetE1EEEvSI_.uses_vcc, 0
	.set _ZN7rocprim17ROCPRIM_400000_NS6detail17trampoline_kernelINS0_14default_configENS1_38merge_sort_block_merge_config_selectorIN3c108BFloat16ElEEZZNS1_27merge_sort_block_merge_implIS3_PS6_N6thrust23THRUST_200600_302600_NS10device_ptrIlEEmNSB_4lessIS6_EEEE10hipError_tT0_T1_T2_jT3_P12ihipStream_tbPNSt15iterator_traitsISH_E10value_typeEPNSN_ISI_E10value_typeEPSJ_NS1_7vsmem_tEENKUlT_SH_SI_SJ_E_clIS9_S9_PlSD_EESG_SW_SH_SI_SJ_EUlSW_E1_NS1_11comp_targetILNS1_3genE4ELNS1_11target_archE910ELNS1_3gpuE8ELNS1_3repE0EEENS1_36merge_oddeven_config_static_selectorELNS0_4arch9wavefront6targetE1EEEvSI_.uses_flat_scratch, 0
	.set _ZN7rocprim17ROCPRIM_400000_NS6detail17trampoline_kernelINS0_14default_configENS1_38merge_sort_block_merge_config_selectorIN3c108BFloat16ElEEZZNS1_27merge_sort_block_merge_implIS3_PS6_N6thrust23THRUST_200600_302600_NS10device_ptrIlEEmNSB_4lessIS6_EEEE10hipError_tT0_T1_T2_jT3_P12ihipStream_tbPNSt15iterator_traitsISH_E10value_typeEPNSN_ISI_E10value_typeEPSJ_NS1_7vsmem_tEENKUlT_SH_SI_SJ_E_clIS9_S9_PlSD_EESG_SW_SH_SI_SJ_EUlSW_E1_NS1_11comp_targetILNS1_3genE4ELNS1_11target_archE910ELNS1_3gpuE8ELNS1_3repE0EEENS1_36merge_oddeven_config_static_selectorELNS0_4arch9wavefront6targetE1EEEvSI_.has_dyn_sized_stack, 0
	.set _ZN7rocprim17ROCPRIM_400000_NS6detail17trampoline_kernelINS0_14default_configENS1_38merge_sort_block_merge_config_selectorIN3c108BFloat16ElEEZZNS1_27merge_sort_block_merge_implIS3_PS6_N6thrust23THRUST_200600_302600_NS10device_ptrIlEEmNSB_4lessIS6_EEEE10hipError_tT0_T1_T2_jT3_P12ihipStream_tbPNSt15iterator_traitsISH_E10value_typeEPNSN_ISI_E10value_typeEPSJ_NS1_7vsmem_tEENKUlT_SH_SI_SJ_E_clIS9_S9_PlSD_EESG_SW_SH_SI_SJ_EUlSW_E1_NS1_11comp_targetILNS1_3genE4ELNS1_11target_archE910ELNS1_3gpuE8ELNS1_3repE0EEENS1_36merge_oddeven_config_static_selectorELNS0_4arch9wavefront6targetE1EEEvSI_.has_recursion, 0
	.set _ZN7rocprim17ROCPRIM_400000_NS6detail17trampoline_kernelINS0_14default_configENS1_38merge_sort_block_merge_config_selectorIN3c108BFloat16ElEEZZNS1_27merge_sort_block_merge_implIS3_PS6_N6thrust23THRUST_200600_302600_NS10device_ptrIlEEmNSB_4lessIS6_EEEE10hipError_tT0_T1_T2_jT3_P12ihipStream_tbPNSt15iterator_traitsISH_E10value_typeEPNSN_ISI_E10value_typeEPSJ_NS1_7vsmem_tEENKUlT_SH_SI_SJ_E_clIS9_S9_PlSD_EESG_SW_SH_SI_SJ_EUlSW_E1_NS1_11comp_targetILNS1_3genE4ELNS1_11target_archE910ELNS1_3gpuE8ELNS1_3repE0EEENS1_36merge_oddeven_config_static_selectorELNS0_4arch9wavefront6targetE1EEEvSI_.has_indirect_call, 0
	.section	.AMDGPU.csdata,"",@progbits
; Kernel info:
; codeLenInByte = 0
; TotalNumSgprs: 4
; NumVgprs: 0
; ScratchSize: 0
; MemoryBound: 0
; FloatMode: 240
; IeeeMode: 1
; LDSByteSize: 0 bytes/workgroup (compile time only)
; SGPRBlocks: 0
; VGPRBlocks: 0
; NumSGPRsForWavesPerEU: 4
; NumVGPRsForWavesPerEU: 1
; Occupancy: 10
; WaveLimiterHint : 0
; COMPUTE_PGM_RSRC2:SCRATCH_EN: 0
; COMPUTE_PGM_RSRC2:USER_SGPR: 6
; COMPUTE_PGM_RSRC2:TRAP_HANDLER: 0
; COMPUTE_PGM_RSRC2:TGID_X_EN: 1
; COMPUTE_PGM_RSRC2:TGID_Y_EN: 0
; COMPUTE_PGM_RSRC2:TGID_Z_EN: 0
; COMPUTE_PGM_RSRC2:TIDIG_COMP_CNT: 0
	.section	.text._ZN7rocprim17ROCPRIM_400000_NS6detail17trampoline_kernelINS0_14default_configENS1_38merge_sort_block_merge_config_selectorIN3c108BFloat16ElEEZZNS1_27merge_sort_block_merge_implIS3_PS6_N6thrust23THRUST_200600_302600_NS10device_ptrIlEEmNSB_4lessIS6_EEEE10hipError_tT0_T1_T2_jT3_P12ihipStream_tbPNSt15iterator_traitsISH_E10value_typeEPNSN_ISI_E10value_typeEPSJ_NS1_7vsmem_tEENKUlT_SH_SI_SJ_E_clIS9_S9_PlSD_EESG_SW_SH_SI_SJ_EUlSW_E1_NS1_11comp_targetILNS1_3genE3ELNS1_11target_archE908ELNS1_3gpuE7ELNS1_3repE0EEENS1_36merge_oddeven_config_static_selectorELNS0_4arch9wavefront6targetE1EEEvSI_,"axG",@progbits,_ZN7rocprim17ROCPRIM_400000_NS6detail17trampoline_kernelINS0_14default_configENS1_38merge_sort_block_merge_config_selectorIN3c108BFloat16ElEEZZNS1_27merge_sort_block_merge_implIS3_PS6_N6thrust23THRUST_200600_302600_NS10device_ptrIlEEmNSB_4lessIS6_EEEE10hipError_tT0_T1_T2_jT3_P12ihipStream_tbPNSt15iterator_traitsISH_E10value_typeEPNSN_ISI_E10value_typeEPSJ_NS1_7vsmem_tEENKUlT_SH_SI_SJ_E_clIS9_S9_PlSD_EESG_SW_SH_SI_SJ_EUlSW_E1_NS1_11comp_targetILNS1_3genE3ELNS1_11target_archE908ELNS1_3gpuE7ELNS1_3repE0EEENS1_36merge_oddeven_config_static_selectorELNS0_4arch9wavefront6targetE1EEEvSI_,comdat
	.protected	_ZN7rocprim17ROCPRIM_400000_NS6detail17trampoline_kernelINS0_14default_configENS1_38merge_sort_block_merge_config_selectorIN3c108BFloat16ElEEZZNS1_27merge_sort_block_merge_implIS3_PS6_N6thrust23THRUST_200600_302600_NS10device_ptrIlEEmNSB_4lessIS6_EEEE10hipError_tT0_T1_T2_jT3_P12ihipStream_tbPNSt15iterator_traitsISH_E10value_typeEPNSN_ISI_E10value_typeEPSJ_NS1_7vsmem_tEENKUlT_SH_SI_SJ_E_clIS9_S9_PlSD_EESG_SW_SH_SI_SJ_EUlSW_E1_NS1_11comp_targetILNS1_3genE3ELNS1_11target_archE908ELNS1_3gpuE7ELNS1_3repE0EEENS1_36merge_oddeven_config_static_selectorELNS0_4arch9wavefront6targetE1EEEvSI_ ; -- Begin function _ZN7rocprim17ROCPRIM_400000_NS6detail17trampoline_kernelINS0_14default_configENS1_38merge_sort_block_merge_config_selectorIN3c108BFloat16ElEEZZNS1_27merge_sort_block_merge_implIS3_PS6_N6thrust23THRUST_200600_302600_NS10device_ptrIlEEmNSB_4lessIS6_EEEE10hipError_tT0_T1_T2_jT3_P12ihipStream_tbPNSt15iterator_traitsISH_E10value_typeEPNSN_ISI_E10value_typeEPSJ_NS1_7vsmem_tEENKUlT_SH_SI_SJ_E_clIS9_S9_PlSD_EESG_SW_SH_SI_SJ_EUlSW_E1_NS1_11comp_targetILNS1_3genE3ELNS1_11target_archE908ELNS1_3gpuE7ELNS1_3repE0EEENS1_36merge_oddeven_config_static_selectorELNS0_4arch9wavefront6targetE1EEEvSI_
	.globl	_ZN7rocprim17ROCPRIM_400000_NS6detail17trampoline_kernelINS0_14default_configENS1_38merge_sort_block_merge_config_selectorIN3c108BFloat16ElEEZZNS1_27merge_sort_block_merge_implIS3_PS6_N6thrust23THRUST_200600_302600_NS10device_ptrIlEEmNSB_4lessIS6_EEEE10hipError_tT0_T1_T2_jT3_P12ihipStream_tbPNSt15iterator_traitsISH_E10value_typeEPNSN_ISI_E10value_typeEPSJ_NS1_7vsmem_tEENKUlT_SH_SI_SJ_E_clIS9_S9_PlSD_EESG_SW_SH_SI_SJ_EUlSW_E1_NS1_11comp_targetILNS1_3genE3ELNS1_11target_archE908ELNS1_3gpuE7ELNS1_3repE0EEENS1_36merge_oddeven_config_static_selectorELNS0_4arch9wavefront6targetE1EEEvSI_
	.p2align	8
	.type	_ZN7rocprim17ROCPRIM_400000_NS6detail17trampoline_kernelINS0_14default_configENS1_38merge_sort_block_merge_config_selectorIN3c108BFloat16ElEEZZNS1_27merge_sort_block_merge_implIS3_PS6_N6thrust23THRUST_200600_302600_NS10device_ptrIlEEmNSB_4lessIS6_EEEE10hipError_tT0_T1_T2_jT3_P12ihipStream_tbPNSt15iterator_traitsISH_E10value_typeEPNSN_ISI_E10value_typeEPSJ_NS1_7vsmem_tEENKUlT_SH_SI_SJ_E_clIS9_S9_PlSD_EESG_SW_SH_SI_SJ_EUlSW_E1_NS1_11comp_targetILNS1_3genE3ELNS1_11target_archE908ELNS1_3gpuE7ELNS1_3repE0EEENS1_36merge_oddeven_config_static_selectorELNS0_4arch9wavefront6targetE1EEEvSI_,@function
_ZN7rocprim17ROCPRIM_400000_NS6detail17trampoline_kernelINS0_14default_configENS1_38merge_sort_block_merge_config_selectorIN3c108BFloat16ElEEZZNS1_27merge_sort_block_merge_implIS3_PS6_N6thrust23THRUST_200600_302600_NS10device_ptrIlEEmNSB_4lessIS6_EEEE10hipError_tT0_T1_T2_jT3_P12ihipStream_tbPNSt15iterator_traitsISH_E10value_typeEPNSN_ISI_E10value_typeEPSJ_NS1_7vsmem_tEENKUlT_SH_SI_SJ_E_clIS9_S9_PlSD_EESG_SW_SH_SI_SJ_EUlSW_E1_NS1_11comp_targetILNS1_3genE3ELNS1_11target_archE908ELNS1_3gpuE7ELNS1_3repE0EEENS1_36merge_oddeven_config_static_selectorELNS0_4arch9wavefront6targetE1EEEvSI_: ; @_ZN7rocprim17ROCPRIM_400000_NS6detail17trampoline_kernelINS0_14default_configENS1_38merge_sort_block_merge_config_selectorIN3c108BFloat16ElEEZZNS1_27merge_sort_block_merge_implIS3_PS6_N6thrust23THRUST_200600_302600_NS10device_ptrIlEEmNSB_4lessIS6_EEEE10hipError_tT0_T1_T2_jT3_P12ihipStream_tbPNSt15iterator_traitsISH_E10value_typeEPNSN_ISI_E10value_typeEPSJ_NS1_7vsmem_tEENKUlT_SH_SI_SJ_E_clIS9_S9_PlSD_EESG_SW_SH_SI_SJ_EUlSW_E1_NS1_11comp_targetILNS1_3genE3ELNS1_11target_archE908ELNS1_3gpuE7ELNS1_3repE0EEENS1_36merge_oddeven_config_static_selectorELNS0_4arch9wavefront6targetE1EEEvSI_
; %bb.0:
	.section	.rodata,"a",@progbits
	.p2align	6, 0x0
	.amdhsa_kernel _ZN7rocprim17ROCPRIM_400000_NS6detail17trampoline_kernelINS0_14default_configENS1_38merge_sort_block_merge_config_selectorIN3c108BFloat16ElEEZZNS1_27merge_sort_block_merge_implIS3_PS6_N6thrust23THRUST_200600_302600_NS10device_ptrIlEEmNSB_4lessIS6_EEEE10hipError_tT0_T1_T2_jT3_P12ihipStream_tbPNSt15iterator_traitsISH_E10value_typeEPNSN_ISI_E10value_typeEPSJ_NS1_7vsmem_tEENKUlT_SH_SI_SJ_E_clIS9_S9_PlSD_EESG_SW_SH_SI_SJ_EUlSW_E1_NS1_11comp_targetILNS1_3genE3ELNS1_11target_archE908ELNS1_3gpuE7ELNS1_3repE0EEENS1_36merge_oddeven_config_static_selectorELNS0_4arch9wavefront6targetE1EEEvSI_
		.amdhsa_group_segment_fixed_size 0
		.amdhsa_private_segment_fixed_size 0
		.amdhsa_kernarg_size 56
		.amdhsa_user_sgpr_count 6
		.amdhsa_user_sgpr_private_segment_buffer 1
		.amdhsa_user_sgpr_dispatch_ptr 0
		.amdhsa_user_sgpr_queue_ptr 0
		.amdhsa_user_sgpr_kernarg_segment_ptr 1
		.amdhsa_user_sgpr_dispatch_id 0
		.amdhsa_user_sgpr_flat_scratch_init 0
		.amdhsa_user_sgpr_private_segment_size 0
		.amdhsa_uses_dynamic_stack 0
		.amdhsa_system_sgpr_private_segment_wavefront_offset 0
		.amdhsa_system_sgpr_workgroup_id_x 1
		.amdhsa_system_sgpr_workgroup_id_y 0
		.amdhsa_system_sgpr_workgroup_id_z 0
		.amdhsa_system_sgpr_workgroup_info 0
		.amdhsa_system_vgpr_workitem_id 0
		.amdhsa_next_free_vgpr 1
		.amdhsa_next_free_sgpr 0
		.amdhsa_reserve_vcc 0
		.amdhsa_reserve_flat_scratch 0
		.amdhsa_float_round_mode_32 0
		.amdhsa_float_round_mode_16_64 0
		.amdhsa_float_denorm_mode_32 3
		.amdhsa_float_denorm_mode_16_64 3
		.amdhsa_dx10_clamp 1
		.amdhsa_ieee_mode 1
		.amdhsa_fp16_overflow 0
		.amdhsa_exception_fp_ieee_invalid_op 0
		.amdhsa_exception_fp_denorm_src 0
		.amdhsa_exception_fp_ieee_div_zero 0
		.amdhsa_exception_fp_ieee_overflow 0
		.amdhsa_exception_fp_ieee_underflow 0
		.amdhsa_exception_fp_ieee_inexact 0
		.amdhsa_exception_int_div_zero 0
	.end_amdhsa_kernel
	.section	.text._ZN7rocprim17ROCPRIM_400000_NS6detail17trampoline_kernelINS0_14default_configENS1_38merge_sort_block_merge_config_selectorIN3c108BFloat16ElEEZZNS1_27merge_sort_block_merge_implIS3_PS6_N6thrust23THRUST_200600_302600_NS10device_ptrIlEEmNSB_4lessIS6_EEEE10hipError_tT0_T1_T2_jT3_P12ihipStream_tbPNSt15iterator_traitsISH_E10value_typeEPNSN_ISI_E10value_typeEPSJ_NS1_7vsmem_tEENKUlT_SH_SI_SJ_E_clIS9_S9_PlSD_EESG_SW_SH_SI_SJ_EUlSW_E1_NS1_11comp_targetILNS1_3genE3ELNS1_11target_archE908ELNS1_3gpuE7ELNS1_3repE0EEENS1_36merge_oddeven_config_static_selectorELNS0_4arch9wavefront6targetE1EEEvSI_,"axG",@progbits,_ZN7rocprim17ROCPRIM_400000_NS6detail17trampoline_kernelINS0_14default_configENS1_38merge_sort_block_merge_config_selectorIN3c108BFloat16ElEEZZNS1_27merge_sort_block_merge_implIS3_PS6_N6thrust23THRUST_200600_302600_NS10device_ptrIlEEmNSB_4lessIS6_EEEE10hipError_tT0_T1_T2_jT3_P12ihipStream_tbPNSt15iterator_traitsISH_E10value_typeEPNSN_ISI_E10value_typeEPSJ_NS1_7vsmem_tEENKUlT_SH_SI_SJ_E_clIS9_S9_PlSD_EESG_SW_SH_SI_SJ_EUlSW_E1_NS1_11comp_targetILNS1_3genE3ELNS1_11target_archE908ELNS1_3gpuE7ELNS1_3repE0EEENS1_36merge_oddeven_config_static_selectorELNS0_4arch9wavefront6targetE1EEEvSI_,comdat
.Lfunc_end1998:
	.size	_ZN7rocprim17ROCPRIM_400000_NS6detail17trampoline_kernelINS0_14default_configENS1_38merge_sort_block_merge_config_selectorIN3c108BFloat16ElEEZZNS1_27merge_sort_block_merge_implIS3_PS6_N6thrust23THRUST_200600_302600_NS10device_ptrIlEEmNSB_4lessIS6_EEEE10hipError_tT0_T1_T2_jT3_P12ihipStream_tbPNSt15iterator_traitsISH_E10value_typeEPNSN_ISI_E10value_typeEPSJ_NS1_7vsmem_tEENKUlT_SH_SI_SJ_E_clIS9_S9_PlSD_EESG_SW_SH_SI_SJ_EUlSW_E1_NS1_11comp_targetILNS1_3genE3ELNS1_11target_archE908ELNS1_3gpuE7ELNS1_3repE0EEENS1_36merge_oddeven_config_static_selectorELNS0_4arch9wavefront6targetE1EEEvSI_, .Lfunc_end1998-_ZN7rocprim17ROCPRIM_400000_NS6detail17trampoline_kernelINS0_14default_configENS1_38merge_sort_block_merge_config_selectorIN3c108BFloat16ElEEZZNS1_27merge_sort_block_merge_implIS3_PS6_N6thrust23THRUST_200600_302600_NS10device_ptrIlEEmNSB_4lessIS6_EEEE10hipError_tT0_T1_T2_jT3_P12ihipStream_tbPNSt15iterator_traitsISH_E10value_typeEPNSN_ISI_E10value_typeEPSJ_NS1_7vsmem_tEENKUlT_SH_SI_SJ_E_clIS9_S9_PlSD_EESG_SW_SH_SI_SJ_EUlSW_E1_NS1_11comp_targetILNS1_3genE3ELNS1_11target_archE908ELNS1_3gpuE7ELNS1_3repE0EEENS1_36merge_oddeven_config_static_selectorELNS0_4arch9wavefront6targetE1EEEvSI_
                                        ; -- End function
	.set _ZN7rocprim17ROCPRIM_400000_NS6detail17trampoline_kernelINS0_14default_configENS1_38merge_sort_block_merge_config_selectorIN3c108BFloat16ElEEZZNS1_27merge_sort_block_merge_implIS3_PS6_N6thrust23THRUST_200600_302600_NS10device_ptrIlEEmNSB_4lessIS6_EEEE10hipError_tT0_T1_T2_jT3_P12ihipStream_tbPNSt15iterator_traitsISH_E10value_typeEPNSN_ISI_E10value_typeEPSJ_NS1_7vsmem_tEENKUlT_SH_SI_SJ_E_clIS9_S9_PlSD_EESG_SW_SH_SI_SJ_EUlSW_E1_NS1_11comp_targetILNS1_3genE3ELNS1_11target_archE908ELNS1_3gpuE7ELNS1_3repE0EEENS1_36merge_oddeven_config_static_selectorELNS0_4arch9wavefront6targetE1EEEvSI_.num_vgpr, 0
	.set _ZN7rocprim17ROCPRIM_400000_NS6detail17trampoline_kernelINS0_14default_configENS1_38merge_sort_block_merge_config_selectorIN3c108BFloat16ElEEZZNS1_27merge_sort_block_merge_implIS3_PS6_N6thrust23THRUST_200600_302600_NS10device_ptrIlEEmNSB_4lessIS6_EEEE10hipError_tT0_T1_T2_jT3_P12ihipStream_tbPNSt15iterator_traitsISH_E10value_typeEPNSN_ISI_E10value_typeEPSJ_NS1_7vsmem_tEENKUlT_SH_SI_SJ_E_clIS9_S9_PlSD_EESG_SW_SH_SI_SJ_EUlSW_E1_NS1_11comp_targetILNS1_3genE3ELNS1_11target_archE908ELNS1_3gpuE7ELNS1_3repE0EEENS1_36merge_oddeven_config_static_selectorELNS0_4arch9wavefront6targetE1EEEvSI_.num_agpr, 0
	.set _ZN7rocprim17ROCPRIM_400000_NS6detail17trampoline_kernelINS0_14default_configENS1_38merge_sort_block_merge_config_selectorIN3c108BFloat16ElEEZZNS1_27merge_sort_block_merge_implIS3_PS6_N6thrust23THRUST_200600_302600_NS10device_ptrIlEEmNSB_4lessIS6_EEEE10hipError_tT0_T1_T2_jT3_P12ihipStream_tbPNSt15iterator_traitsISH_E10value_typeEPNSN_ISI_E10value_typeEPSJ_NS1_7vsmem_tEENKUlT_SH_SI_SJ_E_clIS9_S9_PlSD_EESG_SW_SH_SI_SJ_EUlSW_E1_NS1_11comp_targetILNS1_3genE3ELNS1_11target_archE908ELNS1_3gpuE7ELNS1_3repE0EEENS1_36merge_oddeven_config_static_selectorELNS0_4arch9wavefront6targetE1EEEvSI_.numbered_sgpr, 0
	.set _ZN7rocprim17ROCPRIM_400000_NS6detail17trampoline_kernelINS0_14default_configENS1_38merge_sort_block_merge_config_selectorIN3c108BFloat16ElEEZZNS1_27merge_sort_block_merge_implIS3_PS6_N6thrust23THRUST_200600_302600_NS10device_ptrIlEEmNSB_4lessIS6_EEEE10hipError_tT0_T1_T2_jT3_P12ihipStream_tbPNSt15iterator_traitsISH_E10value_typeEPNSN_ISI_E10value_typeEPSJ_NS1_7vsmem_tEENKUlT_SH_SI_SJ_E_clIS9_S9_PlSD_EESG_SW_SH_SI_SJ_EUlSW_E1_NS1_11comp_targetILNS1_3genE3ELNS1_11target_archE908ELNS1_3gpuE7ELNS1_3repE0EEENS1_36merge_oddeven_config_static_selectorELNS0_4arch9wavefront6targetE1EEEvSI_.num_named_barrier, 0
	.set _ZN7rocprim17ROCPRIM_400000_NS6detail17trampoline_kernelINS0_14default_configENS1_38merge_sort_block_merge_config_selectorIN3c108BFloat16ElEEZZNS1_27merge_sort_block_merge_implIS3_PS6_N6thrust23THRUST_200600_302600_NS10device_ptrIlEEmNSB_4lessIS6_EEEE10hipError_tT0_T1_T2_jT3_P12ihipStream_tbPNSt15iterator_traitsISH_E10value_typeEPNSN_ISI_E10value_typeEPSJ_NS1_7vsmem_tEENKUlT_SH_SI_SJ_E_clIS9_S9_PlSD_EESG_SW_SH_SI_SJ_EUlSW_E1_NS1_11comp_targetILNS1_3genE3ELNS1_11target_archE908ELNS1_3gpuE7ELNS1_3repE0EEENS1_36merge_oddeven_config_static_selectorELNS0_4arch9wavefront6targetE1EEEvSI_.private_seg_size, 0
	.set _ZN7rocprim17ROCPRIM_400000_NS6detail17trampoline_kernelINS0_14default_configENS1_38merge_sort_block_merge_config_selectorIN3c108BFloat16ElEEZZNS1_27merge_sort_block_merge_implIS3_PS6_N6thrust23THRUST_200600_302600_NS10device_ptrIlEEmNSB_4lessIS6_EEEE10hipError_tT0_T1_T2_jT3_P12ihipStream_tbPNSt15iterator_traitsISH_E10value_typeEPNSN_ISI_E10value_typeEPSJ_NS1_7vsmem_tEENKUlT_SH_SI_SJ_E_clIS9_S9_PlSD_EESG_SW_SH_SI_SJ_EUlSW_E1_NS1_11comp_targetILNS1_3genE3ELNS1_11target_archE908ELNS1_3gpuE7ELNS1_3repE0EEENS1_36merge_oddeven_config_static_selectorELNS0_4arch9wavefront6targetE1EEEvSI_.uses_vcc, 0
	.set _ZN7rocprim17ROCPRIM_400000_NS6detail17trampoline_kernelINS0_14default_configENS1_38merge_sort_block_merge_config_selectorIN3c108BFloat16ElEEZZNS1_27merge_sort_block_merge_implIS3_PS6_N6thrust23THRUST_200600_302600_NS10device_ptrIlEEmNSB_4lessIS6_EEEE10hipError_tT0_T1_T2_jT3_P12ihipStream_tbPNSt15iterator_traitsISH_E10value_typeEPNSN_ISI_E10value_typeEPSJ_NS1_7vsmem_tEENKUlT_SH_SI_SJ_E_clIS9_S9_PlSD_EESG_SW_SH_SI_SJ_EUlSW_E1_NS1_11comp_targetILNS1_3genE3ELNS1_11target_archE908ELNS1_3gpuE7ELNS1_3repE0EEENS1_36merge_oddeven_config_static_selectorELNS0_4arch9wavefront6targetE1EEEvSI_.uses_flat_scratch, 0
	.set _ZN7rocprim17ROCPRIM_400000_NS6detail17trampoline_kernelINS0_14default_configENS1_38merge_sort_block_merge_config_selectorIN3c108BFloat16ElEEZZNS1_27merge_sort_block_merge_implIS3_PS6_N6thrust23THRUST_200600_302600_NS10device_ptrIlEEmNSB_4lessIS6_EEEE10hipError_tT0_T1_T2_jT3_P12ihipStream_tbPNSt15iterator_traitsISH_E10value_typeEPNSN_ISI_E10value_typeEPSJ_NS1_7vsmem_tEENKUlT_SH_SI_SJ_E_clIS9_S9_PlSD_EESG_SW_SH_SI_SJ_EUlSW_E1_NS1_11comp_targetILNS1_3genE3ELNS1_11target_archE908ELNS1_3gpuE7ELNS1_3repE0EEENS1_36merge_oddeven_config_static_selectorELNS0_4arch9wavefront6targetE1EEEvSI_.has_dyn_sized_stack, 0
	.set _ZN7rocprim17ROCPRIM_400000_NS6detail17trampoline_kernelINS0_14default_configENS1_38merge_sort_block_merge_config_selectorIN3c108BFloat16ElEEZZNS1_27merge_sort_block_merge_implIS3_PS6_N6thrust23THRUST_200600_302600_NS10device_ptrIlEEmNSB_4lessIS6_EEEE10hipError_tT0_T1_T2_jT3_P12ihipStream_tbPNSt15iterator_traitsISH_E10value_typeEPNSN_ISI_E10value_typeEPSJ_NS1_7vsmem_tEENKUlT_SH_SI_SJ_E_clIS9_S9_PlSD_EESG_SW_SH_SI_SJ_EUlSW_E1_NS1_11comp_targetILNS1_3genE3ELNS1_11target_archE908ELNS1_3gpuE7ELNS1_3repE0EEENS1_36merge_oddeven_config_static_selectorELNS0_4arch9wavefront6targetE1EEEvSI_.has_recursion, 0
	.set _ZN7rocprim17ROCPRIM_400000_NS6detail17trampoline_kernelINS0_14default_configENS1_38merge_sort_block_merge_config_selectorIN3c108BFloat16ElEEZZNS1_27merge_sort_block_merge_implIS3_PS6_N6thrust23THRUST_200600_302600_NS10device_ptrIlEEmNSB_4lessIS6_EEEE10hipError_tT0_T1_T2_jT3_P12ihipStream_tbPNSt15iterator_traitsISH_E10value_typeEPNSN_ISI_E10value_typeEPSJ_NS1_7vsmem_tEENKUlT_SH_SI_SJ_E_clIS9_S9_PlSD_EESG_SW_SH_SI_SJ_EUlSW_E1_NS1_11comp_targetILNS1_3genE3ELNS1_11target_archE908ELNS1_3gpuE7ELNS1_3repE0EEENS1_36merge_oddeven_config_static_selectorELNS0_4arch9wavefront6targetE1EEEvSI_.has_indirect_call, 0
	.section	.AMDGPU.csdata,"",@progbits
; Kernel info:
; codeLenInByte = 0
; TotalNumSgprs: 4
; NumVgprs: 0
; ScratchSize: 0
; MemoryBound: 0
; FloatMode: 240
; IeeeMode: 1
; LDSByteSize: 0 bytes/workgroup (compile time only)
; SGPRBlocks: 0
; VGPRBlocks: 0
; NumSGPRsForWavesPerEU: 4
; NumVGPRsForWavesPerEU: 1
; Occupancy: 10
; WaveLimiterHint : 0
; COMPUTE_PGM_RSRC2:SCRATCH_EN: 0
; COMPUTE_PGM_RSRC2:USER_SGPR: 6
; COMPUTE_PGM_RSRC2:TRAP_HANDLER: 0
; COMPUTE_PGM_RSRC2:TGID_X_EN: 1
; COMPUTE_PGM_RSRC2:TGID_Y_EN: 0
; COMPUTE_PGM_RSRC2:TGID_Z_EN: 0
; COMPUTE_PGM_RSRC2:TIDIG_COMP_CNT: 0
	.section	.text._ZN7rocprim17ROCPRIM_400000_NS6detail17trampoline_kernelINS0_14default_configENS1_38merge_sort_block_merge_config_selectorIN3c108BFloat16ElEEZZNS1_27merge_sort_block_merge_implIS3_PS6_N6thrust23THRUST_200600_302600_NS10device_ptrIlEEmNSB_4lessIS6_EEEE10hipError_tT0_T1_T2_jT3_P12ihipStream_tbPNSt15iterator_traitsISH_E10value_typeEPNSN_ISI_E10value_typeEPSJ_NS1_7vsmem_tEENKUlT_SH_SI_SJ_E_clIS9_S9_PlSD_EESG_SW_SH_SI_SJ_EUlSW_E1_NS1_11comp_targetILNS1_3genE2ELNS1_11target_archE906ELNS1_3gpuE6ELNS1_3repE0EEENS1_36merge_oddeven_config_static_selectorELNS0_4arch9wavefront6targetE1EEEvSI_,"axG",@progbits,_ZN7rocprim17ROCPRIM_400000_NS6detail17trampoline_kernelINS0_14default_configENS1_38merge_sort_block_merge_config_selectorIN3c108BFloat16ElEEZZNS1_27merge_sort_block_merge_implIS3_PS6_N6thrust23THRUST_200600_302600_NS10device_ptrIlEEmNSB_4lessIS6_EEEE10hipError_tT0_T1_T2_jT3_P12ihipStream_tbPNSt15iterator_traitsISH_E10value_typeEPNSN_ISI_E10value_typeEPSJ_NS1_7vsmem_tEENKUlT_SH_SI_SJ_E_clIS9_S9_PlSD_EESG_SW_SH_SI_SJ_EUlSW_E1_NS1_11comp_targetILNS1_3genE2ELNS1_11target_archE906ELNS1_3gpuE6ELNS1_3repE0EEENS1_36merge_oddeven_config_static_selectorELNS0_4arch9wavefront6targetE1EEEvSI_,comdat
	.protected	_ZN7rocprim17ROCPRIM_400000_NS6detail17trampoline_kernelINS0_14default_configENS1_38merge_sort_block_merge_config_selectorIN3c108BFloat16ElEEZZNS1_27merge_sort_block_merge_implIS3_PS6_N6thrust23THRUST_200600_302600_NS10device_ptrIlEEmNSB_4lessIS6_EEEE10hipError_tT0_T1_T2_jT3_P12ihipStream_tbPNSt15iterator_traitsISH_E10value_typeEPNSN_ISI_E10value_typeEPSJ_NS1_7vsmem_tEENKUlT_SH_SI_SJ_E_clIS9_S9_PlSD_EESG_SW_SH_SI_SJ_EUlSW_E1_NS1_11comp_targetILNS1_3genE2ELNS1_11target_archE906ELNS1_3gpuE6ELNS1_3repE0EEENS1_36merge_oddeven_config_static_selectorELNS0_4arch9wavefront6targetE1EEEvSI_ ; -- Begin function _ZN7rocprim17ROCPRIM_400000_NS6detail17trampoline_kernelINS0_14default_configENS1_38merge_sort_block_merge_config_selectorIN3c108BFloat16ElEEZZNS1_27merge_sort_block_merge_implIS3_PS6_N6thrust23THRUST_200600_302600_NS10device_ptrIlEEmNSB_4lessIS6_EEEE10hipError_tT0_T1_T2_jT3_P12ihipStream_tbPNSt15iterator_traitsISH_E10value_typeEPNSN_ISI_E10value_typeEPSJ_NS1_7vsmem_tEENKUlT_SH_SI_SJ_E_clIS9_S9_PlSD_EESG_SW_SH_SI_SJ_EUlSW_E1_NS1_11comp_targetILNS1_3genE2ELNS1_11target_archE906ELNS1_3gpuE6ELNS1_3repE0EEENS1_36merge_oddeven_config_static_selectorELNS0_4arch9wavefront6targetE1EEEvSI_
	.globl	_ZN7rocprim17ROCPRIM_400000_NS6detail17trampoline_kernelINS0_14default_configENS1_38merge_sort_block_merge_config_selectorIN3c108BFloat16ElEEZZNS1_27merge_sort_block_merge_implIS3_PS6_N6thrust23THRUST_200600_302600_NS10device_ptrIlEEmNSB_4lessIS6_EEEE10hipError_tT0_T1_T2_jT3_P12ihipStream_tbPNSt15iterator_traitsISH_E10value_typeEPNSN_ISI_E10value_typeEPSJ_NS1_7vsmem_tEENKUlT_SH_SI_SJ_E_clIS9_S9_PlSD_EESG_SW_SH_SI_SJ_EUlSW_E1_NS1_11comp_targetILNS1_3genE2ELNS1_11target_archE906ELNS1_3gpuE6ELNS1_3repE0EEENS1_36merge_oddeven_config_static_selectorELNS0_4arch9wavefront6targetE1EEEvSI_
	.p2align	8
	.type	_ZN7rocprim17ROCPRIM_400000_NS6detail17trampoline_kernelINS0_14default_configENS1_38merge_sort_block_merge_config_selectorIN3c108BFloat16ElEEZZNS1_27merge_sort_block_merge_implIS3_PS6_N6thrust23THRUST_200600_302600_NS10device_ptrIlEEmNSB_4lessIS6_EEEE10hipError_tT0_T1_T2_jT3_P12ihipStream_tbPNSt15iterator_traitsISH_E10value_typeEPNSN_ISI_E10value_typeEPSJ_NS1_7vsmem_tEENKUlT_SH_SI_SJ_E_clIS9_S9_PlSD_EESG_SW_SH_SI_SJ_EUlSW_E1_NS1_11comp_targetILNS1_3genE2ELNS1_11target_archE906ELNS1_3gpuE6ELNS1_3repE0EEENS1_36merge_oddeven_config_static_selectorELNS0_4arch9wavefront6targetE1EEEvSI_,@function
_ZN7rocprim17ROCPRIM_400000_NS6detail17trampoline_kernelINS0_14default_configENS1_38merge_sort_block_merge_config_selectorIN3c108BFloat16ElEEZZNS1_27merge_sort_block_merge_implIS3_PS6_N6thrust23THRUST_200600_302600_NS10device_ptrIlEEmNSB_4lessIS6_EEEE10hipError_tT0_T1_T2_jT3_P12ihipStream_tbPNSt15iterator_traitsISH_E10value_typeEPNSN_ISI_E10value_typeEPSJ_NS1_7vsmem_tEENKUlT_SH_SI_SJ_E_clIS9_S9_PlSD_EESG_SW_SH_SI_SJ_EUlSW_E1_NS1_11comp_targetILNS1_3genE2ELNS1_11target_archE906ELNS1_3gpuE6ELNS1_3repE0EEENS1_36merge_oddeven_config_static_selectorELNS0_4arch9wavefront6targetE1EEEvSI_: ; @_ZN7rocprim17ROCPRIM_400000_NS6detail17trampoline_kernelINS0_14default_configENS1_38merge_sort_block_merge_config_selectorIN3c108BFloat16ElEEZZNS1_27merge_sort_block_merge_implIS3_PS6_N6thrust23THRUST_200600_302600_NS10device_ptrIlEEmNSB_4lessIS6_EEEE10hipError_tT0_T1_T2_jT3_P12ihipStream_tbPNSt15iterator_traitsISH_E10value_typeEPNSN_ISI_E10value_typeEPSJ_NS1_7vsmem_tEENKUlT_SH_SI_SJ_E_clIS9_S9_PlSD_EESG_SW_SH_SI_SJ_EUlSW_E1_NS1_11comp_targetILNS1_3genE2ELNS1_11target_archE906ELNS1_3gpuE6ELNS1_3repE0EEENS1_36merge_oddeven_config_static_selectorELNS0_4arch9wavefront6targetE1EEEvSI_
; %bb.0:
	s_load_dwordx4 s[8:11], s[4:5], 0x18
	s_waitcnt lgkmcnt(0)
	s_lshr_b32 s0, s10, 8
	s_cmp_eq_u32 s6, s0
	s_cselect_b64 s[16:17], -1, 0
	s_cmp_lg_u32 s6, s0
	s_cselect_b64 s[0:1], -1, 0
	s_lshl_b32 s18, s6, 8
	s_sub_i32 s2, s10, s18
	v_cmp_gt_u32_e64 s[2:3], s2, v0
	s_or_b64 s[0:1], s[0:1], s[2:3]
	s_and_saveexec_b64 s[12:13], s[0:1]
	s_cbranch_execz .LBB1999_24
; %bb.1:
	s_load_dwordx4 s[12:15], s[4:5], 0x0
	s_load_dwordx2 s[0:1], s[4:5], 0x10
	s_mov_b32 s19, 0
	s_lshl_b64 s[20:21], s[18:19], 1
	v_lshlrev_b32_e32 v4, 3, v0
	s_waitcnt lgkmcnt(0)
	s_add_u32 s20, s12, s20
	s_addc_u32 s21, s13, s21
	s_lshl_b64 s[22:23], s[18:19], 3
	s_add_u32 s0, s0, s22
	s_addc_u32 s1, s1, s23
	v_lshlrev_b32_e32 v3, 1, v0
	global_load_dwordx2 v[1:2], v4, s[0:1]
	global_load_ushort v5, v3, s[20:21]
	s_load_dword s11, s[4:5], 0x28
	v_add_u32_e32 v3, s18, v0
	s_waitcnt lgkmcnt(0)
	s_lshr_b32 s0, s11, 8
	s_sub_i32 s1, 0, s0
	s_and_b32 s1, s6, s1
	s_and_b32 s0, s1, s0
	s_lshl_b32 s19, s1, 8
	s_sub_i32 s6, 0, s11
	s_cmp_eq_u32 s0, 0
	s_cselect_b64 s[0:1], -1, 0
	s_and_b64 s[4:5], s[0:1], exec
	s_cselect_b32 s6, s11, s6
	s_add_i32 s6, s6, s19
	s_mov_b64 s[4:5], -1
	s_cmp_lt_u32 s6, s10
	s_cbranch_scc1 .LBB1999_9
; %bb.2:
	s_and_b64 vcc, exec, s[16:17]
	s_cbranch_vccz .LBB1999_6
; %bb.3:
	v_cmp_gt_u32_e32 vcc, s10, v3
	s_and_saveexec_b64 s[4:5], vcc
	s_cbranch_execz .LBB1999_5
; %bb.4:
	v_mov_b32_e32 v4, 0
	v_lshlrev_b64 v[6:7], 1, v[3:4]
	v_mov_b32_e32 v0, s15
	v_add_co_u32_e32 v6, vcc, s14, v6
	v_lshlrev_b64 v[8:9], 3, v[3:4]
	v_addc_co_u32_e32 v7, vcc, v0, v7, vcc
	v_mov_b32_e32 v0, s9
	v_add_co_u32_e32 v8, vcc, s8, v8
	v_addc_co_u32_e32 v9, vcc, v0, v9, vcc
	s_waitcnt vmcnt(0)
	global_store_short v[6:7], v5, off
	global_store_dwordx2 v[8:9], v[1:2], off
.LBB1999_5:
	s_or_b64 exec, exec, s[4:5]
	s_mov_b64 s[4:5], 0
.LBB1999_6:
	s_andn2_b64 vcc, exec, s[4:5]
	s_cbranch_vccnz .LBB1999_8
; %bb.7:
	v_mov_b32_e32 v4, 0
	v_lshlrev_b64 v[6:7], 1, v[3:4]
	v_mov_b32_e32 v0, s15
	v_add_co_u32_e32 v6, vcc, s14, v6
	v_lshlrev_b64 v[8:9], 3, v[3:4]
	v_addc_co_u32_e32 v7, vcc, v0, v7, vcc
	v_mov_b32_e32 v0, s9
	v_add_co_u32_e32 v8, vcc, s8, v8
	v_addc_co_u32_e32 v9, vcc, v0, v9, vcc
	s_waitcnt vmcnt(0)
	global_store_short v[6:7], v5, off
	global_store_dwordx2 v[8:9], v[1:2], off
.LBB1999_8:
	s_mov_b64 s[4:5], 0
.LBB1999_9:
	s_andn2_b64 vcc, exec, s[4:5]
	s_cbranch_vccnz .LBB1999_24
; %bb.10:
	s_min_u32 s7, s6, s10
	s_add_i32 s4, s7, s11
	s_min_u32 s10, s4, s10
	s_min_u32 s4, s19, s7
	s_add_i32 s19, s19, s7
	v_subrev_u32_e32 v0, s19, v3
	v_add_u32_e32 v0, s4, v0
	s_waitcnt vmcnt(0)
	v_lshlrev_b32_e32 v3, 16, v5
	s_mov_b64 s[4:5], -1
	s_and_b64 vcc, exec, s[16:17]
	s_cbranch_vccz .LBB1999_18
; %bb.11:
	s_and_saveexec_b64 s[4:5], s[2:3]
	s_cbranch_execz .LBB1999_17
; %bb.12:
	s_cmp_ge_u32 s6, s10
	v_mov_b32_e32 v4, s7
	s_cbranch_scc1 .LBB1999_16
; %bb.13:
	s_mov_b64 s[2:3], 0
	v_mov_b32_e32 v6, s10
	v_mov_b32_e32 v4, s7
.LBB1999_14:                            ; =>This Inner Loop Header: Depth=1
	v_add_u32_e32 v7, v4, v6
	v_and_b32_e32 v8, -2, v7
	global_load_ushort v8, v8, s[12:13]
	v_lshrrev_b32_e32 v7, 1, v7
	v_add_u32_e32 v9, 1, v7
	s_waitcnt vmcnt(0)
	v_lshlrev_b32_e32 v8, 16, v8
	v_cmp_lt_f32_e32 vcc, v8, v3
	v_cndmask_b32_e64 v10, 0, 1, vcc
	v_cmp_nlt_f32_e32 vcc, v3, v8
	v_cndmask_b32_e64 v8, 0, 1, vcc
	v_cndmask_b32_e64 v8, v8, v10, s[0:1]
	v_and_b32_e32 v8, 1, v8
	v_cmp_eq_u32_e32 vcc, 1, v8
	v_cndmask_b32_e32 v6, v7, v6, vcc
	v_cndmask_b32_e32 v4, v4, v9, vcc
	v_cmp_ge_u32_e32 vcc, v4, v6
	s_or_b64 s[2:3], vcc, s[2:3]
	s_andn2_b64 exec, exec, s[2:3]
	s_cbranch_execnz .LBB1999_14
; %bb.15:
	s_or_b64 exec, exec, s[2:3]
.LBB1999_16:
	v_add_u32_e32 v6, v4, v0
	v_mov_b32_e32 v7, 0
	v_lshlrev_b64 v[8:9], 1, v[6:7]
	v_mov_b32_e32 v4, s15
	v_add_co_u32_e32 v8, vcc, s14, v8
	v_lshlrev_b64 v[6:7], 3, v[6:7]
	v_addc_co_u32_e32 v9, vcc, v4, v9, vcc
	v_mov_b32_e32 v4, s9
	v_add_co_u32_e32 v6, vcc, s8, v6
	v_addc_co_u32_e32 v7, vcc, v4, v7, vcc
	global_store_short v[8:9], v5, off
	global_store_dwordx2 v[6:7], v[1:2], off
.LBB1999_17:
	s_or_b64 exec, exec, s[4:5]
	s_mov_b64 s[4:5], 0
.LBB1999_18:
	s_andn2_b64 vcc, exec, s[4:5]
	s_cbranch_vccnz .LBB1999_24
; %bb.19:
	s_cmp_ge_u32 s6, s10
	v_mov_b32_e32 v4, s7
	s_cbranch_scc1 .LBB1999_23
; %bb.20:
	s_mov_b64 s[2:3], 0
	v_mov_b32_e32 v6, s10
	v_mov_b32_e32 v4, s7
.LBB1999_21:                            ; =>This Inner Loop Header: Depth=1
	v_add_u32_e32 v7, v4, v6
	v_and_b32_e32 v8, -2, v7
	global_load_ushort v8, v8, s[12:13]
	v_lshrrev_b32_e32 v7, 1, v7
	v_add_u32_e32 v9, 1, v7
	s_waitcnt vmcnt(0)
	v_lshlrev_b32_e32 v8, 16, v8
	v_cmp_lt_f32_e32 vcc, v8, v3
	v_cndmask_b32_e64 v10, 0, 1, vcc
	v_cmp_nlt_f32_e32 vcc, v3, v8
	v_cndmask_b32_e64 v8, 0, 1, vcc
	v_cndmask_b32_e64 v8, v8, v10, s[0:1]
	v_and_b32_e32 v8, 1, v8
	v_cmp_eq_u32_e32 vcc, 1, v8
	v_cndmask_b32_e32 v6, v7, v6, vcc
	v_cndmask_b32_e32 v4, v4, v9, vcc
	v_cmp_ge_u32_e32 vcc, v4, v6
	s_or_b64 s[2:3], vcc, s[2:3]
	s_andn2_b64 exec, exec, s[2:3]
	s_cbranch_execnz .LBB1999_21
; %bb.22:
	s_or_b64 exec, exec, s[2:3]
.LBB1999_23:
	v_add_u32_e32 v3, v4, v0
	v_mov_b32_e32 v4, 0
	v_lshlrev_b64 v[6:7], 1, v[3:4]
	v_mov_b32_e32 v0, s15
	v_add_co_u32_e32 v6, vcc, s14, v6
	v_lshlrev_b64 v[3:4], 3, v[3:4]
	v_addc_co_u32_e32 v7, vcc, v0, v7, vcc
	v_mov_b32_e32 v0, s9
	v_add_co_u32_e32 v3, vcc, s8, v3
	v_addc_co_u32_e32 v4, vcc, v0, v4, vcc
	global_store_short v[6:7], v5, off
	global_store_dwordx2 v[3:4], v[1:2], off
.LBB1999_24:
	s_endpgm
	.section	.rodata,"a",@progbits
	.p2align	6, 0x0
	.amdhsa_kernel _ZN7rocprim17ROCPRIM_400000_NS6detail17trampoline_kernelINS0_14default_configENS1_38merge_sort_block_merge_config_selectorIN3c108BFloat16ElEEZZNS1_27merge_sort_block_merge_implIS3_PS6_N6thrust23THRUST_200600_302600_NS10device_ptrIlEEmNSB_4lessIS6_EEEE10hipError_tT0_T1_T2_jT3_P12ihipStream_tbPNSt15iterator_traitsISH_E10value_typeEPNSN_ISI_E10value_typeEPSJ_NS1_7vsmem_tEENKUlT_SH_SI_SJ_E_clIS9_S9_PlSD_EESG_SW_SH_SI_SJ_EUlSW_E1_NS1_11comp_targetILNS1_3genE2ELNS1_11target_archE906ELNS1_3gpuE6ELNS1_3repE0EEENS1_36merge_oddeven_config_static_selectorELNS0_4arch9wavefront6targetE1EEEvSI_
		.amdhsa_group_segment_fixed_size 0
		.amdhsa_private_segment_fixed_size 0
		.amdhsa_kernarg_size 56
		.amdhsa_user_sgpr_count 6
		.amdhsa_user_sgpr_private_segment_buffer 1
		.amdhsa_user_sgpr_dispatch_ptr 0
		.amdhsa_user_sgpr_queue_ptr 0
		.amdhsa_user_sgpr_kernarg_segment_ptr 1
		.amdhsa_user_sgpr_dispatch_id 0
		.amdhsa_user_sgpr_flat_scratch_init 0
		.amdhsa_user_sgpr_private_segment_size 0
		.amdhsa_uses_dynamic_stack 0
		.amdhsa_system_sgpr_private_segment_wavefront_offset 0
		.amdhsa_system_sgpr_workgroup_id_x 1
		.amdhsa_system_sgpr_workgroup_id_y 0
		.amdhsa_system_sgpr_workgroup_id_z 0
		.amdhsa_system_sgpr_workgroup_info 0
		.amdhsa_system_vgpr_workitem_id 0
		.amdhsa_next_free_vgpr 11
		.amdhsa_next_free_sgpr 24
		.amdhsa_reserve_vcc 1
		.amdhsa_reserve_flat_scratch 0
		.amdhsa_float_round_mode_32 0
		.amdhsa_float_round_mode_16_64 0
		.amdhsa_float_denorm_mode_32 3
		.amdhsa_float_denorm_mode_16_64 3
		.amdhsa_dx10_clamp 1
		.amdhsa_ieee_mode 1
		.amdhsa_fp16_overflow 0
		.amdhsa_exception_fp_ieee_invalid_op 0
		.amdhsa_exception_fp_denorm_src 0
		.amdhsa_exception_fp_ieee_div_zero 0
		.amdhsa_exception_fp_ieee_overflow 0
		.amdhsa_exception_fp_ieee_underflow 0
		.amdhsa_exception_fp_ieee_inexact 0
		.amdhsa_exception_int_div_zero 0
	.end_amdhsa_kernel
	.section	.text._ZN7rocprim17ROCPRIM_400000_NS6detail17trampoline_kernelINS0_14default_configENS1_38merge_sort_block_merge_config_selectorIN3c108BFloat16ElEEZZNS1_27merge_sort_block_merge_implIS3_PS6_N6thrust23THRUST_200600_302600_NS10device_ptrIlEEmNSB_4lessIS6_EEEE10hipError_tT0_T1_T2_jT3_P12ihipStream_tbPNSt15iterator_traitsISH_E10value_typeEPNSN_ISI_E10value_typeEPSJ_NS1_7vsmem_tEENKUlT_SH_SI_SJ_E_clIS9_S9_PlSD_EESG_SW_SH_SI_SJ_EUlSW_E1_NS1_11comp_targetILNS1_3genE2ELNS1_11target_archE906ELNS1_3gpuE6ELNS1_3repE0EEENS1_36merge_oddeven_config_static_selectorELNS0_4arch9wavefront6targetE1EEEvSI_,"axG",@progbits,_ZN7rocprim17ROCPRIM_400000_NS6detail17trampoline_kernelINS0_14default_configENS1_38merge_sort_block_merge_config_selectorIN3c108BFloat16ElEEZZNS1_27merge_sort_block_merge_implIS3_PS6_N6thrust23THRUST_200600_302600_NS10device_ptrIlEEmNSB_4lessIS6_EEEE10hipError_tT0_T1_T2_jT3_P12ihipStream_tbPNSt15iterator_traitsISH_E10value_typeEPNSN_ISI_E10value_typeEPSJ_NS1_7vsmem_tEENKUlT_SH_SI_SJ_E_clIS9_S9_PlSD_EESG_SW_SH_SI_SJ_EUlSW_E1_NS1_11comp_targetILNS1_3genE2ELNS1_11target_archE906ELNS1_3gpuE6ELNS1_3repE0EEENS1_36merge_oddeven_config_static_selectorELNS0_4arch9wavefront6targetE1EEEvSI_,comdat
.Lfunc_end1999:
	.size	_ZN7rocprim17ROCPRIM_400000_NS6detail17trampoline_kernelINS0_14default_configENS1_38merge_sort_block_merge_config_selectorIN3c108BFloat16ElEEZZNS1_27merge_sort_block_merge_implIS3_PS6_N6thrust23THRUST_200600_302600_NS10device_ptrIlEEmNSB_4lessIS6_EEEE10hipError_tT0_T1_T2_jT3_P12ihipStream_tbPNSt15iterator_traitsISH_E10value_typeEPNSN_ISI_E10value_typeEPSJ_NS1_7vsmem_tEENKUlT_SH_SI_SJ_E_clIS9_S9_PlSD_EESG_SW_SH_SI_SJ_EUlSW_E1_NS1_11comp_targetILNS1_3genE2ELNS1_11target_archE906ELNS1_3gpuE6ELNS1_3repE0EEENS1_36merge_oddeven_config_static_selectorELNS0_4arch9wavefront6targetE1EEEvSI_, .Lfunc_end1999-_ZN7rocprim17ROCPRIM_400000_NS6detail17trampoline_kernelINS0_14default_configENS1_38merge_sort_block_merge_config_selectorIN3c108BFloat16ElEEZZNS1_27merge_sort_block_merge_implIS3_PS6_N6thrust23THRUST_200600_302600_NS10device_ptrIlEEmNSB_4lessIS6_EEEE10hipError_tT0_T1_T2_jT3_P12ihipStream_tbPNSt15iterator_traitsISH_E10value_typeEPNSN_ISI_E10value_typeEPSJ_NS1_7vsmem_tEENKUlT_SH_SI_SJ_E_clIS9_S9_PlSD_EESG_SW_SH_SI_SJ_EUlSW_E1_NS1_11comp_targetILNS1_3genE2ELNS1_11target_archE906ELNS1_3gpuE6ELNS1_3repE0EEENS1_36merge_oddeven_config_static_selectorELNS0_4arch9wavefront6targetE1EEEvSI_
                                        ; -- End function
	.set _ZN7rocprim17ROCPRIM_400000_NS6detail17trampoline_kernelINS0_14default_configENS1_38merge_sort_block_merge_config_selectorIN3c108BFloat16ElEEZZNS1_27merge_sort_block_merge_implIS3_PS6_N6thrust23THRUST_200600_302600_NS10device_ptrIlEEmNSB_4lessIS6_EEEE10hipError_tT0_T1_T2_jT3_P12ihipStream_tbPNSt15iterator_traitsISH_E10value_typeEPNSN_ISI_E10value_typeEPSJ_NS1_7vsmem_tEENKUlT_SH_SI_SJ_E_clIS9_S9_PlSD_EESG_SW_SH_SI_SJ_EUlSW_E1_NS1_11comp_targetILNS1_3genE2ELNS1_11target_archE906ELNS1_3gpuE6ELNS1_3repE0EEENS1_36merge_oddeven_config_static_selectorELNS0_4arch9wavefront6targetE1EEEvSI_.num_vgpr, 11
	.set _ZN7rocprim17ROCPRIM_400000_NS6detail17trampoline_kernelINS0_14default_configENS1_38merge_sort_block_merge_config_selectorIN3c108BFloat16ElEEZZNS1_27merge_sort_block_merge_implIS3_PS6_N6thrust23THRUST_200600_302600_NS10device_ptrIlEEmNSB_4lessIS6_EEEE10hipError_tT0_T1_T2_jT3_P12ihipStream_tbPNSt15iterator_traitsISH_E10value_typeEPNSN_ISI_E10value_typeEPSJ_NS1_7vsmem_tEENKUlT_SH_SI_SJ_E_clIS9_S9_PlSD_EESG_SW_SH_SI_SJ_EUlSW_E1_NS1_11comp_targetILNS1_3genE2ELNS1_11target_archE906ELNS1_3gpuE6ELNS1_3repE0EEENS1_36merge_oddeven_config_static_selectorELNS0_4arch9wavefront6targetE1EEEvSI_.num_agpr, 0
	.set _ZN7rocprim17ROCPRIM_400000_NS6detail17trampoline_kernelINS0_14default_configENS1_38merge_sort_block_merge_config_selectorIN3c108BFloat16ElEEZZNS1_27merge_sort_block_merge_implIS3_PS6_N6thrust23THRUST_200600_302600_NS10device_ptrIlEEmNSB_4lessIS6_EEEE10hipError_tT0_T1_T2_jT3_P12ihipStream_tbPNSt15iterator_traitsISH_E10value_typeEPNSN_ISI_E10value_typeEPSJ_NS1_7vsmem_tEENKUlT_SH_SI_SJ_E_clIS9_S9_PlSD_EESG_SW_SH_SI_SJ_EUlSW_E1_NS1_11comp_targetILNS1_3genE2ELNS1_11target_archE906ELNS1_3gpuE6ELNS1_3repE0EEENS1_36merge_oddeven_config_static_selectorELNS0_4arch9wavefront6targetE1EEEvSI_.numbered_sgpr, 24
	.set _ZN7rocprim17ROCPRIM_400000_NS6detail17trampoline_kernelINS0_14default_configENS1_38merge_sort_block_merge_config_selectorIN3c108BFloat16ElEEZZNS1_27merge_sort_block_merge_implIS3_PS6_N6thrust23THRUST_200600_302600_NS10device_ptrIlEEmNSB_4lessIS6_EEEE10hipError_tT0_T1_T2_jT3_P12ihipStream_tbPNSt15iterator_traitsISH_E10value_typeEPNSN_ISI_E10value_typeEPSJ_NS1_7vsmem_tEENKUlT_SH_SI_SJ_E_clIS9_S9_PlSD_EESG_SW_SH_SI_SJ_EUlSW_E1_NS1_11comp_targetILNS1_3genE2ELNS1_11target_archE906ELNS1_3gpuE6ELNS1_3repE0EEENS1_36merge_oddeven_config_static_selectorELNS0_4arch9wavefront6targetE1EEEvSI_.num_named_barrier, 0
	.set _ZN7rocprim17ROCPRIM_400000_NS6detail17trampoline_kernelINS0_14default_configENS1_38merge_sort_block_merge_config_selectorIN3c108BFloat16ElEEZZNS1_27merge_sort_block_merge_implIS3_PS6_N6thrust23THRUST_200600_302600_NS10device_ptrIlEEmNSB_4lessIS6_EEEE10hipError_tT0_T1_T2_jT3_P12ihipStream_tbPNSt15iterator_traitsISH_E10value_typeEPNSN_ISI_E10value_typeEPSJ_NS1_7vsmem_tEENKUlT_SH_SI_SJ_E_clIS9_S9_PlSD_EESG_SW_SH_SI_SJ_EUlSW_E1_NS1_11comp_targetILNS1_3genE2ELNS1_11target_archE906ELNS1_3gpuE6ELNS1_3repE0EEENS1_36merge_oddeven_config_static_selectorELNS0_4arch9wavefront6targetE1EEEvSI_.private_seg_size, 0
	.set _ZN7rocprim17ROCPRIM_400000_NS6detail17trampoline_kernelINS0_14default_configENS1_38merge_sort_block_merge_config_selectorIN3c108BFloat16ElEEZZNS1_27merge_sort_block_merge_implIS3_PS6_N6thrust23THRUST_200600_302600_NS10device_ptrIlEEmNSB_4lessIS6_EEEE10hipError_tT0_T1_T2_jT3_P12ihipStream_tbPNSt15iterator_traitsISH_E10value_typeEPNSN_ISI_E10value_typeEPSJ_NS1_7vsmem_tEENKUlT_SH_SI_SJ_E_clIS9_S9_PlSD_EESG_SW_SH_SI_SJ_EUlSW_E1_NS1_11comp_targetILNS1_3genE2ELNS1_11target_archE906ELNS1_3gpuE6ELNS1_3repE0EEENS1_36merge_oddeven_config_static_selectorELNS0_4arch9wavefront6targetE1EEEvSI_.uses_vcc, 1
	.set _ZN7rocprim17ROCPRIM_400000_NS6detail17trampoline_kernelINS0_14default_configENS1_38merge_sort_block_merge_config_selectorIN3c108BFloat16ElEEZZNS1_27merge_sort_block_merge_implIS3_PS6_N6thrust23THRUST_200600_302600_NS10device_ptrIlEEmNSB_4lessIS6_EEEE10hipError_tT0_T1_T2_jT3_P12ihipStream_tbPNSt15iterator_traitsISH_E10value_typeEPNSN_ISI_E10value_typeEPSJ_NS1_7vsmem_tEENKUlT_SH_SI_SJ_E_clIS9_S9_PlSD_EESG_SW_SH_SI_SJ_EUlSW_E1_NS1_11comp_targetILNS1_3genE2ELNS1_11target_archE906ELNS1_3gpuE6ELNS1_3repE0EEENS1_36merge_oddeven_config_static_selectorELNS0_4arch9wavefront6targetE1EEEvSI_.uses_flat_scratch, 0
	.set _ZN7rocprim17ROCPRIM_400000_NS6detail17trampoline_kernelINS0_14default_configENS1_38merge_sort_block_merge_config_selectorIN3c108BFloat16ElEEZZNS1_27merge_sort_block_merge_implIS3_PS6_N6thrust23THRUST_200600_302600_NS10device_ptrIlEEmNSB_4lessIS6_EEEE10hipError_tT0_T1_T2_jT3_P12ihipStream_tbPNSt15iterator_traitsISH_E10value_typeEPNSN_ISI_E10value_typeEPSJ_NS1_7vsmem_tEENKUlT_SH_SI_SJ_E_clIS9_S9_PlSD_EESG_SW_SH_SI_SJ_EUlSW_E1_NS1_11comp_targetILNS1_3genE2ELNS1_11target_archE906ELNS1_3gpuE6ELNS1_3repE0EEENS1_36merge_oddeven_config_static_selectorELNS0_4arch9wavefront6targetE1EEEvSI_.has_dyn_sized_stack, 0
	.set _ZN7rocprim17ROCPRIM_400000_NS6detail17trampoline_kernelINS0_14default_configENS1_38merge_sort_block_merge_config_selectorIN3c108BFloat16ElEEZZNS1_27merge_sort_block_merge_implIS3_PS6_N6thrust23THRUST_200600_302600_NS10device_ptrIlEEmNSB_4lessIS6_EEEE10hipError_tT0_T1_T2_jT3_P12ihipStream_tbPNSt15iterator_traitsISH_E10value_typeEPNSN_ISI_E10value_typeEPSJ_NS1_7vsmem_tEENKUlT_SH_SI_SJ_E_clIS9_S9_PlSD_EESG_SW_SH_SI_SJ_EUlSW_E1_NS1_11comp_targetILNS1_3genE2ELNS1_11target_archE906ELNS1_3gpuE6ELNS1_3repE0EEENS1_36merge_oddeven_config_static_selectorELNS0_4arch9wavefront6targetE1EEEvSI_.has_recursion, 0
	.set _ZN7rocprim17ROCPRIM_400000_NS6detail17trampoline_kernelINS0_14default_configENS1_38merge_sort_block_merge_config_selectorIN3c108BFloat16ElEEZZNS1_27merge_sort_block_merge_implIS3_PS6_N6thrust23THRUST_200600_302600_NS10device_ptrIlEEmNSB_4lessIS6_EEEE10hipError_tT0_T1_T2_jT3_P12ihipStream_tbPNSt15iterator_traitsISH_E10value_typeEPNSN_ISI_E10value_typeEPSJ_NS1_7vsmem_tEENKUlT_SH_SI_SJ_E_clIS9_S9_PlSD_EESG_SW_SH_SI_SJ_EUlSW_E1_NS1_11comp_targetILNS1_3genE2ELNS1_11target_archE906ELNS1_3gpuE6ELNS1_3repE0EEENS1_36merge_oddeven_config_static_selectorELNS0_4arch9wavefront6targetE1EEEvSI_.has_indirect_call, 0
	.section	.AMDGPU.csdata,"",@progbits
; Kernel info:
; codeLenInByte = 832
; TotalNumSgprs: 28
; NumVgprs: 11
; ScratchSize: 0
; MemoryBound: 0
; FloatMode: 240
; IeeeMode: 1
; LDSByteSize: 0 bytes/workgroup (compile time only)
; SGPRBlocks: 3
; VGPRBlocks: 2
; NumSGPRsForWavesPerEU: 28
; NumVGPRsForWavesPerEU: 11
; Occupancy: 10
; WaveLimiterHint : 0
; COMPUTE_PGM_RSRC2:SCRATCH_EN: 0
; COMPUTE_PGM_RSRC2:USER_SGPR: 6
; COMPUTE_PGM_RSRC2:TRAP_HANDLER: 0
; COMPUTE_PGM_RSRC2:TGID_X_EN: 1
; COMPUTE_PGM_RSRC2:TGID_Y_EN: 0
; COMPUTE_PGM_RSRC2:TGID_Z_EN: 0
; COMPUTE_PGM_RSRC2:TIDIG_COMP_CNT: 0
	.section	.text._ZN7rocprim17ROCPRIM_400000_NS6detail17trampoline_kernelINS0_14default_configENS1_38merge_sort_block_merge_config_selectorIN3c108BFloat16ElEEZZNS1_27merge_sort_block_merge_implIS3_PS6_N6thrust23THRUST_200600_302600_NS10device_ptrIlEEmNSB_4lessIS6_EEEE10hipError_tT0_T1_T2_jT3_P12ihipStream_tbPNSt15iterator_traitsISH_E10value_typeEPNSN_ISI_E10value_typeEPSJ_NS1_7vsmem_tEENKUlT_SH_SI_SJ_E_clIS9_S9_PlSD_EESG_SW_SH_SI_SJ_EUlSW_E1_NS1_11comp_targetILNS1_3genE9ELNS1_11target_archE1100ELNS1_3gpuE3ELNS1_3repE0EEENS1_36merge_oddeven_config_static_selectorELNS0_4arch9wavefront6targetE1EEEvSI_,"axG",@progbits,_ZN7rocprim17ROCPRIM_400000_NS6detail17trampoline_kernelINS0_14default_configENS1_38merge_sort_block_merge_config_selectorIN3c108BFloat16ElEEZZNS1_27merge_sort_block_merge_implIS3_PS6_N6thrust23THRUST_200600_302600_NS10device_ptrIlEEmNSB_4lessIS6_EEEE10hipError_tT0_T1_T2_jT3_P12ihipStream_tbPNSt15iterator_traitsISH_E10value_typeEPNSN_ISI_E10value_typeEPSJ_NS1_7vsmem_tEENKUlT_SH_SI_SJ_E_clIS9_S9_PlSD_EESG_SW_SH_SI_SJ_EUlSW_E1_NS1_11comp_targetILNS1_3genE9ELNS1_11target_archE1100ELNS1_3gpuE3ELNS1_3repE0EEENS1_36merge_oddeven_config_static_selectorELNS0_4arch9wavefront6targetE1EEEvSI_,comdat
	.protected	_ZN7rocprim17ROCPRIM_400000_NS6detail17trampoline_kernelINS0_14default_configENS1_38merge_sort_block_merge_config_selectorIN3c108BFloat16ElEEZZNS1_27merge_sort_block_merge_implIS3_PS6_N6thrust23THRUST_200600_302600_NS10device_ptrIlEEmNSB_4lessIS6_EEEE10hipError_tT0_T1_T2_jT3_P12ihipStream_tbPNSt15iterator_traitsISH_E10value_typeEPNSN_ISI_E10value_typeEPSJ_NS1_7vsmem_tEENKUlT_SH_SI_SJ_E_clIS9_S9_PlSD_EESG_SW_SH_SI_SJ_EUlSW_E1_NS1_11comp_targetILNS1_3genE9ELNS1_11target_archE1100ELNS1_3gpuE3ELNS1_3repE0EEENS1_36merge_oddeven_config_static_selectorELNS0_4arch9wavefront6targetE1EEEvSI_ ; -- Begin function _ZN7rocprim17ROCPRIM_400000_NS6detail17trampoline_kernelINS0_14default_configENS1_38merge_sort_block_merge_config_selectorIN3c108BFloat16ElEEZZNS1_27merge_sort_block_merge_implIS3_PS6_N6thrust23THRUST_200600_302600_NS10device_ptrIlEEmNSB_4lessIS6_EEEE10hipError_tT0_T1_T2_jT3_P12ihipStream_tbPNSt15iterator_traitsISH_E10value_typeEPNSN_ISI_E10value_typeEPSJ_NS1_7vsmem_tEENKUlT_SH_SI_SJ_E_clIS9_S9_PlSD_EESG_SW_SH_SI_SJ_EUlSW_E1_NS1_11comp_targetILNS1_3genE9ELNS1_11target_archE1100ELNS1_3gpuE3ELNS1_3repE0EEENS1_36merge_oddeven_config_static_selectorELNS0_4arch9wavefront6targetE1EEEvSI_
	.globl	_ZN7rocprim17ROCPRIM_400000_NS6detail17trampoline_kernelINS0_14default_configENS1_38merge_sort_block_merge_config_selectorIN3c108BFloat16ElEEZZNS1_27merge_sort_block_merge_implIS3_PS6_N6thrust23THRUST_200600_302600_NS10device_ptrIlEEmNSB_4lessIS6_EEEE10hipError_tT0_T1_T2_jT3_P12ihipStream_tbPNSt15iterator_traitsISH_E10value_typeEPNSN_ISI_E10value_typeEPSJ_NS1_7vsmem_tEENKUlT_SH_SI_SJ_E_clIS9_S9_PlSD_EESG_SW_SH_SI_SJ_EUlSW_E1_NS1_11comp_targetILNS1_3genE9ELNS1_11target_archE1100ELNS1_3gpuE3ELNS1_3repE0EEENS1_36merge_oddeven_config_static_selectorELNS0_4arch9wavefront6targetE1EEEvSI_
	.p2align	8
	.type	_ZN7rocprim17ROCPRIM_400000_NS6detail17trampoline_kernelINS0_14default_configENS1_38merge_sort_block_merge_config_selectorIN3c108BFloat16ElEEZZNS1_27merge_sort_block_merge_implIS3_PS6_N6thrust23THRUST_200600_302600_NS10device_ptrIlEEmNSB_4lessIS6_EEEE10hipError_tT0_T1_T2_jT3_P12ihipStream_tbPNSt15iterator_traitsISH_E10value_typeEPNSN_ISI_E10value_typeEPSJ_NS1_7vsmem_tEENKUlT_SH_SI_SJ_E_clIS9_S9_PlSD_EESG_SW_SH_SI_SJ_EUlSW_E1_NS1_11comp_targetILNS1_3genE9ELNS1_11target_archE1100ELNS1_3gpuE3ELNS1_3repE0EEENS1_36merge_oddeven_config_static_selectorELNS0_4arch9wavefront6targetE1EEEvSI_,@function
_ZN7rocprim17ROCPRIM_400000_NS6detail17trampoline_kernelINS0_14default_configENS1_38merge_sort_block_merge_config_selectorIN3c108BFloat16ElEEZZNS1_27merge_sort_block_merge_implIS3_PS6_N6thrust23THRUST_200600_302600_NS10device_ptrIlEEmNSB_4lessIS6_EEEE10hipError_tT0_T1_T2_jT3_P12ihipStream_tbPNSt15iterator_traitsISH_E10value_typeEPNSN_ISI_E10value_typeEPSJ_NS1_7vsmem_tEENKUlT_SH_SI_SJ_E_clIS9_S9_PlSD_EESG_SW_SH_SI_SJ_EUlSW_E1_NS1_11comp_targetILNS1_3genE9ELNS1_11target_archE1100ELNS1_3gpuE3ELNS1_3repE0EEENS1_36merge_oddeven_config_static_selectorELNS0_4arch9wavefront6targetE1EEEvSI_: ; @_ZN7rocprim17ROCPRIM_400000_NS6detail17trampoline_kernelINS0_14default_configENS1_38merge_sort_block_merge_config_selectorIN3c108BFloat16ElEEZZNS1_27merge_sort_block_merge_implIS3_PS6_N6thrust23THRUST_200600_302600_NS10device_ptrIlEEmNSB_4lessIS6_EEEE10hipError_tT0_T1_T2_jT3_P12ihipStream_tbPNSt15iterator_traitsISH_E10value_typeEPNSN_ISI_E10value_typeEPSJ_NS1_7vsmem_tEENKUlT_SH_SI_SJ_E_clIS9_S9_PlSD_EESG_SW_SH_SI_SJ_EUlSW_E1_NS1_11comp_targetILNS1_3genE9ELNS1_11target_archE1100ELNS1_3gpuE3ELNS1_3repE0EEENS1_36merge_oddeven_config_static_selectorELNS0_4arch9wavefront6targetE1EEEvSI_
; %bb.0:
	.section	.rodata,"a",@progbits
	.p2align	6, 0x0
	.amdhsa_kernel _ZN7rocprim17ROCPRIM_400000_NS6detail17trampoline_kernelINS0_14default_configENS1_38merge_sort_block_merge_config_selectorIN3c108BFloat16ElEEZZNS1_27merge_sort_block_merge_implIS3_PS6_N6thrust23THRUST_200600_302600_NS10device_ptrIlEEmNSB_4lessIS6_EEEE10hipError_tT0_T1_T2_jT3_P12ihipStream_tbPNSt15iterator_traitsISH_E10value_typeEPNSN_ISI_E10value_typeEPSJ_NS1_7vsmem_tEENKUlT_SH_SI_SJ_E_clIS9_S9_PlSD_EESG_SW_SH_SI_SJ_EUlSW_E1_NS1_11comp_targetILNS1_3genE9ELNS1_11target_archE1100ELNS1_3gpuE3ELNS1_3repE0EEENS1_36merge_oddeven_config_static_selectorELNS0_4arch9wavefront6targetE1EEEvSI_
		.amdhsa_group_segment_fixed_size 0
		.amdhsa_private_segment_fixed_size 0
		.amdhsa_kernarg_size 56
		.amdhsa_user_sgpr_count 6
		.amdhsa_user_sgpr_private_segment_buffer 1
		.amdhsa_user_sgpr_dispatch_ptr 0
		.amdhsa_user_sgpr_queue_ptr 0
		.amdhsa_user_sgpr_kernarg_segment_ptr 1
		.amdhsa_user_sgpr_dispatch_id 0
		.amdhsa_user_sgpr_flat_scratch_init 0
		.amdhsa_user_sgpr_private_segment_size 0
		.amdhsa_uses_dynamic_stack 0
		.amdhsa_system_sgpr_private_segment_wavefront_offset 0
		.amdhsa_system_sgpr_workgroup_id_x 1
		.amdhsa_system_sgpr_workgroup_id_y 0
		.amdhsa_system_sgpr_workgroup_id_z 0
		.amdhsa_system_sgpr_workgroup_info 0
		.amdhsa_system_vgpr_workitem_id 0
		.amdhsa_next_free_vgpr 1
		.amdhsa_next_free_sgpr 0
		.amdhsa_reserve_vcc 0
		.amdhsa_reserve_flat_scratch 0
		.amdhsa_float_round_mode_32 0
		.amdhsa_float_round_mode_16_64 0
		.amdhsa_float_denorm_mode_32 3
		.amdhsa_float_denorm_mode_16_64 3
		.amdhsa_dx10_clamp 1
		.amdhsa_ieee_mode 1
		.amdhsa_fp16_overflow 0
		.amdhsa_exception_fp_ieee_invalid_op 0
		.amdhsa_exception_fp_denorm_src 0
		.amdhsa_exception_fp_ieee_div_zero 0
		.amdhsa_exception_fp_ieee_overflow 0
		.amdhsa_exception_fp_ieee_underflow 0
		.amdhsa_exception_fp_ieee_inexact 0
		.amdhsa_exception_int_div_zero 0
	.end_amdhsa_kernel
	.section	.text._ZN7rocprim17ROCPRIM_400000_NS6detail17trampoline_kernelINS0_14default_configENS1_38merge_sort_block_merge_config_selectorIN3c108BFloat16ElEEZZNS1_27merge_sort_block_merge_implIS3_PS6_N6thrust23THRUST_200600_302600_NS10device_ptrIlEEmNSB_4lessIS6_EEEE10hipError_tT0_T1_T2_jT3_P12ihipStream_tbPNSt15iterator_traitsISH_E10value_typeEPNSN_ISI_E10value_typeEPSJ_NS1_7vsmem_tEENKUlT_SH_SI_SJ_E_clIS9_S9_PlSD_EESG_SW_SH_SI_SJ_EUlSW_E1_NS1_11comp_targetILNS1_3genE9ELNS1_11target_archE1100ELNS1_3gpuE3ELNS1_3repE0EEENS1_36merge_oddeven_config_static_selectorELNS0_4arch9wavefront6targetE1EEEvSI_,"axG",@progbits,_ZN7rocprim17ROCPRIM_400000_NS6detail17trampoline_kernelINS0_14default_configENS1_38merge_sort_block_merge_config_selectorIN3c108BFloat16ElEEZZNS1_27merge_sort_block_merge_implIS3_PS6_N6thrust23THRUST_200600_302600_NS10device_ptrIlEEmNSB_4lessIS6_EEEE10hipError_tT0_T1_T2_jT3_P12ihipStream_tbPNSt15iterator_traitsISH_E10value_typeEPNSN_ISI_E10value_typeEPSJ_NS1_7vsmem_tEENKUlT_SH_SI_SJ_E_clIS9_S9_PlSD_EESG_SW_SH_SI_SJ_EUlSW_E1_NS1_11comp_targetILNS1_3genE9ELNS1_11target_archE1100ELNS1_3gpuE3ELNS1_3repE0EEENS1_36merge_oddeven_config_static_selectorELNS0_4arch9wavefront6targetE1EEEvSI_,comdat
.Lfunc_end2000:
	.size	_ZN7rocprim17ROCPRIM_400000_NS6detail17trampoline_kernelINS0_14default_configENS1_38merge_sort_block_merge_config_selectorIN3c108BFloat16ElEEZZNS1_27merge_sort_block_merge_implIS3_PS6_N6thrust23THRUST_200600_302600_NS10device_ptrIlEEmNSB_4lessIS6_EEEE10hipError_tT0_T1_T2_jT3_P12ihipStream_tbPNSt15iterator_traitsISH_E10value_typeEPNSN_ISI_E10value_typeEPSJ_NS1_7vsmem_tEENKUlT_SH_SI_SJ_E_clIS9_S9_PlSD_EESG_SW_SH_SI_SJ_EUlSW_E1_NS1_11comp_targetILNS1_3genE9ELNS1_11target_archE1100ELNS1_3gpuE3ELNS1_3repE0EEENS1_36merge_oddeven_config_static_selectorELNS0_4arch9wavefront6targetE1EEEvSI_, .Lfunc_end2000-_ZN7rocprim17ROCPRIM_400000_NS6detail17trampoline_kernelINS0_14default_configENS1_38merge_sort_block_merge_config_selectorIN3c108BFloat16ElEEZZNS1_27merge_sort_block_merge_implIS3_PS6_N6thrust23THRUST_200600_302600_NS10device_ptrIlEEmNSB_4lessIS6_EEEE10hipError_tT0_T1_T2_jT3_P12ihipStream_tbPNSt15iterator_traitsISH_E10value_typeEPNSN_ISI_E10value_typeEPSJ_NS1_7vsmem_tEENKUlT_SH_SI_SJ_E_clIS9_S9_PlSD_EESG_SW_SH_SI_SJ_EUlSW_E1_NS1_11comp_targetILNS1_3genE9ELNS1_11target_archE1100ELNS1_3gpuE3ELNS1_3repE0EEENS1_36merge_oddeven_config_static_selectorELNS0_4arch9wavefront6targetE1EEEvSI_
                                        ; -- End function
	.set _ZN7rocprim17ROCPRIM_400000_NS6detail17trampoline_kernelINS0_14default_configENS1_38merge_sort_block_merge_config_selectorIN3c108BFloat16ElEEZZNS1_27merge_sort_block_merge_implIS3_PS6_N6thrust23THRUST_200600_302600_NS10device_ptrIlEEmNSB_4lessIS6_EEEE10hipError_tT0_T1_T2_jT3_P12ihipStream_tbPNSt15iterator_traitsISH_E10value_typeEPNSN_ISI_E10value_typeEPSJ_NS1_7vsmem_tEENKUlT_SH_SI_SJ_E_clIS9_S9_PlSD_EESG_SW_SH_SI_SJ_EUlSW_E1_NS1_11comp_targetILNS1_3genE9ELNS1_11target_archE1100ELNS1_3gpuE3ELNS1_3repE0EEENS1_36merge_oddeven_config_static_selectorELNS0_4arch9wavefront6targetE1EEEvSI_.num_vgpr, 0
	.set _ZN7rocprim17ROCPRIM_400000_NS6detail17trampoline_kernelINS0_14default_configENS1_38merge_sort_block_merge_config_selectorIN3c108BFloat16ElEEZZNS1_27merge_sort_block_merge_implIS3_PS6_N6thrust23THRUST_200600_302600_NS10device_ptrIlEEmNSB_4lessIS6_EEEE10hipError_tT0_T1_T2_jT3_P12ihipStream_tbPNSt15iterator_traitsISH_E10value_typeEPNSN_ISI_E10value_typeEPSJ_NS1_7vsmem_tEENKUlT_SH_SI_SJ_E_clIS9_S9_PlSD_EESG_SW_SH_SI_SJ_EUlSW_E1_NS1_11comp_targetILNS1_3genE9ELNS1_11target_archE1100ELNS1_3gpuE3ELNS1_3repE0EEENS1_36merge_oddeven_config_static_selectorELNS0_4arch9wavefront6targetE1EEEvSI_.num_agpr, 0
	.set _ZN7rocprim17ROCPRIM_400000_NS6detail17trampoline_kernelINS0_14default_configENS1_38merge_sort_block_merge_config_selectorIN3c108BFloat16ElEEZZNS1_27merge_sort_block_merge_implIS3_PS6_N6thrust23THRUST_200600_302600_NS10device_ptrIlEEmNSB_4lessIS6_EEEE10hipError_tT0_T1_T2_jT3_P12ihipStream_tbPNSt15iterator_traitsISH_E10value_typeEPNSN_ISI_E10value_typeEPSJ_NS1_7vsmem_tEENKUlT_SH_SI_SJ_E_clIS9_S9_PlSD_EESG_SW_SH_SI_SJ_EUlSW_E1_NS1_11comp_targetILNS1_3genE9ELNS1_11target_archE1100ELNS1_3gpuE3ELNS1_3repE0EEENS1_36merge_oddeven_config_static_selectorELNS0_4arch9wavefront6targetE1EEEvSI_.numbered_sgpr, 0
	.set _ZN7rocprim17ROCPRIM_400000_NS6detail17trampoline_kernelINS0_14default_configENS1_38merge_sort_block_merge_config_selectorIN3c108BFloat16ElEEZZNS1_27merge_sort_block_merge_implIS3_PS6_N6thrust23THRUST_200600_302600_NS10device_ptrIlEEmNSB_4lessIS6_EEEE10hipError_tT0_T1_T2_jT3_P12ihipStream_tbPNSt15iterator_traitsISH_E10value_typeEPNSN_ISI_E10value_typeEPSJ_NS1_7vsmem_tEENKUlT_SH_SI_SJ_E_clIS9_S9_PlSD_EESG_SW_SH_SI_SJ_EUlSW_E1_NS1_11comp_targetILNS1_3genE9ELNS1_11target_archE1100ELNS1_3gpuE3ELNS1_3repE0EEENS1_36merge_oddeven_config_static_selectorELNS0_4arch9wavefront6targetE1EEEvSI_.num_named_barrier, 0
	.set _ZN7rocprim17ROCPRIM_400000_NS6detail17trampoline_kernelINS0_14default_configENS1_38merge_sort_block_merge_config_selectorIN3c108BFloat16ElEEZZNS1_27merge_sort_block_merge_implIS3_PS6_N6thrust23THRUST_200600_302600_NS10device_ptrIlEEmNSB_4lessIS6_EEEE10hipError_tT0_T1_T2_jT3_P12ihipStream_tbPNSt15iterator_traitsISH_E10value_typeEPNSN_ISI_E10value_typeEPSJ_NS1_7vsmem_tEENKUlT_SH_SI_SJ_E_clIS9_S9_PlSD_EESG_SW_SH_SI_SJ_EUlSW_E1_NS1_11comp_targetILNS1_3genE9ELNS1_11target_archE1100ELNS1_3gpuE3ELNS1_3repE0EEENS1_36merge_oddeven_config_static_selectorELNS0_4arch9wavefront6targetE1EEEvSI_.private_seg_size, 0
	.set _ZN7rocprim17ROCPRIM_400000_NS6detail17trampoline_kernelINS0_14default_configENS1_38merge_sort_block_merge_config_selectorIN3c108BFloat16ElEEZZNS1_27merge_sort_block_merge_implIS3_PS6_N6thrust23THRUST_200600_302600_NS10device_ptrIlEEmNSB_4lessIS6_EEEE10hipError_tT0_T1_T2_jT3_P12ihipStream_tbPNSt15iterator_traitsISH_E10value_typeEPNSN_ISI_E10value_typeEPSJ_NS1_7vsmem_tEENKUlT_SH_SI_SJ_E_clIS9_S9_PlSD_EESG_SW_SH_SI_SJ_EUlSW_E1_NS1_11comp_targetILNS1_3genE9ELNS1_11target_archE1100ELNS1_3gpuE3ELNS1_3repE0EEENS1_36merge_oddeven_config_static_selectorELNS0_4arch9wavefront6targetE1EEEvSI_.uses_vcc, 0
	.set _ZN7rocprim17ROCPRIM_400000_NS6detail17trampoline_kernelINS0_14default_configENS1_38merge_sort_block_merge_config_selectorIN3c108BFloat16ElEEZZNS1_27merge_sort_block_merge_implIS3_PS6_N6thrust23THRUST_200600_302600_NS10device_ptrIlEEmNSB_4lessIS6_EEEE10hipError_tT0_T1_T2_jT3_P12ihipStream_tbPNSt15iterator_traitsISH_E10value_typeEPNSN_ISI_E10value_typeEPSJ_NS1_7vsmem_tEENKUlT_SH_SI_SJ_E_clIS9_S9_PlSD_EESG_SW_SH_SI_SJ_EUlSW_E1_NS1_11comp_targetILNS1_3genE9ELNS1_11target_archE1100ELNS1_3gpuE3ELNS1_3repE0EEENS1_36merge_oddeven_config_static_selectorELNS0_4arch9wavefront6targetE1EEEvSI_.uses_flat_scratch, 0
	.set _ZN7rocprim17ROCPRIM_400000_NS6detail17trampoline_kernelINS0_14default_configENS1_38merge_sort_block_merge_config_selectorIN3c108BFloat16ElEEZZNS1_27merge_sort_block_merge_implIS3_PS6_N6thrust23THRUST_200600_302600_NS10device_ptrIlEEmNSB_4lessIS6_EEEE10hipError_tT0_T1_T2_jT3_P12ihipStream_tbPNSt15iterator_traitsISH_E10value_typeEPNSN_ISI_E10value_typeEPSJ_NS1_7vsmem_tEENKUlT_SH_SI_SJ_E_clIS9_S9_PlSD_EESG_SW_SH_SI_SJ_EUlSW_E1_NS1_11comp_targetILNS1_3genE9ELNS1_11target_archE1100ELNS1_3gpuE3ELNS1_3repE0EEENS1_36merge_oddeven_config_static_selectorELNS0_4arch9wavefront6targetE1EEEvSI_.has_dyn_sized_stack, 0
	.set _ZN7rocprim17ROCPRIM_400000_NS6detail17trampoline_kernelINS0_14default_configENS1_38merge_sort_block_merge_config_selectorIN3c108BFloat16ElEEZZNS1_27merge_sort_block_merge_implIS3_PS6_N6thrust23THRUST_200600_302600_NS10device_ptrIlEEmNSB_4lessIS6_EEEE10hipError_tT0_T1_T2_jT3_P12ihipStream_tbPNSt15iterator_traitsISH_E10value_typeEPNSN_ISI_E10value_typeEPSJ_NS1_7vsmem_tEENKUlT_SH_SI_SJ_E_clIS9_S9_PlSD_EESG_SW_SH_SI_SJ_EUlSW_E1_NS1_11comp_targetILNS1_3genE9ELNS1_11target_archE1100ELNS1_3gpuE3ELNS1_3repE0EEENS1_36merge_oddeven_config_static_selectorELNS0_4arch9wavefront6targetE1EEEvSI_.has_recursion, 0
	.set _ZN7rocprim17ROCPRIM_400000_NS6detail17trampoline_kernelINS0_14default_configENS1_38merge_sort_block_merge_config_selectorIN3c108BFloat16ElEEZZNS1_27merge_sort_block_merge_implIS3_PS6_N6thrust23THRUST_200600_302600_NS10device_ptrIlEEmNSB_4lessIS6_EEEE10hipError_tT0_T1_T2_jT3_P12ihipStream_tbPNSt15iterator_traitsISH_E10value_typeEPNSN_ISI_E10value_typeEPSJ_NS1_7vsmem_tEENKUlT_SH_SI_SJ_E_clIS9_S9_PlSD_EESG_SW_SH_SI_SJ_EUlSW_E1_NS1_11comp_targetILNS1_3genE9ELNS1_11target_archE1100ELNS1_3gpuE3ELNS1_3repE0EEENS1_36merge_oddeven_config_static_selectorELNS0_4arch9wavefront6targetE1EEEvSI_.has_indirect_call, 0
	.section	.AMDGPU.csdata,"",@progbits
; Kernel info:
; codeLenInByte = 0
; TotalNumSgprs: 4
; NumVgprs: 0
; ScratchSize: 0
; MemoryBound: 0
; FloatMode: 240
; IeeeMode: 1
; LDSByteSize: 0 bytes/workgroup (compile time only)
; SGPRBlocks: 0
; VGPRBlocks: 0
; NumSGPRsForWavesPerEU: 4
; NumVGPRsForWavesPerEU: 1
; Occupancy: 10
; WaveLimiterHint : 0
; COMPUTE_PGM_RSRC2:SCRATCH_EN: 0
; COMPUTE_PGM_RSRC2:USER_SGPR: 6
; COMPUTE_PGM_RSRC2:TRAP_HANDLER: 0
; COMPUTE_PGM_RSRC2:TGID_X_EN: 1
; COMPUTE_PGM_RSRC2:TGID_Y_EN: 0
; COMPUTE_PGM_RSRC2:TGID_Z_EN: 0
; COMPUTE_PGM_RSRC2:TIDIG_COMP_CNT: 0
	.section	.text._ZN7rocprim17ROCPRIM_400000_NS6detail17trampoline_kernelINS0_14default_configENS1_38merge_sort_block_merge_config_selectorIN3c108BFloat16ElEEZZNS1_27merge_sort_block_merge_implIS3_PS6_N6thrust23THRUST_200600_302600_NS10device_ptrIlEEmNSB_4lessIS6_EEEE10hipError_tT0_T1_T2_jT3_P12ihipStream_tbPNSt15iterator_traitsISH_E10value_typeEPNSN_ISI_E10value_typeEPSJ_NS1_7vsmem_tEENKUlT_SH_SI_SJ_E_clIS9_S9_PlSD_EESG_SW_SH_SI_SJ_EUlSW_E1_NS1_11comp_targetILNS1_3genE8ELNS1_11target_archE1030ELNS1_3gpuE2ELNS1_3repE0EEENS1_36merge_oddeven_config_static_selectorELNS0_4arch9wavefront6targetE1EEEvSI_,"axG",@progbits,_ZN7rocprim17ROCPRIM_400000_NS6detail17trampoline_kernelINS0_14default_configENS1_38merge_sort_block_merge_config_selectorIN3c108BFloat16ElEEZZNS1_27merge_sort_block_merge_implIS3_PS6_N6thrust23THRUST_200600_302600_NS10device_ptrIlEEmNSB_4lessIS6_EEEE10hipError_tT0_T1_T2_jT3_P12ihipStream_tbPNSt15iterator_traitsISH_E10value_typeEPNSN_ISI_E10value_typeEPSJ_NS1_7vsmem_tEENKUlT_SH_SI_SJ_E_clIS9_S9_PlSD_EESG_SW_SH_SI_SJ_EUlSW_E1_NS1_11comp_targetILNS1_3genE8ELNS1_11target_archE1030ELNS1_3gpuE2ELNS1_3repE0EEENS1_36merge_oddeven_config_static_selectorELNS0_4arch9wavefront6targetE1EEEvSI_,comdat
	.protected	_ZN7rocprim17ROCPRIM_400000_NS6detail17trampoline_kernelINS0_14default_configENS1_38merge_sort_block_merge_config_selectorIN3c108BFloat16ElEEZZNS1_27merge_sort_block_merge_implIS3_PS6_N6thrust23THRUST_200600_302600_NS10device_ptrIlEEmNSB_4lessIS6_EEEE10hipError_tT0_T1_T2_jT3_P12ihipStream_tbPNSt15iterator_traitsISH_E10value_typeEPNSN_ISI_E10value_typeEPSJ_NS1_7vsmem_tEENKUlT_SH_SI_SJ_E_clIS9_S9_PlSD_EESG_SW_SH_SI_SJ_EUlSW_E1_NS1_11comp_targetILNS1_3genE8ELNS1_11target_archE1030ELNS1_3gpuE2ELNS1_3repE0EEENS1_36merge_oddeven_config_static_selectorELNS0_4arch9wavefront6targetE1EEEvSI_ ; -- Begin function _ZN7rocprim17ROCPRIM_400000_NS6detail17trampoline_kernelINS0_14default_configENS1_38merge_sort_block_merge_config_selectorIN3c108BFloat16ElEEZZNS1_27merge_sort_block_merge_implIS3_PS6_N6thrust23THRUST_200600_302600_NS10device_ptrIlEEmNSB_4lessIS6_EEEE10hipError_tT0_T1_T2_jT3_P12ihipStream_tbPNSt15iterator_traitsISH_E10value_typeEPNSN_ISI_E10value_typeEPSJ_NS1_7vsmem_tEENKUlT_SH_SI_SJ_E_clIS9_S9_PlSD_EESG_SW_SH_SI_SJ_EUlSW_E1_NS1_11comp_targetILNS1_3genE8ELNS1_11target_archE1030ELNS1_3gpuE2ELNS1_3repE0EEENS1_36merge_oddeven_config_static_selectorELNS0_4arch9wavefront6targetE1EEEvSI_
	.globl	_ZN7rocprim17ROCPRIM_400000_NS6detail17trampoline_kernelINS0_14default_configENS1_38merge_sort_block_merge_config_selectorIN3c108BFloat16ElEEZZNS1_27merge_sort_block_merge_implIS3_PS6_N6thrust23THRUST_200600_302600_NS10device_ptrIlEEmNSB_4lessIS6_EEEE10hipError_tT0_T1_T2_jT3_P12ihipStream_tbPNSt15iterator_traitsISH_E10value_typeEPNSN_ISI_E10value_typeEPSJ_NS1_7vsmem_tEENKUlT_SH_SI_SJ_E_clIS9_S9_PlSD_EESG_SW_SH_SI_SJ_EUlSW_E1_NS1_11comp_targetILNS1_3genE8ELNS1_11target_archE1030ELNS1_3gpuE2ELNS1_3repE0EEENS1_36merge_oddeven_config_static_selectorELNS0_4arch9wavefront6targetE1EEEvSI_
	.p2align	8
	.type	_ZN7rocprim17ROCPRIM_400000_NS6detail17trampoline_kernelINS0_14default_configENS1_38merge_sort_block_merge_config_selectorIN3c108BFloat16ElEEZZNS1_27merge_sort_block_merge_implIS3_PS6_N6thrust23THRUST_200600_302600_NS10device_ptrIlEEmNSB_4lessIS6_EEEE10hipError_tT0_T1_T2_jT3_P12ihipStream_tbPNSt15iterator_traitsISH_E10value_typeEPNSN_ISI_E10value_typeEPSJ_NS1_7vsmem_tEENKUlT_SH_SI_SJ_E_clIS9_S9_PlSD_EESG_SW_SH_SI_SJ_EUlSW_E1_NS1_11comp_targetILNS1_3genE8ELNS1_11target_archE1030ELNS1_3gpuE2ELNS1_3repE0EEENS1_36merge_oddeven_config_static_selectorELNS0_4arch9wavefront6targetE1EEEvSI_,@function
_ZN7rocprim17ROCPRIM_400000_NS6detail17trampoline_kernelINS0_14default_configENS1_38merge_sort_block_merge_config_selectorIN3c108BFloat16ElEEZZNS1_27merge_sort_block_merge_implIS3_PS6_N6thrust23THRUST_200600_302600_NS10device_ptrIlEEmNSB_4lessIS6_EEEE10hipError_tT0_T1_T2_jT3_P12ihipStream_tbPNSt15iterator_traitsISH_E10value_typeEPNSN_ISI_E10value_typeEPSJ_NS1_7vsmem_tEENKUlT_SH_SI_SJ_E_clIS9_S9_PlSD_EESG_SW_SH_SI_SJ_EUlSW_E1_NS1_11comp_targetILNS1_3genE8ELNS1_11target_archE1030ELNS1_3gpuE2ELNS1_3repE0EEENS1_36merge_oddeven_config_static_selectorELNS0_4arch9wavefront6targetE1EEEvSI_: ; @_ZN7rocprim17ROCPRIM_400000_NS6detail17trampoline_kernelINS0_14default_configENS1_38merge_sort_block_merge_config_selectorIN3c108BFloat16ElEEZZNS1_27merge_sort_block_merge_implIS3_PS6_N6thrust23THRUST_200600_302600_NS10device_ptrIlEEmNSB_4lessIS6_EEEE10hipError_tT0_T1_T2_jT3_P12ihipStream_tbPNSt15iterator_traitsISH_E10value_typeEPNSN_ISI_E10value_typeEPSJ_NS1_7vsmem_tEENKUlT_SH_SI_SJ_E_clIS9_S9_PlSD_EESG_SW_SH_SI_SJ_EUlSW_E1_NS1_11comp_targetILNS1_3genE8ELNS1_11target_archE1030ELNS1_3gpuE2ELNS1_3repE0EEENS1_36merge_oddeven_config_static_selectorELNS0_4arch9wavefront6targetE1EEEvSI_
; %bb.0:
	.section	.rodata,"a",@progbits
	.p2align	6, 0x0
	.amdhsa_kernel _ZN7rocprim17ROCPRIM_400000_NS6detail17trampoline_kernelINS0_14default_configENS1_38merge_sort_block_merge_config_selectorIN3c108BFloat16ElEEZZNS1_27merge_sort_block_merge_implIS3_PS6_N6thrust23THRUST_200600_302600_NS10device_ptrIlEEmNSB_4lessIS6_EEEE10hipError_tT0_T1_T2_jT3_P12ihipStream_tbPNSt15iterator_traitsISH_E10value_typeEPNSN_ISI_E10value_typeEPSJ_NS1_7vsmem_tEENKUlT_SH_SI_SJ_E_clIS9_S9_PlSD_EESG_SW_SH_SI_SJ_EUlSW_E1_NS1_11comp_targetILNS1_3genE8ELNS1_11target_archE1030ELNS1_3gpuE2ELNS1_3repE0EEENS1_36merge_oddeven_config_static_selectorELNS0_4arch9wavefront6targetE1EEEvSI_
		.amdhsa_group_segment_fixed_size 0
		.amdhsa_private_segment_fixed_size 0
		.amdhsa_kernarg_size 56
		.amdhsa_user_sgpr_count 6
		.amdhsa_user_sgpr_private_segment_buffer 1
		.amdhsa_user_sgpr_dispatch_ptr 0
		.amdhsa_user_sgpr_queue_ptr 0
		.amdhsa_user_sgpr_kernarg_segment_ptr 1
		.amdhsa_user_sgpr_dispatch_id 0
		.amdhsa_user_sgpr_flat_scratch_init 0
		.amdhsa_user_sgpr_private_segment_size 0
		.amdhsa_uses_dynamic_stack 0
		.amdhsa_system_sgpr_private_segment_wavefront_offset 0
		.amdhsa_system_sgpr_workgroup_id_x 1
		.amdhsa_system_sgpr_workgroup_id_y 0
		.amdhsa_system_sgpr_workgroup_id_z 0
		.amdhsa_system_sgpr_workgroup_info 0
		.amdhsa_system_vgpr_workitem_id 0
		.amdhsa_next_free_vgpr 1
		.amdhsa_next_free_sgpr 0
		.amdhsa_reserve_vcc 0
		.amdhsa_reserve_flat_scratch 0
		.amdhsa_float_round_mode_32 0
		.amdhsa_float_round_mode_16_64 0
		.amdhsa_float_denorm_mode_32 3
		.amdhsa_float_denorm_mode_16_64 3
		.amdhsa_dx10_clamp 1
		.amdhsa_ieee_mode 1
		.amdhsa_fp16_overflow 0
		.amdhsa_exception_fp_ieee_invalid_op 0
		.amdhsa_exception_fp_denorm_src 0
		.amdhsa_exception_fp_ieee_div_zero 0
		.amdhsa_exception_fp_ieee_overflow 0
		.amdhsa_exception_fp_ieee_underflow 0
		.amdhsa_exception_fp_ieee_inexact 0
		.amdhsa_exception_int_div_zero 0
	.end_amdhsa_kernel
	.section	.text._ZN7rocprim17ROCPRIM_400000_NS6detail17trampoline_kernelINS0_14default_configENS1_38merge_sort_block_merge_config_selectorIN3c108BFloat16ElEEZZNS1_27merge_sort_block_merge_implIS3_PS6_N6thrust23THRUST_200600_302600_NS10device_ptrIlEEmNSB_4lessIS6_EEEE10hipError_tT0_T1_T2_jT3_P12ihipStream_tbPNSt15iterator_traitsISH_E10value_typeEPNSN_ISI_E10value_typeEPSJ_NS1_7vsmem_tEENKUlT_SH_SI_SJ_E_clIS9_S9_PlSD_EESG_SW_SH_SI_SJ_EUlSW_E1_NS1_11comp_targetILNS1_3genE8ELNS1_11target_archE1030ELNS1_3gpuE2ELNS1_3repE0EEENS1_36merge_oddeven_config_static_selectorELNS0_4arch9wavefront6targetE1EEEvSI_,"axG",@progbits,_ZN7rocprim17ROCPRIM_400000_NS6detail17trampoline_kernelINS0_14default_configENS1_38merge_sort_block_merge_config_selectorIN3c108BFloat16ElEEZZNS1_27merge_sort_block_merge_implIS3_PS6_N6thrust23THRUST_200600_302600_NS10device_ptrIlEEmNSB_4lessIS6_EEEE10hipError_tT0_T1_T2_jT3_P12ihipStream_tbPNSt15iterator_traitsISH_E10value_typeEPNSN_ISI_E10value_typeEPSJ_NS1_7vsmem_tEENKUlT_SH_SI_SJ_E_clIS9_S9_PlSD_EESG_SW_SH_SI_SJ_EUlSW_E1_NS1_11comp_targetILNS1_3genE8ELNS1_11target_archE1030ELNS1_3gpuE2ELNS1_3repE0EEENS1_36merge_oddeven_config_static_selectorELNS0_4arch9wavefront6targetE1EEEvSI_,comdat
.Lfunc_end2001:
	.size	_ZN7rocprim17ROCPRIM_400000_NS6detail17trampoline_kernelINS0_14default_configENS1_38merge_sort_block_merge_config_selectorIN3c108BFloat16ElEEZZNS1_27merge_sort_block_merge_implIS3_PS6_N6thrust23THRUST_200600_302600_NS10device_ptrIlEEmNSB_4lessIS6_EEEE10hipError_tT0_T1_T2_jT3_P12ihipStream_tbPNSt15iterator_traitsISH_E10value_typeEPNSN_ISI_E10value_typeEPSJ_NS1_7vsmem_tEENKUlT_SH_SI_SJ_E_clIS9_S9_PlSD_EESG_SW_SH_SI_SJ_EUlSW_E1_NS1_11comp_targetILNS1_3genE8ELNS1_11target_archE1030ELNS1_3gpuE2ELNS1_3repE0EEENS1_36merge_oddeven_config_static_selectorELNS0_4arch9wavefront6targetE1EEEvSI_, .Lfunc_end2001-_ZN7rocprim17ROCPRIM_400000_NS6detail17trampoline_kernelINS0_14default_configENS1_38merge_sort_block_merge_config_selectorIN3c108BFloat16ElEEZZNS1_27merge_sort_block_merge_implIS3_PS6_N6thrust23THRUST_200600_302600_NS10device_ptrIlEEmNSB_4lessIS6_EEEE10hipError_tT0_T1_T2_jT3_P12ihipStream_tbPNSt15iterator_traitsISH_E10value_typeEPNSN_ISI_E10value_typeEPSJ_NS1_7vsmem_tEENKUlT_SH_SI_SJ_E_clIS9_S9_PlSD_EESG_SW_SH_SI_SJ_EUlSW_E1_NS1_11comp_targetILNS1_3genE8ELNS1_11target_archE1030ELNS1_3gpuE2ELNS1_3repE0EEENS1_36merge_oddeven_config_static_selectorELNS0_4arch9wavefront6targetE1EEEvSI_
                                        ; -- End function
	.set _ZN7rocprim17ROCPRIM_400000_NS6detail17trampoline_kernelINS0_14default_configENS1_38merge_sort_block_merge_config_selectorIN3c108BFloat16ElEEZZNS1_27merge_sort_block_merge_implIS3_PS6_N6thrust23THRUST_200600_302600_NS10device_ptrIlEEmNSB_4lessIS6_EEEE10hipError_tT0_T1_T2_jT3_P12ihipStream_tbPNSt15iterator_traitsISH_E10value_typeEPNSN_ISI_E10value_typeEPSJ_NS1_7vsmem_tEENKUlT_SH_SI_SJ_E_clIS9_S9_PlSD_EESG_SW_SH_SI_SJ_EUlSW_E1_NS1_11comp_targetILNS1_3genE8ELNS1_11target_archE1030ELNS1_3gpuE2ELNS1_3repE0EEENS1_36merge_oddeven_config_static_selectorELNS0_4arch9wavefront6targetE1EEEvSI_.num_vgpr, 0
	.set _ZN7rocprim17ROCPRIM_400000_NS6detail17trampoline_kernelINS0_14default_configENS1_38merge_sort_block_merge_config_selectorIN3c108BFloat16ElEEZZNS1_27merge_sort_block_merge_implIS3_PS6_N6thrust23THRUST_200600_302600_NS10device_ptrIlEEmNSB_4lessIS6_EEEE10hipError_tT0_T1_T2_jT3_P12ihipStream_tbPNSt15iterator_traitsISH_E10value_typeEPNSN_ISI_E10value_typeEPSJ_NS1_7vsmem_tEENKUlT_SH_SI_SJ_E_clIS9_S9_PlSD_EESG_SW_SH_SI_SJ_EUlSW_E1_NS1_11comp_targetILNS1_3genE8ELNS1_11target_archE1030ELNS1_3gpuE2ELNS1_3repE0EEENS1_36merge_oddeven_config_static_selectorELNS0_4arch9wavefront6targetE1EEEvSI_.num_agpr, 0
	.set _ZN7rocprim17ROCPRIM_400000_NS6detail17trampoline_kernelINS0_14default_configENS1_38merge_sort_block_merge_config_selectorIN3c108BFloat16ElEEZZNS1_27merge_sort_block_merge_implIS3_PS6_N6thrust23THRUST_200600_302600_NS10device_ptrIlEEmNSB_4lessIS6_EEEE10hipError_tT0_T1_T2_jT3_P12ihipStream_tbPNSt15iterator_traitsISH_E10value_typeEPNSN_ISI_E10value_typeEPSJ_NS1_7vsmem_tEENKUlT_SH_SI_SJ_E_clIS9_S9_PlSD_EESG_SW_SH_SI_SJ_EUlSW_E1_NS1_11comp_targetILNS1_3genE8ELNS1_11target_archE1030ELNS1_3gpuE2ELNS1_3repE0EEENS1_36merge_oddeven_config_static_selectorELNS0_4arch9wavefront6targetE1EEEvSI_.numbered_sgpr, 0
	.set _ZN7rocprim17ROCPRIM_400000_NS6detail17trampoline_kernelINS0_14default_configENS1_38merge_sort_block_merge_config_selectorIN3c108BFloat16ElEEZZNS1_27merge_sort_block_merge_implIS3_PS6_N6thrust23THRUST_200600_302600_NS10device_ptrIlEEmNSB_4lessIS6_EEEE10hipError_tT0_T1_T2_jT3_P12ihipStream_tbPNSt15iterator_traitsISH_E10value_typeEPNSN_ISI_E10value_typeEPSJ_NS1_7vsmem_tEENKUlT_SH_SI_SJ_E_clIS9_S9_PlSD_EESG_SW_SH_SI_SJ_EUlSW_E1_NS1_11comp_targetILNS1_3genE8ELNS1_11target_archE1030ELNS1_3gpuE2ELNS1_3repE0EEENS1_36merge_oddeven_config_static_selectorELNS0_4arch9wavefront6targetE1EEEvSI_.num_named_barrier, 0
	.set _ZN7rocprim17ROCPRIM_400000_NS6detail17trampoline_kernelINS0_14default_configENS1_38merge_sort_block_merge_config_selectorIN3c108BFloat16ElEEZZNS1_27merge_sort_block_merge_implIS3_PS6_N6thrust23THRUST_200600_302600_NS10device_ptrIlEEmNSB_4lessIS6_EEEE10hipError_tT0_T1_T2_jT3_P12ihipStream_tbPNSt15iterator_traitsISH_E10value_typeEPNSN_ISI_E10value_typeEPSJ_NS1_7vsmem_tEENKUlT_SH_SI_SJ_E_clIS9_S9_PlSD_EESG_SW_SH_SI_SJ_EUlSW_E1_NS1_11comp_targetILNS1_3genE8ELNS1_11target_archE1030ELNS1_3gpuE2ELNS1_3repE0EEENS1_36merge_oddeven_config_static_selectorELNS0_4arch9wavefront6targetE1EEEvSI_.private_seg_size, 0
	.set _ZN7rocprim17ROCPRIM_400000_NS6detail17trampoline_kernelINS0_14default_configENS1_38merge_sort_block_merge_config_selectorIN3c108BFloat16ElEEZZNS1_27merge_sort_block_merge_implIS3_PS6_N6thrust23THRUST_200600_302600_NS10device_ptrIlEEmNSB_4lessIS6_EEEE10hipError_tT0_T1_T2_jT3_P12ihipStream_tbPNSt15iterator_traitsISH_E10value_typeEPNSN_ISI_E10value_typeEPSJ_NS1_7vsmem_tEENKUlT_SH_SI_SJ_E_clIS9_S9_PlSD_EESG_SW_SH_SI_SJ_EUlSW_E1_NS1_11comp_targetILNS1_3genE8ELNS1_11target_archE1030ELNS1_3gpuE2ELNS1_3repE0EEENS1_36merge_oddeven_config_static_selectorELNS0_4arch9wavefront6targetE1EEEvSI_.uses_vcc, 0
	.set _ZN7rocprim17ROCPRIM_400000_NS6detail17trampoline_kernelINS0_14default_configENS1_38merge_sort_block_merge_config_selectorIN3c108BFloat16ElEEZZNS1_27merge_sort_block_merge_implIS3_PS6_N6thrust23THRUST_200600_302600_NS10device_ptrIlEEmNSB_4lessIS6_EEEE10hipError_tT0_T1_T2_jT3_P12ihipStream_tbPNSt15iterator_traitsISH_E10value_typeEPNSN_ISI_E10value_typeEPSJ_NS1_7vsmem_tEENKUlT_SH_SI_SJ_E_clIS9_S9_PlSD_EESG_SW_SH_SI_SJ_EUlSW_E1_NS1_11comp_targetILNS1_3genE8ELNS1_11target_archE1030ELNS1_3gpuE2ELNS1_3repE0EEENS1_36merge_oddeven_config_static_selectorELNS0_4arch9wavefront6targetE1EEEvSI_.uses_flat_scratch, 0
	.set _ZN7rocprim17ROCPRIM_400000_NS6detail17trampoline_kernelINS0_14default_configENS1_38merge_sort_block_merge_config_selectorIN3c108BFloat16ElEEZZNS1_27merge_sort_block_merge_implIS3_PS6_N6thrust23THRUST_200600_302600_NS10device_ptrIlEEmNSB_4lessIS6_EEEE10hipError_tT0_T1_T2_jT3_P12ihipStream_tbPNSt15iterator_traitsISH_E10value_typeEPNSN_ISI_E10value_typeEPSJ_NS1_7vsmem_tEENKUlT_SH_SI_SJ_E_clIS9_S9_PlSD_EESG_SW_SH_SI_SJ_EUlSW_E1_NS1_11comp_targetILNS1_3genE8ELNS1_11target_archE1030ELNS1_3gpuE2ELNS1_3repE0EEENS1_36merge_oddeven_config_static_selectorELNS0_4arch9wavefront6targetE1EEEvSI_.has_dyn_sized_stack, 0
	.set _ZN7rocprim17ROCPRIM_400000_NS6detail17trampoline_kernelINS0_14default_configENS1_38merge_sort_block_merge_config_selectorIN3c108BFloat16ElEEZZNS1_27merge_sort_block_merge_implIS3_PS6_N6thrust23THRUST_200600_302600_NS10device_ptrIlEEmNSB_4lessIS6_EEEE10hipError_tT0_T1_T2_jT3_P12ihipStream_tbPNSt15iterator_traitsISH_E10value_typeEPNSN_ISI_E10value_typeEPSJ_NS1_7vsmem_tEENKUlT_SH_SI_SJ_E_clIS9_S9_PlSD_EESG_SW_SH_SI_SJ_EUlSW_E1_NS1_11comp_targetILNS1_3genE8ELNS1_11target_archE1030ELNS1_3gpuE2ELNS1_3repE0EEENS1_36merge_oddeven_config_static_selectorELNS0_4arch9wavefront6targetE1EEEvSI_.has_recursion, 0
	.set _ZN7rocprim17ROCPRIM_400000_NS6detail17trampoline_kernelINS0_14default_configENS1_38merge_sort_block_merge_config_selectorIN3c108BFloat16ElEEZZNS1_27merge_sort_block_merge_implIS3_PS6_N6thrust23THRUST_200600_302600_NS10device_ptrIlEEmNSB_4lessIS6_EEEE10hipError_tT0_T1_T2_jT3_P12ihipStream_tbPNSt15iterator_traitsISH_E10value_typeEPNSN_ISI_E10value_typeEPSJ_NS1_7vsmem_tEENKUlT_SH_SI_SJ_E_clIS9_S9_PlSD_EESG_SW_SH_SI_SJ_EUlSW_E1_NS1_11comp_targetILNS1_3genE8ELNS1_11target_archE1030ELNS1_3gpuE2ELNS1_3repE0EEENS1_36merge_oddeven_config_static_selectorELNS0_4arch9wavefront6targetE1EEEvSI_.has_indirect_call, 0
	.section	.AMDGPU.csdata,"",@progbits
; Kernel info:
; codeLenInByte = 0
; TotalNumSgprs: 4
; NumVgprs: 0
; ScratchSize: 0
; MemoryBound: 0
; FloatMode: 240
; IeeeMode: 1
; LDSByteSize: 0 bytes/workgroup (compile time only)
; SGPRBlocks: 0
; VGPRBlocks: 0
; NumSGPRsForWavesPerEU: 4
; NumVGPRsForWavesPerEU: 1
; Occupancy: 10
; WaveLimiterHint : 0
; COMPUTE_PGM_RSRC2:SCRATCH_EN: 0
; COMPUTE_PGM_RSRC2:USER_SGPR: 6
; COMPUTE_PGM_RSRC2:TRAP_HANDLER: 0
; COMPUTE_PGM_RSRC2:TGID_X_EN: 1
; COMPUTE_PGM_RSRC2:TGID_Y_EN: 0
; COMPUTE_PGM_RSRC2:TGID_Z_EN: 0
; COMPUTE_PGM_RSRC2:TIDIG_COMP_CNT: 0
	.section	.text._ZN7rocprim17ROCPRIM_400000_NS6detail17trampoline_kernelINS0_14default_configENS1_38merge_sort_block_merge_config_selectorIN3c108BFloat16ElEEZZNS1_27merge_sort_block_merge_implIS3_PS6_N6thrust23THRUST_200600_302600_NS10device_ptrIlEEmNSB_4lessIS6_EEEE10hipError_tT0_T1_T2_jT3_P12ihipStream_tbPNSt15iterator_traitsISH_E10value_typeEPNSN_ISI_E10value_typeEPSJ_NS1_7vsmem_tEENKUlT_SH_SI_SJ_E_clIS9_S9_SD_PlEESG_SW_SH_SI_SJ_EUlSW_E_NS1_11comp_targetILNS1_3genE0ELNS1_11target_archE4294967295ELNS1_3gpuE0ELNS1_3repE0EEENS1_48merge_mergepath_partition_config_static_selectorELNS0_4arch9wavefront6targetE1EEEvSI_,"axG",@progbits,_ZN7rocprim17ROCPRIM_400000_NS6detail17trampoline_kernelINS0_14default_configENS1_38merge_sort_block_merge_config_selectorIN3c108BFloat16ElEEZZNS1_27merge_sort_block_merge_implIS3_PS6_N6thrust23THRUST_200600_302600_NS10device_ptrIlEEmNSB_4lessIS6_EEEE10hipError_tT0_T1_T2_jT3_P12ihipStream_tbPNSt15iterator_traitsISH_E10value_typeEPNSN_ISI_E10value_typeEPSJ_NS1_7vsmem_tEENKUlT_SH_SI_SJ_E_clIS9_S9_SD_PlEESG_SW_SH_SI_SJ_EUlSW_E_NS1_11comp_targetILNS1_3genE0ELNS1_11target_archE4294967295ELNS1_3gpuE0ELNS1_3repE0EEENS1_48merge_mergepath_partition_config_static_selectorELNS0_4arch9wavefront6targetE1EEEvSI_,comdat
	.protected	_ZN7rocprim17ROCPRIM_400000_NS6detail17trampoline_kernelINS0_14default_configENS1_38merge_sort_block_merge_config_selectorIN3c108BFloat16ElEEZZNS1_27merge_sort_block_merge_implIS3_PS6_N6thrust23THRUST_200600_302600_NS10device_ptrIlEEmNSB_4lessIS6_EEEE10hipError_tT0_T1_T2_jT3_P12ihipStream_tbPNSt15iterator_traitsISH_E10value_typeEPNSN_ISI_E10value_typeEPSJ_NS1_7vsmem_tEENKUlT_SH_SI_SJ_E_clIS9_S9_SD_PlEESG_SW_SH_SI_SJ_EUlSW_E_NS1_11comp_targetILNS1_3genE0ELNS1_11target_archE4294967295ELNS1_3gpuE0ELNS1_3repE0EEENS1_48merge_mergepath_partition_config_static_selectorELNS0_4arch9wavefront6targetE1EEEvSI_ ; -- Begin function _ZN7rocprim17ROCPRIM_400000_NS6detail17trampoline_kernelINS0_14default_configENS1_38merge_sort_block_merge_config_selectorIN3c108BFloat16ElEEZZNS1_27merge_sort_block_merge_implIS3_PS6_N6thrust23THRUST_200600_302600_NS10device_ptrIlEEmNSB_4lessIS6_EEEE10hipError_tT0_T1_T2_jT3_P12ihipStream_tbPNSt15iterator_traitsISH_E10value_typeEPNSN_ISI_E10value_typeEPSJ_NS1_7vsmem_tEENKUlT_SH_SI_SJ_E_clIS9_S9_SD_PlEESG_SW_SH_SI_SJ_EUlSW_E_NS1_11comp_targetILNS1_3genE0ELNS1_11target_archE4294967295ELNS1_3gpuE0ELNS1_3repE0EEENS1_48merge_mergepath_partition_config_static_selectorELNS0_4arch9wavefront6targetE1EEEvSI_
	.globl	_ZN7rocprim17ROCPRIM_400000_NS6detail17trampoline_kernelINS0_14default_configENS1_38merge_sort_block_merge_config_selectorIN3c108BFloat16ElEEZZNS1_27merge_sort_block_merge_implIS3_PS6_N6thrust23THRUST_200600_302600_NS10device_ptrIlEEmNSB_4lessIS6_EEEE10hipError_tT0_T1_T2_jT3_P12ihipStream_tbPNSt15iterator_traitsISH_E10value_typeEPNSN_ISI_E10value_typeEPSJ_NS1_7vsmem_tEENKUlT_SH_SI_SJ_E_clIS9_S9_SD_PlEESG_SW_SH_SI_SJ_EUlSW_E_NS1_11comp_targetILNS1_3genE0ELNS1_11target_archE4294967295ELNS1_3gpuE0ELNS1_3repE0EEENS1_48merge_mergepath_partition_config_static_selectorELNS0_4arch9wavefront6targetE1EEEvSI_
	.p2align	8
	.type	_ZN7rocprim17ROCPRIM_400000_NS6detail17trampoline_kernelINS0_14default_configENS1_38merge_sort_block_merge_config_selectorIN3c108BFloat16ElEEZZNS1_27merge_sort_block_merge_implIS3_PS6_N6thrust23THRUST_200600_302600_NS10device_ptrIlEEmNSB_4lessIS6_EEEE10hipError_tT0_T1_T2_jT3_P12ihipStream_tbPNSt15iterator_traitsISH_E10value_typeEPNSN_ISI_E10value_typeEPSJ_NS1_7vsmem_tEENKUlT_SH_SI_SJ_E_clIS9_S9_SD_PlEESG_SW_SH_SI_SJ_EUlSW_E_NS1_11comp_targetILNS1_3genE0ELNS1_11target_archE4294967295ELNS1_3gpuE0ELNS1_3repE0EEENS1_48merge_mergepath_partition_config_static_selectorELNS0_4arch9wavefront6targetE1EEEvSI_,@function
_ZN7rocprim17ROCPRIM_400000_NS6detail17trampoline_kernelINS0_14default_configENS1_38merge_sort_block_merge_config_selectorIN3c108BFloat16ElEEZZNS1_27merge_sort_block_merge_implIS3_PS6_N6thrust23THRUST_200600_302600_NS10device_ptrIlEEmNSB_4lessIS6_EEEE10hipError_tT0_T1_T2_jT3_P12ihipStream_tbPNSt15iterator_traitsISH_E10value_typeEPNSN_ISI_E10value_typeEPSJ_NS1_7vsmem_tEENKUlT_SH_SI_SJ_E_clIS9_S9_SD_PlEESG_SW_SH_SI_SJ_EUlSW_E_NS1_11comp_targetILNS1_3genE0ELNS1_11target_archE4294967295ELNS1_3gpuE0ELNS1_3repE0EEENS1_48merge_mergepath_partition_config_static_selectorELNS0_4arch9wavefront6targetE1EEEvSI_: ; @_ZN7rocprim17ROCPRIM_400000_NS6detail17trampoline_kernelINS0_14default_configENS1_38merge_sort_block_merge_config_selectorIN3c108BFloat16ElEEZZNS1_27merge_sort_block_merge_implIS3_PS6_N6thrust23THRUST_200600_302600_NS10device_ptrIlEEmNSB_4lessIS6_EEEE10hipError_tT0_T1_T2_jT3_P12ihipStream_tbPNSt15iterator_traitsISH_E10value_typeEPNSN_ISI_E10value_typeEPSJ_NS1_7vsmem_tEENKUlT_SH_SI_SJ_E_clIS9_S9_SD_PlEESG_SW_SH_SI_SJ_EUlSW_E_NS1_11comp_targetILNS1_3genE0ELNS1_11target_archE4294967295ELNS1_3gpuE0ELNS1_3repE0EEENS1_48merge_mergepath_partition_config_static_selectorELNS0_4arch9wavefront6targetE1EEEvSI_
; %bb.0:
	.section	.rodata,"a",@progbits
	.p2align	6, 0x0
	.amdhsa_kernel _ZN7rocprim17ROCPRIM_400000_NS6detail17trampoline_kernelINS0_14default_configENS1_38merge_sort_block_merge_config_selectorIN3c108BFloat16ElEEZZNS1_27merge_sort_block_merge_implIS3_PS6_N6thrust23THRUST_200600_302600_NS10device_ptrIlEEmNSB_4lessIS6_EEEE10hipError_tT0_T1_T2_jT3_P12ihipStream_tbPNSt15iterator_traitsISH_E10value_typeEPNSN_ISI_E10value_typeEPSJ_NS1_7vsmem_tEENKUlT_SH_SI_SJ_E_clIS9_S9_SD_PlEESG_SW_SH_SI_SJ_EUlSW_E_NS1_11comp_targetILNS1_3genE0ELNS1_11target_archE4294967295ELNS1_3gpuE0ELNS1_3repE0EEENS1_48merge_mergepath_partition_config_static_selectorELNS0_4arch9wavefront6targetE1EEEvSI_
		.amdhsa_group_segment_fixed_size 0
		.amdhsa_private_segment_fixed_size 0
		.amdhsa_kernarg_size 48
		.amdhsa_user_sgpr_count 6
		.amdhsa_user_sgpr_private_segment_buffer 1
		.amdhsa_user_sgpr_dispatch_ptr 0
		.amdhsa_user_sgpr_queue_ptr 0
		.amdhsa_user_sgpr_kernarg_segment_ptr 1
		.amdhsa_user_sgpr_dispatch_id 0
		.amdhsa_user_sgpr_flat_scratch_init 0
		.amdhsa_user_sgpr_private_segment_size 0
		.amdhsa_uses_dynamic_stack 0
		.amdhsa_system_sgpr_private_segment_wavefront_offset 0
		.amdhsa_system_sgpr_workgroup_id_x 1
		.amdhsa_system_sgpr_workgroup_id_y 0
		.amdhsa_system_sgpr_workgroup_id_z 0
		.amdhsa_system_sgpr_workgroup_info 0
		.amdhsa_system_vgpr_workitem_id 0
		.amdhsa_next_free_vgpr 1
		.amdhsa_next_free_sgpr 0
		.amdhsa_reserve_vcc 0
		.amdhsa_reserve_flat_scratch 0
		.amdhsa_float_round_mode_32 0
		.amdhsa_float_round_mode_16_64 0
		.amdhsa_float_denorm_mode_32 3
		.amdhsa_float_denorm_mode_16_64 3
		.amdhsa_dx10_clamp 1
		.amdhsa_ieee_mode 1
		.amdhsa_fp16_overflow 0
		.amdhsa_exception_fp_ieee_invalid_op 0
		.amdhsa_exception_fp_denorm_src 0
		.amdhsa_exception_fp_ieee_div_zero 0
		.amdhsa_exception_fp_ieee_overflow 0
		.amdhsa_exception_fp_ieee_underflow 0
		.amdhsa_exception_fp_ieee_inexact 0
		.amdhsa_exception_int_div_zero 0
	.end_amdhsa_kernel
	.section	.text._ZN7rocprim17ROCPRIM_400000_NS6detail17trampoline_kernelINS0_14default_configENS1_38merge_sort_block_merge_config_selectorIN3c108BFloat16ElEEZZNS1_27merge_sort_block_merge_implIS3_PS6_N6thrust23THRUST_200600_302600_NS10device_ptrIlEEmNSB_4lessIS6_EEEE10hipError_tT0_T1_T2_jT3_P12ihipStream_tbPNSt15iterator_traitsISH_E10value_typeEPNSN_ISI_E10value_typeEPSJ_NS1_7vsmem_tEENKUlT_SH_SI_SJ_E_clIS9_S9_SD_PlEESG_SW_SH_SI_SJ_EUlSW_E_NS1_11comp_targetILNS1_3genE0ELNS1_11target_archE4294967295ELNS1_3gpuE0ELNS1_3repE0EEENS1_48merge_mergepath_partition_config_static_selectorELNS0_4arch9wavefront6targetE1EEEvSI_,"axG",@progbits,_ZN7rocprim17ROCPRIM_400000_NS6detail17trampoline_kernelINS0_14default_configENS1_38merge_sort_block_merge_config_selectorIN3c108BFloat16ElEEZZNS1_27merge_sort_block_merge_implIS3_PS6_N6thrust23THRUST_200600_302600_NS10device_ptrIlEEmNSB_4lessIS6_EEEE10hipError_tT0_T1_T2_jT3_P12ihipStream_tbPNSt15iterator_traitsISH_E10value_typeEPNSN_ISI_E10value_typeEPSJ_NS1_7vsmem_tEENKUlT_SH_SI_SJ_E_clIS9_S9_SD_PlEESG_SW_SH_SI_SJ_EUlSW_E_NS1_11comp_targetILNS1_3genE0ELNS1_11target_archE4294967295ELNS1_3gpuE0ELNS1_3repE0EEENS1_48merge_mergepath_partition_config_static_selectorELNS0_4arch9wavefront6targetE1EEEvSI_,comdat
.Lfunc_end2002:
	.size	_ZN7rocprim17ROCPRIM_400000_NS6detail17trampoline_kernelINS0_14default_configENS1_38merge_sort_block_merge_config_selectorIN3c108BFloat16ElEEZZNS1_27merge_sort_block_merge_implIS3_PS6_N6thrust23THRUST_200600_302600_NS10device_ptrIlEEmNSB_4lessIS6_EEEE10hipError_tT0_T1_T2_jT3_P12ihipStream_tbPNSt15iterator_traitsISH_E10value_typeEPNSN_ISI_E10value_typeEPSJ_NS1_7vsmem_tEENKUlT_SH_SI_SJ_E_clIS9_S9_SD_PlEESG_SW_SH_SI_SJ_EUlSW_E_NS1_11comp_targetILNS1_3genE0ELNS1_11target_archE4294967295ELNS1_3gpuE0ELNS1_3repE0EEENS1_48merge_mergepath_partition_config_static_selectorELNS0_4arch9wavefront6targetE1EEEvSI_, .Lfunc_end2002-_ZN7rocprim17ROCPRIM_400000_NS6detail17trampoline_kernelINS0_14default_configENS1_38merge_sort_block_merge_config_selectorIN3c108BFloat16ElEEZZNS1_27merge_sort_block_merge_implIS3_PS6_N6thrust23THRUST_200600_302600_NS10device_ptrIlEEmNSB_4lessIS6_EEEE10hipError_tT0_T1_T2_jT3_P12ihipStream_tbPNSt15iterator_traitsISH_E10value_typeEPNSN_ISI_E10value_typeEPSJ_NS1_7vsmem_tEENKUlT_SH_SI_SJ_E_clIS9_S9_SD_PlEESG_SW_SH_SI_SJ_EUlSW_E_NS1_11comp_targetILNS1_3genE0ELNS1_11target_archE4294967295ELNS1_3gpuE0ELNS1_3repE0EEENS1_48merge_mergepath_partition_config_static_selectorELNS0_4arch9wavefront6targetE1EEEvSI_
                                        ; -- End function
	.set _ZN7rocprim17ROCPRIM_400000_NS6detail17trampoline_kernelINS0_14default_configENS1_38merge_sort_block_merge_config_selectorIN3c108BFloat16ElEEZZNS1_27merge_sort_block_merge_implIS3_PS6_N6thrust23THRUST_200600_302600_NS10device_ptrIlEEmNSB_4lessIS6_EEEE10hipError_tT0_T1_T2_jT3_P12ihipStream_tbPNSt15iterator_traitsISH_E10value_typeEPNSN_ISI_E10value_typeEPSJ_NS1_7vsmem_tEENKUlT_SH_SI_SJ_E_clIS9_S9_SD_PlEESG_SW_SH_SI_SJ_EUlSW_E_NS1_11comp_targetILNS1_3genE0ELNS1_11target_archE4294967295ELNS1_3gpuE0ELNS1_3repE0EEENS1_48merge_mergepath_partition_config_static_selectorELNS0_4arch9wavefront6targetE1EEEvSI_.num_vgpr, 0
	.set _ZN7rocprim17ROCPRIM_400000_NS6detail17trampoline_kernelINS0_14default_configENS1_38merge_sort_block_merge_config_selectorIN3c108BFloat16ElEEZZNS1_27merge_sort_block_merge_implIS3_PS6_N6thrust23THRUST_200600_302600_NS10device_ptrIlEEmNSB_4lessIS6_EEEE10hipError_tT0_T1_T2_jT3_P12ihipStream_tbPNSt15iterator_traitsISH_E10value_typeEPNSN_ISI_E10value_typeEPSJ_NS1_7vsmem_tEENKUlT_SH_SI_SJ_E_clIS9_S9_SD_PlEESG_SW_SH_SI_SJ_EUlSW_E_NS1_11comp_targetILNS1_3genE0ELNS1_11target_archE4294967295ELNS1_3gpuE0ELNS1_3repE0EEENS1_48merge_mergepath_partition_config_static_selectorELNS0_4arch9wavefront6targetE1EEEvSI_.num_agpr, 0
	.set _ZN7rocprim17ROCPRIM_400000_NS6detail17trampoline_kernelINS0_14default_configENS1_38merge_sort_block_merge_config_selectorIN3c108BFloat16ElEEZZNS1_27merge_sort_block_merge_implIS3_PS6_N6thrust23THRUST_200600_302600_NS10device_ptrIlEEmNSB_4lessIS6_EEEE10hipError_tT0_T1_T2_jT3_P12ihipStream_tbPNSt15iterator_traitsISH_E10value_typeEPNSN_ISI_E10value_typeEPSJ_NS1_7vsmem_tEENKUlT_SH_SI_SJ_E_clIS9_S9_SD_PlEESG_SW_SH_SI_SJ_EUlSW_E_NS1_11comp_targetILNS1_3genE0ELNS1_11target_archE4294967295ELNS1_3gpuE0ELNS1_3repE0EEENS1_48merge_mergepath_partition_config_static_selectorELNS0_4arch9wavefront6targetE1EEEvSI_.numbered_sgpr, 0
	.set _ZN7rocprim17ROCPRIM_400000_NS6detail17trampoline_kernelINS0_14default_configENS1_38merge_sort_block_merge_config_selectorIN3c108BFloat16ElEEZZNS1_27merge_sort_block_merge_implIS3_PS6_N6thrust23THRUST_200600_302600_NS10device_ptrIlEEmNSB_4lessIS6_EEEE10hipError_tT0_T1_T2_jT3_P12ihipStream_tbPNSt15iterator_traitsISH_E10value_typeEPNSN_ISI_E10value_typeEPSJ_NS1_7vsmem_tEENKUlT_SH_SI_SJ_E_clIS9_S9_SD_PlEESG_SW_SH_SI_SJ_EUlSW_E_NS1_11comp_targetILNS1_3genE0ELNS1_11target_archE4294967295ELNS1_3gpuE0ELNS1_3repE0EEENS1_48merge_mergepath_partition_config_static_selectorELNS0_4arch9wavefront6targetE1EEEvSI_.num_named_barrier, 0
	.set _ZN7rocprim17ROCPRIM_400000_NS6detail17trampoline_kernelINS0_14default_configENS1_38merge_sort_block_merge_config_selectorIN3c108BFloat16ElEEZZNS1_27merge_sort_block_merge_implIS3_PS6_N6thrust23THRUST_200600_302600_NS10device_ptrIlEEmNSB_4lessIS6_EEEE10hipError_tT0_T1_T2_jT3_P12ihipStream_tbPNSt15iterator_traitsISH_E10value_typeEPNSN_ISI_E10value_typeEPSJ_NS1_7vsmem_tEENKUlT_SH_SI_SJ_E_clIS9_S9_SD_PlEESG_SW_SH_SI_SJ_EUlSW_E_NS1_11comp_targetILNS1_3genE0ELNS1_11target_archE4294967295ELNS1_3gpuE0ELNS1_3repE0EEENS1_48merge_mergepath_partition_config_static_selectorELNS0_4arch9wavefront6targetE1EEEvSI_.private_seg_size, 0
	.set _ZN7rocprim17ROCPRIM_400000_NS6detail17trampoline_kernelINS0_14default_configENS1_38merge_sort_block_merge_config_selectorIN3c108BFloat16ElEEZZNS1_27merge_sort_block_merge_implIS3_PS6_N6thrust23THRUST_200600_302600_NS10device_ptrIlEEmNSB_4lessIS6_EEEE10hipError_tT0_T1_T2_jT3_P12ihipStream_tbPNSt15iterator_traitsISH_E10value_typeEPNSN_ISI_E10value_typeEPSJ_NS1_7vsmem_tEENKUlT_SH_SI_SJ_E_clIS9_S9_SD_PlEESG_SW_SH_SI_SJ_EUlSW_E_NS1_11comp_targetILNS1_3genE0ELNS1_11target_archE4294967295ELNS1_3gpuE0ELNS1_3repE0EEENS1_48merge_mergepath_partition_config_static_selectorELNS0_4arch9wavefront6targetE1EEEvSI_.uses_vcc, 0
	.set _ZN7rocprim17ROCPRIM_400000_NS6detail17trampoline_kernelINS0_14default_configENS1_38merge_sort_block_merge_config_selectorIN3c108BFloat16ElEEZZNS1_27merge_sort_block_merge_implIS3_PS6_N6thrust23THRUST_200600_302600_NS10device_ptrIlEEmNSB_4lessIS6_EEEE10hipError_tT0_T1_T2_jT3_P12ihipStream_tbPNSt15iterator_traitsISH_E10value_typeEPNSN_ISI_E10value_typeEPSJ_NS1_7vsmem_tEENKUlT_SH_SI_SJ_E_clIS9_S9_SD_PlEESG_SW_SH_SI_SJ_EUlSW_E_NS1_11comp_targetILNS1_3genE0ELNS1_11target_archE4294967295ELNS1_3gpuE0ELNS1_3repE0EEENS1_48merge_mergepath_partition_config_static_selectorELNS0_4arch9wavefront6targetE1EEEvSI_.uses_flat_scratch, 0
	.set _ZN7rocprim17ROCPRIM_400000_NS6detail17trampoline_kernelINS0_14default_configENS1_38merge_sort_block_merge_config_selectorIN3c108BFloat16ElEEZZNS1_27merge_sort_block_merge_implIS3_PS6_N6thrust23THRUST_200600_302600_NS10device_ptrIlEEmNSB_4lessIS6_EEEE10hipError_tT0_T1_T2_jT3_P12ihipStream_tbPNSt15iterator_traitsISH_E10value_typeEPNSN_ISI_E10value_typeEPSJ_NS1_7vsmem_tEENKUlT_SH_SI_SJ_E_clIS9_S9_SD_PlEESG_SW_SH_SI_SJ_EUlSW_E_NS1_11comp_targetILNS1_3genE0ELNS1_11target_archE4294967295ELNS1_3gpuE0ELNS1_3repE0EEENS1_48merge_mergepath_partition_config_static_selectorELNS0_4arch9wavefront6targetE1EEEvSI_.has_dyn_sized_stack, 0
	.set _ZN7rocprim17ROCPRIM_400000_NS6detail17trampoline_kernelINS0_14default_configENS1_38merge_sort_block_merge_config_selectorIN3c108BFloat16ElEEZZNS1_27merge_sort_block_merge_implIS3_PS6_N6thrust23THRUST_200600_302600_NS10device_ptrIlEEmNSB_4lessIS6_EEEE10hipError_tT0_T1_T2_jT3_P12ihipStream_tbPNSt15iterator_traitsISH_E10value_typeEPNSN_ISI_E10value_typeEPSJ_NS1_7vsmem_tEENKUlT_SH_SI_SJ_E_clIS9_S9_SD_PlEESG_SW_SH_SI_SJ_EUlSW_E_NS1_11comp_targetILNS1_3genE0ELNS1_11target_archE4294967295ELNS1_3gpuE0ELNS1_3repE0EEENS1_48merge_mergepath_partition_config_static_selectorELNS0_4arch9wavefront6targetE1EEEvSI_.has_recursion, 0
	.set _ZN7rocprim17ROCPRIM_400000_NS6detail17trampoline_kernelINS0_14default_configENS1_38merge_sort_block_merge_config_selectorIN3c108BFloat16ElEEZZNS1_27merge_sort_block_merge_implIS3_PS6_N6thrust23THRUST_200600_302600_NS10device_ptrIlEEmNSB_4lessIS6_EEEE10hipError_tT0_T1_T2_jT3_P12ihipStream_tbPNSt15iterator_traitsISH_E10value_typeEPNSN_ISI_E10value_typeEPSJ_NS1_7vsmem_tEENKUlT_SH_SI_SJ_E_clIS9_S9_SD_PlEESG_SW_SH_SI_SJ_EUlSW_E_NS1_11comp_targetILNS1_3genE0ELNS1_11target_archE4294967295ELNS1_3gpuE0ELNS1_3repE0EEENS1_48merge_mergepath_partition_config_static_selectorELNS0_4arch9wavefront6targetE1EEEvSI_.has_indirect_call, 0
	.section	.AMDGPU.csdata,"",@progbits
; Kernel info:
; codeLenInByte = 0
; TotalNumSgprs: 4
; NumVgprs: 0
; ScratchSize: 0
; MemoryBound: 0
; FloatMode: 240
; IeeeMode: 1
; LDSByteSize: 0 bytes/workgroup (compile time only)
; SGPRBlocks: 0
; VGPRBlocks: 0
; NumSGPRsForWavesPerEU: 4
; NumVGPRsForWavesPerEU: 1
; Occupancy: 10
; WaveLimiterHint : 0
; COMPUTE_PGM_RSRC2:SCRATCH_EN: 0
; COMPUTE_PGM_RSRC2:USER_SGPR: 6
; COMPUTE_PGM_RSRC2:TRAP_HANDLER: 0
; COMPUTE_PGM_RSRC2:TGID_X_EN: 1
; COMPUTE_PGM_RSRC2:TGID_Y_EN: 0
; COMPUTE_PGM_RSRC2:TGID_Z_EN: 0
; COMPUTE_PGM_RSRC2:TIDIG_COMP_CNT: 0
	.section	.text._ZN7rocprim17ROCPRIM_400000_NS6detail17trampoline_kernelINS0_14default_configENS1_38merge_sort_block_merge_config_selectorIN3c108BFloat16ElEEZZNS1_27merge_sort_block_merge_implIS3_PS6_N6thrust23THRUST_200600_302600_NS10device_ptrIlEEmNSB_4lessIS6_EEEE10hipError_tT0_T1_T2_jT3_P12ihipStream_tbPNSt15iterator_traitsISH_E10value_typeEPNSN_ISI_E10value_typeEPSJ_NS1_7vsmem_tEENKUlT_SH_SI_SJ_E_clIS9_S9_SD_PlEESG_SW_SH_SI_SJ_EUlSW_E_NS1_11comp_targetILNS1_3genE10ELNS1_11target_archE1201ELNS1_3gpuE5ELNS1_3repE0EEENS1_48merge_mergepath_partition_config_static_selectorELNS0_4arch9wavefront6targetE1EEEvSI_,"axG",@progbits,_ZN7rocprim17ROCPRIM_400000_NS6detail17trampoline_kernelINS0_14default_configENS1_38merge_sort_block_merge_config_selectorIN3c108BFloat16ElEEZZNS1_27merge_sort_block_merge_implIS3_PS6_N6thrust23THRUST_200600_302600_NS10device_ptrIlEEmNSB_4lessIS6_EEEE10hipError_tT0_T1_T2_jT3_P12ihipStream_tbPNSt15iterator_traitsISH_E10value_typeEPNSN_ISI_E10value_typeEPSJ_NS1_7vsmem_tEENKUlT_SH_SI_SJ_E_clIS9_S9_SD_PlEESG_SW_SH_SI_SJ_EUlSW_E_NS1_11comp_targetILNS1_3genE10ELNS1_11target_archE1201ELNS1_3gpuE5ELNS1_3repE0EEENS1_48merge_mergepath_partition_config_static_selectorELNS0_4arch9wavefront6targetE1EEEvSI_,comdat
	.protected	_ZN7rocprim17ROCPRIM_400000_NS6detail17trampoline_kernelINS0_14default_configENS1_38merge_sort_block_merge_config_selectorIN3c108BFloat16ElEEZZNS1_27merge_sort_block_merge_implIS3_PS6_N6thrust23THRUST_200600_302600_NS10device_ptrIlEEmNSB_4lessIS6_EEEE10hipError_tT0_T1_T2_jT3_P12ihipStream_tbPNSt15iterator_traitsISH_E10value_typeEPNSN_ISI_E10value_typeEPSJ_NS1_7vsmem_tEENKUlT_SH_SI_SJ_E_clIS9_S9_SD_PlEESG_SW_SH_SI_SJ_EUlSW_E_NS1_11comp_targetILNS1_3genE10ELNS1_11target_archE1201ELNS1_3gpuE5ELNS1_3repE0EEENS1_48merge_mergepath_partition_config_static_selectorELNS0_4arch9wavefront6targetE1EEEvSI_ ; -- Begin function _ZN7rocprim17ROCPRIM_400000_NS6detail17trampoline_kernelINS0_14default_configENS1_38merge_sort_block_merge_config_selectorIN3c108BFloat16ElEEZZNS1_27merge_sort_block_merge_implIS3_PS6_N6thrust23THRUST_200600_302600_NS10device_ptrIlEEmNSB_4lessIS6_EEEE10hipError_tT0_T1_T2_jT3_P12ihipStream_tbPNSt15iterator_traitsISH_E10value_typeEPNSN_ISI_E10value_typeEPSJ_NS1_7vsmem_tEENKUlT_SH_SI_SJ_E_clIS9_S9_SD_PlEESG_SW_SH_SI_SJ_EUlSW_E_NS1_11comp_targetILNS1_3genE10ELNS1_11target_archE1201ELNS1_3gpuE5ELNS1_3repE0EEENS1_48merge_mergepath_partition_config_static_selectorELNS0_4arch9wavefront6targetE1EEEvSI_
	.globl	_ZN7rocprim17ROCPRIM_400000_NS6detail17trampoline_kernelINS0_14default_configENS1_38merge_sort_block_merge_config_selectorIN3c108BFloat16ElEEZZNS1_27merge_sort_block_merge_implIS3_PS6_N6thrust23THRUST_200600_302600_NS10device_ptrIlEEmNSB_4lessIS6_EEEE10hipError_tT0_T1_T2_jT3_P12ihipStream_tbPNSt15iterator_traitsISH_E10value_typeEPNSN_ISI_E10value_typeEPSJ_NS1_7vsmem_tEENKUlT_SH_SI_SJ_E_clIS9_S9_SD_PlEESG_SW_SH_SI_SJ_EUlSW_E_NS1_11comp_targetILNS1_3genE10ELNS1_11target_archE1201ELNS1_3gpuE5ELNS1_3repE0EEENS1_48merge_mergepath_partition_config_static_selectorELNS0_4arch9wavefront6targetE1EEEvSI_
	.p2align	8
	.type	_ZN7rocprim17ROCPRIM_400000_NS6detail17trampoline_kernelINS0_14default_configENS1_38merge_sort_block_merge_config_selectorIN3c108BFloat16ElEEZZNS1_27merge_sort_block_merge_implIS3_PS6_N6thrust23THRUST_200600_302600_NS10device_ptrIlEEmNSB_4lessIS6_EEEE10hipError_tT0_T1_T2_jT3_P12ihipStream_tbPNSt15iterator_traitsISH_E10value_typeEPNSN_ISI_E10value_typeEPSJ_NS1_7vsmem_tEENKUlT_SH_SI_SJ_E_clIS9_S9_SD_PlEESG_SW_SH_SI_SJ_EUlSW_E_NS1_11comp_targetILNS1_3genE10ELNS1_11target_archE1201ELNS1_3gpuE5ELNS1_3repE0EEENS1_48merge_mergepath_partition_config_static_selectorELNS0_4arch9wavefront6targetE1EEEvSI_,@function
_ZN7rocprim17ROCPRIM_400000_NS6detail17trampoline_kernelINS0_14default_configENS1_38merge_sort_block_merge_config_selectorIN3c108BFloat16ElEEZZNS1_27merge_sort_block_merge_implIS3_PS6_N6thrust23THRUST_200600_302600_NS10device_ptrIlEEmNSB_4lessIS6_EEEE10hipError_tT0_T1_T2_jT3_P12ihipStream_tbPNSt15iterator_traitsISH_E10value_typeEPNSN_ISI_E10value_typeEPSJ_NS1_7vsmem_tEENKUlT_SH_SI_SJ_E_clIS9_S9_SD_PlEESG_SW_SH_SI_SJ_EUlSW_E_NS1_11comp_targetILNS1_3genE10ELNS1_11target_archE1201ELNS1_3gpuE5ELNS1_3repE0EEENS1_48merge_mergepath_partition_config_static_selectorELNS0_4arch9wavefront6targetE1EEEvSI_: ; @_ZN7rocprim17ROCPRIM_400000_NS6detail17trampoline_kernelINS0_14default_configENS1_38merge_sort_block_merge_config_selectorIN3c108BFloat16ElEEZZNS1_27merge_sort_block_merge_implIS3_PS6_N6thrust23THRUST_200600_302600_NS10device_ptrIlEEmNSB_4lessIS6_EEEE10hipError_tT0_T1_T2_jT3_P12ihipStream_tbPNSt15iterator_traitsISH_E10value_typeEPNSN_ISI_E10value_typeEPSJ_NS1_7vsmem_tEENKUlT_SH_SI_SJ_E_clIS9_S9_SD_PlEESG_SW_SH_SI_SJ_EUlSW_E_NS1_11comp_targetILNS1_3genE10ELNS1_11target_archE1201ELNS1_3gpuE5ELNS1_3repE0EEENS1_48merge_mergepath_partition_config_static_selectorELNS0_4arch9wavefront6targetE1EEEvSI_
; %bb.0:
	.section	.rodata,"a",@progbits
	.p2align	6, 0x0
	.amdhsa_kernel _ZN7rocprim17ROCPRIM_400000_NS6detail17trampoline_kernelINS0_14default_configENS1_38merge_sort_block_merge_config_selectorIN3c108BFloat16ElEEZZNS1_27merge_sort_block_merge_implIS3_PS6_N6thrust23THRUST_200600_302600_NS10device_ptrIlEEmNSB_4lessIS6_EEEE10hipError_tT0_T1_T2_jT3_P12ihipStream_tbPNSt15iterator_traitsISH_E10value_typeEPNSN_ISI_E10value_typeEPSJ_NS1_7vsmem_tEENKUlT_SH_SI_SJ_E_clIS9_S9_SD_PlEESG_SW_SH_SI_SJ_EUlSW_E_NS1_11comp_targetILNS1_3genE10ELNS1_11target_archE1201ELNS1_3gpuE5ELNS1_3repE0EEENS1_48merge_mergepath_partition_config_static_selectorELNS0_4arch9wavefront6targetE1EEEvSI_
		.amdhsa_group_segment_fixed_size 0
		.amdhsa_private_segment_fixed_size 0
		.amdhsa_kernarg_size 48
		.amdhsa_user_sgpr_count 6
		.amdhsa_user_sgpr_private_segment_buffer 1
		.amdhsa_user_sgpr_dispatch_ptr 0
		.amdhsa_user_sgpr_queue_ptr 0
		.amdhsa_user_sgpr_kernarg_segment_ptr 1
		.amdhsa_user_sgpr_dispatch_id 0
		.amdhsa_user_sgpr_flat_scratch_init 0
		.amdhsa_user_sgpr_private_segment_size 0
		.amdhsa_uses_dynamic_stack 0
		.amdhsa_system_sgpr_private_segment_wavefront_offset 0
		.amdhsa_system_sgpr_workgroup_id_x 1
		.amdhsa_system_sgpr_workgroup_id_y 0
		.amdhsa_system_sgpr_workgroup_id_z 0
		.amdhsa_system_sgpr_workgroup_info 0
		.amdhsa_system_vgpr_workitem_id 0
		.amdhsa_next_free_vgpr 1
		.amdhsa_next_free_sgpr 0
		.amdhsa_reserve_vcc 0
		.amdhsa_reserve_flat_scratch 0
		.amdhsa_float_round_mode_32 0
		.amdhsa_float_round_mode_16_64 0
		.amdhsa_float_denorm_mode_32 3
		.amdhsa_float_denorm_mode_16_64 3
		.amdhsa_dx10_clamp 1
		.amdhsa_ieee_mode 1
		.amdhsa_fp16_overflow 0
		.amdhsa_exception_fp_ieee_invalid_op 0
		.amdhsa_exception_fp_denorm_src 0
		.amdhsa_exception_fp_ieee_div_zero 0
		.amdhsa_exception_fp_ieee_overflow 0
		.amdhsa_exception_fp_ieee_underflow 0
		.amdhsa_exception_fp_ieee_inexact 0
		.amdhsa_exception_int_div_zero 0
	.end_amdhsa_kernel
	.section	.text._ZN7rocprim17ROCPRIM_400000_NS6detail17trampoline_kernelINS0_14default_configENS1_38merge_sort_block_merge_config_selectorIN3c108BFloat16ElEEZZNS1_27merge_sort_block_merge_implIS3_PS6_N6thrust23THRUST_200600_302600_NS10device_ptrIlEEmNSB_4lessIS6_EEEE10hipError_tT0_T1_T2_jT3_P12ihipStream_tbPNSt15iterator_traitsISH_E10value_typeEPNSN_ISI_E10value_typeEPSJ_NS1_7vsmem_tEENKUlT_SH_SI_SJ_E_clIS9_S9_SD_PlEESG_SW_SH_SI_SJ_EUlSW_E_NS1_11comp_targetILNS1_3genE10ELNS1_11target_archE1201ELNS1_3gpuE5ELNS1_3repE0EEENS1_48merge_mergepath_partition_config_static_selectorELNS0_4arch9wavefront6targetE1EEEvSI_,"axG",@progbits,_ZN7rocprim17ROCPRIM_400000_NS6detail17trampoline_kernelINS0_14default_configENS1_38merge_sort_block_merge_config_selectorIN3c108BFloat16ElEEZZNS1_27merge_sort_block_merge_implIS3_PS6_N6thrust23THRUST_200600_302600_NS10device_ptrIlEEmNSB_4lessIS6_EEEE10hipError_tT0_T1_T2_jT3_P12ihipStream_tbPNSt15iterator_traitsISH_E10value_typeEPNSN_ISI_E10value_typeEPSJ_NS1_7vsmem_tEENKUlT_SH_SI_SJ_E_clIS9_S9_SD_PlEESG_SW_SH_SI_SJ_EUlSW_E_NS1_11comp_targetILNS1_3genE10ELNS1_11target_archE1201ELNS1_3gpuE5ELNS1_3repE0EEENS1_48merge_mergepath_partition_config_static_selectorELNS0_4arch9wavefront6targetE1EEEvSI_,comdat
.Lfunc_end2003:
	.size	_ZN7rocprim17ROCPRIM_400000_NS6detail17trampoline_kernelINS0_14default_configENS1_38merge_sort_block_merge_config_selectorIN3c108BFloat16ElEEZZNS1_27merge_sort_block_merge_implIS3_PS6_N6thrust23THRUST_200600_302600_NS10device_ptrIlEEmNSB_4lessIS6_EEEE10hipError_tT0_T1_T2_jT3_P12ihipStream_tbPNSt15iterator_traitsISH_E10value_typeEPNSN_ISI_E10value_typeEPSJ_NS1_7vsmem_tEENKUlT_SH_SI_SJ_E_clIS9_S9_SD_PlEESG_SW_SH_SI_SJ_EUlSW_E_NS1_11comp_targetILNS1_3genE10ELNS1_11target_archE1201ELNS1_3gpuE5ELNS1_3repE0EEENS1_48merge_mergepath_partition_config_static_selectorELNS0_4arch9wavefront6targetE1EEEvSI_, .Lfunc_end2003-_ZN7rocprim17ROCPRIM_400000_NS6detail17trampoline_kernelINS0_14default_configENS1_38merge_sort_block_merge_config_selectorIN3c108BFloat16ElEEZZNS1_27merge_sort_block_merge_implIS3_PS6_N6thrust23THRUST_200600_302600_NS10device_ptrIlEEmNSB_4lessIS6_EEEE10hipError_tT0_T1_T2_jT3_P12ihipStream_tbPNSt15iterator_traitsISH_E10value_typeEPNSN_ISI_E10value_typeEPSJ_NS1_7vsmem_tEENKUlT_SH_SI_SJ_E_clIS9_S9_SD_PlEESG_SW_SH_SI_SJ_EUlSW_E_NS1_11comp_targetILNS1_3genE10ELNS1_11target_archE1201ELNS1_3gpuE5ELNS1_3repE0EEENS1_48merge_mergepath_partition_config_static_selectorELNS0_4arch9wavefront6targetE1EEEvSI_
                                        ; -- End function
	.set _ZN7rocprim17ROCPRIM_400000_NS6detail17trampoline_kernelINS0_14default_configENS1_38merge_sort_block_merge_config_selectorIN3c108BFloat16ElEEZZNS1_27merge_sort_block_merge_implIS3_PS6_N6thrust23THRUST_200600_302600_NS10device_ptrIlEEmNSB_4lessIS6_EEEE10hipError_tT0_T1_T2_jT3_P12ihipStream_tbPNSt15iterator_traitsISH_E10value_typeEPNSN_ISI_E10value_typeEPSJ_NS1_7vsmem_tEENKUlT_SH_SI_SJ_E_clIS9_S9_SD_PlEESG_SW_SH_SI_SJ_EUlSW_E_NS1_11comp_targetILNS1_3genE10ELNS1_11target_archE1201ELNS1_3gpuE5ELNS1_3repE0EEENS1_48merge_mergepath_partition_config_static_selectorELNS0_4arch9wavefront6targetE1EEEvSI_.num_vgpr, 0
	.set _ZN7rocprim17ROCPRIM_400000_NS6detail17trampoline_kernelINS0_14default_configENS1_38merge_sort_block_merge_config_selectorIN3c108BFloat16ElEEZZNS1_27merge_sort_block_merge_implIS3_PS6_N6thrust23THRUST_200600_302600_NS10device_ptrIlEEmNSB_4lessIS6_EEEE10hipError_tT0_T1_T2_jT3_P12ihipStream_tbPNSt15iterator_traitsISH_E10value_typeEPNSN_ISI_E10value_typeEPSJ_NS1_7vsmem_tEENKUlT_SH_SI_SJ_E_clIS9_S9_SD_PlEESG_SW_SH_SI_SJ_EUlSW_E_NS1_11comp_targetILNS1_3genE10ELNS1_11target_archE1201ELNS1_3gpuE5ELNS1_3repE0EEENS1_48merge_mergepath_partition_config_static_selectorELNS0_4arch9wavefront6targetE1EEEvSI_.num_agpr, 0
	.set _ZN7rocprim17ROCPRIM_400000_NS6detail17trampoline_kernelINS0_14default_configENS1_38merge_sort_block_merge_config_selectorIN3c108BFloat16ElEEZZNS1_27merge_sort_block_merge_implIS3_PS6_N6thrust23THRUST_200600_302600_NS10device_ptrIlEEmNSB_4lessIS6_EEEE10hipError_tT0_T1_T2_jT3_P12ihipStream_tbPNSt15iterator_traitsISH_E10value_typeEPNSN_ISI_E10value_typeEPSJ_NS1_7vsmem_tEENKUlT_SH_SI_SJ_E_clIS9_S9_SD_PlEESG_SW_SH_SI_SJ_EUlSW_E_NS1_11comp_targetILNS1_3genE10ELNS1_11target_archE1201ELNS1_3gpuE5ELNS1_3repE0EEENS1_48merge_mergepath_partition_config_static_selectorELNS0_4arch9wavefront6targetE1EEEvSI_.numbered_sgpr, 0
	.set _ZN7rocprim17ROCPRIM_400000_NS6detail17trampoline_kernelINS0_14default_configENS1_38merge_sort_block_merge_config_selectorIN3c108BFloat16ElEEZZNS1_27merge_sort_block_merge_implIS3_PS6_N6thrust23THRUST_200600_302600_NS10device_ptrIlEEmNSB_4lessIS6_EEEE10hipError_tT0_T1_T2_jT3_P12ihipStream_tbPNSt15iterator_traitsISH_E10value_typeEPNSN_ISI_E10value_typeEPSJ_NS1_7vsmem_tEENKUlT_SH_SI_SJ_E_clIS9_S9_SD_PlEESG_SW_SH_SI_SJ_EUlSW_E_NS1_11comp_targetILNS1_3genE10ELNS1_11target_archE1201ELNS1_3gpuE5ELNS1_3repE0EEENS1_48merge_mergepath_partition_config_static_selectorELNS0_4arch9wavefront6targetE1EEEvSI_.num_named_barrier, 0
	.set _ZN7rocprim17ROCPRIM_400000_NS6detail17trampoline_kernelINS0_14default_configENS1_38merge_sort_block_merge_config_selectorIN3c108BFloat16ElEEZZNS1_27merge_sort_block_merge_implIS3_PS6_N6thrust23THRUST_200600_302600_NS10device_ptrIlEEmNSB_4lessIS6_EEEE10hipError_tT0_T1_T2_jT3_P12ihipStream_tbPNSt15iterator_traitsISH_E10value_typeEPNSN_ISI_E10value_typeEPSJ_NS1_7vsmem_tEENKUlT_SH_SI_SJ_E_clIS9_S9_SD_PlEESG_SW_SH_SI_SJ_EUlSW_E_NS1_11comp_targetILNS1_3genE10ELNS1_11target_archE1201ELNS1_3gpuE5ELNS1_3repE0EEENS1_48merge_mergepath_partition_config_static_selectorELNS0_4arch9wavefront6targetE1EEEvSI_.private_seg_size, 0
	.set _ZN7rocprim17ROCPRIM_400000_NS6detail17trampoline_kernelINS0_14default_configENS1_38merge_sort_block_merge_config_selectorIN3c108BFloat16ElEEZZNS1_27merge_sort_block_merge_implIS3_PS6_N6thrust23THRUST_200600_302600_NS10device_ptrIlEEmNSB_4lessIS6_EEEE10hipError_tT0_T1_T2_jT3_P12ihipStream_tbPNSt15iterator_traitsISH_E10value_typeEPNSN_ISI_E10value_typeEPSJ_NS1_7vsmem_tEENKUlT_SH_SI_SJ_E_clIS9_S9_SD_PlEESG_SW_SH_SI_SJ_EUlSW_E_NS1_11comp_targetILNS1_3genE10ELNS1_11target_archE1201ELNS1_3gpuE5ELNS1_3repE0EEENS1_48merge_mergepath_partition_config_static_selectorELNS0_4arch9wavefront6targetE1EEEvSI_.uses_vcc, 0
	.set _ZN7rocprim17ROCPRIM_400000_NS6detail17trampoline_kernelINS0_14default_configENS1_38merge_sort_block_merge_config_selectorIN3c108BFloat16ElEEZZNS1_27merge_sort_block_merge_implIS3_PS6_N6thrust23THRUST_200600_302600_NS10device_ptrIlEEmNSB_4lessIS6_EEEE10hipError_tT0_T1_T2_jT3_P12ihipStream_tbPNSt15iterator_traitsISH_E10value_typeEPNSN_ISI_E10value_typeEPSJ_NS1_7vsmem_tEENKUlT_SH_SI_SJ_E_clIS9_S9_SD_PlEESG_SW_SH_SI_SJ_EUlSW_E_NS1_11comp_targetILNS1_3genE10ELNS1_11target_archE1201ELNS1_3gpuE5ELNS1_3repE0EEENS1_48merge_mergepath_partition_config_static_selectorELNS0_4arch9wavefront6targetE1EEEvSI_.uses_flat_scratch, 0
	.set _ZN7rocprim17ROCPRIM_400000_NS6detail17trampoline_kernelINS0_14default_configENS1_38merge_sort_block_merge_config_selectorIN3c108BFloat16ElEEZZNS1_27merge_sort_block_merge_implIS3_PS6_N6thrust23THRUST_200600_302600_NS10device_ptrIlEEmNSB_4lessIS6_EEEE10hipError_tT0_T1_T2_jT3_P12ihipStream_tbPNSt15iterator_traitsISH_E10value_typeEPNSN_ISI_E10value_typeEPSJ_NS1_7vsmem_tEENKUlT_SH_SI_SJ_E_clIS9_S9_SD_PlEESG_SW_SH_SI_SJ_EUlSW_E_NS1_11comp_targetILNS1_3genE10ELNS1_11target_archE1201ELNS1_3gpuE5ELNS1_3repE0EEENS1_48merge_mergepath_partition_config_static_selectorELNS0_4arch9wavefront6targetE1EEEvSI_.has_dyn_sized_stack, 0
	.set _ZN7rocprim17ROCPRIM_400000_NS6detail17trampoline_kernelINS0_14default_configENS1_38merge_sort_block_merge_config_selectorIN3c108BFloat16ElEEZZNS1_27merge_sort_block_merge_implIS3_PS6_N6thrust23THRUST_200600_302600_NS10device_ptrIlEEmNSB_4lessIS6_EEEE10hipError_tT0_T1_T2_jT3_P12ihipStream_tbPNSt15iterator_traitsISH_E10value_typeEPNSN_ISI_E10value_typeEPSJ_NS1_7vsmem_tEENKUlT_SH_SI_SJ_E_clIS9_S9_SD_PlEESG_SW_SH_SI_SJ_EUlSW_E_NS1_11comp_targetILNS1_3genE10ELNS1_11target_archE1201ELNS1_3gpuE5ELNS1_3repE0EEENS1_48merge_mergepath_partition_config_static_selectorELNS0_4arch9wavefront6targetE1EEEvSI_.has_recursion, 0
	.set _ZN7rocprim17ROCPRIM_400000_NS6detail17trampoline_kernelINS0_14default_configENS1_38merge_sort_block_merge_config_selectorIN3c108BFloat16ElEEZZNS1_27merge_sort_block_merge_implIS3_PS6_N6thrust23THRUST_200600_302600_NS10device_ptrIlEEmNSB_4lessIS6_EEEE10hipError_tT0_T1_T2_jT3_P12ihipStream_tbPNSt15iterator_traitsISH_E10value_typeEPNSN_ISI_E10value_typeEPSJ_NS1_7vsmem_tEENKUlT_SH_SI_SJ_E_clIS9_S9_SD_PlEESG_SW_SH_SI_SJ_EUlSW_E_NS1_11comp_targetILNS1_3genE10ELNS1_11target_archE1201ELNS1_3gpuE5ELNS1_3repE0EEENS1_48merge_mergepath_partition_config_static_selectorELNS0_4arch9wavefront6targetE1EEEvSI_.has_indirect_call, 0
	.section	.AMDGPU.csdata,"",@progbits
; Kernel info:
; codeLenInByte = 0
; TotalNumSgprs: 4
; NumVgprs: 0
; ScratchSize: 0
; MemoryBound: 0
; FloatMode: 240
; IeeeMode: 1
; LDSByteSize: 0 bytes/workgroup (compile time only)
; SGPRBlocks: 0
; VGPRBlocks: 0
; NumSGPRsForWavesPerEU: 4
; NumVGPRsForWavesPerEU: 1
; Occupancy: 10
; WaveLimiterHint : 0
; COMPUTE_PGM_RSRC2:SCRATCH_EN: 0
; COMPUTE_PGM_RSRC2:USER_SGPR: 6
; COMPUTE_PGM_RSRC2:TRAP_HANDLER: 0
; COMPUTE_PGM_RSRC2:TGID_X_EN: 1
; COMPUTE_PGM_RSRC2:TGID_Y_EN: 0
; COMPUTE_PGM_RSRC2:TGID_Z_EN: 0
; COMPUTE_PGM_RSRC2:TIDIG_COMP_CNT: 0
	.section	.text._ZN7rocprim17ROCPRIM_400000_NS6detail17trampoline_kernelINS0_14default_configENS1_38merge_sort_block_merge_config_selectorIN3c108BFloat16ElEEZZNS1_27merge_sort_block_merge_implIS3_PS6_N6thrust23THRUST_200600_302600_NS10device_ptrIlEEmNSB_4lessIS6_EEEE10hipError_tT0_T1_T2_jT3_P12ihipStream_tbPNSt15iterator_traitsISH_E10value_typeEPNSN_ISI_E10value_typeEPSJ_NS1_7vsmem_tEENKUlT_SH_SI_SJ_E_clIS9_S9_SD_PlEESG_SW_SH_SI_SJ_EUlSW_E_NS1_11comp_targetILNS1_3genE5ELNS1_11target_archE942ELNS1_3gpuE9ELNS1_3repE0EEENS1_48merge_mergepath_partition_config_static_selectorELNS0_4arch9wavefront6targetE1EEEvSI_,"axG",@progbits,_ZN7rocprim17ROCPRIM_400000_NS6detail17trampoline_kernelINS0_14default_configENS1_38merge_sort_block_merge_config_selectorIN3c108BFloat16ElEEZZNS1_27merge_sort_block_merge_implIS3_PS6_N6thrust23THRUST_200600_302600_NS10device_ptrIlEEmNSB_4lessIS6_EEEE10hipError_tT0_T1_T2_jT3_P12ihipStream_tbPNSt15iterator_traitsISH_E10value_typeEPNSN_ISI_E10value_typeEPSJ_NS1_7vsmem_tEENKUlT_SH_SI_SJ_E_clIS9_S9_SD_PlEESG_SW_SH_SI_SJ_EUlSW_E_NS1_11comp_targetILNS1_3genE5ELNS1_11target_archE942ELNS1_3gpuE9ELNS1_3repE0EEENS1_48merge_mergepath_partition_config_static_selectorELNS0_4arch9wavefront6targetE1EEEvSI_,comdat
	.protected	_ZN7rocprim17ROCPRIM_400000_NS6detail17trampoline_kernelINS0_14default_configENS1_38merge_sort_block_merge_config_selectorIN3c108BFloat16ElEEZZNS1_27merge_sort_block_merge_implIS3_PS6_N6thrust23THRUST_200600_302600_NS10device_ptrIlEEmNSB_4lessIS6_EEEE10hipError_tT0_T1_T2_jT3_P12ihipStream_tbPNSt15iterator_traitsISH_E10value_typeEPNSN_ISI_E10value_typeEPSJ_NS1_7vsmem_tEENKUlT_SH_SI_SJ_E_clIS9_S9_SD_PlEESG_SW_SH_SI_SJ_EUlSW_E_NS1_11comp_targetILNS1_3genE5ELNS1_11target_archE942ELNS1_3gpuE9ELNS1_3repE0EEENS1_48merge_mergepath_partition_config_static_selectorELNS0_4arch9wavefront6targetE1EEEvSI_ ; -- Begin function _ZN7rocprim17ROCPRIM_400000_NS6detail17trampoline_kernelINS0_14default_configENS1_38merge_sort_block_merge_config_selectorIN3c108BFloat16ElEEZZNS1_27merge_sort_block_merge_implIS3_PS6_N6thrust23THRUST_200600_302600_NS10device_ptrIlEEmNSB_4lessIS6_EEEE10hipError_tT0_T1_T2_jT3_P12ihipStream_tbPNSt15iterator_traitsISH_E10value_typeEPNSN_ISI_E10value_typeEPSJ_NS1_7vsmem_tEENKUlT_SH_SI_SJ_E_clIS9_S9_SD_PlEESG_SW_SH_SI_SJ_EUlSW_E_NS1_11comp_targetILNS1_3genE5ELNS1_11target_archE942ELNS1_3gpuE9ELNS1_3repE0EEENS1_48merge_mergepath_partition_config_static_selectorELNS0_4arch9wavefront6targetE1EEEvSI_
	.globl	_ZN7rocprim17ROCPRIM_400000_NS6detail17trampoline_kernelINS0_14default_configENS1_38merge_sort_block_merge_config_selectorIN3c108BFloat16ElEEZZNS1_27merge_sort_block_merge_implIS3_PS6_N6thrust23THRUST_200600_302600_NS10device_ptrIlEEmNSB_4lessIS6_EEEE10hipError_tT0_T1_T2_jT3_P12ihipStream_tbPNSt15iterator_traitsISH_E10value_typeEPNSN_ISI_E10value_typeEPSJ_NS1_7vsmem_tEENKUlT_SH_SI_SJ_E_clIS9_S9_SD_PlEESG_SW_SH_SI_SJ_EUlSW_E_NS1_11comp_targetILNS1_3genE5ELNS1_11target_archE942ELNS1_3gpuE9ELNS1_3repE0EEENS1_48merge_mergepath_partition_config_static_selectorELNS0_4arch9wavefront6targetE1EEEvSI_
	.p2align	8
	.type	_ZN7rocprim17ROCPRIM_400000_NS6detail17trampoline_kernelINS0_14default_configENS1_38merge_sort_block_merge_config_selectorIN3c108BFloat16ElEEZZNS1_27merge_sort_block_merge_implIS3_PS6_N6thrust23THRUST_200600_302600_NS10device_ptrIlEEmNSB_4lessIS6_EEEE10hipError_tT0_T1_T2_jT3_P12ihipStream_tbPNSt15iterator_traitsISH_E10value_typeEPNSN_ISI_E10value_typeEPSJ_NS1_7vsmem_tEENKUlT_SH_SI_SJ_E_clIS9_S9_SD_PlEESG_SW_SH_SI_SJ_EUlSW_E_NS1_11comp_targetILNS1_3genE5ELNS1_11target_archE942ELNS1_3gpuE9ELNS1_3repE0EEENS1_48merge_mergepath_partition_config_static_selectorELNS0_4arch9wavefront6targetE1EEEvSI_,@function
_ZN7rocprim17ROCPRIM_400000_NS6detail17trampoline_kernelINS0_14default_configENS1_38merge_sort_block_merge_config_selectorIN3c108BFloat16ElEEZZNS1_27merge_sort_block_merge_implIS3_PS6_N6thrust23THRUST_200600_302600_NS10device_ptrIlEEmNSB_4lessIS6_EEEE10hipError_tT0_T1_T2_jT3_P12ihipStream_tbPNSt15iterator_traitsISH_E10value_typeEPNSN_ISI_E10value_typeEPSJ_NS1_7vsmem_tEENKUlT_SH_SI_SJ_E_clIS9_S9_SD_PlEESG_SW_SH_SI_SJ_EUlSW_E_NS1_11comp_targetILNS1_3genE5ELNS1_11target_archE942ELNS1_3gpuE9ELNS1_3repE0EEENS1_48merge_mergepath_partition_config_static_selectorELNS0_4arch9wavefront6targetE1EEEvSI_: ; @_ZN7rocprim17ROCPRIM_400000_NS6detail17trampoline_kernelINS0_14default_configENS1_38merge_sort_block_merge_config_selectorIN3c108BFloat16ElEEZZNS1_27merge_sort_block_merge_implIS3_PS6_N6thrust23THRUST_200600_302600_NS10device_ptrIlEEmNSB_4lessIS6_EEEE10hipError_tT0_T1_T2_jT3_P12ihipStream_tbPNSt15iterator_traitsISH_E10value_typeEPNSN_ISI_E10value_typeEPSJ_NS1_7vsmem_tEENKUlT_SH_SI_SJ_E_clIS9_S9_SD_PlEESG_SW_SH_SI_SJ_EUlSW_E_NS1_11comp_targetILNS1_3genE5ELNS1_11target_archE942ELNS1_3gpuE9ELNS1_3repE0EEENS1_48merge_mergepath_partition_config_static_selectorELNS0_4arch9wavefront6targetE1EEEvSI_
; %bb.0:
	.section	.rodata,"a",@progbits
	.p2align	6, 0x0
	.amdhsa_kernel _ZN7rocprim17ROCPRIM_400000_NS6detail17trampoline_kernelINS0_14default_configENS1_38merge_sort_block_merge_config_selectorIN3c108BFloat16ElEEZZNS1_27merge_sort_block_merge_implIS3_PS6_N6thrust23THRUST_200600_302600_NS10device_ptrIlEEmNSB_4lessIS6_EEEE10hipError_tT0_T1_T2_jT3_P12ihipStream_tbPNSt15iterator_traitsISH_E10value_typeEPNSN_ISI_E10value_typeEPSJ_NS1_7vsmem_tEENKUlT_SH_SI_SJ_E_clIS9_S9_SD_PlEESG_SW_SH_SI_SJ_EUlSW_E_NS1_11comp_targetILNS1_3genE5ELNS1_11target_archE942ELNS1_3gpuE9ELNS1_3repE0EEENS1_48merge_mergepath_partition_config_static_selectorELNS0_4arch9wavefront6targetE1EEEvSI_
		.amdhsa_group_segment_fixed_size 0
		.amdhsa_private_segment_fixed_size 0
		.amdhsa_kernarg_size 48
		.amdhsa_user_sgpr_count 6
		.amdhsa_user_sgpr_private_segment_buffer 1
		.amdhsa_user_sgpr_dispatch_ptr 0
		.amdhsa_user_sgpr_queue_ptr 0
		.amdhsa_user_sgpr_kernarg_segment_ptr 1
		.amdhsa_user_sgpr_dispatch_id 0
		.amdhsa_user_sgpr_flat_scratch_init 0
		.amdhsa_user_sgpr_private_segment_size 0
		.amdhsa_uses_dynamic_stack 0
		.amdhsa_system_sgpr_private_segment_wavefront_offset 0
		.amdhsa_system_sgpr_workgroup_id_x 1
		.amdhsa_system_sgpr_workgroup_id_y 0
		.amdhsa_system_sgpr_workgroup_id_z 0
		.amdhsa_system_sgpr_workgroup_info 0
		.amdhsa_system_vgpr_workitem_id 0
		.amdhsa_next_free_vgpr 1
		.amdhsa_next_free_sgpr 0
		.amdhsa_reserve_vcc 0
		.amdhsa_reserve_flat_scratch 0
		.amdhsa_float_round_mode_32 0
		.amdhsa_float_round_mode_16_64 0
		.amdhsa_float_denorm_mode_32 3
		.amdhsa_float_denorm_mode_16_64 3
		.amdhsa_dx10_clamp 1
		.amdhsa_ieee_mode 1
		.amdhsa_fp16_overflow 0
		.amdhsa_exception_fp_ieee_invalid_op 0
		.amdhsa_exception_fp_denorm_src 0
		.amdhsa_exception_fp_ieee_div_zero 0
		.amdhsa_exception_fp_ieee_overflow 0
		.amdhsa_exception_fp_ieee_underflow 0
		.amdhsa_exception_fp_ieee_inexact 0
		.amdhsa_exception_int_div_zero 0
	.end_amdhsa_kernel
	.section	.text._ZN7rocprim17ROCPRIM_400000_NS6detail17trampoline_kernelINS0_14default_configENS1_38merge_sort_block_merge_config_selectorIN3c108BFloat16ElEEZZNS1_27merge_sort_block_merge_implIS3_PS6_N6thrust23THRUST_200600_302600_NS10device_ptrIlEEmNSB_4lessIS6_EEEE10hipError_tT0_T1_T2_jT3_P12ihipStream_tbPNSt15iterator_traitsISH_E10value_typeEPNSN_ISI_E10value_typeEPSJ_NS1_7vsmem_tEENKUlT_SH_SI_SJ_E_clIS9_S9_SD_PlEESG_SW_SH_SI_SJ_EUlSW_E_NS1_11comp_targetILNS1_3genE5ELNS1_11target_archE942ELNS1_3gpuE9ELNS1_3repE0EEENS1_48merge_mergepath_partition_config_static_selectorELNS0_4arch9wavefront6targetE1EEEvSI_,"axG",@progbits,_ZN7rocprim17ROCPRIM_400000_NS6detail17trampoline_kernelINS0_14default_configENS1_38merge_sort_block_merge_config_selectorIN3c108BFloat16ElEEZZNS1_27merge_sort_block_merge_implIS3_PS6_N6thrust23THRUST_200600_302600_NS10device_ptrIlEEmNSB_4lessIS6_EEEE10hipError_tT0_T1_T2_jT3_P12ihipStream_tbPNSt15iterator_traitsISH_E10value_typeEPNSN_ISI_E10value_typeEPSJ_NS1_7vsmem_tEENKUlT_SH_SI_SJ_E_clIS9_S9_SD_PlEESG_SW_SH_SI_SJ_EUlSW_E_NS1_11comp_targetILNS1_3genE5ELNS1_11target_archE942ELNS1_3gpuE9ELNS1_3repE0EEENS1_48merge_mergepath_partition_config_static_selectorELNS0_4arch9wavefront6targetE1EEEvSI_,comdat
.Lfunc_end2004:
	.size	_ZN7rocprim17ROCPRIM_400000_NS6detail17trampoline_kernelINS0_14default_configENS1_38merge_sort_block_merge_config_selectorIN3c108BFloat16ElEEZZNS1_27merge_sort_block_merge_implIS3_PS6_N6thrust23THRUST_200600_302600_NS10device_ptrIlEEmNSB_4lessIS6_EEEE10hipError_tT0_T1_T2_jT3_P12ihipStream_tbPNSt15iterator_traitsISH_E10value_typeEPNSN_ISI_E10value_typeEPSJ_NS1_7vsmem_tEENKUlT_SH_SI_SJ_E_clIS9_S9_SD_PlEESG_SW_SH_SI_SJ_EUlSW_E_NS1_11comp_targetILNS1_3genE5ELNS1_11target_archE942ELNS1_3gpuE9ELNS1_3repE0EEENS1_48merge_mergepath_partition_config_static_selectorELNS0_4arch9wavefront6targetE1EEEvSI_, .Lfunc_end2004-_ZN7rocprim17ROCPRIM_400000_NS6detail17trampoline_kernelINS0_14default_configENS1_38merge_sort_block_merge_config_selectorIN3c108BFloat16ElEEZZNS1_27merge_sort_block_merge_implIS3_PS6_N6thrust23THRUST_200600_302600_NS10device_ptrIlEEmNSB_4lessIS6_EEEE10hipError_tT0_T1_T2_jT3_P12ihipStream_tbPNSt15iterator_traitsISH_E10value_typeEPNSN_ISI_E10value_typeEPSJ_NS1_7vsmem_tEENKUlT_SH_SI_SJ_E_clIS9_S9_SD_PlEESG_SW_SH_SI_SJ_EUlSW_E_NS1_11comp_targetILNS1_3genE5ELNS1_11target_archE942ELNS1_3gpuE9ELNS1_3repE0EEENS1_48merge_mergepath_partition_config_static_selectorELNS0_4arch9wavefront6targetE1EEEvSI_
                                        ; -- End function
	.set _ZN7rocprim17ROCPRIM_400000_NS6detail17trampoline_kernelINS0_14default_configENS1_38merge_sort_block_merge_config_selectorIN3c108BFloat16ElEEZZNS1_27merge_sort_block_merge_implIS3_PS6_N6thrust23THRUST_200600_302600_NS10device_ptrIlEEmNSB_4lessIS6_EEEE10hipError_tT0_T1_T2_jT3_P12ihipStream_tbPNSt15iterator_traitsISH_E10value_typeEPNSN_ISI_E10value_typeEPSJ_NS1_7vsmem_tEENKUlT_SH_SI_SJ_E_clIS9_S9_SD_PlEESG_SW_SH_SI_SJ_EUlSW_E_NS1_11comp_targetILNS1_3genE5ELNS1_11target_archE942ELNS1_3gpuE9ELNS1_3repE0EEENS1_48merge_mergepath_partition_config_static_selectorELNS0_4arch9wavefront6targetE1EEEvSI_.num_vgpr, 0
	.set _ZN7rocprim17ROCPRIM_400000_NS6detail17trampoline_kernelINS0_14default_configENS1_38merge_sort_block_merge_config_selectorIN3c108BFloat16ElEEZZNS1_27merge_sort_block_merge_implIS3_PS6_N6thrust23THRUST_200600_302600_NS10device_ptrIlEEmNSB_4lessIS6_EEEE10hipError_tT0_T1_T2_jT3_P12ihipStream_tbPNSt15iterator_traitsISH_E10value_typeEPNSN_ISI_E10value_typeEPSJ_NS1_7vsmem_tEENKUlT_SH_SI_SJ_E_clIS9_S9_SD_PlEESG_SW_SH_SI_SJ_EUlSW_E_NS1_11comp_targetILNS1_3genE5ELNS1_11target_archE942ELNS1_3gpuE9ELNS1_3repE0EEENS1_48merge_mergepath_partition_config_static_selectorELNS0_4arch9wavefront6targetE1EEEvSI_.num_agpr, 0
	.set _ZN7rocprim17ROCPRIM_400000_NS6detail17trampoline_kernelINS0_14default_configENS1_38merge_sort_block_merge_config_selectorIN3c108BFloat16ElEEZZNS1_27merge_sort_block_merge_implIS3_PS6_N6thrust23THRUST_200600_302600_NS10device_ptrIlEEmNSB_4lessIS6_EEEE10hipError_tT0_T1_T2_jT3_P12ihipStream_tbPNSt15iterator_traitsISH_E10value_typeEPNSN_ISI_E10value_typeEPSJ_NS1_7vsmem_tEENKUlT_SH_SI_SJ_E_clIS9_S9_SD_PlEESG_SW_SH_SI_SJ_EUlSW_E_NS1_11comp_targetILNS1_3genE5ELNS1_11target_archE942ELNS1_3gpuE9ELNS1_3repE0EEENS1_48merge_mergepath_partition_config_static_selectorELNS0_4arch9wavefront6targetE1EEEvSI_.numbered_sgpr, 0
	.set _ZN7rocprim17ROCPRIM_400000_NS6detail17trampoline_kernelINS0_14default_configENS1_38merge_sort_block_merge_config_selectorIN3c108BFloat16ElEEZZNS1_27merge_sort_block_merge_implIS3_PS6_N6thrust23THRUST_200600_302600_NS10device_ptrIlEEmNSB_4lessIS6_EEEE10hipError_tT0_T1_T2_jT3_P12ihipStream_tbPNSt15iterator_traitsISH_E10value_typeEPNSN_ISI_E10value_typeEPSJ_NS1_7vsmem_tEENKUlT_SH_SI_SJ_E_clIS9_S9_SD_PlEESG_SW_SH_SI_SJ_EUlSW_E_NS1_11comp_targetILNS1_3genE5ELNS1_11target_archE942ELNS1_3gpuE9ELNS1_3repE0EEENS1_48merge_mergepath_partition_config_static_selectorELNS0_4arch9wavefront6targetE1EEEvSI_.num_named_barrier, 0
	.set _ZN7rocprim17ROCPRIM_400000_NS6detail17trampoline_kernelINS0_14default_configENS1_38merge_sort_block_merge_config_selectorIN3c108BFloat16ElEEZZNS1_27merge_sort_block_merge_implIS3_PS6_N6thrust23THRUST_200600_302600_NS10device_ptrIlEEmNSB_4lessIS6_EEEE10hipError_tT0_T1_T2_jT3_P12ihipStream_tbPNSt15iterator_traitsISH_E10value_typeEPNSN_ISI_E10value_typeEPSJ_NS1_7vsmem_tEENKUlT_SH_SI_SJ_E_clIS9_S9_SD_PlEESG_SW_SH_SI_SJ_EUlSW_E_NS1_11comp_targetILNS1_3genE5ELNS1_11target_archE942ELNS1_3gpuE9ELNS1_3repE0EEENS1_48merge_mergepath_partition_config_static_selectorELNS0_4arch9wavefront6targetE1EEEvSI_.private_seg_size, 0
	.set _ZN7rocprim17ROCPRIM_400000_NS6detail17trampoline_kernelINS0_14default_configENS1_38merge_sort_block_merge_config_selectorIN3c108BFloat16ElEEZZNS1_27merge_sort_block_merge_implIS3_PS6_N6thrust23THRUST_200600_302600_NS10device_ptrIlEEmNSB_4lessIS6_EEEE10hipError_tT0_T1_T2_jT3_P12ihipStream_tbPNSt15iterator_traitsISH_E10value_typeEPNSN_ISI_E10value_typeEPSJ_NS1_7vsmem_tEENKUlT_SH_SI_SJ_E_clIS9_S9_SD_PlEESG_SW_SH_SI_SJ_EUlSW_E_NS1_11comp_targetILNS1_3genE5ELNS1_11target_archE942ELNS1_3gpuE9ELNS1_3repE0EEENS1_48merge_mergepath_partition_config_static_selectorELNS0_4arch9wavefront6targetE1EEEvSI_.uses_vcc, 0
	.set _ZN7rocprim17ROCPRIM_400000_NS6detail17trampoline_kernelINS0_14default_configENS1_38merge_sort_block_merge_config_selectorIN3c108BFloat16ElEEZZNS1_27merge_sort_block_merge_implIS3_PS6_N6thrust23THRUST_200600_302600_NS10device_ptrIlEEmNSB_4lessIS6_EEEE10hipError_tT0_T1_T2_jT3_P12ihipStream_tbPNSt15iterator_traitsISH_E10value_typeEPNSN_ISI_E10value_typeEPSJ_NS1_7vsmem_tEENKUlT_SH_SI_SJ_E_clIS9_S9_SD_PlEESG_SW_SH_SI_SJ_EUlSW_E_NS1_11comp_targetILNS1_3genE5ELNS1_11target_archE942ELNS1_3gpuE9ELNS1_3repE0EEENS1_48merge_mergepath_partition_config_static_selectorELNS0_4arch9wavefront6targetE1EEEvSI_.uses_flat_scratch, 0
	.set _ZN7rocprim17ROCPRIM_400000_NS6detail17trampoline_kernelINS0_14default_configENS1_38merge_sort_block_merge_config_selectorIN3c108BFloat16ElEEZZNS1_27merge_sort_block_merge_implIS3_PS6_N6thrust23THRUST_200600_302600_NS10device_ptrIlEEmNSB_4lessIS6_EEEE10hipError_tT0_T1_T2_jT3_P12ihipStream_tbPNSt15iterator_traitsISH_E10value_typeEPNSN_ISI_E10value_typeEPSJ_NS1_7vsmem_tEENKUlT_SH_SI_SJ_E_clIS9_S9_SD_PlEESG_SW_SH_SI_SJ_EUlSW_E_NS1_11comp_targetILNS1_3genE5ELNS1_11target_archE942ELNS1_3gpuE9ELNS1_3repE0EEENS1_48merge_mergepath_partition_config_static_selectorELNS0_4arch9wavefront6targetE1EEEvSI_.has_dyn_sized_stack, 0
	.set _ZN7rocprim17ROCPRIM_400000_NS6detail17trampoline_kernelINS0_14default_configENS1_38merge_sort_block_merge_config_selectorIN3c108BFloat16ElEEZZNS1_27merge_sort_block_merge_implIS3_PS6_N6thrust23THRUST_200600_302600_NS10device_ptrIlEEmNSB_4lessIS6_EEEE10hipError_tT0_T1_T2_jT3_P12ihipStream_tbPNSt15iterator_traitsISH_E10value_typeEPNSN_ISI_E10value_typeEPSJ_NS1_7vsmem_tEENKUlT_SH_SI_SJ_E_clIS9_S9_SD_PlEESG_SW_SH_SI_SJ_EUlSW_E_NS1_11comp_targetILNS1_3genE5ELNS1_11target_archE942ELNS1_3gpuE9ELNS1_3repE0EEENS1_48merge_mergepath_partition_config_static_selectorELNS0_4arch9wavefront6targetE1EEEvSI_.has_recursion, 0
	.set _ZN7rocprim17ROCPRIM_400000_NS6detail17trampoline_kernelINS0_14default_configENS1_38merge_sort_block_merge_config_selectorIN3c108BFloat16ElEEZZNS1_27merge_sort_block_merge_implIS3_PS6_N6thrust23THRUST_200600_302600_NS10device_ptrIlEEmNSB_4lessIS6_EEEE10hipError_tT0_T1_T2_jT3_P12ihipStream_tbPNSt15iterator_traitsISH_E10value_typeEPNSN_ISI_E10value_typeEPSJ_NS1_7vsmem_tEENKUlT_SH_SI_SJ_E_clIS9_S9_SD_PlEESG_SW_SH_SI_SJ_EUlSW_E_NS1_11comp_targetILNS1_3genE5ELNS1_11target_archE942ELNS1_3gpuE9ELNS1_3repE0EEENS1_48merge_mergepath_partition_config_static_selectorELNS0_4arch9wavefront6targetE1EEEvSI_.has_indirect_call, 0
	.section	.AMDGPU.csdata,"",@progbits
; Kernel info:
; codeLenInByte = 0
; TotalNumSgprs: 4
; NumVgprs: 0
; ScratchSize: 0
; MemoryBound: 0
; FloatMode: 240
; IeeeMode: 1
; LDSByteSize: 0 bytes/workgroup (compile time only)
; SGPRBlocks: 0
; VGPRBlocks: 0
; NumSGPRsForWavesPerEU: 4
; NumVGPRsForWavesPerEU: 1
; Occupancy: 10
; WaveLimiterHint : 0
; COMPUTE_PGM_RSRC2:SCRATCH_EN: 0
; COMPUTE_PGM_RSRC2:USER_SGPR: 6
; COMPUTE_PGM_RSRC2:TRAP_HANDLER: 0
; COMPUTE_PGM_RSRC2:TGID_X_EN: 1
; COMPUTE_PGM_RSRC2:TGID_Y_EN: 0
; COMPUTE_PGM_RSRC2:TGID_Z_EN: 0
; COMPUTE_PGM_RSRC2:TIDIG_COMP_CNT: 0
	.section	.text._ZN7rocprim17ROCPRIM_400000_NS6detail17trampoline_kernelINS0_14default_configENS1_38merge_sort_block_merge_config_selectorIN3c108BFloat16ElEEZZNS1_27merge_sort_block_merge_implIS3_PS6_N6thrust23THRUST_200600_302600_NS10device_ptrIlEEmNSB_4lessIS6_EEEE10hipError_tT0_T1_T2_jT3_P12ihipStream_tbPNSt15iterator_traitsISH_E10value_typeEPNSN_ISI_E10value_typeEPSJ_NS1_7vsmem_tEENKUlT_SH_SI_SJ_E_clIS9_S9_SD_PlEESG_SW_SH_SI_SJ_EUlSW_E_NS1_11comp_targetILNS1_3genE4ELNS1_11target_archE910ELNS1_3gpuE8ELNS1_3repE0EEENS1_48merge_mergepath_partition_config_static_selectorELNS0_4arch9wavefront6targetE1EEEvSI_,"axG",@progbits,_ZN7rocprim17ROCPRIM_400000_NS6detail17trampoline_kernelINS0_14default_configENS1_38merge_sort_block_merge_config_selectorIN3c108BFloat16ElEEZZNS1_27merge_sort_block_merge_implIS3_PS6_N6thrust23THRUST_200600_302600_NS10device_ptrIlEEmNSB_4lessIS6_EEEE10hipError_tT0_T1_T2_jT3_P12ihipStream_tbPNSt15iterator_traitsISH_E10value_typeEPNSN_ISI_E10value_typeEPSJ_NS1_7vsmem_tEENKUlT_SH_SI_SJ_E_clIS9_S9_SD_PlEESG_SW_SH_SI_SJ_EUlSW_E_NS1_11comp_targetILNS1_3genE4ELNS1_11target_archE910ELNS1_3gpuE8ELNS1_3repE0EEENS1_48merge_mergepath_partition_config_static_selectorELNS0_4arch9wavefront6targetE1EEEvSI_,comdat
	.protected	_ZN7rocprim17ROCPRIM_400000_NS6detail17trampoline_kernelINS0_14default_configENS1_38merge_sort_block_merge_config_selectorIN3c108BFloat16ElEEZZNS1_27merge_sort_block_merge_implIS3_PS6_N6thrust23THRUST_200600_302600_NS10device_ptrIlEEmNSB_4lessIS6_EEEE10hipError_tT0_T1_T2_jT3_P12ihipStream_tbPNSt15iterator_traitsISH_E10value_typeEPNSN_ISI_E10value_typeEPSJ_NS1_7vsmem_tEENKUlT_SH_SI_SJ_E_clIS9_S9_SD_PlEESG_SW_SH_SI_SJ_EUlSW_E_NS1_11comp_targetILNS1_3genE4ELNS1_11target_archE910ELNS1_3gpuE8ELNS1_3repE0EEENS1_48merge_mergepath_partition_config_static_selectorELNS0_4arch9wavefront6targetE1EEEvSI_ ; -- Begin function _ZN7rocprim17ROCPRIM_400000_NS6detail17trampoline_kernelINS0_14default_configENS1_38merge_sort_block_merge_config_selectorIN3c108BFloat16ElEEZZNS1_27merge_sort_block_merge_implIS3_PS6_N6thrust23THRUST_200600_302600_NS10device_ptrIlEEmNSB_4lessIS6_EEEE10hipError_tT0_T1_T2_jT3_P12ihipStream_tbPNSt15iterator_traitsISH_E10value_typeEPNSN_ISI_E10value_typeEPSJ_NS1_7vsmem_tEENKUlT_SH_SI_SJ_E_clIS9_S9_SD_PlEESG_SW_SH_SI_SJ_EUlSW_E_NS1_11comp_targetILNS1_3genE4ELNS1_11target_archE910ELNS1_3gpuE8ELNS1_3repE0EEENS1_48merge_mergepath_partition_config_static_selectorELNS0_4arch9wavefront6targetE1EEEvSI_
	.globl	_ZN7rocprim17ROCPRIM_400000_NS6detail17trampoline_kernelINS0_14default_configENS1_38merge_sort_block_merge_config_selectorIN3c108BFloat16ElEEZZNS1_27merge_sort_block_merge_implIS3_PS6_N6thrust23THRUST_200600_302600_NS10device_ptrIlEEmNSB_4lessIS6_EEEE10hipError_tT0_T1_T2_jT3_P12ihipStream_tbPNSt15iterator_traitsISH_E10value_typeEPNSN_ISI_E10value_typeEPSJ_NS1_7vsmem_tEENKUlT_SH_SI_SJ_E_clIS9_S9_SD_PlEESG_SW_SH_SI_SJ_EUlSW_E_NS1_11comp_targetILNS1_3genE4ELNS1_11target_archE910ELNS1_3gpuE8ELNS1_3repE0EEENS1_48merge_mergepath_partition_config_static_selectorELNS0_4arch9wavefront6targetE1EEEvSI_
	.p2align	8
	.type	_ZN7rocprim17ROCPRIM_400000_NS6detail17trampoline_kernelINS0_14default_configENS1_38merge_sort_block_merge_config_selectorIN3c108BFloat16ElEEZZNS1_27merge_sort_block_merge_implIS3_PS6_N6thrust23THRUST_200600_302600_NS10device_ptrIlEEmNSB_4lessIS6_EEEE10hipError_tT0_T1_T2_jT3_P12ihipStream_tbPNSt15iterator_traitsISH_E10value_typeEPNSN_ISI_E10value_typeEPSJ_NS1_7vsmem_tEENKUlT_SH_SI_SJ_E_clIS9_S9_SD_PlEESG_SW_SH_SI_SJ_EUlSW_E_NS1_11comp_targetILNS1_3genE4ELNS1_11target_archE910ELNS1_3gpuE8ELNS1_3repE0EEENS1_48merge_mergepath_partition_config_static_selectorELNS0_4arch9wavefront6targetE1EEEvSI_,@function
_ZN7rocprim17ROCPRIM_400000_NS6detail17trampoline_kernelINS0_14default_configENS1_38merge_sort_block_merge_config_selectorIN3c108BFloat16ElEEZZNS1_27merge_sort_block_merge_implIS3_PS6_N6thrust23THRUST_200600_302600_NS10device_ptrIlEEmNSB_4lessIS6_EEEE10hipError_tT0_T1_T2_jT3_P12ihipStream_tbPNSt15iterator_traitsISH_E10value_typeEPNSN_ISI_E10value_typeEPSJ_NS1_7vsmem_tEENKUlT_SH_SI_SJ_E_clIS9_S9_SD_PlEESG_SW_SH_SI_SJ_EUlSW_E_NS1_11comp_targetILNS1_3genE4ELNS1_11target_archE910ELNS1_3gpuE8ELNS1_3repE0EEENS1_48merge_mergepath_partition_config_static_selectorELNS0_4arch9wavefront6targetE1EEEvSI_: ; @_ZN7rocprim17ROCPRIM_400000_NS6detail17trampoline_kernelINS0_14default_configENS1_38merge_sort_block_merge_config_selectorIN3c108BFloat16ElEEZZNS1_27merge_sort_block_merge_implIS3_PS6_N6thrust23THRUST_200600_302600_NS10device_ptrIlEEmNSB_4lessIS6_EEEE10hipError_tT0_T1_T2_jT3_P12ihipStream_tbPNSt15iterator_traitsISH_E10value_typeEPNSN_ISI_E10value_typeEPSJ_NS1_7vsmem_tEENKUlT_SH_SI_SJ_E_clIS9_S9_SD_PlEESG_SW_SH_SI_SJ_EUlSW_E_NS1_11comp_targetILNS1_3genE4ELNS1_11target_archE910ELNS1_3gpuE8ELNS1_3repE0EEENS1_48merge_mergepath_partition_config_static_selectorELNS0_4arch9wavefront6targetE1EEEvSI_
; %bb.0:
	.section	.rodata,"a",@progbits
	.p2align	6, 0x0
	.amdhsa_kernel _ZN7rocprim17ROCPRIM_400000_NS6detail17trampoline_kernelINS0_14default_configENS1_38merge_sort_block_merge_config_selectorIN3c108BFloat16ElEEZZNS1_27merge_sort_block_merge_implIS3_PS6_N6thrust23THRUST_200600_302600_NS10device_ptrIlEEmNSB_4lessIS6_EEEE10hipError_tT0_T1_T2_jT3_P12ihipStream_tbPNSt15iterator_traitsISH_E10value_typeEPNSN_ISI_E10value_typeEPSJ_NS1_7vsmem_tEENKUlT_SH_SI_SJ_E_clIS9_S9_SD_PlEESG_SW_SH_SI_SJ_EUlSW_E_NS1_11comp_targetILNS1_3genE4ELNS1_11target_archE910ELNS1_3gpuE8ELNS1_3repE0EEENS1_48merge_mergepath_partition_config_static_selectorELNS0_4arch9wavefront6targetE1EEEvSI_
		.amdhsa_group_segment_fixed_size 0
		.amdhsa_private_segment_fixed_size 0
		.amdhsa_kernarg_size 48
		.amdhsa_user_sgpr_count 6
		.amdhsa_user_sgpr_private_segment_buffer 1
		.amdhsa_user_sgpr_dispatch_ptr 0
		.amdhsa_user_sgpr_queue_ptr 0
		.amdhsa_user_sgpr_kernarg_segment_ptr 1
		.amdhsa_user_sgpr_dispatch_id 0
		.amdhsa_user_sgpr_flat_scratch_init 0
		.amdhsa_user_sgpr_private_segment_size 0
		.amdhsa_uses_dynamic_stack 0
		.amdhsa_system_sgpr_private_segment_wavefront_offset 0
		.amdhsa_system_sgpr_workgroup_id_x 1
		.amdhsa_system_sgpr_workgroup_id_y 0
		.amdhsa_system_sgpr_workgroup_id_z 0
		.amdhsa_system_sgpr_workgroup_info 0
		.amdhsa_system_vgpr_workitem_id 0
		.amdhsa_next_free_vgpr 1
		.amdhsa_next_free_sgpr 0
		.amdhsa_reserve_vcc 0
		.amdhsa_reserve_flat_scratch 0
		.amdhsa_float_round_mode_32 0
		.amdhsa_float_round_mode_16_64 0
		.amdhsa_float_denorm_mode_32 3
		.amdhsa_float_denorm_mode_16_64 3
		.amdhsa_dx10_clamp 1
		.amdhsa_ieee_mode 1
		.amdhsa_fp16_overflow 0
		.amdhsa_exception_fp_ieee_invalid_op 0
		.amdhsa_exception_fp_denorm_src 0
		.amdhsa_exception_fp_ieee_div_zero 0
		.amdhsa_exception_fp_ieee_overflow 0
		.amdhsa_exception_fp_ieee_underflow 0
		.amdhsa_exception_fp_ieee_inexact 0
		.amdhsa_exception_int_div_zero 0
	.end_amdhsa_kernel
	.section	.text._ZN7rocprim17ROCPRIM_400000_NS6detail17trampoline_kernelINS0_14default_configENS1_38merge_sort_block_merge_config_selectorIN3c108BFloat16ElEEZZNS1_27merge_sort_block_merge_implIS3_PS6_N6thrust23THRUST_200600_302600_NS10device_ptrIlEEmNSB_4lessIS6_EEEE10hipError_tT0_T1_T2_jT3_P12ihipStream_tbPNSt15iterator_traitsISH_E10value_typeEPNSN_ISI_E10value_typeEPSJ_NS1_7vsmem_tEENKUlT_SH_SI_SJ_E_clIS9_S9_SD_PlEESG_SW_SH_SI_SJ_EUlSW_E_NS1_11comp_targetILNS1_3genE4ELNS1_11target_archE910ELNS1_3gpuE8ELNS1_3repE0EEENS1_48merge_mergepath_partition_config_static_selectorELNS0_4arch9wavefront6targetE1EEEvSI_,"axG",@progbits,_ZN7rocprim17ROCPRIM_400000_NS6detail17trampoline_kernelINS0_14default_configENS1_38merge_sort_block_merge_config_selectorIN3c108BFloat16ElEEZZNS1_27merge_sort_block_merge_implIS3_PS6_N6thrust23THRUST_200600_302600_NS10device_ptrIlEEmNSB_4lessIS6_EEEE10hipError_tT0_T1_T2_jT3_P12ihipStream_tbPNSt15iterator_traitsISH_E10value_typeEPNSN_ISI_E10value_typeEPSJ_NS1_7vsmem_tEENKUlT_SH_SI_SJ_E_clIS9_S9_SD_PlEESG_SW_SH_SI_SJ_EUlSW_E_NS1_11comp_targetILNS1_3genE4ELNS1_11target_archE910ELNS1_3gpuE8ELNS1_3repE0EEENS1_48merge_mergepath_partition_config_static_selectorELNS0_4arch9wavefront6targetE1EEEvSI_,comdat
.Lfunc_end2005:
	.size	_ZN7rocprim17ROCPRIM_400000_NS6detail17trampoline_kernelINS0_14default_configENS1_38merge_sort_block_merge_config_selectorIN3c108BFloat16ElEEZZNS1_27merge_sort_block_merge_implIS3_PS6_N6thrust23THRUST_200600_302600_NS10device_ptrIlEEmNSB_4lessIS6_EEEE10hipError_tT0_T1_T2_jT3_P12ihipStream_tbPNSt15iterator_traitsISH_E10value_typeEPNSN_ISI_E10value_typeEPSJ_NS1_7vsmem_tEENKUlT_SH_SI_SJ_E_clIS9_S9_SD_PlEESG_SW_SH_SI_SJ_EUlSW_E_NS1_11comp_targetILNS1_3genE4ELNS1_11target_archE910ELNS1_3gpuE8ELNS1_3repE0EEENS1_48merge_mergepath_partition_config_static_selectorELNS0_4arch9wavefront6targetE1EEEvSI_, .Lfunc_end2005-_ZN7rocprim17ROCPRIM_400000_NS6detail17trampoline_kernelINS0_14default_configENS1_38merge_sort_block_merge_config_selectorIN3c108BFloat16ElEEZZNS1_27merge_sort_block_merge_implIS3_PS6_N6thrust23THRUST_200600_302600_NS10device_ptrIlEEmNSB_4lessIS6_EEEE10hipError_tT0_T1_T2_jT3_P12ihipStream_tbPNSt15iterator_traitsISH_E10value_typeEPNSN_ISI_E10value_typeEPSJ_NS1_7vsmem_tEENKUlT_SH_SI_SJ_E_clIS9_S9_SD_PlEESG_SW_SH_SI_SJ_EUlSW_E_NS1_11comp_targetILNS1_3genE4ELNS1_11target_archE910ELNS1_3gpuE8ELNS1_3repE0EEENS1_48merge_mergepath_partition_config_static_selectorELNS0_4arch9wavefront6targetE1EEEvSI_
                                        ; -- End function
	.set _ZN7rocprim17ROCPRIM_400000_NS6detail17trampoline_kernelINS0_14default_configENS1_38merge_sort_block_merge_config_selectorIN3c108BFloat16ElEEZZNS1_27merge_sort_block_merge_implIS3_PS6_N6thrust23THRUST_200600_302600_NS10device_ptrIlEEmNSB_4lessIS6_EEEE10hipError_tT0_T1_T2_jT3_P12ihipStream_tbPNSt15iterator_traitsISH_E10value_typeEPNSN_ISI_E10value_typeEPSJ_NS1_7vsmem_tEENKUlT_SH_SI_SJ_E_clIS9_S9_SD_PlEESG_SW_SH_SI_SJ_EUlSW_E_NS1_11comp_targetILNS1_3genE4ELNS1_11target_archE910ELNS1_3gpuE8ELNS1_3repE0EEENS1_48merge_mergepath_partition_config_static_selectorELNS0_4arch9wavefront6targetE1EEEvSI_.num_vgpr, 0
	.set _ZN7rocprim17ROCPRIM_400000_NS6detail17trampoline_kernelINS0_14default_configENS1_38merge_sort_block_merge_config_selectorIN3c108BFloat16ElEEZZNS1_27merge_sort_block_merge_implIS3_PS6_N6thrust23THRUST_200600_302600_NS10device_ptrIlEEmNSB_4lessIS6_EEEE10hipError_tT0_T1_T2_jT3_P12ihipStream_tbPNSt15iterator_traitsISH_E10value_typeEPNSN_ISI_E10value_typeEPSJ_NS1_7vsmem_tEENKUlT_SH_SI_SJ_E_clIS9_S9_SD_PlEESG_SW_SH_SI_SJ_EUlSW_E_NS1_11comp_targetILNS1_3genE4ELNS1_11target_archE910ELNS1_3gpuE8ELNS1_3repE0EEENS1_48merge_mergepath_partition_config_static_selectorELNS0_4arch9wavefront6targetE1EEEvSI_.num_agpr, 0
	.set _ZN7rocprim17ROCPRIM_400000_NS6detail17trampoline_kernelINS0_14default_configENS1_38merge_sort_block_merge_config_selectorIN3c108BFloat16ElEEZZNS1_27merge_sort_block_merge_implIS3_PS6_N6thrust23THRUST_200600_302600_NS10device_ptrIlEEmNSB_4lessIS6_EEEE10hipError_tT0_T1_T2_jT3_P12ihipStream_tbPNSt15iterator_traitsISH_E10value_typeEPNSN_ISI_E10value_typeEPSJ_NS1_7vsmem_tEENKUlT_SH_SI_SJ_E_clIS9_S9_SD_PlEESG_SW_SH_SI_SJ_EUlSW_E_NS1_11comp_targetILNS1_3genE4ELNS1_11target_archE910ELNS1_3gpuE8ELNS1_3repE0EEENS1_48merge_mergepath_partition_config_static_selectorELNS0_4arch9wavefront6targetE1EEEvSI_.numbered_sgpr, 0
	.set _ZN7rocprim17ROCPRIM_400000_NS6detail17trampoline_kernelINS0_14default_configENS1_38merge_sort_block_merge_config_selectorIN3c108BFloat16ElEEZZNS1_27merge_sort_block_merge_implIS3_PS6_N6thrust23THRUST_200600_302600_NS10device_ptrIlEEmNSB_4lessIS6_EEEE10hipError_tT0_T1_T2_jT3_P12ihipStream_tbPNSt15iterator_traitsISH_E10value_typeEPNSN_ISI_E10value_typeEPSJ_NS1_7vsmem_tEENKUlT_SH_SI_SJ_E_clIS9_S9_SD_PlEESG_SW_SH_SI_SJ_EUlSW_E_NS1_11comp_targetILNS1_3genE4ELNS1_11target_archE910ELNS1_3gpuE8ELNS1_3repE0EEENS1_48merge_mergepath_partition_config_static_selectorELNS0_4arch9wavefront6targetE1EEEvSI_.num_named_barrier, 0
	.set _ZN7rocprim17ROCPRIM_400000_NS6detail17trampoline_kernelINS0_14default_configENS1_38merge_sort_block_merge_config_selectorIN3c108BFloat16ElEEZZNS1_27merge_sort_block_merge_implIS3_PS6_N6thrust23THRUST_200600_302600_NS10device_ptrIlEEmNSB_4lessIS6_EEEE10hipError_tT0_T1_T2_jT3_P12ihipStream_tbPNSt15iterator_traitsISH_E10value_typeEPNSN_ISI_E10value_typeEPSJ_NS1_7vsmem_tEENKUlT_SH_SI_SJ_E_clIS9_S9_SD_PlEESG_SW_SH_SI_SJ_EUlSW_E_NS1_11comp_targetILNS1_3genE4ELNS1_11target_archE910ELNS1_3gpuE8ELNS1_3repE0EEENS1_48merge_mergepath_partition_config_static_selectorELNS0_4arch9wavefront6targetE1EEEvSI_.private_seg_size, 0
	.set _ZN7rocprim17ROCPRIM_400000_NS6detail17trampoline_kernelINS0_14default_configENS1_38merge_sort_block_merge_config_selectorIN3c108BFloat16ElEEZZNS1_27merge_sort_block_merge_implIS3_PS6_N6thrust23THRUST_200600_302600_NS10device_ptrIlEEmNSB_4lessIS6_EEEE10hipError_tT0_T1_T2_jT3_P12ihipStream_tbPNSt15iterator_traitsISH_E10value_typeEPNSN_ISI_E10value_typeEPSJ_NS1_7vsmem_tEENKUlT_SH_SI_SJ_E_clIS9_S9_SD_PlEESG_SW_SH_SI_SJ_EUlSW_E_NS1_11comp_targetILNS1_3genE4ELNS1_11target_archE910ELNS1_3gpuE8ELNS1_3repE0EEENS1_48merge_mergepath_partition_config_static_selectorELNS0_4arch9wavefront6targetE1EEEvSI_.uses_vcc, 0
	.set _ZN7rocprim17ROCPRIM_400000_NS6detail17trampoline_kernelINS0_14default_configENS1_38merge_sort_block_merge_config_selectorIN3c108BFloat16ElEEZZNS1_27merge_sort_block_merge_implIS3_PS6_N6thrust23THRUST_200600_302600_NS10device_ptrIlEEmNSB_4lessIS6_EEEE10hipError_tT0_T1_T2_jT3_P12ihipStream_tbPNSt15iterator_traitsISH_E10value_typeEPNSN_ISI_E10value_typeEPSJ_NS1_7vsmem_tEENKUlT_SH_SI_SJ_E_clIS9_S9_SD_PlEESG_SW_SH_SI_SJ_EUlSW_E_NS1_11comp_targetILNS1_3genE4ELNS1_11target_archE910ELNS1_3gpuE8ELNS1_3repE0EEENS1_48merge_mergepath_partition_config_static_selectorELNS0_4arch9wavefront6targetE1EEEvSI_.uses_flat_scratch, 0
	.set _ZN7rocprim17ROCPRIM_400000_NS6detail17trampoline_kernelINS0_14default_configENS1_38merge_sort_block_merge_config_selectorIN3c108BFloat16ElEEZZNS1_27merge_sort_block_merge_implIS3_PS6_N6thrust23THRUST_200600_302600_NS10device_ptrIlEEmNSB_4lessIS6_EEEE10hipError_tT0_T1_T2_jT3_P12ihipStream_tbPNSt15iterator_traitsISH_E10value_typeEPNSN_ISI_E10value_typeEPSJ_NS1_7vsmem_tEENKUlT_SH_SI_SJ_E_clIS9_S9_SD_PlEESG_SW_SH_SI_SJ_EUlSW_E_NS1_11comp_targetILNS1_3genE4ELNS1_11target_archE910ELNS1_3gpuE8ELNS1_3repE0EEENS1_48merge_mergepath_partition_config_static_selectorELNS0_4arch9wavefront6targetE1EEEvSI_.has_dyn_sized_stack, 0
	.set _ZN7rocprim17ROCPRIM_400000_NS6detail17trampoline_kernelINS0_14default_configENS1_38merge_sort_block_merge_config_selectorIN3c108BFloat16ElEEZZNS1_27merge_sort_block_merge_implIS3_PS6_N6thrust23THRUST_200600_302600_NS10device_ptrIlEEmNSB_4lessIS6_EEEE10hipError_tT0_T1_T2_jT3_P12ihipStream_tbPNSt15iterator_traitsISH_E10value_typeEPNSN_ISI_E10value_typeEPSJ_NS1_7vsmem_tEENKUlT_SH_SI_SJ_E_clIS9_S9_SD_PlEESG_SW_SH_SI_SJ_EUlSW_E_NS1_11comp_targetILNS1_3genE4ELNS1_11target_archE910ELNS1_3gpuE8ELNS1_3repE0EEENS1_48merge_mergepath_partition_config_static_selectorELNS0_4arch9wavefront6targetE1EEEvSI_.has_recursion, 0
	.set _ZN7rocprim17ROCPRIM_400000_NS6detail17trampoline_kernelINS0_14default_configENS1_38merge_sort_block_merge_config_selectorIN3c108BFloat16ElEEZZNS1_27merge_sort_block_merge_implIS3_PS6_N6thrust23THRUST_200600_302600_NS10device_ptrIlEEmNSB_4lessIS6_EEEE10hipError_tT0_T1_T2_jT3_P12ihipStream_tbPNSt15iterator_traitsISH_E10value_typeEPNSN_ISI_E10value_typeEPSJ_NS1_7vsmem_tEENKUlT_SH_SI_SJ_E_clIS9_S9_SD_PlEESG_SW_SH_SI_SJ_EUlSW_E_NS1_11comp_targetILNS1_3genE4ELNS1_11target_archE910ELNS1_3gpuE8ELNS1_3repE0EEENS1_48merge_mergepath_partition_config_static_selectorELNS0_4arch9wavefront6targetE1EEEvSI_.has_indirect_call, 0
	.section	.AMDGPU.csdata,"",@progbits
; Kernel info:
; codeLenInByte = 0
; TotalNumSgprs: 4
; NumVgprs: 0
; ScratchSize: 0
; MemoryBound: 0
; FloatMode: 240
; IeeeMode: 1
; LDSByteSize: 0 bytes/workgroup (compile time only)
; SGPRBlocks: 0
; VGPRBlocks: 0
; NumSGPRsForWavesPerEU: 4
; NumVGPRsForWavesPerEU: 1
; Occupancy: 10
; WaveLimiterHint : 0
; COMPUTE_PGM_RSRC2:SCRATCH_EN: 0
; COMPUTE_PGM_RSRC2:USER_SGPR: 6
; COMPUTE_PGM_RSRC2:TRAP_HANDLER: 0
; COMPUTE_PGM_RSRC2:TGID_X_EN: 1
; COMPUTE_PGM_RSRC2:TGID_Y_EN: 0
; COMPUTE_PGM_RSRC2:TGID_Z_EN: 0
; COMPUTE_PGM_RSRC2:TIDIG_COMP_CNT: 0
	.section	.text._ZN7rocprim17ROCPRIM_400000_NS6detail17trampoline_kernelINS0_14default_configENS1_38merge_sort_block_merge_config_selectorIN3c108BFloat16ElEEZZNS1_27merge_sort_block_merge_implIS3_PS6_N6thrust23THRUST_200600_302600_NS10device_ptrIlEEmNSB_4lessIS6_EEEE10hipError_tT0_T1_T2_jT3_P12ihipStream_tbPNSt15iterator_traitsISH_E10value_typeEPNSN_ISI_E10value_typeEPSJ_NS1_7vsmem_tEENKUlT_SH_SI_SJ_E_clIS9_S9_SD_PlEESG_SW_SH_SI_SJ_EUlSW_E_NS1_11comp_targetILNS1_3genE3ELNS1_11target_archE908ELNS1_3gpuE7ELNS1_3repE0EEENS1_48merge_mergepath_partition_config_static_selectorELNS0_4arch9wavefront6targetE1EEEvSI_,"axG",@progbits,_ZN7rocprim17ROCPRIM_400000_NS6detail17trampoline_kernelINS0_14default_configENS1_38merge_sort_block_merge_config_selectorIN3c108BFloat16ElEEZZNS1_27merge_sort_block_merge_implIS3_PS6_N6thrust23THRUST_200600_302600_NS10device_ptrIlEEmNSB_4lessIS6_EEEE10hipError_tT0_T1_T2_jT3_P12ihipStream_tbPNSt15iterator_traitsISH_E10value_typeEPNSN_ISI_E10value_typeEPSJ_NS1_7vsmem_tEENKUlT_SH_SI_SJ_E_clIS9_S9_SD_PlEESG_SW_SH_SI_SJ_EUlSW_E_NS1_11comp_targetILNS1_3genE3ELNS1_11target_archE908ELNS1_3gpuE7ELNS1_3repE0EEENS1_48merge_mergepath_partition_config_static_selectorELNS0_4arch9wavefront6targetE1EEEvSI_,comdat
	.protected	_ZN7rocprim17ROCPRIM_400000_NS6detail17trampoline_kernelINS0_14default_configENS1_38merge_sort_block_merge_config_selectorIN3c108BFloat16ElEEZZNS1_27merge_sort_block_merge_implIS3_PS6_N6thrust23THRUST_200600_302600_NS10device_ptrIlEEmNSB_4lessIS6_EEEE10hipError_tT0_T1_T2_jT3_P12ihipStream_tbPNSt15iterator_traitsISH_E10value_typeEPNSN_ISI_E10value_typeEPSJ_NS1_7vsmem_tEENKUlT_SH_SI_SJ_E_clIS9_S9_SD_PlEESG_SW_SH_SI_SJ_EUlSW_E_NS1_11comp_targetILNS1_3genE3ELNS1_11target_archE908ELNS1_3gpuE7ELNS1_3repE0EEENS1_48merge_mergepath_partition_config_static_selectorELNS0_4arch9wavefront6targetE1EEEvSI_ ; -- Begin function _ZN7rocprim17ROCPRIM_400000_NS6detail17trampoline_kernelINS0_14default_configENS1_38merge_sort_block_merge_config_selectorIN3c108BFloat16ElEEZZNS1_27merge_sort_block_merge_implIS3_PS6_N6thrust23THRUST_200600_302600_NS10device_ptrIlEEmNSB_4lessIS6_EEEE10hipError_tT0_T1_T2_jT3_P12ihipStream_tbPNSt15iterator_traitsISH_E10value_typeEPNSN_ISI_E10value_typeEPSJ_NS1_7vsmem_tEENKUlT_SH_SI_SJ_E_clIS9_S9_SD_PlEESG_SW_SH_SI_SJ_EUlSW_E_NS1_11comp_targetILNS1_3genE3ELNS1_11target_archE908ELNS1_3gpuE7ELNS1_3repE0EEENS1_48merge_mergepath_partition_config_static_selectorELNS0_4arch9wavefront6targetE1EEEvSI_
	.globl	_ZN7rocprim17ROCPRIM_400000_NS6detail17trampoline_kernelINS0_14default_configENS1_38merge_sort_block_merge_config_selectorIN3c108BFloat16ElEEZZNS1_27merge_sort_block_merge_implIS3_PS6_N6thrust23THRUST_200600_302600_NS10device_ptrIlEEmNSB_4lessIS6_EEEE10hipError_tT0_T1_T2_jT3_P12ihipStream_tbPNSt15iterator_traitsISH_E10value_typeEPNSN_ISI_E10value_typeEPSJ_NS1_7vsmem_tEENKUlT_SH_SI_SJ_E_clIS9_S9_SD_PlEESG_SW_SH_SI_SJ_EUlSW_E_NS1_11comp_targetILNS1_3genE3ELNS1_11target_archE908ELNS1_3gpuE7ELNS1_3repE0EEENS1_48merge_mergepath_partition_config_static_selectorELNS0_4arch9wavefront6targetE1EEEvSI_
	.p2align	8
	.type	_ZN7rocprim17ROCPRIM_400000_NS6detail17trampoline_kernelINS0_14default_configENS1_38merge_sort_block_merge_config_selectorIN3c108BFloat16ElEEZZNS1_27merge_sort_block_merge_implIS3_PS6_N6thrust23THRUST_200600_302600_NS10device_ptrIlEEmNSB_4lessIS6_EEEE10hipError_tT0_T1_T2_jT3_P12ihipStream_tbPNSt15iterator_traitsISH_E10value_typeEPNSN_ISI_E10value_typeEPSJ_NS1_7vsmem_tEENKUlT_SH_SI_SJ_E_clIS9_S9_SD_PlEESG_SW_SH_SI_SJ_EUlSW_E_NS1_11comp_targetILNS1_3genE3ELNS1_11target_archE908ELNS1_3gpuE7ELNS1_3repE0EEENS1_48merge_mergepath_partition_config_static_selectorELNS0_4arch9wavefront6targetE1EEEvSI_,@function
_ZN7rocprim17ROCPRIM_400000_NS6detail17trampoline_kernelINS0_14default_configENS1_38merge_sort_block_merge_config_selectorIN3c108BFloat16ElEEZZNS1_27merge_sort_block_merge_implIS3_PS6_N6thrust23THRUST_200600_302600_NS10device_ptrIlEEmNSB_4lessIS6_EEEE10hipError_tT0_T1_T2_jT3_P12ihipStream_tbPNSt15iterator_traitsISH_E10value_typeEPNSN_ISI_E10value_typeEPSJ_NS1_7vsmem_tEENKUlT_SH_SI_SJ_E_clIS9_S9_SD_PlEESG_SW_SH_SI_SJ_EUlSW_E_NS1_11comp_targetILNS1_3genE3ELNS1_11target_archE908ELNS1_3gpuE7ELNS1_3repE0EEENS1_48merge_mergepath_partition_config_static_selectorELNS0_4arch9wavefront6targetE1EEEvSI_: ; @_ZN7rocprim17ROCPRIM_400000_NS6detail17trampoline_kernelINS0_14default_configENS1_38merge_sort_block_merge_config_selectorIN3c108BFloat16ElEEZZNS1_27merge_sort_block_merge_implIS3_PS6_N6thrust23THRUST_200600_302600_NS10device_ptrIlEEmNSB_4lessIS6_EEEE10hipError_tT0_T1_T2_jT3_P12ihipStream_tbPNSt15iterator_traitsISH_E10value_typeEPNSN_ISI_E10value_typeEPSJ_NS1_7vsmem_tEENKUlT_SH_SI_SJ_E_clIS9_S9_SD_PlEESG_SW_SH_SI_SJ_EUlSW_E_NS1_11comp_targetILNS1_3genE3ELNS1_11target_archE908ELNS1_3gpuE7ELNS1_3repE0EEENS1_48merge_mergepath_partition_config_static_selectorELNS0_4arch9wavefront6targetE1EEEvSI_
; %bb.0:
	.section	.rodata,"a",@progbits
	.p2align	6, 0x0
	.amdhsa_kernel _ZN7rocprim17ROCPRIM_400000_NS6detail17trampoline_kernelINS0_14default_configENS1_38merge_sort_block_merge_config_selectorIN3c108BFloat16ElEEZZNS1_27merge_sort_block_merge_implIS3_PS6_N6thrust23THRUST_200600_302600_NS10device_ptrIlEEmNSB_4lessIS6_EEEE10hipError_tT0_T1_T2_jT3_P12ihipStream_tbPNSt15iterator_traitsISH_E10value_typeEPNSN_ISI_E10value_typeEPSJ_NS1_7vsmem_tEENKUlT_SH_SI_SJ_E_clIS9_S9_SD_PlEESG_SW_SH_SI_SJ_EUlSW_E_NS1_11comp_targetILNS1_3genE3ELNS1_11target_archE908ELNS1_3gpuE7ELNS1_3repE0EEENS1_48merge_mergepath_partition_config_static_selectorELNS0_4arch9wavefront6targetE1EEEvSI_
		.amdhsa_group_segment_fixed_size 0
		.amdhsa_private_segment_fixed_size 0
		.amdhsa_kernarg_size 48
		.amdhsa_user_sgpr_count 6
		.amdhsa_user_sgpr_private_segment_buffer 1
		.amdhsa_user_sgpr_dispatch_ptr 0
		.amdhsa_user_sgpr_queue_ptr 0
		.amdhsa_user_sgpr_kernarg_segment_ptr 1
		.amdhsa_user_sgpr_dispatch_id 0
		.amdhsa_user_sgpr_flat_scratch_init 0
		.amdhsa_user_sgpr_private_segment_size 0
		.amdhsa_uses_dynamic_stack 0
		.amdhsa_system_sgpr_private_segment_wavefront_offset 0
		.amdhsa_system_sgpr_workgroup_id_x 1
		.amdhsa_system_sgpr_workgroup_id_y 0
		.amdhsa_system_sgpr_workgroup_id_z 0
		.amdhsa_system_sgpr_workgroup_info 0
		.amdhsa_system_vgpr_workitem_id 0
		.amdhsa_next_free_vgpr 1
		.amdhsa_next_free_sgpr 0
		.amdhsa_reserve_vcc 0
		.amdhsa_reserve_flat_scratch 0
		.amdhsa_float_round_mode_32 0
		.amdhsa_float_round_mode_16_64 0
		.amdhsa_float_denorm_mode_32 3
		.amdhsa_float_denorm_mode_16_64 3
		.amdhsa_dx10_clamp 1
		.amdhsa_ieee_mode 1
		.amdhsa_fp16_overflow 0
		.amdhsa_exception_fp_ieee_invalid_op 0
		.amdhsa_exception_fp_denorm_src 0
		.amdhsa_exception_fp_ieee_div_zero 0
		.amdhsa_exception_fp_ieee_overflow 0
		.amdhsa_exception_fp_ieee_underflow 0
		.amdhsa_exception_fp_ieee_inexact 0
		.amdhsa_exception_int_div_zero 0
	.end_amdhsa_kernel
	.section	.text._ZN7rocprim17ROCPRIM_400000_NS6detail17trampoline_kernelINS0_14default_configENS1_38merge_sort_block_merge_config_selectorIN3c108BFloat16ElEEZZNS1_27merge_sort_block_merge_implIS3_PS6_N6thrust23THRUST_200600_302600_NS10device_ptrIlEEmNSB_4lessIS6_EEEE10hipError_tT0_T1_T2_jT3_P12ihipStream_tbPNSt15iterator_traitsISH_E10value_typeEPNSN_ISI_E10value_typeEPSJ_NS1_7vsmem_tEENKUlT_SH_SI_SJ_E_clIS9_S9_SD_PlEESG_SW_SH_SI_SJ_EUlSW_E_NS1_11comp_targetILNS1_3genE3ELNS1_11target_archE908ELNS1_3gpuE7ELNS1_3repE0EEENS1_48merge_mergepath_partition_config_static_selectorELNS0_4arch9wavefront6targetE1EEEvSI_,"axG",@progbits,_ZN7rocprim17ROCPRIM_400000_NS6detail17trampoline_kernelINS0_14default_configENS1_38merge_sort_block_merge_config_selectorIN3c108BFloat16ElEEZZNS1_27merge_sort_block_merge_implIS3_PS6_N6thrust23THRUST_200600_302600_NS10device_ptrIlEEmNSB_4lessIS6_EEEE10hipError_tT0_T1_T2_jT3_P12ihipStream_tbPNSt15iterator_traitsISH_E10value_typeEPNSN_ISI_E10value_typeEPSJ_NS1_7vsmem_tEENKUlT_SH_SI_SJ_E_clIS9_S9_SD_PlEESG_SW_SH_SI_SJ_EUlSW_E_NS1_11comp_targetILNS1_3genE3ELNS1_11target_archE908ELNS1_3gpuE7ELNS1_3repE0EEENS1_48merge_mergepath_partition_config_static_selectorELNS0_4arch9wavefront6targetE1EEEvSI_,comdat
.Lfunc_end2006:
	.size	_ZN7rocprim17ROCPRIM_400000_NS6detail17trampoline_kernelINS0_14default_configENS1_38merge_sort_block_merge_config_selectorIN3c108BFloat16ElEEZZNS1_27merge_sort_block_merge_implIS3_PS6_N6thrust23THRUST_200600_302600_NS10device_ptrIlEEmNSB_4lessIS6_EEEE10hipError_tT0_T1_T2_jT3_P12ihipStream_tbPNSt15iterator_traitsISH_E10value_typeEPNSN_ISI_E10value_typeEPSJ_NS1_7vsmem_tEENKUlT_SH_SI_SJ_E_clIS9_S9_SD_PlEESG_SW_SH_SI_SJ_EUlSW_E_NS1_11comp_targetILNS1_3genE3ELNS1_11target_archE908ELNS1_3gpuE7ELNS1_3repE0EEENS1_48merge_mergepath_partition_config_static_selectorELNS0_4arch9wavefront6targetE1EEEvSI_, .Lfunc_end2006-_ZN7rocprim17ROCPRIM_400000_NS6detail17trampoline_kernelINS0_14default_configENS1_38merge_sort_block_merge_config_selectorIN3c108BFloat16ElEEZZNS1_27merge_sort_block_merge_implIS3_PS6_N6thrust23THRUST_200600_302600_NS10device_ptrIlEEmNSB_4lessIS6_EEEE10hipError_tT0_T1_T2_jT3_P12ihipStream_tbPNSt15iterator_traitsISH_E10value_typeEPNSN_ISI_E10value_typeEPSJ_NS1_7vsmem_tEENKUlT_SH_SI_SJ_E_clIS9_S9_SD_PlEESG_SW_SH_SI_SJ_EUlSW_E_NS1_11comp_targetILNS1_3genE3ELNS1_11target_archE908ELNS1_3gpuE7ELNS1_3repE0EEENS1_48merge_mergepath_partition_config_static_selectorELNS0_4arch9wavefront6targetE1EEEvSI_
                                        ; -- End function
	.set _ZN7rocprim17ROCPRIM_400000_NS6detail17trampoline_kernelINS0_14default_configENS1_38merge_sort_block_merge_config_selectorIN3c108BFloat16ElEEZZNS1_27merge_sort_block_merge_implIS3_PS6_N6thrust23THRUST_200600_302600_NS10device_ptrIlEEmNSB_4lessIS6_EEEE10hipError_tT0_T1_T2_jT3_P12ihipStream_tbPNSt15iterator_traitsISH_E10value_typeEPNSN_ISI_E10value_typeEPSJ_NS1_7vsmem_tEENKUlT_SH_SI_SJ_E_clIS9_S9_SD_PlEESG_SW_SH_SI_SJ_EUlSW_E_NS1_11comp_targetILNS1_3genE3ELNS1_11target_archE908ELNS1_3gpuE7ELNS1_3repE0EEENS1_48merge_mergepath_partition_config_static_selectorELNS0_4arch9wavefront6targetE1EEEvSI_.num_vgpr, 0
	.set _ZN7rocprim17ROCPRIM_400000_NS6detail17trampoline_kernelINS0_14default_configENS1_38merge_sort_block_merge_config_selectorIN3c108BFloat16ElEEZZNS1_27merge_sort_block_merge_implIS3_PS6_N6thrust23THRUST_200600_302600_NS10device_ptrIlEEmNSB_4lessIS6_EEEE10hipError_tT0_T1_T2_jT3_P12ihipStream_tbPNSt15iterator_traitsISH_E10value_typeEPNSN_ISI_E10value_typeEPSJ_NS1_7vsmem_tEENKUlT_SH_SI_SJ_E_clIS9_S9_SD_PlEESG_SW_SH_SI_SJ_EUlSW_E_NS1_11comp_targetILNS1_3genE3ELNS1_11target_archE908ELNS1_3gpuE7ELNS1_3repE0EEENS1_48merge_mergepath_partition_config_static_selectorELNS0_4arch9wavefront6targetE1EEEvSI_.num_agpr, 0
	.set _ZN7rocprim17ROCPRIM_400000_NS6detail17trampoline_kernelINS0_14default_configENS1_38merge_sort_block_merge_config_selectorIN3c108BFloat16ElEEZZNS1_27merge_sort_block_merge_implIS3_PS6_N6thrust23THRUST_200600_302600_NS10device_ptrIlEEmNSB_4lessIS6_EEEE10hipError_tT0_T1_T2_jT3_P12ihipStream_tbPNSt15iterator_traitsISH_E10value_typeEPNSN_ISI_E10value_typeEPSJ_NS1_7vsmem_tEENKUlT_SH_SI_SJ_E_clIS9_S9_SD_PlEESG_SW_SH_SI_SJ_EUlSW_E_NS1_11comp_targetILNS1_3genE3ELNS1_11target_archE908ELNS1_3gpuE7ELNS1_3repE0EEENS1_48merge_mergepath_partition_config_static_selectorELNS0_4arch9wavefront6targetE1EEEvSI_.numbered_sgpr, 0
	.set _ZN7rocprim17ROCPRIM_400000_NS6detail17trampoline_kernelINS0_14default_configENS1_38merge_sort_block_merge_config_selectorIN3c108BFloat16ElEEZZNS1_27merge_sort_block_merge_implIS3_PS6_N6thrust23THRUST_200600_302600_NS10device_ptrIlEEmNSB_4lessIS6_EEEE10hipError_tT0_T1_T2_jT3_P12ihipStream_tbPNSt15iterator_traitsISH_E10value_typeEPNSN_ISI_E10value_typeEPSJ_NS1_7vsmem_tEENKUlT_SH_SI_SJ_E_clIS9_S9_SD_PlEESG_SW_SH_SI_SJ_EUlSW_E_NS1_11comp_targetILNS1_3genE3ELNS1_11target_archE908ELNS1_3gpuE7ELNS1_3repE0EEENS1_48merge_mergepath_partition_config_static_selectorELNS0_4arch9wavefront6targetE1EEEvSI_.num_named_barrier, 0
	.set _ZN7rocprim17ROCPRIM_400000_NS6detail17trampoline_kernelINS0_14default_configENS1_38merge_sort_block_merge_config_selectorIN3c108BFloat16ElEEZZNS1_27merge_sort_block_merge_implIS3_PS6_N6thrust23THRUST_200600_302600_NS10device_ptrIlEEmNSB_4lessIS6_EEEE10hipError_tT0_T1_T2_jT3_P12ihipStream_tbPNSt15iterator_traitsISH_E10value_typeEPNSN_ISI_E10value_typeEPSJ_NS1_7vsmem_tEENKUlT_SH_SI_SJ_E_clIS9_S9_SD_PlEESG_SW_SH_SI_SJ_EUlSW_E_NS1_11comp_targetILNS1_3genE3ELNS1_11target_archE908ELNS1_3gpuE7ELNS1_3repE0EEENS1_48merge_mergepath_partition_config_static_selectorELNS0_4arch9wavefront6targetE1EEEvSI_.private_seg_size, 0
	.set _ZN7rocprim17ROCPRIM_400000_NS6detail17trampoline_kernelINS0_14default_configENS1_38merge_sort_block_merge_config_selectorIN3c108BFloat16ElEEZZNS1_27merge_sort_block_merge_implIS3_PS6_N6thrust23THRUST_200600_302600_NS10device_ptrIlEEmNSB_4lessIS6_EEEE10hipError_tT0_T1_T2_jT3_P12ihipStream_tbPNSt15iterator_traitsISH_E10value_typeEPNSN_ISI_E10value_typeEPSJ_NS1_7vsmem_tEENKUlT_SH_SI_SJ_E_clIS9_S9_SD_PlEESG_SW_SH_SI_SJ_EUlSW_E_NS1_11comp_targetILNS1_3genE3ELNS1_11target_archE908ELNS1_3gpuE7ELNS1_3repE0EEENS1_48merge_mergepath_partition_config_static_selectorELNS0_4arch9wavefront6targetE1EEEvSI_.uses_vcc, 0
	.set _ZN7rocprim17ROCPRIM_400000_NS6detail17trampoline_kernelINS0_14default_configENS1_38merge_sort_block_merge_config_selectorIN3c108BFloat16ElEEZZNS1_27merge_sort_block_merge_implIS3_PS6_N6thrust23THRUST_200600_302600_NS10device_ptrIlEEmNSB_4lessIS6_EEEE10hipError_tT0_T1_T2_jT3_P12ihipStream_tbPNSt15iterator_traitsISH_E10value_typeEPNSN_ISI_E10value_typeEPSJ_NS1_7vsmem_tEENKUlT_SH_SI_SJ_E_clIS9_S9_SD_PlEESG_SW_SH_SI_SJ_EUlSW_E_NS1_11comp_targetILNS1_3genE3ELNS1_11target_archE908ELNS1_3gpuE7ELNS1_3repE0EEENS1_48merge_mergepath_partition_config_static_selectorELNS0_4arch9wavefront6targetE1EEEvSI_.uses_flat_scratch, 0
	.set _ZN7rocprim17ROCPRIM_400000_NS6detail17trampoline_kernelINS0_14default_configENS1_38merge_sort_block_merge_config_selectorIN3c108BFloat16ElEEZZNS1_27merge_sort_block_merge_implIS3_PS6_N6thrust23THRUST_200600_302600_NS10device_ptrIlEEmNSB_4lessIS6_EEEE10hipError_tT0_T1_T2_jT3_P12ihipStream_tbPNSt15iterator_traitsISH_E10value_typeEPNSN_ISI_E10value_typeEPSJ_NS1_7vsmem_tEENKUlT_SH_SI_SJ_E_clIS9_S9_SD_PlEESG_SW_SH_SI_SJ_EUlSW_E_NS1_11comp_targetILNS1_3genE3ELNS1_11target_archE908ELNS1_3gpuE7ELNS1_3repE0EEENS1_48merge_mergepath_partition_config_static_selectorELNS0_4arch9wavefront6targetE1EEEvSI_.has_dyn_sized_stack, 0
	.set _ZN7rocprim17ROCPRIM_400000_NS6detail17trampoline_kernelINS0_14default_configENS1_38merge_sort_block_merge_config_selectorIN3c108BFloat16ElEEZZNS1_27merge_sort_block_merge_implIS3_PS6_N6thrust23THRUST_200600_302600_NS10device_ptrIlEEmNSB_4lessIS6_EEEE10hipError_tT0_T1_T2_jT3_P12ihipStream_tbPNSt15iterator_traitsISH_E10value_typeEPNSN_ISI_E10value_typeEPSJ_NS1_7vsmem_tEENKUlT_SH_SI_SJ_E_clIS9_S9_SD_PlEESG_SW_SH_SI_SJ_EUlSW_E_NS1_11comp_targetILNS1_3genE3ELNS1_11target_archE908ELNS1_3gpuE7ELNS1_3repE0EEENS1_48merge_mergepath_partition_config_static_selectorELNS0_4arch9wavefront6targetE1EEEvSI_.has_recursion, 0
	.set _ZN7rocprim17ROCPRIM_400000_NS6detail17trampoline_kernelINS0_14default_configENS1_38merge_sort_block_merge_config_selectorIN3c108BFloat16ElEEZZNS1_27merge_sort_block_merge_implIS3_PS6_N6thrust23THRUST_200600_302600_NS10device_ptrIlEEmNSB_4lessIS6_EEEE10hipError_tT0_T1_T2_jT3_P12ihipStream_tbPNSt15iterator_traitsISH_E10value_typeEPNSN_ISI_E10value_typeEPSJ_NS1_7vsmem_tEENKUlT_SH_SI_SJ_E_clIS9_S9_SD_PlEESG_SW_SH_SI_SJ_EUlSW_E_NS1_11comp_targetILNS1_3genE3ELNS1_11target_archE908ELNS1_3gpuE7ELNS1_3repE0EEENS1_48merge_mergepath_partition_config_static_selectorELNS0_4arch9wavefront6targetE1EEEvSI_.has_indirect_call, 0
	.section	.AMDGPU.csdata,"",@progbits
; Kernel info:
; codeLenInByte = 0
; TotalNumSgprs: 4
; NumVgprs: 0
; ScratchSize: 0
; MemoryBound: 0
; FloatMode: 240
; IeeeMode: 1
; LDSByteSize: 0 bytes/workgroup (compile time only)
; SGPRBlocks: 0
; VGPRBlocks: 0
; NumSGPRsForWavesPerEU: 4
; NumVGPRsForWavesPerEU: 1
; Occupancy: 10
; WaveLimiterHint : 0
; COMPUTE_PGM_RSRC2:SCRATCH_EN: 0
; COMPUTE_PGM_RSRC2:USER_SGPR: 6
; COMPUTE_PGM_RSRC2:TRAP_HANDLER: 0
; COMPUTE_PGM_RSRC2:TGID_X_EN: 1
; COMPUTE_PGM_RSRC2:TGID_Y_EN: 0
; COMPUTE_PGM_RSRC2:TGID_Z_EN: 0
; COMPUTE_PGM_RSRC2:TIDIG_COMP_CNT: 0
	.section	.text._ZN7rocprim17ROCPRIM_400000_NS6detail17trampoline_kernelINS0_14default_configENS1_38merge_sort_block_merge_config_selectorIN3c108BFloat16ElEEZZNS1_27merge_sort_block_merge_implIS3_PS6_N6thrust23THRUST_200600_302600_NS10device_ptrIlEEmNSB_4lessIS6_EEEE10hipError_tT0_T1_T2_jT3_P12ihipStream_tbPNSt15iterator_traitsISH_E10value_typeEPNSN_ISI_E10value_typeEPSJ_NS1_7vsmem_tEENKUlT_SH_SI_SJ_E_clIS9_S9_SD_PlEESG_SW_SH_SI_SJ_EUlSW_E_NS1_11comp_targetILNS1_3genE2ELNS1_11target_archE906ELNS1_3gpuE6ELNS1_3repE0EEENS1_48merge_mergepath_partition_config_static_selectorELNS0_4arch9wavefront6targetE1EEEvSI_,"axG",@progbits,_ZN7rocprim17ROCPRIM_400000_NS6detail17trampoline_kernelINS0_14default_configENS1_38merge_sort_block_merge_config_selectorIN3c108BFloat16ElEEZZNS1_27merge_sort_block_merge_implIS3_PS6_N6thrust23THRUST_200600_302600_NS10device_ptrIlEEmNSB_4lessIS6_EEEE10hipError_tT0_T1_T2_jT3_P12ihipStream_tbPNSt15iterator_traitsISH_E10value_typeEPNSN_ISI_E10value_typeEPSJ_NS1_7vsmem_tEENKUlT_SH_SI_SJ_E_clIS9_S9_SD_PlEESG_SW_SH_SI_SJ_EUlSW_E_NS1_11comp_targetILNS1_3genE2ELNS1_11target_archE906ELNS1_3gpuE6ELNS1_3repE0EEENS1_48merge_mergepath_partition_config_static_selectorELNS0_4arch9wavefront6targetE1EEEvSI_,comdat
	.protected	_ZN7rocprim17ROCPRIM_400000_NS6detail17trampoline_kernelINS0_14default_configENS1_38merge_sort_block_merge_config_selectorIN3c108BFloat16ElEEZZNS1_27merge_sort_block_merge_implIS3_PS6_N6thrust23THRUST_200600_302600_NS10device_ptrIlEEmNSB_4lessIS6_EEEE10hipError_tT0_T1_T2_jT3_P12ihipStream_tbPNSt15iterator_traitsISH_E10value_typeEPNSN_ISI_E10value_typeEPSJ_NS1_7vsmem_tEENKUlT_SH_SI_SJ_E_clIS9_S9_SD_PlEESG_SW_SH_SI_SJ_EUlSW_E_NS1_11comp_targetILNS1_3genE2ELNS1_11target_archE906ELNS1_3gpuE6ELNS1_3repE0EEENS1_48merge_mergepath_partition_config_static_selectorELNS0_4arch9wavefront6targetE1EEEvSI_ ; -- Begin function _ZN7rocprim17ROCPRIM_400000_NS6detail17trampoline_kernelINS0_14default_configENS1_38merge_sort_block_merge_config_selectorIN3c108BFloat16ElEEZZNS1_27merge_sort_block_merge_implIS3_PS6_N6thrust23THRUST_200600_302600_NS10device_ptrIlEEmNSB_4lessIS6_EEEE10hipError_tT0_T1_T2_jT3_P12ihipStream_tbPNSt15iterator_traitsISH_E10value_typeEPNSN_ISI_E10value_typeEPSJ_NS1_7vsmem_tEENKUlT_SH_SI_SJ_E_clIS9_S9_SD_PlEESG_SW_SH_SI_SJ_EUlSW_E_NS1_11comp_targetILNS1_3genE2ELNS1_11target_archE906ELNS1_3gpuE6ELNS1_3repE0EEENS1_48merge_mergepath_partition_config_static_selectorELNS0_4arch9wavefront6targetE1EEEvSI_
	.globl	_ZN7rocprim17ROCPRIM_400000_NS6detail17trampoline_kernelINS0_14default_configENS1_38merge_sort_block_merge_config_selectorIN3c108BFloat16ElEEZZNS1_27merge_sort_block_merge_implIS3_PS6_N6thrust23THRUST_200600_302600_NS10device_ptrIlEEmNSB_4lessIS6_EEEE10hipError_tT0_T1_T2_jT3_P12ihipStream_tbPNSt15iterator_traitsISH_E10value_typeEPNSN_ISI_E10value_typeEPSJ_NS1_7vsmem_tEENKUlT_SH_SI_SJ_E_clIS9_S9_SD_PlEESG_SW_SH_SI_SJ_EUlSW_E_NS1_11comp_targetILNS1_3genE2ELNS1_11target_archE906ELNS1_3gpuE6ELNS1_3repE0EEENS1_48merge_mergepath_partition_config_static_selectorELNS0_4arch9wavefront6targetE1EEEvSI_
	.p2align	8
	.type	_ZN7rocprim17ROCPRIM_400000_NS6detail17trampoline_kernelINS0_14default_configENS1_38merge_sort_block_merge_config_selectorIN3c108BFloat16ElEEZZNS1_27merge_sort_block_merge_implIS3_PS6_N6thrust23THRUST_200600_302600_NS10device_ptrIlEEmNSB_4lessIS6_EEEE10hipError_tT0_T1_T2_jT3_P12ihipStream_tbPNSt15iterator_traitsISH_E10value_typeEPNSN_ISI_E10value_typeEPSJ_NS1_7vsmem_tEENKUlT_SH_SI_SJ_E_clIS9_S9_SD_PlEESG_SW_SH_SI_SJ_EUlSW_E_NS1_11comp_targetILNS1_3genE2ELNS1_11target_archE906ELNS1_3gpuE6ELNS1_3repE0EEENS1_48merge_mergepath_partition_config_static_selectorELNS0_4arch9wavefront6targetE1EEEvSI_,@function
_ZN7rocprim17ROCPRIM_400000_NS6detail17trampoline_kernelINS0_14default_configENS1_38merge_sort_block_merge_config_selectorIN3c108BFloat16ElEEZZNS1_27merge_sort_block_merge_implIS3_PS6_N6thrust23THRUST_200600_302600_NS10device_ptrIlEEmNSB_4lessIS6_EEEE10hipError_tT0_T1_T2_jT3_P12ihipStream_tbPNSt15iterator_traitsISH_E10value_typeEPNSN_ISI_E10value_typeEPSJ_NS1_7vsmem_tEENKUlT_SH_SI_SJ_E_clIS9_S9_SD_PlEESG_SW_SH_SI_SJ_EUlSW_E_NS1_11comp_targetILNS1_3genE2ELNS1_11target_archE906ELNS1_3gpuE6ELNS1_3repE0EEENS1_48merge_mergepath_partition_config_static_selectorELNS0_4arch9wavefront6targetE1EEEvSI_: ; @_ZN7rocprim17ROCPRIM_400000_NS6detail17trampoline_kernelINS0_14default_configENS1_38merge_sort_block_merge_config_selectorIN3c108BFloat16ElEEZZNS1_27merge_sort_block_merge_implIS3_PS6_N6thrust23THRUST_200600_302600_NS10device_ptrIlEEmNSB_4lessIS6_EEEE10hipError_tT0_T1_T2_jT3_P12ihipStream_tbPNSt15iterator_traitsISH_E10value_typeEPNSN_ISI_E10value_typeEPSJ_NS1_7vsmem_tEENKUlT_SH_SI_SJ_E_clIS9_S9_SD_PlEESG_SW_SH_SI_SJ_EUlSW_E_NS1_11comp_targetILNS1_3genE2ELNS1_11target_archE906ELNS1_3gpuE6ELNS1_3repE0EEENS1_48merge_mergepath_partition_config_static_selectorELNS0_4arch9wavefront6targetE1EEEvSI_
; %bb.0:
	s_load_dword s0, s[4:5], 0x0
	v_lshl_or_b32 v0, s6, 7, v0
	s_waitcnt lgkmcnt(0)
	v_cmp_gt_u32_e32 vcc, s0, v0
	s_and_saveexec_b64 s[0:1], vcc
	s_cbranch_execz .LBB2007_6
; %bb.1:
	s_load_dwordx4 s[0:3], s[4:5], 0x8
	s_load_dwordx2 s[6:7], s[4:5], 0x28
	v_mov_b32_e32 v3, 0
	s_waitcnt lgkmcnt(0)
	s_lshr_b64 s[8:9], s[0:1], 9
	s_and_b32 s8, s8, -2
	s_add_i32 s9, s8, -1
	s_sub_i32 s8, 0, s8
	v_and_b32_e32 v2, s8, v0
	v_lshlrev_b64 v[4:5], 10, v[2:3]
	v_mov_b32_e32 v6, s3
	v_cmp_lt_u64_e32 vcc, s[2:3], v[4:5]
	v_mov_b32_e32 v10, s2
	v_cndmask_b32_e32 v2, v5, v6, vcc
	v_cndmask_b32_e32 v1, v4, v10, vcc
	v_mov_b32_e32 v7, s1
	v_add_co_u32_e32 v4, vcc, s0, v4
	v_addc_co_u32_e32 v5, vcc, v5, v7, vcc
	v_cmp_lt_u64_e32 vcc, s[2:3], v[4:5]
	v_and_b32_e32 v9, s9, v0
	v_cndmask_b32_e32 v7, v4, v10, vcc
	v_cndmask_b32_e32 v8, v5, v6, vcc
	v_mov_b32_e32 v5, s1
	v_add_co_u32_e32 v4, vcc, s0, v7
	v_addc_co_u32_e32 v5, vcc, v8, v5, vcc
	v_cmp_lt_u64_e32 vcc, s[2:3], v[4:5]
	v_cndmask_b32_e32 v12, v4, v10, vcc
	v_mov_b32_e32 v10, v3
	v_cndmask_b32_e32 v11, v5, v6, vcc
	v_lshlrev_b64 v[3:4], 10, v[9:10]
	v_sub_co_u32_e32 v5, vcc, v12, v1
	v_subb_co_u32_e32 v6, vcc, v11, v2, vcc
	v_cmp_lt_u64_e32 vcc, v[5:6], v[3:4]
	v_cndmask_b32_e32 v10, v4, v6, vcc
	v_cndmask_b32_e32 v9, v3, v5, vcc
	v_sub_co_u32_e32 v5, vcc, v7, v1
	v_subb_co_u32_e32 v6, vcc, v8, v2, vcc
	v_sub_co_u32_e32 v3, vcc, v7, v12
	v_subb_co_u32_e32 v4, vcc, v8, v11, vcc
	v_add_co_u32_e32 v3, vcc, v9, v3
	v_addc_co_u32_e32 v4, vcc, v10, v4, vcc
	v_cmp_gt_u64_e32 vcc, v[3:4], v[9:10]
	v_cndmask_b32_e64 v4, v4, 0, vcc
	v_cndmask_b32_e64 v3, v3, 0, vcc
	v_cmp_lt_u64_e32 vcc, v[9:10], v[5:6]
	v_cndmask_b32_e32 v6, v6, v10, vcc
	v_cndmask_b32_e32 v5, v5, v9, vcc
	v_cmp_lt_u64_e32 vcc, v[3:4], v[5:6]
	s_and_saveexec_b64 s[0:1], vcc
	s_cbranch_execz .LBB2007_5
; %bb.2:
	s_load_dwordx2 s[2:3], s[4:5], 0x18
	v_lshlrev_b64 v[11:12], 1, v[1:2]
	v_lshlrev_b64 v[7:8], 1, v[7:8]
	s_waitcnt lgkmcnt(0)
	v_mov_b32_e32 v13, s3
	v_add_co_u32_e32 v11, vcc, s2, v11
	v_addc_co_u32_e32 v12, vcc, v13, v12, vcc
	v_add_co_u32_e32 v14, vcc, s2, v7
	v_addc_co_u32_e32 v13, vcc, v13, v8, vcc
	v_lshlrev_b64 v[7:8], 1, v[9:10]
	s_mov_b64 s[2:3], 0
	v_add_co_u32_e32 v7, vcc, v14, v7
	v_addc_co_u32_e32 v8, vcc, v13, v8, vcc
.LBB2007_3:                             ; =>This Inner Loop Header: Depth=1
	v_add_co_u32_e32 v9, vcc, v5, v3
	v_addc_co_u32_e32 v10, vcc, v6, v4, vcc
	v_and_b32_e32 v15, -2, v9
	v_add_co_u32_e32 v13, vcc, v11, v15
	v_addc_co_u32_e32 v14, vcc, v12, v10, vcc
	v_xor_b32_e32 v15, -2, v15
	v_xor_b32_e32 v16, -1, v10
	v_add_co_u32_e32 v15, vcc, v7, v15
	v_addc_co_u32_e32 v16, vcc, v8, v16, vcc
	global_load_ushort v17, v[15:16], off
	global_load_ushort v18, v[13:14], off
	v_lshrrev_b64 v[9:10], 1, v[9:10]
	v_add_co_u32_e32 v13, vcc, 1, v9
	v_addc_co_u32_e32 v14, vcc, 0, v10, vcc
	s_waitcnt vmcnt(1)
	v_lshlrev_b32_e32 v15, 16, v17
	s_waitcnt vmcnt(0)
	v_lshlrev_b32_e32 v16, 16, v18
	v_cmp_lt_f32_e32 vcc, v15, v16
	v_cndmask_b32_e32 v6, v6, v10, vcc
	v_cndmask_b32_e32 v5, v5, v9, vcc
	;; [unrolled: 1-line block ×4, first 2 shown]
	v_cmp_ge_u64_e32 vcc, v[3:4], v[5:6]
	s_or_b64 s[2:3], vcc, s[2:3]
	s_andn2_b64 exec, exec, s[2:3]
	s_cbranch_execnz .LBB2007_3
; %bb.4:
	s_or_b64 exec, exec, s[2:3]
.LBB2007_5:
	s_or_b64 exec, exec, s[0:1]
	v_add_co_u32_e32 v3, vcc, v3, v1
	v_mov_b32_e32 v1, 0
	v_lshlrev_b64 v[0:1], 3, v[0:1]
	v_addc_co_u32_e32 v4, vcc, v4, v2, vcc
	v_mov_b32_e32 v2, s7
	v_add_co_u32_e32 v0, vcc, s6, v0
	v_addc_co_u32_e32 v1, vcc, v2, v1, vcc
	global_store_dwordx2 v[0:1], v[3:4], off
.LBB2007_6:
	s_endpgm
	.section	.rodata,"a",@progbits
	.p2align	6, 0x0
	.amdhsa_kernel _ZN7rocprim17ROCPRIM_400000_NS6detail17trampoline_kernelINS0_14default_configENS1_38merge_sort_block_merge_config_selectorIN3c108BFloat16ElEEZZNS1_27merge_sort_block_merge_implIS3_PS6_N6thrust23THRUST_200600_302600_NS10device_ptrIlEEmNSB_4lessIS6_EEEE10hipError_tT0_T1_T2_jT3_P12ihipStream_tbPNSt15iterator_traitsISH_E10value_typeEPNSN_ISI_E10value_typeEPSJ_NS1_7vsmem_tEENKUlT_SH_SI_SJ_E_clIS9_S9_SD_PlEESG_SW_SH_SI_SJ_EUlSW_E_NS1_11comp_targetILNS1_3genE2ELNS1_11target_archE906ELNS1_3gpuE6ELNS1_3repE0EEENS1_48merge_mergepath_partition_config_static_selectorELNS0_4arch9wavefront6targetE1EEEvSI_
		.amdhsa_group_segment_fixed_size 0
		.amdhsa_private_segment_fixed_size 0
		.amdhsa_kernarg_size 48
		.amdhsa_user_sgpr_count 6
		.amdhsa_user_sgpr_private_segment_buffer 1
		.amdhsa_user_sgpr_dispatch_ptr 0
		.amdhsa_user_sgpr_queue_ptr 0
		.amdhsa_user_sgpr_kernarg_segment_ptr 1
		.amdhsa_user_sgpr_dispatch_id 0
		.amdhsa_user_sgpr_flat_scratch_init 0
		.amdhsa_user_sgpr_private_segment_size 0
		.amdhsa_uses_dynamic_stack 0
		.amdhsa_system_sgpr_private_segment_wavefront_offset 0
		.amdhsa_system_sgpr_workgroup_id_x 1
		.amdhsa_system_sgpr_workgroup_id_y 0
		.amdhsa_system_sgpr_workgroup_id_z 0
		.amdhsa_system_sgpr_workgroup_info 0
		.amdhsa_system_vgpr_workitem_id 0
		.amdhsa_next_free_vgpr 19
		.amdhsa_next_free_sgpr 10
		.amdhsa_reserve_vcc 1
		.amdhsa_reserve_flat_scratch 0
		.amdhsa_float_round_mode_32 0
		.amdhsa_float_round_mode_16_64 0
		.amdhsa_float_denorm_mode_32 3
		.amdhsa_float_denorm_mode_16_64 3
		.amdhsa_dx10_clamp 1
		.amdhsa_ieee_mode 1
		.amdhsa_fp16_overflow 0
		.amdhsa_exception_fp_ieee_invalid_op 0
		.amdhsa_exception_fp_denorm_src 0
		.amdhsa_exception_fp_ieee_div_zero 0
		.amdhsa_exception_fp_ieee_overflow 0
		.amdhsa_exception_fp_ieee_underflow 0
		.amdhsa_exception_fp_ieee_inexact 0
		.amdhsa_exception_int_div_zero 0
	.end_amdhsa_kernel
	.section	.text._ZN7rocprim17ROCPRIM_400000_NS6detail17trampoline_kernelINS0_14default_configENS1_38merge_sort_block_merge_config_selectorIN3c108BFloat16ElEEZZNS1_27merge_sort_block_merge_implIS3_PS6_N6thrust23THRUST_200600_302600_NS10device_ptrIlEEmNSB_4lessIS6_EEEE10hipError_tT0_T1_T2_jT3_P12ihipStream_tbPNSt15iterator_traitsISH_E10value_typeEPNSN_ISI_E10value_typeEPSJ_NS1_7vsmem_tEENKUlT_SH_SI_SJ_E_clIS9_S9_SD_PlEESG_SW_SH_SI_SJ_EUlSW_E_NS1_11comp_targetILNS1_3genE2ELNS1_11target_archE906ELNS1_3gpuE6ELNS1_3repE0EEENS1_48merge_mergepath_partition_config_static_selectorELNS0_4arch9wavefront6targetE1EEEvSI_,"axG",@progbits,_ZN7rocprim17ROCPRIM_400000_NS6detail17trampoline_kernelINS0_14default_configENS1_38merge_sort_block_merge_config_selectorIN3c108BFloat16ElEEZZNS1_27merge_sort_block_merge_implIS3_PS6_N6thrust23THRUST_200600_302600_NS10device_ptrIlEEmNSB_4lessIS6_EEEE10hipError_tT0_T1_T2_jT3_P12ihipStream_tbPNSt15iterator_traitsISH_E10value_typeEPNSN_ISI_E10value_typeEPSJ_NS1_7vsmem_tEENKUlT_SH_SI_SJ_E_clIS9_S9_SD_PlEESG_SW_SH_SI_SJ_EUlSW_E_NS1_11comp_targetILNS1_3genE2ELNS1_11target_archE906ELNS1_3gpuE6ELNS1_3repE0EEENS1_48merge_mergepath_partition_config_static_selectorELNS0_4arch9wavefront6targetE1EEEvSI_,comdat
.Lfunc_end2007:
	.size	_ZN7rocprim17ROCPRIM_400000_NS6detail17trampoline_kernelINS0_14default_configENS1_38merge_sort_block_merge_config_selectorIN3c108BFloat16ElEEZZNS1_27merge_sort_block_merge_implIS3_PS6_N6thrust23THRUST_200600_302600_NS10device_ptrIlEEmNSB_4lessIS6_EEEE10hipError_tT0_T1_T2_jT3_P12ihipStream_tbPNSt15iterator_traitsISH_E10value_typeEPNSN_ISI_E10value_typeEPSJ_NS1_7vsmem_tEENKUlT_SH_SI_SJ_E_clIS9_S9_SD_PlEESG_SW_SH_SI_SJ_EUlSW_E_NS1_11comp_targetILNS1_3genE2ELNS1_11target_archE906ELNS1_3gpuE6ELNS1_3repE0EEENS1_48merge_mergepath_partition_config_static_selectorELNS0_4arch9wavefront6targetE1EEEvSI_, .Lfunc_end2007-_ZN7rocprim17ROCPRIM_400000_NS6detail17trampoline_kernelINS0_14default_configENS1_38merge_sort_block_merge_config_selectorIN3c108BFloat16ElEEZZNS1_27merge_sort_block_merge_implIS3_PS6_N6thrust23THRUST_200600_302600_NS10device_ptrIlEEmNSB_4lessIS6_EEEE10hipError_tT0_T1_T2_jT3_P12ihipStream_tbPNSt15iterator_traitsISH_E10value_typeEPNSN_ISI_E10value_typeEPSJ_NS1_7vsmem_tEENKUlT_SH_SI_SJ_E_clIS9_S9_SD_PlEESG_SW_SH_SI_SJ_EUlSW_E_NS1_11comp_targetILNS1_3genE2ELNS1_11target_archE906ELNS1_3gpuE6ELNS1_3repE0EEENS1_48merge_mergepath_partition_config_static_selectorELNS0_4arch9wavefront6targetE1EEEvSI_
                                        ; -- End function
	.set _ZN7rocprim17ROCPRIM_400000_NS6detail17trampoline_kernelINS0_14default_configENS1_38merge_sort_block_merge_config_selectorIN3c108BFloat16ElEEZZNS1_27merge_sort_block_merge_implIS3_PS6_N6thrust23THRUST_200600_302600_NS10device_ptrIlEEmNSB_4lessIS6_EEEE10hipError_tT0_T1_T2_jT3_P12ihipStream_tbPNSt15iterator_traitsISH_E10value_typeEPNSN_ISI_E10value_typeEPSJ_NS1_7vsmem_tEENKUlT_SH_SI_SJ_E_clIS9_S9_SD_PlEESG_SW_SH_SI_SJ_EUlSW_E_NS1_11comp_targetILNS1_3genE2ELNS1_11target_archE906ELNS1_3gpuE6ELNS1_3repE0EEENS1_48merge_mergepath_partition_config_static_selectorELNS0_4arch9wavefront6targetE1EEEvSI_.num_vgpr, 19
	.set _ZN7rocprim17ROCPRIM_400000_NS6detail17trampoline_kernelINS0_14default_configENS1_38merge_sort_block_merge_config_selectorIN3c108BFloat16ElEEZZNS1_27merge_sort_block_merge_implIS3_PS6_N6thrust23THRUST_200600_302600_NS10device_ptrIlEEmNSB_4lessIS6_EEEE10hipError_tT0_T1_T2_jT3_P12ihipStream_tbPNSt15iterator_traitsISH_E10value_typeEPNSN_ISI_E10value_typeEPSJ_NS1_7vsmem_tEENKUlT_SH_SI_SJ_E_clIS9_S9_SD_PlEESG_SW_SH_SI_SJ_EUlSW_E_NS1_11comp_targetILNS1_3genE2ELNS1_11target_archE906ELNS1_3gpuE6ELNS1_3repE0EEENS1_48merge_mergepath_partition_config_static_selectorELNS0_4arch9wavefront6targetE1EEEvSI_.num_agpr, 0
	.set _ZN7rocprim17ROCPRIM_400000_NS6detail17trampoline_kernelINS0_14default_configENS1_38merge_sort_block_merge_config_selectorIN3c108BFloat16ElEEZZNS1_27merge_sort_block_merge_implIS3_PS6_N6thrust23THRUST_200600_302600_NS10device_ptrIlEEmNSB_4lessIS6_EEEE10hipError_tT0_T1_T2_jT3_P12ihipStream_tbPNSt15iterator_traitsISH_E10value_typeEPNSN_ISI_E10value_typeEPSJ_NS1_7vsmem_tEENKUlT_SH_SI_SJ_E_clIS9_S9_SD_PlEESG_SW_SH_SI_SJ_EUlSW_E_NS1_11comp_targetILNS1_3genE2ELNS1_11target_archE906ELNS1_3gpuE6ELNS1_3repE0EEENS1_48merge_mergepath_partition_config_static_selectorELNS0_4arch9wavefront6targetE1EEEvSI_.numbered_sgpr, 10
	.set _ZN7rocprim17ROCPRIM_400000_NS6detail17trampoline_kernelINS0_14default_configENS1_38merge_sort_block_merge_config_selectorIN3c108BFloat16ElEEZZNS1_27merge_sort_block_merge_implIS3_PS6_N6thrust23THRUST_200600_302600_NS10device_ptrIlEEmNSB_4lessIS6_EEEE10hipError_tT0_T1_T2_jT3_P12ihipStream_tbPNSt15iterator_traitsISH_E10value_typeEPNSN_ISI_E10value_typeEPSJ_NS1_7vsmem_tEENKUlT_SH_SI_SJ_E_clIS9_S9_SD_PlEESG_SW_SH_SI_SJ_EUlSW_E_NS1_11comp_targetILNS1_3genE2ELNS1_11target_archE906ELNS1_3gpuE6ELNS1_3repE0EEENS1_48merge_mergepath_partition_config_static_selectorELNS0_4arch9wavefront6targetE1EEEvSI_.num_named_barrier, 0
	.set _ZN7rocprim17ROCPRIM_400000_NS6detail17trampoline_kernelINS0_14default_configENS1_38merge_sort_block_merge_config_selectorIN3c108BFloat16ElEEZZNS1_27merge_sort_block_merge_implIS3_PS6_N6thrust23THRUST_200600_302600_NS10device_ptrIlEEmNSB_4lessIS6_EEEE10hipError_tT0_T1_T2_jT3_P12ihipStream_tbPNSt15iterator_traitsISH_E10value_typeEPNSN_ISI_E10value_typeEPSJ_NS1_7vsmem_tEENKUlT_SH_SI_SJ_E_clIS9_S9_SD_PlEESG_SW_SH_SI_SJ_EUlSW_E_NS1_11comp_targetILNS1_3genE2ELNS1_11target_archE906ELNS1_3gpuE6ELNS1_3repE0EEENS1_48merge_mergepath_partition_config_static_selectorELNS0_4arch9wavefront6targetE1EEEvSI_.private_seg_size, 0
	.set _ZN7rocprim17ROCPRIM_400000_NS6detail17trampoline_kernelINS0_14default_configENS1_38merge_sort_block_merge_config_selectorIN3c108BFloat16ElEEZZNS1_27merge_sort_block_merge_implIS3_PS6_N6thrust23THRUST_200600_302600_NS10device_ptrIlEEmNSB_4lessIS6_EEEE10hipError_tT0_T1_T2_jT3_P12ihipStream_tbPNSt15iterator_traitsISH_E10value_typeEPNSN_ISI_E10value_typeEPSJ_NS1_7vsmem_tEENKUlT_SH_SI_SJ_E_clIS9_S9_SD_PlEESG_SW_SH_SI_SJ_EUlSW_E_NS1_11comp_targetILNS1_3genE2ELNS1_11target_archE906ELNS1_3gpuE6ELNS1_3repE0EEENS1_48merge_mergepath_partition_config_static_selectorELNS0_4arch9wavefront6targetE1EEEvSI_.uses_vcc, 1
	.set _ZN7rocprim17ROCPRIM_400000_NS6detail17trampoline_kernelINS0_14default_configENS1_38merge_sort_block_merge_config_selectorIN3c108BFloat16ElEEZZNS1_27merge_sort_block_merge_implIS3_PS6_N6thrust23THRUST_200600_302600_NS10device_ptrIlEEmNSB_4lessIS6_EEEE10hipError_tT0_T1_T2_jT3_P12ihipStream_tbPNSt15iterator_traitsISH_E10value_typeEPNSN_ISI_E10value_typeEPSJ_NS1_7vsmem_tEENKUlT_SH_SI_SJ_E_clIS9_S9_SD_PlEESG_SW_SH_SI_SJ_EUlSW_E_NS1_11comp_targetILNS1_3genE2ELNS1_11target_archE906ELNS1_3gpuE6ELNS1_3repE0EEENS1_48merge_mergepath_partition_config_static_selectorELNS0_4arch9wavefront6targetE1EEEvSI_.uses_flat_scratch, 0
	.set _ZN7rocprim17ROCPRIM_400000_NS6detail17trampoline_kernelINS0_14default_configENS1_38merge_sort_block_merge_config_selectorIN3c108BFloat16ElEEZZNS1_27merge_sort_block_merge_implIS3_PS6_N6thrust23THRUST_200600_302600_NS10device_ptrIlEEmNSB_4lessIS6_EEEE10hipError_tT0_T1_T2_jT3_P12ihipStream_tbPNSt15iterator_traitsISH_E10value_typeEPNSN_ISI_E10value_typeEPSJ_NS1_7vsmem_tEENKUlT_SH_SI_SJ_E_clIS9_S9_SD_PlEESG_SW_SH_SI_SJ_EUlSW_E_NS1_11comp_targetILNS1_3genE2ELNS1_11target_archE906ELNS1_3gpuE6ELNS1_3repE0EEENS1_48merge_mergepath_partition_config_static_selectorELNS0_4arch9wavefront6targetE1EEEvSI_.has_dyn_sized_stack, 0
	.set _ZN7rocprim17ROCPRIM_400000_NS6detail17trampoline_kernelINS0_14default_configENS1_38merge_sort_block_merge_config_selectorIN3c108BFloat16ElEEZZNS1_27merge_sort_block_merge_implIS3_PS6_N6thrust23THRUST_200600_302600_NS10device_ptrIlEEmNSB_4lessIS6_EEEE10hipError_tT0_T1_T2_jT3_P12ihipStream_tbPNSt15iterator_traitsISH_E10value_typeEPNSN_ISI_E10value_typeEPSJ_NS1_7vsmem_tEENKUlT_SH_SI_SJ_E_clIS9_S9_SD_PlEESG_SW_SH_SI_SJ_EUlSW_E_NS1_11comp_targetILNS1_3genE2ELNS1_11target_archE906ELNS1_3gpuE6ELNS1_3repE0EEENS1_48merge_mergepath_partition_config_static_selectorELNS0_4arch9wavefront6targetE1EEEvSI_.has_recursion, 0
	.set _ZN7rocprim17ROCPRIM_400000_NS6detail17trampoline_kernelINS0_14default_configENS1_38merge_sort_block_merge_config_selectorIN3c108BFloat16ElEEZZNS1_27merge_sort_block_merge_implIS3_PS6_N6thrust23THRUST_200600_302600_NS10device_ptrIlEEmNSB_4lessIS6_EEEE10hipError_tT0_T1_T2_jT3_P12ihipStream_tbPNSt15iterator_traitsISH_E10value_typeEPNSN_ISI_E10value_typeEPSJ_NS1_7vsmem_tEENKUlT_SH_SI_SJ_E_clIS9_S9_SD_PlEESG_SW_SH_SI_SJ_EUlSW_E_NS1_11comp_targetILNS1_3genE2ELNS1_11target_archE906ELNS1_3gpuE6ELNS1_3repE0EEENS1_48merge_mergepath_partition_config_static_selectorELNS0_4arch9wavefront6targetE1EEEvSI_.has_indirect_call, 0
	.section	.AMDGPU.csdata,"",@progbits
; Kernel info:
; codeLenInByte = 496
; TotalNumSgprs: 14
; NumVgprs: 19
; ScratchSize: 0
; MemoryBound: 0
; FloatMode: 240
; IeeeMode: 1
; LDSByteSize: 0 bytes/workgroup (compile time only)
; SGPRBlocks: 1
; VGPRBlocks: 4
; NumSGPRsForWavesPerEU: 14
; NumVGPRsForWavesPerEU: 19
; Occupancy: 10
; WaveLimiterHint : 0
; COMPUTE_PGM_RSRC2:SCRATCH_EN: 0
; COMPUTE_PGM_RSRC2:USER_SGPR: 6
; COMPUTE_PGM_RSRC2:TRAP_HANDLER: 0
; COMPUTE_PGM_RSRC2:TGID_X_EN: 1
; COMPUTE_PGM_RSRC2:TGID_Y_EN: 0
; COMPUTE_PGM_RSRC2:TGID_Z_EN: 0
; COMPUTE_PGM_RSRC2:TIDIG_COMP_CNT: 0
	.section	.text._ZN7rocprim17ROCPRIM_400000_NS6detail17trampoline_kernelINS0_14default_configENS1_38merge_sort_block_merge_config_selectorIN3c108BFloat16ElEEZZNS1_27merge_sort_block_merge_implIS3_PS6_N6thrust23THRUST_200600_302600_NS10device_ptrIlEEmNSB_4lessIS6_EEEE10hipError_tT0_T1_T2_jT3_P12ihipStream_tbPNSt15iterator_traitsISH_E10value_typeEPNSN_ISI_E10value_typeEPSJ_NS1_7vsmem_tEENKUlT_SH_SI_SJ_E_clIS9_S9_SD_PlEESG_SW_SH_SI_SJ_EUlSW_E_NS1_11comp_targetILNS1_3genE9ELNS1_11target_archE1100ELNS1_3gpuE3ELNS1_3repE0EEENS1_48merge_mergepath_partition_config_static_selectorELNS0_4arch9wavefront6targetE1EEEvSI_,"axG",@progbits,_ZN7rocprim17ROCPRIM_400000_NS6detail17trampoline_kernelINS0_14default_configENS1_38merge_sort_block_merge_config_selectorIN3c108BFloat16ElEEZZNS1_27merge_sort_block_merge_implIS3_PS6_N6thrust23THRUST_200600_302600_NS10device_ptrIlEEmNSB_4lessIS6_EEEE10hipError_tT0_T1_T2_jT3_P12ihipStream_tbPNSt15iterator_traitsISH_E10value_typeEPNSN_ISI_E10value_typeEPSJ_NS1_7vsmem_tEENKUlT_SH_SI_SJ_E_clIS9_S9_SD_PlEESG_SW_SH_SI_SJ_EUlSW_E_NS1_11comp_targetILNS1_3genE9ELNS1_11target_archE1100ELNS1_3gpuE3ELNS1_3repE0EEENS1_48merge_mergepath_partition_config_static_selectorELNS0_4arch9wavefront6targetE1EEEvSI_,comdat
	.protected	_ZN7rocprim17ROCPRIM_400000_NS6detail17trampoline_kernelINS0_14default_configENS1_38merge_sort_block_merge_config_selectorIN3c108BFloat16ElEEZZNS1_27merge_sort_block_merge_implIS3_PS6_N6thrust23THRUST_200600_302600_NS10device_ptrIlEEmNSB_4lessIS6_EEEE10hipError_tT0_T1_T2_jT3_P12ihipStream_tbPNSt15iterator_traitsISH_E10value_typeEPNSN_ISI_E10value_typeEPSJ_NS1_7vsmem_tEENKUlT_SH_SI_SJ_E_clIS9_S9_SD_PlEESG_SW_SH_SI_SJ_EUlSW_E_NS1_11comp_targetILNS1_3genE9ELNS1_11target_archE1100ELNS1_3gpuE3ELNS1_3repE0EEENS1_48merge_mergepath_partition_config_static_selectorELNS0_4arch9wavefront6targetE1EEEvSI_ ; -- Begin function _ZN7rocprim17ROCPRIM_400000_NS6detail17trampoline_kernelINS0_14default_configENS1_38merge_sort_block_merge_config_selectorIN3c108BFloat16ElEEZZNS1_27merge_sort_block_merge_implIS3_PS6_N6thrust23THRUST_200600_302600_NS10device_ptrIlEEmNSB_4lessIS6_EEEE10hipError_tT0_T1_T2_jT3_P12ihipStream_tbPNSt15iterator_traitsISH_E10value_typeEPNSN_ISI_E10value_typeEPSJ_NS1_7vsmem_tEENKUlT_SH_SI_SJ_E_clIS9_S9_SD_PlEESG_SW_SH_SI_SJ_EUlSW_E_NS1_11comp_targetILNS1_3genE9ELNS1_11target_archE1100ELNS1_3gpuE3ELNS1_3repE0EEENS1_48merge_mergepath_partition_config_static_selectorELNS0_4arch9wavefront6targetE1EEEvSI_
	.globl	_ZN7rocprim17ROCPRIM_400000_NS6detail17trampoline_kernelINS0_14default_configENS1_38merge_sort_block_merge_config_selectorIN3c108BFloat16ElEEZZNS1_27merge_sort_block_merge_implIS3_PS6_N6thrust23THRUST_200600_302600_NS10device_ptrIlEEmNSB_4lessIS6_EEEE10hipError_tT0_T1_T2_jT3_P12ihipStream_tbPNSt15iterator_traitsISH_E10value_typeEPNSN_ISI_E10value_typeEPSJ_NS1_7vsmem_tEENKUlT_SH_SI_SJ_E_clIS9_S9_SD_PlEESG_SW_SH_SI_SJ_EUlSW_E_NS1_11comp_targetILNS1_3genE9ELNS1_11target_archE1100ELNS1_3gpuE3ELNS1_3repE0EEENS1_48merge_mergepath_partition_config_static_selectorELNS0_4arch9wavefront6targetE1EEEvSI_
	.p2align	8
	.type	_ZN7rocprim17ROCPRIM_400000_NS6detail17trampoline_kernelINS0_14default_configENS1_38merge_sort_block_merge_config_selectorIN3c108BFloat16ElEEZZNS1_27merge_sort_block_merge_implIS3_PS6_N6thrust23THRUST_200600_302600_NS10device_ptrIlEEmNSB_4lessIS6_EEEE10hipError_tT0_T1_T2_jT3_P12ihipStream_tbPNSt15iterator_traitsISH_E10value_typeEPNSN_ISI_E10value_typeEPSJ_NS1_7vsmem_tEENKUlT_SH_SI_SJ_E_clIS9_S9_SD_PlEESG_SW_SH_SI_SJ_EUlSW_E_NS1_11comp_targetILNS1_3genE9ELNS1_11target_archE1100ELNS1_3gpuE3ELNS1_3repE0EEENS1_48merge_mergepath_partition_config_static_selectorELNS0_4arch9wavefront6targetE1EEEvSI_,@function
_ZN7rocprim17ROCPRIM_400000_NS6detail17trampoline_kernelINS0_14default_configENS1_38merge_sort_block_merge_config_selectorIN3c108BFloat16ElEEZZNS1_27merge_sort_block_merge_implIS3_PS6_N6thrust23THRUST_200600_302600_NS10device_ptrIlEEmNSB_4lessIS6_EEEE10hipError_tT0_T1_T2_jT3_P12ihipStream_tbPNSt15iterator_traitsISH_E10value_typeEPNSN_ISI_E10value_typeEPSJ_NS1_7vsmem_tEENKUlT_SH_SI_SJ_E_clIS9_S9_SD_PlEESG_SW_SH_SI_SJ_EUlSW_E_NS1_11comp_targetILNS1_3genE9ELNS1_11target_archE1100ELNS1_3gpuE3ELNS1_3repE0EEENS1_48merge_mergepath_partition_config_static_selectorELNS0_4arch9wavefront6targetE1EEEvSI_: ; @_ZN7rocprim17ROCPRIM_400000_NS6detail17trampoline_kernelINS0_14default_configENS1_38merge_sort_block_merge_config_selectorIN3c108BFloat16ElEEZZNS1_27merge_sort_block_merge_implIS3_PS6_N6thrust23THRUST_200600_302600_NS10device_ptrIlEEmNSB_4lessIS6_EEEE10hipError_tT0_T1_T2_jT3_P12ihipStream_tbPNSt15iterator_traitsISH_E10value_typeEPNSN_ISI_E10value_typeEPSJ_NS1_7vsmem_tEENKUlT_SH_SI_SJ_E_clIS9_S9_SD_PlEESG_SW_SH_SI_SJ_EUlSW_E_NS1_11comp_targetILNS1_3genE9ELNS1_11target_archE1100ELNS1_3gpuE3ELNS1_3repE0EEENS1_48merge_mergepath_partition_config_static_selectorELNS0_4arch9wavefront6targetE1EEEvSI_
; %bb.0:
	.section	.rodata,"a",@progbits
	.p2align	6, 0x0
	.amdhsa_kernel _ZN7rocprim17ROCPRIM_400000_NS6detail17trampoline_kernelINS0_14default_configENS1_38merge_sort_block_merge_config_selectorIN3c108BFloat16ElEEZZNS1_27merge_sort_block_merge_implIS3_PS6_N6thrust23THRUST_200600_302600_NS10device_ptrIlEEmNSB_4lessIS6_EEEE10hipError_tT0_T1_T2_jT3_P12ihipStream_tbPNSt15iterator_traitsISH_E10value_typeEPNSN_ISI_E10value_typeEPSJ_NS1_7vsmem_tEENKUlT_SH_SI_SJ_E_clIS9_S9_SD_PlEESG_SW_SH_SI_SJ_EUlSW_E_NS1_11comp_targetILNS1_3genE9ELNS1_11target_archE1100ELNS1_3gpuE3ELNS1_3repE0EEENS1_48merge_mergepath_partition_config_static_selectorELNS0_4arch9wavefront6targetE1EEEvSI_
		.amdhsa_group_segment_fixed_size 0
		.amdhsa_private_segment_fixed_size 0
		.amdhsa_kernarg_size 48
		.amdhsa_user_sgpr_count 6
		.amdhsa_user_sgpr_private_segment_buffer 1
		.amdhsa_user_sgpr_dispatch_ptr 0
		.amdhsa_user_sgpr_queue_ptr 0
		.amdhsa_user_sgpr_kernarg_segment_ptr 1
		.amdhsa_user_sgpr_dispatch_id 0
		.amdhsa_user_sgpr_flat_scratch_init 0
		.amdhsa_user_sgpr_private_segment_size 0
		.amdhsa_uses_dynamic_stack 0
		.amdhsa_system_sgpr_private_segment_wavefront_offset 0
		.amdhsa_system_sgpr_workgroup_id_x 1
		.amdhsa_system_sgpr_workgroup_id_y 0
		.amdhsa_system_sgpr_workgroup_id_z 0
		.amdhsa_system_sgpr_workgroup_info 0
		.amdhsa_system_vgpr_workitem_id 0
		.amdhsa_next_free_vgpr 1
		.amdhsa_next_free_sgpr 0
		.amdhsa_reserve_vcc 0
		.amdhsa_reserve_flat_scratch 0
		.amdhsa_float_round_mode_32 0
		.amdhsa_float_round_mode_16_64 0
		.amdhsa_float_denorm_mode_32 3
		.amdhsa_float_denorm_mode_16_64 3
		.amdhsa_dx10_clamp 1
		.amdhsa_ieee_mode 1
		.amdhsa_fp16_overflow 0
		.amdhsa_exception_fp_ieee_invalid_op 0
		.amdhsa_exception_fp_denorm_src 0
		.amdhsa_exception_fp_ieee_div_zero 0
		.amdhsa_exception_fp_ieee_overflow 0
		.amdhsa_exception_fp_ieee_underflow 0
		.amdhsa_exception_fp_ieee_inexact 0
		.amdhsa_exception_int_div_zero 0
	.end_amdhsa_kernel
	.section	.text._ZN7rocprim17ROCPRIM_400000_NS6detail17trampoline_kernelINS0_14default_configENS1_38merge_sort_block_merge_config_selectorIN3c108BFloat16ElEEZZNS1_27merge_sort_block_merge_implIS3_PS6_N6thrust23THRUST_200600_302600_NS10device_ptrIlEEmNSB_4lessIS6_EEEE10hipError_tT0_T1_T2_jT3_P12ihipStream_tbPNSt15iterator_traitsISH_E10value_typeEPNSN_ISI_E10value_typeEPSJ_NS1_7vsmem_tEENKUlT_SH_SI_SJ_E_clIS9_S9_SD_PlEESG_SW_SH_SI_SJ_EUlSW_E_NS1_11comp_targetILNS1_3genE9ELNS1_11target_archE1100ELNS1_3gpuE3ELNS1_3repE0EEENS1_48merge_mergepath_partition_config_static_selectorELNS0_4arch9wavefront6targetE1EEEvSI_,"axG",@progbits,_ZN7rocprim17ROCPRIM_400000_NS6detail17trampoline_kernelINS0_14default_configENS1_38merge_sort_block_merge_config_selectorIN3c108BFloat16ElEEZZNS1_27merge_sort_block_merge_implIS3_PS6_N6thrust23THRUST_200600_302600_NS10device_ptrIlEEmNSB_4lessIS6_EEEE10hipError_tT0_T1_T2_jT3_P12ihipStream_tbPNSt15iterator_traitsISH_E10value_typeEPNSN_ISI_E10value_typeEPSJ_NS1_7vsmem_tEENKUlT_SH_SI_SJ_E_clIS9_S9_SD_PlEESG_SW_SH_SI_SJ_EUlSW_E_NS1_11comp_targetILNS1_3genE9ELNS1_11target_archE1100ELNS1_3gpuE3ELNS1_3repE0EEENS1_48merge_mergepath_partition_config_static_selectorELNS0_4arch9wavefront6targetE1EEEvSI_,comdat
.Lfunc_end2008:
	.size	_ZN7rocprim17ROCPRIM_400000_NS6detail17trampoline_kernelINS0_14default_configENS1_38merge_sort_block_merge_config_selectorIN3c108BFloat16ElEEZZNS1_27merge_sort_block_merge_implIS3_PS6_N6thrust23THRUST_200600_302600_NS10device_ptrIlEEmNSB_4lessIS6_EEEE10hipError_tT0_T1_T2_jT3_P12ihipStream_tbPNSt15iterator_traitsISH_E10value_typeEPNSN_ISI_E10value_typeEPSJ_NS1_7vsmem_tEENKUlT_SH_SI_SJ_E_clIS9_S9_SD_PlEESG_SW_SH_SI_SJ_EUlSW_E_NS1_11comp_targetILNS1_3genE9ELNS1_11target_archE1100ELNS1_3gpuE3ELNS1_3repE0EEENS1_48merge_mergepath_partition_config_static_selectorELNS0_4arch9wavefront6targetE1EEEvSI_, .Lfunc_end2008-_ZN7rocprim17ROCPRIM_400000_NS6detail17trampoline_kernelINS0_14default_configENS1_38merge_sort_block_merge_config_selectorIN3c108BFloat16ElEEZZNS1_27merge_sort_block_merge_implIS3_PS6_N6thrust23THRUST_200600_302600_NS10device_ptrIlEEmNSB_4lessIS6_EEEE10hipError_tT0_T1_T2_jT3_P12ihipStream_tbPNSt15iterator_traitsISH_E10value_typeEPNSN_ISI_E10value_typeEPSJ_NS1_7vsmem_tEENKUlT_SH_SI_SJ_E_clIS9_S9_SD_PlEESG_SW_SH_SI_SJ_EUlSW_E_NS1_11comp_targetILNS1_3genE9ELNS1_11target_archE1100ELNS1_3gpuE3ELNS1_3repE0EEENS1_48merge_mergepath_partition_config_static_selectorELNS0_4arch9wavefront6targetE1EEEvSI_
                                        ; -- End function
	.set _ZN7rocprim17ROCPRIM_400000_NS6detail17trampoline_kernelINS0_14default_configENS1_38merge_sort_block_merge_config_selectorIN3c108BFloat16ElEEZZNS1_27merge_sort_block_merge_implIS3_PS6_N6thrust23THRUST_200600_302600_NS10device_ptrIlEEmNSB_4lessIS6_EEEE10hipError_tT0_T1_T2_jT3_P12ihipStream_tbPNSt15iterator_traitsISH_E10value_typeEPNSN_ISI_E10value_typeEPSJ_NS1_7vsmem_tEENKUlT_SH_SI_SJ_E_clIS9_S9_SD_PlEESG_SW_SH_SI_SJ_EUlSW_E_NS1_11comp_targetILNS1_3genE9ELNS1_11target_archE1100ELNS1_3gpuE3ELNS1_3repE0EEENS1_48merge_mergepath_partition_config_static_selectorELNS0_4arch9wavefront6targetE1EEEvSI_.num_vgpr, 0
	.set _ZN7rocprim17ROCPRIM_400000_NS6detail17trampoline_kernelINS0_14default_configENS1_38merge_sort_block_merge_config_selectorIN3c108BFloat16ElEEZZNS1_27merge_sort_block_merge_implIS3_PS6_N6thrust23THRUST_200600_302600_NS10device_ptrIlEEmNSB_4lessIS6_EEEE10hipError_tT0_T1_T2_jT3_P12ihipStream_tbPNSt15iterator_traitsISH_E10value_typeEPNSN_ISI_E10value_typeEPSJ_NS1_7vsmem_tEENKUlT_SH_SI_SJ_E_clIS9_S9_SD_PlEESG_SW_SH_SI_SJ_EUlSW_E_NS1_11comp_targetILNS1_3genE9ELNS1_11target_archE1100ELNS1_3gpuE3ELNS1_3repE0EEENS1_48merge_mergepath_partition_config_static_selectorELNS0_4arch9wavefront6targetE1EEEvSI_.num_agpr, 0
	.set _ZN7rocprim17ROCPRIM_400000_NS6detail17trampoline_kernelINS0_14default_configENS1_38merge_sort_block_merge_config_selectorIN3c108BFloat16ElEEZZNS1_27merge_sort_block_merge_implIS3_PS6_N6thrust23THRUST_200600_302600_NS10device_ptrIlEEmNSB_4lessIS6_EEEE10hipError_tT0_T1_T2_jT3_P12ihipStream_tbPNSt15iterator_traitsISH_E10value_typeEPNSN_ISI_E10value_typeEPSJ_NS1_7vsmem_tEENKUlT_SH_SI_SJ_E_clIS9_S9_SD_PlEESG_SW_SH_SI_SJ_EUlSW_E_NS1_11comp_targetILNS1_3genE9ELNS1_11target_archE1100ELNS1_3gpuE3ELNS1_3repE0EEENS1_48merge_mergepath_partition_config_static_selectorELNS0_4arch9wavefront6targetE1EEEvSI_.numbered_sgpr, 0
	.set _ZN7rocprim17ROCPRIM_400000_NS6detail17trampoline_kernelINS0_14default_configENS1_38merge_sort_block_merge_config_selectorIN3c108BFloat16ElEEZZNS1_27merge_sort_block_merge_implIS3_PS6_N6thrust23THRUST_200600_302600_NS10device_ptrIlEEmNSB_4lessIS6_EEEE10hipError_tT0_T1_T2_jT3_P12ihipStream_tbPNSt15iterator_traitsISH_E10value_typeEPNSN_ISI_E10value_typeEPSJ_NS1_7vsmem_tEENKUlT_SH_SI_SJ_E_clIS9_S9_SD_PlEESG_SW_SH_SI_SJ_EUlSW_E_NS1_11comp_targetILNS1_3genE9ELNS1_11target_archE1100ELNS1_3gpuE3ELNS1_3repE0EEENS1_48merge_mergepath_partition_config_static_selectorELNS0_4arch9wavefront6targetE1EEEvSI_.num_named_barrier, 0
	.set _ZN7rocprim17ROCPRIM_400000_NS6detail17trampoline_kernelINS0_14default_configENS1_38merge_sort_block_merge_config_selectorIN3c108BFloat16ElEEZZNS1_27merge_sort_block_merge_implIS3_PS6_N6thrust23THRUST_200600_302600_NS10device_ptrIlEEmNSB_4lessIS6_EEEE10hipError_tT0_T1_T2_jT3_P12ihipStream_tbPNSt15iterator_traitsISH_E10value_typeEPNSN_ISI_E10value_typeEPSJ_NS1_7vsmem_tEENKUlT_SH_SI_SJ_E_clIS9_S9_SD_PlEESG_SW_SH_SI_SJ_EUlSW_E_NS1_11comp_targetILNS1_3genE9ELNS1_11target_archE1100ELNS1_3gpuE3ELNS1_3repE0EEENS1_48merge_mergepath_partition_config_static_selectorELNS0_4arch9wavefront6targetE1EEEvSI_.private_seg_size, 0
	.set _ZN7rocprim17ROCPRIM_400000_NS6detail17trampoline_kernelINS0_14default_configENS1_38merge_sort_block_merge_config_selectorIN3c108BFloat16ElEEZZNS1_27merge_sort_block_merge_implIS3_PS6_N6thrust23THRUST_200600_302600_NS10device_ptrIlEEmNSB_4lessIS6_EEEE10hipError_tT0_T1_T2_jT3_P12ihipStream_tbPNSt15iterator_traitsISH_E10value_typeEPNSN_ISI_E10value_typeEPSJ_NS1_7vsmem_tEENKUlT_SH_SI_SJ_E_clIS9_S9_SD_PlEESG_SW_SH_SI_SJ_EUlSW_E_NS1_11comp_targetILNS1_3genE9ELNS1_11target_archE1100ELNS1_3gpuE3ELNS1_3repE0EEENS1_48merge_mergepath_partition_config_static_selectorELNS0_4arch9wavefront6targetE1EEEvSI_.uses_vcc, 0
	.set _ZN7rocprim17ROCPRIM_400000_NS6detail17trampoline_kernelINS0_14default_configENS1_38merge_sort_block_merge_config_selectorIN3c108BFloat16ElEEZZNS1_27merge_sort_block_merge_implIS3_PS6_N6thrust23THRUST_200600_302600_NS10device_ptrIlEEmNSB_4lessIS6_EEEE10hipError_tT0_T1_T2_jT3_P12ihipStream_tbPNSt15iterator_traitsISH_E10value_typeEPNSN_ISI_E10value_typeEPSJ_NS1_7vsmem_tEENKUlT_SH_SI_SJ_E_clIS9_S9_SD_PlEESG_SW_SH_SI_SJ_EUlSW_E_NS1_11comp_targetILNS1_3genE9ELNS1_11target_archE1100ELNS1_3gpuE3ELNS1_3repE0EEENS1_48merge_mergepath_partition_config_static_selectorELNS0_4arch9wavefront6targetE1EEEvSI_.uses_flat_scratch, 0
	.set _ZN7rocprim17ROCPRIM_400000_NS6detail17trampoline_kernelINS0_14default_configENS1_38merge_sort_block_merge_config_selectorIN3c108BFloat16ElEEZZNS1_27merge_sort_block_merge_implIS3_PS6_N6thrust23THRUST_200600_302600_NS10device_ptrIlEEmNSB_4lessIS6_EEEE10hipError_tT0_T1_T2_jT3_P12ihipStream_tbPNSt15iterator_traitsISH_E10value_typeEPNSN_ISI_E10value_typeEPSJ_NS1_7vsmem_tEENKUlT_SH_SI_SJ_E_clIS9_S9_SD_PlEESG_SW_SH_SI_SJ_EUlSW_E_NS1_11comp_targetILNS1_3genE9ELNS1_11target_archE1100ELNS1_3gpuE3ELNS1_3repE0EEENS1_48merge_mergepath_partition_config_static_selectorELNS0_4arch9wavefront6targetE1EEEvSI_.has_dyn_sized_stack, 0
	.set _ZN7rocprim17ROCPRIM_400000_NS6detail17trampoline_kernelINS0_14default_configENS1_38merge_sort_block_merge_config_selectorIN3c108BFloat16ElEEZZNS1_27merge_sort_block_merge_implIS3_PS6_N6thrust23THRUST_200600_302600_NS10device_ptrIlEEmNSB_4lessIS6_EEEE10hipError_tT0_T1_T2_jT3_P12ihipStream_tbPNSt15iterator_traitsISH_E10value_typeEPNSN_ISI_E10value_typeEPSJ_NS1_7vsmem_tEENKUlT_SH_SI_SJ_E_clIS9_S9_SD_PlEESG_SW_SH_SI_SJ_EUlSW_E_NS1_11comp_targetILNS1_3genE9ELNS1_11target_archE1100ELNS1_3gpuE3ELNS1_3repE0EEENS1_48merge_mergepath_partition_config_static_selectorELNS0_4arch9wavefront6targetE1EEEvSI_.has_recursion, 0
	.set _ZN7rocprim17ROCPRIM_400000_NS6detail17trampoline_kernelINS0_14default_configENS1_38merge_sort_block_merge_config_selectorIN3c108BFloat16ElEEZZNS1_27merge_sort_block_merge_implIS3_PS6_N6thrust23THRUST_200600_302600_NS10device_ptrIlEEmNSB_4lessIS6_EEEE10hipError_tT0_T1_T2_jT3_P12ihipStream_tbPNSt15iterator_traitsISH_E10value_typeEPNSN_ISI_E10value_typeEPSJ_NS1_7vsmem_tEENKUlT_SH_SI_SJ_E_clIS9_S9_SD_PlEESG_SW_SH_SI_SJ_EUlSW_E_NS1_11comp_targetILNS1_3genE9ELNS1_11target_archE1100ELNS1_3gpuE3ELNS1_3repE0EEENS1_48merge_mergepath_partition_config_static_selectorELNS0_4arch9wavefront6targetE1EEEvSI_.has_indirect_call, 0
	.section	.AMDGPU.csdata,"",@progbits
; Kernel info:
; codeLenInByte = 0
; TotalNumSgprs: 4
; NumVgprs: 0
; ScratchSize: 0
; MemoryBound: 0
; FloatMode: 240
; IeeeMode: 1
; LDSByteSize: 0 bytes/workgroup (compile time only)
; SGPRBlocks: 0
; VGPRBlocks: 0
; NumSGPRsForWavesPerEU: 4
; NumVGPRsForWavesPerEU: 1
; Occupancy: 10
; WaveLimiterHint : 0
; COMPUTE_PGM_RSRC2:SCRATCH_EN: 0
; COMPUTE_PGM_RSRC2:USER_SGPR: 6
; COMPUTE_PGM_RSRC2:TRAP_HANDLER: 0
; COMPUTE_PGM_RSRC2:TGID_X_EN: 1
; COMPUTE_PGM_RSRC2:TGID_Y_EN: 0
; COMPUTE_PGM_RSRC2:TGID_Z_EN: 0
; COMPUTE_PGM_RSRC2:TIDIG_COMP_CNT: 0
	.section	.text._ZN7rocprim17ROCPRIM_400000_NS6detail17trampoline_kernelINS0_14default_configENS1_38merge_sort_block_merge_config_selectorIN3c108BFloat16ElEEZZNS1_27merge_sort_block_merge_implIS3_PS6_N6thrust23THRUST_200600_302600_NS10device_ptrIlEEmNSB_4lessIS6_EEEE10hipError_tT0_T1_T2_jT3_P12ihipStream_tbPNSt15iterator_traitsISH_E10value_typeEPNSN_ISI_E10value_typeEPSJ_NS1_7vsmem_tEENKUlT_SH_SI_SJ_E_clIS9_S9_SD_PlEESG_SW_SH_SI_SJ_EUlSW_E_NS1_11comp_targetILNS1_3genE8ELNS1_11target_archE1030ELNS1_3gpuE2ELNS1_3repE0EEENS1_48merge_mergepath_partition_config_static_selectorELNS0_4arch9wavefront6targetE1EEEvSI_,"axG",@progbits,_ZN7rocprim17ROCPRIM_400000_NS6detail17trampoline_kernelINS0_14default_configENS1_38merge_sort_block_merge_config_selectorIN3c108BFloat16ElEEZZNS1_27merge_sort_block_merge_implIS3_PS6_N6thrust23THRUST_200600_302600_NS10device_ptrIlEEmNSB_4lessIS6_EEEE10hipError_tT0_T1_T2_jT3_P12ihipStream_tbPNSt15iterator_traitsISH_E10value_typeEPNSN_ISI_E10value_typeEPSJ_NS1_7vsmem_tEENKUlT_SH_SI_SJ_E_clIS9_S9_SD_PlEESG_SW_SH_SI_SJ_EUlSW_E_NS1_11comp_targetILNS1_3genE8ELNS1_11target_archE1030ELNS1_3gpuE2ELNS1_3repE0EEENS1_48merge_mergepath_partition_config_static_selectorELNS0_4arch9wavefront6targetE1EEEvSI_,comdat
	.protected	_ZN7rocprim17ROCPRIM_400000_NS6detail17trampoline_kernelINS0_14default_configENS1_38merge_sort_block_merge_config_selectorIN3c108BFloat16ElEEZZNS1_27merge_sort_block_merge_implIS3_PS6_N6thrust23THRUST_200600_302600_NS10device_ptrIlEEmNSB_4lessIS6_EEEE10hipError_tT0_T1_T2_jT3_P12ihipStream_tbPNSt15iterator_traitsISH_E10value_typeEPNSN_ISI_E10value_typeEPSJ_NS1_7vsmem_tEENKUlT_SH_SI_SJ_E_clIS9_S9_SD_PlEESG_SW_SH_SI_SJ_EUlSW_E_NS1_11comp_targetILNS1_3genE8ELNS1_11target_archE1030ELNS1_3gpuE2ELNS1_3repE0EEENS1_48merge_mergepath_partition_config_static_selectorELNS0_4arch9wavefront6targetE1EEEvSI_ ; -- Begin function _ZN7rocprim17ROCPRIM_400000_NS6detail17trampoline_kernelINS0_14default_configENS1_38merge_sort_block_merge_config_selectorIN3c108BFloat16ElEEZZNS1_27merge_sort_block_merge_implIS3_PS6_N6thrust23THRUST_200600_302600_NS10device_ptrIlEEmNSB_4lessIS6_EEEE10hipError_tT0_T1_T2_jT3_P12ihipStream_tbPNSt15iterator_traitsISH_E10value_typeEPNSN_ISI_E10value_typeEPSJ_NS1_7vsmem_tEENKUlT_SH_SI_SJ_E_clIS9_S9_SD_PlEESG_SW_SH_SI_SJ_EUlSW_E_NS1_11comp_targetILNS1_3genE8ELNS1_11target_archE1030ELNS1_3gpuE2ELNS1_3repE0EEENS1_48merge_mergepath_partition_config_static_selectorELNS0_4arch9wavefront6targetE1EEEvSI_
	.globl	_ZN7rocprim17ROCPRIM_400000_NS6detail17trampoline_kernelINS0_14default_configENS1_38merge_sort_block_merge_config_selectorIN3c108BFloat16ElEEZZNS1_27merge_sort_block_merge_implIS3_PS6_N6thrust23THRUST_200600_302600_NS10device_ptrIlEEmNSB_4lessIS6_EEEE10hipError_tT0_T1_T2_jT3_P12ihipStream_tbPNSt15iterator_traitsISH_E10value_typeEPNSN_ISI_E10value_typeEPSJ_NS1_7vsmem_tEENKUlT_SH_SI_SJ_E_clIS9_S9_SD_PlEESG_SW_SH_SI_SJ_EUlSW_E_NS1_11comp_targetILNS1_3genE8ELNS1_11target_archE1030ELNS1_3gpuE2ELNS1_3repE0EEENS1_48merge_mergepath_partition_config_static_selectorELNS0_4arch9wavefront6targetE1EEEvSI_
	.p2align	8
	.type	_ZN7rocprim17ROCPRIM_400000_NS6detail17trampoline_kernelINS0_14default_configENS1_38merge_sort_block_merge_config_selectorIN3c108BFloat16ElEEZZNS1_27merge_sort_block_merge_implIS3_PS6_N6thrust23THRUST_200600_302600_NS10device_ptrIlEEmNSB_4lessIS6_EEEE10hipError_tT0_T1_T2_jT3_P12ihipStream_tbPNSt15iterator_traitsISH_E10value_typeEPNSN_ISI_E10value_typeEPSJ_NS1_7vsmem_tEENKUlT_SH_SI_SJ_E_clIS9_S9_SD_PlEESG_SW_SH_SI_SJ_EUlSW_E_NS1_11comp_targetILNS1_3genE8ELNS1_11target_archE1030ELNS1_3gpuE2ELNS1_3repE0EEENS1_48merge_mergepath_partition_config_static_selectorELNS0_4arch9wavefront6targetE1EEEvSI_,@function
_ZN7rocprim17ROCPRIM_400000_NS6detail17trampoline_kernelINS0_14default_configENS1_38merge_sort_block_merge_config_selectorIN3c108BFloat16ElEEZZNS1_27merge_sort_block_merge_implIS3_PS6_N6thrust23THRUST_200600_302600_NS10device_ptrIlEEmNSB_4lessIS6_EEEE10hipError_tT0_T1_T2_jT3_P12ihipStream_tbPNSt15iterator_traitsISH_E10value_typeEPNSN_ISI_E10value_typeEPSJ_NS1_7vsmem_tEENKUlT_SH_SI_SJ_E_clIS9_S9_SD_PlEESG_SW_SH_SI_SJ_EUlSW_E_NS1_11comp_targetILNS1_3genE8ELNS1_11target_archE1030ELNS1_3gpuE2ELNS1_3repE0EEENS1_48merge_mergepath_partition_config_static_selectorELNS0_4arch9wavefront6targetE1EEEvSI_: ; @_ZN7rocprim17ROCPRIM_400000_NS6detail17trampoline_kernelINS0_14default_configENS1_38merge_sort_block_merge_config_selectorIN3c108BFloat16ElEEZZNS1_27merge_sort_block_merge_implIS3_PS6_N6thrust23THRUST_200600_302600_NS10device_ptrIlEEmNSB_4lessIS6_EEEE10hipError_tT0_T1_T2_jT3_P12ihipStream_tbPNSt15iterator_traitsISH_E10value_typeEPNSN_ISI_E10value_typeEPSJ_NS1_7vsmem_tEENKUlT_SH_SI_SJ_E_clIS9_S9_SD_PlEESG_SW_SH_SI_SJ_EUlSW_E_NS1_11comp_targetILNS1_3genE8ELNS1_11target_archE1030ELNS1_3gpuE2ELNS1_3repE0EEENS1_48merge_mergepath_partition_config_static_selectorELNS0_4arch9wavefront6targetE1EEEvSI_
; %bb.0:
	.section	.rodata,"a",@progbits
	.p2align	6, 0x0
	.amdhsa_kernel _ZN7rocprim17ROCPRIM_400000_NS6detail17trampoline_kernelINS0_14default_configENS1_38merge_sort_block_merge_config_selectorIN3c108BFloat16ElEEZZNS1_27merge_sort_block_merge_implIS3_PS6_N6thrust23THRUST_200600_302600_NS10device_ptrIlEEmNSB_4lessIS6_EEEE10hipError_tT0_T1_T2_jT3_P12ihipStream_tbPNSt15iterator_traitsISH_E10value_typeEPNSN_ISI_E10value_typeEPSJ_NS1_7vsmem_tEENKUlT_SH_SI_SJ_E_clIS9_S9_SD_PlEESG_SW_SH_SI_SJ_EUlSW_E_NS1_11comp_targetILNS1_3genE8ELNS1_11target_archE1030ELNS1_3gpuE2ELNS1_3repE0EEENS1_48merge_mergepath_partition_config_static_selectorELNS0_4arch9wavefront6targetE1EEEvSI_
		.amdhsa_group_segment_fixed_size 0
		.amdhsa_private_segment_fixed_size 0
		.amdhsa_kernarg_size 48
		.amdhsa_user_sgpr_count 6
		.amdhsa_user_sgpr_private_segment_buffer 1
		.amdhsa_user_sgpr_dispatch_ptr 0
		.amdhsa_user_sgpr_queue_ptr 0
		.amdhsa_user_sgpr_kernarg_segment_ptr 1
		.amdhsa_user_sgpr_dispatch_id 0
		.amdhsa_user_sgpr_flat_scratch_init 0
		.amdhsa_user_sgpr_private_segment_size 0
		.amdhsa_uses_dynamic_stack 0
		.amdhsa_system_sgpr_private_segment_wavefront_offset 0
		.amdhsa_system_sgpr_workgroup_id_x 1
		.amdhsa_system_sgpr_workgroup_id_y 0
		.amdhsa_system_sgpr_workgroup_id_z 0
		.amdhsa_system_sgpr_workgroup_info 0
		.amdhsa_system_vgpr_workitem_id 0
		.amdhsa_next_free_vgpr 1
		.amdhsa_next_free_sgpr 0
		.amdhsa_reserve_vcc 0
		.amdhsa_reserve_flat_scratch 0
		.amdhsa_float_round_mode_32 0
		.amdhsa_float_round_mode_16_64 0
		.amdhsa_float_denorm_mode_32 3
		.amdhsa_float_denorm_mode_16_64 3
		.amdhsa_dx10_clamp 1
		.amdhsa_ieee_mode 1
		.amdhsa_fp16_overflow 0
		.amdhsa_exception_fp_ieee_invalid_op 0
		.amdhsa_exception_fp_denorm_src 0
		.amdhsa_exception_fp_ieee_div_zero 0
		.amdhsa_exception_fp_ieee_overflow 0
		.amdhsa_exception_fp_ieee_underflow 0
		.amdhsa_exception_fp_ieee_inexact 0
		.amdhsa_exception_int_div_zero 0
	.end_amdhsa_kernel
	.section	.text._ZN7rocprim17ROCPRIM_400000_NS6detail17trampoline_kernelINS0_14default_configENS1_38merge_sort_block_merge_config_selectorIN3c108BFloat16ElEEZZNS1_27merge_sort_block_merge_implIS3_PS6_N6thrust23THRUST_200600_302600_NS10device_ptrIlEEmNSB_4lessIS6_EEEE10hipError_tT0_T1_T2_jT3_P12ihipStream_tbPNSt15iterator_traitsISH_E10value_typeEPNSN_ISI_E10value_typeEPSJ_NS1_7vsmem_tEENKUlT_SH_SI_SJ_E_clIS9_S9_SD_PlEESG_SW_SH_SI_SJ_EUlSW_E_NS1_11comp_targetILNS1_3genE8ELNS1_11target_archE1030ELNS1_3gpuE2ELNS1_3repE0EEENS1_48merge_mergepath_partition_config_static_selectorELNS0_4arch9wavefront6targetE1EEEvSI_,"axG",@progbits,_ZN7rocprim17ROCPRIM_400000_NS6detail17trampoline_kernelINS0_14default_configENS1_38merge_sort_block_merge_config_selectorIN3c108BFloat16ElEEZZNS1_27merge_sort_block_merge_implIS3_PS6_N6thrust23THRUST_200600_302600_NS10device_ptrIlEEmNSB_4lessIS6_EEEE10hipError_tT0_T1_T2_jT3_P12ihipStream_tbPNSt15iterator_traitsISH_E10value_typeEPNSN_ISI_E10value_typeEPSJ_NS1_7vsmem_tEENKUlT_SH_SI_SJ_E_clIS9_S9_SD_PlEESG_SW_SH_SI_SJ_EUlSW_E_NS1_11comp_targetILNS1_3genE8ELNS1_11target_archE1030ELNS1_3gpuE2ELNS1_3repE0EEENS1_48merge_mergepath_partition_config_static_selectorELNS0_4arch9wavefront6targetE1EEEvSI_,comdat
.Lfunc_end2009:
	.size	_ZN7rocprim17ROCPRIM_400000_NS6detail17trampoline_kernelINS0_14default_configENS1_38merge_sort_block_merge_config_selectorIN3c108BFloat16ElEEZZNS1_27merge_sort_block_merge_implIS3_PS6_N6thrust23THRUST_200600_302600_NS10device_ptrIlEEmNSB_4lessIS6_EEEE10hipError_tT0_T1_T2_jT3_P12ihipStream_tbPNSt15iterator_traitsISH_E10value_typeEPNSN_ISI_E10value_typeEPSJ_NS1_7vsmem_tEENKUlT_SH_SI_SJ_E_clIS9_S9_SD_PlEESG_SW_SH_SI_SJ_EUlSW_E_NS1_11comp_targetILNS1_3genE8ELNS1_11target_archE1030ELNS1_3gpuE2ELNS1_3repE0EEENS1_48merge_mergepath_partition_config_static_selectorELNS0_4arch9wavefront6targetE1EEEvSI_, .Lfunc_end2009-_ZN7rocprim17ROCPRIM_400000_NS6detail17trampoline_kernelINS0_14default_configENS1_38merge_sort_block_merge_config_selectorIN3c108BFloat16ElEEZZNS1_27merge_sort_block_merge_implIS3_PS6_N6thrust23THRUST_200600_302600_NS10device_ptrIlEEmNSB_4lessIS6_EEEE10hipError_tT0_T1_T2_jT3_P12ihipStream_tbPNSt15iterator_traitsISH_E10value_typeEPNSN_ISI_E10value_typeEPSJ_NS1_7vsmem_tEENKUlT_SH_SI_SJ_E_clIS9_S9_SD_PlEESG_SW_SH_SI_SJ_EUlSW_E_NS1_11comp_targetILNS1_3genE8ELNS1_11target_archE1030ELNS1_3gpuE2ELNS1_3repE0EEENS1_48merge_mergepath_partition_config_static_selectorELNS0_4arch9wavefront6targetE1EEEvSI_
                                        ; -- End function
	.set _ZN7rocprim17ROCPRIM_400000_NS6detail17trampoline_kernelINS0_14default_configENS1_38merge_sort_block_merge_config_selectorIN3c108BFloat16ElEEZZNS1_27merge_sort_block_merge_implIS3_PS6_N6thrust23THRUST_200600_302600_NS10device_ptrIlEEmNSB_4lessIS6_EEEE10hipError_tT0_T1_T2_jT3_P12ihipStream_tbPNSt15iterator_traitsISH_E10value_typeEPNSN_ISI_E10value_typeEPSJ_NS1_7vsmem_tEENKUlT_SH_SI_SJ_E_clIS9_S9_SD_PlEESG_SW_SH_SI_SJ_EUlSW_E_NS1_11comp_targetILNS1_3genE8ELNS1_11target_archE1030ELNS1_3gpuE2ELNS1_3repE0EEENS1_48merge_mergepath_partition_config_static_selectorELNS0_4arch9wavefront6targetE1EEEvSI_.num_vgpr, 0
	.set _ZN7rocprim17ROCPRIM_400000_NS6detail17trampoline_kernelINS0_14default_configENS1_38merge_sort_block_merge_config_selectorIN3c108BFloat16ElEEZZNS1_27merge_sort_block_merge_implIS3_PS6_N6thrust23THRUST_200600_302600_NS10device_ptrIlEEmNSB_4lessIS6_EEEE10hipError_tT0_T1_T2_jT3_P12ihipStream_tbPNSt15iterator_traitsISH_E10value_typeEPNSN_ISI_E10value_typeEPSJ_NS1_7vsmem_tEENKUlT_SH_SI_SJ_E_clIS9_S9_SD_PlEESG_SW_SH_SI_SJ_EUlSW_E_NS1_11comp_targetILNS1_3genE8ELNS1_11target_archE1030ELNS1_3gpuE2ELNS1_3repE0EEENS1_48merge_mergepath_partition_config_static_selectorELNS0_4arch9wavefront6targetE1EEEvSI_.num_agpr, 0
	.set _ZN7rocprim17ROCPRIM_400000_NS6detail17trampoline_kernelINS0_14default_configENS1_38merge_sort_block_merge_config_selectorIN3c108BFloat16ElEEZZNS1_27merge_sort_block_merge_implIS3_PS6_N6thrust23THRUST_200600_302600_NS10device_ptrIlEEmNSB_4lessIS6_EEEE10hipError_tT0_T1_T2_jT3_P12ihipStream_tbPNSt15iterator_traitsISH_E10value_typeEPNSN_ISI_E10value_typeEPSJ_NS1_7vsmem_tEENKUlT_SH_SI_SJ_E_clIS9_S9_SD_PlEESG_SW_SH_SI_SJ_EUlSW_E_NS1_11comp_targetILNS1_3genE8ELNS1_11target_archE1030ELNS1_3gpuE2ELNS1_3repE0EEENS1_48merge_mergepath_partition_config_static_selectorELNS0_4arch9wavefront6targetE1EEEvSI_.numbered_sgpr, 0
	.set _ZN7rocprim17ROCPRIM_400000_NS6detail17trampoline_kernelINS0_14default_configENS1_38merge_sort_block_merge_config_selectorIN3c108BFloat16ElEEZZNS1_27merge_sort_block_merge_implIS3_PS6_N6thrust23THRUST_200600_302600_NS10device_ptrIlEEmNSB_4lessIS6_EEEE10hipError_tT0_T1_T2_jT3_P12ihipStream_tbPNSt15iterator_traitsISH_E10value_typeEPNSN_ISI_E10value_typeEPSJ_NS1_7vsmem_tEENKUlT_SH_SI_SJ_E_clIS9_S9_SD_PlEESG_SW_SH_SI_SJ_EUlSW_E_NS1_11comp_targetILNS1_3genE8ELNS1_11target_archE1030ELNS1_3gpuE2ELNS1_3repE0EEENS1_48merge_mergepath_partition_config_static_selectorELNS0_4arch9wavefront6targetE1EEEvSI_.num_named_barrier, 0
	.set _ZN7rocprim17ROCPRIM_400000_NS6detail17trampoline_kernelINS0_14default_configENS1_38merge_sort_block_merge_config_selectorIN3c108BFloat16ElEEZZNS1_27merge_sort_block_merge_implIS3_PS6_N6thrust23THRUST_200600_302600_NS10device_ptrIlEEmNSB_4lessIS6_EEEE10hipError_tT0_T1_T2_jT3_P12ihipStream_tbPNSt15iterator_traitsISH_E10value_typeEPNSN_ISI_E10value_typeEPSJ_NS1_7vsmem_tEENKUlT_SH_SI_SJ_E_clIS9_S9_SD_PlEESG_SW_SH_SI_SJ_EUlSW_E_NS1_11comp_targetILNS1_3genE8ELNS1_11target_archE1030ELNS1_3gpuE2ELNS1_3repE0EEENS1_48merge_mergepath_partition_config_static_selectorELNS0_4arch9wavefront6targetE1EEEvSI_.private_seg_size, 0
	.set _ZN7rocprim17ROCPRIM_400000_NS6detail17trampoline_kernelINS0_14default_configENS1_38merge_sort_block_merge_config_selectorIN3c108BFloat16ElEEZZNS1_27merge_sort_block_merge_implIS3_PS6_N6thrust23THRUST_200600_302600_NS10device_ptrIlEEmNSB_4lessIS6_EEEE10hipError_tT0_T1_T2_jT3_P12ihipStream_tbPNSt15iterator_traitsISH_E10value_typeEPNSN_ISI_E10value_typeEPSJ_NS1_7vsmem_tEENKUlT_SH_SI_SJ_E_clIS9_S9_SD_PlEESG_SW_SH_SI_SJ_EUlSW_E_NS1_11comp_targetILNS1_3genE8ELNS1_11target_archE1030ELNS1_3gpuE2ELNS1_3repE0EEENS1_48merge_mergepath_partition_config_static_selectorELNS0_4arch9wavefront6targetE1EEEvSI_.uses_vcc, 0
	.set _ZN7rocprim17ROCPRIM_400000_NS6detail17trampoline_kernelINS0_14default_configENS1_38merge_sort_block_merge_config_selectorIN3c108BFloat16ElEEZZNS1_27merge_sort_block_merge_implIS3_PS6_N6thrust23THRUST_200600_302600_NS10device_ptrIlEEmNSB_4lessIS6_EEEE10hipError_tT0_T1_T2_jT3_P12ihipStream_tbPNSt15iterator_traitsISH_E10value_typeEPNSN_ISI_E10value_typeEPSJ_NS1_7vsmem_tEENKUlT_SH_SI_SJ_E_clIS9_S9_SD_PlEESG_SW_SH_SI_SJ_EUlSW_E_NS1_11comp_targetILNS1_3genE8ELNS1_11target_archE1030ELNS1_3gpuE2ELNS1_3repE0EEENS1_48merge_mergepath_partition_config_static_selectorELNS0_4arch9wavefront6targetE1EEEvSI_.uses_flat_scratch, 0
	.set _ZN7rocprim17ROCPRIM_400000_NS6detail17trampoline_kernelINS0_14default_configENS1_38merge_sort_block_merge_config_selectorIN3c108BFloat16ElEEZZNS1_27merge_sort_block_merge_implIS3_PS6_N6thrust23THRUST_200600_302600_NS10device_ptrIlEEmNSB_4lessIS6_EEEE10hipError_tT0_T1_T2_jT3_P12ihipStream_tbPNSt15iterator_traitsISH_E10value_typeEPNSN_ISI_E10value_typeEPSJ_NS1_7vsmem_tEENKUlT_SH_SI_SJ_E_clIS9_S9_SD_PlEESG_SW_SH_SI_SJ_EUlSW_E_NS1_11comp_targetILNS1_3genE8ELNS1_11target_archE1030ELNS1_3gpuE2ELNS1_3repE0EEENS1_48merge_mergepath_partition_config_static_selectorELNS0_4arch9wavefront6targetE1EEEvSI_.has_dyn_sized_stack, 0
	.set _ZN7rocprim17ROCPRIM_400000_NS6detail17trampoline_kernelINS0_14default_configENS1_38merge_sort_block_merge_config_selectorIN3c108BFloat16ElEEZZNS1_27merge_sort_block_merge_implIS3_PS6_N6thrust23THRUST_200600_302600_NS10device_ptrIlEEmNSB_4lessIS6_EEEE10hipError_tT0_T1_T2_jT3_P12ihipStream_tbPNSt15iterator_traitsISH_E10value_typeEPNSN_ISI_E10value_typeEPSJ_NS1_7vsmem_tEENKUlT_SH_SI_SJ_E_clIS9_S9_SD_PlEESG_SW_SH_SI_SJ_EUlSW_E_NS1_11comp_targetILNS1_3genE8ELNS1_11target_archE1030ELNS1_3gpuE2ELNS1_3repE0EEENS1_48merge_mergepath_partition_config_static_selectorELNS0_4arch9wavefront6targetE1EEEvSI_.has_recursion, 0
	.set _ZN7rocprim17ROCPRIM_400000_NS6detail17trampoline_kernelINS0_14default_configENS1_38merge_sort_block_merge_config_selectorIN3c108BFloat16ElEEZZNS1_27merge_sort_block_merge_implIS3_PS6_N6thrust23THRUST_200600_302600_NS10device_ptrIlEEmNSB_4lessIS6_EEEE10hipError_tT0_T1_T2_jT3_P12ihipStream_tbPNSt15iterator_traitsISH_E10value_typeEPNSN_ISI_E10value_typeEPSJ_NS1_7vsmem_tEENKUlT_SH_SI_SJ_E_clIS9_S9_SD_PlEESG_SW_SH_SI_SJ_EUlSW_E_NS1_11comp_targetILNS1_3genE8ELNS1_11target_archE1030ELNS1_3gpuE2ELNS1_3repE0EEENS1_48merge_mergepath_partition_config_static_selectorELNS0_4arch9wavefront6targetE1EEEvSI_.has_indirect_call, 0
	.section	.AMDGPU.csdata,"",@progbits
; Kernel info:
; codeLenInByte = 0
; TotalNumSgprs: 4
; NumVgprs: 0
; ScratchSize: 0
; MemoryBound: 0
; FloatMode: 240
; IeeeMode: 1
; LDSByteSize: 0 bytes/workgroup (compile time only)
; SGPRBlocks: 0
; VGPRBlocks: 0
; NumSGPRsForWavesPerEU: 4
; NumVGPRsForWavesPerEU: 1
; Occupancy: 10
; WaveLimiterHint : 0
; COMPUTE_PGM_RSRC2:SCRATCH_EN: 0
; COMPUTE_PGM_RSRC2:USER_SGPR: 6
; COMPUTE_PGM_RSRC2:TRAP_HANDLER: 0
; COMPUTE_PGM_RSRC2:TGID_X_EN: 1
; COMPUTE_PGM_RSRC2:TGID_Y_EN: 0
; COMPUTE_PGM_RSRC2:TGID_Z_EN: 0
; COMPUTE_PGM_RSRC2:TIDIG_COMP_CNT: 0
	.section	.text._ZN7rocprim17ROCPRIM_400000_NS6detail17trampoline_kernelINS0_14default_configENS1_38merge_sort_block_merge_config_selectorIN3c108BFloat16ElEEZZNS1_27merge_sort_block_merge_implIS3_PS6_N6thrust23THRUST_200600_302600_NS10device_ptrIlEEmNSB_4lessIS6_EEEE10hipError_tT0_T1_T2_jT3_P12ihipStream_tbPNSt15iterator_traitsISH_E10value_typeEPNSN_ISI_E10value_typeEPSJ_NS1_7vsmem_tEENKUlT_SH_SI_SJ_E_clIS9_S9_SD_PlEESG_SW_SH_SI_SJ_EUlSW_E0_NS1_11comp_targetILNS1_3genE0ELNS1_11target_archE4294967295ELNS1_3gpuE0ELNS1_3repE0EEENS1_38merge_mergepath_config_static_selectorELNS0_4arch9wavefront6targetE1EEEvSI_,"axG",@progbits,_ZN7rocprim17ROCPRIM_400000_NS6detail17trampoline_kernelINS0_14default_configENS1_38merge_sort_block_merge_config_selectorIN3c108BFloat16ElEEZZNS1_27merge_sort_block_merge_implIS3_PS6_N6thrust23THRUST_200600_302600_NS10device_ptrIlEEmNSB_4lessIS6_EEEE10hipError_tT0_T1_T2_jT3_P12ihipStream_tbPNSt15iterator_traitsISH_E10value_typeEPNSN_ISI_E10value_typeEPSJ_NS1_7vsmem_tEENKUlT_SH_SI_SJ_E_clIS9_S9_SD_PlEESG_SW_SH_SI_SJ_EUlSW_E0_NS1_11comp_targetILNS1_3genE0ELNS1_11target_archE4294967295ELNS1_3gpuE0ELNS1_3repE0EEENS1_38merge_mergepath_config_static_selectorELNS0_4arch9wavefront6targetE1EEEvSI_,comdat
	.protected	_ZN7rocprim17ROCPRIM_400000_NS6detail17trampoline_kernelINS0_14default_configENS1_38merge_sort_block_merge_config_selectorIN3c108BFloat16ElEEZZNS1_27merge_sort_block_merge_implIS3_PS6_N6thrust23THRUST_200600_302600_NS10device_ptrIlEEmNSB_4lessIS6_EEEE10hipError_tT0_T1_T2_jT3_P12ihipStream_tbPNSt15iterator_traitsISH_E10value_typeEPNSN_ISI_E10value_typeEPSJ_NS1_7vsmem_tEENKUlT_SH_SI_SJ_E_clIS9_S9_SD_PlEESG_SW_SH_SI_SJ_EUlSW_E0_NS1_11comp_targetILNS1_3genE0ELNS1_11target_archE4294967295ELNS1_3gpuE0ELNS1_3repE0EEENS1_38merge_mergepath_config_static_selectorELNS0_4arch9wavefront6targetE1EEEvSI_ ; -- Begin function _ZN7rocprim17ROCPRIM_400000_NS6detail17trampoline_kernelINS0_14default_configENS1_38merge_sort_block_merge_config_selectorIN3c108BFloat16ElEEZZNS1_27merge_sort_block_merge_implIS3_PS6_N6thrust23THRUST_200600_302600_NS10device_ptrIlEEmNSB_4lessIS6_EEEE10hipError_tT0_T1_T2_jT3_P12ihipStream_tbPNSt15iterator_traitsISH_E10value_typeEPNSN_ISI_E10value_typeEPSJ_NS1_7vsmem_tEENKUlT_SH_SI_SJ_E_clIS9_S9_SD_PlEESG_SW_SH_SI_SJ_EUlSW_E0_NS1_11comp_targetILNS1_3genE0ELNS1_11target_archE4294967295ELNS1_3gpuE0ELNS1_3repE0EEENS1_38merge_mergepath_config_static_selectorELNS0_4arch9wavefront6targetE1EEEvSI_
	.globl	_ZN7rocprim17ROCPRIM_400000_NS6detail17trampoline_kernelINS0_14default_configENS1_38merge_sort_block_merge_config_selectorIN3c108BFloat16ElEEZZNS1_27merge_sort_block_merge_implIS3_PS6_N6thrust23THRUST_200600_302600_NS10device_ptrIlEEmNSB_4lessIS6_EEEE10hipError_tT0_T1_T2_jT3_P12ihipStream_tbPNSt15iterator_traitsISH_E10value_typeEPNSN_ISI_E10value_typeEPSJ_NS1_7vsmem_tEENKUlT_SH_SI_SJ_E_clIS9_S9_SD_PlEESG_SW_SH_SI_SJ_EUlSW_E0_NS1_11comp_targetILNS1_3genE0ELNS1_11target_archE4294967295ELNS1_3gpuE0ELNS1_3repE0EEENS1_38merge_mergepath_config_static_selectorELNS0_4arch9wavefront6targetE1EEEvSI_
	.p2align	8
	.type	_ZN7rocprim17ROCPRIM_400000_NS6detail17trampoline_kernelINS0_14default_configENS1_38merge_sort_block_merge_config_selectorIN3c108BFloat16ElEEZZNS1_27merge_sort_block_merge_implIS3_PS6_N6thrust23THRUST_200600_302600_NS10device_ptrIlEEmNSB_4lessIS6_EEEE10hipError_tT0_T1_T2_jT3_P12ihipStream_tbPNSt15iterator_traitsISH_E10value_typeEPNSN_ISI_E10value_typeEPSJ_NS1_7vsmem_tEENKUlT_SH_SI_SJ_E_clIS9_S9_SD_PlEESG_SW_SH_SI_SJ_EUlSW_E0_NS1_11comp_targetILNS1_3genE0ELNS1_11target_archE4294967295ELNS1_3gpuE0ELNS1_3repE0EEENS1_38merge_mergepath_config_static_selectorELNS0_4arch9wavefront6targetE1EEEvSI_,@function
_ZN7rocprim17ROCPRIM_400000_NS6detail17trampoline_kernelINS0_14default_configENS1_38merge_sort_block_merge_config_selectorIN3c108BFloat16ElEEZZNS1_27merge_sort_block_merge_implIS3_PS6_N6thrust23THRUST_200600_302600_NS10device_ptrIlEEmNSB_4lessIS6_EEEE10hipError_tT0_T1_T2_jT3_P12ihipStream_tbPNSt15iterator_traitsISH_E10value_typeEPNSN_ISI_E10value_typeEPSJ_NS1_7vsmem_tEENKUlT_SH_SI_SJ_E_clIS9_S9_SD_PlEESG_SW_SH_SI_SJ_EUlSW_E0_NS1_11comp_targetILNS1_3genE0ELNS1_11target_archE4294967295ELNS1_3gpuE0ELNS1_3repE0EEENS1_38merge_mergepath_config_static_selectorELNS0_4arch9wavefront6targetE1EEEvSI_: ; @_ZN7rocprim17ROCPRIM_400000_NS6detail17trampoline_kernelINS0_14default_configENS1_38merge_sort_block_merge_config_selectorIN3c108BFloat16ElEEZZNS1_27merge_sort_block_merge_implIS3_PS6_N6thrust23THRUST_200600_302600_NS10device_ptrIlEEmNSB_4lessIS6_EEEE10hipError_tT0_T1_T2_jT3_P12ihipStream_tbPNSt15iterator_traitsISH_E10value_typeEPNSN_ISI_E10value_typeEPSJ_NS1_7vsmem_tEENKUlT_SH_SI_SJ_E_clIS9_S9_SD_PlEESG_SW_SH_SI_SJ_EUlSW_E0_NS1_11comp_targetILNS1_3genE0ELNS1_11target_archE4294967295ELNS1_3gpuE0ELNS1_3repE0EEENS1_38merge_mergepath_config_static_selectorELNS0_4arch9wavefront6targetE1EEEvSI_
; %bb.0:
	.section	.rodata,"a",@progbits
	.p2align	6, 0x0
	.amdhsa_kernel _ZN7rocprim17ROCPRIM_400000_NS6detail17trampoline_kernelINS0_14default_configENS1_38merge_sort_block_merge_config_selectorIN3c108BFloat16ElEEZZNS1_27merge_sort_block_merge_implIS3_PS6_N6thrust23THRUST_200600_302600_NS10device_ptrIlEEmNSB_4lessIS6_EEEE10hipError_tT0_T1_T2_jT3_P12ihipStream_tbPNSt15iterator_traitsISH_E10value_typeEPNSN_ISI_E10value_typeEPSJ_NS1_7vsmem_tEENKUlT_SH_SI_SJ_E_clIS9_S9_SD_PlEESG_SW_SH_SI_SJ_EUlSW_E0_NS1_11comp_targetILNS1_3genE0ELNS1_11target_archE4294967295ELNS1_3gpuE0ELNS1_3repE0EEENS1_38merge_mergepath_config_static_selectorELNS0_4arch9wavefront6targetE1EEEvSI_
		.amdhsa_group_segment_fixed_size 0
		.amdhsa_private_segment_fixed_size 0
		.amdhsa_kernarg_size 72
		.amdhsa_user_sgpr_count 6
		.amdhsa_user_sgpr_private_segment_buffer 1
		.amdhsa_user_sgpr_dispatch_ptr 0
		.amdhsa_user_sgpr_queue_ptr 0
		.amdhsa_user_sgpr_kernarg_segment_ptr 1
		.amdhsa_user_sgpr_dispatch_id 0
		.amdhsa_user_sgpr_flat_scratch_init 0
		.amdhsa_user_sgpr_private_segment_size 0
		.amdhsa_uses_dynamic_stack 0
		.amdhsa_system_sgpr_private_segment_wavefront_offset 0
		.amdhsa_system_sgpr_workgroup_id_x 1
		.amdhsa_system_sgpr_workgroup_id_y 0
		.amdhsa_system_sgpr_workgroup_id_z 0
		.amdhsa_system_sgpr_workgroup_info 0
		.amdhsa_system_vgpr_workitem_id 0
		.amdhsa_next_free_vgpr 1
		.amdhsa_next_free_sgpr 0
		.amdhsa_reserve_vcc 0
		.amdhsa_reserve_flat_scratch 0
		.amdhsa_float_round_mode_32 0
		.amdhsa_float_round_mode_16_64 0
		.amdhsa_float_denorm_mode_32 3
		.amdhsa_float_denorm_mode_16_64 3
		.amdhsa_dx10_clamp 1
		.amdhsa_ieee_mode 1
		.amdhsa_fp16_overflow 0
		.amdhsa_exception_fp_ieee_invalid_op 0
		.amdhsa_exception_fp_denorm_src 0
		.amdhsa_exception_fp_ieee_div_zero 0
		.amdhsa_exception_fp_ieee_overflow 0
		.amdhsa_exception_fp_ieee_underflow 0
		.amdhsa_exception_fp_ieee_inexact 0
		.amdhsa_exception_int_div_zero 0
	.end_amdhsa_kernel
	.section	.text._ZN7rocprim17ROCPRIM_400000_NS6detail17trampoline_kernelINS0_14default_configENS1_38merge_sort_block_merge_config_selectorIN3c108BFloat16ElEEZZNS1_27merge_sort_block_merge_implIS3_PS6_N6thrust23THRUST_200600_302600_NS10device_ptrIlEEmNSB_4lessIS6_EEEE10hipError_tT0_T1_T2_jT3_P12ihipStream_tbPNSt15iterator_traitsISH_E10value_typeEPNSN_ISI_E10value_typeEPSJ_NS1_7vsmem_tEENKUlT_SH_SI_SJ_E_clIS9_S9_SD_PlEESG_SW_SH_SI_SJ_EUlSW_E0_NS1_11comp_targetILNS1_3genE0ELNS1_11target_archE4294967295ELNS1_3gpuE0ELNS1_3repE0EEENS1_38merge_mergepath_config_static_selectorELNS0_4arch9wavefront6targetE1EEEvSI_,"axG",@progbits,_ZN7rocprim17ROCPRIM_400000_NS6detail17trampoline_kernelINS0_14default_configENS1_38merge_sort_block_merge_config_selectorIN3c108BFloat16ElEEZZNS1_27merge_sort_block_merge_implIS3_PS6_N6thrust23THRUST_200600_302600_NS10device_ptrIlEEmNSB_4lessIS6_EEEE10hipError_tT0_T1_T2_jT3_P12ihipStream_tbPNSt15iterator_traitsISH_E10value_typeEPNSN_ISI_E10value_typeEPSJ_NS1_7vsmem_tEENKUlT_SH_SI_SJ_E_clIS9_S9_SD_PlEESG_SW_SH_SI_SJ_EUlSW_E0_NS1_11comp_targetILNS1_3genE0ELNS1_11target_archE4294967295ELNS1_3gpuE0ELNS1_3repE0EEENS1_38merge_mergepath_config_static_selectorELNS0_4arch9wavefront6targetE1EEEvSI_,comdat
.Lfunc_end2010:
	.size	_ZN7rocprim17ROCPRIM_400000_NS6detail17trampoline_kernelINS0_14default_configENS1_38merge_sort_block_merge_config_selectorIN3c108BFloat16ElEEZZNS1_27merge_sort_block_merge_implIS3_PS6_N6thrust23THRUST_200600_302600_NS10device_ptrIlEEmNSB_4lessIS6_EEEE10hipError_tT0_T1_T2_jT3_P12ihipStream_tbPNSt15iterator_traitsISH_E10value_typeEPNSN_ISI_E10value_typeEPSJ_NS1_7vsmem_tEENKUlT_SH_SI_SJ_E_clIS9_S9_SD_PlEESG_SW_SH_SI_SJ_EUlSW_E0_NS1_11comp_targetILNS1_3genE0ELNS1_11target_archE4294967295ELNS1_3gpuE0ELNS1_3repE0EEENS1_38merge_mergepath_config_static_selectorELNS0_4arch9wavefront6targetE1EEEvSI_, .Lfunc_end2010-_ZN7rocprim17ROCPRIM_400000_NS6detail17trampoline_kernelINS0_14default_configENS1_38merge_sort_block_merge_config_selectorIN3c108BFloat16ElEEZZNS1_27merge_sort_block_merge_implIS3_PS6_N6thrust23THRUST_200600_302600_NS10device_ptrIlEEmNSB_4lessIS6_EEEE10hipError_tT0_T1_T2_jT3_P12ihipStream_tbPNSt15iterator_traitsISH_E10value_typeEPNSN_ISI_E10value_typeEPSJ_NS1_7vsmem_tEENKUlT_SH_SI_SJ_E_clIS9_S9_SD_PlEESG_SW_SH_SI_SJ_EUlSW_E0_NS1_11comp_targetILNS1_3genE0ELNS1_11target_archE4294967295ELNS1_3gpuE0ELNS1_3repE0EEENS1_38merge_mergepath_config_static_selectorELNS0_4arch9wavefront6targetE1EEEvSI_
                                        ; -- End function
	.set _ZN7rocprim17ROCPRIM_400000_NS6detail17trampoline_kernelINS0_14default_configENS1_38merge_sort_block_merge_config_selectorIN3c108BFloat16ElEEZZNS1_27merge_sort_block_merge_implIS3_PS6_N6thrust23THRUST_200600_302600_NS10device_ptrIlEEmNSB_4lessIS6_EEEE10hipError_tT0_T1_T2_jT3_P12ihipStream_tbPNSt15iterator_traitsISH_E10value_typeEPNSN_ISI_E10value_typeEPSJ_NS1_7vsmem_tEENKUlT_SH_SI_SJ_E_clIS9_S9_SD_PlEESG_SW_SH_SI_SJ_EUlSW_E0_NS1_11comp_targetILNS1_3genE0ELNS1_11target_archE4294967295ELNS1_3gpuE0ELNS1_3repE0EEENS1_38merge_mergepath_config_static_selectorELNS0_4arch9wavefront6targetE1EEEvSI_.num_vgpr, 0
	.set _ZN7rocprim17ROCPRIM_400000_NS6detail17trampoline_kernelINS0_14default_configENS1_38merge_sort_block_merge_config_selectorIN3c108BFloat16ElEEZZNS1_27merge_sort_block_merge_implIS3_PS6_N6thrust23THRUST_200600_302600_NS10device_ptrIlEEmNSB_4lessIS6_EEEE10hipError_tT0_T1_T2_jT3_P12ihipStream_tbPNSt15iterator_traitsISH_E10value_typeEPNSN_ISI_E10value_typeEPSJ_NS1_7vsmem_tEENKUlT_SH_SI_SJ_E_clIS9_S9_SD_PlEESG_SW_SH_SI_SJ_EUlSW_E0_NS1_11comp_targetILNS1_3genE0ELNS1_11target_archE4294967295ELNS1_3gpuE0ELNS1_3repE0EEENS1_38merge_mergepath_config_static_selectorELNS0_4arch9wavefront6targetE1EEEvSI_.num_agpr, 0
	.set _ZN7rocprim17ROCPRIM_400000_NS6detail17trampoline_kernelINS0_14default_configENS1_38merge_sort_block_merge_config_selectorIN3c108BFloat16ElEEZZNS1_27merge_sort_block_merge_implIS3_PS6_N6thrust23THRUST_200600_302600_NS10device_ptrIlEEmNSB_4lessIS6_EEEE10hipError_tT0_T1_T2_jT3_P12ihipStream_tbPNSt15iterator_traitsISH_E10value_typeEPNSN_ISI_E10value_typeEPSJ_NS1_7vsmem_tEENKUlT_SH_SI_SJ_E_clIS9_S9_SD_PlEESG_SW_SH_SI_SJ_EUlSW_E0_NS1_11comp_targetILNS1_3genE0ELNS1_11target_archE4294967295ELNS1_3gpuE0ELNS1_3repE0EEENS1_38merge_mergepath_config_static_selectorELNS0_4arch9wavefront6targetE1EEEvSI_.numbered_sgpr, 0
	.set _ZN7rocprim17ROCPRIM_400000_NS6detail17trampoline_kernelINS0_14default_configENS1_38merge_sort_block_merge_config_selectorIN3c108BFloat16ElEEZZNS1_27merge_sort_block_merge_implIS3_PS6_N6thrust23THRUST_200600_302600_NS10device_ptrIlEEmNSB_4lessIS6_EEEE10hipError_tT0_T1_T2_jT3_P12ihipStream_tbPNSt15iterator_traitsISH_E10value_typeEPNSN_ISI_E10value_typeEPSJ_NS1_7vsmem_tEENKUlT_SH_SI_SJ_E_clIS9_S9_SD_PlEESG_SW_SH_SI_SJ_EUlSW_E0_NS1_11comp_targetILNS1_3genE0ELNS1_11target_archE4294967295ELNS1_3gpuE0ELNS1_3repE0EEENS1_38merge_mergepath_config_static_selectorELNS0_4arch9wavefront6targetE1EEEvSI_.num_named_barrier, 0
	.set _ZN7rocprim17ROCPRIM_400000_NS6detail17trampoline_kernelINS0_14default_configENS1_38merge_sort_block_merge_config_selectorIN3c108BFloat16ElEEZZNS1_27merge_sort_block_merge_implIS3_PS6_N6thrust23THRUST_200600_302600_NS10device_ptrIlEEmNSB_4lessIS6_EEEE10hipError_tT0_T1_T2_jT3_P12ihipStream_tbPNSt15iterator_traitsISH_E10value_typeEPNSN_ISI_E10value_typeEPSJ_NS1_7vsmem_tEENKUlT_SH_SI_SJ_E_clIS9_S9_SD_PlEESG_SW_SH_SI_SJ_EUlSW_E0_NS1_11comp_targetILNS1_3genE0ELNS1_11target_archE4294967295ELNS1_3gpuE0ELNS1_3repE0EEENS1_38merge_mergepath_config_static_selectorELNS0_4arch9wavefront6targetE1EEEvSI_.private_seg_size, 0
	.set _ZN7rocprim17ROCPRIM_400000_NS6detail17trampoline_kernelINS0_14default_configENS1_38merge_sort_block_merge_config_selectorIN3c108BFloat16ElEEZZNS1_27merge_sort_block_merge_implIS3_PS6_N6thrust23THRUST_200600_302600_NS10device_ptrIlEEmNSB_4lessIS6_EEEE10hipError_tT0_T1_T2_jT3_P12ihipStream_tbPNSt15iterator_traitsISH_E10value_typeEPNSN_ISI_E10value_typeEPSJ_NS1_7vsmem_tEENKUlT_SH_SI_SJ_E_clIS9_S9_SD_PlEESG_SW_SH_SI_SJ_EUlSW_E0_NS1_11comp_targetILNS1_3genE0ELNS1_11target_archE4294967295ELNS1_3gpuE0ELNS1_3repE0EEENS1_38merge_mergepath_config_static_selectorELNS0_4arch9wavefront6targetE1EEEvSI_.uses_vcc, 0
	.set _ZN7rocprim17ROCPRIM_400000_NS6detail17trampoline_kernelINS0_14default_configENS1_38merge_sort_block_merge_config_selectorIN3c108BFloat16ElEEZZNS1_27merge_sort_block_merge_implIS3_PS6_N6thrust23THRUST_200600_302600_NS10device_ptrIlEEmNSB_4lessIS6_EEEE10hipError_tT0_T1_T2_jT3_P12ihipStream_tbPNSt15iterator_traitsISH_E10value_typeEPNSN_ISI_E10value_typeEPSJ_NS1_7vsmem_tEENKUlT_SH_SI_SJ_E_clIS9_S9_SD_PlEESG_SW_SH_SI_SJ_EUlSW_E0_NS1_11comp_targetILNS1_3genE0ELNS1_11target_archE4294967295ELNS1_3gpuE0ELNS1_3repE0EEENS1_38merge_mergepath_config_static_selectorELNS0_4arch9wavefront6targetE1EEEvSI_.uses_flat_scratch, 0
	.set _ZN7rocprim17ROCPRIM_400000_NS6detail17trampoline_kernelINS0_14default_configENS1_38merge_sort_block_merge_config_selectorIN3c108BFloat16ElEEZZNS1_27merge_sort_block_merge_implIS3_PS6_N6thrust23THRUST_200600_302600_NS10device_ptrIlEEmNSB_4lessIS6_EEEE10hipError_tT0_T1_T2_jT3_P12ihipStream_tbPNSt15iterator_traitsISH_E10value_typeEPNSN_ISI_E10value_typeEPSJ_NS1_7vsmem_tEENKUlT_SH_SI_SJ_E_clIS9_S9_SD_PlEESG_SW_SH_SI_SJ_EUlSW_E0_NS1_11comp_targetILNS1_3genE0ELNS1_11target_archE4294967295ELNS1_3gpuE0ELNS1_3repE0EEENS1_38merge_mergepath_config_static_selectorELNS0_4arch9wavefront6targetE1EEEvSI_.has_dyn_sized_stack, 0
	.set _ZN7rocprim17ROCPRIM_400000_NS6detail17trampoline_kernelINS0_14default_configENS1_38merge_sort_block_merge_config_selectorIN3c108BFloat16ElEEZZNS1_27merge_sort_block_merge_implIS3_PS6_N6thrust23THRUST_200600_302600_NS10device_ptrIlEEmNSB_4lessIS6_EEEE10hipError_tT0_T1_T2_jT3_P12ihipStream_tbPNSt15iterator_traitsISH_E10value_typeEPNSN_ISI_E10value_typeEPSJ_NS1_7vsmem_tEENKUlT_SH_SI_SJ_E_clIS9_S9_SD_PlEESG_SW_SH_SI_SJ_EUlSW_E0_NS1_11comp_targetILNS1_3genE0ELNS1_11target_archE4294967295ELNS1_3gpuE0ELNS1_3repE0EEENS1_38merge_mergepath_config_static_selectorELNS0_4arch9wavefront6targetE1EEEvSI_.has_recursion, 0
	.set _ZN7rocprim17ROCPRIM_400000_NS6detail17trampoline_kernelINS0_14default_configENS1_38merge_sort_block_merge_config_selectorIN3c108BFloat16ElEEZZNS1_27merge_sort_block_merge_implIS3_PS6_N6thrust23THRUST_200600_302600_NS10device_ptrIlEEmNSB_4lessIS6_EEEE10hipError_tT0_T1_T2_jT3_P12ihipStream_tbPNSt15iterator_traitsISH_E10value_typeEPNSN_ISI_E10value_typeEPSJ_NS1_7vsmem_tEENKUlT_SH_SI_SJ_E_clIS9_S9_SD_PlEESG_SW_SH_SI_SJ_EUlSW_E0_NS1_11comp_targetILNS1_3genE0ELNS1_11target_archE4294967295ELNS1_3gpuE0ELNS1_3repE0EEENS1_38merge_mergepath_config_static_selectorELNS0_4arch9wavefront6targetE1EEEvSI_.has_indirect_call, 0
	.section	.AMDGPU.csdata,"",@progbits
; Kernel info:
; codeLenInByte = 0
; TotalNumSgprs: 4
; NumVgprs: 0
; ScratchSize: 0
; MemoryBound: 0
; FloatMode: 240
; IeeeMode: 1
; LDSByteSize: 0 bytes/workgroup (compile time only)
; SGPRBlocks: 0
; VGPRBlocks: 0
; NumSGPRsForWavesPerEU: 4
; NumVGPRsForWavesPerEU: 1
; Occupancy: 10
; WaveLimiterHint : 0
; COMPUTE_PGM_RSRC2:SCRATCH_EN: 0
; COMPUTE_PGM_RSRC2:USER_SGPR: 6
; COMPUTE_PGM_RSRC2:TRAP_HANDLER: 0
; COMPUTE_PGM_RSRC2:TGID_X_EN: 1
; COMPUTE_PGM_RSRC2:TGID_Y_EN: 0
; COMPUTE_PGM_RSRC2:TGID_Z_EN: 0
; COMPUTE_PGM_RSRC2:TIDIG_COMP_CNT: 0
	.section	.text._ZN7rocprim17ROCPRIM_400000_NS6detail17trampoline_kernelINS0_14default_configENS1_38merge_sort_block_merge_config_selectorIN3c108BFloat16ElEEZZNS1_27merge_sort_block_merge_implIS3_PS6_N6thrust23THRUST_200600_302600_NS10device_ptrIlEEmNSB_4lessIS6_EEEE10hipError_tT0_T1_T2_jT3_P12ihipStream_tbPNSt15iterator_traitsISH_E10value_typeEPNSN_ISI_E10value_typeEPSJ_NS1_7vsmem_tEENKUlT_SH_SI_SJ_E_clIS9_S9_SD_PlEESG_SW_SH_SI_SJ_EUlSW_E0_NS1_11comp_targetILNS1_3genE10ELNS1_11target_archE1201ELNS1_3gpuE5ELNS1_3repE0EEENS1_38merge_mergepath_config_static_selectorELNS0_4arch9wavefront6targetE1EEEvSI_,"axG",@progbits,_ZN7rocprim17ROCPRIM_400000_NS6detail17trampoline_kernelINS0_14default_configENS1_38merge_sort_block_merge_config_selectorIN3c108BFloat16ElEEZZNS1_27merge_sort_block_merge_implIS3_PS6_N6thrust23THRUST_200600_302600_NS10device_ptrIlEEmNSB_4lessIS6_EEEE10hipError_tT0_T1_T2_jT3_P12ihipStream_tbPNSt15iterator_traitsISH_E10value_typeEPNSN_ISI_E10value_typeEPSJ_NS1_7vsmem_tEENKUlT_SH_SI_SJ_E_clIS9_S9_SD_PlEESG_SW_SH_SI_SJ_EUlSW_E0_NS1_11comp_targetILNS1_3genE10ELNS1_11target_archE1201ELNS1_3gpuE5ELNS1_3repE0EEENS1_38merge_mergepath_config_static_selectorELNS0_4arch9wavefront6targetE1EEEvSI_,comdat
	.protected	_ZN7rocprim17ROCPRIM_400000_NS6detail17trampoline_kernelINS0_14default_configENS1_38merge_sort_block_merge_config_selectorIN3c108BFloat16ElEEZZNS1_27merge_sort_block_merge_implIS3_PS6_N6thrust23THRUST_200600_302600_NS10device_ptrIlEEmNSB_4lessIS6_EEEE10hipError_tT0_T1_T2_jT3_P12ihipStream_tbPNSt15iterator_traitsISH_E10value_typeEPNSN_ISI_E10value_typeEPSJ_NS1_7vsmem_tEENKUlT_SH_SI_SJ_E_clIS9_S9_SD_PlEESG_SW_SH_SI_SJ_EUlSW_E0_NS1_11comp_targetILNS1_3genE10ELNS1_11target_archE1201ELNS1_3gpuE5ELNS1_3repE0EEENS1_38merge_mergepath_config_static_selectorELNS0_4arch9wavefront6targetE1EEEvSI_ ; -- Begin function _ZN7rocprim17ROCPRIM_400000_NS6detail17trampoline_kernelINS0_14default_configENS1_38merge_sort_block_merge_config_selectorIN3c108BFloat16ElEEZZNS1_27merge_sort_block_merge_implIS3_PS6_N6thrust23THRUST_200600_302600_NS10device_ptrIlEEmNSB_4lessIS6_EEEE10hipError_tT0_T1_T2_jT3_P12ihipStream_tbPNSt15iterator_traitsISH_E10value_typeEPNSN_ISI_E10value_typeEPSJ_NS1_7vsmem_tEENKUlT_SH_SI_SJ_E_clIS9_S9_SD_PlEESG_SW_SH_SI_SJ_EUlSW_E0_NS1_11comp_targetILNS1_3genE10ELNS1_11target_archE1201ELNS1_3gpuE5ELNS1_3repE0EEENS1_38merge_mergepath_config_static_selectorELNS0_4arch9wavefront6targetE1EEEvSI_
	.globl	_ZN7rocprim17ROCPRIM_400000_NS6detail17trampoline_kernelINS0_14default_configENS1_38merge_sort_block_merge_config_selectorIN3c108BFloat16ElEEZZNS1_27merge_sort_block_merge_implIS3_PS6_N6thrust23THRUST_200600_302600_NS10device_ptrIlEEmNSB_4lessIS6_EEEE10hipError_tT0_T1_T2_jT3_P12ihipStream_tbPNSt15iterator_traitsISH_E10value_typeEPNSN_ISI_E10value_typeEPSJ_NS1_7vsmem_tEENKUlT_SH_SI_SJ_E_clIS9_S9_SD_PlEESG_SW_SH_SI_SJ_EUlSW_E0_NS1_11comp_targetILNS1_3genE10ELNS1_11target_archE1201ELNS1_3gpuE5ELNS1_3repE0EEENS1_38merge_mergepath_config_static_selectorELNS0_4arch9wavefront6targetE1EEEvSI_
	.p2align	8
	.type	_ZN7rocprim17ROCPRIM_400000_NS6detail17trampoline_kernelINS0_14default_configENS1_38merge_sort_block_merge_config_selectorIN3c108BFloat16ElEEZZNS1_27merge_sort_block_merge_implIS3_PS6_N6thrust23THRUST_200600_302600_NS10device_ptrIlEEmNSB_4lessIS6_EEEE10hipError_tT0_T1_T2_jT3_P12ihipStream_tbPNSt15iterator_traitsISH_E10value_typeEPNSN_ISI_E10value_typeEPSJ_NS1_7vsmem_tEENKUlT_SH_SI_SJ_E_clIS9_S9_SD_PlEESG_SW_SH_SI_SJ_EUlSW_E0_NS1_11comp_targetILNS1_3genE10ELNS1_11target_archE1201ELNS1_3gpuE5ELNS1_3repE0EEENS1_38merge_mergepath_config_static_selectorELNS0_4arch9wavefront6targetE1EEEvSI_,@function
_ZN7rocprim17ROCPRIM_400000_NS6detail17trampoline_kernelINS0_14default_configENS1_38merge_sort_block_merge_config_selectorIN3c108BFloat16ElEEZZNS1_27merge_sort_block_merge_implIS3_PS6_N6thrust23THRUST_200600_302600_NS10device_ptrIlEEmNSB_4lessIS6_EEEE10hipError_tT0_T1_T2_jT3_P12ihipStream_tbPNSt15iterator_traitsISH_E10value_typeEPNSN_ISI_E10value_typeEPSJ_NS1_7vsmem_tEENKUlT_SH_SI_SJ_E_clIS9_S9_SD_PlEESG_SW_SH_SI_SJ_EUlSW_E0_NS1_11comp_targetILNS1_3genE10ELNS1_11target_archE1201ELNS1_3gpuE5ELNS1_3repE0EEENS1_38merge_mergepath_config_static_selectorELNS0_4arch9wavefront6targetE1EEEvSI_: ; @_ZN7rocprim17ROCPRIM_400000_NS6detail17trampoline_kernelINS0_14default_configENS1_38merge_sort_block_merge_config_selectorIN3c108BFloat16ElEEZZNS1_27merge_sort_block_merge_implIS3_PS6_N6thrust23THRUST_200600_302600_NS10device_ptrIlEEmNSB_4lessIS6_EEEE10hipError_tT0_T1_T2_jT3_P12ihipStream_tbPNSt15iterator_traitsISH_E10value_typeEPNSN_ISI_E10value_typeEPSJ_NS1_7vsmem_tEENKUlT_SH_SI_SJ_E_clIS9_S9_SD_PlEESG_SW_SH_SI_SJ_EUlSW_E0_NS1_11comp_targetILNS1_3genE10ELNS1_11target_archE1201ELNS1_3gpuE5ELNS1_3repE0EEENS1_38merge_mergepath_config_static_selectorELNS0_4arch9wavefront6targetE1EEEvSI_
; %bb.0:
	.section	.rodata,"a",@progbits
	.p2align	6, 0x0
	.amdhsa_kernel _ZN7rocprim17ROCPRIM_400000_NS6detail17trampoline_kernelINS0_14default_configENS1_38merge_sort_block_merge_config_selectorIN3c108BFloat16ElEEZZNS1_27merge_sort_block_merge_implIS3_PS6_N6thrust23THRUST_200600_302600_NS10device_ptrIlEEmNSB_4lessIS6_EEEE10hipError_tT0_T1_T2_jT3_P12ihipStream_tbPNSt15iterator_traitsISH_E10value_typeEPNSN_ISI_E10value_typeEPSJ_NS1_7vsmem_tEENKUlT_SH_SI_SJ_E_clIS9_S9_SD_PlEESG_SW_SH_SI_SJ_EUlSW_E0_NS1_11comp_targetILNS1_3genE10ELNS1_11target_archE1201ELNS1_3gpuE5ELNS1_3repE0EEENS1_38merge_mergepath_config_static_selectorELNS0_4arch9wavefront6targetE1EEEvSI_
		.amdhsa_group_segment_fixed_size 0
		.amdhsa_private_segment_fixed_size 0
		.amdhsa_kernarg_size 72
		.amdhsa_user_sgpr_count 6
		.amdhsa_user_sgpr_private_segment_buffer 1
		.amdhsa_user_sgpr_dispatch_ptr 0
		.amdhsa_user_sgpr_queue_ptr 0
		.amdhsa_user_sgpr_kernarg_segment_ptr 1
		.amdhsa_user_sgpr_dispatch_id 0
		.amdhsa_user_sgpr_flat_scratch_init 0
		.amdhsa_user_sgpr_private_segment_size 0
		.amdhsa_uses_dynamic_stack 0
		.amdhsa_system_sgpr_private_segment_wavefront_offset 0
		.amdhsa_system_sgpr_workgroup_id_x 1
		.amdhsa_system_sgpr_workgroup_id_y 0
		.amdhsa_system_sgpr_workgroup_id_z 0
		.amdhsa_system_sgpr_workgroup_info 0
		.amdhsa_system_vgpr_workitem_id 0
		.amdhsa_next_free_vgpr 1
		.amdhsa_next_free_sgpr 0
		.amdhsa_reserve_vcc 0
		.amdhsa_reserve_flat_scratch 0
		.amdhsa_float_round_mode_32 0
		.amdhsa_float_round_mode_16_64 0
		.amdhsa_float_denorm_mode_32 3
		.amdhsa_float_denorm_mode_16_64 3
		.amdhsa_dx10_clamp 1
		.amdhsa_ieee_mode 1
		.amdhsa_fp16_overflow 0
		.amdhsa_exception_fp_ieee_invalid_op 0
		.amdhsa_exception_fp_denorm_src 0
		.amdhsa_exception_fp_ieee_div_zero 0
		.amdhsa_exception_fp_ieee_overflow 0
		.amdhsa_exception_fp_ieee_underflow 0
		.amdhsa_exception_fp_ieee_inexact 0
		.amdhsa_exception_int_div_zero 0
	.end_amdhsa_kernel
	.section	.text._ZN7rocprim17ROCPRIM_400000_NS6detail17trampoline_kernelINS0_14default_configENS1_38merge_sort_block_merge_config_selectorIN3c108BFloat16ElEEZZNS1_27merge_sort_block_merge_implIS3_PS6_N6thrust23THRUST_200600_302600_NS10device_ptrIlEEmNSB_4lessIS6_EEEE10hipError_tT0_T1_T2_jT3_P12ihipStream_tbPNSt15iterator_traitsISH_E10value_typeEPNSN_ISI_E10value_typeEPSJ_NS1_7vsmem_tEENKUlT_SH_SI_SJ_E_clIS9_S9_SD_PlEESG_SW_SH_SI_SJ_EUlSW_E0_NS1_11comp_targetILNS1_3genE10ELNS1_11target_archE1201ELNS1_3gpuE5ELNS1_3repE0EEENS1_38merge_mergepath_config_static_selectorELNS0_4arch9wavefront6targetE1EEEvSI_,"axG",@progbits,_ZN7rocprim17ROCPRIM_400000_NS6detail17trampoline_kernelINS0_14default_configENS1_38merge_sort_block_merge_config_selectorIN3c108BFloat16ElEEZZNS1_27merge_sort_block_merge_implIS3_PS6_N6thrust23THRUST_200600_302600_NS10device_ptrIlEEmNSB_4lessIS6_EEEE10hipError_tT0_T1_T2_jT3_P12ihipStream_tbPNSt15iterator_traitsISH_E10value_typeEPNSN_ISI_E10value_typeEPSJ_NS1_7vsmem_tEENKUlT_SH_SI_SJ_E_clIS9_S9_SD_PlEESG_SW_SH_SI_SJ_EUlSW_E0_NS1_11comp_targetILNS1_3genE10ELNS1_11target_archE1201ELNS1_3gpuE5ELNS1_3repE0EEENS1_38merge_mergepath_config_static_selectorELNS0_4arch9wavefront6targetE1EEEvSI_,comdat
.Lfunc_end2011:
	.size	_ZN7rocprim17ROCPRIM_400000_NS6detail17trampoline_kernelINS0_14default_configENS1_38merge_sort_block_merge_config_selectorIN3c108BFloat16ElEEZZNS1_27merge_sort_block_merge_implIS3_PS6_N6thrust23THRUST_200600_302600_NS10device_ptrIlEEmNSB_4lessIS6_EEEE10hipError_tT0_T1_T2_jT3_P12ihipStream_tbPNSt15iterator_traitsISH_E10value_typeEPNSN_ISI_E10value_typeEPSJ_NS1_7vsmem_tEENKUlT_SH_SI_SJ_E_clIS9_S9_SD_PlEESG_SW_SH_SI_SJ_EUlSW_E0_NS1_11comp_targetILNS1_3genE10ELNS1_11target_archE1201ELNS1_3gpuE5ELNS1_3repE0EEENS1_38merge_mergepath_config_static_selectorELNS0_4arch9wavefront6targetE1EEEvSI_, .Lfunc_end2011-_ZN7rocprim17ROCPRIM_400000_NS6detail17trampoline_kernelINS0_14default_configENS1_38merge_sort_block_merge_config_selectorIN3c108BFloat16ElEEZZNS1_27merge_sort_block_merge_implIS3_PS6_N6thrust23THRUST_200600_302600_NS10device_ptrIlEEmNSB_4lessIS6_EEEE10hipError_tT0_T1_T2_jT3_P12ihipStream_tbPNSt15iterator_traitsISH_E10value_typeEPNSN_ISI_E10value_typeEPSJ_NS1_7vsmem_tEENKUlT_SH_SI_SJ_E_clIS9_S9_SD_PlEESG_SW_SH_SI_SJ_EUlSW_E0_NS1_11comp_targetILNS1_3genE10ELNS1_11target_archE1201ELNS1_3gpuE5ELNS1_3repE0EEENS1_38merge_mergepath_config_static_selectorELNS0_4arch9wavefront6targetE1EEEvSI_
                                        ; -- End function
	.set _ZN7rocprim17ROCPRIM_400000_NS6detail17trampoline_kernelINS0_14default_configENS1_38merge_sort_block_merge_config_selectorIN3c108BFloat16ElEEZZNS1_27merge_sort_block_merge_implIS3_PS6_N6thrust23THRUST_200600_302600_NS10device_ptrIlEEmNSB_4lessIS6_EEEE10hipError_tT0_T1_T2_jT3_P12ihipStream_tbPNSt15iterator_traitsISH_E10value_typeEPNSN_ISI_E10value_typeEPSJ_NS1_7vsmem_tEENKUlT_SH_SI_SJ_E_clIS9_S9_SD_PlEESG_SW_SH_SI_SJ_EUlSW_E0_NS1_11comp_targetILNS1_3genE10ELNS1_11target_archE1201ELNS1_3gpuE5ELNS1_3repE0EEENS1_38merge_mergepath_config_static_selectorELNS0_4arch9wavefront6targetE1EEEvSI_.num_vgpr, 0
	.set _ZN7rocprim17ROCPRIM_400000_NS6detail17trampoline_kernelINS0_14default_configENS1_38merge_sort_block_merge_config_selectorIN3c108BFloat16ElEEZZNS1_27merge_sort_block_merge_implIS3_PS6_N6thrust23THRUST_200600_302600_NS10device_ptrIlEEmNSB_4lessIS6_EEEE10hipError_tT0_T1_T2_jT3_P12ihipStream_tbPNSt15iterator_traitsISH_E10value_typeEPNSN_ISI_E10value_typeEPSJ_NS1_7vsmem_tEENKUlT_SH_SI_SJ_E_clIS9_S9_SD_PlEESG_SW_SH_SI_SJ_EUlSW_E0_NS1_11comp_targetILNS1_3genE10ELNS1_11target_archE1201ELNS1_3gpuE5ELNS1_3repE0EEENS1_38merge_mergepath_config_static_selectorELNS0_4arch9wavefront6targetE1EEEvSI_.num_agpr, 0
	.set _ZN7rocprim17ROCPRIM_400000_NS6detail17trampoline_kernelINS0_14default_configENS1_38merge_sort_block_merge_config_selectorIN3c108BFloat16ElEEZZNS1_27merge_sort_block_merge_implIS3_PS6_N6thrust23THRUST_200600_302600_NS10device_ptrIlEEmNSB_4lessIS6_EEEE10hipError_tT0_T1_T2_jT3_P12ihipStream_tbPNSt15iterator_traitsISH_E10value_typeEPNSN_ISI_E10value_typeEPSJ_NS1_7vsmem_tEENKUlT_SH_SI_SJ_E_clIS9_S9_SD_PlEESG_SW_SH_SI_SJ_EUlSW_E0_NS1_11comp_targetILNS1_3genE10ELNS1_11target_archE1201ELNS1_3gpuE5ELNS1_3repE0EEENS1_38merge_mergepath_config_static_selectorELNS0_4arch9wavefront6targetE1EEEvSI_.numbered_sgpr, 0
	.set _ZN7rocprim17ROCPRIM_400000_NS6detail17trampoline_kernelINS0_14default_configENS1_38merge_sort_block_merge_config_selectorIN3c108BFloat16ElEEZZNS1_27merge_sort_block_merge_implIS3_PS6_N6thrust23THRUST_200600_302600_NS10device_ptrIlEEmNSB_4lessIS6_EEEE10hipError_tT0_T1_T2_jT3_P12ihipStream_tbPNSt15iterator_traitsISH_E10value_typeEPNSN_ISI_E10value_typeEPSJ_NS1_7vsmem_tEENKUlT_SH_SI_SJ_E_clIS9_S9_SD_PlEESG_SW_SH_SI_SJ_EUlSW_E0_NS1_11comp_targetILNS1_3genE10ELNS1_11target_archE1201ELNS1_3gpuE5ELNS1_3repE0EEENS1_38merge_mergepath_config_static_selectorELNS0_4arch9wavefront6targetE1EEEvSI_.num_named_barrier, 0
	.set _ZN7rocprim17ROCPRIM_400000_NS6detail17trampoline_kernelINS0_14default_configENS1_38merge_sort_block_merge_config_selectorIN3c108BFloat16ElEEZZNS1_27merge_sort_block_merge_implIS3_PS6_N6thrust23THRUST_200600_302600_NS10device_ptrIlEEmNSB_4lessIS6_EEEE10hipError_tT0_T1_T2_jT3_P12ihipStream_tbPNSt15iterator_traitsISH_E10value_typeEPNSN_ISI_E10value_typeEPSJ_NS1_7vsmem_tEENKUlT_SH_SI_SJ_E_clIS9_S9_SD_PlEESG_SW_SH_SI_SJ_EUlSW_E0_NS1_11comp_targetILNS1_3genE10ELNS1_11target_archE1201ELNS1_3gpuE5ELNS1_3repE0EEENS1_38merge_mergepath_config_static_selectorELNS0_4arch9wavefront6targetE1EEEvSI_.private_seg_size, 0
	.set _ZN7rocprim17ROCPRIM_400000_NS6detail17trampoline_kernelINS0_14default_configENS1_38merge_sort_block_merge_config_selectorIN3c108BFloat16ElEEZZNS1_27merge_sort_block_merge_implIS3_PS6_N6thrust23THRUST_200600_302600_NS10device_ptrIlEEmNSB_4lessIS6_EEEE10hipError_tT0_T1_T2_jT3_P12ihipStream_tbPNSt15iterator_traitsISH_E10value_typeEPNSN_ISI_E10value_typeEPSJ_NS1_7vsmem_tEENKUlT_SH_SI_SJ_E_clIS9_S9_SD_PlEESG_SW_SH_SI_SJ_EUlSW_E0_NS1_11comp_targetILNS1_3genE10ELNS1_11target_archE1201ELNS1_3gpuE5ELNS1_3repE0EEENS1_38merge_mergepath_config_static_selectorELNS0_4arch9wavefront6targetE1EEEvSI_.uses_vcc, 0
	.set _ZN7rocprim17ROCPRIM_400000_NS6detail17trampoline_kernelINS0_14default_configENS1_38merge_sort_block_merge_config_selectorIN3c108BFloat16ElEEZZNS1_27merge_sort_block_merge_implIS3_PS6_N6thrust23THRUST_200600_302600_NS10device_ptrIlEEmNSB_4lessIS6_EEEE10hipError_tT0_T1_T2_jT3_P12ihipStream_tbPNSt15iterator_traitsISH_E10value_typeEPNSN_ISI_E10value_typeEPSJ_NS1_7vsmem_tEENKUlT_SH_SI_SJ_E_clIS9_S9_SD_PlEESG_SW_SH_SI_SJ_EUlSW_E0_NS1_11comp_targetILNS1_3genE10ELNS1_11target_archE1201ELNS1_3gpuE5ELNS1_3repE0EEENS1_38merge_mergepath_config_static_selectorELNS0_4arch9wavefront6targetE1EEEvSI_.uses_flat_scratch, 0
	.set _ZN7rocprim17ROCPRIM_400000_NS6detail17trampoline_kernelINS0_14default_configENS1_38merge_sort_block_merge_config_selectorIN3c108BFloat16ElEEZZNS1_27merge_sort_block_merge_implIS3_PS6_N6thrust23THRUST_200600_302600_NS10device_ptrIlEEmNSB_4lessIS6_EEEE10hipError_tT0_T1_T2_jT3_P12ihipStream_tbPNSt15iterator_traitsISH_E10value_typeEPNSN_ISI_E10value_typeEPSJ_NS1_7vsmem_tEENKUlT_SH_SI_SJ_E_clIS9_S9_SD_PlEESG_SW_SH_SI_SJ_EUlSW_E0_NS1_11comp_targetILNS1_3genE10ELNS1_11target_archE1201ELNS1_3gpuE5ELNS1_3repE0EEENS1_38merge_mergepath_config_static_selectorELNS0_4arch9wavefront6targetE1EEEvSI_.has_dyn_sized_stack, 0
	.set _ZN7rocprim17ROCPRIM_400000_NS6detail17trampoline_kernelINS0_14default_configENS1_38merge_sort_block_merge_config_selectorIN3c108BFloat16ElEEZZNS1_27merge_sort_block_merge_implIS3_PS6_N6thrust23THRUST_200600_302600_NS10device_ptrIlEEmNSB_4lessIS6_EEEE10hipError_tT0_T1_T2_jT3_P12ihipStream_tbPNSt15iterator_traitsISH_E10value_typeEPNSN_ISI_E10value_typeEPSJ_NS1_7vsmem_tEENKUlT_SH_SI_SJ_E_clIS9_S9_SD_PlEESG_SW_SH_SI_SJ_EUlSW_E0_NS1_11comp_targetILNS1_3genE10ELNS1_11target_archE1201ELNS1_3gpuE5ELNS1_3repE0EEENS1_38merge_mergepath_config_static_selectorELNS0_4arch9wavefront6targetE1EEEvSI_.has_recursion, 0
	.set _ZN7rocprim17ROCPRIM_400000_NS6detail17trampoline_kernelINS0_14default_configENS1_38merge_sort_block_merge_config_selectorIN3c108BFloat16ElEEZZNS1_27merge_sort_block_merge_implIS3_PS6_N6thrust23THRUST_200600_302600_NS10device_ptrIlEEmNSB_4lessIS6_EEEE10hipError_tT0_T1_T2_jT3_P12ihipStream_tbPNSt15iterator_traitsISH_E10value_typeEPNSN_ISI_E10value_typeEPSJ_NS1_7vsmem_tEENKUlT_SH_SI_SJ_E_clIS9_S9_SD_PlEESG_SW_SH_SI_SJ_EUlSW_E0_NS1_11comp_targetILNS1_3genE10ELNS1_11target_archE1201ELNS1_3gpuE5ELNS1_3repE0EEENS1_38merge_mergepath_config_static_selectorELNS0_4arch9wavefront6targetE1EEEvSI_.has_indirect_call, 0
	.section	.AMDGPU.csdata,"",@progbits
; Kernel info:
; codeLenInByte = 0
; TotalNumSgprs: 4
; NumVgprs: 0
; ScratchSize: 0
; MemoryBound: 0
; FloatMode: 240
; IeeeMode: 1
; LDSByteSize: 0 bytes/workgroup (compile time only)
; SGPRBlocks: 0
; VGPRBlocks: 0
; NumSGPRsForWavesPerEU: 4
; NumVGPRsForWavesPerEU: 1
; Occupancy: 10
; WaveLimiterHint : 0
; COMPUTE_PGM_RSRC2:SCRATCH_EN: 0
; COMPUTE_PGM_RSRC2:USER_SGPR: 6
; COMPUTE_PGM_RSRC2:TRAP_HANDLER: 0
; COMPUTE_PGM_RSRC2:TGID_X_EN: 1
; COMPUTE_PGM_RSRC2:TGID_Y_EN: 0
; COMPUTE_PGM_RSRC2:TGID_Z_EN: 0
; COMPUTE_PGM_RSRC2:TIDIG_COMP_CNT: 0
	.section	.text._ZN7rocprim17ROCPRIM_400000_NS6detail17trampoline_kernelINS0_14default_configENS1_38merge_sort_block_merge_config_selectorIN3c108BFloat16ElEEZZNS1_27merge_sort_block_merge_implIS3_PS6_N6thrust23THRUST_200600_302600_NS10device_ptrIlEEmNSB_4lessIS6_EEEE10hipError_tT0_T1_T2_jT3_P12ihipStream_tbPNSt15iterator_traitsISH_E10value_typeEPNSN_ISI_E10value_typeEPSJ_NS1_7vsmem_tEENKUlT_SH_SI_SJ_E_clIS9_S9_SD_PlEESG_SW_SH_SI_SJ_EUlSW_E0_NS1_11comp_targetILNS1_3genE5ELNS1_11target_archE942ELNS1_3gpuE9ELNS1_3repE0EEENS1_38merge_mergepath_config_static_selectorELNS0_4arch9wavefront6targetE1EEEvSI_,"axG",@progbits,_ZN7rocprim17ROCPRIM_400000_NS6detail17trampoline_kernelINS0_14default_configENS1_38merge_sort_block_merge_config_selectorIN3c108BFloat16ElEEZZNS1_27merge_sort_block_merge_implIS3_PS6_N6thrust23THRUST_200600_302600_NS10device_ptrIlEEmNSB_4lessIS6_EEEE10hipError_tT0_T1_T2_jT3_P12ihipStream_tbPNSt15iterator_traitsISH_E10value_typeEPNSN_ISI_E10value_typeEPSJ_NS1_7vsmem_tEENKUlT_SH_SI_SJ_E_clIS9_S9_SD_PlEESG_SW_SH_SI_SJ_EUlSW_E0_NS1_11comp_targetILNS1_3genE5ELNS1_11target_archE942ELNS1_3gpuE9ELNS1_3repE0EEENS1_38merge_mergepath_config_static_selectorELNS0_4arch9wavefront6targetE1EEEvSI_,comdat
	.protected	_ZN7rocprim17ROCPRIM_400000_NS6detail17trampoline_kernelINS0_14default_configENS1_38merge_sort_block_merge_config_selectorIN3c108BFloat16ElEEZZNS1_27merge_sort_block_merge_implIS3_PS6_N6thrust23THRUST_200600_302600_NS10device_ptrIlEEmNSB_4lessIS6_EEEE10hipError_tT0_T1_T2_jT3_P12ihipStream_tbPNSt15iterator_traitsISH_E10value_typeEPNSN_ISI_E10value_typeEPSJ_NS1_7vsmem_tEENKUlT_SH_SI_SJ_E_clIS9_S9_SD_PlEESG_SW_SH_SI_SJ_EUlSW_E0_NS1_11comp_targetILNS1_3genE5ELNS1_11target_archE942ELNS1_3gpuE9ELNS1_3repE0EEENS1_38merge_mergepath_config_static_selectorELNS0_4arch9wavefront6targetE1EEEvSI_ ; -- Begin function _ZN7rocprim17ROCPRIM_400000_NS6detail17trampoline_kernelINS0_14default_configENS1_38merge_sort_block_merge_config_selectorIN3c108BFloat16ElEEZZNS1_27merge_sort_block_merge_implIS3_PS6_N6thrust23THRUST_200600_302600_NS10device_ptrIlEEmNSB_4lessIS6_EEEE10hipError_tT0_T1_T2_jT3_P12ihipStream_tbPNSt15iterator_traitsISH_E10value_typeEPNSN_ISI_E10value_typeEPSJ_NS1_7vsmem_tEENKUlT_SH_SI_SJ_E_clIS9_S9_SD_PlEESG_SW_SH_SI_SJ_EUlSW_E0_NS1_11comp_targetILNS1_3genE5ELNS1_11target_archE942ELNS1_3gpuE9ELNS1_3repE0EEENS1_38merge_mergepath_config_static_selectorELNS0_4arch9wavefront6targetE1EEEvSI_
	.globl	_ZN7rocprim17ROCPRIM_400000_NS6detail17trampoline_kernelINS0_14default_configENS1_38merge_sort_block_merge_config_selectorIN3c108BFloat16ElEEZZNS1_27merge_sort_block_merge_implIS3_PS6_N6thrust23THRUST_200600_302600_NS10device_ptrIlEEmNSB_4lessIS6_EEEE10hipError_tT0_T1_T2_jT3_P12ihipStream_tbPNSt15iterator_traitsISH_E10value_typeEPNSN_ISI_E10value_typeEPSJ_NS1_7vsmem_tEENKUlT_SH_SI_SJ_E_clIS9_S9_SD_PlEESG_SW_SH_SI_SJ_EUlSW_E0_NS1_11comp_targetILNS1_3genE5ELNS1_11target_archE942ELNS1_3gpuE9ELNS1_3repE0EEENS1_38merge_mergepath_config_static_selectorELNS0_4arch9wavefront6targetE1EEEvSI_
	.p2align	8
	.type	_ZN7rocprim17ROCPRIM_400000_NS6detail17trampoline_kernelINS0_14default_configENS1_38merge_sort_block_merge_config_selectorIN3c108BFloat16ElEEZZNS1_27merge_sort_block_merge_implIS3_PS6_N6thrust23THRUST_200600_302600_NS10device_ptrIlEEmNSB_4lessIS6_EEEE10hipError_tT0_T1_T2_jT3_P12ihipStream_tbPNSt15iterator_traitsISH_E10value_typeEPNSN_ISI_E10value_typeEPSJ_NS1_7vsmem_tEENKUlT_SH_SI_SJ_E_clIS9_S9_SD_PlEESG_SW_SH_SI_SJ_EUlSW_E0_NS1_11comp_targetILNS1_3genE5ELNS1_11target_archE942ELNS1_3gpuE9ELNS1_3repE0EEENS1_38merge_mergepath_config_static_selectorELNS0_4arch9wavefront6targetE1EEEvSI_,@function
_ZN7rocprim17ROCPRIM_400000_NS6detail17trampoline_kernelINS0_14default_configENS1_38merge_sort_block_merge_config_selectorIN3c108BFloat16ElEEZZNS1_27merge_sort_block_merge_implIS3_PS6_N6thrust23THRUST_200600_302600_NS10device_ptrIlEEmNSB_4lessIS6_EEEE10hipError_tT0_T1_T2_jT3_P12ihipStream_tbPNSt15iterator_traitsISH_E10value_typeEPNSN_ISI_E10value_typeEPSJ_NS1_7vsmem_tEENKUlT_SH_SI_SJ_E_clIS9_S9_SD_PlEESG_SW_SH_SI_SJ_EUlSW_E0_NS1_11comp_targetILNS1_3genE5ELNS1_11target_archE942ELNS1_3gpuE9ELNS1_3repE0EEENS1_38merge_mergepath_config_static_selectorELNS0_4arch9wavefront6targetE1EEEvSI_: ; @_ZN7rocprim17ROCPRIM_400000_NS6detail17trampoline_kernelINS0_14default_configENS1_38merge_sort_block_merge_config_selectorIN3c108BFloat16ElEEZZNS1_27merge_sort_block_merge_implIS3_PS6_N6thrust23THRUST_200600_302600_NS10device_ptrIlEEmNSB_4lessIS6_EEEE10hipError_tT0_T1_T2_jT3_P12ihipStream_tbPNSt15iterator_traitsISH_E10value_typeEPNSN_ISI_E10value_typeEPSJ_NS1_7vsmem_tEENKUlT_SH_SI_SJ_E_clIS9_S9_SD_PlEESG_SW_SH_SI_SJ_EUlSW_E0_NS1_11comp_targetILNS1_3genE5ELNS1_11target_archE942ELNS1_3gpuE9ELNS1_3repE0EEENS1_38merge_mergepath_config_static_selectorELNS0_4arch9wavefront6targetE1EEEvSI_
; %bb.0:
	.section	.rodata,"a",@progbits
	.p2align	6, 0x0
	.amdhsa_kernel _ZN7rocprim17ROCPRIM_400000_NS6detail17trampoline_kernelINS0_14default_configENS1_38merge_sort_block_merge_config_selectorIN3c108BFloat16ElEEZZNS1_27merge_sort_block_merge_implIS3_PS6_N6thrust23THRUST_200600_302600_NS10device_ptrIlEEmNSB_4lessIS6_EEEE10hipError_tT0_T1_T2_jT3_P12ihipStream_tbPNSt15iterator_traitsISH_E10value_typeEPNSN_ISI_E10value_typeEPSJ_NS1_7vsmem_tEENKUlT_SH_SI_SJ_E_clIS9_S9_SD_PlEESG_SW_SH_SI_SJ_EUlSW_E0_NS1_11comp_targetILNS1_3genE5ELNS1_11target_archE942ELNS1_3gpuE9ELNS1_3repE0EEENS1_38merge_mergepath_config_static_selectorELNS0_4arch9wavefront6targetE1EEEvSI_
		.amdhsa_group_segment_fixed_size 0
		.amdhsa_private_segment_fixed_size 0
		.amdhsa_kernarg_size 72
		.amdhsa_user_sgpr_count 6
		.amdhsa_user_sgpr_private_segment_buffer 1
		.amdhsa_user_sgpr_dispatch_ptr 0
		.amdhsa_user_sgpr_queue_ptr 0
		.amdhsa_user_sgpr_kernarg_segment_ptr 1
		.amdhsa_user_sgpr_dispatch_id 0
		.amdhsa_user_sgpr_flat_scratch_init 0
		.amdhsa_user_sgpr_private_segment_size 0
		.amdhsa_uses_dynamic_stack 0
		.amdhsa_system_sgpr_private_segment_wavefront_offset 0
		.amdhsa_system_sgpr_workgroup_id_x 1
		.amdhsa_system_sgpr_workgroup_id_y 0
		.amdhsa_system_sgpr_workgroup_id_z 0
		.amdhsa_system_sgpr_workgroup_info 0
		.amdhsa_system_vgpr_workitem_id 0
		.amdhsa_next_free_vgpr 1
		.amdhsa_next_free_sgpr 0
		.amdhsa_reserve_vcc 0
		.amdhsa_reserve_flat_scratch 0
		.amdhsa_float_round_mode_32 0
		.amdhsa_float_round_mode_16_64 0
		.amdhsa_float_denorm_mode_32 3
		.amdhsa_float_denorm_mode_16_64 3
		.amdhsa_dx10_clamp 1
		.amdhsa_ieee_mode 1
		.amdhsa_fp16_overflow 0
		.amdhsa_exception_fp_ieee_invalid_op 0
		.amdhsa_exception_fp_denorm_src 0
		.amdhsa_exception_fp_ieee_div_zero 0
		.amdhsa_exception_fp_ieee_overflow 0
		.amdhsa_exception_fp_ieee_underflow 0
		.amdhsa_exception_fp_ieee_inexact 0
		.amdhsa_exception_int_div_zero 0
	.end_amdhsa_kernel
	.section	.text._ZN7rocprim17ROCPRIM_400000_NS6detail17trampoline_kernelINS0_14default_configENS1_38merge_sort_block_merge_config_selectorIN3c108BFloat16ElEEZZNS1_27merge_sort_block_merge_implIS3_PS6_N6thrust23THRUST_200600_302600_NS10device_ptrIlEEmNSB_4lessIS6_EEEE10hipError_tT0_T1_T2_jT3_P12ihipStream_tbPNSt15iterator_traitsISH_E10value_typeEPNSN_ISI_E10value_typeEPSJ_NS1_7vsmem_tEENKUlT_SH_SI_SJ_E_clIS9_S9_SD_PlEESG_SW_SH_SI_SJ_EUlSW_E0_NS1_11comp_targetILNS1_3genE5ELNS1_11target_archE942ELNS1_3gpuE9ELNS1_3repE0EEENS1_38merge_mergepath_config_static_selectorELNS0_4arch9wavefront6targetE1EEEvSI_,"axG",@progbits,_ZN7rocprim17ROCPRIM_400000_NS6detail17trampoline_kernelINS0_14default_configENS1_38merge_sort_block_merge_config_selectorIN3c108BFloat16ElEEZZNS1_27merge_sort_block_merge_implIS3_PS6_N6thrust23THRUST_200600_302600_NS10device_ptrIlEEmNSB_4lessIS6_EEEE10hipError_tT0_T1_T2_jT3_P12ihipStream_tbPNSt15iterator_traitsISH_E10value_typeEPNSN_ISI_E10value_typeEPSJ_NS1_7vsmem_tEENKUlT_SH_SI_SJ_E_clIS9_S9_SD_PlEESG_SW_SH_SI_SJ_EUlSW_E0_NS1_11comp_targetILNS1_3genE5ELNS1_11target_archE942ELNS1_3gpuE9ELNS1_3repE0EEENS1_38merge_mergepath_config_static_selectorELNS0_4arch9wavefront6targetE1EEEvSI_,comdat
.Lfunc_end2012:
	.size	_ZN7rocprim17ROCPRIM_400000_NS6detail17trampoline_kernelINS0_14default_configENS1_38merge_sort_block_merge_config_selectorIN3c108BFloat16ElEEZZNS1_27merge_sort_block_merge_implIS3_PS6_N6thrust23THRUST_200600_302600_NS10device_ptrIlEEmNSB_4lessIS6_EEEE10hipError_tT0_T1_T2_jT3_P12ihipStream_tbPNSt15iterator_traitsISH_E10value_typeEPNSN_ISI_E10value_typeEPSJ_NS1_7vsmem_tEENKUlT_SH_SI_SJ_E_clIS9_S9_SD_PlEESG_SW_SH_SI_SJ_EUlSW_E0_NS1_11comp_targetILNS1_3genE5ELNS1_11target_archE942ELNS1_3gpuE9ELNS1_3repE0EEENS1_38merge_mergepath_config_static_selectorELNS0_4arch9wavefront6targetE1EEEvSI_, .Lfunc_end2012-_ZN7rocprim17ROCPRIM_400000_NS6detail17trampoline_kernelINS0_14default_configENS1_38merge_sort_block_merge_config_selectorIN3c108BFloat16ElEEZZNS1_27merge_sort_block_merge_implIS3_PS6_N6thrust23THRUST_200600_302600_NS10device_ptrIlEEmNSB_4lessIS6_EEEE10hipError_tT0_T1_T2_jT3_P12ihipStream_tbPNSt15iterator_traitsISH_E10value_typeEPNSN_ISI_E10value_typeEPSJ_NS1_7vsmem_tEENKUlT_SH_SI_SJ_E_clIS9_S9_SD_PlEESG_SW_SH_SI_SJ_EUlSW_E0_NS1_11comp_targetILNS1_3genE5ELNS1_11target_archE942ELNS1_3gpuE9ELNS1_3repE0EEENS1_38merge_mergepath_config_static_selectorELNS0_4arch9wavefront6targetE1EEEvSI_
                                        ; -- End function
	.set _ZN7rocprim17ROCPRIM_400000_NS6detail17trampoline_kernelINS0_14default_configENS1_38merge_sort_block_merge_config_selectorIN3c108BFloat16ElEEZZNS1_27merge_sort_block_merge_implIS3_PS6_N6thrust23THRUST_200600_302600_NS10device_ptrIlEEmNSB_4lessIS6_EEEE10hipError_tT0_T1_T2_jT3_P12ihipStream_tbPNSt15iterator_traitsISH_E10value_typeEPNSN_ISI_E10value_typeEPSJ_NS1_7vsmem_tEENKUlT_SH_SI_SJ_E_clIS9_S9_SD_PlEESG_SW_SH_SI_SJ_EUlSW_E0_NS1_11comp_targetILNS1_3genE5ELNS1_11target_archE942ELNS1_3gpuE9ELNS1_3repE0EEENS1_38merge_mergepath_config_static_selectorELNS0_4arch9wavefront6targetE1EEEvSI_.num_vgpr, 0
	.set _ZN7rocprim17ROCPRIM_400000_NS6detail17trampoline_kernelINS0_14default_configENS1_38merge_sort_block_merge_config_selectorIN3c108BFloat16ElEEZZNS1_27merge_sort_block_merge_implIS3_PS6_N6thrust23THRUST_200600_302600_NS10device_ptrIlEEmNSB_4lessIS6_EEEE10hipError_tT0_T1_T2_jT3_P12ihipStream_tbPNSt15iterator_traitsISH_E10value_typeEPNSN_ISI_E10value_typeEPSJ_NS1_7vsmem_tEENKUlT_SH_SI_SJ_E_clIS9_S9_SD_PlEESG_SW_SH_SI_SJ_EUlSW_E0_NS1_11comp_targetILNS1_3genE5ELNS1_11target_archE942ELNS1_3gpuE9ELNS1_3repE0EEENS1_38merge_mergepath_config_static_selectorELNS0_4arch9wavefront6targetE1EEEvSI_.num_agpr, 0
	.set _ZN7rocprim17ROCPRIM_400000_NS6detail17trampoline_kernelINS0_14default_configENS1_38merge_sort_block_merge_config_selectorIN3c108BFloat16ElEEZZNS1_27merge_sort_block_merge_implIS3_PS6_N6thrust23THRUST_200600_302600_NS10device_ptrIlEEmNSB_4lessIS6_EEEE10hipError_tT0_T1_T2_jT3_P12ihipStream_tbPNSt15iterator_traitsISH_E10value_typeEPNSN_ISI_E10value_typeEPSJ_NS1_7vsmem_tEENKUlT_SH_SI_SJ_E_clIS9_S9_SD_PlEESG_SW_SH_SI_SJ_EUlSW_E0_NS1_11comp_targetILNS1_3genE5ELNS1_11target_archE942ELNS1_3gpuE9ELNS1_3repE0EEENS1_38merge_mergepath_config_static_selectorELNS0_4arch9wavefront6targetE1EEEvSI_.numbered_sgpr, 0
	.set _ZN7rocprim17ROCPRIM_400000_NS6detail17trampoline_kernelINS0_14default_configENS1_38merge_sort_block_merge_config_selectorIN3c108BFloat16ElEEZZNS1_27merge_sort_block_merge_implIS3_PS6_N6thrust23THRUST_200600_302600_NS10device_ptrIlEEmNSB_4lessIS6_EEEE10hipError_tT0_T1_T2_jT3_P12ihipStream_tbPNSt15iterator_traitsISH_E10value_typeEPNSN_ISI_E10value_typeEPSJ_NS1_7vsmem_tEENKUlT_SH_SI_SJ_E_clIS9_S9_SD_PlEESG_SW_SH_SI_SJ_EUlSW_E0_NS1_11comp_targetILNS1_3genE5ELNS1_11target_archE942ELNS1_3gpuE9ELNS1_3repE0EEENS1_38merge_mergepath_config_static_selectorELNS0_4arch9wavefront6targetE1EEEvSI_.num_named_barrier, 0
	.set _ZN7rocprim17ROCPRIM_400000_NS6detail17trampoline_kernelINS0_14default_configENS1_38merge_sort_block_merge_config_selectorIN3c108BFloat16ElEEZZNS1_27merge_sort_block_merge_implIS3_PS6_N6thrust23THRUST_200600_302600_NS10device_ptrIlEEmNSB_4lessIS6_EEEE10hipError_tT0_T1_T2_jT3_P12ihipStream_tbPNSt15iterator_traitsISH_E10value_typeEPNSN_ISI_E10value_typeEPSJ_NS1_7vsmem_tEENKUlT_SH_SI_SJ_E_clIS9_S9_SD_PlEESG_SW_SH_SI_SJ_EUlSW_E0_NS1_11comp_targetILNS1_3genE5ELNS1_11target_archE942ELNS1_3gpuE9ELNS1_3repE0EEENS1_38merge_mergepath_config_static_selectorELNS0_4arch9wavefront6targetE1EEEvSI_.private_seg_size, 0
	.set _ZN7rocprim17ROCPRIM_400000_NS6detail17trampoline_kernelINS0_14default_configENS1_38merge_sort_block_merge_config_selectorIN3c108BFloat16ElEEZZNS1_27merge_sort_block_merge_implIS3_PS6_N6thrust23THRUST_200600_302600_NS10device_ptrIlEEmNSB_4lessIS6_EEEE10hipError_tT0_T1_T2_jT3_P12ihipStream_tbPNSt15iterator_traitsISH_E10value_typeEPNSN_ISI_E10value_typeEPSJ_NS1_7vsmem_tEENKUlT_SH_SI_SJ_E_clIS9_S9_SD_PlEESG_SW_SH_SI_SJ_EUlSW_E0_NS1_11comp_targetILNS1_3genE5ELNS1_11target_archE942ELNS1_3gpuE9ELNS1_3repE0EEENS1_38merge_mergepath_config_static_selectorELNS0_4arch9wavefront6targetE1EEEvSI_.uses_vcc, 0
	.set _ZN7rocprim17ROCPRIM_400000_NS6detail17trampoline_kernelINS0_14default_configENS1_38merge_sort_block_merge_config_selectorIN3c108BFloat16ElEEZZNS1_27merge_sort_block_merge_implIS3_PS6_N6thrust23THRUST_200600_302600_NS10device_ptrIlEEmNSB_4lessIS6_EEEE10hipError_tT0_T1_T2_jT3_P12ihipStream_tbPNSt15iterator_traitsISH_E10value_typeEPNSN_ISI_E10value_typeEPSJ_NS1_7vsmem_tEENKUlT_SH_SI_SJ_E_clIS9_S9_SD_PlEESG_SW_SH_SI_SJ_EUlSW_E0_NS1_11comp_targetILNS1_3genE5ELNS1_11target_archE942ELNS1_3gpuE9ELNS1_3repE0EEENS1_38merge_mergepath_config_static_selectorELNS0_4arch9wavefront6targetE1EEEvSI_.uses_flat_scratch, 0
	.set _ZN7rocprim17ROCPRIM_400000_NS6detail17trampoline_kernelINS0_14default_configENS1_38merge_sort_block_merge_config_selectorIN3c108BFloat16ElEEZZNS1_27merge_sort_block_merge_implIS3_PS6_N6thrust23THRUST_200600_302600_NS10device_ptrIlEEmNSB_4lessIS6_EEEE10hipError_tT0_T1_T2_jT3_P12ihipStream_tbPNSt15iterator_traitsISH_E10value_typeEPNSN_ISI_E10value_typeEPSJ_NS1_7vsmem_tEENKUlT_SH_SI_SJ_E_clIS9_S9_SD_PlEESG_SW_SH_SI_SJ_EUlSW_E0_NS1_11comp_targetILNS1_3genE5ELNS1_11target_archE942ELNS1_3gpuE9ELNS1_3repE0EEENS1_38merge_mergepath_config_static_selectorELNS0_4arch9wavefront6targetE1EEEvSI_.has_dyn_sized_stack, 0
	.set _ZN7rocprim17ROCPRIM_400000_NS6detail17trampoline_kernelINS0_14default_configENS1_38merge_sort_block_merge_config_selectorIN3c108BFloat16ElEEZZNS1_27merge_sort_block_merge_implIS3_PS6_N6thrust23THRUST_200600_302600_NS10device_ptrIlEEmNSB_4lessIS6_EEEE10hipError_tT0_T1_T2_jT3_P12ihipStream_tbPNSt15iterator_traitsISH_E10value_typeEPNSN_ISI_E10value_typeEPSJ_NS1_7vsmem_tEENKUlT_SH_SI_SJ_E_clIS9_S9_SD_PlEESG_SW_SH_SI_SJ_EUlSW_E0_NS1_11comp_targetILNS1_3genE5ELNS1_11target_archE942ELNS1_3gpuE9ELNS1_3repE0EEENS1_38merge_mergepath_config_static_selectorELNS0_4arch9wavefront6targetE1EEEvSI_.has_recursion, 0
	.set _ZN7rocprim17ROCPRIM_400000_NS6detail17trampoline_kernelINS0_14default_configENS1_38merge_sort_block_merge_config_selectorIN3c108BFloat16ElEEZZNS1_27merge_sort_block_merge_implIS3_PS6_N6thrust23THRUST_200600_302600_NS10device_ptrIlEEmNSB_4lessIS6_EEEE10hipError_tT0_T1_T2_jT3_P12ihipStream_tbPNSt15iterator_traitsISH_E10value_typeEPNSN_ISI_E10value_typeEPSJ_NS1_7vsmem_tEENKUlT_SH_SI_SJ_E_clIS9_S9_SD_PlEESG_SW_SH_SI_SJ_EUlSW_E0_NS1_11comp_targetILNS1_3genE5ELNS1_11target_archE942ELNS1_3gpuE9ELNS1_3repE0EEENS1_38merge_mergepath_config_static_selectorELNS0_4arch9wavefront6targetE1EEEvSI_.has_indirect_call, 0
	.section	.AMDGPU.csdata,"",@progbits
; Kernel info:
; codeLenInByte = 0
; TotalNumSgprs: 4
; NumVgprs: 0
; ScratchSize: 0
; MemoryBound: 0
; FloatMode: 240
; IeeeMode: 1
; LDSByteSize: 0 bytes/workgroup (compile time only)
; SGPRBlocks: 0
; VGPRBlocks: 0
; NumSGPRsForWavesPerEU: 4
; NumVGPRsForWavesPerEU: 1
; Occupancy: 10
; WaveLimiterHint : 0
; COMPUTE_PGM_RSRC2:SCRATCH_EN: 0
; COMPUTE_PGM_RSRC2:USER_SGPR: 6
; COMPUTE_PGM_RSRC2:TRAP_HANDLER: 0
; COMPUTE_PGM_RSRC2:TGID_X_EN: 1
; COMPUTE_PGM_RSRC2:TGID_Y_EN: 0
; COMPUTE_PGM_RSRC2:TGID_Z_EN: 0
; COMPUTE_PGM_RSRC2:TIDIG_COMP_CNT: 0
	.section	.text._ZN7rocprim17ROCPRIM_400000_NS6detail17trampoline_kernelINS0_14default_configENS1_38merge_sort_block_merge_config_selectorIN3c108BFloat16ElEEZZNS1_27merge_sort_block_merge_implIS3_PS6_N6thrust23THRUST_200600_302600_NS10device_ptrIlEEmNSB_4lessIS6_EEEE10hipError_tT0_T1_T2_jT3_P12ihipStream_tbPNSt15iterator_traitsISH_E10value_typeEPNSN_ISI_E10value_typeEPSJ_NS1_7vsmem_tEENKUlT_SH_SI_SJ_E_clIS9_S9_SD_PlEESG_SW_SH_SI_SJ_EUlSW_E0_NS1_11comp_targetILNS1_3genE4ELNS1_11target_archE910ELNS1_3gpuE8ELNS1_3repE0EEENS1_38merge_mergepath_config_static_selectorELNS0_4arch9wavefront6targetE1EEEvSI_,"axG",@progbits,_ZN7rocprim17ROCPRIM_400000_NS6detail17trampoline_kernelINS0_14default_configENS1_38merge_sort_block_merge_config_selectorIN3c108BFloat16ElEEZZNS1_27merge_sort_block_merge_implIS3_PS6_N6thrust23THRUST_200600_302600_NS10device_ptrIlEEmNSB_4lessIS6_EEEE10hipError_tT0_T1_T2_jT3_P12ihipStream_tbPNSt15iterator_traitsISH_E10value_typeEPNSN_ISI_E10value_typeEPSJ_NS1_7vsmem_tEENKUlT_SH_SI_SJ_E_clIS9_S9_SD_PlEESG_SW_SH_SI_SJ_EUlSW_E0_NS1_11comp_targetILNS1_3genE4ELNS1_11target_archE910ELNS1_3gpuE8ELNS1_3repE0EEENS1_38merge_mergepath_config_static_selectorELNS0_4arch9wavefront6targetE1EEEvSI_,comdat
	.protected	_ZN7rocprim17ROCPRIM_400000_NS6detail17trampoline_kernelINS0_14default_configENS1_38merge_sort_block_merge_config_selectorIN3c108BFloat16ElEEZZNS1_27merge_sort_block_merge_implIS3_PS6_N6thrust23THRUST_200600_302600_NS10device_ptrIlEEmNSB_4lessIS6_EEEE10hipError_tT0_T1_T2_jT3_P12ihipStream_tbPNSt15iterator_traitsISH_E10value_typeEPNSN_ISI_E10value_typeEPSJ_NS1_7vsmem_tEENKUlT_SH_SI_SJ_E_clIS9_S9_SD_PlEESG_SW_SH_SI_SJ_EUlSW_E0_NS1_11comp_targetILNS1_3genE4ELNS1_11target_archE910ELNS1_3gpuE8ELNS1_3repE0EEENS1_38merge_mergepath_config_static_selectorELNS0_4arch9wavefront6targetE1EEEvSI_ ; -- Begin function _ZN7rocprim17ROCPRIM_400000_NS6detail17trampoline_kernelINS0_14default_configENS1_38merge_sort_block_merge_config_selectorIN3c108BFloat16ElEEZZNS1_27merge_sort_block_merge_implIS3_PS6_N6thrust23THRUST_200600_302600_NS10device_ptrIlEEmNSB_4lessIS6_EEEE10hipError_tT0_T1_T2_jT3_P12ihipStream_tbPNSt15iterator_traitsISH_E10value_typeEPNSN_ISI_E10value_typeEPSJ_NS1_7vsmem_tEENKUlT_SH_SI_SJ_E_clIS9_S9_SD_PlEESG_SW_SH_SI_SJ_EUlSW_E0_NS1_11comp_targetILNS1_3genE4ELNS1_11target_archE910ELNS1_3gpuE8ELNS1_3repE0EEENS1_38merge_mergepath_config_static_selectorELNS0_4arch9wavefront6targetE1EEEvSI_
	.globl	_ZN7rocprim17ROCPRIM_400000_NS6detail17trampoline_kernelINS0_14default_configENS1_38merge_sort_block_merge_config_selectorIN3c108BFloat16ElEEZZNS1_27merge_sort_block_merge_implIS3_PS6_N6thrust23THRUST_200600_302600_NS10device_ptrIlEEmNSB_4lessIS6_EEEE10hipError_tT0_T1_T2_jT3_P12ihipStream_tbPNSt15iterator_traitsISH_E10value_typeEPNSN_ISI_E10value_typeEPSJ_NS1_7vsmem_tEENKUlT_SH_SI_SJ_E_clIS9_S9_SD_PlEESG_SW_SH_SI_SJ_EUlSW_E0_NS1_11comp_targetILNS1_3genE4ELNS1_11target_archE910ELNS1_3gpuE8ELNS1_3repE0EEENS1_38merge_mergepath_config_static_selectorELNS0_4arch9wavefront6targetE1EEEvSI_
	.p2align	8
	.type	_ZN7rocprim17ROCPRIM_400000_NS6detail17trampoline_kernelINS0_14default_configENS1_38merge_sort_block_merge_config_selectorIN3c108BFloat16ElEEZZNS1_27merge_sort_block_merge_implIS3_PS6_N6thrust23THRUST_200600_302600_NS10device_ptrIlEEmNSB_4lessIS6_EEEE10hipError_tT0_T1_T2_jT3_P12ihipStream_tbPNSt15iterator_traitsISH_E10value_typeEPNSN_ISI_E10value_typeEPSJ_NS1_7vsmem_tEENKUlT_SH_SI_SJ_E_clIS9_S9_SD_PlEESG_SW_SH_SI_SJ_EUlSW_E0_NS1_11comp_targetILNS1_3genE4ELNS1_11target_archE910ELNS1_3gpuE8ELNS1_3repE0EEENS1_38merge_mergepath_config_static_selectorELNS0_4arch9wavefront6targetE1EEEvSI_,@function
_ZN7rocprim17ROCPRIM_400000_NS6detail17trampoline_kernelINS0_14default_configENS1_38merge_sort_block_merge_config_selectorIN3c108BFloat16ElEEZZNS1_27merge_sort_block_merge_implIS3_PS6_N6thrust23THRUST_200600_302600_NS10device_ptrIlEEmNSB_4lessIS6_EEEE10hipError_tT0_T1_T2_jT3_P12ihipStream_tbPNSt15iterator_traitsISH_E10value_typeEPNSN_ISI_E10value_typeEPSJ_NS1_7vsmem_tEENKUlT_SH_SI_SJ_E_clIS9_S9_SD_PlEESG_SW_SH_SI_SJ_EUlSW_E0_NS1_11comp_targetILNS1_3genE4ELNS1_11target_archE910ELNS1_3gpuE8ELNS1_3repE0EEENS1_38merge_mergepath_config_static_selectorELNS0_4arch9wavefront6targetE1EEEvSI_: ; @_ZN7rocprim17ROCPRIM_400000_NS6detail17trampoline_kernelINS0_14default_configENS1_38merge_sort_block_merge_config_selectorIN3c108BFloat16ElEEZZNS1_27merge_sort_block_merge_implIS3_PS6_N6thrust23THRUST_200600_302600_NS10device_ptrIlEEmNSB_4lessIS6_EEEE10hipError_tT0_T1_T2_jT3_P12ihipStream_tbPNSt15iterator_traitsISH_E10value_typeEPNSN_ISI_E10value_typeEPSJ_NS1_7vsmem_tEENKUlT_SH_SI_SJ_E_clIS9_S9_SD_PlEESG_SW_SH_SI_SJ_EUlSW_E0_NS1_11comp_targetILNS1_3genE4ELNS1_11target_archE910ELNS1_3gpuE8ELNS1_3repE0EEENS1_38merge_mergepath_config_static_selectorELNS0_4arch9wavefront6targetE1EEEvSI_
; %bb.0:
	.section	.rodata,"a",@progbits
	.p2align	6, 0x0
	.amdhsa_kernel _ZN7rocprim17ROCPRIM_400000_NS6detail17trampoline_kernelINS0_14default_configENS1_38merge_sort_block_merge_config_selectorIN3c108BFloat16ElEEZZNS1_27merge_sort_block_merge_implIS3_PS6_N6thrust23THRUST_200600_302600_NS10device_ptrIlEEmNSB_4lessIS6_EEEE10hipError_tT0_T1_T2_jT3_P12ihipStream_tbPNSt15iterator_traitsISH_E10value_typeEPNSN_ISI_E10value_typeEPSJ_NS1_7vsmem_tEENKUlT_SH_SI_SJ_E_clIS9_S9_SD_PlEESG_SW_SH_SI_SJ_EUlSW_E0_NS1_11comp_targetILNS1_3genE4ELNS1_11target_archE910ELNS1_3gpuE8ELNS1_3repE0EEENS1_38merge_mergepath_config_static_selectorELNS0_4arch9wavefront6targetE1EEEvSI_
		.amdhsa_group_segment_fixed_size 0
		.amdhsa_private_segment_fixed_size 0
		.amdhsa_kernarg_size 72
		.amdhsa_user_sgpr_count 6
		.amdhsa_user_sgpr_private_segment_buffer 1
		.amdhsa_user_sgpr_dispatch_ptr 0
		.amdhsa_user_sgpr_queue_ptr 0
		.amdhsa_user_sgpr_kernarg_segment_ptr 1
		.amdhsa_user_sgpr_dispatch_id 0
		.amdhsa_user_sgpr_flat_scratch_init 0
		.amdhsa_user_sgpr_private_segment_size 0
		.amdhsa_uses_dynamic_stack 0
		.amdhsa_system_sgpr_private_segment_wavefront_offset 0
		.amdhsa_system_sgpr_workgroup_id_x 1
		.amdhsa_system_sgpr_workgroup_id_y 0
		.amdhsa_system_sgpr_workgroup_id_z 0
		.amdhsa_system_sgpr_workgroup_info 0
		.amdhsa_system_vgpr_workitem_id 0
		.amdhsa_next_free_vgpr 1
		.amdhsa_next_free_sgpr 0
		.amdhsa_reserve_vcc 0
		.amdhsa_reserve_flat_scratch 0
		.amdhsa_float_round_mode_32 0
		.amdhsa_float_round_mode_16_64 0
		.amdhsa_float_denorm_mode_32 3
		.amdhsa_float_denorm_mode_16_64 3
		.amdhsa_dx10_clamp 1
		.amdhsa_ieee_mode 1
		.amdhsa_fp16_overflow 0
		.amdhsa_exception_fp_ieee_invalid_op 0
		.amdhsa_exception_fp_denorm_src 0
		.amdhsa_exception_fp_ieee_div_zero 0
		.amdhsa_exception_fp_ieee_overflow 0
		.amdhsa_exception_fp_ieee_underflow 0
		.amdhsa_exception_fp_ieee_inexact 0
		.amdhsa_exception_int_div_zero 0
	.end_amdhsa_kernel
	.section	.text._ZN7rocprim17ROCPRIM_400000_NS6detail17trampoline_kernelINS0_14default_configENS1_38merge_sort_block_merge_config_selectorIN3c108BFloat16ElEEZZNS1_27merge_sort_block_merge_implIS3_PS6_N6thrust23THRUST_200600_302600_NS10device_ptrIlEEmNSB_4lessIS6_EEEE10hipError_tT0_T1_T2_jT3_P12ihipStream_tbPNSt15iterator_traitsISH_E10value_typeEPNSN_ISI_E10value_typeEPSJ_NS1_7vsmem_tEENKUlT_SH_SI_SJ_E_clIS9_S9_SD_PlEESG_SW_SH_SI_SJ_EUlSW_E0_NS1_11comp_targetILNS1_3genE4ELNS1_11target_archE910ELNS1_3gpuE8ELNS1_3repE0EEENS1_38merge_mergepath_config_static_selectorELNS0_4arch9wavefront6targetE1EEEvSI_,"axG",@progbits,_ZN7rocprim17ROCPRIM_400000_NS6detail17trampoline_kernelINS0_14default_configENS1_38merge_sort_block_merge_config_selectorIN3c108BFloat16ElEEZZNS1_27merge_sort_block_merge_implIS3_PS6_N6thrust23THRUST_200600_302600_NS10device_ptrIlEEmNSB_4lessIS6_EEEE10hipError_tT0_T1_T2_jT3_P12ihipStream_tbPNSt15iterator_traitsISH_E10value_typeEPNSN_ISI_E10value_typeEPSJ_NS1_7vsmem_tEENKUlT_SH_SI_SJ_E_clIS9_S9_SD_PlEESG_SW_SH_SI_SJ_EUlSW_E0_NS1_11comp_targetILNS1_3genE4ELNS1_11target_archE910ELNS1_3gpuE8ELNS1_3repE0EEENS1_38merge_mergepath_config_static_selectorELNS0_4arch9wavefront6targetE1EEEvSI_,comdat
.Lfunc_end2013:
	.size	_ZN7rocprim17ROCPRIM_400000_NS6detail17trampoline_kernelINS0_14default_configENS1_38merge_sort_block_merge_config_selectorIN3c108BFloat16ElEEZZNS1_27merge_sort_block_merge_implIS3_PS6_N6thrust23THRUST_200600_302600_NS10device_ptrIlEEmNSB_4lessIS6_EEEE10hipError_tT0_T1_T2_jT3_P12ihipStream_tbPNSt15iterator_traitsISH_E10value_typeEPNSN_ISI_E10value_typeEPSJ_NS1_7vsmem_tEENKUlT_SH_SI_SJ_E_clIS9_S9_SD_PlEESG_SW_SH_SI_SJ_EUlSW_E0_NS1_11comp_targetILNS1_3genE4ELNS1_11target_archE910ELNS1_3gpuE8ELNS1_3repE0EEENS1_38merge_mergepath_config_static_selectorELNS0_4arch9wavefront6targetE1EEEvSI_, .Lfunc_end2013-_ZN7rocprim17ROCPRIM_400000_NS6detail17trampoline_kernelINS0_14default_configENS1_38merge_sort_block_merge_config_selectorIN3c108BFloat16ElEEZZNS1_27merge_sort_block_merge_implIS3_PS6_N6thrust23THRUST_200600_302600_NS10device_ptrIlEEmNSB_4lessIS6_EEEE10hipError_tT0_T1_T2_jT3_P12ihipStream_tbPNSt15iterator_traitsISH_E10value_typeEPNSN_ISI_E10value_typeEPSJ_NS1_7vsmem_tEENKUlT_SH_SI_SJ_E_clIS9_S9_SD_PlEESG_SW_SH_SI_SJ_EUlSW_E0_NS1_11comp_targetILNS1_3genE4ELNS1_11target_archE910ELNS1_3gpuE8ELNS1_3repE0EEENS1_38merge_mergepath_config_static_selectorELNS0_4arch9wavefront6targetE1EEEvSI_
                                        ; -- End function
	.set _ZN7rocprim17ROCPRIM_400000_NS6detail17trampoline_kernelINS0_14default_configENS1_38merge_sort_block_merge_config_selectorIN3c108BFloat16ElEEZZNS1_27merge_sort_block_merge_implIS3_PS6_N6thrust23THRUST_200600_302600_NS10device_ptrIlEEmNSB_4lessIS6_EEEE10hipError_tT0_T1_T2_jT3_P12ihipStream_tbPNSt15iterator_traitsISH_E10value_typeEPNSN_ISI_E10value_typeEPSJ_NS1_7vsmem_tEENKUlT_SH_SI_SJ_E_clIS9_S9_SD_PlEESG_SW_SH_SI_SJ_EUlSW_E0_NS1_11comp_targetILNS1_3genE4ELNS1_11target_archE910ELNS1_3gpuE8ELNS1_3repE0EEENS1_38merge_mergepath_config_static_selectorELNS0_4arch9wavefront6targetE1EEEvSI_.num_vgpr, 0
	.set _ZN7rocprim17ROCPRIM_400000_NS6detail17trampoline_kernelINS0_14default_configENS1_38merge_sort_block_merge_config_selectorIN3c108BFloat16ElEEZZNS1_27merge_sort_block_merge_implIS3_PS6_N6thrust23THRUST_200600_302600_NS10device_ptrIlEEmNSB_4lessIS6_EEEE10hipError_tT0_T1_T2_jT3_P12ihipStream_tbPNSt15iterator_traitsISH_E10value_typeEPNSN_ISI_E10value_typeEPSJ_NS1_7vsmem_tEENKUlT_SH_SI_SJ_E_clIS9_S9_SD_PlEESG_SW_SH_SI_SJ_EUlSW_E0_NS1_11comp_targetILNS1_3genE4ELNS1_11target_archE910ELNS1_3gpuE8ELNS1_3repE0EEENS1_38merge_mergepath_config_static_selectorELNS0_4arch9wavefront6targetE1EEEvSI_.num_agpr, 0
	.set _ZN7rocprim17ROCPRIM_400000_NS6detail17trampoline_kernelINS0_14default_configENS1_38merge_sort_block_merge_config_selectorIN3c108BFloat16ElEEZZNS1_27merge_sort_block_merge_implIS3_PS6_N6thrust23THRUST_200600_302600_NS10device_ptrIlEEmNSB_4lessIS6_EEEE10hipError_tT0_T1_T2_jT3_P12ihipStream_tbPNSt15iterator_traitsISH_E10value_typeEPNSN_ISI_E10value_typeEPSJ_NS1_7vsmem_tEENKUlT_SH_SI_SJ_E_clIS9_S9_SD_PlEESG_SW_SH_SI_SJ_EUlSW_E0_NS1_11comp_targetILNS1_3genE4ELNS1_11target_archE910ELNS1_3gpuE8ELNS1_3repE0EEENS1_38merge_mergepath_config_static_selectorELNS0_4arch9wavefront6targetE1EEEvSI_.numbered_sgpr, 0
	.set _ZN7rocprim17ROCPRIM_400000_NS6detail17trampoline_kernelINS0_14default_configENS1_38merge_sort_block_merge_config_selectorIN3c108BFloat16ElEEZZNS1_27merge_sort_block_merge_implIS3_PS6_N6thrust23THRUST_200600_302600_NS10device_ptrIlEEmNSB_4lessIS6_EEEE10hipError_tT0_T1_T2_jT3_P12ihipStream_tbPNSt15iterator_traitsISH_E10value_typeEPNSN_ISI_E10value_typeEPSJ_NS1_7vsmem_tEENKUlT_SH_SI_SJ_E_clIS9_S9_SD_PlEESG_SW_SH_SI_SJ_EUlSW_E0_NS1_11comp_targetILNS1_3genE4ELNS1_11target_archE910ELNS1_3gpuE8ELNS1_3repE0EEENS1_38merge_mergepath_config_static_selectorELNS0_4arch9wavefront6targetE1EEEvSI_.num_named_barrier, 0
	.set _ZN7rocprim17ROCPRIM_400000_NS6detail17trampoline_kernelINS0_14default_configENS1_38merge_sort_block_merge_config_selectorIN3c108BFloat16ElEEZZNS1_27merge_sort_block_merge_implIS3_PS6_N6thrust23THRUST_200600_302600_NS10device_ptrIlEEmNSB_4lessIS6_EEEE10hipError_tT0_T1_T2_jT3_P12ihipStream_tbPNSt15iterator_traitsISH_E10value_typeEPNSN_ISI_E10value_typeEPSJ_NS1_7vsmem_tEENKUlT_SH_SI_SJ_E_clIS9_S9_SD_PlEESG_SW_SH_SI_SJ_EUlSW_E0_NS1_11comp_targetILNS1_3genE4ELNS1_11target_archE910ELNS1_3gpuE8ELNS1_3repE0EEENS1_38merge_mergepath_config_static_selectorELNS0_4arch9wavefront6targetE1EEEvSI_.private_seg_size, 0
	.set _ZN7rocprim17ROCPRIM_400000_NS6detail17trampoline_kernelINS0_14default_configENS1_38merge_sort_block_merge_config_selectorIN3c108BFloat16ElEEZZNS1_27merge_sort_block_merge_implIS3_PS6_N6thrust23THRUST_200600_302600_NS10device_ptrIlEEmNSB_4lessIS6_EEEE10hipError_tT0_T1_T2_jT3_P12ihipStream_tbPNSt15iterator_traitsISH_E10value_typeEPNSN_ISI_E10value_typeEPSJ_NS1_7vsmem_tEENKUlT_SH_SI_SJ_E_clIS9_S9_SD_PlEESG_SW_SH_SI_SJ_EUlSW_E0_NS1_11comp_targetILNS1_3genE4ELNS1_11target_archE910ELNS1_3gpuE8ELNS1_3repE0EEENS1_38merge_mergepath_config_static_selectorELNS0_4arch9wavefront6targetE1EEEvSI_.uses_vcc, 0
	.set _ZN7rocprim17ROCPRIM_400000_NS6detail17trampoline_kernelINS0_14default_configENS1_38merge_sort_block_merge_config_selectorIN3c108BFloat16ElEEZZNS1_27merge_sort_block_merge_implIS3_PS6_N6thrust23THRUST_200600_302600_NS10device_ptrIlEEmNSB_4lessIS6_EEEE10hipError_tT0_T1_T2_jT3_P12ihipStream_tbPNSt15iterator_traitsISH_E10value_typeEPNSN_ISI_E10value_typeEPSJ_NS1_7vsmem_tEENKUlT_SH_SI_SJ_E_clIS9_S9_SD_PlEESG_SW_SH_SI_SJ_EUlSW_E0_NS1_11comp_targetILNS1_3genE4ELNS1_11target_archE910ELNS1_3gpuE8ELNS1_3repE0EEENS1_38merge_mergepath_config_static_selectorELNS0_4arch9wavefront6targetE1EEEvSI_.uses_flat_scratch, 0
	.set _ZN7rocprim17ROCPRIM_400000_NS6detail17trampoline_kernelINS0_14default_configENS1_38merge_sort_block_merge_config_selectorIN3c108BFloat16ElEEZZNS1_27merge_sort_block_merge_implIS3_PS6_N6thrust23THRUST_200600_302600_NS10device_ptrIlEEmNSB_4lessIS6_EEEE10hipError_tT0_T1_T2_jT3_P12ihipStream_tbPNSt15iterator_traitsISH_E10value_typeEPNSN_ISI_E10value_typeEPSJ_NS1_7vsmem_tEENKUlT_SH_SI_SJ_E_clIS9_S9_SD_PlEESG_SW_SH_SI_SJ_EUlSW_E0_NS1_11comp_targetILNS1_3genE4ELNS1_11target_archE910ELNS1_3gpuE8ELNS1_3repE0EEENS1_38merge_mergepath_config_static_selectorELNS0_4arch9wavefront6targetE1EEEvSI_.has_dyn_sized_stack, 0
	.set _ZN7rocprim17ROCPRIM_400000_NS6detail17trampoline_kernelINS0_14default_configENS1_38merge_sort_block_merge_config_selectorIN3c108BFloat16ElEEZZNS1_27merge_sort_block_merge_implIS3_PS6_N6thrust23THRUST_200600_302600_NS10device_ptrIlEEmNSB_4lessIS6_EEEE10hipError_tT0_T1_T2_jT3_P12ihipStream_tbPNSt15iterator_traitsISH_E10value_typeEPNSN_ISI_E10value_typeEPSJ_NS1_7vsmem_tEENKUlT_SH_SI_SJ_E_clIS9_S9_SD_PlEESG_SW_SH_SI_SJ_EUlSW_E0_NS1_11comp_targetILNS1_3genE4ELNS1_11target_archE910ELNS1_3gpuE8ELNS1_3repE0EEENS1_38merge_mergepath_config_static_selectorELNS0_4arch9wavefront6targetE1EEEvSI_.has_recursion, 0
	.set _ZN7rocprim17ROCPRIM_400000_NS6detail17trampoline_kernelINS0_14default_configENS1_38merge_sort_block_merge_config_selectorIN3c108BFloat16ElEEZZNS1_27merge_sort_block_merge_implIS3_PS6_N6thrust23THRUST_200600_302600_NS10device_ptrIlEEmNSB_4lessIS6_EEEE10hipError_tT0_T1_T2_jT3_P12ihipStream_tbPNSt15iterator_traitsISH_E10value_typeEPNSN_ISI_E10value_typeEPSJ_NS1_7vsmem_tEENKUlT_SH_SI_SJ_E_clIS9_S9_SD_PlEESG_SW_SH_SI_SJ_EUlSW_E0_NS1_11comp_targetILNS1_3genE4ELNS1_11target_archE910ELNS1_3gpuE8ELNS1_3repE0EEENS1_38merge_mergepath_config_static_selectorELNS0_4arch9wavefront6targetE1EEEvSI_.has_indirect_call, 0
	.section	.AMDGPU.csdata,"",@progbits
; Kernel info:
; codeLenInByte = 0
; TotalNumSgprs: 4
; NumVgprs: 0
; ScratchSize: 0
; MemoryBound: 0
; FloatMode: 240
; IeeeMode: 1
; LDSByteSize: 0 bytes/workgroup (compile time only)
; SGPRBlocks: 0
; VGPRBlocks: 0
; NumSGPRsForWavesPerEU: 4
; NumVGPRsForWavesPerEU: 1
; Occupancy: 10
; WaveLimiterHint : 0
; COMPUTE_PGM_RSRC2:SCRATCH_EN: 0
; COMPUTE_PGM_RSRC2:USER_SGPR: 6
; COMPUTE_PGM_RSRC2:TRAP_HANDLER: 0
; COMPUTE_PGM_RSRC2:TGID_X_EN: 1
; COMPUTE_PGM_RSRC2:TGID_Y_EN: 0
; COMPUTE_PGM_RSRC2:TGID_Z_EN: 0
; COMPUTE_PGM_RSRC2:TIDIG_COMP_CNT: 0
	.section	.text._ZN7rocprim17ROCPRIM_400000_NS6detail17trampoline_kernelINS0_14default_configENS1_38merge_sort_block_merge_config_selectorIN3c108BFloat16ElEEZZNS1_27merge_sort_block_merge_implIS3_PS6_N6thrust23THRUST_200600_302600_NS10device_ptrIlEEmNSB_4lessIS6_EEEE10hipError_tT0_T1_T2_jT3_P12ihipStream_tbPNSt15iterator_traitsISH_E10value_typeEPNSN_ISI_E10value_typeEPSJ_NS1_7vsmem_tEENKUlT_SH_SI_SJ_E_clIS9_S9_SD_PlEESG_SW_SH_SI_SJ_EUlSW_E0_NS1_11comp_targetILNS1_3genE3ELNS1_11target_archE908ELNS1_3gpuE7ELNS1_3repE0EEENS1_38merge_mergepath_config_static_selectorELNS0_4arch9wavefront6targetE1EEEvSI_,"axG",@progbits,_ZN7rocprim17ROCPRIM_400000_NS6detail17trampoline_kernelINS0_14default_configENS1_38merge_sort_block_merge_config_selectorIN3c108BFloat16ElEEZZNS1_27merge_sort_block_merge_implIS3_PS6_N6thrust23THRUST_200600_302600_NS10device_ptrIlEEmNSB_4lessIS6_EEEE10hipError_tT0_T1_T2_jT3_P12ihipStream_tbPNSt15iterator_traitsISH_E10value_typeEPNSN_ISI_E10value_typeEPSJ_NS1_7vsmem_tEENKUlT_SH_SI_SJ_E_clIS9_S9_SD_PlEESG_SW_SH_SI_SJ_EUlSW_E0_NS1_11comp_targetILNS1_3genE3ELNS1_11target_archE908ELNS1_3gpuE7ELNS1_3repE0EEENS1_38merge_mergepath_config_static_selectorELNS0_4arch9wavefront6targetE1EEEvSI_,comdat
	.protected	_ZN7rocprim17ROCPRIM_400000_NS6detail17trampoline_kernelINS0_14default_configENS1_38merge_sort_block_merge_config_selectorIN3c108BFloat16ElEEZZNS1_27merge_sort_block_merge_implIS3_PS6_N6thrust23THRUST_200600_302600_NS10device_ptrIlEEmNSB_4lessIS6_EEEE10hipError_tT0_T1_T2_jT3_P12ihipStream_tbPNSt15iterator_traitsISH_E10value_typeEPNSN_ISI_E10value_typeEPSJ_NS1_7vsmem_tEENKUlT_SH_SI_SJ_E_clIS9_S9_SD_PlEESG_SW_SH_SI_SJ_EUlSW_E0_NS1_11comp_targetILNS1_3genE3ELNS1_11target_archE908ELNS1_3gpuE7ELNS1_3repE0EEENS1_38merge_mergepath_config_static_selectorELNS0_4arch9wavefront6targetE1EEEvSI_ ; -- Begin function _ZN7rocprim17ROCPRIM_400000_NS6detail17trampoline_kernelINS0_14default_configENS1_38merge_sort_block_merge_config_selectorIN3c108BFloat16ElEEZZNS1_27merge_sort_block_merge_implIS3_PS6_N6thrust23THRUST_200600_302600_NS10device_ptrIlEEmNSB_4lessIS6_EEEE10hipError_tT0_T1_T2_jT3_P12ihipStream_tbPNSt15iterator_traitsISH_E10value_typeEPNSN_ISI_E10value_typeEPSJ_NS1_7vsmem_tEENKUlT_SH_SI_SJ_E_clIS9_S9_SD_PlEESG_SW_SH_SI_SJ_EUlSW_E0_NS1_11comp_targetILNS1_3genE3ELNS1_11target_archE908ELNS1_3gpuE7ELNS1_3repE0EEENS1_38merge_mergepath_config_static_selectorELNS0_4arch9wavefront6targetE1EEEvSI_
	.globl	_ZN7rocprim17ROCPRIM_400000_NS6detail17trampoline_kernelINS0_14default_configENS1_38merge_sort_block_merge_config_selectorIN3c108BFloat16ElEEZZNS1_27merge_sort_block_merge_implIS3_PS6_N6thrust23THRUST_200600_302600_NS10device_ptrIlEEmNSB_4lessIS6_EEEE10hipError_tT0_T1_T2_jT3_P12ihipStream_tbPNSt15iterator_traitsISH_E10value_typeEPNSN_ISI_E10value_typeEPSJ_NS1_7vsmem_tEENKUlT_SH_SI_SJ_E_clIS9_S9_SD_PlEESG_SW_SH_SI_SJ_EUlSW_E0_NS1_11comp_targetILNS1_3genE3ELNS1_11target_archE908ELNS1_3gpuE7ELNS1_3repE0EEENS1_38merge_mergepath_config_static_selectorELNS0_4arch9wavefront6targetE1EEEvSI_
	.p2align	8
	.type	_ZN7rocprim17ROCPRIM_400000_NS6detail17trampoline_kernelINS0_14default_configENS1_38merge_sort_block_merge_config_selectorIN3c108BFloat16ElEEZZNS1_27merge_sort_block_merge_implIS3_PS6_N6thrust23THRUST_200600_302600_NS10device_ptrIlEEmNSB_4lessIS6_EEEE10hipError_tT0_T1_T2_jT3_P12ihipStream_tbPNSt15iterator_traitsISH_E10value_typeEPNSN_ISI_E10value_typeEPSJ_NS1_7vsmem_tEENKUlT_SH_SI_SJ_E_clIS9_S9_SD_PlEESG_SW_SH_SI_SJ_EUlSW_E0_NS1_11comp_targetILNS1_3genE3ELNS1_11target_archE908ELNS1_3gpuE7ELNS1_3repE0EEENS1_38merge_mergepath_config_static_selectorELNS0_4arch9wavefront6targetE1EEEvSI_,@function
_ZN7rocprim17ROCPRIM_400000_NS6detail17trampoline_kernelINS0_14default_configENS1_38merge_sort_block_merge_config_selectorIN3c108BFloat16ElEEZZNS1_27merge_sort_block_merge_implIS3_PS6_N6thrust23THRUST_200600_302600_NS10device_ptrIlEEmNSB_4lessIS6_EEEE10hipError_tT0_T1_T2_jT3_P12ihipStream_tbPNSt15iterator_traitsISH_E10value_typeEPNSN_ISI_E10value_typeEPSJ_NS1_7vsmem_tEENKUlT_SH_SI_SJ_E_clIS9_S9_SD_PlEESG_SW_SH_SI_SJ_EUlSW_E0_NS1_11comp_targetILNS1_3genE3ELNS1_11target_archE908ELNS1_3gpuE7ELNS1_3repE0EEENS1_38merge_mergepath_config_static_selectorELNS0_4arch9wavefront6targetE1EEEvSI_: ; @_ZN7rocprim17ROCPRIM_400000_NS6detail17trampoline_kernelINS0_14default_configENS1_38merge_sort_block_merge_config_selectorIN3c108BFloat16ElEEZZNS1_27merge_sort_block_merge_implIS3_PS6_N6thrust23THRUST_200600_302600_NS10device_ptrIlEEmNSB_4lessIS6_EEEE10hipError_tT0_T1_T2_jT3_P12ihipStream_tbPNSt15iterator_traitsISH_E10value_typeEPNSN_ISI_E10value_typeEPSJ_NS1_7vsmem_tEENKUlT_SH_SI_SJ_E_clIS9_S9_SD_PlEESG_SW_SH_SI_SJ_EUlSW_E0_NS1_11comp_targetILNS1_3genE3ELNS1_11target_archE908ELNS1_3gpuE7ELNS1_3repE0EEENS1_38merge_mergepath_config_static_selectorELNS0_4arch9wavefront6targetE1EEEvSI_
; %bb.0:
	.section	.rodata,"a",@progbits
	.p2align	6, 0x0
	.amdhsa_kernel _ZN7rocprim17ROCPRIM_400000_NS6detail17trampoline_kernelINS0_14default_configENS1_38merge_sort_block_merge_config_selectorIN3c108BFloat16ElEEZZNS1_27merge_sort_block_merge_implIS3_PS6_N6thrust23THRUST_200600_302600_NS10device_ptrIlEEmNSB_4lessIS6_EEEE10hipError_tT0_T1_T2_jT3_P12ihipStream_tbPNSt15iterator_traitsISH_E10value_typeEPNSN_ISI_E10value_typeEPSJ_NS1_7vsmem_tEENKUlT_SH_SI_SJ_E_clIS9_S9_SD_PlEESG_SW_SH_SI_SJ_EUlSW_E0_NS1_11comp_targetILNS1_3genE3ELNS1_11target_archE908ELNS1_3gpuE7ELNS1_3repE0EEENS1_38merge_mergepath_config_static_selectorELNS0_4arch9wavefront6targetE1EEEvSI_
		.amdhsa_group_segment_fixed_size 0
		.amdhsa_private_segment_fixed_size 0
		.amdhsa_kernarg_size 72
		.amdhsa_user_sgpr_count 6
		.amdhsa_user_sgpr_private_segment_buffer 1
		.amdhsa_user_sgpr_dispatch_ptr 0
		.amdhsa_user_sgpr_queue_ptr 0
		.amdhsa_user_sgpr_kernarg_segment_ptr 1
		.amdhsa_user_sgpr_dispatch_id 0
		.amdhsa_user_sgpr_flat_scratch_init 0
		.amdhsa_user_sgpr_private_segment_size 0
		.amdhsa_uses_dynamic_stack 0
		.amdhsa_system_sgpr_private_segment_wavefront_offset 0
		.amdhsa_system_sgpr_workgroup_id_x 1
		.amdhsa_system_sgpr_workgroup_id_y 0
		.amdhsa_system_sgpr_workgroup_id_z 0
		.amdhsa_system_sgpr_workgroup_info 0
		.amdhsa_system_vgpr_workitem_id 0
		.amdhsa_next_free_vgpr 1
		.amdhsa_next_free_sgpr 0
		.amdhsa_reserve_vcc 0
		.amdhsa_reserve_flat_scratch 0
		.amdhsa_float_round_mode_32 0
		.amdhsa_float_round_mode_16_64 0
		.amdhsa_float_denorm_mode_32 3
		.amdhsa_float_denorm_mode_16_64 3
		.amdhsa_dx10_clamp 1
		.amdhsa_ieee_mode 1
		.amdhsa_fp16_overflow 0
		.amdhsa_exception_fp_ieee_invalid_op 0
		.amdhsa_exception_fp_denorm_src 0
		.amdhsa_exception_fp_ieee_div_zero 0
		.amdhsa_exception_fp_ieee_overflow 0
		.amdhsa_exception_fp_ieee_underflow 0
		.amdhsa_exception_fp_ieee_inexact 0
		.amdhsa_exception_int_div_zero 0
	.end_amdhsa_kernel
	.section	.text._ZN7rocprim17ROCPRIM_400000_NS6detail17trampoline_kernelINS0_14default_configENS1_38merge_sort_block_merge_config_selectorIN3c108BFloat16ElEEZZNS1_27merge_sort_block_merge_implIS3_PS6_N6thrust23THRUST_200600_302600_NS10device_ptrIlEEmNSB_4lessIS6_EEEE10hipError_tT0_T1_T2_jT3_P12ihipStream_tbPNSt15iterator_traitsISH_E10value_typeEPNSN_ISI_E10value_typeEPSJ_NS1_7vsmem_tEENKUlT_SH_SI_SJ_E_clIS9_S9_SD_PlEESG_SW_SH_SI_SJ_EUlSW_E0_NS1_11comp_targetILNS1_3genE3ELNS1_11target_archE908ELNS1_3gpuE7ELNS1_3repE0EEENS1_38merge_mergepath_config_static_selectorELNS0_4arch9wavefront6targetE1EEEvSI_,"axG",@progbits,_ZN7rocprim17ROCPRIM_400000_NS6detail17trampoline_kernelINS0_14default_configENS1_38merge_sort_block_merge_config_selectorIN3c108BFloat16ElEEZZNS1_27merge_sort_block_merge_implIS3_PS6_N6thrust23THRUST_200600_302600_NS10device_ptrIlEEmNSB_4lessIS6_EEEE10hipError_tT0_T1_T2_jT3_P12ihipStream_tbPNSt15iterator_traitsISH_E10value_typeEPNSN_ISI_E10value_typeEPSJ_NS1_7vsmem_tEENKUlT_SH_SI_SJ_E_clIS9_S9_SD_PlEESG_SW_SH_SI_SJ_EUlSW_E0_NS1_11comp_targetILNS1_3genE3ELNS1_11target_archE908ELNS1_3gpuE7ELNS1_3repE0EEENS1_38merge_mergepath_config_static_selectorELNS0_4arch9wavefront6targetE1EEEvSI_,comdat
.Lfunc_end2014:
	.size	_ZN7rocprim17ROCPRIM_400000_NS6detail17trampoline_kernelINS0_14default_configENS1_38merge_sort_block_merge_config_selectorIN3c108BFloat16ElEEZZNS1_27merge_sort_block_merge_implIS3_PS6_N6thrust23THRUST_200600_302600_NS10device_ptrIlEEmNSB_4lessIS6_EEEE10hipError_tT0_T1_T2_jT3_P12ihipStream_tbPNSt15iterator_traitsISH_E10value_typeEPNSN_ISI_E10value_typeEPSJ_NS1_7vsmem_tEENKUlT_SH_SI_SJ_E_clIS9_S9_SD_PlEESG_SW_SH_SI_SJ_EUlSW_E0_NS1_11comp_targetILNS1_3genE3ELNS1_11target_archE908ELNS1_3gpuE7ELNS1_3repE0EEENS1_38merge_mergepath_config_static_selectorELNS0_4arch9wavefront6targetE1EEEvSI_, .Lfunc_end2014-_ZN7rocprim17ROCPRIM_400000_NS6detail17trampoline_kernelINS0_14default_configENS1_38merge_sort_block_merge_config_selectorIN3c108BFloat16ElEEZZNS1_27merge_sort_block_merge_implIS3_PS6_N6thrust23THRUST_200600_302600_NS10device_ptrIlEEmNSB_4lessIS6_EEEE10hipError_tT0_T1_T2_jT3_P12ihipStream_tbPNSt15iterator_traitsISH_E10value_typeEPNSN_ISI_E10value_typeEPSJ_NS1_7vsmem_tEENKUlT_SH_SI_SJ_E_clIS9_S9_SD_PlEESG_SW_SH_SI_SJ_EUlSW_E0_NS1_11comp_targetILNS1_3genE3ELNS1_11target_archE908ELNS1_3gpuE7ELNS1_3repE0EEENS1_38merge_mergepath_config_static_selectorELNS0_4arch9wavefront6targetE1EEEvSI_
                                        ; -- End function
	.set _ZN7rocprim17ROCPRIM_400000_NS6detail17trampoline_kernelINS0_14default_configENS1_38merge_sort_block_merge_config_selectorIN3c108BFloat16ElEEZZNS1_27merge_sort_block_merge_implIS3_PS6_N6thrust23THRUST_200600_302600_NS10device_ptrIlEEmNSB_4lessIS6_EEEE10hipError_tT0_T1_T2_jT3_P12ihipStream_tbPNSt15iterator_traitsISH_E10value_typeEPNSN_ISI_E10value_typeEPSJ_NS1_7vsmem_tEENKUlT_SH_SI_SJ_E_clIS9_S9_SD_PlEESG_SW_SH_SI_SJ_EUlSW_E0_NS1_11comp_targetILNS1_3genE3ELNS1_11target_archE908ELNS1_3gpuE7ELNS1_3repE0EEENS1_38merge_mergepath_config_static_selectorELNS0_4arch9wavefront6targetE1EEEvSI_.num_vgpr, 0
	.set _ZN7rocprim17ROCPRIM_400000_NS6detail17trampoline_kernelINS0_14default_configENS1_38merge_sort_block_merge_config_selectorIN3c108BFloat16ElEEZZNS1_27merge_sort_block_merge_implIS3_PS6_N6thrust23THRUST_200600_302600_NS10device_ptrIlEEmNSB_4lessIS6_EEEE10hipError_tT0_T1_T2_jT3_P12ihipStream_tbPNSt15iterator_traitsISH_E10value_typeEPNSN_ISI_E10value_typeEPSJ_NS1_7vsmem_tEENKUlT_SH_SI_SJ_E_clIS9_S9_SD_PlEESG_SW_SH_SI_SJ_EUlSW_E0_NS1_11comp_targetILNS1_3genE3ELNS1_11target_archE908ELNS1_3gpuE7ELNS1_3repE0EEENS1_38merge_mergepath_config_static_selectorELNS0_4arch9wavefront6targetE1EEEvSI_.num_agpr, 0
	.set _ZN7rocprim17ROCPRIM_400000_NS6detail17trampoline_kernelINS0_14default_configENS1_38merge_sort_block_merge_config_selectorIN3c108BFloat16ElEEZZNS1_27merge_sort_block_merge_implIS3_PS6_N6thrust23THRUST_200600_302600_NS10device_ptrIlEEmNSB_4lessIS6_EEEE10hipError_tT0_T1_T2_jT3_P12ihipStream_tbPNSt15iterator_traitsISH_E10value_typeEPNSN_ISI_E10value_typeEPSJ_NS1_7vsmem_tEENKUlT_SH_SI_SJ_E_clIS9_S9_SD_PlEESG_SW_SH_SI_SJ_EUlSW_E0_NS1_11comp_targetILNS1_3genE3ELNS1_11target_archE908ELNS1_3gpuE7ELNS1_3repE0EEENS1_38merge_mergepath_config_static_selectorELNS0_4arch9wavefront6targetE1EEEvSI_.numbered_sgpr, 0
	.set _ZN7rocprim17ROCPRIM_400000_NS6detail17trampoline_kernelINS0_14default_configENS1_38merge_sort_block_merge_config_selectorIN3c108BFloat16ElEEZZNS1_27merge_sort_block_merge_implIS3_PS6_N6thrust23THRUST_200600_302600_NS10device_ptrIlEEmNSB_4lessIS6_EEEE10hipError_tT0_T1_T2_jT3_P12ihipStream_tbPNSt15iterator_traitsISH_E10value_typeEPNSN_ISI_E10value_typeEPSJ_NS1_7vsmem_tEENKUlT_SH_SI_SJ_E_clIS9_S9_SD_PlEESG_SW_SH_SI_SJ_EUlSW_E0_NS1_11comp_targetILNS1_3genE3ELNS1_11target_archE908ELNS1_3gpuE7ELNS1_3repE0EEENS1_38merge_mergepath_config_static_selectorELNS0_4arch9wavefront6targetE1EEEvSI_.num_named_barrier, 0
	.set _ZN7rocprim17ROCPRIM_400000_NS6detail17trampoline_kernelINS0_14default_configENS1_38merge_sort_block_merge_config_selectorIN3c108BFloat16ElEEZZNS1_27merge_sort_block_merge_implIS3_PS6_N6thrust23THRUST_200600_302600_NS10device_ptrIlEEmNSB_4lessIS6_EEEE10hipError_tT0_T1_T2_jT3_P12ihipStream_tbPNSt15iterator_traitsISH_E10value_typeEPNSN_ISI_E10value_typeEPSJ_NS1_7vsmem_tEENKUlT_SH_SI_SJ_E_clIS9_S9_SD_PlEESG_SW_SH_SI_SJ_EUlSW_E0_NS1_11comp_targetILNS1_3genE3ELNS1_11target_archE908ELNS1_3gpuE7ELNS1_3repE0EEENS1_38merge_mergepath_config_static_selectorELNS0_4arch9wavefront6targetE1EEEvSI_.private_seg_size, 0
	.set _ZN7rocprim17ROCPRIM_400000_NS6detail17trampoline_kernelINS0_14default_configENS1_38merge_sort_block_merge_config_selectorIN3c108BFloat16ElEEZZNS1_27merge_sort_block_merge_implIS3_PS6_N6thrust23THRUST_200600_302600_NS10device_ptrIlEEmNSB_4lessIS6_EEEE10hipError_tT0_T1_T2_jT3_P12ihipStream_tbPNSt15iterator_traitsISH_E10value_typeEPNSN_ISI_E10value_typeEPSJ_NS1_7vsmem_tEENKUlT_SH_SI_SJ_E_clIS9_S9_SD_PlEESG_SW_SH_SI_SJ_EUlSW_E0_NS1_11comp_targetILNS1_3genE3ELNS1_11target_archE908ELNS1_3gpuE7ELNS1_3repE0EEENS1_38merge_mergepath_config_static_selectorELNS0_4arch9wavefront6targetE1EEEvSI_.uses_vcc, 0
	.set _ZN7rocprim17ROCPRIM_400000_NS6detail17trampoline_kernelINS0_14default_configENS1_38merge_sort_block_merge_config_selectorIN3c108BFloat16ElEEZZNS1_27merge_sort_block_merge_implIS3_PS6_N6thrust23THRUST_200600_302600_NS10device_ptrIlEEmNSB_4lessIS6_EEEE10hipError_tT0_T1_T2_jT3_P12ihipStream_tbPNSt15iterator_traitsISH_E10value_typeEPNSN_ISI_E10value_typeEPSJ_NS1_7vsmem_tEENKUlT_SH_SI_SJ_E_clIS9_S9_SD_PlEESG_SW_SH_SI_SJ_EUlSW_E0_NS1_11comp_targetILNS1_3genE3ELNS1_11target_archE908ELNS1_3gpuE7ELNS1_3repE0EEENS1_38merge_mergepath_config_static_selectorELNS0_4arch9wavefront6targetE1EEEvSI_.uses_flat_scratch, 0
	.set _ZN7rocprim17ROCPRIM_400000_NS6detail17trampoline_kernelINS0_14default_configENS1_38merge_sort_block_merge_config_selectorIN3c108BFloat16ElEEZZNS1_27merge_sort_block_merge_implIS3_PS6_N6thrust23THRUST_200600_302600_NS10device_ptrIlEEmNSB_4lessIS6_EEEE10hipError_tT0_T1_T2_jT3_P12ihipStream_tbPNSt15iterator_traitsISH_E10value_typeEPNSN_ISI_E10value_typeEPSJ_NS1_7vsmem_tEENKUlT_SH_SI_SJ_E_clIS9_S9_SD_PlEESG_SW_SH_SI_SJ_EUlSW_E0_NS1_11comp_targetILNS1_3genE3ELNS1_11target_archE908ELNS1_3gpuE7ELNS1_3repE0EEENS1_38merge_mergepath_config_static_selectorELNS0_4arch9wavefront6targetE1EEEvSI_.has_dyn_sized_stack, 0
	.set _ZN7rocprim17ROCPRIM_400000_NS6detail17trampoline_kernelINS0_14default_configENS1_38merge_sort_block_merge_config_selectorIN3c108BFloat16ElEEZZNS1_27merge_sort_block_merge_implIS3_PS6_N6thrust23THRUST_200600_302600_NS10device_ptrIlEEmNSB_4lessIS6_EEEE10hipError_tT0_T1_T2_jT3_P12ihipStream_tbPNSt15iterator_traitsISH_E10value_typeEPNSN_ISI_E10value_typeEPSJ_NS1_7vsmem_tEENKUlT_SH_SI_SJ_E_clIS9_S9_SD_PlEESG_SW_SH_SI_SJ_EUlSW_E0_NS1_11comp_targetILNS1_3genE3ELNS1_11target_archE908ELNS1_3gpuE7ELNS1_3repE0EEENS1_38merge_mergepath_config_static_selectorELNS0_4arch9wavefront6targetE1EEEvSI_.has_recursion, 0
	.set _ZN7rocprim17ROCPRIM_400000_NS6detail17trampoline_kernelINS0_14default_configENS1_38merge_sort_block_merge_config_selectorIN3c108BFloat16ElEEZZNS1_27merge_sort_block_merge_implIS3_PS6_N6thrust23THRUST_200600_302600_NS10device_ptrIlEEmNSB_4lessIS6_EEEE10hipError_tT0_T1_T2_jT3_P12ihipStream_tbPNSt15iterator_traitsISH_E10value_typeEPNSN_ISI_E10value_typeEPSJ_NS1_7vsmem_tEENKUlT_SH_SI_SJ_E_clIS9_S9_SD_PlEESG_SW_SH_SI_SJ_EUlSW_E0_NS1_11comp_targetILNS1_3genE3ELNS1_11target_archE908ELNS1_3gpuE7ELNS1_3repE0EEENS1_38merge_mergepath_config_static_selectorELNS0_4arch9wavefront6targetE1EEEvSI_.has_indirect_call, 0
	.section	.AMDGPU.csdata,"",@progbits
; Kernel info:
; codeLenInByte = 0
; TotalNumSgprs: 4
; NumVgprs: 0
; ScratchSize: 0
; MemoryBound: 0
; FloatMode: 240
; IeeeMode: 1
; LDSByteSize: 0 bytes/workgroup (compile time only)
; SGPRBlocks: 0
; VGPRBlocks: 0
; NumSGPRsForWavesPerEU: 4
; NumVGPRsForWavesPerEU: 1
; Occupancy: 10
; WaveLimiterHint : 0
; COMPUTE_PGM_RSRC2:SCRATCH_EN: 0
; COMPUTE_PGM_RSRC2:USER_SGPR: 6
; COMPUTE_PGM_RSRC2:TRAP_HANDLER: 0
; COMPUTE_PGM_RSRC2:TGID_X_EN: 1
; COMPUTE_PGM_RSRC2:TGID_Y_EN: 0
; COMPUTE_PGM_RSRC2:TGID_Z_EN: 0
; COMPUTE_PGM_RSRC2:TIDIG_COMP_CNT: 0
	.section	.text._ZN7rocprim17ROCPRIM_400000_NS6detail17trampoline_kernelINS0_14default_configENS1_38merge_sort_block_merge_config_selectorIN3c108BFloat16ElEEZZNS1_27merge_sort_block_merge_implIS3_PS6_N6thrust23THRUST_200600_302600_NS10device_ptrIlEEmNSB_4lessIS6_EEEE10hipError_tT0_T1_T2_jT3_P12ihipStream_tbPNSt15iterator_traitsISH_E10value_typeEPNSN_ISI_E10value_typeEPSJ_NS1_7vsmem_tEENKUlT_SH_SI_SJ_E_clIS9_S9_SD_PlEESG_SW_SH_SI_SJ_EUlSW_E0_NS1_11comp_targetILNS1_3genE2ELNS1_11target_archE906ELNS1_3gpuE6ELNS1_3repE0EEENS1_38merge_mergepath_config_static_selectorELNS0_4arch9wavefront6targetE1EEEvSI_,"axG",@progbits,_ZN7rocprim17ROCPRIM_400000_NS6detail17trampoline_kernelINS0_14default_configENS1_38merge_sort_block_merge_config_selectorIN3c108BFloat16ElEEZZNS1_27merge_sort_block_merge_implIS3_PS6_N6thrust23THRUST_200600_302600_NS10device_ptrIlEEmNSB_4lessIS6_EEEE10hipError_tT0_T1_T2_jT3_P12ihipStream_tbPNSt15iterator_traitsISH_E10value_typeEPNSN_ISI_E10value_typeEPSJ_NS1_7vsmem_tEENKUlT_SH_SI_SJ_E_clIS9_S9_SD_PlEESG_SW_SH_SI_SJ_EUlSW_E0_NS1_11comp_targetILNS1_3genE2ELNS1_11target_archE906ELNS1_3gpuE6ELNS1_3repE0EEENS1_38merge_mergepath_config_static_selectorELNS0_4arch9wavefront6targetE1EEEvSI_,comdat
	.protected	_ZN7rocprim17ROCPRIM_400000_NS6detail17trampoline_kernelINS0_14default_configENS1_38merge_sort_block_merge_config_selectorIN3c108BFloat16ElEEZZNS1_27merge_sort_block_merge_implIS3_PS6_N6thrust23THRUST_200600_302600_NS10device_ptrIlEEmNSB_4lessIS6_EEEE10hipError_tT0_T1_T2_jT3_P12ihipStream_tbPNSt15iterator_traitsISH_E10value_typeEPNSN_ISI_E10value_typeEPSJ_NS1_7vsmem_tEENKUlT_SH_SI_SJ_E_clIS9_S9_SD_PlEESG_SW_SH_SI_SJ_EUlSW_E0_NS1_11comp_targetILNS1_3genE2ELNS1_11target_archE906ELNS1_3gpuE6ELNS1_3repE0EEENS1_38merge_mergepath_config_static_selectorELNS0_4arch9wavefront6targetE1EEEvSI_ ; -- Begin function _ZN7rocprim17ROCPRIM_400000_NS6detail17trampoline_kernelINS0_14default_configENS1_38merge_sort_block_merge_config_selectorIN3c108BFloat16ElEEZZNS1_27merge_sort_block_merge_implIS3_PS6_N6thrust23THRUST_200600_302600_NS10device_ptrIlEEmNSB_4lessIS6_EEEE10hipError_tT0_T1_T2_jT3_P12ihipStream_tbPNSt15iterator_traitsISH_E10value_typeEPNSN_ISI_E10value_typeEPSJ_NS1_7vsmem_tEENKUlT_SH_SI_SJ_E_clIS9_S9_SD_PlEESG_SW_SH_SI_SJ_EUlSW_E0_NS1_11comp_targetILNS1_3genE2ELNS1_11target_archE906ELNS1_3gpuE6ELNS1_3repE0EEENS1_38merge_mergepath_config_static_selectorELNS0_4arch9wavefront6targetE1EEEvSI_
	.globl	_ZN7rocprim17ROCPRIM_400000_NS6detail17trampoline_kernelINS0_14default_configENS1_38merge_sort_block_merge_config_selectorIN3c108BFloat16ElEEZZNS1_27merge_sort_block_merge_implIS3_PS6_N6thrust23THRUST_200600_302600_NS10device_ptrIlEEmNSB_4lessIS6_EEEE10hipError_tT0_T1_T2_jT3_P12ihipStream_tbPNSt15iterator_traitsISH_E10value_typeEPNSN_ISI_E10value_typeEPSJ_NS1_7vsmem_tEENKUlT_SH_SI_SJ_E_clIS9_S9_SD_PlEESG_SW_SH_SI_SJ_EUlSW_E0_NS1_11comp_targetILNS1_3genE2ELNS1_11target_archE906ELNS1_3gpuE6ELNS1_3repE0EEENS1_38merge_mergepath_config_static_selectorELNS0_4arch9wavefront6targetE1EEEvSI_
	.p2align	8
	.type	_ZN7rocprim17ROCPRIM_400000_NS6detail17trampoline_kernelINS0_14default_configENS1_38merge_sort_block_merge_config_selectorIN3c108BFloat16ElEEZZNS1_27merge_sort_block_merge_implIS3_PS6_N6thrust23THRUST_200600_302600_NS10device_ptrIlEEmNSB_4lessIS6_EEEE10hipError_tT0_T1_T2_jT3_P12ihipStream_tbPNSt15iterator_traitsISH_E10value_typeEPNSN_ISI_E10value_typeEPSJ_NS1_7vsmem_tEENKUlT_SH_SI_SJ_E_clIS9_S9_SD_PlEESG_SW_SH_SI_SJ_EUlSW_E0_NS1_11comp_targetILNS1_3genE2ELNS1_11target_archE906ELNS1_3gpuE6ELNS1_3repE0EEENS1_38merge_mergepath_config_static_selectorELNS0_4arch9wavefront6targetE1EEEvSI_,@function
_ZN7rocprim17ROCPRIM_400000_NS6detail17trampoline_kernelINS0_14default_configENS1_38merge_sort_block_merge_config_selectorIN3c108BFloat16ElEEZZNS1_27merge_sort_block_merge_implIS3_PS6_N6thrust23THRUST_200600_302600_NS10device_ptrIlEEmNSB_4lessIS6_EEEE10hipError_tT0_T1_T2_jT3_P12ihipStream_tbPNSt15iterator_traitsISH_E10value_typeEPNSN_ISI_E10value_typeEPSJ_NS1_7vsmem_tEENKUlT_SH_SI_SJ_E_clIS9_S9_SD_PlEESG_SW_SH_SI_SJ_EUlSW_E0_NS1_11comp_targetILNS1_3genE2ELNS1_11target_archE906ELNS1_3gpuE6ELNS1_3repE0EEENS1_38merge_mergepath_config_static_selectorELNS0_4arch9wavefront6targetE1EEEvSI_: ; @_ZN7rocprim17ROCPRIM_400000_NS6detail17trampoline_kernelINS0_14default_configENS1_38merge_sort_block_merge_config_selectorIN3c108BFloat16ElEEZZNS1_27merge_sort_block_merge_implIS3_PS6_N6thrust23THRUST_200600_302600_NS10device_ptrIlEEmNSB_4lessIS6_EEEE10hipError_tT0_T1_T2_jT3_P12ihipStream_tbPNSt15iterator_traitsISH_E10value_typeEPNSN_ISI_E10value_typeEPSJ_NS1_7vsmem_tEENKUlT_SH_SI_SJ_E_clIS9_S9_SD_PlEESG_SW_SH_SI_SJ_EUlSW_E0_NS1_11comp_targetILNS1_3genE2ELNS1_11target_archE906ELNS1_3gpuE6ELNS1_3repE0EEENS1_38merge_mergepath_config_static_selectorELNS0_4arch9wavefront6targetE1EEEvSI_
; %bb.0:
	s_load_dwordx2 s[28:29], s[4:5], 0x48
	s_load_dword s1, s[4:5], 0x38
	s_add_u32 s26, s4, 0x48
	s_addc_u32 s27, s5, 0
	s_waitcnt lgkmcnt(0)
	s_mul_i32 s0, s29, s8
	s_add_i32 s0, s0, s7
	s_mul_i32 s0, s0, s28
	s_add_i32 s0, s0, s6
	s_cmp_ge_u32 s0, s1
	s_cbranch_scc1 .LBB2015_55
; %bb.1:
	s_load_dwordx2 s[2:3], s[4:5], 0x40
	s_load_dwordx4 s[16:19], s[4:5], 0x28
	s_mov_b32 s1, 0
	s_lshl_b64 s[8:9], s[0:1], 3
	s_waitcnt lgkmcnt(0)
	s_add_u32 s2, s2, s8
	s_addc_u32 s3, s3, s9
	s_lshr_b64 s[8:9], s[18:19], 9
	s_load_dwordx4 s[20:23], s[2:3], 0x0
	s_and_b32 s2, s8, -2
	s_sub_i32 s36, 0, s2
	s_and_b32 s8, s0, s36
	s_mov_b32 s9, s1
	s_lshl_b64 s[2:3], s[8:9], 10
	s_lshl_b64 s[24:25], s[0:1], 10
	s_sub_u32 s7, s24, s2
	s_subb_u32 s10, s25, s3
	s_lshl_b64 s[8:9], s[8:9], 11
	s_add_u32 s31, s8, s18
	s_addc_u32 s33, s9, s19
	s_add_u32 s7, s31, s7
	s_addc_u32 s30, s33, s10
	s_waitcnt lgkmcnt(0)
	s_sub_u32 s8, s7, s22
	s_subb_u32 s9, s30, s23
	s_add_u32 s34, s8, 0x400
	s_addc_u32 s35, s9, 0
	v_mov_b32_e32 v1, s34
	v_mov_b32_e32 v2, s35
	v_cmp_lt_u64_e32 vcc, s[16:17], v[1:2]
	s_load_dwordx8 s[8:15], s[4:5], 0x8
	s_and_b64 s[4:5], vcc, exec
	s_cselect_b32 s29, s16, s34
	s_or_b32 s4, s0, s36
	s_cmp_lg_u32 s4, -1
	s_cbranch_scc1 .LBB2015_3
; %bb.2:
	s_sub_u32 s2, s31, s2
	s_subb_u32 s3, s33, s3
	v_mov_b32_e32 v1, s2
	v_mov_b32_e32 v2, s3
	v_cmp_lt_u64_e32 vcc, s[16:17], v[1:2]
	s_and_b64 s[4:5], vcc, exec
	s_cselect_b32 s22, s16, s2
	s_add_u32 s2, s2, s18
	s_addc_u32 s3, s3, s19
	v_mov_b32_e32 v1, s2
	v_mov_b32_e32 v2, s3
	v_cmp_lt_u64_e32 vcc, s[16:17], v[1:2]
	s_and_b64 s[4:5], vcc, exec
	s_cselect_b32 s29, s16, s2
.LBB2015_3:
	s_lshr_b64 s[4:5], s[16:17], 10
	s_cmp_lg_u64 s[4:5], s[0:1]
	s_cselect_b64 s[18:19], -1, 0
	s_sub_u32 s2, s7, s20
	s_subb_u32 s3, s30, s21
	v_mov_b32_e32 v1, s2
	v_mov_b32_e32 v2, s3
	v_cmp_lt_u64_e32 vcc, s[16:17], v[1:2]
	v_mov_b32_e32 v2, 0
	s_and_b64 s[30:31], vcc, exec
	s_cselect_b32 s3, s17, s3
	s_cselect_b32 s2, s16, s2
	s_sub_i32 s17, s22, s20
	s_lshl_b64 s[22:23], s[20:21], 1
	s_waitcnt lgkmcnt(0)
	s_add_u32 s22, s8, s22
	s_addc_u32 s23, s9, s23
	s_lshl_b64 s[30:31], s[2:3], 1
	s_add_u32 s7, s8, s30
	global_load_dword v1, v2, s[26:27] offset:14
	s_addc_u32 s8, s9, s31
	s_cmp_lt_u32 s6, s28
	s_cselect_b32 s6, 12, 18
	s_add_u32 s26, s26, s6
	s_addc_u32 s27, s27, 0
	global_load_ushort v3, v2, s[26:27]
	s_cmp_eq_u64 s[4:5], s[0:1]
	v_lshlrev_b32_e32 v13, 1, v0
	s_waitcnt vmcnt(1)
	v_lshrrev_b32_e32 v4, 16, v1
	v_and_b32_e32 v1, 0xffff, v1
	v_mul_lo_u32 v1, v1, v4
	s_waitcnt vmcnt(0)
	v_mul_lo_u32 v18, v1, v3
	v_add_u32_e32 v11, v18, v0
	v_add_u32_e32 v9, v11, v18
	s_cbranch_scc1 .LBB2015_5
; %bb.4:
	v_mov_b32_e32 v1, s23
	v_add_co_u32_e32 v5, vcc, s22, v13
	v_addc_co_u32_e32 v6, vcc, 0, v1, vcc
	v_subrev_co_u32_e32 v1, vcc, s17, v0
	v_lshlrev_b64 v[3:4], 1, v[1:2]
	v_mov_b32_e32 v1, s8
	v_add_co_u32_e64 v3, s[0:1], s7, v3
	v_addc_co_u32_e64 v1, s[0:1], v1, v4, s[0:1]
	v_cndmask_b32_e32 v4, v1, v6, vcc
	v_cndmask_b32_e32 v3, v3, v5, vcc
	v_mov_b32_e32 v12, v2
	global_load_ushort v15, v[3:4], off
	v_lshlrev_b64 v[3:4], 1, v[11:12]
	v_mov_b32_e32 v1, s23
	v_add_co_u32_e32 v5, vcc, s22, v3
	v_addc_co_u32_e32 v6, vcc, v1, v4, vcc
	v_subrev_co_u32_e32 v1, vcc, s17, v11
	v_lshlrev_b64 v[3:4], 1, v[1:2]
	v_mov_b32_e32 v1, s8
	v_add_co_u32_e64 v3, s[0:1], s7, v3
	v_addc_co_u32_e64 v1, s[0:1], v1, v4, s[0:1]
	v_cndmask_b32_e32 v4, v1, v6, vcc
	v_cndmask_b32_e32 v3, v3, v5, vcc
	v_mov_b32_e32 v10, v2
	global_load_ushort v16, v[3:4], off
	v_lshlrev_b64 v[3:4], 1, v[9:10]
	v_mov_b32_e32 v1, s23
	v_add_co_u32_e32 v3, vcc, s22, v3
	v_addc_co_u32_e32 v4, vcc, v1, v4, vcc
	v_subrev_co_u32_e32 v1, vcc, s17, v9
	v_lshlrev_b64 v[1:2], 1, v[1:2]
	v_mov_b32_e32 v5, s8
	v_add_co_u32_e64 v1, s[0:1], s7, v1
	v_addc_co_u32_e64 v2, s[0:1], v5, v2, s[0:1]
	v_cndmask_b32_e32 v2, v2, v4, vcc
	v_cndmask_b32_e32 v1, v1, v3, vcc
	global_load_ushort v17, v[1:2], off
	v_add_u32_e32 v1, v9, v18
	s_mov_b64 s[0:1], -1
	s_sub_i32 s6, s29, s2
	s_cbranch_execz .LBB2015_6
	s_branch .LBB2015_13
.LBB2015_5:
	s_mov_b64 s[0:1], 0
                                        ; implicit-def: $vgpr1
                                        ; implicit-def: $vgpr17
                                        ; implicit-def: $vgpr16
                                        ; implicit-def: $vgpr15
	s_sub_i32 s6, s29, s2
.LBB2015_6:
	s_add_i32 s9, s17, s6
	v_cmp_gt_u32_e32 vcc, s9, v0
                                        ; implicit-def: $vgpr15
	s_and_saveexec_b64 s[4:5], vcc
	s_cbranch_execz .LBB2015_8
; %bb.7:
	v_mov_b32_e32 v1, s23
	v_add_co_u32_e32 v3, vcc, s22, v13
	v_addc_co_u32_e32 v4, vcc, 0, v1, vcc
	v_subrev_co_u32_e32 v1, vcc, s17, v0
	v_mov_b32_e32 v2, 0
	v_lshlrev_b64 v[1:2], 1, v[1:2]
	v_mov_b32_e32 v5, s8
	v_add_co_u32_e64 v1, s[0:1], s7, v1
	v_addc_co_u32_e64 v2, s[0:1], v5, v2, s[0:1]
	v_cndmask_b32_e32 v2, v2, v4, vcc
	v_cndmask_b32_e32 v1, v1, v3, vcc
	global_load_ushort v15, v[1:2], off
.LBB2015_8:
	s_or_b64 exec, exec, s[4:5]
	v_cmp_gt_u32_e32 vcc, s9, v11
                                        ; implicit-def: $vgpr16
	s_and_saveexec_b64 s[4:5], vcc
	s_cbranch_execz .LBB2015_10
; %bb.9:
	v_mov_b32_e32 v12, 0
	v_lshlrev_b64 v[1:2], 1, v[11:12]
	v_mov_b32_e32 v3, s23
	v_add_co_u32_e32 v4, vcc, s22, v1
	v_addc_co_u32_e32 v3, vcc, v3, v2, vcc
	v_subrev_co_u32_e32 v1, vcc, s17, v11
	v_mov_b32_e32 v2, v12
	v_lshlrev_b64 v[1:2], 1, v[1:2]
	v_mov_b32_e32 v5, s8
	v_add_co_u32_e64 v1, s[0:1], s7, v1
	v_addc_co_u32_e64 v2, s[0:1], v5, v2, s[0:1]
	v_cndmask_b32_e32 v2, v2, v3, vcc
	v_cndmask_b32_e32 v1, v1, v4, vcc
	global_load_ushort v16, v[1:2], off
.LBB2015_10:
	s_or_b64 exec, exec, s[4:5]
	v_cmp_gt_u32_e32 vcc, s9, v9
                                        ; implicit-def: $vgpr17
	s_and_saveexec_b64 s[4:5], vcc
	s_cbranch_execz .LBB2015_12
; %bb.11:
	v_mov_b32_e32 v10, 0
	v_lshlrev_b64 v[1:2], 1, v[9:10]
	v_mov_b32_e32 v3, s23
	v_add_co_u32_e32 v4, vcc, s22, v1
	v_addc_co_u32_e32 v3, vcc, v3, v2, vcc
	v_subrev_co_u32_e32 v1, vcc, s17, v9
	v_mov_b32_e32 v2, v10
	v_lshlrev_b64 v[1:2], 1, v[1:2]
	v_mov_b32_e32 v5, s8
	v_add_co_u32_e64 v1, s[0:1], s7, v1
	v_addc_co_u32_e64 v2, s[0:1], v5, v2, s[0:1]
	v_cndmask_b32_e32 v2, v2, v3, vcc
	v_cndmask_b32_e32 v1, v1, v4, vcc
	global_load_ushort v17, v[1:2], off
.LBB2015_12:
	s_or_b64 exec, exec, s[4:5]
	v_add_u32_e32 v1, v9, v18
	v_cmp_gt_u32_e64 s[0:1], s9, v1
.LBB2015_13:
                                        ; implicit-def: $vgpr19
	s_and_saveexec_b64 s[4:5], s[0:1]
	s_cbranch_execz .LBB2015_15
; %bb.14:
	v_mov_b32_e32 v2, 0
	v_lshlrev_b64 v[3:4], 1, v[1:2]
	v_mov_b32_e32 v5, s23
	v_add_co_u32_e32 v3, vcc, s22, v3
	v_addc_co_u32_e32 v4, vcc, v5, v4, vcc
	v_subrev_co_u32_e32 v1, vcc, s17, v1
	v_lshlrev_b64 v[1:2], 1, v[1:2]
	v_mov_b32_e32 v5, s8
	v_add_co_u32_e64 v1, s[0:1], s7, v1
	v_addc_co_u32_e64 v2, s[0:1], v5, v2, s[0:1]
	v_cndmask_b32_e32 v2, v2, v4, vcc
	v_cndmask_b32_e32 v1, v1, v3, vcc
	global_load_ushort v19, v[1:2], off
.LBB2015_15:
	s_or_b64 exec, exec, s[4:5]
	s_lshl_b64 s[0:1], s[20:21], 3
	s_add_u32 s5, s12, s0
	s_addc_u32 s8, s13, s1
	s_lshl_b64 s[0:1], s[2:3], 3
	s_add_u32 s4, s12, s0
	v_mov_b32_e32 v7, 0
	s_addc_u32 s7, s13, s1
	s_andn2_b64 vcc, exec, s[18:19]
	v_lshlrev_b32_e32 v14, 3, v0
	s_waitcnt vmcnt(0)
	ds_write_b16 v13, v15
	ds_write_b16 v13, v16 offset:512
	ds_write_b16 v13, v17 offset:1024
	;; [unrolled: 1-line block ×3, first 2 shown]
	s_cbranch_vccnz .LBB2015_17
; %bb.16:
	v_mov_b32_e32 v1, s8
	v_add_co_u32_e32 v3, vcc, s5, v14
	v_addc_co_u32_e32 v4, vcc, 0, v1, vcc
	v_subrev_co_u32_e32 v6, vcc, s17, v0
	v_lshlrev_b64 v[1:2], 3, v[6:7]
	v_mov_b32_e32 v5, s7
	v_add_co_u32_e64 v1, s[0:1], s4, v1
	v_addc_co_u32_e64 v2, s[0:1], v5, v2, s[0:1]
	v_mov_b32_e32 v12, v7
	v_cndmask_b32_e32 v2, v2, v4, vcc
	v_cndmask_b32_e32 v1, v1, v3, vcc
	v_lshlrev_b64 v[3:4], 3, v[11:12]
	v_mov_b32_e32 v5, s8
	v_add_co_u32_e32 v8, vcc, s5, v3
	v_addc_co_u32_e32 v5, vcc, v5, v4, vcc
	v_subrev_co_u32_e32 v6, vcc, s17, v11
	v_lshlrev_b64 v[3:4], 3, v[6:7]
	v_mov_b32_e32 v6, s7
	v_add_co_u32_e64 v3, s[0:1], s4, v3
	v_addc_co_u32_e64 v4, s[0:1], v6, v4, s[0:1]
	v_mov_b32_e32 v10, v7
	v_cndmask_b32_e32 v4, v4, v5, vcc
	v_lshlrev_b64 v[5:6], 3, v[9:10]
	v_cndmask_b32_e32 v3, v3, v8, vcc
	v_mov_b32_e32 v8, s8
	v_add_co_u32_e32 v10, vcc, s5, v5
	v_addc_co_u32_e32 v8, vcc, v8, v6, vcc
	v_subrev_co_u32_e32 v6, vcc, s17, v9
	v_lshlrev_b64 v[5:6], 3, v[6:7]
	v_mov_b32_e32 v12, s7
	v_add_co_u32_e64 v5, s[0:1], s4, v5
	v_addc_co_u32_e64 v6, s[0:1], v12, v6, s[0:1]
	v_cndmask_b32_e32 v6, v6, v8, vcc
	v_cndmask_b32_e32 v5, v5, v10, vcc
	global_load_dwordx2 v[1:2], v[1:2], off
	s_add_i32 s9, s17, s6
	global_load_dwordx2 v[3:4], v[3:4], off
	v_mov_b32_e32 v8, v7
	global_load_dwordx2 v[5:6], v[5:6], off
	v_add_u32_e32 v10, v9, v18
	s_mov_b64 s[0:1], -1
	v_mov_b32_e32 v12, s9
	s_cbranch_execz .LBB2015_18
	s_branch .LBB2015_23
.LBB2015_17:
	s_mov_b64 s[0:1], 0
                                        ; implicit-def: $vgpr10
                                        ; implicit-def: $vgpr1_vgpr2_vgpr3_vgpr4_vgpr5_vgpr6_vgpr7_vgpr8
                                        ; implicit-def: $vgpr12
.LBB2015_18:
	s_add_i32 s9, s17, s6
	s_waitcnt vmcnt(2)
	v_mov_b32_e32 v1, 0
	v_cmp_gt_u32_e32 vcc, s9, v0
	v_mov_b32_e32 v2, v1
	s_waitcnt vmcnt(1)
	v_mov_b32_e32 v3, v1
	v_mov_b32_e32 v4, v1
	s_waitcnt vmcnt(0)
	v_mov_b32_e32 v5, v1
	v_mov_b32_e32 v6, v1
	;; [unrolled: 1-line block ×4, first 2 shown]
	s_and_saveexec_b64 s[2:3], vcc
	s_cbranch_execz .LBB2015_37
; %bb.19:
	v_mov_b32_e32 v2, s8
	v_add_co_u32_e32 v4, vcc, s5, v14
	v_addc_co_u32_e32 v5, vcc, 0, v2, vcc
	v_subrev_co_u32_e32 v2, vcc, s17, v0
	v_mov_b32_e32 v3, v1
	v_lshlrev_b64 v[2:3], 3, v[2:3]
	v_mov_b32_e32 v6, s7
	v_add_co_u32_e64 v2, s[0:1], s4, v2
	v_addc_co_u32_e64 v3, s[0:1], v6, v3, s[0:1]
	v_cndmask_b32_e32 v3, v3, v5, vcc
	v_cndmask_b32_e32 v2, v2, v4, vcc
	global_load_dwordx2 v[20:21], v[2:3], off
	v_mov_b32_e32 v22, v1
	v_mov_b32_e32 v23, v1
	;; [unrolled: 1-line block ×6, first 2 shown]
	s_waitcnt vmcnt(0)
	v_mov_b32_e32 v1, v20
	v_mov_b32_e32 v2, v21
	;; [unrolled: 1-line block ×8, first 2 shown]
	s_or_b64 exec, exec, s[2:3]
	v_cmp_gt_u32_e32 vcc, s9, v11
	s_and_saveexec_b64 s[2:3], vcc
	s_cbranch_execnz .LBB2015_38
.LBB2015_20:
	s_or_b64 exec, exec, s[2:3]
	v_cmp_gt_u32_e32 vcc, s9, v9
	s_and_saveexec_b64 s[2:3], vcc
	s_cbranch_execz .LBB2015_22
.LBB2015_21:
	v_mov_b32_e32 v10, 0
	v_lshlrev_b64 v[5:6], 3, v[9:10]
	v_mov_b32_e32 v11, s8
	v_add_co_u32_e32 v12, vcc, s5, v5
	v_addc_co_u32_e32 v11, vcc, v11, v6, vcc
	v_subrev_co_u32_e32 v5, vcc, s17, v9
	v_mov_b32_e32 v6, v10
	v_lshlrev_b64 v[5:6], 3, v[5:6]
	v_mov_b32_e32 v10, s7
	v_add_co_u32_e64 v5, s[0:1], s4, v5
	v_addc_co_u32_e64 v6, s[0:1], v10, v6, s[0:1]
	v_cndmask_b32_e32 v6, v6, v11, vcc
	v_cndmask_b32_e32 v5, v5, v12, vcc
	global_load_dwordx2 v[5:6], v[5:6], off
.LBB2015_22:
	s_or_b64 exec, exec, s[2:3]
	v_add_u32_e32 v10, v9, v18
	v_cmp_gt_u32_e64 s[0:1], s9, v10
	v_mov_b32_e32 v12, s9
.LBB2015_23:
	s_and_saveexec_b64 s[2:3], s[0:1]
	s_cbranch_execz .LBB2015_25
; %bb.24:
	v_mov_b32_e32 v8, 0
	v_mov_b32_e32 v11, v8
	v_lshlrev_b64 v[20:21], 3, v[10:11]
	v_mov_b32_e32 v7, s8
	v_add_co_u32_e32 v9, vcc, s5, v20
	v_addc_co_u32_e32 v11, vcc, v7, v21, vcc
	v_subrev_co_u32_e32 v7, vcc, s17, v10
	v_lshlrev_b64 v[7:8], 3, v[7:8]
	v_mov_b32_e32 v10, s7
	v_add_co_u32_e64 v7, s[0:1], s4, v7
	v_addc_co_u32_e64 v8, s[0:1], v10, v8, s[0:1]
	v_cndmask_b32_e32 v8, v8, v11, vcc
	v_cndmask_b32_e32 v7, v7, v9, vcc
	global_load_dwordx2 v[7:8], v[7:8], off
.LBB2015_25:
	s_or_b64 exec, exec, s[2:3]
	v_lshlrev_b32_e32 v11, 2, v0
	v_min_u32_e32 v10, v12, v11
	v_sub_u32_e64 v9, v10, s6 clamp
	v_min_u32_e32 v18, s17, v10
	v_cmp_lt_u32_e32 vcc, v9, v18
	s_waitcnt vmcnt(0) lgkmcnt(0)
	s_barrier
	s_and_saveexec_b64 s[0:1], vcc
	s_cbranch_execz .LBB2015_29
; %bb.26:
	v_lshlrev_b32_e32 v20, 1, v10
	v_lshl_add_u32 v20, s17, 1, v20
	s_mov_b64 s[2:3], 0
.LBB2015_27:                            ; =>This Inner Loop Header: Depth=1
	v_add_u32_e32 v21, v18, v9
	v_lshrrev_b32_e32 v22, 1, v21
	v_not_b32_e32 v23, v22
	v_and_b32_e32 v21, -2, v21
	v_lshl_add_u32 v23, v23, 1, v20
	ds_read_u16 v21, v21
	ds_read_u16 v23, v23
	v_add_u32_e32 v24, 1, v22
	s_waitcnt lgkmcnt(1)
	v_lshlrev_b32_e32 v21, 16, v21
	s_waitcnt lgkmcnt(0)
	v_lshlrev_b32_e32 v23, 16, v23
	v_cmp_lt_f32_e32 vcc, v23, v21
	v_cndmask_b32_e32 v18, v18, v22, vcc
	v_cndmask_b32_e32 v9, v24, v9, vcc
	v_cmp_ge_u32_e32 vcc, v9, v18
	s_or_b64 s[2:3], vcc, s[2:3]
	s_andn2_b64 exec, exec, s[2:3]
	s_cbranch_execnz .LBB2015_27
; %bb.28:
	s_or_b64 exec, exec, s[2:3]
.LBB2015_29:
	s_or_b64 exec, exec, s[0:1]
	v_sub_u32_e32 v10, v10, v9
	v_add_u32_e32 v21, s17, v10
	v_cmp_ge_u32_e32 vcc, s17, v9
	v_cmp_le_u32_e64 s[0:1], v21, v12
	s_or_b64 s[0:1], vcc, s[0:1]
	v_mov_b32_e32 v22, 0
	v_mov_b32_e32 v20, 0
	;; [unrolled: 1-line block ×4, first 2 shown]
	s_and_saveexec_b64 s[8:9], s[0:1]
	s_cbranch_execz .LBB2015_35
; %bb.30:
	v_cmp_gt_u32_e32 vcc, s17, v9
                                        ; implicit-def: $vgpr15
	s_and_saveexec_b64 s[0:1], vcc
; %bb.31:
	v_lshlrev_b32_e32 v10, 1, v9
	ds_read_u16 v15, v10
; %bb.32:
	s_or_b64 exec, exec, s[0:1]
	v_cmp_ge_u32_e64 s[0:1], v21, v12
	v_cmp_lt_u32_e64 s[2:3], v21, v12
                                        ; implicit-def: $vgpr16
	s_and_saveexec_b64 s[4:5], s[2:3]
; %bb.33:
	v_lshlrev_b32_e32 v10, 1, v21
	ds_read_u16 v16, v10
; %bb.34:
	s_or_b64 exec, exec, s[4:5]
	s_waitcnt lgkmcnt(0)
	v_lshlrev_b32_e32 v10, 16, v15
	v_lshlrev_b32_e32 v17, 16, v16
	v_cmp_nlt_f32_e64 s[2:3], v17, v10
	s_and_b64 s[2:3], vcc, s[2:3]
	s_or_b64 vcc, s[0:1], s[2:3]
	v_mov_b32_e32 v17, s17
	v_cndmask_b32_e32 v10, v21, v9, vcc
	v_cndmask_b32_e32 v18, v12, v17, vcc
	v_add_u32_e32 v19, 1, v10
	v_add_u32_e32 v18, -1, v18
	v_min_u32_e32 v18, v19, v18
	v_lshlrev_b32_e32 v18, 1, v18
	ds_read_u16 v18, v18
	v_cndmask_b32_e32 v20, v19, v21, vcc
	v_cndmask_b32_e32 v9, v9, v19, vcc
	v_cmp_gt_u32_e64 s[2:3], s17, v9
	v_cmp_ge_u32_e64 s[0:1], v20, v12
	s_waitcnt lgkmcnt(0)
	v_cndmask_b32_e32 v22, v18, v16, vcc
	v_cndmask_b32_e32 v23, v15, v18, vcc
	v_lshlrev_b32_e32 v18, 16, v22
	v_lshlrev_b32_e32 v19, 16, v23
	v_cmp_nlt_f32_e64 s[4:5], v18, v19
	s_and_b64 s[2:3], s[2:3], s[4:5]
	s_or_b64 s[0:1], s[0:1], s[2:3]
	v_cndmask_b32_e64 v18, v20, v9, s[0:1]
	v_cndmask_b32_e64 v19, v12, v17, s[0:1]
	v_add_u32_e32 v21, 1, v18
	v_add_u32_e32 v19, -1, v19
	v_min_u32_e32 v19, v21, v19
	v_lshlrev_b32_e32 v19, 1, v19
	ds_read_u16 v19, v19
	v_cndmask_b32_e64 v25, v21, v20, s[0:1]
	v_cndmask_b32_e64 v9, v9, v21, s[0:1]
	v_cmp_gt_u32_e64 s[4:5], s17, v9
	v_cmp_ge_u32_e64 s[2:3], v25, v12
	s_waitcnt lgkmcnt(0)
	v_cndmask_b32_e64 v24, v19, v22, s[0:1]
	v_cndmask_b32_e64 v19, v23, v19, s[0:1]
	v_lshlrev_b32_e32 v20, 16, v24
	v_lshlrev_b32_e32 v21, 16, v19
	v_cmp_nlt_f32_e64 s[6:7], v20, v21
	s_and_b64 s[4:5], s[4:5], s[6:7]
	s_or_b64 s[2:3], s[2:3], s[4:5]
	v_cndmask_b32_e64 v20, v25, v9, s[2:3]
	v_cndmask_b32_e64 v17, v12, v17, s[2:3]
	v_add_u32_e32 v21, 1, v20
	v_add_u32_e32 v17, -1, v17
	v_min_u32_e32 v17, v21, v17
	v_lshlrev_b32_e32 v17, 1, v17
	ds_read_u16 v26, v17
	v_cndmask_b32_e32 v15, v16, v15, vcc
	v_cndmask_b32_e64 v16, v22, v23, s[0:1]
	v_cndmask_b32_e64 v17, v24, v19, s[2:3]
	;; [unrolled: 1-line block ×3, first 2 shown]
	s_waitcnt lgkmcnt(0)
	v_cndmask_b32_e64 v23, v26, v24, s[2:3]
	v_cndmask_b32_e64 v19, v19, v26, s[2:3]
	;; [unrolled: 1-line block ×3, first 2 shown]
	v_cmp_ge_u32_e32 vcc, v22, v12
	v_lshlrev_b32_e32 v12, 16, v23
	v_lshlrev_b32_e32 v21, 16, v19
	v_cmp_gt_u32_e64 s[0:1], s17, v9
	v_cmp_nlt_f32_e64 s[2:3], v12, v21
	s_and_b64 s[0:1], s[0:1], s[2:3]
	s_or_b64 vcc, vcc, s[0:1]
	v_cndmask_b32_e32 v22, v22, v9, vcc
	v_cndmask_b32_e32 v19, v23, v19, vcc
.LBB2015_35:
	s_or_b64 exec, exec, s[8:9]
	v_mad_u32_u24 v9, v0, 6, v13
	s_barrier
	ds_write2st64_b64 v9, v[1:2], v[3:4] offset1:4
	ds_write2st64_b64 v9, v[5:6], v[7:8] offset0:8 offset1:12
	v_lshrrev_b32_e32 v9, 2, v0
	v_and_b32_e32 v9, 60, v9
	s_mov_b32 s2, 0x5040100
	v_lshlrev_b32_e32 v1, 3, v10
	v_lshlrev_b32_e32 v2, 3, v18
	;; [unrolled: 1-line block ×4, first 2 shown]
	v_lshl_add_u32 v9, v11, 1, v9
	v_perm_b32 v10, v19, v17, s2
	v_perm_b32 v12, v16, v15, s2
	s_waitcnt lgkmcnt(0)
	s_barrier
	ds_read_b64 v[5:6], v1
	ds_read_b64 v[7:8], v2
	;; [unrolled: 1-line block ×4, first 2 shown]
	s_waitcnt lgkmcnt(0)
	s_barrier
	s_barrier
	ds_write2_b32 v9, v12, v10 offset1:1
	v_lshrrev_b32_e32 v9, 4, v0
	v_and_b32_e32 v9, 12, v9
	v_or_b32_e32 v22, 0x100, v0
	v_add_u32_e32 v23, v9, v13
	v_lshrrev_b32_e32 v9, 4, v22
	v_and_b32_e32 v9, 28, v9
	v_or_b32_e32 v21, 0x200, v0
	v_add_u32_e32 v24, v9, v13
	v_lshrrev_b32_e32 v9, 4, v21
	s_lshl_b64 s[0:1], s[24:25], 1
	v_and_b32_e32 v9, 44, v9
	v_or_b32_e32 v20, 0x300, v0
	s_add_u32 s0, s10, s0
	v_add_u32_e32 v25, v9, v13
	v_lshrrev_b32_e32 v9, 4, v20
	s_addc_u32 s1, s11, s1
	v_and_b32_e32 v9, 60, v9
	v_add_u32_e32 v26, v9, v13
	v_mov_b32_e32 v10, s1
	v_add_co_u32_e32 v9, vcc, s0, v13
	v_addc_co_u32_e32 v10, vcc, 0, v10, vcc
	v_lshrrev_b32_e32 v18, 3, v0
	v_lshrrev_b32_e32 v15, 5, v0
	;; [unrolled: 1-line block ×5, first 2 shown]
	s_and_b64 vcc, exec, s[18:19]
	v_lshlrev_b32_e32 v13, 3, v11
	s_waitcnt lgkmcnt(0)
	s_cbranch_vccz .LBB2015_39
; %bb.36:
	s_barrier
	ds_read_u16 v11, v23
	ds_read_u16 v12, v24 offset:512
	ds_read_u16 v27, v25 offset:1024
	;; [unrolled: 1-line block ×3, first 2 shown]
	s_lshl_b64 s[0:1], s[24:25], 3
	s_add_u32 s0, s14, s0
	s_waitcnt lgkmcnt(3)
	global_store_short v[9:10], v11, off
	s_waitcnt lgkmcnt(2)
	global_store_short v[9:10], v12, off offset:512
	s_waitcnt lgkmcnt(1)
	global_store_short v[9:10], v27, off offset:1024
	;; [unrolled: 2-line block ×3, first 2 shown]
	v_lshl_add_u32 v11, v18, 3, v13
	s_waitcnt vmcnt(0)
	s_barrier
	ds_write2_b64 v11, v[5:6], v[7:8] offset1:1
	ds_write2_b64 v11, v[1:2], v[3:4] offset0:2 offset1:3
	v_lshl_add_u32 v11, v15, 3, v14
	v_lshl_add_u32 v12, v16, 3, v14
	;; [unrolled: 1-line block ×3, first 2 shown]
	s_addc_u32 s1, s15, s1
	s_waitcnt lgkmcnt(0)
	s_barrier
	v_lshl_add_u32 v33, v19, 3, v14
	ds_read_b64 v[27:28], v11
	ds_read_b64 v[29:30], v12 offset:2048
	ds_read_b64 v[31:32], v31 offset:4096
	;; [unrolled: 1-line block ×3, first 2 shown]
	v_mov_b32_e32 v33, s1
	v_add_co_u32_e32 v34, vcc, s0, v14
	v_addc_co_u32_e32 v33, vcc, 0, v33, vcc
	s_waitcnt lgkmcnt(3)
	global_store_dwordx2 v14, v[27:28], s[0:1]
	s_waitcnt lgkmcnt(2)
	global_store_dwordx2 v14, v[29:30], s[0:1] offset:2048
	v_add_co_u32_e32 v27, vcc, 0x1000, v34
	v_addc_co_u32_e32 v28, vcc, 0, v33, vcc
	s_waitcnt lgkmcnt(1)
	global_store_dwordx2 v[27:28], v[31:32], off
	s_mov_b64 s[6:7], -1
	s_cbranch_execz .LBB2015_40
	s_branch .LBB2015_53
.LBB2015_37:
	s_or_b64 exec, exec, s[2:3]
	v_cmp_gt_u32_e32 vcc, s9, v11
	s_and_saveexec_b64 s[2:3], vcc
	s_cbranch_execz .LBB2015_20
.LBB2015_38:
	v_mov_b32_e32 v12, 0
	v_lshlrev_b64 v[3:4], 3, v[11:12]
	v_mov_b32_e32 v10, s8
	v_add_co_u32_e32 v20, vcc, s5, v3
	v_addc_co_u32_e32 v10, vcc, v10, v4, vcc
	v_subrev_co_u32_e32 v11, vcc, s17, v11
	v_lshlrev_b64 v[3:4], 3, v[11:12]
	v_mov_b32_e32 v11, s7
	v_add_co_u32_e64 v3, s[0:1], s4, v3
	v_addc_co_u32_e64 v4, s[0:1], v11, v4, s[0:1]
	v_cndmask_b32_e32 v4, v4, v10, vcc
	v_cndmask_b32_e32 v3, v3, v20, vcc
	global_load_dwordx2 v[3:4], v[3:4], off
	s_or_b64 exec, exec, s[2:3]
	v_cmp_gt_u32_e32 vcc, s9, v9
	s_and_saveexec_b64 s[2:3], vcc
	s_cbranch_execnz .LBB2015_21
	s_branch .LBB2015_22
.LBB2015_39:
	s_mov_b64 s[6:7], 0
                                        ; implicit-def: $vgpr11_vgpr12
.LBB2015_40:
	s_waitcnt vmcnt(0) lgkmcnt(0)
	s_barrier
	ds_read_u16 v24, v24 offset:512
	ds_read_u16 v12, v25 offset:1024
	;; [unrolled: 1-line block ×3, first 2 shown]
	s_sub_i32 s6, s16, s24
	v_cmp_gt_u32_e32 vcc, s6, v0
	s_and_saveexec_b64 s[0:1], vcc
	s_cbranch_execz .LBB2015_44
; %bb.41:
	ds_read_u16 v0, v23
	s_waitcnt lgkmcnt(0)
	global_store_short v[9:10], v0, off
	s_or_b64 exec, exec, s[0:1]
	v_cmp_gt_u32_e64 s[0:1], s6, v22
	s_and_saveexec_b64 s[2:3], s[0:1]
	s_cbranch_execnz .LBB2015_45
.LBB2015_42:
	s_or_b64 exec, exec, s[2:3]
	v_cmp_gt_u32_e64 s[2:3], s6, v21
	s_and_saveexec_b64 s[4:5], s[2:3]
	s_cbranch_execz .LBB2015_46
.LBB2015_43:
	s_waitcnt lgkmcnt(1)
	global_store_short v[9:10], v12, off offset:1024
	s_or_b64 exec, exec, s[4:5]
	v_cmp_gt_u32_e64 s[6:7], s6, v20
	s_and_saveexec_b64 s[4:5], s[6:7]
	s_cbranch_execnz .LBB2015_47
	s_branch .LBB2015_48
.LBB2015_44:
	s_or_b64 exec, exec, s[0:1]
	v_cmp_gt_u32_e64 s[0:1], s6, v22
	s_and_saveexec_b64 s[2:3], s[0:1]
	s_cbranch_execz .LBB2015_42
.LBB2015_45:
	s_waitcnt lgkmcnt(2)
	global_store_short v[9:10], v24, off offset:512
	s_or_b64 exec, exec, s[2:3]
	v_cmp_gt_u32_e64 s[2:3], s6, v21
	s_and_saveexec_b64 s[4:5], s[2:3]
	s_cbranch_execnz .LBB2015_43
.LBB2015_46:
	s_or_b64 exec, exec, s[4:5]
	v_cmp_gt_u32_e64 s[6:7], s6, v20
	s_and_saveexec_b64 s[4:5], s[6:7]
	s_cbranch_execz .LBB2015_48
.LBB2015_47:
	s_waitcnt lgkmcnt(0)
	global_store_short v[9:10], v11, off offset:1536
.LBB2015_48:
	s_or_b64 exec, exec, s[4:5]
	v_lshl_add_u32 v0, v18, 3, v13
	s_waitcnt vmcnt(0) lgkmcnt(0)
	s_barrier
	ds_write2_b64 v0, v[5:6], v[7:8] offset1:1
	ds_write2_b64 v0, v[1:2], v[3:4] offset0:2 offset1:3
	v_lshl_add_u32 v0, v16, 3, v14
	v_lshl_add_u32 v1, v17, 3, v14
	s_waitcnt lgkmcnt(0)
	s_barrier
	v_lshl_add_u32 v2, v19, 3, v14
	ds_read_b64 v[4:5], v0 offset:2048
	ds_read_b64 v[0:1], v1 offset:4096
	;; [unrolled: 1-line block ×3, first 2 shown]
	s_lshl_b64 s[4:5], s[24:25], 3
	s_add_u32 s4, s14, s4
	s_addc_u32 s5, s15, s5
	v_mov_b32_e32 v3, s5
	v_add_co_u32_e64 v2, s[4:5], s4, v14
	v_addc_co_u32_e64 v3, s[4:5], 0, v3, s[4:5]
	s_and_saveexec_b64 s[4:5], vcc
	s_cbranch_execz .LBB2015_56
; %bb.49:
	v_lshl_add_u32 v6, v15, 3, v14
	ds_read_b64 v[6:7], v6
	s_waitcnt lgkmcnt(0)
	global_store_dwordx2 v[2:3], v[6:7], off
	s_or_b64 exec, exec, s[4:5]
	s_and_saveexec_b64 s[4:5], s[0:1]
	s_cbranch_execnz .LBB2015_57
.LBB2015_50:
	s_or_b64 exec, exec, s[4:5]
	s_and_saveexec_b64 s[0:1], s[2:3]
	s_cbranch_execz .LBB2015_52
.LBB2015_51:
	v_add_co_u32_e32 v2, vcc, 0x1000, v2
	v_addc_co_u32_e32 v3, vcc, 0, v3, vcc
	s_waitcnt lgkmcnt(1)
	global_store_dwordx2 v[2:3], v[0:1], off
.LBB2015_52:
	s_or_b64 exec, exec, s[0:1]
.LBB2015_53:
	s_and_saveexec_b64 s[0:1], s[6:7]
	s_cbranch_execz .LBB2015_55
; %bb.54:
	s_lshl_b64 s[0:1], s[24:25], 3
	s_add_u32 s0, s14, s0
	s_addc_u32 s1, s15, s1
	s_waitcnt lgkmcnt(1)
	v_mov_b32_e32 v0, s1
	v_add_co_u32_e32 v1, vcc, s0, v14
	v_addc_co_u32_e32 v2, vcc, 0, v0, vcc
	v_add_co_u32_e32 v0, vcc, 0x1000, v1
	v_addc_co_u32_e32 v1, vcc, 0, v2, vcc
	s_waitcnt lgkmcnt(0)
	global_store_dwordx2 v[0:1], v[11:12], off offset:2048
.LBB2015_55:
	s_endpgm
.LBB2015_56:
	s_or_b64 exec, exec, s[4:5]
	s_and_saveexec_b64 s[4:5], s[0:1]
	s_cbranch_execz .LBB2015_50
.LBB2015_57:
	s_waitcnt lgkmcnt(2)
	global_store_dwordx2 v[2:3], v[4:5], off offset:2048
	s_or_b64 exec, exec, s[4:5]
	s_and_saveexec_b64 s[0:1], s[2:3]
	s_cbranch_execnz .LBB2015_51
	s_branch .LBB2015_52
	.section	.rodata,"a",@progbits
	.p2align	6, 0x0
	.amdhsa_kernel _ZN7rocprim17ROCPRIM_400000_NS6detail17trampoline_kernelINS0_14default_configENS1_38merge_sort_block_merge_config_selectorIN3c108BFloat16ElEEZZNS1_27merge_sort_block_merge_implIS3_PS6_N6thrust23THRUST_200600_302600_NS10device_ptrIlEEmNSB_4lessIS6_EEEE10hipError_tT0_T1_T2_jT3_P12ihipStream_tbPNSt15iterator_traitsISH_E10value_typeEPNSN_ISI_E10value_typeEPSJ_NS1_7vsmem_tEENKUlT_SH_SI_SJ_E_clIS9_S9_SD_PlEESG_SW_SH_SI_SJ_EUlSW_E0_NS1_11comp_targetILNS1_3genE2ELNS1_11target_archE906ELNS1_3gpuE6ELNS1_3repE0EEENS1_38merge_mergepath_config_static_selectorELNS0_4arch9wavefront6targetE1EEEvSI_
		.amdhsa_group_segment_fixed_size 8448
		.amdhsa_private_segment_fixed_size 0
		.amdhsa_kernarg_size 328
		.amdhsa_user_sgpr_count 6
		.amdhsa_user_sgpr_private_segment_buffer 1
		.amdhsa_user_sgpr_dispatch_ptr 0
		.amdhsa_user_sgpr_queue_ptr 0
		.amdhsa_user_sgpr_kernarg_segment_ptr 1
		.amdhsa_user_sgpr_dispatch_id 0
		.amdhsa_user_sgpr_flat_scratch_init 0
		.amdhsa_user_sgpr_private_segment_size 0
		.amdhsa_uses_dynamic_stack 0
		.amdhsa_system_sgpr_private_segment_wavefront_offset 0
		.amdhsa_system_sgpr_workgroup_id_x 1
		.amdhsa_system_sgpr_workgroup_id_y 1
		.amdhsa_system_sgpr_workgroup_id_z 1
		.amdhsa_system_sgpr_workgroup_info 0
		.amdhsa_system_vgpr_workitem_id 0
		.amdhsa_next_free_vgpr 35
		.amdhsa_next_free_sgpr 77
		.amdhsa_reserve_vcc 1
		.amdhsa_reserve_flat_scratch 0
		.amdhsa_float_round_mode_32 0
		.amdhsa_float_round_mode_16_64 0
		.amdhsa_float_denorm_mode_32 3
		.amdhsa_float_denorm_mode_16_64 3
		.amdhsa_dx10_clamp 1
		.amdhsa_ieee_mode 1
		.amdhsa_fp16_overflow 0
		.amdhsa_exception_fp_ieee_invalid_op 0
		.amdhsa_exception_fp_denorm_src 0
		.amdhsa_exception_fp_ieee_div_zero 0
		.amdhsa_exception_fp_ieee_overflow 0
		.amdhsa_exception_fp_ieee_underflow 0
		.amdhsa_exception_fp_ieee_inexact 0
		.amdhsa_exception_int_div_zero 0
	.end_amdhsa_kernel
	.section	.text._ZN7rocprim17ROCPRIM_400000_NS6detail17trampoline_kernelINS0_14default_configENS1_38merge_sort_block_merge_config_selectorIN3c108BFloat16ElEEZZNS1_27merge_sort_block_merge_implIS3_PS6_N6thrust23THRUST_200600_302600_NS10device_ptrIlEEmNSB_4lessIS6_EEEE10hipError_tT0_T1_T2_jT3_P12ihipStream_tbPNSt15iterator_traitsISH_E10value_typeEPNSN_ISI_E10value_typeEPSJ_NS1_7vsmem_tEENKUlT_SH_SI_SJ_E_clIS9_S9_SD_PlEESG_SW_SH_SI_SJ_EUlSW_E0_NS1_11comp_targetILNS1_3genE2ELNS1_11target_archE906ELNS1_3gpuE6ELNS1_3repE0EEENS1_38merge_mergepath_config_static_selectorELNS0_4arch9wavefront6targetE1EEEvSI_,"axG",@progbits,_ZN7rocprim17ROCPRIM_400000_NS6detail17trampoline_kernelINS0_14default_configENS1_38merge_sort_block_merge_config_selectorIN3c108BFloat16ElEEZZNS1_27merge_sort_block_merge_implIS3_PS6_N6thrust23THRUST_200600_302600_NS10device_ptrIlEEmNSB_4lessIS6_EEEE10hipError_tT0_T1_T2_jT3_P12ihipStream_tbPNSt15iterator_traitsISH_E10value_typeEPNSN_ISI_E10value_typeEPSJ_NS1_7vsmem_tEENKUlT_SH_SI_SJ_E_clIS9_S9_SD_PlEESG_SW_SH_SI_SJ_EUlSW_E0_NS1_11comp_targetILNS1_3genE2ELNS1_11target_archE906ELNS1_3gpuE6ELNS1_3repE0EEENS1_38merge_mergepath_config_static_selectorELNS0_4arch9wavefront6targetE1EEEvSI_,comdat
.Lfunc_end2015:
	.size	_ZN7rocprim17ROCPRIM_400000_NS6detail17trampoline_kernelINS0_14default_configENS1_38merge_sort_block_merge_config_selectorIN3c108BFloat16ElEEZZNS1_27merge_sort_block_merge_implIS3_PS6_N6thrust23THRUST_200600_302600_NS10device_ptrIlEEmNSB_4lessIS6_EEEE10hipError_tT0_T1_T2_jT3_P12ihipStream_tbPNSt15iterator_traitsISH_E10value_typeEPNSN_ISI_E10value_typeEPSJ_NS1_7vsmem_tEENKUlT_SH_SI_SJ_E_clIS9_S9_SD_PlEESG_SW_SH_SI_SJ_EUlSW_E0_NS1_11comp_targetILNS1_3genE2ELNS1_11target_archE906ELNS1_3gpuE6ELNS1_3repE0EEENS1_38merge_mergepath_config_static_selectorELNS0_4arch9wavefront6targetE1EEEvSI_, .Lfunc_end2015-_ZN7rocprim17ROCPRIM_400000_NS6detail17trampoline_kernelINS0_14default_configENS1_38merge_sort_block_merge_config_selectorIN3c108BFloat16ElEEZZNS1_27merge_sort_block_merge_implIS3_PS6_N6thrust23THRUST_200600_302600_NS10device_ptrIlEEmNSB_4lessIS6_EEEE10hipError_tT0_T1_T2_jT3_P12ihipStream_tbPNSt15iterator_traitsISH_E10value_typeEPNSN_ISI_E10value_typeEPSJ_NS1_7vsmem_tEENKUlT_SH_SI_SJ_E_clIS9_S9_SD_PlEESG_SW_SH_SI_SJ_EUlSW_E0_NS1_11comp_targetILNS1_3genE2ELNS1_11target_archE906ELNS1_3gpuE6ELNS1_3repE0EEENS1_38merge_mergepath_config_static_selectorELNS0_4arch9wavefront6targetE1EEEvSI_
                                        ; -- End function
	.set _ZN7rocprim17ROCPRIM_400000_NS6detail17trampoline_kernelINS0_14default_configENS1_38merge_sort_block_merge_config_selectorIN3c108BFloat16ElEEZZNS1_27merge_sort_block_merge_implIS3_PS6_N6thrust23THRUST_200600_302600_NS10device_ptrIlEEmNSB_4lessIS6_EEEE10hipError_tT0_T1_T2_jT3_P12ihipStream_tbPNSt15iterator_traitsISH_E10value_typeEPNSN_ISI_E10value_typeEPSJ_NS1_7vsmem_tEENKUlT_SH_SI_SJ_E_clIS9_S9_SD_PlEESG_SW_SH_SI_SJ_EUlSW_E0_NS1_11comp_targetILNS1_3genE2ELNS1_11target_archE906ELNS1_3gpuE6ELNS1_3repE0EEENS1_38merge_mergepath_config_static_selectorELNS0_4arch9wavefront6targetE1EEEvSI_.num_vgpr, 35
	.set _ZN7rocprim17ROCPRIM_400000_NS6detail17trampoline_kernelINS0_14default_configENS1_38merge_sort_block_merge_config_selectorIN3c108BFloat16ElEEZZNS1_27merge_sort_block_merge_implIS3_PS6_N6thrust23THRUST_200600_302600_NS10device_ptrIlEEmNSB_4lessIS6_EEEE10hipError_tT0_T1_T2_jT3_P12ihipStream_tbPNSt15iterator_traitsISH_E10value_typeEPNSN_ISI_E10value_typeEPSJ_NS1_7vsmem_tEENKUlT_SH_SI_SJ_E_clIS9_S9_SD_PlEESG_SW_SH_SI_SJ_EUlSW_E0_NS1_11comp_targetILNS1_3genE2ELNS1_11target_archE906ELNS1_3gpuE6ELNS1_3repE0EEENS1_38merge_mergepath_config_static_selectorELNS0_4arch9wavefront6targetE1EEEvSI_.num_agpr, 0
	.set _ZN7rocprim17ROCPRIM_400000_NS6detail17trampoline_kernelINS0_14default_configENS1_38merge_sort_block_merge_config_selectorIN3c108BFloat16ElEEZZNS1_27merge_sort_block_merge_implIS3_PS6_N6thrust23THRUST_200600_302600_NS10device_ptrIlEEmNSB_4lessIS6_EEEE10hipError_tT0_T1_T2_jT3_P12ihipStream_tbPNSt15iterator_traitsISH_E10value_typeEPNSN_ISI_E10value_typeEPSJ_NS1_7vsmem_tEENKUlT_SH_SI_SJ_E_clIS9_S9_SD_PlEESG_SW_SH_SI_SJ_EUlSW_E0_NS1_11comp_targetILNS1_3genE2ELNS1_11target_archE906ELNS1_3gpuE6ELNS1_3repE0EEENS1_38merge_mergepath_config_static_selectorELNS0_4arch9wavefront6targetE1EEEvSI_.numbered_sgpr, 37
	.set _ZN7rocprim17ROCPRIM_400000_NS6detail17trampoline_kernelINS0_14default_configENS1_38merge_sort_block_merge_config_selectorIN3c108BFloat16ElEEZZNS1_27merge_sort_block_merge_implIS3_PS6_N6thrust23THRUST_200600_302600_NS10device_ptrIlEEmNSB_4lessIS6_EEEE10hipError_tT0_T1_T2_jT3_P12ihipStream_tbPNSt15iterator_traitsISH_E10value_typeEPNSN_ISI_E10value_typeEPSJ_NS1_7vsmem_tEENKUlT_SH_SI_SJ_E_clIS9_S9_SD_PlEESG_SW_SH_SI_SJ_EUlSW_E0_NS1_11comp_targetILNS1_3genE2ELNS1_11target_archE906ELNS1_3gpuE6ELNS1_3repE0EEENS1_38merge_mergepath_config_static_selectorELNS0_4arch9wavefront6targetE1EEEvSI_.num_named_barrier, 0
	.set _ZN7rocprim17ROCPRIM_400000_NS6detail17trampoline_kernelINS0_14default_configENS1_38merge_sort_block_merge_config_selectorIN3c108BFloat16ElEEZZNS1_27merge_sort_block_merge_implIS3_PS6_N6thrust23THRUST_200600_302600_NS10device_ptrIlEEmNSB_4lessIS6_EEEE10hipError_tT0_T1_T2_jT3_P12ihipStream_tbPNSt15iterator_traitsISH_E10value_typeEPNSN_ISI_E10value_typeEPSJ_NS1_7vsmem_tEENKUlT_SH_SI_SJ_E_clIS9_S9_SD_PlEESG_SW_SH_SI_SJ_EUlSW_E0_NS1_11comp_targetILNS1_3genE2ELNS1_11target_archE906ELNS1_3gpuE6ELNS1_3repE0EEENS1_38merge_mergepath_config_static_selectorELNS0_4arch9wavefront6targetE1EEEvSI_.private_seg_size, 0
	.set _ZN7rocprim17ROCPRIM_400000_NS6detail17trampoline_kernelINS0_14default_configENS1_38merge_sort_block_merge_config_selectorIN3c108BFloat16ElEEZZNS1_27merge_sort_block_merge_implIS3_PS6_N6thrust23THRUST_200600_302600_NS10device_ptrIlEEmNSB_4lessIS6_EEEE10hipError_tT0_T1_T2_jT3_P12ihipStream_tbPNSt15iterator_traitsISH_E10value_typeEPNSN_ISI_E10value_typeEPSJ_NS1_7vsmem_tEENKUlT_SH_SI_SJ_E_clIS9_S9_SD_PlEESG_SW_SH_SI_SJ_EUlSW_E0_NS1_11comp_targetILNS1_3genE2ELNS1_11target_archE906ELNS1_3gpuE6ELNS1_3repE0EEENS1_38merge_mergepath_config_static_selectorELNS0_4arch9wavefront6targetE1EEEvSI_.uses_vcc, 1
	.set _ZN7rocprim17ROCPRIM_400000_NS6detail17trampoline_kernelINS0_14default_configENS1_38merge_sort_block_merge_config_selectorIN3c108BFloat16ElEEZZNS1_27merge_sort_block_merge_implIS3_PS6_N6thrust23THRUST_200600_302600_NS10device_ptrIlEEmNSB_4lessIS6_EEEE10hipError_tT0_T1_T2_jT3_P12ihipStream_tbPNSt15iterator_traitsISH_E10value_typeEPNSN_ISI_E10value_typeEPSJ_NS1_7vsmem_tEENKUlT_SH_SI_SJ_E_clIS9_S9_SD_PlEESG_SW_SH_SI_SJ_EUlSW_E0_NS1_11comp_targetILNS1_3genE2ELNS1_11target_archE906ELNS1_3gpuE6ELNS1_3repE0EEENS1_38merge_mergepath_config_static_selectorELNS0_4arch9wavefront6targetE1EEEvSI_.uses_flat_scratch, 0
	.set _ZN7rocprim17ROCPRIM_400000_NS6detail17trampoline_kernelINS0_14default_configENS1_38merge_sort_block_merge_config_selectorIN3c108BFloat16ElEEZZNS1_27merge_sort_block_merge_implIS3_PS6_N6thrust23THRUST_200600_302600_NS10device_ptrIlEEmNSB_4lessIS6_EEEE10hipError_tT0_T1_T2_jT3_P12ihipStream_tbPNSt15iterator_traitsISH_E10value_typeEPNSN_ISI_E10value_typeEPSJ_NS1_7vsmem_tEENKUlT_SH_SI_SJ_E_clIS9_S9_SD_PlEESG_SW_SH_SI_SJ_EUlSW_E0_NS1_11comp_targetILNS1_3genE2ELNS1_11target_archE906ELNS1_3gpuE6ELNS1_3repE0EEENS1_38merge_mergepath_config_static_selectorELNS0_4arch9wavefront6targetE1EEEvSI_.has_dyn_sized_stack, 0
	.set _ZN7rocprim17ROCPRIM_400000_NS6detail17trampoline_kernelINS0_14default_configENS1_38merge_sort_block_merge_config_selectorIN3c108BFloat16ElEEZZNS1_27merge_sort_block_merge_implIS3_PS6_N6thrust23THRUST_200600_302600_NS10device_ptrIlEEmNSB_4lessIS6_EEEE10hipError_tT0_T1_T2_jT3_P12ihipStream_tbPNSt15iterator_traitsISH_E10value_typeEPNSN_ISI_E10value_typeEPSJ_NS1_7vsmem_tEENKUlT_SH_SI_SJ_E_clIS9_S9_SD_PlEESG_SW_SH_SI_SJ_EUlSW_E0_NS1_11comp_targetILNS1_3genE2ELNS1_11target_archE906ELNS1_3gpuE6ELNS1_3repE0EEENS1_38merge_mergepath_config_static_selectorELNS0_4arch9wavefront6targetE1EEEvSI_.has_recursion, 0
	.set _ZN7rocprim17ROCPRIM_400000_NS6detail17trampoline_kernelINS0_14default_configENS1_38merge_sort_block_merge_config_selectorIN3c108BFloat16ElEEZZNS1_27merge_sort_block_merge_implIS3_PS6_N6thrust23THRUST_200600_302600_NS10device_ptrIlEEmNSB_4lessIS6_EEEE10hipError_tT0_T1_T2_jT3_P12ihipStream_tbPNSt15iterator_traitsISH_E10value_typeEPNSN_ISI_E10value_typeEPSJ_NS1_7vsmem_tEENKUlT_SH_SI_SJ_E_clIS9_S9_SD_PlEESG_SW_SH_SI_SJ_EUlSW_E0_NS1_11comp_targetILNS1_3genE2ELNS1_11target_archE906ELNS1_3gpuE6ELNS1_3repE0EEENS1_38merge_mergepath_config_static_selectorELNS0_4arch9wavefront6targetE1EEEvSI_.has_indirect_call, 0
	.section	.AMDGPU.csdata,"",@progbits
; Kernel info:
; codeLenInByte = 3600
; TotalNumSgprs: 41
; NumVgprs: 35
; ScratchSize: 0
; MemoryBound: 0
; FloatMode: 240
; IeeeMode: 1
; LDSByteSize: 8448 bytes/workgroup (compile time only)
; SGPRBlocks: 10
; VGPRBlocks: 8
; NumSGPRsForWavesPerEU: 81
; NumVGPRsForWavesPerEU: 35
; Occupancy: 7
; WaveLimiterHint : 1
; COMPUTE_PGM_RSRC2:SCRATCH_EN: 0
; COMPUTE_PGM_RSRC2:USER_SGPR: 6
; COMPUTE_PGM_RSRC2:TRAP_HANDLER: 0
; COMPUTE_PGM_RSRC2:TGID_X_EN: 1
; COMPUTE_PGM_RSRC2:TGID_Y_EN: 1
; COMPUTE_PGM_RSRC2:TGID_Z_EN: 1
; COMPUTE_PGM_RSRC2:TIDIG_COMP_CNT: 0
	.section	.text._ZN7rocprim17ROCPRIM_400000_NS6detail17trampoline_kernelINS0_14default_configENS1_38merge_sort_block_merge_config_selectorIN3c108BFloat16ElEEZZNS1_27merge_sort_block_merge_implIS3_PS6_N6thrust23THRUST_200600_302600_NS10device_ptrIlEEmNSB_4lessIS6_EEEE10hipError_tT0_T1_T2_jT3_P12ihipStream_tbPNSt15iterator_traitsISH_E10value_typeEPNSN_ISI_E10value_typeEPSJ_NS1_7vsmem_tEENKUlT_SH_SI_SJ_E_clIS9_S9_SD_PlEESG_SW_SH_SI_SJ_EUlSW_E0_NS1_11comp_targetILNS1_3genE9ELNS1_11target_archE1100ELNS1_3gpuE3ELNS1_3repE0EEENS1_38merge_mergepath_config_static_selectorELNS0_4arch9wavefront6targetE1EEEvSI_,"axG",@progbits,_ZN7rocprim17ROCPRIM_400000_NS6detail17trampoline_kernelINS0_14default_configENS1_38merge_sort_block_merge_config_selectorIN3c108BFloat16ElEEZZNS1_27merge_sort_block_merge_implIS3_PS6_N6thrust23THRUST_200600_302600_NS10device_ptrIlEEmNSB_4lessIS6_EEEE10hipError_tT0_T1_T2_jT3_P12ihipStream_tbPNSt15iterator_traitsISH_E10value_typeEPNSN_ISI_E10value_typeEPSJ_NS1_7vsmem_tEENKUlT_SH_SI_SJ_E_clIS9_S9_SD_PlEESG_SW_SH_SI_SJ_EUlSW_E0_NS1_11comp_targetILNS1_3genE9ELNS1_11target_archE1100ELNS1_3gpuE3ELNS1_3repE0EEENS1_38merge_mergepath_config_static_selectorELNS0_4arch9wavefront6targetE1EEEvSI_,comdat
	.protected	_ZN7rocprim17ROCPRIM_400000_NS6detail17trampoline_kernelINS0_14default_configENS1_38merge_sort_block_merge_config_selectorIN3c108BFloat16ElEEZZNS1_27merge_sort_block_merge_implIS3_PS6_N6thrust23THRUST_200600_302600_NS10device_ptrIlEEmNSB_4lessIS6_EEEE10hipError_tT0_T1_T2_jT3_P12ihipStream_tbPNSt15iterator_traitsISH_E10value_typeEPNSN_ISI_E10value_typeEPSJ_NS1_7vsmem_tEENKUlT_SH_SI_SJ_E_clIS9_S9_SD_PlEESG_SW_SH_SI_SJ_EUlSW_E0_NS1_11comp_targetILNS1_3genE9ELNS1_11target_archE1100ELNS1_3gpuE3ELNS1_3repE0EEENS1_38merge_mergepath_config_static_selectorELNS0_4arch9wavefront6targetE1EEEvSI_ ; -- Begin function _ZN7rocprim17ROCPRIM_400000_NS6detail17trampoline_kernelINS0_14default_configENS1_38merge_sort_block_merge_config_selectorIN3c108BFloat16ElEEZZNS1_27merge_sort_block_merge_implIS3_PS6_N6thrust23THRUST_200600_302600_NS10device_ptrIlEEmNSB_4lessIS6_EEEE10hipError_tT0_T1_T2_jT3_P12ihipStream_tbPNSt15iterator_traitsISH_E10value_typeEPNSN_ISI_E10value_typeEPSJ_NS1_7vsmem_tEENKUlT_SH_SI_SJ_E_clIS9_S9_SD_PlEESG_SW_SH_SI_SJ_EUlSW_E0_NS1_11comp_targetILNS1_3genE9ELNS1_11target_archE1100ELNS1_3gpuE3ELNS1_3repE0EEENS1_38merge_mergepath_config_static_selectorELNS0_4arch9wavefront6targetE1EEEvSI_
	.globl	_ZN7rocprim17ROCPRIM_400000_NS6detail17trampoline_kernelINS0_14default_configENS1_38merge_sort_block_merge_config_selectorIN3c108BFloat16ElEEZZNS1_27merge_sort_block_merge_implIS3_PS6_N6thrust23THRUST_200600_302600_NS10device_ptrIlEEmNSB_4lessIS6_EEEE10hipError_tT0_T1_T2_jT3_P12ihipStream_tbPNSt15iterator_traitsISH_E10value_typeEPNSN_ISI_E10value_typeEPSJ_NS1_7vsmem_tEENKUlT_SH_SI_SJ_E_clIS9_S9_SD_PlEESG_SW_SH_SI_SJ_EUlSW_E0_NS1_11comp_targetILNS1_3genE9ELNS1_11target_archE1100ELNS1_3gpuE3ELNS1_3repE0EEENS1_38merge_mergepath_config_static_selectorELNS0_4arch9wavefront6targetE1EEEvSI_
	.p2align	8
	.type	_ZN7rocprim17ROCPRIM_400000_NS6detail17trampoline_kernelINS0_14default_configENS1_38merge_sort_block_merge_config_selectorIN3c108BFloat16ElEEZZNS1_27merge_sort_block_merge_implIS3_PS6_N6thrust23THRUST_200600_302600_NS10device_ptrIlEEmNSB_4lessIS6_EEEE10hipError_tT0_T1_T2_jT3_P12ihipStream_tbPNSt15iterator_traitsISH_E10value_typeEPNSN_ISI_E10value_typeEPSJ_NS1_7vsmem_tEENKUlT_SH_SI_SJ_E_clIS9_S9_SD_PlEESG_SW_SH_SI_SJ_EUlSW_E0_NS1_11comp_targetILNS1_3genE9ELNS1_11target_archE1100ELNS1_3gpuE3ELNS1_3repE0EEENS1_38merge_mergepath_config_static_selectorELNS0_4arch9wavefront6targetE1EEEvSI_,@function
_ZN7rocprim17ROCPRIM_400000_NS6detail17trampoline_kernelINS0_14default_configENS1_38merge_sort_block_merge_config_selectorIN3c108BFloat16ElEEZZNS1_27merge_sort_block_merge_implIS3_PS6_N6thrust23THRUST_200600_302600_NS10device_ptrIlEEmNSB_4lessIS6_EEEE10hipError_tT0_T1_T2_jT3_P12ihipStream_tbPNSt15iterator_traitsISH_E10value_typeEPNSN_ISI_E10value_typeEPSJ_NS1_7vsmem_tEENKUlT_SH_SI_SJ_E_clIS9_S9_SD_PlEESG_SW_SH_SI_SJ_EUlSW_E0_NS1_11comp_targetILNS1_3genE9ELNS1_11target_archE1100ELNS1_3gpuE3ELNS1_3repE0EEENS1_38merge_mergepath_config_static_selectorELNS0_4arch9wavefront6targetE1EEEvSI_: ; @_ZN7rocprim17ROCPRIM_400000_NS6detail17trampoline_kernelINS0_14default_configENS1_38merge_sort_block_merge_config_selectorIN3c108BFloat16ElEEZZNS1_27merge_sort_block_merge_implIS3_PS6_N6thrust23THRUST_200600_302600_NS10device_ptrIlEEmNSB_4lessIS6_EEEE10hipError_tT0_T1_T2_jT3_P12ihipStream_tbPNSt15iterator_traitsISH_E10value_typeEPNSN_ISI_E10value_typeEPSJ_NS1_7vsmem_tEENKUlT_SH_SI_SJ_E_clIS9_S9_SD_PlEESG_SW_SH_SI_SJ_EUlSW_E0_NS1_11comp_targetILNS1_3genE9ELNS1_11target_archE1100ELNS1_3gpuE3ELNS1_3repE0EEENS1_38merge_mergepath_config_static_selectorELNS0_4arch9wavefront6targetE1EEEvSI_
; %bb.0:
	.section	.rodata,"a",@progbits
	.p2align	6, 0x0
	.amdhsa_kernel _ZN7rocprim17ROCPRIM_400000_NS6detail17trampoline_kernelINS0_14default_configENS1_38merge_sort_block_merge_config_selectorIN3c108BFloat16ElEEZZNS1_27merge_sort_block_merge_implIS3_PS6_N6thrust23THRUST_200600_302600_NS10device_ptrIlEEmNSB_4lessIS6_EEEE10hipError_tT0_T1_T2_jT3_P12ihipStream_tbPNSt15iterator_traitsISH_E10value_typeEPNSN_ISI_E10value_typeEPSJ_NS1_7vsmem_tEENKUlT_SH_SI_SJ_E_clIS9_S9_SD_PlEESG_SW_SH_SI_SJ_EUlSW_E0_NS1_11comp_targetILNS1_3genE9ELNS1_11target_archE1100ELNS1_3gpuE3ELNS1_3repE0EEENS1_38merge_mergepath_config_static_selectorELNS0_4arch9wavefront6targetE1EEEvSI_
		.amdhsa_group_segment_fixed_size 0
		.amdhsa_private_segment_fixed_size 0
		.amdhsa_kernarg_size 72
		.amdhsa_user_sgpr_count 6
		.amdhsa_user_sgpr_private_segment_buffer 1
		.amdhsa_user_sgpr_dispatch_ptr 0
		.amdhsa_user_sgpr_queue_ptr 0
		.amdhsa_user_sgpr_kernarg_segment_ptr 1
		.amdhsa_user_sgpr_dispatch_id 0
		.amdhsa_user_sgpr_flat_scratch_init 0
		.amdhsa_user_sgpr_private_segment_size 0
		.amdhsa_uses_dynamic_stack 0
		.amdhsa_system_sgpr_private_segment_wavefront_offset 0
		.amdhsa_system_sgpr_workgroup_id_x 1
		.amdhsa_system_sgpr_workgroup_id_y 0
		.amdhsa_system_sgpr_workgroup_id_z 0
		.amdhsa_system_sgpr_workgroup_info 0
		.amdhsa_system_vgpr_workitem_id 0
		.amdhsa_next_free_vgpr 1
		.amdhsa_next_free_sgpr 0
		.amdhsa_reserve_vcc 0
		.amdhsa_reserve_flat_scratch 0
		.amdhsa_float_round_mode_32 0
		.amdhsa_float_round_mode_16_64 0
		.amdhsa_float_denorm_mode_32 3
		.amdhsa_float_denorm_mode_16_64 3
		.amdhsa_dx10_clamp 1
		.amdhsa_ieee_mode 1
		.amdhsa_fp16_overflow 0
		.amdhsa_exception_fp_ieee_invalid_op 0
		.amdhsa_exception_fp_denorm_src 0
		.amdhsa_exception_fp_ieee_div_zero 0
		.amdhsa_exception_fp_ieee_overflow 0
		.amdhsa_exception_fp_ieee_underflow 0
		.amdhsa_exception_fp_ieee_inexact 0
		.amdhsa_exception_int_div_zero 0
	.end_amdhsa_kernel
	.section	.text._ZN7rocprim17ROCPRIM_400000_NS6detail17trampoline_kernelINS0_14default_configENS1_38merge_sort_block_merge_config_selectorIN3c108BFloat16ElEEZZNS1_27merge_sort_block_merge_implIS3_PS6_N6thrust23THRUST_200600_302600_NS10device_ptrIlEEmNSB_4lessIS6_EEEE10hipError_tT0_T1_T2_jT3_P12ihipStream_tbPNSt15iterator_traitsISH_E10value_typeEPNSN_ISI_E10value_typeEPSJ_NS1_7vsmem_tEENKUlT_SH_SI_SJ_E_clIS9_S9_SD_PlEESG_SW_SH_SI_SJ_EUlSW_E0_NS1_11comp_targetILNS1_3genE9ELNS1_11target_archE1100ELNS1_3gpuE3ELNS1_3repE0EEENS1_38merge_mergepath_config_static_selectorELNS0_4arch9wavefront6targetE1EEEvSI_,"axG",@progbits,_ZN7rocprim17ROCPRIM_400000_NS6detail17trampoline_kernelINS0_14default_configENS1_38merge_sort_block_merge_config_selectorIN3c108BFloat16ElEEZZNS1_27merge_sort_block_merge_implIS3_PS6_N6thrust23THRUST_200600_302600_NS10device_ptrIlEEmNSB_4lessIS6_EEEE10hipError_tT0_T1_T2_jT3_P12ihipStream_tbPNSt15iterator_traitsISH_E10value_typeEPNSN_ISI_E10value_typeEPSJ_NS1_7vsmem_tEENKUlT_SH_SI_SJ_E_clIS9_S9_SD_PlEESG_SW_SH_SI_SJ_EUlSW_E0_NS1_11comp_targetILNS1_3genE9ELNS1_11target_archE1100ELNS1_3gpuE3ELNS1_3repE0EEENS1_38merge_mergepath_config_static_selectorELNS0_4arch9wavefront6targetE1EEEvSI_,comdat
.Lfunc_end2016:
	.size	_ZN7rocprim17ROCPRIM_400000_NS6detail17trampoline_kernelINS0_14default_configENS1_38merge_sort_block_merge_config_selectorIN3c108BFloat16ElEEZZNS1_27merge_sort_block_merge_implIS3_PS6_N6thrust23THRUST_200600_302600_NS10device_ptrIlEEmNSB_4lessIS6_EEEE10hipError_tT0_T1_T2_jT3_P12ihipStream_tbPNSt15iterator_traitsISH_E10value_typeEPNSN_ISI_E10value_typeEPSJ_NS1_7vsmem_tEENKUlT_SH_SI_SJ_E_clIS9_S9_SD_PlEESG_SW_SH_SI_SJ_EUlSW_E0_NS1_11comp_targetILNS1_3genE9ELNS1_11target_archE1100ELNS1_3gpuE3ELNS1_3repE0EEENS1_38merge_mergepath_config_static_selectorELNS0_4arch9wavefront6targetE1EEEvSI_, .Lfunc_end2016-_ZN7rocprim17ROCPRIM_400000_NS6detail17trampoline_kernelINS0_14default_configENS1_38merge_sort_block_merge_config_selectorIN3c108BFloat16ElEEZZNS1_27merge_sort_block_merge_implIS3_PS6_N6thrust23THRUST_200600_302600_NS10device_ptrIlEEmNSB_4lessIS6_EEEE10hipError_tT0_T1_T2_jT3_P12ihipStream_tbPNSt15iterator_traitsISH_E10value_typeEPNSN_ISI_E10value_typeEPSJ_NS1_7vsmem_tEENKUlT_SH_SI_SJ_E_clIS9_S9_SD_PlEESG_SW_SH_SI_SJ_EUlSW_E0_NS1_11comp_targetILNS1_3genE9ELNS1_11target_archE1100ELNS1_3gpuE3ELNS1_3repE0EEENS1_38merge_mergepath_config_static_selectorELNS0_4arch9wavefront6targetE1EEEvSI_
                                        ; -- End function
	.set _ZN7rocprim17ROCPRIM_400000_NS6detail17trampoline_kernelINS0_14default_configENS1_38merge_sort_block_merge_config_selectorIN3c108BFloat16ElEEZZNS1_27merge_sort_block_merge_implIS3_PS6_N6thrust23THRUST_200600_302600_NS10device_ptrIlEEmNSB_4lessIS6_EEEE10hipError_tT0_T1_T2_jT3_P12ihipStream_tbPNSt15iterator_traitsISH_E10value_typeEPNSN_ISI_E10value_typeEPSJ_NS1_7vsmem_tEENKUlT_SH_SI_SJ_E_clIS9_S9_SD_PlEESG_SW_SH_SI_SJ_EUlSW_E0_NS1_11comp_targetILNS1_3genE9ELNS1_11target_archE1100ELNS1_3gpuE3ELNS1_3repE0EEENS1_38merge_mergepath_config_static_selectorELNS0_4arch9wavefront6targetE1EEEvSI_.num_vgpr, 0
	.set _ZN7rocprim17ROCPRIM_400000_NS6detail17trampoline_kernelINS0_14default_configENS1_38merge_sort_block_merge_config_selectorIN3c108BFloat16ElEEZZNS1_27merge_sort_block_merge_implIS3_PS6_N6thrust23THRUST_200600_302600_NS10device_ptrIlEEmNSB_4lessIS6_EEEE10hipError_tT0_T1_T2_jT3_P12ihipStream_tbPNSt15iterator_traitsISH_E10value_typeEPNSN_ISI_E10value_typeEPSJ_NS1_7vsmem_tEENKUlT_SH_SI_SJ_E_clIS9_S9_SD_PlEESG_SW_SH_SI_SJ_EUlSW_E0_NS1_11comp_targetILNS1_3genE9ELNS1_11target_archE1100ELNS1_3gpuE3ELNS1_3repE0EEENS1_38merge_mergepath_config_static_selectorELNS0_4arch9wavefront6targetE1EEEvSI_.num_agpr, 0
	.set _ZN7rocprim17ROCPRIM_400000_NS6detail17trampoline_kernelINS0_14default_configENS1_38merge_sort_block_merge_config_selectorIN3c108BFloat16ElEEZZNS1_27merge_sort_block_merge_implIS3_PS6_N6thrust23THRUST_200600_302600_NS10device_ptrIlEEmNSB_4lessIS6_EEEE10hipError_tT0_T1_T2_jT3_P12ihipStream_tbPNSt15iterator_traitsISH_E10value_typeEPNSN_ISI_E10value_typeEPSJ_NS1_7vsmem_tEENKUlT_SH_SI_SJ_E_clIS9_S9_SD_PlEESG_SW_SH_SI_SJ_EUlSW_E0_NS1_11comp_targetILNS1_3genE9ELNS1_11target_archE1100ELNS1_3gpuE3ELNS1_3repE0EEENS1_38merge_mergepath_config_static_selectorELNS0_4arch9wavefront6targetE1EEEvSI_.numbered_sgpr, 0
	.set _ZN7rocprim17ROCPRIM_400000_NS6detail17trampoline_kernelINS0_14default_configENS1_38merge_sort_block_merge_config_selectorIN3c108BFloat16ElEEZZNS1_27merge_sort_block_merge_implIS3_PS6_N6thrust23THRUST_200600_302600_NS10device_ptrIlEEmNSB_4lessIS6_EEEE10hipError_tT0_T1_T2_jT3_P12ihipStream_tbPNSt15iterator_traitsISH_E10value_typeEPNSN_ISI_E10value_typeEPSJ_NS1_7vsmem_tEENKUlT_SH_SI_SJ_E_clIS9_S9_SD_PlEESG_SW_SH_SI_SJ_EUlSW_E0_NS1_11comp_targetILNS1_3genE9ELNS1_11target_archE1100ELNS1_3gpuE3ELNS1_3repE0EEENS1_38merge_mergepath_config_static_selectorELNS0_4arch9wavefront6targetE1EEEvSI_.num_named_barrier, 0
	.set _ZN7rocprim17ROCPRIM_400000_NS6detail17trampoline_kernelINS0_14default_configENS1_38merge_sort_block_merge_config_selectorIN3c108BFloat16ElEEZZNS1_27merge_sort_block_merge_implIS3_PS6_N6thrust23THRUST_200600_302600_NS10device_ptrIlEEmNSB_4lessIS6_EEEE10hipError_tT0_T1_T2_jT3_P12ihipStream_tbPNSt15iterator_traitsISH_E10value_typeEPNSN_ISI_E10value_typeEPSJ_NS1_7vsmem_tEENKUlT_SH_SI_SJ_E_clIS9_S9_SD_PlEESG_SW_SH_SI_SJ_EUlSW_E0_NS1_11comp_targetILNS1_3genE9ELNS1_11target_archE1100ELNS1_3gpuE3ELNS1_3repE0EEENS1_38merge_mergepath_config_static_selectorELNS0_4arch9wavefront6targetE1EEEvSI_.private_seg_size, 0
	.set _ZN7rocprim17ROCPRIM_400000_NS6detail17trampoline_kernelINS0_14default_configENS1_38merge_sort_block_merge_config_selectorIN3c108BFloat16ElEEZZNS1_27merge_sort_block_merge_implIS3_PS6_N6thrust23THRUST_200600_302600_NS10device_ptrIlEEmNSB_4lessIS6_EEEE10hipError_tT0_T1_T2_jT3_P12ihipStream_tbPNSt15iterator_traitsISH_E10value_typeEPNSN_ISI_E10value_typeEPSJ_NS1_7vsmem_tEENKUlT_SH_SI_SJ_E_clIS9_S9_SD_PlEESG_SW_SH_SI_SJ_EUlSW_E0_NS1_11comp_targetILNS1_3genE9ELNS1_11target_archE1100ELNS1_3gpuE3ELNS1_3repE0EEENS1_38merge_mergepath_config_static_selectorELNS0_4arch9wavefront6targetE1EEEvSI_.uses_vcc, 0
	.set _ZN7rocprim17ROCPRIM_400000_NS6detail17trampoline_kernelINS0_14default_configENS1_38merge_sort_block_merge_config_selectorIN3c108BFloat16ElEEZZNS1_27merge_sort_block_merge_implIS3_PS6_N6thrust23THRUST_200600_302600_NS10device_ptrIlEEmNSB_4lessIS6_EEEE10hipError_tT0_T1_T2_jT3_P12ihipStream_tbPNSt15iterator_traitsISH_E10value_typeEPNSN_ISI_E10value_typeEPSJ_NS1_7vsmem_tEENKUlT_SH_SI_SJ_E_clIS9_S9_SD_PlEESG_SW_SH_SI_SJ_EUlSW_E0_NS1_11comp_targetILNS1_3genE9ELNS1_11target_archE1100ELNS1_3gpuE3ELNS1_3repE0EEENS1_38merge_mergepath_config_static_selectorELNS0_4arch9wavefront6targetE1EEEvSI_.uses_flat_scratch, 0
	.set _ZN7rocprim17ROCPRIM_400000_NS6detail17trampoline_kernelINS0_14default_configENS1_38merge_sort_block_merge_config_selectorIN3c108BFloat16ElEEZZNS1_27merge_sort_block_merge_implIS3_PS6_N6thrust23THRUST_200600_302600_NS10device_ptrIlEEmNSB_4lessIS6_EEEE10hipError_tT0_T1_T2_jT3_P12ihipStream_tbPNSt15iterator_traitsISH_E10value_typeEPNSN_ISI_E10value_typeEPSJ_NS1_7vsmem_tEENKUlT_SH_SI_SJ_E_clIS9_S9_SD_PlEESG_SW_SH_SI_SJ_EUlSW_E0_NS1_11comp_targetILNS1_3genE9ELNS1_11target_archE1100ELNS1_3gpuE3ELNS1_3repE0EEENS1_38merge_mergepath_config_static_selectorELNS0_4arch9wavefront6targetE1EEEvSI_.has_dyn_sized_stack, 0
	.set _ZN7rocprim17ROCPRIM_400000_NS6detail17trampoline_kernelINS0_14default_configENS1_38merge_sort_block_merge_config_selectorIN3c108BFloat16ElEEZZNS1_27merge_sort_block_merge_implIS3_PS6_N6thrust23THRUST_200600_302600_NS10device_ptrIlEEmNSB_4lessIS6_EEEE10hipError_tT0_T1_T2_jT3_P12ihipStream_tbPNSt15iterator_traitsISH_E10value_typeEPNSN_ISI_E10value_typeEPSJ_NS1_7vsmem_tEENKUlT_SH_SI_SJ_E_clIS9_S9_SD_PlEESG_SW_SH_SI_SJ_EUlSW_E0_NS1_11comp_targetILNS1_3genE9ELNS1_11target_archE1100ELNS1_3gpuE3ELNS1_3repE0EEENS1_38merge_mergepath_config_static_selectorELNS0_4arch9wavefront6targetE1EEEvSI_.has_recursion, 0
	.set _ZN7rocprim17ROCPRIM_400000_NS6detail17trampoline_kernelINS0_14default_configENS1_38merge_sort_block_merge_config_selectorIN3c108BFloat16ElEEZZNS1_27merge_sort_block_merge_implIS3_PS6_N6thrust23THRUST_200600_302600_NS10device_ptrIlEEmNSB_4lessIS6_EEEE10hipError_tT0_T1_T2_jT3_P12ihipStream_tbPNSt15iterator_traitsISH_E10value_typeEPNSN_ISI_E10value_typeEPSJ_NS1_7vsmem_tEENKUlT_SH_SI_SJ_E_clIS9_S9_SD_PlEESG_SW_SH_SI_SJ_EUlSW_E0_NS1_11comp_targetILNS1_3genE9ELNS1_11target_archE1100ELNS1_3gpuE3ELNS1_3repE0EEENS1_38merge_mergepath_config_static_selectorELNS0_4arch9wavefront6targetE1EEEvSI_.has_indirect_call, 0
	.section	.AMDGPU.csdata,"",@progbits
; Kernel info:
; codeLenInByte = 0
; TotalNumSgprs: 4
; NumVgprs: 0
; ScratchSize: 0
; MemoryBound: 0
; FloatMode: 240
; IeeeMode: 1
; LDSByteSize: 0 bytes/workgroup (compile time only)
; SGPRBlocks: 0
; VGPRBlocks: 0
; NumSGPRsForWavesPerEU: 4
; NumVGPRsForWavesPerEU: 1
; Occupancy: 10
; WaveLimiterHint : 0
; COMPUTE_PGM_RSRC2:SCRATCH_EN: 0
; COMPUTE_PGM_RSRC2:USER_SGPR: 6
; COMPUTE_PGM_RSRC2:TRAP_HANDLER: 0
; COMPUTE_PGM_RSRC2:TGID_X_EN: 1
; COMPUTE_PGM_RSRC2:TGID_Y_EN: 0
; COMPUTE_PGM_RSRC2:TGID_Z_EN: 0
; COMPUTE_PGM_RSRC2:TIDIG_COMP_CNT: 0
	.section	.text._ZN7rocprim17ROCPRIM_400000_NS6detail17trampoline_kernelINS0_14default_configENS1_38merge_sort_block_merge_config_selectorIN3c108BFloat16ElEEZZNS1_27merge_sort_block_merge_implIS3_PS6_N6thrust23THRUST_200600_302600_NS10device_ptrIlEEmNSB_4lessIS6_EEEE10hipError_tT0_T1_T2_jT3_P12ihipStream_tbPNSt15iterator_traitsISH_E10value_typeEPNSN_ISI_E10value_typeEPSJ_NS1_7vsmem_tEENKUlT_SH_SI_SJ_E_clIS9_S9_SD_PlEESG_SW_SH_SI_SJ_EUlSW_E0_NS1_11comp_targetILNS1_3genE8ELNS1_11target_archE1030ELNS1_3gpuE2ELNS1_3repE0EEENS1_38merge_mergepath_config_static_selectorELNS0_4arch9wavefront6targetE1EEEvSI_,"axG",@progbits,_ZN7rocprim17ROCPRIM_400000_NS6detail17trampoline_kernelINS0_14default_configENS1_38merge_sort_block_merge_config_selectorIN3c108BFloat16ElEEZZNS1_27merge_sort_block_merge_implIS3_PS6_N6thrust23THRUST_200600_302600_NS10device_ptrIlEEmNSB_4lessIS6_EEEE10hipError_tT0_T1_T2_jT3_P12ihipStream_tbPNSt15iterator_traitsISH_E10value_typeEPNSN_ISI_E10value_typeEPSJ_NS1_7vsmem_tEENKUlT_SH_SI_SJ_E_clIS9_S9_SD_PlEESG_SW_SH_SI_SJ_EUlSW_E0_NS1_11comp_targetILNS1_3genE8ELNS1_11target_archE1030ELNS1_3gpuE2ELNS1_3repE0EEENS1_38merge_mergepath_config_static_selectorELNS0_4arch9wavefront6targetE1EEEvSI_,comdat
	.protected	_ZN7rocprim17ROCPRIM_400000_NS6detail17trampoline_kernelINS0_14default_configENS1_38merge_sort_block_merge_config_selectorIN3c108BFloat16ElEEZZNS1_27merge_sort_block_merge_implIS3_PS6_N6thrust23THRUST_200600_302600_NS10device_ptrIlEEmNSB_4lessIS6_EEEE10hipError_tT0_T1_T2_jT3_P12ihipStream_tbPNSt15iterator_traitsISH_E10value_typeEPNSN_ISI_E10value_typeEPSJ_NS1_7vsmem_tEENKUlT_SH_SI_SJ_E_clIS9_S9_SD_PlEESG_SW_SH_SI_SJ_EUlSW_E0_NS1_11comp_targetILNS1_3genE8ELNS1_11target_archE1030ELNS1_3gpuE2ELNS1_3repE0EEENS1_38merge_mergepath_config_static_selectorELNS0_4arch9wavefront6targetE1EEEvSI_ ; -- Begin function _ZN7rocprim17ROCPRIM_400000_NS6detail17trampoline_kernelINS0_14default_configENS1_38merge_sort_block_merge_config_selectorIN3c108BFloat16ElEEZZNS1_27merge_sort_block_merge_implIS3_PS6_N6thrust23THRUST_200600_302600_NS10device_ptrIlEEmNSB_4lessIS6_EEEE10hipError_tT0_T1_T2_jT3_P12ihipStream_tbPNSt15iterator_traitsISH_E10value_typeEPNSN_ISI_E10value_typeEPSJ_NS1_7vsmem_tEENKUlT_SH_SI_SJ_E_clIS9_S9_SD_PlEESG_SW_SH_SI_SJ_EUlSW_E0_NS1_11comp_targetILNS1_3genE8ELNS1_11target_archE1030ELNS1_3gpuE2ELNS1_3repE0EEENS1_38merge_mergepath_config_static_selectorELNS0_4arch9wavefront6targetE1EEEvSI_
	.globl	_ZN7rocprim17ROCPRIM_400000_NS6detail17trampoline_kernelINS0_14default_configENS1_38merge_sort_block_merge_config_selectorIN3c108BFloat16ElEEZZNS1_27merge_sort_block_merge_implIS3_PS6_N6thrust23THRUST_200600_302600_NS10device_ptrIlEEmNSB_4lessIS6_EEEE10hipError_tT0_T1_T2_jT3_P12ihipStream_tbPNSt15iterator_traitsISH_E10value_typeEPNSN_ISI_E10value_typeEPSJ_NS1_7vsmem_tEENKUlT_SH_SI_SJ_E_clIS9_S9_SD_PlEESG_SW_SH_SI_SJ_EUlSW_E0_NS1_11comp_targetILNS1_3genE8ELNS1_11target_archE1030ELNS1_3gpuE2ELNS1_3repE0EEENS1_38merge_mergepath_config_static_selectorELNS0_4arch9wavefront6targetE1EEEvSI_
	.p2align	8
	.type	_ZN7rocprim17ROCPRIM_400000_NS6detail17trampoline_kernelINS0_14default_configENS1_38merge_sort_block_merge_config_selectorIN3c108BFloat16ElEEZZNS1_27merge_sort_block_merge_implIS3_PS6_N6thrust23THRUST_200600_302600_NS10device_ptrIlEEmNSB_4lessIS6_EEEE10hipError_tT0_T1_T2_jT3_P12ihipStream_tbPNSt15iterator_traitsISH_E10value_typeEPNSN_ISI_E10value_typeEPSJ_NS1_7vsmem_tEENKUlT_SH_SI_SJ_E_clIS9_S9_SD_PlEESG_SW_SH_SI_SJ_EUlSW_E0_NS1_11comp_targetILNS1_3genE8ELNS1_11target_archE1030ELNS1_3gpuE2ELNS1_3repE0EEENS1_38merge_mergepath_config_static_selectorELNS0_4arch9wavefront6targetE1EEEvSI_,@function
_ZN7rocprim17ROCPRIM_400000_NS6detail17trampoline_kernelINS0_14default_configENS1_38merge_sort_block_merge_config_selectorIN3c108BFloat16ElEEZZNS1_27merge_sort_block_merge_implIS3_PS6_N6thrust23THRUST_200600_302600_NS10device_ptrIlEEmNSB_4lessIS6_EEEE10hipError_tT0_T1_T2_jT3_P12ihipStream_tbPNSt15iterator_traitsISH_E10value_typeEPNSN_ISI_E10value_typeEPSJ_NS1_7vsmem_tEENKUlT_SH_SI_SJ_E_clIS9_S9_SD_PlEESG_SW_SH_SI_SJ_EUlSW_E0_NS1_11comp_targetILNS1_3genE8ELNS1_11target_archE1030ELNS1_3gpuE2ELNS1_3repE0EEENS1_38merge_mergepath_config_static_selectorELNS0_4arch9wavefront6targetE1EEEvSI_: ; @_ZN7rocprim17ROCPRIM_400000_NS6detail17trampoline_kernelINS0_14default_configENS1_38merge_sort_block_merge_config_selectorIN3c108BFloat16ElEEZZNS1_27merge_sort_block_merge_implIS3_PS6_N6thrust23THRUST_200600_302600_NS10device_ptrIlEEmNSB_4lessIS6_EEEE10hipError_tT0_T1_T2_jT3_P12ihipStream_tbPNSt15iterator_traitsISH_E10value_typeEPNSN_ISI_E10value_typeEPSJ_NS1_7vsmem_tEENKUlT_SH_SI_SJ_E_clIS9_S9_SD_PlEESG_SW_SH_SI_SJ_EUlSW_E0_NS1_11comp_targetILNS1_3genE8ELNS1_11target_archE1030ELNS1_3gpuE2ELNS1_3repE0EEENS1_38merge_mergepath_config_static_selectorELNS0_4arch9wavefront6targetE1EEEvSI_
; %bb.0:
	.section	.rodata,"a",@progbits
	.p2align	6, 0x0
	.amdhsa_kernel _ZN7rocprim17ROCPRIM_400000_NS6detail17trampoline_kernelINS0_14default_configENS1_38merge_sort_block_merge_config_selectorIN3c108BFloat16ElEEZZNS1_27merge_sort_block_merge_implIS3_PS6_N6thrust23THRUST_200600_302600_NS10device_ptrIlEEmNSB_4lessIS6_EEEE10hipError_tT0_T1_T2_jT3_P12ihipStream_tbPNSt15iterator_traitsISH_E10value_typeEPNSN_ISI_E10value_typeEPSJ_NS1_7vsmem_tEENKUlT_SH_SI_SJ_E_clIS9_S9_SD_PlEESG_SW_SH_SI_SJ_EUlSW_E0_NS1_11comp_targetILNS1_3genE8ELNS1_11target_archE1030ELNS1_3gpuE2ELNS1_3repE0EEENS1_38merge_mergepath_config_static_selectorELNS0_4arch9wavefront6targetE1EEEvSI_
		.amdhsa_group_segment_fixed_size 0
		.amdhsa_private_segment_fixed_size 0
		.amdhsa_kernarg_size 72
		.amdhsa_user_sgpr_count 6
		.amdhsa_user_sgpr_private_segment_buffer 1
		.amdhsa_user_sgpr_dispatch_ptr 0
		.amdhsa_user_sgpr_queue_ptr 0
		.amdhsa_user_sgpr_kernarg_segment_ptr 1
		.amdhsa_user_sgpr_dispatch_id 0
		.amdhsa_user_sgpr_flat_scratch_init 0
		.amdhsa_user_sgpr_private_segment_size 0
		.amdhsa_uses_dynamic_stack 0
		.amdhsa_system_sgpr_private_segment_wavefront_offset 0
		.amdhsa_system_sgpr_workgroup_id_x 1
		.amdhsa_system_sgpr_workgroup_id_y 0
		.amdhsa_system_sgpr_workgroup_id_z 0
		.amdhsa_system_sgpr_workgroup_info 0
		.amdhsa_system_vgpr_workitem_id 0
		.amdhsa_next_free_vgpr 1
		.amdhsa_next_free_sgpr 0
		.amdhsa_reserve_vcc 0
		.amdhsa_reserve_flat_scratch 0
		.amdhsa_float_round_mode_32 0
		.amdhsa_float_round_mode_16_64 0
		.amdhsa_float_denorm_mode_32 3
		.amdhsa_float_denorm_mode_16_64 3
		.amdhsa_dx10_clamp 1
		.amdhsa_ieee_mode 1
		.amdhsa_fp16_overflow 0
		.amdhsa_exception_fp_ieee_invalid_op 0
		.amdhsa_exception_fp_denorm_src 0
		.amdhsa_exception_fp_ieee_div_zero 0
		.amdhsa_exception_fp_ieee_overflow 0
		.amdhsa_exception_fp_ieee_underflow 0
		.amdhsa_exception_fp_ieee_inexact 0
		.amdhsa_exception_int_div_zero 0
	.end_amdhsa_kernel
	.section	.text._ZN7rocprim17ROCPRIM_400000_NS6detail17trampoline_kernelINS0_14default_configENS1_38merge_sort_block_merge_config_selectorIN3c108BFloat16ElEEZZNS1_27merge_sort_block_merge_implIS3_PS6_N6thrust23THRUST_200600_302600_NS10device_ptrIlEEmNSB_4lessIS6_EEEE10hipError_tT0_T1_T2_jT3_P12ihipStream_tbPNSt15iterator_traitsISH_E10value_typeEPNSN_ISI_E10value_typeEPSJ_NS1_7vsmem_tEENKUlT_SH_SI_SJ_E_clIS9_S9_SD_PlEESG_SW_SH_SI_SJ_EUlSW_E0_NS1_11comp_targetILNS1_3genE8ELNS1_11target_archE1030ELNS1_3gpuE2ELNS1_3repE0EEENS1_38merge_mergepath_config_static_selectorELNS0_4arch9wavefront6targetE1EEEvSI_,"axG",@progbits,_ZN7rocprim17ROCPRIM_400000_NS6detail17trampoline_kernelINS0_14default_configENS1_38merge_sort_block_merge_config_selectorIN3c108BFloat16ElEEZZNS1_27merge_sort_block_merge_implIS3_PS6_N6thrust23THRUST_200600_302600_NS10device_ptrIlEEmNSB_4lessIS6_EEEE10hipError_tT0_T1_T2_jT3_P12ihipStream_tbPNSt15iterator_traitsISH_E10value_typeEPNSN_ISI_E10value_typeEPSJ_NS1_7vsmem_tEENKUlT_SH_SI_SJ_E_clIS9_S9_SD_PlEESG_SW_SH_SI_SJ_EUlSW_E0_NS1_11comp_targetILNS1_3genE8ELNS1_11target_archE1030ELNS1_3gpuE2ELNS1_3repE0EEENS1_38merge_mergepath_config_static_selectorELNS0_4arch9wavefront6targetE1EEEvSI_,comdat
.Lfunc_end2017:
	.size	_ZN7rocprim17ROCPRIM_400000_NS6detail17trampoline_kernelINS0_14default_configENS1_38merge_sort_block_merge_config_selectorIN3c108BFloat16ElEEZZNS1_27merge_sort_block_merge_implIS3_PS6_N6thrust23THRUST_200600_302600_NS10device_ptrIlEEmNSB_4lessIS6_EEEE10hipError_tT0_T1_T2_jT3_P12ihipStream_tbPNSt15iterator_traitsISH_E10value_typeEPNSN_ISI_E10value_typeEPSJ_NS1_7vsmem_tEENKUlT_SH_SI_SJ_E_clIS9_S9_SD_PlEESG_SW_SH_SI_SJ_EUlSW_E0_NS1_11comp_targetILNS1_3genE8ELNS1_11target_archE1030ELNS1_3gpuE2ELNS1_3repE0EEENS1_38merge_mergepath_config_static_selectorELNS0_4arch9wavefront6targetE1EEEvSI_, .Lfunc_end2017-_ZN7rocprim17ROCPRIM_400000_NS6detail17trampoline_kernelINS0_14default_configENS1_38merge_sort_block_merge_config_selectorIN3c108BFloat16ElEEZZNS1_27merge_sort_block_merge_implIS3_PS6_N6thrust23THRUST_200600_302600_NS10device_ptrIlEEmNSB_4lessIS6_EEEE10hipError_tT0_T1_T2_jT3_P12ihipStream_tbPNSt15iterator_traitsISH_E10value_typeEPNSN_ISI_E10value_typeEPSJ_NS1_7vsmem_tEENKUlT_SH_SI_SJ_E_clIS9_S9_SD_PlEESG_SW_SH_SI_SJ_EUlSW_E0_NS1_11comp_targetILNS1_3genE8ELNS1_11target_archE1030ELNS1_3gpuE2ELNS1_3repE0EEENS1_38merge_mergepath_config_static_selectorELNS0_4arch9wavefront6targetE1EEEvSI_
                                        ; -- End function
	.set _ZN7rocprim17ROCPRIM_400000_NS6detail17trampoline_kernelINS0_14default_configENS1_38merge_sort_block_merge_config_selectorIN3c108BFloat16ElEEZZNS1_27merge_sort_block_merge_implIS3_PS6_N6thrust23THRUST_200600_302600_NS10device_ptrIlEEmNSB_4lessIS6_EEEE10hipError_tT0_T1_T2_jT3_P12ihipStream_tbPNSt15iterator_traitsISH_E10value_typeEPNSN_ISI_E10value_typeEPSJ_NS1_7vsmem_tEENKUlT_SH_SI_SJ_E_clIS9_S9_SD_PlEESG_SW_SH_SI_SJ_EUlSW_E0_NS1_11comp_targetILNS1_3genE8ELNS1_11target_archE1030ELNS1_3gpuE2ELNS1_3repE0EEENS1_38merge_mergepath_config_static_selectorELNS0_4arch9wavefront6targetE1EEEvSI_.num_vgpr, 0
	.set _ZN7rocprim17ROCPRIM_400000_NS6detail17trampoline_kernelINS0_14default_configENS1_38merge_sort_block_merge_config_selectorIN3c108BFloat16ElEEZZNS1_27merge_sort_block_merge_implIS3_PS6_N6thrust23THRUST_200600_302600_NS10device_ptrIlEEmNSB_4lessIS6_EEEE10hipError_tT0_T1_T2_jT3_P12ihipStream_tbPNSt15iterator_traitsISH_E10value_typeEPNSN_ISI_E10value_typeEPSJ_NS1_7vsmem_tEENKUlT_SH_SI_SJ_E_clIS9_S9_SD_PlEESG_SW_SH_SI_SJ_EUlSW_E0_NS1_11comp_targetILNS1_3genE8ELNS1_11target_archE1030ELNS1_3gpuE2ELNS1_3repE0EEENS1_38merge_mergepath_config_static_selectorELNS0_4arch9wavefront6targetE1EEEvSI_.num_agpr, 0
	.set _ZN7rocprim17ROCPRIM_400000_NS6detail17trampoline_kernelINS0_14default_configENS1_38merge_sort_block_merge_config_selectorIN3c108BFloat16ElEEZZNS1_27merge_sort_block_merge_implIS3_PS6_N6thrust23THRUST_200600_302600_NS10device_ptrIlEEmNSB_4lessIS6_EEEE10hipError_tT0_T1_T2_jT3_P12ihipStream_tbPNSt15iterator_traitsISH_E10value_typeEPNSN_ISI_E10value_typeEPSJ_NS1_7vsmem_tEENKUlT_SH_SI_SJ_E_clIS9_S9_SD_PlEESG_SW_SH_SI_SJ_EUlSW_E0_NS1_11comp_targetILNS1_3genE8ELNS1_11target_archE1030ELNS1_3gpuE2ELNS1_3repE0EEENS1_38merge_mergepath_config_static_selectorELNS0_4arch9wavefront6targetE1EEEvSI_.numbered_sgpr, 0
	.set _ZN7rocprim17ROCPRIM_400000_NS6detail17trampoline_kernelINS0_14default_configENS1_38merge_sort_block_merge_config_selectorIN3c108BFloat16ElEEZZNS1_27merge_sort_block_merge_implIS3_PS6_N6thrust23THRUST_200600_302600_NS10device_ptrIlEEmNSB_4lessIS6_EEEE10hipError_tT0_T1_T2_jT3_P12ihipStream_tbPNSt15iterator_traitsISH_E10value_typeEPNSN_ISI_E10value_typeEPSJ_NS1_7vsmem_tEENKUlT_SH_SI_SJ_E_clIS9_S9_SD_PlEESG_SW_SH_SI_SJ_EUlSW_E0_NS1_11comp_targetILNS1_3genE8ELNS1_11target_archE1030ELNS1_3gpuE2ELNS1_3repE0EEENS1_38merge_mergepath_config_static_selectorELNS0_4arch9wavefront6targetE1EEEvSI_.num_named_barrier, 0
	.set _ZN7rocprim17ROCPRIM_400000_NS6detail17trampoline_kernelINS0_14default_configENS1_38merge_sort_block_merge_config_selectorIN3c108BFloat16ElEEZZNS1_27merge_sort_block_merge_implIS3_PS6_N6thrust23THRUST_200600_302600_NS10device_ptrIlEEmNSB_4lessIS6_EEEE10hipError_tT0_T1_T2_jT3_P12ihipStream_tbPNSt15iterator_traitsISH_E10value_typeEPNSN_ISI_E10value_typeEPSJ_NS1_7vsmem_tEENKUlT_SH_SI_SJ_E_clIS9_S9_SD_PlEESG_SW_SH_SI_SJ_EUlSW_E0_NS1_11comp_targetILNS1_3genE8ELNS1_11target_archE1030ELNS1_3gpuE2ELNS1_3repE0EEENS1_38merge_mergepath_config_static_selectorELNS0_4arch9wavefront6targetE1EEEvSI_.private_seg_size, 0
	.set _ZN7rocprim17ROCPRIM_400000_NS6detail17trampoline_kernelINS0_14default_configENS1_38merge_sort_block_merge_config_selectorIN3c108BFloat16ElEEZZNS1_27merge_sort_block_merge_implIS3_PS6_N6thrust23THRUST_200600_302600_NS10device_ptrIlEEmNSB_4lessIS6_EEEE10hipError_tT0_T1_T2_jT3_P12ihipStream_tbPNSt15iterator_traitsISH_E10value_typeEPNSN_ISI_E10value_typeEPSJ_NS1_7vsmem_tEENKUlT_SH_SI_SJ_E_clIS9_S9_SD_PlEESG_SW_SH_SI_SJ_EUlSW_E0_NS1_11comp_targetILNS1_3genE8ELNS1_11target_archE1030ELNS1_3gpuE2ELNS1_3repE0EEENS1_38merge_mergepath_config_static_selectorELNS0_4arch9wavefront6targetE1EEEvSI_.uses_vcc, 0
	.set _ZN7rocprim17ROCPRIM_400000_NS6detail17trampoline_kernelINS0_14default_configENS1_38merge_sort_block_merge_config_selectorIN3c108BFloat16ElEEZZNS1_27merge_sort_block_merge_implIS3_PS6_N6thrust23THRUST_200600_302600_NS10device_ptrIlEEmNSB_4lessIS6_EEEE10hipError_tT0_T1_T2_jT3_P12ihipStream_tbPNSt15iterator_traitsISH_E10value_typeEPNSN_ISI_E10value_typeEPSJ_NS1_7vsmem_tEENKUlT_SH_SI_SJ_E_clIS9_S9_SD_PlEESG_SW_SH_SI_SJ_EUlSW_E0_NS1_11comp_targetILNS1_3genE8ELNS1_11target_archE1030ELNS1_3gpuE2ELNS1_3repE0EEENS1_38merge_mergepath_config_static_selectorELNS0_4arch9wavefront6targetE1EEEvSI_.uses_flat_scratch, 0
	.set _ZN7rocprim17ROCPRIM_400000_NS6detail17trampoline_kernelINS0_14default_configENS1_38merge_sort_block_merge_config_selectorIN3c108BFloat16ElEEZZNS1_27merge_sort_block_merge_implIS3_PS6_N6thrust23THRUST_200600_302600_NS10device_ptrIlEEmNSB_4lessIS6_EEEE10hipError_tT0_T1_T2_jT3_P12ihipStream_tbPNSt15iterator_traitsISH_E10value_typeEPNSN_ISI_E10value_typeEPSJ_NS1_7vsmem_tEENKUlT_SH_SI_SJ_E_clIS9_S9_SD_PlEESG_SW_SH_SI_SJ_EUlSW_E0_NS1_11comp_targetILNS1_3genE8ELNS1_11target_archE1030ELNS1_3gpuE2ELNS1_3repE0EEENS1_38merge_mergepath_config_static_selectorELNS0_4arch9wavefront6targetE1EEEvSI_.has_dyn_sized_stack, 0
	.set _ZN7rocprim17ROCPRIM_400000_NS6detail17trampoline_kernelINS0_14default_configENS1_38merge_sort_block_merge_config_selectorIN3c108BFloat16ElEEZZNS1_27merge_sort_block_merge_implIS3_PS6_N6thrust23THRUST_200600_302600_NS10device_ptrIlEEmNSB_4lessIS6_EEEE10hipError_tT0_T1_T2_jT3_P12ihipStream_tbPNSt15iterator_traitsISH_E10value_typeEPNSN_ISI_E10value_typeEPSJ_NS1_7vsmem_tEENKUlT_SH_SI_SJ_E_clIS9_S9_SD_PlEESG_SW_SH_SI_SJ_EUlSW_E0_NS1_11comp_targetILNS1_3genE8ELNS1_11target_archE1030ELNS1_3gpuE2ELNS1_3repE0EEENS1_38merge_mergepath_config_static_selectorELNS0_4arch9wavefront6targetE1EEEvSI_.has_recursion, 0
	.set _ZN7rocprim17ROCPRIM_400000_NS6detail17trampoline_kernelINS0_14default_configENS1_38merge_sort_block_merge_config_selectorIN3c108BFloat16ElEEZZNS1_27merge_sort_block_merge_implIS3_PS6_N6thrust23THRUST_200600_302600_NS10device_ptrIlEEmNSB_4lessIS6_EEEE10hipError_tT0_T1_T2_jT3_P12ihipStream_tbPNSt15iterator_traitsISH_E10value_typeEPNSN_ISI_E10value_typeEPSJ_NS1_7vsmem_tEENKUlT_SH_SI_SJ_E_clIS9_S9_SD_PlEESG_SW_SH_SI_SJ_EUlSW_E0_NS1_11comp_targetILNS1_3genE8ELNS1_11target_archE1030ELNS1_3gpuE2ELNS1_3repE0EEENS1_38merge_mergepath_config_static_selectorELNS0_4arch9wavefront6targetE1EEEvSI_.has_indirect_call, 0
	.section	.AMDGPU.csdata,"",@progbits
; Kernel info:
; codeLenInByte = 0
; TotalNumSgprs: 4
; NumVgprs: 0
; ScratchSize: 0
; MemoryBound: 0
; FloatMode: 240
; IeeeMode: 1
; LDSByteSize: 0 bytes/workgroup (compile time only)
; SGPRBlocks: 0
; VGPRBlocks: 0
; NumSGPRsForWavesPerEU: 4
; NumVGPRsForWavesPerEU: 1
; Occupancy: 10
; WaveLimiterHint : 0
; COMPUTE_PGM_RSRC2:SCRATCH_EN: 0
; COMPUTE_PGM_RSRC2:USER_SGPR: 6
; COMPUTE_PGM_RSRC2:TRAP_HANDLER: 0
; COMPUTE_PGM_RSRC2:TGID_X_EN: 1
; COMPUTE_PGM_RSRC2:TGID_Y_EN: 0
; COMPUTE_PGM_RSRC2:TGID_Z_EN: 0
; COMPUTE_PGM_RSRC2:TIDIG_COMP_CNT: 0
	.section	.text._ZN7rocprim17ROCPRIM_400000_NS6detail17trampoline_kernelINS0_14default_configENS1_38merge_sort_block_merge_config_selectorIN3c108BFloat16ElEEZZNS1_27merge_sort_block_merge_implIS3_PS6_N6thrust23THRUST_200600_302600_NS10device_ptrIlEEmNSB_4lessIS6_EEEE10hipError_tT0_T1_T2_jT3_P12ihipStream_tbPNSt15iterator_traitsISH_E10value_typeEPNSN_ISI_E10value_typeEPSJ_NS1_7vsmem_tEENKUlT_SH_SI_SJ_E_clIS9_S9_SD_PlEESG_SW_SH_SI_SJ_EUlSW_E1_NS1_11comp_targetILNS1_3genE0ELNS1_11target_archE4294967295ELNS1_3gpuE0ELNS1_3repE0EEENS1_36merge_oddeven_config_static_selectorELNS0_4arch9wavefront6targetE1EEEvSI_,"axG",@progbits,_ZN7rocprim17ROCPRIM_400000_NS6detail17trampoline_kernelINS0_14default_configENS1_38merge_sort_block_merge_config_selectorIN3c108BFloat16ElEEZZNS1_27merge_sort_block_merge_implIS3_PS6_N6thrust23THRUST_200600_302600_NS10device_ptrIlEEmNSB_4lessIS6_EEEE10hipError_tT0_T1_T2_jT3_P12ihipStream_tbPNSt15iterator_traitsISH_E10value_typeEPNSN_ISI_E10value_typeEPSJ_NS1_7vsmem_tEENKUlT_SH_SI_SJ_E_clIS9_S9_SD_PlEESG_SW_SH_SI_SJ_EUlSW_E1_NS1_11comp_targetILNS1_3genE0ELNS1_11target_archE4294967295ELNS1_3gpuE0ELNS1_3repE0EEENS1_36merge_oddeven_config_static_selectorELNS0_4arch9wavefront6targetE1EEEvSI_,comdat
	.protected	_ZN7rocprim17ROCPRIM_400000_NS6detail17trampoline_kernelINS0_14default_configENS1_38merge_sort_block_merge_config_selectorIN3c108BFloat16ElEEZZNS1_27merge_sort_block_merge_implIS3_PS6_N6thrust23THRUST_200600_302600_NS10device_ptrIlEEmNSB_4lessIS6_EEEE10hipError_tT0_T1_T2_jT3_P12ihipStream_tbPNSt15iterator_traitsISH_E10value_typeEPNSN_ISI_E10value_typeEPSJ_NS1_7vsmem_tEENKUlT_SH_SI_SJ_E_clIS9_S9_SD_PlEESG_SW_SH_SI_SJ_EUlSW_E1_NS1_11comp_targetILNS1_3genE0ELNS1_11target_archE4294967295ELNS1_3gpuE0ELNS1_3repE0EEENS1_36merge_oddeven_config_static_selectorELNS0_4arch9wavefront6targetE1EEEvSI_ ; -- Begin function _ZN7rocprim17ROCPRIM_400000_NS6detail17trampoline_kernelINS0_14default_configENS1_38merge_sort_block_merge_config_selectorIN3c108BFloat16ElEEZZNS1_27merge_sort_block_merge_implIS3_PS6_N6thrust23THRUST_200600_302600_NS10device_ptrIlEEmNSB_4lessIS6_EEEE10hipError_tT0_T1_T2_jT3_P12ihipStream_tbPNSt15iterator_traitsISH_E10value_typeEPNSN_ISI_E10value_typeEPSJ_NS1_7vsmem_tEENKUlT_SH_SI_SJ_E_clIS9_S9_SD_PlEESG_SW_SH_SI_SJ_EUlSW_E1_NS1_11comp_targetILNS1_3genE0ELNS1_11target_archE4294967295ELNS1_3gpuE0ELNS1_3repE0EEENS1_36merge_oddeven_config_static_selectorELNS0_4arch9wavefront6targetE1EEEvSI_
	.globl	_ZN7rocprim17ROCPRIM_400000_NS6detail17trampoline_kernelINS0_14default_configENS1_38merge_sort_block_merge_config_selectorIN3c108BFloat16ElEEZZNS1_27merge_sort_block_merge_implIS3_PS6_N6thrust23THRUST_200600_302600_NS10device_ptrIlEEmNSB_4lessIS6_EEEE10hipError_tT0_T1_T2_jT3_P12ihipStream_tbPNSt15iterator_traitsISH_E10value_typeEPNSN_ISI_E10value_typeEPSJ_NS1_7vsmem_tEENKUlT_SH_SI_SJ_E_clIS9_S9_SD_PlEESG_SW_SH_SI_SJ_EUlSW_E1_NS1_11comp_targetILNS1_3genE0ELNS1_11target_archE4294967295ELNS1_3gpuE0ELNS1_3repE0EEENS1_36merge_oddeven_config_static_selectorELNS0_4arch9wavefront6targetE1EEEvSI_
	.p2align	8
	.type	_ZN7rocprim17ROCPRIM_400000_NS6detail17trampoline_kernelINS0_14default_configENS1_38merge_sort_block_merge_config_selectorIN3c108BFloat16ElEEZZNS1_27merge_sort_block_merge_implIS3_PS6_N6thrust23THRUST_200600_302600_NS10device_ptrIlEEmNSB_4lessIS6_EEEE10hipError_tT0_T1_T2_jT3_P12ihipStream_tbPNSt15iterator_traitsISH_E10value_typeEPNSN_ISI_E10value_typeEPSJ_NS1_7vsmem_tEENKUlT_SH_SI_SJ_E_clIS9_S9_SD_PlEESG_SW_SH_SI_SJ_EUlSW_E1_NS1_11comp_targetILNS1_3genE0ELNS1_11target_archE4294967295ELNS1_3gpuE0ELNS1_3repE0EEENS1_36merge_oddeven_config_static_selectorELNS0_4arch9wavefront6targetE1EEEvSI_,@function
_ZN7rocprim17ROCPRIM_400000_NS6detail17trampoline_kernelINS0_14default_configENS1_38merge_sort_block_merge_config_selectorIN3c108BFloat16ElEEZZNS1_27merge_sort_block_merge_implIS3_PS6_N6thrust23THRUST_200600_302600_NS10device_ptrIlEEmNSB_4lessIS6_EEEE10hipError_tT0_T1_T2_jT3_P12ihipStream_tbPNSt15iterator_traitsISH_E10value_typeEPNSN_ISI_E10value_typeEPSJ_NS1_7vsmem_tEENKUlT_SH_SI_SJ_E_clIS9_S9_SD_PlEESG_SW_SH_SI_SJ_EUlSW_E1_NS1_11comp_targetILNS1_3genE0ELNS1_11target_archE4294967295ELNS1_3gpuE0ELNS1_3repE0EEENS1_36merge_oddeven_config_static_selectorELNS0_4arch9wavefront6targetE1EEEvSI_: ; @_ZN7rocprim17ROCPRIM_400000_NS6detail17trampoline_kernelINS0_14default_configENS1_38merge_sort_block_merge_config_selectorIN3c108BFloat16ElEEZZNS1_27merge_sort_block_merge_implIS3_PS6_N6thrust23THRUST_200600_302600_NS10device_ptrIlEEmNSB_4lessIS6_EEEE10hipError_tT0_T1_T2_jT3_P12ihipStream_tbPNSt15iterator_traitsISH_E10value_typeEPNSN_ISI_E10value_typeEPSJ_NS1_7vsmem_tEENKUlT_SH_SI_SJ_E_clIS9_S9_SD_PlEESG_SW_SH_SI_SJ_EUlSW_E1_NS1_11comp_targetILNS1_3genE0ELNS1_11target_archE4294967295ELNS1_3gpuE0ELNS1_3repE0EEENS1_36merge_oddeven_config_static_selectorELNS0_4arch9wavefront6targetE1EEEvSI_
; %bb.0:
	.section	.rodata,"a",@progbits
	.p2align	6, 0x0
	.amdhsa_kernel _ZN7rocprim17ROCPRIM_400000_NS6detail17trampoline_kernelINS0_14default_configENS1_38merge_sort_block_merge_config_selectorIN3c108BFloat16ElEEZZNS1_27merge_sort_block_merge_implIS3_PS6_N6thrust23THRUST_200600_302600_NS10device_ptrIlEEmNSB_4lessIS6_EEEE10hipError_tT0_T1_T2_jT3_P12ihipStream_tbPNSt15iterator_traitsISH_E10value_typeEPNSN_ISI_E10value_typeEPSJ_NS1_7vsmem_tEENKUlT_SH_SI_SJ_E_clIS9_S9_SD_PlEESG_SW_SH_SI_SJ_EUlSW_E1_NS1_11comp_targetILNS1_3genE0ELNS1_11target_archE4294967295ELNS1_3gpuE0ELNS1_3repE0EEENS1_36merge_oddeven_config_static_selectorELNS0_4arch9wavefront6targetE1EEEvSI_
		.amdhsa_group_segment_fixed_size 0
		.amdhsa_private_segment_fixed_size 0
		.amdhsa_kernarg_size 56
		.amdhsa_user_sgpr_count 6
		.amdhsa_user_sgpr_private_segment_buffer 1
		.amdhsa_user_sgpr_dispatch_ptr 0
		.amdhsa_user_sgpr_queue_ptr 0
		.amdhsa_user_sgpr_kernarg_segment_ptr 1
		.amdhsa_user_sgpr_dispatch_id 0
		.amdhsa_user_sgpr_flat_scratch_init 0
		.amdhsa_user_sgpr_private_segment_size 0
		.amdhsa_uses_dynamic_stack 0
		.amdhsa_system_sgpr_private_segment_wavefront_offset 0
		.amdhsa_system_sgpr_workgroup_id_x 1
		.amdhsa_system_sgpr_workgroup_id_y 0
		.amdhsa_system_sgpr_workgroup_id_z 0
		.amdhsa_system_sgpr_workgroup_info 0
		.amdhsa_system_vgpr_workitem_id 0
		.amdhsa_next_free_vgpr 1
		.amdhsa_next_free_sgpr 0
		.amdhsa_reserve_vcc 0
		.amdhsa_reserve_flat_scratch 0
		.amdhsa_float_round_mode_32 0
		.amdhsa_float_round_mode_16_64 0
		.amdhsa_float_denorm_mode_32 3
		.amdhsa_float_denorm_mode_16_64 3
		.amdhsa_dx10_clamp 1
		.amdhsa_ieee_mode 1
		.amdhsa_fp16_overflow 0
		.amdhsa_exception_fp_ieee_invalid_op 0
		.amdhsa_exception_fp_denorm_src 0
		.amdhsa_exception_fp_ieee_div_zero 0
		.amdhsa_exception_fp_ieee_overflow 0
		.amdhsa_exception_fp_ieee_underflow 0
		.amdhsa_exception_fp_ieee_inexact 0
		.amdhsa_exception_int_div_zero 0
	.end_amdhsa_kernel
	.section	.text._ZN7rocprim17ROCPRIM_400000_NS6detail17trampoline_kernelINS0_14default_configENS1_38merge_sort_block_merge_config_selectorIN3c108BFloat16ElEEZZNS1_27merge_sort_block_merge_implIS3_PS6_N6thrust23THRUST_200600_302600_NS10device_ptrIlEEmNSB_4lessIS6_EEEE10hipError_tT0_T1_T2_jT3_P12ihipStream_tbPNSt15iterator_traitsISH_E10value_typeEPNSN_ISI_E10value_typeEPSJ_NS1_7vsmem_tEENKUlT_SH_SI_SJ_E_clIS9_S9_SD_PlEESG_SW_SH_SI_SJ_EUlSW_E1_NS1_11comp_targetILNS1_3genE0ELNS1_11target_archE4294967295ELNS1_3gpuE0ELNS1_3repE0EEENS1_36merge_oddeven_config_static_selectorELNS0_4arch9wavefront6targetE1EEEvSI_,"axG",@progbits,_ZN7rocprim17ROCPRIM_400000_NS6detail17trampoline_kernelINS0_14default_configENS1_38merge_sort_block_merge_config_selectorIN3c108BFloat16ElEEZZNS1_27merge_sort_block_merge_implIS3_PS6_N6thrust23THRUST_200600_302600_NS10device_ptrIlEEmNSB_4lessIS6_EEEE10hipError_tT0_T1_T2_jT3_P12ihipStream_tbPNSt15iterator_traitsISH_E10value_typeEPNSN_ISI_E10value_typeEPSJ_NS1_7vsmem_tEENKUlT_SH_SI_SJ_E_clIS9_S9_SD_PlEESG_SW_SH_SI_SJ_EUlSW_E1_NS1_11comp_targetILNS1_3genE0ELNS1_11target_archE4294967295ELNS1_3gpuE0ELNS1_3repE0EEENS1_36merge_oddeven_config_static_selectorELNS0_4arch9wavefront6targetE1EEEvSI_,comdat
.Lfunc_end2018:
	.size	_ZN7rocprim17ROCPRIM_400000_NS6detail17trampoline_kernelINS0_14default_configENS1_38merge_sort_block_merge_config_selectorIN3c108BFloat16ElEEZZNS1_27merge_sort_block_merge_implIS3_PS6_N6thrust23THRUST_200600_302600_NS10device_ptrIlEEmNSB_4lessIS6_EEEE10hipError_tT0_T1_T2_jT3_P12ihipStream_tbPNSt15iterator_traitsISH_E10value_typeEPNSN_ISI_E10value_typeEPSJ_NS1_7vsmem_tEENKUlT_SH_SI_SJ_E_clIS9_S9_SD_PlEESG_SW_SH_SI_SJ_EUlSW_E1_NS1_11comp_targetILNS1_3genE0ELNS1_11target_archE4294967295ELNS1_3gpuE0ELNS1_3repE0EEENS1_36merge_oddeven_config_static_selectorELNS0_4arch9wavefront6targetE1EEEvSI_, .Lfunc_end2018-_ZN7rocprim17ROCPRIM_400000_NS6detail17trampoline_kernelINS0_14default_configENS1_38merge_sort_block_merge_config_selectorIN3c108BFloat16ElEEZZNS1_27merge_sort_block_merge_implIS3_PS6_N6thrust23THRUST_200600_302600_NS10device_ptrIlEEmNSB_4lessIS6_EEEE10hipError_tT0_T1_T2_jT3_P12ihipStream_tbPNSt15iterator_traitsISH_E10value_typeEPNSN_ISI_E10value_typeEPSJ_NS1_7vsmem_tEENKUlT_SH_SI_SJ_E_clIS9_S9_SD_PlEESG_SW_SH_SI_SJ_EUlSW_E1_NS1_11comp_targetILNS1_3genE0ELNS1_11target_archE4294967295ELNS1_3gpuE0ELNS1_3repE0EEENS1_36merge_oddeven_config_static_selectorELNS0_4arch9wavefront6targetE1EEEvSI_
                                        ; -- End function
	.set _ZN7rocprim17ROCPRIM_400000_NS6detail17trampoline_kernelINS0_14default_configENS1_38merge_sort_block_merge_config_selectorIN3c108BFloat16ElEEZZNS1_27merge_sort_block_merge_implIS3_PS6_N6thrust23THRUST_200600_302600_NS10device_ptrIlEEmNSB_4lessIS6_EEEE10hipError_tT0_T1_T2_jT3_P12ihipStream_tbPNSt15iterator_traitsISH_E10value_typeEPNSN_ISI_E10value_typeEPSJ_NS1_7vsmem_tEENKUlT_SH_SI_SJ_E_clIS9_S9_SD_PlEESG_SW_SH_SI_SJ_EUlSW_E1_NS1_11comp_targetILNS1_3genE0ELNS1_11target_archE4294967295ELNS1_3gpuE0ELNS1_3repE0EEENS1_36merge_oddeven_config_static_selectorELNS0_4arch9wavefront6targetE1EEEvSI_.num_vgpr, 0
	.set _ZN7rocprim17ROCPRIM_400000_NS6detail17trampoline_kernelINS0_14default_configENS1_38merge_sort_block_merge_config_selectorIN3c108BFloat16ElEEZZNS1_27merge_sort_block_merge_implIS3_PS6_N6thrust23THRUST_200600_302600_NS10device_ptrIlEEmNSB_4lessIS6_EEEE10hipError_tT0_T1_T2_jT3_P12ihipStream_tbPNSt15iterator_traitsISH_E10value_typeEPNSN_ISI_E10value_typeEPSJ_NS1_7vsmem_tEENKUlT_SH_SI_SJ_E_clIS9_S9_SD_PlEESG_SW_SH_SI_SJ_EUlSW_E1_NS1_11comp_targetILNS1_3genE0ELNS1_11target_archE4294967295ELNS1_3gpuE0ELNS1_3repE0EEENS1_36merge_oddeven_config_static_selectorELNS0_4arch9wavefront6targetE1EEEvSI_.num_agpr, 0
	.set _ZN7rocprim17ROCPRIM_400000_NS6detail17trampoline_kernelINS0_14default_configENS1_38merge_sort_block_merge_config_selectorIN3c108BFloat16ElEEZZNS1_27merge_sort_block_merge_implIS3_PS6_N6thrust23THRUST_200600_302600_NS10device_ptrIlEEmNSB_4lessIS6_EEEE10hipError_tT0_T1_T2_jT3_P12ihipStream_tbPNSt15iterator_traitsISH_E10value_typeEPNSN_ISI_E10value_typeEPSJ_NS1_7vsmem_tEENKUlT_SH_SI_SJ_E_clIS9_S9_SD_PlEESG_SW_SH_SI_SJ_EUlSW_E1_NS1_11comp_targetILNS1_3genE0ELNS1_11target_archE4294967295ELNS1_3gpuE0ELNS1_3repE0EEENS1_36merge_oddeven_config_static_selectorELNS0_4arch9wavefront6targetE1EEEvSI_.numbered_sgpr, 0
	.set _ZN7rocprim17ROCPRIM_400000_NS6detail17trampoline_kernelINS0_14default_configENS1_38merge_sort_block_merge_config_selectorIN3c108BFloat16ElEEZZNS1_27merge_sort_block_merge_implIS3_PS6_N6thrust23THRUST_200600_302600_NS10device_ptrIlEEmNSB_4lessIS6_EEEE10hipError_tT0_T1_T2_jT3_P12ihipStream_tbPNSt15iterator_traitsISH_E10value_typeEPNSN_ISI_E10value_typeEPSJ_NS1_7vsmem_tEENKUlT_SH_SI_SJ_E_clIS9_S9_SD_PlEESG_SW_SH_SI_SJ_EUlSW_E1_NS1_11comp_targetILNS1_3genE0ELNS1_11target_archE4294967295ELNS1_3gpuE0ELNS1_3repE0EEENS1_36merge_oddeven_config_static_selectorELNS0_4arch9wavefront6targetE1EEEvSI_.num_named_barrier, 0
	.set _ZN7rocprim17ROCPRIM_400000_NS6detail17trampoline_kernelINS0_14default_configENS1_38merge_sort_block_merge_config_selectorIN3c108BFloat16ElEEZZNS1_27merge_sort_block_merge_implIS3_PS6_N6thrust23THRUST_200600_302600_NS10device_ptrIlEEmNSB_4lessIS6_EEEE10hipError_tT0_T1_T2_jT3_P12ihipStream_tbPNSt15iterator_traitsISH_E10value_typeEPNSN_ISI_E10value_typeEPSJ_NS1_7vsmem_tEENKUlT_SH_SI_SJ_E_clIS9_S9_SD_PlEESG_SW_SH_SI_SJ_EUlSW_E1_NS1_11comp_targetILNS1_3genE0ELNS1_11target_archE4294967295ELNS1_3gpuE0ELNS1_3repE0EEENS1_36merge_oddeven_config_static_selectorELNS0_4arch9wavefront6targetE1EEEvSI_.private_seg_size, 0
	.set _ZN7rocprim17ROCPRIM_400000_NS6detail17trampoline_kernelINS0_14default_configENS1_38merge_sort_block_merge_config_selectorIN3c108BFloat16ElEEZZNS1_27merge_sort_block_merge_implIS3_PS6_N6thrust23THRUST_200600_302600_NS10device_ptrIlEEmNSB_4lessIS6_EEEE10hipError_tT0_T1_T2_jT3_P12ihipStream_tbPNSt15iterator_traitsISH_E10value_typeEPNSN_ISI_E10value_typeEPSJ_NS1_7vsmem_tEENKUlT_SH_SI_SJ_E_clIS9_S9_SD_PlEESG_SW_SH_SI_SJ_EUlSW_E1_NS1_11comp_targetILNS1_3genE0ELNS1_11target_archE4294967295ELNS1_3gpuE0ELNS1_3repE0EEENS1_36merge_oddeven_config_static_selectorELNS0_4arch9wavefront6targetE1EEEvSI_.uses_vcc, 0
	.set _ZN7rocprim17ROCPRIM_400000_NS6detail17trampoline_kernelINS0_14default_configENS1_38merge_sort_block_merge_config_selectorIN3c108BFloat16ElEEZZNS1_27merge_sort_block_merge_implIS3_PS6_N6thrust23THRUST_200600_302600_NS10device_ptrIlEEmNSB_4lessIS6_EEEE10hipError_tT0_T1_T2_jT3_P12ihipStream_tbPNSt15iterator_traitsISH_E10value_typeEPNSN_ISI_E10value_typeEPSJ_NS1_7vsmem_tEENKUlT_SH_SI_SJ_E_clIS9_S9_SD_PlEESG_SW_SH_SI_SJ_EUlSW_E1_NS1_11comp_targetILNS1_3genE0ELNS1_11target_archE4294967295ELNS1_3gpuE0ELNS1_3repE0EEENS1_36merge_oddeven_config_static_selectorELNS0_4arch9wavefront6targetE1EEEvSI_.uses_flat_scratch, 0
	.set _ZN7rocprim17ROCPRIM_400000_NS6detail17trampoline_kernelINS0_14default_configENS1_38merge_sort_block_merge_config_selectorIN3c108BFloat16ElEEZZNS1_27merge_sort_block_merge_implIS3_PS6_N6thrust23THRUST_200600_302600_NS10device_ptrIlEEmNSB_4lessIS6_EEEE10hipError_tT0_T1_T2_jT3_P12ihipStream_tbPNSt15iterator_traitsISH_E10value_typeEPNSN_ISI_E10value_typeEPSJ_NS1_7vsmem_tEENKUlT_SH_SI_SJ_E_clIS9_S9_SD_PlEESG_SW_SH_SI_SJ_EUlSW_E1_NS1_11comp_targetILNS1_3genE0ELNS1_11target_archE4294967295ELNS1_3gpuE0ELNS1_3repE0EEENS1_36merge_oddeven_config_static_selectorELNS0_4arch9wavefront6targetE1EEEvSI_.has_dyn_sized_stack, 0
	.set _ZN7rocprim17ROCPRIM_400000_NS6detail17trampoline_kernelINS0_14default_configENS1_38merge_sort_block_merge_config_selectorIN3c108BFloat16ElEEZZNS1_27merge_sort_block_merge_implIS3_PS6_N6thrust23THRUST_200600_302600_NS10device_ptrIlEEmNSB_4lessIS6_EEEE10hipError_tT0_T1_T2_jT3_P12ihipStream_tbPNSt15iterator_traitsISH_E10value_typeEPNSN_ISI_E10value_typeEPSJ_NS1_7vsmem_tEENKUlT_SH_SI_SJ_E_clIS9_S9_SD_PlEESG_SW_SH_SI_SJ_EUlSW_E1_NS1_11comp_targetILNS1_3genE0ELNS1_11target_archE4294967295ELNS1_3gpuE0ELNS1_3repE0EEENS1_36merge_oddeven_config_static_selectorELNS0_4arch9wavefront6targetE1EEEvSI_.has_recursion, 0
	.set _ZN7rocprim17ROCPRIM_400000_NS6detail17trampoline_kernelINS0_14default_configENS1_38merge_sort_block_merge_config_selectorIN3c108BFloat16ElEEZZNS1_27merge_sort_block_merge_implIS3_PS6_N6thrust23THRUST_200600_302600_NS10device_ptrIlEEmNSB_4lessIS6_EEEE10hipError_tT0_T1_T2_jT3_P12ihipStream_tbPNSt15iterator_traitsISH_E10value_typeEPNSN_ISI_E10value_typeEPSJ_NS1_7vsmem_tEENKUlT_SH_SI_SJ_E_clIS9_S9_SD_PlEESG_SW_SH_SI_SJ_EUlSW_E1_NS1_11comp_targetILNS1_3genE0ELNS1_11target_archE4294967295ELNS1_3gpuE0ELNS1_3repE0EEENS1_36merge_oddeven_config_static_selectorELNS0_4arch9wavefront6targetE1EEEvSI_.has_indirect_call, 0
	.section	.AMDGPU.csdata,"",@progbits
; Kernel info:
; codeLenInByte = 0
; TotalNumSgprs: 4
; NumVgprs: 0
; ScratchSize: 0
; MemoryBound: 0
; FloatMode: 240
; IeeeMode: 1
; LDSByteSize: 0 bytes/workgroup (compile time only)
; SGPRBlocks: 0
; VGPRBlocks: 0
; NumSGPRsForWavesPerEU: 4
; NumVGPRsForWavesPerEU: 1
; Occupancy: 10
; WaveLimiterHint : 0
; COMPUTE_PGM_RSRC2:SCRATCH_EN: 0
; COMPUTE_PGM_RSRC2:USER_SGPR: 6
; COMPUTE_PGM_RSRC2:TRAP_HANDLER: 0
; COMPUTE_PGM_RSRC2:TGID_X_EN: 1
; COMPUTE_PGM_RSRC2:TGID_Y_EN: 0
; COMPUTE_PGM_RSRC2:TGID_Z_EN: 0
; COMPUTE_PGM_RSRC2:TIDIG_COMP_CNT: 0
	.section	.text._ZN7rocprim17ROCPRIM_400000_NS6detail17trampoline_kernelINS0_14default_configENS1_38merge_sort_block_merge_config_selectorIN3c108BFloat16ElEEZZNS1_27merge_sort_block_merge_implIS3_PS6_N6thrust23THRUST_200600_302600_NS10device_ptrIlEEmNSB_4lessIS6_EEEE10hipError_tT0_T1_T2_jT3_P12ihipStream_tbPNSt15iterator_traitsISH_E10value_typeEPNSN_ISI_E10value_typeEPSJ_NS1_7vsmem_tEENKUlT_SH_SI_SJ_E_clIS9_S9_SD_PlEESG_SW_SH_SI_SJ_EUlSW_E1_NS1_11comp_targetILNS1_3genE10ELNS1_11target_archE1201ELNS1_3gpuE5ELNS1_3repE0EEENS1_36merge_oddeven_config_static_selectorELNS0_4arch9wavefront6targetE1EEEvSI_,"axG",@progbits,_ZN7rocprim17ROCPRIM_400000_NS6detail17trampoline_kernelINS0_14default_configENS1_38merge_sort_block_merge_config_selectorIN3c108BFloat16ElEEZZNS1_27merge_sort_block_merge_implIS3_PS6_N6thrust23THRUST_200600_302600_NS10device_ptrIlEEmNSB_4lessIS6_EEEE10hipError_tT0_T1_T2_jT3_P12ihipStream_tbPNSt15iterator_traitsISH_E10value_typeEPNSN_ISI_E10value_typeEPSJ_NS1_7vsmem_tEENKUlT_SH_SI_SJ_E_clIS9_S9_SD_PlEESG_SW_SH_SI_SJ_EUlSW_E1_NS1_11comp_targetILNS1_3genE10ELNS1_11target_archE1201ELNS1_3gpuE5ELNS1_3repE0EEENS1_36merge_oddeven_config_static_selectorELNS0_4arch9wavefront6targetE1EEEvSI_,comdat
	.protected	_ZN7rocprim17ROCPRIM_400000_NS6detail17trampoline_kernelINS0_14default_configENS1_38merge_sort_block_merge_config_selectorIN3c108BFloat16ElEEZZNS1_27merge_sort_block_merge_implIS3_PS6_N6thrust23THRUST_200600_302600_NS10device_ptrIlEEmNSB_4lessIS6_EEEE10hipError_tT0_T1_T2_jT3_P12ihipStream_tbPNSt15iterator_traitsISH_E10value_typeEPNSN_ISI_E10value_typeEPSJ_NS1_7vsmem_tEENKUlT_SH_SI_SJ_E_clIS9_S9_SD_PlEESG_SW_SH_SI_SJ_EUlSW_E1_NS1_11comp_targetILNS1_3genE10ELNS1_11target_archE1201ELNS1_3gpuE5ELNS1_3repE0EEENS1_36merge_oddeven_config_static_selectorELNS0_4arch9wavefront6targetE1EEEvSI_ ; -- Begin function _ZN7rocprim17ROCPRIM_400000_NS6detail17trampoline_kernelINS0_14default_configENS1_38merge_sort_block_merge_config_selectorIN3c108BFloat16ElEEZZNS1_27merge_sort_block_merge_implIS3_PS6_N6thrust23THRUST_200600_302600_NS10device_ptrIlEEmNSB_4lessIS6_EEEE10hipError_tT0_T1_T2_jT3_P12ihipStream_tbPNSt15iterator_traitsISH_E10value_typeEPNSN_ISI_E10value_typeEPSJ_NS1_7vsmem_tEENKUlT_SH_SI_SJ_E_clIS9_S9_SD_PlEESG_SW_SH_SI_SJ_EUlSW_E1_NS1_11comp_targetILNS1_3genE10ELNS1_11target_archE1201ELNS1_3gpuE5ELNS1_3repE0EEENS1_36merge_oddeven_config_static_selectorELNS0_4arch9wavefront6targetE1EEEvSI_
	.globl	_ZN7rocprim17ROCPRIM_400000_NS6detail17trampoline_kernelINS0_14default_configENS1_38merge_sort_block_merge_config_selectorIN3c108BFloat16ElEEZZNS1_27merge_sort_block_merge_implIS3_PS6_N6thrust23THRUST_200600_302600_NS10device_ptrIlEEmNSB_4lessIS6_EEEE10hipError_tT0_T1_T2_jT3_P12ihipStream_tbPNSt15iterator_traitsISH_E10value_typeEPNSN_ISI_E10value_typeEPSJ_NS1_7vsmem_tEENKUlT_SH_SI_SJ_E_clIS9_S9_SD_PlEESG_SW_SH_SI_SJ_EUlSW_E1_NS1_11comp_targetILNS1_3genE10ELNS1_11target_archE1201ELNS1_3gpuE5ELNS1_3repE0EEENS1_36merge_oddeven_config_static_selectorELNS0_4arch9wavefront6targetE1EEEvSI_
	.p2align	8
	.type	_ZN7rocprim17ROCPRIM_400000_NS6detail17trampoline_kernelINS0_14default_configENS1_38merge_sort_block_merge_config_selectorIN3c108BFloat16ElEEZZNS1_27merge_sort_block_merge_implIS3_PS6_N6thrust23THRUST_200600_302600_NS10device_ptrIlEEmNSB_4lessIS6_EEEE10hipError_tT0_T1_T2_jT3_P12ihipStream_tbPNSt15iterator_traitsISH_E10value_typeEPNSN_ISI_E10value_typeEPSJ_NS1_7vsmem_tEENKUlT_SH_SI_SJ_E_clIS9_S9_SD_PlEESG_SW_SH_SI_SJ_EUlSW_E1_NS1_11comp_targetILNS1_3genE10ELNS1_11target_archE1201ELNS1_3gpuE5ELNS1_3repE0EEENS1_36merge_oddeven_config_static_selectorELNS0_4arch9wavefront6targetE1EEEvSI_,@function
_ZN7rocprim17ROCPRIM_400000_NS6detail17trampoline_kernelINS0_14default_configENS1_38merge_sort_block_merge_config_selectorIN3c108BFloat16ElEEZZNS1_27merge_sort_block_merge_implIS3_PS6_N6thrust23THRUST_200600_302600_NS10device_ptrIlEEmNSB_4lessIS6_EEEE10hipError_tT0_T1_T2_jT3_P12ihipStream_tbPNSt15iterator_traitsISH_E10value_typeEPNSN_ISI_E10value_typeEPSJ_NS1_7vsmem_tEENKUlT_SH_SI_SJ_E_clIS9_S9_SD_PlEESG_SW_SH_SI_SJ_EUlSW_E1_NS1_11comp_targetILNS1_3genE10ELNS1_11target_archE1201ELNS1_3gpuE5ELNS1_3repE0EEENS1_36merge_oddeven_config_static_selectorELNS0_4arch9wavefront6targetE1EEEvSI_: ; @_ZN7rocprim17ROCPRIM_400000_NS6detail17trampoline_kernelINS0_14default_configENS1_38merge_sort_block_merge_config_selectorIN3c108BFloat16ElEEZZNS1_27merge_sort_block_merge_implIS3_PS6_N6thrust23THRUST_200600_302600_NS10device_ptrIlEEmNSB_4lessIS6_EEEE10hipError_tT0_T1_T2_jT3_P12ihipStream_tbPNSt15iterator_traitsISH_E10value_typeEPNSN_ISI_E10value_typeEPSJ_NS1_7vsmem_tEENKUlT_SH_SI_SJ_E_clIS9_S9_SD_PlEESG_SW_SH_SI_SJ_EUlSW_E1_NS1_11comp_targetILNS1_3genE10ELNS1_11target_archE1201ELNS1_3gpuE5ELNS1_3repE0EEENS1_36merge_oddeven_config_static_selectorELNS0_4arch9wavefront6targetE1EEEvSI_
; %bb.0:
	.section	.rodata,"a",@progbits
	.p2align	6, 0x0
	.amdhsa_kernel _ZN7rocprim17ROCPRIM_400000_NS6detail17trampoline_kernelINS0_14default_configENS1_38merge_sort_block_merge_config_selectorIN3c108BFloat16ElEEZZNS1_27merge_sort_block_merge_implIS3_PS6_N6thrust23THRUST_200600_302600_NS10device_ptrIlEEmNSB_4lessIS6_EEEE10hipError_tT0_T1_T2_jT3_P12ihipStream_tbPNSt15iterator_traitsISH_E10value_typeEPNSN_ISI_E10value_typeEPSJ_NS1_7vsmem_tEENKUlT_SH_SI_SJ_E_clIS9_S9_SD_PlEESG_SW_SH_SI_SJ_EUlSW_E1_NS1_11comp_targetILNS1_3genE10ELNS1_11target_archE1201ELNS1_3gpuE5ELNS1_3repE0EEENS1_36merge_oddeven_config_static_selectorELNS0_4arch9wavefront6targetE1EEEvSI_
		.amdhsa_group_segment_fixed_size 0
		.amdhsa_private_segment_fixed_size 0
		.amdhsa_kernarg_size 56
		.amdhsa_user_sgpr_count 6
		.amdhsa_user_sgpr_private_segment_buffer 1
		.amdhsa_user_sgpr_dispatch_ptr 0
		.amdhsa_user_sgpr_queue_ptr 0
		.amdhsa_user_sgpr_kernarg_segment_ptr 1
		.amdhsa_user_sgpr_dispatch_id 0
		.amdhsa_user_sgpr_flat_scratch_init 0
		.amdhsa_user_sgpr_private_segment_size 0
		.amdhsa_uses_dynamic_stack 0
		.amdhsa_system_sgpr_private_segment_wavefront_offset 0
		.amdhsa_system_sgpr_workgroup_id_x 1
		.amdhsa_system_sgpr_workgroup_id_y 0
		.amdhsa_system_sgpr_workgroup_id_z 0
		.amdhsa_system_sgpr_workgroup_info 0
		.amdhsa_system_vgpr_workitem_id 0
		.amdhsa_next_free_vgpr 1
		.amdhsa_next_free_sgpr 0
		.amdhsa_reserve_vcc 0
		.amdhsa_reserve_flat_scratch 0
		.amdhsa_float_round_mode_32 0
		.amdhsa_float_round_mode_16_64 0
		.amdhsa_float_denorm_mode_32 3
		.amdhsa_float_denorm_mode_16_64 3
		.amdhsa_dx10_clamp 1
		.amdhsa_ieee_mode 1
		.amdhsa_fp16_overflow 0
		.amdhsa_exception_fp_ieee_invalid_op 0
		.amdhsa_exception_fp_denorm_src 0
		.amdhsa_exception_fp_ieee_div_zero 0
		.amdhsa_exception_fp_ieee_overflow 0
		.amdhsa_exception_fp_ieee_underflow 0
		.amdhsa_exception_fp_ieee_inexact 0
		.amdhsa_exception_int_div_zero 0
	.end_amdhsa_kernel
	.section	.text._ZN7rocprim17ROCPRIM_400000_NS6detail17trampoline_kernelINS0_14default_configENS1_38merge_sort_block_merge_config_selectorIN3c108BFloat16ElEEZZNS1_27merge_sort_block_merge_implIS3_PS6_N6thrust23THRUST_200600_302600_NS10device_ptrIlEEmNSB_4lessIS6_EEEE10hipError_tT0_T1_T2_jT3_P12ihipStream_tbPNSt15iterator_traitsISH_E10value_typeEPNSN_ISI_E10value_typeEPSJ_NS1_7vsmem_tEENKUlT_SH_SI_SJ_E_clIS9_S9_SD_PlEESG_SW_SH_SI_SJ_EUlSW_E1_NS1_11comp_targetILNS1_3genE10ELNS1_11target_archE1201ELNS1_3gpuE5ELNS1_3repE0EEENS1_36merge_oddeven_config_static_selectorELNS0_4arch9wavefront6targetE1EEEvSI_,"axG",@progbits,_ZN7rocprim17ROCPRIM_400000_NS6detail17trampoline_kernelINS0_14default_configENS1_38merge_sort_block_merge_config_selectorIN3c108BFloat16ElEEZZNS1_27merge_sort_block_merge_implIS3_PS6_N6thrust23THRUST_200600_302600_NS10device_ptrIlEEmNSB_4lessIS6_EEEE10hipError_tT0_T1_T2_jT3_P12ihipStream_tbPNSt15iterator_traitsISH_E10value_typeEPNSN_ISI_E10value_typeEPSJ_NS1_7vsmem_tEENKUlT_SH_SI_SJ_E_clIS9_S9_SD_PlEESG_SW_SH_SI_SJ_EUlSW_E1_NS1_11comp_targetILNS1_3genE10ELNS1_11target_archE1201ELNS1_3gpuE5ELNS1_3repE0EEENS1_36merge_oddeven_config_static_selectorELNS0_4arch9wavefront6targetE1EEEvSI_,comdat
.Lfunc_end2019:
	.size	_ZN7rocprim17ROCPRIM_400000_NS6detail17trampoline_kernelINS0_14default_configENS1_38merge_sort_block_merge_config_selectorIN3c108BFloat16ElEEZZNS1_27merge_sort_block_merge_implIS3_PS6_N6thrust23THRUST_200600_302600_NS10device_ptrIlEEmNSB_4lessIS6_EEEE10hipError_tT0_T1_T2_jT3_P12ihipStream_tbPNSt15iterator_traitsISH_E10value_typeEPNSN_ISI_E10value_typeEPSJ_NS1_7vsmem_tEENKUlT_SH_SI_SJ_E_clIS9_S9_SD_PlEESG_SW_SH_SI_SJ_EUlSW_E1_NS1_11comp_targetILNS1_3genE10ELNS1_11target_archE1201ELNS1_3gpuE5ELNS1_3repE0EEENS1_36merge_oddeven_config_static_selectorELNS0_4arch9wavefront6targetE1EEEvSI_, .Lfunc_end2019-_ZN7rocprim17ROCPRIM_400000_NS6detail17trampoline_kernelINS0_14default_configENS1_38merge_sort_block_merge_config_selectorIN3c108BFloat16ElEEZZNS1_27merge_sort_block_merge_implIS3_PS6_N6thrust23THRUST_200600_302600_NS10device_ptrIlEEmNSB_4lessIS6_EEEE10hipError_tT0_T1_T2_jT3_P12ihipStream_tbPNSt15iterator_traitsISH_E10value_typeEPNSN_ISI_E10value_typeEPSJ_NS1_7vsmem_tEENKUlT_SH_SI_SJ_E_clIS9_S9_SD_PlEESG_SW_SH_SI_SJ_EUlSW_E1_NS1_11comp_targetILNS1_3genE10ELNS1_11target_archE1201ELNS1_3gpuE5ELNS1_3repE0EEENS1_36merge_oddeven_config_static_selectorELNS0_4arch9wavefront6targetE1EEEvSI_
                                        ; -- End function
	.set _ZN7rocprim17ROCPRIM_400000_NS6detail17trampoline_kernelINS0_14default_configENS1_38merge_sort_block_merge_config_selectorIN3c108BFloat16ElEEZZNS1_27merge_sort_block_merge_implIS3_PS6_N6thrust23THRUST_200600_302600_NS10device_ptrIlEEmNSB_4lessIS6_EEEE10hipError_tT0_T1_T2_jT3_P12ihipStream_tbPNSt15iterator_traitsISH_E10value_typeEPNSN_ISI_E10value_typeEPSJ_NS1_7vsmem_tEENKUlT_SH_SI_SJ_E_clIS9_S9_SD_PlEESG_SW_SH_SI_SJ_EUlSW_E1_NS1_11comp_targetILNS1_3genE10ELNS1_11target_archE1201ELNS1_3gpuE5ELNS1_3repE0EEENS1_36merge_oddeven_config_static_selectorELNS0_4arch9wavefront6targetE1EEEvSI_.num_vgpr, 0
	.set _ZN7rocprim17ROCPRIM_400000_NS6detail17trampoline_kernelINS0_14default_configENS1_38merge_sort_block_merge_config_selectorIN3c108BFloat16ElEEZZNS1_27merge_sort_block_merge_implIS3_PS6_N6thrust23THRUST_200600_302600_NS10device_ptrIlEEmNSB_4lessIS6_EEEE10hipError_tT0_T1_T2_jT3_P12ihipStream_tbPNSt15iterator_traitsISH_E10value_typeEPNSN_ISI_E10value_typeEPSJ_NS1_7vsmem_tEENKUlT_SH_SI_SJ_E_clIS9_S9_SD_PlEESG_SW_SH_SI_SJ_EUlSW_E1_NS1_11comp_targetILNS1_3genE10ELNS1_11target_archE1201ELNS1_3gpuE5ELNS1_3repE0EEENS1_36merge_oddeven_config_static_selectorELNS0_4arch9wavefront6targetE1EEEvSI_.num_agpr, 0
	.set _ZN7rocprim17ROCPRIM_400000_NS6detail17trampoline_kernelINS0_14default_configENS1_38merge_sort_block_merge_config_selectorIN3c108BFloat16ElEEZZNS1_27merge_sort_block_merge_implIS3_PS6_N6thrust23THRUST_200600_302600_NS10device_ptrIlEEmNSB_4lessIS6_EEEE10hipError_tT0_T1_T2_jT3_P12ihipStream_tbPNSt15iterator_traitsISH_E10value_typeEPNSN_ISI_E10value_typeEPSJ_NS1_7vsmem_tEENKUlT_SH_SI_SJ_E_clIS9_S9_SD_PlEESG_SW_SH_SI_SJ_EUlSW_E1_NS1_11comp_targetILNS1_3genE10ELNS1_11target_archE1201ELNS1_3gpuE5ELNS1_3repE0EEENS1_36merge_oddeven_config_static_selectorELNS0_4arch9wavefront6targetE1EEEvSI_.numbered_sgpr, 0
	.set _ZN7rocprim17ROCPRIM_400000_NS6detail17trampoline_kernelINS0_14default_configENS1_38merge_sort_block_merge_config_selectorIN3c108BFloat16ElEEZZNS1_27merge_sort_block_merge_implIS3_PS6_N6thrust23THRUST_200600_302600_NS10device_ptrIlEEmNSB_4lessIS6_EEEE10hipError_tT0_T1_T2_jT3_P12ihipStream_tbPNSt15iterator_traitsISH_E10value_typeEPNSN_ISI_E10value_typeEPSJ_NS1_7vsmem_tEENKUlT_SH_SI_SJ_E_clIS9_S9_SD_PlEESG_SW_SH_SI_SJ_EUlSW_E1_NS1_11comp_targetILNS1_3genE10ELNS1_11target_archE1201ELNS1_3gpuE5ELNS1_3repE0EEENS1_36merge_oddeven_config_static_selectorELNS0_4arch9wavefront6targetE1EEEvSI_.num_named_barrier, 0
	.set _ZN7rocprim17ROCPRIM_400000_NS6detail17trampoline_kernelINS0_14default_configENS1_38merge_sort_block_merge_config_selectorIN3c108BFloat16ElEEZZNS1_27merge_sort_block_merge_implIS3_PS6_N6thrust23THRUST_200600_302600_NS10device_ptrIlEEmNSB_4lessIS6_EEEE10hipError_tT0_T1_T2_jT3_P12ihipStream_tbPNSt15iterator_traitsISH_E10value_typeEPNSN_ISI_E10value_typeEPSJ_NS1_7vsmem_tEENKUlT_SH_SI_SJ_E_clIS9_S9_SD_PlEESG_SW_SH_SI_SJ_EUlSW_E1_NS1_11comp_targetILNS1_3genE10ELNS1_11target_archE1201ELNS1_3gpuE5ELNS1_3repE0EEENS1_36merge_oddeven_config_static_selectorELNS0_4arch9wavefront6targetE1EEEvSI_.private_seg_size, 0
	.set _ZN7rocprim17ROCPRIM_400000_NS6detail17trampoline_kernelINS0_14default_configENS1_38merge_sort_block_merge_config_selectorIN3c108BFloat16ElEEZZNS1_27merge_sort_block_merge_implIS3_PS6_N6thrust23THRUST_200600_302600_NS10device_ptrIlEEmNSB_4lessIS6_EEEE10hipError_tT0_T1_T2_jT3_P12ihipStream_tbPNSt15iterator_traitsISH_E10value_typeEPNSN_ISI_E10value_typeEPSJ_NS1_7vsmem_tEENKUlT_SH_SI_SJ_E_clIS9_S9_SD_PlEESG_SW_SH_SI_SJ_EUlSW_E1_NS1_11comp_targetILNS1_3genE10ELNS1_11target_archE1201ELNS1_3gpuE5ELNS1_3repE0EEENS1_36merge_oddeven_config_static_selectorELNS0_4arch9wavefront6targetE1EEEvSI_.uses_vcc, 0
	.set _ZN7rocprim17ROCPRIM_400000_NS6detail17trampoline_kernelINS0_14default_configENS1_38merge_sort_block_merge_config_selectorIN3c108BFloat16ElEEZZNS1_27merge_sort_block_merge_implIS3_PS6_N6thrust23THRUST_200600_302600_NS10device_ptrIlEEmNSB_4lessIS6_EEEE10hipError_tT0_T1_T2_jT3_P12ihipStream_tbPNSt15iterator_traitsISH_E10value_typeEPNSN_ISI_E10value_typeEPSJ_NS1_7vsmem_tEENKUlT_SH_SI_SJ_E_clIS9_S9_SD_PlEESG_SW_SH_SI_SJ_EUlSW_E1_NS1_11comp_targetILNS1_3genE10ELNS1_11target_archE1201ELNS1_3gpuE5ELNS1_3repE0EEENS1_36merge_oddeven_config_static_selectorELNS0_4arch9wavefront6targetE1EEEvSI_.uses_flat_scratch, 0
	.set _ZN7rocprim17ROCPRIM_400000_NS6detail17trampoline_kernelINS0_14default_configENS1_38merge_sort_block_merge_config_selectorIN3c108BFloat16ElEEZZNS1_27merge_sort_block_merge_implIS3_PS6_N6thrust23THRUST_200600_302600_NS10device_ptrIlEEmNSB_4lessIS6_EEEE10hipError_tT0_T1_T2_jT3_P12ihipStream_tbPNSt15iterator_traitsISH_E10value_typeEPNSN_ISI_E10value_typeEPSJ_NS1_7vsmem_tEENKUlT_SH_SI_SJ_E_clIS9_S9_SD_PlEESG_SW_SH_SI_SJ_EUlSW_E1_NS1_11comp_targetILNS1_3genE10ELNS1_11target_archE1201ELNS1_3gpuE5ELNS1_3repE0EEENS1_36merge_oddeven_config_static_selectorELNS0_4arch9wavefront6targetE1EEEvSI_.has_dyn_sized_stack, 0
	.set _ZN7rocprim17ROCPRIM_400000_NS6detail17trampoline_kernelINS0_14default_configENS1_38merge_sort_block_merge_config_selectorIN3c108BFloat16ElEEZZNS1_27merge_sort_block_merge_implIS3_PS6_N6thrust23THRUST_200600_302600_NS10device_ptrIlEEmNSB_4lessIS6_EEEE10hipError_tT0_T1_T2_jT3_P12ihipStream_tbPNSt15iterator_traitsISH_E10value_typeEPNSN_ISI_E10value_typeEPSJ_NS1_7vsmem_tEENKUlT_SH_SI_SJ_E_clIS9_S9_SD_PlEESG_SW_SH_SI_SJ_EUlSW_E1_NS1_11comp_targetILNS1_3genE10ELNS1_11target_archE1201ELNS1_3gpuE5ELNS1_3repE0EEENS1_36merge_oddeven_config_static_selectorELNS0_4arch9wavefront6targetE1EEEvSI_.has_recursion, 0
	.set _ZN7rocprim17ROCPRIM_400000_NS6detail17trampoline_kernelINS0_14default_configENS1_38merge_sort_block_merge_config_selectorIN3c108BFloat16ElEEZZNS1_27merge_sort_block_merge_implIS3_PS6_N6thrust23THRUST_200600_302600_NS10device_ptrIlEEmNSB_4lessIS6_EEEE10hipError_tT0_T1_T2_jT3_P12ihipStream_tbPNSt15iterator_traitsISH_E10value_typeEPNSN_ISI_E10value_typeEPSJ_NS1_7vsmem_tEENKUlT_SH_SI_SJ_E_clIS9_S9_SD_PlEESG_SW_SH_SI_SJ_EUlSW_E1_NS1_11comp_targetILNS1_3genE10ELNS1_11target_archE1201ELNS1_3gpuE5ELNS1_3repE0EEENS1_36merge_oddeven_config_static_selectorELNS0_4arch9wavefront6targetE1EEEvSI_.has_indirect_call, 0
	.section	.AMDGPU.csdata,"",@progbits
; Kernel info:
; codeLenInByte = 0
; TotalNumSgprs: 4
; NumVgprs: 0
; ScratchSize: 0
; MemoryBound: 0
; FloatMode: 240
; IeeeMode: 1
; LDSByteSize: 0 bytes/workgroup (compile time only)
; SGPRBlocks: 0
; VGPRBlocks: 0
; NumSGPRsForWavesPerEU: 4
; NumVGPRsForWavesPerEU: 1
; Occupancy: 10
; WaveLimiterHint : 0
; COMPUTE_PGM_RSRC2:SCRATCH_EN: 0
; COMPUTE_PGM_RSRC2:USER_SGPR: 6
; COMPUTE_PGM_RSRC2:TRAP_HANDLER: 0
; COMPUTE_PGM_RSRC2:TGID_X_EN: 1
; COMPUTE_PGM_RSRC2:TGID_Y_EN: 0
; COMPUTE_PGM_RSRC2:TGID_Z_EN: 0
; COMPUTE_PGM_RSRC2:TIDIG_COMP_CNT: 0
	.section	.text._ZN7rocprim17ROCPRIM_400000_NS6detail17trampoline_kernelINS0_14default_configENS1_38merge_sort_block_merge_config_selectorIN3c108BFloat16ElEEZZNS1_27merge_sort_block_merge_implIS3_PS6_N6thrust23THRUST_200600_302600_NS10device_ptrIlEEmNSB_4lessIS6_EEEE10hipError_tT0_T1_T2_jT3_P12ihipStream_tbPNSt15iterator_traitsISH_E10value_typeEPNSN_ISI_E10value_typeEPSJ_NS1_7vsmem_tEENKUlT_SH_SI_SJ_E_clIS9_S9_SD_PlEESG_SW_SH_SI_SJ_EUlSW_E1_NS1_11comp_targetILNS1_3genE5ELNS1_11target_archE942ELNS1_3gpuE9ELNS1_3repE0EEENS1_36merge_oddeven_config_static_selectorELNS0_4arch9wavefront6targetE1EEEvSI_,"axG",@progbits,_ZN7rocprim17ROCPRIM_400000_NS6detail17trampoline_kernelINS0_14default_configENS1_38merge_sort_block_merge_config_selectorIN3c108BFloat16ElEEZZNS1_27merge_sort_block_merge_implIS3_PS6_N6thrust23THRUST_200600_302600_NS10device_ptrIlEEmNSB_4lessIS6_EEEE10hipError_tT0_T1_T2_jT3_P12ihipStream_tbPNSt15iterator_traitsISH_E10value_typeEPNSN_ISI_E10value_typeEPSJ_NS1_7vsmem_tEENKUlT_SH_SI_SJ_E_clIS9_S9_SD_PlEESG_SW_SH_SI_SJ_EUlSW_E1_NS1_11comp_targetILNS1_3genE5ELNS1_11target_archE942ELNS1_3gpuE9ELNS1_3repE0EEENS1_36merge_oddeven_config_static_selectorELNS0_4arch9wavefront6targetE1EEEvSI_,comdat
	.protected	_ZN7rocprim17ROCPRIM_400000_NS6detail17trampoline_kernelINS0_14default_configENS1_38merge_sort_block_merge_config_selectorIN3c108BFloat16ElEEZZNS1_27merge_sort_block_merge_implIS3_PS6_N6thrust23THRUST_200600_302600_NS10device_ptrIlEEmNSB_4lessIS6_EEEE10hipError_tT0_T1_T2_jT3_P12ihipStream_tbPNSt15iterator_traitsISH_E10value_typeEPNSN_ISI_E10value_typeEPSJ_NS1_7vsmem_tEENKUlT_SH_SI_SJ_E_clIS9_S9_SD_PlEESG_SW_SH_SI_SJ_EUlSW_E1_NS1_11comp_targetILNS1_3genE5ELNS1_11target_archE942ELNS1_3gpuE9ELNS1_3repE0EEENS1_36merge_oddeven_config_static_selectorELNS0_4arch9wavefront6targetE1EEEvSI_ ; -- Begin function _ZN7rocprim17ROCPRIM_400000_NS6detail17trampoline_kernelINS0_14default_configENS1_38merge_sort_block_merge_config_selectorIN3c108BFloat16ElEEZZNS1_27merge_sort_block_merge_implIS3_PS6_N6thrust23THRUST_200600_302600_NS10device_ptrIlEEmNSB_4lessIS6_EEEE10hipError_tT0_T1_T2_jT3_P12ihipStream_tbPNSt15iterator_traitsISH_E10value_typeEPNSN_ISI_E10value_typeEPSJ_NS1_7vsmem_tEENKUlT_SH_SI_SJ_E_clIS9_S9_SD_PlEESG_SW_SH_SI_SJ_EUlSW_E1_NS1_11comp_targetILNS1_3genE5ELNS1_11target_archE942ELNS1_3gpuE9ELNS1_3repE0EEENS1_36merge_oddeven_config_static_selectorELNS0_4arch9wavefront6targetE1EEEvSI_
	.globl	_ZN7rocprim17ROCPRIM_400000_NS6detail17trampoline_kernelINS0_14default_configENS1_38merge_sort_block_merge_config_selectorIN3c108BFloat16ElEEZZNS1_27merge_sort_block_merge_implIS3_PS6_N6thrust23THRUST_200600_302600_NS10device_ptrIlEEmNSB_4lessIS6_EEEE10hipError_tT0_T1_T2_jT3_P12ihipStream_tbPNSt15iterator_traitsISH_E10value_typeEPNSN_ISI_E10value_typeEPSJ_NS1_7vsmem_tEENKUlT_SH_SI_SJ_E_clIS9_S9_SD_PlEESG_SW_SH_SI_SJ_EUlSW_E1_NS1_11comp_targetILNS1_3genE5ELNS1_11target_archE942ELNS1_3gpuE9ELNS1_3repE0EEENS1_36merge_oddeven_config_static_selectorELNS0_4arch9wavefront6targetE1EEEvSI_
	.p2align	8
	.type	_ZN7rocprim17ROCPRIM_400000_NS6detail17trampoline_kernelINS0_14default_configENS1_38merge_sort_block_merge_config_selectorIN3c108BFloat16ElEEZZNS1_27merge_sort_block_merge_implIS3_PS6_N6thrust23THRUST_200600_302600_NS10device_ptrIlEEmNSB_4lessIS6_EEEE10hipError_tT0_T1_T2_jT3_P12ihipStream_tbPNSt15iterator_traitsISH_E10value_typeEPNSN_ISI_E10value_typeEPSJ_NS1_7vsmem_tEENKUlT_SH_SI_SJ_E_clIS9_S9_SD_PlEESG_SW_SH_SI_SJ_EUlSW_E1_NS1_11comp_targetILNS1_3genE5ELNS1_11target_archE942ELNS1_3gpuE9ELNS1_3repE0EEENS1_36merge_oddeven_config_static_selectorELNS0_4arch9wavefront6targetE1EEEvSI_,@function
_ZN7rocprim17ROCPRIM_400000_NS6detail17trampoline_kernelINS0_14default_configENS1_38merge_sort_block_merge_config_selectorIN3c108BFloat16ElEEZZNS1_27merge_sort_block_merge_implIS3_PS6_N6thrust23THRUST_200600_302600_NS10device_ptrIlEEmNSB_4lessIS6_EEEE10hipError_tT0_T1_T2_jT3_P12ihipStream_tbPNSt15iterator_traitsISH_E10value_typeEPNSN_ISI_E10value_typeEPSJ_NS1_7vsmem_tEENKUlT_SH_SI_SJ_E_clIS9_S9_SD_PlEESG_SW_SH_SI_SJ_EUlSW_E1_NS1_11comp_targetILNS1_3genE5ELNS1_11target_archE942ELNS1_3gpuE9ELNS1_3repE0EEENS1_36merge_oddeven_config_static_selectorELNS0_4arch9wavefront6targetE1EEEvSI_: ; @_ZN7rocprim17ROCPRIM_400000_NS6detail17trampoline_kernelINS0_14default_configENS1_38merge_sort_block_merge_config_selectorIN3c108BFloat16ElEEZZNS1_27merge_sort_block_merge_implIS3_PS6_N6thrust23THRUST_200600_302600_NS10device_ptrIlEEmNSB_4lessIS6_EEEE10hipError_tT0_T1_T2_jT3_P12ihipStream_tbPNSt15iterator_traitsISH_E10value_typeEPNSN_ISI_E10value_typeEPSJ_NS1_7vsmem_tEENKUlT_SH_SI_SJ_E_clIS9_S9_SD_PlEESG_SW_SH_SI_SJ_EUlSW_E1_NS1_11comp_targetILNS1_3genE5ELNS1_11target_archE942ELNS1_3gpuE9ELNS1_3repE0EEENS1_36merge_oddeven_config_static_selectorELNS0_4arch9wavefront6targetE1EEEvSI_
; %bb.0:
	.section	.rodata,"a",@progbits
	.p2align	6, 0x0
	.amdhsa_kernel _ZN7rocprim17ROCPRIM_400000_NS6detail17trampoline_kernelINS0_14default_configENS1_38merge_sort_block_merge_config_selectorIN3c108BFloat16ElEEZZNS1_27merge_sort_block_merge_implIS3_PS6_N6thrust23THRUST_200600_302600_NS10device_ptrIlEEmNSB_4lessIS6_EEEE10hipError_tT0_T1_T2_jT3_P12ihipStream_tbPNSt15iterator_traitsISH_E10value_typeEPNSN_ISI_E10value_typeEPSJ_NS1_7vsmem_tEENKUlT_SH_SI_SJ_E_clIS9_S9_SD_PlEESG_SW_SH_SI_SJ_EUlSW_E1_NS1_11comp_targetILNS1_3genE5ELNS1_11target_archE942ELNS1_3gpuE9ELNS1_3repE0EEENS1_36merge_oddeven_config_static_selectorELNS0_4arch9wavefront6targetE1EEEvSI_
		.amdhsa_group_segment_fixed_size 0
		.amdhsa_private_segment_fixed_size 0
		.amdhsa_kernarg_size 56
		.amdhsa_user_sgpr_count 6
		.amdhsa_user_sgpr_private_segment_buffer 1
		.amdhsa_user_sgpr_dispatch_ptr 0
		.amdhsa_user_sgpr_queue_ptr 0
		.amdhsa_user_sgpr_kernarg_segment_ptr 1
		.amdhsa_user_sgpr_dispatch_id 0
		.amdhsa_user_sgpr_flat_scratch_init 0
		.amdhsa_user_sgpr_private_segment_size 0
		.amdhsa_uses_dynamic_stack 0
		.amdhsa_system_sgpr_private_segment_wavefront_offset 0
		.amdhsa_system_sgpr_workgroup_id_x 1
		.amdhsa_system_sgpr_workgroup_id_y 0
		.amdhsa_system_sgpr_workgroup_id_z 0
		.amdhsa_system_sgpr_workgroup_info 0
		.amdhsa_system_vgpr_workitem_id 0
		.amdhsa_next_free_vgpr 1
		.amdhsa_next_free_sgpr 0
		.amdhsa_reserve_vcc 0
		.amdhsa_reserve_flat_scratch 0
		.amdhsa_float_round_mode_32 0
		.amdhsa_float_round_mode_16_64 0
		.amdhsa_float_denorm_mode_32 3
		.amdhsa_float_denorm_mode_16_64 3
		.amdhsa_dx10_clamp 1
		.amdhsa_ieee_mode 1
		.amdhsa_fp16_overflow 0
		.amdhsa_exception_fp_ieee_invalid_op 0
		.amdhsa_exception_fp_denorm_src 0
		.amdhsa_exception_fp_ieee_div_zero 0
		.amdhsa_exception_fp_ieee_overflow 0
		.amdhsa_exception_fp_ieee_underflow 0
		.amdhsa_exception_fp_ieee_inexact 0
		.amdhsa_exception_int_div_zero 0
	.end_amdhsa_kernel
	.section	.text._ZN7rocprim17ROCPRIM_400000_NS6detail17trampoline_kernelINS0_14default_configENS1_38merge_sort_block_merge_config_selectorIN3c108BFloat16ElEEZZNS1_27merge_sort_block_merge_implIS3_PS6_N6thrust23THRUST_200600_302600_NS10device_ptrIlEEmNSB_4lessIS6_EEEE10hipError_tT0_T1_T2_jT3_P12ihipStream_tbPNSt15iterator_traitsISH_E10value_typeEPNSN_ISI_E10value_typeEPSJ_NS1_7vsmem_tEENKUlT_SH_SI_SJ_E_clIS9_S9_SD_PlEESG_SW_SH_SI_SJ_EUlSW_E1_NS1_11comp_targetILNS1_3genE5ELNS1_11target_archE942ELNS1_3gpuE9ELNS1_3repE0EEENS1_36merge_oddeven_config_static_selectorELNS0_4arch9wavefront6targetE1EEEvSI_,"axG",@progbits,_ZN7rocprim17ROCPRIM_400000_NS6detail17trampoline_kernelINS0_14default_configENS1_38merge_sort_block_merge_config_selectorIN3c108BFloat16ElEEZZNS1_27merge_sort_block_merge_implIS3_PS6_N6thrust23THRUST_200600_302600_NS10device_ptrIlEEmNSB_4lessIS6_EEEE10hipError_tT0_T1_T2_jT3_P12ihipStream_tbPNSt15iterator_traitsISH_E10value_typeEPNSN_ISI_E10value_typeEPSJ_NS1_7vsmem_tEENKUlT_SH_SI_SJ_E_clIS9_S9_SD_PlEESG_SW_SH_SI_SJ_EUlSW_E1_NS1_11comp_targetILNS1_3genE5ELNS1_11target_archE942ELNS1_3gpuE9ELNS1_3repE0EEENS1_36merge_oddeven_config_static_selectorELNS0_4arch9wavefront6targetE1EEEvSI_,comdat
.Lfunc_end2020:
	.size	_ZN7rocprim17ROCPRIM_400000_NS6detail17trampoline_kernelINS0_14default_configENS1_38merge_sort_block_merge_config_selectorIN3c108BFloat16ElEEZZNS1_27merge_sort_block_merge_implIS3_PS6_N6thrust23THRUST_200600_302600_NS10device_ptrIlEEmNSB_4lessIS6_EEEE10hipError_tT0_T1_T2_jT3_P12ihipStream_tbPNSt15iterator_traitsISH_E10value_typeEPNSN_ISI_E10value_typeEPSJ_NS1_7vsmem_tEENKUlT_SH_SI_SJ_E_clIS9_S9_SD_PlEESG_SW_SH_SI_SJ_EUlSW_E1_NS1_11comp_targetILNS1_3genE5ELNS1_11target_archE942ELNS1_3gpuE9ELNS1_3repE0EEENS1_36merge_oddeven_config_static_selectorELNS0_4arch9wavefront6targetE1EEEvSI_, .Lfunc_end2020-_ZN7rocprim17ROCPRIM_400000_NS6detail17trampoline_kernelINS0_14default_configENS1_38merge_sort_block_merge_config_selectorIN3c108BFloat16ElEEZZNS1_27merge_sort_block_merge_implIS3_PS6_N6thrust23THRUST_200600_302600_NS10device_ptrIlEEmNSB_4lessIS6_EEEE10hipError_tT0_T1_T2_jT3_P12ihipStream_tbPNSt15iterator_traitsISH_E10value_typeEPNSN_ISI_E10value_typeEPSJ_NS1_7vsmem_tEENKUlT_SH_SI_SJ_E_clIS9_S9_SD_PlEESG_SW_SH_SI_SJ_EUlSW_E1_NS1_11comp_targetILNS1_3genE5ELNS1_11target_archE942ELNS1_3gpuE9ELNS1_3repE0EEENS1_36merge_oddeven_config_static_selectorELNS0_4arch9wavefront6targetE1EEEvSI_
                                        ; -- End function
	.set _ZN7rocprim17ROCPRIM_400000_NS6detail17trampoline_kernelINS0_14default_configENS1_38merge_sort_block_merge_config_selectorIN3c108BFloat16ElEEZZNS1_27merge_sort_block_merge_implIS3_PS6_N6thrust23THRUST_200600_302600_NS10device_ptrIlEEmNSB_4lessIS6_EEEE10hipError_tT0_T1_T2_jT3_P12ihipStream_tbPNSt15iterator_traitsISH_E10value_typeEPNSN_ISI_E10value_typeEPSJ_NS1_7vsmem_tEENKUlT_SH_SI_SJ_E_clIS9_S9_SD_PlEESG_SW_SH_SI_SJ_EUlSW_E1_NS1_11comp_targetILNS1_3genE5ELNS1_11target_archE942ELNS1_3gpuE9ELNS1_3repE0EEENS1_36merge_oddeven_config_static_selectorELNS0_4arch9wavefront6targetE1EEEvSI_.num_vgpr, 0
	.set _ZN7rocprim17ROCPRIM_400000_NS6detail17trampoline_kernelINS0_14default_configENS1_38merge_sort_block_merge_config_selectorIN3c108BFloat16ElEEZZNS1_27merge_sort_block_merge_implIS3_PS6_N6thrust23THRUST_200600_302600_NS10device_ptrIlEEmNSB_4lessIS6_EEEE10hipError_tT0_T1_T2_jT3_P12ihipStream_tbPNSt15iterator_traitsISH_E10value_typeEPNSN_ISI_E10value_typeEPSJ_NS1_7vsmem_tEENKUlT_SH_SI_SJ_E_clIS9_S9_SD_PlEESG_SW_SH_SI_SJ_EUlSW_E1_NS1_11comp_targetILNS1_3genE5ELNS1_11target_archE942ELNS1_3gpuE9ELNS1_3repE0EEENS1_36merge_oddeven_config_static_selectorELNS0_4arch9wavefront6targetE1EEEvSI_.num_agpr, 0
	.set _ZN7rocprim17ROCPRIM_400000_NS6detail17trampoline_kernelINS0_14default_configENS1_38merge_sort_block_merge_config_selectorIN3c108BFloat16ElEEZZNS1_27merge_sort_block_merge_implIS3_PS6_N6thrust23THRUST_200600_302600_NS10device_ptrIlEEmNSB_4lessIS6_EEEE10hipError_tT0_T1_T2_jT3_P12ihipStream_tbPNSt15iterator_traitsISH_E10value_typeEPNSN_ISI_E10value_typeEPSJ_NS1_7vsmem_tEENKUlT_SH_SI_SJ_E_clIS9_S9_SD_PlEESG_SW_SH_SI_SJ_EUlSW_E1_NS1_11comp_targetILNS1_3genE5ELNS1_11target_archE942ELNS1_3gpuE9ELNS1_3repE0EEENS1_36merge_oddeven_config_static_selectorELNS0_4arch9wavefront6targetE1EEEvSI_.numbered_sgpr, 0
	.set _ZN7rocprim17ROCPRIM_400000_NS6detail17trampoline_kernelINS0_14default_configENS1_38merge_sort_block_merge_config_selectorIN3c108BFloat16ElEEZZNS1_27merge_sort_block_merge_implIS3_PS6_N6thrust23THRUST_200600_302600_NS10device_ptrIlEEmNSB_4lessIS6_EEEE10hipError_tT0_T1_T2_jT3_P12ihipStream_tbPNSt15iterator_traitsISH_E10value_typeEPNSN_ISI_E10value_typeEPSJ_NS1_7vsmem_tEENKUlT_SH_SI_SJ_E_clIS9_S9_SD_PlEESG_SW_SH_SI_SJ_EUlSW_E1_NS1_11comp_targetILNS1_3genE5ELNS1_11target_archE942ELNS1_3gpuE9ELNS1_3repE0EEENS1_36merge_oddeven_config_static_selectorELNS0_4arch9wavefront6targetE1EEEvSI_.num_named_barrier, 0
	.set _ZN7rocprim17ROCPRIM_400000_NS6detail17trampoline_kernelINS0_14default_configENS1_38merge_sort_block_merge_config_selectorIN3c108BFloat16ElEEZZNS1_27merge_sort_block_merge_implIS3_PS6_N6thrust23THRUST_200600_302600_NS10device_ptrIlEEmNSB_4lessIS6_EEEE10hipError_tT0_T1_T2_jT3_P12ihipStream_tbPNSt15iterator_traitsISH_E10value_typeEPNSN_ISI_E10value_typeEPSJ_NS1_7vsmem_tEENKUlT_SH_SI_SJ_E_clIS9_S9_SD_PlEESG_SW_SH_SI_SJ_EUlSW_E1_NS1_11comp_targetILNS1_3genE5ELNS1_11target_archE942ELNS1_3gpuE9ELNS1_3repE0EEENS1_36merge_oddeven_config_static_selectorELNS0_4arch9wavefront6targetE1EEEvSI_.private_seg_size, 0
	.set _ZN7rocprim17ROCPRIM_400000_NS6detail17trampoline_kernelINS0_14default_configENS1_38merge_sort_block_merge_config_selectorIN3c108BFloat16ElEEZZNS1_27merge_sort_block_merge_implIS3_PS6_N6thrust23THRUST_200600_302600_NS10device_ptrIlEEmNSB_4lessIS6_EEEE10hipError_tT0_T1_T2_jT3_P12ihipStream_tbPNSt15iterator_traitsISH_E10value_typeEPNSN_ISI_E10value_typeEPSJ_NS1_7vsmem_tEENKUlT_SH_SI_SJ_E_clIS9_S9_SD_PlEESG_SW_SH_SI_SJ_EUlSW_E1_NS1_11comp_targetILNS1_3genE5ELNS1_11target_archE942ELNS1_3gpuE9ELNS1_3repE0EEENS1_36merge_oddeven_config_static_selectorELNS0_4arch9wavefront6targetE1EEEvSI_.uses_vcc, 0
	.set _ZN7rocprim17ROCPRIM_400000_NS6detail17trampoline_kernelINS0_14default_configENS1_38merge_sort_block_merge_config_selectorIN3c108BFloat16ElEEZZNS1_27merge_sort_block_merge_implIS3_PS6_N6thrust23THRUST_200600_302600_NS10device_ptrIlEEmNSB_4lessIS6_EEEE10hipError_tT0_T1_T2_jT3_P12ihipStream_tbPNSt15iterator_traitsISH_E10value_typeEPNSN_ISI_E10value_typeEPSJ_NS1_7vsmem_tEENKUlT_SH_SI_SJ_E_clIS9_S9_SD_PlEESG_SW_SH_SI_SJ_EUlSW_E1_NS1_11comp_targetILNS1_3genE5ELNS1_11target_archE942ELNS1_3gpuE9ELNS1_3repE0EEENS1_36merge_oddeven_config_static_selectorELNS0_4arch9wavefront6targetE1EEEvSI_.uses_flat_scratch, 0
	.set _ZN7rocprim17ROCPRIM_400000_NS6detail17trampoline_kernelINS0_14default_configENS1_38merge_sort_block_merge_config_selectorIN3c108BFloat16ElEEZZNS1_27merge_sort_block_merge_implIS3_PS6_N6thrust23THRUST_200600_302600_NS10device_ptrIlEEmNSB_4lessIS6_EEEE10hipError_tT0_T1_T2_jT3_P12ihipStream_tbPNSt15iterator_traitsISH_E10value_typeEPNSN_ISI_E10value_typeEPSJ_NS1_7vsmem_tEENKUlT_SH_SI_SJ_E_clIS9_S9_SD_PlEESG_SW_SH_SI_SJ_EUlSW_E1_NS1_11comp_targetILNS1_3genE5ELNS1_11target_archE942ELNS1_3gpuE9ELNS1_3repE0EEENS1_36merge_oddeven_config_static_selectorELNS0_4arch9wavefront6targetE1EEEvSI_.has_dyn_sized_stack, 0
	.set _ZN7rocprim17ROCPRIM_400000_NS6detail17trampoline_kernelINS0_14default_configENS1_38merge_sort_block_merge_config_selectorIN3c108BFloat16ElEEZZNS1_27merge_sort_block_merge_implIS3_PS6_N6thrust23THRUST_200600_302600_NS10device_ptrIlEEmNSB_4lessIS6_EEEE10hipError_tT0_T1_T2_jT3_P12ihipStream_tbPNSt15iterator_traitsISH_E10value_typeEPNSN_ISI_E10value_typeEPSJ_NS1_7vsmem_tEENKUlT_SH_SI_SJ_E_clIS9_S9_SD_PlEESG_SW_SH_SI_SJ_EUlSW_E1_NS1_11comp_targetILNS1_3genE5ELNS1_11target_archE942ELNS1_3gpuE9ELNS1_3repE0EEENS1_36merge_oddeven_config_static_selectorELNS0_4arch9wavefront6targetE1EEEvSI_.has_recursion, 0
	.set _ZN7rocprim17ROCPRIM_400000_NS6detail17trampoline_kernelINS0_14default_configENS1_38merge_sort_block_merge_config_selectorIN3c108BFloat16ElEEZZNS1_27merge_sort_block_merge_implIS3_PS6_N6thrust23THRUST_200600_302600_NS10device_ptrIlEEmNSB_4lessIS6_EEEE10hipError_tT0_T1_T2_jT3_P12ihipStream_tbPNSt15iterator_traitsISH_E10value_typeEPNSN_ISI_E10value_typeEPSJ_NS1_7vsmem_tEENKUlT_SH_SI_SJ_E_clIS9_S9_SD_PlEESG_SW_SH_SI_SJ_EUlSW_E1_NS1_11comp_targetILNS1_3genE5ELNS1_11target_archE942ELNS1_3gpuE9ELNS1_3repE0EEENS1_36merge_oddeven_config_static_selectorELNS0_4arch9wavefront6targetE1EEEvSI_.has_indirect_call, 0
	.section	.AMDGPU.csdata,"",@progbits
; Kernel info:
; codeLenInByte = 0
; TotalNumSgprs: 4
; NumVgprs: 0
; ScratchSize: 0
; MemoryBound: 0
; FloatMode: 240
; IeeeMode: 1
; LDSByteSize: 0 bytes/workgroup (compile time only)
; SGPRBlocks: 0
; VGPRBlocks: 0
; NumSGPRsForWavesPerEU: 4
; NumVGPRsForWavesPerEU: 1
; Occupancy: 10
; WaveLimiterHint : 0
; COMPUTE_PGM_RSRC2:SCRATCH_EN: 0
; COMPUTE_PGM_RSRC2:USER_SGPR: 6
; COMPUTE_PGM_RSRC2:TRAP_HANDLER: 0
; COMPUTE_PGM_RSRC2:TGID_X_EN: 1
; COMPUTE_PGM_RSRC2:TGID_Y_EN: 0
; COMPUTE_PGM_RSRC2:TGID_Z_EN: 0
; COMPUTE_PGM_RSRC2:TIDIG_COMP_CNT: 0
	.section	.text._ZN7rocprim17ROCPRIM_400000_NS6detail17trampoline_kernelINS0_14default_configENS1_38merge_sort_block_merge_config_selectorIN3c108BFloat16ElEEZZNS1_27merge_sort_block_merge_implIS3_PS6_N6thrust23THRUST_200600_302600_NS10device_ptrIlEEmNSB_4lessIS6_EEEE10hipError_tT0_T1_T2_jT3_P12ihipStream_tbPNSt15iterator_traitsISH_E10value_typeEPNSN_ISI_E10value_typeEPSJ_NS1_7vsmem_tEENKUlT_SH_SI_SJ_E_clIS9_S9_SD_PlEESG_SW_SH_SI_SJ_EUlSW_E1_NS1_11comp_targetILNS1_3genE4ELNS1_11target_archE910ELNS1_3gpuE8ELNS1_3repE0EEENS1_36merge_oddeven_config_static_selectorELNS0_4arch9wavefront6targetE1EEEvSI_,"axG",@progbits,_ZN7rocprim17ROCPRIM_400000_NS6detail17trampoline_kernelINS0_14default_configENS1_38merge_sort_block_merge_config_selectorIN3c108BFloat16ElEEZZNS1_27merge_sort_block_merge_implIS3_PS6_N6thrust23THRUST_200600_302600_NS10device_ptrIlEEmNSB_4lessIS6_EEEE10hipError_tT0_T1_T2_jT3_P12ihipStream_tbPNSt15iterator_traitsISH_E10value_typeEPNSN_ISI_E10value_typeEPSJ_NS1_7vsmem_tEENKUlT_SH_SI_SJ_E_clIS9_S9_SD_PlEESG_SW_SH_SI_SJ_EUlSW_E1_NS1_11comp_targetILNS1_3genE4ELNS1_11target_archE910ELNS1_3gpuE8ELNS1_3repE0EEENS1_36merge_oddeven_config_static_selectorELNS0_4arch9wavefront6targetE1EEEvSI_,comdat
	.protected	_ZN7rocprim17ROCPRIM_400000_NS6detail17trampoline_kernelINS0_14default_configENS1_38merge_sort_block_merge_config_selectorIN3c108BFloat16ElEEZZNS1_27merge_sort_block_merge_implIS3_PS6_N6thrust23THRUST_200600_302600_NS10device_ptrIlEEmNSB_4lessIS6_EEEE10hipError_tT0_T1_T2_jT3_P12ihipStream_tbPNSt15iterator_traitsISH_E10value_typeEPNSN_ISI_E10value_typeEPSJ_NS1_7vsmem_tEENKUlT_SH_SI_SJ_E_clIS9_S9_SD_PlEESG_SW_SH_SI_SJ_EUlSW_E1_NS1_11comp_targetILNS1_3genE4ELNS1_11target_archE910ELNS1_3gpuE8ELNS1_3repE0EEENS1_36merge_oddeven_config_static_selectorELNS0_4arch9wavefront6targetE1EEEvSI_ ; -- Begin function _ZN7rocprim17ROCPRIM_400000_NS6detail17trampoline_kernelINS0_14default_configENS1_38merge_sort_block_merge_config_selectorIN3c108BFloat16ElEEZZNS1_27merge_sort_block_merge_implIS3_PS6_N6thrust23THRUST_200600_302600_NS10device_ptrIlEEmNSB_4lessIS6_EEEE10hipError_tT0_T1_T2_jT3_P12ihipStream_tbPNSt15iterator_traitsISH_E10value_typeEPNSN_ISI_E10value_typeEPSJ_NS1_7vsmem_tEENKUlT_SH_SI_SJ_E_clIS9_S9_SD_PlEESG_SW_SH_SI_SJ_EUlSW_E1_NS1_11comp_targetILNS1_3genE4ELNS1_11target_archE910ELNS1_3gpuE8ELNS1_3repE0EEENS1_36merge_oddeven_config_static_selectorELNS0_4arch9wavefront6targetE1EEEvSI_
	.globl	_ZN7rocprim17ROCPRIM_400000_NS6detail17trampoline_kernelINS0_14default_configENS1_38merge_sort_block_merge_config_selectorIN3c108BFloat16ElEEZZNS1_27merge_sort_block_merge_implIS3_PS6_N6thrust23THRUST_200600_302600_NS10device_ptrIlEEmNSB_4lessIS6_EEEE10hipError_tT0_T1_T2_jT3_P12ihipStream_tbPNSt15iterator_traitsISH_E10value_typeEPNSN_ISI_E10value_typeEPSJ_NS1_7vsmem_tEENKUlT_SH_SI_SJ_E_clIS9_S9_SD_PlEESG_SW_SH_SI_SJ_EUlSW_E1_NS1_11comp_targetILNS1_3genE4ELNS1_11target_archE910ELNS1_3gpuE8ELNS1_3repE0EEENS1_36merge_oddeven_config_static_selectorELNS0_4arch9wavefront6targetE1EEEvSI_
	.p2align	8
	.type	_ZN7rocprim17ROCPRIM_400000_NS6detail17trampoline_kernelINS0_14default_configENS1_38merge_sort_block_merge_config_selectorIN3c108BFloat16ElEEZZNS1_27merge_sort_block_merge_implIS3_PS6_N6thrust23THRUST_200600_302600_NS10device_ptrIlEEmNSB_4lessIS6_EEEE10hipError_tT0_T1_T2_jT3_P12ihipStream_tbPNSt15iterator_traitsISH_E10value_typeEPNSN_ISI_E10value_typeEPSJ_NS1_7vsmem_tEENKUlT_SH_SI_SJ_E_clIS9_S9_SD_PlEESG_SW_SH_SI_SJ_EUlSW_E1_NS1_11comp_targetILNS1_3genE4ELNS1_11target_archE910ELNS1_3gpuE8ELNS1_3repE0EEENS1_36merge_oddeven_config_static_selectorELNS0_4arch9wavefront6targetE1EEEvSI_,@function
_ZN7rocprim17ROCPRIM_400000_NS6detail17trampoline_kernelINS0_14default_configENS1_38merge_sort_block_merge_config_selectorIN3c108BFloat16ElEEZZNS1_27merge_sort_block_merge_implIS3_PS6_N6thrust23THRUST_200600_302600_NS10device_ptrIlEEmNSB_4lessIS6_EEEE10hipError_tT0_T1_T2_jT3_P12ihipStream_tbPNSt15iterator_traitsISH_E10value_typeEPNSN_ISI_E10value_typeEPSJ_NS1_7vsmem_tEENKUlT_SH_SI_SJ_E_clIS9_S9_SD_PlEESG_SW_SH_SI_SJ_EUlSW_E1_NS1_11comp_targetILNS1_3genE4ELNS1_11target_archE910ELNS1_3gpuE8ELNS1_3repE0EEENS1_36merge_oddeven_config_static_selectorELNS0_4arch9wavefront6targetE1EEEvSI_: ; @_ZN7rocprim17ROCPRIM_400000_NS6detail17trampoline_kernelINS0_14default_configENS1_38merge_sort_block_merge_config_selectorIN3c108BFloat16ElEEZZNS1_27merge_sort_block_merge_implIS3_PS6_N6thrust23THRUST_200600_302600_NS10device_ptrIlEEmNSB_4lessIS6_EEEE10hipError_tT0_T1_T2_jT3_P12ihipStream_tbPNSt15iterator_traitsISH_E10value_typeEPNSN_ISI_E10value_typeEPSJ_NS1_7vsmem_tEENKUlT_SH_SI_SJ_E_clIS9_S9_SD_PlEESG_SW_SH_SI_SJ_EUlSW_E1_NS1_11comp_targetILNS1_3genE4ELNS1_11target_archE910ELNS1_3gpuE8ELNS1_3repE0EEENS1_36merge_oddeven_config_static_selectorELNS0_4arch9wavefront6targetE1EEEvSI_
; %bb.0:
	.section	.rodata,"a",@progbits
	.p2align	6, 0x0
	.amdhsa_kernel _ZN7rocprim17ROCPRIM_400000_NS6detail17trampoline_kernelINS0_14default_configENS1_38merge_sort_block_merge_config_selectorIN3c108BFloat16ElEEZZNS1_27merge_sort_block_merge_implIS3_PS6_N6thrust23THRUST_200600_302600_NS10device_ptrIlEEmNSB_4lessIS6_EEEE10hipError_tT0_T1_T2_jT3_P12ihipStream_tbPNSt15iterator_traitsISH_E10value_typeEPNSN_ISI_E10value_typeEPSJ_NS1_7vsmem_tEENKUlT_SH_SI_SJ_E_clIS9_S9_SD_PlEESG_SW_SH_SI_SJ_EUlSW_E1_NS1_11comp_targetILNS1_3genE4ELNS1_11target_archE910ELNS1_3gpuE8ELNS1_3repE0EEENS1_36merge_oddeven_config_static_selectorELNS0_4arch9wavefront6targetE1EEEvSI_
		.amdhsa_group_segment_fixed_size 0
		.amdhsa_private_segment_fixed_size 0
		.amdhsa_kernarg_size 56
		.amdhsa_user_sgpr_count 6
		.amdhsa_user_sgpr_private_segment_buffer 1
		.amdhsa_user_sgpr_dispatch_ptr 0
		.amdhsa_user_sgpr_queue_ptr 0
		.amdhsa_user_sgpr_kernarg_segment_ptr 1
		.amdhsa_user_sgpr_dispatch_id 0
		.amdhsa_user_sgpr_flat_scratch_init 0
		.amdhsa_user_sgpr_private_segment_size 0
		.amdhsa_uses_dynamic_stack 0
		.amdhsa_system_sgpr_private_segment_wavefront_offset 0
		.amdhsa_system_sgpr_workgroup_id_x 1
		.amdhsa_system_sgpr_workgroup_id_y 0
		.amdhsa_system_sgpr_workgroup_id_z 0
		.amdhsa_system_sgpr_workgroup_info 0
		.amdhsa_system_vgpr_workitem_id 0
		.amdhsa_next_free_vgpr 1
		.amdhsa_next_free_sgpr 0
		.amdhsa_reserve_vcc 0
		.amdhsa_reserve_flat_scratch 0
		.amdhsa_float_round_mode_32 0
		.amdhsa_float_round_mode_16_64 0
		.amdhsa_float_denorm_mode_32 3
		.amdhsa_float_denorm_mode_16_64 3
		.amdhsa_dx10_clamp 1
		.amdhsa_ieee_mode 1
		.amdhsa_fp16_overflow 0
		.amdhsa_exception_fp_ieee_invalid_op 0
		.amdhsa_exception_fp_denorm_src 0
		.amdhsa_exception_fp_ieee_div_zero 0
		.amdhsa_exception_fp_ieee_overflow 0
		.amdhsa_exception_fp_ieee_underflow 0
		.amdhsa_exception_fp_ieee_inexact 0
		.amdhsa_exception_int_div_zero 0
	.end_amdhsa_kernel
	.section	.text._ZN7rocprim17ROCPRIM_400000_NS6detail17trampoline_kernelINS0_14default_configENS1_38merge_sort_block_merge_config_selectorIN3c108BFloat16ElEEZZNS1_27merge_sort_block_merge_implIS3_PS6_N6thrust23THRUST_200600_302600_NS10device_ptrIlEEmNSB_4lessIS6_EEEE10hipError_tT0_T1_T2_jT3_P12ihipStream_tbPNSt15iterator_traitsISH_E10value_typeEPNSN_ISI_E10value_typeEPSJ_NS1_7vsmem_tEENKUlT_SH_SI_SJ_E_clIS9_S9_SD_PlEESG_SW_SH_SI_SJ_EUlSW_E1_NS1_11comp_targetILNS1_3genE4ELNS1_11target_archE910ELNS1_3gpuE8ELNS1_3repE0EEENS1_36merge_oddeven_config_static_selectorELNS0_4arch9wavefront6targetE1EEEvSI_,"axG",@progbits,_ZN7rocprim17ROCPRIM_400000_NS6detail17trampoline_kernelINS0_14default_configENS1_38merge_sort_block_merge_config_selectorIN3c108BFloat16ElEEZZNS1_27merge_sort_block_merge_implIS3_PS6_N6thrust23THRUST_200600_302600_NS10device_ptrIlEEmNSB_4lessIS6_EEEE10hipError_tT0_T1_T2_jT3_P12ihipStream_tbPNSt15iterator_traitsISH_E10value_typeEPNSN_ISI_E10value_typeEPSJ_NS1_7vsmem_tEENKUlT_SH_SI_SJ_E_clIS9_S9_SD_PlEESG_SW_SH_SI_SJ_EUlSW_E1_NS1_11comp_targetILNS1_3genE4ELNS1_11target_archE910ELNS1_3gpuE8ELNS1_3repE0EEENS1_36merge_oddeven_config_static_selectorELNS0_4arch9wavefront6targetE1EEEvSI_,comdat
.Lfunc_end2021:
	.size	_ZN7rocprim17ROCPRIM_400000_NS6detail17trampoline_kernelINS0_14default_configENS1_38merge_sort_block_merge_config_selectorIN3c108BFloat16ElEEZZNS1_27merge_sort_block_merge_implIS3_PS6_N6thrust23THRUST_200600_302600_NS10device_ptrIlEEmNSB_4lessIS6_EEEE10hipError_tT0_T1_T2_jT3_P12ihipStream_tbPNSt15iterator_traitsISH_E10value_typeEPNSN_ISI_E10value_typeEPSJ_NS1_7vsmem_tEENKUlT_SH_SI_SJ_E_clIS9_S9_SD_PlEESG_SW_SH_SI_SJ_EUlSW_E1_NS1_11comp_targetILNS1_3genE4ELNS1_11target_archE910ELNS1_3gpuE8ELNS1_3repE0EEENS1_36merge_oddeven_config_static_selectorELNS0_4arch9wavefront6targetE1EEEvSI_, .Lfunc_end2021-_ZN7rocprim17ROCPRIM_400000_NS6detail17trampoline_kernelINS0_14default_configENS1_38merge_sort_block_merge_config_selectorIN3c108BFloat16ElEEZZNS1_27merge_sort_block_merge_implIS3_PS6_N6thrust23THRUST_200600_302600_NS10device_ptrIlEEmNSB_4lessIS6_EEEE10hipError_tT0_T1_T2_jT3_P12ihipStream_tbPNSt15iterator_traitsISH_E10value_typeEPNSN_ISI_E10value_typeEPSJ_NS1_7vsmem_tEENKUlT_SH_SI_SJ_E_clIS9_S9_SD_PlEESG_SW_SH_SI_SJ_EUlSW_E1_NS1_11comp_targetILNS1_3genE4ELNS1_11target_archE910ELNS1_3gpuE8ELNS1_3repE0EEENS1_36merge_oddeven_config_static_selectorELNS0_4arch9wavefront6targetE1EEEvSI_
                                        ; -- End function
	.set _ZN7rocprim17ROCPRIM_400000_NS6detail17trampoline_kernelINS0_14default_configENS1_38merge_sort_block_merge_config_selectorIN3c108BFloat16ElEEZZNS1_27merge_sort_block_merge_implIS3_PS6_N6thrust23THRUST_200600_302600_NS10device_ptrIlEEmNSB_4lessIS6_EEEE10hipError_tT0_T1_T2_jT3_P12ihipStream_tbPNSt15iterator_traitsISH_E10value_typeEPNSN_ISI_E10value_typeEPSJ_NS1_7vsmem_tEENKUlT_SH_SI_SJ_E_clIS9_S9_SD_PlEESG_SW_SH_SI_SJ_EUlSW_E1_NS1_11comp_targetILNS1_3genE4ELNS1_11target_archE910ELNS1_3gpuE8ELNS1_3repE0EEENS1_36merge_oddeven_config_static_selectorELNS0_4arch9wavefront6targetE1EEEvSI_.num_vgpr, 0
	.set _ZN7rocprim17ROCPRIM_400000_NS6detail17trampoline_kernelINS0_14default_configENS1_38merge_sort_block_merge_config_selectorIN3c108BFloat16ElEEZZNS1_27merge_sort_block_merge_implIS3_PS6_N6thrust23THRUST_200600_302600_NS10device_ptrIlEEmNSB_4lessIS6_EEEE10hipError_tT0_T1_T2_jT3_P12ihipStream_tbPNSt15iterator_traitsISH_E10value_typeEPNSN_ISI_E10value_typeEPSJ_NS1_7vsmem_tEENKUlT_SH_SI_SJ_E_clIS9_S9_SD_PlEESG_SW_SH_SI_SJ_EUlSW_E1_NS1_11comp_targetILNS1_3genE4ELNS1_11target_archE910ELNS1_3gpuE8ELNS1_3repE0EEENS1_36merge_oddeven_config_static_selectorELNS0_4arch9wavefront6targetE1EEEvSI_.num_agpr, 0
	.set _ZN7rocprim17ROCPRIM_400000_NS6detail17trampoline_kernelINS0_14default_configENS1_38merge_sort_block_merge_config_selectorIN3c108BFloat16ElEEZZNS1_27merge_sort_block_merge_implIS3_PS6_N6thrust23THRUST_200600_302600_NS10device_ptrIlEEmNSB_4lessIS6_EEEE10hipError_tT0_T1_T2_jT3_P12ihipStream_tbPNSt15iterator_traitsISH_E10value_typeEPNSN_ISI_E10value_typeEPSJ_NS1_7vsmem_tEENKUlT_SH_SI_SJ_E_clIS9_S9_SD_PlEESG_SW_SH_SI_SJ_EUlSW_E1_NS1_11comp_targetILNS1_3genE4ELNS1_11target_archE910ELNS1_3gpuE8ELNS1_3repE0EEENS1_36merge_oddeven_config_static_selectorELNS0_4arch9wavefront6targetE1EEEvSI_.numbered_sgpr, 0
	.set _ZN7rocprim17ROCPRIM_400000_NS6detail17trampoline_kernelINS0_14default_configENS1_38merge_sort_block_merge_config_selectorIN3c108BFloat16ElEEZZNS1_27merge_sort_block_merge_implIS3_PS6_N6thrust23THRUST_200600_302600_NS10device_ptrIlEEmNSB_4lessIS6_EEEE10hipError_tT0_T1_T2_jT3_P12ihipStream_tbPNSt15iterator_traitsISH_E10value_typeEPNSN_ISI_E10value_typeEPSJ_NS1_7vsmem_tEENKUlT_SH_SI_SJ_E_clIS9_S9_SD_PlEESG_SW_SH_SI_SJ_EUlSW_E1_NS1_11comp_targetILNS1_3genE4ELNS1_11target_archE910ELNS1_3gpuE8ELNS1_3repE0EEENS1_36merge_oddeven_config_static_selectorELNS0_4arch9wavefront6targetE1EEEvSI_.num_named_barrier, 0
	.set _ZN7rocprim17ROCPRIM_400000_NS6detail17trampoline_kernelINS0_14default_configENS1_38merge_sort_block_merge_config_selectorIN3c108BFloat16ElEEZZNS1_27merge_sort_block_merge_implIS3_PS6_N6thrust23THRUST_200600_302600_NS10device_ptrIlEEmNSB_4lessIS6_EEEE10hipError_tT0_T1_T2_jT3_P12ihipStream_tbPNSt15iterator_traitsISH_E10value_typeEPNSN_ISI_E10value_typeEPSJ_NS1_7vsmem_tEENKUlT_SH_SI_SJ_E_clIS9_S9_SD_PlEESG_SW_SH_SI_SJ_EUlSW_E1_NS1_11comp_targetILNS1_3genE4ELNS1_11target_archE910ELNS1_3gpuE8ELNS1_3repE0EEENS1_36merge_oddeven_config_static_selectorELNS0_4arch9wavefront6targetE1EEEvSI_.private_seg_size, 0
	.set _ZN7rocprim17ROCPRIM_400000_NS6detail17trampoline_kernelINS0_14default_configENS1_38merge_sort_block_merge_config_selectorIN3c108BFloat16ElEEZZNS1_27merge_sort_block_merge_implIS3_PS6_N6thrust23THRUST_200600_302600_NS10device_ptrIlEEmNSB_4lessIS6_EEEE10hipError_tT0_T1_T2_jT3_P12ihipStream_tbPNSt15iterator_traitsISH_E10value_typeEPNSN_ISI_E10value_typeEPSJ_NS1_7vsmem_tEENKUlT_SH_SI_SJ_E_clIS9_S9_SD_PlEESG_SW_SH_SI_SJ_EUlSW_E1_NS1_11comp_targetILNS1_3genE4ELNS1_11target_archE910ELNS1_3gpuE8ELNS1_3repE0EEENS1_36merge_oddeven_config_static_selectorELNS0_4arch9wavefront6targetE1EEEvSI_.uses_vcc, 0
	.set _ZN7rocprim17ROCPRIM_400000_NS6detail17trampoline_kernelINS0_14default_configENS1_38merge_sort_block_merge_config_selectorIN3c108BFloat16ElEEZZNS1_27merge_sort_block_merge_implIS3_PS6_N6thrust23THRUST_200600_302600_NS10device_ptrIlEEmNSB_4lessIS6_EEEE10hipError_tT0_T1_T2_jT3_P12ihipStream_tbPNSt15iterator_traitsISH_E10value_typeEPNSN_ISI_E10value_typeEPSJ_NS1_7vsmem_tEENKUlT_SH_SI_SJ_E_clIS9_S9_SD_PlEESG_SW_SH_SI_SJ_EUlSW_E1_NS1_11comp_targetILNS1_3genE4ELNS1_11target_archE910ELNS1_3gpuE8ELNS1_3repE0EEENS1_36merge_oddeven_config_static_selectorELNS0_4arch9wavefront6targetE1EEEvSI_.uses_flat_scratch, 0
	.set _ZN7rocprim17ROCPRIM_400000_NS6detail17trampoline_kernelINS0_14default_configENS1_38merge_sort_block_merge_config_selectorIN3c108BFloat16ElEEZZNS1_27merge_sort_block_merge_implIS3_PS6_N6thrust23THRUST_200600_302600_NS10device_ptrIlEEmNSB_4lessIS6_EEEE10hipError_tT0_T1_T2_jT3_P12ihipStream_tbPNSt15iterator_traitsISH_E10value_typeEPNSN_ISI_E10value_typeEPSJ_NS1_7vsmem_tEENKUlT_SH_SI_SJ_E_clIS9_S9_SD_PlEESG_SW_SH_SI_SJ_EUlSW_E1_NS1_11comp_targetILNS1_3genE4ELNS1_11target_archE910ELNS1_3gpuE8ELNS1_3repE0EEENS1_36merge_oddeven_config_static_selectorELNS0_4arch9wavefront6targetE1EEEvSI_.has_dyn_sized_stack, 0
	.set _ZN7rocprim17ROCPRIM_400000_NS6detail17trampoline_kernelINS0_14default_configENS1_38merge_sort_block_merge_config_selectorIN3c108BFloat16ElEEZZNS1_27merge_sort_block_merge_implIS3_PS6_N6thrust23THRUST_200600_302600_NS10device_ptrIlEEmNSB_4lessIS6_EEEE10hipError_tT0_T1_T2_jT3_P12ihipStream_tbPNSt15iterator_traitsISH_E10value_typeEPNSN_ISI_E10value_typeEPSJ_NS1_7vsmem_tEENKUlT_SH_SI_SJ_E_clIS9_S9_SD_PlEESG_SW_SH_SI_SJ_EUlSW_E1_NS1_11comp_targetILNS1_3genE4ELNS1_11target_archE910ELNS1_3gpuE8ELNS1_3repE0EEENS1_36merge_oddeven_config_static_selectorELNS0_4arch9wavefront6targetE1EEEvSI_.has_recursion, 0
	.set _ZN7rocprim17ROCPRIM_400000_NS6detail17trampoline_kernelINS0_14default_configENS1_38merge_sort_block_merge_config_selectorIN3c108BFloat16ElEEZZNS1_27merge_sort_block_merge_implIS3_PS6_N6thrust23THRUST_200600_302600_NS10device_ptrIlEEmNSB_4lessIS6_EEEE10hipError_tT0_T1_T2_jT3_P12ihipStream_tbPNSt15iterator_traitsISH_E10value_typeEPNSN_ISI_E10value_typeEPSJ_NS1_7vsmem_tEENKUlT_SH_SI_SJ_E_clIS9_S9_SD_PlEESG_SW_SH_SI_SJ_EUlSW_E1_NS1_11comp_targetILNS1_3genE4ELNS1_11target_archE910ELNS1_3gpuE8ELNS1_3repE0EEENS1_36merge_oddeven_config_static_selectorELNS0_4arch9wavefront6targetE1EEEvSI_.has_indirect_call, 0
	.section	.AMDGPU.csdata,"",@progbits
; Kernel info:
; codeLenInByte = 0
; TotalNumSgprs: 4
; NumVgprs: 0
; ScratchSize: 0
; MemoryBound: 0
; FloatMode: 240
; IeeeMode: 1
; LDSByteSize: 0 bytes/workgroup (compile time only)
; SGPRBlocks: 0
; VGPRBlocks: 0
; NumSGPRsForWavesPerEU: 4
; NumVGPRsForWavesPerEU: 1
; Occupancy: 10
; WaveLimiterHint : 0
; COMPUTE_PGM_RSRC2:SCRATCH_EN: 0
; COMPUTE_PGM_RSRC2:USER_SGPR: 6
; COMPUTE_PGM_RSRC2:TRAP_HANDLER: 0
; COMPUTE_PGM_RSRC2:TGID_X_EN: 1
; COMPUTE_PGM_RSRC2:TGID_Y_EN: 0
; COMPUTE_PGM_RSRC2:TGID_Z_EN: 0
; COMPUTE_PGM_RSRC2:TIDIG_COMP_CNT: 0
	.section	.text._ZN7rocprim17ROCPRIM_400000_NS6detail17trampoline_kernelINS0_14default_configENS1_38merge_sort_block_merge_config_selectorIN3c108BFloat16ElEEZZNS1_27merge_sort_block_merge_implIS3_PS6_N6thrust23THRUST_200600_302600_NS10device_ptrIlEEmNSB_4lessIS6_EEEE10hipError_tT0_T1_T2_jT3_P12ihipStream_tbPNSt15iterator_traitsISH_E10value_typeEPNSN_ISI_E10value_typeEPSJ_NS1_7vsmem_tEENKUlT_SH_SI_SJ_E_clIS9_S9_SD_PlEESG_SW_SH_SI_SJ_EUlSW_E1_NS1_11comp_targetILNS1_3genE3ELNS1_11target_archE908ELNS1_3gpuE7ELNS1_3repE0EEENS1_36merge_oddeven_config_static_selectorELNS0_4arch9wavefront6targetE1EEEvSI_,"axG",@progbits,_ZN7rocprim17ROCPRIM_400000_NS6detail17trampoline_kernelINS0_14default_configENS1_38merge_sort_block_merge_config_selectorIN3c108BFloat16ElEEZZNS1_27merge_sort_block_merge_implIS3_PS6_N6thrust23THRUST_200600_302600_NS10device_ptrIlEEmNSB_4lessIS6_EEEE10hipError_tT0_T1_T2_jT3_P12ihipStream_tbPNSt15iterator_traitsISH_E10value_typeEPNSN_ISI_E10value_typeEPSJ_NS1_7vsmem_tEENKUlT_SH_SI_SJ_E_clIS9_S9_SD_PlEESG_SW_SH_SI_SJ_EUlSW_E1_NS1_11comp_targetILNS1_3genE3ELNS1_11target_archE908ELNS1_3gpuE7ELNS1_3repE0EEENS1_36merge_oddeven_config_static_selectorELNS0_4arch9wavefront6targetE1EEEvSI_,comdat
	.protected	_ZN7rocprim17ROCPRIM_400000_NS6detail17trampoline_kernelINS0_14default_configENS1_38merge_sort_block_merge_config_selectorIN3c108BFloat16ElEEZZNS1_27merge_sort_block_merge_implIS3_PS6_N6thrust23THRUST_200600_302600_NS10device_ptrIlEEmNSB_4lessIS6_EEEE10hipError_tT0_T1_T2_jT3_P12ihipStream_tbPNSt15iterator_traitsISH_E10value_typeEPNSN_ISI_E10value_typeEPSJ_NS1_7vsmem_tEENKUlT_SH_SI_SJ_E_clIS9_S9_SD_PlEESG_SW_SH_SI_SJ_EUlSW_E1_NS1_11comp_targetILNS1_3genE3ELNS1_11target_archE908ELNS1_3gpuE7ELNS1_3repE0EEENS1_36merge_oddeven_config_static_selectorELNS0_4arch9wavefront6targetE1EEEvSI_ ; -- Begin function _ZN7rocprim17ROCPRIM_400000_NS6detail17trampoline_kernelINS0_14default_configENS1_38merge_sort_block_merge_config_selectorIN3c108BFloat16ElEEZZNS1_27merge_sort_block_merge_implIS3_PS6_N6thrust23THRUST_200600_302600_NS10device_ptrIlEEmNSB_4lessIS6_EEEE10hipError_tT0_T1_T2_jT3_P12ihipStream_tbPNSt15iterator_traitsISH_E10value_typeEPNSN_ISI_E10value_typeEPSJ_NS1_7vsmem_tEENKUlT_SH_SI_SJ_E_clIS9_S9_SD_PlEESG_SW_SH_SI_SJ_EUlSW_E1_NS1_11comp_targetILNS1_3genE3ELNS1_11target_archE908ELNS1_3gpuE7ELNS1_3repE0EEENS1_36merge_oddeven_config_static_selectorELNS0_4arch9wavefront6targetE1EEEvSI_
	.globl	_ZN7rocprim17ROCPRIM_400000_NS6detail17trampoline_kernelINS0_14default_configENS1_38merge_sort_block_merge_config_selectorIN3c108BFloat16ElEEZZNS1_27merge_sort_block_merge_implIS3_PS6_N6thrust23THRUST_200600_302600_NS10device_ptrIlEEmNSB_4lessIS6_EEEE10hipError_tT0_T1_T2_jT3_P12ihipStream_tbPNSt15iterator_traitsISH_E10value_typeEPNSN_ISI_E10value_typeEPSJ_NS1_7vsmem_tEENKUlT_SH_SI_SJ_E_clIS9_S9_SD_PlEESG_SW_SH_SI_SJ_EUlSW_E1_NS1_11comp_targetILNS1_3genE3ELNS1_11target_archE908ELNS1_3gpuE7ELNS1_3repE0EEENS1_36merge_oddeven_config_static_selectorELNS0_4arch9wavefront6targetE1EEEvSI_
	.p2align	8
	.type	_ZN7rocprim17ROCPRIM_400000_NS6detail17trampoline_kernelINS0_14default_configENS1_38merge_sort_block_merge_config_selectorIN3c108BFloat16ElEEZZNS1_27merge_sort_block_merge_implIS3_PS6_N6thrust23THRUST_200600_302600_NS10device_ptrIlEEmNSB_4lessIS6_EEEE10hipError_tT0_T1_T2_jT3_P12ihipStream_tbPNSt15iterator_traitsISH_E10value_typeEPNSN_ISI_E10value_typeEPSJ_NS1_7vsmem_tEENKUlT_SH_SI_SJ_E_clIS9_S9_SD_PlEESG_SW_SH_SI_SJ_EUlSW_E1_NS1_11comp_targetILNS1_3genE3ELNS1_11target_archE908ELNS1_3gpuE7ELNS1_3repE0EEENS1_36merge_oddeven_config_static_selectorELNS0_4arch9wavefront6targetE1EEEvSI_,@function
_ZN7rocprim17ROCPRIM_400000_NS6detail17trampoline_kernelINS0_14default_configENS1_38merge_sort_block_merge_config_selectorIN3c108BFloat16ElEEZZNS1_27merge_sort_block_merge_implIS3_PS6_N6thrust23THRUST_200600_302600_NS10device_ptrIlEEmNSB_4lessIS6_EEEE10hipError_tT0_T1_T2_jT3_P12ihipStream_tbPNSt15iterator_traitsISH_E10value_typeEPNSN_ISI_E10value_typeEPSJ_NS1_7vsmem_tEENKUlT_SH_SI_SJ_E_clIS9_S9_SD_PlEESG_SW_SH_SI_SJ_EUlSW_E1_NS1_11comp_targetILNS1_3genE3ELNS1_11target_archE908ELNS1_3gpuE7ELNS1_3repE0EEENS1_36merge_oddeven_config_static_selectorELNS0_4arch9wavefront6targetE1EEEvSI_: ; @_ZN7rocprim17ROCPRIM_400000_NS6detail17trampoline_kernelINS0_14default_configENS1_38merge_sort_block_merge_config_selectorIN3c108BFloat16ElEEZZNS1_27merge_sort_block_merge_implIS3_PS6_N6thrust23THRUST_200600_302600_NS10device_ptrIlEEmNSB_4lessIS6_EEEE10hipError_tT0_T1_T2_jT3_P12ihipStream_tbPNSt15iterator_traitsISH_E10value_typeEPNSN_ISI_E10value_typeEPSJ_NS1_7vsmem_tEENKUlT_SH_SI_SJ_E_clIS9_S9_SD_PlEESG_SW_SH_SI_SJ_EUlSW_E1_NS1_11comp_targetILNS1_3genE3ELNS1_11target_archE908ELNS1_3gpuE7ELNS1_3repE0EEENS1_36merge_oddeven_config_static_selectorELNS0_4arch9wavefront6targetE1EEEvSI_
; %bb.0:
	.section	.rodata,"a",@progbits
	.p2align	6, 0x0
	.amdhsa_kernel _ZN7rocprim17ROCPRIM_400000_NS6detail17trampoline_kernelINS0_14default_configENS1_38merge_sort_block_merge_config_selectorIN3c108BFloat16ElEEZZNS1_27merge_sort_block_merge_implIS3_PS6_N6thrust23THRUST_200600_302600_NS10device_ptrIlEEmNSB_4lessIS6_EEEE10hipError_tT0_T1_T2_jT3_P12ihipStream_tbPNSt15iterator_traitsISH_E10value_typeEPNSN_ISI_E10value_typeEPSJ_NS1_7vsmem_tEENKUlT_SH_SI_SJ_E_clIS9_S9_SD_PlEESG_SW_SH_SI_SJ_EUlSW_E1_NS1_11comp_targetILNS1_3genE3ELNS1_11target_archE908ELNS1_3gpuE7ELNS1_3repE0EEENS1_36merge_oddeven_config_static_selectorELNS0_4arch9wavefront6targetE1EEEvSI_
		.amdhsa_group_segment_fixed_size 0
		.amdhsa_private_segment_fixed_size 0
		.amdhsa_kernarg_size 56
		.amdhsa_user_sgpr_count 6
		.amdhsa_user_sgpr_private_segment_buffer 1
		.amdhsa_user_sgpr_dispatch_ptr 0
		.amdhsa_user_sgpr_queue_ptr 0
		.amdhsa_user_sgpr_kernarg_segment_ptr 1
		.amdhsa_user_sgpr_dispatch_id 0
		.amdhsa_user_sgpr_flat_scratch_init 0
		.amdhsa_user_sgpr_private_segment_size 0
		.amdhsa_uses_dynamic_stack 0
		.amdhsa_system_sgpr_private_segment_wavefront_offset 0
		.amdhsa_system_sgpr_workgroup_id_x 1
		.amdhsa_system_sgpr_workgroup_id_y 0
		.amdhsa_system_sgpr_workgroup_id_z 0
		.amdhsa_system_sgpr_workgroup_info 0
		.amdhsa_system_vgpr_workitem_id 0
		.amdhsa_next_free_vgpr 1
		.amdhsa_next_free_sgpr 0
		.amdhsa_reserve_vcc 0
		.amdhsa_reserve_flat_scratch 0
		.amdhsa_float_round_mode_32 0
		.amdhsa_float_round_mode_16_64 0
		.amdhsa_float_denorm_mode_32 3
		.amdhsa_float_denorm_mode_16_64 3
		.amdhsa_dx10_clamp 1
		.amdhsa_ieee_mode 1
		.amdhsa_fp16_overflow 0
		.amdhsa_exception_fp_ieee_invalid_op 0
		.amdhsa_exception_fp_denorm_src 0
		.amdhsa_exception_fp_ieee_div_zero 0
		.amdhsa_exception_fp_ieee_overflow 0
		.amdhsa_exception_fp_ieee_underflow 0
		.amdhsa_exception_fp_ieee_inexact 0
		.amdhsa_exception_int_div_zero 0
	.end_amdhsa_kernel
	.section	.text._ZN7rocprim17ROCPRIM_400000_NS6detail17trampoline_kernelINS0_14default_configENS1_38merge_sort_block_merge_config_selectorIN3c108BFloat16ElEEZZNS1_27merge_sort_block_merge_implIS3_PS6_N6thrust23THRUST_200600_302600_NS10device_ptrIlEEmNSB_4lessIS6_EEEE10hipError_tT0_T1_T2_jT3_P12ihipStream_tbPNSt15iterator_traitsISH_E10value_typeEPNSN_ISI_E10value_typeEPSJ_NS1_7vsmem_tEENKUlT_SH_SI_SJ_E_clIS9_S9_SD_PlEESG_SW_SH_SI_SJ_EUlSW_E1_NS1_11comp_targetILNS1_3genE3ELNS1_11target_archE908ELNS1_3gpuE7ELNS1_3repE0EEENS1_36merge_oddeven_config_static_selectorELNS0_4arch9wavefront6targetE1EEEvSI_,"axG",@progbits,_ZN7rocprim17ROCPRIM_400000_NS6detail17trampoline_kernelINS0_14default_configENS1_38merge_sort_block_merge_config_selectorIN3c108BFloat16ElEEZZNS1_27merge_sort_block_merge_implIS3_PS6_N6thrust23THRUST_200600_302600_NS10device_ptrIlEEmNSB_4lessIS6_EEEE10hipError_tT0_T1_T2_jT3_P12ihipStream_tbPNSt15iterator_traitsISH_E10value_typeEPNSN_ISI_E10value_typeEPSJ_NS1_7vsmem_tEENKUlT_SH_SI_SJ_E_clIS9_S9_SD_PlEESG_SW_SH_SI_SJ_EUlSW_E1_NS1_11comp_targetILNS1_3genE3ELNS1_11target_archE908ELNS1_3gpuE7ELNS1_3repE0EEENS1_36merge_oddeven_config_static_selectorELNS0_4arch9wavefront6targetE1EEEvSI_,comdat
.Lfunc_end2022:
	.size	_ZN7rocprim17ROCPRIM_400000_NS6detail17trampoline_kernelINS0_14default_configENS1_38merge_sort_block_merge_config_selectorIN3c108BFloat16ElEEZZNS1_27merge_sort_block_merge_implIS3_PS6_N6thrust23THRUST_200600_302600_NS10device_ptrIlEEmNSB_4lessIS6_EEEE10hipError_tT0_T1_T2_jT3_P12ihipStream_tbPNSt15iterator_traitsISH_E10value_typeEPNSN_ISI_E10value_typeEPSJ_NS1_7vsmem_tEENKUlT_SH_SI_SJ_E_clIS9_S9_SD_PlEESG_SW_SH_SI_SJ_EUlSW_E1_NS1_11comp_targetILNS1_3genE3ELNS1_11target_archE908ELNS1_3gpuE7ELNS1_3repE0EEENS1_36merge_oddeven_config_static_selectorELNS0_4arch9wavefront6targetE1EEEvSI_, .Lfunc_end2022-_ZN7rocprim17ROCPRIM_400000_NS6detail17trampoline_kernelINS0_14default_configENS1_38merge_sort_block_merge_config_selectorIN3c108BFloat16ElEEZZNS1_27merge_sort_block_merge_implIS3_PS6_N6thrust23THRUST_200600_302600_NS10device_ptrIlEEmNSB_4lessIS6_EEEE10hipError_tT0_T1_T2_jT3_P12ihipStream_tbPNSt15iterator_traitsISH_E10value_typeEPNSN_ISI_E10value_typeEPSJ_NS1_7vsmem_tEENKUlT_SH_SI_SJ_E_clIS9_S9_SD_PlEESG_SW_SH_SI_SJ_EUlSW_E1_NS1_11comp_targetILNS1_3genE3ELNS1_11target_archE908ELNS1_3gpuE7ELNS1_3repE0EEENS1_36merge_oddeven_config_static_selectorELNS0_4arch9wavefront6targetE1EEEvSI_
                                        ; -- End function
	.set _ZN7rocprim17ROCPRIM_400000_NS6detail17trampoline_kernelINS0_14default_configENS1_38merge_sort_block_merge_config_selectorIN3c108BFloat16ElEEZZNS1_27merge_sort_block_merge_implIS3_PS6_N6thrust23THRUST_200600_302600_NS10device_ptrIlEEmNSB_4lessIS6_EEEE10hipError_tT0_T1_T2_jT3_P12ihipStream_tbPNSt15iterator_traitsISH_E10value_typeEPNSN_ISI_E10value_typeEPSJ_NS1_7vsmem_tEENKUlT_SH_SI_SJ_E_clIS9_S9_SD_PlEESG_SW_SH_SI_SJ_EUlSW_E1_NS1_11comp_targetILNS1_3genE3ELNS1_11target_archE908ELNS1_3gpuE7ELNS1_3repE0EEENS1_36merge_oddeven_config_static_selectorELNS0_4arch9wavefront6targetE1EEEvSI_.num_vgpr, 0
	.set _ZN7rocprim17ROCPRIM_400000_NS6detail17trampoline_kernelINS0_14default_configENS1_38merge_sort_block_merge_config_selectorIN3c108BFloat16ElEEZZNS1_27merge_sort_block_merge_implIS3_PS6_N6thrust23THRUST_200600_302600_NS10device_ptrIlEEmNSB_4lessIS6_EEEE10hipError_tT0_T1_T2_jT3_P12ihipStream_tbPNSt15iterator_traitsISH_E10value_typeEPNSN_ISI_E10value_typeEPSJ_NS1_7vsmem_tEENKUlT_SH_SI_SJ_E_clIS9_S9_SD_PlEESG_SW_SH_SI_SJ_EUlSW_E1_NS1_11comp_targetILNS1_3genE3ELNS1_11target_archE908ELNS1_3gpuE7ELNS1_3repE0EEENS1_36merge_oddeven_config_static_selectorELNS0_4arch9wavefront6targetE1EEEvSI_.num_agpr, 0
	.set _ZN7rocprim17ROCPRIM_400000_NS6detail17trampoline_kernelINS0_14default_configENS1_38merge_sort_block_merge_config_selectorIN3c108BFloat16ElEEZZNS1_27merge_sort_block_merge_implIS3_PS6_N6thrust23THRUST_200600_302600_NS10device_ptrIlEEmNSB_4lessIS6_EEEE10hipError_tT0_T1_T2_jT3_P12ihipStream_tbPNSt15iterator_traitsISH_E10value_typeEPNSN_ISI_E10value_typeEPSJ_NS1_7vsmem_tEENKUlT_SH_SI_SJ_E_clIS9_S9_SD_PlEESG_SW_SH_SI_SJ_EUlSW_E1_NS1_11comp_targetILNS1_3genE3ELNS1_11target_archE908ELNS1_3gpuE7ELNS1_3repE0EEENS1_36merge_oddeven_config_static_selectorELNS0_4arch9wavefront6targetE1EEEvSI_.numbered_sgpr, 0
	.set _ZN7rocprim17ROCPRIM_400000_NS6detail17trampoline_kernelINS0_14default_configENS1_38merge_sort_block_merge_config_selectorIN3c108BFloat16ElEEZZNS1_27merge_sort_block_merge_implIS3_PS6_N6thrust23THRUST_200600_302600_NS10device_ptrIlEEmNSB_4lessIS6_EEEE10hipError_tT0_T1_T2_jT3_P12ihipStream_tbPNSt15iterator_traitsISH_E10value_typeEPNSN_ISI_E10value_typeEPSJ_NS1_7vsmem_tEENKUlT_SH_SI_SJ_E_clIS9_S9_SD_PlEESG_SW_SH_SI_SJ_EUlSW_E1_NS1_11comp_targetILNS1_3genE3ELNS1_11target_archE908ELNS1_3gpuE7ELNS1_3repE0EEENS1_36merge_oddeven_config_static_selectorELNS0_4arch9wavefront6targetE1EEEvSI_.num_named_barrier, 0
	.set _ZN7rocprim17ROCPRIM_400000_NS6detail17trampoline_kernelINS0_14default_configENS1_38merge_sort_block_merge_config_selectorIN3c108BFloat16ElEEZZNS1_27merge_sort_block_merge_implIS3_PS6_N6thrust23THRUST_200600_302600_NS10device_ptrIlEEmNSB_4lessIS6_EEEE10hipError_tT0_T1_T2_jT3_P12ihipStream_tbPNSt15iterator_traitsISH_E10value_typeEPNSN_ISI_E10value_typeEPSJ_NS1_7vsmem_tEENKUlT_SH_SI_SJ_E_clIS9_S9_SD_PlEESG_SW_SH_SI_SJ_EUlSW_E1_NS1_11comp_targetILNS1_3genE3ELNS1_11target_archE908ELNS1_3gpuE7ELNS1_3repE0EEENS1_36merge_oddeven_config_static_selectorELNS0_4arch9wavefront6targetE1EEEvSI_.private_seg_size, 0
	.set _ZN7rocprim17ROCPRIM_400000_NS6detail17trampoline_kernelINS0_14default_configENS1_38merge_sort_block_merge_config_selectorIN3c108BFloat16ElEEZZNS1_27merge_sort_block_merge_implIS3_PS6_N6thrust23THRUST_200600_302600_NS10device_ptrIlEEmNSB_4lessIS6_EEEE10hipError_tT0_T1_T2_jT3_P12ihipStream_tbPNSt15iterator_traitsISH_E10value_typeEPNSN_ISI_E10value_typeEPSJ_NS1_7vsmem_tEENKUlT_SH_SI_SJ_E_clIS9_S9_SD_PlEESG_SW_SH_SI_SJ_EUlSW_E1_NS1_11comp_targetILNS1_3genE3ELNS1_11target_archE908ELNS1_3gpuE7ELNS1_3repE0EEENS1_36merge_oddeven_config_static_selectorELNS0_4arch9wavefront6targetE1EEEvSI_.uses_vcc, 0
	.set _ZN7rocprim17ROCPRIM_400000_NS6detail17trampoline_kernelINS0_14default_configENS1_38merge_sort_block_merge_config_selectorIN3c108BFloat16ElEEZZNS1_27merge_sort_block_merge_implIS3_PS6_N6thrust23THRUST_200600_302600_NS10device_ptrIlEEmNSB_4lessIS6_EEEE10hipError_tT0_T1_T2_jT3_P12ihipStream_tbPNSt15iterator_traitsISH_E10value_typeEPNSN_ISI_E10value_typeEPSJ_NS1_7vsmem_tEENKUlT_SH_SI_SJ_E_clIS9_S9_SD_PlEESG_SW_SH_SI_SJ_EUlSW_E1_NS1_11comp_targetILNS1_3genE3ELNS1_11target_archE908ELNS1_3gpuE7ELNS1_3repE0EEENS1_36merge_oddeven_config_static_selectorELNS0_4arch9wavefront6targetE1EEEvSI_.uses_flat_scratch, 0
	.set _ZN7rocprim17ROCPRIM_400000_NS6detail17trampoline_kernelINS0_14default_configENS1_38merge_sort_block_merge_config_selectorIN3c108BFloat16ElEEZZNS1_27merge_sort_block_merge_implIS3_PS6_N6thrust23THRUST_200600_302600_NS10device_ptrIlEEmNSB_4lessIS6_EEEE10hipError_tT0_T1_T2_jT3_P12ihipStream_tbPNSt15iterator_traitsISH_E10value_typeEPNSN_ISI_E10value_typeEPSJ_NS1_7vsmem_tEENKUlT_SH_SI_SJ_E_clIS9_S9_SD_PlEESG_SW_SH_SI_SJ_EUlSW_E1_NS1_11comp_targetILNS1_3genE3ELNS1_11target_archE908ELNS1_3gpuE7ELNS1_3repE0EEENS1_36merge_oddeven_config_static_selectorELNS0_4arch9wavefront6targetE1EEEvSI_.has_dyn_sized_stack, 0
	.set _ZN7rocprim17ROCPRIM_400000_NS6detail17trampoline_kernelINS0_14default_configENS1_38merge_sort_block_merge_config_selectorIN3c108BFloat16ElEEZZNS1_27merge_sort_block_merge_implIS3_PS6_N6thrust23THRUST_200600_302600_NS10device_ptrIlEEmNSB_4lessIS6_EEEE10hipError_tT0_T1_T2_jT3_P12ihipStream_tbPNSt15iterator_traitsISH_E10value_typeEPNSN_ISI_E10value_typeEPSJ_NS1_7vsmem_tEENKUlT_SH_SI_SJ_E_clIS9_S9_SD_PlEESG_SW_SH_SI_SJ_EUlSW_E1_NS1_11comp_targetILNS1_3genE3ELNS1_11target_archE908ELNS1_3gpuE7ELNS1_3repE0EEENS1_36merge_oddeven_config_static_selectorELNS0_4arch9wavefront6targetE1EEEvSI_.has_recursion, 0
	.set _ZN7rocprim17ROCPRIM_400000_NS6detail17trampoline_kernelINS0_14default_configENS1_38merge_sort_block_merge_config_selectorIN3c108BFloat16ElEEZZNS1_27merge_sort_block_merge_implIS3_PS6_N6thrust23THRUST_200600_302600_NS10device_ptrIlEEmNSB_4lessIS6_EEEE10hipError_tT0_T1_T2_jT3_P12ihipStream_tbPNSt15iterator_traitsISH_E10value_typeEPNSN_ISI_E10value_typeEPSJ_NS1_7vsmem_tEENKUlT_SH_SI_SJ_E_clIS9_S9_SD_PlEESG_SW_SH_SI_SJ_EUlSW_E1_NS1_11comp_targetILNS1_3genE3ELNS1_11target_archE908ELNS1_3gpuE7ELNS1_3repE0EEENS1_36merge_oddeven_config_static_selectorELNS0_4arch9wavefront6targetE1EEEvSI_.has_indirect_call, 0
	.section	.AMDGPU.csdata,"",@progbits
; Kernel info:
; codeLenInByte = 0
; TotalNumSgprs: 4
; NumVgprs: 0
; ScratchSize: 0
; MemoryBound: 0
; FloatMode: 240
; IeeeMode: 1
; LDSByteSize: 0 bytes/workgroup (compile time only)
; SGPRBlocks: 0
; VGPRBlocks: 0
; NumSGPRsForWavesPerEU: 4
; NumVGPRsForWavesPerEU: 1
; Occupancy: 10
; WaveLimiterHint : 0
; COMPUTE_PGM_RSRC2:SCRATCH_EN: 0
; COMPUTE_PGM_RSRC2:USER_SGPR: 6
; COMPUTE_PGM_RSRC2:TRAP_HANDLER: 0
; COMPUTE_PGM_RSRC2:TGID_X_EN: 1
; COMPUTE_PGM_RSRC2:TGID_Y_EN: 0
; COMPUTE_PGM_RSRC2:TGID_Z_EN: 0
; COMPUTE_PGM_RSRC2:TIDIG_COMP_CNT: 0
	.section	.text._ZN7rocprim17ROCPRIM_400000_NS6detail17trampoline_kernelINS0_14default_configENS1_38merge_sort_block_merge_config_selectorIN3c108BFloat16ElEEZZNS1_27merge_sort_block_merge_implIS3_PS6_N6thrust23THRUST_200600_302600_NS10device_ptrIlEEmNSB_4lessIS6_EEEE10hipError_tT0_T1_T2_jT3_P12ihipStream_tbPNSt15iterator_traitsISH_E10value_typeEPNSN_ISI_E10value_typeEPSJ_NS1_7vsmem_tEENKUlT_SH_SI_SJ_E_clIS9_S9_SD_PlEESG_SW_SH_SI_SJ_EUlSW_E1_NS1_11comp_targetILNS1_3genE2ELNS1_11target_archE906ELNS1_3gpuE6ELNS1_3repE0EEENS1_36merge_oddeven_config_static_selectorELNS0_4arch9wavefront6targetE1EEEvSI_,"axG",@progbits,_ZN7rocprim17ROCPRIM_400000_NS6detail17trampoline_kernelINS0_14default_configENS1_38merge_sort_block_merge_config_selectorIN3c108BFloat16ElEEZZNS1_27merge_sort_block_merge_implIS3_PS6_N6thrust23THRUST_200600_302600_NS10device_ptrIlEEmNSB_4lessIS6_EEEE10hipError_tT0_T1_T2_jT3_P12ihipStream_tbPNSt15iterator_traitsISH_E10value_typeEPNSN_ISI_E10value_typeEPSJ_NS1_7vsmem_tEENKUlT_SH_SI_SJ_E_clIS9_S9_SD_PlEESG_SW_SH_SI_SJ_EUlSW_E1_NS1_11comp_targetILNS1_3genE2ELNS1_11target_archE906ELNS1_3gpuE6ELNS1_3repE0EEENS1_36merge_oddeven_config_static_selectorELNS0_4arch9wavefront6targetE1EEEvSI_,comdat
	.protected	_ZN7rocprim17ROCPRIM_400000_NS6detail17trampoline_kernelINS0_14default_configENS1_38merge_sort_block_merge_config_selectorIN3c108BFloat16ElEEZZNS1_27merge_sort_block_merge_implIS3_PS6_N6thrust23THRUST_200600_302600_NS10device_ptrIlEEmNSB_4lessIS6_EEEE10hipError_tT0_T1_T2_jT3_P12ihipStream_tbPNSt15iterator_traitsISH_E10value_typeEPNSN_ISI_E10value_typeEPSJ_NS1_7vsmem_tEENKUlT_SH_SI_SJ_E_clIS9_S9_SD_PlEESG_SW_SH_SI_SJ_EUlSW_E1_NS1_11comp_targetILNS1_3genE2ELNS1_11target_archE906ELNS1_3gpuE6ELNS1_3repE0EEENS1_36merge_oddeven_config_static_selectorELNS0_4arch9wavefront6targetE1EEEvSI_ ; -- Begin function _ZN7rocprim17ROCPRIM_400000_NS6detail17trampoline_kernelINS0_14default_configENS1_38merge_sort_block_merge_config_selectorIN3c108BFloat16ElEEZZNS1_27merge_sort_block_merge_implIS3_PS6_N6thrust23THRUST_200600_302600_NS10device_ptrIlEEmNSB_4lessIS6_EEEE10hipError_tT0_T1_T2_jT3_P12ihipStream_tbPNSt15iterator_traitsISH_E10value_typeEPNSN_ISI_E10value_typeEPSJ_NS1_7vsmem_tEENKUlT_SH_SI_SJ_E_clIS9_S9_SD_PlEESG_SW_SH_SI_SJ_EUlSW_E1_NS1_11comp_targetILNS1_3genE2ELNS1_11target_archE906ELNS1_3gpuE6ELNS1_3repE0EEENS1_36merge_oddeven_config_static_selectorELNS0_4arch9wavefront6targetE1EEEvSI_
	.globl	_ZN7rocprim17ROCPRIM_400000_NS6detail17trampoline_kernelINS0_14default_configENS1_38merge_sort_block_merge_config_selectorIN3c108BFloat16ElEEZZNS1_27merge_sort_block_merge_implIS3_PS6_N6thrust23THRUST_200600_302600_NS10device_ptrIlEEmNSB_4lessIS6_EEEE10hipError_tT0_T1_T2_jT3_P12ihipStream_tbPNSt15iterator_traitsISH_E10value_typeEPNSN_ISI_E10value_typeEPSJ_NS1_7vsmem_tEENKUlT_SH_SI_SJ_E_clIS9_S9_SD_PlEESG_SW_SH_SI_SJ_EUlSW_E1_NS1_11comp_targetILNS1_3genE2ELNS1_11target_archE906ELNS1_3gpuE6ELNS1_3repE0EEENS1_36merge_oddeven_config_static_selectorELNS0_4arch9wavefront6targetE1EEEvSI_
	.p2align	8
	.type	_ZN7rocprim17ROCPRIM_400000_NS6detail17trampoline_kernelINS0_14default_configENS1_38merge_sort_block_merge_config_selectorIN3c108BFloat16ElEEZZNS1_27merge_sort_block_merge_implIS3_PS6_N6thrust23THRUST_200600_302600_NS10device_ptrIlEEmNSB_4lessIS6_EEEE10hipError_tT0_T1_T2_jT3_P12ihipStream_tbPNSt15iterator_traitsISH_E10value_typeEPNSN_ISI_E10value_typeEPSJ_NS1_7vsmem_tEENKUlT_SH_SI_SJ_E_clIS9_S9_SD_PlEESG_SW_SH_SI_SJ_EUlSW_E1_NS1_11comp_targetILNS1_3genE2ELNS1_11target_archE906ELNS1_3gpuE6ELNS1_3repE0EEENS1_36merge_oddeven_config_static_selectorELNS0_4arch9wavefront6targetE1EEEvSI_,@function
_ZN7rocprim17ROCPRIM_400000_NS6detail17trampoline_kernelINS0_14default_configENS1_38merge_sort_block_merge_config_selectorIN3c108BFloat16ElEEZZNS1_27merge_sort_block_merge_implIS3_PS6_N6thrust23THRUST_200600_302600_NS10device_ptrIlEEmNSB_4lessIS6_EEEE10hipError_tT0_T1_T2_jT3_P12ihipStream_tbPNSt15iterator_traitsISH_E10value_typeEPNSN_ISI_E10value_typeEPSJ_NS1_7vsmem_tEENKUlT_SH_SI_SJ_E_clIS9_S9_SD_PlEESG_SW_SH_SI_SJ_EUlSW_E1_NS1_11comp_targetILNS1_3genE2ELNS1_11target_archE906ELNS1_3gpuE6ELNS1_3repE0EEENS1_36merge_oddeven_config_static_selectorELNS0_4arch9wavefront6targetE1EEEvSI_: ; @_ZN7rocprim17ROCPRIM_400000_NS6detail17trampoline_kernelINS0_14default_configENS1_38merge_sort_block_merge_config_selectorIN3c108BFloat16ElEEZZNS1_27merge_sort_block_merge_implIS3_PS6_N6thrust23THRUST_200600_302600_NS10device_ptrIlEEmNSB_4lessIS6_EEEE10hipError_tT0_T1_T2_jT3_P12ihipStream_tbPNSt15iterator_traitsISH_E10value_typeEPNSN_ISI_E10value_typeEPSJ_NS1_7vsmem_tEENKUlT_SH_SI_SJ_E_clIS9_S9_SD_PlEESG_SW_SH_SI_SJ_EUlSW_E1_NS1_11comp_targetILNS1_3genE2ELNS1_11target_archE906ELNS1_3gpuE6ELNS1_3repE0EEENS1_36merge_oddeven_config_static_selectorELNS0_4arch9wavefront6targetE1EEEvSI_
; %bb.0:
	s_load_dwordx4 s[8:11], s[4:5], 0x18
	s_waitcnt lgkmcnt(0)
	s_lshr_b32 s0, s10, 8
	s_cmp_eq_u32 s6, s0
	s_cselect_b64 s[16:17], -1, 0
	s_cmp_lg_u32 s6, s0
	s_cselect_b64 s[0:1], -1, 0
	s_lshl_b32 s18, s6, 8
	s_sub_i32 s2, s10, s18
	v_cmp_gt_u32_e64 s[2:3], s2, v0
	s_or_b64 s[0:1], s[0:1], s[2:3]
	s_and_saveexec_b64 s[12:13], s[0:1]
	s_cbranch_execz .LBB2023_24
; %bb.1:
	s_load_dwordx4 s[12:15], s[4:5], 0x0
	s_load_dwordx2 s[0:1], s[4:5], 0x10
	s_mov_b32 s19, 0
	s_lshl_b64 s[20:21], s[18:19], 1
	v_lshlrev_b32_e32 v4, 3, v0
	s_waitcnt lgkmcnt(0)
	s_add_u32 s20, s12, s20
	s_addc_u32 s21, s13, s21
	s_lshl_b64 s[22:23], s[18:19], 3
	s_add_u32 s0, s0, s22
	s_addc_u32 s1, s1, s23
	v_lshlrev_b32_e32 v3, 1, v0
	global_load_dwordx2 v[1:2], v4, s[0:1]
	global_load_ushort v5, v3, s[20:21]
	s_load_dword s11, s[4:5], 0x28
	v_add_u32_e32 v3, s18, v0
	s_waitcnt lgkmcnt(0)
	s_lshr_b32 s0, s11, 8
	s_sub_i32 s1, 0, s0
	s_and_b32 s1, s6, s1
	s_and_b32 s0, s1, s0
	s_lshl_b32 s19, s1, 8
	s_sub_i32 s6, 0, s11
	s_cmp_eq_u32 s0, 0
	s_cselect_b64 s[0:1], -1, 0
	s_and_b64 s[4:5], s[0:1], exec
	s_cselect_b32 s6, s11, s6
	s_add_i32 s6, s6, s19
	s_mov_b64 s[4:5], -1
	s_cmp_lt_u32 s6, s10
	s_cbranch_scc1 .LBB2023_9
; %bb.2:
	s_and_b64 vcc, exec, s[16:17]
	s_cbranch_vccz .LBB2023_6
; %bb.3:
	v_cmp_gt_u32_e32 vcc, s10, v3
	s_and_saveexec_b64 s[4:5], vcc
	s_cbranch_execz .LBB2023_5
; %bb.4:
	v_mov_b32_e32 v4, 0
	v_lshlrev_b64 v[6:7], 1, v[3:4]
	v_mov_b32_e32 v0, s15
	v_add_co_u32_e32 v6, vcc, s14, v6
	v_lshlrev_b64 v[8:9], 3, v[3:4]
	v_addc_co_u32_e32 v7, vcc, v0, v7, vcc
	v_mov_b32_e32 v0, s9
	v_add_co_u32_e32 v8, vcc, s8, v8
	v_addc_co_u32_e32 v9, vcc, v0, v9, vcc
	s_waitcnt vmcnt(0)
	global_store_short v[6:7], v5, off
	global_store_dwordx2 v[8:9], v[1:2], off
.LBB2023_5:
	s_or_b64 exec, exec, s[4:5]
	s_mov_b64 s[4:5], 0
.LBB2023_6:
	s_andn2_b64 vcc, exec, s[4:5]
	s_cbranch_vccnz .LBB2023_8
; %bb.7:
	v_mov_b32_e32 v4, 0
	v_lshlrev_b64 v[6:7], 1, v[3:4]
	v_mov_b32_e32 v0, s15
	v_add_co_u32_e32 v6, vcc, s14, v6
	v_lshlrev_b64 v[8:9], 3, v[3:4]
	v_addc_co_u32_e32 v7, vcc, v0, v7, vcc
	v_mov_b32_e32 v0, s9
	v_add_co_u32_e32 v8, vcc, s8, v8
	v_addc_co_u32_e32 v9, vcc, v0, v9, vcc
	s_waitcnt vmcnt(0)
	global_store_short v[6:7], v5, off
	global_store_dwordx2 v[8:9], v[1:2], off
.LBB2023_8:
	s_mov_b64 s[4:5], 0
.LBB2023_9:
	s_andn2_b64 vcc, exec, s[4:5]
	s_cbranch_vccnz .LBB2023_24
; %bb.10:
	s_min_u32 s7, s6, s10
	s_add_i32 s4, s7, s11
	s_min_u32 s10, s4, s10
	s_min_u32 s4, s19, s7
	s_add_i32 s19, s19, s7
	v_subrev_u32_e32 v0, s19, v3
	v_add_u32_e32 v0, s4, v0
	s_waitcnt vmcnt(0)
	v_lshlrev_b32_e32 v3, 16, v5
	s_mov_b64 s[4:5], -1
	s_and_b64 vcc, exec, s[16:17]
	s_cbranch_vccz .LBB2023_18
; %bb.11:
	s_and_saveexec_b64 s[4:5], s[2:3]
	s_cbranch_execz .LBB2023_17
; %bb.12:
	s_cmp_ge_u32 s6, s10
	v_mov_b32_e32 v4, s7
	s_cbranch_scc1 .LBB2023_16
; %bb.13:
	s_mov_b64 s[2:3], 0
	v_mov_b32_e32 v6, s10
	v_mov_b32_e32 v4, s7
.LBB2023_14:                            ; =>This Inner Loop Header: Depth=1
	v_add_u32_e32 v7, v4, v6
	v_and_b32_e32 v8, -2, v7
	global_load_ushort v8, v8, s[12:13]
	v_lshrrev_b32_e32 v7, 1, v7
	v_add_u32_e32 v9, 1, v7
	s_waitcnt vmcnt(0)
	v_lshlrev_b32_e32 v8, 16, v8
	v_cmp_lt_f32_e32 vcc, v8, v3
	v_cndmask_b32_e64 v10, 0, 1, vcc
	v_cmp_nlt_f32_e32 vcc, v3, v8
	v_cndmask_b32_e64 v8, 0, 1, vcc
	v_cndmask_b32_e64 v8, v8, v10, s[0:1]
	v_and_b32_e32 v8, 1, v8
	v_cmp_eq_u32_e32 vcc, 1, v8
	v_cndmask_b32_e32 v6, v7, v6, vcc
	v_cndmask_b32_e32 v4, v4, v9, vcc
	v_cmp_ge_u32_e32 vcc, v4, v6
	s_or_b64 s[2:3], vcc, s[2:3]
	s_andn2_b64 exec, exec, s[2:3]
	s_cbranch_execnz .LBB2023_14
; %bb.15:
	s_or_b64 exec, exec, s[2:3]
.LBB2023_16:
	v_add_u32_e32 v6, v4, v0
	v_mov_b32_e32 v7, 0
	v_lshlrev_b64 v[8:9], 1, v[6:7]
	v_mov_b32_e32 v4, s15
	v_add_co_u32_e32 v8, vcc, s14, v8
	v_lshlrev_b64 v[6:7], 3, v[6:7]
	v_addc_co_u32_e32 v9, vcc, v4, v9, vcc
	v_mov_b32_e32 v4, s9
	v_add_co_u32_e32 v6, vcc, s8, v6
	v_addc_co_u32_e32 v7, vcc, v4, v7, vcc
	global_store_short v[8:9], v5, off
	global_store_dwordx2 v[6:7], v[1:2], off
.LBB2023_17:
	s_or_b64 exec, exec, s[4:5]
	s_mov_b64 s[4:5], 0
.LBB2023_18:
	s_andn2_b64 vcc, exec, s[4:5]
	s_cbranch_vccnz .LBB2023_24
; %bb.19:
	s_cmp_ge_u32 s6, s10
	v_mov_b32_e32 v4, s7
	s_cbranch_scc1 .LBB2023_23
; %bb.20:
	s_mov_b64 s[2:3], 0
	v_mov_b32_e32 v6, s10
	v_mov_b32_e32 v4, s7
.LBB2023_21:                            ; =>This Inner Loop Header: Depth=1
	v_add_u32_e32 v7, v4, v6
	v_and_b32_e32 v8, -2, v7
	global_load_ushort v8, v8, s[12:13]
	v_lshrrev_b32_e32 v7, 1, v7
	v_add_u32_e32 v9, 1, v7
	s_waitcnt vmcnt(0)
	v_lshlrev_b32_e32 v8, 16, v8
	v_cmp_lt_f32_e32 vcc, v8, v3
	v_cndmask_b32_e64 v10, 0, 1, vcc
	v_cmp_nlt_f32_e32 vcc, v3, v8
	v_cndmask_b32_e64 v8, 0, 1, vcc
	v_cndmask_b32_e64 v8, v8, v10, s[0:1]
	v_and_b32_e32 v8, 1, v8
	v_cmp_eq_u32_e32 vcc, 1, v8
	v_cndmask_b32_e32 v6, v7, v6, vcc
	v_cndmask_b32_e32 v4, v4, v9, vcc
	v_cmp_ge_u32_e32 vcc, v4, v6
	s_or_b64 s[2:3], vcc, s[2:3]
	s_andn2_b64 exec, exec, s[2:3]
	s_cbranch_execnz .LBB2023_21
; %bb.22:
	s_or_b64 exec, exec, s[2:3]
.LBB2023_23:
	v_add_u32_e32 v3, v4, v0
	v_mov_b32_e32 v4, 0
	v_lshlrev_b64 v[6:7], 1, v[3:4]
	v_mov_b32_e32 v0, s15
	v_add_co_u32_e32 v6, vcc, s14, v6
	v_lshlrev_b64 v[3:4], 3, v[3:4]
	v_addc_co_u32_e32 v7, vcc, v0, v7, vcc
	v_mov_b32_e32 v0, s9
	v_add_co_u32_e32 v3, vcc, s8, v3
	v_addc_co_u32_e32 v4, vcc, v0, v4, vcc
	global_store_short v[6:7], v5, off
	global_store_dwordx2 v[3:4], v[1:2], off
.LBB2023_24:
	s_endpgm
	.section	.rodata,"a",@progbits
	.p2align	6, 0x0
	.amdhsa_kernel _ZN7rocprim17ROCPRIM_400000_NS6detail17trampoline_kernelINS0_14default_configENS1_38merge_sort_block_merge_config_selectorIN3c108BFloat16ElEEZZNS1_27merge_sort_block_merge_implIS3_PS6_N6thrust23THRUST_200600_302600_NS10device_ptrIlEEmNSB_4lessIS6_EEEE10hipError_tT0_T1_T2_jT3_P12ihipStream_tbPNSt15iterator_traitsISH_E10value_typeEPNSN_ISI_E10value_typeEPSJ_NS1_7vsmem_tEENKUlT_SH_SI_SJ_E_clIS9_S9_SD_PlEESG_SW_SH_SI_SJ_EUlSW_E1_NS1_11comp_targetILNS1_3genE2ELNS1_11target_archE906ELNS1_3gpuE6ELNS1_3repE0EEENS1_36merge_oddeven_config_static_selectorELNS0_4arch9wavefront6targetE1EEEvSI_
		.amdhsa_group_segment_fixed_size 0
		.amdhsa_private_segment_fixed_size 0
		.amdhsa_kernarg_size 56
		.amdhsa_user_sgpr_count 6
		.amdhsa_user_sgpr_private_segment_buffer 1
		.amdhsa_user_sgpr_dispatch_ptr 0
		.amdhsa_user_sgpr_queue_ptr 0
		.amdhsa_user_sgpr_kernarg_segment_ptr 1
		.amdhsa_user_sgpr_dispatch_id 0
		.amdhsa_user_sgpr_flat_scratch_init 0
		.amdhsa_user_sgpr_private_segment_size 0
		.amdhsa_uses_dynamic_stack 0
		.amdhsa_system_sgpr_private_segment_wavefront_offset 0
		.amdhsa_system_sgpr_workgroup_id_x 1
		.amdhsa_system_sgpr_workgroup_id_y 0
		.amdhsa_system_sgpr_workgroup_id_z 0
		.amdhsa_system_sgpr_workgroup_info 0
		.amdhsa_system_vgpr_workitem_id 0
		.amdhsa_next_free_vgpr 11
		.amdhsa_next_free_sgpr 24
		.amdhsa_reserve_vcc 1
		.amdhsa_reserve_flat_scratch 0
		.amdhsa_float_round_mode_32 0
		.amdhsa_float_round_mode_16_64 0
		.amdhsa_float_denorm_mode_32 3
		.amdhsa_float_denorm_mode_16_64 3
		.amdhsa_dx10_clamp 1
		.amdhsa_ieee_mode 1
		.amdhsa_fp16_overflow 0
		.amdhsa_exception_fp_ieee_invalid_op 0
		.amdhsa_exception_fp_denorm_src 0
		.amdhsa_exception_fp_ieee_div_zero 0
		.amdhsa_exception_fp_ieee_overflow 0
		.amdhsa_exception_fp_ieee_underflow 0
		.amdhsa_exception_fp_ieee_inexact 0
		.amdhsa_exception_int_div_zero 0
	.end_amdhsa_kernel
	.section	.text._ZN7rocprim17ROCPRIM_400000_NS6detail17trampoline_kernelINS0_14default_configENS1_38merge_sort_block_merge_config_selectorIN3c108BFloat16ElEEZZNS1_27merge_sort_block_merge_implIS3_PS6_N6thrust23THRUST_200600_302600_NS10device_ptrIlEEmNSB_4lessIS6_EEEE10hipError_tT0_T1_T2_jT3_P12ihipStream_tbPNSt15iterator_traitsISH_E10value_typeEPNSN_ISI_E10value_typeEPSJ_NS1_7vsmem_tEENKUlT_SH_SI_SJ_E_clIS9_S9_SD_PlEESG_SW_SH_SI_SJ_EUlSW_E1_NS1_11comp_targetILNS1_3genE2ELNS1_11target_archE906ELNS1_3gpuE6ELNS1_3repE0EEENS1_36merge_oddeven_config_static_selectorELNS0_4arch9wavefront6targetE1EEEvSI_,"axG",@progbits,_ZN7rocprim17ROCPRIM_400000_NS6detail17trampoline_kernelINS0_14default_configENS1_38merge_sort_block_merge_config_selectorIN3c108BFloat16ElEEZZNS1_27merge_sort_block_merge_implIS3_PS6_N6thrust23THRUST_200600_302600_NS10device_ptrIlEEmNSB_4lessIS6_EEEE10hipError_tT0_T1_T2_jT3_P12ihipStream_tbPNSt15iterator_traitsISH_E10value_typeEPNSN_ISI_E10value_typeEPSJ_NS1_7vsmem_tEENKUlT_SH_SI_SJ_E_clIS9_S9_SD_PlEESG_SW_SH_SI_SJ_EUlSW_E1_NS1_11comp_targetILNS1_3genE2ELNS1_11target_archE906ELNS1_3gpuE6ELNS1_3repE0EEENS1_36merge_oddeven_config_static_selectorELNS0_4arch9wavefront6targetE1EEEvSI_,comdat
.Lfunc_end2023:
	.size	_ZN7rocprim17ROCPRIM_400000_NS6detail17trampoline_kernelINS0_14default_configENS1_38merge_sort_block_merge_config_selectorIN3c108BFloat16ElEEZZNS1_27merge_sort_block_merge_implIS3_PS6_N6thrust23THRUST_200600_302600_NS10device_ptrIlEEmNSB_4lessIS6_EEEE10hipError_tT0_T1_T2_jT3_P12ihipStream_tbPNSt15iterator_traitsISH_E10value_typeEPNSN_ISI_E10value_typeEPSJ_NS1_7vsmem_tEENKUlT_SH_SI_SJ_E_clIS9_S9_SD_PlEESG_SW_SH_SI_SJ_EUlSW_E1_NS1_11comp_targetILNS1_3genE2ELNS1_11target_archE906ELNS1_3gpuE6ELNS1_3repE0EEENS1_36merge_oddeven_config_static_selectorELNS0_4arch9wavefront6targetE1EEEvSI_, .Lfunc_end2023-_ZN7rocprim17ROCPRIM_400000_NS6detail17trampoline_kernelINS0_14default_configENS1_38merge_sort_block_merge_config_selectorIN3c108BFloat16ElEEZZNS1_27merge_sort_block_merge_implIS3_PS6_N6thrust23THRUST_200600_302600_NS10device_ptrIlEEmNSB_4lessIS6_EEEE10hipError_tT0_T1_T2_jT3_P12ihipStream_tbPNSt15iterator_traitsISH_E10value_typeEPNSN_ISI_E10value_typeEPSJ_NS1_7vsmem_tEENKUlT_SH_SI_SJ_E_clIS9_S9_SD_PlEESG_SW_SH_SI_SJ_EUlSW_E1_NS1_11comp_targetILNS1_3genE2ELNS1_11target_archE906ELNS1_3gpuE6ELNS1_3repE0EEENS1_36merge_oddeven_config_static_selectorELNS0_4arch9wavefront6targetE1EEEvSI_
                                        ; -- End function
	.set _ZN7rocprim17ROCPRIM_400000_NS6detail17trampoline_kernelINS0_14default_configENS1_38merge_sort_block_merge_config_selectorIN3c108BFloat16ElEEZZNS1_27merge_sort_block_merge_implIS3_PS6_N6thrust23THRUST_200600_302600_NS10device_ptrIlEEmNSB_4lessIS6_EEEE10hipError_tT0_T1_T2_jT3_P12ihipStream_tbPNSt15iterator_traitsISH_E10value_typeEPNSN_ISI_E10value_typeEPSJ_NS1_7vsmem_tEENKUlT_SH_SI_SJ_E_clIS9_S9_SD_PlEESG_SW_SH_SI_SJ_EUlSW_E1_NS1_11comp_targetILNS1_3genE2ELNS1_11target_archE906ELNS1_3gpuE6ELNS1_3repE0EEENS1_36merge_oddeven_config_static_selectorELNS0_4arch9wavefront6targetE1EEEvSI_.num_vgpr, 11
	.set _ZN7rocprim17ROCPRIM_400000_NS6detail17trampoline_kernelINS0_14default_configENS1_38merge_sort_block_merge_config_selectorIN3c108BFloat16ElEEZZNS1_27merge_sort_block_merge_implIS3_PS6_N6thrust23THRUST_200600_302600_NS10device_ptrIlEEmNSB_4lessIS6_EEEE10hipError_tT0_T1_T2_jT3_P12ihipStream_tbPNSt15iterator_traitsISH_E10value_typeEPNSN_ISI_E10value_typeEPSJ_NS1_7vsmem_tEENKUlT_SH_SI_SJ_E_clIS9_S9_SD_PlEESG_SW_SH_SI_SJ_EUlSW_E1_NS1_11comp_targetILNS1_3genE2ELNS1_11target_archE906ELNS1_3gpuE6ELNS1_3repE0EEENS1_36merge_oddeven_config_static_selectorELNS0_4arch9wavefront6targetE1EEEvSI_.num_agpr, 0
	.set _ZN7rocprim17ROCPRIM_400000_NS6detail17trampoline_kernelINS0_14default_configENS1_38merge_sort_block_merge_config_selectorIN3c108BFloat16ElEEZZNS1_27merge_sort_block_merge_implIS3_PS6_N6thrust23THRUST_200600_302600_NS10device_ptrIlEEmNSB_4lessIS6_EEEE10hipError_tT0_T1_T2_jT3_P12ihipStream_tbPNSt15iterator_traitsISH_E10value_typeEPNSN_ISI_E10value_typeEPSJ_NS1_7vsmem_tEENKUlT_SH_SI_SJ_E_clIS9_S9_SD_PlEESG_SW_SH_SI_SJ_EUlSW_E1_NS1_11comp_targetILNS1_3genE2ELNS1_11target_archE906ELNS1_3gpuE6ELNS1_3repE0EEENS1_36merge_oddeven_config_static_selectorELNS0_4arch9wavefront6targetE1EEEvSI_.numbered_sgpr, 24
	.set _ZN7rocprim17ROCPRIM_400000_NS6detail17trampoline_kernelINS0_14default_configENS1_38merge_sort_block_merge_config_selectorIN3c108BFloat16ElEEZZNS1_27merge_sort_block_merge_implIS3_PS6_N6thrust23THRUST_200600_302600_NS10device_ptrIlEEmNSB_4lessIS6_EEEE10hipError_tT0_T1_T2_jT3_P12ihipStream_tbPNSt15iterator_traitsISH_E10value_typeEPNSN_ISI_E10value_typeEPSJ_NS1_7vsmem_tEENKUlT_SH_SI_SJ_E_clIS9_S9_SD_PlEESG_SW_SH_SI_SJ_EUlSW_E1_NS1_11comp_targetILNS1_3genE2ELNS1_11target_archE906ELNS1_3gpuE6ELNS1_3repE0EEENS1_36merge_oddeven_config_static_selectorELNS0_4arch9wavefront6targetE1EEEvSI_.num_named_barrier, 0
	.set _ZN7rocprim17ROCPRIM_400000_NS6detail17trampoline_kernelINS0_14default_configENS1_38merge_sort_block_merge_config_selectorIN3c108BFloat16ElEEZZNS1_27merge_sort_block_merge_implIS3_PS6_N6thrust23THRUST_200600_302600_NS10device_ptrIlEEmNSB_4lessIS6_EEEE10hipError_tT0_T1_T2_jT3_P12ihipStream_tbPNSt15iterator_traitsISH_E10value_typeEPNSN_ISI_E10value_typeEPSJ_NS1_7vsmem_tEENKUlT_SH_SI_SJ_E_clIS9_S9_SD_PlEESG_SW_SH_SI_SJ_EUlSW_E1_NS1_11comp_targetILNS1_3genE2ELNS1_11target_archE906ELNS1_3gpuE6ELNS1_3repE0EEENS1_36merge_oddeven_config_static_selectorELNS0_4arch9wavefront6targetE1EEEvSI_.private_seg_size, 0
	.set _ZN7rocprim17ROCPRIM_400000_NS6detail17trampoline_kernelINS0_14default_configENS1_38merge_sort_block_merge_config_selectorIN3c108BFloat16ElEEZZNS1_27merge_sort_block_merge_implIS3_PS6_N6thrust23THRUST_200600_302600_NS10device_ptrIlEEmNSB_4lessIS6_EEEE10hipError_tT0_T1_T2_jT3_P12ihipStream_tbPNSt15iterator_traitsISH_E10value_typeEPNSN_ISI_E10value_typeEPSJ_NS1_7vsmem_tEENKUlT_SH_SI_SJ_E_clIS9_S9_SD_PlEESG_SW_SH_SI_SJ_EUlSW_E1_NS1_11comp_targetILNS1_3genE2ELNS1_11target_archE906ELNS1_3gpuE6ELNS1_3repE0EEENS1_36merge_oddeven_config_static_selectorELNS0_4arch9wavefront6targetE1EEEvSI_.uses_vcc, 1
	.set _ZN7rocprim17ROCPRIM_400000_NS6detail17trampoline_kernelINS0_14default_configENS1_38merge_sort_block_merge_config_selectorIN3c108BFloat16ElEEZZNS1_27merge_sort_block_merge_implIS3_PS6_N6thrust23THRUST_200600_302600_NS10device_ptrIlEEmNSB_4lessIS6_EEEE10hipError_tT0_T1_T2_jT3_P12ihipStream_tbPNSt15iterator_traitsISH_E10value_typeEPNSN_ISI_E10value_typeEPSJ_NS1_7vsmem_tEENKUlT_SH_SI_SJ_E_clIS9_S9_SD_PlEESG_SW_SH_SI_SJ_EUlSW_E1_NS1_11comp_targetILNS1_3genE2ELNS1_11target_archE906ELNS1_3gpuE6ELNS1_3repE0EEENS1_36merge_oddeven_config_static_selectorELNS0_4arch9wavefront6targetE1EEEvSI_.uses_flat_scratch, 0
	.set _ZN7rocprim17ROCPRIM_400000_NS6detail17trampoline_kernelINS0_14default_configENS1_38merge_sort_block_merge_config_selectorIN3c108BFloat16ElEEZZNS1_27merge_sort_block_merge_implIS3_PS6_N6thrust23THRUST_200600_302600_NS10device_ptrIlEEmNSB_4lessIS6_EEEE10hipError_tT0_T1_T2_jT3_P12ihipStream_tbPNSt15iterator_traitsISH_E10value_typeEPNSN_ISI_E10value_typeEPSJ_NS1_7vsmem_tEENKUlT_SH_SI_SJ_E_clIS9_S9_SD_PlEESG_SW_SH_SI_SJ_EUlSW_E1_NS1_11comp_targetILNS1_3genE2ELNS1_11target_archE906ELNS1_3gpuE6ELNS1_3repE0EEENS1_36merge_oddeven_config_static_selectorELNS0_4arch9wavefront6targetE1EEEvSI_.has_dyn_sized_stack, 0
	.set _ZN7rocprim17ROCPRIM_400000_NS6detail17trampoline_kernelINS0_14default_configENS1_38merge_sort_block_merge_config_selectorIN3c108BFloat16ElEEZZNS1_27merge_sort_block_merge_implIS3_PS6_N6thrust23THRUST_200600_302600_NS10device_ptrIlEEmNSB_4lessIS6_EEEE10hipError_tT0_T1_T2_jT3_P12ihipStream_tbPNSt15iterator_traitsISH_E10value_typeEPNSN_ISI_E10value_typeEPSJ_NS1_7vsmem_tEENKUlT_SH_SI_SJ_E_clIS9_S9_SD_PlEESG_SW_SH_SI_SJ_EUlSW_E1_NS1_11comp_targetILNS1_3genE2ELNS1_11target_archE906ELNS1_3gpuE6ELNS1_3repE0EEENS1_36merge_oddeven_config_static_selectorELNS0_4arch9wavefront6targetE1EEEvSI_.has_recursion, 0
	.set _ZN7rocprim17ROCPRIM_400000_NS6detail17trampoline_kernelINS0_14default_configENS1_38merge_sort_block_merge_config_selectorIN3c108BFloat16ElEEZZNS1_27merge_sort_block_merge_implIS3_PS6_N6thrust23THRUST_200600_302600_NS10device_ptrIlEEmNSB_4lessIS6_EEEE10hipError_tT0_T1_T2_jT3_P12ihipStream_tbPNSt15iterator_traitsISH_E10value_typeEPNSN_ISI_E10value_typeEPSJ_NS1_7vsmem_tEENKUlT_SH_SI_SJ_E_clIS9_S9_SD_PlEESG_SW_SH_SI_SJ_EUlSW_E1_NS1_11comp_targetILNS1_3genE2ELNS1_11target_archE906ELNS1_3gpuE6ELNS1_3repE0EEENS1_36merge_oddeven_config_static_selectorELNS0_4arch9wavefront6targetE1EEEvSI_.has_indirect_call, 0
	.section	.AMDGPU.csdata,"",@progbits
; Kernel info:
; codeLenInByte = 832
; TotalNumSgprs: 28
; NumVgprs: 11
; ScratchSize: 0
; MemoryBound: 0
; FloatMode: 240
; IeeeMode: 1
; LDSByteSize: 0 bytes/workgroup (compile time only)
; SGPRBlocks: 3
; VGPRBlocks: 2
; NumSGPRsForWavesPerEU: 28
; NumVGPRsForWavesPerEU: 11
; Occupancy: 10
; WaveLimiterHint : 0
; COMPUTE_PGM_RSRC2:SCRATCH_EN: 0
; COMPUTE_PGM_RSRC2:USER_SGPR: 6
; COMPUTE_PGM_RSRC2:TRAP_HANDLER: 0
; COMPUTE_PGM_RSRC2:TGID_X_EN: 1
; COMPUTE_PGM_RSRC2:TGID_Y_EN: 0
; COMPUTE_PGM_RSRC2:TGID_Z_EN: 0
; COMPUTE_PGM_RSRC2:TIDIG_COMP_CNT: 0
	.section	.text._ZN7rocprim17ROCPRIM_400000_NS6detail17trampoline_kernelINS0_14default_configENS1_38merge_sort_block_merge_config_selectorIN3c108BFloat16ElEEZZNS1_27merge_sort_block_merge_implIS3_PS6_N6thrust23THRUST_200600_302600_NS10device_ptrIlEEmNSB_4lessIS6_EEEE10hipError_tT0_T1_T2_jT3_P12ihipStream_tbPNSt15iterator_traitsISH_E10value_typeEPNSN_ISI_E10value_typeEPSJ_NS1_7vsmem_tEENKUlT_SH_SI_SJ_E_clIS9_S9_SD_PlEESG_SW_SH_SI_SJ_EUlSW_E1_NS1_11comp_targetILNS1_3genE9ELNS1_11target_archE1100ELNS1_3gpuE3ELNS1_3repE0EEENS1_36merge_oddeven_config_static_selectorELNS0_4arch9wavefront6targetE1EEEvSI_,"axG",@progbits,_ZN7rocprim17ROCPRIM_400000_NS6detail17trampoline_kernelINS0_14default_configENS1_38merge_sort_block_merge_config_selectorIN3c108BFloat16ElEEZZNS1_27merge_sort_block_merge_implIS3_PS6_N6thrust23THRUST_200600_302600_NS10device_ptrIlEEmNSB_4lessIS6_EEEE10hipError_tT0_T1_T2_jT3_P12ihipStream_tbPNSt15iterator_traitsISH_E10value_typeEPNSN_ISI_E10value_typeEPSJ_NS1_7vsmem_tEENKUlT_SH_SI_SJ_E_clIS9_S9_SD_PlEESG_SW_SH_SI_SJ_EUlSW_E1_NS1_11comp_targetILNS1_3genE9ELNS1_11target_archE1100ELNS1_3gpuE3ELNS1_3repE0EEENS1_36merge_oddeven_config_static_selectorELNS0_4arch9wavefront6targetE1EEEvSI_,comdat
	.protected	_ZN7rocprim17ROCPRIM_400000_NS6detail17trampoline_kernelINS0_14default_configENS1_38merge_sort_block_merge_config_selectorIN3c108BFloat16ElEEZZNS1_27merge_sort_block_merge_implIS3_PS6_N6thrust23THRUST_200600_302600_NS10device_ptrIlEEmNSB_4lessIS6_EEEE10hipError_tT0_T1_T2_jT3_P12ihipStream_tbPNSt15iterator_traitsISH_E10value_typeEPNSN_ISI_E10value_typeEPSJ_NS1_7vsmem_tEENKUlT_SH_SI_SJ_E_clIS9_S9_SD_PlEESG_SW_SH_SI_SJ_EUlSW_E1_NS1_11comp_targetILNS1_3genE9ELNS1_11target_archE1100ELNS1_3gpuE3ELNS1_3repE0EEENS1_36merge_oddeven_config_static_selectorELNS0_4arch9wavefront6targetE1EEEvSI_ ; -- Begin function _ZN7rocprim17ROCPRIM_400000_NS6detail17trampoline_kernelINS0_14default_configENS1_38merge_sort_block_merge_config_selectorIN3c108BFloat16ElEEZZNS1_27merge_sort_block_merge_implIS3_PS6_N6thrust23THRUST_200600_302600_NS10device_ptrIlEEmNSB_4lessIS6_EEEE10hipError_tT0_T1_T2_jT3_P12ihipStream_tbPNSt15iterator_traitsISH_E10value_typeEPNSN_ISI_E10value_typeEPSJ_NS1_7vsmem_tEENKUlT_SH_SI_SJ_E_clIS9_S9_SD_PlEESG_SW_SH_SI_SJ_EUlSW_E1_NS1_11comp_targetILNS1_3genE9ELNS1_11target_archE1100ELNS1_3gpuE3ELNS1_3repE0EEENS1_36merge_oddeven_config_static_selectorELNS0_4arch9wavefront6targetE1EEEvSI_
	.globl	_ZN7rocprim17ROCPRIM_400000_NS6detail17trampoline_kernelINS0_14default_configENS1_38merge_sort_block_merge_config_selectorIN3c108BFloat16ElEEZZNS1_27merge_sort_block_merge_implIS3_PS6_N6thrust23THRUST_200600_302600_NS10device_ptrIlEEmNSB_4lessIS6_EEEE10hipError_tT0_T1_T2_jT3_P12ihipStream_tbPNSt15iterator_traitsISH_E10value_typeEPNSN_ISI_E10value_typeEPSJ_NS1_7vsmem_tEENKUlT_SH_SI_SJ_E_clIS9_S9_SD_PlEESG_SW_SH_SI_SJ_EUlSW_E1_NS1_11comp_targetILNS1_3genE9ELNS1_11target_archE1100ELNS1_3gpuE3ELNS1_3repE0EEENS1_36merge_oddeven_config_static_selectorELNS0_4arch9wavefront6targetE1EEEvSI_
	.p2align	8
	.type	_ZN7rocprim17ROCPRIM_400000_NS6detail17trampoline_kernelINS0_14default_configENS1_38merge_sort_block_merge_config_selectorIN3c108BFloat16ElEEZZNS1_27merge_sort_block_merge_implIS3_PS6_N6thrust23THRUST_200600_302600_NS10device_ptrIlEEmNSB_4lessIS6_EEEE10hipError_tT0_T1_T2_jT3_P12ihipStream_tbPNSt15iterator_traitsISH_E10value_typeEPNSN_ISI_E10value_typeEPSJ_NS1_7vsmem_tEENKUlT_SH_SI_SJ_E_clIS9_S9_SD_PlEESG_SW_SH_SI_SJ_EUlSW_E1_NS1_11comp_targetILNS1_3genE9ELNS1_11target_archE1100ELNS1_3gpuE3ELNS1_3repE0EEENS1_36merge_oddeven_config_static_selectorELNS0_4arch9wavefront6targetE1EEEvSI_,@function
_ZN7rocprim17ROCPRIM_400000_NS6detail17trampoline_kernelINS0_14default_configENS1_38merge_sort_block_merge_config_selectorIN3c108BFloat16ElEEZZNS1_27merge_sort_block_merge_implIS3_PS6_N6thrust23THRUST_200600_302600_NS10device_ptrIlEEmNSB_4lessIS6_EEEE10hipError_tT0_T1_T2_jT3_P12ihipStream_tbPNSt15iterator_traitsISH_E10value_typeEPNSN_ISI_E10value_typeEPSJ_NS1_7vsmem_tEENKUlT_SH_SI_SJ_E_clIS9_S9_SD_PlEESG_SW_SH_SI_SJ_EUlSW_E1_NS1_11comp_targetILNS1_3genE9ELNS1_11target_archE1100ELNS1_3gpuE3ELNS1_3repE0EEENS1_36merge_oddeven_config_static_selectorELNS0_4arch9wavefront6targetE1EEEvSI_: ; @_ZN7rocprim17ROCPRIM_400000_NS6detail17trampoline_kernelINS0_14default_configENS1_38merge_sort_block_merge_config_selectorIN3c108BFloat16ElEEZZNS1_27merge_sort_block_merge_implIS3_PS6_N6thrust23THRUST_200600_302600_NS10device_ptrIlEEmNSB_4lessIS6_EEEE10hipError_tT0_T1_T2_jT3_P12ihipStream_tbPNSt15iterator_traitsISH_E10value_typeEPNSN_ISI_E10value_typeEPSJ_NS1_7vsmem_tEENKUlT_SH_SI_SJ_E_clIS9_S9_SD_PlEESG_SW_SH_SI_SJ_EUlSW_E1_NS1_11comp_targetILNS1_3genE9ELNS1_11target_archE1100ELNS1_3gpuE3ELNS1_3repE0EEENS1_36merge_oddeven_config_static_selectorELNS0_4arch9wavefront6targetE1EEEvSI_
; %bb.0:
	.section	.rodata,"a",@progbits
	.p2align	6, 0x0
	.amdhsa_kernel _ZN7rocprim17ROCPRIM_400000_NS6detail17trampoline_kernelINS0_14default_configENS1_38merge_sort_block_merge_config_selectorIN3c108BFloat16ElEEZZNS1_27merge_sort_block_merge_implIS3_PS6_N6thrust23THRUST_200600_302600_NS10device_ptrIlEEmNSB_4lessIS6_EEEE10hipError_tT0_T1_T2_jT3_P12ihipStream_tbPNSt15iterator_traitsISH_E10value_typeEPNSN_ISI_E10value_typeEPSJ_NS1_7vsmem_tEENKUlT_SH_SI_SJ_E_clIS9_S9_SD_PlEESG_SW_SH_SI_SJ_EUlSW_E1_NS1_11comp_targetILNS1_3genE9ELNS1_11target_archE1100ELNS1_3gpuE3ELNS1_3repE0EEENS1_36merge_oddeven_config_static_selectorELNS0_4arch9wavefront6targetE1EEEvSI_
		.amdhsa_group_segment_fixed_size 0
		.amdhsa_private_segment_fixed_size 0
		.amdhsa_kernarg_size 56
		.amdhsa_user_sgpr_count 6
		.amdhsa_user_sgpr_private_segment_buffer 1
		.amdhsa_user_sgpr_dispatch_ptr 0
		.amdhsa_user_sgpr_queue_ptr 0
		.amdhsa_user_sgpr_kernarg_segment_ptr 1
		.amdhsa_user_sgpr_dispatch_id 0
		.amdhsa_user_sgpr_flat_scratch_init 0
		.amdhsa_user_sgpr_private_segment_size 0
		.amdhsa_uses_dynamic_stack 0
		.amdhsa_system_sgpr_private_segment_wavefront_offset 0
		.amdhsa_system_sgpr_workgroup_id_x 1
		.amdhsa_system_sgpr_workgroup_id_y 0
		.amdhsa_system_sgpr_workgroup_id_z 0
		.amdhsa_system_sgpr_workgroup_info 0
		.amdhsa_system_vgpr_workitem_id 0
		.amdhsa_next_free_vgpr 1
		.amdhsa_next_free_sgpr 0
		.amdhsa_reserve_vcc 0
		.amdhsa_reserve_flat_scratch 0
		.amdhsa_float_round_mode_32 0
		.amdhsa_float_round_mode_16_64 0
		.amdhsa_float_denorm_mode_32 3
		.amdhsa_float_denorm_mode_16_64 3
		.amdhsa_dx10_clamp 1
		.amdhsa_ieee_mode 1
		.amdhsa_fp16_overflow 0
		.amdhsa_exception_fp_ieee_invalid_op 0
		.amdhsa_exception_fp_denorm_src 0
		.amdhsa_exception_fp_ieee_div_zero 0
		.amdhsa_exception_fp_ieee_overflow 0
		.amdhsa_exception_fp_ieee_underflow 0
		.amdhsa_exception_fp_ieee_inexact 0
		.amdhsa_exception_int_div_zero 0
	.end_amdhsa_kernel
	.section	.text._ZN7rocprim17ROCPRIM_400000_NS6detail17trampoline_kernelINS0_14default_configENS1_38merge_sort_block_merge_config_selectorIN3c108BFloat16ElEEZZNS1_27merge_sort_block_merge_implIS3_PS6_N6thrust23THRUST_200600_302600_NS10device_ptrIlEEmNSB_4lessIS6_EEEE10hipError_tT0_T1_T2_jT3_P12ihipStream_tbPNSt15iterator_traitsISH_E10value_typeEPNSN_ISI_E10value_typeEPSJ_NS1_7vsmem_tEENKUlT_SH_SI_SJ_E_clIS9_S9_SD_PlEESG_SW_SH_SI_SJ_EUlSW_E1_NS1_11comp_targetILNS1_3genE9ELNS1_11target_archE1100ELNS1_3gpuE3ELNS1_3repE0EEENS1_36merge_oddeven_config_static_selectorELNS0_4arch9wavefront6targetE1EEEvSI_,"axG",@progbits,_ZN7rocprim17ROCPRIM_400000_NS6detail17trampoline_kernelINS0_14default_configENS1_38merge_sort_block_merge_config_selectorIN3c108BFloat16ElEEZZNS1_27merge_sort_block_merge_implIS3_PS6_N6thrust23THRUST_200600_302600_NS10device_ptrIlEEmNSB_4lessIS6_EEEE10hipError_tT0_T1_T2_jT3_P12ihipStream_tbPNSt15iterator_traitsISH_E10value_typeEPNSN_ISI_E10value_typeEPSJ_NS1_7vsmem_tEENKUlT_SH_SI_SJ_E_clIS9_S9_SD_PlEESG_SW_SH_SI_SJ_EUlSW_E1_NS1_11comp_targetILNS1_3genE9ELNS1_11target_archE1100ELNS1_3gpuE3ELNS1_3repE0EEENS1_36merge_oddeven_config_static_selectorELNS0_4arch9wavefront6targetE1EEEvSI_,comdat
.Lfunc_end2024:
	.size	_ZN7rocprim17ROCPRIM_400000_NS6detail17trampoline_kernelINS0_14default_configENS1_38merge_sort_block_merge_config_selectorIN3c108BFloat16ElEEZZNS1_27merge_sort_block_merge_implIS3_PS6_N6thrust23THRUST_200600_302600_NS10device_ptrIlEEmNSB_4lessIS6_EEEE10hipError_tT0_T1_T2_jT3_P12ihipStream_tbPNSt15iterator_traitsISH_E10value_typeEPNSN_ISI_E10value_typeEPSJ_NS1_7vsmem_tEENKUlT_SH_SI_SJ_E_clIS9_S9_SD_PlEESG_SW_SH_SI_SJ_EUlSW_E1_NS1_11comp_targetILNS1_3genE9ELNS1_11target_archE1100ELNS1_3gpuE3ELNS1_3repE0EEENS1_36merge_oddeven_config_static_selectorELNS0_4arch9wavefront6targetE1EEEvSI_, .Lfunc_end2024-_ZN7rocprim17ROCPRIM_400000_NS6detail17trampoline_kernelINS0_14default_configENS1_38merge_sort_block_merge_config_selectorIN3c108BFloat16ElEEZZNS1_27merge_sort_block_merge_implIS3_PS6_N6thrust23THRUST_200600_302600_NS10device_ptrIlEEmNSB_4lessIS6_EEEE10hipError_tT0_T1_T2_jT3_P12ihipStream_tbPNSt15iterator_traitsISH_E10value_typeEPNSN_ISI_E10value_typeEPSJ_NS1_7vsmem_tEENKUlT_SH_SI_SJ_E_clIS9_S9_SD_PlEESG_SW_SH_SI_SJ_EUlSW_E1_NS1_11comp_targetILNS1_3genE9ELNS1_11target_archE1100ELNS1_3gpuE3ELNS1_3repE0EEENS1_36merge_oddeven_config_static_selectorELNS0_4arch9wavefront6targetE1EEEvSI_
                                        ; -- End function
	.set _ZN7rocprim17ROCPRIM_400000_NS6detail17trampoline_kernelINS0_14default_configENS1_38merge_sort_block_merge_config_selectorIN3c108BFloat16ElEEZZNS1_27merge_sort_block_merge_implIS3_PS6_N6thrust23THRUST_200600_302600_NS10device_ptrIlEEmNSB_4lessIS6_EEEE10hipError_tT0_T1_T2_jT3_P12ihipStream_tbPNSt15iterator_traitsISH_E10value_typeEPNSN_ISI_E10value_typeEPSJ_NS1_7vsmem_tEENKUlT_SH_SI_SJ_E_clIS9_S9_SD_PlEESG_SW_SH_SI_SJ_EUlSW_E1_NS1_11comp_targetILNS1_3genE9ELNS1_11target_archE1100ELNS1_3gpuE3ELNS1_3repE0EEENS1_36merge_oddeven_config_static_selectorELNS0_4arch9wavefront6targetE1EEEvSI_.num_vgpr, 0
	.set _ZN7rocprim17ROCPRIM_400000_NS6detail17trampoline_kernelINS0_14default_configENS1_38merge_sort_block_merge_config_selectorIN3c108BFloat16ElEEZZNS1_27merge_sort_block_merge_implIS3_PS6_N6thrust23THRUST_200600_302600_NS10device_ptrIlEEmNSB_4lessIS6_EEEE10hipError_tT0_T1_T2_jT3_P12ihipStream_tbPNSt15iterator_traitsISH_E10value_typeEPNSN_ISI_E10value_typeEPSJ_NS1_7vsmem_tEENKUlT_SH_SI_SJ_E_clIS9_S9_SD_PlEESG_SW_SH_SI_SJ_EUlSW_E1_NS1_11comp_targetILNS1_3genE9ELNS1_11target_archE1100ELNS1_3gpuE3ELNS1_3repE0EEENS1_36merge_oddeven_config_static_selectorELNS0_4arch9wavefront6targetE1EEEvSI_.num_agpr, 0
	.set _ZN7rocprim17ROCPRIM_400000_NS6detail17trampoline_kernelINS0_14default_configENS1_38merge_sort_block_merge_config_selectorIN3c108BFloat16ElEEZZNS1_27merge_sort_block_merge_implIS3_PS6_N6thrust23THRUST_200600_302600_NS10device_ptrIlEEmNSB_4lessIS6_EEEE10hipError_tT0_T1_T2_jT3_P12ihipStream_tbPNSt15iterator_traitsISH_E10value_typeEPNSN_ISI_E10value_typeEPSJ_NS1_7vsmem_tEENKUlT_SH_SI_SJ_E_clIS9_S9_SD_PlEESG_SW_SH_SI_SJ_EUlSW_E1_NS1_11comp_targetILNS1_3genE9ELNS1_11target_archE1100ELNS1_3gpuE3ELNS1_3repE0EEENS1_36merge_oddeven_config_static_selectorELNS0_4arch9wavefront6targetE1EEEvSI_.numbered_sgpr, 0
	.set _ZN7rocprim17ROCPRIM_400000_NS6detail17trampoline_kernelINS0_14default_configENS1_38merge_sort_block_merge_config_selectorIN3c108BFloat16ElEEZZNS1_27merge_sort_block_merge_implIS3_PS6_N6thrust23THRUST_200600_302600_NS10device_ptrIlEEmNSB_4lessIS6_EEEE10hipError_tT0_T1_T2_jT3_P12ihipStream_tbPNSt15iterator_traitsISH_E10value_typeEPNSN_ISI_E10value_typeEPSJ_NS1_7vsmem_tEENKUlT_SH_SI_SJ_E_clIS9_S9_SD_PlEESG_SW_SH_SI_SJ_EUlSW_E1_NS1_11comp_targetILNS1_3genE9ELNS1_11target_archE1100ELNS1_3gpuE3ELNS1_3repE0EEENS1_36merge_oddeven_config_static_selectorELNS0_4arch9wavefront6targetE1EEEvSI_.num_named_barrier, 0
	.set _ZN7rocprim17ROCPRIM_400000_NS6detail17trampoline_kernelINS0_14default_configENS1_38merge_sort_block_merge_config_selectorIN3c108BFloat16ElEEZZNS1_27merge_sort_block_merge_implIS3_PS6_N6thrust23THRUST_200600_302600_NS10device_ptrIlEEmNSB_4lessIS6_EEEE10hipError_tT0_T1_T2_jT3_P12ihipStream_tbPNSt15iterator_traitsISH_E10value_typeEPNSN_ISI_E10value_typeEPSJ_NS1_7vsmem_tEENKUlT_SH_SI_SJ_E_clIS9_S9_SD_PlEESG_SW_SH_SI_SJ_EUlSW_E1_NS1_11comp_targetILNS1_3genE9ELNS1_11target_archE1100ELNS1_3gpuE3ELNS1_3repE0EEENS1_36merge_oddeven_config_static_selectorELNS0_4arch9wavefront6targetE1EEEvSI_.private_seg_size, 0
	.set _ZN7rocprim17ROCPRIM_400000_NS6detail17trampoline_kernelINS0_14default_configENS1_38merge_sort_block_merge_config_selectorIN3c108BFloat16ElEEZZNS1_27merge_sort_block_merge_implIS3_PS6_N6thrust23THRUST_200600_302600_NS10device_ptrIlEEmNSB_4lessIS6_EEEE10hipError_tT0_T1_T2_jT3_P12ihipStream_tbPNSt15iterator_traitsISH_E10value_typeEPNSN_ISI_E10value_typeEPSJ_NS1_7vsmem_tEENKUlT_SH_SI_SJ_E_clIS9_S9_SD_PlEESG_SW_SH_SI_SJ_EUlSW_E1_NS1_11comp_targetILNS1_3genE9ELNS1_11target_archE1100ELNS1_3gpuE3ELNS1_3repE0EEENS1_36merge_oddeven_config_static_selectorELNS0_4arch9wavefront6targetE1EEEvSI_.uses_vcc, 0
	.set _ZN7rocprim17ROCPRIM_400000_NS6detail17trampoline_kernelINS0_14default_configENS1_38merge_sort_block_merge_config_selectorIN3c108BFloat16ElEEZZNS1_27merge_sort_block_merge_implIS3_PS6_N6thrust23THRUST_200600_302600_NS10device_ptrIlEEmNSB_4lessIS6_EEEE10hipError_tT0_T1_T2_jT3_P12ihipStream_tbPNSt15iterator_traitsISH_E10value_typeEPNSN_ISI_E10value_typeEPSJ_NS1_7vsmem_tEENKUlT_SH_SI_SJ_E_clIS9_S9_SD_PlEESG_SW_SH_SI_SJ_EUlSW_E1_NS1_11comp_targetILNS1_3genE9ELNS1_11target_archE1100ELNS1_3gpuE3ELNS1_3repE0EEENS1_36merge_oddeven_config_static_selectorELNS0_4arch9wavefront6targetE1EEEvSI_.uses_flat_scratch, 0
	.set _ZN7rocprim17ROCPRIM_400000_NS6detail17trampoline_kernelINS0_14default_configENS1_38merge_sort_block_merge_config_selectorIN3c108BFloat16ElEEZZNS1_27merge_sort_block_merge_implIS3_PS6_N6thrust23THRUST_200600_302600_NS10device_ptrIlEEmNSB_4lessIS6_EEEE10hipError_tT0_T1_T2_jT3_P12ihipStream_tbPNSt15iterator_traitsISH_E10value_typeEPNSN_ISI_E10value_typeEPSJ_NS1_7vsmem_tEENKUlT_SH_SI_SJ_E_clIS9_S9_SD_PlEESG_SW_SH_SI_SJ_EUlSW_E1_NS1_11comp_targetILNS1_3genE9ELNS1_11target_archE1100ELNS1_3gpuE3ELNS1_3repE0EEENS1_36merge_oddeven_config_static_selectorELNS0_4arch9wavefront6targetE1EEEvSI_.has_dyn_sized_stack, 0
	.set _ZN7rocprim17ROCPRIM_400000_NS6detail17trampoline_kernelINS0_14default_configENS1_38merge_sort_block_merge_config_selectorIN3c108BFloat16ElEEZZNS1_27merge_sort_block_merge_implIS3_PS6_N6thrust23THRUST_200600_302600_NS10device_ptrIlEEmNSB_4lessIS6_EEEE10hipError_tT0_T1_T2_jT3_P12ihipStream_tbPNSt15iterator_traitsISH_E10value_typeEPNSN_ISI_E10value_typeEPSJ_NS1_7vsmem_tEENKUlT_SH_SI_SJ_E_clIS9_S9_SD_PlEESG_SW_SH_SI_SJ_EUlSW_E1_NS1_11comp_targetILNS1_3genE9ELNS1_11target_archE1100ELNS1_3gpuE3ELNS1_3repE0EEENS1_36merge_oddeven_config_static_selectorELNS0_4arch9wavefront6targetE1EEEvSI_.has_recursion, 0
	.set _ZN7rocprim17ROCPRIM_400000_NS6detail17trampoline_kernelINS0_14default_configENS1_38merge_sort_block_merge_config_selectorIN3c108BFloat16ElEEZZNS1_27merge_sort_block_merge_implIS3_PS6_N6thrust23THRUST_200600_302600_NS10device_ptrIlEEmNSB_4lessIS6_EEEE10hipError_tT0_T1_T2_jT3_P12ihipStream_tbPNSt15iterator_traitsISH_E10value_typeEPNSN_ISI_E10value_typeEPSJ_NS1_7vsmem_tEENKUlT_SH_SI_SJ_E_clIS9_S9_SD_PlEESG_SW_SH_SI_SJ_EUlSW_E1_NS1_11comp_targetILNS1_3genE9ELNS1_11target_archE1100ELNS1_3gpuE3ELNS1_3repE0EEENS1_36merge_oddeven_config_static_selectorELNS0_4arch9wavefront6targetE1EEEvSI_.has_indirect_call, 0
	.section	.AMDGPU.csdata,"",@progbits
; Kernel info:
; codeLenInByte = 0
; TotalNumSgprs: 4
; NumVgprs: 0
; ScratchSize: 0
; MemoryBound: 0
; FloatMode: 240
; IeeeMode: 1
; LDSByteSize: 0 bytes/workgroup (compile time only)
; SGPRBlocks: 0
; VGPRBlocks: 0
; NumSGPRsForWavesPerEU: 4
; NumVGPRsForWavesPerEU: 1
; Occupancy: 10
; WaveLimiterHint : 0
; COMPUTE_PGM_RSRC2:SCRATCH_EN: 0
; COMPUTE_PGM_RSRC2:USER_SGPR: 6
; COMPUTE_PGM_RSRC2:TRAP_HANDLER: 0
; COMPUTE_PGM_RSRC2:TGID_X_EN: 1
; COMPUTE_PGM_RSRC2:TGID_Y_EN: 0
; COMPUTE_PGM_RSRC2:TGID_Z_EN: 0
; COMPUTE_PGM_RSRC2:TIDIG_COMP_CNT: 0
	.section	.text._ZN7rocprim17ROCPRIM_400000_NS6detail17trampoline_kernelINS0_14default_configENS1_38merge_sort_block_merge_config_selectorIN3c108BFloat16ElEEZZNS1_27merge_sort_block_merge_implIS3_PS6_N6thrust23THRUST_200600_302600_NS10device_ptrIlEEmNSB_4lessIS6_EEEE10hipError_tT0_T1_T2_jT3_P12ihipStream_tbPNSt15iterator_traitsISH_E10value_typeEPNSN_ISI_E10value_typeEPSJ_NS1_7vsmem_tEENKUlT_SH_SI_SJ_E_clIS9_S9_SD_PlEESG_SW_SH_SI_SJ_EUlSW_E1_NS1_11comp_targetILNS1_3genE8ELNS1_11target_archE1030ELNS1_3gpuE2ELNS1_3repE0EEENS1_36merge_oddeven_config_static_selectorELNS0_4arch9wavefront6targetE1EEEvSI_,"axG",@progbits,_ZN7rocprim17ROCPRIM_400000_NS6detail17trampoline_kernelINS0_14default_configENS1_38merge_sort_block_merge_config_selectorIN3c108BFloat16ElEEZZNS1_27merge_sort_block_merge_implIS3_PS6_N6thrust23THRUST_200600_302600_NS10device_ptrIlEEmNSB_4lessIS6_EEEE10hipError_tT0_T1_T2_jT3_P12ihipStream_tbPNSt15iterator_traitsISH_E10value_typeEPNSN_ISI_E10value_typeEPSJ_NS1_7vsmem_tEENKUlT_SH_SI_SJ_E_clIS9_S9_SD_PlEESG_SW_SH_SI_SJ_EUlSW_E1_NS1_11comp_targetILNS1_3genE8ELNS1_11target_archE1030ELNS1_3gpuE2ELNS1_3repE0EEENS1_36merge_oddeven_config_static_selectorELNS0_4arch9wavefront6targetE1EEEvSI_,comdat
	.protected	_ZN7rocprim17ROCPRIM_400000_NS6detail17trampoline_kernelINS0_14default_configENS1_38merge_sort_block_merge_config_selectorIN3c108BFloat16ElEEZZNS1_27merge_sort_block_merge_implIS3_PS6_N6thrust23THRUST_200600_302600_NS10device_ptrIlEEmNSB_4lessIS6_EEEE10hipError_tT0_T1_T2_jT3_P12ihipStream_tbPNSt15iterator_traitsISH_E10value_typeEPNSN_ISI_E10value_typeEPSJ_NS1_7vsmem_tEENKUlT_SH_SI_SJ_E_clIS9_S9_SD_PlEESG_SW_SH_SI_SJ_EUlSW_E1_NS1_11comp_targetILNS1_3genE8ELNS1_11target_archE1030ELNS1_3gpuE2ELNS1_3repE0EEENS1_36merge_oddeven_config_static_selectorELNS0_4arch9wavefront6targetE1EEEvSI_ ; -- Begin function _ZN7rocprim17ROCPRIM_400000_NS6detail17trampoline_kernelINS0_14default_configENS1_38merge_sort_block_merge_config_selectorIN3c108BFloat16ElEEZZNS1_27merge_sort_block_merge_implIS3_PS6_N6thrust23THRUST_200600_302600_NS10device_ptrIlEEmNSB_4lessIS6_EEEE10hipError_tT0_T1_T2_jT3_P12ihipStream_tbPNSt15iterator_traitsISH_E10value_typeEPNSN_ISI_E10value_typeEPSJ_NS1_7vsmem_tEENKUlT_SH_SI_SJ_E_clIS9_S9_SD_PlEESG_SW_SH_SI_SJ_EUlSW_E1_NS1_11comp_targetILNS1_3genE8ELNS1_11target_archE1030ELNS1_3gpuE2ELNS1_3repE0EEENS1_36merge_oddeven_config_static_selectorELNS0_4arch9wavefront6targetE1EEEvSI_
	.globl	_ZN7rocprim17ROCPRIM_400000_NS6detail17trampoline_kernelINS0_14default_configENS1_38merge_sort_block_merge_config_selectorIN3c108BFloat16ElEEZZNS1_27merge_sort_block_merge_implIS3_PS6_N6thrust23THRUST_200600_302600_NS10device_ptrIlEEmNSB_4lessIS6_EEEE10hipError_tT0_T1_T2_jT3_P12ihipStream_tbPNSt15iterator_traitsISH_E10value_typeEPNSN_ISI_E10value_typeEPSJ_NS1_7vsmem_tEENKUlT_SH_SI_SJ_E_clIS9_S9_SD_PlEESG_SW_SH_SI_SJ_EUlSW_E1_NS1_11comp_targetILNS1_3genE8ELNS1_11target_archE1030ELNS1_3gpuE2ELNS1_3repE0EEENS1_36merge_oddeven_config_static_selectorELNS0_4arch9wavefront6targetE1EEEvSI_
	.p2align	8
	.type	_ZN7rocprim17ROCPRIM_400000_NS6detail17trampoline_kernelINS0_14default_configENS1_38merge_sort_block_merge_config_selectorIN3c108BFloat16ElEEZZNS1_27merge_sort_block_merge_implIS3_PS6_N6thrust23THRUST_200600_302600_NS10device_ptrIlEEmNSB_4lessIS6_EEEE10hipError_tT0_T1_T2_jT3_P12ihipStream_tbPNSt15iterator_traitsISH_E10value_typeEPNSN_ISI_E10value_typeEPSJ_NS1_7vsmem_tEENKUlT_SH_SI_SJ_E_clIS9_S9_SD_PlEESG_SW_SH_SI_SJ_EUlSW_E1_NS1_11comp_targetILNS1_3genE8ELNS1_11target_archE1030ELNS1_3gpuE2ELNS1_3repE0EEENS1_36merge_oddeven_config_static_selectorELNS0_4arch9wavefront6targetE1EEEvSI_,@function
_ZN7rocprim17ROCPRIM_400000_NS6detail17trampoline_kernelINS0_14default_configENS1_38merge_sort_block_merge_config_selectorIN3c108BFloat16ElEEZZNS1_27merge_sort_block_merge_implIS3_PS6_N6thrust23THRUST_200600_302600_NS10device_ptrIlEEmNSB_4lessIS6_EEEE10hipError_tT0_T1_T2_jT3_P12ihipStream_tbPNSt15iterator_traitsISH_E10value_typeEPNSN_ISI_E10value_typeEPSJ_NS1_7vsmem_tEENKUlT_SH_SI_SJ_E_clIS9_S9_SD_PlEESG_SW_SH_SI_SJ_EUlSW_E1_NS1_11comp_targetILNS1_3genE8ELNS1_11target_archE1030ELNS1_3gpuE2ELNS1_3repE0EEENS1_36merge_oddeven_config_static_selectorELNS0_4arch9wavefront6targetE1EEEvSI_: ; @_ZN7rocprim17ROCPRIM_400000_NS6detail17trampoline_kernelINS0_14default_configENS1_38merge_sort_block_merge_config_selectorIN3c108BFloat16ElEEZZNS1_27merge_sort_block_merge_implIS3_PS6_N6thrust23THRUST_200600_302600_NS10device_ptrIlEEmNSB_4lessIS6_EEEE10hipError_tT0_T1_T2_jT3_P12ihipStream_tbPNSt15iterator_traitsISH_E10value_typeEPNSN_ISI_E10value_typeEPSJ_NS1_7vsmem_tEENKUlT_SH_SI_SJ_E_clIS9_S9_SD_PlEESG_SW_SH_SI_SJ_EUlSW_E1_NS1_11comp_targetILNS1_3genE8ELNS1_11target_archE1030ELNS1_3gpuE2ELNS1_3repE0EEENS1_36merge_oddeven_config_static_selectorELNS0_4arch9wavefront6targetE1EEEvSI_
; %bb.0:
	.section	.rodata,"a",@progbits
	.p2align	6, 0x0
	.amdhsa_kernel _ZN7rocprim17ROCPRIM_400000_NS6detail17trampoline_kernelINS0_14default_configENS1_38merge_sort_block_merge_config_selectorIN3c108BFloat16ElEEZZNS1_27merge_sort_block_merge_implIS3_PS6_N6thrust23THRUST_200600_302600_NS10device_ptrIlEEmNSB_4lessIS6_EEEE10hipError_tT0_T1_T2_jT3_P12ihipStream_tbPNSt15iterator_traitsISH_E10value_typeEPNSN_ISI_E10value_typeEPSJ_NS1_7vsmem_tEENKUlT_SH_SI_SJ_E_clIS9_S9_SD_PlEESG_SW_SH_SI_SJ_EUlSW_E1_NS1_11comp_targetILNS1_3genE8ELNS1_11target_archE1030ELNS1_3gpuE2ELNS1_3repE0EEENS1_36merge_oddeven_config_static_selectorELNS0_4arch9wavefront6targetE1EEEvSI_
		.amdhsa_group_segment_fixed_size 0
		.amdhsa_private_segment_fixed_size 0
		.amdhsa_kernarg_size 56
		.amdhsa_user_sgpr_count 6
		.amdhsa_user_sgpr_private_segment_buffer 1
		.amdhsa_user_sgpr_dispatch_ptr 0
		.amdhsa_user_sgpr_queue_ptr 0
		.amdhsa_user_sgpr_kernarg_segment_ptr 1
		.amdhsa_user_sgpr_dispatch_id 0
		.amdhsa_user_sgpr_flat_scratch_init 0
		.amdhsa_user_sgpr_private_segment_size 0
		.amdhsa_uses_dynamic_stack 0
		.amdhsa_system_sgpr_private_segment_wavefront_offset 0
		.amdhsa_system_sgpr_workgroup_id_x 1
		.amdhsa_system_sgpr_workgroup_id_y 0
		.amdhsa_system_sgpr_workgroup_id_z 0
		.amdhsa_system_sgpr_workgroup_info 0
		.amdhsa_system_vgpr_workitem_id 0
		.amdhsa_next_free_vgpr 1
		.amdhsa_next_free_sgpr 0
		.amdhsa_reserve_vcc 0
		.amdhsa_reserve_flat_scratch 0
		.amdhsa_float_round_mode_32 0
		.amdhsa_float_round_mode_16_64 0
		.amdhsa_float_denorm_mode_32 3
		.amdhsa_float_denorm_mode_16_64 3
		.amdhsa_dx10_clamp 1
		.amdhsa_ieee_mode 1
		.amdhsa_fp16_overflow 0
		.amdhsa_exception_fp_ieee_invalid_op 0
		.amdhsa_exception_fp_denorm_src 0
		.amdhsa_exception_fp_ieee_div_zero 0
		.amdhsa_exception_fp_ieee_overflow 0
		.amdhsa_exception_fp_ieee_underflow 0
		.amdhsa_exception_fp_ieee_inexact 0
		.amdhsa_exception_int_div_zero 0
	.end_amdhsa_kernel
	.section	.text._ZN7rocprim17ROCPRIM_400000_NS6detail17trampoline_kernelINS0_14default_configENS1_38merge_sort_block_merge_config_selectorIN3c108BFloat16ElEEZZNS1_27merge_sort_block_merge_implIS3_PS6_N6thrust23THRUST_200600_302600_NS10device_ptrIlEEmNSB_4lessIS6_EEEE10hipError_tT0_T1_T2_jT3_P12ihipStream_tbPNSt15iterator_traitsISH_E10value_typeEPNSN_ISI_E10value_typeEPSJ_NS1_7vsmem_tEENKUlT_SH_SI_SJ_E_clIS9_S9_SD_PlEESG_SW_SH_SI_SJ_EUlSW_E1_NS1_11comp_targetILNS1_3genE8ELNS1_11target_archE1030ELNS1_3gpuE2ELNS1_3repE0EEENS1_36merge_oddeven_config_static_selectorELNS0_4arch9wavefront6targetE1EEEvSI_,"axG",@progbits,_ZN7rocprim17ROCPRIM_400000_NS6detail17trampoline_kernelINS0_14default_configENS1_38merge_sort_block_merge_config_selectorIN3c108BFloat16ElEEZZNS1_27merge_sort_block_merge_implIS3_PS6_N6thrust23THRUST_200600_302600_NS10device_ptrIlEEmNSB_4lessIS6_EEEE10hipError_tT0_T1_T2_jT3_P12ihipStream_tbPNSt15iterator_traitsISH_E10value_typeEPNSN_ISI_E10value_typeEPSJ_NS1_7vsmem_tEENKUlT_SH_SI_SJ_E_clIS9_S9_SD_PlEESG_SW_SH_SI_SJ_EUlSW_E1_NS1_11comp_targetILNS1_3genE8ELNS1_11target_archE1030ELNS1_3gpuE2ELNS1_3repE0EEENS1_36merge_oddeven_config_static_selectorELNS0_4arch9wavefront6targetE1EEEvSI_,comdat
.Lfunc_end2025:
	.size	_ZN7rocprim17ROCPRIM_400000_NS6detail17trampoline_kernelINS0_14default_configENS1_38merge_sort_block_merge_config_selectorIN3c108BFloat16ElEEZZNS1_27merge_sort_block_merge_implIS3_PS6_N6thrust23THRUST_200600_302600_NS10device_ptrIlEEmNSB_4lessIS6_EEEE10hipError_tT0_T1_T2_jT3_P12ihipStream_tbPNSt15iterator_traitsISH_E10value_typeEPNSN_ISI_E10value_typeEPSJ_NS1_7vsmem_tEENKUlT_SH_SI_SJ_E_clIS9_S9_SD_PlEESG_SW_SH_SI_SJ_EUlSW_E1_NS1_11comp_targetILNS1_3genE8ELNS1_11target_archE1030ELNS1_3gpuE2ELNS1_3repE0EEENS1_36merge_oddeven_config_static_selectorELNS0_4arch9wavefront6targetE1EEEvSI_, .Lfunc_end2025-_ZN7rocprim17ROCPRIM_400000_NS6detail17trampoline_kernelINS0_14default_configENS1_38merge_sort_block_merge_config_selectorIN3c108BFloat16ElEEZZNS1_27merge_sort_block_merge_implIS3_PS6_N6thrust23THRUST_200600_302600_NS10device_ptrIlEEmNSB_4lessIS6_EEEE10hipError_tT0_T1_T2_jT3_P12ihipStream_tbPNSt15iterator_traitsISH_E10value_typeEPNSN_ISI_E10value_typeEPSJ_NS1_7vsmem_tEENKUlT_SH_SI_SJ_E_clIS9_S9_SD_PlEESG_SW_SH_SI_SJ_EUlSW_E1_NS1_11comp_targetILNS1_3genE8ELNS1_11target_archE1030ELNS1_3gpuE2ELNS1_3repE0EEENS1_36merge_oddeven_config_static_selectorELNS0_4arch9wavefront6targetE1EEEvSI_
                                        ; -- End function
	.set _ZN7rocprim17ROCPRIM_400000_NS6detail17trampoline_kernelINS0_14default_configENS1_38merge_sort_block_merge_config_selectorIN3c108BFloat16ElEEZZNS1_27merge_sort_block_merge_implIS3_PS6_N6thrust23THRUST_200600_302600_NS10device_ptrIlEEmNSB_4lessIS6_EEEE10hipError_tT0_T1_T2_jT3_P12ihipStream_tbPNSt15iterator_traitsISH_E10value_typeEPNSN_ISI_E10value_typeEPSJ_NS1_7vsmem_tEENKUlT_SH_SI_SJ_E_clIS9_S9_SD_PlEESG_SW_SH_SI_SJ_EUlSW_E1_NS1_11comp_targetILNS1_3genE8ELNS1_11target_archE1030ELNS1_3gpuE2ELNS1_3repE0EEENS1_36merge_oddeven_config_static_selectorELNS0_4arch9wavefront6targetE1EEEvSI_.num_vgpr, 0
	.set _ZN7rocprim17ROCPRIM_400000_NS6detail17trampoline_kernelINS0_14default_configENS1_38merge_sort_block_merge_config_selectorIN3c108BFloat16ElEEZZNS1_27merge_sort_block_merge_implIS3_PS6_N6thrust23THRUST_200600_302600_NS10device_ptrIlEEmNSB_4lessIS6_EEEE10hipError_tT0_T1_T2_jT3_P12ihipStream_tbPNSt15iterator_traitsISH_E10value_typeEPNSN_ISI_E10value_typeEPSJ_NS1_7vsmem_tEENKUlT_SH_SI_SJ_E_clIS9_S9_SD_PlEESG_SW_SH_SI_SJ_EUlSW_E1_NS1_11comp_targetILNS1_3genE8ELNS1_11target_archE1030ELNS1_3gpuE2ELNS1_3repE0EEENS1_36merge_oddeven_config_static_selectorELNS0_4arch9wavefront6targetE1EEEvSI_.num_agpr, 0
	.set _ZN7rocprim17ROCPRIM_400000_NS6detail17trampoline_kernelINS0_14default_configENS1_38merge_sort_block_merge_config_selectorIN3c108BFloat16ElEEZZNS1_27merge_sort_block_merge_implIS3_PS6_N6thrust23THRUST_200600_302600_NS10device_ptrIlEEmNSB_4lessIS6_EEEE10hipError_tT0_T1_T2_jT3_P12ihipStream_tbPNSt15iterator_traitsISH_E10value_typeEPNSN_ISI_E10value_typeEPSJ_NS1_7vsmem_tEENKUlT_SH_SI_SJ_E_clIS9_S9_SD_PlEESG_SW_SH_SI_SJ_EUlSW_E1_NS1_11comp_targetILNS1_3genE8ELNS1_11target_archE1030ELNS1_3gpuE2ELNS1_3repE0EEENS1_36merge_oddeven_config_static_selectorELNS0_4arch9wavefront6targetE1EEEvSI_.numbered_sgpr, 0
	.set _ZN7rocprim17ROCPRIM_400000_NS6detail17trampoline_kernelINS0_14default_configENS1_38merge_sort_block_merge_config_selectorIN3c108BFloat16ElEEZZNS1_27merge_sort_block_merge_implIS3_PS6_N6thrust23THRUST_200600_302600_NS10device_ptrIlEEmNSB_4lessIS6_EEEE10hipError_tT0_T1_T2_jT3_P12ihipStream_tbPNSt15iterator_traitsISH_E10value_typeEPNSN_ISI_E10value_typeEPSJ_NS1_7vsmem_tEENKUlT_SH_SI_SJ_E_clIS9_S9_SD_PlEESG_SW_SH_SI_SJ_EUlSW_E1_NS1_11comp_targetILNS1_3genE8ELNS1_11target_archE1030ELNS1_3gpuE2ELNS1_3repE0EEENS1_36merge_oddeven_config_static_selectorELNS0_4arch9wavefront6targetE1EEEvSI_.num_named_barrier, 0
	.set _ZN7rocprim17ROCPRIM_400000_NS6detail17trampoline_kernelINS0_14default_configENS1_38merge_sort_block_merge_config_selectorIN3c108BFloat16ElEEZZNS1_27merge_sort_block_merge_implIS3_PS6_N6thrust23THRUST_200600_302600_NS10device_ptrIlEEmNSB_4lessIS6_EEEE10hipError_tT0_T1_T2_jT3_P12ihipStream_tbPNSt15iterator_traitsISH_E10value_typeEPNSN_ISI_E10value_typeEPSJ_NS1_7vsmem_tEENKUlT_SH_SI_SJ_E_clIS9_S9_SD_PlEESG_SW_SH_SI_SJ_EUlSW_E1_NS1_11comp_targetILNS1_3genE8ELNS1_11target_archE1030ELNS1_3gpuE2ELNS1_3repE0EEENS1_36merge_oddeven_config_static_selectorELNS0_4arch9wavefront6targetE1EEEvSI_.private_seg_size, 0
	.set _ZN7rocprim17ROCPRIM_400000_NS6detail17trampoline_kernelINS0_14default_configENS1_38merge_sort_block_merge_config_selectorIN3c108BFloat16ElEEZZNS1_27merge_sort_block_merge_implIS3_PS6_N6thrust23THRUST_200600_302600_NS10device_ptrIlEEmNSB_4lessIS6_EEEE10hipError_tT0_T1_T2_jT3_P12ihipStream_tbPNSt15iterator_traitsISH_E10value_typeEPNSN_ISI_E10value_typeEPSJ_NS1_7vsmem_tEENKUlT_SH_SI_SJ_E_clIS9_S9_SD_PlEESG_SW_SH_SI_SJ_EUlSW_E1_NS1_11comp_targetILNS1_3genE8ELNS1_11target_archE1030ELNS1_3gpuE2ELNS1_3repE0EEENS1_36merge_oddeven_config_static_selectorELNS0_4arch9wavefront6targetE1EEEvSI_.uses_vcc, 0
	.set _ZN7rocprim17ROCPRIM_400000_NS6detail17trampoline_kernelINS0_14default_configENS1_38merge_sort_block_merge_config_selectorIN3c108BFloat16ElEEZZNS1_27merge_sort_block_merge_implIS3_PS6_N6thrust23THRUST_200600_302600_NS10device_ptrIlEEmNSB_4lessIS6_EEEE10hipError_tT0_T1_T2_jT3_P12ihipStream_tbPNSt15iterator_traitsISH_E10value_typeEPNSN_ISI_E10value_typeEPSJ_NS1_7vsmem_tEENKUlT_SH_SI_SJ_E_clIS9_S9_SD_PlEESG_SW_SH_SI_SJ_EUlSW_E1_NS1_11comp_targetILNS1_3genE8ELNS1_11target_archE1030ELNS1_3gpuE2ELNS1_3repE0EEENS1_36merge_oddeven_config_static_selectorELNS0_4arch9wavefront6targetE1EEEvSI_.uses_flat_scratch, 0
	.set _ZN7rocprim17ROCPRIM_400000_NS6detail17trampoline_kernelINS0_14default_configENS1_38merge_sort_block_merge_config_selectorIN3c108BFloat16ElEEZZNS1_27merge_sort_block_merge_implIS3_PS6_N6thrust23THRUST_200600_302600_NS10device_ptrIlEEmNSB_4lessIS6_EEEE10hipError_tT0_T1_T2_jT3_P12ihipStream_tbPNSt15iterator_traitsISH_E10value_typeEPNSN_ISI_E10value_typeEPSJ_NS1_7vsmem_tEENKUlT_SH_SI_SJ_E_clIS9_S9_SD_PlEESG_SW_SH_SI_SJ_EUlSW_E1_NS1_11comp_targetILNS1_3genE8ELNS1_11target_archE1030ELNS1_3gpuE2ELNS1_3repE0EEENS1_36merge_oddeven_config_static_selectorELNS0_4arch9wavefront6targetE1EEEvSI_.has_dyn_sized_stack, 0
	.set _ZN7rocprim17ROCPRIM_400000_NS6detail17trampoline_kernelINS0_14default_configENS1_38merge_sort_block_merge_config_selectorIN3c108BFloat16ElEEZZNS1_27merge_sort_block_merge_implIS3_PS6_N6thrust23THRUST_200600_302600_NS10device_ptrIlEEmNSB_4lessIS6_EEEE10hipError_tT0_T1_T2_jT3_P12ihipStream_tbPNSt15iterator_traitsISH_E10value_typeEPNSN_ISI_E10value_typeEPSJ_NS1_7vsmem_tEENKUlT_SH_SI_SJ_E_clIS9_S9_SD_PlEESG_SW_SH_SI_SJ_EUlSW_E1_NS1_11comp_targetILNS1_3genE8ELNS1_11target_archE1030ELNS1_3gpuE2ELNS1_3repE0EEENS1_36merge_oddeven_config_static_selectorELNS0_4arch9wavefront6targetE1EEEvSI_.has_recursion, 0
	.set _ZN7rocprim17ROCPRIM_400000_NS6detail17trampoline_kernelINS0_14default_configENS1_38merge_sort_block_merge_config_selectorIN3c108BFloat16ElEEZZNS1_27merge_sort_block_merge_implIS3_PS6_N6thrust23THRUST_200600_302600_NS10device_ptrIlEEmNSB_4lessIS6_EEEE10hipError_tT0_T1_T2_jT3_P12ihipStream_tbPNSt15iterator_traitsISH_E10value_typeEPNSN_ISI_E10value_typeEPSJ_NS1_7vsmem_tEENKUlT_SH_SI_SJ_E_clIS9_S9_SD_PlEESG_SW_SH_SI_SJ_EUlSW_E1_NS1_11comp_targetILNS1_3genE8ELNS1_11target_archE1030ELNS1_3gpuE2ELNS1_3repE0EEENS1_36merge_oddeven_config_static_selectorELNS0_4arch9wavefront6targetE1EEEvSI_.has_indirect_call, 0
	.section	.AMDGPU.csdata,"",@progbits
; Kernel info:
; codeLenInByte = 0
; TotalNumSgprs: 4
; NumVgprs: 0
; ScratchSize: 0
; MemoryBound: 0
; FloatMode: 240
; IeeeMode: 1
; LDSByteSize: 0 bytes/workgroup (compile time only)
; SGPRBlocks: 0
; VGPRBlocks: 0
; NumSGPRsForWavesPerEU: 4
; NumVGPRsForWavesPerEU: 1
; Occupancy: 10
; WaveLimiterHint : 0
; COMPUTE_PGM_RSRC2:SCRATCH_EN: 0
; COMPUTE_PGM_RSRC2:USER_SGPR: 6
; COMPUTE_PGM_RSRC2:TRAP_HANDLER: 0
; COMPUTE_PGM_RSRC2:TGID_X_EN: 1
; COMPUTE_PGM_RSRC2:TGID_Y_EN: 0
; COMPUTE_PGM_RSRC2:TGID_Z_EN: 0
; COMPUTE_PGM_RSRC2:TIDIG_COMP_CNT: 0
	.section	.text._ZN7rocprim17ROCPRIM_400000_NS6detail17trampoline_kernelINS0_14default_configENS1_25transform_config_selectorIN3c108BFloat16ELb1EEEZNS1_14transform_implILb1ES3_S7_PS6_S9_NS0_8identityIS6_EEEE10hipError_tT2_T3_mT4_P12ihipStream_tbEUlT_E_NS1_11comp_targetILNS1_3genE0ELNS1_11target_archE4294967295ELNS1_3gpuE0ELNS1_3repE0EEENS1_30default_config_static_selectorELNS0_4arch9wavefront6targetE1EEEvT1_,"axG",@progbits,_ZN7rocprim17ROCPRIM_400000_NS6detail17trampoline_kernelINS0_14default_configENS1_25transform_config_selectorIN3c108BFloat16ELb1EEEZNS1_14transform_implILb1ES3_S7_PS6_S9_NS0_8identityIS6_EEEE10hipError_tT2_T3_mT4_P12ihipStream_tbEUlT_E_NS1_11comp_targetILNS1_3genE0ELNS1_11target_archE4294967295ELNS1_3gpuE0ELNS1_3repE0EEENS1_30default_config_static_selectorELNS0_4arch9wavefront6targetE1EEEvT1_,comdat
	.protected	_ZN7rocprim17ROCPRIM_400000_NS6detail17trampoline_kernelINS0_14default_configENS1_25transform_config_selectorIN3c108BFloat16ELb1EEEZNS1_14transform_implILb1ES3_S7_PS6_S9_NS0_8identityIS6_EEEE10hipError_tT2_T3_mT4_P12ihipStream_tbEUlT_E_NS1_11comp_targetILNS1_3genE0ELNS1_11target_archE4294967295ELNS1_3gpuE0ELNS1_3repE0EEENS1_30default_config_static_selectorELNS0_4arch9wavefront6targetE1EEEvT1_ ; -- Begin function _ZN7rocprim17ROCPRIM_400000_NS6detail17trampoline_kernelINS0_14default_configENS1_25transform_config_selectorIN3c108BFloat16ELb1EEEZNS1_14transform_implILb1ES3_S7_PS6_S9_NS0_8identityIS6_EEEE10hipError_tT2_T3_mT4_P12ihipStream_tbEUlT_E_NS1_11comp_targetILNS1_3genE0ELNS1_11target_archE4294967295ELNS1_3gpuE0ELNS1_3repE0EEENS1_30default_config_static_selectorELNS0_4arch9wavefront6targetE1EEEvT1_
	.globl	_ZN7rocprim17ROCPRIM_400000_NS6detail17trampoline_kernelINS0_14default_configENS1_25transform_config_selectorIN3c108BFloat16ELb1EEEZNS1_14transform_implILb1ES3_S7_PS6_S9_NS0_8identityIS6_EEEE10hipError_tT2_T3_mT4_P12ihipStream_tbEUlT_E_NS1_11comp_targetILNS1_3genE0ELNS1_11target_archE4294967295ELNS1_3gpuE0ELNS1_3repE0EEENS1_30default_config_static_selectorELNS0_4arch9wavefront6targetE1EEEvT1_
	.p2align	8
	.type	_ZN7rocprim17ROCPRIM_400000_NS6detail17trampoline_kernelINS0_14default_configENS1_25transform_config_selectorIN3c108BFloat16ELb1EEEZNS1_14transform_implILb1ES3_S7_PS6_S9_NS0_8identityIS6_EEEE10hipError_tT2_T3_mT4_P12ihipStream_tbEUlT_E_NS1_11comp_targetILNS1_3genE0ELNS1_11target_archE4294967295ELNS1_3gpuE0ELNS1_3repE0EEENS1_30default_config_static_selectorELNS0_4arch9wavefront6targetE1EEEvT1_,@function
_ZN7rocprim17ROCPRIM_400000_NS6detail17trampoline_kernelINS0_14default_configENS1_25transform_config_selectorIN3c108BFloat16ELb1EEEZNS1_14transform_implILb1ES3_S7_PS6_S9_NS0_8identityIS6_EEEE10hipError_tT2_T3_mT4_P12ihipStream_tbEUlT_E_NS1_11comp_targetILNS1_3genE0ELNS1_11target_archE4294967295ELNS1_3gpuE0ELNS1_3repE0EEENS1_30default_config_static_selectorELNS0_4arch9wavefront6targetE1EEEvT1_: ; @_ZN7rocprim17ROCPRIM_400000_NS6detail17trampoline_kernelINS0_14default_configENS1_25transform_config_selectorIN3c108BFloat16ELb1EEEZNS1_14transform_implILb1ES3_S7_PS6_S9_NS0_8identityIS6_EEEE10hipError_tT2_T3_mT4_P12ihipStream_tbEUlT_E_NS1_11comp_targetILNS1_3genE0ELNS1_11target_archE4294967295ELNS1_3gpuE0ELNS1_3repE0EEENS1_30default_config_static_selectorELNS0_4arch9wavefront6targetE1EEEvT1_
; %bb.0:
	.section	.rodata,"a",@progbits
	.p2align	6, 0x0
	.amdhsa_kernel _ZN7rocprim17ROCPRIM_400000_NS6detail17trampoline_kernelINS0_14default_configENS1_25transform_config_selectorIN3c108BFloat16ELb1EEEZNS1_14transform_implILb1ES3_S7_PS6_S9_NS0_8identityIS6_EEEE10hipError_tT2_T3_mT4_P12ihipStream_tbEUlT_E_NS1_11comp_targetILNS1_3genE0ELNS1_11target_archE4294967295ELNS1_3gpuE0ELNS1_3repE0EEENS1_30default_config_static_selectorELNS0_4arch9wavefront6targetE1EEEvT1_
		.amdhsa_group_segment_fixed_size 0
		.amdhsa_private_segment_fixed_size 0
		.amdhsa_kernarg_size 40
		.amdhsa_user_sgpr_count 6
		.amdhsa_user_sgpr_private_segment_buffer 1
		.amdhsa_user_sgpr_dispatch_ptr 0
		.amdhsa_user_sgpr_queue_ptr 0
		.amdhsa_user_sgpr_kernarg_segment_ptr 1
		.amdhsa_user_sgpr_dispatch_id 0
		.amdhsa_user_sgpr_flat_scratch_init 0
		.amdhsa_user_sgpr_private_segment_size 0
		.amdhsa_uses_dynamic_stack 0
		.amdhsa_system_sgpr_private_segment_wavefront_offset 0
		.amdhsa_system_sgpr_workgroup_id_x 1
		.amdhsa_system_sgpr_workgroup_id_y 0
		.amdhsa_system_sgpr_workgroup_id_z 0
		.amdhsa_system_sgpr_workgroup_info 0
		.amdhsa_system_vgpr_workitem_id 0
		.amdhsa_next_free_vgpr 1
		.amdhsa_next_free_sgpr 0
		.amdhsa_reserve_vcc 0
		.amdhsa_reserve_flat_scratch 0
		.amdhsa_float_round_mode_32 0
		.amdhsa_float_round_mode_16_64 0
		.amdhsa_float_denorm_mode_32 3
		.amdhsa_float_denorm_mode_16_64 3
		.amdhsa_dx10_clamp 1
		.amdhsa_ieee_mode 1
		.amdhsa_fp16_overflow 0
		.amdhsa_exception_fp_ieee_invalid_op 0
		.amdhsa_exception_fp_denorm_src 0
		.amdhsa_exception_fp_ieee_div_zero 0
		.amdhsa_exception_fp_ieee_overflow 0
		.amdhsa_exception_fp_ieee_underflow 0
		.amdhsa_exception_fp_ieee_inexact 0
		.amdhsa_exception_int_div_zero 0
	.end_amdhsa_kernel
	.section	.text._ZN7rocprim17ROCPRIM_400000_NS6detail17trampoline_kernelINS0_14default_configENS1_25transform_config_selectorIN3c108BFloat16ELb1EEEZNS1_14transform_implILb1ES3_S7_PS6_S9_NS0_8identityIS6_EEEE10hipError_tT2_T3_mT4_P12ihipStream_tbEUlT_E_NS1_11comp_targetILNS1_3genE0ELNS1_11target_archE4294967295ELNS1_3gpuE0ELNS1_3repE0EEENS1_30default_config_static_selectorELNS0_4arch9wavefront6targetE1EEEvT1_,"axG",@progbits,_ZN7rocprim17ROCPRIM_400000_NS6detail17trampoline_kernelINS0_14default_configENS1_25transform_config_selectorIN3c108BFloat16ELb1EEEZNS1_14transform_implILb1ES3_S7_PS6_S9_NS0_8identityIS6_EEEE10hipError_tT2_T3_mT4_P12ihipStream_tbEUlT_E_NS1_11comp_targetILNS1_3genE0ELNS1_11target_archE4294967295ELNS1_3gpuE0ELNS1_3repE0EEENS1_30default_config_static_selectorELNS0_4arch9wavefront6targetE1EEEvT1_,comdat
.Lfunc_end2026:
	.size	_ZN7rocprim17ROCPRIM_400000_NS6detail17trampoline_kernelINS0_14default_configENS1_25transform_config_selectorIN3c108BFloat16ELb1EEEZNS1_14transform_implILb1ES3_S7_PS6_S9_NS0_8identityIS6_EEEE10hipError_tT2_T3_mT4_P12ihipStream_tbEUlT_E_NS1_11comp_targetILNS1_3genE0ELNS1_11target_archE4294967295ELNS1_3gpuE0ELNS1_3repE0EEENS1_30default_config_static_selectorELNS0_4arch9wavefront6targetE1EEEvT1_, .Lfunc_end2026-_ZN7rocprim17ROCPRIM_400000_NS6detail17trampoline_kernelINS0_14default_configENS1_25transform_config_selectorIN3c108BFloat16ELb1EEEZNS1_14transform_implILb1ES3_S7_PS6_S9_NS0_8identityIS6_EEEE10hipError_tT2_T3_mT4_P12ihipStream_tbEUlT_E_NS1_11comp_targetILNS1_3genE0ELNS1_11target_archE4294967295ELNS1_3gpuE0ELNS1_3repE0EEENS1_30default_config_static_selectorELNS0_4arch9wavefront6targetE1EEEvT1_
                                        ; -- End function
	.set _ZN7rocprim17ROCPRIM_400000_NS6detail17trampoline_kernelINS0_14default_configENS1_25transform_config_selectorIN3c108BFloat16ELb1EEEZNS1_14transform_implILb1ES3_S7_PS6_S9_NS0_8identityIS6_EEEE10hipError_tT2_T3_mT4_P12ihipStream_tbEUlT_E_NS1_11comp_targetILNS1_3genE0ELNS1_11target_archE4294967295ELNS1_3gpuE0ELNS1_3repE0EEENS1_30default_config_static_selectorELNS0_4arch9wavefront6targetE1EEEvT1_.num_vgpr, 0
	.set _ZN7rocprim17ROCPRIM_400000_NS6detail17trampoline_kernelINS0_14default_configENS1_25transform_config_selectorIN3c108BFloat16ELb1EEEZNS1_14transform_implILb1ES3_S7_PS6_S9_NS0_8identityIS6_EEEE10hipError_tT2_T3_mT4_P12ihipStream_tbEUlT_E_NS1_11comp_targetILNS1_3genE0ELNS1_11target_archE4294967295ELNS1_3gpuE0ELNS1_3repE0EEENS1_30default_config_static_selectorELNS0_4arch9wavefront6targetE1EEEvT1_.num_agpr, 0
	.set _ZN7rocprim17ROCPRIM_400000_NS6detail17trampoline_kernelINS0_14default_configENS1_25transform_config_selectorIN3c108BFloat16ELb1EEEZNS1_14transform_implILb1ES3_S7_PS6_S9_NS0_8identityIS6_EEEE10hipError_tT2_T3_mT4_P12ihipStream_tbEUlT_E_NS1_11comp_targetILNS1_3genE0ELNS1_11target_archE4294967295ELNS1_3gpuE0ELNS1_3repE0EEENS1_30default_config_static_selectorELNS0_4arch9wavefront6targetE1EEEvT1_.numbered_sgpr, 0
	.set _ZN7rocprim17ROCPRIM_400000_NS6detail17trampoline_kernelINS0_14default_configENS1_25transform_config_selectorIN3c108BFloat16ELb1EEEZNS1_14transform_implILb1ES3_S7_PS6_S9_NS0_8identityIS6_EEEE10hipError_tT2_T3_mT4_P12ihipStream_tbEUlT_E_NS1_11comp_targetILNS1_3genE0ELNS1_11target_archE4294967295ELNS1_3gpuE0ELNS1_3repE0EEENS1_30default_config_static_selectorELNS0_4arch9wavefront6targetE1EEEvT1_.num_named_barrier, 0
	.set _ZN7rocprim17ROCPRIM_400000_NS6detail17trampoline_kernelINS0_14default_configENS1_25transform_config_selectorIN3c108BFloat16ELb1EEEZNS1_14transform_implILb1ES3_S7_PS6_S9_NS0_8identityIS6_EEEE10hipError_tT2_T3_mT4_P12ihipStream_tbEUlT_E_NS1_11comp_targetILNS1_3genE0ELNS1_11target_archE4294967295ELNS1_3gpuE0ELNS1_3repE0EEENS1_30default_config_static_selectorELNS0_4arch9wavefront6targetE1EEEvT1_.private_seg_size, 0
	.set _ZN7rocprim17ROCPRIM_400000_NS6detail17trampoline_kernelINS0_14default_configENS1_25transform_config_selectorIN3c108BFloat16ELb1EEEZNS1_14transform_implILb1ES3_S7_PS6_S9_NS0_8identityIS6_EEEE10hipError_tT2_T3_mT4_P12ihipStream_tbEUlT_E_NS1_11comp_targetILNS1_3genE0ELNS1_11target_archE4294967295ELNS1_3gpuE0ELNS1_3repE0EEENS1_30default_config_static_selectorELNS0_4arch9wavefront6targetE1EEEvT1_.uses_vcc, 0
	.set _ZN7rocprim17ROCPRIM_400000_NS6detail17trampoline_kernelINS0_14default_configENS1_25transform_config_selectorIN3c108BFloat16ELb1EEEZNS1_14transform_implILb1ES3_S7_PS6_S9_NS0_8identityIS6_EEEE10hipError_tT2_T3_mT4_P12ihipStream_tbEUlT_E_NS1_11comp_targetILNS1_3genE0ELNS1_11target_archE4294967295ELNS1_3gpuE0ELNS1_3repE0EEENS1_30default_config_static_selectorELNS0_4arch9wavefront6targetE1EEEvT1_.uses_flat_scratch, 0
	.set _ZN7rocprim17ROCPRIM_400000_NS6detail17trampoline_kernelINS0_14default_configENS1_25transform_config_selectorIN3c108BFloat16ELb1EEEZNS1_14transform_implILb1ES3_S7_PS6_S9_NS0_8identityIS6_EEEE10hipError_tT2_T3_mT4_P12ihipStream_tbEUlT_E_NS1_11comp_targetILNS1_3genE0ELNS1_11target_archE4294967295ELNS1_3gpuE0ELNS1_3repE0EEENS1_30default_config_static_selectorELNS0_4arch9wavefront6targetE1EEEvT1_.has_dyn_sized_stack, 0
	.set _ZN7rocprim17ROCPRIM_400000_NS6detail17trampoline_kernelINS0_14default_configENS1_25transform_config_selectorIN3c108BFloat16ELb1EEEZNS1_14transform_implILb1ES3_S7_PS6_S9_NS0_8identityIS6_EEEE10hipError_tT2_T3_mT4_P12ihipStream_tbEUlT_E_NS1_11comp_targetILNS1_3genE0ELNS1_11target_archE4294967295ELNS1_3gpuE0ELNS1_3repE0EEENS1_30default_config_static_selectorELNS0_4arch9wavefront6targetE1EEEvT1_.has_recursion, 0
	.set _ZN7rocprim17ROCPRIM_400000_NS6detail17trampoline_kernelINS0_14default_configENS1_25transform_config_selectorIN3c108BFloat16ELb1EEEZNS1_14transform_implILb1ES3_S7_PS6_S9_NS0_8identityIS6_EEEE10hipError_tT2_T3_mT4_P12ihipStream_tbEUlT_E_NS1_11comp_targetILNS1_3genE0ELNS1_11target_archE4294967295ELNS1_3gpuE0ELNS1_3repE0EEENS1_30default_config_static_selectorELNS0_4arch9wavefront6targetE1EEEvT1_.has_indirect_call, 0
	.section	.AMDGPU.csdata,"",@progbits
; Kernel info:
; codeLenInByte = 0
; TotalNumSgprs: 4
; NumVgprs: 0
; ScratchSize: 0
; MemoryBound: 0
; FloatMode: 240
; IeeeMode: 1
; LDSByteSize: 0 bytes/workgroup (compile time only)
; SGPRBlocks: 0
; VGPRBlocks: 0
; NumSGPRsForWavesPerEU: 4
; NumVGPRsForWavesPerEU: 1
; Occupancy: 10
; WaveLimiterHint : 0
; COMPUTE_PGM_RSRC2:SCRATCH_EN: 0
; COMPUTE_PGM_RSRC2:USER_SGPR: 6
; COMPUTE_PGM_RSRC2:TRAP_HANDLER: 0
; COMPUTE_PGM_RSRC2:TGID_X_EN: 1
; COMPUTE_PGM_RSRC2:TGID_Y_EN: 0
; COMPUTE_PGM_RSRC2:TGID_Z_EN: 0
; COMPUTE_PGM_RSRC2:TIDIG_COMP_CNT: 0
	.section	.text._ZN7rocprim17ROCPRIM_400000_NS6detail17trampoline_kernelINS0_14default_configENS1_25transform_config_selectorIN3c108BFloat16ELb1EEEZNS1_14transform_implILb1ES3_S7_PS6_S9_NS0_8identityIS6_EEEE10hipError_tT2_T3_mT4_P12ihipStream_tbEUlT_E_NS1_11comp_targetILNS1_3genE10ELNS1_11target_archE1201ELNS1_3gpuE5ELNS1_3repE0EEENS1_30default_config_static_selectorELNS0_4arch9wavefront6targetE1EEEvT1_,"axG",@progbits,_ZN7rocprim17ROCPRIM_400000_NS6detail17trampoline_kernelINS0_14default_configENS1_25transform_config_selectorIN3c108BFloat16ELb1EEEZNS1_14transform_implILb1ES3_S7_PS6_S9_NS0_8identityIS6_EEEE10hipError_tT2_T3_mT4_P12ihipStream_tbEUlT_E_NS1_11comp_targetILNS1_3genE10ELNS1_11target_archE1201ELNS1_3gpuE5ELNS1_3repE0EEENS1_30default_config_static_selectorELNS0_4arch9wavefront6targetE1EEEvT1_,comdat
	.protected	_ZN7rocprim17ROCPRIM_400000_NS6detail17trampoline_kernelINS0_14default_configENS1_25transform_config_selectorIN3c108BFloat16ELb1EEEZNS1_14transform_implILb1ES3_S7_PS6_S9_NS0_8identityIS6_EEEE10hipError_tT2_T3_mT4_P12ihipStream_tbEUlT_E_NS1_11comp_targetILNS1_3genE10ELNS1_11target_archE1201ELNS1_3gpuE5ELNS1_3repE0EEENS1_30default_config_static_selectorELNS0_4arch9wavefront6targetE1EEEvT1_ ; -- Begin function _ZN7rocprim17ROCPRIM_400000_NS6detail17trampoline_kernelINS0_14default_configENS1_25transform_config_selectorIN3c108BFloat16ELb1EEEZNS1_14transform_implILb1ES3_S7_PS6_S9_NS0_8identityIS6_EEEE10hipError_tT2_T3_mT4_P12ihipStream_tbEUlT_E_NS1_11comp_targetILNS1_3genE10ELNS1_11target_archE1201ELNS1_3gpuE5ELNS1_3repE0EEENS1_30default_config_static_selectorELNS0_4arch9wavefront6targetE1EEEvT1_
	.globl	_ZN7rocprim17ROCPRIM_400000_NS6detail17trampoline_kernelINS0_14default_configENS1_25transform_config_selectorIN3c108BFloat16ELb1EEEZNS1_14transform_implILb1ES3_S7_PS6_S9_NS0_8identityIS6_EEEE10hipError_tT2_T3_mT4_P12ihipStream_tbEUlT_E_NS1_11comp_targetILNS1_3genE10ELNS1_11target_archE1201ELNS1_3gpuE5ELNS1_3repE0EEENS1_30default_config_static_selectorELNS0_4arch9wavefront6targetE1EEEvT1_
	.p2align	8
	.type	_ZN7rocprim17ROCPRIM_400000_NS6detail17trampoline_kernelINS0_14default_configENS1_25transform_config_selectorIN3c108BFloat16ELb1EEEZNS1_14transform_implILb1ES3_S7_PS6_S9_NS0_8identityIS6_EEEE10hipError_tT2_T3_mT4_P12ihipStream_tbEUlT_E_NS1_11comp_targetILNS1_3genE10ELNS1_11target_archE1201ELNS1_3gpuE5ELNS1_3repE0EEENS1_30default_config_static_selectorELNS0_4arch9wavefront6targetE1EEEvT1_,@function
_ZN7rocprim17ROCPRIM_400000_NS6detail17trampoline_kernelINS0_14default_configENS1_25transform_config_selectorIN3c108BFloat16ELb1EEEZNS1_14transform_implILb1ES3_S7_PS6_S9_NS0_8identityIS6_EEEE10hipError_tT2_T3_mT4_P12ihipStream_tbEUlT_E_NS1_11comp_targetILNS1_3genE10ELNS1_11target_archE1201ELNS1_3gpuE5ELNS1_3repE0EEENS1_30default_config_static_selectorELNS0_4arch9wavefront6targetE1EEEvT1_: ; @_ZN7rocprim17ROCPRIM_400000_NS6detail17trampoline_kernelINS0_14default_configENS1_25transform_config_selectorIN3c108BFloat16ELb1EEEZNS1_14transform_implILb1ES3_S7_PS6_S9_NS0_8identityIS6_EEEE10hipError_tT2_T3_mT4_P12ihipStream_tbEUlT_E_NS1_11comp_targetILNS1_3genE10ELNS1_11target_archE1201ELNS1_3gpuE5ELNS1_3repE0EEENS1_30default_config_static_selectorELNS0_4arch9wavefront6targetE1EEEvT1_
; %bb.0:
	.section	.rodata,"a",@progbits
	.p2align	6, 0x0
	.amdhsa_kernel _ZN7rocprim17ROCPRIM_400000_NS6detail17trampoline_kernelINS0_14default_configENS1_25transform_config_selectorIN3c108BFloat16ELb1EEEZNS1_14transform_implILb1ES3_S7_PS6_S9_NS0_8identityIS6_EEEE10hipError_tT2_T3_mT4_P12ihipStream_tbEUlT_E_NS1_11comp_targetILNS1_3genE10ELNS1_11target_archE1201ELNS1_3gpuE5ELNS1_3repE0EEENS1_30default_config_static_selectorELNS0_4arch9wavefront6targetE1EEEvT1_
		.amdhsa_group_segment_fixed_size 0
		.amdhsa_private_segment_fixed_size 0
		.amdhsa_kernarg_size 40
		.amdhsa_user_sgpr_count 6
		.amdhsa_user_sgpr_private_segment_buffer 1
		.amdhsa_user_sgpr_dispatch_ptr 0
		.amdhsa_user_sgpr_queue_ptr 0
		.amdhsa_user_sgpr_kernarg_segment_ptr 1
		.amdhsa_user_sgpr_dispatch_id 0
		.amdhsa_user_sgpr_flat_scratch_init 0
		.amdhsa_user_sgpr_private_segment_size 0
		.amdhsa_uses_dynamic_stack 0
		.amdhsa_system_sgpr_private_segment_wavefront_offset 0
		.amdhsa_system_sgpr_workgroup_id_x 1
		.amdhsa_system_sgpr_workgroup_id_y 0
		.amdhsa_system_sgpr_workgroup_id_z 0
		.amdhsa_system_sgpr_workgroup_info 0
		.amdhsa_system_vgpr_workitem_id 0
		.amdhsa_next_free_vgpr 1
		.amdhsa_next_free_sgpr 0
		.amdhsa_reserve_vcc 0
		.amdhsa_reserve_flat_scratch 0
		.amdhsa_float_round_mode_32 0
		.amdhsa_float_round_mode_16_64 0
		.amdhsa_float_denorm_mode_32 3
		.amdhsa_float_denorm_mode_16_64 3
		.amdhsa_dx10_clamp 1
		.amdhsa_ieee_mode 1
		.amdhsa_fp16_overflow 0
		.amdhsa_exception_fp_ieee_invalid_op 0
		.amdhsa_exception_fp_denorm_src 0
		.amdhsa_exception_fp_ieee_div_zero 0
		.amdhsa_exception_fp_ieee_overflow 0
		.amdhsa_exception_fp_ieee_underflow 0
		.amdhsa_exception_fp_ieee_inexact 0
		.amdhsa_exception_int_div_zero 0
	.end_amdhsa_kernel
	.section	.text._ZN7rocprim17ROCPRIM_400000_NS6detail17trampoline_kernelINS0_14default_configENS1_25transform_config_selectorIN3c108BFloat16ELb1EEEZNS1_14transform_implILb1ES3_S7_PS6_S9_NS0_8identityIS6_EEEE10hipError_tT2_T3_mT4_P12ihipStream_tbEUlT_E_NS1_11comp_targetILNS1_3genE10ELNS1_11target_archE1201ELNS1_3gpuE5ELNS1_3repE0EEENS1_30default_config_static_selectorELNS0_4arch9wavefront6targetE1EEEvT1_,"axG",@progbits,_ZN7rocprim17ROCPRIM_400000_NS6detail17trampoline_kernelINS0_14default_configENS1_25transform_config_selectorIN3c108BFloat16ELb1EEEZNS1_14transform_implILb1ES3_S7_PS6_S9_NS0_8identityIS6_EEEE10hipError_tT2_T3_mT4_P12ihipStream_tbEUlT_E_NS1_11comp_targetILNS1_3genE10ELNS1_11target_archE1201ELNS1_3gpuE5ELNS1_3repE0EEENS1_30default_config_static_selectorELNS0_4arch9wavefront6targetE1EEEvT1_,comdat
.Lfunc_end2027:
	.size	_ZN7rocprim17ROCPRIM_400000_NS6detail17trampoline_kernelINS0_14default_configENS1_25transform_config_selectorIN3c108BFloat16ELb1EEEZNS1_14transform_implILb1ES3_S7_PS6_S9_NS0_8identityIS6_EEEE10hipError_tT2_T3_mT4_P12ihipStream_tbEUlT_E_NS1_11comp_targetILNS1_3genE10ELNS1_11target_archE1201ELNS1_3gpuE5ELNS1_3repE0EEENS1_30default_config_static_selectorELNS0_4arch9wavefront6targetE1EEEvT1_, .Lfunc_end2027-_ZN7rocprim17ROCPRIM_400000_NS6detail17trampoline_kernelINS0_14default_configENS1_25transform_config_selectorIN3c108BFloat16ELb1EEEZNS1_14transform_implILb1ES3_S7_PS6_S9_NS0_8identityIS6_EEEE10hipError_tT2_T3_mT4_P12ihipStream_tbEUlT_E_NS1_11comp_targetILNS1_3genE10ELNS1_11target_archE1201ELNS1_3gpuE5ELNS1_3repE0EEENS1_30default_config_static_selectorELNS0_4arch9wavefront6targetE1EEEvT1_
                                        ; -- End function
	.set _ZN7rocprim17ROCPRIM_400000_NS6detail17trampoline_kernelINS0_14default_configENS1_25transform_config_selectorIN3c108BFloat16ELb1EEEZNS1_14transform_implILb1ES3_S7_PS6_S9_NS0_8identityIS6_EEEE10hipError_tT2_T3_mT4_P12ihipStream_tbEUlT_E_NS1_11comp_targetILNS1_3genE10ELNS1_11target_archE1201ELNS1_3gpuE5ELNS1_3repE0EEENS1_30default_config_static_selectorELNS0_4arch9wavefront6targetE1EEEvT1_.num_vgpr, 0
	.set _ZN7rocprim17ROCPRIM_400000_NS6detail17trampoline_kernelINS0_14default_configENS1_25transform_config_selectorIN3c108BFloat16ELb1EEEZNS1_14transform_implILb1ES3_S7_PS6_S9_NS0_8identityIS6_EEEE10hipError_tT2_T3_mT4_P12ihipStream_tbEUlT_E_NS1_11comp_targetILNS1_3genE10ELNS1_11target_archE1201ELNS1_3gpuE5ELNS1_3repE0EEENS1_30default_config_static_selectorELNS0_4arch9wavefront6targetE1EEEvT1_.num_agpr, 0
	.set _ZN7rocprim17ROCPRIM_400000_NS6detail17trampoline_kernelINS0_14default_configENS1_25transform_config_selectorIN3c108BFloat16ELb1EEEZNS1_14transform_implILb1ES3_S7_PS6_S9_NS0_8identityIS6_EEEE10hipError_tT2_T3_mT4_P12ihipStream_tbEUlT_E_NS1_11comp_targetILNS1_3genE10ELNS1_11target_archE1201ELNS1_3gpuE5ELNS1_3repE0EEENS1_30default_config_static_selectorELNS0_4arch9wavefront6targetE1EEEvT1_.numbered_sgpr, 0
	.set _ZN7rocprim17ROCPRIM_400000_NS6detail17trampoline_kernelINS0_14default_configENS1_25transform_config_selectorIN3c108BFloat16ELb1EEEZNS1_14transform_implILb1ES3_S7_PS6_S9_NS0_8identityIS6_EEEE10hipError_tT2_T3_mT4_P12ihipStream_tbEUlT_E_NS1_11comp_targetILNS1_3genE10ELNS1_11target_archE1201ELNS1_3gpuE5ELNS1_3repE0EEENS1_30default_config_static_selectorELNS0_4arch9wavefront6targetE1EEEvT1_.num_named_barrier, 0
	.set _ZN7rocprim17ROCPRIM_400000_NS6detail17trampoline_kernelINS0_14default_configENS1_25transform_config_selectorIN3c108BFloat16ELb1EEEZNS1_14transform_implILb1ES3_S7_PS6_S9_NS0_8identityIS6_EEEE10hipError_tT2_T3_mT4_P12ihipStream_tbEUlT_E_NS1_11comp_targetILNS1_3genE10ELNS1_11target_archE1201ELNS1_3gpuE5ELNS1_3repE0EEENS1_30default_config_static_selectorELNS0_4arch9wavefront6targetE1EEEvT1_.private_seg_size, 0
	.set _ZN7rocprim17ROCPRIM_400000_NS6detail17trampoline_kernelINS0_14default_configENS1_25transform_config_selectorIN3c108BFloat16ELb1EEEZNS1_14transform_implILb1ES3_S7_PS6_S9_NS0_8identityIS6_EEEE10hipError_tT2_T3_mT4_P12ihipStream_tbEUlT_E_NS1_11comp_targetILNS1_3genE10ELNS1_11target_archE1201ELNS1_3gpuE5ELNS1_3repE0EEENS1_30default_config_static_selectorELNS0_4arch9wavefront6targetE1EEEvT1_.uses_vcc, 0
	.set _ZN7rocprim17ROCPRIM_400000_NS6detail17trampoline_kernelINS0_14default_configENS1_25transform_config_selectorIN3c108BFloat16ELb1EEEZNS1_14transform_implILb1ES3_S7_PS6_S9_NS0_8identityIS6_EEEE10hipError_tT2_T3_mT4_P12ihipStream_tbEUlT_E_NS1_11comp_targetILNS1_3genE10ELNS1_11target_archE1201ELNS1_3gpuE5ELNS1_3repE0EEENS1_30default_config_static_selectorELNS0_4arch9wavefront6targetE1EEEvT1_.uses_flat_scratch, 0
	.set _ZN7rocprim17ROCPRIM_400000_NS6detail17trampoline_kernelINS0_14default_configENS1_25transform_config_selectorIN3c108BFloat16ELb1EEEZNS1_14transform_implILb1ES3_S7_PS6_S9_NS0_8identityIS6_EEEE10hipError_tT2_T3_mT4_P12ihipStream_tbEUlT_E_NS1_11comp_targetILNS1_3genE10ELNS1_11target_archE1201ELNS1_3gpuE5ELNS1_3repE0EEENS1_30default_config_static_selectorELNS0_4arch9wavefront6targetE1EEEvT1_.has_dyn_sized_stack, 0
	.set _ZN7rocprim17ROCPRIM_400000_NS6detail17trampoline_kernelINS0_14default_configENS1_25transform_config_selectorIN3c108BFloat16ELb1EEEZNS1_14transform_implILb1ES3_S7_PS6_S9_NS0_8identityIS6_EEEE10hipError_tT2_T3_mT4_P12ihipStream_tbEUlT_E_NS1_11comp_targetILNS1_3genE10ELNS1_11target_archE1201ELNS1_3gpuE5ELNS1_3repE0EEENS1_30default_config_static_selectorELNS0_4arch9wavefront6targetE1EEEvT1_.has_recursion, 0
	.set _ZN7rocprim17ROCPRIM_400000_NS6detail17trampoline_kernelINS0_14default_configENS1_25transform_config_selectorIN3c108BFloat16ELb1EEEZNS1_14transform_implILb1ES3_S7_PS6_S9_NS0_8identityIS6_EEEE10hipError_tT2_T3_mT4_P12ihipStream_tbEUlT_E_NS1_11comp_targetILNS1_3genE10ELNS1_11target_archE1201ELNS1_3gpuE5ELNS1_3repE0EEENS1_30default_config_static_selectorELNS0_4arch9wavefront6targetE1EEEvT1_.has_indirect_call, 0
	.section	.AMDGPU.csdata,"",@progbits
; Kernel info:
; codeLenInByte = 0
; TotalNumSgprs: 4
; NumVgprs: 0
; ScratchSize: 0
; MemoryBound: 0
; FloatMode: 240
; IeeeMode: 1
; LDSByteSize: 0 bytes/workgroup (compile time only)
; SGPRBlocks: 0
; VGPRBlocks: 0
; NumSGPRsForWavesPerEU: 4
; NumVGPRsForWavesPerEU: 1
; Occupancy: 10
; WaveLimiterHint : 0
; COMPUTE_PGM_RSRC2:SCRATCH_EN: 0
; COMPUTE_PGM_RSRC2:USER_SGPR: 6
; COMPUTE_PGM_RSRC2:TRAP_HANDLER: 0
; COMPUTE_PGM_RSRC2:TGID_X_EN: 1
; COMPUTE_PGM_RSRC2:TGID_Y_EN: 0
; COMPUTE_PGM_RSRC2:TGID_Z_EN: 0
; COMPUTE_PGM_RSRC2:TIDIG_COMP_CNT: 0
	.section	.text._ZN7rocprim17ROCPRIM_400000_NS6detail17trampoline_kernelINS0_14default_configENS1_25transform_config_selectorIN3c108BFloat16ELb1EEEZNS1_14transform_implILb1ES3_S7_PS6_S9_NS0_8identityIS6_EEEE10hipError_tT2_T3_mT4_P12ihipStream_tbEUlT_E_NS1_11comp_targetILNS1_3genE5ELNS1_11target_archE942ELNS1_3gpuE9ELNS1_3repE0EEENS1_30default_config_static_selectorELNS0_4arch9wavefront6targetE1EEEvT1_,"axG",@progbits,_ZN7rocprim17ROCPRIM_400000_NS6detail17trampoline_kernelINS0_14default_configENS1_25transform_config_selectorIN3c108BFloat16ELb1EEEZNS1_14transform_implILb1ES3_S7_PS6_S9_NS0_8identityIS6_EEEE10hipError_tT2_T3_mT4_P12ihipStream_tbEUlT_E_NS1_11comp_targetILNS1_3genE5ELNS1_11target_archE942ELNS1_3gpuE9ELNS1_3repE0EEENS1_30default_config_static_selectorELNS0_4arch9wavefront6targetE1EEEvT1_,comdat
	.protected	_ZN7rocprim17ROCPRIM_400000_NS6detail17trampoline_kernelINS0_14default_configENS1_25transform_config_selectorIN3c108BFloat16ELb1EEEZNS1_14transform_implILb1ES3_S7_PS6_S9_NS0_8identityIS6_EEEE10hipError_tT2_T3_mT4_P12ihipStream_tbEUlT_E_NS1_11comp_targetILNS1_3genE5ELNS1_11target_archE942ELNS1_3gpuE9ELNS1_3repE0EEENS1_30default_config_static_selectorELNS0_4arch9wavefront6targetE1EEEvT1_ ; -- Begin function _ZN7rocprim17ROCPRIM_400000_NS6detail17trampoline_kernelINS0_14default_configENS1_25transform_config_selectorIN3c108BFloat16ELb1EEEZNS1_14transform_implILb1ES3_S7_PS6_S9_NS0_8identityIS6_EEEE10hipError_tT2_T3_mT4_P12ihipStream_tbEUlT_E_NS1_11comp_targetILNS1_3genE5ELNS1_11target_archE942ELNS1_3gpuE9ELNS1_3repE0EEENS1_30default_config_static_selectorELNS0_4arch9wavefront6targetE1EEEvT1_
	.globl	_ZN7rocprim17ROCPRIM_400000_NS6detail17trampoline_kernelINS0_14default_configENS1_25transform_config_selectorIN3c108BFloat16ELb1EEEZNS1_14transform_implILb1ES3_S7_PS6_S9_NS0_8identityIS6_EEEE10hipError_tT2_T3_mT4_P12ihipStream_tbEUlT_E_NS1_11comp_targetILNS1_3genE5ELNS1_11target_archE942ELNS1_3gpuE9ELNS1_3repE0EEENS1_30default_config_static_selectorELNS0_4arch9wavefront6targetE1EEEvT1_
	.p2align	8
	.type	_ZN7rocprim17ROCPRIM_400000_NS6detail17trampoline_kernelINS0_14default_configENS1_25transform_config_selectorIN3c108BFloat16ELb1EEEZNS1_14transform_implILb1ES3_S7_PS6_S9_NS0_8identityIS6_EEEE10hipError_tT2_T3_mT4_P12ihipStream_tbEUlT_E_NS1_11comp_targetILNS1_3genE5ELNS1_11target_archE942ELNS1_3gpuE9ELNS1_3repE0EEENS1_30default_config_static_selectorELNS0_4arch9wavefront6targetE1EEEvT1_,@function
_ZN7rocprim17ROCPRIM_400000_NS6detail17trampoline_kernelINS0_14default_configENS1_25transform_config_selectorIN3c108BFloat16ELb1EEEZNS1_14transform_implILb1ES3_S7_PS6_S9_NS0_8identityIS6_EEEE10hipError_tT2_T3_mT4_P12ihipStream_tbEUlT_E_NS1_11comp_targetILNS1_3genE5ELNS1_11target_archE942ELNS1_3gpuE9ELNS1_3repE0EEENS1_30default_config_static_selectorELNS0_4arch9wavefront6targetE1EEEvT1_: ; @_ZN7rocprim17ROCPRIM_400000_NS6detail17trampoline_kernelINS0_14default_configENS1_25transform_config_selectorIN3c108BFloat16ELb1EEEZNS1_14transform_implILb1ES3_S7_PS6_S9_NS0_8identityIS6_EEEE10hipError_tT2_T3_mT4_P12ihipStream_tbEUlT_E_NS1_11comp_targetILNS1_3genE5ELNS1_11target_archE942ELNS1_3gpuE9ELNS1_3repE0EEENS1_30default_config_static_selectorELNS0_4arch9wavefront6targetE1EEEvT1_
; %bb.0:
	.section	.rodata,"a",@progbits
	.p2align	6, 0x0
	.amdhsa_kernel _ZN7rocprim17ROCPRIM_400000_NS6detail17trampoline_kernelINS0_14default_configENS1_25transform_config_selectorIN3c108BFloat16ELb1EEEZNS1_14transform_implILb1ES3_S7_PS6_S9_NS0_8identityIS6_EEEE10hipError_tT2_T3_mT4_P12ihipStream_tbEUlT_E_NS1_11comp_targetILNS1_3genE5ELNS1_11target_archE942ELNS1_3gpuE9ELNS1_3repE0EEENS1_30default_config_static_selectorELNS0_4arch9wavefront6targetE1EEEvT1_
		.amdhsa_group_segment_fixed_size 0
		.amdhsa_private_segment_fixed_size 0
		.amdhsa_kernarg_size 40
		.amdhsa_user_sgpr_count 6
		.amdhsa_user_sgpr_private_segment_buffer 1
		.amdhsa_user_sgpr_dispatch_ptr 0
		.amdhsa_user_sgpr_queue_ptr 0
		.amdhsa_user_sgpr_kernarg_segment_ptr 1
		.amdhsa_user_sgpr_dispatch_id 0
		.amdhsa_user_sgpr_flat_scratch_init 0
		.amdhsa_user_sgpr_private_segment_size 0
		.amdhsa_uses_dynamic_stack 0
		.amdhsa_system_sgpr_private_segment_wavefront_offset 0
		.amdhsa_system_sgpr_workgroup_id_x 1
		.amdhsa_system_sgpr_workgroup_id_y 0
		.amdhsa_system_sgpr_workgroup_id_z 0
		.amdhsa_system_sgpr_workgroup_info 0
		.amdhsa_system_vgpr_workitem_id 0
		.amdhsa_next_free_vgpr 1
		.amdhsa_next_free_sgpr 0
		.amdhsa_reserve_vcc 0
		.amdhsa_reserve_flat_scratch 0
		.amdhsa_float_round_mode_32 0
		.amdhsa_float_round_mode_16_64 0
		.amdhsa_float_denorm_mode_32 3
		.amdhsa_float_denorm_mode_16_64 3
		.amdhsa_dx10_clamp 1
		.amdhsa_ieee_mode 1
		.amdhsa_fp16_overflow 0
		.amdhsa_exception_fp_ieee_invalid_op 0
		.amdhsa_exception_fp_denorm_src 0
		.amdhsa_exception_fp_ieee_div_zero 0
		.amdhsa_exception_fp_ieee_overflow 0
		.amdhsa_exception_fp_ieee_underflow 0
		.amdhsa_exception_fp_ieee_inexact 0
		.amdhsa_exception_int_div_zero 0
	.end_amdhsa_kernel
	.section	.text._ZN7rocprim17ROCPRIM_400000_NS6detail17trampoline_kernelINS0_14default_configENS1_25transform_config_selectorIN3c108BFloat16ELb1EEEZNS1_14transform_implILb1ES3_S7_PS6_S9_NS0_8identityIS6_EEEE10hipError_tT2_T3_mT4_P12ihipStream_tbEUlT_E_NS1_11comp_targetILNS1_3genE5ELNS1_11target_archE942ELNS1_3gpuE9ELNS1_3repE0EEENS1_30default_config_static_selectorELNS0_4arch9wavefront6targetE1EEEvT1_,"axG",@progbits,_ZN7rocprim17ROCPRIM_400000_NS6detail17trampoline_kernelINS0_14default_configENS1_25transform_config_selectorIN3c108BFloat16ELb1EEEZNS1_14transform_implILb1ES3_S7_PS6_S9_NS0_8identityIS6_EEEE10hipError_tT2_T3_mT4_P12ihipStream_tbEUlT_E_NS1_11comp_targetILNS1_3genE5ELNS1_11target_archE942ELNS1_3gpuE9ELNS1_3repE0EEENS1_30default_config_static_selectorELNS0_4arch9wavefront6targetE1EEEvT1_,comdat
.Lfunc_end2028:
	.size	_ZN7rocprim17ROCPRIM_400000_NS6detail17trampoline_kernelINS0_14default_configENS1_25transform_config_selectorIN3c108BFloat16ELb1EEEZNS1_14transform_implILb1ES3_S7_PS6_S9_NS0_8identityIS6_EEEE10hipError_tT2_T3_mT4_P12ihipStream_tbEUlT_E_NS1_11comp_targetILNS1_3genE5ELNS1_11target_archE942ELNS1_3gpuE9ELNS1_3repE0EEENS1_30default_config_static_selectorELNS0_4arch9wavefront6targetE1EEEvT1_, .Lfunc_end2028-_ZN7rocprim17ROCPRIM_400000_NS6detail17trampoline_kernelINS0_14default_configENS1_25transform_config_selectorIN3c108BFloat16ELb1EEEZNS1_14transform_implILb1ES3_S7_PS6_S9_NS0_8identityIS6_EEEE10hipError_tT2_T3_mT4_P12ihipStream_tbEUlT_E_NS1_11comp_targetILNS1_3genE5ELNS1_11target_archE942ELNS1_3gpuE9ELNS1_3repE0EEENS1_30default_config_static_selectorELNS0_4arch9wavefront6targetE1EEEvT1_
                                        ; -- End function
	.set _ZN7rocprim17ROCPRIM_400000_NS6detail17trampoline_kernelINS0_14default_configENS1_25transform_config_selectorIN3c108BFloat16ELb1EEEZNS1_14transform_implILb1ES3_S7_PS6_S9_NS0_8identityIS6_EEEE10hipError_tT2_T3_mT4_P12ihipStream_tbEUlT_E_NS1_11comp_targetILNS1_3genE5ELNS1_11target_archE942ELNS1_3gpuE9ELNS1_3repE0EEENS1_30default_config_static_selectorELNS0_4arch9wavefront6targetE1EEEvT1_.num_vgpr, 0
	.set _ZN7rocprim17ROCPRIM_400000_NS6detail17trampoline_kernelINS0_14default_configENS1_25transform_config_selectorIN3c108BFloat16ELb1EEEZNS1_14transform_implILb1ES3_S7_PS6_S9_NS0_8identityIS6_EEEE10hipError_tT2_T3_mT4_P12ihipStream_tbEUlT_E_NS1_11comp_targetILNS1_3genE5ELNS1_11target_archE942ELNS1_3gpuE9ELNS1_3repE0EEENS1_30default_config_static_selectorELNS0_4arch9wavefront6targetE1EEEvT1_.num_agpr, 0
	.set _ZN7rocprim17ROCPRIM_400000_NS6detail17trampoline_kernelINS0_14default_configENS1_25transform_config_selectorIN3c108BFloat16ELb1EEEZNS1_14transform_implILb1ES3_S7_PS6_S9_NS0_8identityIS6_EEEE10hipError_tT2_T3_mT4_P12ihipStream_tbEUlT_E_NS1_11comp_targetILNS1_3genE5ELNS1_11target_archE942ELNS1_3gpuE9ELNS1_3repE0EEENS1_30default_config_static_selectorELNS0_4arch9wavefront6targetE1EEEvT1_.numbered_sgpr, 0
	.set _ZN7rocprim17ROCPRIM_400000_NS6detail17trampoline_kernelINS0_14default_configENS1_25transform_config_selectorIN3c108BFloat16ELb1EEEZNS1_14transform_implILb1ES3_S7_PS6_S9_NS0_8identityIS6_EEEE10hipError_tT2_T3_mT4_P12ihipStream_tbEUlT_E_NS1_11comp_targetILNS1_3genE5ELNS1_11target_archE942ELNS1_3gpuE9ELNS1_3repE0EEENS1_30default_config_static_selectorELNS0_4arch9wavefront6targetE1EEEvT1_.num_named_barrier, 0
	.set _ZN7rocprim17ROCPRIM_400000_NS6detail17trampoline_kernelINS0_14default_configENS1_25transform_config_selectorIN3c108BFloat16ELb1EEEZNS1_14transform_implILb1ES3_S7_PS6_S9_NS0_8identityIS6_EEEE10hipError_tT2_T3_mT4_P12ihipStream_tbEUlT_E_NS1_11comp_targetILNS1_3genE5ELNS1_11target_archE942ELNS1_3gpuE9ELNS1_3repE0EEENS1_30default_config_static_selectorELNS0_4arch9wavefront6targetE1EEEvT1_.private_seg_size, 0
	.set _ZN7rocprim17ROCPRIM_400000_NS6detail17trampoline_kernelINS0_14default_configENS1_25transform_config_selectorIN3c108BFloat16ELb1EEEZNS1_14transform_implILb1ES3_S7_PS6_S9_NS0_8identityIS6_EEEE10hipError_tT2_T3_mT4_P12ihipStream_tbEUlT_E_NS1_11comp_targetILNS1_3genE5ELNS1_11target_archE942ELNS1_3gpuE9ELNS1_3repE0EEENS1_30default_config_static_selectorELNS0_4arch9wavefront6targetE1EEEvT1_.uses_vcc, 0
	.set _ZN7rocprim17ROCPRIM_400000_NS6detail17trampoline_kernelINS0_14default_configENS1_25transform_config_selectorIN3c108BFloat16ELb1EEEZNS1_14transform_implILb1ES3_S7_PS6_S9_NS0_8identityIS6_EEEE10hipError_tT2_T3_mT4_P12ihipStream_tbEUlT_E_NS1_11comp_targetILNS1_3genE5ELNS1_11target_archE942ELNS1_3gpuE9ELNS1_3repE0EEENS1_30default_config_static_selectorELNS0_4arch9wavefront6targetE1EEEvT1_.uses_flat_scratch, 0
	.set _ZN7rocprim17ROCPRIM_400000_NS6detail17trampoline_kernelINS0_14default_configENS1_25transform_config_selectorIN3c108BFloat16ELb1EEEZNS1_14transform_implILb1ES3_S7_PS6_S9_NS0_8identityIS6_EEEE10hipError_tT2_T3_mT4_P12ihipStream_tbEUlT_E_NS1_11comp_targetILNS1_3genE5ELNS1_11target_archE942ELNS1_3gpuE9ELNS1_3repE0EEENS1_30default_config_static_selectorELNS0_4arch9wavefront6targetE1EEEvT1_.has_dyn_sized_stack, 0
	.set _ZN7rocprim17ROCPRIM_400000_NS6detail17trampoline_kernelINS0_14default_configENS1_25transform_config_selectorIN3c108BFloat16ELb1EEEZNS1_14transform_implILb1ES3_S7_PS6_S9_NS0_8identityIS6_EEEE10hipError_tT2_T3_mT4_P12ihipStream_tbEUlT_E_NS1_11comp_targetILNS1_3genE5ELNS1_11target_archE942ELNS1_3gpuE9ELNS1_3repE0EEENS1_30default_config_static_selectorELNS0_4arch9wavefront6targetE1EEEvT1_.has_recursion, 0
	.set _ZN7rocprim17ROCPRIM_400000_NS6detail17trampoline_kernelINS0_14default_configENS1_25transform_config_selectorIN3c108BFloat16ELb1EEEZNS1_14transform_implILb1ES3_S7_PS6_S9_NS0_8identityIS6_EEEE10hipError_tT2_T3_mT4_P12ihipStream_tbEUlT_E_NS1_11comp_targetILNS1_3genE5ELNS1_11target_archE942ELNS1_3gpuE9ELNS1_3repE0EEENS1_30default_config_static_selectorELNS0_4arch9wavefront6targetE1EEEvT1_.has_indirect_call, 0
	.section	.AMDGPU.csdata,"",@progbits
; Kernel info:
; codeLenInByte = 0
; TotalNumSgprs: 4
; NumVgprs: 0
; ScratchSize: 0
; MemoryBound: 0
; FloatMode: 240
; IeeeMode: 1
; LDSByteSize: 0 bytes/workgroup (compile time only)
; SGPRBlocks: 0
; VGPRBlocks: 0
; NumSGPRsForWavesPerEU: 4
; NumVGPRsForWavesPerEU: 1
; Occupancy: 10
; WaveLimiterHint : 0
; COMPUTE_PGM_RSRC2:SCRATCH_EN: 0
; COMPUTE_PGM_RSRC2:USER_SGPR: 6
; COMPUTE_PGM_RSRC2:TRAP_HANDLER: 0
; COMPUTE_PGM_RSRC2:TGID_X_EN: 1
; COMPUTE_PGM_RSRC2:TGID_Y_EN: 0
; COMPUTE_PGM_RSRC2:TGID_Z_EN: 0
; COMPUTE_PGM_RSRC2:TIDIG_COMP_CNT: 0
	.section	.text._ZN7rocprim17ROCPRIM_400000_NS6detail17trampoline_kernelINS0_14default_configENS1_25transform_config_selectorIN3c108BFloat16ELb1EEEZNS1_14transform_implILb1ES3_S7_PS6_S9_NS0_8identityIS6_EEEE10hipError_tT2_T3_mT4_P12ihipStream_tbEUlT_E_NS1_11comp_targetILNS1_3genE4ELNS1_11target_archE910ELNS1_3gpuE8ELNS1_3repE0EEENS1_30default_config_static_selectorELNS0_4arch9wavefront6targetE1EEEvT1_,"axG",@progbits,_ZN7rocprim17ROCPRIM_400000_NS6detail17trampoline_kernelINS0_14default_configENS1_25transform_config_selectorIN3c108BFloat16ELb1EEEZNS1_14transform_implILb1ES3_S7_PS6_S9_NS0_8identityIS6_EEEE10hipError_tT2_T3_mT4_P12ihipStream_tbEUlT_E_NS1_11comp_targetILNS1_3genE4ELNS1_11target_archE910ELNS1_3gpuE8ELNS1_3repE0EEENS1_30default_config_static_selectorELNS0_4arch9wavefront6targetE1EEEvT1_,comdat
	.protected	_ZN7rocprim17ROCPRIM_400000_NS6detail17trampoline_kernelINS0_14default_configENS1_25transform_config_selectorIN3c108BFloat16ELb1EEEZNS1_14transform_implILb1ES3_S7_PS6_S9_NS0_8identityIS6_EEEE10hipError_tT2_T3_mT4_P12ihipStream_tbEUlT_E_NS1_11comp_targetILNS1_3genE4ELNS1_11target_archE910ELNS1_3gpuE8ELNS1_3repE0EEENS1_30default_config_static_selectorELNS0_4arch9wavefront6targetE1EEEvT1_ ; -- Begin function _ZN7rocprim17ROCPRIM_400000_NS6detail17trampoline_kernelINS0_14default_configENS1_25transform_config_selectorIN3c108BFloat16ELb1EEEZNS1_14transform_implILb1ES3_S7_PS6_S9_NS0_8identityIS6_EEEE10hipError_tT2_T3_mT4_P12ihipStream_tbEUlT_E_NS1_11comp_targetILNS1_3genE4ELNS1_11target_archE910ELNS1_3gpuE8ELNS1_3repE0EEENS1_30default_config_static_selectorELNS0_4arch9wavefront6targetE1EEEvT1_
	.globl	_ZN7rocprim17ROCPRIM_400000_NS6detail17trampoline_kernelINS0_14default_configENS1_25transform_config_selectorIN3c108BFloat16ELb1EEEZNS1_14transform_implILb1ES3_S7_PS6_S9_NS0_8identityIS6_EEEE10hipError_tT2_T3_mT4_P12ihipStream_tbEUlT_E_NS1_11comp_targetILNS1_3genE4ELNS1_11target_archE910ELNS1_3gpuE8ELNS1_3repE0EEENS1_30default_config_static_selectorELNS0_4arch9wavefront6targetE1EEEvT1_
	.p2align	8
	.type	_ZN7rocprim17ROCPRIM_400000_NS6detail17trampoline_kernelINS0_14default_configENS1_25transform_config_selectorIN3c108BFloat16ELb1EEEZNS1_14transform_implILb1ES3_S7_PS6_S9_NS0_8identityIS6_EEEE10hipError_tT2_T3_mT4_P12ihipStream_tbEUlT_E_NS1_11comp_targetILNS1_3genE4ELNS1_11target_archE910ELNS1_3gpuE8ELNS1_3repE0EEENS1_30default_config_static_selectorELNS0_4arch9wavefront6targetE1EEEvT1_,@function
_ZN7rocprim17ROCPRIM_400000_NS6detail17trampoline_kernelINS0_14default_configENS1_25transform_config_selectorIN3c108BFloat16ELb1EEEZNS1_14transform_implILb1ES3_S7_PS6_S9_NS0_8identityIS6_EEEE10hipError_tT2_T3_mT4_P12ihipStream_tbEUlT_E_NS1_11comp_targetILNS1_3genE4ELNS1_11target_archE910ELNS1_3gpuE8ELNS1_3repE0EEENS1_30default_config_static_selectorELNS0_4arch9wavefront6targetE1EEEvT1_: ; @_ZN7rocprim17ROCPRIM_400000_NS6detail17trampoline_kernelINS0_14default_configENS1_25transform_config_selectorIN3c108BFloat16ELb1EEEZNS1_14transform_implILb1ES3_S7_PS6_S9_NS0_8identityIS6_EEEE10hipError_tT2_T3_mT4_P12ihipStream_tbEUlT_E_NS1_11comp_targetILNS1_3genE4ELNS1_11target_archE910ELNS1_3gpuE8ELNS1_3repE0EEENS1_30default_config_static_selectorELNS0_4arch9wavefront6targetE1EEEvT1_
; %bb.0:
	.section	.rodata,"a",@progbits
	.p2align	6, 0x0
	.amdhsa_kernel _ZN7rocprim17ROCPRIM_400000_NS6detail17trampoline_kernelINS0_14default_configENS1_25transform_config_selectorIN3c108BFloat16ELb1EEEZNS1_14transform_implILb1ES3_S7_PS6_S9_NS0_8identityIS6_EEEE10hipError_tT2_T3_mT4_P12ihipStream_tbEUlT_E_NS1_11comp_targetILNS1_3genE4ELNS1_11target_archE910ELNS1_3gpuE8ELNS1_3repE0EEENS1_30default_config_static_selectorELNS0_4arch9wavefront6targetE1EEEvT1_
		.amdhsa_group_segment_fixed_size 0
		.amdhsa_private_segment_fixed_size 0
		.amdhsa_kernarg_size 40
		.amdhsa_user_sgpr_count 6
		.amdhsa_user_sgpr_private_segment_buffer 1
		.amdhsa_user_sgpr_dispatch_ptr 0
		.amdhsa_user_sgpr_queue_ptr 0
		.amdhsa_user_sgpr_kernarg_segment_ptr 1
		.amdhsa_user_sgpr_dispatch_id 0
		.amdhsa_user_sgpr_flat_scratch_init 0
		.amdhsa_user_sgpr_private_segment_size 0
		.amdhsa_uses_dynamic_stack 0
		.amdhsa_system_sgpr_private_segment_wavefront_offset 0
		.amdhsa_system_sgpr_workgroup_id_x 1
		.amdhsa_system_sgpr_workgroup_id_y 0
		.amdhsa_system_sgpr_workgroup_id_z 0
		.amdhsa_system_sgpr_workgroup_info 0
		.amdhsa_system_vgpr_workitem_id 0
		.amdhsa_next_free_vgpr 1
		.amdhsa_next_free_sgpr 0
		.amdhsa_reserve_vcc 0
		.amdhsa_reserve_flat_scratch 0
		.amdhsa_float_round_mode_32 0
		.amdhsa_float_round_mode_16_64 0
		.amdhsa_float_denorm_mode_32 3
		.amdhsa_float_denorm_mode_16_64 3
		.amdhsa_dx10_clamp 1
		.amdhsa_ieee_mode 1
		.amdhsa_fp16_overflow 0
		.amdhsa_exception_fp_ieee_invalid_op 0
		.amdhsa_exception_fp_denorm_src 0
		.amdhsa_exception_fp_ieee_div_zero 0
		.amdhsa_exception_fp_ieee_overflow 0
		.amdhsa_exception_fp_ieee_underflow 0
		.amdhsa_exception_fp_ieee_inexact 0
		.amdhsa_exception_int_div_zero 0
	.end_amdhsa_kernel
	.section	.text._ZN7rocprim17ROCPRIM_400000_NS6detail17trampoline_kernelINS0_14default_configENS1_25transform_config_selectorIN3c108BFloat16ELb1EEEZNS1_14transform_implILb1ES3_S7_PS6_S9_NS0_8identityIS6_EEEE10hipError_tT2_T3_mT4_P12ihipStream_tbEUlT_E_NS1_11comp_targetILNS1_3genE4ELNS1_11target_archE910ELNS1_3gpuE8ELNS1_3repE0EEENS1_30default_config_static_selectorELNS0_4arch9wavefront6targetE1EEEvT1_,"axG",@progbits,_ZN7rocprim17ROCPRIM_400000_NS6detail17trampoline_kernelINS0_14default_configENS1_25transform_config_selectorIN3c108BFloat16ELb1EEEZNS1_14transform_implILb1ES3_S7_PS6_S9_NS0_8identityIS6_EEEE10hipError_tT2_T3_mT4_P12ihipStream_tbEUlT_E_NS1_11comp_targetILNS1_3genE4ELNS1_11target_archE910ELNS1_3gpuE8ELNS1_3repE0EEENS1_30default_config_static_selectorELNS0_4arch9wavefront6targetE1EEEvT1_,comdat
.Lfunc_end2029:
	.size	_ZN7rocprim17ROCPRIM_400000_NS6detail17trampoline_kernelINS0_14default_configENS1_25transform_config_selectorIN3c108BFloat16ELb1EEEZNS1_14transform_implILb1ES3_S7_PS6_S9_NS0_8identityIS6_EEEE10hipError_tT2_T3_mT4_P12ihipStream_tbEUlT_E_NS1_11comp_targetILNS1_3genE4ELNS1_11target_archE910ELNS1_3gpuE8ELNS1_3repE0EEENS1_30default_config_static_selectorELNS0_4arch9wavefront6targetE1EEEvT1_, .Lfunc_end2029-_ZN7rocprim17ROCPRIM_400000_NS6detail17trampoline_kernelINS0_14default_configENS1_25transform_config_selectorIN3c108BFloat16ELb1EEEZNS1_14transform_implILb1ES3_S7_PS6_S9_NS0_8identityIS6_EEEE10hipError_tT2_T3_mT4_P12ihipStream_tbEUlT_E_NS1_11comp_targetILNS1_3genE4ELNS1_11target_archE910ELNS1_3gpuE8ELNS1_3repE0EEENS1_30default_config_static_selectorELNS0_4arch9wavefront6targetE1EEEvT1_
                                        ; -- End function
	.set _ZN7rocprim17ROCPRIM_400000_NS6detail17trampoline_kernelINS0_14default_configENS1_25transform_config_selectorIN3c108BFloat16ELb1EEEZNS1_14transform_implILb1ES3_S7_PS6_S9_NS0_8identityIS6_EEEE10hipError_tT2_T3_mT4_P12ihipStream_tbEUlT_E_NS1_11comp_targetILNS1_3genE4ELNS1_11target_archE910ELNS1_3gpuE8ELNS1_3repE0EEENS1_30default_config_static_selectorELNS0_4arch9wavefront6targetE1EEEvT1_.num_vgpr, 0
	.set _ZN7rocprim17ROCPRIM_400000_NS6detail17trampoline_kernelINS0_14default_configENS1_25transform_config_selectorIN3c108BFloat16ELb1EEEZNS1_14transform_implILb1ES3_S7_PS6_S9_NS0_8identityIS6_EEEE10hipError_tT2_T3_mT4_P12ihipStream_tbEUlT_E_NS1_11comp_targetILNS1_3genE4ELNS1_11target_archE910ELNS1_3gpuE8ELNS1_3repE0EEENS1_30default_config_static_selectorELNS0_4arch9wavefront6targetE1EEEvT1_.num_agpr, 0
	.set _ZN7rocprim17ROCPRIM_400000_NS6detail17trampoline_kernelINS0_14default_configENS1_25transform_config_selectorIN3c108BFloat16ELb1EEEZNS1_14transform_implILb1ES3_S7_PS6_S9_NS0_8identityIS6_EEEE10hipError_tT2_T3_mT4_P12ihipStream_tbEUlT_E_NS1_11comp_targetILNS1_3genE4ELNS1_11target_archE910ELNS1_3gpuE8ELNS1_3repE0EEENS1_30default_config_static_selectorELNS0_4arch9wavefront6targetE1EEEvT1_.numbered_sgpr, 0
	.set _ZN7rocprim17ROCPRIM_400000_NS6detail17trampoline_kernelINS0_14default_configENS1_25transform_config_selectorIN3c108BFloat16ELb1EEEZNS1_14transform_implILb1ES3_S7_PS6_S9_NS0_8identityIS6_EEEE10hipError_tT2_T3_mT4_P12ihipStream_tbEUlT_E_NS1_11comp_targetILNS1_3genE4ELNS1_11target_archE910ELNS1_3gpuE8ELNS1_3repE0EEENS1_30default_config_static_selectorELNS0_4arch9wavefront6targetE1EEEvT1_.num_named_barrier, 0
	.set _ZN7rocprim17ROCPRIM_400000_NS6detail17trampoline_kernelINS0_14default_configENS1_25transform_config_selectorIN3c108BFloat16ELb1EEEZNS1_14transform_implILb1ES3_S7_PS6_S9_NS0_8identityIS6_EEEE10hipError_tT2_T3_mT4_P12ihipStream_tbEUlT_E_NS1_11comp_targetILNS1_3genE4ELNS1_11target_archE910ELNS1_3gpuE8ELNS1_3repE0EEENS1_30default_config_static_selectorELNS0_4arch9wavefront6targetE1EEEvT1_.private_seg_size, 0
	.set _ZN7rocprim17ROCPRIM_400000_NS6detail17trampoline_kernelINS0_14default_configENS1_25transform_config_selectorIN3c108BFloat16ELb1EEEZNS1_14transform_implILb1ES3_S7_PS6_S9_NS0_8identityIS6_EEEE10hipError_tT2_T3_mT4_P12ihipStream_tbEUlT_E_NS1_11comp_targetILNS1_3genE4ELNS1_11target_archE910ELNS1_3gpuE8ELNS1_3repE0EEENS1_30default_config_static_selectorELNS0_4arch9wavefront6targetE1EEEvT1_.uses_vcc, 0
	.set _ZN7rocprim17ROCPRIM_400000_NS6detail17trampoline_kernelINS0_14default_configENS1_25transform_config_selectorIN3c108BFloat16ELb1EEEZNS1_14transform_implILb1ES3_S7_PS6_S9_NS0_8identityIS6_EEEE10hipError_tT2_T3_mT4_P12ihipStream_tbEUlT_E_NS1_11comp_targetILNS1_3genE4ELNS1_11target_archE910ELNS1_3gpuE8ELNS1_3repE0EEENS1_30default_config_static_selectorELNS0_4arch9wavefront6targetE1EEEvT1_.uses_flat_scratch, 0
	.set _ZN7rocprim17ROCPRIM_400000_NS6detail17trampoline_kernelINS0_14default_configENS1_25transform_config_selectorIN3c108BFloat16ELb1EEEZNS1_14transform_implILb1ES3_S7_PS6_S9_NS0_8identityIS6_EEEE10hipError_tT2_T3_mT4_P12ihipStream_tbEUlT_E_NS1_11comp_targetILNS1_3genE4ELNS1_11target_archE910ELNS1_3gpuE8ELNS1_3repE0EEENS1_30default_config_static_selectorELNS0_4arch9wavefront6targetE1EEEvT1_.has_dyn_sized_stack, 0
	.set _ZN7rocprim17ROCPRIM_400000_NS6detail17trampoline_kernelINS0_14default_configENS1_25transform_config_selectorIN3c108BFloat16ELb1EEEZNS1_14transform_implILb1ES3_S7_PS6_S9_NS0_8identityIS6_EEEE10hipError_tT2_T3_mT4_P12ihipStream_tbEUlT_E_NS1_11comp_targetILNS1_3genE4ELNS1_11target_archE910ELNS1_3gpuE8ELNS1_3repE0EEENS1_30default_config_static_selectorELNS0_4arch9wavefront6targetE1EEEvT1_.has_recursion, 0
	.set _ZN7rocprim17ROCPRIM_400000_NS6detail17trampoline_kernelINS0_14default_configENS1_25transform_config_selectorIN3c108BFloat16ELb1EEEZNS1_14transform_implILb1ES3_S7_PS6_S9_NS0_8identityIS6_EEEE10hipError_tT2_T3_mT4_P12ihipStream_tbEUlT_E_NS1_11comp_targetILNS1_3genE4ELNS1_11target_archE910ELNS1_3gpuE8ELNS1_3repE0EEENS1_30default_config_static_selectorELNS0_4arch9wavefront6targetE1EEEvT1_.has_indirect_call, 0
	.section	.AMDGPU.csdata,"",@progbits
; Kernel info:
; codeLenInByte = 0
; TotalNumSgprs: 4
; NumVgprs: 0
; ScratchSize: 0
; MemoryBound: 0
; FloatMode: 240
; IeeeMode: 1
; LDSByteSize: 0 bytes/workgroup (compile time only)
; SGPRBlocks: 0
; VGPRBlocks: 0
; NumSGPRsForWavesPerEU: 4
; NumVGPRsForWavesPerEU: 1
; Occupancy: 10
; WaveLimiterHint : 0
; COMPUTE_PGM_RSRC2:SCRATCH_EN: 0
; COMPUTE_PGM_RSRC2:USER_SGPR: 6
; COMPUTE_PGM_RSRC2:TRAP_HANDLER: 0
; COMPUTE_PGM_RSRC2:TGID_X_EN: 1
; COMPUTE_PGM_RSRC2:TGID_Y_EN: 0
; COMPUTE_PGM_RSRC2:TGID_Z_EN: 0
; COMPUTE_PGM_RSRC2:TIDIG_COMP_CNT: 0
	.section	.text._ZN7rocprim17ROCPRIM_400000_NS6detail17trampoline_kernelINS0_14default_configENS1_25transform_config_selectorIN3c108BFloat16ELb1EEEZNS1_14transform_implILb1ES3_S7_PS6_S9_NS0_8identityIS6_EEEE10hipError_tT2_T3_mT4_P12ihipStream_tbEUlT_E_NS1_11comp_targetILNS1_3genE3ELNS1_11target_archE908ELNS1_3gpuE7ELNS1_3repE0EEENS1_30default_config_static_selectorELNS0_4arch9wavefront6targetE1EEEvT1_,"axG",@progbits,_ZN7rocprim17ROCPRIM_400000_NS6detail17trampoline_kernelINS0_14default_configENS1_25transform_config_selectorIN3c108BFloat16ELb1EEEZNS1_14transform_implILb1ES3_S7_PS6_S9_NS0_8identityIS6_EEEE10hipError_tT2_T3_mT4_P12ihipStream_tbEUlT_E_NS1_11comp_targetILNS1_3genE3ELNS1_11target_archE908ELNS1_3gpuE7ELNS1_3repE0EEENS1_30default_config_static_selectorELNS0_4arch9wavefront6targetE1EEEvT1_,comdat
	.protected	_ZN7rocprim17ROCPRIM_400000_NS6detail17trampoline_kernelINS0_14default_configENS1_25transform_config_selectorIN3c108BFloat16ELb1EEEZNS1_14transform_implILb1ES3_S7_PS6_S9_NS0_8identityIS6_EEEE10hipError_tT2_T3_mT4_P12ihipStream_tbEUlT_E_NS1_11comp_targetILNS1_3genE3ELNS1_11target_archE908ELNS1_3gpuE7ELNS1_3repE0EEENS1_30default_config_static_selectorELNS0_4arch9wavefront6targetE1EEEvT1_ ; -- Begin function _ZN7rocprim17ROCPRIM_400000_NS6detail17trampoline_kernelINS0_14default_configENS1_25transform_config_selectorIN3c108BFloat16ELb1EEEZNS1_14transform_implILb1ES3_S7_PS6_S9_NS0_8identityIS6_EEEE10hipError_tT2_T3_mT4_P12ihipStream_tbEUlT_E_NS1_11comp_targetILNS1_3genE3ELNS1_11target_archE908ELNS1_3gpuE7ELNS1_3repE0EEENS1_30default_config_static_selectorELNS0_4arch9wavefront6targetE1EEEvT1_
	.globl	_ZN7rocprim17ROCPRIM_400000_NS6detail17trampoline_kernelINS0_14default_configENS1_25transform_config_selectorIN3c108BFloat16ELb1EEEZNS1_14transform_implILb1ES3_S7_PS6_S9_NS0_8identityIS6_EEEE10hipError_tT2_T3_mT4_P12ihipStream_tbEUlT_E_NS1_11comp_targetILNS1_3genE3ELNS1_11target_archE908ELNS1_3gpuE7ELNS1_3repE0EEENS1_30default_config_static_selectorELNS0_4arch9wavefront6targetE1EEEvT1_
	.p2align	8
	.type	_ZN7rocprim17ROCPRIM_400000_NS6detail17trampoline_kernelINS0_14default_configENS1_25transform_config_selectorIN3c108BFloat16ELb1EEEZNS1_14transform_implILb1ES3_S7_PS6_S9_NS0_8identityIS6_EEEE10hipError_tT2_T3_mT4_P12ihipStream_tbEUlT_E_NS1_11comp_targetILNS1_3genE3ELNS1_11target_archE908ELNS1_3gpuE7ELNS1_3repE0EEENS1_30default_config_static_selectorELNS0_4arch9wavefront6targetE1EEEvT1_,@function
_ZN7rocprim17ROCPRIM_400000_NS6detail17trampoline_kernelINS0_14default_configENS1_25transform_config_selectorIN3c108BFloat16ELb1EEEZNS1_14transform_implILb1ES3_S7_PS6_S9_NS0_8identityIS6_EEEE10hipError_tT2_T3_mT4_P12ihipStream_tbEUlT_E_NS1_11comp_targetILNS1_3genE3ELNS1_11target_archE908ELNS1_3gpuE7ELNS1_3repE0EEENS1_30default_config_static_selectorELNS0_4arch9wavefront6targetE1EEEvT1_: ; @_ZN7rocprim17ROCPRIM_400000_NS6detail17trampoline_kernelINS0_14default_configENS1_25transform_config_selectorIN3c108BFloat16ELb1EEEZNS1_14transform_implILb1ES3_S7_PS6_S9_NS0_8identityIS6_EEEE10hipError_tT2_T3_mT4_P12ihipStream_tbEUlT_E_NS1_11comp_targetILNS1_3genE3ELNS1_11target_archE908ELNS1_3gpuE7ELNS1_3repE0EEENS1_30default_config_static_selectorELNS0_4arch9wavefront6targetE1EEEvT1_
; %bb.0:
	.section	.rodata,"a",@progbits
	.p2align	6, 0x0
	.amdhsa_kernel _ZN7rocprim17ROCPRIM_400000_NS6detail17trampoline_kernelINS0_14default_configENS1_25transform_config_selectorIN3c108BFloat16ELb1EEEZNS1_14transform_implILb1ES3_S7_PS6_S9_NS0_8identityIS6_EEEE10hipError_tT2_T3_mT4_P12ihipStream_tbEUlT_E_NS1_11comp_targetILNS1_3genE3ELNS1_11target_archE908ELNS1_3gpuE7ELNS1_3repE0EEENS1_30default_config_static_selectorELNS0_4arch9wavefront6targetE1EEEvT1_
		.amdhsa_group_segment_fixed_size 0
		.amdhsa_private_segment_fixed_size 0
		.amdhsa_kernarg_size 40
		.amdhsa_user_sgpr_count 6
		.amdhsa_user_sgpr_private_segment_buffer 1
		.amdhsa_user_sgpr_dispatch_ptr 0
		.amdhsa_user_sgpr_queue_ptr 0
		.amdhsa_user_sgpr_kernarg_segment_ptr 1
		.amdhsa_user_sgpr_dispatch_id 0
		.amdhsa_user_sgpr_flat_scratch_init 0
		.amdhsa_user_sgpr_private_segment_size 0
		.amdhsa_uses_dynamic_stack 0
		.amdhsa_system_sgpr_private_segment_wavefront_offset 0
		.amdhsa_system_sgpr_workgroup_id_x 1
		.amdhsa_system_sgpr_workgroup_id_y 0
		.amdhsa_system_sgpr_workgroup_id_z 0
		.amdhsa_system_sgpr_workgroup_info 0
		.amdhsa_system_vgpr_workitem_id 0
		.amdhsa_next_free_vgpr 1
		.amdhsa_next_free_sgpr 0
		.amdhsa_reserve_vcc 0
		.amdhsa_reserve_flat_scratch 0
		.amdhsa_float_round_mode_32 0
		.amdhsa_float_round_mode_16_64 0
		.amdhsa_float_denorm_mode_32 3
		.amdhsa_float_denorm_mode_16_64 3
		.amdhsa_dx10_clamp 1
		.amdhsa_ieee_mode 1
		.amdhsa_fp16_overflow 0
		.amdhsa_exception_fp_ieee_invalid_op 0
		.amdhsa_exception_fp_denorm_src 0
		.amdhsa_exception_fp_ieee_div_zero 0
		.amdhsa_exception_fp_ieee_overflow 0
		.amdhsa_exception_fp_ieee_underflow 0
		.amdhsa_exception_fp_ieee_inexact 0
		.amdhsa_exception_int_div_zero 0
	.end_amdhsa_kernel
	.section	.text._ZN7rocprim17ROCPRIM_400000_NS6detail17trampoline_kernelINS0_14default_configENS1_25transform_config_selectorIN3c108BFloat16ELb1EEEZNS1_14transform_implILb1ES3_S7_PS6_S9_NS0_8identityIS6_EEEE10hipError_tT2_T3_mT4_P12ihipStream_tbEUlT_E_NS1_11comp_targetILNS1_3genE3ELNS1_11target_archE908ELNS1_3gpuE7ELNS1_3repE0EEENS1_30default_config_static_selectorELNS0_4arch9wavefront6targetE1EEEvT1_,"axG",@progbits,_ZN7rocprim17ROCPRIM_400000_NS6detail17trampoline_kernelINS0_14default_configENS1_25transform_config_selectorIN3c108BFloat16ELb1EEEZNS1_14transform_implILb1ES3_S7_PS6_S9_NS0_8identityIS6_EEEE10hipError_tT2_T3_mT4_P12ihipStream_tbEUlT_E_NS1_11comp_targetILNS1_3genE3ELNS1_11target_archE908ELNS1_3gpuE7ELNS1_3repE0EEENS1_30default_config_static_selectorELNS0_4arch9wavefront6targetE1EEEvT1_,comdat
.Lfunc_end2030:
	.size	_ZN7rocprim17ROCPRIM_400000_NS6detail17trampoline_kernelINS0_14default_configENS1_25transform_config_selectorIN3c108BFloat16ELb1EEEZNS1_14transform_implILb1ES3_S7_PS6_S9_NS0_8identityIS6_EEEE10hipError_tT2_T3_mT4_P12ihipStream_tbEUlT_E_NS1_11comp_targetILNS1_3genE3ELNS1_11target_archE908ELNS1_3gpuE7ELNS1_3repE0EEENS1_30default_config_static_selectorELNS0_4arch9wavefront6targetE1EEEvT1_, .Lfunc_end2030-_ZN7rocprim17ROCPRIM_400000_NS6detail17trampoline_kernelINS0_14default_configENS1_25transform_config_selectorIN3c108BFloat16ELb1EEEZNS1_14transform_implILb1ES3_S7_PS6_S9_NS0_8identityIS6_EEEE10hipError_tT2_T3_mT4_P12ihipStream_tbEUlT_E_NS1_11comp_targetILNS1_3genE3ELNS1_11target_archE908ELNS1_3gpuE7ELNS1_3repE0EEENS1_30default_config_static_selectorELNS0_4arch9wavefront6targetE1EEEvT1_
                                        ; -- End function
	.set _ZN7rocprim17ROCPRIM_400000_NS6detail17trampoline_kernelINS0_14default_configENS1_25transform_config_selectorIN3c108BFloat16ELb1EEEZNS1_14transform_implILb1ES3_S7_PS6_S9_NS0_8identityIS6_EEEE10hipError_tT2_T3_mT4_P12ihipStream_tbEUlT_E_NS1_11comp_targetILNS1_3genE3ELNS1_11target_archE908ELNS1_3gpuE7ELNS1_3repE0EEENS1_30default_config_static_selectorELNS0_4arch9wavefront6targetE1EEEvT1_.num_vgpr, 0
	.set _ZN7rocprim17ROCPRIM_400000_NS6detail17trampoline_kernelINS0_14default_configENS1_25transform_config_selectorIN3c108BFloat16ELb1EEEZNS1_14transform_implILb1ES3_S7_PS6_S9_NS0_8identityIS6_EEEE10hipError_tT2_T3_mT4_P12ihipStream_tbEUlT_E_NS1_11comp_targetILNS1_3genE3ELNS1_11target_archE908ELNS1_3gpuE7ELNS1_3repE0EEENS1_30default_config_static_selectorELNS0_4arch9wavefront6targetE1EEEvT1_.num_agpr, 0
	.set _ZN7rocprim17ROCPRIM_400000_NS6detail17trampoline_kernelINS0_14default_configENS1_25transform_config_selectorIN3c108BFloat16ELb1EEEZNS1_14transform_implILb1ES3_S7_PS6_S9_NS0_8identityIS6_EEEE10hipError_tT2_T3_mT4_P12ihipStream_tbEUlT_E_NS1_11comp_targetILNS1_3genE3ELNS1_11target_archE908ELNS1_3gpuE7ELNS1_3repE0EEENS1_30default_config_static_selectorELNS0_4arch9wavefront6targetE1EEEvT1_.numbered_sgpr, 0
	.set _ZN7rocprim17ROCPRIM_400000_NS6detail17trampoline_kernelINS0_14default_configENS1_25transform_config_selectorIN3c108BFloat16ELb1EEEZNS1_14transform_implILb1ES3_S7_PS6_S9_NS0_8identityIS6_EEEE10hipError_tT2_T3_mT4_P12ihipStream_tbEUlT_E_NS1_11comp_targetILNS1_3genE3ELNS1_11target_archE908ELNS1_3gpuE7ELNS1_3repE0EEENS1_30default_config_static_selectorELNS0_4arch9wavefront6targetE1EEEvT1_.num_named_barrier, 0
	.set _ZN7rocprim17ROCPRIM_400000_NS6detail17trampoline_kernelINS0_14default_configENS1_25transform_config_selectorIN3c108BFloat16ELb1EEEZNS1_14transform_implILb1ES3_S7_PS6_S9_NS0_8identityIS6_EEEE10hipError_tT2_T3_mT4_P12ihipStream_tbEUlT_E_NS1_11comp_targetILNS1_3genE3ELNS1_11target_archE908ELNS1_3gpuE7ELNS1_3repE0EEENS1_30default_config_static_selectorELNS0_4arch9wavefront6targetE1EEEvT1_.private_seg_size, 0
	.set _ZN7rocprim17ROCPRIM_400000_NS6detail17trampoline_kernelINS0_14default_configENS1_25transform_config_selectorIN3c108BFloat16ELb1EEEZNS1_14transform_implILb1ES3_S7_PS6_S9_NS0_8identityIS6_EEEE10hipError_tT2_T3_mT4_P12ihipStream_tbEUlT_E_NS1_11comp_targetILNS1_3genE3ELNS1_11target_archE908ELNS1_3gpuE7ELNS1_3repE0EEENS1_30default_config_static_selectorELNS0_4arch9wavefront6targetE1EEEvT1_.uses_vcc, 0
	.set _ZN7rocprim17ROCPRIM_400000_NS6detail17trampoline_kernelINS0_14default_configENS1_25transform_config_selectorIN3c108BFloat16ELb1EEEZNS1_14transform_implILb1ES3_S7_PS6_S9_NS0_8identityIS6_EEEE10hipError_tT2_T3_mT4_P12ihipStream_tbEUlT_E_NS1_11comp_targetILNS1_3genE3ELNS1_11target_archE908ELNS1_3gpuE7ELNS1_3repE0EEENS1_30default_config_static_selectorELNS0_4arch9wavefront6targetE1EEEvT1_.uses_flat_scratch, 0
	.set _ZN7rocprim17ROCPRIM_400000_NS6detail17trampoline_kernelINS0_14default_configENS1_25transform_config_selectorIN3c108BFloat16ELb1EEEZNS1_14transform_implILb1ES3_S7_PS6_S9_NS0_8identityIS6_EEEE10hipError_tT2_T3_mT4_P12ihipStream_tbEUlT_E_NS1_11comp_targetILNS1_3genE3ELNS1_11target_archE908ELNS1_3gpuE7ELNS1_3repE0EEENS1_30default_config_static_selectorELNS0_4arch9wavefront6targetE1EEEvT1_.has_dyn_sized_stack, 0
	.set _ZN7rocprim17ROCPRIM_400000_NS6detail17trampoline_kernelINS0_14default_configENS1_25transform_config_selectorIN3c108BFloat16ELb1EEEZNS1_14transform_implILb1ES3_S7_PS6_S9_NS0_8identityIS6_EEEE10hipError_tT2_T3_mT4_P12ihipStream_tbEUlT_E_NS1_11comp_targetILNS1_3genE3ELNS1_11target_archE908ELNS1_3gpuE7ELNS1_3repE0EEENS1_30default_config_static_selectorELNS0_4arch9wavefront6targetE1EEEvT1_.has_recursion, 0
	.set _ZN7rocprim17ROCPRIM_400000_NS6detail17trampoline_kernelINS0_14default_configENS1_25transform_config_selectorIN3c108BFloat16ELb1EEEZNS1_14transform_implILb1ES3_S7_PS6_S9_NS0_8identityIS6_EEEE10hipError_tT2_T3_mT4_P12ihipStream_tbEUlT_E_NS1_11comp_targetILNS1_3genE3ELNS1_11target_archE908ELNS1_3gpuE7ELNS1_3repE0EEENS1_30default_config_static_selectorELNS0_4arch9wavefront6targetE1EEEvT1_.has_indirect_call, 0
	.section	.AMDGPU.csdata,"",@progbits
; Kernel info:
; codeLenInByte = 0
; TotalNumSgprs: 4
; NumVgprs: 0
; ScratchSize: 0
; MemoryBound: 0
; FloatMode: 240
; IeeeMode: 1
; LDSByteSize: 0 bytes/workgroup (compile time only)
; SGPRBlocks: 0
; VGPRBlocks: 0
; NumSGPRsForWavesPerEU: 4
; NumVGPRsForWavesPerEU: 1
; Occupancy: 10
; WaveLimiterHint : 0
; COMPUTE_PGM_RSRC2:SCRATCH_EN: 0
; COMPUTE_PGM_RSRC2:USER_SGPR: 6
; COMPUTE_PGM_RSRC2:TRAP_HANDLER: 0
; COMPUTE_PGM_RSRC2:TGID_X_EN: 1
; COMPUTE_PGM_RSRC2:TGID_Y_EN: 0
; COMPUTE_PGM_RSRC2:TGID_Z_EN: 0
; COMPUTE_PGM_RSRC2:TIDIG_COMP_CNT: 0
	.section	.text._ZN7rocprim17ROCPRIM_400000_NS6detail17trampoline_kernelINS0_14default_configENS1_25transform_config_selectorIN3c108BFloat16ELb1EEEZNS1_14transform_implILb1ES3_S7_PS6_S9_NS0_8identityIS6_EEEE10hipError_tT2_T3_mT4_P12ihipStream_tbEUlT_E_NS1_11comp_targetILNS1_3genE2ELNS1_11target_archE906ELNS1_3gpuE6ELNS1_3repE0EEENS1_30default_config_static_selectorELNS0_4arch9wavefront6targetE1EEEvT1_,"axG",@progbits,_ZN7rocprim17ROCPRIM_400000_NS6detail17trampoline_kernelINS0_14default_configENS1_25transform_config_selectorIN3c108BFloat16ELb1EEEZNS1_14transform_implILb1ES3_S7_PS6_S9_NS0_8identityIS6_EEEE10hipError_tT2_T3_mT4_P12ihipStream_tbEUlT_E_NS1_11comp_targetILNS1_3genE2ELNS1_11target_archE906ELNS1_3gpuE6ELNS1_3repE0EEENS1_30default_config_static_selectorELNS0_4arch9wavefront6targetE1EEEvT1_,comdat
	.protected	_ZN7rocprim17ROCPRIM_400000_NS6detail17trampoline_kernelINS0_14default_configENS1_25transform_config_selectorIN3c108BFloat16ELb1EEEZNS1_14transform_implILb1ES3_S7_PS6_S9_NS0_8identityIS6_EEEE10hipError_tT2_T3_mT4_P12ihipStream_tbEUlT_E_NS1_11comp_targetILNS1_3genE2ELNS1_11target_archE906ELNS1_3gpuE6ELNS1_3repE0EEENS1_30default_config_static_selectorELNS0_4arch9wavefront6targetE1EEEvT1_ ; -- Begin function _ZN7rocprim17ROCPRIM_400000_NS6detail17trampoline_kernelINS0_14default_configENS1_25transform_config_selectorIN3c108BFloat16ELb1EEEZNS1_14transform_implILb1ES3_S7_PS6_S9_NS0_8identityIS6_EEEE10hipError_tT2_T3_mT4_P12ihipStream_tbEUlT_E_NS1_11comp_targetILNS1_3genE2ELNS1_11target_archE906ELNS1_3gpuE6ELNS1_3repE0EEENS1_30default_config_static_selectorELNS0_4arch9wavefront6targetE1EEEvT1_
	.globl	_ZN7rocprim17ROCPRIM_400000_NS6detail17trampoline_kernelINS0_14default_configENS1_25transform_config_selectorIN3c108BFloat16ELb1EEEZNS1_14transform_implILb1ES3_S7_PS6_S9_NS0_8identityIS6_EEEE10hipError_tT2_T3_mT4_P12ihipStream_tbEUlT_E_NS1_11comp_targetILNS1_3genE2ELNS1_11target_archE906ELNS1_3gpuE6ELNS1_3repE0EEENS1_30default_config_static_selectorELNS0_4arch9wavefront6targetE1EEEvT1_
	.p2align	8
	.type	_ZN7rocprim17ROCPRIM_400000_NS6detail17trampoline_kernelINS0_14default_configENS1_25transform_config_selectorIN3c108BFloat16ELb1EEEZNS1_14transform_implILb1ES3_S7_PS6_S9_NS0_8identityIS6_EEEE10hipError_tT2_T3_mT4_P12ihipStream_tbEUlT_E_NS1_11comp_targetILNS1_3genE2ELNS1_11target_archE906ELNS1_3gpuE6ELNS1_3repE0EEENS1_30default_config_static_selectorELNS0_4arch9wavefront6targetE1EEEvT1_,@function
_ZN7rocprim17ROCPRIM_400000_NS6detail17trampoline_kernelINS0_14default_configENS1_25transform_config_selectorIN3c108BFloat16ELb1EEEZNS1_14transform_implILb1ES3_S7_PS6_S9_NS0_8identityIS6_EEEE10hipError_tT2_T3_mT4_P12ihipStream_tbEUlT_E_NS1_11comp_targetILNS1_3genE2ELNS1_11target_archE906ELNS1_3gpuE6ELNS1_3repE0EEENS1_30default_config_static_selectorELNS0_4arch9wavefront6targetE1EEEvT1_: ; @_ZN7rocprim17ROCPRIM_400000_NS6detail17trampoline_kernelINS0_14default_configENS1_25transform_config_selectorIN3c108BFloat16ELb1EEEZNS1_14transform_implILb1ES3_S7_PS6_S9_NS0_8identityIS6_EEEE10hipError_tT2_T3_mT4_P12ihipStream_tbEUlT_E_NS1_11comp_targetILNS1_3genE2ELNS1_11target_archE906ELNS1_3gpuE6ELNS1_3repE0EEENS1_30default_config_static_selectorELNS0_4arch9wavefront6targetE1EEEvT1_
; %bb.0:
	s_load_dwordx8 s[8:15], s[4:5], 0x0
	s_load_dword s2, s[4:5], 0x28
	s_waitcnt lgkmcnt(0)
	s_lshl_b64 s[0:1], s[10:11], 1
	s_add_u32 s3, s8, s0
	s_addc_u32 s4, s9, s1
	s_add_u32 s20, s14, s0
	s_addc_u32 s21, s15, s1
	s_lshl_b32 s0, s6, 13
	s_mov_b32 s1, 0
	s_add_i32 s2, s2, -1
	s_lshl_b64 s[14:15], s[0:1], 1
	s_add_u32 s16, s3, s14
	s_addc_u32 s17, s4, s15
	s_cmp_lg_u32 s6, s2
	s_mov_b64 s[2:3], -1
	s_cbranch_scc0 .LBB2031_2
; %bb.1:
	v_lshlrev_b32_e32 v5, 4, v0
	global_load_dwordx4 v[1:4], v5, s[16:17]
	s_add_u32 s2, s20, s14
	s_addc_u32 s3, s21, s15
	s_waitcnt vmcnt(0)
	global_store_dwordx4 v5, v[1:4], s[2:3]
	s_mov_b64 s[2:3], 0
.LBB2031_2:
	s_andn2_b64 vcc, exec, s[2:3]
	s_cbranch_vccnz .LBB2031_28
; %bb.3:
	s_sub_i32 s18, s12, s0
	v_cmp_gt_u32_e32 vcc, s18, v0
	v_lshlrev_b32_e32 v1, 1, v0
                                        ; implicit-def: $vgpr2
	s_and_saveexec_b64 s[0:1], vcc
	s_cbranch_execz .LBB2031_5
; %bb.4:
	global_load_ushort v2, v1, s[16:17]
.LBB2031_5:
	s_or_b64 exec, exec, s[0:1]
	v_or_b32_e32 v3, 0x400, v0
	v_cmp_gt_u32_e64 s[0:1], s18, v3
                                        ; implicit-def: $vgpr3
	s_and_saveexec_b64 s[2:3], s[0:1]
	s_cbranch_execz .LBB2031_7
; %bb.6:
	global_load_ushort v3, v1, s[16:17] offset:2048
.LBB2031_7:
	s_or_b64 exec, exec, s[2:3]
	v_or_b32_e32 v5, 0x800, v0
	v_cmp_gt_u32_e64 s[2:3], s18, v5
                                        ; implicit-def: $vgpr4
	s_and_saveexec_b64 s[4:5], s[2:3]
	s_cbranch_execz .LBB2031_9
; %bb.8:
	v_lshlrev_b32_e32 v4, 1, v5
	global_load_ushort v4, v4, s[16:17]
.LBB2031_9:
	s_or_b64 exec, exec, s[4:5]
	v_or_b32_e32 v6, 0xc00, v0
	v_cmp_gt_u32_e64 s[4:5], s18, v6
                                        ; implicit-def: $vgpr5
	s_and_saveexec_b64 s[6:7], s[4:5]
	s_cbranch_execz .LBB2031_11
; %bb.10:
	v_lshlrev_b32_e32 v5, 1, v6
	global_load_ushort v5, v5, s[16:17]
.LBB2031_11:
	s_or_b64 exec, exec, s[6:7]
	v_or_b32_e32 v7, 0x1000, v0
	v_cmp_gt_u32_e64 s[6:7], s18, v7
                                        ; implicit-def: $vgpr6
	s_and_saveexec_b64 s[8:9], s[6:7]
	s_cbranch_execz .LBB2031_13
; %bb.12:
	v_lshlrev_b32_e32 v6, 1, v7
	global_load_ushort v6, v6, s[16:17]
.LBB2031_13:
	s_or_b64 exec, exec, s[8:9]
	v_or_b32_e32 v8, 0x1400, v0
	v_cmp_gt_u32_e64 s[8:9], s18, v8
                                        ; implicit-def: $vgpr7
	s_and_saveexec_b64 s[10:11], s[8:9]
	s_cbranch_execz .LBB2031_15
; %bb.14:
	v_lshlrev_b32_e32 v7, 1, v8
	global_load_ushort v7, v7, s[16:17]
.LBB2031_15:
	s_or_b64 exec, exec, s[10:11]
	v_or_b32_e32 v9, 0x1800, v0
	v_cmp_gt_u32_e64 s[10:11], s18, v9
                                        ; implicit-def: $vgpr8
	s_and_saveexec_b64 s[12:13], s[10:11]
	s_cbranch_execz .LBB2031_17
; %bb.16:
	v_lshlrev_b32_e32 v8, 1, v9
	global_load_ushort v8, v8, s[16:17]
.LBB2031_17:
	s_or_b64 exec, exec, s[12:13]
	v_or_b32_e32 v0, 0x1c00, v0
	v_cmp_gt_u32_e64 s[12:13], s18, v0
                                        ; implicit-def: $vgpr9
	s_and_saveexec_b64 s[18:19], s[12:13]
	s_cbranch_execz .LBB2031_19
; %bb.18:
	v_lshlrev_b32_e32 v0, 1, v0
	global_load_ushort v9, v0, s[16:17]
.LBB2031_19:
	s_or_b64 exec, exec, s[18:19]
	s_add_u32 s14, s20, s14
	s_addc_u32 s15, s21, s15
	v_mov_b32_e32 v10, s15
	v_add_co_u32_e64 v0, s[14:15], s14, v1
	v_addc_co_u32_e64 v1, s[14:15], 0, v10, s[14:15]
	s_and_saveexec_b64 s[14:15], vcc
	s_cbranch_execnz .LBB2031_29
; %bb.20:
	s_or_b64 exec, exec, s[14:15]
	s_and_saveexec_b64 s[14:15], s[0:1]
	s_cbranch_execnz .LBB2031_30
.LBB2031_21:
	s_or_b64 exec, exec, s[14:15]
	s_and_saveexec_b64 s[0:1], s[2:3]
	s_cbranch_execnz .LBB2031_31
.LBB2031_22:
	s_or_b64 exec, exec, s[0:1]
	s_and_saveexec_b64 s[0:1], s[4:5]
	s_cbranch_execnz .LBB2031_32
.LBB2031_23:
	s_or_b64 exec, exec, s[0:1]
	s_and_saveexec_b64 s[0:1], s[6:7]
	s_cbranch_execnz .LBB2031_33
.LBB2031_24:
	s_or_b64 exec, exec, s[0:1]
	s_and_saveexec_b64 s[0:1], s[8:9]
	s_cbranch_execnz .LBB2031_34
.LBB2031_25:
	s_or_b64 exec, exec, s[0:1]
	s_and_saveexec_b64 s[0:1], s[10:11]
	s_cbranch_execnz .LBB2031_35
.LBB2031_26:
	s_or_b64 exec, exec, s[0:1]
	s_and_saveexec_b64 s[0:1], s[12:13]
	s_cbranch_execz .LBB2031_28
.LBB2031_27:
	v_add_co_u32_e32 v0, vcc, 0x3000, v0
	v_addc_co_u32_e32 v1, vcc, 0, v1, vcc
	s_waitcnt vmcnt(0)
	global_store_short v[0:1], v9, off offset:2048
.LBB2031_28:
	s_endpgm
.LBB2031_29:
	s_waitcnt vmcnt(0)
	global_store_short v[0:1], v2, off
	s_or_b64 exec, exec, s[14:15]
	s_and_saveexec_b64 s[14:15], s[0:1]
	s_cbranch_execz .LBB2031_21
.LBB2031_30:
	s_waitcnt vmcnt(0)
	global_store_short v[0:1], v3, off offset:2048
	s_or_b64 exec, exec, s[14:15]
	s_and_saveexec_b64 s[0:1], s[2:3]
	s_cbranch_execz .LBB2031_22
.LBB2031_31:
	s_waitcnt vmcnt(0)
	v_add_co_u32_e32 v2, vcc, 0x1000, v0
	v_addc_co_u32_e32 v3, vcc, 0, v1, vcc
	global_store_short v[2:3], v4, off
	s_or_b64 exec, exec, s[0:1]
	s_and_saveexec_b64 s[0:1], s[4:5]
	s_cbranch_execz .LBB2031_23
.LBB2031_32:
	s_waitcnt vmcnt(0)
	v_add_co_u32_e32 v2, vcc, 0x1000, v0
	v_addc_co_u32_e32 v3, vcc, 0, v1, vcc
	global_store_short v[2:3], v5, off offset:2048
	s_or_b64 exec, exec, s[0:1]
	s_and_saveexec_b64 s[0:1], s[6:7]
	s_cbranch_execz .LBB2031_24
.LBB2031_33:
	s_waitcnt vmcnt(0)
	v_add_co_u32_e32 v2, vcc, 0x2000, v0
	v_addc_co_u32_e32 v3, vcc, 0, v1, vcc
	global_store_short v[2:3], v6, off
	s_or_b64 exec, exec, s[0:1]
	s_and_saveexec_b64 s[0:1], s[8:9]
	s_cbranch_execz .LBB2031_25
.LBB2031_34:
	s_waitcnt vmcnt(0)
	v_add_co_u32_e32 v2, vcc, 0x2000, v0
	v_addc_co_u32_e32 v3, vcc, 0, v1, vcc
	global_store_short v[2:3], v7, off offset:2048
	s_or_b64 exec, exec, s[0:1]
	s_and_saveexec_b64 s[0:1], s[10:11]
	s_cbranch_execz .LBB2031_26
.LBB2031_35:
	s_waitcnt vmcnt(0)
	v_add_co_u32_e32 v2, vcc, 0x3000, v0
	v_addc_co_u32_e32 v3, vcc, 0, v1, vcc
	global_store_short v[2:3], v8, off
	s_or_b64 exec, exec, s[0:1]
	s_and_saveexec_b64 s[0:1], s[12:13]
	s_cbranch_execnz .LBB2031_27
	s_branch .LBB2031_28
	.section	.rodata,"a",@progbits
	.p2align	6, 0x0
	.amdhsa_kernel _ZN7rocprim17ROCPRIM_400000_NS6detail17trampoline_kernelINS0_14default_configENS1_25transform_config_selectorIN3c108BFloat16ELb1EEEZNS1_14transform_implILb1ES3_S7_PS6_S9_NS0_8identityIS6_EEEE10hipError_tT2_T3_mT4_P12ihipStream_tbEUlT_E_NS1_11comp_targetILNS1_3genE2ELNS1_11target_archE906ELNS1_3gpuE6ELNS1_3repE0EEENS1_30default_config_static_selectorELNS0_4arch9wavefront6targetE1EEEvT1_
		.amdhsa_group_segment_fixed_size 0
		.amdhsa_private_segment_fixed_size 0
		.amdhsa_kernarg_size 296
		.amdhsa_user_sgpr_count 6
		.amdhsa_user_sgpr_private_segment_buffer 1
		.amdhsa_user_sgpr_dispatch_ptr 0
		.amdhsa_user_sgpr_queue_ptr 0
		.amdhsa_user_sgpr_kernarg_segment_ptr 1
		.amdhsa_user_sgpr_dispatch_id 0
		.amdhsa_user_sgpr_flat_scratch_init 0
		.amdhsa_user_sgpr_private_segment_size 0
		.amdhsa_uses_dynamic_stack 0
		.amdhsa_system_sgpr_private_segment_wavefront_offset 0
		.amdhsa_system_sgpr_workgroup_id_x 1
		.amdhsa_system_sgpr_workgroup_id_y 0
		.amdhsa_system_sgpr_workgroup_id_z 0
		.amdhsa_system_sgpr_workgroup_info 0
		.amdhsa_system_vgpr_workitem_id 0
		.amdhsa_next_free_vgpr 11
		.amdhsa_next_free_sgpr 22
		.amdhsa_reserve_vcc 1
		.amdhsa_reserve_flat_scratch 0
		.amdhsa_float_round_mode_32 0
		.amdhsa_float_round_mode_16_64 0
		.amdhsa_float_denorm_mode_32 3
		.amdhsa_float_denorm_mode_16_64 3
		.amdhsa_dx10_clamp 1
		.amdhsa_ieee_mode 1
		.amdhsa_fp16_overflow 0
		.amdhsa_exception_fp_ieee_invalid_op 0
		.amdhsa_exception_fp_denorm_src 0
		.amdhsa_exception_fp_ieee_div_zero 0
		.amdhsa_exception_fp_ieee_overflow 0
		.amdhsa_exception_fp_ieee_underflow 0
		.amdhsa_exception_fp_ieee_inexact 0
		.amdhsa_exception_int_div_zero 0
	.end_amdhsa_kernel
	.section	.text._ZN7rocprim17ROCPRIM_400000_NS6detail17trampoline_kernelINS0_14default_configENS1_25transform_config_selectorIN3c108BFloat16ELb1EEEZNS1_14transform_implILb1ES3_S7_PS6_S9_NS0_8identityIS6_EEEE10hipError_tT2_T3_mT4_P12ihipStream_tbEUlT_E_NS1_11comp_targetILNS1_3genE2ELNS1_11target_archE906ELNS1_3gpuE6ELNS1_3repE0EEENS1_30default_config_static_selectorELNS0_4arch9wavefront6targetE1EEEvT1_,"axG",@progbits,_ZN7rocprim17ROCPRIM_400000_NS6detail17trampoline_kernelINS0_14default_configENS1_25transform_config_selectorIN3c108BFloat16ELb1EEEZNS1_14transform_implILb1ES3_S7_PS6_S9_NS0_8identityIS6_EEEE10hipError_tT2_T3_mT4_P12ihipStream_tbEUlT_E_NS1_11comp_targetILNS1_3genE2ELNS1_11target_archE906ELNS1_3gpuE6ELNS1_3repE0EEENS1_30default_config_static_selectorELNS0_4arch9wavefront6targetE1EEEvT1_,comdat
.Lfunc_end2031:
	.size	_ZN7rocprim17ROCPRIM_400000_NS6detail17trampoline_kernelINS0_14default_configENS1_25transform_config_selectorIN3c108BFloat16ELb1EEEZNS1_14transform_implILb1ES3_S7_PS6_S9_NS0_8identityIS6_EEEE10hipError_tT2_T3_mT4_P12ihipStream_tbEUlT_E_NS1_11comp_targetILNS1_3genE2ELNS1_11target_archE906ELNS1_3gpuE6ELNS1_3repE0EEENS1_30default_config_static_selectorELNS0_4arch9wavefront6targetE1EEEvT1_, .Lfunc_end2031-_ZN7rocprim17ROCPRIM_400000_NS6detail17trampoline_kernelINS0_14default_configENS1_25transform_config_selectorIN3c108BFloat16ELb1EEEZNS1_14transform_implILb1ES3_S7_PS6_S9_NS0_8identityIS6_EEEE10hipError_tT2_T3_mT4_P12ihipStream_tbEUlT_E_NS1_11comp_targetILNS1_3genE2ELNS1_11target_archE906ELNS1_3gpuE6ELNS1_3repE0EEENS1_30default_config_static_selectorELNS0_4arch9wavefront6targetE1EEEvT1_
                                        ; -- End function
	.set _ZN7rocprim17ROCPRIM_400000_NS6detail17trampoline_kernelINS0_14default_configENS1_25transform_config_selectorIN3c108BFloat16ELb1EEEZNS1_14transform_implILb1ES3_S7_PS6_S9_NS0_8identityIS6_EEEE10hipError_tT2_T3_mT4_P12ihipStream_tbEUlT_E_NS1_11comp_targetILNS1_3genE2ELNS1_11target_archE906ELNS1_3gpuE6ELNS1_3repE0EEENS1_30default_config_static_selectorELNS0_4arch9wavefront6targetE1EEEvT1_.num_vgpr, 11
	.set _ZN7rocprim17ROCPRIM_400000_NS6detail17trampoline_kernelINS0_14default_configENS1_25transform_config_selectorIN3c108BFloat16ELb1EEEZNS1_14transform_implILb1ES3_S7_PS6_S9_NS0_8identityIS6_EEEE10hipError_tT2_T3_mT4_P12ihipStream_tbEUlT_E_NS1_11comp_targetILNS1_3genE2ELNS1_11target_archE906ELNS1_3gpuE6ELNS1_3repE0EEENS1_30default_config_static_selectorELNS0_4arch9wavefront6targetE1EEEvT1_.num_agpr, 0
	.set _ZN7rocprim17ROCPRIM_400000_NS6detail17trampoline_kernelINS0_14default_configENS1_25transform_config_selectorIN3c108BFloat16ELb1EEEZNS1_14transform_implILb1ES3_S7_PS6_S9_NS0_8identityIS6_EEEE10hipError_tT2_T3_mT4_P12ihipStream_tbEUlT_E_NS1_11comp_targetILNS1_3genE2ELNS1_11target_archE906ELNS1_3gpuE6ELNS1_3repE0EEENS1_30default_config_static_selectorELNS0_4arch9wavefront6targetE1EEEvT1_.numbered_sgpr, 22
	.set _ZN7rocprim17ROCPRIM_400000_NS6detail17trampoline_kernelINS0_14default_configENS1_25transform_config_selectorIN3c108BFloat16ELb1EEEZNS1_14transform_implILb1ES3_S7_PS6_S9_NS0_8identityIS6_EEEE10hipError_tT2_T3_mT4_P12ihipStream_tbEUlT_E_NS1_11comp_targetILNS1_3genE2ELNS1_11target_archE906ELNS1_3gpuE6ELNS1_3repE0EEENS1_30default_config_static_selectorELNS0_4arch9wavefront6targetE1EEEvT1_.num_named_barrier, 0
	.set _ZN7rocprim17ROCPRIM_400000_NS6detail17trampoline_kernelINS0_14default_configENS1_25transform_config_selectorIN3c108BFloat16ELb1EEEZNS1_14transform_implILb1ES3_S7_PS6_S9_NS0_8identityIS6_EEEE10hipError_tT2_T3_mT4_P12ihipStream_tbEUlT_E_NS1_11comp_targetILNS1_3genE2ELNS1_11target_archE906ELNS1_3gpuE6ELNS1_3repE0EEENS1_30default_config_static_selectorELNS0_4arch9wavefront6targetE1EEEvT1_.private_seg_size, 0
	.set _ZN7rocprim17ROCPRIM_400000_NS6detail17trampoline_kernelINS0_14default_configENS1_25transform_config_selectorIN3c108BFloat16ELb1EEEZNS1_14transform_implILb1ES3_S7_PS6_S9_NS0_8identityIS6_EEEE10hipError_tT2_T3_mT4_P12ihipStream_tbEUlT_E_NS1_11comp_targetILNS1_3genE2ELNS1_11target_archE906ELNS1_3gpuE6ELNS1_3repE0EEENS1_30default_config_static_selectorELNS0_4arch9wavefront6targetE1EEEvT1_.uses_vcc, 1
	.set _ZN7rocprim17ROCPRIM_400000_NS6detail17trampoline_kernelINS0_14default_configENS1_25transform_config_selectorIN3c108BFloat16ELb1EEEZNS1_14transform_implILb1ES3_S7_PS6_S9_NS0_8identityIS6_EEEE10hipError_tT2_T3_mT4_P12ihipStream_tbEUlT_E_NS1_11comp_targetILNS1_3genE2ELNS1_11target_archE906ELNS1_3gpuE6ELNS1_3repE0EEENS1_30default_config_static_selectorELNS0_4arch9wavefront6targetE1EEEvT1_.uses_flat_scratch, 0
	.set _ZN7rocprim17ROCPRIM_400000_NS6detail17trampoline_kernelINS0_14default_configENS1_25transform_config_selectorIN3c108BFloat16ELb1EEEZNS1_14transform_implILb1ES3_S7_PS6_S9_NS0_8identityIS6_EEEE10hipError_tT2_T3_mT4_P12ihipStream_tbEUlT_E_NS1_11comp_targetILNS1_3genE2ELNS1_11target_archE906ELNS1_3gpuE6ELNS1_3repE0EEENS1_30default_config_static_selectorELNS0_4arch9wavefront6targetE1EEEvT1_.has_dyn_sized_stack, 0
	.set _ZN7rocprim17ROCPRIM_400000_NS6detail17trampoline_kernelINS0_14default_configENS1_25transform_config_selectorIN3c108BFloat16ELb1EEEZNS1_14transform_implILb1ES3_S7_PS6_S9_NS0_8identityIS6_EEEE10hipError_tT2_T3_mT4_P12ihipStream_tbEUlT_E_NS1_11comp_targetILNS1_3genE2ELNS1_11target_archE906ELNS1_3gpuE6ELNS1_3repE0EEENS1_30default_config_static_selectorELNS0_4arch9wavefront6targetE1EEEvT1_.has_recursion, 0
	.set _ZN7rocprim17ROCPRIM_400000_NS6detail17trampoline_kernelINS0_14default_configENS1_25transform_config_selectorIN3c108BFloat16ELb1EEEZNS1_14transform_implILb1ES3_S7_PS6_S9_NS0_8identityIS6_EEEE10hipError_tT2_T3_mT4_P12ihipStream_tbEUlT_E_NS1_11comp_targetILNS1_3genE2ELNS1_11target_archE906ELNS1_3gpuE6ELNS1_3repE0EEENS1_30default_config_static_selectorELNS0_4arch9wavefront6targetE1EEEvT1_.has_indirect_call, 0
	.section	.AMDGPU.csdata,"",@progbits
; Kernel info:
; codeLenInByte = 808
; TotalNumSgprs: 26
; NumVgprs: 11
; ScratchSize: 0
; MemoryBound: 1
; FloatMode: 240
; IeeeMode: 1
; LDSByteSize: 0 bytes/workgroup (compile time only)
; SGPRBlocks: 3
; VGPRBlocks: 2
; NumSGPRsForWavesPerEU: 26
; NumVGPRsForWavesPerEU: 11
; Occupancy: 10
; WaveLimiterHint : 0
; COMPUTE_PGM_RSRC2:SCRATCH_EN: 0
; COMPUTE_PGM_RSRC2:USER_SGPR: 6
; COMPUTE_PGM_RSRC2:TRAP_HANDLER: 0
; COMPUTE_PGM_RSRC2:TGID_X_EN: 1
; COMPUTE_PGM_RSRC2:TGID_Y_EN: 0
; COMPUTE_PGM_RSRC2:TGID_Z_EN: 0
; COMPUTE_PGM_RSRC2:TIDIG_COMP_CNT: 0
	.section	.text._ZN7rocprim17ROCPRIM_400000_NS6detail17trampoline_kernelINS0_14default_configENS1_25transform_config_selectorIN3c108BFloat16ELb1EEEZNS1_14transform_implILb1ES3_S7_PS6_S9_NS0_8identityIS6_EEEE10hipError_tT2_T3_mT4_P12ihipStream_tbEUlT_E_NS1_11comp_targetILNS1_3genE9ELNS1_11target_archE1100ELNS1_3gpuE3ELNS1_3repE0EEENS1_30default_config_static_selectorELNS0_4arch9wavefront6targetE1EEEvT1_,"axG",@progbits,_ZN7rocprim17ROCPRIM_400000_NS6detail17trampoline_kernelINS0_14default_configENS1_25transform_config_selectorIN3c108BFloat16ELb1EEEZNS1_14transform_implILb1ES3_S7_PS6_S9_NS0_8identityIS6_EEEE10hipError_tT2_T3_mT4_P12ihipStream_tbEUlT_E_NS1_11comp_targetILNS1_3genE9ELNS1_11target_archE1100ELNS1_3gpuE3ELNS1_3repE0EEENS1_30default_config_static_selectorELNS0_4arch9wavefront6targetE1EEEvT1_,comdat
	.protected	_ZN7rocprim17ROCPRIM_400000_NS6detail17trampoline_kernelINS0_14default_configENS1_25transform_config_selectorIN3c108BFloat16ELb1EEEZNS1_14transform_implILb1ES3_S7_PS6_S9_NS0_8identityIS6_EEEE10hipError_tT2_T3_mT4_P12ihipStream_tbEUlT_E_NS1_11comp_targetILNS1_3genE9ELNS1_11target_archE1100ELNS1_3gpuE3ELNS1_3repE0EEENS1_30default_config_static_selectorELNS0_4arch9wavefront6targetE1EEEvT1_ ; -- Begin function _ZN7rocprim17ROCPRIM_400000_NS6detail17trampoline_kernelINS0_14default_configENS1_25transform_config_selectorIN3c108BFloat16ELb1EEEZNS1_14transform_implILb1ES3_S7_PS6_S9_NS0_8identityIS6_EEEE10hipError_tT2_T3_mT4_P12ihipStream_tbEUlT_E_NS1_11comp_targetILNS1_3genE9ELNS1_11target_archE1100ELNS1_3gpuE3ELNS1_3repE0EEENS1_30default_config_static_selectorELNS0_4arch9wavefront6targetE1EEEvT1_
	.globl	_ZN7rocprim17ROCPRIM_400000_NS6detail17trampoline_kernelINS0_14default_configENS1_25transform_config_selectorIN3c108BFloat16ELb1EEEZNS1_14transform_implILb1ES3_S7_PS6_S9_NS0_8identityIS6_EEEE10hipError_tT2_T3_mT4_P12ihipStream_tbEUlT_E_NS1_11comp_targetILNS1_3genE9ELNS1_11target_archE1100ELNS1_3gpuE3ELNS1_3repE0EEENS1_30default_config_static_selectorELNS0_4arch9wavefront6targetE1EEEvT1_
	.p2align	8
	.type	_ZN7rocprim17ROCPRIM_400000_NS6detail17trampoline_kernelINS0_14default_configENS1_25transform_config_selectorIN3c108BFloat16ELb1EEEZNS1_14transform_implILb1ES3_S7_PS6_S9_NS0_8identityIS6_EEEE10hipError_tT2_T3_mT4_P12ihipStream_tbEUlT_E_NS1_11comp_targetILNS1_3genE9ELNS1_11target_archE1100ELNS1_3gpuE3ELNS1_3repE0EEENS1_30default_config_static_selectorELNS0_4arch9wavefront6targetE1EEEvT1_,@function
_ZN7rocprim17ROCPRIM_400000_NS6detail17trampoline_kernelINS0_14default_configENS1_25transform_config_selectorIN3c108BFloat16ELb1EEEZNS1_14transform_implILb1ES3_S7_PS6_S9_NS0_8identityIS6_EEEE10hipError_tT2_T3_mT4_P12ihipStream_tbEUlT_E_NS1_11comp_targetILNS1_3genE9ELNS1_11target_archE1100ELNS1_3gpuE3ELNS1_3repE0EEENS1_30default_config_static_selectorELNS0_4arch9wavefront6targetE1EEEvT1_: ; @_ZN7rocprim17ROCPRIM_400000_NS6detail17trampoline_kernelINS0_14default_configENS1_25transform_config_selectorIN3c108BFloat16ELb1EEEZNS1_14transform_implILb1ES3_S7_PS6_S9_NS0_8identityIS6_EEEE10hipError_tT2_T3_mT4_P12ihipStream_tbEUlT_E_NS1_11comp_targetILNS1_3genE9ELNS1_11target_archE1100ELNS1_3gpuE3ELNS1_3repE0EEENS1_30default_config_static_selectorELNS0_4arch9wavefront6targetE1EEEvT1_
; %bb.0:
	.section	.rodata,"a",@progbits
	.p2align	6, 0x0
	.amdhsa_kernel _ZN7rocprim17ROCPRIM_400000_NS6detail17trampoline_kernelINS0_14default_configENS1_25transform_config_selectorIN3c108BFloat16ELb1EEEZNS1_14transform_implILb1ES3_S7_PS6_S9_NS0_8identityIS6_EEEE10hipError_tT2_T3_mT4_P12ihipStream_tbEUlT_E_NS1_11comp_targetILNS1_3genE9ELNS1_11target_archE1100ELNS1_3gpuE3ELNS1_3repE0EEENS1_30default_config_static_selectorELNS0_4arch9wavefront6targetE1EEEvT1_
		.amdhsa_group_segment_fixed_size 0
		.amdhsa_private_segment_fixed_size 0
		.amdhsa_kernarg_size 40
		.amdhsa_user_sgpr_count 6
		.amdhsa_user_sgpr_private_segment_buffer 1
		.amdhsa_user_sgpr_dispatch_ptr 0
		.amdhsa_user_sgpr_queue_ptr 0
		.amdhsa_user_sgpr_kernarg_segment_ptr 1
		.amdhsa_user_sgpr_dispatch_id 0
		.amdhsa_user_sgpr_flat_scratch_init 0
		.amdhsa_user_sgpr_private_segment_size 0
		.amdhsa_uses_dynamic_stack 0
		.amdhsa_system_sgpr_private_segment_wavefront_offset 0
		.amdhsa_system_sgpr_workgroup_id_x 1
		.amdhsa_system_sgpr_workgroup_id_y 0
		.amdhsa_system_sgpr_workgroup_id_z 0
		.amdhsa_system_sgpr_workgroup_info 0
		.amdhsa_system_vgpr_workitem_id 0
		.amdhsa_next_free_vgpr 1
		.amdhsa_next_free_sgpr 0
		.amdhsa_reserve_vcc 0
		.amdhsa_reserve_flat_scratch 0
		.amdhsa_float_round_mode_32 0
		.amdhsa_float_round_mode_16_64 0
		.amdhsa_float_denorm_mode_32 3
		.amdhsa_float_denorm_mode_16_64 3
		.amdhsa_dx10_clamp 1
		.amdhsa_ieee_mode 1
		.amdhsa_fp16_overflow 0
		.amdhsa_exception_fp_ieee_invalid_op 0
		.amdhsa_exception_fp_denorm_src 0
		.amdhsa_exception_fp_ieee_div_zero 0
		.amdhsa_exception_fp_ieee_overflow 0
		.amdhsa_exception_fp_ieee_underflow 0
		.amdhsa_exception_fp_ieee_inexact 0
		.amdhsa_exception_int_div_zero 0
	.end_amdhsa_kernel
	.section	.text._ZN7rocprim17ROCPRIM_400000_NS6detail17trampoline_kernelINS0_14default_configENS1_25transform_config_selectorIN3c108BFloat16ELb1EEEZNS1_14transform_implILb1ES3_S7_PS6_S9_NS0_8identityIS6_EEEE10hipError_tT2_T3_mT4_P12ihipStream_tbEUlT_E_NS1_11comp_targetILNS1_3genE9ELNS1_11target_archE1100ELNS1_3gpuE3ELNS1_3repE0EEENS1_30default_config_static_selectorELNS0_4arch9wavefront6targetE1EEEvT1_,"axG",@progbits,_ZN7rocprim17ROCPRIM_400000_NS6detail17trampoline_kernelINS0_14default_configENS1_25transform_config_selectorIN3c108BFloat16ELb1EEEZNS1_14transform_implILb1ES3_S7_PS6_S9_NS0_8identityIS6_EEEE10hipError_tT2_T3_mT4_P12ihipStream_tbEUlT_E_NS1_11comp_targetILNS1_3genE9ELNS1_11target_archE1100ELNS1_3gpuE3ELNS1_3repE0EEENS1_30default_config_static_selectorELNS0_4arch9wavefront6targetE1EEEvT1_,comdat
.Lfunc_end2032:
	.size	_ZN7rocprim17ROCPRIM_400000_NS6detail17trampoline_kernelINS0_14default_configENS1_25transform_config_selectorIN3c108BFloat16ELb1EEEZNS1_14transform_implILb1ES3_S7_PS6_S9_NS0_8identityIS6_EEEE10hipError_tT2_T3_mT4_P12ihipStream_tbEUlT_E_NS1_11comp_targetILNS1_3genE9ELNS1_11target_archE1100ELNS1_3gpuE3ELNS1_3repE0EEENS1_30default_config_static_selectorELNS0_4arch9wavefront6targetE1EEEvT1_, .Lfunc_end2032-_ZN7rocprim17ROCPRIM_400000_NS6detail17trampoline_kernelINS0_14default_configENS1_25transform_config_selectorIN3c108BFloat16ELb1EEEZNS1_14transform_implILb1ES3_S7_PS6_S9_NS0_8identityIS6_EEEE10hipError_tT2_T3_mT4_P12ihipStream_tbEUlT_E_NS1_11comp_targetILNS1_3genE9ELNS1_11target_archE1100ELNS1_3gpuE3ELNS1_3repE0EEENS1_30default_config_static_selectorELNS0_4arch9wavefront6targetE1EEEvT1_
                                        ; -- End function
	.set _ZN7rocprim17ROCPRIM_400000_NS6detail17trampoline_kernelINS0_14default_configENS1_25transform_config_selectorIN3c108BFloat16ELb1EEEZNS1_14transform_implILb1ES3_S7_PS6_S9_NS0_8identityIS6_EEEE10hipError_tT2_T3_mT4_P12ihipStream_tbEUlT_E_NS1_11comp_targetILNS1_3genE9ELNS1_11target_archE1100ELNS1_3gpuE3ELNS1_3repE0EEENS1_30default_config_static_selectorELNS0_4arch9wavefront6targetE1EEEvT1_.num_vgpr, 0
	.set _ZN7rocprim17ROCPRIM_400000_NS6detail17trampoline_kernelINS0_14default_configENS1_25transform_config_selectorIN3c108BFloat16ELb1EEEZNS1_14transform_implILb1ES3_S7_PS6_S9_NS0_8identityIS6_EEEE10hipError_tT2_T3_mT4_P12ihipStream_tbEUlT_E_NS1_11comp_targetILNS1_3genE9ELNS1_11target_archE1100ELNS1_3gpuE3ELNS1_3repE0EEENS1_30default_config_static_selectorELNS0_4arch9wavefront6targetE1EEEvT1_.num_agpr, 0
	.set _ZN7rocprim17ROCPRIM_400000_NS6detail17trampoline_kernelINS0_14default_configENS1_25transform_config_selectorIN3c108BFloat16ELb1EEEZNS1_14transform_implILb1ES3_S7_PS6_S9_NS0_8identityIS6_EEEE10hipError_tT2_T3_mT4_P12ihipStream_tbEUlT_E_NS1_11comp_targetILNS1_3genE9ELNS1_11target_archE1100ELNS1_3gpuE3ELNS1_3repE0EEENS1_30default_config_static_selectorELNS0_4arch9wavefront6targetE1EEEvT1_.numbered_sgpr, 0
	.set _ZN7rocprim17ROCPRIM_400000_NS6detail17trampoline_kernelINS0_14default_configENS1_25transform_config_selectorIN3c108BFloat16ELb1EEEZNS1_14transform_implILb1ES3_S7_PS6_S9_NS0_8identityIS6_EEEE10hipError_tT2_T3_mT4_P12ihipStream_tbEUlT_E_NS1_11comp_targetILNS1_3genE9ELNS1_11target_archE1100ELNS1_3gpuE3ELNS1_3repE0EEENS1_30default_config_static_selectorELNS0_4arch9wavefront6targetE1EEEvT1_.num_named_barrier, 0
	.set _ZN7rocprim17ROCPRIM_400000_NS6detail17trampoline_kernelINS0_14default_configENS1_25transform_config_selectorIN3c108BFloat16ELb1EEEZNS1_14transform_implILb1ES3_S7_PS6_S9_NS0_8identityIS6_EEEE10hipError_tT2_T3_mT4_P12ihipStream_tbEUlT_E_NS1_11comp_targetILNS1_3genE9ELNS1_11target_archE1100ELNS1_3gpuE3ELNS1_3repE0EEENS1_30default_config_static_selectorELNS0_4arch9wavefront6targetE1EEEvT1_.private_seg_size, 0
	.set _ZN7rocprim17ROCPRIM_400000_NS6detail17trampoline_kernelINS0_14default_configENS1_25transform_config_selectorIN3c108BFloat16ELb1EEEZNS1_14transform_implILb1ES3_S7_PS6_S9_NS0_8identityIS6_EEEE10hipError_tT2_T3_mT4_P12ihipStream_tbEUlT_E_NS1_11comp_targetILNS1_3genE9ELNS1_11target_archE1100ELNS1_3gpuE3ELNS1_3repE0EEENS1_30default_config_static_selectorELNS0_4arch9wavefront6targetE1EEEvT1_.uses_vcc, 0
	.set _ZN7rocprim17ROCPRIM_400000_NS6detail17trampoline_kernelINS0_14default_configENS1_25transform_config_selectorIN3c108BFloat16ELb1EEEZNS1_14transform_implILb1ES3_S7_PS6_S9_NS0_8identityIS6_EEEE10hipError_tT2_T3_mT4_P12ihipStream_tbEUlT_E_NS1_11comp_targetILNS1_3genE9ELNS1_11target_archE1100ELNS1_3gpuE3ELNS1_3repE0EEENS1_30default_config_static_selectorELNS0_4arch9wavefront6targetE1EEEvT1_.uses_flat_scratch, 0
	.set _ZN7rocprim17ROCPRIM_400000_NS6detail17trampoline_kernelINS0_14default_configENS1_25transform_config_selectorIN3c108BFloat16ELb1EEEZNS1_14transform_implILb1ES3_S7_PS6_S9_NS0_8identityIS6_EEEE10hipError_tT2_T3_mT4_P12ihipStream_tbEUlT_E_NS1_11comp_targetILNS1_3genE9ELNS1_11target_archE1100ELNS1_3gpuE3ELNS1_3repE0EEENS1_30default_config_static_selectorELNS0_4arch9wavefront6targetE1EEEvT1_.has_dyn_sized_stack, 0
	.set _ZN7rocprim17ROCPRIM_400000_NS6detail17trampoline_kernelINS0_14default_configENS1_25transform_config_selectorIN3c108BFloat16ELb1EEEZNS1_14transform_implILb1ES3_S7_PS6_S9_NS0_8identityIS6_EEEE10hipError_tT2_T3_mT4_P12ihipStream_tbEUlT_E_NS1_11comp_targetILNS1_3genE9ELNS1_11target_archE1100ELNS1_3gpuE3ELNS1_3repE0EEENS1_30default_config_static_selectorELNS0_4arch9wavefront6targetE1EEEvT1_.has_recursion, 0
	.set _ZN7rocprim17ROCPRIM_400000_NS6detail17trampoline_kernelINS0_14default_configENS1_25transform_config_selectorIN3c108BFloat16ELb1EEEZNS1_14transform_implILb1ES3_S7_PS6_S9_NS0_8identityIS6_EEEE10hipError_tT2_T3_mT4_P12ihipStream_tbEUlT_E_NS1_11comp_targetILNS1_3genE9ELNS1_11target_archE1100ELNS1_3gpuE3ELNS1_3repE0EEENS1_30default_config_static_selectorELNS0_4arch9wavefront6targetE1EEEvT1_.has_indirect_call, 0
	.section	.AMDGPU.csdata,"",@progbits
; Kernel info:
; codeLenInByte = 0
; TotalNumSgprs: 4
; NumVgprs: 0
; ScratchSize: 0
; MemoryBound: 0
; FloatMode: 240
; IeeeMode: 1
; LDSByteSize: 0 bytes/workgroup (compile time only)
; SGPRBlocks: 0
; VGPRBlocks: 0
; NumSGPRsForWavesPerEU: 4
; NumVGPRsForWavesPerEU: 1
; Occupancy: 10
; WaveLimiterHint : 0
; COMPUTE_PGM_RSRC2:SCRATCH_EN: 0
; COMPUTE_PGM_RSRC2:USER_SGPR: 6
; COMPUTE_PGM_RSRC2:TRAP_HANDLER: 0
; COMPUTE_PGM_RSRC2:TGID_X_EN: 1
; COMPUTE_PGM_RSRC2:TGID_Y_EN: 0
; COMPUTE_PGM_RSRC2:TGID_Z_EN: 0
; COMPUTE_PGM_RSRC2:TIDIG_COMP_CNT: 0
	.section	.text._ZN7rocprim17ROCPRIM_400000_NS6detail17trampoline_kernelINS0_14default_configENS1_25transform_config_selectorIN3c108BFloat16ELb1EEEZNS1_14transform_implILb1ES3_S7_PS6_S9_NS0_8identityIS6_EEEE10hipError_tT2_T3_mT4_P12ihipStream_tbEUlT_E_NS1_11comp_targetILNS1_3genE8ELNS1_11target_archE1030ELNS1_3gpuE2ELNS1_3repE0EEENS1_30default_config_static_selectorELNS0_4arch9wavefront6targetE1EEEvT1_,"axG",@progbits,_ZN7rocprim17ROCPRIM_400000_NS6detail17trampoline_kernelINS0_14default_configENS1_25transform_config_selectorIN3c108BFloat16ELb1EEEZNS1_14transform_implILb1ES3_S7_PS6_S9_NS0_8identityIS6_EEEE10hipError_tT2_T3_mT4_P12ihipStream_tbEUlT_E_NS1_11comp_targetILNS1_3genE8ELNS1_11target_archE1030ELNS1_3gpuE2ELNS1_3repE0EEENS1_30default_config_static_selectorELNS0_4arch9wavefront6targetE1EEEvT1_,comdat
	.protected	_ZN7rocprim17ROCPRIM_400000_NS6detail17trampoline_kernelINS0_14default_configENS1_25transform_config_selectorIN3c108BFloat16ELb1EEEZNS1_14transform_implILb1ES3_S7_PS6_S9_NS0_8identityIS6_EEEE10hipError_tT2_T3_mT4_P12ihipStream_tbEUlT_E_NS1_11comp_targetILNS1_3genE8ELNS1_11target_archE1030ELNS1_3gpuE2ELNS1_3repE0EEENS1_30default_config_static_selectorELNS0_4arch9wavefront6targetE1EEEvT1_ ; -- Begin function _ZN7rocprim17ROCPRIM_400000_NS6detail17trampoline_kernelINS0_14default_configENS1_25transform_config_selectorIN3c108BFloat16ELb1EEEZNS1_14transform_implILb1ES3_S7_PS6_S9_NS0_8identityIS6_EEEE10hipError_tT2_T3_mT4_P12ihipStream_tbEUlT_E_NS1_11comp_targetILNS1_3genE8ELNS1_11target_archE1030ELNS1_3gpuE2ELNS1_3repE0EEENS1_30default_config_static_selectorELNS0_4arch9wavefront6targetE1EEEvT1_
	.globl	_ZN7rocprim17ROCPRIM_400000_NS6detail17trampoline_kernelINS0_14default_configENS1_25transform_config_selectorIN3c108BFloat16ELb1EEEZNS1_14transform_implILb1ES3_S7_PS6_S9_NS0_8identityIS6_EEEE10hipError_tT2_T3_mT4_P12ihipStream_tbEUlT_E_NS1_11comp_targetILNS1_3genE8ELNS1_11target_archE1030ELNS1_3gpuE2ELNS1_3repE0EEENS1_30default_config_static_selectorELNS0_4arch9wavefront6targetE1EEEvT1_
	.p2align	8
	.type	_ZN7rocprim17ROCPRIM_400000_NS6detail17trampoline_kernelINS0_14default_configENS1_25transform_config_selectorIN3c108BFloat16ELb1EEEZNS1_14transform_implILb1ES3_S7_PS6_S9_NS0_8identityIS6_EEEE10hipError_tT2_T3_mT4_P12ihipStream_tbEUlT_E_NS1_11comp_targetILNS1_3genE8ELNS1_11target_archE1030ELNS1_3gpuE2ELNS1_3repE0EEENS1_30default_config_static_selectorELNS0_4arch9wavefront6targetE1EEEvT1_,@function
_ZN7rocprim17ROCPRIM_400000_NS6detail17trampoline_kernelINS0_14default_configENS1_25transform_config_selectorIN3c108BFloat16ELb1EEEZNS1_14transform_implILb1ES3_S7_PS6_S9_NS0_8identityIS6_EEEE10hipError_tT2_T3_mT4_P12ihipStream_tbEUlT_E_NS1_11comp_targetILNS1_3genE8ELNS1_11target_archE1030ELNS1_3gpuE2ELNS1_3repE0EEENS1_30default_config_static_selectorELNS0_4arch9wavefront6targetE1EEEvT1_: ; @_ZN7rocprim17ROCPRIM_400000_NS6detail17trampoline_kernelINS0_14default_configENS1_25transform_config_selectorIN3c108BFloat16ELb1EEEZNS1_14transform_implILb1ES3_S7_PS6_S9_NS0_8identityIS6_EEEE10hipError_tT2_T3_mT4_P12ihipStream_tbEUlT_E_NS1_11comp_targetILNS1_3genE8ELNS1_11target_archE1030ELNS1_3gpuE2ELNS1_3repE0EEENS1_30default_config_static_selectorELNS0_4arch9wavefront6targetE1EEEvT1_
; %bb.0:
	.section	.rodata,"a",@progbits
	.p2align	6, 0x0
	.amdhsa_kernel _ZN7rocprim17ROCPRIM_400000_NS6detail17trampoline_kernelINS0_14default_configENS1_25transform_config_selectorIN3c108BFloat16ELb1EEEZNS1_14transform_implILb1ES3_S7_PS6_S9_NS0_8identityIS6_EEEE10hipError_tT2_T3_mT4_P12ihipStream_tbEUlT_E_NS1_11comp_targetILNS1_3genE8ELNS1_11target_archE1030ELNS1_3gpuE2ELNS1_3repE0EEENS1_30default_config_static_selectorELNS0_4arch9wavefront6targetE1EEEvT1_
		.amdhsa_group_segment_fixed_size 0
		.amdhsa_private_segment_fixed_size 0
		.amdhsa_kernarg_size 40
		.amdhsa_user_sgpr_count 6
		.amdhsa_user_sgpr_private_segment_buffer 1
		.amdhsa_user_sgpr_dispatch_ptr 0
		.amdhsa_user_sgpr_queue_ptr 0
		.amdhsa_user_sgpr_kernarg_segment_ptr 1
		.amdhsa_user_sgpr_dispatch_id 0
		.amdhsa_user_sgpr_flat_scratch_init 0
		.amdhsa_user_sgpr_private_segment_size 0
		.amdhsa_uses_dynamic_stack 0
		.amdhsa_system_sgpr_private_segment_wavefront_offset 0
		.amdhsa_system_sgpr_workgroup_id_x 1
		.amdhsa_system_sgpr_workgroup_id_y 0
		.amdhsa_system_sgpr_workgroup_id_z 0
		.amdhsa_system_sgpr_workgroup_info 0
		.amdhsa_system_vgpr_workitem_id 0
		.amdhsa_next_free_vgpr 1
		.amdhsa_next_free_sgpr 0
		.amdhsa_reserve_vcc 0
		.amdhsa_reserve_flat_scratch 0
		.amdhsa_float_round_mode_32 0
		.amdhsa_float_round_mode_16_64 0
		.amdhsa_float_denorm_mode_32 3
		.amdhsa_float_denorm_mode_16_64 3
		.amdhsa_dx10_clamp 1
		.amdhsa_ieee_mode 1
		.amdhsa_fp16_overflow 0
		.amdhsa_exception_fp_ieee_invalid_op 0
		.amdhsa_exception_fp_denorm_src 0
		.amdhsa_exception_fp_ieee_div_zero 0
		.amdhsa_exception_fp_ieee_overflow 0
		.amdhsa_exception_fp_ieee_underflow 0
		.amdhsa_exception_fp_ieee_inexact 0
		.amdhsa_exception_int_div_zero 0
	.end_amdhsa_kernel
	.section	.text._ZN7rocprim17ROCPRIM_400000_NS6detail17trampoline_kernelINS0_14default_configENS1_25transform_config_selectorIN3c108BFloat16ELb1EEEZNS1_14transform_implILb1ES3_S7_PS6_S9_NS0_8identityIS6_EEEE10hipError_tT2_T3_mT4_P12ihipStream_tbEUlT_E_NS1_11comp_targetILNS1_3genE8ELNS1_11target_archE1030ELNS1_3gpuE2ELNS1_3repE0EEENS1_30default_config_static_selectorELNS0_4arch9wavefront6targetE1EEEvT1_,"axG",@progbits,_ZN7rocprim17ROCPRIM_400000_NS6detail17trampoline_kernelINS0_14default_configENS1_25transform_config_selectorIN3c108BFloat16ELb1EEEZNS1_14transform_implILb1ES3_S7_PS6_S9_NS0_8identityIS6_EEEE10hipError_tT2_T3_mT4_P12ihipStream_tbEUlT_E_NS1_11comp_targetILNS1_3genE8ELNS1_11target_archE1030ELNS1_3gpuE2ELNS1_3repE0EEENS1_30default_config_static_selectorELNS0_4arch9wavefront6targetE1EEEvT1_,comdat
.Lfunc_end2033:
	.size	_ZN7rocprim17ROCPRIM_400000_NS6detail17trampoline_kernelINS0_14default_configENS1_25transform_config_selectorIN3c108BFloat16ELb1EEEZNS1_14transform_implILb1ES3_S7_PS6_S9_NS0_8identityIS6_EEEE10hipError_tT2_T3_mT4_P12ihipStream_tbEUlT_E_NS1_11comp_targetILNS1_3genE8ELNS1_11target_archE1030ELNS1_3gpuE2ELNS1_3repE0EEENS1_30default_config_static_selectorELNS0_4arch9wavefront6targetE1EEEvT1_, .Lfunc_end2033-_ZN7rocprim17ROCPRIM_400000_NS6detail17trampoline_kernelINS0_14default_configENS1_25transform_config_selectorIN3c108BFloat16ELb1EEEZNS1_14transform_implILb1ES3_S7_PS6_S9_NS0_8identityIS6_EEEE10hipError_tT2_T3_mT4_P12ihipStream_tbEUlT_E_NS1_11comp_targetILNS1_3genE8ELNS1_11target_archE1030ELNS1_3gpuE2ELNS1_3repE0EEENS1_30default_config_static_selectorELNS0_4arch9wavefront6targetE1EEEvT1_
                                        ; -- End function
	.set _ZN7rocprim17ROCPRIM_400000_NS6detail17trampoline_kernelINS0_14default_configENS1_25transform_config_selectorIN3c108BFloat16ELb1EEEZNS1_14transform_implILb1ES3_S7_PS6_S9_NS0_8identityIS6_EEEE10hipError_tT2_T3_mT4_P12ihipStream_tbEUlT_E_NS1_11comp_targetILNS1_3genE8ELNS1_11target_archE1030ELNS1_3gpuE2ELNS1_3repE0EEENS1_30default_config_static_selectorELNS0_4arch9wavefront6targetE1EEEvT1_.num_vgpr, 0
	.set _ZN7rocprim17ROCPRIM_400000_NS6detail17trampoline_kernelINS0_14default_configENS1_25transform_config_selectorIN3c108BFloat16ELb1EEEZNS1_14transform_implILb1ES3_S7_PS6_S9_NS0_8identityIS6_EEEE10hipError_tT2_T3_mT4_P12ihipStream_tbEUlT_E_NS1_11comp_targetILNS1_3genE8ELNS1_11target_archE1030ELNS1_3gpuE2ELNS1_3repE0EEENS1_30default_config_static_selectorELNS0_4arch9wavefront6targetE1EEEvT1_.num_agpr, 0
	.set _ZN7rocprim17ROCPRIM_400000_NS6detail17trampoline_kernelINS0_14default_configENS1_25transform_config_selectorIN3c108BFloat16ELb1EEEZNS1_14transform_implILb1ES3_S7_PS6_S9_NS0_8identityIS6_EEEE10hipError_tT2_T3_mT4_P12ihipStream_tbEUlT_E_NS1_11comp_targetILNS1_3genE8ELNS1_11target_archE1030ELNS1_3gpuE2ELNS1_3repE0EEENS1_30default_config_static_selectorELNS0_4arch9wavefront6targetE1EEEvT1_.numbered_sgpr, 0
	.set _ZN7rocprim17ROCPRIM_400000_NS6detail17trampoline_kernelINS0_14default_configENS1_25transform_config_selectorIN3c108BFloat16ELb1EEEZNS1_14transform_implILb1ES3_S7_PS6_S9_NS0_8identityIS6_EEEE10hipError_tT2_T3_mT4_P12ihipStream_tbEUlT_E_NS1_11comp_targetILNS1_3genE8ELNS1_11target_archE1030ELNS1_3gpuE2ELNS1_3repE0EEENS1_30default_config_static_selectorELNS0_4arch9wavefront6targetE1EEEvT1_.num_named_barrier, 0
	.set _ZN7rocprim17ROCPRIM_400000_NS6detail17trampoline_kernelINS0_14default_configENS1_25transform_config_selectorIN3c108BFloat16ELb1EEEZNS1_14transform_implILb1ES3_S7_PS6_S9_NS0_8identityIS6_EEEE10hipError_tT2_T3_mT4_P12ihipStream_tbEUlT_E_NS1_11comp_targetILNS1_3genE8ELNS1_11target_archE1030ELNS1_3gpuE2ELNS1_3repE0EEENS1_30default_config_static_selectorELNS0_4arch9wavefront6targetE1EEEvT1_.private_seg_size, 0
	.set _ZN7rocprim17ROCPRIM_400000_NS6detail17trampoline_kernelINS0_14default_configENS1_25transform_config_selectorIN3c108BFloat16ELb1EEEZNS1_14transform_implILb1ES3_S7_PS6_S9_NS0_8identityIS6_EEEE10hipError_tT2_T3_mT4_P12ihipStream_tbEUlT_E_NS1_11comp_targetILNS1_3genE8ELNS1_11target_archE1030ELNS1_3gpuE2ELNS1_3repE0EEENS1_30default_config_static_selectorELNS0_4arch9wavefront6targetE1EEEvT1_.uses_vcc, 0
	.set _ZN7rocprim17ROCPRIM_400000_NS6detail17trampoline_kernelINS0_14default_configENS1_25transform_config_selectorIN3c108BFloat16ELb1EEEZNS1_14transform_implILb1ES3_S7_PS6_S9_NS0_8identityIS6_EEEE10hipError_tT2_T3_mT4_P12ihipStream_tbEUlT_E_NS1_11comp_targetILNS1_3genE8ELNS1_11target_archE1030ELNS1_3gpuE2ELNS1_3repE0EEENS1_30default_config_static_selectorELNS0_4arch9wavefront6targetE1EEEvT1_.uses_flat_scratch, 0
	.set _ZN7rocprim17ROCPRIM_400000_NS6detail17trampoline_kernelINS0_14default_configENS1_25transform_config_selectorIN3c108BFloat16ELb1EEEZNS1_14transform_implILb1ES3_S7_PS6_S9_NS0_8identityIS6_EEEE10hipError_tT2_T3_mT4_P12ihipStream_tbEUlT_E_NS1_11comp_targetILNS1_3genE8ELNS1_11target_archE1030ELNS1_3gpuE2ELNS1_3repE0EEENS1_30default_config_static_selectorELNS0_4arch9wavefront6targetE1EEEvT1_.has_dyn_sized_stack, 0
	.set _ZN7rocprim17ROCPRIM_400000_NS6detail17trampoline_kernelINS0_14default_configENS1_25transform_config_selectorIN3c108BFloat16ELb1EEEZNS1_14transform_implILb1ES3_S7_PS6_S9_NS0_8identityIS6_EEEE10hipError_tT2_T3_mT4_P12ihipStream_tbEUlT_E_NS1_11comp_targetILNS1_3genE8ELNS1_11target_archE1030ELNS1_3gpuE2ELNS1_3repE0EEENS1_30default_config_static_selectorELNS0_4arch9wavefront6targetE1EEEvT1_.has_recursion, 0
	.set _ZN7rocprim17ROCPRIM_400000_NS6detail17trampoline_kernelINS0_14default_configENS1_25transform_config_selectorIN3c108BFloat16ELb1EEEZNS1_14transform_implILb1ES3_S7_PS6_S9_NS0_8identityIS6_EEEE10hipError_tT2_T3_mT4_P12ihipStream_tbEUlT_E_NS1_11comp_targetILNS1_3genE8ELNS1_11target_archE1030ELNS1_3gpuE2ELNS1_3repE0EEENS1_30default_config_static_selectorELNS0_4arch9wavefront6targetE1EEEvT1_.has_indirect_call, 0
	.section	.AMDGPU.csdata,"",@progbits
; Kernel info:
; codeLenInByte = 0
; TotalNumSgprs: 4
; NumVgprs: 0
; ScratchSize: 0
; MemoryBound: 0
; FloatMode: 240
; IeeeMode: 1
; LDSByteSize: 0 bytes/workgroup (compile time only)
; SGPRBlocks: 0
; VGPRBlocks: 0
; NumSGPRsForWavesPerEU: 4
; NumVGPRsForWavesPerEU: 1
; Occupancy: 10
; WaveLimiterHint : 0
; COMPUTE_PGM_RSRC2:SCRATCH_EN: 0
; COMPUTE_PGM_RSRC2:USER_SGPR: 6
; COMPUTE_PGM_RSRC2:TRAP_HANDLER: 0
; COMPUTE_PGM_RSRC2:TGID_X_EN: 1
; COMPUTE_PGM_RSRC2:TGID_Y_EN: 0
; COMPUTE_PGM_RSRC2:TGID_Z_EN: 0
; COMPUTE_PGM_RSRC2:TIDIG_COMP_CNT: 0
	.section	.text._ZN7rocprim17ROCPRIM_400000_NS6detail17trampoline_kernelINS0_14default_configENS1_22reduce_config_selectorIiEEZNS1_11reduce_implILb1ES3_N6thrust23THRUST_200600_302600_NS11hip_rocprim35transform_pair_of_input_iterators_tIiPN3c108BFloat16ESD_NS8_12not_equal_toISC_EEEEPiiNS8_4plusIiEEEE10hipError_tPvRmT1_T2_T3_mT4_P12ihipStream_tbEUlT_E0_NS1_11comp_targetILNS1_3genE0ELNS1_11target_archE4294967295ELNS1_3gpuE0ELNS1_3repE0EEENS1_30default_config_static_selectorELNS0_4arch9wavefront6targetE1EEEvSN_,"axG",@progbits,_ZN7rocprim17ROCPRIM_400000_NS6detail17trampoline_kernelINS0_14default_configENS1_22reduce_config_selectorIiEEZNS1_11reduce_implILb1ES3_N6thrust23THRUST_200600_302600_NS11hip_rocprim35transform_pair_of_input_iterators_tIiPN3c108BFloat16ESD_NS8_12not_equal_toISC_EEEEPiiNS8_4plusIiEEEE10hipError_tPvRmT1_T2_T3_mT4_P12ihipStream_tbEUlT_E0_NS1_11comp_targetILNS1_3genE0ELNS1_11target_archE4294967295ELNS1_3gpuE0ELNS1_3repE0EEENS1_30default_config_static_selectorELNS0_4arch9wavefront6targetE1EEEvSN_,comdat
	.protected	_ZN7rocprim17ROCPRIM_400000_NS6detail17trampoline_kernelINS0_14default_configENS1_22reduce_config_selectorIiEEZNS1_11reduce_implILb1ES3_N6thrust23THRUST_200600_302600_NS11hip_rocprim35transform_pair_of_input_iterators_tIiPN3c108BFloat16ESD_NS8_12not_equal_toISC_EEEEPiiNS8_4plusIiEEEE10hipError_tPvRmT1_T2_T3_mT4_P12ihipStream_tbEUlT_E0_NS1_11comp_targetILNS1_3genE0ELNS1_11target_archE4294967295ELNS1_3gpuE0ELNS1_3repE0EEENS1_30default_config_static_selectorELNS0_4arch9wavefront6targetE1EEEvSN_ ; -- Begin function _ZN7rocprim17ROCPRIM_400000_NS6detail17trampoline_kernelINS0_14default_configENS1_22reduce_config_selectorIiEEZNS1_11reduce_implILb1ES3_N6thrust23THRUST_200600_302600_NS11hip_rocprim35transform_pair_of_input_iterators_tIiPN3c108BFloat16ESD_NS8_12not_equal_toISC_EEEEPiiNS8_4plusIiEEEE10hipError_tPvRmT1_T2_T3_mT4_P12ihipStream_tbEUlT_E0_NS1_11comp_targetILNS1_3genE0ELNS1_11target_archE4294967295ELNS1_3gpuE0ELNS1_3repE0EEENS1_30default_config_static_selectorELNS0_4arch9wavefront6targetE1EEEvSN_
	.globl	_ZN7rocprim17ROCPRIM_400000_NS6detail17trampoline_kernelINS0_14default_configENS1_22reduce_config_selectorIiEEZNS1_11reduce_implILb1ES3_N6thrust23THRUST_200600_302600_NS11hip_rocprim35transform_pair_of_input_iterators_tIiPN3c108BFloat16ESD_NS8_12not_equal_toISC_EEEEPiiNS8_4plusIiEEEE10hipError_tPvRmT1_T2_T3_mT4_P12ihipStream_tbEUlT_E0_NS1_11comp_targetILNS1_3genE0ELNS1_11target_archE4294967295ELNS1_3gpuE0ELNS1_3repE0EEENS1_30default_config_static_selectorELNS0_4arch9wavefront6targetE1EEEvSN_
	.p2align	8
	.type	_ZN7rocprim17ROCPRIM_400000_NS6detail17trampoline_kernelINS0_14default_configENS1_22reduce_config_selectorIiEEZNS1_11reduce_implILb1ES3_N6thrust23THRUST_200600_302600_NS11hip_rocprim35transform_pair_of_input_iterators_tIiPN3c108BFloat16ESD_NS8_12not_equal_toISC_EEEEPiiNS8_4plusIiEEEE10hipError_tPvRmT1_T2_T3_mT4_P12ihipStream_tbEUlT_E0_NS1_11comp_targetILNS1_3genE0ELNS1_11target_archE4294967295ELNS1_3gpuE0ELNS1_3repE0EEENS1_30default_config_static_selectorELNS0_4arch9wavefront6targetE1EEEvSN_,@function
_ZN7rocprim17ROCPRIM_400000_NS6detail17trampoline_kernelINS0_14default_configENS1_22reduce_config_selectorIiEEZNS1_11reduce_implILb1ES3_N6thrust23THRUST_200600_302600_NS11hip_rocprim35transform_pair_of_input_iterators_tIiPN3c108BFloat16ESD_NS8_12not_equal_toISC_EEEEPiiNS8_4plusIiEEEE10hipError_tPvRmT1_T2_T3_mT4_P12ihipStream_tbEUlT_E0_NS1_11comp_targetILNS1_3genE0ELNS1_11target_archE4294967295ELNS1_3gpuE0ELNS1_3repE0EEENS1_30default_config_static_selectorELNS0_4arch9wavefront6targetE1EEEvSN_: ; @_ZN7rocprim17ROCPRIM_400000_NS6detail17trampoline_kernelINS0_14default_configENS1_22reduce_config_selectorIiEEZNS1_11reduce_implILb1ES3_N6thrust23THRUST_200600_302600_NS11hip_rocprim35transform_pair_of_input_iterators_tIiPN3c108BFloat16ESD_NS8_12not_equal_toISC_EEEEPiiNS8_4plusIiEEEE10hipError_tPvRmT1_T2_T3_mT4_P12ihipStream_tbEUlT_E0_NS1_11comp_targetILNS1_3genE0ELNS1_11target_archE4294967295ELNS1_3gpuE0ELNS1_3repE0EEENS1_30default_config_static_selectorELNS0_4arch9wavefront6targetE1EEEvSN_
; %bb.0:
	.section	.rodata,"a",@progbits
	.p2align	6, 0x0
	.amdhsa_kernel _ZN7rocprim17ROCPRIM_400000_NS6detail17trampoline_kernelINS0_14default_configENS1_22reduce_config_selectorIiEEZNS1_11reduce_implILb1ES3_N6thrust23THRUST_200600_302600_NS11hip_rocprim35transform_pair_of_input_iterators_tIiPN3c108BFloat16ESD_NS8_12not_equal_toISC_EEEEPiiNS8_4plusIiEEEE10hipError_tPvRmT1_T2_T3_mT4_P12ihipStream_tbEUlT_E0_NS1_11comp_targetILNS1_3genE0ELNS1_11target_archE4294967295ELNS1_3gpuE0ELNS1_3repE0EEENS1_30default_config_static_selectorELNS0_4arch9wavefront6targetE1EEEvSN_
		.amdhsa_group_segment_fixed_size 0
		.amdhsa_private_segment_fixed_size 0
		.amdhsa_kernarg_size 72
		.amdhsa_user_sgpr_count 6
		.amdhsa_user_sgpr_private_segment_buffer 1
		.amdhsa_user_sgpr_dispatch_ptr 0
		.amdhsa_user_sgpr_queue_ptr 0
		.amdhsa_user_sgpr_kernarg_segment_ptr 1
		.amdhsa_user_sgpr_dispatch_id 0
		.amdhsa_user_sgpr_flat_scratch_init 0
		.amdhsa_user_sgpr_private_segment_size 0
		.amdhsa_uses_dynamic_stack 0
		.amdhsa_system_sgpr_private_segment_wavefront_offset 0
		.amdhsa_system_sgpr_workgroup_id_x 1
		.amdhsa_system_sgpr_workgroup_id_y 0
		.amdhsa_system_sgpr_workgroup_id_z 0
		.amdhsa_system_sgpr_workgroup_info 0
		.amdhsa_system_vgpr_workitem_id 0
		.amdhsa_next_free_vgpr 1
		.amdhsa_next_free_sgpr 0
		.amdhsa_reserve_vcc 0
		.amdhsa_reserve_flat_scratch 0
		.amdhsa_float_round_mode_32 0
		.amdhsa_float_round_mode_16_64 0
		.amdhsa_float_denorm_mode_32 3
		.amdhsa_float_denorm_mode_16_64 3
		.amdhsa_dx10_clamp 1
		.amdhsa_ieee_mode 1
		.amdhsa_fp16_overflow 0
		.amdhsa_exception_fp_ieee_invalid_op 0
		.amdhsa_exception_fp_denorm_src 0
		.amdhsa_exception_fp_ieee_div_zero 0
		.amdhsa_exception_fp_ieee_overflow 0
		.amdhsa_exception_fp_ieee_underflow 0
		.amdhsa_exception_fp_ieee_inexact 0
		.amdhsa_exception_int_div_zero 0
	.end_amdhsa_kernel
	.section	.text._ZN7rocprim17ROCPRIM_400000_NS6detail17trampoline_kernelINS0_14default_configENS1_22reduce_config_selectorIiEEZNS1_11reduce_implILb1ES3_N6thrust23THRUST_200600_302600_NS11hip_rocprim35transform_pair_of_input_iterators_tIiPN3c108BFloat16ESD_NS8_12not_equal_toISC_EEEEPiiNS8_4plusIiEEEE10hipError_tPvRmT1_T2_T3_mT4_P12ihipStream_tbEUlT_E0_NS1_11comp_targetILNS1_3genE0ELNS1_11target_archE4294967295ELNS1_3gpuE0ELNS1_3repE0EEENS1_30default_config_static_selectorELNS0_4arch9wavefront6targetE1EEEvSN_,"axG",@progbits,_ZN7rocprim17ROCPRIM_400000_NS6detail17trampoline_kernelINS0_14default_configENS1_22reduce_config_selectorIiEEZNS1_11reduce_implILb1ES3_N6thrust23THRUST_200600_302600_NS11hip_rocprim35transform_pair_of_input_iterators_tIiPN3c108BFloat16ESD_NS8_12not_equal_toISC_EEEEPiiNS8_4plusIiEEEE10hipError_tPvRmT1_T2_T3_mT4_P12ihipStream_tbEUlT_E0_NS1_11comp_targetILNS1_3genE0ELNS1_11target_archE4294967295ELNS1_3gpuE0ELNS1_3repE0EEENS1_30default_config_static_selectorELNS0_4arch9wavefront6targetE1EEEvSN_,comdat
.Lfunc_end2034:
	.size	_ZN7rocprim17ROCPRIM_400000_NS6detail17trampoline_kernelINS0_14default_configENS1_22reduce_config_selectorIiEEZNS1_11reduce_implILb1ES3_N6thrust23THRUST_200600_302600_NS11hip_rocprim35transform_pair_of_input_iterators_tIiPN3c108BFloat16ESD_NS8_12not_equal_toISC_EEEEPiiNS8_4plusIiEEEE10hipError_tPvRmT1_T2_T3_mT4_P12ihipStream_tbEUlT_E0_NS1_11comp_targetILNS1_3genE0ELNS1_11target_archE4294967295ELNS1_3gpuE0ELNS1_3repE0EEENS1_30default_config_static_selectorELNS0_4arch9wavefront6targetE1EEEvSN_, .Lfunc_end2034-_ZN7rocprim17ROCPRIM_400000_NS6detail17trampoline_kernelINS0_14default_configENS1_22reduce_config_selectorIiEEZNS1_11reduce_implILb1ES3_N6thrust23THRUST_200600_302600_NS11hip_rocprim35transform_pair_of_input_iterators_tIiPN3c108BFloat16ESD_NS8_12not_equal_toISC_EEEEPiiNS8_4plusIiEEEE10hipError_tPvRmT1_T2_T3_mT4_P12ihipStream_tbEUlT_E0_NS1_11comp_targetILNS1_3genE0ELNS1_11target_archE4294967295ELNS1_3gpuE0ELNS1_3repE0EEENS1_30default_config_static_selectorELNS0_4arch9wavefront6targetE1EEEvSN_
                                        ; -- End function
	.set _ZN7rocprim17ROCPRIM_400000_NS6detail17trampoline_kernelINS0_14default_configENS1_22reduce_config_selectorIiEEZNS1_11reduce_implILb1ES3_N6thrust23THRUST_200600_302600_NS11hip_rocprim35transform_pair_of_input_iterators_tIiPN3c108BFloat16ESD_NS8_12not_equal_toISC_EEEEPiiNS8_4plusIiEEEE10hipError_tPvRmT1_T2_T3_mT4_P12ihipStream_tbEUlT_E0_NS1_11comp_targetILNS1_3genE0ELNS1_11target_archE4294967295ELNS1_3gpuE0ELNS1_3repE0EEENS1_30default_config_static_selectorELNS0_4arch9wavefront6targetE1EEEvSN_.num_vgpr, 0
	.set _ZN7rocprim17ROCPRIM_400000_NS6detail17trampoline_kernelINS0_14default_configENS1_22reduce_config_selectorIiEEZNS1_11reduce_implILb1ES3_N6thrust23THRUST_200600_302600_NS11hip_rocprim35transform_pair_of_input_iterators_tIiPN3c108BFloat16ESD_NS8_12not_equal_toISC_EEEEPiiNS8_4plusIiEEEE10hipError_tPvRmT1_T2_T3_mT4_P12ihipStream_tbEUlT_E0_NS1_11comp_targetILNS1_3genE0ELNS1_11target_archE4294967295ELNS1_3gpuE0ELNS1_3repE0EEENS1_30default_config_static_selectorELNS0_4arch9wavefront6targetE1EEEvSN_.num_agpr, 0
	.set _ZN7rocprim17ROCPRIM_400000_NS6detail17trampoline_kernelINS0_14default_configENS1_22reduce_config_selectorIiEEZNS1_11reduce_implILb1ES3_N6thrust23THRUST_200600_302600_NS11hip_rocprim35transform_pair_of_input_iterators_tIiPN3c108BFloat16ESD_NS8_12not_equal_toISC_EEEEPiiNS8_4plusIiEEEE10hipError_tPvRmT1_T2_T3_mT4_P12ihipStream_tbEUlT_E0_NS1_11comp_targetILNS1_3genE0ELNS1_11target_archE4294967295ELNS1_3gpuE0ELNS1_3repE0EEENS1_30default_config_static_selectorELNS0_4arch9wavefront6targetE1EEEvSN_.numbered_sgpr, 0
	.set _ZN7rocprim17ROCPRIM_400000_NS6detail17trampoline_kernelINS0_14default_configENS1_22reduce_config_selectorIiEEZNS1_11reduce_implILb1ES3_N6thrust23THRUST_200600_302600_NS11hip_rocprim35transform_pair_of_input_iterators_tIiPN3c108BFloat16ESD_NS8_12not_equal_toISC_EEEEPiiNS8_4plusIiEEEE10hipError_tPvRmT1_T2_T3_mT4_P12ihipStream_tbEUlT_E0_NS1_11comp_targetILNS1_3genE0ELNS1_11target_archE4294967295ELNS1_3gpuE0ELNS1_3repE0EEENS1_30default_config_static_selectorELNS0_4arch9wavefront6targetE1EEEvSN_.num_named_barrier, 0
	.set _ZN7rocprim17ROCPRIM_400000_NS6detail17trampoline_kernelINS0_14default_configENS1_22reduce_config_selectorIiEEZNS1_11reduce_implILb1ES3_N6thrust23THRUST_200600_302600_NS11hip_rocprim35transform_pair_of_input_iterators_tIiPN3c108BFloat16ESD_NS8_12not_equal_toISC_EEEEPiiNS8_4plusIiEEEE10hipError_tPvRmT1_T2_T3_mT4_P12ihipStream_tbEUlT_E0_NS1_11comp_targetILNS1_3genE0ELNS1_11target_archE4294967295ELNS1_3gpuE0ELNS1_3repE0EEENS1_30default_config_static_selectorELNS0_4arch9wavefront6targetE1EEEvSN_.private_seg_size, 0
	.set _ZN7rocprim17ROCPRIM_400000_NS6detail17trampoline_kernelINS0_14default_configENS1_22reduce_config_selectorIiEEZNS1_11reduce_implILb1ES3_N6thrust23THRUST_200600_302600_NS11hip_rocprim35transform_pair_of_input_iterators_tIiPN3c108BFloat16ESD_NS8_12not_equal_toISC_EEEEPiiNS8_4plusIiEEEE10hipError_tPvRmT1_T2_T3_mT4_P12ihipStream_tbEUlT_E0_NS1_11comp_targetILNS1_3genE0ELNS1_11target_archE4294967295ELNS1_3gpuE0ELNS1_3repE0EEENS1_30default_config_static_selectorELNS0_4arch9wavefront6targetE1EEEvSN_.uses_vcc, 0
	.set _ZN7rocprim17ROCPRIM_400000_NS6detail17trampoline_kernelINS0_14default_configENS1_22reduce_config_selectorIiEEZNS1_11reduce_implILb1ES3_N6thrust23THRUST_200600_302600_NS11hip_rocprim35transform_pair_of_input_iterators_tIiPN3c108BFloat16ESD_NS8_12not_equal_toISC_EEEEPiiNS8_4plusIiEEEE10hipError_tPvRmT1_T2_T3_mT4_P12ihipStream_tbEUlT_E0_NS1_11comp_targetILNS1_3genE0ELNS1_11target_archE4294967295ELNS1_3gpuE0ELNS1_3repE0EEENS1_30default_config_static_selectorELNS0_4arch9wavefront6targetE1EEEvSN_.uses_flat_scratch, 0
	.set _ZN7rocprim17ROCPRIM_400000_NS6detail17trampoline_kernelINS0_14default_configENS1_22reduce_config_selectorIiEEZNS1_11reduce_implILb1ES3_N6thrust23THRUST_200600_302600_NS11hip_rocprim35transform_pair_of_input_iterators_tIiPN3c108BFloat16ESD_NS8_12not_equal_toISC_EEEEPiiNS8_4plusIiEEEE10hipError_tPvRmT1_T2_T3_mT4_P12ihipStream_tbEUlT_E0_NS1_11comp_targetILNS1_3genE0ELNS1_11target_archE4294967295ELNS1_3gpuE0ELNS1_3repE0EEENS1_30default_config_static_selectorELNS0_4arch9wavefront6targetE1EEEvSN_.has_dyn_sized_stack, 0
	.set _ZN7rocprim17ROCPRIM_400000_NS6detail17trampoline_kernelINS0_14default_configENS1_22reduce_config_selectorIiEEZNS1_11reduce_implILb1ES3_N6thrust23THRUST_200600_302600_NS11hip_rocprim35transform_pair_of_input_iterators_tIiPN3c108BFloat16ESD_NS8_12not_equal_toISC_EEEEPiiNS8_4plusIiEEEE10hipError_tPvRmT1_T2_T3_mT4_P12ihipStream_tbEUlT_E0_NS1_11comp_targetILNS1_3genE0ELNS1_11target_archE4294967295ELNS1_3gpuE0ELNS1_3repE0EEENS1_30default_config_static_selectorELNS0_4arch9wavefront6targetE1EEEvSN_.has_recursion, 0
	.set _ZN7rocprim17ROCPRIM_400000_NS6detail17trampoline_kernelINS0_14default_configENS1_22reduce_config_selectorIiEEZNS1_11reduce_implILb1ES3_N6thrust23THRUST_200600_302600_NS11hip_rocprim35transform_pair_of_input_iterators_tIiPN3c108BFloat16ESD_NS8_12not_equal_toISC_EEEEPiiNS8_4plusIiEEEE10hipError_tPvRmT1_T2_T3_mT4_P12ihipStream_tbEUlT_E0_NS1_11comp_targetILNS1_3genE0ELNS1_11target_archE4294967295ELNS1_3gpuE0ELNS1_3repE0EEENS1_30default_config_static_selectorELNS0_4arch9wavefront6targetE1EEEvSN_.has_indirect_call, 0
	.section	.AMDGPU.csdata,"",@progbits
; Kernel info:
; codeLenInByte = 0
; TotalNumSgprs: 4
; NumVgprs: 0
; ScratchSize: 0
; MemoryBound: 0
; FloatMode: 240
; IeeeMode: 1
; LDSByteSize: 0 bytes/workgroup (compile time only)
; SGPRBlocks: 0
; VGPRBlocks: 0
; NumSGPRsForWavesPerEU: 4
; NumVGPRsForWavesPerEU: 1
; Occupancy: 10
; WaveLimiterHint : 0
; COMPUTE_PGM_RSRC2:SCRATCH_EN: 0
; COMPUTE_PGM_RSRC2:USER_SGPR: 6
; COMPUTE_PGM_RSRC2:TRAP_HANDLER: 0
; COMPUTE_PGM_RSRC2:TGID_X_EN: 1
; COMPUTE_PGM_RSRC2:TGID_Y_EN: 0
; COMPUTE_PGM_RSRC2:TGID_Z_EN: 0
; COMPUTE_PGM_RSRC2:TIDIG_COMP_CNT: 0
	.section	.text._ZN7rocprim17ROCPRIM_400000_NS6detail17trampoline_kernelINS0_14default_configENS1_22reduce_config_selectorIiEEZNS1_11reduce_implILb1ES3_N6thrust23THRUST_200600_302600_NS11hip_rocprim35transform_pair_of_input_iterators_tIiPN3c108BFloat16ESD_NS8_12not_equal_toISC_EEEEPiiNS8_4plusIiEEEE10hipError_tPvRmT1_T2_T3_mT4_P12ihipStream_tbEUlT_E0_NS1_11comp_targetILNS1_3genE5ELNS1_11target_archE942ELNS1_3gpuE9ELNS1_3repE0EEENS1_30default_config_static_selectorELNS0_4arch9wavefront6targetE1EEEvSN_,"axG",@progbits,_ZN7rocprim17ROCPRIM_400000_NS6detail17trampoline_kernelINS0_14default_configENS1_22reduce_config_selectorIiEEZNS1_11reduce_implILb1ES3_N6thrust23THRUST_200600_302600_NS11hip_rocprim35transform_pair_of_input_iterators_tIiPN3c108BFloat16ESD_NS8_12not_equal_toISC_EEEEPiiNS8_4plusIiEEEE10hipError_tPvRmT1_T2_T3_mT4_P12ihipStream_tbEUlT_E0_NS1_11comp_targetILNS1_3genE5ELNS1_11target_archE942ELNS1_3gpuE9ELNS1_3repE0EEENS1_30default_config_static_selectorELNS0_4arch9wavefront6targetE1EEEvSN_,comdat
	.protected	_ZN7rocprim17ROCPRIM_400000_NS6detail17trampoline_kernelINS0_14default_configENS1_22reduce_config_selectorIiEEZNS1_11reduce_implILb1ES3_N6thrust23THRUST_200600_302600_NS11hip_rocprim35transform_pair_of_input_iterators_tIiPN3c108BFloat16ESD_NS8_12not_equal_toISC_EEEEPiiNS8_4plusIiEEEE10hipError_tPvRmT1_T2_T3_mT4_P12ihipStream_tbEUlT_E0_NS1_11comp_targetILNS1_3genE5ELNS1_11target_archE942ELNS1_3gpuE9ELNS1_3repE0EEENS1_30default_config_static_selectorELNS0_4arch9wavefront6targetE1EEEvSN_ ; -- Begin function _ZN7rocprim17ROCPRIM_400000_NS6detail17trampoline_kernelINS0_14default_configENS1_22reduce_config_selectorIiEEZNS1_11reduce_implILb1ES3_N6thrust23THRUST_200600_302600_NS11hip_rocprim35transform_pair_of_input_iterators_tIiPN3c108BFloat16ESD_NS8_12not_equal_toISC_EEEEPiiNS8_4plusIiEEEE10hipError_tPvRmT1_T2_T3_mT4_P12ihipStream_tbEUlT_E0_NS1_11comp_targetILNS1_3genE5ELNS1_11target_archE942ELNS1_3gpuE9ELNS1_3repE0EEENS1_30default_config_static_selectorELNS0_4arch9wavefront6targetE1EEEvSN_
	.globl	_ZN7rocprim17ROCPRIM_400000_NS6detail17trampoline_kernelINS0_14default_configENS1_22reduce_config_selectorIiEEZNS1_11reduce_implILb1ES3_N6thrust23THRUST_200600_302600_NS11hip_rocprim35transform_pair_of_input_iterators_tIiPN3c108BFloat16ESD_NS8_12not_equal_toISC_EEEEPiiNS8_4plusIiEEEE10hipError_tPvRmT1_T2_T3_mT4_P12ihipStream_tbEUlT_E0_NS1_11comp_targetILNS1_3genE5ELNS1_11target_archE942ELNS1_3gpuE9ELNS1_3repE0EEENS1_30default_config_static_selectorELNS0_4arch9wavefront6targetE1EEEvSN_
	.p2align	8
	.type	_ZN7rocprim17ROCPRIM_400000_NS6detail17trampoline_kernelINS0_14default_configENS1_22reduce_config_selectorIiEEZNS1_11reduce_implILb1ES3_N6thrust23THRUST_200600_302600_NS11hip_rocprim35transform_pair_of_input_iterators_tIiPN3c108BFloat16ESD_NS8_12not_equal_toISC_EEEEPiiNS8_4plusIiEEEE10hipError_tPvRmT1_T2_T3_mT4_P12ihipStream_tbEUlT_E0_NS1_11comp_targetILNS1_3genE5ELNS1_11target_archE942ELNS1_3gpuE9ELNS1_3repE0EEENS1_30default_config_static_selectorELNS0_4arch9wavefront6targetE1EEEvSN_,@function
_ZN7rocprim17ROCPRIM_400000_NS6detail17trampoline_kernelINS0_14default_configENS1_22reduce_config_selectorIiEEZNS1_11reduce_implILb1ES3_N6thrust23THRUST_200600_302600_NS11hip_rocprim35transform_pair_of_input_iterators_tIiPN3c108BFloat16ESD_NS8_12not_equal_toISC_EEEEPiiNS8_4plusIiEEEE10hipError_tPvRmT1_T2_T3_mT4_P12ihipStream_tbEUlT_E0_NS1_11comp_targetILNS1_3genE5ELNS1_11target_archE942ELNS1_3gpuE9ELNS1_3repE0EEENS1_30default_config_static_selectorELNS0_4arch9wavefront6targetE1EEEvSN_: ; @_ZN7rocprim17ROCPRIM_400000_NS6detail17trampoline_kernelINS0_14default_configENS1_22reduce_config_selectorIiEEZNS1_11reduce_implILb1ES3_N6thrust23THRUST_200600_302600_NS11hip_rocprim35transform_pair_of_input_iterators_tIiPN3c108BFloat16ESD_NS8_12not_equal_toISC_EEEEPiiNS8_4plusIiEEEE10hipError_tPvRmT1_T2_T3_mT4_P12ihipStream_tbEUlT_E0_NS1_11comp_targetILNS1_3genE5ELNS1_11target_archE942ELNS1_3gpuE9ELNS1_3repE0EEENS1_30default_config_static_selectorELNS0_4arch9wavefront6targetE1EEEvSN_
; %bb.0:
	.section	.rodata,"a",@progbits
	.p2align	6, 0x0
	.amdhsa_kernel _ZN7rocprim17ROCPRIM_400000_NS6detail17trampoline_kernelINS0_14default_configENS1_22reduce_config_selectorIiEEZNS1_11reduce_implILb1ES3_N6thrust23THRUST_200600_302600_NS11hip_rocprim35transform_pair_of_input_iterators_tIiPN3c108BFloat16ESD_NS8_12not_equal_toISC_EEEEPiiNS8_4plusIiEEEE10hipError_tPvRmT1_T2_T3_mT4_P12ihipStream_tbEUlT_E0_NS1_11comp_targetILNS1_3genE5ELNS1_11target_archE942ELNS1_3gpuE9ELNS1_3repE0EEENS1_30default_config_static_selectorELNS0_4arch9wavefront6targetE1EEEvSN_
		.amdhsa_group_segment_fixed_size 0
		.amdhsa_private_segment_fixed_size 0
		.amdhsa_kernarg_size 72
		.amdhsa_user_sgpr_count 6
		.amdhsa_user_sgpr_private_segment_buffer 1
		.amdhsa_user_sgpr_dispatch_ptr 0
		.amdhsa_user_sgpr_queue_ptr 0
		.amdhsa_user_sgpr_kernarg_segment_ptr 1
		.amdhsa_user_sgpr_dispatch_id 0
		.amdhsa_user_sgpr_flat_scratch_init 0
		.amdhsa_user_sgpr_private_segment_size 0
		.amdhsa_uses_dynamic_stack 0
		.amdhsa_system_sgpr_private_segment_wavefront_offset 0
		.amdhsa_system_sgpr_workgroup_id_x 1
		.amdhsa_system_sgpr_workgroup_id_y 0
		.amdhsa_system_sgpr_workgroup_id_z 0
		.amdhsa_system_sgpr_workgroup_info 0
		.amdhsa_system_vgpr_workitem_id 0
		.amdhsa_next_free_vgpr 1
		.amdhsa_next_free_sgpr 0
		.amdhsa_reserve_vcc 0
		.amdhsa_reserve_flat_scratch 0
		.amdhsa_float_round_mode_32 0
		.amdhsa_float_round_mode_16_64 0
		.amdhsa_float_denorm_mode_32 3
		.amdhsa_float_denorm_mode_16_64 3
		.amdhsa_dx10_clamp 1
		.amdhsa_ieee_mode 1
		.amdhsa_fp16_overflow 0
		.amdhsa_exception_fp_ieee_invalid_op 0
		.amdhsa_exception_fp_denorm_src 0
		.amdhsa_exception_fp_ieee_div_zero 0
		.amdhsa_exception_fp_ieee_overflow 0
		.amdhsa_exception_fp_ieee_underflow 0
		.amdhsa_exception_fp_ieee_inexact 0
		.amdhsa_exception_int_div_zero 0
	.end_amdhsa_kernel
	.section	.text._ZN7rocprim17ROCPRIM_400000_NS6detail17trampoline_kernelINS0_14default_configENS1_22reduce_config_selectorIiEEZNS1_11reduce_implILb1ES3_N6thrust23THRUST_200600_302600_NS11hip_rocprim35transform_pair_of_input_iterators_tIiPN3c108BFloat16ESD_NS8_12not_equal_toISC_EEEEPiiNS8_4plusIiEEEE10hipError_tPvRmT1_T2_T3_mT4_P12ihipStream_tbEUlT_E0_NS1_11comp_targetILNS1_3genE5ELNS1_11target_archE942ELNS1_3gpuE9ELNS1_3repE0EEENS1_30default_config_static_selectorELNS0_4arch9wavefront6targetE1EEEvSN_,"axG",@progbits,_ZN7rocprim17ROCPRIM_400000_NS6detail17trampoline_kernelINS0_14default_configENS1_22reduce_config_selectorIiEEZNS1_11reduce_implILb1ES3_N6thrust23THRUST_200600_302600_NS11hip_rocprim35transform_pair_of_input_iterators_tIiPN3c108BFloat16ESD_NS8_12not_equal_toISC_EEEEPiiNS8_4plusIiEEEE10hipError_tPvRmT1_T2_T3_mT4_P12ihipStream_tbEUlT_E0_NS1_11comp_targetILNS1_3genE5ELNS1_11target_archE942ELNS1_3gpuE9ELNS1_3repE0EEENS1_30default_config_static_selectorELNS0_4arch9wavefront6targetE1EEEvSN_,comdat
.Lfunc_end2035:
	.size	_ZN7rocprim17ROCPRIM_400000_NS6detail17trampoline_kernelINS0_14default_configENS1_22reduce_config_selectorIiEEZNS1_11reduce_implILb1ES3_N6thrust23THRUST_200600_302600_NS11hip_rocprim35transform_pair_of_input_iterators_tIiPN3c108BFloat16ESD_NS8_12not_equal_toISC_EEEEPiiNS8_4plusIiEEEE10hipError_tPvRmT1_T2_T3_mT4_P12ihipStream_tbEUlT_E0_NS1_11comp_targetILNS1_3genE5ELNS1_11target_archE942ELNS1_3gpuE9ELNS1_3repE0EEENS1_30default_config_static_selectorELNS0_4arch9wavefront6targetE1EEEvSN_, .Lfunc_end2035-_ZN7rocprim17ROCPRIM_400000_NS6detail17trampoline_kernelINS0_14default_configENS1_22reduce_config_selectorIiEEZNS1_11reduce_implILb1ES3_N6thrust23THRUST_200600_302600_NS11hip_rocprim35transform_pair_of_input_iterators_tIiPN3c108BFloat16ESD_NS8_12not_equal_toISC_EEEEPiiNS8_4plusIiEEEE10hipError_tPvRmT1_T2_T3_mT4_P12ihipStream_tbEUlT_E0_NS1_11comp_targetILNS1_3genE5ELNS1_11target_archE942ELNS1_3gpuE9ELNS1_3repE0EEENS1_30default_config_static_selectorELNS0_4arch9wavefront6targetE1EEEvSN_
                                        ; -- End function
	.set _ZN7rocprim17ROCPRIM_400000_NS6detail17trampoline_kernelINS0_14default_configENS1_22reduce_config_selectorIiEEZNS1_11reduce_implILb1ES3_N6thrust23THRUST_200600_302600_NS11hip_rocprim35transform_pair_of_input_iterators_tIiPN3c108BFloat16ESD_NS8_12not_equal_toISC_EEEEPiiNS8_4plusIiEEEE10hipError_tPvRmT1_T2_T3_mT4_P12ihipStream_tbEUlT_E0_NS1_11comp_targetILNS1_3genE5ELNS1_11target_archE942ELNS1_3gpuE9ELNS1_3repE0EEENS1_30default_config_static_selectorELNS0_4arch9wavefront6targetE1EEEvSN_.num_vgpr, 0
	.set _ZN7rocprim17ROCPRIM_400000_NS6detail17trampoline_kernelINS0_14default_configENS1_22reduce_config_selectorIiEEZNS1_11reduce_implILb1ES3_N6thrust23THRUST_200600_302600_NS11hip_rocprim35transform_pair_of_input_iterators_tIiPN3c108BFloat16ESD_NS8_12not_equal_toISC_EEEEPiiNS8_4plusIiEEEE10hipError_tPvRmT1_T2_T3_mT4_P12ihipStream_tbEUlT_E0_NS1_11comp_targetILNS1_3genE5ELNS1_11target_archE942ELNS1_3gpuE9ELNS1_3repE0EEENS1_30default_config_static_selectorELNS0_4arch9wavefront6targetE1EEEvSN_.num_agpr, 0
	.set _ZN7rocprim17ROCPRIM_400000_NS6detail17trampoline_kernelINS0_14default_configENS1_22reduce_config_selectorIiEEZNS1_11reduce_implILb1ES3_N6thrust23THRUST_200600_302600_NS11hip_rocprim35transform_pair_of_input_iterators_tIiPN3c108BFloat16ESD_NS8_12not_equal_toISC_EEEEPiiNS8_4plusIiEEEE10hipError_tPvRmT1_T2_T3_mT4_P12ihipStream_tbEUlT_E0_NS1_11comp_targetILNS1_3genE5ELNS1_11target_archE942ELNS1_3gpuE9ELNS1_3repE0EEENS1_30default_config_static_selectorELNS0_4arch9wavefront6targetE1EEEvSN_.numbered_sgpr, 0
	.set _ZN7rocprim17ROCPRIM_400000_NS6detail17trampoline_kernelINS0_14default_configENS1_22reduce_config_selectorIiEEZNS1_11reduce_implILb1ES3_N6thrust23THRUST_200600_302600_NS11hip_rocprim35transform_pair_of_input_iterators_tIiPN3c108BFloat16ESD_NS8_12not_equal_toISC_EEEEPiiNS8_4plusIiEEEE10hipError_tPvRmT1_T2_T3_mT4_P12ihipStream_tbEUlT_E0_NS1_11comp_targetILNS1_3genE5ELNS1_11target_archE942ELNS1_3gpuE9ELNS1_3repE0EEENS1_30default_config_static_selectorELNS0_4arch9wavefront6targetE1EEEvSN_.num_named_barrier, 0
	.set _ZN7rocprim17ROCPRIM_400000_NS6detail17trampoline_kernelINS0_14default_configENS1_22reduce_config_selectorIiEEZNS1_11reduce_implILb1ES3_N6thrust23THRUST_200600_302600_NS11hip_rocprim35transform_pair_of_input_iterators_tIiPN3c108BFloat16ESD_NS8_12not_equal_toISC_EEEEPiiNS8_4plusIiEEEE10hipError_tPvRmT1_T2_T3_mT4_P12ihipStream_tbEUlT_E0_NS1_11comp_targetILNS1_3genE5ELNS1_11target_archE942ELNS1_3gpuE9ELNS1_3repE0EEENS1_30default_config_static_selectorELNS0_4arch9wavefront6targetE1EEEvSN_.private_seg_size, 0
	.set _ZN7rocprim17ROCPRIM_400000_NS6detail17trampoline_kernelINS0_14default_configENS1_22reduce_config_selectorIiEEZNS1_11reduce_implILb1ES3_N6thrust23THRUST_200600_302600_NS11hip_rocprim35transform_pair_of_input_iterators_tIiPN3c108BFloat16ESD_NS8_12not_equal_toISC_EEEEPiiNS8_4plusIiEEEE10hipError_tPvRmT1_T2_T3_mT4_P12ihipStream_tbEUlT_E0_NS1_11comp_targetILNS1_3genE5ELNS1_11target_archE942ELNS1_3gpuE9ELNS1_3repE0EEENS1_30default_config_static_selectorELNS0_4arch9wavefront6targetE1EEEvSN_.uses_vcc, 0
	.set _ZN7rocprim17ROCPRIM_400000_NS6detail17trampoline_kernelINS0_14default_configENS1_22reduce_config_selectorIiEEZNS1_11reduce_implILb1ES3_N6thrust23THRUST_200600_302600_NS11hip_rocprim35transform_pair_of_input_iterators_tIiPN3c108BFloat16ESD_NS8_12not_equal_toISC_EEEEPiiNS8_4plusIiEEEE10hipError_tPvRmT1_T2_T3_mT4_P12ihipStream_tbEUlT_E0_NS1_11comp_targetILNS1_3genE5ELNS1_11target_archE942ELNS1_3gpuE9ELNS1_3repE0EEENS1_30default_config_static_selectorELNS0_4arch9wavefront6targetE1EEEvSN_.uses_flat_scratch, 0
	.set _ZN7rocprim17ROCPRIM_400000_NS6detail17trampoline_kernelINS0_14default_configENS1_22reduce_config_selectorIiEEZNS1_11reduce_implILb1ES3_N6thrust23THRUST_200600_302600_NS11hip_rocprim35transform_pair_of_input_iterators_tIiPN3c108BFloat16ESD_NS8_12not_equal_toISC_EEEEPiiNS8_4plusIiEEEE10hipError_tPvRmT1_T2_T3_mT4_P12ihipStream_tbEUlT_E0_NS1_11comp_targetILNS1_3genE5ELNS1_11target_archE942ELNS1_3gpuE9ELNS1_3repE0EEENS1_30default_config_static_selectorELNS0_4arch9wavefront6targetE1EEEvSN_.has_dyn_sized_stack, 0
	.set _ZN7rocprim17ROCPRIM_400000_NS6detail17trampoline_kernelINS0_14default_configENS1_22reduce_config_selectorIiEEZNS1_11reduce_implILb1ES3_N6thrust23THRUST_200600_302600_NS11hip_rocprim35transform_pair_of_input_iterators_tIiPN3c108BFloat16ESD_NS8_12not_equal_toISC_EEEEPiiNS8_4plusIiEEEE10hipError_tPvRmT1_T2_T3_mT4_P12ihipStream_tbEUlT_E0_NS1_11comp_targetILNS1_3genE5ELNS1_11target_archE942ELNS1_3gpuE9ELNS1_3repE0EEENS1_30default_config_static_selectorELNS0_4arch9wavefront6targetE1EEEvSN_.has_recursion, 0
	.set _ZN7rocprim17ROCPRIM_400000_NS6detail17trampoline_kernelINS0_14default_configENS1_22reduce_config_selectorIiEEZNS1_11reduce_implILb1ES3_N6thrust23THRUST_200600_302600_NS11hip_rocprim35transform_pair_of_input_iterators_tIiPN3c108BFloat16ESD_NS8_12not_equal_toISC_EEEEPiiNS8_4plusIiEEEE10hipError_tPvRmT1_T2_T3_mT4_P12ihipStream_tbEUlT_E0_NS1_11comp_targetILNS1_3genE5ELNS1_11target_archE942ELNS1_3gpuE9ELNS1_3repE0EEENS1_30default_config_static_selectorELNS0_4arch9wavefront6targetE1EEEvSN_.has_indirect_call, 0
	.section	.AMDGPU.csdata,"",@progbits
; Kernel info:
; codeLenInByte = 0
; TotalNumSgprs: 4
; NumVgprs: 0
; ScratchSize: 0
; MemoryBound: 0
; FloatMode: 240
; IeeeMode: 1
; LDSByteSize: 0 bytes/workgroup (compile time only)
; SGPRBlocks: 0
; VGPRBlocks: 0
; NumSGPRsForWavesPerEU: 4
; NumVGPRsForWavesPerEU: 1
; Occupancy: 10
; WaveLimiterHint : 0
; COMPUTE_PGM_RSRC2:SCRATCH_EN: 0
; COMPUTE_PGM_RSRC2:USER_SGPR: 6
; COMPUTE_PGM_RSRC2:TRAP_HANDLER: 0
; COMPUTE_PGM_RSRC2:TGID_X_EN: 1
; COMPUTE_PGM_RSRC2:TGID_Y_EN: 0
; COMPUTE_PGM_RSRC2:TGID_Z_EN: 0
; COMPUTE_PGM_RSRC2:TIDIG_COMP_CNT: 0
	.section	.text._ZN7rocprim17ROCPRIM_400000_NS6detail17trampoline_kernelINS0_14default_configENS1_22reduce_config_selectorIiEEZNS1_11reduce_implILb1ES3_N6thrust23THRUST_200600_302600_NS11hip_rocprim35transform_pair_of_input_iterators_tIiPN3c108BFloat16ESD_NS8_12not_equal_toISC_EEEEPiiNS8_4plusIiEEEE10hipError_tPvRmT1_T2_T3_mT4_P12ihipStream_tbEUlT_E0_NS1_11comp_targetILNS1_3genE4ELNS1_11target_archE910ELNS1_3gpuE8ELNS1_3repE0EEENS1_30default_config_static_selectorELNS0_4arch9wavefront6targetE1EEEvSN_,"axG",@progbits,_ZN7rocprim17ROCPRIM_400000_NS6detail17trampoline_kernelINS0_14default_configENS1_22reduce_config_selectorIiEEZNS1_11reduce_implILb1ES3_N6thrust23THRUST_200600_302600_NS11hip_rocprim35transform_pair_of_input_iterators_tIiPN3c108BFloat16ESD_NS8_12not_equal_toISC_EEEEPiiNS8_4plusIiEEEE10hipError_tPvRmT1_T2_T3_mT4_P12ihipStream_tbEUlT_E0_NS1_11comp_targetILNS1_3genE4ELNS1_11target_archE910ELNS1_3gpuE8ELNS1_3repE0EEENS1_30default_config_static_selectorELNS0_4arch9wavefront6targetE1EEEvSN_,comdat
	.protected	_ZN7rocprim17ROCPRIM_400000_NS6detail17trampoline_kernelINS0_14default_configENS1_22reduce_config_selectorIiEEZNS1_11reduce_implILb1ES3_N6thrust23THRUST_200600_302600_NS11hip_rocprim35transform_pair_of_input_iterators_tIiPN3c108BFloat16ESD_NS8_12not_equal_toISC_EEEEPiiNS8_4plusIiEEEE10hipError_tPvRmT1_T2_T3_mT4_P12ihipStream_tbEUlT_E0_NS1_11comp_targetILNS1_3genE4ELNS1_11target_archE910ELNS1_3gpuE8ELNS1_3repE0EEENS1_30default_config_static_selectorELNS0_4arch9wavefront6targetE1EEEvSN_ ; -- Begin function _ZN7rocprim17ROCPRIM_400000_NS6detail17trampoline_kernelINS0_14default_configENS1_22reduce_config_selectorIiEEZNS1_11reduce_implILb1ES3_N6thrust23THRUST_200600_302600_NS11hip_rocprim35transform_pair_of_input_iterators_tIiPN3c108BFloat16ESD_NS8_12not_equal_toISC_EEEEPiiNS8_4plusIiEEEE10hipError_tPvRmT1_T2_T3_mT4_P12ihipStream_tbEUlT_E0_NS1_11comp_targetILNS1_3genE4ELNS1_11target_archE910ELNS1_3gpuE8ELNS1_3repE0EEENS1_30default_config_static_selectorELNS0_4arch9wavefront6targetE1EEEvSN_
	.globl	_ZN7rocprim17ROCPRIM_400000_NS6detail17trampoline_kernelINS0_14default_configENS1_22reduce_config_selectorIiEEZNS1_11reduce_implILb1ES3_N6thrust23THRUST_200600_302600_NS11hip_rocprim35transform_pair_of_input_iterators_tIiPN3c108BFloat16ESD_NS8_12not_equal_toISC_EEEEPiiNS8_4plusIiEEEE10hipError_tPvRmT1_T2_T3_mT4_P12ihipStream_tbEUlT_E0_NS1_11comp_targetILNS1_3genE4ELNS1_11target_archE910ELNS1_3gpuE8ELNS1_3repE0EEENS1_30default_config_static_selectorELNS0_4arch9wavefront6targetE1EEEvSN_
	.p2align	8
	.type	_ZN7rocprim17ROCPRIM_400000_NS6detail17trampoline_kernelINS0_14default_configENS1_22reduce_config_selectorIiEEZNS1_11reduce_implILb1ES3_N6thrust23THRUST_200600_302600_NS11hip_rocprim35transform_pair_of_input_iterators_tIiPN3c108BFloat16ESD_NS8_12not_equal_toISC_EEEEPiiNS8_4plusIiEEEE10hipError_tPvRmT1_T2_T3_mT4_P12ihipStream_tbEUlT_E0_NS1_11comp_targetILNS1_3genE4ELNS1_11target_archE910ELNS1_3gpuE8ELNS1_3repE0EEENS1_30default_config_static_selectorELNS0_4arch9wavefront6targetE1EEEvSN_,@function
_ZN7rocprim17ROCPRIM_400000_NS6detail17trampoline_kernelINS0_14default_configENS1_22reduce_config_selectorIiEEZNS1_11reduce_implILb1ES3_N6thrust23THRUST_200600_302600_NS11hip_rocprim35transform_pair_of_input_iterators_tIiPN3c108BFloat16ESD_NS8_12not_equal_toISC_EEEEPiiNS8_4plusIiEEEE10hipError_tPvRmT1_T2_T3_mT4_P12ihipStream_tbEUlT_E0_NS1_11comp_targetILNS1_3genE4ELNS1_11target_archE910ELNS1_3gpuE8ELNS1_3repE0EEENS1_30default_config_static_selectorELNS0_4arch9wavefront6targetE1EEEvSN_: ; @_ZN7rocprim17ROCPRIM_400000_NS6detail17trampoline_kernelINS0_14default_configENS1_22reduce_config_selectorIiEEZNS1_11reduce_implILb1ES3_N6thrust23THRUST_200600_302600_NS11hip_rocprim35transform_pair_of_input_iterators_tIiPN3c108BFloat16ESD_NS8_12not_equal_toISC_EEEEPiiNS8_4plusIiEEEE10hipError_tPvRmT1_T2_T3_mT4_P12ihipStream_tbEUlT_E0_NS1_11comp_targetILNS1_3genE4ELNS1_11target_archE910ELNS1_3gpuE8ELNS1_3repE0EEENS1_30default_config_static_selectorELNS0_4arch9wavefront6targetE1EEEvSN_
; %bb.0:
	.section	.rodata,"a",@progbits
	.p2align	6, 0x0
	.amdhsa_kernel _ZN7rocprim17ROCPRIM_400000_NS6detail17trampoline_kernelINS0_14default_configENS1_22reduce_config_selectorIiEEZNS1_11reduce_implILb1ES3_N6thrust23THRUST_200600_302600_NS11hip_rocprim35transform_pair_of_input_iterators_tIiPN3c108BFloat16ESD_NS8_12not_equal_toISC_EEEEPiiNS8_4plusIiEEEE10hipError_tPvRmT1_T2_T3_mT4_P12ihipStream_tbEUlT_E0_NS1_11comp_targetILNS1_3genE4ELNS1_11target_archE910ELNS1_3gpuE8ELNS1_3repE0EEENS1_30default_config_static_selectorELNS0_4arch9wavefront6targetE1EEEvSN_
		.amdhsa_group_segment_fixed_size 0
		.amdhsa_private_segment_fixed_size 0
		.amdhsa_kernarg_size 72
		.amdhsa_user_sgpr_count 6
		.amdhsa_user_sgpr_private_segment_buffer 1
		.amdhsa_user_sgpr_dispatch_ptr 0
		.amdhsa_user_sgpr_queue_ptr 0
		.amdhsa_user_sgpr_kernarg_segment_ptr 1
		.amdhsa_user_sgpr_dispatch_id 0
		.amdhsa_user_sgpr_flat_scratch_init 0
		.amdhsa_user_sgpr_private_segment_size 0
		.amdhsa_uses_dynamic_stack 0
		.amdhsa_system_sgpr_private_segment_wavefront_offset 0
		.amdhsa_system_sgpr_workgroup_id_x 1
		.amdhsa_system_sgpr_workgroup_id_y 0
		.amdhsa_system_sgpr_workgroup_id_z 0
		.amdhsa_system_sgpr_workgroup_info 0
		.amdhsa_system_vgpr_workitem_id 0
		.amdhsa_next_free_vgpr 1
		.amdhsa_next_free_sgpr 0
		.amdhsa_reserve_vcc 0
		.amdhsa_reserve_flat_scratch 0
		.amdhsa_float_round_mode_32 0
		.amdhsa_float_round_mode_16_64 0
		.amdhsa_float_denorm_mode_32 3
		.amdhsa_float_denorm_mode_16_64 3
		.amdhsa_dx10_clamp 1
		.amdhsa_ieee_mode 1
		.amdhsa_fp16_overflow 0
		.amdhsa_exception_fp_ieee_invalid_op 0
		.amdhsa_exception_fp_denorm_src 0
		.amdhsa_exception_fp_ieee_div_zero 0
		.amdhsa_exception_fp_ieee_overflow 0
		.amdhsa_exception_fp_ieee_underflow 0
		.amdhsa_exception_fp_ieee_inexact 0
		.amdhsa_exception_int_div_zero 0
	.end_amdhsa_kernel
	.section	.text._ZN7rocprim17ROCPRIM_400000_NS6detail17trampoline_kernelINS0_14default_configENS1_22reduce_config_selectorIiEEZNS1_11reduce_implILb1ES3_N6thrust23THRUST_200600_302600_NS11hip_rocprim35transform_pair_of_input_iterators_tIiPN3c108BFloat16ESD_NS8_12not_equal_toISC_EEEEPiiNS8_4plusIiEEEE10hipError_tPvRmT1_T2_T3_mT4_P12ihipStream_tbEUlT_E0_NS1_11comp_targetILNS1_3genE4ELNS1_11target_archE910ELNS1_3gpuE8ELNS1_3repE0EEENS1_30default_config_static_selectorELNS0_4arch9wavefront6targetE1EEEvSN_,"axG",@progbits,_ZN7rocprim17ROCPRIM_400000_NS6detail17trampoline_kernelINS0_14default_configENS1_22reduce_config_selectorIiEEZNS1_11reduce_implILb1ES3_N6thrust23THRUST_200600_302600_NS11hip_rocprim35transform_pair_of_input_iterators_tIiPN3c108BFloat16ESD_NS8_12not_equal_toISC_EEEEPiiNS8_4plusIiEEEE10hipError_tPvRmT1_T2_T3_mT4_P12ihipStream_tbEUlT_E0_NS1_11comp_targetILNS1_3genE4ELNS1_11target_archE910ELNS1_3gpuE8ELNS1_3repE0EEENS1_30default_config_static_selectorELNS0_4arch9wavefront6targetE1EEEvSN_,comdat
.Lfunc_end2036:
	.size	_ZN7rocprim17ROCPRIM_400000_NS6detail17trampoline_kernelINS0_14default_configENS1_22reduce_config_selectorIiEEZNS1_11reduce_implILb1ES3_N6thrust23THRUST_200600_302600_NS11hip_rocprim35transform_pair_of_input_iterators_tIiPN3c108BFloat16ESD_NS8_12not_equal_toISC_EEEEPiiNS8_4plusIiEEEE10hipError_tPvRmT1_T2_T3_mT4_P12ihipStream_tbEUlT_E0_NS1_11comp_targetILNS1_3genE4ELNS1_11target_archE910ELNS1_3gpuE8ELNS1_3repE0EEENS1_30default_config_static_selectorELNS0_4arch9wavefront6targetE1EEEvSN_, .Lfunc_end2036-_ZN7rocprim17ROCPRIM_400000_NS6detail17trampoline_kernelINS0_14default_configENS1_22reduce_config_selectorIiEEZNS1_11reduce_implILb1ES3_N6thrust23THRUST_200600_302600_NS11hip_rocprim35transform_pair_of_input_iterators_tIiPN3c108BFloat16ESD_NS8_12not_equal_toISC_EEEEPiiNS8_4plusIiEEEE10hipError_tPvRmT1_T2_T3_mT4_P12ihipStream_tbEUlT_E0_NS1_11comp_targetILNS1_3genE4ELNS1_11target_archE910ELNS1_3gpuE8ELNS1_3repE0EEENS1_30default_config_static_selectorELNS0_4arch9wavefront6targetE1EEEvSN_
                                        ; -- End function
	.set _ZN7rocprim17ROCPRIM_400000_NS6detail17trampoline_kernelINS0_14default_configENS1_22reduce_config_selectorIiEEZNS1_11reduce_implILb1ES3_N6thrust23THRUST_200600_302600_NS11hip_rocprim35transform_pair_of_input_iterators_tIiPN3c108BFloat16ESD_NS8_12not_equal_toISC_EEEEPiiNS8_4plusIiEEEE10hipError_tPvRmT1_T2_T3_mT4_P12ihipStream_tbEUlT_E0_NS1_11comp_targetILNS1_3genE4ELNS1_11target_archE910ELNS1_3gpuE8ELNS1_3repE0EEENS1_30default_config_static_selectorELNS0_4arch9wavefront6targetE1EEEvSN_.num_vgpr, 0
	.set _ZN7rocprim17ROCPRIM_400000_NS6detail17trampoline_kernelINS0_14default_configENS1_22reduce_config_selectorIiEEZNS1_11reduce_implILb1ES3_N6thrust23THRUST_200600_302600_NS11hip_rocprim35transform_pair_of_input_iterators_tIiPN3c108BFloat16ESD_NS8_12not_equal_toISC_EEEEPiiNS8_4plusIiEEEE10hipError_tPvRmT1_T2_T3_mT4_P12ihipStream_tbEUlT_E0_NS1_11comp_targetILNS1_3genE4ELNS1_11target_archE910ELNS1_3gpuE8ELNS1_3repE0EEENS1_30default_config_static_selectorELNS0_4arch9wavefront6targetE1EEEvSN_.num_agpr, 0
	.set _ZN7rocprim17ROCPRIM_400000_NS6detail17trampoline_kernelINS0_14default_configENS1_22reduce_config_selectorIiEEZNS1_11reduce_implILb1ES3_N6thrust23THRUST_200600_302600_NS11hip_rocprim35transform_pair_of_input_iterators_tIiPN3c108BFloat16ESD_NS8_12not_equal_toISC_EEEEPiiNS8_4plusIiEEEE10hipError_tPvRmT1_T2_T3_mT4_P12ihipStream_tbEUlT_E0_NS1_11comp_targetILNS1_3genE4ELNS1_11target_archE910ELNS1_3gpuE8ELNS1_3repE0EEENS1_30default_config_static_selectorELNS0_4arch9wavefront6targetE1EEEvSN_.numbered_sgpr, 0
	.set _ZN7rocprim17ROCPRIM_400000_NS6detail17trampoline_kernelINS0_14default_configENS1_22reduce_config_selectorIiEEZNS1_11reduce_implILb1ES3_N6thrust23THRUST_200600_302600_NS11hip_rocprim35transform_pair_of_input_iterators_tIiPN3c108BFloat16ESD_NS8_12not_equal_toISC_EEEEPiiNS8_4plusIiEEEE10hipError_tPvRmT1_T2_T3_mT4_P12ihipStream_tbEUlT_E0_NS1_11comp_targetILNS1_3genE4ELNS1_11target_archE910ELNS1_3gpuE8ELNS1_3repE0EEENS1_30default_config_static_selectorELNS0_4arch9wavefront6targetE1EEEvSN_.num_named_barrier, 0
	.set _ZN7rocprim17ROCPRIM_400000_NS6detail17trampoline_kernelINS0_14default_configENS1_22reduce_config_selectorIiEEZNS1_11reduce_implILb1ES3_N6thrust23THRUST_200600_302600_NS11hip_rocprim35transform_pair_of_input_iterators_tIiPN3c108BFloat16ESD_NS8_12not_equal_toISC_EEEEPiiNS8_4plusIiEEEE10hipError_tPvRmT1_T2_T3_mT4_P12ihipStream_tbEUlT_E0_NS1_11comp_targetILNS1_3genE4ELNS1_11target_archE910ELNS1_3gpuE8ELNS1_3repE0EEENS1_30default_config_static_selectorELNS0_4arch9wavefront6targetE1EEEvSN_.private_seg_size, 0
	.set _ZN7rocprim17ROCPRIM_400000_NS6detail17trampoline_kernelINS0_14default_configENS1_22reduce_config_selectorIiEEZNS1_11reduce_implILb1ES3_N6thrust23THRUST_200600_302600_NS11hip_rocprim35transform_pair_of_input_iterators_tIiPN3c108BFloat16ESD_NS8_12not_equal_toISC_EEEEPiiNS8_4plusIiEEEE10hipError_tPvRmT1_T2_T3_mT4_P12ihipStream_tbEUlT_E0_NS1_11comp_targetILNS1_3genE4ELNS1_11target_archE910ELNS1_3gpuE8ELNS1_3repE0EEENS1_30default_config_static_selectorELNS0_4arch9wavefront6targetE1EEEvSN_.uses_vcc, 0
	.set _ZN7rocprim17ROCPRIM_400000_NS6detail17trampoline_kernelINS0_14default_configENS1_22reduce_config_selectorIiEEZNS1_11reduce_implILb1ES3_N6thrust23THRUST_200600_302600_NS11hip_rocprim35transform_pair_of_input_iterators_tIiPN3c108BFloat16ESD_NS8_12not_equal_toISC_EEEEPiiNS8_4plusIiEEEE10hipError_tPvRmT1_T2_T3_mT4_P12ihipStream_tbEUlT_E0_NS1_11comp_targetILNS1_3genE4ELNS1_11target_archE910ELNS1_3gpuE8ELNS1_3repE0EEENS1_30default_config_static_selectorELNS0_4arch9wavefront6targetE1EEEvSN_.uses_flat_scratch, 0
	.set _ZN7rocprim17ROCPRIM_400000_NS6detail17trampoline_kernelINS0_14default_configENS1_22reduce_config_selectorIiEEZNS1_11reduce_implILb1ES3_N6thrust23THRUST_200600_302600_NS11hip_rocprim35transform_pair_of_input_iterators_tIiPN3c108BFloat16ESD_NS8_12not_equal_toISC_EEEEPiiNS8_4plusIiEEEE10hipError_tPvRmT1_T2_T3_mT4_P12ihipStream_tbEUlT_E0_NS1_11comp_targetILNS1_3genE4ELNS1_11target_archE910ELNS1_3gpuE8ELNS1_3repE0EEENS1_30default_config_static_selectorELNS0_4arch9wavefront6targetE1EEEvSN_.has_dyn_sized_stack, 0
	.set _ZN7rocprim17ROCPRIM_400000_NS6detail17trampoline_kernelINS0_14default_configENS1_22reduce_config_selectorIiEEZNS1_11reduce_implILb1ES3_N6thrust23THRUST_200600_302600_NS11hip_rocprim35transform_pair_of_input_iterators_tIiPN3c108BFloat16ESD_NS8_12not_equal_toISC_EEEEPiiNS8_4plusIiEEEE10hipError_tPvRmT1_T2_T3_mT4_P12ihipStream_tbEUlT_E0_NS1_11comp_targetILNS1_3genE4ELNS1_11target_archE910ELNS1_3gpuE8ELNS1_3repE0EEENS1_30default_config_static_selectorELNS0_4arch9wavefront6targetE1EEEvSN_.has_recursion, 0
	.set _ZN7rocprim17ROCPRIM_400000_NS6detail17trampoline_kernelINS0_14default_configENS1_22reduce_config_selectorIiEEZNS1_11reduce_implILb1ES3_N6thrust23THRUST_200600_302600_NS11hip_rocprim35transform_pair_of_input_iterators_tIiPN3c108BFloat16ESD_NS8_12not_equal_toISC_EEEEPiiNS8_4plusIiEEEE10hipError_tPvRmT1_T2_T3_mT4_P12ihipStream_tbEUlT_E0_NS1_11comp_targetILNS1_3genE4ELNS1_11target_archE910ELNS1_3gpuE8ELNS1_3repE0EEENS1_30default_config_static_selectorELNS0_4arch9wavefront6targetE1EEEvSN_.has_indirect_call, 0
	.section	.AMDGPU.csdata,"",@progbits
; Kernel info:
; codeLenInByte = 0
; TotalNumSgprs: 4
; NumVgprs: 0
; ScratchSize: 0
; MemoryBound: 0
; FloatMode: 240
; IeeeMode: 1
; LDSByteSize: 0 bytes/workgroup (compile time only)
; SGPRBlocks: 0
; VGPRBlocks: 0
; NumSGPRsForWavesPerEU: 4
; NumVGPRsForWavesPerEU: 1
; Occupancy: 10
; WaveLimiterHint : 0
; COMPUTE_PGM_RSRC2:SCRATCH_EN: 0
; COMPUTE_PGM_RSRC2:USER_SGPR: 6
; COMPUTE_PGM_RSRC2:TRAP_HANDLER: 0
; COMPUTE_PGM_RSRC2:TGID_X_EN: 1
; COMPUTE_PGM_RSRC2:TGID_Y_EN: 0
; COMPUTE_PGM_RSRC2:TGID_Z_EN: 0
; COMPUTE_PGM_RSRC2:TIDIG_COMP_CNT: 0
	.section	.text._ZN7rocprim17ROCPRIM_400000_NS6detail17trampoline_kernelINS0_14default_configENS1_22reduce_config_selectorIiEEZNS1_11reduce_implILb1ES3_N6thrust23THRUST_200600_302600_NS11hip_rocprim35transform_pair_of_input_iterators_tIiPN3c108BFloat16ESD_NS8_12not_equal_toISC_EEEEPiiNS8_4plusIiEEEE10hipError_tPvRmT1_T2_T3_mT4_P12ihipStream_tbEUlT_E0_NS1_11comp_targetILNS1_3genE3ELNS1_11target_archE908ELNS1_3gpuE7ELNS1_3repE0EEENS1_30default_config_static_selectorELNS0_4arch9wavefront6targetE1EEEvSN_,"axG",@progbits,_ZN7rocprim17ROCPRIM_400000_NS6detail17trampoline_kernelINS0_14default_configENS1_22reduce_config_selectorIiEEZNS1_11reduce_implILb1ES3_N6thrust23THRUST_200600_302600_NS11hip_rocprim35transform_pair_of_input_iterators_tIiPN3c108BFloat16ESD_NS8_12not_equal_toISC_EEEEPiiNS8_4plusIiEEEE10hipError_tPvRmT1_T2_T3_mT4_P12ihipStream_tbEUlT_E0_NS1_11comp_targetILNS1_3genE3ELNS1_11target_archE908ELNS1_3gpuE7ELNS1_3repE0EEENS1_30default_config_static_selectorELNS0_4arch9wavefront6targetE1EEEvSN_,comdat
	.protected	_ZN7rocprim17ROCPRIM_400000_NS6detail17trampoline_kernelINS0_14default_configENS1_22reduce_config_selectorIiEEZNS1_11reduce_implILb1ES3_N6thrust23THRUST_200600_302600_NS11hip_rocprim35transform_pair_of_input_iterators_tIiPN3c108BFloat16ESD_NS8_12not_equal_toISC_EEEEPiiNS8_4plusIiEEEE10hipError_tPvRmT1_T2_T3_mT4_P12ihipStream_tbEUlT_E0_NS1_11comp_targetILNS1_3genE3ELNS1_11target_archE908ELNS1_3gpuE7ELNS1_3repE0EEENS1_30default_config_static_selectorELNS0_4arch9wavefront6targetE1EEEvSN_ ; -- Begin function _ZN7rocprim17ROCPRIM_400000_NS6detail17trampoline_kernelINS0_14default_configENS1_22reduce_config_selectorIiEEZNS1_11reduce_implILb1ES3_N6thrust23THRUST_200600_302600_NS11hip_rocprim35transform_pair_of_input_iterators_tIiPN3c108BFloat16ESD_NS8_12not_equal_toISC_EEEEPiiNS8_4plusIiEEEE10hipError_tPvRmT1_T2_T3_mT4_P12ihipStream_tbEUlT_E0_NS1_11comp_targetILNS1_3genE3ELNS1_11target_archE908ELNS1_3gpuE7ELNS1_3repE0EEENS1_30default_config_static_selectorELNS0_4arch9wavefront6targetE1EEEvSN_
	.globl	_ZN7rocprim17ROCPRIM_400000_NS6detail17trampoline_kernelINS0_14default_configENS1_22reduce_config_selectorIiEEZNS1_11reduce_implILb1ES3_N6thrust23THRUST_200600_302600_NS11hip_rocprim35transform_pair_of_input_iterators_tIiPN3c108BFloat16ESD_NS8_12not_equal_toISC_EEEEPiiNS8_4plusIiEEEE10hipError_tPvRmT1_T2_T3_mT4_P12ihipStream_tbEUlT_E0_NS1_11comp_targetILNS1_3genE3ELNS1_11target_archE908ELNS1_3gpuE7ELNS1_3repE0EEENS1_30default_config_static_selectorELNS0_4arch9wavefront6targetE1EEEvSN_
	.p2align	8
	.type	_ZN7rocprim17ROCPRIM_400000_NS6detail17trampoline_kernelINS0_14default_configENS1_22reduce_config_selectorIiEEZNS1_11reduce_implILb1ES3_N6thrust23THRUST_200600_302600_NS11hip_rocprim35transform_pair_of_input_iterators_tIiPN3c108BFloat16ESD_NS8_12not_equal_toISC_EEEEPiiNS8_4plusIiEEEE10hipError_tPvRmT1_T2_T3_mT4_P12ihipStream_tbEUlT_E0_NS1_11comp_targetILNS1_3genE3ELNS1_11target_archE908ELNS1_3gpuE7ELNS1_3repE0EEENS1_30default_config_static_selectorELNS0_4arch9wavefront6targetE1EEEvSN_,@function
_ZN7rocprim17ROCPRIM_400000_NS6detail17trampoline_kernelINS0_14default_configENS1_22reduce_config_selectorIiEEZNS1_11reduce_implILb1ES3_N6thrust23THRUST_200600_302600_NS11hip_rocprim35transform_pair_of_input_iterators_tIiPN3c108BFloat16ESD_NS8_12not_equal_toISC_EEEEPiiNS8_4plusIiEEEE10hipError_tPvRmT1_T2_T3_mT4_P12ihipStream_tbEUlT_E0_NS1_11comp_targetILNS1_3genE3ELNS1_11target_archE908ELNS1_3gpuE7ELNS1_3repE0EEENS1_30default_config_static_selectorELNS0_4arch9wavefront6targetE1EEEvSN_: ; @_ZN7rocprim17ROCPRIM_400000_NS6detail17trampoline_kernelINS0_14default_configENS1_22reduce_config_selectorIiEEZNS1_11reduce_implILb1ES3_N6thrust23THRUST_200600_302600_NS11hip_rocprim35transform_pair_of_input_iterators_tIiPN3c108BFloat16ESD_NS8_12not_equal_toISC_EEEEPiiNS8_4plusIiEEEE10hipError_tPvRmT1_T2_T3_mT4_P12ihipStream_tbEUlT_E0_NS1_11comp_targetILNS1_3genE3ELNS1_11target_archE908ELNS1_3gpuE7ELNS1_3repE0EEENS1_30default_config_static_selectorELNS0_4arch9wavefront6targetE1EEEvSN_
; %bb.0:
	.section	.rodata,"a",@progbits
	.p2align	6, 0x0
	.amdhsa_kernel _ZN7rocprim17ROCPRIM_400000_NS6detail17trampoline_kernelINS0_14default_configENS1_22reduce_config_selectorIiEEZNS1_11reduce_implILb1ES3_N6thrust23THRUST_200600_302600_NS11hip_rocprim35transform_pair_of_input_iterators_tIiPN3c108BFloat16ESD_NS8_12not_equal_toISC_EEEEPiiNS8_4plusIiEEEE10hipError_tPvRmT1_T2_T3_mT4_P12ihipStream_tbEUlT_E0_NS1_11comp_targetILNS1_3genE3ELNS1_11target_archE908ELNS1_3gpuE7ELNS1_3repE0EEENS1_30default_config_static_selectorELNS0_4arch9wavefront6targetE1EEEvSN_
		.amdhsa_group_segment_fixed_size 0
		.amdhsa_private_segment_fixed_size 0
		.amdhsa_kernarg_size 72
		.amdhsa_user_sgpr_count 6
		.amdhsa_user_sgpr_private_segment_buffer 1
		.amdhsa_user_sgpr_dispatch_ptr 0
		.amdhsa_user_sgpr_queue_ptr 0
		.amdhsa_user_sgpr_kernarg_segment_ptr 1
		.amdhsa_user_sgpr_dispatch_id 0
		.amdhsa_user_sgpr_flat_scratch_init 0
		.amdhsa_user_sgpr_private_segment_size 0
		.amdhsa_uses_dynamic_stack 0
		.amdhsa_system_sgpr_private_segment_wavefront_offset 0
		.amdhsa_system_sgpr_workgroup_id_x 1
		.amdhsa_system_sgpr_workgroup_id_y 0
		.amdhsa_system_sgpr_workgroup_id_z 0
		.amdhsa_system_sgpr_workgroup_info 0
		.amdhsa_system_vgpr_workitem_id 0
		.amdhsa_next_free_vgpr 1
		.amdhsa_next_free_sgpr 0
		.amdhsa_reserve_vcc 0
		.amdhsa_reserve_flat_scratch 0
		.amdhsa_float_round_mode_32 0
		.amdhsa_float_round_mode_16_64 0
		.amdhsa_float_denorm_mode_32 3
		.amdhsa_float_denorm_mode_16_64 3
		.amdhsa_dx10_clamp 1
		.amdhsa_ieee_mode 1
		.amdhsa_fp16_overflow 0
		.amdhsa_exception_fp_ieee_invalid_op 0
		.amdhsa_exception_fp_denorm_src 0
		.amdhsa_exception_fp_ieee_div_zero 0
		.amdhsa_exception_fp_ieee_overflow 0
		.amdhsa_exception_fp_ieee_underflow 0
		.amdhsa_exception_fp_ieee_inexact 0
		.amdhsa_exception_int_div_zero 0
	.end_amdhsa_kernel
	.section	.text._ZN7rocprim17ROCPRIM_400000_NS6detail17trampoline_kernelINS0_14default_configENS1_22reduce_config_selectorIiEEZNS1_11reduce_implILb1ES3_N6thrust23THRUST_200600_302600_NS11hip_rocprim35transform_pair_of_input_iterators_tIiPN3c108BFloat16ESD_NS8_12not_equal_toISC_EEEEPiiNS8_4plusIiEEEE10hipError_tPvRmT1_T2_T3_mT4_P12ihipStream_tbEUlT_E0_NS1_11comp_targetILNS1_3genE3ELNS1_11target_archE908ELNS1_3gpuE7ELNS1_3repE0EEENS1_30default_config_static_selectorELNS0_4arch9wavefront6targetE1EEEvSN_,"axG",@progbits,_ZN7rocprim17ROCPRIM_400000_NS6detail17trampoline_kernelINS0_14default_configENS1_22reduce_config_selectorIiEEZNS1_11reduce_implILb1ES3_N6thrust23THRUST_200600_302600_NS11hip_rocprim35transform_pair_of_input_iterators_tIiPN3c108BFloat16ESD_NS8_12not_equal_toISC_EEEEPiiNS8_4plusIiEEEE10hipError_tPvRmT1_T2_T3_mT4_P12ihipStream_tbEUlT_E0_NS1_11comp_targetILNS1_3genE3ELNS1_11target_archE908ELNS1_3gpuE7ELNS1_3repE0EEENS1_30default_config_static_selectorELNS0_4arch9wavefront6targetE1EEEvSN_,comdat
.Lfunc_end2037:
	.size	_ZN7rocprim17ROCPRIM_400000_NS6detail17trampoline_kernelINS0_14default_configENS1_22reduce_config_selectorIiEEZNS1_11reduce_implILb1ES3_N6thrust23THRUST_200600_302600_NS11hip_rocprim35transform_pair_of_input_iterators_tIiPN3c108BFloat16ESD_NS8_12not_equal_toISC_EEEEPiiNS8_4plusIiEEEE10hipError_tPvRmT1_T2_T3_mT4_P12ihipStream_tbEUlT_E0_NS1_11comp_targetILNS1_3genE3ELNS1_11target_archE908ELNS1_3gpuE7ELNS1_3repE0EEENS1_30default_config_static_selectorELNS0_4arch9wavefront6targetE1EEEvSN_, .Lfunc_end2037-_ZN7rocprim17ROCPRIM_400000_NS6detail17trampoline_kernelINS0_14default_configENS1_22reduce_config_selectorIiEEZNS1_11reduce_implILb1ES3_N6thrust23THRUST_200600_302600_NS11hip_rocprim35transform_pair_of_input_iterators_tIiPN3c108BFloat16ESD_NS8_12not_equal_toISC_EEEEPiiNS8_4plusIiEEEE10hipError_tPvRmT1_T2_T3_mT4_P12ihipStream_tbEUlT_E0_NS1_11comp_targetILNS1_3genE3ELNS1_11target_archE908ELNS1_3gpuE7ELNS1_3repE0EEENS1_30default_config_static_selectorELNS0_4arch9wavefront6targetE1EEEvSN_
                                        ; -- End function
	.set _ZN7rocprim17ROCPRIM_400000_NS6detail17trampoline_kernelINS0_14default_configENS1_22reduce_config_selectorIiEEZNS1_11reduce_implILb1ES3_N6thrust23THRUST_200600_302600_NS11hip_rocprim35transform_pair_of_input_iterators_tIiPN3c108BFloat16ESD_NS8_12not_equal_toISC_EEEEPiiNS8_4plusIiEEEE10hipError_tPvRmT1_T2_T3_mT4_P12ihipStream_tbEUlT_E0_NS1_11comp_targetILNS1_3genE3ELNS1_11target_archE908ELNS1_3gpuE7ELNS1_3repE0EEENS1_30default_config_static_selectorELNS0_4arch9wavefront6targetE1EEEvSN_.num_vgpr, 0
	.set _ZN7rocprim17ROCPRIM_400000_NS6detail17trampoline_kernelINS0_14default_configENS1_22reduce_config_selectorIiEEZNS1_11reduce_implILb1ES3_N6thrust23THRUST_200600_302600_NS11hip_rocprim35transform_pair_of_input_iterators_tIiPN3c108BFloat16ESD_NS8_12not_equal_toISC_EEEEPiiNS8_4plusIiEEEE10hipError_tPvRmT1_T2_T3_mT4_P12ihipStream_tbEUlT_E0_NS1_11comp_targetILNS1_3genE3ELNS1_11target_archE908ELNS1_3gpuE7ELNS1_3repE0EEENS1_30default_config_static_selectorELNS0_4arch9wavefront6targetE1EEEvSN_.num_agpr, 0
	.set _ZN7rocprim17ROCPRIM_400000_NS6detail17trampoline_kernelINS0_14default_configENS1_22reduce_config_selectorIiEEZNS1_11reduce_implILb1ES3_N6thrust23THRUST_200600_302600_NS11hip_rocprim35transform_pair_of_input_iterators_tIiPN3c108BFloat16ESD_NS8_12not_equal_toISC_EEEEPiiNS8_4plusIiEEEE10hipError_tPvRmT1_T2_T3_mT4_P12ihipStream_tbEUlT_E0_NS1_11comp_targetILNS1_3genE3ELNS1_11target_archE908ELNS1_3gpuE7ELNS1_3repE0EEENS1_30default_config_static_selectorELNS0_4arch9wavefront6targetE1EEEvSN_.numbered_sgpr, 0
	.set _ZN7rocprim17ROCPRIM_400000_NS6detail17trampoline_kernelINS0_14default_configENS1_22reduce_config_selectorIiEEZNS1_11reduce_implILb1ES3_N6thrust23THRUST_200600_302600_NS11hip_rocprim35transform_pair_of_input_iterators_tIiPN3c108BFloat16ESD_NS8_12not_equal_toISC_EEEEPiiNS8_4plusIiEEEE10hipError_tPvRmT1_T2_T3_mT4_P12ihipStream_tbEUlT_E0_NS1_11comp_targetILNS1_3genE3ELNS1_11target_archE908ELNS1_3gpuE7ELNS1_3repE0EEENS1_30default_config_static_selectorELNS0_4arch9wavefront6targetE1EEEvSN_.num_named_barrier, 0
	.set _ZN7rocprim17ROCPRIM_400000_NS6detail17trampoline_kernelINS0_14default_configENS1_22reduce_config_selectorIiEEZNS1_11reduce_implILb1ES3_N6thrust23THRUST_200600_302600_NS11hip_rocprim35transform_pair_of_input_iterators_tIiPN3c108BFloat16ESD_NS8_12not_equal_toISC_EEEEPiiNS8_4plusIiEEEE10hipError_tPvRmT1_T2_T3_mT4_P12ihipStream_tbEUlT_E0_NS1_11comp_targetILNS1_3genE3ELNS1_11target_archE908ELNS1_3gpuE7ELNS1_3repE0EEENS1_30default_config_static_selectorELNS0_4arch9wavefront6targetE1EEEvSN_.private_seg_size, 0
	.set _ZN7rocprim17ROCPRIM_400000_NS6detail17trampoline_kernelINS0_14default_configENS1_22reduce_config_selectorIiEEZNS1_11reduce_implILb1ES3_N6thrust23THRUST_200600_302600_NS11hip_rocprim35transform_pair_of_input_iterators_tIiPN3c108BFloat16ESD_NS8_12not_equal_toISC_EEEEPiiNS8_4plusIiEEEE10hipError_tPvRmT1_T2_T3_mT4_P12ihipStream_tbEUlT_E0_NS1_11comp_targetILNS1_3genE3ELNS1_11target_archE908ELNS1_3gpuE7ELNS1_3repE0EEENS1_30default_config_static_selectorELNS0_4arch9wavefront6targetE1EEEvSN_.uses_vcc, 0
	.set _ZN7rocprim17ROCPRIM_400000_NS6detail17trampoline_kernelINS0_14default_configENS1_22reduce_config_selectorIiEEZNS1_11reduce_implILb1ES3_N6thrust23THRUST_200600_302600_NS11hip_rocprim35transform_pair_of_input_iterators_tIiPN3c108BFloat16ESD_NS8_12not_equal_toISC_EEEEPiiNS8_4plusIiEEEE10hipError_tPvRmT1_T2_T3_mT4_P12ihipStream_tbEUlT_E0_NS1_11comp_targetILNS1_3genE3ELNS1_11target_archE908ELNS1_3gpuE7ELNS1_3repE0EEENS1_30default_config_static_selectorELNS0_4arch9wavefront6targetE1EEEvSN_.uses_flat_scratch, 0
	.set _ZN7rocprim17ROCPRIM_400000_NS6detail17trampoline_kernelINS0_14default_configENS1_22reduce_config_selectorIiEEZNS1_11reduce_implILb1ES3_N6thrust23THRUST_200600_302600_NS11hip_rocprim35transform_pair_of_input_iterators_tIiPN3c108BFloat16ESD_NS8_12not_equal_toISC_EEEEPiiNS8_4plusIiEEEE10hipError_tPvRmT1_T2_T3_mT4_P12ihipStream_tbEUlT_E0_NS1_11comp_targetILNS1_3genE3ELNS1_11target_archE908ELNS1_3gpuE7ELNS1_3repE0EEENS1_30default_config_static_selectorELNS0_4arch9wavefront6targetE1EEEvSN_.has_dyn_sized_stack, 0
	.set _ZN7rocprim17ROCPRIM_400000_NS6detail17trampoline_kernelINS0_14default_configENS1_22reduce_config_selectorIiEEZNS1_11reduce_implILb1ES3_N6thrust23THRUST_200600_302600_NS11hip_rocprim35transform_pair_of_input_iterators_tIiPN3c108BFloat16ESD_NS8_12not_equal_toISC_EEEEPiiNS8_4plusIiEEEE10hipError_tPvRmT1_T2_T3_mT4_P12ihipStream_tbEUlT_E0_NS1_11comp_targetILNS1_3genE3ELNS1_11target_archE908ELNS1_3gpuE7ELNS1_3repE0EEENS1_30default_config_static_selectorELNS0_4arch9wavefront6targetE1EEEvSN_.has_recursion, 0
	.set _ZN7rocprim17ROCPRIM_400000_NS6detail17trampoline_kernelINS0_14default_configENS1_22reduce_config_selectorIiEEZNS1_11reduce_implILb1ES3_N6thrust23THRUST_200600_302600_NS11hip_rocprim35transform_pair_of_input_iterators_tIiPN3c108BFloat16ESD_NS8_12not_equal_toISC_EEEEPiiNS8_4plusIiEEEE10hipError_tPvRmT1_T2_T3_mT4_P12ihipStream_tbEUlT_E0_NS1_11comp_targetILNS1_3genE3ELNS1_11target_archE908ELNS1_3gpuE7ELNS1_3repE0EEENS1_30default_config_static_selectorELNS0_4arch9wavefront6targetE1EEEvSN_.has_indirect_call, 0
	.section	.AMDGPU.csdata,"",@progbits
; Kernel info:
; codeLenInByte = 0
; TotalNumSgprs: 4
; NumVgprs: 0
; ScratchSize: 0
; MemoryBound: 0
; FloatMode: 240
; IeeeMode: 1
; LDSByteSize: 0 bytes/workgroup (compile time only)
; SGPRBlocks: 0
; VGPRBlocks: 0
; NumSGPRsForWavesPerEU: 4
; NumVGPRsForWavesPerEU: 1
; Occupancy: 10
; WaveLimiterHint : 0
; COMPUTE_PGM_RSRC2:SCRATCH_EN: 0
; COMPUTE_PGM_RSRC2:USER_SGPR: 6
; COMPUTE_PGM_RSRC2:TRAP_HANDLER: 0
; COMPUTE_PGM_RSRC2:TGID_X_EN: 1
; COMPUTE_PGM_RSRC2:TGID_Y_EN: 0
; COMPUTE_PGM_RSRC2:TGID_Z_EN: 0
; COMPUTE_PGM_RSRC2:TIDIG_COMP_CNT: 0
	.section	.text._ZN7rocprim17ROCPRIM_400000_NS6detail17trampoline_kernelINS0_14default_configENS1_22reduce_config_selectorIiEEZNS1_11reduce_implILb1ES3_N6thrust23THRUST_200600_302600_NS11hip_rocprim35transform_pair_of_input_iterators_tIiPN3c108BFloat16ESD_NS8_12not_equal_toISC_EEEEPiiNS8_4plusIiEEEE10hipError_tPvRmT1_T2_T3_mT4_P12ihipStream_tbEUlT_E0_NS1_11comp_targetILNS1_3genE2ELNS1_11target_archE906ELNS1_3gpuE6ELNS1_3repE0EEENS1_30default_config_static_selectorELNS0_4arch9wavefront6targetE1EEEvSN_,"axG",@progbits,_ZN7rocprim17ROCPRIM_400000_NS6detail17trampoline_kernelINS0_14default_configENS1_22reduce_config_selectorIiEEZNS1_11reduce_implILb1ES3_N6thrust23THRUST_200600_302600_NS11hip_rocprim35transform_pair_of_input_iterators_tIiPN3c108BFloat16ESD_NS8_12not_equal_toISC_EEEEPiiNS8_4plusIiEEEE10hipError_tPvRmT1_T2_T3_mT4_P12ihipStream_tbEUlT_E0_NS1_11comp_targetILNS1_3genE2ELNS1_11target_archE906ELNS1_3gpuE6ELNS1_3repE0EEENS1_30default_config_static_selectorELNS0_4arch9wavefront6targetE1EEEvSN_,comdat
	.protected	_ZN7rocprim17ROCPRIM_400000_NS6detail17trampoline_kernelINS0_14default_configENS1_22reduce_config_selectorIiEEZNS1_11reduce_implILb1ES3_N6thrust23THRUST_200600_302600_NS11hip_rocprim35transform_pair_of_input_iterators_tIiPN3c108BFloat16ESD_NS8_12not_equal_toISC_EEEEPiiNS8_4plusIiEEEE10hipError_tPvRmT1_T2_T3_mT4_P12ihipStream_tbEUlT_E0_NS1_11comp_targetILNS1_3genE2ELNS1_11target_archE906ELNS1_3gpuE6ELNS1_3repE0EEENS1_30default_config_static_selectorELNS0_4arch9wavefront6targetE1EEEvSN_ ; -- Begin function _ZN7rocprim17ROCPRIM_400000_NS6detail17trampoline_kernelINS0_14default_configENS1_22reduce_config_selectorIiEEZNS1_11reduce_implILb1ES3_N6thrust23THRUST_200600_302600_NS11hip_rocprim35transform_pair_of_input_iterators_tIiPN3c108BFloat16ESD_NS8_12not_equal_toISC_EEEEPiiNS8_4plusIiEEEE10hipError_tPvRmT1_T2_T3_mT4_P12ihipStream_tbEUlT_E0_NS1_11comp_targetILNS1_3genE2ELNS1_11target_archE906ELNS1_3gpuE6ELNS1_3repE0EEENS1_30default_config_static_selectorELNS0_4arch9wavefront6targetE1EEEvSN_
	.globl	_ZN7rocprim17ROCPRIM_400000_NS6detail17trampoline_kernelINS0_14default_configENS1_22reduce_config_selectorIiEEZNS1_11reduce_implILb1ES3_N6thrust23THRUST_200600_302600_NS11hip_rocprim35transform_pair_of_input_iterators_tIiPN3c108BFloat16ESD_NS8_12not_equal_toISC_EEEEPiiNS8_4plusIiEEEE10hipError_tPvRmT1_T2_T3_mT4_P12ihipStream_tbEUlT_E0_NS1_11comp_targetILNS1_3genE2ELNS1_11target_archE906ELNS1_3gpuE6ELNS1_3repE0EEENS1_30default_config_static_selectorELNS0_4arch9wavefront6targetE1EEEvSN_
	.p2align	8
	.type	_ZN7rocprim17ROCPRIM_400000_NS6detail17trampoline_kernelINS0_14default_configENS1_22reduce_config_selectorIiEEZNS1_11reduce_implILb1ES3_N6thrust23THRUST_200600_302600_NS11hip_rocprim35transform_pair_of_input_iterators_tIiPN3c108BFloat16ESD_NS8_12not_equal_toISC_EEEEPiiNS8_4plusIiEEEE10hipError_tPvRmT1_T2_T3_mT4_P12ihipStream_tbEUlT_E0_NS1_11comp_targetILNS1_3genE2ELNS1_11target_archE906ELNS1_3gpuE6ELNS1_3repE0EEENS1_30default_config_static_selectorELNS0_4arch9wavefront6targetE1EEEvSN_,@function
_ZN7rocprim17ROCPRIM_400000_NS6detail17trampoline_kernelINS0_14default_configENS1_22reduce_config_selectorIiEEZNS1_11reduce_implILb1ES3_N6thrust23THRUST_200600_302600_NS11hip_rocprim35transform_pair_of_input_iterators_tIiPN3c108BFloat16ESD_NS8_12not_equal_toISC_EEEEPiiNS8_4plusIiEEEE10hipError_tPvRmT1_T2_T3_mT4_P12ihipStream_tbEUlT_E0_NS1_11comp_targetILNS1_3genE2ELNS1_11target_archE906ELNS1_3gpuE6ELNS1_3repE0EEENS1_30default_config_static_selectorELNS0_4arch9wavefront6targetE1EEEvSN_: ; @_ZN7rocprim17ROCPRIM_400000_NS6detail17trampoline_kernelINS0_14default_configENS1_22reduce_config_selectorIiEEZNS1_11reduce_implILb1ES3_N6thrust23THRUST_200600_302600_NS11hip_rocprim35transform_pair_of_input_iterators_tIiPN3c108BFloat16ESD_NS8_12not_equal_toISC_EEEEPiiNS8_4plusIiEEEE10hipError_tPvRmT1_T2_T3_mT4_P12ihipStream_tbEUlT_E0_NS1_11comp_targetILNS1_3genE2ELNS1_11target_archE906ELNS1_3gpuE6ELNS1_3repE0EEENS1_30default_config_static_selectorELNS0_4arch9wavefront6targetE1EEEvSN_
; %bb.0:
	s_load_dwordx8 s[8:15], s[4:5], 0x18
	s_load_dwordx4 s[0:3], s[4:5], 0x0
	s_load_dwordx2 s[16:17], s[4:5], 0x38
	v_lshlrev_b32_e32 v6, 1, v0
	v_mbcnt_lo_u32_b32 v5, -1, 0
	s_waitcnt lgkmcnt(0)
	s_lshl_b64 s[8:9], s[8:9], 1
	s_add_u32 s20, s0, s8
	s_addc_u32 s21, s1, s9
	s_add_u32 s22, s2, s8
	s_addc_u32 s23, s3, s9
	s_lshl_b32 s0, s6, 10
	s_mov_b32 s1, 0
	s_lshr_b64 s[2:3], s[10:11], 10
	s_lshl_b64 s[18:19], s[0:1], 1
	s_add_u32 s8, s20, s18
	s_addc_u32 s9, s21, s19
	s_add_u32 s18, s22, s18
	s_mov_b32 s7, s1
	s_addc_u32 s19, s23, s19
	s_cmp_lg_u64 s[2:3], s[6:7]
	s_cbranch_scc0 .LBB2038_6
; %bb.1:
	global_load_ushort v1, v6, s[18:19]
	global_load_ushort v4, v6, s[8:9]
	global_load_ushort v7, v6, s[18:19] offset:512
	global_load_ushort v8, v6, s[8:9] offset:512
	;; [unrolled: 1-line block ×6, first 2 shown]
	v_mbcnt_hi_u32_b32 v2, -1, v5
	v_lshlrev_b32_e32 v3, 2, v2
	s_waitcnt vmcnt(7)
	v_lshlrev_b32_e32 v1, 16, v1
	s_waitcnt vmcnt(6)
	v_lshlrev_b32_e32 v4, 16, v4
	v_cmp_neq_f32_e32 vcc, v4, v1
	s_waitcnt vmcnt(5)
	v_lshlrev_b32_e32 v7, 16, v7
	s_waitcnt vmcnt(3)
	v_lshlrev_b32_e32 v9, 16, v9
	;; [unrolled: 2-line block ×3, first 2 shown]
	v_lshlrev_b32_e32 v8, 16, v8
	v_cndmask_b32_e64 v1, 0, 1, vcc
	v_cmp_neq_f32_e32 vcc, v10, v9
	v_cndmask_b32_e64 v4, 0, 1, vcc
	v_cmp_neq_f32_e32 vcc, v8, v7
	s_waitcnt vmcnt(1)
	v_lshlrev_b32_e32 v11, 16, v11
	s_waitcnt vmcnt(0)
	v_lshlrev_b32_e32 v12, 16, v12
	v_addc_co_u32_e32 v1, vcc, 0, v1, vcc
	v_cmp_neq_f32_e32 vcc, v12, v11
	v_addc_co_u32_e32 v1, vcc, v1, v4, vcc
	v_or_b32_e32 v4, 0xfc, v3
	s_nop 0
	v_add_u32_dpp v1, v1, v1 quad_perm:[1,0,3,2] row_mask:0xf bank_mask:0xf bound_ctrl:1
	v_cmp_eq_u32_e32 vcc, 0, v2
	s_nop 0
	v_add_u32_dpp v1, v1, v1 quad_perm:[2,3,0,1] row_mask:0xf bank_mask:0xf bound_ctrl:1
	s_nop 1
	v_add_u32_dpp v1, v1, v1 row_ror:4 row_mask:0xf bank_mask:0xf bound_ctrl:1
	s_nop 1
	v_add_u32_dpp v1, v1, v1 row_ror:8 row_mask:0xf bank_mask:0xf bound_ctrl:1
	s_nop 1
	v_add_u32_dpp v1, v1, v1 row_bcast:15 row_mask:0xf bank_mask:0xf bound_ctrl:1
	s_nop 1
	v_add_u32_dpp v1, v1, v1 row_bcast:31 row_mask:0xf bank_mask:0xf bound_ctrl:1
	ds_bpermute_b32 v1, v4, v1
	s_and_saveexec_b64 s[2:3], vcc
	s_cbranch_execz .LBB2038_3
; %bb.2:
	v_lshrrev_b32_e32 v4, 4, v0
	v_and_b32_e32 v4, 12, v4
	s_waitcnt lgkmcnt(0)
	ds_write_b32 v4, v1
.LBB2038_3:
	s_or_b64 exec, exec, s[2:3]
	v_cmp_gt_u32_e32 vcc, 64, v0
	s_waitcnt lgkmcnt(0)
	s_barrier
	s_and_saveexec_b64 s[2:3], vcc
	s_cbranch_execz .LBB2038_5
; %bb.4:
	v_and_b32_e32 v1, 3, v2
	v_lshlrev_b32_e32 v4, 2, v1
	ds_read_b32 v4, v4
	v_cmp_ne_u32_e32 vcc, 3, v1
	v_addc_co_u32_e32 v1, vcc, 0, v2, vcc
	v_lshlrev_b32_e32 v1, 2, v1
	s_waitcnt lgkmcnt(0)
	ds_bpermute_b32 v1, v1, v4
	v_or_b32_e32 v2, 8, v3
	s_waitcnt lgkmcnt(0)
	v_add_u32_e32 v1, v1, v4
	ds_bpermute_b32 v2, v2, v1
	s_waitcnt lgkmcnt(0)
	v_add_u32_e32 v1, v2, v1
.LBB2038_5:
	s_or_b64 exec, exec, s[2:3]
	s_load_dword s22, s[4:5], 0x40
	s_branch .LBB2038_20
.LBB2038_6:
                                        ; implicit-def: $vgpr1
	s_load_dword s22, s[4:5], 0x40
	s_cbranch_execz .LBB2038_20
; %bb.7:
	s_sub_i32 s23, s10, s0
	v_mov_b32_e32 v1, 0
	v_cmp_gt_u32_e32 vcc, s23, v0
	v_mov_b32_e32 v2, v1
	v_mov_b32_e32 v3, v1
	;; [unrolled: 1-line block ×3, first 2 shown]
	s_and_saveexec_b64 s[0:1], vcc
	s_cbranch_execz .LBB2038_9
; %bb.8:
	global_load_ushort v2, v6, s[18:19]
	global_load_ushort v3, v6, s[8:9]
	v_mov_b32_e32 v8, v1
	v_mov_b32_e32 v9, v1
	;; [unrolled: 1-line block ×3, first 2 shown]
	s_waitcnt vmcnt(1)
	v_lshlrev_b32_e32 v2, 16, v2
	s_waitcnt vmcnt(0)
	v_lshlrev_b32_e32 v3, 16, v3
	v_cmp_neq_f32_e32 vcc, v3, v2
	v_cndmask_b32_e64 v2, 0, 1, vcc
	v_and_b32_e32 v7, 0xffff, v2
	v_mov_b32_e32 v1, v7
	v_mov_b32_e32 v2, v8
	;; [unrolled: 1-line block ×4, first 2 shown]
.LBB2038_9:
	s_or_b64 exec, exec, s[0:1]
	v_or_b32_e32 v7, 0x100, v0
	v_cmp_gt_u32_e32 vcc, s23, v7
	s_and_saveexec_b64 s[2:3], vcc
	s_cbranch_execz .LBB2038_11
; %bb.10:
	global_load_ushort v2, v6, s[18:19] offset:512
	global_load_ushort v7, v6, s[8:9] offset:512
	s_waitcnt vmcnt(1)
	v_lshlrev_b32_e32 v2, 16, v2
	s_waitcnt vmcnt(0)
	v_lshlrev_b32_e32 v7, 16, v7
	v_cmp_neq_f32_e64 s[0:1], v7, v2
	v_cndmask_b32_e64 v2, 0, 1, s[0:1]
.LBB2038_11:
	s_or_b64 exec, exec, s[2:3]
	v_or_b32_e32 v7, 0x200, v0
	v_cmp_gt_u32_e64 s[0:1], s23, v7
	s_and_saveexec_b64 s[4:5], s[0:1]
	s_cbranch_execz .LBB2038_13
; %bb.12:
	global_load_ushort v3, v6, s[18:19] offset:1024
	global_load_ushort v7, v6, s[8:9] offset:1024
	s_waitcnt vmcnt(1)
	v_lshlrev_b32_e32 v3, 16, v3
	s_waitcnt vmcnt(0)
	v_lshlrev_b32_e32 v7, 16, v7
	v_cmp_neq_f32_e64 s[2:3], v7, v3
	v_cndmask_b32_e64 v3, 0, 1, s[2:3]
.LBB2038_13:
	s_or_b64 exec, exec, s[4:5]
	v_or_b32_e32 v7, 0x300, v0
	v_cmp_gt_u32_e64 s[2:3], s23, v7
	s_and_saveexec_b64 s[20:21], s[2:3]
	s_cbranch_execz .LBB2038_15
; %bb.14:
	global_load_ushort v4, v6, s[18:19] offset:1536
	global_load_ushort v7, v6, s[8:9] offset:1536
	s_waitcnt vmcnt(1)
	v_lshlrev_b32_e32 v4, 16, v4
	s_waitcnt vmcnt(0)
	v_lshlrev_b32_e32 v6, 16, v7
	v_cmp_neq_f32_e64 s[4:5], v6, v4
	v_cndmask_b32_e64 v4, 0, 1, s[4:5]
.LBB2038_15:
	s_or_b64 exec, exec, s[20:21]
	v_cndmask_b32_e32 v2, 0, v2, vcc
	v_add_u32_e32 v1, v2, v1
	v_cndmask_b32_e64 v2, 0, v3, s[0:1]
	v_cndmask_b32_e64 v3, 0, v4, s[2:3]
	v_add3_u32 v1, v1, v2, v3
	v_mbcnt_hi_u32_b32 v2, -1, v5
	v_and_b32_e32 v4, 63, v2
	v_cmp_ne_u32_e32 vcc, 63, v4
	v_addc_co_u32_e32 v3, vcc, 0, v2, vcc
	v_lshlrev_b32_e32 v3, 2, v3
	ds_bpermute_b32 v3, v3, v1
	s_min_u32 s2, s23, 0x100
	v_and_b32_e32 v5, 0xc0, v0
	v_sub_u32_e64 v5, s2, v5 clamp
	v_add_u32_e32 v6, 1, v4
	v_cmp_lt_u32_e32 vcc, v6, v5
	s_waitcnt lgkmcnt(0)
	v_cndmask_b32_e32 v3, 0, v3, vcc
	v_cmp_gt_u32_e32 vcc, 62, v4
	v_add_u32_e32 v1, v3, v1
	v_cndmask_b32_e64 v3, 0, 2, vcc
	v_add_lshl_u32 v3, v3, v2, 2
	ds_bpermute_b32 v3, v3, v1
	v_add_u32_e32 v6, 2, v4
	v_cmp_lt_u32_e32 vcc, v6, v5
	v_add_u32_e32 v6, 4, v4
	s_waitcnt lgkmcnt(0)
	v_cndmask_b32_e32 v3, 0, v3, vcc
	v_cmp_gt_u32_e32 vcc, 60, v4
	v_add_u32_e32 v1, v1, v3
	v_cndmask_b32_e64 v3, 0, 4, vcc
	v_add_lshl_u32 v3, v3, v2, 2
	ds_bpermute_b32 v3, v3, v1
	v_cmp_lt_u32_e32 vcc, v6, v5
	v_add_u32_e32 v6, 8, v4
	s_waitcnt lgkmcnt(0)
	v_cndmask_b32_e32 v3, 0, v3, vcc
	v_cmp_gt_u32_e32 vcc, 56, v4
	v_add_u32_e32 v1, v1, v3
	v_cndmask_b32_e64 v3, 0, 8, vcc
	v_add_lshl_u32 v3, v3, v2, 2
	ds_bpermute_b32 v3, v3, v1
	;; [unrolled: 9-line block ×3, first 2 shown]
	v_cmp_lt_u32_e32 vcc, v6, v5
	v_add_u32_e32 v4, 32, v4
	s_waitcnt lgkmcnt(0)
	v_cndmask_b32_e32 v3, 0, v3, vcc
	v_add_u32_e32 v1, v1, v3
	v_lshlrev_b32_e32 v3, 2, v2
	v_or_b32_e32 v6, 0x80, v3
	ds_bpermute_b32 v6, v6, v1
	v_cmp_lt_u32_e32 vcc, v4, v5
	s_waitcnt lgkmcnt(0)
	v_cndmask_b32_e32 v4, 0, v6, vcc
	v_add_u32_e32 v1, v1, v4
	v_cmp_eq_u32_e32 vcc, 0, v2
	s_and_saveexec_b64 s[0:1], vcc
; %bb.16:
	v_lshrrev_b32_e32 v4, 4, v0
	v_and_b32_e32 v4, 12, v4
	ds_write_b32 v4, v1 offset:16
; %bb.17:
	s_or_b64 exec, exec, s[0:1]
	v_cmp_gt_u32_e32 vcc, 4, v0
	s_waitcnt lgkmcnt(0)
	s_barrier
	s_and_saveexec_b64 s[0:1], vcc
	s_cbranch_execz .LBB2038_19
; %bb.18:
	ds_read_b32 v1, v3 offset:16
	v_and_b32_e32 v4, 3, v2
	v_cmp_ne_u32_e32 vcc, 3, v4
	v_addc_co_u32_e32 v2, vcc, 0, v2, vcc
	v_lshlrev_b32_e32 v2, 2, v2
	s_waitcnt lgkmcnt(0)
	ds_bpermute_b32 v2, v2, v1
	s_add_i32 s2, s2, 63
	s_lshr_b32 s2, s2, 6
	v_add_u32_e32 v5, 1, v4
	v_cmp_gt_u32_e32 vcc, s2, v5
	s_waitcnt lgkmcnt(0)
	v_cndmask_b32_e32 v2, 0, v2, vcc
	v_add_u32_e32 v1, v2, v1
	v_or_b32_e32 v2, 8, v3
	ds_bpermute_b32 v2, v2, v1
	v_add_u32_e32 v3, 2, v4
	v_cmp_gt_u32_e32 vcc, s2, v3
	s_waitcnt lgkmcnt(0)
	v_cndmask_b32_e32 v2, 0, v2, vcc
	v_add_u32_e32 v1, v1, v2
.LBB2038_19:
	s_or_b64 exec, exec, s[0:1]
.LBB2038_20:
	v_cmp_eq_u32_e32 vcc, 0, v0
	s_and_saveexec_b64 s[0:1], vcc
	s_cbranch_execnz .LBB2038_22
; %bb.21:
	s_endpgm
.LBB2038_22:
	s_mul_i32 s0, s16, s15
	s_mul_hi_u32 s1, s16, s14
	s_add_i32 s0, s1, s0
	s_mul_i32 s1, s17, s14
	s_add_i32 s1, s0, s1
	s_mul_i32 s0, s16, s14
	s_lshl_b64 s[0:1], s[0:1], 2
	s_add_u32 s2, s12, s0
	s_addc_u32 s3, s13, s1
	s_cmp_eq_u64 s[10:11], 0
	s_cselect_b64 vcc, -1, 0
	s_lshl_b64 s[0:1], s[6:7], 2
	s_waitcnt lgkmcnt(0)
	v_mov_b32_e32 v0, s22
	s_add_u32 s0, s2, s0
	v_cndmask_b32_e32 v0, v1, v0, vcc
	s_addc_u32 s1, s3, s1
	v_mov_b32_e32 v1, 0
	global_store_dword v1, v0, s[0:1]
	s_endpgm
	.section	.rodata,"a",@progbits
	.p2align	6, 0x0
	.amdhsa_kernel _ZN7rocprim17ROCPRIM_400000_NS6detail17trampoline_kernelINS0_14default_configENS1_22reduce_config_selectorIiEEZNS1_11reduce_implILb1ES3_N6thrust23THRUST_200600_302600_NS11hip_rocprim35transform_pair_of_input_iterators_tIiPN3c108BFloat16ESD_NS8_12not_equal_toISC_EEEEPiiNS8_4plusIiEEEE10hipError_tPvRmT1_T2_T3_mT4_P12ihipStream_tbEUlT_E0_NS1_11comp_targetILNS1_3genE2ELNS1_11target_archE906ELNS1_3gpuE6ELNS1_3repE0EEENS1_30default_config_static_selectorELNS0_4arch9wavefront6targetE1EEEvSN_
		.amdhsa_group_segment_fixed_size 32
		.amdhsa_private_segment_fixed_size 0
		.amdhsa_kernarg_size 72
		.amdhsa_user_sgpr_count 6
		.amdhsa_user_sgpr_private_segment_buffer 1
		.amdhsa_user_sgpr_dispatch_ptr 0
		.amdhsa_user_sgpr_queue_ptr 0
		.amdhsa_user_sgpr_kernarg_segment_ptr 1
		.amdhsa_user_sgpr_dispatch_id 0
		.amdhsa_user_sgpr_flat_scratch_init 0
		.amdhsa_user_sgpr_private_segment_size 0
		.amdhsa_uses_dynamic_stack 0
		.amdhsa_system_sgpr_private_segment_wavefront_offset 0
		.amdhsa_system_sgpr_workgroup_id_x 1
		.amdhsa_system_sgpr_workgroup_id_y 0
		.amdhsa_system_sgpr_workgroup_id_z 0
		.amdhsa_system_sgpr_workgroup_info 0
		.amdhsa_system_vgpr_workitem_id 0
		.amdhsa_next_free_vgpr 13
		.amdhsa_next_free_sgpr 24
		.amdhsa_reserve_vcc 1
		.amdhsa_reserve_flat_scratch 0
		.amdhsa_float_round_mode_32 0
		.amdhsa_float_round_mode_16_64 0
		.amdhsa_float_denorm_mode_32 3
		.amdhsa_float_denorm_mode_16_64 3
		.amdhsa_dx10_clamp 1
		.amdhsa_ieee_mode 1
		.amdhsa_fp16_overflow 0
		.amdhsa_exception_fp_ieee_invalid_op 0
		.amdhsa_exception_fp_denorm_src 0
		.amdhsa_exception_fp_ieee_div_zero 0
		.amdhsa_exception_fp_ieee_overflow 0
		.amdhsa_exception_fp_ieee_underflow 0
		.amdhsa_exception_fp_ieee_inexact 0
		.amdhsa_exception_int_div_zero 0
	.end_amdhsa_kernel
	.section	.text._ZN7rocprim17ROCPRIM_400000_NS6detail17trampoline_kernelINS0_14default_configENS1_22reduce_config_selectorIiEEZNS1_11reduce_implILb1ES3_N6thrust23THRUST_200600_302600_NS11hip_rocprim35transform_pair_of_input_iterators_tIiPN3c108BFloat16ESD_NS8_12not_equal_toISC_EEEEPiiNS8_4plusIiEEEE10hipError_tPvRmT1_T2_T3_mT4_P12ihipStream_tbEUlT_E0_NS1_11comp_targetILNS1_3genE2ELNS1_11target_archE906ELNS1_3gpuE6ELNS1_3repE0EEENS1_30default_config_static_selectorELNS0_4arch9wavefront6targetE1EEEvSN_,"axG",@progbits,_ZN7rocprim17ROCPRIM_400000_NS6detail17trampoline_kernelINS0_14default_configENS1_22reduce_config_selectorIiEEZNS1_11reduce_implILb1ES3_N6thrust23THRUST_200600_302600_NS11hip_rocprim35transform_pair_of_input_iterators_tIiPN3c108BFloat16ESD_NS8_12not_equal_toISC_EEEEPiiNS8_4plusIiEEEE10hipError_tPvRmT1_T2_T3_mT4_P12ihipStream_tbEUlT_E0_NS1_11comp_targetILNS1_3genE2ELNS1_11target_archE906ELNS1_3gpuE6ELNS1_3repE0EEENS1_30default_config_static_selectorELNS0_4arch9wavefront6targetE1EEEvSN_,comdat
.Lfunc_end2038:
	.size	_ZN7rocprim17ROCPRIM_400000_NS6detail17trampoline_kernelINS0_14default_configENS1_22reduce_config_selectorIiEEZNS1_11reduce_implILb1ES3_N6thrust23THRUST_200600_302600_NS11hip_rocprim35transform_pair_of_input_iterators_tIiPN3c108BFloat16ESD_NS8_12not_equal_toISC_EEEEPiiNS8_4plusIiEEEE10hipError_tPvRmT1_T2_T3_mT4_P12ihipStream_tbEUlT_E0_NS1_11comp_targetILNS1_3genE2ELNS1_11target_archE906ELNS1_3gpuE6ELNS1_3repE0EEENS1_30default_config_static_selectorELNS0_4arch9wavefront6targetE1EEEvSN_, .Lfunc_end2038-_ZN7rocprim17ROCPRIM_400000_NS6detail17trampoline_kernelINS0_14default_configENS1_22reduce_config_selectorIiEEZNS1_11reduce_implILb1ES3_N6thrust23THRUST_200600_302600_NS11hip_rocprim35transform_pair_of_input_iterators_tIiPN3c108BFloat16ESD_NS8_12not_equal_toISC_EEEEPiiNS8_4plusIiEEEE10hipError_tPvRmT1_T2_T3_mT4_P12ihipStream_tbEUlT_E0_NS1_11comp_targetILNS1_3genE2ELNS1_11target_archE906ELNS1_3gpuE6ELNS1_3repE0EEENS1_30default_config_static_selectorELNS0_4arch9wavefront6targetE1EEEvSN_
                                        ; -- End function
	.set _ZN7rocprim17ROCPRIM_400000_NS6detail17trampoline_kernelINS0_14default_configENS1_22reduce_config_selectorIiEEZNS1_11reduce_implILb1ES3_N6thrust23THRUST_200600_302600_NS11hip_rocprim35transform_pair_of_input_iterators_tIiPN3c108BFloat16ESD_NS8_12not_equal_toISC_EEEEPiiNS8_4plusIiEEEE10hipError_tPvRmT1_T2_T3_mT4_P12ihipStream_tbEUlT_E0_NS1_11comp_targetILNS1_3genE2ELNS1_11target_archE906ELNS1_3gpuE6ELNS1_3repE0EEENS1_30default_config_static_selectorELNS0_4arch9wavefront6targetE1EEEvSN_.num_vgpr, 13
	.set _ZN7rocprim17ROCPRIM_400000_NS6detail17trampoline_kernelINS0_14default_configENS1_22reduce_config_selectorIiEEZNS1_11reduce_implILb1ES3_N6thrust23THRUST_200600_302600_NS11hip_rocprim35transform_pair_of_input_iterators_tIiPN3c108BFloat16ESD_NS8_12not_equal_toISC_EEEEPiiNS8_4plusIiEEEE10hipError_tPvRmT1_T2_T3_mT4_P12ihipStream_tbEUlT_E0_NS1_11comp_targetILNS1_3genE2ELNS1_11target_archE906ELNS1_3gpuE6ELNS1_3repE0EEENS1_30default_config_static_selectorELNS0_4arch9wavefront6targetE1EEEvSN_.num_agpr, 0
	.set _ZN7rocprim17ROCPRIM_400000_NS6detail17trampoline_kernelINS0_14default_configENS1_22reduce_config_selectorIiEEZNS1_11reduce_implILb1ES3_N6thrust23THRUST_200600_302600_NS11hip_rocprim35transform_pair_of_input_iterators_tIiPN3c108BFloat16ESD_NS8_12not_equal_toISC_EEEEPiiNS8_4plusIiEEEE10hipError_tPvRmT1_T2_T3_mT4_P12ihipStream_tbEUlT_E0_NS1_11comp_targetILNS1_3genE2ELNS1_11target_archE906ELNS1_3gpuE6ELNS1_3repE0EEENS1_30default_config_static_selectorELNS0_4arch9wavefront6targetE1EEEvSN_.numbered_sgpr, 24
	.set _ZN7rocprim17ROCPRIM_400000_NS6detail17trampoline_kernelINS0_14default_configENS1_22reduce_config_selectorIiEEZNS1_11reduce_implILb1ES3_N6thrust23THRUST_200600_302600_NS11hip_rocprim35transform_pair_of_input_iterators_tIiPN3c108BFloat16ESD_NS8_12not_equal_toISC_EEEEPiiNS8_4plusIiEEEE10hipError_tPvRmT1_T2_T3_mT4_P12ihipStream_tbEUlT_E0_NS1_11comp_targetILNS1_3genE2ELNS1_11target_archE906ELNS1_3gpuE6ELNS1_3repE0EEENS1_30default_config_static_selectorELNS0_4arch9wavefront6targetE1EEEvSN_.num_named_barrier, 0
	.set _ZN7rocprim17ROCPRIM_400000_NS6detail17trampoline_kernelINS0_14default_configENS1_22reduce_config_selectorIiEEZNS1_11reduce_implILb1ES3_N6thrust23THRUST_200600_302600_NS11hip_rocprim35transform_pair_of_input_iterators_tIiPN3c108BFloat16ESD_NS8_12not_equal_toISC_EEEEPiiNS8_4plusIiEEEE10hipError_tPvRmT1_T2_T3_mT4_P12ihipStream_tbEUlT_E0_NS1_11comp_targetILNS1_3genE2ELNS1_11target_archE906ELNS1_3gpuE6ELNS1_3repE0EEENS1_30default_config_static_selectorELNS0_4arch9wavefront6targetE1EEEvSN_.private_seg_size, 0
	.set _ZN7rocprim17ROCPRIM_400000_NS6detail17trampoline_kernelINS0_14default_configENS1_22reduce_config_selectorIiEEZNS1_11reduce_implILb1ES3_N6thrust23THRUST_200600_302600_NS11hip_rocprim35transform_pair_of_input_iterators_tIiPN3c108BFloat16ESD_NS8_12not_equal_toISC_EEEEPiiNS8_4plusIiEEEE10hipError_tPvRmT1_T2_T3_mT4_P12ihipStream_tbEUlT_E0_NS1_11comp_targetILNS1_3genE2ELNS1_11target_archE906ELNS1_3gpuE6ELNS1_3repE0EEENS1_30default_config_static_selectorELNS0_4arch9wavefront6targetE1EEEvSN_.uses_vcc, 1
	.set _ZN7rocprim17ROCPRIM_400000_NS6detail17trampoline_kernelINS0_14default_configENS1_22reduce_config_selectorIiEEZNS1_11reduce_implILb1ES3_N6thrust23THRUST_200600_302600_NS11hip_rocprim35transform_pair_of_input_iterators_tIiPN3c108BFloat16ESD_NS8_12not_equal_toISC_EEEEPiiNS8_4plusIiEEEE10hipError_tPvRmT1_T2_T3_mT4_P12ihipStream_tbEUlT_E0_NS1_11comp_targetILNS1_3genE2ELNS1_11target_archE906ELNS1_3gpuE6ELNS1_3repE0EEENS1_30default_config_static_selectorELNS0_4arch9wavefront6targetE1EEEvSN_.uses_flat_scratch, 0
	.set _ZN7rocprim17ROCPRIM_400000_NS6detail17trampoline_kernelINS0_14default_configENS1_22reduce_config_selectorIiEEZNS1_11reduce_implILb1ES3_N6thrust23THRUST_200600_302600_NS11hip_rocprim35transform_pair_of_input_iterators_tIiPN3c108BFloat16ESD_NS8_12not_equal_toISC_EEEEPiiNS8_4plusIiEEEE10hipError_tPvRmT1_T2_T3_mT4_P12ihipStream_tbEUlT_E0_NS1_11comp_targetILNS1_3genE2ELNS1_11target_archE906ELNS1_3gpuE6ELNS1_3repE0EEENS1_30default_config_static_selectorELNS0_4arch9wavefront6targetE1EEEvSN_.has_dyn_sized_stack, 0
	.set _ZN7rocprim17ROCPRIM_400000_NS6detail17trampoline_kernelINS0_14default_configENS1_22reduce_config_selectorIiEEZNS1_11reduce_implILb1ES3_N6thrust23THRUST_200600_302600_NS11hip_rocprim35transform_pair_of_input_iterators_tIiPN3c108BFloat16ESD_NS8_12not_equal_toISC_EEEEPiiNS8_4plusIiEEEE10hipError_tPvRmT1_T2_T3_mT4_P12ihipStream_tbEUlT_E0_NS1_11comp_targetILNS1_3genE2ELNS1_11target_archE906ELNS1_3gpuE6ELNS1_3repE0EEENS1_30default_config_static_selectorELNS0_4arch9wavefront6targetE1EEEvSN_.has_recursion, 0
	.set _ZN7rocprim17ROCPRIM_400000_NS6detail17trampoline_kernelINS0_14default_configENS1_22reduce_config_selectorIiEEZNS1_11reduce_implILb1ES3_N6thrust23THRUST_200600_302600_NS11hip_rocprim35transform_pair_of_input_iterators_tIiPN3c108BFloat16ESD_NS8_12not_equal_toISC_EEEEPiiNS8_4plusIiEEEE10hipError_tPvRmT1_T2_T3_mT4_P12ihipStream_tbEUlT_E0_NS1_11comp_targetILNS1_3genE2ELNS1_11target_archE906ELNS1_3gpuE6ELNS1_3repE0EEENS1_30default_config_static_selectorELNS0_4arch9wavefront6targetE1EEEvSN_.has_indirect_call, 0
	.section	.AMDGPU.csdata,"",@progbits
; Kernel info:
; codeLenInByte = 1448
; TotalNumSgprs: 28
; NumVgprs: 13
; ScratchSize: 0
; MemoryBound: 0
; FloatMode: 240
; IeeeMode: 1
; LDSByteSize: 32 bytes/workgroup (compile time only)
; SGPRBlocks: 3
; VGPRBlocks: 3
; NumSGPRsForWavesPerEU: 28
; NumVGPRsForWavesPerEU: 13
; Occupancy: 10
; WaveLimiterHint : 0
; COMPUTE_PGM_RSRC2:SCRATCH_EN: 0
; COMPUTE_PGM_RSRC2:USER_SGPR: 6
; COMPUTE_PGM_RSRC2:TRAP_HANDLER: 0
; COMPUTE_PGM_RSRC2:TGID_X_EN: 1
; COMPUTE_PGM_RSRC2:TGID_Y_EN: 0
; COMPUTE_PGM_RSRC2:TGID_Z_EN: 0
; COMPUTE_PGM_RSRC2:TIDIG_COMP_CNT: 0
	.section	.text._ZN7rocprim17ROCPRIM_400000_NS6detail17trampoline_kernelINS0_14default_configENS1_22reduce_config_selectorIiEEZNS1_11reduce_implILb1ES3_N6thrust23THRUST_200600_302600_NS11hip_rocprim35transform_pair_of_input_iterators_tIiPN3c108BFloat16ESD_NS8_12not_equal_toISC_EEEEPiiNS8_4plusIiEEEE10hipError_tPvRmT1_T2_T3_mT4_P12ihipStream_tbEUlT_E0_NS1_11comp_targetILNS1_3genE10ELNS1_11target_archE1201ELNS1_3gpuE5ELNS1_3repE0EEENS1_30default_config_static_selectorELNS0_4arch9wavefront6targetE1EEEvSN_,"axG",@progbits,_ZN7rocprim17ROCPRIM_400000_NS6detail17trampoline_kernelINS0_14default_configENS1_22reduce_config_selectorIiEEZNS1_11reduce_implILb1ES3_N6thrust23THRUST_200600_302600_NS11hip_rocprim35transform_pair_of_input_iterators_tIiPN3c108BFloat16ESD_NS8_12not_equal_toISC_EEEEPiiNS8_4plusIiEEEE10hipError_tPvRmT1_T2_T3_mT4_P12ihipStream_tbEUlT_E0_NS1_11comp_targetILNS1_3genE10ELNS1_11target_archE1201ELNS1_3gpuE5ELNS1_3repE0EEENS1_30default_config_static_selectorELNS0_4arch9wavefront6targetE1EEEvSN_,comdat
	.protected	_ZN7rocprim17ROCPRIM_400000_NS6detail17trampoline_kernelINS0_14default_configENS1_22reduce_config_selectorIiEEZNS1_11reduce_implILb1ES3_N6thrust23THRUST_200600_302600_NS11hip_rocprim35transform_pair_of_input_iterators_tIiPN3c108BFloat16ESD_NS8_12not_equal_toISC_EEEEPiiNS8_4plusIiEEEE10hipError_tPvRmT1_T2_T3_mT4_P12ihipStream_tbEUlT_E0_NS1_11comp_targetILNS1_3genE10ELNS1_11target_archE1201ELNS1_3gpuE5ELNS1_3repE0EEENS1_30default_config_static_selectorELNS0_4arch9wavefront6targetE1EEEvSN_ ; -- Begin function _ZN7rocprim17ROCPRIM_400000_NS6detail17trampoline_kernelINS0_14default_configENS1_22reduce_config_selectorIiEEZNS1_11reduce_implILb1ES3_N6thrust23THRUST_200600_302600_NS11hip_rocprim35transform_pair_of_input_iterators_tIiPN3c108BFloat16ESD_NS8_12not_equal_toISC_EEEEPiiNS8_4plusIiEEEE10hipError_tPvRmT1_T2_T3_mT4_P12ihipStream_tbEUlT_E0_NS1_11comp_targetILNS1_3genE10ELNS1_11target_archE1201ELNS1_3gpuE5ELNS1_3repE0EEENS1_30default_config_static_selectorELNS0_4arch9wavefront6targetE1EEEvSN_
	.globl	_ZN7rocprim17ROCPRIM_400000_NS6detail17trampoline_kernelINS0_14default_configENS1_22reduce_config_selectorIiEEZNS1_11reduce_implILb1ES3_N6thrust23THRUST_200600_302600_NS11hip_rocprim35transform_pair_of_input_iterators_tIiPN3c108BFloat16ESD_NS8_12not_equal_toISC_EEEEPiiNS8_4plusIiEEEE10hipError_tPvRmT1_T2_T3_mT4_P12ihipStream_tbEUlT_E0_NS1_11comp_targetILNS1_3genE10ELNS1_11target_archE1201ELNS1_3gpuE5ELNS1_3repE0EEENS1_30default_config_static_selectorELNS0_4arch9wavefront6targetE1EEEvSN_
	.p2align	8
	.type	_ZN7rocprim17ROCPRIM_400000_NS6detail17trampoline_kernelINS0_14default_configENS1_22reduce_config_selectorIiEEZNS1_11reduce_implILb1ES3_N6thrust23THRUST_200600_302600_NS11hip_rocprim35transform_pair_of_input_iterators_tIiPN3c108BFloat16ESD_NS8_12not_equal_toISC_EEEEPiiNS8_4plusIiEEEE10hipError_tPvRmT1_T2_T3_mT4_P12ihipStream_tbEUlT_E0_NS1_11comp_targetILNS1_3genE10ELNS1_11target_archE1201ELNS1_3gpuE5ELNS1_3repE0EEENS1_30default_config_static_selectorELNS0_4arch9wavefront6targetE1EEEvSN_,@function
_ZN7rocprim17ROCPRIM_400000_NS6detail17trampoline_kernelINS0_14default_configENS1_22reduce_config_selectorIiEEZNS1_11reduce_implILb1ES3_N6thrust23THRUST_200600_302600_NS11hip_rocprim35transform_pair_of_input_iterators_tIiPN3c108BFloat16ESD_NS8_12not_equal_toISC_EEEEPiiNS8_4plusIiEEEE10hipError_tPvRmT1_T2_T3_mT4_P12ihipStream_tbEUlT_E0_NS1_11comp_targetILNS1_3genE10ELNS1_11target_archE1201ELNS1_3gpuE5ELNS1_3repE0EEENS1_30default_config_static_selectorELNS0_4arch9wavefront6targetE1EEEvSN_: ; @_ZN7rocprim17ROCPRIM_400000_NS6detail17trampoline_kernelINS0_14default_configENS1_22reduce_config_selectorIiEEZNS1_11reduce_implILb1ES3_N6thrust23THRUST_200600_302600_NS11hip_rocprim35transform_pair_of_input_iterators_tIiPN3c108BFloat16ESD_NS8_12not_equal_toISC_EEEEPiiNS8_4plusIiEEEE10hipError_tPvRmT1_T2_T3_mT4_P12ihipStream_tbEUlT_E0_NS1_11comp_targetILNS1_3genE10ELNS1_11target_archE1201ELNS1_3gpuE5ELNS1_3repE0EEENS1_30default_config_static_selectorELNS0_4arch9wavefront6targetE1EEEvSN_
; %bb.0:
	.section	.rodata,"a",@progbits
	.p2align	6, 0x0
	.amdhsa_kernel _ZN7rocprim17ROCPRIM_400000_NS6detail17trampoline_kernelINS0_14default_configENS1_22reduce_config_selectorIiEEZNS1_11reduce_implILb1ES3_N6thrust23THRUST_200600_302600_NS11hip_rocprim35transform_pair_of_input_iterators_tIiPN3c108BFloat16ESD_NS8_12not_equal_toISC_EEEEPiiNS8_4plusIiEEEE10hipError_tPvRmT1_T2_T3_mT4_P12ihipStream_tbEUlT_E0_NS1_11comp_targetILNS1_3genE10ELNS1_11target_archE1201ELNS1_3gpuE5ELNS1_3repE0EEENS1_30default_config_static_selectorELNS0_4arch9wavefront6targetE1EEEvSN_
		.amdhsa_group_segment_fixed_size 0
		.amdhsa_private_segment_fixed_size 0
		.amdhsa_kernarg_size 72
		.amdhsa_user_sgpr_count 6
		.amdhsa_user_sgpr_private_segment_buffer 1
		.amdhsa_user_sgpr_dispatch_ptr 0
		.amdhsa_user_sgpr_queue_ptr 0
		.amdhsa_user_sgpr_kernarg_segment_ptr 1
		.amdhsa_user_sgpr_dispatch_id 0
		.amdhsa_user_sgpr_flat_scratch_init 0
		.amdhsa_user_sgpr_private_segment_size 0
		.amdhsa_uses_dynamic_stack 0
		.amdhsa_system_sgpr_private_segment_wavefront_offset 0
		.amdhsa_system_sgpr_workgroup_id_x 1
		.amdhsa_system_sgpr_workgroup_id_y 0
		.amdhsa_system_sgpr_workgroup_id_z 0
		.amdhsa_system_sgpr_workgroup_info 0
		.amdhsa_system_vgpr_workitem_id 0
		.amdhsa_next_free_vgpr 1
		.amdhsa_next_free_sgpr 0
		.amdhsa_reserve_vcc 0
		.amdhsa_reserve_flat_scratch 0
		.amdhsa_float_round_mode_32 0
		.amdhsa_float_round_mode_16_64 0
		.amdhsa_float_denorm_mode_32 3
		.amdhsa_float_denorm_mode_16_64 3
		.amdhsa_dx10_clamp 1
		.amdhsa_ieee_mode 1
		.amdhsa_fp16_overflow 0
		.amdhsa_exception_fp_ieee_invalid_op 0
		.amdhsa_exception_fp_denorm_src 0
		.amdhsa_exception_fp_ieee_div_zero 0
		.amdhsa_exception_fp_ieee_overflow 0
		.amdhsa_exception_fp_ieee_underflow 0
		.amdhsa_exception_fp_ieee_inexact 0
		.amdhsa_exception_int_div_zero 0
	.end_amdhsa_kernel
	.section	.text._ZN7rocprim17ROCPRIM_400000_NS6detail17trampoline_kernelINS0_14default_configENS1_22reduce_config_selectorIiEEZNS1_11reduce_implILb1ES3_N6thrust23THRUST_200600_302600_NS11hip_rocprim35transform_pair_of_input_iterators_tIiPN3c108BFloat16ESD_NS8_12not_equal_toISC_EEEEPiiNS8_4plusIiEEEE10hipError_tPvRmT1_T2_T3_mT4_P12ihipStream_tbEUlT_E0_NS1_11comp_targetILNS1_3genE10ELNS1_11target_archE1201ELNS1_3gpuE5ELNS1_3repE0EEENS1_30default_config_static_selectorELNS0_4arch9wavefront6targetE1EEEvSN_,"axG",@progbits,_ZN7rocprim17ROCPRIM_400000_NS6detail17trampoline_kernelINS0_14default_configENS1_22reduce_config_selectorIiEEZNS1_11reduce_implILb1ES3_N6thrust23THRUST_200600_302600_NS11hip_rocprim35transform_pair_of_input_iterators_tIiPN3c108BFloat16ESD_NS8_12not_equal_toISC_EEEEPiiNS8_4plusIiEEEE10hipError_tPvRmT1_T2_T3_mT4_P12ihipStream_tbEUlT_E0_NS1_11comp_targetILNS1_3genE10ELNS1_11target_archE1201ELNS1_3gpuE5ELNS1_3repE0EEENS1_30default_config_static_selectorELNS0_4arch9wavefront6targetE1EEEvSN_,comdat
.Lfunc_end2039:
	.size	_ZN7rocprim17ROCPRIM_400000_NS6detail17trampoline_kernelINS0_14default_configENS1_22reduce_config_selectorIiEEZNS1_11reduce_implILb1ES3_N6thrust23THRUST_200600_302600_NS11hip_rocprim35transform_pair_of_input_iterators_tIiPN3c108BFloat16ESD_NS8_12not_equal_toISC_EEEEPiiNS8_4plusIiEEEE10hipError_tPvRmT1_T2_T3_mT4_P12ihipStream_tbEUlT_E0_NS1_11comp_targetILNS1_3genE10ELNS1_11target_archE1201ELNS1_3gpuE5ELNS1_3repE0EEENS1_30default_config_static_selectorELNS0_4arch9wavefront6targetE1EEEvSN_, .Lfunc_end2039-_ZN7rocprim17ROCPRIM_400000_NS6detail17trampoline_kernelINS0_14default_configENS1_22reduce_config_selectorIiEEZNS1_11reduce_implILb1ES3_N6thrust23THRUST_200600_302600_NS11hip_rocprim35transform_pair_of_input_iterators_tIiPN3c108BFloat16ESD_NS8_12not_equal_toISC_EEEEPiiNS8_4plusIiEEEE10hipError_tPvRmT1_T2_T3_mT4_P12ihipStream_tbEUlT_E0_NS1_11comp_targetILNS1_3genE10ELNS1_11target_archE1201ELNS1_3gpuE5ELNS1_3repE0EEENS1_30default_config_static_selectorELNS0_4arch9wavefront6targetE1EEEvSN_
                                        ; -- End function
	.set _ZN7rocprim17ROCPRIM_400000_NS6detail17trampoline_kernelINS0_14default_configENS1_22reduce_config_selectorIiEEZNS1_11reduce_implILb1ES3_N6thrust23THRUST_200600_302600_NS11hip_rocprim35transform_pair_of_input_iterators_tIiPN3c108BFloat16ESD_NS8_12not_equal_toISC_EEEEPiiNS8_4plusIiEEEE10hipError_tPvRmT1_T2_T3_mT4_P12ihipStream_tbEUlT_E0_NS1_11comp_targetILNS1_3genE10ELNS1_11target_archE1201ELNS1_3gpuE5ELNS1_3repE0EEENS1_30default_config_static_selectorELNS0_4arch9wavefront6targetE1EEEvSN_.num_vgpr, 0
	.set _ZN7rocprim17ROCPRIM_400000_NS6detail17trampoline_kernelINS0_14default_configENS1_22reduce_config_selectorIiEEZNS1_11reduce_implILb1ES3_N6thrust23THRUST_200600_302600_NS11hip_rocprim35transform_pair_of_input_iterators_tIiPN3c108BFloat16ESD_NS8_12not_equal_toISC_EEEEPiiNS8_4plusIiEEEE10hipError_tPvRmT1_T2_T3_mT4_P12ihipStream_tbEUlT_E0_NS1_11comp_targetILNS1_3genE10ELNS1_11target_archE1201ELNS1_3gpuE5ELNS1_3repE0EEENS1_30default_config_static_selectorELNS0_4arch9wavefront6targetE1EEEvSN_.num_agpr, 0
	.set _ZN7rocprim17ROCPRIM_400000_NS6detail17trampoline_kernelINS0_14default_configENS1_22reduce_config_selectorIiEEZNS1_11reduce_implILb1ES3_N6thrust23THRUST_200600_302600_NS11hip_rocprim35transform_pair_of_input_iterators_tIiPN3c108BFloat16ESD_NS8_12not_equal_toISC_EEEEPiiNS8_4plusIiEEEE10hipError_tPvRmT1_T2_T3_mT4_P12ihipStream_tbEUlT_E0_NS1_11comp_targetILNS1_3genE10ELNS1_11target_archE1201ELNS1_3gpuE5ELNS1_3repE0EEENS1_30default_config_static_selectorELNS0_4arch9wavefront6targetE1EEEvSN_.numbered_sgpr, 0
	.set _ZN7rocprim17ROCPRIM_400000_NS6detail17trampoline_kernelINS0_14default_configENS1_22reduce_config_selectorIiEEZNS1_11reduce_implILb1ES3_N6thrust23THRUST_200600_302600_NS11hip_rocprim35transform_pair_of_input_iterators_tIiPN3c108BFloat16ESD_NS8_12not_equal_toISC_EEEEPiiNS8_4plusIiEEEE10hipError_tPvRmT1_T2_T3_mT4_P12ihipStream_tbEUlT_E0_NS1_11comp_targetILNS1_3genE10ELNS1_11target_archE1201ELNS1_3gpuE5ELNS1_3repE0EEENS1_30default_config_static_selectorELNS0_4arch9wavefront6targetE1EEEvSN_.num_named_barrier, 0
	.set _ZN7rocprim17ROCPRIM_400000_NS6detail17trampoline_kernelINS0_14default_configENS1_22reduce_config_selectorIiEEZNS1_11reduce_implILb1ES3_N6thrust23THRUST_200600_302600_NS11hip_rocprim35transform_pair_of_input_iterators_tIiPN3c108BFloat16ESD_NS8_12not_equal_toISC_EEEEPiiNS8_4plusIiEEEE10hipError_tPvRmT1_T2_T3_mT4_P12ihipStream_tbEUlT_E0_NS1_11comp_targetILNS1_3genE10ELNS1_11target_archE1201ELNS1_3gpuE5ELNS1_3repE0EEENS1_30default_config_static_selectorELNS0_4arch9wavefront6targetE1EEEvSN_.private_seg_size, 0
	.set _ZN7rocprim17ROCPRIM_400000_NS6detail17trampoline_kernelINS0_14default_configENS1_22reduce_config_selectorIiEEZNS1_11reduce_implILb1ES3_N6thrust23THRUST_200600_302600_NS11hip_rocprim35transform_pair_of_input_iterators_tIiPN3c108BFloat16ESD_NS8_12not_equal_toISC_EEEEPiiNS8_4plusIiEEEE10hipError_tPvRmT1_T2_T3_mT4_P12ihipStream_tbEUlT_E0_NS1_11comp_targetILNS1_3genE10ELNS1_11target_archE1201ELNS1_3gpuE5ELNS1_3repE0EEENS1_30default_config_static_selectorELNS0_4arch9wavefront6targetE1EEEvSN_.uses_vcc, 0
	.set _ZN7rocprim17ROCPRIM_400000_NS6detail17trampoline_kernelINS0_14default_configENS1_22reduce_config_selectorIiEEZNS1_11reduce_implILb1ES3_N6thrust23THRUST_200600_302600_NS11hip_rocprim35transform_pair_of_input_iterators_tIiPN3c108BFloat16ESD_NS8_12not_equal_toISC_EEEEPiiNS8_4plusIiEEEE10hipError_tPvRmT1_T2_T3_mT4_P12ihipStream_tbEUlT_E0_NS1_11comp_targetILNS1_3genE10ELNS1_11target_archE1201ELNS1_3gpuE5ELNS1_3repE0EEENS1_30default_config_static_selectorELNS0_4arch9wavefront6targetE1EEEvSN_.uses_flat_scratch, 0
	.set _ZN7rocprim17ROCPRIM_400000_NS6detail17trampoline_kernelINS0_14default_configENS1_22reduce_config_selectorIiEEZNS1_11reduce_implILb1ES3_N6thrust23THRUST_200600_302600_NS11hip_rocprim35transform_pair_of_input_iterators_tIiPN3c108BFloat16ESD_NS8_12not_equal_toISC_EEEEPiiNS8_4plusIiEEEE10hipError_tPvRmT1_T2_T3_mT4_P12ihipStream_tbEUlT_E0_NS1_11comp_targetILNS1_3genE10ELNS1_11target_archE1201ELNS1_3gpuE5ELNS1_3repE0EEENS1_30default_config_static_selectorELNS0_4arch9wavefront6targetE1EEEvSN_.has_dyn_sized_stack, 0
	.set _ZN7rocprim17ROCPRIM_400000_NS6detail17trampoline_kernelINS0_14default_configENS1_22reduce_config_selectorIiEEZNS1_11reduce_implILb1ES3_N6thrust23THRUST_200600_302600_NS11hip_rocprim35transform_pair_of_input_iterators_tIiPN3c108BFloat16ESD_NS8_12not_equal_toISC_EEEEPiiNS8_4plusIiEEEE10hipError_tPvRmT1_T2_T3_mT4_P12ihipStream_tbEUlT_E0_NS1_11comp_targetILNS1_3genE10ELNS1_11target_archE1201ELNS1_3gpuE5ELNS1_3repE0EEENS1_30default_config_static_selectorELNS0_4arch9wavefront6targetE1EEEvSN_.has_recursion, 0
	.set _ZN7rocprim17ROCPRIM_400000_NS6detail17trampoline_kernelINS0_14default_configENS1_22reduce_config_selectorIiEEZNS1_11reduce_implILb1ES3_N6thrust23THRUST_200600_302600_NS11hip_rocprim35transform_pair_of_input_iterators_tIiPN3c108BFloat16ESD_NS8_12not_equal_toISC_EEEEPiiNS8_4plusIiEEEE10hipError_tPvRmT1_T2_T3_mT4_P12ihipStream_tbEUlT_E0_NS1_11comp_targetILNS1_3genE10ELNS1_11target_archE1201ELNS1_3gpuE5ELNS1_3repE0EEENS1_30default_config_static_selectorELNS0_4arch9wavefront6targetE1EEEvSN_.has_indirect_call, 0
	.section	.AMDGPU.csdata,"",@progbits
; Kernel info:
; codeLenInByte = 0
; TotalNumSgprs: 4
; NumVgprs: 0
; ScratchSize: 0
; MemoryBound: 0
; FloatMode: 240
; IeeeMode: 1
; LDSByteSize: 0 bytes/workgroup (compile time only)
; SGPRBlocks: 0
; VGPRBlocks: 0
; NumSGPRsForWavesPerEU: 4
; NumVGPRsForWavesPerEU: 1
; Occupancy: 10
; WaveLimiterHint : 0
; COMPUTE_PGM_RSRC2:SCRATCH_EN: 0
; COMPUTE_PGM_RSRC2:USER_SGPR: 6
; COMPUTE_PGM_RSRC2:TRAP_HANDLER: 0
; COMPUTE_PGM_RSRC2:TGID_X_EN: 1
; COMPUTE_PGM_RSRC2:TGID_Y_EN: 0
; COMPUTE_PGM_RSRC2:TGID_Z_EN: 0
; COMPUTE_PGM_RSRC2:TIDIG_COMP_CNT: 0
	.section	.text._ZN7rocprim17ROCPRIM_400000_NS6detail17trampoline_kernelINS0_14default_configENS1_22reduce_config_selectorIiEEZNS1_11reduce_implILb1ES3_N6thrust23THRUST_200600_302600_NS11hip_rocprim35transform_pair_of_input_iterators_tIiPN3c108BFloat16ESD_NS8_12not_equal_toISC_EEEEPiiNS8_4plusIiEEEE10hipError_tPvRmT1_T2_T3_mT4_P12ihipStream_tbEUlT_E0_NS1_11comp_targetILNS1_3genE10ELNS1_11target_archE1200ELNS1_3gpuE4ELNS1_3repE0EEENS1_30default_config_static_selectorELNS0_4arch9wavefront6targetE1EEEvSN_,"axG",@progbits,_ZN7rocprim17ROCPRIM_400000_NS6detail17trampoline_kernelINS0_14default_configENS1_22reduce_config_selectorIiEEZNS1_11reduce_implILb1ES3_N6thrust23THRUST_200600_302600_NS11hip_rocprim35transform_pair_of_input_iterators_tIiPN3c108BFloat16ESD_NS8_12not_equal_toISC_EEEEPiiNS8_4plusIiEEEE10hipError_tPvRmT1_T2_T3_mT4_P12ihipStream_tbEUlT_E0_NS1_11comp_targetILNS1_3genE10ELNS1_11target_archE1200ELNS1_3gpuE4ELNS1_3repE0EEENS1_30default_config_static_selectorELNS0_4arch9wavefront6targetE1EEEvSN_,comdat
	.protected	_ZN7rocprim17ROCPRIM_400000_NS6detail17trampoline_kernelINS0_14default_configENS1_22reduce_config_selectorIiEEZNS1_11reduce_implILb1ES3_N6thrust23THRUST_200600_302600_NS11hip_rocprim35transform_pair_of_input_iterators_tIiPN3c108BFloat16ESD_NS8_12not_equal_toISC_EEEEPiiNS8_4plusIiEEEE10hipError_tPvRmT1_T2_T3_mT4_P12ihipStream_tbEUlT_E0_NS1_11comp_targetILNS1_3genE10ELNS1_11target_archE1200ELNS1_3gpuE4ELNS1_3repE0EEENS1_30default_config_static_selectorELNS0_4arch9wavefront6targetE1EEEvSN_ ; -- Begin function _ZN7rocprim17ROCPRIM_400000_NS6detail17trampoline_kernelINS0_14default_configENS1_22reduce_config_selectorIiEEZNS1_11reduce_implILb1ES3_N6thrust23THRUST_200600_302600_NS11hip_rocprim35transform_pair_of_input_iterators_tIiPN3c108BFloat16ESD_NS8_12not_equal_toISC_EEEEPiiNS8_4plusIiEEEE10hipError_tPvRmT1_T2_T3_mT4_P12ihipStream_tbEUlT_E0_NS1_11comp_targetILNS1_3genE10ELNS1_11target_archE1200ELNS1_3gpuE4ELNS1_3repE0EEENS1_30default_config_static_selectorELNS0_4arch9wavefront6targetE1EEEvSN_
	.globl	_ZN7rocprim17ROCPRIM_400000_NS6detail17trampoline_kernelINS0_14default_configENS1_22reduce_config_selectorIiEEZNS1_11reduce_implILb1ES3_N6thrust23THRUST_200600_302600_NS11hip_rocprim35transform_pair_of_input_iterators_tIiPN3c108BFloat16ESD_NS8_12not_equal_toISC_EEEEPiiNS8_4plusIiEEEE10hipError_tPvRmT1_T2_T3_mT4_P12ihipStream_tbEUlT_E0_NS1_11comp_targetILNS1_3genE10ELNS1_11target_archE1200ELNS1_3gpuE4ELNS1_3repE0EEENS1_30default_config_static_selectorELNS0_4arch9wavefront6targetE1EEEvSN_
	.p2align	8
	.type	_ZN7rocprim17ROCPRIM_400000_NS6detail17trampoline_kernelINS0_14default_configENS1_22reduce_config_selectorIiEEZNS1_11reduce_implILb1ES3_N6thrust23THRUST_200600_302600_NS11hip_rocprim35transform_pair_of_input_iterators_tIiPN3c108BFloat16ESD_NS8_12not_equal_toISC_EEEEPiiNS8_4plusIiEEEE10hipError_tPvRmT1_T2_T3_mT4_P12ihipStream_tbEUlT_E0_NS1_11comp_targetILNS1_3genE10ELNS1_11target_archE1200ELNS1_3gpuE4ELNS1_3repE0EEENS1_30default_config_static_selectorELNS0_4arch9wavefront6targetE1EEEvSN_,@function
_ZN7rocprim17ROCPRIM_400000_NS6detail17trampoline_kernelINS0_14default_configENS1_22reduce_config_selectorIiEEZNS1_11reduce_implILb1ES3_N6thrust23THRUST_200600_302600_NS11hip_rocprim35transform_pair_of_input_iterators_tIiPN3c108BFloat16ESD_NS8_12not_equal_toISC_EEEEPiiNS8_4plusIiEEEE10hipError_tPvRmT1_T2_T3_mT4_P12ihipStream_tbEUlT_E0_NS1_11comp_targetILNS1_3genE10ELNS1_11target_archE1200ELNS1_3gpuE4ELNS1_3repE0EEENS1_30default_config_static_selectorELNS0_4arch9wavefront6targetE1EEEvSN_: ; @_ZN7rocprim17ROCPRIM_400000_NS6detail17trampoline_kernelINS0_14default_configENS1_22reduce_config_selectorIiEEZNS1_11reduce_implILb1ES3_N6thrust23THRUST_200600_302600_NS11hip_rocprim35transform_pair_of_input_iterators_tIiPN3c108BFloat16ESD_NS8_12not_equal_toISC_EEEEPiiNS8_4plusIiEEEE10hipError_tPvRmT1_T2_T3_mT4_P12ihipStream_tbEUlT_E0_NS1_11comp_targetILNS1_3genE10ELNS1_11target_archE1200ELNS1_3gpuE4ELNS1_3repE0EEENS1_30default_config_static_selectorELNS0_4arch9wavefront6targetE1EEEvSN_
; %bb.0:
	.section	.rodata,"a",@progbits
	.p2align	6, 0x0
	.amdhsa_kernel _ZN7rocprim17ROCPRIM_400000_NS6detail17trampoline_kernelINS0_14default_configENS1_22reduce_config_selectorIiEEZNS1_11reduce_implILb1ES3_N6thrust23THRUST_200600_302600_NS11hip_rocprim35transform_pair_of_input_iterators_tIiPN3c108BFloat16ESD_NS8_12not_equal_toISC_EEEEPiiNS8_4plusIiEEEE10hipError_tPvRmT1_T2_T3_mT4_P12ihipStream_tbEUlT_E0_NS1_11comp_targetILNS1_3genE10ELNS1_11target_archE1200ELNS1_3gpuE4ELNS1_3repE0EEENS1_30default_config_static_selectorELNS0_4arch9wavefront6targetE1EEEvSN_
		.amdhsa_group_segment_fixed_size 0
		.amdhsa_private_segment_fixed_size 0
		.amdhsa_kernarg_size 72
		.amdhsa_user_sgpr_count 6
		.amdhsa_user_sgpr_private_segment_buffer 1
		.amdhsa_user_sgpr_dispatch_ptr 0
		.amdhsa_user_sgpr_queue_ptr 0
		.amdhsa_user_sgpr_kernarg_segment_ptr 1
		.amdhsa_user_sgpr_dispatch_id 0
		.amdhsa_user_sgpr_flat_scratch_init 0
		.amdhsa_user_sgpr_private_segment_size 0
		.amdhsa_uses_dynamic_stack 0
		.amdhsa_system_sgpr_private_segment_wavefront_offset 0
		.amdhsa_system_sgpr_workgroup_id_x 1
		.amdhsa_system_sgpr_workgroup_id_y 0
		.amdhsa_system_sgpr_workgroup_id_z 0
		.amdhsa_system_sgpr_workgroup_info 0
		.amdhsa_system_vgpr_workitem_id 0
		.amdhsa_next_free_vgpr 1
		.amdhsa_next_free_sgpr 0
		.amdhsa_reserve_vcc 0
		.amdhsa_reserve_flat_scratch 0
		.amdhsa_float_round_mode_32 0
		.amdhsa_float_round_mode_16_64 0
		.amdhsa_float_denorm_mode_32 3
		.amdhsa_float_denorm_mode_16_64 3
		.amdhsa_dx10_clamp 1
		.amdhsa_ieee_mode 1
		.amdhsa_fp16_overflow 0
		.amdhsa_exception_fp_ieee_invalid_op 0
		.amdhsa_exception_fp_denorm_src 0
		.amdhsa_exception_fp_ieee_div_zero 0
		.amdhsa_exception_fp_ieee_overflow 0
		.amdhsa_exception_fp_ieee_underflow 0
		.amdhsa_exception_fp_ieee_inexact 0
		.amdhsa_exception_int_div_zero 0
	.end_amdhsa_kernel
	.section	.text._ZN7rocprim17ROCPRIM_400000_NS6detail17trampoline_kernelINS0_14default_configENS1_22reduce_config_selectorIiEEZNS1_11reduce_implILb1ES3_N6thrust23THRUST_200600_302600_NS11hip_rocprim35transform_pair_of_input_iterators_tIiPN3c108BFloat16ESD_NS8_12not_equal_toISC_EEEEPiiNS8_4plusIiEEEE10hipError_tPvRmT1_T2_T3_mT4_P12ihipStream_tbEUlT_E0_NS1_11comp_targetILNS1_3genE10ELNS1_11target_archE1200ELNS1_3gpuE4ELNS1_3repE0EEENS1_30default_config_static_selectorELNS0_4arch9wavefront6targetE1EEEvSN_,"axG",@progbits,_ZN7rocprim17ROCPRIM_400000_NS6detail17trampoline_kernelINS0_14default_configENS1_22reduce_config_selectorIiEEZNS1_11reduce_implILb1ES3_N6thrust23THRUST_200600_302600_NS11hip_rocprim35transform_pair_of_input_iterators_tIiPN3c108BFloat16ESD_NS8_12not_equal_toISC_EEEEPiiNS8_4plusIiEEEE10hipError_tPvRmT1_T2_T3_mT4_P12ihipStream_tbEUlT_E0_NS1_11comp_targetILNS1_3genE10ELNS1_11target_archE1200ELNS1_3gpuE4ELNS1_3repE0EEENS1_30default_config_static_selectorELNS0_4arch9wavefront6targetE1EEEvSN_,comdat
.Lfunc_end2040:
	.size	_ZN7rocprim17ROCPRIM_400000_NS6detail17trampoline_kernelINS0_14default_configENS1_22reduce_config_selectorIiEEZNS1_11reduce_implILb1ES3_N6thrust23THRUST_200600_302600_NS11hip_rocprim35transform_pair_of_input_iterators_tIiPN3c108BFloat16ESD_NS8_12not_equal_toISC_EEEEPiiNS8_4plusIiEEEE10hipError_tPvRmT1_T2_T3_mT4_P12ihipStream_tbEUlT_E0_NS1_11comp_targetILNS1_3genE10ELNS1_11target_archE1200ELNS1_3gpuE4ELNS1_3repE0EEENS1_30default_config_static_selectorELNS0_4arch9wavefront6targetE1EEEvSN_, .Lfunc_end2040-_ZN7rocprim17ROCPRIM_400000_NS6detail17trampoline_kernelINS0_14default_configENS1_22reduce_config_selectorIiEEZNS1_11reduce_implILb1ES3_N6thrust23THRUST_200600_302600_NS11hip_rocprim35transform_pair_of_input_iterators_tIiPN3c108BFloat16ESD_NS8_12not_equal_toISC_EEEEPiiNS8_4plusIiEEEE10hipError_tPvRmT1_T2_T3_mT4_P12ihipStream_tbEUlT_E0_NS1_11comp_targetILNS1_3genE10ELNS1_11target_archE1200ELNS1_3gpuE4ELNS1_3repE0EEENS1_30default_config_static_selectorELNS0_4arch9wavefront6targetE1EEEvSN_
                                        ; -- End function
	.set _ZN7rocprim17ROCPRIM_400000_NS6detail17trampoline_kernelINS0_14default_configENS1_22reduce_config_selectorIiEEZNS1_11reduce_implILb1ES3_N6thrust23THRUST_200600_302600_NS11hip_rocprim35transform_pair_of_input_iterators_tIiPN3c108BFloat16ESD_NS8_12not_equal_toISC_EEEEPiiNS8_4plusIiEEEE10hipError_tPvRmT1_T2_T3_mT4_P12ihipStream_tbEUlT_E0_NS1_11comp_targetILNS1_3genE10ELNS1_11target_archE1200ELNS1_3gpuE4ELNS1_3repE0EEENS1_30default_config_static_selectorELNS0_4arch9wavefront6targetE1EEEvSN_.num_vgpr, 0
	.set _ZN7rocprim17ROCPRIM_400000_NS6detail17trampoline_kernelINS0_14default_configENS1_22reduce_config_selectorIiEEZNS1_11reduce_implILb1ES3_N6thrust23THRUST_200600_302600_NS11hip_rocprim35transform_pair_of_input_iterators_tIiPN3c108BFloat16ESD_NS8_12not_equal_toISC_EEEEPiiNS8_4plusIiEEEE10hipError_tPvRmT1_T2_T3_mT4_P12ihipStream_tbEUlT_E0_NS1_11comp_targetILNS1_3genE10ELNS1_11target_archE1200ELNS1_3gpuE4ELNS1_3repE0EEENS1_30default_config_static_selectorELNS0_4arch9wavefront6targetE1EEEvSN_.num_agpr, 0
	.set _ZN7rocprim17ROCPRIM_400000_NS6detail17trampoline_kernelINS0_14default_configENS1_22reduce_config_selectorIiEEZNS1_11reduce_implILb1ES3_N6thrust23THRUST_200600_302600_NS11hip_rocprim35transform_pair_of_input_iterators_tIiPN3c108BFloat16ESD_NS8_12not_equal_toISC_EEEEPiiNS8_4plusIiEEEE10hipError_tPvRmT1_T2_T3_mT4_P12ihipStream_tbEUlT_E0_NS1_11comp_targetILNS1_3genE10ELNS1_11target_archE1200ELNS1_3gpuE4ELNS1_3repE0EEENS1_30default_config_static_selectorELNS0_4arch9wavefront6targetE1EEEvSN_.numbered_sgpr, 0
	.set _ZN7rocprim17ROCPRIM_400000_NS6detail17trampoline_kernelINS0_14default_configENS1_22reduce_config_selectorIiEEZNS1_11reduce_implILb1ES3_N6thrust23THRUST_200600_302600_NS11hip_rocprim35transform_pair_of_input_iterators_tIiPN3c108BFloat16ESD_NS8_12not_equal_toISC_EEEEPiiNS8_4plusIiEEEE10hipError_tPvRmT1_T2_T3_mT4_P12ihipStream_tbEUlT_E0_NS1_11comp_targetILNS1_3genE10ELNS1_11target_archE1200ELNS1_3gpuE4ELNS1_3repE0EEENS1_30default_config_static_selectorELNS0_4arch9wavefront6targetE1EEEvSN_.num_named_barrier, 0
	.set _ZN7rocprim17ROCPRIM_400000_NS6detail17trampoline_kernelINS0_14default_configENS1_22reduce_config_selectorIiEEZNS1_11reduce_implILb1ES3_N6thrust23THRUST_200600_302600_NS11hip_rocprim35transform_pair_of_input_iterators_tIiPN3c108BFloat16ESD_NS8_12not_equal_toISC_EEEEPiiNS8_4plusIiEEEE10hipError_tPvRmT1_T2_T3_mT4_P12ihipStream_tbEUlT_E0_NS1_11comp_targetILNS1_3genE10ELNS1_11target_archE1200ELNS1_3gpuE4ELNS1_3repE0EEENS1_30default_config_static_selectorELNS0_4arch9wavefront6targetE1EEEvSN_.private_seg_size, 0
	.set _ZN7rocprim17ROCPRIM_400000_NS6detail17trampoline_kernelINS0_14default_configENS1_22reduce_config_selectorIiEEZNS1_11reduce_implILb1ES3_N6thrust23THRUST_200600_302600_NS11hip_rocprim35transform_pair_of_input_iterators_tIiPN3c108BFloat16ESD_NS8_12not_equal_toISC_EEEEPiiNS8_4plusIiEEEE10hipError_tPvRmT1_T2_T3_mT4_P12ihipStream_tbEUlT_E0_NS1_11comp_targetILNS1_3genE10ELNS1_11target_archE1200ELNS1_3gpuE4ELNS1_3repE0EEENS1_30default_config_static_selectorELNS0_4arch9wavefront6targetE1EEEvSN_.uses_vcc, 0
	.set _ZN7rocprim17ROCPRIM_400000_NS6detail17trampoline_kernelINS0_14default_configENS1_22reduce_config_selectorIiEEZNS1_11reduce_implILb1ES3_N6thrust23THRUST_200600_302600_NS11hip_rocprim35transform_pair_of_input_iterators_tIiPN3c108BFloat16ESD_NS8_12not_equal_toISC_EEEEPiiNS8_4plusIiEEEE10hipError_tPvRmT1_T2_T3_mT4_P12ihipStream_tbEUlT_E0_NS1_11comp_targetILNS1_3genE10ELNS1_11target_archE1200ELNS1_3gpuE4ELNS1_3repE0EEENS1_30default_config_static_selectorELNS0_4arch9wavefront6targetE1EEEvSN_.uses_flat_scratch, 0
	.set _ZN7rocprim17ROCPRIM_400000_NS6detail17trampoline_kernelINS0_14default_configENS1_22reduce_config_selectorIiEEZNS1_11reduce_implILb1ES3_N6thrust23THRUST_200600_302600_NS11hip_rocprim35transform_pair_of_input_iterators_tIiPN3c108BFloat16ESD_NS8_12not_equal_toISC_EEEEPiiNS8_4plusIiEEEE10hipError_tPvRmT1_T2_T3_mT4_P12ihipStream_tbEUlT_E0_NS1_11comp_targetILNS1_3genE10ELNS1_11target_archE1200ELNS1_3gpuE4ELNS1_3repE0EEENS1_30default_config_static_selectorELNS0_4arch9wavefront6targetE1EEEvSN_.has_dyn_sized_stack, 0
	.set _ZN7rocprim17ROCPRIM_400000_NS6detail17trampoline_kernelINS0_14default_configENS1_22reduce_config_selectorIiEEZNS1_11reduce_implILb1ES3_N6thrust23THRUST_200600_302600_NS11hip_rocprim35transform_pair_of_input_iterators_tIiPN3c108BFloat16ESD_NS8_12not_equal_toISC_EEEEPiiNS8_4plusIiEEEE10hipError_tPvRmT1_T2_T3_mT4_P12ihipStream_tbEUlT_E0_NS1_11comp_targetILNS1_3genE10ELNS1_11target_archE1200ELNS1_3gpuE4ELNS1_3repE0EEENS1_30default_config_static_selectorELNS0_4arch9wavefront6targetE1EEEvSN_.has_recursion, 0
	.set _ZN7rocprim17ROCPRIM_400000_NS6detail17trampoline_kernelINS0_14default_configENS1_22reduce_config_selectorIiEEZNS1_11reduce_implILb1ES3_N6thrust23THRUST_200600_302600_NS11hip_rocprim35transform_pair_of_input_iterators_tIiPN3c108BFloat16ESD_NS8_12not_equal_toISC_EEEEPiiNS8_4plusIiEEEE10hipError_tPvRmT1_T2_T3_mT4_P12ihipStream_tbEUlT_E0_NS1_11comp_targetILNS1_3genE10ELNS1_11target_archE1200ELNS1_3gpuE4ELNS1_3repE0EEENS1_30default_config_static_selectorELNS0_4arch9wavefront6targetE1EEEvSN_.has_indirect_call, 0
	.section	.AMDGPU.csdata,"",@progbits
; Kernel info:
; codeLenInByte = 0
; TotalNumSgprs: 4
; NumVgprs: 0
; ScratchSize: 0
; MemoryBound: 0
; FloatMode: 240
; IeeeMode: 1
; LDSByteSize: 0 bytes/workgroup (compile time only)
; SGPRBlocks: 0
; VGPRBlocks: 0
; NumSGPRsForWavesPerEU: 4
; NumVGPRsForWavesPerEU: 1
; Occupancy: 10
; WaveLimiterHint : 0
; COMPUTE_PGM_RSRC2:SCRATCH_EN: 0
; COMPUTE_PGM_RSRC2:USER_SGPR: 6
; COMPUTE_PGM_RSRC2:TRAP_HANDLER: 0
; COMPUTE_PGM_RSRC2:TGID_X_EN: 1
; COMPUTE_PGM_RSRC2:TGID_Y_EN: 0
; COMPUTE_PGM_RSRC2:TGID_Z_EN: 0
; COMPUTE_PGM_RSRC2:TIDIG_COMP_CNT: 0
	.section	.text._ZN7rocprim17ROCPRIM_400000_NS6detail17trampoline_kernelINS0_14default_configENS1_22reduce_config_selectorIiEEZNS1_11reduce_implILb1ES3_N6thrust23THRUST_200600_302600_NS11hip_rocprim35transform_pair_of_input_iterators_tIiPN3c108BFloat16ESD_NS8_12not_equal_toISC_EEEEPiiNS8_4plusIiEEEE10hipError_tPvRmT1_T2_T3_mT4_P12ihipStream_tbEUlT_E0_NS1_11comp_targetILNS1_3genE9ELNS1_11target_archE1100ELNS1_3gpuE3ELNS1_3repE0EEENS1_30default_config_static_selectorELNS0_4arch9wavefront6targetE1EEEvSN_,"axG",@progbits,_ZN7rocprim17ROCPRIM_400000_NS6detail17trampoline_kernelINS0_14default_configENS1_22reduce_config_selectorIiEEZNS1_11reduce_implILb1ES3_N6thrust23THRUST_200600_302600_NS11hip_rocprim35transform_pair_of_input_iterators_tIiPN3c108BFloat16ESD_NS8_12not_equal_toISC_EEEEPiiNS8_4plusIiEEEE10hipError_tPvRmT1_T2_T3_mT4_P12ihipStream_tbEUlT_E0_NS1_11comp_targetILNS1_3genE9ELNS1_11target_archE1100ELNS1_3gpuE3ELNS1_3repE0EEENS1_30default_config_static_selectorELNS0_4arch9wavefront6targetE1EEEvSN_,comdat
	.protected	_ZN7rocprim17ROCPRIM_400000_NS6detail17trampoline_kernelINS0_14default_configENS1_22reduce_config_selectorIiEEZNS1_11reduce_implILb1ES3_N6thrust23THRUST_200600_302600_NS11hip_rocprim35transform_pair_of_input_iterators_tIiPN3c108BFloat16ESD_NS8_12not_equal_toISC_EEEEPiiNS8_4plusIiEEEE10hipError_tPvRmT1_T2_T3_mT4_P12ihipStream_tbEUlT_E0_NS1_11comp_targetILNS1_3genE9ELNS1_11target_archE1100ELNS1_3gpuE3ELNS1_3repE0EEENS1_30default_config_static_selectorELNS0_4arch9wavefront6targetE1EEEvSN_ ; -- Begin function _ZN7rocprim17ROCPRIM_400000_NS6detail17trampoline_kernelINS0_14default_configENS1_22reduce_config_selectorIiEEZNS1_11reduce_implILb1ES3_N6thrust23THRUST_200600_302600_NS11hip_rocprim35transform_pair_of_input_iterators_tIiPN3c108BFloat16ESD_NS8_12not_equal_toISC_EEEEPiiNS8_4plusIiEEEE10hipError_tPvRmT1_T2_T3_mT4_P12ihipStream_tbEUlT_E0_NS1_11comp_targetILNS1_3genE9ELNS1_11target_archE1100ELNS1_3gpuE3ELNS1_3repE0EEENS1_30default_config_static_selectorELNS0_4arch9wavefront6targetE1EEEvSN_
	.globl	_ZN7rocprim17ROCPRIM_400000_NS6detail17trampoline_kernelINS0_14default_configENS1_22reduce_config_selectorIiEEZNS1_11reduce_implILb1ES3_N6thrust23THRUST_200600_302600_NS11hip_rocprim35transform_pair_of_input_iterators_tIiPN3c108BFloat16ESD_NS8_12not_equal_toISC_EEEEPiiNS8_4plusIiEEEE10hipError_tPvRmT1_T2_T3_mT4_P12ihipStream_tbEUlT_E0_NS1_11comp_targetILNS1_3genE9ELNS1_11target_archE1100ELNS1_3gpuE3ELNS1_3repE0EEENS1_30default_config_static_selectorELNS0_4arch9wavefront6targetE1EEEvSN_
	.p2align	8
	.type	_ZN7rocprim17ROCPRIM_400000_NS6detail17trampoline_kernelINS0_14default_configENS1_22reduce_config_selectorIiEEZNS1_11reduce_implILb1ES3_N6thrust23THRUST_200600_302600_NS11hip_rocprim35transform_pair_of_input_iterators_tIiPN3c108BFloat16ESD_NS8_12not_equal_toISC_EEEEPiiNS8_4plusIiEEEE10hipError_tPvRmT1_T2_T3_mT4_P12ihipStream_tbEUlT_E0_NS1_11comp_targetILNS1_3genE9ELNS1_11target_archE1100ELNS1_3gpuE3ELNS1_3repE0EEENS1_30default_config_static_selectorELNS0_4arch9wavefront6targetE1EEEvSN_,@function
_ZN7rocprim17ROCPRIM_400000_NS6detail17trampoline_kernelINS0_14default_configENS1_22reduce_config_selectorIiEEZNS1_11reduce_implILb1ES3_N6thrust23THRUST_200600_302600_NS11hip_rocprim35transform_pair_of_input_iterators_tIiPN3c108BFloat16ESD_NS8_12not_equal_toISC_EEEEPiiNS8_4plusIiEEEE10hipError_tPvRmT1_T2_T3_mT4_P12ihipStream_tbEUlT_E0_NS1_11comp_targetILNS1_3genE9ELNS1_11target_archE1100ELNS1_3gpuE3ELNS1_3repE0EEENS1_30default_config_static_selectorELNS0_4arch9wavefront6targetE1EEEvSN_: ; @_ZN7rocprim17ROCPRIM_400000_NS6detail17trampoline_kernelINS0_14default_configENS1_22reduce_config_selectorIiEEZNS1_11reduce_implILb1ES3_N6thrust23THRUST_200600_302600_NS11hip_rocprim35transform_pair_of_input_iterators_tIiPN3c108BFloat16ESD_NS8_12not_equal_toISC_EEEEPiiNS8_4plusIiEEEE10hipError_tPvRmT1_T2_T3_mT4_P12ihipStream_tbEUlT_E0_NS1_11comp_targetILNS1_3genE9ELNS1_11target_archE1100ELNS1_3gpuE3ELNS1_3repE0EEENS1_30default_config_static_selectorELNS0_4arch9wavefront6targetE1EEEvSN_
; %bb.0:
	.section	.rodata,"a",@progbits
	.p2align	6, 0x0
	.amdhsa_kernel _ZN7rocprim17ROCPRIM_400000_NS6detail17trampoline_kernelINS0_14default_configENS1_22reduce_config_selectorIiEEZNS1_11reduce_implILb1ES3_N6thrust23THRUST_200600_302600_NS11hip_rocprim35transform_pair_of_input_iterators_tIiPN3c108BFloat16ESD_NS8_12not_equal_toISC_EEEEPiiNS8_4plusIiEEEE10hipError_tPvRmT1_T2_T3_mT4_P12ihipStream_tbEUlT_E0_NS1_11comp_targetILNS1_3genE9ELNS1_11target_archE1100ELNS1_3gpuE3ELNS1_3repE0EEENS1_30default_config_static_selectorELNS0_4arch9wavefront6targetE1EEEvSN_
		.amdhsa_group_segment_fixed_size 0
		.amdhsa_private_segment_fixed_size 0
		.amdhsa_kernarg_size 72
		.amdhsa_user_sgpr_count 6
		.amdhsa_user_sgpr_private_segment_buffer 1
		.amdhsa_user_sgpr_dispatch_ptr 0
		.amdhsa_user_sgpr_queue_ptr 0
		.amdhsa_user_sgpr_kernarg_segment_ptr 1
		.amdhsa_user_sgpr_dispatch_id 0
		.amdhsa_user_sgpr_flat_scratch_init 0
		.amdhsa_user_sgpr_private_segment_size 0
		.amdhsa_uses_dynamic_stack 0
		.amdhsa_system_sgpr_private_segment_wavefront_offset 0
		.amdhsa_system_sgpr_workgroup_id_x 1
		.amdhsa_system_sgpr_workgroup_id_y 0
		.amdhsa_system_sgpr_workgroup_id_z 0
		.amdhsa_system_sgpr_workgroup_info 0
		.amdhsa_system_vgpr_workitem_id 0
		.amdhsa_next_free_vgpr 1
		.amdhsa_next_free_sgpr 0
		.amdhsa_reserve_vcc 0
		.amdhsa_reserve_flat_scratch 0
		.amdhsa_float_round_mode_32 0
		.amdhsa_float_round_mode_16_64 0
		.amdhsa_float_denorm_mode_32 3
		.amdhsa_float_denorm_mode_16_64 3
		.amdhsa_dx10_clamp 1
		.amdhsa_ieee_mode 1
		.amdhsa_fp16_overflow 0
		.amdhsa_exception_fp_ieee_invalid_op 0
		.amdhsa_exception_fp_denorm_src 0
		.amdhsa_exception_fp_ieee_div_zero 0
		.amdhsa_exception_fp_ieee_overflow 0
		.amdhsa_exception_fp_ieee_underflow 0
		.amdhsa_exception_fp_ieee_inexact 0
		.amdhsa_exception_int_div_zero 0
	.end_amdhsa_kernel
	.section	.text._ZN7rocprim17ROCPRIM_400000_NS6detail17trampoline_kernelINS0_14default_configENS1_22reduce_config_selectorIiEEZNS1_11reduce_implILb1ES3_N6thrust23THRUST_200600_302600_NS11hip_rocprim35transform_pair_of_input_iterators_tIiPN3c108BFloat16ESD_NS8_12not_equal_toISC_EEEEPiiNS8_4plusIiEEEE10hipError_tPvRmT1_T2_T3_mT4_P12ihipStream_tbEUlT_E0_NS1_11comp_targetILNS1_3genE9ELNS1_11target_archE1100ELNS1_3gpuE3ELNS1_3repE0EEENS1_30default_config_static_selectorELNS0_4arch9wavefront6targetE1EEEvSN_,"axG",@progbits,_ZN7rocprim17ROCPRIM_400000_NS6detail17trampoline_kernelINS0_14default_configENS1_22reduce_config_selectorIiEEZNS1_11reduce_implILb1ES3_N6thrust23THRUST_200600_302600_NS11hip_rocprim35transform_pair_of_input_iterators_tIiPN3c108BFloat16ESD_NS8_12not_equal_toISC_EEEEPiiNS8_4plusIiEEEE10hipError_tPvRmT1_T2_T3_mT4_P12ihipStream_tbEUlT_E0_NS1_11comp_targetILNS1_3genE9ELNS1_11target_archE1100ELNS1_3gpuE3ELNS1_3repE0EEENS1_30default_config_static_selectorELNS0_4arch9wavefront6targetE1EEEvSN_,comdat
.Lfunc_end2041:
	.size	_ZN7rocprim17ROCPRIM_400000_NS6detail17trampoline_kernelINS0_14default_configENS1_22reduce_config_selectorIiEEZNS1_11reduce_implILb1ES3_N6thrust23THRUST_200600_302600_NS11hip_rocprim35transform_pair_of_input_iterators_tIiPN3c108BFloat16ESD_NS8_12not_equal_toISC_EEEEPiiNS8_4plusIiEEEE10hipError_tPvRmT1_T2_T3_mT4_P12ihipStream_tbEUlT_E0_NS1_11comp_targetILNS1_3genE9ELNS1_11target_archE1100ELNS1_3gpuE3ELNS1_3repE0EEENS1_30default_config_static_selectorELNS0_4arch9wavefront6targetE1EEEvSN_, .Lfunc_end2041-_ZN7rocprim17ROCPRIM_400000_NS6detail17trampoline_kernelINS0_14default_configENS1_22reduce_config_selectorIiEEZNS1_11reduce_implILb1ES3_N6thrust23THRUST_200600_302600_NS11hip_rocprim35transform_pair_of_input_iterators_tIiPN3c108BFloat16ESD_NS8_12not_equal_toISC_EEEEPiiNS8_4plusIiEEEE10hipError_tPvRmT1_T2_T3_mT4_P12ihipStream_tbEUlT_E0_NS1_11comp_targetILNS1_3genE9ELNS1_11target_archE1100ELNS1_3gpuE3ELNS1_3repE0EEENS1_30default_config_static_selectorELNS0_4arch9wavefront6targetE1EEEvSN_
                                        ; -- End function
	.set _ZN7rocprim17ROCPRIM_400000_NS6detail17trampoline_kernelINS0_14default_configENS1_22reduce_config_selectorIiEEZNS1_11reduce_implILb1ES3_N6thrust23THRUST_200600_302600_NS11hip_rocprim35transform_pair_of_input_iterators_tIiPN3c108BFloat16ESD_NS8_12not_equal_toISC_EEEEPiiNS8_4plusIiEEEE10hipError_tPvRmT1_T2_T3_mT4_P12ihipStream_tbEUlT_E0_NS1_11comp_targetILNS1_3genE9ELNS1_11target_archE1100ELNS1_3gpuE3ELNS1_3repE0EEENS1_30default_config_static_selectorELNS0_4arch9wavefront6targetE1EEEvSN_.num_vgpr, 0
	.set _ZN7rocprim17ROCPRIM_400000_NS6detail17trampoline_kernelINS0_14default_configENS1_22reduce_config_selectorIiEEZNS1_11reduce_implILb1ES3_N6thrust23THRUST_200600_302600_NS11hip_rocprim35transform_pair_of_input_iterators_tIiPN3c108BFloat16ESD_NS8_12not_equal_toISC_EEEEPiiNS8_4plusIiEEEE10hipError_tPvRmT1_T2_T3_mT4_P12ihipStream_tbEUlT_E0_NS1_11comp_targetILNS1_3genE9ELNS1_11target_archE1100ELNS1_3gpuE3ELNS1_3repE0EEENS1_30default_config_static_selectorELNS0_4arch9wavefront6targetE1EEEvSN_.num_agpr, 0
	.set _ZN7rocprim17ROCPRIM_400000_NS6detail17trampoline_kernelINS0_14default_configENS1_22reduce_config_selectorIiEEZNS1_11reduce_implILb1ES3_N6thrust23THRUST_200600_302600_NS11hip_rocprim35transform_pair_of_input_iterators_tIiPN3c108BFloat16ESD_NS8_12not_equal_toISC_EEEEPiiNS8_4plusIiEEEE10hipError_tPvRmT1_T2_T3_mT4_P12ihipStream_tbEUlT_E0_NS1_11comp_targetILNS1_3genE9ELNS1_11target_archE1100ELNS1_3gpuE3ELNS1_3repE0EEENS1_30default_config_static_selectorELNS0_4arch9wavefront6targetE1EEEvSN_.numbered_sgpr, 0
	.set _ZN7rocprim17ROCPRIM_400000_NS6detail17trampoline_kernelINS0_14default_configENS1_22reduce_config_selectorIiEEZNS1_11reduce_implILb1ES3_N6thrust23THRUST_200600_302600_NS11hip_rocprim35transform_pair_of_input_iterators_tIiPN3c108BFloat16ESD_NS8_12not_equal_toISC_EEEEPiiNS8_4plusIiEEEE10hipError_tPvRmT1_T2_T3_mT4_P12ihipStream_tbEUlT_E0_NS1_11comp_targetILNS1_3genE9ELNS1_11target_archE1100ELNS1_3gpuE3ELNS1_3repE0EEENS1_30default_config_static_selectorELNS0_4arch9wavefront6targetE1EEEvSN_.num_named_barrier, 0
	.set _ZN7rocprim17ROCPRIM_400000_NS6detail17trampoline_kernelINS0_14default_configENS1_22reduce_config_selectorIiEEZNS1_11reduce_implILb1ES3_N6thrust23THRUST_200600_302600_NS11hip_rocprim35transform_pair_of_input_iterators_tIiPN3c108BFloat16ESD_NS8_12not_equal_toISC_EEEEPiiNS8_4plusIiEEEE10hipError_tPvRmT1_T2_T3_mT4_P12ihipStream_tbEUlT_E0_NS1_11comp_targetILNS1_3genE9ELNS1_11target_archE1100ELNS1_3gpuE3ELNS1_3repE0EEENS1_30default_config_static_selectorELNS0_4arch9wavefront6targetE1EEEvSN_.private_seg_size, 0
	.set _ZN7rocprim17ROCPRIM_400000_NS6detail17trampoline_kernelINS0_14default_configENS1_22reduce_config_selectorIiEEZNS1_11reduce_implILb1ES3_N6thrust23THRUST_200600_302600_NS11hip_rocprim35transform_pair_of_input_iterators_tIiPN3c108BFloat16ESD_NS8_12not_equal_toISC_EEEEPiiNS8_4plusIiEEEE10hipError_tPvRmT1_T2_T3_mT4_P12ihipStream_tbEUlT_E0_NS1_11comp_targetILNS1_3genE9ELNS1_11target_archE1100ELNS1_3gpuE3ELNS1_3repE0EEENS1_30default_config_static_selectorELNS0_4arch9wavefront6targetE1EEEvSN_.uses_vcc, 0
	.set _ZN7rocprim17ROCPRIM_400000_NS6detail17trampoline_kernelINS0_14default_configENS1_22reduce_config_selectorIiEEZNS1_11reduce_implILb1ES3_N6thrust23THRUST_200600_302600_NS11hip_rocprim35transform_pair_of_input_iterators_tIiPN3c108BFloat16ESD_NS8_12not_equal_toISC_EEEEPiiNS8_4plusIiEEEE10hipError_tPvRmT1_T2_T3_mT4_P12ihipStream_tbEUlT_E0_NS1_11comp_targetILNS1_3genE9ELNS1_11target_archE1100ELNS1_3gpuE3ELNS1_3repE0EEENS1_30default_config_static_selectorELNS0_4arch9wavefront6targetE1EEEvSN_.uses_flat_scratch, 0
	.set _ZN7rocprim17ROCPRIM_400000_NS6detail17trampoline_kernelINS0_14default_configENS1_22reduce_config_selectorIiEEZNS1_11reduce_implILb1ES3_N6thrust23THRUST_200600_302600_NS11hip_rocprim35transform_pair_of_input_iterators_tIiPN3c108BFloat16ESD_NS8_12not_equal_toISC_EEEEPiiNS8_4plusIiEEEE10hipError_tPvRmT1_T2_T3_mT4_P12ihipStream_tbEUlT_E0_NS1_11comp_targetILNS1_3genE9ELNS1_11target_archE1100ELNS1_3gpuE3ELNS1_3repE0EEENS1_30default_config_static_selectorELNS0_4arch9wavefront6targetE1EEEvSN_.has_dyn_sized_stack, 0
	.set _ZN7rocprim17ROCPRIM_400000_NS6detail17trampoline_kernelINS0_14default_configENS1_22reduce_config_selectorIiEEZNS1_11reduce_implILb1ES3_N6thrust23THRUST_200600_302600_NS11hip_rocprim35transform_pair_of_input_iterators_tIiPN3c108BFloat16ESD_NS8_12not_equal_toISC_EEEEPiiNS8_4plusIiEEEE10hipError_tPvRmT1_T2_T3_mT4_P12ihipStream_tbEUlT_E0_NS1_11comp_targetILNS1_3genE9ELNS1_11target_archE1100ELNS1_3gpuE3ELNS1_3repE0EEENS1_30default_config_static_selectorELNS0_4arch9wavefront6targetE1EEEvSN_.has_recursion, 0
	.set _ZN7rocprim17ROCPRIM_400000_NS6detail17trampoline_kernelINS0_14default_configENS1_22reduce_config_selectorIiEEZNS1_11reduce_implILb1ES3_N6thrust23THRUST_200600_302600_NS11hip_rocprim35transform_pair_of_input_iterators_tIiPN3c108BFloat16ESD_NS8_12not_equal_toISC_EEEEPiiNS8_4plusIiEEEE10hipError_tPvRmT1_T2_T3_mT4_P12ihipStream_tbEUlT_E0_NS1_11comp_targetILNS1_3genE9ELNS1_11target_archE1100ELNS1_3gpuE3ELNS1_3repE0EEENS1_30default_config_static_selectorELNS0_4arch9wavefront6targetE1EEEvSN_.has_indirect_call, 0
	.section	.AMDGPU.csdata,"",@progbits
; Kernel info:
; codeLenInByte = 0
; TotalNumSgprs: 4
; NumVgprs: 0
; ScratchSize: 0
; MemoryBound: 0
; FloatMode: 240
; IeeeMode: 1
; LDSByteSize: 0 bytes/workgroup (compile time only)
; SGPRBlocks: 0
; VGPRBlocks: 0
; NumSGPRsForWavesPerEU: 4
; NumVGPRsForWavesPerEU: 1
; Occupancy: 10
; WaveLimiterHint : 0
; COMPUTE_PGM_RSRC2:SCRATCH_EN: 0
; COMPUTE_PGM_RSRC2:USER_SGPR: 6
; COMPUTE_PGM_RSRC2:TRAP_HANDLER: 0
; COMPUTE_PGM_RSRC2:TGID_X_EN: 1
; COMPUTE_PGM_RSRC2:TGID_Y_EN: 0
; COMPUTE_PGM_RSRC2:TGID_Z_EN: 0
; COMPUTE_PGM_RSRC2:TIDIG_COMP_CNT: 0
	.section	.text._ZN7rocprim17ROCPRIM_400000_NS6detail17trampoline_kernelINS0_14default_configENS1_22reduce_config_selectorIiEEZNS1_11reduce_implILb1ES3_N6thrust23THRUST_200600_302600_NS11hip_rocprim35transform_pair_of_input_iterators_tIiPN3c108BFloat16ESD_NS8_12not_equal_toISC_EEEEPiiNS8_4plusIiEEEE10hipError_tPvRmT1_T2_T3_mT4_P12ihipStream_tbEUlT_E0_NS1_11comp_targetILNS1_3genE8ELNS1_11target_archE1030ELNS1_3gpuE2ELNS1_3repE0EEENS1_30default_config_static_selectorELNS0_4arch9wavefront6targetE1EEEvSN_,"axG",@progbits,_ZN7rocprim17ROCPRIM_400000_NS6detail17trampoline_kernelINS0_14default_configENS1_22reduce_config_selectorIiEEZNS1_11reduce_implILb1ES3_N6thrust23THRUST_200600_302600_NS11hip_rocprim35transform_pair_of_input_iterators_tIiPN3c108BFloat16ESD_NS8_12not_equal_toISC_EEEEPiiNS8_4plusIiEEEE10hipError_tPvRmT1_T2_T3_mT4_P12ihipStream_tbEUlT_E0_NS1_11comp_targetILNS1_3genE8ELNS1_11target_archE1030ELNS1_3gpuE2ELNS1_3repE0EEENS1_30default_config_static_selectorELNS0_4arch9wavefront6targetE1EEEvSN_,comdat
	.protected	_ZN7rocprim17ROCPRIM_400000_NS6detail17trampoline_kernelINS0_14default_configENS1_22reduce_config_selectorIiEEZNS1_11reduce_implILb1ES3_N6thrust23THRUST_200600_302600_NS11hip_rocprim35transform_pair_of_input_iterators_tIiPN3c108BFloat16ESD_NS8_12not_equal_toISC_EEEEPiiNS8_4plusIiEEEE10hipError_tPvRmT1_T2_T3_mT4_P12ihipStream_tbEUlT_E0_NS1_11comp_targetILNS1_3genE8ELNS1_11target_archE1030ELNS1_3gpuE2ELNS1_3repE0EEENS1_30default_config_static_selectorELNS0_4arch9wavefront6targetE1EEEvSN_ ; -- Begin function _ZN7rocprim17ROCPRIM_400000_NS6detail17trampoline_kernelINS0_14default_configENS1_22reduce_config_selectorIiEEZNS1_11reduce_implILb1ES3_N6thrust23THRUST_200600_302600_NS11hip_rocprim35transform_pair_of_input_iterators_tIiPN3c108BFloat16ESD_NS8_12not_equal_toISC_EEEEPiiNS8_4plusIiEEEE10hipError_tPvRmT1_T2_T3_mT4_P12ihipStream_tbEUlT_E0_NS1_11comp_targetILNS1_3genE8ELNS1_11target_archE1030ELNS1_3gpuE2ELNS1_3repE0EEENS1_30default_config_static_selectorELNS0_4arch9wavefront6targetE1EEEvSN_
	.globl	_ZN7rocprim17ROCPRIM_400000_NS6detail17trampoline_kernelINS0_14default_configENS1_22reduce_config_selectorIiEEZNS1_11reduce_implILb1ES3_N6thrust23THRUST_200600_302600_NS11hip_rocprim35transform_pair_of_input_iterators_tIiPN3c108BFloat16ESD_NS8_12not_equal_toISC_EEEEPiiNS8_4plusIiEEEE10hipError_tPvRmT1_T2_T3_mT4_P12ihipStream_tbEUlT_E0_NS1_11comp_targetILNS1_3genE8ELNS1_11target_archE1030ELNS1_3gpuE2ELNS1_3repE0EEENS1_30default_config_static_selectorELNS0_4arch9wavefront6targetE1EEEvSN_
	.p2align	8
	.type	_ZN7rocprim17ROCPRIM_400000_NS6detail17trampoline_kernelINS0_14default_configENS1_22reduce_config_selectorIiEEZNS1_11reduce_implILb1ES3_N6thrust23THRUST_200600_302600_NS11hip_rocprim35transform_pair_of_input_iterators_tIiPN3c108BFloat16ESD_NS8_12not_equal_toISC_EEEEPiiNS8_4plusIiEEEE10hipError_tPvRmT1_T2_T3_mT4_P12ihipStream_tbEUlT_E0_NS1_11comp_targetILNS1_3genE8ELNS1_11target_archE1030ELNS1_3gpuE2ELNS1_3repE0EEENS1_30default_config_static_selectorELNS0_4arch9wavefront6targetE1EEEvSN_,@function
_ZN7rocprim17ROCPRIM_400000_NS6detail17trampoline_kernelINS0_14default_configENS1_22reduce_config_selectorIiEEZNS1_11reduce_implILb1ES3_N6thrust23THRUST_200600_302600_NS11hip_rocprim35transform_pair_of_input_iterators_tIiPN3c108BFloat16ESD_NS8_12not_equal_toISC_EEEEPiiNS8_4plusIiEEEE10hipError_tPvRmT1_T2_T3_mT4_P12ihipStream_tbEUlT_E0_NS1_11comp_targetILNS1_3genE8ELNS1_11target_archE1030ELNS1_3gpuE2ELNS1_3repE0EEENS1_30default_config_static_selectorELNS0_4arch9wavefront6targetE1EEEvSN_: ; @_ZN7rocprim17ROCPRIM_400000_NS6detail17trampoline_kernelINS0_14default_configENS1_22reduce_config_selectorIiEEZNS1_11reduce_implILb1ES3_N6thrust23THRUST_200600_302600_NS11hip_rocprim35transform_pair_of_input_iterators_tIiPN3c108BFloat16ESD_NS8_12not_equal_toISC_EEEEPiiNS8_4plusIiEEEE10hipError_tPvRmT1_T2_T3_mT4_P12ihipStream_tbEUlT_E0_NS1_11comp_targetILNS1_3genE8ELNS1_11target_archE1030ELNS1_3gpuE2ELNS1_3repE0EEENS1_30default_config_static_selectorELNS0_4arch9wavefront6targetE1EEEvSN_
; %bb.0:
	.section	.rodata,"a",@progbits
	.p2align	6, 0x0
	.amdhsa_kernel _ZN7rocprim17ROCPRIM_400000_NS6detail17trampoline_kernelINS0_14default_configENS1_22reduce_config_selectorIiEEZNS1_11reduce_implILb1ES3_N6thrust23THRUST_200600_302600_NS11hip_rocprim35transform_pair_of_input_iterators_tIiPN3c108BFloat16ESD_NS8_12not_equal_toISC_EEEEPiiNS8_4plusIiEEEE10hipError_tPvRmT1_T2_T3_mT4_P12ihipStream_tbEUlT_E0_NS1_11comp_targetILNS1_3genE8ELNS1_11target_archE1030ELNS1_3gpuE2ELNS1_3repE0EEENS1_30default_config_static_selectorELNS0_4arch9wavefront6targetE1EEEvSN_
		.amdhsa_group_segment_fixed_size 0
		.amdhsa_private_segment_fixed_size 0
		.amdhsa_kernarg_size 72
		.amdhsa_user_sgpr_count 6
		.amdhsa_user_sgpr_private_segment_buffer 1
		.amdhsa_user_sgpr_dispatch_ptr 0
		.amdhsa_user_sgpr_queue_ptr 0
		.amdhsa_user_sgpr_kernarg_segment_ptr 1
		.amdhsa_user_sgpr_dispatch_id 0
		.amdhsa_user_sgpr_flat_scratch_init 0
		.amdhsa_user_sgpr_private_segment_size 0
		.amdhsa_uses_dynamic_stack 0
		.amdhsa_system_sgpr_private_segment_wavefront_offset 0
		.amdhsa_system_sgpr_workgroup_id_x 1
		.amdhsa_system_sgpr_workgroup_id_y 0
		.amdhsa_system_sgpr_workgroup_id_z 0
		.amdhsa_system_sgpr_workgroup_info 0
		.amdhsa_system_vgpr_workitem_id 0
		.amdhsa_next_free_vgpr 1
		.amdhsa_next_free_sgpr 0
		.amdhsa_reserve_vcc 0
		.amdhsa_reserve_flat_scratch 0
		.amdhsa_float_round_mode_32 0
		.amdhsa_float_round_mode_16_64 0
		.amdhsa_float_denorm_mode_32 3
		.amdhsa_float_denorm_mode_16_64 3
		.amdhsa_dx10_clamp 1
		.amdhsa_ieee_mode 1
		.amdhsa_fp16_overflow 0
		.amdhsa_exception_fp_ieee_invalid_op 0
		.amdhsa_exception_fp_denorm_src 0
		.amdhsa_exception_fp_ieee_div_zero 0
		.amdhsa_exception_fp_ieee_overflow 0
		.amdhsa_exception_fp_ieee_underflow 0
		.amdhsa_exception_fp_ieee_inexact 0
		.amdhsa_exception_int_div_zero 0
	.end_amdhsa_kernel
	.section	.text._ZN7rocprim17ROCPRIM_400000_NS6detail17trampoline_kernelINS0_14default_configENS1_22reduce_config_selectorIiEEZNS1_11reduce_implILb1ES3_N6thrust23THRUST_200600_302600_NS11hip_rocprim35transform_pair_of_input_iterators_tIiPN3c108BFloat16ESD_NS8_12not_equal_toISC_EEEEPiiNS8_4plusIiEEEE10hipError_tPvRmT1_T2_T3_mT4_P12ihipStream_tbEUlT_E0_NS1_11comp_targetILNS1_3genE8ELNS1_11target_archE1030ELNS1_3gpuE2ELNS1_3repE0EEENS1_30default_config_static_selectorELNS0_4arch9wavefront6targetE1EEEvSN_,"axG",@progbits,_ZN7rocprim17ROCPRIM_400000_NS6detail17trampoline_kernelINS0_14default_configENS1_22reduce_config_selectorIiEEZNS1_11reduce_implILb1ES3_N6thrust23THRUST_200600_302600_NS11hip_rocprim35transform_pair_of_input_iterators_tIiPN3c108BFloat16ESD_NS8_12not_equal_toISC_EEEEPiiNS8_4plusIiEEEE10hipError_tPvRmT1_T2_T3_mT4_P12ihipStream_tbEUlT_E0_NS1_11comp_targetILNS1_3genE8ELNS1_11target_archE1030ELNS1_3gpuE2ELNS1_3repE0EEENS1_30default_config_static_selectorELNS0_4arch9wavefront6targetE1EEEvSN_,comdat
.Lfunc_end2042:
	.size	_ZN7rocprim17ROCPRIM_400000_NS6detail17trampoline_kernelINS0_14default_configENS1_22reduce_config_selectorIiEEZNS1_11reduce_implILb1ES3_N6thrust23THRUST_200600_302600_NS11hip_rocprim35transform_pair_of_input_iterators_tIiPN3c108BFloat16ESD_NS8_12not_equal_toISC_EEEEPiiNS8_4plusIiEEEE10hipError_tPvRmT1_T2_T3_mT4_P12ihipStream_tbEUlT_E0_NS1_11comp_targetILNS1_3genE8ELNS1_11target_archE1030ELNS1_3gpuE2ELNS1_3repE0EEENS1_30default_config_static_selectorELNS0_4arch9wavefront6targetE1EEEvSN_, .Lfunc_end2042-_ZN7rocprim17ROCPRIM_400000_NS6detail17trampoline_kernelINS0_14default_configENS1_22reduce_config_selectorIiEEZNS1_11reduce_implILb1ES3_N6thrust23THRUST_200600_302600_NS11hip_rocprim35transform_pair_of_input_iterators_tIiPN3c108BFloat16ESD_NS8_12not_equal_toISC_EEEEPiiNS8_4plusIiEEEE10hipError_tPvRmT1_T2_T3_mT4_P12ihipStream_tbEUlT_E0_NS1_11comp_targetILNS1_3genE8ELNS1_11target_archE1030ELNS1_3gpuE2ELNS1_3repE0EEENS1_30default_config_static_selectorELNS0_4arch9wavefront6targetE1EEEvSN_
                                        ; -- End function
	.set _ZN7rocprim17ROCPRIM_400000_NS6detail17trampoline_kernelINS0_14default_configENS1_22reduce_config_selectorIiEEZNS1_11reduce_implILb1ES3_N6thrust23THRUST_200600_302600_NS11hip_rocprim35transform_pair_of_input_iterators_tIiPN3c108BFloat16ESD_NS8_12not_equal_toISC_EEEEPiiNS8_4plusIiEEEE10hipError_tPvRmT1_T2_T3_mT4_P12ihipStream_tbEUlT_E0_NS1_11comp_targetILNS1_3genE8ELNS1_11target_archE1030ELNS1_3gpuE2ELNS1_3repE0EEENS1_30default_config_static_selectorELNS0_4arch9wavefront6targetE1EEEvSN_.num_vgpr, 0
	.set _ZN7rocprim17ROCPRIM_400000_NS6detail17trampoline_kernelINS0_14default_configENS1_22reduce_config_selectorIiEEZNS1_11reduce_implILb1ES3_N6thrust23THRUST_200600_302600_NS11hip_rocprim35transform_pair_of_input_iterators_tIiPN3c108BFloat16ESD_NS8_12not_equal_toISC_EEEEPiiNS8_4plusIiEEEE10hipError_tPvRmT1_T2_T3_mT4_P12ihipStream_tbEUlT_E0_NS1_11comp_targetILNS1_3genE8ELNS1_11target_archE1030ELNS1_3gpuE2ELNS1_3repE0EEENS1_30default_config_static_selectorELNS0_4arch9wavefront6targetE1EEEvSN_.num_agpr, 0
	.set _ZN7rocprim17ROCPRIM_400000_NS6detail17trampoline_kernelINS0_14default_configENS1_22reduce_config_selectorIiEEZNS1_11reduce_implILb1ES3_N6thrust23THRUST_200600_302600_NS11hip_rocprim35transform_pair_of_input_iterators_tIiPN3c108BFloat16ESD_NS8_12not_equal_toISC_EEEEPiiNS8_4plusIiEEEE10hipError_tPvRmT1_T2_T3_mT4_P12ihipStream_tbEUlT_E0_NS1_11comp_targetILNS1_3genE8ELNS1_11target_archE1030ELNS1_3gpuE2ELNS1_3repE0EEENS1_30default_config_static_selectorELNS0_4arch9wavefront6targetE1EEEvSN_.numbered_sgpr, 0
	.set _ZN7rocprim17ROCPRIM_400000_NS6detail17trampoline_kernelINS0_14default_configENS1_22reduce_config_selectorIiEEZNS1_11reduce_implILb1ES3_N6thrust23THRUST_200600_302600_NS11hip_rocprim35transform_pair_of_input_iterators_tIiPN3c108BFloat16ESD_NS8_12not_equal_toISC_EEEEPiiNS8_4plusIiEEEE10hipError_tPvRmT1_T2_T3_mT4_P12ihipStream_tbEUlT_E0_NS1_11comp_targetILNS1_3genE8ELNS1_11target_archE1030ELNS1_3gpuE2ELNS1_3repE0EEENS1_30default_config_static_selectorELNS0_4arch9wavefront6targetE1EEEvSN_.num_named_barrier, 0
	.set _ZN7rocprim17ROCPRIM_400000_NS6detail17trampoline_kernelINS0_14default_configENS1_22reduce_config_selectorIiEEZNS1_11reduce_implILb1ES3_N6thrust23THRUST_200600_302600_NS11hip_rocprim35transform_pair_of_input_iterators_tIiPN3c108BFloat16ESD_NS8_12not_equal_toISC_EEEEPiiNS8_4plusIiEEEE10hipError_tPvRmT1_T2_T3_mT4_P12ihipStream_tbEUlT_E0_NS1_11comp_targetILNS1_3genE8ELNS1_11target_archE1030ELNS1_3gpuE2ELNS1_3repE0EEENS1_30default_config_static_selectorELNS0_4arch9wavefront6targetE1EEEvSN_.private_seg_size, 0
	.set _ZN7rocprim17ROCPRIM_400000_NS6detail17trampoline_kernelINS0_14default_configENS1_22reduce_config_selectorIiEEZNS1_11reduce_implILb1ES3_N6thrust23THRUST_200600_302600_NS11hip_rocprim35transform_pair_of_input_iterators_tIiPN3c108BFloat16ESD_NS8_12not_equal_toISC_EEEEPiiNS8_4plusIiEEEE10hipError_tPvRmT1_T2_T3_mT4_P12ihipStream_tbEUlT_E0_NS1_11comp_targetILNS1_3genE8ELNS1_11target_archE1030ELNS1_3gpuE2ELNS1_3repE0EEENS1_30default_config_static_selectorELNS0_4arch9wavefront6targetE1EEEvSN_.uses_vcc, 0
	.set _ZN7rocprim17ROCPRIM_400000_NS6detail17trampoline_kernelINS0_14default_configENS1_22reduce_config_selectorIiEEZNS1_11reduce_implILb1ES3_N6thrust23THRUST_200600_302600_NS11hip_rocprim35transform_pair_of_input_iterators_tIiPN3c108BFloat16ESD_NS8_12not_equal_toISC_EEEEPiiNS8_4plusIiEEEE10hipError_tPvRmT1_T2_T3_mT4_P12ihipStream_tbEUlT_E0_NS1_11comp_targetILNS1_3genE8ELNS1_11target_archE1030ELNS1_3gpuE2ELNS1_3repE0EEENS1_30default_config_static_selectorELNS0_4arch9wavefront6targetE1EEEvSN_.uses_flat_scratch, 0
	.set _ZN7rocprim17ROCPRIM_400000_NS6detail17trampoline_kernelINS0_14default_configENS1_22reduce_config_selectorIiEEZNS1_11reduce_implILb1ES3_N6thrust23THRUST_200600_302600_NS11hip_rocprim35transform_pair_of_input_iterators_tIiPN3c108BFloat16ESD_NS8_12not_equal_toISC_EEEEPiiNS8_4plusIiEEEE10hipError_tPvRmT1_T2_T3_mT4_P12ihipStream_tbEUlT_E0_NS1_11comp_targetILNS1_3genE8ELNS1_11target_archE1030ELNS1_3gpuE2ELNS1_3repE0EEENS1_30default_config_static_selectorELNS0_4arch9wavefront6targetE1EEEvSN_.has_dyn_sized_stack, 0
	.set _ZN7rocprim17ROCPRIM_400000_NS6detail17trampoline_kernelINS0_14default_configENS1_22reduce_config_selectorIiEEZNS1_11reduce_implILb1ES3_N6thrust23THRUST_200600_302600_NS11hip_rocprim35transform_pair_of_input_iterators_tIiPN3c108BFloat16ESD_NS8_12not_equal_toISC_EEEEPiiNS8_4plusIiEEEE10hipError_tPvRmT1_T2_T3_mT4_P12ihipStream_tbEUlT_E0_NS1_11comp_targetILNS1_3genE8ELNS1_11target_archE1030ELNS1_3gpuE2ELNS1_3repE0EEENS1_30default_config_static_selectorELNS0_4arch9wavefront6targetE1EEEvSN_.has_recursion, 0
	.set _ZN7rocprim17ROCPRIM_400000_NS6detail17trampoline_kernelINS0_14default_configENS1_22reduce_config_selectorIiEEZNS1_11reduce_implILb1ES3_N6thrust23THRUST_200600_302600_NS11hip_rocprim35transform_pair_of_input_iterators_tIiPN3c108BFloat16ESD_NS8_12not_equal_toISC_EEEEPiiNS8_4plusIiEEEE10hipError_tPvRmT1_T2_T3_mT4_P12ihipStream_tbEUlT_E0_NS1_11comp_targetILNS1_3genE8ELNS1_11target_archE1030ELNS1_3gpuE2ELNS1_3repE0EEENS1_30default_config_static_selectorELNS0_4arch9wavefront6targetE1EEEvSN_.has_indirect_call, 0
	.section	.AMDGPU.csdata,"",@progbits
; Kernel info:
; codeLenInByte = 0
; TotalNumSgprs: 4
; NumVgprs: 0
; ScratchSize: 0
; MemoryBound: 0
; FloatMode: 240
; IeeeMode: 1
; LDSByteSize: 0 bytes/workgroup (compile time only)
; SGPRBlocks: 0
; VGPRBlocks: 0
; NumSGPRsForWavesPerEU: 4
; NumVGPRsForWavesPerEU: 1
; Occupancy: 10
; WaveLimiterHint : 0
; COMPUTE_PGM_RSRC2:SCRATCH_EN: 0
; COMPUTE_PGM_RSRC2:USER_SGPR: 6
; COMPUTE_PGM_RSRC2:TRAP_HANDLER: 0
; COMPUTE_PGM_RSRC2:TGID_X_EN: 1
; COMPUTE_PGM_RSRC2:TGID_Y_EN: 0
; COMPUTE_PGM_RSRC2:TGID_Z_EN: 0
; COMPUTE_PGM_RSRC2:TIDIG_COMP_CNT: 0
	.section	.text._ZN7rocprim17ROCPRIM_400000_NS6detail17trampoline_kernelINS0_14default_configENS1_22reduce_config_selectorIiEEZNS1_11reduce_implILb1ES3_N6thrust23THRUST_200600_302600_NS11hip_rocprim35transform_pair_of_input_iterators_tIiPN3c108BFloat16ESD_NS8_12not_equal_toISC_EEEEPiiNS8_4plusIiEEEE10hipError_tPvRmT1_T2_T3_mT4_P12ihipStream_tbEUlT_E1_NS1_11comp_targetILNS1_3genE0ELNS1_11target_archE4294967295ELNS1_3gpuE0ELNS1_3repE0EEENS1_30default_config_static_selectorELNS0_4arch9wavefront6targetE1EEEvSN_,"axG",@progbits,_ZN7rocprim17ROCPRIM_400000_NS6detail17trampoline_kernelINS0_14default_configENS1_22reduce_config_selectorIiEEZNS1_11reduce_implILb1ES3_N6thrust23THRUST_200600_302600_NS11hip_rocprim35transform_pair_of_input_iterators_tIiPN3c108BFloat16ESD_NS8_12not_equal_toISC_EEEEPiiNS8_4plusIiEEEE10hipError_tPvRmT1_T2_T3_mT4_P12ihipStream_tbEUlT_E1_NS1_11comp_targetILNS1_3genE0ELNS1_11target_archE4294967295ELNS1_3gpuE0ELNS1_3repE0EEENS1_30default_config_static_selectorELNS0_4arch9wavefront6targetE1EEEvSN_,comdat
	.protected	_ZN7rocprim17ROCPRIM_400000_NS6detail17trampoline_kernelINS0_14default_configENS1_22reduce_config_selectorIiEEZNS1_11reduce_implILb1ES3_N6thrust23THRUST_200600_302600_NS11hip_rocprim35transform_pair_of_input_iterators_tIiPN3c108BFloat16ESD_NS8_12not_equal_toISC_EEEEPiiNS8_4plusIiEEEE10hipError_tPvRmT1_T2_T3_mT4_P12ihipStream_tbEUlT_E1_NS1_11comp_targetILNS1_3genE0ELNS1_11target_archE4294967295ELNS1_3gpuE0ELNS1_3repE0EEENS1_30default_config_static_selectorELNS0_4arch9wavefront6targetE1EEEvSN_ ; -- Begin function _ZN7rocprim17ROCPRIM_400000_NS6detail17trampoline_kernelINS0_14default_configENS1_22reduce_config_selectorIiEEZNS1_11reduce_implILb1ES3_N6thrust23THRUST_200600_302600_NS11hip_rocprim35transform_pair_of_input_iterators_tIiPN3c108BFloat16ESD_NS8_12not_equal_toISC_EEEEPiiNS8_4plusIiEEEE10hipError_tPvRmT1_T2_T3_mT4_P12ihipStream_tbEUlT_E1_NS1_11comp_targetILNS1_3genE0ELNS1_11target_archE4294967295ELNS1_3gpuE0ELNS1_3repE0EEENS1_30default_config_static_selectorELNS0_4arch9wavefront6targetE1EEEvSN_
	.globl	_ZN7rocprim17ROCPRIM_400000_NS6detail17trampoline_kernelINS0_14default_configENS1_22reduce_config_selectorIiEEZNS1_11reduce_implILb1ES3_N6thrust23THRUST_200600_302600_NS11hip_rocprim35transform_pair_of_input_iterators_tIiPN3c108BFloat16ESD_NS8_12not_equal_toISC_EEEEPiiNS8_4plusIiEEEE10hipError_tPvRmT1_T2_T3_mT4_P12ihipStream_tbEUlT_E1_NS1_11comp_targetILNS1_3genE0ELNS1_11target_archE4294967295ELNS1_3gpuE0ELNS1_3repE0EEENS1_30default_config_static_selectorELNS0_4arch9wavefront6targetE1EEEvSN_
	.p2align	8
	.type	_ZN7rocprim17ROCPRIM_400000_NS6detail17trampoline_kernelINS0_14default_configENS1_22reduce_config_selectorIiEEZNS1_11reduce_implILb1ES3_N6thrust23THRUST_200600_302600_NS11hip_rocprim35transform_pair_of_input_iterators_tIiPN3c108BFloat16ESD_NS8_12not_equal_toISC_EEEEPiiNS8_4plusIiEEEE10hipError_tPvRmT1_T2_T3_mT4_P12ihipStream_tbEUlT_E1_NS1_11comp_targetILNS1_3genE0ELNS1_11target_archE4294967295ELNS1_3gpuE0ELNS1_3repE0EEENS1_30default_config_static_selectorELNS0_4arch9wavefront6targetE1EEEvSN_,@function
_ZN7rocprim17ROCPRIM_400000_NS6detail17trampoline_kernelINS0_14default_configENS1_22reduce_config_selectorIiEEZNS1_11reduce_implILb1ES3_N6thrust23THRUST_200600_302600_NS11hip_rocprim35transform_pair_of_input_iterators_tIiPN3c108BFloat16ESD_NS8_12not_equal_toISC_EEEEPiiNS8_4plusIiEEEE10hipError_tPvRmT1_T2_T3_mT4_P12ihipStream_tbEUlT_E1_NS1_11comp_targetILNS1_3genE0ELNS1_11target_archE4294967295ELNS1_3gpuE0ELNS1_3repE0EEENS1_30default_config_static_selectorELNS0_4arch9wavefront6targetE1EEEvSN_: ; @_ZN7rocprim17ROCPRIM_400000_NS6detail17trampoline_kernelINS0_14default_configENS1_22reduce_config_selectorIiEEZNS1_11reduce_implILb1ES3_N6thrust23THRUST_200600_302600_NS11hip_rocprim35transform_pair_of_input_iterators_tIiPN3c108BFloat16ESD_NS8_12not_equal_toISC_EEEEPiiNS8_4plusIiEEEE10hipError_tPvRmT1_T2_T3_mT4_P12ihipStream_tbEUlT_E1_NS1_11comp_targetILNS1_3genE0ELNS1_11target_archE4294967295ELNS1_3gpuE0ELNS1_3repE0EEENS1_30default_config_static_selectorELNS0_4arch9wavefront6targetE1EEEvSN_
; %bb.0:
	.section	.rodata,"a",@progbits
	.p2align	6, 0x0
	.amdhsa_kernel _ZN7rocprim17ROCPRIM_400000_NS6detail17trampoline_kernelINS0_14default_configENS1_22reduce_config_selectorIiEEZNS1_11reduce_implILb1ES3_N6thrust23THRUST_200600_302600_NS11hip_rocprim35transform_pair_of_input_iterators_tIiPN3c108BFloat16ESD_NS8_12not_equal_toISC_EEEEPiiNS8_4plusIiEEEE10hipError_tPvRmT1_T2_T3_mT4_P12ihipStream_tbEUlT_E1_NS1_11comp_targetILNS1_3genE0ELNS1_11target_archE4294967295ELNS1_3gpuE0ELNS1_3repE0EEENS1_30default_config_static_selectorELNS0_4arch9wavefront6targetE1EEEvSN_
		.amdhsa_group_segment_fixed_size 0
		.amdhsa_private_segment_fixed_size 0
		.amdhsa_kernarg_size 56
		.amdhsa_user_sgpr_count 6
		.amdhsa_user_sgpr_private_segment_buffer 1
		.amdhsa_user_sgpr_dispatch_ptr 0
		.amdhsa_user_sgpr_queue_ptr 0
		.amdhsa_user_sgpr_kernarg_segment_ptr 1
		.amdhsa_user_sgpr_dispatch_id 0
		.amdhsa_user_sgpr_flat_scratch_init 0
		.amdhsa_user_sgpr_private_segment_size 0
		.amdhsa_uses_dynamic_stack 0
		.amdhsa_system_sgpr_private_segment_wavefront_offset 0
		.amdhsa_system_sgpr_workgroup_id_x 1
		.amdhsa_system_sgpr_workgroup_id_y 0
		.amdhsa_system_sgpr_workgroup_id_z 0
		.amdhsa_system_sgpr_workgroup_info 0
		.amdhsa_system_vgpr_workitem_id 0
		.amdhsa_next_free_vgpr 1
		.amdhsa_next_free_sgpr 0
		.amdhsa_reserve_vcc 0
		.amdhsa_reserve_flat_scratch 0
		.amdhsa_float_round_mode_32 0
		.amdhsa_float_round_mode_16_64 0
		.amdhsa_float_denorm_mode_32 3
		.amdhsa_float_denorm_mode_16_64 3
		.amdhsa_dx10_clamp 1
		.amdhsa_ieee_mode 1
		.amdhsa_fp16_overflow 0
		.amdhsa_exception_fp_ieee_invalid_op 0
		.amdhsa_exception_fp_denorm_src 0
		.amdhsa_exception_fp_ieee_div_zero 0
		.amdhsa_exception_fp_ieee_overflow 0
		.amdhsa_exception_fp_ieee_underflow 0
		.amdhsa_exception_fp_ieee_inexact 0
		.amdhsa_exception_int_div_zero 0
	.end_amdhsa_kernel
	.section	.text._ZN7rocprim17ROCPRIM_400000_NS6detail17trampoline_kernelINS0_14default_configENS1_22reduce_config_selectorIiEEZNS1_11reduce_implILb1ES3_N6thrust23THRUST_200600_302600_NS11hip_rocprim35transform_pair_of_input_iterators_tIiPN3c108BFloat16ESD_NS8_12not_equal_toISC_EEEEPiiNS8_4plusIiEEEE10hipError_tPvRmT1_T2_T3_mT4_P12ihipStream_tbEUlT_E1_NS1_11comp_targetILNS1_3genE0ELNS1_11target_archE4294967295ELNS1_3gpuE0ELNS1_3repE0EEENS1_30default_config_static_selectorELNS0_4arch9wavefront6targetE1EEEvSN_,"axG",@progbits,_ZN7rocprim17ROCPRIM_400000_NS6detail17trampoline_kernelINS0_14default_configENS1_22reduce_config_selectorIiEEZNS1_11reduce_implILb1ES3_N6thrust23THRUST_200600_302600_NS11hip_rocprim35transform_pair_of_input_iterators_tIiPN3c108BFloat16ESD_NS8_12not_equal_toISC_EEEEPiiNS8_4plusIiEEEE10hipError_tPvRmT1_T2_T3_mT4_P12ihipStream_tbEUlT_E1_NS1_11comp_targetILNS1_3genE0ELNS1_11target_archE4294967295ELNS1_3gpuE0ELNS1_3repE0EEENS1_30default_config_static_selectorELNS0_4arch9wavefront6targetE1EEEvSN_,comdat
.Lfunc_end2043:
	.size	_ZN7rocprim17ROCPRIM_400000_NS6detail17trampoline_kernelINS0_14default_configENS1_22reduce_config_selectorIiEEZNS1_11reduce_implILb1ES3_N6thrust23THRUST_200600_302600_NS11hip_rocprim35transform_pair_of_input_iterators_tIiPN3c108BFloat16ESD_NS8_12not_equal_toISC_EEEEPiiNS8_4plusIiEEEE10hipError_tPvRmT1_T2_T3_mT4_P12ihipStream_tbEUlT_E1_NS1_11comp_targetILNS1_3genE0ELNS1_11target_archE4294967295ELNS1_3gpuE0ELNS1_3repE0EEENS1_30default_config_static_selectorELNS0_4arch9wavefront6targetE1EEEvSN_, .Lfunc_end2043-_ZN7rocprim17ROCPRIM_400000_NS6detail17trampoline_kernelINS0_14default_configENS1_22reduce_config_selectorIiEEZNS1_11reduce_implILb1ES3_N6thrust23THRUST_200600_302600_NS11hip_rocprim35transform_pair_of_input_iterators_tIiPN3c108BFloat16ESD_NS8_12not_equal_toISC_EEEEPiiNS8_4plusIiEEEE10hipError_tPvRmT1_T2_T3_mT4_P12ihipStream_tbEUlT_E1_NS1_11comp_targetILNS1_3genE0ELNS1_11target_archE4294967295ELNS1_3gpuE0ELNS1_3repE0EEENS1_30default_config_static_selectorELNS0_4arch9wavefront6targetE1EEEvSN_
                                        ; -- End function
	.set _ZN7rocprim17ROCPRIM_400000_NS6detail17trampoline_kernelINS0_14default_configENS1_22reduce_config_selectorIiEEZNS1_11reduce_implILb1ES3_N6thrust23THRUST_200600_302600_NS11hip_rocprim35transform_pair_of_input_iterators_tIiPN3c108BFloat16ESD_NS8_12not_equal_toISC_EEEEPiiNS8_4plusIiEEEE10hipError_tPvRmT1_T2_T3_mT4_P12ihipStream_tbEUlT_E1_NS1_11comp_targetILNS1_3genE0ELNS1_11target_archE4294967295ELNS1_3gpuE0ELNS1_3repE0EEENS1_30default_config_static_selectorELNS0_4arch9wavefront6targetE1EEEvSN_.num_vgpr, 0
	.set _ZN7rocprim17ROCPRIM_400000_NS6detail17trampoline_kernelINS0_14default_configENS1_22reduce_config_selectorIiEEZNS1_11reduce_implILb1ES3_N6thrust23THRUST_200600_302600_NS11hip_rocprim35transform_pair_of_input_iterators_tIiPN3c108BFloat16ESD_NS8_12not_equal_toISC_EEEEPiiNS8_4plusIiEEEE10hipError_tPvRmT1_T2_T3_mT4_P12ihipStream_tbEUlT_E1_NS1_11comp_targetILNS1_3genE0ELNS1_11target_archE4294967295ELNS1_3gpuE0ELNS1_3repE0EEENS1_30default_config_static_selectorELNS0_4arch9wavefront6targetE1EEEvSN_.num_agpr, 0
	.set _ZN7rocprim17ROCPRIM_400000_NS6detail17trampoline_kernelINS0_14default_configENS1_22reduce_config_selectorIiEEZNS1_11reduce_implILb1ES3_N6thrust23THRUST_200600_302600_NS11hip_rocprim35transform_pair_of_input_iterators_tIiPN3c108BFloat16ESD_NS8_12not_equal_toISC_EEEEPiiNS8_4plusIiEEEE10hipError_tPvRmT1_T2_T3_mT4_P12ihipStream_tbEUlT_E1_NS1_11comp_targetILNS1_3genE0ELNS1_11target_archE4294967295ELNS1_3gpuE0ELNS1_3repE0EEENS1_30default_config_static_selectorELNS0_4arch9wavefront6targetE1EEEvSN_.numbered_sgpr, 0
	.set _ZN7rocprim17ROCPRIM_400000_NS6detail17trampoline_kernelINS0_14default_configENS1_22reduce_config_selectorIiEEZNS1_11reduce_implILb1ES3_N6thrust23THRUST_200600_302600_NS11hip_rocprim35transform_pair_of_input_iterators_tIiPN3c108BFloat16ESD_NS8_12not_equal_toISC_EEEEPiiNS8_4plusIiEEEE10hipError_tPvRmT1_T2_T3_mT4_P12ihipStream_tbEUlT_E1_NS1_11comp_targetILNS1_3genE0ELNS1_11target_archE4294967295ELNS1_3gpuE0ELNS1_3repE0EEENS1_30default_config_static_selectorELNS0_4arch9wavefront6targetE1EEEvSN_.num_named_barrier, 0
	.set _ZN7rocprim17ROCPRIM_400000_NS6detail17trampoline_kernelINS0_14default_configENS1_22reduce_config_selectorIiEEZNS1_11reduce_implILb1ES3_N6thrust23THRUST_200600_302600_NS11hip_rocprim35transform_pair_of_input_iterators_tIiPN3c108BFloat16ESD_NS8_12not_equal_toISC_EEEEPiiNS8_4plusIiEEEE10hipError_tPvRmT1_T2_T3_mT4_P12ihipStream_tbEUlT_E1_NS1_11comp_targetILNS1_3genE0ELNS1_11target_archE4294967295ELNS1_3gpuE0ELNS1_3repE0EEENS1_30default_config_static_selectorELNS0_4arch9wavefront6targetE1EEEvSN_.private_seg_size, 0
	.set _ZN7rocprim17ROCPRIM_400000_NS6detail17trampoline_kernelINS0_14default_configENS1_22reduce_config_selectorIiEEZNS1_11reduce_implILb1ES3_N6thrust23THRUST_200600_302600_NS11hip_rocprim35transform_pair_of_input_iterators_tIiPN3c108BFloat16ESD_NS8_12not_equal_toISC_EEEEPiiNS8_4plusIiEEEE10hipError_tPvRmT1_T2_T3_mT4_P12ihipStream_tbEUlT_E1_NS1_11comp_targetILNS1_3genE0ELNS1_11target_archE4294967295ELNS1_3gpuE0ELNS1_3repE0EEENS1_30default_config_static_selectorELNS0_4arch9wavefront6targetE1EEEvSN_.uses_vcc, 0
	.set _ZN7rocprim17ROCPRIM_400000_NS6detail17trampoline_kernelINS0_14default_configENS1_22reduce_config_selectorIiEEZNS1_11reduce_implILb1ES3_N6thrust23THRUST_200600_302600_NS11hip_rocprim35transform_pair_of_input_iterators_tIiPN3c108BFloat16ESD_NS8_12not_equal_toISC_EEEEPiiNS8_4plusIiEEEE10hipError_tPvRmT1_T2_T3_mT4_P12ihipStream_tbEUlT_E1_NS1_11comp_targetILNS1_3genE0ELNS1_11target_archE4294967295ELNS1_3gpuE0ELNS1_3repE0EEENS1_30default_config_static_selectorELNS0_4arch9wavefront6targetE1EEEvSN_.uses_flat_scratch, 0
	.set _ZN7rocprim17ROCPRIM_400000_NS6detail17trampoline_kernelINS0_14default_configENS1_22reduce_config_selectorIiEEZNS1_11reduce_implILb1ES3_N6thrust23THRUST_200600_302600_NS11hip_rocprim35transform_pair_of_input_iterators_tIiPN3c108BFloat16ESD_NS8_12not_equal_toISC_EEEEPiiNS8_4plusIiEEEE10hipError_tPvRmT1_T2_T3_mT4_P12ihipStream_tbEUlT_E1_NS1_11comp_targetILNS1_3genE0ELNS1_11target_archE4294967295ELNS1_3gpuE0ELNS1_3repE0EEENS1_30default_config_static_selectorELNS0_4arch9wavefront6targetE1EEEvSN_.has_dyn_sized_stack, 0
	.set _ZN7rocprim17ROCPRIM_400000_NS6detail17trampoline_kernelINS0_14default_configENS1_22reduce_config_selectorIiEEZNS1_11reduce_implILb1ES3_N6thrust23THRUST_200600_302600_NS11hip_rocprim35transform_pair_of_input_iterators_tIiPN3c108BFloat16ESD_NS8_12not_equal_toISC_EEEEPiiNS8_4plusIiEEEE10hipError_tPvRmT1_T2_T3_mT4_P12ihipStream_tbEUlT_E1_NS1_11comp_targetILNS1_3genE0ELNS1_11target_archE4294967295ELNS1_3gpuE0ELNS1_3repE0EEENS1_30default_config_static_selectorELNS0_4arch9wavefront6targetE1EEEvSN_.has_recursion, 0
	.set _ZN7rocprim17ROCPRIM_400000_NS6detail17trampoline_kernelINS0_14default_configENS1_22reduce_config_selectorIiEEZNS1_11reduce_implILb1ES3_N6thrust23THRUST_200600_302600_NS11hip_rocprim35transform_pair_of_input_iterators_tIiPN3c108BFloat16ESD_NS8_12not_equal_toISC_EEEEPiiNS8_4plusIiEEEE10hipError_tPvRmT1_T2_T3_mT4_P12ihipStream_tbEUlT_E1_NS1_11comp_targetILNS1_3genE0ELNS1_11target_archE4294967295ELNS1_3gpuE0ELNS1_3repE0EEENS1_30default_config_static_selectorELNS0_4arch9wavefront6targetE1EEEvSN_.has_indirect_call, 0
	.section	.AMDGPU.csdata,"",@progbits
; Kernel info:
; codeLenInByte = 0
; TotalNumSgprs: 4
; NumVgprs: 0
; ScratchSize: 0
; MemoryBound: 0
; FloatMode: 240
; IeeeMode: 1
; LDSByteSize: 0 bytes/workgroup (compile time only)
; SGPRBlocks: 0
; VGPRBlocks: 0
; NumSGPRsForWavesPerEU: 4
; NumVGPRsForWavesPerEU: 1
; Occupancy: 10
; WaveLimiterHint : 0
; COMPUTE_PGM_RSRC2:SCRATCH_EN: 0
; COMPUTE_PGM_RSRC2:USER_SGPR: 6
; COMPUTE_PGM_RSRC2:TRAP_HANDLER: 0
; COMPUTE_PGM_RSRC2:TGID_X_EN: 1
; COMPUTE_PGM_RSRC2:TGID_Y_EN: 0
; COMPUTE_PGM_RSRC2:TGID_Z_EN: 0
; COMPUTE_PGM_RSRC2:TIDIG_COMP_CNT: 0
	.section	.text._ZN7rocprim17ROCPRIM_400000_NS6detail17trampoline_kernelINS0_14default_configENS1_22reduce_config_selectorIiEEZNS1_11reduce_implILb1ES3_N6thrust23THRUST_200600_302600_NS11hip_rocprim35transform_pair_of_input_iterators_tIiPN3c108BFloat16ESD_NS8_12not_equal_toISC_EEEEPiiNS8_4plusIiEEEE10hipError_tPvRmT1_T2_T3_mT4_P12ihipStream_tbEUlT_E1_NS1_11comp_targetILNS1_3genE5ELNS1_11target_archE942ELNS1_3gpuE9ELNS1_3repE0EEENS1_30default_config_static_selectorELNS0_4arch9wavefront6targetE1EEEvSN_,"axG",@progbits,_ZN7rocprim17ROCPRIM_400000_NS6detail17trampoline_kernelINS0_14default_configENS1_22reduce_config_selectorIiEEZNS1_11reduce_implILb1ES3_N6thrust23THRUST_200600_302600_NS11hip_rocprim35transform_pair_of_input_iterators_tIiPN3c108BFloat16ESD_NS8_12not_equal_toISC_EEEEPiiNS8_4plusIiEEEE10hipError_tPvRmT1_T2_T3_mT4_P12ihipStream_tbEUlT_E1_NS1_11comp_targetILNS1_3genE5ELNS1_11target_archE942ELNS1_3gpuE9ELNS1_3repE0EEENS1_30default_config_static_selectorELNS0_4arch9wavefront6targetE1EEEvSN_,comdat
	.protected	_ZN7rocprim17ROCPRIM_400000_NS6detail17trampoline_kernelINS0_14default_configENS1_22reduce_config_selectorIiEEZNS1_11reduce_implILb1ES3_N6thrust23THRUST_200600_302600_NS11hip_rocprim35transform_pair_of_input_iterators_tIiPN3c108BFloat16ESD_NS8_12not_equal_toISC_EEEEPiiNS8_4plusIiEEEE10hipError_tPvRmT1_T2_T3_mT4_P12ihipStream_tbEUlT_E1_NS1_11comp_targetILNS1_3genE5ELNS1_11target_archE942ELNS1_3gpuE9ELNS1_3repE0EEENS1_30default_config_static_selectorELNS0_4arch9wavefront6targetE1EEEvSN_ ; -- Begin function _ZN7rocprim17ROCPRIM_400000_NS6detail17trampoline_kernelINS0_14default_configENS1_22reduce_config_selectorIiEEZNS1_11reduce_implILb1ES3_N6thrust23THRUST_200600_302600_NS11hip_rocprim35transform_pair_of_input_iterators_tIiPN3c108BFloat16ESD_NS8_12not_equal_toISC_EEEEPiiNS8_4plusIiEEEE10hipError_tPvRmT1_T2_T3_mT4_P12ihipStream_tbEUlT_E1_NS1_11comp_targetILNS1_3genE5ELNS1_11target_archE942ELNS1_3gpuE9ELNS1_3repE0EEENS1_30default_config_static_selectorELNS0_4arch9wavefront6targetE1EEEvSN_
	.globl	_ZN7rocprim17ROCPRIM_400000_NS6detail17trampoline_kernelINS0_14default_configENS1_22reduce_config_selectorIiEEZNS1_11reduce_implILb1ES3_N6thrust23THRUST_200600_302600_NS11hip_rocprim35transform_pair_of_input_iterators_tIiPN3c108BFloat16ESD_NS8_12not_equal_toISC_EEEEPiiNS8_4plusIiEEEE10hipError_tPvRmT1_T2_T3_mT4_P12ihipStream_tbEUlT_E1_NS1_11comp_targetILNS1_3genE5ELNS1_11target_archE942ELNS1_3gpuE9ELNS1_3repE0EEENS1_30default_config_static_selectorELNS0_4arch9wavefront6targetE1EEEvSN_
	.p2align	8
	.type	_ZN7rocprim17ROCPRIM_400000_NS6detail17trampoline_kernelINS0_14default_configENS1_22reduce_config_selectorIiEEZNS1_11reduce_implILb1ES3_N6thrust23THRUST_200600_302600_NS11hip_rocprim35transform_pair_of_input_iterators_tIiPN3c108BFloat16ESD_NS8_12not_equal_toISC_EEEEPiiNS8_4plusIiEEEE10hipError_tPvRmT1_T2_T3_mT4_P12ihipStream_tbEUlT_E1_NS1_11comp_targetILNS1_3genE5ELNS1_11target_archE942ELNS1_3gpuE9ELNS1_3repE0EEENS1_30default_config_static_selectorELNS0_4arch9wavefront6targetE1EEEvSN_,@function
_ZN7rocprim17ROCPRIM_400000_NS6detail17trampoline_kernelINS0_14default_configENS1_22reduce_config_selectorIiEEZNS1_11reduce_implILb1ES3_N6thrust23THRUST_200600_302600_NS11hip_rocprim35transform_pair_of_input_iterators_tIiPN3c108BFloat16ESD_NS8_12not_equal_toISC_EEEEPiiNS8_4plusIiEEEE10hipError_tPvRmT1_T2_T3_mT4_P12ihipStream_tbEUlT_E1_NS1_11comp_targetILNS1_3genE5ELNS1_11target_archE942ELNS1_3gpuE9ELNS1_3repE0EEENS1_30default_config_static_selectorELNS0_4arch9wavefront6targetE1EEEvSN_: ; @_ZN7rocprim17ROCPRIM_400000_NS6detail17trampoline_kernelINS0_14default_configENS1_22reduce_config_selectorIiEEZNS1_11reduce_implILb1ES3_N6thrust23THRUST_200600_302600_NS11hip_rocprim35transform_pair_of_input_iterators_tIiPN3c108BFloat16ESD_NS8_12not_equal_toISC_EEEEPiiNS8_4plusIiEEEE10hipError_tPvRmT1_T2_T3_mT4_P12ihipStream_tbEUlT_E1_NS1_11comp_targetILNS1_3genE5ELNS1_11target_archE942ELNS1_3gpuE9ELNS1_3repE0EEENS1_30default_config_static_selectorELNS0_4arch9wavefront6targetE1EEEvSN_
; %bb.0:
	.section	.rodata,"a",@progbits
	.p2align	6, 0x0
	.amdhsa_kernel _ZN7rocprim17ROCPRIM_400000_NS6detail17trampoline_kernelINS0_14default_configENS1_22reduce_config_selectorIiEEZNS1_11reduce_implILb1ES3_N6thrust23THRUST_200600_302600_NS11hip_rocprim35transform_pair_of_input_iterators_tIiPN3c108BFloat16ESD_NS8_12not_equal_toISC_EEEEPiiNS8_4plusIiEEEE10hipError_tPvRmT1_T2_T3_mT4_P12ihipStream_tbEUlT_E1_NS1_11comp_targetILNS1_3genE5ELNS1_11target_archE942ELNS1_3gpuE9ELNS1_3repE0EEENS1_30default_config_static_selectorELNS0_4arch9wavefront6targetE1EEEvSN_
		.amdhsa_group_segment_fixed_size 0
		.amdhsa_private_segment_fixed_size 0
		.amdhsa_kernarg_size 56
		.amdhsa_user_sgpr_count 6
		.amdhsa_user_sgpr_private_segment_buffer 1
		.amdhsa_user_sgpr_dispatch_ptr 0
		.amdhsa_user_sgpr_queue_ptr 0
		.amdhsa_user_sgpr_kernarg_segment_ptr 1
		.amdhsa_user_sgpr_dispatch_id 0
		.amdhsa_user_sgpr_flat_scratch_init 0
		.amdhsa_user_sgpr_private_segment_size 0
		.amdhsa_uses_dynamic_stack 0
		.amdhsa_system_sgpr_private_segment_wavefront_offset 0
		.amdhsa_system_sgpr_workgroup_id_x 1
		.amdhsa_system_sgpr_workgroup_id_y 0
		.amdhsa_system_sgpr_workgroup_id_z 0
		.amdhsa_system_sgpr_workgroup_info 0
		.amdhsa_system_vgpr_workitem_id 0
		.amdhsa_next_free_vgpr 1
		.amdhsa_next_free_sgpr 0
		.amdhsa_reserve_vcc 0
		.amdhsa_reserve_flat_scratch 0
		.amdhsa_float_round_mode_32 0
		.amdhsa_float_round_mode_16_64 0
		.amdhsa_float_denorm_mode_32 3
		.amdhsa_float_denorm_mode_16_64 3
		.amdhsa_dx10_clamp 1
		.amdhsa_ieee_mode 1
		.amdhsa_fp16_overflow 0
		.amdhsa_exception_fp_ieee_invalid_op 0
		.amdhsa_exception_fp_denorm_src 0
		.amdhsa_exception_fp_ieee_div_zero 0
		.amdhsa_exception_fp_ieee_overflow 0
		.amdhsa_exception_fp_ieee_underflow 0
		.amdhsa_exception_fp_ieee_inexact 0
		.amdhsa_exception_int_div_zero 0
	.end_amdhsa_kernel
	.section	.text._ZN7rocprim17ROCPRIM_400000_NS6detail17trampoline_kernelINS0_14default_configENS1_22reduce_config_selectorIiEEZNS1_11reduce_implILb1ES3_N6thrust23THRUST_200600_302600_NS11hip_rocprim35transform_pair_of_input_iterators_tIiPN3c108BFloat16ESD_NS8_12not_equal_toISC_EEEEPiiNS8_4plusIiEEEE10hipError_tPvRmT1_T2_T3_mT4_P12ihipStream_tbEUlT_E1_NS1_11comp_targetILNS1_3genE5ELNS1_11target_archE942ELNS1_3gpuE9ELNS1_3repE0EEENS1_30default_config_static_selectorELNS0_4arch9wavefront6targetE1EEEvSN_,"axG",@progbits,_ZN7rocprim17ROCPRIM_400000_NS6detail17trampoline_kernelINS0_14default_configENS1_22reduce_config_selectorIiEEZNS1_11reduce_implILb1ES3_N6thrust23THRUST_200600_302600_NS11hip_rocprim35transform_pair_of_input_iterators_tIiPN3c108BFloat16ESD_NS8_12not_equal_toISC_EEEEPiiNS8_4plusIiEEEE10hipError_tPvRmT1_T2_T3_mT4_P12ihipStream_tbEUlT_E1_NS1_11comp_targetILNS1_3genE5ELNS1_11target_archE942ELNS1_3gpuE9ELNS1_3repE0EEENS1_30default_config_static_selectorELNS0_4arch9wavefront6targetE1EEEvSN_,comdat
.Lfunc_end2044:
	.size	_ZN7rocprim17ROCPRIM_400000_NS6detail17trampoline_kernelINS0_14default_configENS1_22reduce_config_selectorIiEEZNS1_11reduce_implILb1ES3_N6thrust23THRUST_200600_302600_NS11hip_rocprim35transform_pair_of_input_iterators_tIiPN3c108BFloat16ESD_NS8_12not_equal_toISC_EEEEPiiNS8_4plusIiEEEE10hipError_tPvRmT1_T2_T3_mT4_P12ihipStream_tbEUlT_E1_NS1_11comp_targetILNS1_3genE5ELNS1_11target_archE942ELNS1_3gpuE9ELNS1_3repE0EEENS1_30default_config_static_selectorELNS0_4arch9wavefront6targetE1EEEvSN_, .Lfunc_end2044-_ZN7rocprim17ROCPRIM_400000_NS6detail17trampoline_kernelINS0_14default_configENS1_22reduce_config_selectorIiEEZNS1_11reduce_implILb1ES3_N6thrust23THRUST_200600_302600_NS11hip_rocprim35transform_pair_of_input_iterators_tIiPN3c108BFloat16ESD_NS8_12not_equal_toISC_EEEEPiiNS8_4plusIiEEEE10hipError_tPvRmT1_T2_T3_mT4_P12ihipStream_tbEUlT_E1_NS1_11comp_targetILNS1_3genE5ELNS1_11target_archE942ELNS1_3gpuE9ELNS1_3repE0EEENS1_30default_config_static_selectorELNS0_4arch9wavefront6targetE1EEEvSN_
                                        ; -- End function
	.set _ZN7rocprim17ROCPRIM_400000_NS6detail17trampoline_kernelINS0_14default_configENS1_22reduce_config_selectorIiEEZNS1_11reduce_implILb1ES3_N6thrust23THRUST_200600_302600_NS11hip_rocprim35transform_pair_of_input_iterators_tIiPN3c108BFloat16ESD_NS8_12not_equal_toISC_EEEEPiiNS8_4plusIiEEEE10hipError_tPvRmT1_T2_T3_mT4_P12ihipStream_tbEUlT_E1_NS1_11comp_targetILNS1_3genE5ELNS1_11target_archE942ELNS1_3gpuE9ELNS1_3repE0EEENS1_30default_config_static_selectorELNS0_4arch9wavefront6targetE1EEEvSN_.num_vgpr, 0
	.set _ZN7rocprim17ROCPRIM_400000_NS6detail17trampoline_kernelINS0_14default_configENS1_22reduce_config_selectorIiEEZNS1_11reduce_implILb1ES3_N6thrust23THRUST_200600_302600_NS11hip_rocprim35transform_pair_of_input_iterators_tIiPN3c108BFloat16ESD_NS8_12not_equal_toISC_EEEEPiiNS8_4plusIiEEEE10hipError_tPvRmT1_T2_T3_mT4_P12ihipStream_tbEUlT_E1_NS1_11comp_targetILNS1_3genE5ELNS1_11target_archE942ELNS1_3gpuE9ELNS1_3repE0EEENS1_30default_config_static_selectorELNS0_4arch9wavefront6targetE1EEEvSN_.num_agpr, 0
	.set _ZN7rocprim17ROCPRIM_400000_NS6detail17trampoline_kernelINS0_14default_configENS1_22reduce_config_selectorIiEEZNS1_11reduce_implILb1ES3_N6thrust23THRUST_200600_302600_NS11hip_rocprim35transform_pair_of_input_iterators_tIiPN3c108BFloat16ESD_NS8_12not_equal_toISC_EEEEPiiNS8_4plusIiEEEE10hipError_tPvRmT1_T2_T3_mT4_P12ihipStream_tbEUlT_E1_NS1_11comp_targetILNS1_3genE5ELNS1_11target_archE942ELNS1_3gpuE9ELNS1_3repE0EEENS1_30default_config_static_selectorELNS0_4arch9wavefront6targetE1EEEvSN_.numbered_sgpr, 0
	.set _ZN7rocprim17ROCPRIM_400000_NS6detail17trampoline_kernelINS0_14default_configENS1_22reduce_config_selectorIiEEZNS1_11reduce_implILb1ES3_N6thrust23THRUST_200600_302600_NS11hip_rocprim35transform_pair_of_input_iterators_tIiPN3c108BFloat16ESD_NS8_12not_equal_toISC_EEEEPiiNS8_4plusIiEEEE10hipError_tPvRmT1_T2_T3_mT4_P12ihipStream_tbEUlT_E1_NS1_11comp_targetILNS1_3genE5ELNS1_11target_archE942ELNS1_3gpuE9ELNS1_3repE0EEENS1_30default_config_static_selectorELNS0_4arch9wavefront6targetE1EEEvSN_.num_named_barrier, 0
	.set _ZN7rocprim17ROCPRIM_400000_NS6detail17trampoline_kernelINS0_14default_configENS1_22reduce_config_selectorIiEEZNS1_11reduce_implILb1ES3_N6thrust23THRUST_200600_302600_NS11hip_rocprim35transform_pair_of_input_iterators_tIiPN3c108BFloat16ESD_NS8_12not_equal_toISC_EEEEPiiNS8_4plusIiEEEE10hipError_tPvRmT1_T2_T3_mT4_P12ihipStream_tbEUlT_E1_NS1_11comp_targetILNS1_3genE5ELNS1_11target_archE942ELNS1_3gpuE9ELNS1_3repE0EEENS1_30default_config_static_selectorELNS0_4arch9wavefront6targetE1EEEvSN_.private_seg_size, 0
	.set _ZN7rocprim17ROCPRIM_400000_NS6detail17trampoline_kernelINS0_14default_configENS1_22reduce_config_selectorIiEEZNS1_11reduce_implILb1ES3_N6thrust23THRUST_200600_302600_NS11hip_rocprim35transform_pair_of_input_iterators_tIiPN3c108BFloat16ESD_NS8_12not_equal_toISC_EEEEPiiNS8_4plusIiEEEE10hipError_tPvRmT1_T2_T3_mT4_P12ihipStream_tbEUlT_E1_NS1_11comp_targetILNS1_3genE5ELNS1_11target_archE942ELNS1_3gpuE9ELNS1_3repE0EEENS1_30default_config_static_selectorELNS0_4arch9wavefront6targetE1EEEvSN_.uses_vcc, 0
	.set _ZN7rocprim17ROCPRIM_400000_NS6detail17trampoline_kernelINS0_14default_configENS1_22reduce_config_selectorIiEEZNS1_11reduce_implILb1ES3_N6thrust23THRUST_200600_302600_NS11hip_rocprim35transform_pair_of_input_iterators_tIiPN3c108BFloat16ESD_NS8_12not_equal_toISC_EEEEPiiNS8_4plusIiEEEE10hipError_tPvRmT1_T2_T3_mT4_P12ihipStream_tbEUlT_E1_NS1_11comp_targetILNS1_3genE5ELNS1_11target_archE942ELNS1_3gpuE9ELNS1_3repE0EEENS1_30default_config_static_selectorELNS0_4arch9wavefront6targetE1EEEvSN_.uses_flat_scratch, 0
	.set _ZN7rocprim17ROCPRIM_400000_NS6detail17trampoline_kernelINS0_14default_configENS1_22reduce_config_selectorIiEEZNS1_11reduce_implILb1ES3_N6thrust23THRUST_200600_302600_NS11hip_rocprim35transform_pair_of_input_iterators_tIiPN3c108BFloat16ESD_NS8_12not_equal_toISC_EEEEPiiNS8_4plusIiEEEE10hipError_tPvRmT1_T2_T3_mT4_P12ihipStream_tbEUlT_E1_NS1_11comp_targetILNS1_3genE5ELNS1_11target_archE942ELNS1_3gpuE9ELNS1_3repE0EEENS1_30default_config_static_selectorELNS0_4arch9wavefront6targetE1EEEvSN_.has_dyn_sized_stack, 0
	.set _ZN7rocprim17ROCPRIM_400000_NS6detail17trampoline_kernelINS0_14default_configENS1_22reduce_config_selectorIiEEZNS1_11reduce_implILb1ES3_N6thrust23THRUST_200600_302600_NS11hip_rocprim35transform_pair_of_input_iterators_tIiPN3c108BFloat16ESD_NS8_12not_equal_toISC_EEEEPiiNS8_4plusIiEEEE10hipError_tPvRmT1_T2_T3_mT4_P12ihipStream_tbEUlT_E1_NS1_11comp_targetILNS1_3genE5ELNS1_11target_archE942ELNS1_3gpuE9ELNS1_3repE0EEENS1_30default_config_static_selectorELNS0_4arch9wavefront6targetE1EEEvSN_.has_recursion, 0
	.set _ZN7rocprim17ROCPRIM_400000_NS6detail17trampoline_kernelINS0_14default_configENS1_22reduce_config_selectorIiEEZNS1_11reduce_implILb1ES3_N6thrust23THRUST_200600_302600_NS11hip_rocprim35transform_pair_of_input_iterators_tIiPN3c108BFloat16ESD_NS8_12not_equal_toISC_EEEEPiiNS8_4plusIiEEEE10hipError_tPvRmT1_T2_T3_mT4_P12ihipStream_tbEUlT_E1_NS1_11comp_targetILNS1_3genE5ELNS1_11target_archE942ELNS1_3gpuE9ELNS1_3repE0EEENS1_30default_config_static_selectorELNS0_4arch9wavefront6targetE1EEEvSN_.has_indirect_call, 0
	.section	.AMDGPU.csdata,"",@progbits
; Kernel info:
; codeLenInByte = 0
; TotalNumSgprs: 4
; NumVgprs: 0
; ScratchSize: 0
; MemoryBound: 0
; FloatMode: 240
; IeeeMode: 1
; LDSByteSize: 0 bytes/workgroup (compile time only)
; SGPRBlocks: 0
; VGPRBlocks: 0
; NumSGPRsForWavesPerEU: 4
; NumVGPRsForWavesPerEU: 1
; Occupancy: 10
; WaveLimiterHint : 0
; COMPUTE_PGM_RSRC2:SCRATCH_EN: 0
; COMPUTE_PGM_RSRC2:USER_SGPR: 6
; COMPUTE_PGM_RSRC2:TRAP_HANDLER: 0
; COMPUTE_PGM_RSRC2:TGID_X_EN: 1
; COMPUTE_PGM_RSRC2:TGID_Y_EN: 0
; COMPUTE_PGM_RSRC2:TGID_Z_EN: 0
; COMPUTE_PGM_RSRC2:TIDIG_COMP_CNT: 0
	.section	.text._ZN7rocprim17ROCPRIM_400000_NS6detail17trampoline_kernelINS0_14default_configENS1_22reduce_config_selectorIiEEZNS1_11reduce_implILb1ES3_N6thrust23THRUST_200600_302600_NS11hip_rocprim35transform_pair_of_input_iterators_tIiPN3c108BFloat16ESD_NS8_12not_equal_toISC_EEEEPiiNS8_4plusIiEEEE10hipError_tPvRmT1_T2_T3_mT4_P12ihipStream_tbEUlT_E1_NS1_11comp_targetILNS1_3genE4ELNS1_11target_archE910ELNS1_3gpuE8ELNS1_3repE0EEENS1_30default_config_static_selectorELNS0_4arch9wavefront6targetE1EEEvSN_,"axG",@progbits,_ZN7rocprim17ROCPRIM_400000_NS6detail17trampoline_kernelINS0_14default_configENS1_22reduce_config_selectorIiEEZNS1_11reduce_implILb1ES3_N6thrust23THRUST_200600_302600_NS11hip_rocprim35transform_pair_of_input_iterators_tIiPN3c108BFloat16ESD_NS8_12not_equal_toISC_EEEEPiiNS8_4plusIiEEEE10hipError_tPvRmT1_T2_T3_mT4_P12ihipStream_tbEUlT_E1_NS1_11comp_targetILNS1_3genE4ELNS1_11target_archE910ELNS1_3gpuE8ELNS1_3repE0EEENS1_30default_config_static_selectorELNS0_4arch9wavefront6targetE1EEEvSN_,comdat
	.protected	_ZN7rocprim17ROCPRIM_400000_NS6detail17trampoline_kernelINS0_14default_configENS1_22reduce_config_selectorIiEEZNS1_11reduce_implILb1ES3_N6thrust23THRUST_200600_302600_NS11hip_rocprim35transform_pair_of_input_iterators_tIiPN3c108BFloat16ESD_NS8_12not_equal_toISC_EEEEPiiNS8_4plusIiEEEE10hipError_tPvRmT1_T2_T3_mT4_P12ihipStream_tbEUlT_E1_NS1_11comp_targetILNS1_3genE4ELNS1_11target_archE910ELNS1_3gpuE8ELNS1_3repE0EEENS1_30default_config_static_selectorELNS0_4arch9wavefront6targetE1EEEvSN_ ; -- Begin function _ZN7rocprim17ROCPRIM_400000_NS6detail17trampoline_kernelINS0_14default_configENS1_22reduce_config_selectorIiEEZNS1_11reduce_implILb1ES3_N6thrust23THRUST_200600_302600_NS11hip_rocprim35transform_pair_of_input_iterators_tIiPN3c108BFloat16ESD_NS8_12not_equal_toISC_EEEEPiiNS8_4plusIiEEEE10hipError_tPvRmT1_T2_T3_mT4_P12ihipStream_tbEUlT_E1_NS1_11comp_targetILNS1_3genE4ELNS1_11target_archE910ELNS1_3gpuE8ELNS1_3repE0EEENS1_30default_config_static_selectorELNS0_4arch9wavefront6targetE1EEEvSN_
	.globl	_ZN7rocprim17ROCPRIM_400000_NS6detail17trampoline_kernelINS0_14default_configENS1_22reduce_config_selectorIiEEZNS1_11reduce_implILb1ES3_N6thrust23THRUST_200600_302600_NS11hip_rocprim35transform_pair_of_input_iterators_tIiPN3c108BFloat16ESD_NS8_12not_equal_toISC_EEEEPiiNS8_4plusIiEEEE10hipError_tPvRmT1_T2_T3_mT4_P12ihipStream_tbEUlT_E1_NS1_11comp_targetILNS1_3genE4ELNS1_11target_archE910ELNS1_3gpuE8ELNS1_3repE0EEENS1_30default_config_static_selectorELNS0_4arch9wavefront6targetE1EEEvSN_
	.p2align	8
	.type	_ZN7rocprim17ROCPRIM_400000_NS6detail17trampoline_kernelINS0_14default_configENS1_22reduce_config_selectorIiEEZNS1_11reduce_implILb1ES3_N6thrust23THRUST_200600_302600_NS11hip_rocprim35transform_pair_of_input_iterators_tIiPN3c108BFloat16ESD_NS8_12not_equal_toISC_EEEEPiiNS8_4plusIiEEEE10hipError_tPvRmT1_T2_T3_mT4_P12ihipStream_tbEUlT_E1_NS1_11comp_targetILNS1_3genE4ELNS1_11target_archE910ELNS1_3gpuE8ELNS1_3repE0EEENS1_30default_config_static_selectorELNS0_4arch9wavefront6targetE1EEEvSN_,@function
_ZN7rocprim17ROCPRIM_400000_NS6detail17trampoline_kernelINS0_14default_configENS1_22reduce_config_selectorIiEEZNS1_11reduce_implILb1ES3_N6thrust23THRUST_200600_302600_NS11hip_rocprim35transform_pair_of_input_iterators_tIiPN3c108BFloat16ESD_NS8_12not_equal_toISC_EEEEPiiNS8_4plusIiEEEE10hipError_tPvRmT1_T2_T3_mT4_P12ihipStream_tbEUlT_E1_NS1_11comp_targetILNS1_3genE4ELNS1_11target_archE910ELNS1_3gpuE8ELNS1_3repE0EEENS1_30default_config_static_selectorELNS0_4arch9wavefront6targetE1EEEvSN_: ; @_ZN7rocprim17ROCPRIM_400000_NS6detail17trampoline_kernelINS0_14default_configENS1_22reduce_config_selectorIiEEZNS1_11reduce_implILb1ES3_N6thrust23THRUST_200600_302600_NS11hip_rocprim35transform_pair_of_input_iterators_tIiPN3c108BFloat16ESD_NS8_12not_equal_toISC_EEEEPiiNS8_4plusIiEEEE10hipError_tPvRmT1_T2_T3_mT4_P12ihipStream_tbEUlT_E1_NS1_11comp_targetILNS1_3genE4ELNS1_11target_archE910ELNS1_3gpuE8ELNS1_3repE0EEENS1_30default_config_static_selectorELNS0_4arch9wavefront6targetE1EEEvSN_
; %bb.0:
	.section	.rodata,"a",@progbits
	.p2align	6, 0x0
	.amdhsa_kernel _ZN7rocprim17ROCPRIM_400000_NS6detail17trampoline_kernelINS0_14default_configENS1_22reduce_config_selectorIiEEZNS1_11reduce_implILb1ES3_N6thrust23THRUST_200600_302600_NS11hip_rocprim35transform_pair_of_input_iterators_tIiPN3c108BFloat16ESD_NS8_12not_equal_toISC_EEEEPiiNS8_4plusIiEEEE10hipError_tPvRmT1_T2_T3_mT4_P12ihipStream_tbEUlT_E1_NS1_11comp_targetILNS1_3genE4ELNS1_11target_archE910ELNS1_3gpuE8ELNS1_3repE0EEENS1_30default_config_static_selectorELNS0_4arch9wavefront6targetE1EEEvSN_
		.amdhsa_group_segment_fixed_size 0
		.amdhsa_private_segment_fixed_size 0
		.amdhsa_kernarg_size 56
		.amdhsa_user_sgpr_count 6
		.amdhsa_user_sgpr_private_segment_buffer 1
		.amdhsa_user_sgpr_dispatch_ptr 0
		.amdhsa_user_sgpr_queue_ptr 0
		.amdhsa_user_sgpr_kernarg_segment_ptr 1
		.amdhsa_user_sgpr_dispatch_id 0
		.amdhsa_user_sgpr_flat_scratch_init 0
		.amdhsa_user_sgpr_private_segment_size 0
		.amdhsa_uses_dynamic_stack 0
		.amdhsa_system_sgpr_private_segment_wavefront_offset 0
		.amdhsa_system_sgpr_workgroup_id_x 1
		.amdhsa_system_sgpr_workgroup_id_y 0
		.amdhsa_system_sgpr_workgroup_id_z 0
		.amdhsa_system_sgpr_workgroup_info 0
		.amdhsa_system_vgpr_workitem_id 0
		.amdhsa_next_free_vgpr 1
		.amdhsa_next_free_sgpr 0
		.amdhsa_reserve_vcc 0
		.amdhsa_reserve_flat_scratch 0
		.amdhsa_float_round_mode_32 0
		.amdhsa_float_round_mode_16_64 0
		.amdhsa_float_denorm_mode_32 3
		.amdhsa_float_denorm_mode_16_64 3
		.amdhsa_dx10_clamp 1
		.amdhsa_ieee_mode 1
		.amdhsa_fp16_overflow 0
		.amdhsa_exception_fp_ieee_invalid_op 0
		.amdhsa_exception_fp_denorm_src 0
		.amdhsa_exception_fp_ieee_div_zero 0
		.amdhsa_exception_fp_ieee_overflow 0
		.amdhsa_exception_fp_ieee_underflow 0
		.amdhsa_exception_fp_ieee_inexact 0
		.amdhsa_exception_int_div_zero 0
	.end_amdhsa_kernel
	.section	.text._ZN7rocprim17ROCPRIM_400000_NS6detail17trampoline_kernelINS0_14default_configENS1_22reduce_config_selectorIiEEZNS1_11reduce_implILb1ES3_N6thrust23THRUST_200600_302600_NS11hip_rocprim35transform_pair_of_input_iterators_tIiPN3c108BFloat16ESD_NS8_12not_equal_toISC_EEEEPiiNS8_4plusIiEEEE10hipError_tPvRmT1_T2_T3_mT4_P12ihipStream_tbEUlT_E1_NS1_11comp_targetILNS1_3genE4ELNS1_11target_archE910ELNS1_3gpuE8ELNS1_3repE0EEENS1_30default_config_static_selectorELNS0_4arch9wavefront6targetE1EEEvSN_,"axG",@progbits,_ZN7rocprim17ROCPRIM_400000_NS6detail17trampoline_kernelINS0_14default_configENS1_22reduce_config_selectorIiEEZNS1_11reduce_implILb1ES3_N6thrust23THRUST_200600_302600_NS11hip_rocprim35transform_pair_of_input_iterators_tIiPN3c108BFloat16ESD_NS8_12not_equal_toISC_EEEEPiiNS8_4plusIiEEEE10hipError_tPvRmT1_T2_T3_mT4_P12ihipStream_tbEUlT_E1_NS1_11comp_targetILNS1_3genE4ELNS1_11target_archE910ELNS1_3gpuE8ELNS1_3repE0EEENS1_30default_config_static_selectorELNS0_4arch9wavefront6targetE1EEEvSN_,comdat
.Lfunc_end2045:
	.size	_ZN7rocprim17ROCPRIM_400000_NS6detail17trampoline_kernelINS0_14default_configENS1_22reduce_config_selectorIiEEZNS1_11reduce_implILb1ES3_N6thrust23THRUST_200600_302600_NS11hip_rocprim35transform_pair_of_input_iterators_tIiPN3c108BFloat16ESD_NS8_12not_equal_toISC_EEEEPiiNS8_4plusIiEEEE10hipError_tPvRmT1_T2_T3_mT4_P12ihipStream_tbEUlT_E1_NS1_11comp_targetILNS1_3genE4ELNS1_11target_archE910ELNS1_3gpuE8ELNS1_3repE0EEENS1_30default_config_static_selectorELNS0_4arch9wavefront6targetE1EEEvSN_, .Lfunc_end2045-_ZN7rocprim17ROCPRIM_400000_NS6detail17trampoline_kernelINS0_14default_configENS1_22reduce_config_selectorIiEEZNS1_11reduce_implILb1ES3_N6thrust23THRUST_200600_302600_NS11hip_rocprim35transform_pair_of_input_iterators_tIiPN3c108BFloat16ESD_NS8_12not_equal_toISC_EEEEPiiNS8_4plusIiEEEE10hipError_tPvRmT1_T2_T3_mT4_P12ihipStream_tbEUlT_E1_NS1_11comp_targetILNS1_3genE4ELNS1_11target_archE910ELNS1_3gpuE8ELNS1_3repE0EEENS1_30default_config_static_selectorELNS0_4arch9wavefront6targetE1EEEvSN_
                                        ; -- End function
	.set _ZN7rocprim17ROCPRIM_400000_NS6detail17trampoline_kernelINS0_14default_configENS1_22reduce_config_selectorIiEEZNS1_11reduce_implILb1ES3_N6thrust23THRUST_200600_302600_NS11hip_rocprim35transform_pair_of_input_iterators_tIiPN3c108BFloat16ESD_NS8_12not_equal_toISC_EEEEPiiNS8_4plusIiEEEE10hipError_tPvRmT1_T2_T3_mT4_P12ihipStream_tbEUlT_E1_NS1_11comp_targetILNS1_3genE4ELNS1_11target_archE910ELNS1_3gpuE8ELNS1_3repE0EEENS1_30default_config_static_selectorELNS0_4arch9wavefront6targetE1EEEvSN_.num_vgpr, 0
	.set _ZN7rocprim17ROCPRIM_400000_NS6detail17trampoline_kernelINS0_14default_configENS1_22reduce_config_selectorIiEEZNS1_11reduce_implILb1ES3_N6thrust23THRUST_200600_302600_NS11hip_rocprim35transform_pair_of_input_iterators_tIiPN3c108BFloat16ESD_NS8_12not_equal_toISC_EEEEPiiNS8_4plusIiEEEE10hipError_tPvRmT1_T2_T3_mT4_P12ihipStream_tbEUlT_E1_NS1_11comp_targetILNS1_3genE4ELNS1_11target_archE910ELNS1_3gpuE8ELNS1_3repE0EEENS1_30default_config_static_selectorELNS0_4arch9wavefront6targetE1EEEvSN_.num_agpr, 0
	.set _ZN7rocprim17ROCPRIM_400000_NS6detail17trampoline_kernelINS0_14default_configENS1_22reduce_config_selectorIiEEZNS1_11reduce_implILb1ES3_N6thrust23THRUST_200600_302600_NS11hip_rocprim35transform_pair_of_input_iterators_tIiPN3c108BFloat16ESD_NS8_12not_equal_toISC_EEEEPiiNS8_4plusIiEEEE10hipError_tPvRmT1_T2_T3_mT4_P12ihipStream_tbEUlT_E1_NS1_11comp_targetILNS1_3genE4ELNS1_11target_archE910ELNS1_3gpuE8ELNS1_3repE0EEENS1_30default_config_static_selectorELNS0_4arch9wavefront6targetE1EEEvSN_.numbered_sgpr, 0
	.set _ZN7rocprim17ROCPRIM_400000_NS6detail17trampoline_kernelINS0_14default_configENS1_22reduce_config_selectorIiEEZNS1_11reduce_implILb1ES3_N6thrust23THRUST_200600_302600_NS11hip_rocprim35transform_pair_of_input_iterators_tIiPN3c108BFloat16ESD_NS8_12not_equal_toISC_EEEEPiiNS8_4plusIiEEEE10hipError_tPvRmT1_T2_T3_mT4_P12ihipStream_tbEUlT_E1_NS1_11comp_targetILNS1_3genE4ELNS1_11target_archE910ELNS1_3gpuE8ELNS1_3repE0EEENS1_30default_config_static_selectorELNS0_4arch9wavefront6targetE1EEEvSN_.num_named_barrier, 0
	.set _ZN7rocprim17ROCPRIM_400000_NS6detail17trampoline_kernelINS0_14default_configENS1_22reduce_config_selectorIiEEZNS1_11reduce_implILb1ES3_N6thrust23THRUST_200600_302600_NS11hip_rocprim35transform_pair_of_input_iterators_tIiPN3c108BFloat16ESD_NS8_12not_equal_toISC_EEEEPiiNS8_4plusIiEEEE10hipError_tPvRmT1_T2_T3_mT4_P12ihipStream_tbEUlT_E1_NS1_11comp_targetILNS1_3genE4ELNS1_11target_archE910ELNS1_3gpuE8ELNS1_3repE0EEENS1_30default_config_static_selectorELNS0_4arch9wavefront6targetE1EEEvSN_.private_seg_size, 0
	.set _ZN7rocprim17ROCPRIM_400000_NS6detail17trampoline_kernelINS0_14default_configENS1_22reduce_config_selectorIiEEZNS1_11reduce_implILb1ES3_N6thrust23THRUST_200600_302600_NS11hip_rocprim35transform_pair_of_input_iterators_tIiPN3c108BFloat16ESD_NS8_12not_equal_toISC_EEEEPiiNS8_4plusIiEEEE10hipError_tPvRmT1_T2_T3_mT4_P12ihipStream_tbEUlT_E1_NS1_11comp_targetILNS1_3genE4ELNS1_11target_archE910ELNS1_3gpuE8ELNS1_3repE0EEENS1_30default_config_static_selectorELNS0_4arch9wavefront6targetE1EEEvSN_.uses_vcc, 0
	.set _ZN7rocprim17ROCPRIM_400000_NS6detail17trampoline_kernelINS0_14default_configENS1_22reduce_config_selectorIiEEZNS1_11reduce_implILb1ES3_N6thrust23THRUST_200600_302600_NS11hip_rocprim35transform_pair_of_input_iterators_tIiPN3c108BFloat16ESD_NS8_12not_equal_toISC_EEEEPiiNS8_4plusIiEEEE10hipError_tPvRmT1_T2_T3_mT4_P12ihipStream_tbEUlT_E1_NS1_11comp_targetILNS1_3genE4ELNS1_11target_archE910ELNS1_3gpuE8ELNS1_3repE0EEENS1_30default_config_static_selectorELNS0_4arch9wavefront6targetE1EEEvSN_.uses_flat_scratch, 0
	.set _ZN7rocprim17ROCPRIM_400000_NS6detail17trampoline_kernelINS0_14default_configENS1_22reduce_config_selectorIiEEZNS1_11reduce_implILb1ES3_N6thrust23THRUST_200600_302600_NS11hip_rocprim35transform_pair_of_input_iterators_tIiPN3c108BFloat16ESD_NS8_12not_equal_toISC_EEEEPiiNS8_4plusIiEEEE10hipError_tPvRmT1_T2_T3_mT4_P12ihipStream_tbEUlT_E1_NS1_11comp_targetILNS1_3genE4ELNS1_11target_archE910ELNS1_3gpuE8ELNS1_3repE0EEENS1_30default_config_static_selectorELNS0_4arch9wavefront6targetE1EEEvSN_.has_dyn_sized_stack, 0
	.set _ZN7rocprim17ROCPRIM_400000_NS6detail17trampoline_kernelINS0_14default_configENS1_22reduce_config_selectorIiEEZNS1_11reduce_implILb1ES3_N6thrust23THRUST_200600_302600_NS11hip_rocprim35transform_pair_of_input_iterators_tIiPN3c108BFloat16ESD_NS8_12not_equal_toISC_EEEEPiiNS8_4plusIiEEEE10hipError_tPvRmT1_T2_T3_mT4_P12ihipStream_tbEUlT_E1_NS1_11comp_targetILNS1_3genE4ELNS1_11target_archE910ELNS1_3gpuE8ELNS1_3repE0EEENS1_30default_config_static_selectorELNS0_4arch9wavefront6targetE1EEEvSN_.has_recursion, 0
	.set _ZN7rocprim17ROCPRIM_400000_NS6detail17trampoline_kernelINS0_14default_configENS1_22reduce_config_selectorIiEEZNS1_11reduce_implILb1ES3_N6thrust23THRUST_200600_302600_NS11hip_rocprim35transform_pair_of_input_iterators_tIiPN3c108BFloat16ESD_NS8_12not_equal_toISC_EEEEPiiNS8_4plusIiEEEE10hipError_tPvRmT1_T2_T3_mT4_P12ihipStream_tbEUlT_E1_NS1_11comp_targetILNS1_3genE4ELNS1_11target_archE910ELNS1_3gpuE8ELNS1_3repE0EEENS1_30default_config_static_selectorELNS0_4arch9wavefront6targetE1EEEvSN_.has_indirect_call, 0
	.section	.AMDGPU.csdata,"",@progbits
; Kernel info:
; codeLenInByte = 0
; TotalNumSgprs: 4
; NumVgprs: 0
; ScratchSize: 0
; MemoryBound: 0
; FloatMode: 240
; IeeeMode: 1
; LDSByteSize: 0 bytes/workgroup (compile time only)
; SGPRBlocks: 0
; VGPRBlocks: 0
; NumSGPRsForWavesPerEU: 4
; NumVGPRsForWavesPerEU: 1
; Occupancy: 10
; WaveLimiterHint : 0
; COMPUTE_PGM_RSRC2:SCRATCH_EN: 0
; COMPUTE_PGM_RSRC2:USER_SGPR: 6
; COMPUTE_PGM_RSRC2:TRAP_HANDLER: 0
; COMPUTE_PGM_RSRC2:TGID_X_EN: 1
; COMPUTE_PGM_RSRC2:TGID_Y_EN: 0
; COMPUTE_PGM_RSRC2:TGID_Z_EN: 0
; COMPUTE_PGM_RSRC2:TIDIG_COMP_CNT: 0
	.section	.text._ZN7rocprim17ROCPRIM_400000_NS6detail17trampoline_kernelINS0_14default_configENS1_22reduce_config_selectorIiEEZNS1_11reduce_implILb1ES3_N6thrust23THRUST_200600_302600_NS11hip_rocprim35transform_pair_of_input_iterators_tIiPN3c108BFloat16ESD_NS8_12not_equal_toISC_EEEEPiiNS8_4plusIiEEEE10hipError_tPvRmT1_T2_T3_mT4_P12ihipStream_tbEUlT_E1_NS1_11comp_targetILNS1_3genE3ELNS1_11target_archE908ELNS1_3gpuE7ELNS1_3repE0EEENS1_30default_config_static_selectorELNS0_4arch9wavefront6targetE1EEEvSN_,"axG",@progbits,_ZN7rocprim17ROCPRIM_400000_NS6detail17trampoline_kernelINS0_14default_configENS1_22reduce_config_selectorIiEEZNS1_11reduce_implILb1ES3_N6thrust23THRUST_200600_302600_NS11hip_rocprim35transform_pair_of_input_iterators_tIiPN3c108BFloat16ESD_NS8_12not_equal_toISC_EEEEPiiNS8_4plusIiEEEE10hipError_tPvRmT1_T2_T3_mT4_P12ihipStream_tbEUlT_E1_NS1_11comp_targetILNS1_3genE3ELNS1_11target_archE908ELNS1_3gpuE7ELNS1_3repE0EEENS1_30default_config_static_selectorELNS0_4arch9wavefront6targetE1EEEvSN_,comdat
	.protected	_ZN7rocprim17ROCPRIM_400000_NS6detail17trampoline_kernelINS0_14default_configENS1_22reduce_config_selectorIiEEZNS1_11reduce_implILb1ES3_N6thrust23THRUST_200600_302600_NS11hip_rocprim35transform_pair_of_input_iterators_tIiPN3c108BFloat16ESD_NS8_12not_equal_toISC_EEEEPiiNS8_4plusIiEEEE10hipError_tPvRmT1_T2_T3_mT4_P12ihipStream_tbEUlT_E1_NS1_11comp_targetILNS1_3genE3ELNS1_11target_archE908ELNS1_3gpuE7ELNS1_3repE0EEENS1_30default_config_static_selectorELNS0_4arch9wavefront6targetE1EEEvSN_ ; -- Begin function _ZN7rocprim17ROCPRIM_400000_NS6detail17trampoline_kernelINS0_14default_configENS1_22reduce_config_selectorIiEEZNS1_11reduce_implILb1ES3_N6thrust23THRUST_200600_302600_NS11hip_rocprim35transform_pair_of_input_iterators_tIiPN3c108BFloat16ESD_NS8_12not_equal_toISC_EEEEPiiNS8_4plusIiEEEE10hipError_tPvRmT1_T2_T3_mT4_P12ihipStream_tbEUlT_E1_NS1_11comp_targetILNS1_3genE3ELNS1_11target_archE908ELNS1_3gpuE7ELNS1_3repE0EEENS1_30default_config_static_selectorELNS0_4arch9wavefront6targetE1EEEvSN_
	.globl	_ZN7rocprim17ROCPRIM_400000_NS6detail17trampoline_kernelINS0_14default_configENS1_22reduce_config_selectorIiEEZNS1_11reduce_implILb1ES3_N6thrust23THRUST_200600_302600_NS11hip_rocprim35transform_pair_of_input_iterators_tIiPN3c108BFloat16ESD_NS8_12not_equal_toISC_EEEEPiiNS8_4plusIiEEEE10hipError_tPvRmT1_T2_T3_mT4_P12ihipStream_tbEUlT_E1_NS1_11comp_targetILNS1_3genE3ELNS1_11target_archE908ELNS1_3gpuE7ELNS1_3repE0EEENS1_30default_config_static_selectorELNS0_4arch9wavefront6targetE1EEEvSN_
	.p2align	8
	.type	_ZN7rocprim17ROCPRIM_400000_NS6detail17trampoline_kernelINS0_14default_configENS1_22reduce_config_selectorIiEEZNS1_11reduce_implILb1ES3_N6thrust23THRUST_200600_302600_NS11hip_rocprim35transform_pair_of_input_iterators_tIiPN3c108BFloat16ESD_NS8_12not_equal_toISC_EEEEPiiNS8_4plusIiEEEE10hipError_tPvRmT1_T2_T3_mT4_P12ihipStream_tbEUlT_E1_NS1_11comp_targetILNS1_3genE3ELNS1_11target_archE908ELNS1_3gpuE7ELNS1_3repE0EEENS1_30default_config_static_selectorELNS0_4arch9wavefront6targetE1EEEvSN_,@function
_ZN7rocprim17ROCPRIM_400000_NS6detail17trampoline_kernelINS0_14default_configENS1_22reduce_config_selectorIiEEZNS1_11reduce_implILb1ES3_N6thrust23THRUST_200600_302600_NS11hip_rocprim35transform_pair_of_input_iterators_tIiPN3c108BFloat16ESD_NS8_12not_equal_toISC_EEEEPiiNS8_4plusIiEEEE10hipError_tPvRmT1_T2_T3_mT4_P12ihipStream_tbEUlT_E1_NS1_11comp_targetILNS1_3genE3ELNS1_11target_archE908ELNS1_3gpuE7ELNS1_3repE0EEENS1_30default_config_static_selectorELNS0_4arch9wavefront6targetE1EEEvSN_: ; @_ZN7rocprim17ROCPRIM_400000_NS6detail17trampoline_kernelINS0_14default_configENS1_22reduce_config_selectorIiEEZNS1_11reduce_implILb1ES3_N6thrust23THRUST_200600_302600_NS11hip_rocprim35transform_pair_of_input_iterators_tIiPN3c108BFloat16ESD_NS8_12not_equal_toISC_EEEEPiiNS8_4plusIiEEEE10hipError_tPvRmT1_T2_T3_mT4_P12ihipStream_tbEUlT_E1_NS1_11comp_targetILNS1_3genE3ELNS1_11target_archE908ELNS1_3gpuE7ELNS1_3repE0EEENS1_30default_config_static_selectorELNS0_4arch9wavefront6targetE1EEEvSN_
; %bb.0:
	.section	.rodata,"a",@progbits
	.p2align	6, 0x0
	.amdhsa_kernel _ZN7rocprim17ROCPRIM_400000_NS6detail17trampoline_kernelINS0_14default_configENS1_22reduce_config_selectorIiEEZNS1_11reduce_implILb1ES3_N6thrust23THRUST_200600_302600_NS11hip_rocprim35transform_pair_of_input_iterators_tIiPN3c108BFloat16ESD_NS8_12not_equal_toISC_EEEEPiiNS8_4plusIiEEEE10hipError_tPvRmT1_T2_T3_mT4_P12ihipStream_tbEUlT_E1_NS1_11comp_targetILNS1_3genE3ELNS1_11target_archE908ELNS1_3gpuE7ELNS1_3repE0EEENS1_30default_config_static_selectorELNS0_4arch9wavefront6targetE1EEEvSN_
		.amdhsa_group_segment_fixed_size 0
		.amdhsa_private_segment_fixed_size 0
		.amdhsa_kernarg_size 56
		.amdhsa_user_sgpr_count 6
		.amdhsa_user_sgpr_private_segment_buffer 1
		.amdhsa_user_sgpr_dispatch_ptr 0
		.amdhsa_user_sgpr_queue_ptr 0
		.amdhsa_user_sgpr_kernarg_segment_ptr 1
		.amdhsa_user_sgpr_dispatch_id 0
		.amdhsa_user_sgpr_flat_scratch_init 0
		.amdhsa_user_sgpr_private_segment_size 0
		.amdhsa_uses_dynamic_stack 0
		.amdhsa_system_sgpr_private_segment_wavefront_offset 0
		.amdhsa_system_sgpr_workgroup_id_x 1
		.amdhsa_system_sgpr_workgroup_id_y 0
		.amdhsa_system_sgpr_workgroup_id_z 0
		.amdhsa_system_sgpr_workgroup_info 0
		.amdhsa_system_vgpr_workitem_id 0
		.amdhsa_next_free_vgpr 1
		.amdhsa_next_free_sgpr 0
		.amdhsa_reserve_vcc 0
		.amdhsa_reserve_flat_scratch 0
		.amdhsa_float_round_mode_32 0
		.amdhsa_float_round_mode_16_64 0
		.amdhsa_float_denorm_mode_32 3
		.amdhsa_float_denorm_mode_16_64 3
		.amdhsa_dx10_clamp 1
		.amdhsa_ieee_mode 1
		.amdhsa_fp16_overflow 0
		.amdhsa_exception_fp_ieee_invalid_op 0
		.amdhsa_exception_fp_denorm_src 0
		.amdhsa_exception_fp_ieee_div_zero 0
		.amdhsa_exception_fp_ieee_overflow 0
		.amdhsa_exception_fp_ieee_underflow 0
		.amdhsa_exception_fp_ieee_inexact 0
		.amdhsa_exception_int_div_zero 0
	.end_amdhsa_kernel
	.section	.text._ZN7rocprim17ROCPRIM_400000_NS6detail17trampoline_kernelINS0_14default_configENS1_22reduce_config_selectorIiEEZNS1_11reduce_implILb1ES3_N6thrust23THRUST_200600_302600_NS11hip_rocprim35transform_pair_of_input_iterators_tIiPN3c108BFloat16ESD_NS8_12not_equal_toISC_EEEEPiiNS8_4plusIiEEEE10hipError_tPvRmT1_T2_T3_mT4_P12ihipStream_tbEUlT_E1_NS1_11comp_targetILNS1_3genE3ELNS1_11target_archE908ELNS1_3gpuE7ELNS1_3repE0EEENS1_30default_config_static_selectorELNS0_4arch9wavefront6targetE1EEEvSN_,"axG",@progbits,_ZN7rocprim17ROCPRIM_400000_NS6detail17trampoline_kernelINS0_14default_configENS1_22reduce_config_selectorIiEEZNS1_11reduce_implILb1ES3_N6thrust23THRUST_200600_302600_NS11hip_rocprim35transform_pair_of_input_iterators_tIiPN3c108BFloat16ESD_NS8_12not_equal_toISC_EEEEPiiNS8_4plusIiEEEE10hipError_tPvRmT1_T2_T3_mT4_P12ihipStream_tbEUlT_E1_NS1_11comp_targetILNS1_3genE3ELNS1_11target_archE908ELNS1_3gpuE7ELNS1_3repE0EEENS1_30default_config_static_selectorELNS0_4arch9wavefront6targetE1EEEvSN_,comdat
.Lfunc_end2046:
	.size	_ZN7rocprim17ROCPRIM_400000_NS6detail17trampoline_kernelINS0_14default_configENS1_22reduce_config_selectorIiEEZNS1_11reduce_implILb1ES3_N6thrust23THRUST_200600_302600_NS11hip_rocprim35transform_pair_of_input_iterators_tIiPN3c108BFloat16ESD_NS8_12not_equal_toISC_EEEEPiiNS8_4plusIiEEEE10hipError_tPvRmT1_T2_T3_mT4_P12ihipStream_tbEUlT_E1_NS1_11comp_targetILNS1_3genE3ELNS1_11target_archE908ELNS1_3gpuE7ELNS1_3repE0EEENS1_30default_config_static_selectorELNS0_4arch9wavefront6targetE1EEEvSN_, .Lfunc_end2046-_ZN7rocprim17ROCPRIM_400000_NS6detail17trampoline_kernelINS0_14default_configENS1_22reduce_config_selectorIiEEZNS1_11reduce_implILb1ES3_N6thrust23THRUST_200600_302600_NS11hip_rocprim35transform_pair_of_input_iterators_tIiPN3c108BFloat16ESD_NS8_12not_equal_toISC_EEEEPiiNS8_4plusIiEEEE10hipError_tPvRmT1_T2_T3_mT4_P12ihipStream_tbEUlT_E1_NS1_11comp_targetILNS1_3genE3ELNS1_11target_archE908ELNS1_3gpuE7ELNS1_3repE0EEENS1_30default_config_static_selectorELNS0_4arch9wavefront6targetE1EEEvSN_
                                        ; -- End function
	.set _ZN7rocprim17ROCPRIM_400000_NS6detail17trampoline_kernelINS0_14default_configENS1_22reduce_config_selectorIiEEZNS1_11reduce_implILb1ES3_N6thrust23THRUST_200600_302600_NS11hip_rocprim35transform_pair_of_input_iterators_tIiPN3c108BFloat16ESD_NS8_12not_equal_toISC_EEEEPiiNS8_4plusIiEEEE10hipError_tPvRmT1_T2_T3_mT4_P12ihipStream_tbEUlT_E1_NS1_11comp_targetILNS1_3genE3ELNS1_11target_archE908ELNS1_3gpuE7ELNS1_3repE0EEENS1_30default_config_static_selectorELNS0_4arch9wavefront6targetE1EEEvSN_.num_vgpr, 0
	.set _ZN7rocprim17ROCPRIM_400000_NS6detail17trampoline_kernelINS0_14default_configENS1_22reduce_config_selectorIiEEZNS1_11reduce_implILb1ES3_N6thrust23THRUST_200600_302600_NS11hip_rocprim35transform_pair_of_input_iterators_tIiPN3c108BFloat16ESD_NS8_12not_equal_toISC_EEEEPiiNS8_4plusIiEEEE10hipError_tPvRmT1_T2_T3_mT4_P12ihipStream_tbEUlT_E1_NS1_11comp_targetILNS1_3genE3ELNS1_11target_archE908ELNS1_3gpuE7ELNS1_3repE0EEENS1_30default_config_static_selectorELNS0_4arch9wavefront6targetE1EEEvSN_.num_agpr, 0
	.set _ZN7rocprim17ROCPRIM_400000_NS6detail17trampoline_kernelINS0_14default_configENS1_22reduce_config_selectorIiEEZNS1_11reduce_implILb1ES3_N6thrust23THRUST_200600_302600_NS11hip_rocprim35transform_pair_of_input_iterators_tIiPN3c108BFloat16ESD_NS8_12not_equal_toISC_EEEEPiiNS8_4plusIiEEEE10hipError_tPvRmT1_T2_T3_mT4_P12ihipStream_tbEUlT_E1_NS1_11comp_targetILNS1_3genE3ELNS1_11target_archE908ELNS1_3gpuE7ELNS1_3repE0EEENS1_30default_config_static_selectorELNS0_4arch9wavefront6targetE1EEEvSN_.numbered_sgpr, 0
	.set _ZN7rocprim17ROCPRIM_400000_NS6detail17trampoline_kernelINS0_14default_configENS1_22reduce_config_selectorIiEEZNS1_11reduce_implILb1ES3_N6thrust23THRUST_200600_302600_NS11hip_rocprim35transform_pair_of_input_iterators_tIiPN3c108BFloat16ESD_NS8_12not_equal_toISC_EEEEPiiNS8_4plusIiEEEE10hipError_tPvRmT1_T2_T3_mT4_P12ihipStream_tbEUlT_E1_NS1_11comp_targetILNS1_3genE3ELNS1_11target_archE908ELNS1_3gpuE7ELNS1_3repE0EEENS1_30default_config_static_selectorELNS0_4arch9wavefront6targetE1EEEvSN_.num_named_barrier, 0
	.set _ZN7rocprim17ROCPRIM_400000_NS6detail17trampoline_kernelINS0_14default_configENS1_22reduce_config_selectorIiEEZNS1_11reduce_implILb1ES3_N6thrust23THRUST_200600_302600_NS11hip_rocprim35transform_pair_of_input_iterators_tIiPN3c108BFloat16ESD_NS8_12not_equal_toISC_EEEEPiiNS8_4plusIiEEEE10hipError_tPvRmT1_T2_T3_mT4_P12ihipStream_tbEUlT_E1_NS1_11comp_targetILNS1_3genE3ELNS1_11target_archE908ELNS1_3gpuE7ELNS1_3repE0EEENS1_30default_config_static_selectorELNS0_4arch9wavefront6targetE1EEEvSN_.private_seg_size, 0
	.set _ZN7rocprim17ROCPRIM_400000_NS6detail17trampoline_kernelINS0_14default_configENS1_22reduce_config_selectorIiEEZNS1_11reduce_implILb1ES3_N6thrust23THRUST_200600_302600_NS11hip_rocprim35transform_pair_of_input_iterators_tIiPN3c108BFloat16ESD_NS8_12not_equal_toISC_EEEEPiiNS8_4plusIiEEEE10hipError_tPvRmT1_T2_T3_mT4_P12ihipStream_tbEUlT_E1_NS1_11comp_targetILNS1_3genE3ELNS1_11target_archE908ELNS1_3gpuE7ELNS1_3repE0EEENS1_30default_config_static_selectorELNS0_4arch9wavefront6targetE1EEEvSN_.uses_vcc, 0
	.set _ZN7rocprim17ROCPRIM_400000_NS6detail17trampoline_kernelINS0_14default_configENS1_22reduce_config_selectorIiEEZNS1_11reduce_implILb1ES3_N6thrust23THRUST_200600_302600_NS11hip_rocprim35transform_pair_of_input_iterators_tIiPN3c108BFloat16ESD_NS8_12not_equal_toISC_EEEEPiiNS8_4plusIiEEEE10hipError_tPvRmT1_T2_T3_mT4_P12ihipStream_tbEUlT_E1_NS1_11comp_targetILNS1_3genE3ELNS1_11target_archE908ELNS1_3gpuE7ELNS1_3repE0EEENS1_30default_config_static_selectorELNS0_4arch9wavefront6targetE1EEEvSN_.uses_flat_scratch, 0
	.set _ZN7rocprim17ROCPRIM_400000_NS6detail17trampoline_kernelINS0_14default_configENS1_22reduce_config_selectorIiEEZNS1_11reduce_implILb1ES3_N6thrust23THRUST_200600_302600_NS11hip_rocprim35transform_pair_of_input_iterators_tIiPN3c108BFloat16ESD_NS8_12not_equal_toISC_EEEEPiiNS8_4plusIiEEEE10hipError_tPvRmT1_T2_T3_mT4_P12ihipStream_tbEUlT_E1_NS1_11comp_targetILNS1_3genE3ELNS1_11target_archE908ELNS1_3gpuE7ELNS1_3repE0EEENS1_30default_config_static_selectorELNS0_4arch9wavefront6targetE1EEEvSN_.has_dyn_sized_stack, 0
	.set _ZN7rocprim17ROCPRIM_400000_NS6detail17trampoline_kernelINS0_14default_configENS1_22reduce_config_selectorIiEEZNS1_11reduce_implILb1ES3_N6thrust23THRUST_200600_302600_NS11hip_rocprim35transform_pair_of_input_iterators_tIiPN3c108BFloat16ESD_NS8_12not_equal_toISC_EEEEPiiNS8_4plusIiEEEE10hipError_tPvRmT1_T2_T3_mT4_P12ihipStream_tbEUlT_E1_NS1_11comp_targetILNS1_3genE3ELNS1_11target_archE908ELNS1_3gpuE7ELNS1_3repE0EEENS1_30default_config_static_selectorELNS0_4arch9wavefront6targetE1EEEvSN_.has_recursion, 0
	.set _ZN7rocprim17ROCPRIM_400000_NS6detail17trampoline_kernelINS0_14default_configENS1_22reduce_config_selectorIiEEZNS1_11reduce_implILb1ES3_N6thrust23THRUST_200600_302600_NS11hip_rocprim35transform_pair_of_input_iterators_tIiPN3c108BFloat16ESD_NS8_12not_equal_toISC_EEEEPiiNS8_4plusIiEEEE10hipError_tPvRmT1_T2_T3_mT4_P12ihipStream_tbEUlT_E1_NS1_11comp_targetILNS1_3genE3ELNS1_11target_archE908ELNS1_3gpuE7ELNS1_3repE0EEENS1_30default_config_static_selectorELNS0_4arch9wavefront6targetE1EEEvSN_.has_indirect_call, 0
	.section	.AMDGPU.csdata,"",@progbits
; Kernel info:
; codeLenInByte = 0
; TotalNumSgprs: 4
; NumVgprs: 0
; ScratchSize: 0
; MemoryBound: 0
; FloatMode: 240
; IeeeMode: 1
; LDSByteSize: 0 bytes/workgroup (compile time only)
; SGPRBlocks: 0
; VGPRBlocks: 0
; NumSGPRsForWavesPerEU: 4
; NumVGPRsForWavesPerEU: 1
; Occupancy: 10
; WaveLimiterHint : 0
; COMPUTE_PGM_RSRC2:SCRATCH_EN: 0
; COMPUTE_PGM_RSRC2:USER_SGPR: 6
; COMPUTE_PGM_RSRC2:TRAP_HANDLER: 0
; COMPUTE_PGM_RSRC2:TGID_X_EN: 1
; COMPUTE_PGM_RSRC2:TGID_Y_EN: 0
; COMPUTE_PGM_RSRC2:TGID_Z_EN: 0
; COMPUTE_PGM_RSRC2:TIDIG_COMP_CNT: 0
	.section	.text._ZN7rocprim17ROCPRIM_400000_NS6detail17trampoline_kernelINS0_14default_configENS1_22reduce_config_selectorIiEEZNS1_11reduce_implILb1ES3_N6thrust23THRUST_200600_302600_NS11hip_rocprim35transform_pair_of_input_iterators_tIiPN3c108BFloat16ESD_NS8_12not_equal_toISC_EEEEPiiNS8_4plusIiEEEE10hipError_tPvRmT1_T2_T3_mT4_P12ihipStream_tbEUlT_E1_NS1_11comp_targetILNS1_3genE2ELNS1_11target_archE906ELNS1_3gpuE6ELNS1_3repE0EEENS1_30default_config_static_selectorELNS0_4arch9wavefront6targetE1EEEvSN_,"axG",@progbits,_ZN7rocprim17ROCPRIM_400000_NS6detail17trampoline_kernelINS0_14default_configENS1_22reduce_config_selectorIiEEZNS1_11reduce_implILb1ES3_N6thrust23THRUST_200600_302600_NS11hip_rocprim35transform_pair_of_input_iterators_tIiPN3c108BFloat16ESD_NS8_12not_equal_toISC_EEEEPiiNS8_4plusIiEEEE10hipError_tPvRmT1_T2_T3_mT4_P12ihipStream_tbEUlT_E1_NS1_11comp_targetILNS1_3genE2ELNS1_11target_archE906ELNS1_3gpuE6ELNS1_3repE0EEENS1_30default_config_static_selectorELNS0_4arch9wavefront6targetE1EEEvSN_,comdat
	.protected	_ZN7rocprim17ROCPRIM_400000_NS6detail17trampoline_kernelINS0_14default_configENS1_22reduce_config_selectorIiEEZNS1_11reduce_implILb1ES3_N6thrust23THRUST_200600_302600_NS11hip_rocprim35transform_pair_of_input_iterators_tIiPN3c108BFloat16ESD_NS8_12not_equal_toISC_EEEEPiiNS8_4plusIiEEEE10hipError_tPvRmT1_T2_T3_mT4_P12ihipStream_tbEUlT_E1_NS1_11comp_targetILNS1_3genE2ELNS1_11target_archE906ELNS1_3gpuE6ELNS1_3repE0EEENS1_30default_config_static_selectorELNS0_4arch9wavefront6targetE1EEEvSN_ ; -- Begin function _ZN7rocprim17ROCPRIM_400000_NS6detail17trampoline_kernelINS0_14default_configENS1_22reduce_config_selectorIiEEZNS1_11reduce_implILb1ES3_N6thrust23THRUST_200600_302600_NS11hip_rocprim35transform_pair_of_input_iterators_tIiPN3c108BFloat16ESD_NS8_12not_equal_toISC_EEEEPiiNS8_4plusIiEEEE10hipError_tPvRmT1_T2_T3_mT4_P12ihipStream_tbEUlT_E1_NS1_11comp_targetILNS1_3genE2ELNS1_11target_archE906ELNS1_3gpuE6ELNS1_3repE0EEENS1_30default_config_static_selectorELNS0_4arch9wavefront6targetE1EEEvSN_
	.globl	_ZN7rocprim17ROCPRIM_400000_NS6detail17trampoline_kernelINS0_14default_configENS1_22reduce_config_selectorIiEEZNS1_11reduce_implILb1ES3_N6thrust23THRUST_200600_302600_NS11hip_rocprim35transform_pair_of_input_iterators_tIiPN3c108BFloat16ESD_NS8_12not_equal_toISC_EEEEPiiNS8_4plusIiEEEE10hipError_tPvRmT1_T2_T3_mT4_P12ihipStream_tbEUlT_E1_NS1_11comp_targetILNS1_3genE2ELNS1_11target_archE906ELNS1_3gpuE6ELNS1_3repE0EEENS1_30default_config_static_selectorELNS0_4arch9wavefront6targetE1EEEvSN_
	.p2align	8
	.type	_ZN7rocprim17ROCPRIM_400000_NS6detail17trampoline_kernelINS0_14default_configENS1_22reduce_config_selectorIiEEZNS1_11reduce_implILb1ES3_N6thrust23THRUST_200600_302600_NS11hip_rocprim35transform_pair_of_input_iterators_tIiPN3c108BFloat16ESD_NS8_12not_equal_toISC_EEEEPiiNS8_4plusIiEEEE10hipError_tPvRmT1_T2_T3_mT4_P12ihipStream_tbEUlT_E1_NS1_11comp_targetILNS1_3genE2ELNS1_11target_archE906ELNS1_3gpuE6ELNS1_3repE0EEENS1_30default_config_static_selectorELNS0_4arch9wavefront6targetE1EEEvSN_,@function
_ZN7rocprim17ROCPRIM_400000_NS6detail17trampoline_kernelINS0_14default_configENS1_22reduce_config_selectorIiEEZNS1_11reduce_implILb1ES3_N6thrust23THRUST_200600_302600_NS11hip_rocprim35transform_pair_of_input_iterators_tIiPN3c108BFloat16ESD_NS8_12not_equal_toISC_EEEEPiiNS8_4plusIiEEEE10hipError_tPvRmT1_T2_T3_mT4_P12ihipStream_tbEUlT_E1_NS1_11comp_targetILNS1_3genE2ELNS1_11target_archE906ELNS1_3gpuE6ELNS1_3repE0EEENS1_30default_config_static_selectorELNS0_4arch9wavefront6targetE1EEEvSN_: ; @_ZN7rocprim17ROCPRIM_400000_NS6detail17trampoline_kernelINS0_14default_configENS1_22reduce_config_selectorIiEEZNS1_11reduce_implILb1ES3_N6thrust23THRUST_200600_302600_NS11hip_rocprim35transform_pair_of_input_iterators_tIiPN3c108BFloat16ESD_NS8_12not_equal_toISC_EEEEPiiNS8_4plusIiEEEE10hipError_tPvRmT1_T2_T3_mT4_P12ihipStream_tbEUlT_E1_NS1_11comp_targetILNS1_3genE2ELNS1_11target_archE906ELNS1_3gpuE6ELNS1_3repE0EEENS1_30default_config_static_selectorELNS0_4arch9wavefront6targetE1EEEvSN_
; %bb.0:
	s_load_dword s33, s[4:5], 0x4
	s_load_dwordx4 s[40:43], s[4:5], 0x8
	s_load_dwordx4 s[36:39], s[4:5], 0x20
	s_waitcnt lgkmcnt(0)
	s_cmp_lt_i32 s33, 8
	s_cbranch_scc1 .LBB2047_11
; %bb.1:
	s_cmp_gt_i32 s33, 15
	s_cbranch_scc0 .LBB2047_12
; %bb.2:
	s_cmp_gt_i32 s33, 31
	s_cbranch_scc0 .LBB2047_13
; %bb.3:
	s_cmp_eq_u32 s33, 32
	s_mov_b64 s[44:45], 0
	s_cbranch_scc0 .LBB2047_14
; %bb.4:
	s_mov_b32 s7, 0
	s_lshl_b32 s50, s6, 13
	s_mov_b32 s51, s7
	s_lshr_b64 s[0:1], s[36:37], 13
	s_lshl_b64 s[2:3], s[50:51], 1
	s_add_u32 s46, s40, s2
	s_addc_u32 s47, s41, s3
	s_add_u32 s48, s42, s2
	s_addc_u32 s49, s43, s3
	s_cmp_lg_u64 s[0:1], s[6:7]
	s_cbranch_scc0 .LBB2047_23
; %bb.5:
	v_lshlrev_b32_e32 v1, 1, v0
	v_add_co_u32_e32 v10, vcc, s46, v1
	v_mov_b32_e32 v2, s47
	v_addc_co_u32_e32 v14, vcc, 0, v2, vcc
	v_add_co_u32_e32 v19, vcc, s48, v1
	v_mov_b32_e32 v2, s49
	v_addc_co_u32_e32 v20, vcc, 0, v2, vcc
	global_load_ushort v2, v1, s[46:47]
	global_load_ushort v3, v1, s[48:49]
	s_movk_i32 s0, 0x1000
	s_movk_i32 s1, 0x2000
	;; [unrolled: 1-line block ×3, first 2 shown]
	s_waitcnt vmcnt(1)
	v_lshlrev_b32_e32 v2, 16, v2
	s_waitcnt vmcnt(0)
	v_lshlrev_b32_e32 v3, 16, v3
	v_cmp_neq_f32_e32 vcc, v2, v3
	global_load_ushort v2, v1, s[46:47] offset:512
	global_load_ushort v3, v1, s[48:49] offset:512
	v_cndmask_b32_e64 v6, 0, 1, vcc
	s_waitcnt vmcnt(1)
	v_lshlrev_b32_e32 v2, 16, v2
	s_waitcnt vmcnt(0)
	v_lshlrev_b32_e32 v3, 16, v3
	v_cmp_neq_f32_e64 s[14:15], v2, v3
	global_load_ushort v2, v1, s[46:47] offset:1024
	global_load_ushort v3, v1, s[48:49] offset:1024
	v_addc_co_u32_e64 v6, s[14:15], 0, v6, s[14:15]
	s_waitcnt vmcnt(1)
	v_lshlrev_b32_e32 v2, 16, v2
	s_waitcnt vmcnt(0)
	v_lshlrev_b32_e32 v3, 16, v3
	v_cmp_neq_f32_e32 vcc, v2, v3
	global_load_ushort v2, v1, s[46:47] offset:1536
	global_load_ushort v3, v1, s[48:49] offset:1536
	v_cndmask_b32_e64 v11, 0, 1, vcc
	s_waitcnt vmcnt(1)
	v_lshlrev_b32_e32 v2, 16, v2
	s_waitcnt vmcnt(0)
	v_lshlrev_b32_e32 v3, 16, v3
	v_cmp_neq_f32_e64 s[24:25], v2, v3
	global_load_ushort v2, v1, s[46:47] offset:2048
	global_load_ushort v3, v1, s[48:49] offset:2048
	v_addc_co_u32_e64 v6, s[14:15], v6, v11, s[24:25]
	;; [unrolled: 16-line block ×3, first 2 shown]
	s_waitcnt vmcnt(1)
	v_lshlrev_b32_e32 v2, 16, v2
	s_waitcnt vmcnt(0)
	v_lshlrev_b32_e32 v3, 16, v3
	v_cmp_neq_f32_e32 vcc, v2, v3
	global_load_ushort v2, v1, s[46:47] offset:3584
	global_load_ushort v3, v1, s[48:49] offset:3584
	v_cndmask_b32_e64 v9, 0, 1, vcc
	v_add_co_u32_e32 v4, vcc, s0, v10
	v_addc_co_u32_e32 v5, vcc, 0, v14, vcc
	v_add_co_u32_e32 v12, vcc, s1, v10
	v_addc_co_u32_e32 v13, vcc, 0, v14, vcc
	;; [unrolled: 2-line block ×4, first 2 shown]
	s_waitcnt vmcnt(1)
	v_lshlrev_b32_e32 v2, 16, v2
	s_waitcnt vmcnt(0)
	v_lshlrev_b32_e32 v1, 16, v3
	v_cmp_neq_f32_e64 s[22:23], v2, v1
	global_load_ushort v1, v[12:13], off offset:-4096
	global_load_ushort v2, v[17:18], off offset:-4096
	v_addc_co_u32_e64 v6, s[14:15], v6, v9, s[22:23]
	s_waitcnt vmcnt(1)
	v_lshlrev_b32_e32 v1, 16, v1
	s_waitcnt vmcnt(0)
	v_lshlrev_b32_e32 v2, 16, v2
	v_cmp_neq_f32_e32 vcc, v1, v2
	global_load_ushort v1, v[4:5], off offset:512
	global_load_ushort v2, v[7:8], off offset:512
	v_cndmask_b32_e64 v16, 0, 1, vcc
	s_waitcnt vmcnt(1)
	v_lshlrev_b32_e32 v1, 16, v1
	s_waitcnt vmcnt(0)
	v_lshlrev_b32_e32 v2, 16, v2
	v_cmp_neq_f32_e64 s[34:35], v1, v2
	global_load_ushort v1, v[4:5], off offset:1024
	global_load_ushort v2, v[7:8], off offset:1024
	v_addc_co_u32_e64 v6, s[14:15], v6, v16, s[34:35]
	s_waitcnt vmcnt(1)
	v_lshlrev_b32_e32 v1, 16, v1
	s_waitcnt vmcnt(0)
	v_lshlrev_b32_e32 v2, 16, v2
	v_cmp_neq_f32_e32 vcc, v1, v2
	global_load_ushort v2, v[4:5], off offset:1536
	global_load_ushort v3, v[7:8], off offset:1536
	v_cndmask_b32_e64 v1, 0, 1, vcc
	s_waitcnt vmcnt(1)
	v_lshlrev_b32_e32 v2, 16, v2
	s_waitcnt vmcnt(0)
	v_lshlrev_b32_e32 v3, 16, v3
	v_cmp_neq_f32_e32 vcc, v2, v3
	global_load_ushort v2, v[4:5], off offset:2048
	global_load_ushort v3, v[7:8], off offset:2048
	v_addc_co_u32_e32 v1, vcc, v6, v1, vcc
	s_waitcnt vmcnt(1)
	v_lshlrev_b32_e32 v2, 16, v2
	s_waitcnt vmcnt(0)
	v_lshlrev_b32_e32 v3, 16, v3
	v_cmp_neq_f32_e64 s[0:1], v2, v3
	global_load_ushort v3, v[4:5], off offset:2560
	global_load_ushort v21, v[7:8], off offset:2560
	v_cndmask_b32_e64 v2, 0, 1, s[0:1]
	s_waitcnt vmcnt(1)
	v_lshlrev_b32_e32 v3, 16, v3
	s_waitcnt vmcnt(0)
	v_lshlrev_b32_e32 v21, 16, v21
	v_cmp_neq_f32_e64 s[0:1], v3, v21
	global_load_ushort v3, v[4:5], off offset:3072
	global_load_ushort v21, v[7:8], off offset:3072
	v_addc_co_u32_e64 v1, vcc, v1, v2, s[0:1]
	v_mbcnt_lo_u32_b32 v2, -1, 0
	v_mbcnt_hi_u32_b32 v2, -1, v2
	s_waitcnt vmcnt(1)
	v_lshlrev_b32_e32 v3, 16, v3
	s_waitcnt vmcnt(0)
	v_lshlrev_b32_e32 v21, 16, v21
	v_cmp_neq_f32_e64 s[2:3], v3, v21
	global_load_ushort v21, v[4:5], off offset:3584
	global_load_ushort v22, v[7:8], off offset:3584
	v_cndmask_b32_e64 v3, 0, 1, s[2:3]
	s_waitcnt vmcnt(1)
	v_lshlrev_b32_e32 v5, 16, v21
	s_waitcnt vmcnt(0)
	v_lshlrev_b32_e32 v4, 16, v22
	v_cmp_neq_f32_e64 s[2:3], v5, v4
	global_load_ushort v4, v[12:13], off
	global_load_ushort v5, v[17:18], off
	v_addc_co_u32_e64 v1, vcc, v1, v3, s[2:3]
	v_lshlrev_b32_e32 v3, 2, v2
	s_waitcnt vmcnt(1)
	v_lshlrev_b32_e32 v4, 16, v4
	s_waitcnt vmcnt(0)
	v_lshlrev_b32_e32 v5, 16, v5
	v_cmp_neq_f32_e64 s[8:9], v4, v5
	global_load_ushort v5, v[12:13], off offset:512
	global_load_ushort v7, v[17:18], off offset:512
	v_cndmask_b32_e64 v4, 0, 1, s[8:9]
	s_waitcnt vmcnt(1)
	v_lshlrev_b32_e32 v5, 16, v5
	s_waitcnt vmcnt(0)
	v_lshlrev_b32_e32 v7, 16, v7
	v_cmp_neq_f32_e64 s[8:9], v5, v7
	global_load_ushort v5, v[12:13], off offset:1024
	global_load_ushort v7, v[17:18], off offset:1024
	v_addc_co_u32_e64 v1, vcc, v1, v4, s[8:9]
	v_or_b32_e32 v4, 0xfc, v3
	s_waitcnt vmcnt(1)
	v_lshlrev_b32_e32 v5, 16, v5
	s_waitcnt vmcnt(0)
	v_lshlrev_b32_e32 v7, 16, v7
	v_cmp_neq_f32_e64 s[10:11], v5, v7
	global_load_ushort v7, v[12:13], off offset:1536
	global_load_ushort v8, v[17:18], off offset:1536
	v_cndmask_b32_e64 v5, 0, 1, s[10:11]
	s_waitcnt vmcnt(1)
	v_lshlrev_b32_e32 v7, 16, v7
	s_waitcnt vmcnt(0)
	v_lshlrev_b32_e32 v8, 16, v8
	v_cmp_neq_f32_e64 s[10:11], v7, v8
	global_load_ushort v7, v[12:13], off offset:2048
	global_load_ushort v8, v[17:18], off offset:2048
	v_addc_co_u32_e64 v1, vcc, v1, v5, s[10:11]
	s_waitcnt vmcnt(1)
	v_lshlrev_b32_e32 v7, 16, v7
	s_waitcnt vmcnt(0)
	v_lshlrev_b32_e32 v8, 16, v8
	v_cmp_neq_f32_e64 s[12:13], v7, v8
	global_load_ushort v8, v[12:13], off offset:2560
	global_load_ushort v21, v[17:18], off offset:2560
	v_cndmask_b32_e64 v7, 0, 1, s[12:13]
	s_waitcnt vmcnt(1)
	v_lshlrev_b32_e32 v8, 16, v8
	s_waitcnt vmcnt(0)
	v_lshlrev_b32_e32 v21, 16, v21
	v_cmp_neq_f32_e64 s[12:13], v8, v21
	global_load_ushort v8, v[12:13], off offset:3072
	global_load_ushort v21, v[17:18], off offset:3072
	v_addc_co_u32_e64 v1, vcc, v1, v7, s[12:13]
	s_waitcnt vmcnt(1)
	v_lshlrev_b32_e32 v8, 16, v8
	s_waitcnt vmcnt(0)
	v_lshlrev_b32_e32 v21, 16, v21
	v_cmp_neq_f32_e64 s[16:17], v8, v21
	global_load_ushort v21, v[12:13], off offset:3584
	global_load_ushort v22, v[17:18], off offset:3584
	v_add_co_u32_e64 v17, s[18:19], s20, v10
	v_addc_co_u32_e64 v18, s[18:19], 0, v14, s[18:19]
	v_add_co_u32_e64 v19, s[18:19], s20, v19
	v_addc_co_u32_e64 v20, s[18:19], 0, v20, s[18:19]
	v_cndmask_b32_e64 v8, 0, 1, s[16:17]
	global_load_ushort v10, v[17:18], off
	s_waitcnt vmcnt(2)
	v_lshlrev_b32_e32 v13, 16, v21
	s_waitcnt vmcnt(1)
	v_lshlrev_b32_e32 v12, 16, v22
	v_cmp_neq_f32_e64 s[16:17], v13, v12
	global_load_ushort v12, v[19:20], off
	v_addc_co_u32_e64 v1, vcc, v1, v8, s[16:17]
	s_waitcnt vmcnt(1)
	v_lshlrev_b32_e32 v10, 16, v10
	s_waitcnt vmcnt(0)
	v_lshlrev_b32_e32 v12, 16, v12
	v_cmp_neq_f32_e64 s[18:19], v10, v12
	global_load_ushort v12, v[17:18], off offset:512
	global_load_ushort v13, v[19:20], off offset:512
	v_cndmask_b32_e64 v10, 0, 1, s[18:19]
	s_waitcnt vmcnt(1)
	v_lshlrev_b32_e32 v12, 16, v12
	s_waitcnt vmcnt(0)
	v_lshlrev_b32_e32 v13, 16, v13
	v_cmp_neq_f32_e64 s[18:19], v12, v13
	global_load_ushort v12, v[17:18], off offset:1024
	global_load_ushort v13, v[19:20], off offset:1024
	v_addc_co_u32_e64 v1, vcc, v1, v10, s[18:19]
	s_waitcnt vmcnt(1)
	v_lshlrev_b32_e32 v12, 16, v12
	s_waitcnt vmcnt(0)
	v_lshlrev_b32_e32 v13, 16, v13
	v_cmp_neq_f32_e64 s[20:21], v12, v13
	global_load_ushort v13, v[17:18], off offset:1536
	global_load_ushort v14, v[19:20], off offset:1536
	v_cndmask_b32_e64 v12, 0, 1, s[20:21]
	s_waitcnt vmcnt(1)
	v_lshlrev_b32_e32 v13, 16, v13
	s_waitcnt vmcnt(0)
	v_lshlrev_b32_e32 v14, 16, v14
	v_cmp_neq_f32_e64 s[20:21], v13, v14
	global_load_ushort v13, v[17:18], off offset:2048
	global_load_ushort v14, v[19:20], off offset:2048
	;; [unrolled: 16-line block ×3, first 2 shown]
	s_nop 0
	global_load_ushort v17, v[17:18], off offset:3584
	s_nop 0
	global_load_ushort v18, v[19:20], off offset:3584
	v_addc_co_u32_e64 v1, vcc, v1, v13, s[26:27]
	s_waitcnt vmcnt(3)
	v_lshlrev_b32_e32 v14, 16, v14
	s_waitcnt vmcnt(2)
	v_lshlrev_b32_e32 v21, 16, v21
	v_cmp_neq_f32_e64 s[28:29], v14, v21
	s_waitcnt vmcnt(0)
	v_lshlrev_b32_e32 v18, 16, v18
	v_lshlrev_b32_e32 v17, 16, v17
	v_cndmask_b32_e64 v14, 0, 1, s[28:29]
	v_cmp_neq_f32_e64 s[28:29], v17, v18
	v_addc_co_u32_e64 v1, vcc, v1, v14, s[28:29]
	v_cmp_eq_u32_e32 vcc, 0, v2
	s_nop 0
	v_add_u32_dpp v1, v1, v1 quad_perm:[1,0,3,2] row_mask:0xf bank_mask:0xf bound_ctrl:1
	s_nop 1
	v_add_u32_dpp v1, v1, v1 quad_perm:[2,3,0,1] row_mask:0xf bank_mask:0xf bound_ctrl:1
	s_nop 1
	v_add_u32_dpp v1, v1, v1 row_ror:4 row_mask:0xf bank_mask:0xf bound_ctrl:1
	s_nop 1
	v_add_u32_dpp v1, v1, v1 row_ror:8 row_mask:0xf bank_mask:0xf bound_ctrl:1
	s_nop 1
	v_add_u32_dpp v1, v1, v1 row_bcast:15 row_mask:0xf bank_mask:0xf bound_ctrl:1
	s_nop 1
	v_add_u32_dpp v1, v1, v1 row_bcast:31 row_mask:0xf bank_mask:0xf bound_ctrl:1
	ds_bpermute_b32 v1, v4, v1
	s_and_saveexec_b64 s[0:1], vcc
	s_cbranch_execz .LBB2047_7
; %bb.6:
	v_lshrrev_b32_e32 v4, 4, v0
	v_and_b32_e32 v4, 12, v4
	s_waitcnt lgkmcnt(0)
	ds_write_b32 v4, v1 offset:48
.LBB2047_7:
	s_or_b64 exec, exec, s[0:1]
	v_cmp_gt_u32_e32 vcc, 64, v0
	s_waitcnt lgkmcnt(0)
	s_barrier
	s_and_saveexec_b64 s[0:1], vcc
	s_cbranch_execz .LBB2047_9
; %bb.8:
	v_and_b32_e32 v1, 3, v2
	v_lshlrev_b32_e32 v4, 2, v1
	ds_read_b32 v4, v4 offset:48
	v_cmp_ne_u32_e32 vcc, 3, v1
	v_addc_co_u32_e32 v1, vcc, 0, v2, vcc
	v_lshlrev_b32_e32 v1, 2, v1
	s_waitcnt lgkmcnt(0)
	ds_bpermute_b32 v1, v1, v4
	v_or_b32_e32 v2, 8, v3
	s_waitcnt lgkmcnt(0)
	v_add_u32_e32 v1, v1, v4
	ds_bpermute_b32 v2, v2, v1
	s_waitcnt lgkmcnt(0)
	v_add_u32_e32 v1, v2, v1
.LBB2047_9:
	s_or_b64 exec, exec, s[0:1]
.LBB2047_10:
	v_cmp_eq_u32_e64 s[0:1], 0, v0
	s_and_b64 vcc, exec, s[44:45]
	s_cbranch_vccnz .LBB2047_15
	s_branch .LBB2047_93
.LBB2047_11:
	s_mov_b64 s[0:1], 0
                                        ; implicit-def: $vgpr1
	s_cbranch_execnz .LBB2047_166
	s_branch .LBB2047_224
.LBB2047_12:
	s_mov_b64 s[0:1], 0
                                        ; implicit-def: $vgpr1
	s_cbranch_execnz .LBB2047_134
	s_branch .LBB2047_142
.LBB2047_13:
	s_mov_b64 s[44:45], -1
.LBB2047_14:
	s_mov_b64 s[0:1], 0
                                        ; implicit-def: $vgpr1
	s_and_b64 vcc, exec, s[44:45]
	s_cbranch_vccz .LBB2047_93
.LBB2047_15:
	s_cmp_eq_u32 s33, 16
	s_cbranch_scc0 .LBB2047_22
; %bb.16:
	s_mov_b32 s7, 0
	s_lshl_b32 s0, s6, 12
	s_mov_b32 s1, s7
	s_lshr_b64 s[2:3], s[36:37], 12
	s_lshl_b64 s[8:9], s[0:1], 1
	s_add_u32 s34, s40, s8
	s_addc_u32 s35, s41, s9
	s_add_u32 s44, s42, s8
	s_addc_u32 s45, s43, s9
	s_cmp_lg_u64 s[2:3], s[6:7]
	s_cbranch_scc0 .LBB2047_94
; %bb.17:
	v_lshlrev_b32_e32 v1, 1, v0
	global_load_ushort v5, v1, s[44:45]
	global_load_ushort v6, v1, s[34:35]
	v_mov_b32_e32 v2, s35
	v_add_co_u32_e32 v4, vcc, s34, v1
	v_addc_co_u32_e32 v2, vcc, 0, v2, vcc
	v_mov_b32_e32 v3, s45
	v_add_co_u32_e32 v7, vcc, s44, v1
	s_movk_i32 s1, 0x1000
	v_addc_co_u32_e32 v8, vcc, 0, v3, vcc
	global_load_ushort v9, v1, s[34:35] offset:512
	global_load_ushort v10, v1, s[44:45] offset:512
	;; [unrolled: 1-line block ×14, first 2 shown]
	v_add_co_u32_e32 v1, vcc, s1, v4
	v_addc_co_u32_e32 v2, vcc, 0, v2, vcc
	v_add_co_u32_e32 v3, vcc, s1, v7
	v_addc_co_u32_e32 v4, vcc, 0, v8, vcc
	global_load_ushort v7, v[3:4], off
	global_load_ushort v8, v[1:2], off
	global_load_ushort v23, v[3:4], off offset:512
	global_load_ushort v24, v[1:2], off offset:512
	;; [unrolled: 1-line block ×9, first 2 shown]
	s_waitcnt vmcnt(26)
	v_lshlrev_b32_e32 v5, 16, v5
	s_waitcnt vmcnt(25)
	v_lshlrev_b32_e32 v6, 16, v6
	v_cmp_neq_f32_e32 vcc, v6, v5
	global_load_ushort v5, v[3:4], off offset:2560
	global_load_ushort v6, v[3:4], off offset:3072
	;; [unrolled: 1-line block ×5, first 2 shown]
	s_waitcnt vmcnt(27)
	v_lshlrev_b32_e32 v3, 16, v11
	s_waitcnt vmcnt(25)
	v_lshlrev_b32_e32 v4, 16, v13
	v_lshlrev_b32_e32 v1, 16, v10
	v_lshlrev_b32_e32 v2, 16, v9
	v_lshlrev_b32_e32 v9, 16, v12
	s_waitcnt vmcnt(24)
	v_lshlrev_b32_e32 v10, 16, v14
	s_waitcnt vmcnt(22)
	v_lshlrev_b32_e32 v11, 16, v16
	v_lshlrev_b32_e32 v12, 16, v15
	s_waitcnt vmcnt(19)
	v_lshlrev_b32_e32 v14, 16, v19
	v_cndmask_b32_e64 v19, 0, 1, vcc
	v_cmp_neq_f32_e32 vcc, v4, v3
	v_lshlrev_b32_e32 v15, 16, v18
	s_waitcnt vmcnt(18)
	v_lshlrev_b32_e32 v16, 16, v20
	v_cndmask_b32_e64 v3, 0, 1, vcc
	v_cmp_neq_f32_e32 vcc, v12, v11
	v_cndmask_b32_e64 v4, 0, 1, vcc
	v_cmp_neq_f32_e32 vcc, v16, v15
	s_waitcnt vmcnt(15)
	v_lshlrev_b32_e32 v7, 16, v7
	s_waitcnt vmcnt(14)
	v_lshlrev_b32_e32 v8, 16, v8
	v_cndmask_b32_e64 v11, 0, 1, vcc
	s_waitcnt vmcnt(11)
	v_lshlrev_b32_e32 v16, 16, v25
	s_waitcnt vmcnt(10)
	v_lshlrev_b32_e32 v20, 16, v26
	v_cmp_neq_f32_e32 vcc, v8, v7
	v_lshlrev_b32_e32 v13, 16, v17
	v_lshlrev_b32_e32 v17, 16, v22
	;; [unrolled: 1-line block ×3, first 2 shown]
	v_cndmask_b32_e64 v7, 0, 1, vcc
	v_cmp_neq_f32_e32 vcc, v20, v16
	s_waitcnt vmcnt(8)
	v_lshlrev_b32_e32 v21, 16, v28
	s_waitcnt vmcnt(6)
	v_lshlrev_b32_e32 v22, 16, v30
	v_lshlrev_b32_e32 v12, 16, v23
	v_cndmask_b32_e64 v8, 0, 1, vcc
	v_cmp_neq_f32_e32 vcc, v22, v21
	v_cndmask_b32_e64 v21, 0, 1, vcc
	v_lshlrev_b32_e32 v15, 16, v24
	v_lshlrev_b32_e32 v16, 16, v27
	;; [unrolled: 1-line block ×3, first 2 shown]
	s_waitcnt vmcnt(5)
	v_lshlrev_b32_e32 v22, 16, v31
	s_waitcnt vmcnt(4)
	v_lshlrev_b32_e32 v5, 16, v5
	s_waitcnt vmcnt(3)
	v_lshlrev_b32_e32 v6, 16, v6
	s_waitcnt vmcnt(1)
	v_lshlrev_b32_e32 v23, 16, v33
	v_cmp_neq_f32_e32 vcc, v23, v6
	v_cndmask_b32_e64 v6, 0, 1, vcc
	v_cmp_neq_f32_e32 vcc, v2, v1
	v_addc_co_u32_e32 v1, vcc, 0, v19, vcc
	v_cmp_neq_f32_e32 vcc, v10, v9
	v_addc_co_u32_e32 v1, vcc, v1, v3, vcc
	;; [unrolled: 2-line block ×6, first 2 shown]
	v_cmp_neq_f32_e32 vcc, v22, v5
	v_lshlrev_b32_e32 v23, 16, v32
	s_waitcnt vmcnt(0)
	v_lshlrev_b32_e32 v24, 16, v34
	v_addc_co_u32_e32 v1, vcc, v1, v21, vcc
	v_cmp_neq_f32_e32 vcc, v24, v23
	v_addc_co_u32_e32 v1, vcc, v1, v6, vcc
	v_mbcnt_lo_u32_b32 v2, -1, 0
	s_nop 0
	v_add_u32_dpp v1, v1, v1 quad_perm:[1,0,3,2] row_mask:0xf bank_mask:0xf bound_ctrl:1
	v_mbcnt_hi_u32_b32 v2, -1, v2
	v_lshlrev_b32_e32 v3, 2, v2
	v_add_u32_dpp v1, v1, v1 quad_perm:[2,3,0,1] row_mask:0xf bank_mask:0xf bound_ctrl:1
	v_or_b32_e32 v4, 0xfc, v3
	v_cmp_eq_u32_e32 vcc, 0, v2
	v_add_u32_dpp v1, v1, v1 row_ror:4 row_mask:0xf bank_mask:0xf bound_ctrl:1
	s_nop 1
	v_add_u32_dpp v1, v1, v1 row_ror:8 row_mask:0xf bank_mask:0xf bound_ctrl:1
	s_nop 1
	v_add_u32_dpp v1, v1, v1 row_bcast:15 row_mask:0xf bank_mask:0xf bound_ctrl:1
	s_nop 1
	v_add_u32_dpp v1, v1, v1 row_bcast:31 row_mask:0xf bank_mask:0xf bound_ctrl:1
	ds_bpermute_b32 v1, v4, v1
	s_and_saveexec_b64 s[2:3], vcc
	s_cbranch_execz .LBB2047_19
; %bb.18:
	v_lshrrev_b32_e32 v4, 4, v0
	v_and_b32_e32 v4, 12, v4
	s_waitcnt lgkmcnt(0)
	ds_write_b32 v4, v1
.LBB2047_19:
	s_or_b64 exec, exec, s[2:3]
	v_cmp_gt_u32_e32 vcc, 64, v0
	s_waitcnt lgkmcnt(0)
	s_barrier
	s_and_saveexec_b64 s[2:3], vcc
	s_cbranch_execz .LBB2047_21
; %bb.20:
	v_and_b32_e32 v1, 3, v2
	v_lshlrev_b32_e32 v4, 2, v1
	ds_read_b32 v4, v4
	v_cmp_ne_u32_e32 vcc, 3, v1
	v_addc_co_u32_e32 v1, vcc, 0, v2, vcc
	v_lshlrev_b32_e32 v1, 2, v1
	s_waitcnt lgkmcnt(0)
	ds_bpermute_b32 v1, v1, v4
	v_or_b32_e32 v2, 8, v3
	s_waitcnt lgkmcnt(0)
	v_add_u32_e32 v1, v1, v4
	ds_bpermute_b32 v2, v2, v1
	s_waitcnt lgkmcnt(0)
	v_add_u32_e32 v1, v2, v1
.LBB2047_21:
	s_or_b64 exec, exec, s[2:3]
	s_mov_b64 s[2:3], 0
	s_branch .LBB2047_95
.LBB2047_22:
                                        ; implicit-def: $vgpr1
	s_branch .LBB2047_142
.LBB2047_23:
                                        ; implicit-def: $vgpr1
	s_cbranch_execz .LBB2047_10
; %bb.24:
	s_sub_i32 s2, s36, s50
	v_cmp_gt_u32_e32 vcc, s2, v0
                                        ; implicit-def: $vgpr1
	s_and_saveexec_b64 s[0:1], vcc
	s_cbranch_execz .LBB2047_26
; %bb.25:
	v_lshlrev_b32_e32 v1, 1, v0
	global_load_ushort v2, v1, s[48:49]
	global_load_ushort v3, v1, s[46:47]
	s_waitcnt vmcnt(1)
	v_lshlrev_b32_e32 v1, 16, v2
	s_waitcnt vmcnt(0)
	v_lshlrev_b32_e32 v2, 16, v3
	v_cmp_neq_f32_e32 vcc, v2, v1
	v_cndmask_b32_e64 v1, 0, 1, vcc
.LBB2047_26:
	s_or_b64 exec, exec, s[0:1]
	v_or_b32_e32 v2, 0x100, v0
	v_cmp_gt_u32_e32 vcc, s2, v2
	v_mov_b32_e32 v2, 0
	v_mov_b32_e32 v3, 0
	s_and_saveexec_b64 s[0:1], vcc
	s_cbranch_execz .LBB2047_28
; %bb.27:
	v_lshlrev_b32_e32 v3, 1, v0
	global_load_ushort v4, v3, s[48:49] offset:512
	global_load_ushort v5, v3, s[46:47] offset:512
	s_waitcnt vmcnt(1)
	v_lshlrev_b32_e32 v3, 16, v4
	s_waitcnt vmcnt(0)
	v_lshlrev_b32_e32 v4, 16, v5
	v_cmp_neq_f32_e32 vcc, v4, v3
	v_cndmask_b32_e64 v3, 0, 1, vcc
.LBB2047_28:
	s_or_b64 exec, exec, s[0:1]
	v_or_b32_e32 v4, 0x200, v0
	v_cmp_gt_u32_e32 vcc, s2, v4
	s_and_saveexec_b64 s[0:1], vcc
	s_cbranch_execz .LBB2047_30
; %bb.29:
	v_lshlrev_b32_e32 v2, 1, v0
	global_load_ushort v4, v2, s[48:49] offset:1024
	global_load_ushort v5, v2, s[46:47] offset:1024
	s_waitcnt vmcnt(1)
	v_lshlrev_b32_e32 v2, 16, v4
	s_waitcnt vmcnt(0)
	v_lshlrev_b32_e32 v4, 16, v5
	v_cmp_neq_f32_e32 vcc, v4, v2
	v_cndmask_b32_e64 v2, 0, 1, vcc
.LBB2047_30:
	s_or_b64 exec, exec, s[0:1]
	v_or_b32_e32 v4, 0x300, v0
	v_cmp_gt_u32_e32 vcc, s2, v4
	v_mov_b32_e32 v4, 0
	v_mov_b32_e32 v5, 0
	s_and_saveexec_b64 s[0:1], vcc
	s_cbranch_execz .LBB2047_32
; %bb.31:
	v_lshlrev_b32_e32 v5, 1, v0
	global_load_ushort v6, v5, s[48:49] offset:1536
	global_load_ushort v7, v5, s[46:47] offset:1536
	s_waitcnt vmcnt(1)
	v_lshlrev_b32_e32 v5, 16, v6
	s_waitcnt vmcnt(0)
	v_lshlrev_b32_e32 v6, 16, v7
	v_cmp_neq_f32_e32 vcc, v6, v5
	v_cndmask_b32_e64 v5, 0, 1, vcc
.LBB2047_32:
	s_or_b64 exec, exec, s[0:1]
	v_or_b32_e32 v6, 0x400, v0
	v_cmp_gt_u32_e32 vcc, s2, v6
	s_and_saveexec_b64 s[0:1], vcc
	s_cbranch_execz .LBB2047_34
; %bb.33:
	v_lshlrev_b32_e32 v4, 1, v0
	global_load_ushort v6, v4, s[48:49] offset:2048
	global_load_ushort v7, v4, s[46:47] offset:2048
	s_waitcnt vmcnt(1)
	v_lshlrev_b32_e32 v4, 16, v6
	s_waitcnt vmcnt(0)
	v_lshlrev_b32_e32 v6, 16, v7
	v_cmp_neq_f32_e32 vcc, v6, v4
	v_cndmask_b32_e64 v4, 0, 1, vcc
.LBB2047_34:
	;; [unrolled: 34-line block ×3, first 2 shown]
	s_or_b64 exec, exec, s[0:1]
	v_or_b32_e32 v8, 0x700, v0
	v_cmp_gt_u32_e32 vcc, s2, v8
	v_mov_b32_e32 v8, 0
	v_mov_b32_e32 v9, 0
	s_and_saveexec_b64 s[0:1], vcc
	s_cbranch_execz .LBB2047_40
; %bb.39:
	v_lshlrev_b32_e32 v9, 1, v0
	global_load_ushort v10, v9, s[48:49] offset:3584
	global_load_ushort v11, v9, s[46:47] offset:3584
	s_waitcnt vmcnt(1)
	v_lshlrev_b32_e32 v9, 16, v10
	s_waitcnt vmcnt(0)
	v_lshlrev_b32_e32 v10, 16, v11
	v_cmp_neq_f32_e32 vcc, v10, v9
	v_cndmask_b32_e64 v9, 0, 1, vcc
.LBB2047_40:
	s_or_b64 exec, exec, s[0:1]
	v_or_b32_e32 v10, 0x800, v0
	v_cmp_gt_u32_e32 vcc, s2, v10
	s_and_saveexec_b64 s[0:1], vcc
	s_cbranch_execz .LBB2047_42
; %bb.41:
	v_lshlrev_b32_e32 v8, 1, v10
	global_load_ushort v10, v8, s[48:49]
	global_load_ushort v11, v8, s[46:47]
	s_waitcnt vmcnt(1)
	v_lshlrev_b32_e32 v8, 16, v10
	s_waitcnt vmcnt(0)
	v_lshlrev_b32_e32 v10, 16, v11
	v_cmp_neq_f32_e32 vcc, v10, v8
	v_cndmask_b32_e64 v8, 0, 1, vcc
.LBB2047_42:
	s_or_b64 exec, exec, s[0:1]
	v_or_b32_e32 v12, 0x900, v0
	v_cmp_gt_u32_e32 vcc, s2, v12
	v_mov_b32_e32 v10, 0
	v_mov_b32_e32 v11, 0
	s_and_saveexec_b64 s[0:1], vcc
	s_cbranch_execz .LBB2047_44
; %bb.43:
	v_lshlrev_b32_e32 v11, 1, v12
	global_load_ushort v12, v11, s[48:49]
	global_load_ushort v13, v11, s[46:47]
	s_waitcnt vmcnt(1)
	v_lshlrev_b32_e32 v11, 16, v12
	s_waitcnt vmcnt(0)
	v_lshlrev_b32_e32 v12, 16, v13
	v_cmp_neq_f32_e32 vcc, v12, v11
	v_cndmask_b32_e64 v11, 0, 1, vcc
.LBB2047_44:
	s_or_b64 exec, exec, s[0:1]
	v_or_b32_e32 v12, 0xa00, v0
	v_cmp_gt_u32_e32 vcc, s2, v12
	s_and_saveexec_b64 s[0:1], vcc
	s_cbranch_execz .LBB2047_46
; %bb.45:
	v_lshlrev_b32_e32 v10, 1, v12
	global_load_ushort v12, v10, s[48:49]
	global_load_ushort v13, v10, s[46:47]
	s_waitcnt vmcnt(1)
	v_lshlrev_b32_e32 v10, 16, v12
	s_waitcnt vmcnt(0)
	v_lshlrev_b32_e32 v12, 16, v13
	v_cmp_neq_f32_e32 vcc, v12, v10
	v_cndmask_b32_e64 v10, 0, 1, vcc
.LBB2047_46:
	s_or_b64 exec, exec, s[0:1]
	v_or_b32_e32 v14, 0xb00, v0
	v_cmp_gt_u32_e32 vcc, s2, v14
	v_mov_b32_e32 v12, 0
	v_mov_b32_e32 v13, 0
	s_and_saveexec_b64 s[0:1], vcc
	s_cbranch_execz .LBB2047_48
; %bb.47:
	v_lshlrev_b32_e32 v13, 1, v14
	global_load_ushort v14, v13, s[48:49]
	global_load_ushort v15, v13, s[46:47]
	s_waitcnt vmcnt(1)
	v_lshlrev_b32_e32 v13, 16, v14
	s_waitcnt vmcnt(0)
	v_lshlrev_b32_e32 v14, 16, v15
	v_cmp_neq_f32_e32 vcc, v14, v13
	v_cndmask_b32_e64 v13, 0, 1, vcc
.LBB2047_48:
	;; [unrolled: 34-line block ×11, first 2 shown]
	s_or_b64 exec, exec, s[0:1]
	v_or_b32_e32 v32, 0x1e00, v0
	v_cmp_gt_u32_e32 vcc, s2, v32
	s_and_saveexec_b64 s[0:1], vcc
	s_cbranch_execz .LBB2047_86
; %bb.85:
	v_lshlrev_b32_e32 v30, 1, v32
	global_load_ushort v32, v30, s[48:49]
	global_load_ushort v33, v30, s[46:47]
	s_waitcnt vmcnt(1)
	v_lshlrev_b32_e32 v30, 16, v32
	s_waitcnt vmcnt(0)
	v_lshlrev_b32_e32 v32, 16, v33
	v_cmp_neq_f32_e32 vcc, v32, v30
	v_cndmask_b32_e64 v30, 0, 1, vcc
.LBB2047_86:
	s_or_b64 exec, exec, s[0:1]
	v_or_b32_e32 v33, 0x1f00, v0
	v_cmp_gt_u32_e32 vcc, s2, v33
	v_mov_b32_e32 v32, 0
	s_and_saveexec_b64 s[0:1], vcc
	s_cbranch_execz .LBB2047_88
; %bb.87:
	v_lshlrev_b32_e32 v32, 1, v33
	global_load_ushort v33, v32, s[48:49]
	global_load_ushort v34, v32, s[46:47]
	s_waitcnt vmcnt(1)
	v_lshlrev_b32_e32 v32, 16, v33
	s_waitcnt vmcnt(0)
	v_lshlrev_b32_e32 v33, 16, v34
	v_cmp_neq_f32_e32 vcc, v33, v32
	v_cndmask_b32_e64 v32, 0, 1, vcc
.LBB2047_88:
	s_or_b64 exec, exec, s[0:1]
	v_add_u32_e32 v1, v3, v1
	v_add3_u32 v1, v1, v2, v5
	v_add3_u32 v1, v1, v4, v7
	;; [unrolled: 1-line block ×10, first 2 shown]
	v_mbcnt_lo_u32_b32 v2, -1, 0
	v_add3_u32 v1, v1, v22, v25
	v_mbcnt_hi_u32_b32 v2, -1, v2
	v_add3_u32 v1, v1, v24, v27
	v_and_b32_e32 v4, 63, v2
	v_add3_u32 v1, v1, v26, v29
	v_cmp_ne_u32_e32 vcc, 63, v4
	v_add3_u32 v1, v1, v28, v31
	v_addc_co_u32_e32 v3, vcc, 0, v2, vcc
	v_add3_u32 v1, v1, v30, v32
	v_lshlrev_b32_e32 v3, 2, v3
	ds_bpermute_b32 v3, v3, v1
	s_min_u32 s2, s2, 0x100
	v_and_b32_e32 v5, 0xc0, v0
	v_sub_u32_e64 v5, s2, v5 clamp
	v_add_u32_e32 v6, 1, v4
	v_cmp_lt_u32_e32 vcc, v6, v5
	s_waitcnt lgkmcnt(0)
	v_cndmask_b32_e32 v3, 0, v3, vcc
	v_cmp_gt_u32_e32 vcc, 62, v4
	v_add_u32_e32 v1, v3, v1
	v_cndmask_b32_e64 v3, 0, 2, vcc
	v_add_lshl_u32 v3, v3, v2, 2
	ds_bpermute_b32 v3, v3, v1
	v_add_u32_e32 v6, 2, v4
	v_cmp_lt_u32_e32 vcc, v6, v5
	v_add_u32_e32 v6, 4, v4
	s_waitcnt lgkmcnt(0)
	v_cndmask_b32_e32 v3, 0, v3, vcc
	v_cmp_gt_u32_e32 vcc, 60, v4
	v_add_u32_e32 v1, v1, v3
	v_cndmask_b32_e64 v3, 0, 4, vcc
	v_add_lshl_u32 v3, v3, v2, 2
	ds_bpermute_b32 v3, v3, v1
	v_cmp_lt_u32_e32 vcc, v6, v5
	v_add_u32_e32 v6, 8, v4
	s_waitcnt lgkmcnt(0)
	v_cndmask_b32_e32 v3, 0, v3, vcc
	v_cmp_gt_u32_e32 vcc, 56, v4
	v_add_u32_e32 v1, v1, v3
	v_cndmask_b32_e64 v3, 0, 8, vcc
	v_add_lshl_u32 v3, v3, v2, 2
	ds_bpermute_b32 v3, v3, v1
	;; [unrolled: 9-line block ×3, first 2 shown]
	v_cmp_lt_u32_e32 vcc, v6, v5
	v_add_u32_e32 v4, 32, v4
	s_waitcnt lgkmcnt(0)
	v_cndmask_b32_e32 v3, 0, v3, vcc
	v_add_u32_e32 v1, v1, v3
	v_lshlrev_b32_e32 v3, 2, v2
	v_or_b32_e32 v6, 0x80, v3
	ds_bpermute_b32 v6, v6, v1
	v_cmp_lt_u32_e32 vcc, v4, v5
	s_waitcnt lgkmcnt(0)
	v_cndmask_b32_e32 v4, 0, v6, vcc
	v_add_u32_e32 v1, v1, v4
	v_cmp_eq_u32_e32 vcc, 0, v2
	s_and_saveexec_b64 s[0:1], vcc
; %bb.89:
	v_lshrrev_b32_e32 v4, 4, v0
	v_and_b32_e32 v4, 12, v4
	ds_write_b32 v4, v1 offset:96
; %bb.90:
	s_or_b64 exec, exec, s[0:1]
	v_cmp_gt_u32_e32 vcc, 4, v0
	s_waitcnt lgkmcnt(0)
	s_barrier
	s_and_saveexec_b64 s[0:1], vcc
	s_cbranch_execz .LBB2047_92
; %bb.91:
	ds_read_b32 v1, v3 offset:96
	v_and_b32_e32 v4, 3, v2
	v_cmp_ne_u32_e32 vcc, 3, v4
	v_addc_co_u32_e32 v2, vcc, 0, v2, vcc
	v_lshlrev_b32_e32 v2, 2, v2
	s_waitcnt lgkmcnt(0)
	ds_bpermute_b32 v2, v2, v1
	s_add_i32 s2, s2, 63
	s_lshr_b32 s2, s2, 6
	v_add_u32_e32 v5, 1, v4
	v_cmp_gt_u32_e32 vcc, s2, v5
	s_waitcnt lgkmcnt(0)
	v_cndmask_b32_e32 v2, 0, v2, vcc
	v_add_u32_e32 v1, v2, v1
	v_or_b32_e32 v2, 8, v3
	ds_bpermute_b32 v2, v2, v1
	v_add_u32_e32 v3, 2, v4
	v_cmp_gt_u32_e32 vcc, s2, v3
	s_waitcnt lgkmcnt(0)
	v_cndmask_b32_e32 v2, 0, v2, vcc
	v_add_u32_e32 v1, v1, v2
.LBB2047_92:
	s_or_b64 exec, exec, s[0:1]
	v_cmp_eq_u32_e64 s[0:1], 0, v0
	s_and_b64 vcc, exec, s[44:45]
	s_cbranch_vccnz .LBB2047_15
.LBB2047_93:
	s_branch .LBB2047_142
.LBB2047_94:
	s_mov_b64 s[2:3], -1
                                        ; implicit-def: $vgpr1
.LBB2047_95:
	s_and_b64 vcc, exec, s[2:3]
	s_cbranch_vccz .LBB2047_133
; %bb.96:
	s_sub_i32 s48, s36, s0
	v_mov_b32_e32 v1, 0
	v_cmp_gt_u32_e32 vcc, s48, v0
	v_mov_b32_e32 v2, v1
	v_mov_b32_e32 v3, v1
	;; [unrolled: 1-line block ×15, first 2 shown]
	s_and_saveexec_b64 s[0:1], vcc
	s_cbranch_execz .LBB2047_98
; %bb.97:
	v_mov_b32_e32 v2, v1
	v_mov_b32_e32 v3, v1
	;; [unrolled: 1-line block ×15, first 2 shown]
	v_lshlrev_b32_e32 v1, 1, v0
	global_load_ushort v17, v1, s[44:45]
	global_load_ushort v18, v1, s[34:35]
	s_waitcnt vmcnt(1)
	v_lshlrev_b32_e32 v1, 16, v17
	s_waitcnt vmcnt(0)
	v_lshlrev_b32_e32 v17, 16, v18
	v_cmp_neq_f32_e32 vcc, v17, v1
	v_cndmask_b32_e64 v1, 0, 1, vcc
	v_and_b32_e32 v1, 0xffff, v1
.LBB2047_98:
	s_or_b64 exec, exec, s[0:1]
	v_or_b32_e32 v17, 0x100, v0
	v_cmp_gt_u32_e32 vcc, s48, v17
	s_and_saveexec_b64 s[2:3], vcc
	s_cbranch_execz .LBB2047_100
; %bb.99:
	v_lshlrev_b32_e32 v2, 1, v0
	global_load_ushort v17, v2, s[44:45] offset:512
	global_load_ushort v18, v2, s[34:35] offset:512
	s_waitcnt vmcnt(1)
	v_lshlrev_b32_e32 v2, 16, v17
	s_waitcnt vmcnt(0)
	v_lshlrev_b32_e32 v17, 16, v18
	v_cmp_neq_f32_e64 s[0:1], v17, v2
	v_cndmask_b32_e64 v2, 0, 1, s[0:1]
.LBB2047_100:
	s_or_b64 exec, exec, s[2:3]
	v_or_b32_e32 v17, 0x200, v0
	v_cmp_gt_u32_e64 s[0:1], s48, v17
	s_and_saveexec_b64 s[8:9], s[0:1]
	s_cbranch_execz .LBB2047_102
; %bb.101:
	v_lshlrev_b32_e32 v3, 1, v0
	global_load_ushort v17, v3, s[44:45] offset:1024
	global_load_ushort v18, v3, s[34:35] offset:1024
	s_waitcnt vmcnt(1)
	v_lshlrev_b32_e32 v3, 16, v17
	s_waitcnt vmcnt(0)
	v_lshlrev_b32_e32 v17, 16, v18
	v_cmp_neq_f32_e64 s[2:3], v17, v3
	v_cndmask_b32_e64 v3, 0, 1, s[2:3]
.LBB2047_102:
	s_or_b64 exec, exec, s[8:9]
	v_or_b32_e32 v17, 0x300, v0
	v_cmp_gt_u32_e64 s[2:3], s48, v17
	s_and_saveexec_b64 s[10:11], s[2:3]
	;; [unrolled: 16-line block ×7, first 2 shown]
	s_cbranch_execz .LBB2047_114
; %bb.113:
	v_lshlrev_b32_e32 v9, 1, v17
	global_load_ushort v17, v9, s[44:45]
	global_load_ushort v18, v9, s[34:35]
	s_waitcnt vmcnt(1)
	v_lshlrev_b32_e32 v9, 16, v17
	s_waitcnt vmcnt(0)
	v_lshlrev_b32_e32 v17, 16, v18
	v_cmp_neq_f32_e64 s[18:19], v17, v9
	v_cndmask_b32_e64 v9, 0, 1, s[18:19]
.LBB2047_114:
	s_or_b64 exec, exec, s[20:21]
	v_or_b32_e32 v17, 0x900, v0
	v_cmp_gt_u32_e64 s[18:19], s48, v17
	s_and_saveexec_b64 s[22:23], s[18:19]
	s_cbranch_execz .LBB2047_116
; %bb.115:
	v_lshlrev_b32_e32 v10, 1, v17
	global_load_ushort v17, v10, s[44:45]
	global_load_ushort v18, v10, s[34:35]
	s_waitcnt vmcnt(1)
	v_lshlrev_b32_e32 v10, 16, v17
	s_waitcnt vmcnt(0)
	v_lshlrev_b32_e32 v17, 16, v18
	v_cmp_neq_f32_e64 s[20:21], v17, v10
	v_cndmask_b32_e64 v10, 0, 1, s[20:21]
.LBB2047_116:
	s_or_b64 exec, exec, s[22:23]
	v_or_b32_e32 v17, 0xa00, v0
	v_cmp_gt_u32_e64 s[20:21], s48, v17
	s_and_saveexec_b64 s[24:25], s[20:21]
	;; [unrolled: 16-line block ×6, first 2 shown]
	s_cbranch_execz .LBB2047_126
; %bb.125:
	v_lshlrev_b32_e32 v15, 1, v17
	global_load_ushort v17, v15, s[44:45]
	s_nop 0
	global_load_ushort v15, v15, s[34:35]
	s_waitcnt vmcnt(1)
	v_lshlrev_b32_e32 v17, 16, v17
	s_waitcnt vmcnt(0)
	v_lshlrev_b32_e32 v15, 16, v15
	v_cmp_neq_f32_e64 s[30:31], v15, v17
	v_cndmask_b32_e64 v15, 0, 1, s[30:31]
.LBB2047_126:
	s_or_b64 exec, exec, s[46:47]
	v_or_b32_e32 v17, 0xf00, v0
	v_cmp_gt_u32_e64 s[30:31], s48, v17
	s_and_saveexec_b64 s[46:47], s[30:31]
	s_cbranch_execz .LBB2047_128
; %bb.127:
	v_lshlrev_b32_e32 v16, 1, v17
	global_load_ushort v17, v16, s[44:45]
	s_nop 0
	global_load_ushort v16, v16, s[34:35]
	s_waitcnt vmcnt(1)
	v_lshlrev_b32_e32 v17, 16, v17
	s_waitcnt vmcnt(0)
	v_lshlrev_b32_e32 v16, 16, v16
	v_cmp_neq_f32_e64 s[34:35], v16, v17
	v_cndmask_b32_e64 v16, 0, 1, s[34:35]
.LBB2047_128:
	s_or_b64 exec, exec, s[46:47]
	v_cndmask_b32_e32 v2, 0, v2, vcc
	v_add_u32_e32 v1, v2, v1
	v_cndmask_b32_e64 v2, 0, v3, s[0:1]
	v_cndmask_b32_e64 v3, 0, v4, s[2:3]
	v_add3_u32 v1, v1, v2, v3
	v_cndmask_b32_e64 v2, 0, v5, s[8:9]
	v_cndmask_b32_e64 v3, 0, v6, s[10:11]
	v_add3_u32 v1, v1, v2, v3
	;; [unrolled: 3-line block ×7, first 2 shown]
	v_mbcnt_lo_u32_b32 v2, -1, 0
	v_mbcnt_hi_u32_b32 v2, -1, v2
	v_and_b32_e32 v4, 63, v2
	v_cmp_ne_u32_e32 vcc, 63, v4
	v_addc_co_u32_e32 v3, vcc, 0, v2, vcc
	v_lshlrev_b32_e32 v3, 2, v3
	ds_bpermute_b32 v3, v3, v1
	s_min_u32 s2, s48, 0x100
	v_and_b32_e32 v5, 0xc0, v0
	v_sub_u32_e64 v5, s2, v5 clamp
	v_add_u32_e32 v6, 1, v4
	v_cmp_lt_u32_e32 vcc, v6, v5
	s_waitcnt lgkmcnt(0)
	v_cndmask_b32_e32 v3, 0, v3, vcc
	v_cmp_gt_u32_e32 vcc, 62, v4
	v_add_u32_e32 v1, v1, v3
	v_cndmask_b32_e64 v3, 0, 2, vcc
	v_add_lshl_u32 v3, v3, v2, 2
	ds_bpermute_b32 v3, v3, v1
	v_add_u32_e32 v6, 2, v4
	v_cmp_lt_u32_e32 vcc, v6, v5
	v_add_u32_e32 v6, 4, v4
	s_waitcnt lgkmcnt(0)
	v_cndmask_b32_e32 v3, 0, v3, vcc
	v_cmp_gt_u32_e32 vcc, 60, v4
	v_add_u32_e32 v1, v1, v3
	v_cndmask_b32_e64 v3, 0, 4, vcc
	v_add_lshl_u32 v3, v3, v2, 2
	ds_bpermute_b32 v3, v3, v1
	v_cmp_lt_u32_e32 vcc, v6, v5
	v_add_u32_e32 v6, 8, v4
	s_waitcnt lgkmcnt(0)
	v_cndmask_b32_e32 v3, 0, v3, vcc
	v_cmp_gt_u32_e32 vcc, 56, v4
	v_add_u32_e32 v1, v1, v3
	v_cndmask_b32_e64 v3, 0, 8, vcc
	v_add_lshl_u32 v3, v3, v2, 2
	ds_bpermute_b32 v3, v3, v1
	;; [unrolled: 9-line block ×3, first 2 shown]
	v_cmp_lt_u32_e32 vcc, v6, v5
	v_add_u32_e32 v4, 32, v4
	s_waitcnt lgkmcnt(0)
	v_cndmask_b32_e32 v3, 0, v3, vcc
	v_add_u32_e32 v1, v1, v3
	v_lshlrev_b32_e32 v3, 2, v2
	v_or_b32_e32 v6, 0x80, v3
	ds_bpermute_b32 v6, v6, v1
	v_cmp_lt_u32_e32 vcc, v4, v5
	s_waitcnt lgkmcnt(0)
	v_cndmask_b32_e32 v4, 0, v6, vcc
	v_add_u32_e32 v1, v1, v4
	v_cmp_eq_u32_e32 vcc, 0, v2
	s_and_saveexec_b64 s[0:1], vcc
; %bb.129:
	v_lshrrev_b32_e32 v4, 4, v0
	v_and_b32_e32 v4, 12, v4
	ds_write_b32 v4, v1 offset:96
; %bb.130:
	s_or_b64 exec, exec, s[0:1]
	v_cmp_gt_u32_e32 vcc, 4, v0
	s_waitcnt lgkmcnt(0)
	s_barrier
	s_and_saveexec_b64 s[0:1], vcc
	s_cbranch_execz .LBB2047_132
; %bb.131:
	ds_read_b32 v1, v3 offset:96
	v_and_b32_e32 v4, 3, v2
	v_cmp_ne_u32_e32 vcc, 3, v4
	v_addc_co_u32_e32 v2, vcc, 0, v2, vcc
	v_lshlrev_b32_e32 v2, 2, v2
	s_waitcnt lgkmcnt(0)
	ds_bpermute_b32 v2, v2, v1
	s_add_i32 s2, s2, 63
	s_lshr_b32 s2, s2, 6
	v_add_u32_e32 v5, 1, v4
	v_cmp_gt_u32_e32 vcc, s2, v5
	s_waitcnt lgkmcnt(0)
	v_cndmask_b32_e32 v2, 0, v2, vcc
	v_add_u32_e32 v1, v2, v1
	v_or_b32_e32 v2, 8, v3
	ds_bpermute_b32 v2, v2, v1
	v_add_u32_e32 v3, 2, v4
	v_cmp_gt_u32_e32 vcc, s2, v3
	s_waitcnt lgkmcnt(0)
	v_cndmask_b32_e32 v2, 0, v2, vcc
	v_add_u32_e32 v1, v1, v2
.LBB2047_132:
	s_or_b64 exec, exec, s[0:1]
.LBB2047_133:
	v_cmp_eq_u32_e64 s[0:1], 0, v0
	s_branch .LBB2047_142
.LBB2047_134:
	s_cmp_eq_u32 s33, 8
	s_cbranch_scc0 .LBB2047_141
; %bb.135:
	s_mov_b32 s7, 0
	s_lshl_b32 s0, s6, 11
	s_mov_b32 s1, s7
	s_lshr_b64 s[2:3], s[36:37], 11
	s_lshl_b64 s[8:9], s[0:1], 1
	s_add_u32 s16, s40, s8
	s_addc_u32 s17, s41, s9
	s_add_u32 s18, s42, s8
	s_addc_u32 s19, s43, s9
	s_cmp_lg_u64 s[2:3], s[6:7]
	s_cbranch_scc0 .LBB2047_143
; %bb.136:
	v_lshlrev_b32_e32 v1, 1, v0
	global_load_ushort v4, v1, s[18:19]
	global_load_ushort v5, v1, s[16:17]
	global_load_ushort v6, v1, s[18:19] offset:512
	global_load_ushort v7, v1, s[16:17] offset:512
	;; [unrolled: 1-line block ×13, first 2 shown]
	s_nop 0
	global_load_ushort v1, v1, s[16:17] offset:3584
	v_mbcnt_lo_u32_b32 v2, -1, 0
	v_mbcnt_hi_u32_b32 v2, -1, v2
	v_lshlrev_b32_e32 v3, 2, v2
	s_waitcnt vmcnt(15)
	v_lshlrev_b32_e32 v4, 16, v4
	s_waitcnt vmcnt(14)
	v_lshlrev_b32_e32 v5, 16, v5
	v_cmp_neq_f32_e32 vcc, v5, v4
	v_cndmask_b32_e64 v4, 0, 1, vcc
	s_waitcnt vmcnt(11)
	v_lshlrev_b32_e32 v8, 16, v8
	s_waitcnt vmcnt(10)
	v_lshlrev_b32_e32 v9, 16, v9
	v_cmp_neq_f32_e32 vcc, v9, v8
	v_cndmask_b32_e64 v5, 0, 1, vcc
	s_waitcnt vmcnt(7)
	v_lshlrev_b32_e32 v12, 16, v12
	s_waitcnt vmcnt(6)
	v_lshlrev_b32_e32 v13, 16, v13
	v_cmp_neq_f32_e32 vcc, v13, v12
	v_lshlrev_b32_e32 v6, 16, v6
	s_waitcnt vmcnt(3)
	v_lshlrev_b32_e32 v16, 16, v16
	s_waitcnt vmcnt(2)
	v_lshlrev_b32_e32 v17, 16, v17
	v_lshlrev_b32_e32 v7, 16, v7
	v_cndmask_b32_e64 v8, 0, 1, vcc
	v_cmp_neq_f32_e32 vcc, v17, v16
	v_cndmask_b32_e64 v9, 0, 1, vcc
	v_cmp_neq_f32_e32 vcc, v7, v6
	v_lshlrev_b32_e32 v10, 16, v10
	v_lshlrev_b32_e32 v11, 16, v11
	v_addc_co_u32_e32 v4, vcc, 0, v4, vcc
	v_cmp_neq_f32_e32 vcc, v11, v10
	v_lshlrev_b32_e32 v14, 16, v14
	v_lshlrev_b32_e32 v15, 16, v15
	v_addc_co_u32_e32 v4, vcc, v4, v5, vcc
	v_cmp_neq_f32_e32 vcc, v15, v14
	s_waitcnt vmcnt(1)
	v_lshlrev_b32_e32 v18, 16, v18
	s_waitcnt vmcnt(0)
	v_lshlrev_b32_e32 v1, 16, v1
	v_addc_co_u32_e32 v4, vcc, v4, v8, vcc
	v_cmp_neq_f32_e32 vcc, v1, v18
	v_addc_co_u32_e32 v1, vcc, v4, v9, vcc
	v_or_b32_e32 v4, 0xfc, v3
	s_nop 0
	v_add_u32_dpp v1, v1, v1 quad_perm:[1,0,3,2] row_mask:0xf bank_mask:0xf bound_ctrl:1
	v_cmp_eq_u32_e32 vcc, 0, v2
	s_nop 0
	v_add_u32_dpp v1, v1, v1 quad_perm:[2,3,0,1] row_mask:0xf bank_mask:0xf bound_ctrl:1
	s_nop 1
	v_add_u32_dpp v1, v1, v1 row_ror:4 row_mask:0xf bank_mask:0xf bound_ctrl:1
	s_nop 1
	v_add_u32_dpp v1, v1, v1 row_ror:8 row_mask:0xf bank_mask:0xf bound_ctrl:1
	s_nop 1
	v_add_u32_dpp v1, v1, v1 row_bcast:15 row_mask:0xf bank_mask:0xf bound_ctrl:1
	s_nop 1
	v_add_u32_dpp v1, v1, v1 row_bcast:31 row_mask:0xf bank_mask:0xf bound_ctrl:1
	ds_bpermute_b32 v1, v4, v1
	s_and_saveexec_b64 s[2:3], vcc
	s_cbranch_execz .LBB2047_138
; %bb.137:
	v_lshrrev_b32_e32 v4, 4, v0
	v_and_b32_e32 v4, 12, v4
	s_waitcnt lgkmcnt(0)
	ds_write_b32 v4, v1 offset:80
.LBB2047_138:
	s_or_b64 exec, exec, s[2:3]
	v_cmp_gt_u32_e32 vcc, 64, v0
	s_waitcnt lgkmcnt(0)
	s_barrier
	s_and_saveexec_b64 s[2:3], vcc
	s_cbranch_execz .LBB2047_140
; %bb.139:
	v_and_b32_e32 v1, 3, v2
	v_lshlrev_b32_e32 v4, 2, v1
	ds_read_b32 v4, v4 offset:80
	v_cmp_ne_u32_e32 vcc, 3, v1
	v_addc_co_u32_e32 v1, vcc, 0, v2, vcc
	v_lshlrev_b32_e32 v1, 2, v1
	s_waitcnt lgkmcnt(0)
	ds_bpermute_b32 v1, v1, v4
	v_or_b32_e32 v2, 8, v3
	s_waitcnt lgkmcnt(0)
	v_add_u32_e32 v1, v1, v4
	ds_bpermute_b32 v2, v2, v1
	s_waitcnt lgkmcnt(0)
	v_add_u32_e32 v1, v2, v1
.LBB2047_140:
	s_or_b64 exec, exec, s[2:3]
	s_branch .LBB2047_165
.LBB2047_141:
                                        ; implicit-def: $vgpr1
.LBB2047_142:
	s_branch .LBB2047_224
.LBB2047_143:
                                        ; implicit-def: $vgpr1
	s_cbranch_execz .LBB2047_165
; %bb.144:
	s_sub_i32 s22, s36, s0
	v_mov_b32_e32 v1, 0
	v_cmp_gt_u32_e32 vcc, s22, v0
	v_mov_b32_e32 v2, v1
	v_mov_b32_e32 v3, v1
	;; [unrolled: 1-line block ×7, first 2 shown]
	s_and_saveexec_b64 s[0:1], vcc
	s_cbranch_execz .LBB2047_146
; %bb.145:
	v_lshlrev_b32_e32 v2, 1, v0
	global_load_ushort v9, v2, s[18:19]
	global_load_ushort v10, v2, s[16:17]
	v_mov_b32_e32 v3, v1
	v_mov_b32_e32 v4, v1
	v_mov_b32_e32 v5, v1
	v_mov_b32_e32 v6, v1
	v_mov_b32_e32 v7, v1
	v_mov_b32_e32 v8, v1
	s_waitcnt vmcnt(1)
	v_lshlrev_b32_e32 v2, 16, v9
	s_waitcnt vmcnt(0)
	v_lshlrev_b32_e32 v9, 16, v10
	v_cmp_neq_f32_e32 vcc, v9, v2
	v_cndmask_b32_e64 v2, 0, 1, vcc
	v_and_b32_e32 v2, 0xffff, v2
	v_mov_b32_e32 v9, v1
	v_mov_b32_e32 v1, v2
	;; [unrolled: 1-line block ×9, first 2 shown]
.LBB2047_146:
	s_or_b64 exec, exec, s[0:1]
	v_or_b32_e32 v9, 0x100, v0
	v_cmp_gt_u32_e32 vcc, s22, v9
	s_and_saveexec_b64 s[2:3], vcc
	s_cbranch_execz .LBB2047_148
; %bb.147:
	v_lshlrev_b32_e32 v2, 1, v0
	global_load_ushort v9, v2, s[18:19] offset:512
	global_load_ushort v10, v2, s[16:17] offset:512
	s_waitcnt vmcnt(1)
	v_lshlrev_b32_e32 v2, 16, v9
	s_waitcnt vmcnt(0)
	v_lshlrev_b32_e32 v9, 16, v10
	v_cmp_neq_f32_e64 s[0:1], v9, v2
	v_cndmask_b32_e64 v2, 0, 1, s[0:1]
.LBB2047_148:
	s_or_b64 exec, exec, s[2:3]
	v_or_b32_e32 v9, 0x200, v0
	v_cmp_gt_u32_e64 s[0:1], s22, v9
	s_and_saveexec_b64 s[8:9], s[0:1]
	s_cbranch_execz .LBB2047_150
; %bb.149:
	v_lshlrev_b32_e32 v3, 1, v0
	global_load_ushort v9, v3, s[18:19] offset:1024
	global_load_ushort v10, v3, s[16:17] offset:1024
	s_waitcnt vmcnt(1)
	v_lshlrev_b32_e32 v3, 16, v9
	s_waitcnt vmcnt(0)
	v_lshlrev_b32_e32 v9, 16, v10
	v_cmp_neq_f32_e64 s[2:3], v9, v3
	v_cndmask_b32_e64 v3, 0, 1, s[2:3]
.LBB2047_150:
	s_or_b64 exec, exec, s[8:9]
	v_or_b32_e32 v9, 0x300, v0
	v_cmp_gt_u32_e64 s[2:3], s22, v9
	s_and_saveexec_b64 s[10:11], s[2:3]
	;; [unrolled: 16-line block ×6, first 2 shown]
	s_cbranch_execz .LBB2047_160
; %bb.159:
	v_lshlrev_b32_e32 v8, 1, v0
	global_load_ushort v9, v8, s[18:19] offset:3584
	global_load_ushort v10, v8, s[16:17] offset:3584
	s_waitcnt vmcnt(1)
	v_lshlrev_b32_e32 v8, 16, v9
	s_waitcnt vmcnt(0)
	v_lshlrev_b32_e32 v9, 16, v10
	v_cmp_neq_f32_e64 s[16:17], v9, v8
	v_cndmask_b32_e64 v8, 0, 1, s[16:17]
.LBB2047_160:
	s_or_b64 exec, exec, s[20:21]
	v_cndmask_b32_e32 v2, 0, v2, vcc
	v_add_u32_e32 v1, v2, v1
	v_cndmask_b32_e64 v2, 0, v3, s[0:1]
	v_cndmask_b32_e64 v3, 0, v4, s[2:3]
	v_add3_u32 v1, v1, v2, v3
	v_cndmask_b32_e64 v2, 0, v5, s[8:9]
	v_cndmask_b32_e64 v3, 0, v6, s[10:11]
	v_add3_u32 v1, v1, v2, v3
	;; [unrolled: 3-line block ×3, first 2 shown]
	v_mbcnt_lo_u32_b32 v2, -1, 0
	v_mbcnt_hi_u32_b32 v2, -1, v2
	v_and_b32_e32 v4, 63, v2
	v_cmp_ne_u32_e32 vcc, 63, v4
	v_addc_co_u32_e32 v3, vcc, 0, v2, vcc
	v_lshlrev_b32_e32 v3, 2, v3
	ds_bpermute_b32 v3, v3, v1
	s_min_u32 s2, s22, 0x100
	v_and_b32_e32 v5, 0xc0, v0
	v_sub_u32_e64 v5, s2, v5 clamp
	v_add_u32_e32 v6, 1, v4
	v_cmp_lt_u32_e32 vcc, v6, v5
	s_waitcnt lgkmcnt(0)
	v_cndmask_b32_e32 v3, 0, v3, vcc
	v_cmp_gt_u32_e32 vcc, 62, v4
	v_add_u32_e32 v1, v1, v3
	v_cndmask_b32_e64 v3, 0, 2, vcc
	v_add_lshl_u32 v3, v3, v2, 2
	ds_bpermute_b32 v3, v3, v1
	v_add_u32_e32 v6, 2, v4
	v_cmp_lt_u32_e32 vcc, v6, v5
	v_add_u32_e32 v6, 4, v4
	s_waitcnt lgkmcnt(0)
	v_cndmask_b32_e32 v3, 0, v3, vcc
	v_cmp_gt_u32_e32 vcc, 60, v4
	v_add_u32_e32 v1, v1, v3
	v_cndmask_b32_e64 v3, 0, 4, vcc
	v_add_lshl_u32 v3, v3, v2, 2
	ds_bpermute_b32 v3, v3, v1
	v_cmp_lt_u32_e32 vcc, v6, v5
	v_add_u32_e32 v6, 8, v4
	s_waitcnt lgkmcnt(0)
	v_cndmask_b32_e32 v3, 0, v3, vcc
	v_cmp_gt_u32_e32 vcc, 56, v4
	v_add_u32_e32 v1, v1, v3
	v_cndmask_b32_e64 v3, 0, 8, vcc
	v_add_lshl_u32 v3, v3, v2, 2
	ds_bpermute_b32 v3, v3, v1
	;; [unrolled: 9-line block ×3, first 2 shown]
	v_cmp_lt_u32_e32 vcc, v6, v5
	v_add_u32_e32 v4, 32, v4
	s_waitcnt lgkmcnt(0)
	v_cndmask_b32_e32 v3, 0, v3, vcc
	v_add_u32_e32 v1, v1, v3
	v_lshlrev_b32_e32 v3, 2, v2
	v_or_b32_e32 v6, 0x80, v3
	ds_bpermute_b32 v6, v6, v1
	v_cmp_lt_u32_e32 vcc, v4, v5
	s_waitcnt lgkmcnt(0)
	v_cndmask_b32_e32 v4, 0, v6, vcc
	v_add_u32_e32 v1, v1, v4
	v_cmp_eq_u32_e32 vcc, 0, v2
	s_and_saveexec_b64 s[0:1], vcc
; %bb.161:
	v_lshrrev_b32_e32 v4, 4, v0
	v_and_b32_e32 v4, 12, v4
	ds_write_b32 v4, v1 offset:96
; %bb.162:
	s_or_b64 exec, exec, s[0:1]
	v_cmp_gt_u32_e32 vcc, 4, v0
	s_waitcnt lgkmcnt(0)
	s_barrier
	s_and_saveexec_b64 s[0:1], vcc
	s_cbranch_execz .LBB2047_164
; %bb.163:
	ds_read_b32 v1, v3 offset:96
	v_and_b32_e32 v4, 3, v2
	v_cmp_ne_u32_e32 vcc, 3, v4
	v_addc_co_u32_e32 v2, vcc, 0, v2, vcc
	v_lshlrev_b32_e32 v2, 2, v2
	s_waitcnt lgkmcnt(0)
	ds_bpermute_b32 v2, v2, v1
	s_add_i32 s2, s2, 63
	s_lshr_b32 s2, s2, 6
	v_add_u32_e32 v5, 1, v4
	v_cmp_gt_u32_e32 vcc, s2, v5
	s_waitcnt lgkmcnt(0)
	v_cndmask_b32_e32 v2, 0, v2, vcc
	v_add_u32_e32 v1, v2, v1
	v_or_b32_e32 v2, 8, v3
	ds_bpermute_b32 v2, v2, v1
	v_add_u32_e32 v3, 2, v4
	v_cmp_gt_u32_e32 vcc, s2, v3
	s_waitcnt lgkmcnt(0)
	v_cndmask_b32_e32 v2, 0, v2, vcc
	v_add_u32_e32 v1, v1, v2
.LBB2047_164:
	s_or_b64 exec, exec, s[0:1]
.LBB2047_165:
	v_cmp_eq_u32_e64 s[0:1], 0, v0
	s_branch .LBB2047_224
.LBB2047_166:
	s_cmp_gt_i32 s33, 1
	s_cbranch_scc0 .LBB2047_175
; %bb.167:
	s_cmp_gt_i32 s33, 3
	s_cbranch_scc0 .LBB2047_176
; %bb.168:
	s_cmp_eq_u32 s33, 4
	s_cbranch_scc0 .LBB2047_177
; %bb.169:
	s_mov_b32 s7, 0
	s_lshl_b32 s0, s6, 10
	s_mov_b32 s1, s7
	s_lshr_b64 s[2:3], s[36:37], 10
	s_lshl_b64 s[10:11], s[0:1], 1
	s_add_u32 s8, s40, s10
	s_addc_u32 s9, s41, s11
	s_add_u32 s10, s42, s10
	s_addc_u32 s11, s43, s11
	s_cmp_lg_u64 s[2:3], s[6:7]
	s_cbranch_scc0 .LBB2047_179
; %bb.170:
	v_lshlrev_b32_e32 v1, 1, v0
	global_load_ushort v4, v1, s[10:11]
	global_load_ushort v5, v1, s[8:9]
	global_load_ushort v6, v1, s[10:11] offset:512
	global_load_ushort v7, v1, s[8:9] offset:512
	;; [unrolled: 1-line block ×6, first 2 shown]
	v_mbcnt_lo_u32_b32 v1, -1, 0
	v_mbcnt_hi_u32_b32 v2, -1, v1
	v_lshlrev_b32_e32 v3, 2, v2
	s_waitcnt vmcnt(7)
	v_lshlrev_b32_e32 v1, 16, v4
	s_waitcnt vmcnt(6)
	;; [unrolled: 2-line block ×6, first 2 shown]
	v_lshlrev_b32_e32 v8, 16, v9
	v_cmp_neq_f32_e32 vcc, v4, v1
	v_cndmask_b32_e64 v1, 0, 1, vcc
	v_cmp_neq_f32_e32 vcc, v8, v7
	v_cndmask_b32_e64 v4, 0, 1, vcc
	v_cmp_neq_f32_e32 vcc, v6, v5
	s_waitcnt vmcnt(1)
	v_lshlrev_b32_e32 v9, 16, v10
	s_waitcnt vmcnt(0)
	v_lshlrev_b32_e32 v10, 16, v11
	v_addc_co_u32_e32 v1, vcc, 0, v1, vcc
	v_cmp_neq_f32_e32 vcc, v10, v9
	v_addc_co_u32_e32 v1, vcc, v1, v4, vcc
	v_or_b32_e32 v4, 0xfc, v3
	s_nop 0
	v_add_u32_dpp v1, v1, v1 quad_perm:[1,0,3,2] row_mask:0xf bank_mask:0xf bound_ctrl:1
	v_cmp_eq_u32_e32 vcc, 0, v2
	s_nop 0
	v_add_u32_dpp v1, v1, v1 quad_perm:[2,3,0,1] row_mask:0xf bank_mask:0xf bound_ctrl:1
	s_nop 1
	v_add_u32_dpp v1, v1, v1 row_ror:4 row_mask:0xf bank_mask:0xf bound_ctrl:1
	s_nop 1
	v_add_u32_dpp v1, v1, v1 row_ror:8 row_mask:0xf bank_mask:0xf bound_ctrl:1
	s_nop 1
	v_add_u32_dpp v1, v1, v1 row_bcast:15 row_mask:0xf bank_mask:0xf bound_ctrl:1
	s_nop 1
	v_add_u32_dpp v1, v1, v1 row_bcast:31 row_mask:0xf bank_mask:0xf bound_ctrl:1
	ds_bpermute_b32 v1, v4, v1
	s_and_saveexec_b64 s[2:3], vcc
	s_cbranch_execz .LBB2047_172
; %bb.171:
	v_lshrrev_b32_e32 v4, 4, v0
	v_and_b32_e32 v4, 12, v4
	s_waitcnt lgkmcnt(0)
	ds_write_b32 v4, v1 offset:64
.LBB2047_172:
	s_or_b64 exec, exec, s[2:3]
	v_cmp_gt_u32_e32 vcc, 64, v0
	s_waitcnt lgkmcnt(0)
	s_barrier
	s_and_saveexec_b64 s[2:3], vcc
	s_cbranch_execz .LBB2047_174
; %bb.173:
	v_and_b32_e32 v1, 3, v2
	v_lshlrev_b32_e32 v4, 2, v1
	ds_read_b32 v4, v4 offset:64
	v_cmp_ne_u32_e32 vcc, 3, v1
	v_addc_co_u32_e32 v1, vcc, 0, v2, vcc
	v_lshlrev_b32_e32 v1, 2, v1
	s_waitcnt lgkmcnt(0)
	ds_bpermute_b32 v1, v1, v4
	v_or_b32_e32 v2, 8, v3
	s_waitcnt lgkmcnt(0)
	v_add_u32_e32 v1, v1, v4
	ds_bpermute_b32 v2, v2, v1
	s_waitcnt lgkmcnt(0)
	v_add_u32_e32 v1, v2, v1
.LBB2047_174:
	s_or_b64 exec, exec, s[2:3]
	s_mov_b64 s[2:3], 0
	s_branch .LBB2047_180
.LBB2047_175:
                                        ; implicit-def: $vgpr1
	s_cbranch_execnz .LBB2047_215
	s_branch .LBB2047_224
.LBB2047_176:
                                        ; implicit-def: $vgpr1
	s_cbranch_execz .LBB2047_178
	s_branch .LBB2047_195
.LBB2047_177:
                                        ; implicit-def: $vgpr1
.LBB2047_178:
	s_branch .LBB2047_224
.LBB2047_179:
	s_mov_b64 s[2:3], -1
                                        ; implicit-def: $vgpr1
.LBB2047_180:
	s_and_b64 vcc, exec, s[2:3]
	s_cbranch_vccz .LBB2047_194
; %bb.181:
	s_sub_i32 s14, s36, s0
	v_mov_b32_e32 v1, 0
	v_cmp_gt_u32_e32 vcc, s14, v0
	v_mov_b32_e32 v2, v1
	v_mov_b32_e32 v3, v1
	;; [unrolled: 1-line block ×3, first 2 shown]
	s_and_saveexec_b64 s[0:1], vcc
	s_cbranch_execz .LBB2047_183
; %bb.182:
	v_lshlrev_b32_e32 v2, 1, v0
	global_load_ushort v5, v2, s[10:11]
	global_load_ushort v6, v2, s[8:9]
	v_mov_b32_e32 v3, v1
	v_mov_b32_e32 v4, v1
	s_waitcnt vmcnt(1)
	v_lshlrev_b32_e32 v2, 16, v5
	s_waitcnt vmcnt(0)
	v_lshlrev_b32_e32 v5, 16, v6
	v_cmp_neq_f32_e32 vcc, v5, v2
	v_cndmask_b32_e64 v2, 0, 1, vcc
	v_and_b32_e32 v2, 0xffff, v2
	v_mov_b32_e32 v5, v1
	v_mov_b32_e32 v1, v2
	;; [unrolled: 1-line block ×5, first 2 shown]
.LBB2047_183:
	s_or_b64 exec, exec, s[0:1]
	v_or_b32_e32 v5, 0x100, v0
	v_cmp_gt_u32_e32 vcc, s14, v5
	s_and_saveexec_b64 s[2:3], vcc
	s_cbranch_execz .LBB2047_185
; %bb.184:
	v_lshlrev_b32_e32 v2, 1, v0
	global_load_ushort v5, v2, s[10:11] offset:512
	global_load_ushort v6, v2, s[8:9] offset:512
	s_waitcnt vmcnt(1)
	v_lshlrev_b32_e32 v2, 16, v5
	s_waitcnt vmcnt(0)
	v_lshlrev_b32_e32 v5, 16, v6
	v_cmp_neq_f32_e64 s[0:1], v5, v2
	v_cndmask_b32_e64 v2, 0, 1, s[0:1]
.LBB2047_185:
	s_or_b64 exec, exec, s[2:3]
	v_or_b32_e32 v5, 0x200, v0
	v_cmp_gt_u32_e64 s[0:1], s14, v5
	s_and_saveexec_b64 s[12:13], s[0:1]
	s_cbranch_execz .LBB2047_187
; %bb.186:
	v_lshlrev_b32_e32 v3, 1, v0
	global_load_ushort v5, v3, s[10:11] offset:1024
	global_load_ushort v6, v3, s[8:9] offset:1024
	s_waitcnt vmcnt(1)
	v_lshlrev_b32_e32 v3, 16, v5
	s_waitcnt vmcnt(0)
	v_lshlrev_b32_e32 v5, 16, v6
	v_cmp_neq_f32_e64 s[2:3], v5, v3
	v_cndmask_b32_e64 v3, 0, 1, s[2:3]
.LBB2047_187:
	s_or_b64 exec, exec, s[12:13]
	v_or_b32_e32 v5, 0x300, v0
	v_cmp_gt_u32_e64 s[2:3], s14, v5
	s_and_saveexec_b64 s[12:13], s[2:3]
	s_cbranch_execz .LBB2047_189
; %bb.188:
	v_lshlrev_b32_e32 v4, 1, v0
	global_load_ushort v5, v4, s[10:11] offset:1536
	global_load_ushort v6, v4, s[8:9] offset:1536
	s_waitcnt vmcnt(1)
	v_lshlrev_b32_e32 v4, 16, v5
	s_waitcnt vmcnt(0)
	v_lshlrev_b32_e32 v5, 16, v6
	v_cmp_neq_f32_e64 s[8:9], v5, v4
	v_cndmask_b32_e64 v4, 0, 1, s[8:9]
.LBB2047_189:
	s_or_b64 exec, exec, s[12:13]
	v_cndmask_b32_e32 v2, 0, v2, vcc
	v_add_u32_e32 v1, v2, v1
	v_cndmask_b32_e64 v2, 0, v3, s[0:1]
	v_cndmask_b32_e64 v3, 0, v4, s[2:3]
	v_add3_u32 v1, v1, v2, v3
	v_mbcnt_lo_u32_b32 v2, -1, 0
	v_mbcnt_hi_u32_b32 v2, -1, v2
	v_and_b32_e32 v4, 63, v2
	v_cmp_ne_u32_e32 vcc, 63, v4
	v_addc_co_u32_e32 v3, vcc, 0, v2, vcc
	v_lshlrev_b32_e32 v3, 2, v3
	ds_bpermute_b32 v3, v3, v1
	s_min_u32 s2, s14, 0x100
	v_and_b32_e32 v5, 0xc0, v0
	v_sub_u32_e64 v5, s2, v5 clamp
	v_add_u32_e32 v6, 1, v4
	v_cmp_lt_u32_e32 vcc, v6, v5
	s_waitcnt lgkmcnt(0)
	v_cndmask_b32_e32 v3, 0, v3, vcc
	v_cmp_gt_u32_e32 vcc, 62, v4
	v_add_u32_e32 v1, v3, v1
	v_cndmask_b32_e64 v3, 0, 2, vcc
	v_add_lshl_u32 v3, v3, v2, 2
	ds_bpermute_b32 v3, v3, v1
	v_add_u32_e32 v6, 2, v4
	v_cmp_lt_u32_e32 vcc, v6, v5
	v_add_u32_e32 v6, 4, v4
	s_waitcnt lgkmcnt(0)
	v_cndmask_b32_e32 v3, 0, v3, vcc
	v_cmp_gt_u32_e32 vcc, 60, v4
	v_add_u32_e32 v1, v1, v3
	v_cndmask_b32_e64 v3, 0, 4, vcc
	v_add_lshl_u32 v3, v3, v2, 2
	ds_bpermute_b32 v3, v3, v1
	v_cmp_lt_u32_e32 vcc, v6, v5
	v_add_u32_e32 v6, 8, v4
	s_waitcnt lgkmcnt(0)
	v_cndmask_b32_e32 v3, 0, v3, vcc
	v_cmp_gt_u32_e32 vcc, 56, v4
	v_add_u32_e32 v1, v1, v3
	v_cndmask_b32_e64 v3, 0, 8, vcc
	v_add_lshl_u32 v3, v3, v2, 2
	ds_bpermute_b32 v3, v3, v1
	;; [unrolled: 9-line block ×3, first 2 shown]
	v_cmp_lt_u32_e32 vcc, v6, v5
	v_add_u32_e32 v4, 32, v4
	s_waitcnt lgkmcnt(0)
	v_cndmask_b32_e32 v3, 0, v3, vcc
	v_add_u32_e32 v1, v1, v3
	v_lshlrev_b32_e32 v3, 2, v2
	v_or_b32_e32 v6, 0x80, v3
	ds_bpermute_b32 v6, v6, v1
	v_cmp_lt_u32_e32 vcc, v4, v5
	s_waitcnt lgkmcnt(0)
	v_cndmask_b32_e32 v4, 0, v6, vcc
	v_add_u32_e32 v1, v1, v4
	v_cmp_eq_u32_e32 vcc, 0, v2
	s_and_saveexec_b64 s[0:1], vcc
; %bb.190:
	v_lshrrev_b32_e32 v4, 4, v0
	v_and_b32_e32 v4, 12, v4
	ds_write_b32 v4, v1 offset:96
; %bb.191:
	s_or_b64 exec, exec, s[0:1]
	v_cmp_gt_u32_e32 vcc, 4, v0
	s_waitcnt lgkmcnt(0)
	s_barrier
	s_and_saveexec_b64 s[0:1], vcc
	s_cbranch_execz .LBB2047_193
; %bb.192:
	ds_read_b32 v1, v3 offset:96
	v_and_b32_e32 v4, 3, v2
	v_cmp_ne_u32_e32 vcc, 3, v4
	v_addc_co_u32_e32 v2, vcc, 0, v2, vcc
	v_lshlrev_b32_e32 v2, 2, v2
	s_waitcnt lgkmcnt(0)
	ds_bpermute_b32 v2, v2, v1
	s_add_i32 s2, s2, 63
	s_lshr_b32 s2, s2, 6
	v_add_u32_e32 v5, 1, v4
	v_cmp_gt_u32_e32 vcc, s2, v5
	s_waitcnt lgkmcnt(0)
	v_cndmask_b32_e32 v2, 0, v2, vcc
	v_add_u32_e32 v1, v2, v1
	v_or_b32_e32 v2, 8, v3
	ds_bpermute_b32 v2, v2, v1
	v_add_u32_e32 v3, 2, v4
	v_cmp_gt_u32_e32 vcc, s2, v3
	s_waitcnt lgkmcnt(0)
	v_cndmask_b32_e32 v2, 0, v2, vcc
	v_add_u32_e32 v1, v1, v2
.LBB2047_193:
	s_or_b64 exec, exec, s[0:1]
.LBB2047_194:
	v_cmp_eq_u32_e64 s[0:1], 0, v0
	s_branch .LBB2047_178
.LBB2047_195:
	s_cmp_eq_u32 s33, 2
	s_cbranch_scc0 .LBB2047_202
; %bb.196:
	s_mov_b32 s7, 0
	s_lshl_b32 s10, s6, 9
	s_mov_b32 s11, s7
	s_lshr_b64 s[0:1], s[36:37], 9
	s_lshl_b64 s[8:9], s[10:11], 1
	s_add_u32 s2, s40, s8
	s_addc_u32 s3, s41, s9
	s_add_u32 s8, s42, s8
	s_addc_u32 s9, s43, s9
	s_cmp_lg_u64 s[0:1], s[6:7]
	s_cbranch_scc0 .LBB2047_203
; %bb.197:
	v_lshlrev_b32_e32 v1, 1, v0
	global_load_ushort v4, v1, s[8:9]
	global_load_ushort v5, v1, s[2:3]
	global_load_ushort v6, v1, s[8:9] offset:512
	global_load_ushort v7, v1, s[2:3] offset:512
	v_mbcnt_lo_u32_b32 v1, -1, 0
	v_mbcnt_hi_u32_b32 v2, -1, v1
	v_lshlrev_b32_e32 v3, 2, v2
	s_waitcnt vmcnt(3)
	v_lshlrev_b32_e32 v1, 16, v4
	s_waitcnt vmcnt(2)
	;; [unrolled: 2-line block ×4, first 2 shown]
	v_lshlrev_b32_e32 v6, 16, v7
	v_cmp_neq_f32_e32 vcc, v4, v1
	v_cndmask_b32_e64 v1, 0, 1, vcc
	v_cmp_neq_f32_e32 vcc, v6, v5
	v_addc_co_u32_e64 v4, s[0:1], 0, v1, vcc
	s_nop 1
	v_mov_b32_dpp v4, v4 quad_perm:[1,0,3,2] row_mask:0xf bank_mask:0xf bound_ctrl:1
	v_addc_co_u32_e32 v1, vcc, v4, v1, vcc
	v_or_b32_e32 v4, 0xfc, v3
	s_nop 0
	v_add_u32_dpp v1, v1, v1 quad_perm:[2,3,0,1] row_mask:0xf bank_mask:0xf bound_ctrl:1
	v_cmp_eq_u32_e32 vcc, 0, v2
	s_nop 0
	v_add_u32_dpp v1, v1, v1 row_ror:4 row_mask:0xf bank_mask:0xf bound_ctrl:1
	s_nop 1
	v_add_u32_dpp v1, v1, v1 row_ror:8 row_mask:0xf bank_mask:0xf bound_ctrl:1
	s_nop 1
	v_add_u32_dpp v1, v1, v1 row_bcast:15 row_mask:0xf bank_mask:0xf bound_ctrl:1
	s_nop 1
	v_add_u32_dpp v1, v1, v1 row_bcast:31 row_mask:0xf bank_mask:0xf bound_ctrl:1
	ds_bpermute_b32 v1, v4, v1
	s_and_saveexec_b64 s[0:1], vcc
	s_cbranch_execz .LBB2047_199
; %bb.198:
	v_lshrrev_b32_e32 v4, 4, v0
	v_and_b32_e32 v4, 12, v4
	s_waitcnt lgkmcnt(0)
	ds_write_b32 v4, v1 offset:32
.LBB2047_199:
	s_or_b64 exec, exec, s[0:1]
	v_cmp_gt_u32_e32 vcc, 64, v0
	s_waitcnt lgkmcnt(0)
	s_barrier
	s_and_saveexec_b64 s[0:1], vcc
	s_cbranch_execz .LBB2047_201
; %bb.200:
	v_and_b32_e32 v1, 3, v2
	v_lshlrev_b32_e32 v4, 2, v1
	ds_read_b32 v4, v4 offset:32
	v_cmp_ne_u32_e32 vcc, 3, v1
	v_addc_co_u32_e32 v1, vcc, 0, v2, vcc
	v_lshlrev_b32_e32 v1, 2, v1
	s_waitcnt lgkmcnt(0)
	ds_bpermute_b32 v1, v1, v4
	v_or_b32_e32 v2, 8, v3
	s_waitcnt lgkmcnt(0)
	v_add_u32_e32 v1, v1, v4
	ds_bpermute_b32 v2, v2, v1
	s_waitcnt lgkmcnt(0)
	v_add_u32_e32 v1, v2, v1
.LBB2047_201:
	s_or_b64 exec, exec, s[0:1]
	s_mov_b64 s[0:1], 0
	s_branch .LBB2047_204
.LBB2047_202:
                                        ; implicit-def: $vgpr1
	s_branch .LBB2047_224
.LBB2047_203:
	s_mov_b64 s[0:1], -1
                                        ; implicit-def: $vgpr1
.LBB2047_204:
	s_and_b64 vcc, exec, s[0:1]
	s_cbranch_vccz .LBB2047_214
; %bb.205:
	s_sub_i32 s12, s36, s10
	v_mov_b32_e32 v1, 0
	v_cmp_gt_u32_e32 vcc, s12, v0
	v_mov_b32_e32 v2, v1
	s_and_saveexec_b64 s[0:1], vcc
	s_cbranch_execz .LBB2047_207
; %bb.206:
	v_lshlrev_b32_e32 v2, 1, v0
	global_load_ushort v3, v2, s[8:9]
	global_load_ushort v4, v2, s[2:3]
	s_waitcnt vmcnt(1)
	v_lshlrev_b32_e32 v2, 16, v3
	s_waitcnt vmcnt(0)
	v_lshlrev_b32_e32 v3, 16, v4
	v_cmp_neq_f32_e32 vcc, v3, v2
	v_cndmask_b32_e64 v2, 0, 1, vcc
	v_and_b32_e32 v2, 0xffff, v2
	v_mov_b32_e32 v3, v1
	v_mov_b32_e32 v1, v2
	;; [unrolled: 1-line block ×3, first 2 shown]
.LBB2047_207:
	s_or_b64 exec, exec, s[0:1]
	v_or_b32_e32 v3, 0x100, v0
	v_cmp_gt_u32_e32 vcc, s12, v3
	s_and_saveexec_b64 s[10:11], vcc
	s_cbranch_execz .LBB2047_209
; %bb.208:
	v_lshlrev_b32_e32 v2, 1, v0
	global_load_ushort v3, v2, s[8:9] offset:512
	global_load_ushort v4, v2, s[2:3] offset:512
	s_waitcnt vmcnt(1)
	v_lshlrev_b32_e32 v2, 16, v3
	s_waitcnt vmcnt(0)
	v_lshlrev_b32_e32 v3, 16, v4
	v_cmp_neq_f32_e64 s[0:1], v3, v2
	v_cndmask_b32_e64 v2, 0, 1, s[0:1]
.LBB2047_209:
	s_or_b64 exec, exec, s[10:11]
	v_cndmask_b32_e32 v2, 0, v2, vcc
	v_add_u32_e32 v1, v2, v1
	v_mbcnt_lo_u32_b32 v2, -1, 0
	v_mbcnt_hi_u32_b32 v2, -1, v2
	v_and_b32_e32 v4, 63, v2
	v_cmp_ne_u32_e32 vcc, 63, v4
	v_addc_co_u32_e32 v3, vcc, 0, v2, vcc
	v_lshlrev_b32_e32 v3, 2, v3
	ds_bpermute_b32 v3, v3, v1
	s_min_u32 s2, s12, 0x100
	v_and_b32_e32 v5, 0xc0, v0
	v_sub_u32_e64 v5, s2, v5 clamp
	v_add_u32_e32 v6, 1, v4
	v_cmp_lt_u32_e32 vcc, v6, v5
	s_waitcnt lgkmcnt(0)
	v_cndmask_b32_e32 v3, 0, v3, vcc
	v_cmp_gt_u32_e32 vcc, 62, v4
	v_add_u32_e32 v1, v3, v1
	v_cndmask_b32_e64 v3, 0, 2, vcc
	v_add_lshl_u32 v3, v3, v2, 2
	ds_bpermute_b32 v3, v3, v1
	v_add_u32_e32 v6, 2, v4
	v_cmp_lt_u32_e32 vcc, v6, v5
	v_add_u32_e32 v6, 4, v4
	s_waitcnt lgkmcnt(0)
	v_cndmask_b32_e32 v3, 0, v3, vcc
	v_cmp_gt_u32_e32 vcc, 60, v4
	v_add_u32_e32 v1, v1, v3
	v_cndmask_b32_e64 v3, 0, 4, vcc
	v_add_lshl_u32 v3, v3, v2, 2
	ds_bpermute_b32 v3, v3, v1
	v_cmp_lt_u32_e32 vcc, v6, v5
	v_add_u32_e32 v6, 8, v4
	s_waitcnt lgkmcnt(0)
	v_cndmask_b32_e32 v3, 0, v3, vcc
	v_cmp_gt_u32_e32 vcc, 56, v4
	v_add_u32_e32 v1, v1, v3
	v_cndmask_b32_e64 v3, 0, 8, vcc
	v_add_lshl_u32 v3, v3, v2, 2
	ds_bpermute_b32 v3, v3, v1
	;; [unrolled: 9-line block ×3, first 2 shown]
	v_cmp_lt_u32_e32 vcc, v6, v5
	v_add_u32_e32 v4, 32, v4
	s_waitcnt lgkmcnt(0)
	v_cndmask_b32_e32 v3, 0, v3, vcc
	v_add_u32_e32 v1, v1, v3
	v_lshlrev_b32_e32 v3, 2, v2
	v_or_b32_e32 v6, 0x80, v3
	ds_bpermute_b32 v6, v6, v1
	v_cmp_lt_u32_e32 vcc, v4, v5
	s_waitcnt lgkmcnt(0)
	v_cndmask_b32_e32 v4, 0, v6, vcc
	v_add_u32_e32 v1, v1, v4
	v_cmp_eq_u32_e32 vcc, 0, v2
	s_and_saveexec_b64 s[0:1], vcc
; %bb.210:
	v_lshrrev_b32_e32 v4, 4, v0
	v_and_b32_e32 v4, 12, v4
	ds_write_b32 v4, v1 offset:96
; %bb.211:
	s_or_b64 exec, exec, s[0:1]
	v_cmp_gt_u32_e32 vcc, 4, v0
	s_waitcnt lgkmcnt(0)
	s_barrier
	s_and_saveexec_b64 s[0:1], vcc
	s_cbranch_execz .LBB2047_213
; %bb.212:
	ds_read_b32 v1, v3 offset:96
	v_and_b32_e32 v4, 3, v2
	v_cmp_ne_u32_e32 vcc, 3, v4
	v_addc_co_u32_e32 v2, vcc, 0, v2, vcc
	v_lshlrev_b32_e32 v2, 2, v2
	s_waitcnt lgkmcnt(0)
	ds_bpermute_b32 v2, v2, v1
	s_add_i32 s2, s2, 63
	s_lshr_b32 s2, s2, 6
	v_add_u32_e32 v5, 1, v4
	v_cmp_gt_u32_e32 vcc, s2, v5
	s_waitcnt lgkmcnt(0)
	v_cndmask_b32_e32 v2, 0, v2, vcc
	v_add_u32_e32 v1, v2, v1
	v_or_b32_e32 v2, 8, v3
	ds_bpermute_b32 v2, v2, v1
	v_add_u32_e32 v3, 2, v4
	v_cmp_gt_u32_e32 vcc, s2, v3
	s_waitcnt lgkmcnt(0)
	v_cndmask_b32_e32 v2, 0, v2, vcc
	v_add_u32_e32 v1, v1, v2
.LBB2047_213:
	s_or_b64 exec, exec, s[0:1]
.LBB2047_214:
	v_cmp_eq_u32_e64 s[0:1], 0, v0
	s_branch .LBB2047_224
.LBB2047_215:
	s_cmp_eq_u32 s33, 1
	s_cbranch_scc0 .LBB2047_223
; %bb.216:
	s_mov_b32 s3, 0
	s_lshl_b32 s2, s6, 8
	s_mov_b32 s7, s3
	s_lshr_b64 s[0:1], s[36:37], 8
	s_cmp_lg_u64 s[0:1], s[6:7]
	v_mbcnt_lo_u32_b32 v2, -1, 0
	s_cbranch_scc0 .LBB2047_227
; %bb.217:
	s_lshl_b64 s[0:1], s[2:3], 1
	s_add_u32 s8, s40, s0
	s_addc_u32 s9, s41, s1
	s_add_u32 s0, s42, s0
	v_lshlrev_b32_e32 v1, 1, v0
	s_addc_u32 s1, s43, s1
	global_load_ushort v5, v1, s[8:9]
	global_load_ushort v6, v1, s[0:1]
	v_mbcnt_hi_u32_b32 v3, -1, v2
	v_lshlrev_b32_e32 v4, 2, v3
	s_waitcnt vmcnt(1)
	v_lshlrev_b32_e32 v1, 16, v5
	s_waitcnt vmcnt(0)
	v_lshlrev_b32_e32 v5, 16, v6
	v_cmp_neq_f32_e32 vcc, v1, v5
	v_cndmask_b32_e64 v1, 0, 1, vcc
	s_nop 1
	v_mov_b32_dpp v1, v1 quad_perm:[1,0,3,2] row_mask:0xf bank_mask:0xf bound_ctrl:1
	v_addc_co_u32_e64 v5, s[0:1], 0, v1, vcc
	s_nop 1
	v_mov_b32_dpp v5, v5 quad_perm:[2,3,0,1] row_mask:0xf bank_mask:0xf bound_ctrl:1
	v_addc_co_u32_e32 v1, vcc, v5, v1, vcc
	v_or_b32_e32 v5, 0xfc, v4
	s_nop 0
	v_add_u32_dpp v1, v1, v1 row_ror:4 row_mask:0xf bank_mask:0xf bound_ctrl:1
	v_cmp_eq_u32_e32 vcc, 0, v3
	s_nop 0
	v_add_u32_dpp v1, v1, v1 row_ror:8 row_mask:0xf bank_mask:0xf bound_ctrl:1
	s_nop 1
	v_add_u32_dpp v1, v1, v1 row_bcast:15 row_mask:0xf bank_mask:0xf bound_ctrl:1
	s_nop 1
	v_add_u32_dpp v1, v1, v1 row_bcast:31 row_mask:0xf bank_mask:0xf bound_ctrl:1
	ds_bpermute_b32 v1, v5, v1
	s_and_saveexec_b64 s[0:1], vcc
	s_cbranch_execz .LBB2047_219
; %bb.218:
	v_lshrrev_b32_e32 v5, 4, v0
	v_and_b32_e32 v5, 12, v5
	s_waitcnt lgkmcnt(0)
	ds_write_b32 v5, v1 offset:16
.LBB2047_219:
	s_or_b64 exec, exec, s[0:1]
	v_cmp_gt_u32_e32 vcc, 64, v0
	s_waitcnt lgkmcnt(0)
	s_barrier
	s_and_saveexec_b64 s[0:1], vcc
	s_cbranch_execz .LBB2047_221
; %bb.220:
	v_and_b32_e32 v1, 3, v3
	v_lshlrev_b32_e32 v5, 2, v1
	ds_read_b32 v5, v5 offset:16
	v_cmp_ne_u32_e32 vcc, 3, v1
	v_addc_co_u32_e32 v1, vcc, 0, v3, vcc
	v_lshlrev_b32_e32 v1, 2, v1
	s_waitcnt lgkmcnt(0)
	ds_bpermute_b32 v1, v1, v5
	v_or_b32_e32 v3, 8, v4
	s_waitcnt lgkmcnt(0)
	v_add_u32_e32 v1, v1, v5
	ds_bpermute_b32 v3, v3, v1
	s_waitcnt lgkmcnt(0)
	v_add_u32_e32 v1, v3, v1
.LBB2047_221:
	s_or_b64 exec, exec, s[0:1]
.LBB2047_222:
	v_cmp_eq_u32_e64 s[0:1], 0, v0
	s_and_saveexec_b64 s[2:3], s[0:1]
	s_cbranch_execnz .LBB2047_225
	s_branch .LBB2047_226
.LBB2047_223:
                                        ; implicit-def: $vgpr1
                                        ; implicit-def: $sgpr6_sgpr7
.LBB2047_224:
	s_and_saveexec_b64 s[2:3], s[0:1]
	s_cbranch_execz .LBB2047_226
.LBB2047_225:
	s_lshl_b64 s[0:1], s[6:7], 2
	s_load_dword s2, s[4:5], 0x30
	s_add_u32 s0, s38, s0
	s_addc_u32 s1, s39, s1
	s_cmp_lg_u64 s[36:37], 0
	s_cselect_b64 vcc, -1, 0
	v_cndmask_b32_e32 v1, 0, v1, vcc
	v_mov_b32_e32 v0, 0
	s_waitcnt lgkmcnt(0)
	v_add_u32_e32 v1, s2, v1
	global_store_dword v0, v1, s[0:1]
.LBB2047_226:
	s_endpgm
.LBB2047_227:
                                        ; implicit-def: $vgpr1
	s_cbranch_execz .LBB2047_222
; %bb.228:
	s_sub_i32 s8, s36, s2
	v_cmp_gt_u32_e32 vcc, s8, v0
                                        ; implicit-def: $vgpr1
	s_and_saveexec_b64 s[0:1], vcc
	s_cbranch_execz .LBB2047_230
; %bb.229:
	s_lshl_b64 s[2:3], s[2:3], 1
	s_add_u32 s10, s42, s2
	s_addc_u32 s11, s43, s3
	s_add_u32 s2, s40, s2
	v_lshlrev_b32_e32 v1, 1, v0
	s_addc_u32 s3, s41, s3
	global_load_ushort v3, v1, s[10:11]
	global_load_ushort v4, v1, s[2:3]
	s_waitcnt vmcnt(1)
	v_lshlrev_b32_e32 v1, 16, v3
	s_waitcnt vmcnt(0)
	v_lshlrev_b32_e32 v3, 16, v4
	v_cmp_neq_f32_e32 vcc, v3, v1
	v_cndmask_b32_e64 v1, 0, 1, vcc
.LBB2047_230:
	s_or_b64 exec, exec, s[0:1]
	v_mbcnt_hi_u32_b32 v2, -1, v2
	v_and_b32_e32 v4, 63, v2
	v_cmp_ne_u32_e32 vcc, 63, v4
	v_addc_co_u32_e32 v3, vcc, 0, v2, vcc
	v_lshlrev_b32_e32 v3, 2, v3
	ds_bpermute_b32 v3, v3, v1
	s_min_u32 s2, s8, 0x100
	v_and_b32_e32 v5, 0xc0, v0
	v_sub_u32_e64 v5, s2, v5 clamp
	v_add_u32_e32 v6, 1, v4
	v_cmp_lt_u32_e32 vcc, v6, v5
	s_waitcnt lgkmcnt(0)
	v_cndmask_b32_e32 v3, 0, v3, vcc
	v_cmp_gt_u32_e32 vcc, 62, v4
	v_add_u32_e32 v1, v3, v1
	v_cndmask_b32_e64 v3, 0, 2, vcc
	v_add_lshl_u32 v3, v3, v2, 2
	ds_bpermute_b32 v3, v3, v1
	v_add_u32_e32 v6, 2, v4
	v_cmp_lt_u32_e32 vcc, v6, v5
	v_add_u32_e32 v6, 4, v4
	s_waitcnt lgkmcnt(0)
	v_cndmask_b32_e32 v3, 0, v3, vcc
	v_cmp_gt_u32_e32 vcc, 60, v4
	v_add_u32_e32 v1, v1, v3
	v_cndmask_b32_e64 v3, 0, 4, vcc
	v_add_lshl_u32 v3, v3, v2, 2
	ds_bpermute_b32 v3, v3, v1
	v_cmp_lt_u32_e32 vcc, v6, v5
	v_add_u32_e32 v6, 8, v4
	s_waitcnt lgkmcnt(0)
	v_cndmask_b32_e32 v3, 0, v3, vcc
	v_cmp_gt_u32_e32 vcc, 56, v4
	v_add_u32_e32 v1, v1, v3
	v_cndmask_b32_e64 v3, 0, 8, vcc
	v_add_lshl_u32 v3, v3, v2, 2
	ds_bpermute_b32 v3, v3, v1
	;; [unrolled: 9-line block ×3, first 2 shown]
	v_cmp_lt_u32_e32 vcc, v6, v5
	v_add_u32_e32 v4, 32, v4
	s_waitcnt lgkmcnt(0)
	v_cndmask_b32_e32 v3, 0, v3, vcc
	v_add_u32_e32 v1, v1, v3
	v_lshlrev_b32_e32 v3, 2, v2
	v_or_b32_e32 v6, 0x80, v3
	ds_bpermute_b32 v6, v6, v1
	v_cmp_lt_u32_e32 vcc, v4, v5
	s_waitcnt lgkmcnt(0)
	v_cndmask_b32_e32 v4, 0, v6, vcc
	v_add_u32_e32 v1, v1, v4
	v_cmp_eq_u32_e32 vcc, 0, v2
	s_and_saveexec_b64 s[0:1], vcc
; %bb.231:
	v_lshrrev_b32_e32 v4, 4, v0
	v_and_b32_e32 v4, 12, v4
	ds_write_b32 v4, v1 offset:96
; %bb.232:
	s_or_b64 exec, exec, s[0:1]
	v_cmp_gt_u32_e32 vcc, 4, v0
	s_waitcnt lgkmcnt(0)
	s_barrier
	s_and_saveexec_b64 s[0:1], vcc
	s_cbranch_execz .LBB2047_234
; %bb.233:
	ds_read_b32 v1, v3 offset:96
	v_and_b32_e32 v4, 3, v2
	v_cmp_ne_u32_e32 vcc, 3, v4
	v_addc_co_u32_e32 v2, vcc, 0, v2, vcc
	v_lshlrev_b32_e32 v2, 2, v2
	s_waitcnt lgkmcnt(0)
	ds_bpermute_b32 v2, v2, v1
	s_add_i32 s2, s2, 63
	s_lshr_b32 s2, s2, 6
	v_add_u32_e32 v5, 1, v4
	v_cmp_gt_u32_e32 vcc, s2, v5
	s_waitcnt lgkmcnt(0)
	v_cndmask_b32_e32 v2, 0, v2, vcc
	v_add_u32_e32 v1, v2, v1
	v_or_b32_e32 v2, 8, v3
	ds_bpermute_b32 v2, v2, v1
	v_add_u32_e32 v3, 2, v4
	v_cmp_gt_u32_e32 vcc, s2, v3
	s_waitcnt lgkmcnt(0)
	v_cndmask_b32_e32 v2, 0, v2, vcc
	v_add_u32_e32 v1, v1, v2
.LBB2047_234:
	s_or_b64 exec, exec, s[0:1]
	v_cmp_eq_u32_e64 s[0:1], 0, v0
	s_and_saveexec_b64 s[2:3], s[0:1]
	s_cbranch_execnz .LBB2047_225
	s_branch .LBB2047_226
	.section	.rodata,"a",@progbits
	.p2align	6, 0x0
	.amdhsa_kernel _ZN7rocprim17ROCPRIM_400000_NS6detail17trampoline_kernelINS0_14default_configENS1_22reduce_config_selectorIiEEZNS1_11reduce_implILb1ES3_N6thrust23THRUST_200600_302600_NS11hip_rocprim35transform_pair_of_input_iterators_tIiPN3c108BFloat16ESD_NS8_12not_equal_toISC_EEEEPiiNS8_4plusIiEEEE10hipError_tPvRmT1_T2_T3_mT4_P12ihipStream_tbEUlT_E1_NS1_11comp_targetILNS1_3genE2ELNS1_11target_archE906ELNS1_3gpuE6ELNS1_3repE0EEENS1_30default_config_static_selectorELNS0_4arch9wavefront6targetE1EEEvSN_
		.amdhsa_group_segment_fixed_size 112
		.amdhsa_private_segment_fixed_size 0
		.amdhsa_kernarg_size 56
		.amdhsa_user_sgpr_count 6
		.amdhsa_user_sgpr_private_segment_buffer 1
		.amdhsa_user_sgpr_dispatch_ptr 0
		.amdhsa_user_sgpr_queue_ptr 0
		.amdhsa_user_sgpr_kernarg_segment_ptr 1
		.amdhsa_user_sgpr_dispatch_id 0
		.amdhsa_user_sgpr_flat_scratch_init 0
		.amdhsa_user_sgpr_private_segment_size 0
		.amdhsa_uses_dynamic_stack 0
		.amdhsa_system_sgpr_private_segment_wavefront_offset 0
		.amdhsa_system_sgpr_workgroup_id_x 1
		.amdhsa_system_sgpr_workgroup_id_y 0
		.amdhsa_system_sgpr_workgroup_id_z 0
		.amdhsa_system_sgpr_workgroup_info 0
		.amdhsa_system_vgpr_workitem_id 0
		.amdhsa_next_free_vgpr 35
		.amdhsa_next_free_sgpr 52
		.amdhsa_reserve_vcc 1
		.amdhsa_reserve_flat_scratch 0
		.amdhsa_float_round_mode_32 0
		.amdhsa_float_round_mode_16_64 0
		.amdhsa_float_denorm_mode_32 3
		.amdhsa_float_denorm_mode_16_64 3
		.amdhsa_dx10_clamp 1
		.amdhsa_ieee_mode 1
		.amdhsa_fp16_overflow 0
		.amdhsa_exception_fp_ieee_invalid_op 0
		.amdhsa_exception_fp_denorm_src 0
		.amdhsa_exception_fp_ieee_div_zero 0
		.amdhsa_exception_fp_ieee_overflow 0
		.amdhsa_exception_fp_ieee_underflow 0
		.amdhsa_exception_fp_ieee_inexact 0
		.amdhsa_exception_int_div_zero 0
	.end_amdhsa_kernel
	.section	.text._ZN7rocprim17ROCPRIM_400000_NS6detail17trampoline_kernelINS0_14default_configENS1_22reduce_config_selectorIiEEZNS1_11reduce_implILb1ES3_N6thrust23THRUST_200600_302600_NS11hip_rocprim35transform_pair_of_input_iterators_tIiPN3c108BFloat16ESD_NS8_12not_equal_toISC_EEEEPiiNS8_4plusIiEEEE10hipError_tPvRmT1_T2_T3_mT4_P12ihipStream_tbEUlT_E1_NS1_11comp_targetILNS1_3genE2ELNS1_11target_archE906ELNS1_3gpuE6ELNS1_3repE0EEENS1_30default_config_static_selectorELNS0_4arch9wavefront6targetE1EEEvSN_,"axG",@progbits,_ZN7rocprim17ROCPRIM_400000_NS6detail17trampoline_kernelINS0_14default_configENS1_22reduce_config_selectorIiEEZNS1_11reduce_implILb1ES3_N6thrust23THRUST_200600_302600_NS11hip_rocprim35transform_pair_of_input_iterators_tIiPN3c108BFloat16ESD_NS8_12not_equal_toISC_EEEEPiiNS8_4plusIiEEEE10hipError_tPvRmT1_T2_T3_mT4_P12ihipStream_tbEUlT_E1_NS1_11comp_targetILNS1_3genE2ELNS1_11target_archE906ELNS1_3gpuE6ELNS1_3repE0EEENS1_30default_config_static_selectorELNS0_4arch9wavefront6targetE1EEEvSN_,comdat
.Lfunc_end2047:
	.size	_ZN7rocprim17ROCPRIM_400000_NS6detail17trampoline_kernelINS0_14default_configENS1_22reduce_config_selectorIiEEZNS1_11reduce_implILb1ES3_N6thrust23THRUST_200600_302600_NS11hip_rocprim35transform_pair_of_input_iterators_tIiPN3c108BFloat16ESD_NS8_12not_equal_toISC_EEEEPiiNS8_4plusIiEEEE10hipError_tPvRmT1_T2_T3_mT4_P12ihipStream_tbEUlT_E1_NS1_11comp_targetILNS1_3genE2ELNS1_11target_archE906ELNS1_3gpuE6ELNS1_3repE0EEENS1_30default_config_static_selectorELNS0_4arch9wavefront6targetE1EEEvSN_, .Lfunc_end2047-_ZN7rocprim17ROCPRIM_400000_NS6detail17trampoline_kernelINS0_14default_configENS1_22reduce_config_selectorIiEEZNS1_11reduce_implILb1ES3_N6thrust23THRUST_200600_302600_NS11hip_rocprim35transform_pair_of_input_iterators_tIiPN3c108BFloat16ESD_NS8_12not_equal_toISC_EEEEPiiNS8_4plusIiEEEE10hipError_tPvRmT1_T2_T3_mT4_P12ihipStream_tbEUlT_E1_NS1_11comp_targetILNS1_3genE2ELNS1_11target_archE906ELNS1_3gpuE6ELNS1_3repE0EEENS1_30default_config_static_selectorELNS0_4arch9wavefront6targetE1EEEvSN_
                                        ; -- End function
	.set _ZN7rocprim17ROCPRIM_400000_NS6detail17trampoline_kernelINS0_14default_configENS1_22reduce_config_selectorIiEEZNS1_11reduce_implILb1ES3_N6thrust23THRUST_200600_302600_NS11hip_rocprim35transform_pair_of_input_iterators_tIiPN3c108BFloat16ESD_NS8_12not_equal_toISC_EEEEPiiNS8_4plusIiEEEE10hipError_tPvRmT1_T2_T3_mT4_P12ihipStream_tbEUlT_E1_NS1_11comp_targetILNS1_3genE2ELNS1_11target_archE906ELNS1_3gpuE6ELNS1_3repE0EEENS1_30default_config_static_selectorELNS0_4arch9wavefront6targetE1EEEvSN_.num_vgpr, 35
	.set _ZN7rocprim17ROCPRIM_400000_NS6detail17trampoline_kernelINS0_14default_configENS1_22reduce_config_selectorIiEEZNS1_11reduce_implILb1ES3_N6thrust23THRUST_200600_302600_NS11hip_rocprim35transform_pair_of_input_iterators_tIiPN3c108BFloat16ESD_NS8_12not_equal_toISC_EEEEPiiNS8_4plusIiEEEE10hipError_tPvRmT1_T2_T3_mT4_P12ihipStream_tbEUlT_E1_NS1_11comp_targetILNS1_3genE2ELNS1_11target_archE906ELNS1_3gpuE6ELNS1_3repE0EEENS1_30default_config_static_selectorELNS0_4arch9wavefront6targetE1EEEvSN_.num_agpr, 0
	.set _ZN7rocprim17ROCPRIM_400000_NS6detail17trampoline_kernelINS0_14default_configENS1_22reduce_config_selectorIiEEZNS1_11reduce_implILb1ES3_N6thrust23THRUST_200600_302600_NS11hip_rocprim35transform_pair_of_input_iterators_tIiPN3c108BFloat16ESD_NS8_12not_equal_toISC_EEEEPiiNS8_4plusIiEEEE10hipError_tPvRmT1_T2_T3_mT4_P12ihipStream_tbEUlT_E1_NS1_11comp_targetILNS1_3genE2ELNS1_11target_archE906ELNS1_3gpuE6ELNS1_3repE0EEENS1_30default_config_static_selectorELNS0_4arch9wavefront6targetE1EEEvSN_.numbered_sgpr, 52
	.set _ZN7rocprim17ROCPRIM_400000_NS6detail17trampoline_kernelINS0_14default_configENS1_22reduce_config_selectorIiEEZNS1_11reduce_implILb1ES3_N6thrust23THRUST_200600_302600_NS11hip_rocprim35transform_pair_of_input_iterators_tIiPN3c108BFloat16ESD_NS8_12not_equal_toISC_EEEEPiiNS8_4plusIiEEEE10hipError_tPvRmT1_T2_T3_mT4_P12ihipStream_tbEUlT_E1_NS1_11comp_targetILNS1_3genE2ELNS1_11target_archE906ELNS1_3gpuE6ELNS1_3repE0EEENS1_30default_config_static_selectorELNS0_4arch9wavefront6targetE1EEEvSN_.num_named_barrier, 0
	.set _ZN7rocprim17ROCPRIM_400000_NS6detail17trampoline_kernelINS0_14default_configENS1_22reduce_config_selectorIiEEZNS1_11reduce_implILb1ES3_N6thrust23THRUST_200600_302600_NS11hip_rocprim35transform_pair_of_input_iterators_tIiPN3c108BFloat16ESD_NS8_12not_equal_toISC_EEEEPiiNS8_4plusIiEEEE10hipError_tPvRmT1_T2_T3_mT4_P12ihipStream_tbEUlT_E1_NS1_11comp_targetILNS1_3genE2ELNS1_11target_archE906ELNS1_3gpuE6ELNS1_3repE0EEENS1_30default_config_static_selectorELNS0_4arch9wavefront6targetE1EEEvSN_.private_seg_size, 0
	.set _ZN7rocprim17ROCPRIM_400000_NS6detail17trampoline_kernelINS0_14default_configENS1_22reduce_config_selectorIiEEZNS1_11reduce_implILb1ES3_N6thrust23THRUST_200600_302600_NS11hip_rocprim35transform_pair_of_input_iterators_tIiPN3c108BFloat16ESD_NS8_12not_equal_toISC_EEEEPiiNS8_4plusIiEEEE10hipError_tPvRmT1_T2_T3_mT4_P12ihipStream_tbEUlT_E1_NS1_11comp_targetILNS1_3genE2ELNS1_11target_archE906ELNS1_3gpuE6ELNS1_3repE0EEENS1_30default_config_static_selectorELNS0_4arch9wavefront6targetE1EEEvSN_.uses_vcc, 1
	.set _ZN7rocprim17ROCPRIM_400000_NS6detail17trampoline_kernelINS0_14default_configENS1_22reduce_config_selectorIiEEZNS1_11reduce_implILb1ES3_N6thrust23THRUST_200600_302600_NS11hip_rocprim35transform_pair_of_input_iterators_tIiPN3c108BFloat16ESD_NS8_12not_equal_toISC_EEEEPiiNS8_4plusIiEEEE10hipError_tPvRmT1_T2_T3_mT4_P12ihipStream_tbEUlT_E1_NS1_11comp_targetILNS1_3genE2ELNS1_11target_archE906ELNS1_3gpuE6ELNS1_3repE0EEENS1_30default_config_static_selectorELNS0_4arch9wavefront6targetE1EEEvSN_.uses_flat_scratch, 0
	.set _ZN7rocprim17ROCPRIM_400000_NS6detail17trampoline_kernelINS0_14default_configENS1_22reduce_config_selectorIiEEZNS1_11reduce_implILb1ES3_N6thrust23THRUST_200600_302600_NS11hip_rocprim35transform_pair_of_input_iterators_tIiPN3c108BFloat16ESD_NS8_12not_equal_toISC_EEEEPiiNS8_4plusIiEEEE10hipError_tPvRmT1_T2_T3_mT4_P12ihipStream_tbEUlT_E1_NS1_11comp_targetILNS1_3genE2ELNS1_11target_archE906ELNS1_3gpuE6ELNS1_3repE0EEENS1_30default_config_static_selectorELNS0_4arch9wavefront6targetE1EEEvSN_.has_dyn_sized_stack, 0
	.set _ZN7rocprim17ROCPRIM_400000_NS6detail17trampoline_kernelINS0_14default_configENS1_22reduce_config_selectorIiEEZNS1_11reduce_implILb1ES3_N6thrust23THRUST_200600_302600_NS11hip_rocprim35transform_pair_of_input_iterators_tIiPN3c108BFloat16ESD_NS8_12not_equal_toISC_EEEEPiiNS8_4plusIiEEEE10hipError_tPvRmT1_T2_T3_mT4_P12ihipStream_tbEUlT_E1_NS1_11comp_targetILNS1_3genE2ELNS1_11target_archE906ELNS1_3gpuE6ELNS1_3repE0EEENS1_30default_config_static_selectorELNS0_4arch9wavefront6targetE1EEEvSN_.has_recursion, 0
	.set _ZN7rocprim17ROCPRIM_400000_NS6detail17trampoline_kernelINS0_14default_configENS1_22reduce_config_selectorIiEEZNS1_11reduce_implILb1ES3_N6thrust23THRUST_200600_302600_NS11hip_rocprim35transform_pair_of_input_iterators_tIiPN3c108BFloat16ESD_NS8_12not_equal_toISC_EEEEPiiNS8_4plusIiEEEE10hipError_tPvRmT1_T2_T3_mT4_P12ihipStream_tbEUlT_E1_NS1_11comp_targetILNS1_3genE2ELNS1_11target_archE906ELNS1_3gpuE6ELNS1_3repE0EEENS1_30default_config_static_selectorELNS0_4arch9wavefront6targetE1EEEvSN_.has_indirect_call, 0
	.section	.AMDGPU.csdata,"",@progbits
; Kernel info:
; codeLenInByte = 13424
; TotalNumSgprs: 56
; NumVgprs: 35
; ScratchSize: 0
; MemoryBound: 0
; FloatMode: 240
; IeeeMode: 1
; LDSByteSize: 112 bytes/workgroup (compile time only)
; SGPRBlocks: 6
; VGPRBlocks: 8
; NumSGPRsForWavesPerEU: 56
; NumVGPRsForWavesPerEU: 35
; Occupancy: 7
; WaveLimiterHint : 0
; COMPUTE_PGM_RSRC2:SCRATCH_EN: 0
; COMPUTE_PGM_RSRC2:USER_SGPR: 6
; COMPUTE_PGM_RSRC2:TRAP_HANDLER: 0
; COMPUTE_PGM_RSRC2:TGID_X_EN: 1
; COMPUTE_PGM_RSRC2:TGID_Y_EN: 0
; COMPUTE_PGM_RSRC2:TGID_Z_EN: 0
; COMPUTE_PGM_RSRC2:TIDIG_COMP_CNT: 0
	.section	.text._ZN7rocprim17ROCPRIM_400000_NS6detail17trampoline_kernelINS0_14default_configENS1_22reduce_config_selectorIiEEZNS1_11reduce_implILb1ES3_N6thrust23THRUST_200600_302600_NS11hip_rocprim35transform_pair_of_input_iterators_tIiPN3c108BFloat16ESD_NS8_12not_equal_toISC_EEEEPiiNS8_4plusIiEEEE10hipError_tPvRmT1_T2_T3_mT4_P12ihipStream_tbEUlT_E1_NS1_11comp_targetILNS1_3genE10ELNS1_11target_archE1201ELNS1_3gpuE5ELNS1_3repE0EEENS1_30default_config_static_selectorELNS0_4arch9wavefront6targetE1EEEvSN_,"axG",@progbits,_ZN7rocprim17ROCPRIM_400000_NS6detail17trampoline_kernelINS0_14default_configENS1_22reduce_config_selectorIiEEZNS1_11reduce_implILb1ES3_N6thrust23THRUST_200600_302600_NS11hip_rocprim35transform_pair_of_input_iterators_tIiPN3c108BFloat16ESD_NS8_12not_equal_toISC_EEEEPiiNS8_4plusIiEEEE10hipError_tPvRmT1_T2_T3_mT4_P12ihipStream_tbEUlT_E1_NS1_11comp_targetILNS1_3genE10ELNS1_11target_archE1201ELNS1_3gpuE5ELNS1_3repE0EEENS1_30default_config_static_selectorELNS0_4arch9wavefront6targetE1EEEvSN_,comdat
	.protected	_ZN7rocprim17ROCPRIM_400000_NS6detail17trampoline_kernelINS0_14default_configENS1_22reduce_config_selectorIiEEZNS1_11reduce_implILb1ES3_N6thrust23THRUST_200600_302600_NS11hip_rocprim35transform_pair_of_input_iterators_tIiPN3c108BFloat16ESD_NS8_12not_equal_toISC_EEEEPiiNS8_4plusIiEEEE10hipError_tPvRmT1_T2_T3_mT4_P12ihipStream_tbEUlT_E1_NS1_11comp_targetILNS1_3genE10ELNS1_11target_archE1201ELNS1_3gpuE5ELNS1_3repE0EEENS1_30default_config_static_selectorELNS0_4arch9wavefront6targetE1EEEvSN_ ; -- Begin function _ZN7rocprim17ROCPRIM_400000_NS6detail17trampoline_kernelINS0_14default_configENS1_22reduce_config_selectorIiEEZNS1_11reduce_implILb1ES3_N6thrust23THRUST_200600_302600_NS11hip_rocprim35transform_pair_of_input_iterators_tIiPN3c108BFloat16ESD_NS8_12not_equal_toISC_EEEEPiiNS8_4plusIiEEEE10hipError_tPvRmT1_T2_T3_mT4_P12ihipStream_tbEUlT_E1_NS1_11comp_targetILNS1_3genE10ELNS1_11target_archE1201ELNS1_3gpuE5ELNS1_3repE0EEENS1_30default_config_static_selectorELNS0_4arch9wavefront6targetE1EEEvSN_
	.globl	_ZN7rocprim17ROCPRIM_400000_NS6detail17trampoline_kernelINS0_14default_configENS1_22reduce_config_selectorIiEEZNS1_11reduce_implILb1ES3_N6thrust23THRUST_200600_302600_NS11hip_rocprim35transform_pair_of_input_iterators_tIiPN3c108BFloat16ESD_NS8_12not_equal_toISC_EEEEPiiNS8_4plusIiEEEE10hipError_tPvRmT1_T2_T3_mT4_P12ihipStream_tbEUlT_E1_NS1_11comp_targetILNS1_3genE10ELNS1_11target_archE1201ELNS1_3gpuE5ELNS1_3repE0EEENS1_30default_config_static_selectorELNS0_4arch9wavefront6targetE1EEEvSN_
	.p2align	8
	.type	_ZN7rocprim17ROCPRIM_400000_NS6detail17trampoline_kernelINS0_14default_configENS1_22reduce_config_selectorIiEEZNS1_11reduce_implILb1ES3_N6thrust23THRUST_200600_302600_NS11hip_rocprim35transform_pair_of_input_iterators_tIiPN3c108BFloat16ESD_NS8_12not_equal_toISC_EEEEPiiNS8_4plusIiEEEE10hipError_tPvRmT1_T2_T3_mT4_P12ihipStream_tbEUlT_E1_NS1_11comp_targetILNS1_3genE10ELNS1_11target_archE1201ELNS1_3gpuE5ELNS1_3repE0EEENS1_30default_config_static_selectorELNS0_4arch9wavefront6targetE1EEEvSN_,@function
_ZN7rocprim17ROCPRIM_400000_NS6detail17trampoline_kernelINS0_14default_configENS1_22reduce_config_selectorIiEEZNS1_11reduce_implILb1ES3_N6thrust23THRUST_200600_302600_NS11hip_rocprim35transform_pair_of_input_iterators_tIiPN3c108BFloat16ESD_NS8_12not_equal_toISC_EEEEPiiNS8_4plusIiEEEE10hipError_tPvRmT1_T2_T3_mT4_P12ihipStream_tbEUlT_E1_NS1_11comp_targetILNS1_3genE10ELNS1_11target_archE1201ELNS1_3gpuE5ELNS1_3repE0EEENS1_30default_config_static_selectorELNS0_4arch9wavefront6targetE1EEEvSN_: ; @_ZN7rocprim17ROCPRIM_400000_NS6detail17trampoline_kernelINS0_14default_configENS1_22reduce_config_selectorIiEEZNS1_11reduce_implILb1ES3_N6thrust23THRUST_200600_302600_NS11hip_rocprim35transform_pair_of_input_iterators_tIiPN3c108BFloat16ESD_NS8_12not_equal_toISC_EEEEPiiNS8_4plusIiEEEE10hipError_tPvRmT1_T2_T3_mT4_P12ihipStream_tbEUlT_E1_NS1_11comp_targetILNS1_3genE10ELNS1_11target_archE1201ELNS1_3gpuE5ELNS1_3repE0EEENS1_30default_config_static_selectorELNS0_4arch9wavefront6targetE1EEEvSN_
; %bb.0:
	.section	.rodata,"a",@progbits
	.p2align	6, 0x0
	.amdhsa_kernel _ZN7rocprim17ROCPRIM_400000_NS6detail17trampoline_kernelINS0_14default_configENS1_22reduce_config_selectorIiEEZNS1_11reduce_implILb1ES3_N6thrust23THRUST_200600_302600_NS11hip_rocprim35transform_pair_of_input_iterators_tIiPN3c108BFloat16ESD_NS8_12not_equal_toISC_EEEEPiiNS8_4plusIiEEEE10hipError_tPvRmT1_T2_T3_mT4_P12ihipStream_tbEUlT_E1_NS1_11comp_targetILNS1_3genE10ELNS1_11target_archE1201ELNS1_3gpuE5ELNS1_3repE0EEENS1_30default_config_static_selectorELNS0_4arch9wavefront6targetE1EEEvSN_
		.amdhsa_group_segment_fixed_size 0
		.amdhsa_private_segment_fixed_size 0
		.amdhsa_kernarg_size 56
		.amdhsa_user_sgpr_count 6
		.amdhsa_user_sgpr_private_segment_buffer 1
		.amdhsa_user_sgpr_dispatch_ptr 0
		.amdhsa_user_sgpr_queue_ptr 0
		.amdhsa_user_sgpr_kernarg_segment_ptr 1
		.amdhsa_user_sgpr_dispatch_id 0
		.amdhsa_user_sgpr_flat_scratch_init 0
		.amdhsa_user_sgpr_private_segment_size 0
		.amdhsa_uses_dynamic_stack 0
		.amdhsa_system_sgpr_private_segment_wavefront_offset 0
		.amdhsa_system_sgpr_workgroup_id_x 1
		.amdhsa_system_sgpr_workgroup_id_y 0
		.amdhsa_system_sgpr_workgroup_id_z 0
		.amdhsa_system_sgpr_workgroup_info 0
		.amdhsa_system_vgpr_workitem_id 0
		.amdhsa_next_free_vgpr 1
		.amdhsa_next_free_sgpr 0
		.amdhsa_reserve_vcc 0
		.amdhsa_reserve_flat_scratch 0
		.amdhsa_float_round_mode_32 0
		.amdhsa_float_round_mode_16_64 0
		.amdhsa_float_denorm_mode_32 3
		.amdhsa_float_denorm_mode_16_64 3
		.amdhsa_dx10_clamp 1
		.amdhsa_ieee_mode 1
		.amdhsa_fp16_overflow 0
		.amdhsa_exception_fp_ieee_invalid_op 0
		.amdhsa_exception_fp_denorm_src 0
		.amdhsa_exception_fp_ieee_div_zero 0
		.amdhsa_exception_fp_ieee_overflow 0
		.amdhsa_exception_fp_ieee_underflow 0
		.amdhsa_exception_fp_ieee_inexact 0
		.amdhsa_exception_int_div_zero 0
	.end_amdhsa_kernel
	.section	.text._ZN7rocprim17ROCPRIM_400000_NS6detail17trampoline_kernelINS0_14default_configENS1_22reduce_config_selectorIiEEZNS1_11reduce_implILb1ES3_N6thrust23THRUST_200600_302600_NS11hip_rocprim35transform_pair_of_input_iterators_tIiPN3c108BFloat16ESD_NS8_12not_equal_toISC_EEEEPiiNS8_4plusIiEEEE10hipError_tPvRmT1_T2_T3_mT4_P12ihipStream_tbEUlT_E1_NS1_11comp_targetILNS1_3genE10ELNS1_11target_archE1201ELNS1_3gpuE5ELNS1_3repE0EEENS1_30default_config_static_selectorELNS0_4arch9wavefront6targetE1EEEvSN_,"axG",@progbits,_ZN7rocprim17ROCPRIM_400000_NS6detail17trampoline_kernelINS0_14default_configENS1_22reduce_config_selectorIiEEZNS1_11reduce_implILb1ES3_N6thrust23THRUST_200600_302600_NS11hip_rocprim35transform_pair_of_input_iterators_tIiPN3c108BFloat16ESD_NS8_12not_equal_toISC_EEEEPiiNS8_4plusIiEEEE10hipError_tPvRmT1_T2_T3_mT4_P12ihipStream_tbEUlT_E1_NS1_11comp_targetILNS1_3genE10ELNS1_11target_archE1201ELNS1_3gpuE5ELNS1_3repE0EEENS1_30default_config_static_selectorELNS0_4arch9wavefront6targetE1EEEvSN_,comdat
.Lfunc_end2048:
	.size	_ZN7rocprim17ROCPRIM_400000_NS6detail17trampoline_kernelINS0_14default_configENS1_22reduce_config_selectorIiEEZNS1_11reduce_implILb1ES3_N6thrust23THRUST_200600_302600_NS11hip_rocprim35transform_pair_of_input_iterators_tIiPN3c108BFloat16ESD_NS8_12not_equal_toISC_EEEEPiiNS8_4plusIiEEEE10hipError_tPvRmT1_T2_T3_mT4_P12ihipStream_tbEUlT_E1_NS1_11comp_targetILNS1_3genE10ELNS1_11target_archE1201ELNS1_3gpuE5ELNS1_3repE0EEENS1_30default_config_static_selectorELNS0_4arch9wavefront6targetE1EEEvSN_, .Lfunc_end2048-_ZN7rocprim17ROCPRIM_400000_NS6detail17trampoline_kernelINS0_14default_configENS1_22reduce_config_selectorIiEEZNS1_11reduce_implILb1ES3_N6thrust23THRUST_200600_302600_NS11hip_rocprim35transform_pair_of_input_iterators_tIiPN3c108BFloat16ESD_NS8_12not_equal_toISC_EEEEPiiNS8_4plusIiEEEE10hipError_tPvRmT1_T2_T3_mT4_P12ihipStream_tbEUlT_E1_NS1_11comp_targetILNS1_3genE10ELNS1_11target_archE1201ELNS1_3gpuE5ELNS1_3repE0EEENS1_30default_config_static_selectorELNS0_4arch9wavefront6targetE1EEEvSN_
                                        ; -- End function
	.set _ZN7rocprim17ROCPRIM_400000_NS6detail17trampoline_kernelINS0_14default_configENS1_22reduce_config_selectorIiEEZNS1_11reduce_implILb1ES3_N6thrust23THRUST_200600_302600_NS11hip_rocprim35transform_pair_of_input_iterators_tIiPN3c108BFloat16ESD_NS8_12not_equal_toISC_EEEEPiiNS8_4plusIiEEEE10hipError_tPvRmT1_T2_T3_mT4_P12ihipStream_tbEUlT_E1_NS1_11comp_targetILNS1_3genE10ELNS1_11target_archE1201ELNS1_3gpuE5ELNS1_3repE0EEENS1_30default_config_static_selectorELNS0_4arch9wavefront6targetE1EEEvSN_.num_vgpr, 0
	.set _ZN7rocprim17ROCPRIM_400000_NS6detail17trampoline_kernelINS0_14default_configENS1_22reduce_config_selectorIiEEZNS1_11reduce_implILb1ES3_N6thrust23THRUST_200600_302600_NS11hip_rocprim35transform_pair_of_input_iterators_tIiPN3c108BFloat16ESD_NS8_12not_equal_toISC_EEEEPiiNS8_4plusIiEEEE10hipError_tPvRmT1_T2_T3_mT4_P12ihipStream_tbEUlT_E1_NS1_11comp_targetILNS1_3genE10ELNS1_11target_archE1201ELNS1_3gpuE5ELNS1_3repE0EEENS1_30default_config_static_selectorELNS0_4arch9wavefront6targetE1EEEvSN_.num_agpr, 0
	.set _ZN7rocprim17ROCPRIM_400000_NS6detail17trampoline_kernelINS0_14default_configENS1_22reduce_config_selectorIiEEZNS1_11reduce_implILb1ES3_N6thrust23THRUST_200600_302600_NS11hip_rocprim35transform_pair_of_input_iterators_tIiPN3c108BFloat16ESD_NS8_12not_equal_toISC_EEEEPiiNS8_4plusIiEEEE10hipError_tPvRmT1_T2_T3_mT4_P12ihipStream_tbEUlT_E1_NS1_11comp_targetILNS1_3genE10ELNS1_11target_archE1201ELNS1_3gpuE5ELNS1_3repE0EEENS1_30default_config_static_selectorELNS0_4arch9wavefront6targetE1EEEvSN_.numbered_sgpr, 0
	.set _ZN7rocprim17ROCPRIM_400000_NS6detail17trampoline_kernelINS0_14default_configENS1_22reduce_config_selectorIiEEZNS1_11reduce_implILb1ES3_N6thrust23THRUST_200600_302600_NS11hip_rocprim35transform_pair_of_input_iterators_tIiPN3c108BFloat16ESD_NS8_12not_equal_toISC_EEEEPiiNS8_4plusIiEEEE10hipError_tPvRmT1_T2_T3_mT4_P12ihipStream_tbEUlT_E1_NS1_11comp_targetILNS1_3genE10ELNS1_11target_archE1201ELNS1_3gpuE5ELNS1_3repE0EEENS1_30default_config_static_selectorELNS0_4arch9wavefront6targetE1EEEvSN_.num_named_barrier, 0
	.set _ZN7rocprim17ROCPRIM_400000_NS6detail17trampoline_kernelINS0_14default_configENS1_22reduce_config_selectorIiEEZNS1_11reduce_implILb1ES3_N6thrust23THRUST_200600_302600_NS11hip_rocprim35transform_pair_of_input_iterators_tIiPN3c108BFloat16ESD_NS8_12not_equal_toISC_EEEEPiiNS8_4plusIiEEEE10hipError_tPvRmT1_T2_T3_mT4_P12ihipStream_tbEUlT_E1_NS1_11comp_targetILNS1_3genE10ELNS1_11target_archE1201ELNS1_3gpuE5ELNS1_3repE0EEENS1_30default_config_static_selectorELNS0_4arch9wavefront6targetE1EEEvSN_.private_seg_size, 0
	.set _ZN7rocprim17ROCPRIM_400000_NS6detail17trampoline_kernelINS0_14default_configENS1_22reduce_config_selectorIiEEZNS1_11reduce_implILb1ES3_N6thrust23THRUST_200600_302600_NS11hip_rocprim35transform_pair_of_input_iterators_tIiPN3c108BFloat16ESD_NS8_12not_equal_toISC_EEEEPiiNS8_4plusIiEEEE10hipError_tPvRmT1_T2_T3_mT4_P12ihipStream_tbEUlT_E1_NS1_11comp_targetILNS1_3genE10ELNS1_11target_archE1201ELNS1_3gpuE5ELNS1_3repE0EEENS1_30default_config_static_selectorELNS0_4arch9wavefront6targetE1EEEvSN_.uses_vcc, 0
	.set _ZN7rocprim17ROCPRIM_400000_NS6detail17trampoline_kernelINS0_14default_configENS1_22reduce_config_selectorIiEEZNS1_11reduce_implILb1ES3_N6thrust23THRUST_200600_302600_NS11hip_rocprim35transform_pair_of_input_iterators_tIiPN3c108BFloat16ESD_NS8_12not_equal_toISC_EEEEPiiNS8_4plusIiEEEE10hipError_tPvRmT1_T2_T3_mT4_P12ihipStream_tbEUlT_E1_NS1_11comp_targetILNS1_3genE10ELNS1_11target_archE1201ELNS1_3gpuE5ELNS1_3repE0EEENS1_30default_config_static_selectorELNS0_4arch9wavefront6targetE1EEEvSN_.uses_flat_scratch, 0
	.set _ZN7rocprim17ROCPRIM_400000_NS6detail17trampoline_kernelINS0_14default_configENS1_22reduce_config_selectorIiEEZNS1_11reduce_implILb1ES3_N6thrust23THRUST_200600_302600_NS11hip_rocprim35transform_pair_of_input_iterators_tIiPN3c108BFloat16ESD_NS8_12not_equal_toISC_EEEEPiiNS8_4plusIiEEEE10hipError_tPvRmT1_T2_T3_mT4_P12ihipStream_tbEUlT_E1_NS1_11comp_targetILNS1_3genE10ELNS1_11target_archE1201ELNS1_3gpuE5ELNS1_3repE0EEENS1_30default_config_static_selectorELNS0_4arch9wavefront6targetE1EEEvSN_.has_dyn_sized_stack, 0
	.set _ZN7rocprim17ROCPRIM_400000_NS6detail17trampoline_kernelINS0_14default_configENS1_22reduce_config_selectorIiEEZNS1_11reduce_implILb1ES3_N6thrust23THRUST_200600_302600_NS11hip_rocprim35transform_pair_of_input_iterators_tIiPN3c108BFloat16ESD_NS8_12not_equal_toISC_EEEEPiiNS8_4plusIiEEEE10hipError_tPvRmT1_T2_T3_mT4_P12ihipStream_tbEUlT_E1_NS1_11comp_targetILNS1_3genE10ELNS1_11target_archE1201ELNS1_3gpuE5ELNS1_3repE0EEENS1_30default_config_static_selectorELNS0_4arch9wavefront6targetE1EEEvSN_.has_recursion, 0
	.set _ZN7rocprim17ROCPRIM_400000_NS6detail17trampoline_kernelINS0_14default_configENS1_22reduce_config_selectorIiEEZNS1_11reduce_implILb1ES3_N6thrust23THRUST_200600_302600_NS11hip_rocprim35transform_pair_of_input_iterators_tIiPN3c108BFloat16ESD_NS8_12not_equal_toISC_EEEEPiiNS8_4plusIiEEEE10hipError_tPvRmT1_T2_T3_mT4_P12ihipStream_tbEUlT_E1_NS1_11comp_targetILNS1_3genE10ELNS1_11target_archE1201ELNS1_3gpuE5ELNS1_3repE0EEENS1_30default_config_static_selectorELNS0_4arch9wavefront6targetE1EEEvSN_.has_indirect_call, 0
	.section	.AMDGPU.csdata,"",@progbits
; Kernel info:
; codeLenInByte = 0
; TotalNumSgprs: 4
; NumVgprs: 0
; ScratchSize: 0
; MemoryBound: 0
; FloatMode: 240
; IeeeMode: 1
; LDSByteSize: 0 bytes/workgroup (compile time only)
; SGPRBlocks: 0
; VGPRBlocks: 0
; NumSGPRsForWavesPerEU: 4
; NumVGPRsForWavesPerEU: 1
; Occupancy: 10
; WaveLimiterHint : 0
; COMPUTE_PGM_RSRC2:SCRATCH_EN: 0
; COMPUTE_PGM_RSRC2:USER_SGPR: 6
; COMPUTE_PGM_RSRC2:TRAP_HANDLER: 0
; COMPUTE_PGM_RSRC2:TGID_X_EN: 1
; COMPUTE_PGM_RSRC2:TGID_Y_EN: 0
; COMPUTE_PGM_RSRC2:TGID_Z_EN: 0
; COMPUTE_PGM_RSRC2:TIDIG_COMP_CNT: 0
	.section	.text._ZN7rocprim17ROCPRIM_400000_NS6detail17trampoline_kernelINS0_14default_configENS1_22reduce_config_selectorIiEEZNS1_11reduce_implILb1ES3_N6thrust23THRUST_200600_302600_NS11hip_rocprim35transform_pair_of_input_iterators_tIiPN3c108BFloat16ESD_NS8_12not_equal_toISC_EEEEPiiNS8_4plusIiEEEE10hipError_tPvRmT1_T2_T3_mT4_P12ihipStream_tbEUlT_E1_NS1_11comp_targetILNS1_3genE10ELNS1_11target_archE1200ELNS1_3gpuE4ELNS1_3repE0EEENS1_30default_config_static_selectorELNS0_4arch9wavefront6targetE1EEEvSN_,"axG",@progbits,_ZN7rocprim17ROCPRIM_400000_NS6detail17trampoline_kernelINS0_14default_configENS1_22reduce_config_selectorIiEEZNS1_11reduce_implILb1ES3_N6thrust23THRUST_200600_302600_NS11hip_rocprim35transform_pair_of_input_iterators_tIiPN3c108BFloat16ESD_NS8_12not_equal_toISC_EEEEPiiNS8_4plusIiEEEE10hipError_tPvRmT1_T2_T3_mT4_P12ihipStream_tbEUlT_E1_NS1_11comp_targetILNS1_3genE10ELNS1_11target_archE1200ELNS1_3gpuE4ELNS1_3repE0EEENS1_30default_config_static_selectorELNS0_4arch9wavefront6targetE1EEEvSN_,comdat
	.protected	_ZN7rocprim17ROCPRIM_400000_NS6detail17trampoline_kernelINS0_14default_configENS1_22reduce_config_selectorIiEEZNS1_11reduce_implILb1ES3_N6thrust23THRUST_200600_302600_NS11hip_rocprim35transform_pair_of_input_iterators_tIiPN3c108BFloat16ESD_NS8_12not_equal_toISC_EEEEPiiNS8_4plusIiEEEE10hipError_tPvRmT1_T2_T3_mT4_P12ihipStream_tbEUlT_E1_NS1_11comp_targetILNS1_3genE10ELNS1_11target_archE1200ELNS1_3gpuE4ELNS1_3repE0EEENS1_30default_config_static_selectorELNS0_4arch9wavefront6targetE1EEEvSN_ ; -- Begin function _ZN7rocprim17ROCPRIM_400000_NS6detail17trampoline_kernelINS0_14default_configENS1_22reduce_config_selectorIiEEZNS1_11reduce_implILb1ES3_N6thrust23THRUST_200600_302600_NS11hip_rocprim35transform_pair_of_input_iterators_tIiPN3c108BFloat16ESD_NS8_12not_equal_toISC_EEEEPiiNS8_4plusIiEEEE10hipError_tPvRmT1_T2_T3_mT4_P12ihipStream_tbEUlT_E1_NS1_11comp_targetILNS1_3genE10ELNS1_11target_archE1200ELNS1_3gpuE4ELNS1_3repE0EEENS1_30default_config_static_selectorELNS0_4arch9wavefront6targetE1EEEvSN_
	.globl	_ZN7rocprim17ROCPRIM_400000_NS6detail17trampoline_kernelINS0_14default_configENS1_22reduce_config_selectorIiEEZNS1_11reduce_implILb1ES3_N6thrust23THRUST_200600_302600_NS11hip_rocprim35transform_pair_of_input_iterators_tIiPN3c108BFloat16ESD_NS8_12not_equal_toISC_EEEEPiiNS8_4plusIiEEEE10hipError_tPvRmT1_T2_T3_mT4_P12ihipStream_tbEUlT_E1_NS1_11comp_targetILNS1_3genE10ELNS1_11target_archE1200ELNS1_3gpuE4ELNS1_3repE0EEENS1_30default_config_static_selectorELNS0_4arch9wavefront6targetE1EEEvSN_
	.p2align	8
	.type	_ZN7rocprim17ROCPRIM_400000_NS6detail17trampoline_kernelINS0_14default_configENS1_22reduce_config_selectorIiEEZNS1_11reduce_implILb1ES3_N6thrust23THRUST_200600_302600_NS11hip_rocprim35transform_pair_of_input_iterators_tIiPN3c108BFloat16ESD_NS8_12not_equal_toISC_EEEEPiiNS8_4plusIiEEEE10hipError_tPvRmT1_T2_T3_mT4_P12ihipStream_tbEUlT_E1_NS1_11comp_targetILNS1_3genE10ELNS1_11target_archE1200ELNS1_3gpuE4ELNS1_3repE0EEENS1_30default_config_static_selectorELNS0_4arch9wavefront6targetE1EEEvSN_,@function
_ZN7rocprim17ROCPRIM_400000_NS6detail17trampoline_kernelINS0_14default_configENS1_22reduce_config_selectorIiEEZNS1_11reduce_implILb1ES3_N6thrust23THRUST_200600_302600_NS11hip_rocprim35transform_pair_of_input_iterators_tIiPN3c108BFloat16ESD_NS8_12not_equal_toISC_EEEEPiiNS8_4plusIiEEEE10hipError_tPvRmT1_T2_T3_mT4_P12ihipStream_tbEUlT_E1_NS1_11comp_targetILNS1_3genE10ELNS1_11target_archE1200ELNS1_3gpuE4ELNS1_3repE0EEENS1_30default_config_static_selectorELNS0_4arch9wavefront6targetE1EEEvSN_: ; @_ZN7rocprim17ROCPRIM_400000_NS6detail17trampoline_kernelINS0_14default_configENS1_22reduce_config_selectorIiEEZNS1_11reduce_implILb1ES3_N6thrust23THRUST_200600_302600_NS11hip_rocprim35transform_pair_of_input_iterators_tIiPN3c108BFloat16ESD_NS8_12not_equal_toISC_EEEEPiiNS8_4plusIiEEEE10hipError_tPvRmT1_T2_T3_mT4_P12ihipStream_tbEUlT_E1_NS1_11comp_targetILNS1_3genE10ELNS1_11target_archE1200ELNS1_3gpuE4ELNS1_3repE0EEENS1_30default_config_static_selectorELNS0_4arch9wavefront6targetE1EEEvSN_
; %bb.0:
	.section	.rodata,"a",@progbits
	.p2align	6, 0x0
	.amdhsa_kernel _ZN7rocprim17ROCPRIM_400000_NS6detail17trampoline_kernelINS0_14default_configENS1_22reduce_config_selectorIiEEZNS1_11reduce_implILb1ES3_N6thrust23THRUST_200600_302600_NS11hip_rocprim35transform_pair_of_input_iterators_tIiPN3c108BFloat16ESD_NS8_12not_equal_toISC_EEEEPiiNS8_4plusIiEEEE10hipError_tPvRmT1_T2_T3_mT4_P12ihipStream_tbEUlT_E1_NS1_11comp_targetILNS1_3genE10ELNS1_11target_archE1200ELNS1_3gpuE4ELNS1_3repE0EEENS1_30default_config_static_selectorELNS0_4arch9wavefront6targetE1EEEvSN_
		.amdhsa_group_segment_fixed_size 0
		.amdhsa_private_segment_fixed_size 0
		.amdhsa_kernarg_size 56
		.amdhsa_user_sgpr_count 6
		.amdhsa_user_sgpr_private_segment_buffer 1
		.amdhsa_user_sgpr_dispatch_ptr 0
		.amdhsa_user_sgpr_queue_ptr 0
		.amdhsa_user_sgpr_kernarg_segment_ptr 1
		.amdhsa_user_sgpr_dispatch_id 0
		.amdhsa_user_sgpr_flat_scratch_init 0
		.amdhsa_user_sgpr_private_segment_size 0
		.amdhsa_uses_dynamic_stack 0
		.amdhsa_system_sgpr_private_segment_wavefront_offset 0
		.amdhsa_system_sgpr_workgroup_id_x 1
		.amdhsa_system_sgpr_workgroup_id_y 0
		.amdhsa_system_sgpr_workgroup_id_z 0
		.amdhsa_system_sgpr_workgroup_info 0
		.amdhsa_system_vgpr_workitem_id 0
		.amdhsa_next_free_vgpr 1
		.amdhsa_next_free_sgpr 0
		.amdhsa_reserve_vcc 0
		.amdhsa_reserve_flat_scratch 0
		.amdhsa_float_round_mode_32 0
		.amdhsa_float_round_mode_16_64 0
		.amdhsa_float_denorm_mode_32 3
		.amdhsa_float_denorm_mode_16_64 3
		.amdhsa_dx10_clamp 1
		.amdhsa_ieee_mode 1
		.amdhsa_fp16_overflow 0
		.amdhsa_exception_fp_ieee_invalid_op 0
		.amdhsa_exception_fp_denorm_src 0
		.amdhsa_exception_fp_ieee_div_zero 0
		.amdhsa_exception_fp_ieee_overflow 0
		.amdhsa_exception_fp_ieee_underflow 0
		.amdhsa_exception_fp_ieee_inexact 0
		.amdhsa_exception_int_div_zero 0
	.end_amdhsa_kernel
	.section	.text._ZN7rocprim17ROCPRIM_400000_NS6detail17trampoline_kernelINS0_14default_configENS1_22reduce_config_selectorIiEEZNS1_11reduce_implILb1ES3_N6thrust23THRUST_200600_302600_NS11hip_rocprim35transform_pair_of_input_iterators_tIiPN3c108BFloat16ESD_NS8_12not_equal_toISC_EEEEPiiNS8_4plusIiEEEE10hipError_tPvRmT1_T2_T3_mT4_P12ihipStream_tbEUlT_E1_NS1_11comp_targetILNS1_3genE10ELNS1_11target_archE1200ELNS1_3gpuE4ELNS1_3repE0EEENS1_30default_config_static_selectorELNS0_4arch9wavefront6targetE1EEEvSN_,"axG",@progbits,_ZN7rocprim17ROCPRIM_400000_NS6detail17trampoline_kernelINS0_14default_configENS1_22reduce_config_selectorIiEEZNS1_11reduce_implILb1ES3_N6thrust23THRUST_200600_302600_NS11hip_rocprim35transform_pair_of_input_iterators_tIiPN3c108BFloat16ESD_NS8_12not_equal_toISC_EEEEPiiNS8_4plusIiEEEE10hipError_tPvRmT1_T2_T3_mT4_P12ihipStream_tbEUlT_E1_NS1_11comp_targetILNS1_3genE10ELNS1_11target_archE1200ELNS1_3gpuE4ELNS1_3repE0EEENS1_30default_config_static_selectorELNS0_4arch9wavefront6targetE1EEEvSN_,comdat
.Lfunc_end2049:
	.size	_ZN7rocprim17ROCPRIM_400000_NS6detail17trampoline_kernelINS0_14default_configENS1_22reduce_config_selectorIiEEZNS1_11reduce_implILb1ES3_N6thrust23THRUST_200600_302600_NS11hip_rocprim35transform_pair_of_input_iterators_tIiPN3c108BFloat16ESD_NS8_12not_equal_toISC_EEEEPiiNS8_4plusIiEEEE10hipError_tPvRmT1_T2_T3_mT4_P12ihipStream_tbEUlT_E1_NS1_11comp_targetILNS1_3genE10ELNS1_11target_archE1200ELNS1_3gpuE4ELNS1_3repE0EEENS1_30default_config_static_selectorELNS0_4arch9wavefront6targetE1EEEvSN_, .Lfunc_end2049-_ZN7rocprim17ROCPRIM_400000_NS6detail17trampoline_kernelINS0_14default_configENS1_22reduce_config_selectorIiEEZNS1_11reduce_implILb1ES3_N6thrust23THRUST_200600_302600_NS11hip_rocprim35transform_pair_of_input_iterators_tIiPN3c108BFloat16ESD_NS8_12not_equal_toISC_EEEEPiiNS8_4plusIiEEEE10hipError_tPvRmT1_T2_T3_mT4_P12ihipStream_tbEUlT_E1_NS1_11comp_targetILNS1_3genE10ELNS1_11target_archE1200ELNS1_3gpuE4ELNS1_3repE0EEENS1_30default_config_static_selectorELNS0_4arch9wavefront6targetE1EEEvSN_
                                        ; -- End function
	.set _ZN7rocprim17ROCPRIM_400000_NS6detail17trampoline_kernelINS0_14default_configENS1_22reduce_config_selectorIiEEZNS1_11reduce_implILb1ES3_N6thrust23THRUST_200600_302600_NS11hip_rocprim35transform_pair_of_input_iterators_tIiPN3c108BFloat16ESD_NS8_12not_equal_toISC_EEEEPiiNS8_4plusIiEEEE10hipError_tPvRmT1_T2_T3_mT4_P12ihipStream_tbEUlT_E1_NS1_11comp_targetILNS1_3genE10ELNS1_11target_archE1200ELNS1_3gpuE4ELNS1_3repE0EEENS1_30default_config_static_selectorELNS0_4arch9wavefront6targetE1EEEvSN_.num_vgpr, 0
	.set _ZN7rocprim17ROCPRIM_400000_NS6detail17trampoline_kernelINS0_14default_configENS1_22reduce_config_selectorIiEEZNS1_11reduce_implILb1ES3_N6thrust23THRUST_200600_302600_NS11hip_rocprim35transform_pair_of_input_iterators_tIiPN3c108BFloat16ESD_NS8_12not_equal_toISC_EEEEPiiNS8_4plusIiEEEE10hipError_tPvRmT1_T2_T3_mT4_P12ihipStream_tbEUlT_E1_NS1_11comp_targetILNS1_3genE10ELNS1_11target_archE1200ELNS1_3gpuE4ELNS1_3repE0EEENS1_30default_config_static_selectorELNS0_4arch9wavefront6targetE1EEEvSN_.num_agpr, 0
	.set _ZN7rocprim17ROCPRIM_400000_NS6detail17trampoline_kernelINS0_14default_configENS1_22reduce_config_selectorIiEEZNS1_11reduce_implILb1ES3_N6thrust23THRUST_200600_302600_NS11hip_rocprim35transform_pair_of_input_iterators_tIiPN3c108BFloat16ESD_NS8_12not_equal_toISC_EEEEPiiNS8_4plusIiEEEE10hipError_tPvRmT1_T2_T3_mT4_P12ihipStream_tbEUlT_E1_NS1_11comp_targetILNS1_3genE10ELNS1_11target_archE1200ELNS1_3gpuE4ELNS1_3repE0EEENS1_30default_config_static_selectorELNS0_4arch9wavefront6targetE1EEEvSN_.numbered_sgpr, 0
	.set _ZN7rocprim17ROCPRIM_400000_NS6detail17trampoline_kernelINS0_14default_configENS1_22reduce_config_selectorIiEEZNS1_11reduce_implILb1ES3_N6thrust23THRUST_200600_302600_NS11hip_rocprim35transform_pair_of_input_iterators_tIiPN3c108BFloat16ESD_NS8_12not_equal_toISC_EEEEPiiNS8_4plusIiEEEE10hipError_tPvRmT1_T2_T3_mT4_P12ihipStream_tbEUlT_E1_NS1_11comp_targetILNS1_3genE10ELNS1_11target_archE1200ELNS1_3gpuE4ELNS1_3repE0EEENS1_30default_config_static_selectorELNS0_4arch9wavefront6targetE1EEEvSN_.num_named_barrier, 0
	.set _ZN7rocprim17ROCPRIM_400000_NS6detail17trampoline_kernelINS0_14default_configENS1_22reduce_config_selectorIiEEZNS1_11reduce_implILb1ES3_N6thrust23THRUST_200600_302600_NS11hip_rocprim35transform_pair_of_input_iterators_tIiPN3c108BFloat16ESD_NS8_12not_equal_toISC_EEEEPiiNS8_4plusIiEEEE10hipError_tPvRmT1_T2_T3_mT4_P12ihipStream_tbEUlT_E1_NS1_11comp_targetILNS1_3genE10ELNS1_11target_archE1200ELNS1_3gpuE4ELNS1_3repE0EEENS1_30default_config_static_selectorELNS0_4arch9wavefront6targetE1EEEvSN_.private_seg_size, 0
	.set _ZN7rocprim17ROCPRIM_400000_NS6detail17trampoline_kernelINS0_14default_configENS1_22reduce_config_selectorIiEEZNS1_11reduce_implILb1ES3_N6thrust23THRUST_200600_302600_NS11hip_rocprim35transform_pair_of_input_iterators_tIiPN3c108BFloat16ESD_NS8_12not_equal_toISC_EEEEPiiNS8_4plusIiEEEE10hipError_tPvRmT1_T2_T3_mT4_P12ihipStream_tbEUlT_E1_NS1_11comp_targetILNS1_3genE10ELNS1_11target_archE1200ELNS1_3gpuE4ELNS1_3repE0EEENS1_30default_config_static_selectorELNS0_4arch9wavefront6targetE1EEEvSN_.uses_vcc, 0
	.set _ZN7rocprim17ROCPRIM_400000_NS6detail17trampoline_kernelINS0_14default_configENS1_22reduce_config_selectorIiEEZNS1_11reduce_implILb1ES3_N6thrust23THRUST_200600_302600_NS11hip_rocprim35transform_pair_of_input_iterators_tIiPN3c108BFloat16ESD_NS8_12not_equal_toISC_EEEEPiiNS8_4plusIiEEEE10hipError_tPvRmT1_T2_T3_mT4_P12ihipStream_tbEUlT_E1_NS1_11comp_targetILNS1_3genE10ELNS1_11target_archE1200ELNS1_3gpuE4ELNS1_3repE0EEENS1_30default_config_static_selectorELNS0_4arch9wavefront6targetE1EEEvSN_.uses_flat_scratch, 0
	.set _ZN7rocprim17ROCPRIM_400000_NS6detail17trampoline_kernelINS0_14default_configENS1_22reduce_config_selectorIiEEZNS1_11reduce_implILb1ES3_N6thrust23THRUST_200600_302600_NS11hip_rocprim35transform_pair_of_input_iterators_tIiPN3c108BFloat16ESD_NS8_12not_equal_toISC_EEEEPiiNS8_4plusIiEEEE10hipError_tPvRmT1_T2_T3_mT4_P12ihipStream_tbEUlT_E1_NS1_11comp_targetILNS1_3genE10ELNS1_11target_archE1200ELNS1_3gpuE4ELNS1_3repE0EEENS1_30default_config_static_selectorELNS0_4arch9wavefront6targetE1EEEvSN_.has_dyn_sized_stack, 0
	.set _ZN7rocprim17ROCPRIM_400000_NS6detail17trampoline_kernelINS0_14default_configENS1_22reduce_config_selectorIiEEZNS1_11reduce_implILb1ES3_N6thrust23THRUST_200600_302600_NS11hip_rocprim35transform_pair_of_input_iterators_tIiPN3c108BFloat16ESD_NS8_12not_equal_toISC_EEEEPiiNS8_4plusIiEEEE10hipError_tPvRmT1_T2_T3_mT4_P12ihipStream_tbEUlT_E1_NS1_11comp_targetILNS1_3genE10ELNS1_11target_archE1200ELNS1_3gpuE4ELNS1_3repE0EEENS1_30default_config_static_selectorELNS0_4arch9wavefront6targetE1EEEvSN_.has_recursion, 0
	.set _ZN7rocprim17ROCPRIM_400000_NS6detail17trampoline_kernelINS0_14default_configENS1_22reduce_config_selectorIiEEZNS1_11reduce_implILb1ES3_N6thrust23THRUST_200600_302600_NS11hip_rocprim35transform_pair_of_input_iterators_tIiPN3c108BFloat16ESD_NS8_12not_equal_toISC_EEEEPiiNS8_4plusIiEEEE10hipError_tPvRmT1_T2_T3_mT4_P12ihipStream_tbEUlT_E1_NS1_11comp_targetILNS1_3genE10ELNS1_11target_archE1200ELNS1_3gpuE4ELNS1_3repE0EEENS1_30default_config_static_selectorELNS0_4arch9wavefront6targetE1EEEvSN_.has_indirect_call, 0
	.section	.AMDGPU.csdata,"",@progbits
; Kernel info:
; codeLenInByte = 0
; TotalNumSgprs: 4
; NumVgprs: 0
; ScratchSize: 0
; MemoryBound: 0
; FloatMode: 240
; IeeeMode: 1
; LDSByteSize: 0 bytes/workgroup (compile time only)
; SGPRBlocks: 0
; VGPRBlocks: 0
; NumSGPRsForWavesPerEU: 4
; NumVGPRsForWavesPerEU: 1
; Occupancy: 10
; WaveLimiterHint : 0
; COMPUTE_PGM_RSRC2:SCRATCH_EN: 0
; COMPUTE_PGM_RSRC2:USER_SGPR: 6
; COMPUTE_PGM_RSRC2:TRAP_HANDLER: 0
; COMPUTE_PGM_RSRC2:TGID_X_EN: 1
; COMPUTE_PGM_RSRC2:TGID_Y_EN: 0
; COMPUTE_PGM_RSRC2:TGID_Z_EN: 0
; COMPUTE_PGM_RSRC2:TIDIG_COMP_CNT: 0
	.section	.text._ZN7rocprim17ROCPRIM_400000_NS6detail17trampoline_kernelINS0_14default_configENS1_22reduce_config_selectorIiEEZNS1_11reduce_implILb1ES3_N6thrust23THRUST_200600_302600_NS11hip_rocprim35transform_pair_of_input_iterators_tIiPN3c108BFloat16ESD_NS8_12not_equal_toISC_EEEEPiiNS8_4plusIiEEEE10hipError_tPvRmT1_T2_T3_mT4_P12ihipStream_tbEUlT_E1_NS1_11comp_targetILNS1_3genE9ELNS1_11target_archE1100ELNS1_3gpuE3ELNS1_3repE0EEENS1_30default_config_static_selectorELNS0_4arch9wavefront6targetE1EEEvSN_,"axG",@progbits,_ZN7rocprim17ROCPRIM_400000_NS6detail17trampoline_kernelINS0_14default_configENS1_22reduce_config_selectorIiEEZNS1_11reduce_implILb1ES3_N6thrust23THRUST_200600_302600_NS11hip_rocprim35transform_pair_of_input_iterators_tIiPN3c108BFloat16ESD_NS8_12not_equal_toISC_EEEEPiiNS8_4plusIiEEEE10hipError_tPvRmT1_T2_T3_mT4_P12ihipStream_tbEUlT_E1_NS1_11comp_targetILNS1_3genE9ELNS1_11target_archE1100ELNS1_3gpuE3ELNS1_3repE0EEENS1_30default_config_static_selectorELNS0_4arch9wavefront6targetE1EEEvSN_,comdat
	.protected	_ZN7rocprim17ROCPRIM_400000_NS6detail17trampoline_kernelINS0_14default_configENS1_22reduce_config_selectorIiEEZNS1_11reduce_implILb1ES3_N6thrust23THRUST_200600_302600_NS11hip_rocprim35transform_pair_of_input_iterators_tIiPN3c108BFloat16ESD_NS8_12not_equal_toISC_EEEEPiiNS8_4plusIiEEEE10hipError_tPvRmT1_T2_T3_mT4_P12ihipStream_tbEUlT_E1_NS1_11comp_targetILNS1_3genE9ELNS1_11target_archE1100ELNS1_3gpuE3ELNS1_3repE0EEENS1_30default_config_static_selectorELNS0_4arch9wavefront6targetE1EEEvSN_ ; -- Begin function _ZN7rocprim17ROCPRIM_400000_NS6detail17trampoline_kernelINS0_14default_configENS1_22reduce_config_selectorIiEEZNS1_11reduce_implILb1ES3_N6thrust23THRUST_200600_302600_NS11hip_rocprim35transform_pair_of_input_iterators_tIiPN3c108BFloat16ESD_NS8_12not_equal_toISC_EEEEPiiNS8_4plusIiEEEE10hipError_tPvRmT1_T2_T3_mT4_P12ihipStream_tbEUlT_E1_NS1_11comp_targetILNS1_3genE9ELNS1_11target_archE1100ELNS1_3gpuE3ELNS1_3repE0EEENS1_30default_config_static_selectorELNS0_4arch9wavefront6targetE1EEEvSN_
	.globl	_ZN7rocprim17ROCPRIM_400000_NS6detail17trampoline_kernelINS0_14default_configENS1_22reduce_config_selectorIiEEZNS1_11reduce_implILb1ES3_N6thrust23THRUST_200600_302600_NS11hip_rocprim35transform_pair_of_input_iterators_tIiPN3c108BFloat16ESD_NS8_12not_equal_toISC_EEEEPiiNS8_4plusIiEEEE10hipError_tPvRmT1_T2_T3_mT4_P12ihipStream_tbEUlT_E1_NS1_11comp_targetILNS1_3genE9ELNS1_11target_archE1100ELNS1_3gpuE3ELNS1_3repE0EEENS1_30default_config_static_selectorELNS0_4arch9wavefront6targetE1EEEvSN_
	.p2align	8
	.type	_ZN7rocprim17ROCPRIM_400000_NS6detail17trampoline_kernelINS0_14default_configENS1_22reduce_config_selectorIiEEZNS1_11reduce_implILb1ES3_N6thrust23THRUST_200600_302600_NS11hip_rocprim35transform_pair_of_input_iterators_tIiPN3c108BFloat16ESD_NS8_12not_equal_toISC_EEEEPiiNS8_4plusIiEEEE10hipError_tPvRmT1_T2_T3_mT4_P12ihipStream_tbEUlT_E1_NS1_11comp_targetILNS1_3genE9ELNS1_11target_archE1100ELNS1_3gpuE3ELNS1_3repE0EEENS1_30default_config_static_selectorELNS0_4arch9wavefront6targetE1EEEvSN_,@function
_ZN7rocprim17ROCPRIM_400000_NS6detail17trampoline_kernelINS0_14default_configENS1_22reduce_config_selectorIiEEZNS1_11reduce_implILb1ES3_N6thrust23THRUST_200600_302600_NS11hip_rocprim35transform_pair_of_input_iterators_tIiPN3c108BFloat16ESD_NS8_12not_equal_toISC_EEEEPiiNS8_4plusIiEEEE10hipError_tPvRmT1_T2_T3_mT4_P12ihipStream_tbEUlT_E1_NS1_11comp_targetILNS1_3genE9ELNS1_11target_archE1100ELNS1_3gpuE3ELNS1_3repE0EEENS1_30default_config_static_selectorELNS0_4arch9wavefront6targetE1EEEvSN_: ; @_ZN7rocprim17ROCPRIM_400000_NS6detail17trampoline_kernelINS0_14default_configENS1_22reduce_config_selectorIiEEZNS1_11reduce_implILb1ES3_N6thrust23THRUST_200600_302600_NS11hip_rocprim35transform_pair_of_input_iterators_tIiPN3c108BFloat16ESD_NS8_12not_equal_toISC_EEEEPiiNS8_4plusIiEEEE10hipError_tPvRmT1_T2_T3_mT4_P12ihipStream_tbEUlT_E1_NS1_11comp_targetILNS1_3genE9ELNS1_11target_archE1100ELNS1_3gpuE3ELNS1_3repE0EEENS1_30default_config_static_selectorELNS0_4arch9wavefront6targetE1EEEvSN_
; %bb.0:
	.section	.rodata,"a",@progbits
	.p2align	6, 0x0
	.amdhsa_kernel _ZN7rocprim17ROCPRIM_400000_NS6detail17trampoline_kernelINS0_14default_configENS1_22reduce_config_selectorIiEEZNS1_11reduce_implILb1ES3_N6thrust23THRUST_200600_302600_NS11hip_rocprim35transform_pair_of_input_iterators_tIiPN3c108BFloat16ESD_NS8_12not_equal_toISC_EEEEPiiNS8_4plusIiEEEE10hipError_tPvRmT1_T2_T3_mT4_P12ihipStream_tbEUlT_E1_NS1_11comp_targetILNS1_3genE9ELNS1_11target_archE1100ELNS1_3gpuE3ELNS1_3repE0EEENS1_30default_config_static_selectorELNS0_4arch9wavefront6targetE1EEEvSN_
		.amdhsa_group_segment_fixed_size 0
		.amdhsa_private_segment_fixed_size 0
		.amdhsa_kernarg_size 56
		.amdhsa_user_sgpr_count 6
		.amdhsa_user_sgpr_private_segment_buffer 1
		.amdhsa_user_sgpr_dispatch_ptr 0
		.amdhsa_user_sgpr_queue_ptr 0
		.amdhsa_user_sgpr_kernarg_segment_ptr 1
		.amdhsa_user_sgpr_dispatch_id 0
		.amdhsa_user_sgpr_flat_scratch_init 0
		.amdhsa_user_sgpr_private_segment_size 0
		.amdhsa_uses_dynamic_stack 0
		.amdhsa_system_sgpr_private_segment_wavefront_offset 0
		.amdhsa_system_sgpr_workgroup_id_x 1
		.amdhsa_system_sgpr_workgroup_id_y 0
		.amdhsa_system_sgpr_workgroup_id_z 0
		.amdhsa_system_sgpr_workgroup_info 0
		.amdhsa_system_vgpr_workitem_id 0
		.amdhsa_next_free_vgpr 1
		.amdhsa_next_free_sgpr 0
		.amdhsa_reserve_vcc 0
		.amdhsa_reserve_flat_scratch 0
		.amdhsa_float_round_mode_32 0
		.amdhsa_float_round_mode_16_64 0
		.amdhsa_float_denorm_mode_32 3
		.amdhsa_float_denorm_mode_16_64 3
		.amdhsa_dx10_clamp 1
		.amdhsa_ieee_mode 1
		.amdhsa_fp16_overflow 0
		.amdhsa_exception_fp_ieee_invalid_op 0
		.amdhsa_exception_fp_denorm_src 0
		.amdhsa_exception_fp_ieee_div_zero 0
		.amdhsa_exception_fp_ieee_overflow 0
		.amdhsa_exception_fp_ieee_underflow 0
		.amdhsa_exception_fp_ieee_inexact 0
		.amdhsa_exception_int_div_zero 0
	.end_amdhsa_kernel
	.section	.text._ZN7rocprim17ROCPRIM_400000_NS6detail17trampoline_kernelINS0_14default_configENS1_22reduce_config_selectorIiEEZNS1_11reduce_implILb1ES3_N6thrust23THRUST_200600_302600_NS11hip_rocprim35transform_pair_of_input_iterators_tIiPN3c108BFloat16ESD_NS8_12not_equal_toISC_EEEEPiiNS8_4plusIiEEEE10hipError_tPvRmT1_T2_T3_mT4_P12ihipStream_tbEUlT_E1_NS1_11comp_targetILNS1_3genE9ELNS1_11target_archE1100ELNS1_3gpuE3ELNS1_3repE0EEENS1_30default_config_static_selectorELNS0_4arch9wavefront6targetE1EEEvSN_,"axG",@progbits,_ZN7rocprim17ROCPRIM_400000_NS6detail17trampoline_kernelINS0_14default_configENS1_22reduce_config_selectorIiEEZNS1_11reduce_implILb1ES3_N6thrust23THRUST_200600_302600_NS11hip_rocprim35transform_pair_of_input_iterators_tIiPN3c108BFloat16ESD_NS8_12not_equal_toISC_EEEEPiiNS8_4plusIiEEEE10hipError_tPvRmT1_T2_T3_mT4_P12ihipStream_tbEUlT_E1_NS1_11comp_targetILNS1_3genE9ELNS1_11target_archE1100ELNS1_3gpuE3ELNS1_3repE0EEENS1_30default_config_static_selectorELNS0_4arch9wavefront6targetE1EEEvSN_,comdat
.Lfunc_end2050:
	.size	_ZN7rocprim17ROCPRIM_400000_NS6detail17trampoline_kernelINS0_14default_configENS1_22reduce_config_selectorIiEEZNS1_11reduce_implILb1ES3_N6thrust23THRUST_200600_302600_NS11hip_rocprim35transform_pair_of_input_iterators_tIiPN3c108BFloat16ESD_NS8_12not_equal_toISC_EEEEPiiNS8_4plusIiEEEE10hipError_tPvRmT1_T2_T3_mT4_P12ihipStream_tbEUlT_E1_NS1_11comp_targetILNS1_3genE9ELNS1_11target_archE1100ELNS1_3gpuE3ELNS1_3repE0EEENS1_30default_config_static_selectorELNS0_4arch9wavefront6targetE1EEEvSN_, .Lfunc_end2050-_ZN7rocprim17ROCPRIM_400000_NS6detail17trampoline_kernelINS0_14default_configENS1_22reduce_config_selectorIiEEZNS1_11reduce_implILb1ES3_N6thrust23THRUST_200600_302600_NS11hip_rocprim35transform_pair_of_input_iterators_tIiPN3c108BFloat16ESD_NS8_12not_equal_toISC_EEEEPiiNS8_4plusIiEEEE10hipError_tPvRmT1_T2_T3_mT4_P12ihipStream_tbEUlT_E1_NS1_11comp_targetILNS1_3genE9ELNS1_11target_archE1100ELNS1_3gpuE3ELNS1_3repE0EEENS1_30default_config_static_selectorELNS0_4arch9wavefront6targetE1EEEvSN_
                                        ; -- End function
	.set _ZN7rocprim17ROCPRIM_400000_NS6detail17trampoline_kernelINS0_14default_configENS1_22reduce_config_selectorIiEEZNS1_11reduce_implILb1ES3_N6thrust23THRUST_200600_302600_NS11hip_rocprim35transform_pair_of_input_iterators_tIiPN3c108BFloat16ESD_NS8_12not_equal_toISC_EEEEPiiNS8_4plusIiEEEE10hipError_tPvRmT1_T2_T3_mT4_P12ihipStream_tbEUlT_E1_NS1_11comp_targetILNS1_3genE9ELNS1_11target_archE1100ELNS1_3gpuE3ELNS1_3repE0EEENS1_30default_config_static_selectorELNS0_4arch9wavefront6targetE1EEEvSN_.num_vgpr, 0
	.set _ZN7rocprim17ROCPRIM_400000_NS6detail17trampoline_kernelINS0_14default_configENS1_22reduce_config_selectorIiEEZNS1_11reduce_implILb1ES3_N6thrust23THRUST_200600_302600_NS11hip_rocprim35transform_pair_of_input_iterators_tIiPN3c108BFloat16ESD_NS8_12not_equal_toISC_EEEEPiiNS8_4plusIiEEEE10hipError_tPvRmT1_T2_T3_mT4_P12ihipStream_tbEUlT_E1_NS1_11comp_targetILNS1_3genE9ELNS1_11target_archE1100ELNS1_3gpuE3ELNS1_3repE0EEENS1_30default_config_static_selectorELNS0_4arch9wavefront6targetE1EEEvSN_.num_agpr, 0
	.set _ZN7rocprim17ROCPRIM_400000_NS6detail17trampoline_kernelINS0_14default_configENS1_22reduce_config_selectorIiEEZNS1_11reduce_implILb1ES3_N6thrust23THRUST_200600_302600_NS11hip_rocprim35transform_pair_of_input_iterators_tIiPN3c108BFloat16ESD_NS8_12not_equal_toISC_EEEEPiiNS8_4plusIiEEEE10hipError_tPvRmT1_T2_T3_mT4_P12ihipStream_tbEUlT_E1_NS1_11comp_targetILNS1_3genE9ELNS1_11target_archE1100ELNS1_3gpuE3ELNS1_3repE0EEENS1_30default_config_static_selectorELNS0_4arch9wavefront6targetE1EEEvSN_.numbered_sgpr, 0
	.set _ZN7rocprim17ROCPRIM_400000_NS6detail17trampoline_kernelINS0_14default_configENS1_22reduce_config_selectorIiEEZNS1_11reduce_implILb1ES3_N6thrust23THRUST_200600_302600_NS11hip_rocprim35transform_pair_of_input_iterators_tIiPN3c108BFloat16ESD_NS8_12not_equal_toISC_EEEEPiiNS8_4plusIiEEEE10hipError_tPvRmT1_T2_T3_mT4_P12ihipStream_tbEUlT_E1_NS1_11comp_targetILNS1_3genE9ELNS1_11target_archE1100ELNS1_3gpuE3ELNS1_3repE0EEENS1_30default_config_static_selectorELNS0_4arch9wavefront6targetE1EEEvSN_.num_named_barrier, 0
	.set _ZN7rocprim17ROCPRIM_400000_NS6detail17trampoline_kernelINS0_14default_configENS1_22reduce_config_selectorIiEEZNS1_11reduce_implILb1ES3_N6thrust23THRUST_200600_302600_NS11hip_rocprim35transform_pair_of_input_iterators_tIiPN3c108BFloat16ESD_NS8_12not_equal_toISC_EEEEPiiNS8_4plusIiEEEE10hipError_tPvRmT1_T2_T3_mT4_P12ihipStream_tbEUlT_E1_NS1_11comp_targetILNS1_3genE9ELNS1_11target_archE1100ELNS1_3gpuE3ELNS1_3repE0EEENS1_30default_config_static_selectorELNS0_4arch9wavefront6targetE1EEEvSN_.private_seg_size, 0
	.set _ZN7rocprim17ROCPRIM_400000_NS6detail17trampoline_kernelINS0_14default_configENS1_22reduce_config_selectorIiEEZNS1_11reduce_implILb1ES3_N6thrust23THRUST_200600_302600_NS11hip_rocprim35transform_pair_of_input_iterators_tIiPN3c108BFloat16ESD_NS8_12not_equal_toISC_EEEEPiiNS8_4plusIiEEEE10hipError_tPvRmT1_T2_T3_mT4_P12ihipStream_tbEUlT_E1_NS1_11comp_targetILNS1_3genE9ELNS1_11target_archE1100ELNS1_3gpuE3ELNS1_3repE0EEENS1_30default_config_static_selectorELNS0_4arch9wavefront6targetE1EEEvSN_.uses_vcc, 0
	.set _ZN7rocprim17ROCPRIM_400000_NS6detail17trampoline_kernelINS0_14default_configENS1_22reduce_config_selectorIiEEZNS1_11reduce_implILb1ES3_N6thrust23THRUST_200600_302600_NS11hip_rocprim35transform_pair_of_input_iterators_tIiPN3c108BFloat16ESD_NS8_12not_equal_toISC_EEEEPiiNS8_4plusIiEEEE10hipError_tPvRmT1_T2_T3_mT4_P12ihipStream_tbEUlT_E1_NS1_11comp_targetILNS1_3genE9ELNS1_11target_archE1100ELNS1_3gpuE3ELNS1_3repE0EEENS1_30default_config_static_selectorELNS0_4arch9wavefront6targetE1EEEvSN_.uses_flat_scratch, 0
	.set _ZN7rocprim17ROCPRIM_400000_NS6detail17trampoline_kernelINS0_14default_configENS1_22reduce_config_selectorIiEEZNS1_11reduce_implILb1ES3_N6thrust23THRUST_200600_302600_NS11hip_rocprim35transform_pair_of_input_iterators_tIiPN3c108BFloat16ESD_NS8_12not_equal_toISC_EEEEPiiNS8_4plusIiEEEE10hipError_tPvRmT1_T2_T3_mT4_P12ihipStream_tbEUlT_E1_NS1_11comp_targetILNS1_3genE9ELNS1_11target_archE1100ELNS1_3gpuE3ELNS1_3repE0EEENS1_30default_config_static_selectorELNS0_4arch9wavefront6targetE1EEEvSN_.has_dyn_sized_stack, 0
	.set _ZN7rocprim17ROCPRIM_400000_NS6detail17trampoline_kernelINS0_14default_configENS1_22reduce_config_selectorIiEEZNS1_11reduce_implILb1ES3_N6thrust23THRUST_200600_302600_NS11hip_rocprim35transform_pair_of_input_iterators_tIiPN3c108BFloat16ESD_NS8_12not_equal_toISC_EEEEPiiNS8_4plusIiEEEE10hipError_tPvRmT1_T2_T3_mT4_P12ihipStream_tbEUlT_E1_NS1_11comp_targetILNS1_3genE9ELNS1_11target_archE1100ELNS1_3gpuE3ELNS1_3repE0EEENS1_30default_config_static_selectorELNS0_4arch9wavefront6targetE1EEEvSN_.has_recursion, 0
	.set _ZN7rocprim17ROCPRIM_400000_NS6detail17trampoline_kernelINS0_14default_configENS1_22reduce_config_selectorIiEEZNS1_11reduce_implILb1ES3_N6thrust23THRUST_200600_302600_NS11hip_rocprim35transform_pair_of_input_iterators_tIiPN3c108BFloat16ESD_NS8_12not_equal_toISC_EEEEPiiNS8_4plusIiEEEE10hipError_tPvRmT1_T2_T3_mT4_P12ihipStream_tbEUlT_E1_NS1_11comp_targetILNS1_3genE9ELNS1_11target_archE1100ELNS1_3gpuE3ELNS1_3repE0EEENS1_30default_config_static_selectorELNS0_4arch9wavefront6targetE1EEEvSN_.has_indirect_call, 0
	.section	.AMDGPU.csdata,"",@progbits
; Kernel info:
; codeLenInByte = 0
; TotalNumSgprs: 4
; NumVgprs: 0
; ScratchSize: 0
; MemoryBound: 0
; FloatMode: 240
; IeeeMode: 1
; LDSByteSize: 0 bytes/workgroup (compile time only)
; SGPRBlocks: 0
; VGPRBlocks: 0
; NumSGPRsForWavesPerEU: 4
; NumVGPRsForWavesPerEU: 1
; Occupancy: 10
; WaveLimiterHint : 0
; COMPUTE_PGM_RSRC2:SCRATCH_EN: 0
; COMPUTE_PGM_RSRC2:USER_SGPR: 6
; COMPUTE_PGM_RSRC2:TRAP_HANDLER: 0
; COMPUTE_PGM_RSRC2:TGID_X_EN: 1
; COMPUTE_PGM_RSRC2:TGID_Y_EN: 0
; COMPUTE_PGM_RSRC2:TGID_Z_EN: 0
; COMPUTE_PGM_RSRC2:TIDIG_COMP_CNT: 0
	.section	.text._ZN7rocprim17ROCPRIM_400000_NS6detail17trampoline_kernelINS0_14default_configENS1_22reduce_config_selectorIiEEZNS1_11reduce_implILb1ES3_N6thrust23THRUST_200600_302600_NS11hip_rocprim35transform_pair_of_input_iterators_tIiPN3c108BFloat16ESD_NS8_12not_equal_toISC_EEEEPiiNS8_4plusIiEEEE10hipError_tPvRmT1_T2_T3_mT4_P12ihipStream_tbEUlT_E1_NS1_11comp_targetILNS1_3genE8ELNS1_11target_archE1030ELNS1_3gpuE2ELNS1_3repE0EEENS1_30default_config_static_selectorELNS0_4arch9wavefront6targetE1EEEvSN_,"axG",@progbits,_ZN7rocprim17ROCPRIM_400000_NS6detail17trampoline_kernelINS0_14default_configENS1_22reduce_config_selectorIiEEZNS1_11reduce_implILb1ES3_N6thrust23THRUST_200600_302600_NS11hip_rocprim35transform_pair_of_input_iterators_tIiPN3c108BFloat16ESD_NS8_12not_equal_toISC_EEEEPiiNS8_4plusIiEEEE10hipError_tPvRmT1_T2_T3_mT4_P12ihipStream_tbEUlT_E1_NS1_11comp_targetILNS1_3genE8ELNS1_11target_archE1030ELNS1_3gpuE2ELNS1_3repE0EEENS1_30default_config_static_selectorELNS0_4arch9wavefront6targetE1EEEvSN_,comdat
	.protected	_ZN7rocprim17ROCPRIM_400000_NS6detail17trampoline_kernelINS0_14default_configENS1_22reduce_config_selectorIiEEZNS1_11reduce_implILb1ES3_N6thrust23THRUST_200600_302600_NS11hip_rocprim35transform_pair_of_input_iterators_tIiPN3c108BFloat16ESD_NS8_12not_equal_toISC_EEEEPiiNS8_4plusIiEEEE10hipError_tPvRmT1_T2_T3_mT4_P12ihipStream_tbEUlT_E1_NS1_11comp_targetILNS1_3genE8ELNS1_11target_archE1030ELNS1_3gpuE2ELNS1_3repE0EEENS1_30default_config_static_selectorELNS0_4arch9wavefront6targetE1EEEvSN_ ; -- Begin function _ZN7rocprim17ROCPRIM_400000_NS6detail17trampoline_kernelINS0_14default_configENS1_22reduce_config_selectorIiEEZNS1_11reduce_implILb1ES3_N6thrust23THRUST_200600_302600_NS11hip_rocprim35transform_pair_of_input_iterators_tIiPN3c108BFloat16ESD_NS8_12not_equal_toISC_EEEEPiiNS8_4plusIiEEEE10hipError_tPvRmT1_T2_T3_mT4_P12ihipStream_tbEUlT_E1_NS1_11comp_targetILNS1_3genE8ELNS1_11target_archE1030ELNS1_3gpuE2ELNS1_3repE0EEENS1_30default_config_static_selectorELNS0_4arch9wavefront6targetE1EEEvSN_
	.globl	_ZN7rocprim17ROCPRIM_400000_NS6detail17trampoline_kernelINS0_14default_configENS1_22reduce_config_selectorIiEEZNS1_11reduce_implILb1ES3_N6thrust23THRUST_200600_302600_NS11hip_rocprim35transform_pair_of_input_iterators_tIiPN3c108BFloat16ESD_NS8_12not_equal_toISC_EEEEPiiNS8_4plusIiEEEE10hipError_tPvRmT1_T2_T3_mT4_P12ihipStream_tbEUlT_E1_NS1_11comp_targetILNS1_3genE8ELNS1_11target_archE1030ELNS1_3gpuE2ELNS1_3repE0EEENS1_30default_config_static_selectorELNS0_4arch9wavefront6targetE1EEEvSN_
	.p2align	8
	.type	_ZN7rocprim17ROCPRIM_400000_NS6detail17trampoline_kernelINS0_14default_configENS1_22reduce_config_selectorIiEEZNS1_11reduce_implILb1ES3_N6thrust23THRUST_200600_302600_NS11hip_rocprim35transform_pair_of_input_iterators_tIiPN3c108BFloat16ESD_NS8_12not_equal_toISC_EEEEPiiNS8_4plusIiEEEE10hipError_tPvRmT1_T2_T3_mT4_P12ihipStream_tbEUlT_E1_NS1_11comp_targetILNS1_3genE8ELNS1_11target_archE1030ELNS1_3gpuE2ELNS1_3repE0EEENS1_30default_config_static_selectorELNS0_4arch9wavefront6targetE1EEEvSN_,@function
_ZN7rocprim17ROCPRIM_400000_NS6detail17trampoline_kernelINS0_14default_configENS1_22reduce_config_selectorIiEEZNS1_11reduce_implILb1ES3_N6thrust23THRUST_200600_302600_NS11hip_rocprim35transform_pair_of_input_iterators_tIiPN3c108BFloat16ESD_NS8_12not_equal_toISC_EEEEPiiNS8_4plusIiEEEE10hipError_tPvRmT1_T2_T3_mT4_P12ihipStream_tbEUlT_E1_NS1_11comp_targetILNS1_3genE8ELNS1_11target_archE1030ELNS1_3gpuE2ELNS1_3repE0EEENS1_30default_config_static_selectorELNS0_4arch9wavefront6targetE1EEEvSN_: ; @_ZN7rocprim17ROCPRIM_400000_NS6detail17trampoline_kernelINS0_14default_configENS1_22reduce_config_selectorIiEEZNS1_11reduce_implILb1ES3_N6thrust23THRUST_200600_302600_NS11hip_rocprim35transform_pair_of_input_iterators_tIiPN3c108BFloat16ESD_NS8_12not_equal_toISC_EEEEPiiNS8_4plusIiEEEE10hipError_tPvRmT1_T2_T3_mT4_P12ihipStream_tbEUlT_E1_NS1_11comp_targetILNS1_3genE8ELNS1_11target_archE1030ELNS1_3gpuE2ELNS1_3repE0EEENS1_30default_config_static_selectorELNS0_4arch9wavefront6targetE1EEEvSN_
; %bb.0:
	.section	.rodata,"a",@progbits
	.p2align	6, 0x0
	.amdhsa_kernel _ZN7rocprim17ROCPRIM_400000_NS6detail17trampoline_kernelINS0_14default_configENS1_22reduce_config_selectorIiEEZNS1_11reduce_implILb1ES3_N6thrust23THRUST_200600_302600_NS11hip_rocprim35transform_pair_of_input_iterators_tIiPN3c108BFloat16ESD_NS8_12not_equal_toISC_EEEEPiiNS8_4plusIiEEEE10hipError_tPvRmT1_T2_T3_mT4_P12ihipStream_tbEUlT_E1_NS1_11comp_targetILNS1_3genE8ELNS1_11target_archE1030ELNS1_3gpuE2ELNS1_3repE0EEENS1_30default_config_static_selectorELNS0_4arch9wavefront6targetE1EEEvSN_
		.amdhsa_group_segment_fixed_size 0
		.amdhsa_private_segment_fixed_size 0
		.amdhsa_kernarg_size 56
		.amdhsa_user_sgpr_count 6
		.amdhsa_user_sgpr_private_segment_buffer 1
		.amdhsa_user_sgpr_dispatch_ptr 0
		.amdhsa_user_sgpr_queue_ptr 0
		.amdhsa_user_sgpr_kernarg_segment_ptr 1
		.amdhsa_user_sgpr_dispatch_id 0
		.amdhsa_user_sgpr_flat_scratch_init 0
		.amdhsa_user_sgpr_private_segment_size 0
		.amdhsa_uses_dynamic_stack 0
		.amdhsa_system_sgpr_private_segment_wavefront_offset 0
		.amdhsa_system_sgpr_workgroup_id_x 1
		.amdhsa_system_sgpr_workgroup_id_y 0
		.amdhsa_system_sgpr_workgroup_id_z 0
		.amdhsa_system_sgpr_workgroup_info 0
		.amdhsa_system_vgpr_workitem_id 0
		.amdhsa_next_free_vgpr 1
		.amdhsa_next_free_sgpr 0
		.amdhsa_reserve_vcc 0
		.amdhsa_reserve_flat_scratch 0
		.amdhsa_float_round_mode_32 0
		.amdhsa_float_round_mode_16_64 0
		.amdhsa_float_denorm_mode_32 3
		.amdhsa_float_denorm_mode_16_64 3
		.amdhsa_dx10_clamp 1
		.amdhsa_ieee_mode 1
		.amdhsa_fp16_overflow 0
		.amdhsa_exception_fp_ieee_invalid_op 0
		.amdhsa_exception_fp_denorm_src 0
		.amdhsa_exception_fp_ieee_div_zero 0
		.amdhsa_exception_fp_ieee_overflow 0
		.amdhsa_exception_fp_ieee_underflow 0
		.amdhsa_exception_fp_ieee_inexact 0
		.amdhsa_exception_int_div_zero 0
	.end_amdhsa_kernel
	.section	.text._ZN7rocprim17ROCPRIM_400000_NS6detail17trampoline_kernelINS0_14default_configENS1_22reduce_config_selectorIiEEZNS1_11reduce_implILb1ES3_N6thrust23THRUST_200600_302600_NS11hip_rocprim35transform_pair_of_input_iterators_tIiPN3c108BFloat16ESD_NS8_12not_equal_toISC_EEEEPiiNS8_4plusIiEEEE10hipError_tPvRmT1_T2_T3_mT4_P12ihipStream_tbEUlT_E1_NS1_11comp_targetILNS1_3genE8ELNS1_11target_archE1030ELNS1_3gpuE2ELNS1_3repE0EEENS1_30default_config_static_selectorELNS0_4arch9wavefront6targetE1EEEvSN_,"axG",@progbits,_ZN7rocprim17ROCPRIM_400000_NS6detail17trampoline_kernelINS0_14default_configENS1_22reduce_config_selectorIiEEZNS1_11reduce_implILb1ES3_N6thrust23THRUST_200600_302600_NS11hip_rocprim35transform_pair_of_input_iterators_tIiPN3c108BFloat16ESD_NS8_12not_equal_toISC_EEEEPiiNS8_4plusIiEEEE10hipError_tPvRmT1_T2_T3_mT4_P12ihipStream_tbEUlT_E1_NS1_11comp_targetILNS1_3genE8ELNS1_11target_archE1030ELNS1_3gpuE2ELNS1_3repE0EEENS1_30default_config_static_selectorELNS0_4arch9wavefront6targetE1EEEvSN_,comdat
.Lfunc_end2051:
	.size	_ZN7rocprim17ROCPRIM_400000_NS6detail17trampoline_kernelINS0_14default_configENS1_22reduce_config_selectorIiEEZNS1_11reduce_implILb1ES3_N6thrust23THRUST_200600_302600_NS11hip_rocprim35transform_pair_of_input_iterators_tIiPN3c108BFloat16ESD_NS8_12not_equal_toISC_EEEEPiiNS8_4plusIiEEEE10hipError_tPvRmT1_T2_T3_mT4_P12ihipStream_tbEUlT_E1_NS1_11comp_targetILNS1_3genE8ELNS1_11target_archE1030ELNS1_3gpuE2ELNS1_3repE0EEENS1_30default_config_static_selectorELNS0_4arch9wavefront6targetE1EEEvSN_, .Lfunc_end2051-_ZN7rocprim17ROCPRIM_400000_NS6detail17trampoline_kernelINS0_14default_configENS1_22reduce_config_selectorIiEEZNS1_11reduce_implILb1ES3_N6thrust23THRUST_200600_302600_NS11hip_rocprim35transform_pair_of_input_iterators_tIiPN3c108BFloat16ESD_NS8_12not_equal_toISC_EEEEPiiNS8_4plusIiEEEE10hipError_tPvRmT1_T2_T3_mT4_P12ihipStream_tbEUlT_E1_NS1_11comp_targetILNS1_3genE8ELNS1_11target_archE1030ELNS1_3gpuE2ELNS1_3repE0EEENS1_30default_config_static_selectorELNS0_4arch9wavefront6targetE1EEEvSN_
                                        ; -- End function
	.set _ZN7rocprim17ROCPRIM_400000_NS6detail17trampoline_kernelINS0_14default_configENS1_22reduce_config_selectorIiEEZNS1_11reduce_implILb1ES3_N6thrust23THRUST_200600_302600_NS11hip_rocprim35transform_pair_of_input_iterators_tIiPN3c108BFloat16ESD_NS8_12not_equal_toISC_EEEEPiiNS8_4plusIiEEEE10hipError_tPvRmT1_T2_T3_mT4_P12ihipStream_tbEUlT_E1_NS1_11comp_targetILNS1_3genE8ELNS1_11target_archE1030ELNS1_3gpuE2ELNS1_3repE0EEENS1_30default_config_static_selectorELNS0_4arch9wavefront6targetE1EEEvSN_.num_vgpr, 0
	.set _ZN7rocprim17ROCPRIM_400000_NS6detail17trampoline_kernelINS0_14default_configENS1_22reduce_config_selectorIiEEZNS1_11reduce_implILb1ES3_N6thrust23THRUST_200600_302600_NS11hip_rocprim35transform_pair_of_input_iterators_tIiPN3c108BFloat16ESD_NS8_12not_equal_toISC_EEEEPiiNS8_4plusIiEEEE10hipError_tPvRmT1_T2_T3_mT4_P12ihipStream_tbEUlT_E1_NS1_11comp_targetILNS1_3genE8ELNS1_11target_archE1030ELNS1_3gpuE2ELNS1_3repE0EEENS1_30default_config_static_selectorELNS0_4arch9wavefront6targetE1EEEvSN_.num_agpr, 0
	.set _ZN7rocprim17ROCPRIM_400000_NS6detail17trampoline_kernelINS0_14default_configENS1_22reduce_config_selectorIiEEZNS1_11reduce_implILb1ES3_N6thrust23THRUST_200600_302600_NS11hip_rocprim35transform_pair_of_input_iterators_tIiPN3c108BFloat16ESD_NS8_12not_equal_toISC_EEEEPiiNS8_4plusIiEEEE10hipError_tPvRmT1_T2_T3_mT4_P12ihipStream_tbEUlT_E1_NS1_11comp_targetILNS1_3genE8ELNS1_11target_archE1030ELNS1_3gpuE2ELNS1_3repE0EEENS1_30default_config_static_selectorELNS0_4arch9wavefront6targetE1EEEvSN_.numbered_sgpr, 0
	.set _ZN7rocprim17ROCPRIM_400000_NS6detail17trampoline_kernelINS0_14default_configENS1_22reduce_config_selectorIiEEZNS1_11reduce_implILb1ES3_N6thrust23THRUST_200600_302600_NS11hip_rocprim35transform_pair_of_input_iterators_tIiPN3c108BFloat16ESD_NS8_12not_equal_toISC_EEEEPiiNS8_4plusIiEEEE10hipError_tPvRmT1_T2_T3_mT4_P12ihipStream_tbEUlT_E1_NS1_11comp_targetILNS1_3genE8ELNS1_11target_archE1030ELNS1_3gpuE2ELNS1_3repE0EEENS1_30default_config_static_selectorELNS0_4arch9wavefront6targetE1EEEvSN_.num_named_barrier, 0
	.set _ZN7rocprim17ROCPRIM_400000_NS6detail17trampoline_kernelINS0_14default_configENS1_22reduce_config_selectorIiEEZNS1_11reduce_implILb1ES3_N6thrust23THRUST_200600_302600_NS11hip_rocprim35transform_pair_of_input_iterators_tIiPN3c108BFloat16ESD_NS8_12not_equal_toISC_EEEEPiiNS8_4plusIiEEEE10hipError_tPvRmT1_T2_T3_mT4_P12ihipStream_tbEUlT_E1_NS1_11comp_targetILNS1_3genE8ELNS1_11target_archE1030ELNS1_3gpuE2ELNS1_3repE0EEENS1_30default_config_static_selectorELNS0_4arch9wavefront6targetE1EEEvSN_.private_seg_size, 0
	.set _ZN7rocprim17ROCPRIM_400000_NS6detail17trampoline_kernelINS0_14default_configENS1_22reduce_config_selectorIiEEZNS1_11reduce_implILb1ES3_N6thrust23THRUST_200600_302600_NS11hip_rocprim35transform_pair_of_input_iterators_tIiPN3c108BFloat16ESD_NS8_12not_equal_toISC_EEEEPiiNS8_4plusIiEEEE10hipError_tPvRmT1_T2_T3_mT4_P12ihipStream_tbEUlT_E1_NS1_11comp_targetILNS1_3genE8ELNS1_11target_archE1030ELNS1_3gpuE2ELNS1_3repE0EEENS1_30default_config_static_selectorELNS0_4arch9wavefront6targetE1EEEvSN_.uses_vcc, 0
	.set _ZN7rocprim17ROCPRIM_400000_NS6detail17trampoline_kernelINS0_14default_configENS1_22reduce_config_selectorIiEEZNS1_11reduce_implILb1ES3_N6thrust23THRUST_200600_302600_NS11hip_rocprim35transform_pair_of_input_iterators_tIiPN3c108BFloat16ESD_NS8_12not_equal_toISC_EEEEPiiNS8_4plusIiEEEE10hipError_tPvRmT1_T2_T3_mT4_P12ihipStream_tbEUlT_E1_NS1_11comp_targetILNS1_3genE8ELNS1_11target_archE1030ELNS1_3gpuE2ELNS1_3repE0EEENS1_30default_config_static_selectorELNS0_4arch9wavefront6targetE1EEEvSN_.uses_flat_scratch, 0
	.set _ZN7rocprim17ROCPRIM_400000_NS6detail17trampoline_kernelINS0_14default_configENS1_22reduce_config_selectorIiEEZNS1_11reduce_implILb1ES3_N6thrust23THRUST_200600_302600_NS11hip_rocprim35transform_pair_of_input_iterators_tIiPN3c108BFloat16ESD_NS8_12not_equal_toISC_EEEEPiiNS8_4plusIiEEEE10hipError_tPvRmT1_T2_T3_mT4_P12ihipStream_tbEUlT_E1_NS1_11comp_targetILNS1_3genE8ELNS1_11target_archE1030ELNS1_3gpuE2ELNS1_3repE0EEENS1_30default_config_static_selectorELNS0_4arch9wavefront6targetE1EEEvSN_.has_dyn_sized_stack, 0
	.set _ZN7rocprim17ROCPRIM_400000_NS6detail17trampoline_kernelINS0_14default_configENS1_22reduce_config_selectorIiEEZNS1_11reduce_implILb1ES3_N6thrust23THRUST_200600_302600_NS11hip_rocprim35transform_pair_of_input_iterators_tIiPN3c108BFloat16ESD_NS8_12not_equal_toISC_EEEEPiiNS8_4plusIiEEEE10hipError_tPvRmT1_T2_T3_mT4_P12ihipStream_tbEUlT_E1_NS1_11comp_targetILNS1_3genE8ELNS1_11target_archE1030ELNS1_3gpuE2ELNS1_3repE0EEENS1_30default_config_static_selectorELNS0_4arch9wavefront6targetE1EEEvSN_.has_recursion, 0
	.set _ZN7rocprim17ROCPRIM_400000_NS6detail17trampoline_kernelINS0_14default_configENS1_22reduce_config_selectorIiEEZNS1_11reduce_implILb1ES3_N6thrust23THRUST_200600_302600_NS11hip_rocprim35transform_pair_of_input_iterators_tIiPN3c108BFloat16ESD_NS8_12not_equal_toISC_EEEEPiiNS8_4plusIiEEEE10hipError_tPvRmT1_T2_T3_mT4_P12ihipStream_tbEUlT_E1_NS1_11comp_targetILNS1_3genE8ELNS1_11target_archE1030ELNS1_3gpuE2ELNS1_3repE0EEENS1_30default_config_static_selectorELNS0_4arch9wavefront6targetE1EEEvSN_.has_indirect_call, 0
	.section	.AMDGPU.csdata,"",@progbits
; Kernel info:
; codeLenInByte = 0
; TotalNumSgprs: 4
; NumVgprs: 0
; ScratchSize: 0
; MemoryBound: 0
; FloatMode: 240
; IeeeMode: 1
; LDSByteSize: 0 bytes/workgroup (compile time only)
; SGPRBlocks: 0
; VGPRBlocks: 0
; NumSGPRsForWavesPerEU: 4
; NumVGPRsForWavesPerEU: 1
; Occupancy: 10
; WaveLimiterHint : 0
; COMPUTE_PGM_RSRC2:SCRATCH_EN: 0
; COMPUTE_PGM_RSRC2:USER_SGPR: 6
; COMPUTE_PGM_RSRC2:TRAP_HANDLER: 0
; COMPUTE_PGM_RSRC2:TGID_X_EN: 1
; COMPUTE_PGM_RSRC2:TGID_Y_EN: 0
; COMPUTE_PGM_RSRC2:TGID_Z_EN: 0
; COMPUTE_PGM_RSRC2:TIDIG_COMP_CNT: 0
	.section	.text._ZN7rocprim17ROCPRIM_400000_NS6detail17trampoline_kernelINS0_14default_configENS1_29reduce_by_key_config_selectorIN3c108BFloat16ElN6thrust23THRUST_200600_302600_NS4plusIlEEEEZZNS1_33reduce_by_key_impl_wrapped_configILNS1_25lookback_scan_determinismE0ES3_SB_PS6_NS8_17constant_iteratorIiNS8_11use_defaultESG_EENS8_10device_ptrIS6_EENSI_IlEEPmSA_NS8_8equal_toIS6_EEEE10hipError_tPvRmT2_T3_mT4_T5_T6_T7_T8_P12ihipStream_tbENKUlT_T0_E_clISt17integral_constantIbLb0EES15_EEDaS10_S11_EUlS10_E_NS1_11comp_targetILNS1_3genE0ELNS1_11target_archE4294967295ELNS1_3gpuE0ELNS1_3repE0EEENS1_30default_config_static_selectorELNS0_4arch9wavefront6targetE1EEEvT1_,"axG",@progbits,_ZN7rocprim17ROCPRIM_400000_NS6detail17trampoline_kernelINS0_14default_configENS1_29reduce_by_key_config_selectorIN3c108BFloat16ElN6thrust23THRUST_200600_302600_NS4plusIlEEEEZZNS1_33reduce_by_key_impl_wrapped_configILNS1_25lookback_scan_determinismE0ES3_SB_PS6_NS8_17constant_iteratorIiNS8_11use_defaultESG_EENS8_10device_ptrIS6_EENSI_IlEEPmSA_NS8_8equal_toIS6_EEEE10hipError_tPvRmT2_T3_mT4_T5_T6_T7_T8_P12ihipStream_tbENKUlT_T0_E_clISt17integral_constantIbLb0EES15_EEDaS10_S11_EUlS10_E_NS1_11comp_targetILNS1_3genE0ELNS1_11target_archE4294967295ELNS1_3gpuE0ELNS1_3repE0EEENS1_30default_config_static_selectorELNS0_4arch9wavefront6targetE1EEEvT1_,comdat
	.protected	_ZN7rocprim17ROCPRIM_400000_NS6detail17trampoline_kernelINS0_14default_configENS1_29reduce_by_key_config_selectorIN3c108BFloat16ElN6thrust23THRUST_200600_302600_NS4plusIlEEEEZZNS1_33reduce_by_key_impl_wrapped_configILNS1_25lookback_scan_determinismE0ES3_SB_PS6_NS8_17constant_iteratorIiNS8_11use_defaultESG_EENS8_10device_ptrIS6_EENSI_IlEEPmSA_NS8_8equal_toIS6_EEEE10hipError_tPvRmT2_T3_mT4_T5_T6_T7_T8_P12ihipStream_tbENKUlT_T0_E_clISt17integral_constantIbLb0EES15_EEDaS10_S11_EUlS10_E_NS1_11comp_targetILNS1_3genE0ELNS1_11target_archE4294967295ELNS1_3gpuE0ELNS1_3repE0EEENS1_30default_config_static_selectorELNS0_4arch9wavefront6targetE1EEEvT1_ ; -- Begin function _ZN7rocprim17ROCPRIM_400000_NS6detail17trampoline_kernelINS0_14default_configENS1_29reduce_by_key_config_selectorIN3c108BFloat16ElN6thrust23THRUST_200600_302600_NS4plusIlEEEEZZNS1_33reduce_by_key_impl_wrapped_configILNS1_25lookback_scan_determinismE0ES3_SB_PS6_NS8_17constant_iteratorIiNS8_11use_defaultESG_EENS8_10device_ptrIS6_EENSI_IlEEPmSA_NS8_8equal_toIS6_EEEE10hipError_tPvRmT2_T3_mT4_T5_T6_T7_T8_P12ihipStream_tbENKUlT_T0_E_clISt17integral_constantIbLb0EES15_EEDaS10_S11_EUlS10_E_NS1_11comp_targetILNS1_3genE0ELNS1_11target_archE4294967295ELNS1_3gpuE0ELNS1_3repE0EEENS1_30default_config_static_selectorELNS0_4arch9wavefront6targetE1EEEvT1_
	.globl	_ZN7rocprim17ROCPRIM_400000_NS6detail17trampoline_kernelINS0_14default_configENS1_29reduce_by_key_config_selectorIN3c108BFloat16ElN6thrust23THRUST_200600_302600_NS4plusIlEEEEZZNS1_33reduce_by_key_impl_wrapped_configILNS1_25lookback_scan_determinismE0ES3_SB_PS6_NS8_17constant_iteratorIiNS8_11use_defaultESG_EENS8_10device_ptrIS6_EENSI_IlEEPmSA_NS8_8equal_toIS6_EEEE10hipError_tPvRmT2_T3_mT4_T5_T6_T7_T8_P12ihipStream_tbENKUlT_T0_E_clISt17integral_constantIbLb0EES15_EEDaS10_S11_EUlS10_E_NS1_11comp_targetILNS1_3genE0ELNS1_11target_archE4294967295ELNS1_3gpuE0ELNS1_3repE0EEENS1_30default_config_static_selectorELNS0_4arch9wavefront6targetE1EEEvT1_
	.p2align	8
	.type	_ZN7rocprim17ROCPRIM_400000_NS6detail17trampoline_kernelINS0_14default_configENS1_29reduce_by_key_config_selectorIN3c108BFloat16ElN6thrust23THRUST_200600_302600_NS4plusIlEEEEZZNS1_33reduce_by_key_impl_wrapped_configILNS1_25lookback_scan_determinismE0ES3_SB_PS6_NS8_17constant_iteratorIiNS8_11use_defaultESG_EENS8_10device_ptrIS6_EENSI_IlEEPmSA_NS8_8equal_toIS6_EEEE10hipError_tPvRmT2_T3_mT4_T5_T6_T7_T8_P12ihipStream_tbENKUlT_T0_E_clISt17integral_constantIbLb0EES15_EEDaS10_S11_EUlS10_E_NS1_11comp_targetILNS1_3genE0ELNS1_11target_archE4294967295ELNS1_3gpuE0ELNS1_3repE0EEENS1_30default_config_static_selectorELNS0_4arch9wavefront6targetE1EEEvT1_,@function
_ZN7rocprim17ROCPRIM_400000_NS6detail17trampoline_kernelINS0_14default_configENS1_29reduce_by_key_config_selectorIN3c108BFloat16ElN6thrust23THRUST_200600_302600_NS4plusIlEEEEZZNS1_33reduce_by_key_impl_wrapped_configILNS1_25lookback_scan_determinismE0ES3_SB_PS6_NS8_17constant_iteratorIiNS8_11use_defaultESG_EENS8_10device_ptrIS6_EENSI_IlEEPmSA_NS8_8equal_toIS6_EEEE10hipError_tPvRmT2_T3_mT4_T5_T6_T7_T8_P12ihipStream_tbENKUlT_T0_E_clISt17integral_constantIbLb0EES15_EEDaS10_S11_EUlS10_E_NS1_11comp_targetILNS1_3genE0ELNS1_11target_archE4294967295ELNS1_3gpuE0ELNS1_3repE0EEENS1_30default_config_static_selectorELNS0_4arch9wavefront6targetE1EEEvT1_: ; @_ZN7rocprim17ROCPRIM_400000_NS6detail17trampoline_kernelINS0_14default_configENS1_29reduce_by_key_config_selectorIN3c108BFloat16ElN6thrust23THRUST_200600_302600_NS4plusIlEEEEZZNS1_33reduce_by_key_impl_wrapped_configILNS1_25lookback_scan_determinismE0ES3_SB_PS6_NS8_17constant_iteratorIiNS8_11use_defaultESG_EENS8_10device_ptrIS6_EENSI_IlEEPmSA_NS8_8equal_toIS6_EEEE10hipError_tPvRmT2_T3_mT4_T5_T6_T7_T8_P12ihipStream_tbENKUlT_T0_E_clISt17integral_constantIbLb0EES15_EEDaS10_S11_EUlS10_E_NS1_11comp_targetILNS1_3genE0ELNS1_11target_archE4294967295ELNS1_3gpuE0ELNS1_3repE0EEENS1_30default_config_static_selectorELNS0_4arch9wavefront6targetE1EEEvT1_
; %bb.0:
	.section	.rodata,"a",@progbits
	.p2align	6, 0x0
	.amdhsa_kernel _ZN7rocprim17ROCPRIM_400000_NS6detail17trampoline_kernelINS0_14default_configENS1_29reduce_by_key_config_selectorIN3c108BFloat16ElN6thrust23THRUST_200600_302600_NS4plusIlEEEEZZNS1_33reduce_by_key_impl_wrapped_configILNS1_25lookback_scan_determinismE0ES3_SB_PS6_NS8_17constant_iteratorIiNS8_11use_defaultESG_EENS8_10device_ptrIS6_EENSI_IlEEPmSA_NS8_8equal_toIS6_EEEE10hipError_tPvRmT2_T3_mT4_T5_T6_T7_T8_P12ihipStream_tbENKUlT_T0_E_clISt17integral_constantIbLb0EES15_EEDaS10_S11_EUlS10_E_NS1_11comp_targetILNS1_3genE0ELNS1_11target_archE4294967295ELNS1_3gpuE0ELNS1_3repE0EEENS1_30default_config_static_selectorELNS0_4arch9wavefront6targetE1EEEvT1_
		.amdhsa_group_segment_fixed_size 0
		.amdhsa_private_segment_fixed_size 0
		.amdhsa_kernarg_size 144
		.amdhsa_user_sgpr_count 6
		.amdhsa_user_sgpr_private_segment_buffer 1
		.amdhsa_user_sgpr_dispatch_ptr 0
		.amdhsa_user_sgpr_queue_ptr 0
		.amdhsa_user_sgpr_kernarg_segment_ptr 1
		.amdhsa_user_sgpr_dispatch_id 0
		.amdhsa_user_sgpr_flat_scratch_init 0
		.amdhsa_user_sgpr_private_segment_size 0
		.amdhsa_uses_dynamic_stack 0
		.amdhsa_system_sgpr_private_segment_wavefront_offset 0
		.amdhsa_system_sgpr_workgroup_id_x 1
		.amdhsa_system_sgpr_workgroup_id_y 0
		.amdhsa_system_sgpr_workgroup_id_z 0
		.amdhsa_system_sgpr_workgroup_info 0
		.amdhsa_system_vgpr_workitem_id 0
		.amdhsa_next_free_vgpr 1
		.amdhsa_next_free_sgpr 0
		.amdhsa_reserve_vcc 0
		.amdhsa_reserve_flat_scratch 0
		.amdhsa_float_round_mode_32 0
		.amdhsa_float_round_mode_16_64 0
		.amdhsa_float_denorm_mode_32 3
		.amdhsa_float_denorm_mode_16_64 3
		.amdhsa_dx10_clamp 1
		.amdhsa_ieee_mode 1
		.amdhsa_fp16_overflow 0
		.amdhsa_exception_fp_ieee_invalid_op 0
		.amdhsa_exception_fp_denorm_src 0
		.amdhsa_exception_fp_ieee_div_zero 0
		.amdhsa_exception_fp_ieee_overflow 0
		.amdhsa_exception_fp_ieee_underflow 0
		.amdhsa_exception_fp_ieee_inexact 0
		.amdhsa_exception_int_div_zero 0
	.end_amdhsa_kernel
	.section	.text._ZN7rocprim17ROCPRIM_400000_NS6detail17trampoline_kernelINS0_14default_configENS1_29reduce_by_key_config_selectorIN3c108BFloat16ElN6thrust23THRUST_200600_302600_NS4plusIlEEEEZZNS1_33reduce_by_key_impl_wrapped_configILNS1_25lookback_scan_determinismE0ES3_SB_PS6_NS8_17constant_iteratorIiNS8_11use_defaultESG_EENS8_10device_ptrIS6_EENSI_IlEEPmSA_NS8_8equal_toIS6_EEEE10hipError_tPvRmT2_T3_mT4_T5_T6_T7_T8_P12ihipStream_tbENKUlT_T0_E_clISt17integral_constantIbLb0EES15_EEDaS10_S11_EUlS10_E_NS1_11comp_targetILNS1_3genE0ELNS1_11target_archE4294967295ELNS1_3gpuE0ELNS1_3repE0EEENS1_30default_config_static_selectorELNS0_4arch9wavefront6targetE1EEEvT1_,"axG",@progbits,_ZN7rocprim17ROCPRIM_400000_NS6detail17trampoline_kernelINS0_14default_configENS1_29reduce_by_key_config_selectorIN3c108BFloat16ElN6thrust23THRUST_200600_302600_NS4plusIlEEEEZZNS1_33reduce_by_key_impl_wrapped_configILNS1_25lookback_scan_determinismE0ES3_SB_PS6_NS8_17constant_iteratorIiNS8_11use_defaultESG_EENS8_10device_ptrIS6_EENSI_IlEEPmSA_NS8_8equal_toIS6_EEEE10hipError_tPvRmT2_T3_mT4_T5_T6_T7_T8_P12ihipStream_tbENKUlT_T0_E_clISt17integral_constantIbLb0EES15_EEDaS10_S11_EUlS10_E_NS1_11comp_targetILNS1_3genE0ELNS1_11target_archE4294967295ELNS1_3gpuE0ELNS1_3repE0EEENS1_30default_config_static_selectorELNS0_4arch9wavefront6targetE1EEEvT1_,comdat
.Lfunc_end2052:
	.size	_ZN7rocprim17ROCPRIM_400000_NS6detail17trampoline_kernelINS0_14default_configENS1_29reduce_by_key_config_selectorIN3c108BFloat16ElN6thrust23THRUST_200600_302600_NS4plusIlEEEEZZNS1_33reduce_by_key_impl_wrapped_configILNS1_25lookback_scan_determinismE0ES3_SB_PS6_NS8_17constant_iteratorIiNS8_11use_defaultESG_EENS8_10device_ptrIS6_EENSI_IlEEPmSA_NS8_8equal_toIS6_EEEE10hipError_tPvRmT2_T3_mT4_T5_T6_T7_T8_P12ihipStream_tbENKUlT_T0_E_clISt17integral_constantIbLb0EES15_EEDaS10_S11_EUlS10_E_NS1_11comp_targetILNS1_3genE0ELNS1_11target_archE4294967295ELNS1_3gpuE0ELNS1_3repE0EEENS1_30default_config_static_selectorELNS0_4arch9wavefront6targetE1EEEvT1_, .Lfunc_end2052-_ZN7rocprim17ROCPRIM_400000_NS6detail17trampoline_kernelINS0_14default_configENS1_29reduce_by_key_config_selectorIN3c108BFloat16ElN6thrust23THRUST_200600_302600_NS4plusIlEEEEZZNS1_33reduce_by_key_impl_wrapped_configILNS1_25lookback_scan_determinismE0ES3_SB_PS6_NS8_17constant_iteratorIiNS8_11use_defaultESG_EENS8_10device_ptrIS6_EENSI_IlEEPmSA_NS8_8equal_toIS6_EEEE10hipError_tPvRmT2_T3_mT4_T5_T6_T7_T8_P12ihipStream_tbENKUlT_T0_E_clISt17integral_constantIbLb0EES15_EEDaS10_S11_EUlS10_E_NS1_11comp_targetILNS1_3genE0ELNS1_11target_archE4294967295ELNS1_3gpuE0ELNS1_3repE0EEENS1_30default_config_static_selectorELNS0_4arch9wavefront6targetE1EEEvT1_
                                        ; -- End function
	.set _ZN7rocprim17ROCPRIM_400000_NS6detail17trampoline_kernelINS0_14default_configENS1_29reduce_by_key_config_selectorIN3c108BFloat16ElN6thrust23THRUST_200600_302600_NS4plusIlEEEEZZNS1_33reduce_by_key_impl_wrapped_configILNS1_25lookback_scan_determinismE0ES3_SB_PS6_NS8_17constant_iteratorIiNS8_11use_defaultESG_EENS8_10device_ptrIS6_EENSI_IlEEPmSA_NS8_8equal_toIS6_EEEE10hipError_tPvRmT2_T3_mT4_T5_T6_T7_T8_P12ihipStream_tbENKUlT_T0_E_clISt17integral_constantIbLb0EES15_EEDaS10_S11_EUlS10_E_NS1_11comp_targetILNS1_3genE0ELNS1_11target_archE4294967295ELNS1_3gpuE0ELNS1_3repE0EEENS1_30default_config_static_selectorELNS0_4arch9wavefront6targetE1EEEvT1_.num_vgpr, 0
	.set _ZN7rocprim17ROCPRIM_400000_NS6detail17trampoline_kernelINS0_14default_configENS1_29reduce_by_key_config_selectorIN3c108BFloat16ElN6thrust23THRUST_200600_302600_NS4plusIlEEEEZZNS1_33reduce_by_key_impl_wrapped_configILNS1_25lookback_scan_determinismE0ES3_SB_PS6_NS8_17constant_iteratorIiNS8_11use_defaultESG_EENS8_10device_ptrIS6_EENSI_IlEEPmSA_NS8_8equal_toIS6_EEEE10hipError_tPvRmT2_T3_mT4_T5_T6_T7_T8_P12ihipStream_tbENKUlT_T0_E_clISt17integral_constantIbLb0EES15_EEDaS10_S11_EUlS10_E_NS1_11comp_targetILNS1_3genE0ELNS1_11target_archE4294967295ELNS1_3gpuE0ELNS1_3repE0EEENS1_30default_config_static_selectorELNS0_4arch9wavefront6targetE1EEEvT1_.num_agpr, 0
	.set _ZN7rocprim17ROCPRIM_400000_NS6detail17trampoline_kernelINS0_14default_configENS1_29reduce_by_key_config_selectorIN3c108BFloat16ElN6thrust23THRUST_200600_302600_NS4plusIlEEEEZZNS1_33reduce_by_key_impl_wrapped_configILNS1_25lookback_scan_determinismE0ES3_SB_PS6_NS8_17constant_iteratorIiNS8_11use_defaultESG_EENS8_10device_ptrIS6_EENSI_IlEEPmSA_NS8_8equal_toIS6_EEEE10hipError_tPvRmT2_T3_mT4_T5_T6_T7_T8_P12ihipStream_tbENKUlT_T0_E_clISt17integral_constantIbLb0EES15_EEDaS10_S11_EUlS10_E_NS1_11comp_targetILNS1_3genE0ELNS1_11target_archE4294967295ELNS1_3gpuE0ELNS1_3repE0EEENS1_30default_config_static_selectorELNS0_4arch9wavefront6targetE1EEEvT1_.numbered_sgpr, 0
	.set _ZN7rocprim17ROCPRIM_400000_NS6detail17trampoline_kernelINS0_14default_configENS1_29reduce_by_key_config_selectorIN3c108BFloat16ElN6thrust23THRUST_200600_302600_NS4plusIlEEEEZZNS1_33reduce_by_key_impl_wrapped_configILNS1_25lookback_scan_determinismE0ES3_SB_PS6_NS8_17constant_iteratorIiNS8_11use_defaultESG_EENS8_10device_ptrIS6_EENSI_IlEEPmSA_NS8_8equal_toIS6_EEEE10hipError_tPvRmT2_T3_mT4_T5_T6_T7_T8_P12ihipStream_tbENKUlT_T0_E_clISt17integral_constantIbLb0EES15_EEDaS10_S11_EUlS10_E_NS1_11comp_targetILNS1_3genE0ELNS1_11target_archE4294967295ELNS1_3gpuE0ELNS1_3repE0EEENS1_30default_config_static_selectorELNS0_4arch9wavefront6targetE1EEEvT1_.num_named_barrier, 0
	.set _ZN7rocprim17ROCPRIM_400000_NS6detail17trampoline_kernelINS0_14default_configENS1_29reduce_by_key_config_selectorIN3c108BFloat16ElN6thrust23THRUST_200600_302600_NS4plusIlEEEEZZNS1_33reduce_by_key_impl_wrapped_configILNS1_25lookback_scan_determinismE0ES3_SB_PS6_NS8_17constant_iteratorIiNS8_11use_defaultESG_EENS8_10device_ptrIS6_EENSI_IlEEPmSA_NS8_8equal_toIS6_EEEE10hipError_tPvRmT2_T3_mT4_T5_T6_T7_T8_P12ihipStream_tbENKUlT_T0_E_clISt17integral_constantIbLb0EES15_EEDaS10_S11_EUlS10_E_NS1_11comp_targetILNS1_3genE0ELNS1_11target_archE4294967295ELNS1_3gpuE0ELNS1_3repE0EEENS1_30default_config_static_selectorELNS0_4arch9wavefront6targetE1EEEvT1_.private_seg_size, 0
	.set _ZN7rocprim17ROCPRIM_400000_NS6detail17trampoline_kernelINS0_14default_configENS1_29reduce_by_key_config_selectorIN3c108BFloat16ElN6thrust23THRUST_200600_302600_NS4plusIlEEEEZZNS1_33reduce_by_key_impl_wrapped_configILNS1_25lookback_scan_determinismE0ES3_SB_PS6_NS8_17constant_iteratorIiNS8_11use_defaultESG_EENS8_10device_ptrIS6_EENSI_IlEEPmSA_NS8_8equal_toIS6_EEEE10hipError_tPvRmT2_T3_mT4_T5_T6_T7_T8_P12ihipStream_tbENKUlT_T0_E_clISt17integral_constantIbLb0EES15_EEDaS10_S11_EUlS10_E_NS1_11comp_targetILNS1_3genE0ELNS1_11target_archE4294967295ELNS1_3gpuE0ELNS1_3repE0EEENS1_30default_config_static_selectorELNS0_4arch9wavefront6targetE1EEEvT1_.uses_vcc, 0
	.set _ZN7rocprim17ROCPRIM_400000_NS6detail17trampoline_kernelINS0_14default_configENS1_29reduce_by_key_config_selectorIN3c108BFloat16ElN6thrust23THRUST_200600_302600_NS4plusIlEEEEZZNS1_33reduce_by_key_impl_wrapped_configILNS1_25lookback_scan_determinismE0ES3_SB_PS6_NS8_17constant_iteratorIiNS8_11use_defaultESG_EENS8_10device_ptrIS6_EENSI_IlEEPmSA_NS8_8equal_toIS6_EEEE10hipError_tPvRmT2_T3_mT4_T5_T6_T7_T8_P12ihipStream_tbENKUlT_T0_E_clISt17integral_constantIbLb0EES15_EEDaS10_S11_EUlS10_E_NS1_11comp_targetILNS1_3genE0ELNS1_11target_archE4294967295ELNS1_3gpuE0ELNS1_3repE0EEENS1_30default_config_static_selectorELNS0_4arch9wavefront6targetE1EEEvT1_.uses_flat_scratch, 0
	.set _ZN7rocprim17ROCPRIM_400000_NS6detail17trampoline_kernelINS0_14default_configENS1_29reduce_by_key_config_selectorIN3c108BFloat16ElN6thrust23THRUST_200600_302600_NS4plusIlEEEEZZNS1_33reduce_by_key_impl_wrapped_configILNS1_25lookback_scan_determinismE0ES3_SB_PS6_NS8_17constant_iteratorIiNS8_11use_defaultESG_EENS8_10device_ptrIS6_EENSI_IlEEPmSA_NS8_8equal_toIS6_EEEE10hipError_tPvRmT2_T3_mT4_T5_T6_T7_T8_P12ihipStream_tbENKUlT_T0_E_clISt17integral_constantIbLb0EES15_EEDaS10_S11_EUlS10_E_NS1_11comp_targetILNS1_3genE0ELNS1_11target_archE4294967295ELNS1_3gpuE0ELNS1_3repE0EEENS1_30default_config_static_selectorELNS0_4arch9wavefront6targetE1EEEvT1_.has_dyn_sized_stack, 0
	.set _ZN7rocprim17ROCPRIM_400000_NS6detail17trampoline_kernelINS0_14default_configENS1_29reduce_by_key_config_selectorIN3c108BFloat16ElN6thrust23THRUST_200600_302600_NS4plusIlEEEEZZNS1_33reduce_by_key_impl_wrapped_configILNS1_25lookback_scan_determinismE0ES3_SB_PS6_NS8_17constant_iteratorIiNS8_11use_defaultESG_EENS8_10device_ptrIS6_EENSI_IlEEPmSA_NS8_8equal_toIS6_EEEE10hipError_tPvRmT2_T3_mT4_T5_T6_T7_T8_P12ihipStream_tbENKUlT_T0_E_clISt17integral_constantIbLb0EES15_EEDaS10_S11_EUlS10_E_NS1_11comp_targetILNS1_3genE0ELNS1_11target_archE4294967295ELNS1_3gpuE0ELNS1_3repE0EEENS1_30default_config_static_selectorELNS0_4arch9wavefront6targetE1EEEvT1_.has_recursion, 0
	.set _ZN7rocprim17ROCPRIM_400000_NS6detail17trampoline_kernelINS0_14default_configENS1_29reduce_by_key_config_selectorIN3c108BFloat16ElN6thrust23THRUST_200600_302600_NS4plusIlEEEEZZNS1_33reduce_by_key_impl_wrapped_configILNS1_25lookback_scan_determinismE0ES3_SB_PS6_NS8_17constant_iteratorIiNS8_11use_defaultESG_EENS8_10device_ptrIS6_EENSI_IlEEPmSA_NS8_8equal_toIS6_EEEE10hipError_tPvRmT2_T3_mT4_T5_T6_T7_T8_P12ihipStream_tbENKUlT_T0_E_clISt17integral_constantIbLb0EES15_EEDaS10_S11_EUlS10_E_NS1_11comp_targetILNS1_3genE0ELNS1_11target_archE4294967295ELNS1_3gpuE0ELNS1_3repE0EEENS1_30default_config_static_selectorELNS0_4arch9wavefront6targetE1EEEvT1_.has_indirect_call, 0
	.section	.AMDGPU.csdata,"",@progbits
; Kernel info:
; codeLenInByte = 0
; TotalNumSgprs: 4
; NumVgprs: 0
; ScratchSize: 0
; MemoryBound: 0
; FloatMode: 240
; IeeeMode: 1
; LDSByteSize: 0 bytes/workgroup (compile time only)
; SGPRBlocks: 0
; VGPRBlocks: 0
; NumSGPRsForWavesPerEU: 4
; NumVGPRsForWavesPerEU: 1
; Occupancy: 10
; WaveLimiterHint : 0
; COMPUTE_PGM_RSRC2:SCRATCH_EN: 0
; COMPUTE_PGM_RSRC2:USER_SGPR: 6
; COMPUTE_PGM_RSRC2:TRAP_HANDLER: 0
; COMPUTE_PGM_RSRC2:TGID_X_EN: 1
; COMPUTE_PGM_RSRC2:TGID_Y_EN: 0
; COMPUTE_PGM_RSRC2:TGID_Z_EN: 0
; COMPUTE_PGM_RSRC2:TIDIG_COMP_CNT: 0
	.section	.text._ZN7rocprim17ROCPRIM_400000_NS6detail17trampoline_kernelINS0_14default_configENS1_29reduce_by_key_config_selectorIN3c108BFloat16ElN6thrust23THRUST_200600_302600_NS4plusIlEEEEZZNS1_33reduce_by_key_impl_wrapped_configILNS1_25lookback_scan_determinismE0ES3_SB_PS6_NS8_17constant_iteratorIiNS8_11use_defaultESG_EENS8_10device_ptrIS6_EENSI_IlEEPmSA_NS8_8equal_toIS6_EEEE10hipError_tPvRmT2_T3_mT4_T5_T6_T7_T8_P12ihipStream_tbENKUlT_T0_E_clISt17integral_constantIbLb0EES15_EEDaS10_S11_EUlS10_E_NS1_11comp_targetILNS1_3genE5ELNS1_11target_archE942ELNS1_3gpuE9ELNS1_3repE0EEENS1_30default_config_static_selectorELNS0_4arch9wavefront6targetE1EEEvT1_,"axG",@progbits,_ZN7rocprim17ROCPRIM_400000_NS6detail17trampoline_kernelINS0_14default_configENS1_29reduce_by_key_config_selectorIN3c108BFloat16ElN6thrust23THRUST_200600_302600_NS4plusIlEEEEZZNS1_33reduce_by_key_impl_wrapped_configILNS1_25lookback_scan_determinismE0ES3_SB_PS6_NS8_17constant_iteratorIiNS8_11use_defaultESG_EENS8_10device_ptrIS6_EENSI_IlEEPmSA_NS8_8equal_toIS6_EEEE10hipError_tPvRmT2_T3_mT4_T5_T6_T7_T8_P12ihipStream_tbENKUlT_T0_E_clISt17integral_constantIbLb0EES15_EEDaS10_S11_EUlS10_E_NS1_11comp_targetILNS1_3genE5ELNS1_11target_archE942ELNS1_3gpuE9ELNS1_3repE0EEENS1_30default_config_static_selectorELNS0_4arch9wavefront6targetE1EEEvT1_,comdat
	.protected	_ZN7rocprim17ROCPRIM_400000_NS6detail17trampoline_kernelINS0_14default_configENS1_29reduce_by_key_config_selectorIN3c108BFloat16ElN6thrust23THRUST_200600_302600_NS4plusIlEEEEZZNS1_33reduce_by_key_impl_wrapped_configILNS1_25lookback_scan_determinismE0ES3_SB_PS6_NS8_17constant_iteratorIiNS8_11use_defaultESG_EENS8_10device_ptrIS6_EENSI_IlEEPmSA_NS8_8equal_toIS6_EEEE10hipError_tPvRmT2_T3_mT4_T5_T6_T7_T8_P12ihipStream_tbENKUlT_T0_E_clISt17integral_constantIbLb0EES15_EEDaS10_S11_EUlS10_E_NS1_11comp_targetILNS1_3genE5ELNS1_11target_archE942ELNS1_3gpuE9ELNS1_3repE0EEENS1_30default_config_static_selectorELNS0_4arch9wavefront6targetE1EEEvT1_ ; -- Begin function _ZN7rocprim17ROCPRIM_400000_NS6detail17trampoline_kernelINS0_14default_configENS1_29reduce_by_key_config_selectorIN3c108BFloat16ElN6thrust23THRUST_200600_302600_NS4plusIlEEEEZZNS1_33reduce_by_key_impl_wrapped_configILNS1_25lookback_scan_determinismE0ES3_SB_PS6_NS8_17constant_iteratorIiNS8_11use_defaultESG_EENS8_10device_ptrIS6_EENSI_IlEEPmSA_NS8_8equal_toIS6_EEEE10hipError_tPvRmT2_T3_mT4_T5_T6_T7_T8_P12ihipStream_tbENKUlT_T0_E_clISt17integral_constantIbLb0EES15_EEDaS10_S11_EUlS10_E_NS1_11comp_targetILNS1_3genE5ELNS1_11target_archE942ELNS1_3gpuE9ELNS1_3repE0EEENS1_30default_config_static_selectorELNS0_4arch9wavefront6targetE1EEEvT1_
	.globl	_ZN7rocprim17ROCPRIM_400000_NS6detail17trampoline_kernelINS0_14default_configENS1_29reduce_by_key_config_selectorIN3c108BFloat16ElN6thrust23THRUST_200600_302600_NS4plusIlEEEEZZNS1_33reduce_by_key_impl_wrapped_configILNS1_25lookback_scan_determinismE0ES3_SB_PS6_NS8_17constant_iteratorIiNS8_11use_defaultESG_EENS8_10device_ptrIS6_EENSI_IlEEPmSA_NS8_8equal_toIS6_EEEE10hipError_tPvRmT2_T3_mT4_T5_T6_T7_T8_P12ihipStream_tbENKUlT_T0_E_clISt17integral_constantIbLb0EES15_EEDaS10_S11_EUlS10_E_NS1_11comp_targetILNS1_3genE5ELNS1_11target_archE942ELNS1_3gpuE9ELNS1_3repE0EEENS1_30default_config_static_selectorELNS0_4arch9wavefront6targetE1EEEvT1_
	.p2align	8
	.type	_ZN7rocprim17ROCPRIM_400000_NS6detail17trampoline_kernelINS0_14default_configENS1_29reduce_by_key_config_selectorIN3c108BFloat16ElN6thrust23THRUST_200600_302600_NS4plusIlEEEEZZNS1_33reduce_by_key_impl_wrapped_configILNS1_25lookback_scan_determinismE0ES3_SB_PS6_NS8_17constant_iteratorIiNS8_11use_defaultESG_EENS8_10device_ptrIS6_EENSI_IlEEPmSA_NS8_8equal_toIS6_EEEE10hipError_tPvRmT2_T3_mT4_T5_T6_T7_T8_P12ihipStream_tbENKUlT_T0_E_clISt17integral_constantIbLb0EES15_EEDaS10_S11_EUlS10_E_NS1_11comp_targetILNS1_3genE5ELNS1_11target_archE942ELNS1_3gpuE9ELNS1_3repE0EEENS1_30default_config_static_selectorELNS0_4arch9wavefront6targetE1EEEvT1_,@function
_ZN7rocprim17ROCPRIM_400000_NS6detail17trampoline_kernelINS0_14default_configENS1_29reduce_by_key_config_selectorIN3c108BFloat16ElN6thrust23THRUST_200600_302600_NS4plusIlEEEEZZNS1_33reduce_by_key_impl_wrapped_configILNS1_25lookback_scan_determinismE0ES3_SB_PS6_NS8_17constant_iteratorIiNS8_11use_defaultESG_EENS8_10device_ptrIS6_EENSI_IlEEPmSA_NS8_8equal_toIS6_EEEE10hipError_tPvRmT2_T3_mT4_T5_T6_T7_T8_P12ihipStream_tbENKUlT_T0_E_clISt17integral_constantIbLb0EES15_EEDaS10_S11_EUlS10_E_NS1_11comp_targetILNS1_3genE5ELNS1_11target_archE942ELNS1_3gpuE9ELNS1_3repE0EEENS1_30default_config_static_selectorELNS0_4arch9wavefront6targetE1EEEvT1_: ; @_ZN7rocprim17ROCPRIM_400000_NS6detail17trampoline_kernelINS0_14default_configENS1_29reduce_by_key_config_selectorIN3c108BFloat16ElN6thrust23THRUST_200600_302600_NS4plusIlEEEEZZNS1_33reduce_by_key_impl_wrapped_configILNS1_25lookback_scan_determinismE0ES3_SB_PS6_NS8_17constant_iteratorIiNS8_11use_defaultESG_EENS8_10device_ptrIS6_EENSI_IlEEPmSA_NS8_8equal_toIS6_EEEE10hipError_tPvRmT2_T3_mT4_T5_T6_T7_T8_P12ihipStream_tbENKUlT_T0_E_clISt17integral_constantIbLb0EES15_EEDaS10_S11_EUlS10_E_NS1_11comp_targetILNS1_3genE5ELNS1_11target_archE942ELNS1_3gpuE9ELNS1_3repE0EEENS1_30default_config_static_selectorELNS0_4arch9wavefront6targetE1EEEvT1_
; %bb.0:
	.section	.rodata,"a",@progbits
	.p2align	6, 0x0
	.amdhsa_kernel _ZN7rocprim17ROCPRIM_400000_NS6detail17trampoline_kernelINS0_14default_configENS1_29reduce_by_key_config_selectorIN3c108BFloat16ElN6thrust23THRUST_200600_302600_NS4plusIlEEEEZZNS1_33reduce_by_key_impl_wrapped_configILNS1_25lookback_scan_determinismE0ES3_SB_PS6_NS8_17constant_iteratorIiNS8_11use_defaultESG_EENS8_10device_ptrIS6_EENSI_IlEEPmSA_NS8_8equal_toIS6_EEEE10hipError_tPvRmT2_T3_mT4_T5_T6_T7_T8_P12ihipStream_tbENKUlT_T0_E_clISt17integral_constantIbLb0EES15_EEDaS10_S11_EUlS10_E_NS1_11comp_targetILNS1_3genE5ELNS1_11target_archE942ELNS1_3gpuE9ELNS1_3repE0EEENS1_30default_config_static_selectorELNS0_4arch9wavefront6targetE1EEEvT1_
		.amdhsa_group_segment_fixed_size 0
		.amdhsa_private_segment_fixed_size 0
		.amdhsa_kernarg_size 144
		.amdhsa_user_sgpr_count 6
		.amdhsa_user_sgpr_private_segment_buffer 1
		.amdhsa_user_sgpr_dispatch_ptr 0
		.amdhsa_user_sgpr_queue_ptr 0
		.amdhsa_user_sgpr_kernarg_segment_ptr 1
		.amdhsa_user_sgpr_dispatch_id 0
		.amdhsa_user_sgpr_flat_scratch_init 0
		.amdhsa_user_sgpr_private_segment_size 0
		.amdhsa_uses_dynamic_stack 0
		.amdhsa_system_sgpr_private_segment_wavefront_offset 0
		.amdhsa_system_sgpr_workgroup_id_x 1
		.amdhsa_system_sgpr_workgroup_id_y 0
		.amdhsa_system_sgpr_workgroup_id_z 0
		.amdhsa_system_sgpr_workgroup_info 0
		.amdhsa_system_vgpr_workitem_id 0
		.amdhsa_next_free_vgpr 1
		.amdhsa_next_free_sgpr 0
		.amdhsa_reserve_vcc 0
		.amdhsa_reserve_flat_scratch 0
		.amdhsa_float_round_mode_32 0
		.amdhsa_float_round_mode_16_64 0
		.amdhsa_float_denorm_mode_32 3
		.amdhsa_float_denorm_mode_16_64 3
		.amdhsa_dx10_clamp 1
		.amdhsa_ieee_mode 1
		.amdhsa_fp16_overflow 0
		.amdhsa_exception_fp_ieee_invalid_op 0
		.amdhsa_exception_fp_denorm_src 0
		.amdhsa_exception_fp_ieee_div_zero 0
		.amdhsa_exception_fp_ieee_overflow 0
		.amdhsa_exception_fp_ieee_underflow 0
		.amdhsa_exception_fp_ieee_inexact 0
		.amdhsa_exception_int_div_zero 0
	.end_amdhsa_kernel
	.section	.text._ZN7rocprim17ROCPRIM_400000_NS6detail17trampoline_kernelINS0_14default_configENS1_29reduce_by_key_config_selectorIN3c108BFloat16ElN6thrust23THRUST_200600_302600_NS4plusIlEEEEZZNS1_33reduce_by_key_impl_wrapped_configILNS1_25lookback_scan_determinismE0ES3_SB_PS6_NS8_17constant_iteratorIiNS8_11use_defaultESG_EENS8_10device_ptrIS6_EENSI_IlEEPmSA_NS8_8equal_toIS6_EEEE10hipError_tPvRmT2_T3_mT4_T5_T6_T7_T8_P12ihipStream_tbENKUlT_T0_E_clISt17integral_constantIbLb0EES15_EEDaS10_S11_EUlS10_E_NS1_11comp_targetILNS1_3genE5ELNS1_11target_archE942ELNS1_3gpuE9ELNS1_3repE0EEENS1_30default_config_static_selectorELNS0_4arch9wavefront6targetE1EEEvT1_,"axG",@progbits,_ZN7rocprim17ROCPRIM_400000_NS6detail17trampoline_kernelINS0_14default_configENS1_29reduce_by_key_config_selectorIN3c108BFloat16ElN6thrust23THRUST_200600_302600_NS4plusIlEEEEZZNS1_33reduce_by_key_impl_wrapped_configILNS1_25lookback_scan_determinismE0ES3_SB_PS6_NS8_17constant_iteratorIiNS8_11use_defaultESG_EENS8_10device_ptrIS6_EENSI_IlEEPmSA_NS8_8equal_toIS6_EEEE10hipError_tPvRmT2_T3_mT4_T5_T6_T7_T8_P12ihipStream_tbENKUlT_T0_E_clISt17integral_constantIbLb0EES15_EEDaS10_S11_EUlS10_E_NS1_11comp_targetILNS1_3genE5ELNS1_11target_archE942ELNS1_3gpuE9ELNS1_3repE0EEENS1_30default_config_static_selectorELNS0_4arch9wavefront6targetE1EEEvT1_,comdat
.Lfunc_end2053:
	.size	_ZN7rocprim17ROCPRIM_400000_NS6detail17trampoline_kernelINS0_14default_configENS1_29reduce_by_key_config_selectorIN3c108BFloat16ElN6thrust23THRUST_200600_302600_NS4plusIlEEEEZZNS1_33reduce_by_key_impl_wrapped_configILNS1_25lookback_scan_determinismE0ES3_SB_PS6_NS8_17constant_iteratorIiNS8_11use_defaultESG_EENS8_10device_ptrIS6_EENSI_IlEEPmSA_NS8_8equal_toIS6_EEEE10hipError_tPvRmT2_T3_mT4_T5_T6_T7_T8_P12ihipStream_tbENKUlT_T0_E_clISt17integral_constantIbLb0EES15_EEDaS10_S11_EUlS10_E_NS1_11comp_targetILNS1_3genE5ELNS1_11target_archE942ELNS1_3gpuE9ELNS1_3repE0EEENS1_30default_config_static_selectorELNS0_4arch9wavefront6targetE1EEEvT1_, .Lfunc_end2053-_ZN7rocprim17ROCPRIM_400000_NS6detail17trampoline_kernelINS0_14default_configENS1_29reduce_by_key_config_selectorIN3c108BFloat16ElN6thrust23THRUST_200600_302600_NS4plusIlEEEEZZNS1_33reduce_by_key_impl_wrapped_configILNS1_25lookback_scan_determinismE0ES3_SB_PS6_NS8_17constant_iteratorIiNS8_11use_defaultESG_EENS8_10device_ptrIS6_EENSI_IlEEPmSA_NS8_8equal_toIS6_EEEE10hipError_tPvRmT2_T3_mT4_T5_T6_T7_T8_P12ihipStream_tbENKUlT_T0_E_clISt17integral_constantIbLb0EES15_EEDaS10_S11_EUlS10_E_NS1_11comp_targetILNS1_3genE5ELNS1_11target_archE942ELNS1_3gpuE9ELNS1_3repE0EEENS1_30default_config_static_selectorELNS0_4arch9wavefront6targetE1EEEvT1_
                                        ; -- End function
	.set _ZN7rocprim17ROCPRIM_400000_NS6detail17trampoline_kernelINS0_14default_configENS1_29reduce_by_key_config_selectorIN3c108BFloat16ElN6thrust23THRUST_200600_302600_NS4plusIlEEEEZZNS1_33reduce_by_key_impl_wrapped_configILNS1_25lookback_scan_determinismE0ES3_SB_PS6_NS8_17constant_iteratorIiNS8_11use_defaultESG_EENS8_10device_ptrIS6_EENSI_IlEEPmSA_NS8_8equal_toIS6_EEEE10hipError_tPvRmT2_T3_mT4_T5_T6_T7_T8_P12ihipStream_tbENKUlT_T0_E_clISt17integral_constantIbLb0EES15_EEDaS10_S11_EUlS10_E_NS1_11comp_targetILNS1_3genE5ELNS1_11target_archE942ELNS1_3gpuE9ELNS1_3repE0EEENS1_30default_config_static_selectorELNS0_4arch9wavefront6targetE1EEEvT1_.num_vgpr, 0
	.set _ZN7rocprim17ROCPRIM_400000_NS6detail17trampoline_kernelINS0_14default_configENS1_29reduce_by_key_config_selectorIN3c108BFloat16ElN6thrust23THRUST_200600_302600_NS4plusIlEEEEZZNS1_33reduce_by_key_impl_wrapped_configILNS1_25lookback_scan_determinismE0ES3_SB_PS6_NS8_17constant_iteratorIiNS8_11use_defaultESG_EENS8_10device_ptrIS6_EENSI_IlEEPmSA_NS8_8equal_toIS6_EEEE10hipError_tPvRmT2_T3_mT4_T5_T6_T7_T8_P12ihipStream_tbENKUlT_T0_E_clISt17integral_constantIbLb0EES15_EEDaS10_S11_EUlS10_E_NS1_11comp_targetILNS1_3genE5ELNS1_11target_archE942ELNS1_3gpuE9ELNS1_3repE0EEENS1_30default_config_static_selectorELNS0_4arch9wavefront6targetE1EEEvT1_.num_agpr, 0
	.set _ZN7rocprim17ROCPRIM_400000_NS6detail17trampoline_kernelINS0_14default_configENS1_29reduce_by_key_config_selectorIN3c108BFloat16ElN6thrust23THRUST_200600_302600_NS4plusIlEEEEZZNS1_33reduce_by_key_impl_wrapped_configILNS1_25lookback_scan_determinismE0ES3_SB_PS6_NS8_17constant_iteratorIiNS8_11use_defaultESG_EENS8_10device_ptrIS6_EENSI_IlEEPmSA_NS8_8equal_toIS6_EEEE10hipError_tPvRmT2_T3_mT4_T5_T6_T7_T8_P12ihipStream_tbENKUlT_T0_E_clISt17integral_constantIbLb0EES15_EEDaS10_S11_EUlS10_E_NS1_11comp_targetILNS1_3genE5ELNS1_11target_archE942ELNS1_3gpuE9ELNS1_3repE0EEENS1_30default_config_static_selectorELNS0_4arch9wavefront6targetE1EEEvT1_.numbered_sgpr, 0
	.set _ZN7rocprim17ROCPRIM_400000_NS6detail17trampoline_kernelINS0_14default_configENS1_29reduce_by_key_config_selectorIN3c108BFloat16ElN6thrust23THRUST_200600_302600_NS4plusIlEEEEZZNS1_33reduce_by_key_impl_wrapped_configILNS1_25lookback_scan_determinismE0ES3_SB_PS6_NS8_17constant_iteratorIiNS8_11use_defaultESG_EENS8_10device_ptrIS6_EENSI_IlEEPmSA_NS8_8equal_toIS6_EEEE10hipError_tPvRmT2_T3_mT4_T5_T6_T7_T8_P12ihipStream_tbENKUlT_T0_E_clISt17integral_constantIbLb0EES15_EEDaS10_S11_EUlS10_E_NS1_11comp_targetILNS1_3genE5ELNS1_11target_archE942ELNS1_3gpuE9ELNS1_3repE0EEENS1_30default_config_static_selectorELNS0_4arch9wavefront6targetE1EEEvT1_.num_named_barrier, 0
	.set _ZN7rocprim17ROCPRIM_400000_NS6detail17trampoline_kernelINS0_14default_configENS1_29reduce_by_key_config_selectorIN3c108BFloat16ElN6thrust23THRUST_200600_302600_NS4plusIlEEEEZZNS1_33reduce_by_key_impl_wrapped_configILNS1_25lookback_scan_determinismE0ES3_SB_PS6_NS8_17constant_iteratorIiNS8_11use_defaultESG_EENS8_10device_ptrIS6_EENSI_IlEEPmSA_NS8_8equal_toIS6_EEEE10hipError_tPvRmT2_T3_mT4_T5_T6_T7_T8_P12ihipStream_tbENKUlT_T0_E_clISt17integral_constantIbLb0EES15_EEDaS10_S11_EUlS10_E_NS1_11comp_targetILNS1_3genE5ELNS1_11target_archE942ELNS1_3gpuE9ELNS1_3repE0EEENS1_30default_config_static_selectorELNS0_4arch9wavefront6targetE1EEEvT1_.private_seg_size, 0
	.set _ZN7rocprim17ROCPRIM_400000_NS6detail17trampoline_kernelINS0_14default_configENS1_29reduce_by_key_config_selectorIN3c108BFloat16ElN6thrust23THRUST_200600_302600_NS4plusIlEEEEZZNS1_33reduce_by_key_impl_wrapped_configILNS1_25lookback_scan_determinismE0ES3_SB_PS6_NS8_17constant_iteratorIiNS8_11use_defaultESG_EENS8_10device_ptrIS6_EENSI_IlEEPmSA_NS8_8equal_toIS6_EEEE10hipError_tPvRmT2_T3_mT4_T5_T6_T7_T8_P12ihipStream_tbENKUlT_T0_E_clISt17integral_constantIbLb0EES15_EEDaS10_S11_EUlS10_E_NS1_11comp_targetILNS1_3genE5ELNS1_11target_archE942ELNS1_3gpuE9ELNS1_3repE0EEENS1_30default_config_static_selectorELNS0_4arch9wavefront6targetE1EEEvT1_.uses_vcc, 0
	.set _ZN7rocprim17ROCPRIM_400000_NS6detail17trampoline_kernelINS0_14default_configENS1_29reduce_by_key_config_selectorIN3c108BFloat16ElN6thrust23THRUST_200600_302600_NS4plusIlEEEEZZNS1_33reduce_by_key_impl_wrapped_configILNS1_25lookback_scan_determinismE0ES3_SB_PS6_NS8_17constant_iteratorIiNS8_11use_defaultESG_EENS8_10device_ptrIS6_EENSI_IlEEPmSA_NS8_8equal_toIS6_EEEE10hipError_tPvRmT2_T3_mT4_T5_T6_T7_T8_P12ihipStream_tbENKUlT_T0_E_clISt17integral_constantIbLb0EES15_EEDaS10_S11_EUlS10_E_NS1_11comp_targetILNS1_3genE5ELNS1_11target_archE942ELNS1_3gpuE9ELNS1_3repE0EEENS1_30default_config_static_selectorELNS0_4arch9wavefront6targetE1EEEvT1_.uses_flat_scratch, 0
	.set _ZN7rocprim17ROCPRIM_400000_NS6detail17trampoline_kernelINS0_14default_configENS1_29reduce_by_key_config_selectorIN3c108BFloat16ElN6thrust23THRUST_200600_302600_NS4plusIlEEEEZZNS1_33reduce_by_key_impl_wrapped_configILNS1_25lookback_scan_determinismE0ES3_SB_PS6_NS8_17constant_iteratorIiNS8_11use_defaultESG_EENS8_10device_ptrIS6_EENSI_IlEEPmSA_NS8_8equal_toIS6_EEEE10hipError_tPvRmT2_T3_mT4_T5_T6_T7_T8_P12ihipStream_tbENKUlT_T0_E_clISt17integral_constantIbLb0EES15_EEDaS10_S11_EUlS10_E_NS1_11comp_targetILNS1_3genE5ELNS1_11target_archE942ELNS1_3gpuE9ELNS1_3repE0EEENS1_30default_config_static_selectorELNS0_4arch9wavefront6targetE1EEEvT1_.has_dyn_sized_stack, 0
	.set _ZN7rocprim17ROCPRIM_400000_NS6detail17trampoline_kernelINS0_14default_configENS1_29reduce_by_key_config_selectorIN3c108BFloat16ElN6thrust23THRUST_200600_302600_NS4plusIlEEEEZZNS1_33reduce_by_key_impl_wrapped_configILNS1_25lookback_scan_determinismE0ES3_SB_PS6_NS8_17constant_iteratorIiNS8_11use_defaultESG_EENS8_10device_ptrIS6_EENSI_IlEEPmSA_NS8_8equal_toIS6_EEEE10hipError_tPvRmT2_T3_mT4_T5_T6_T7_T8_P12ihipStream_tbENKUlT_T0_E_clISt17integral_constantIbLb0EES15_EEDaS10_S11_EUlS10_E_NS1_11comp_targetILNS1_3genE5ELNS1_11target_archE942ELNS1_3gpuE9ELNS1_3repE0EEENS1_30default_config_static_selectorELNS0_4arch9wavefront6targetE1EEEvT1_.has_recursion, 0
	.set _ZN7rocprim17ROCPRIM_400000_NS6detail17trampoline_kernelINS0_14default_configENS1_29reduce_by_key_config_selectorIN3c108BFloat16ElN6thrust23THRUST_200600_302600_NS4plusIlEEEEZZNS1_33reduce_by_key_impl_wrapped_configILNS1_25lookback_scan_determinismE0ES3_SB_PS6_NS8_17constant_iteratorIiNS8_11use_defaultESG_EENS8_10device_ptrIS6_EENSI_IlEEPmSA_NS8_8equal_toIS6_EEEE10hipError_tPvRmT2_T3_mT4_T5_T6_T7_T8_P12ihipStream_tbENKUlT_T0_E_clISt17integral_constantIbLb0EES15_EEDaS10_S11_EUlS10_E_NS1_11comp_targetILNS1_3genE5ELNS1_11target_archE942ELNS1_3gpuE9ELNS1_3repE0EEENS1_30default_config_static_selectorELNS0_4arch9wavefront6targetE1EEEvT1_.has_indirect_call, 0
	.section	.AMDGPU.csdata,"",@progbits
; Kernel info:
; codeLenInByte = 0
; TotalNumSgprs: 4
; NumVgprs: 0
; ScratchSize: 0
; MemoryBound: 0
; FloatMode: 240
; IeeeMode: 1
; LDSByteSize: 0 bytes/workgroup (compile time only)
; SGPRBlocks: 0
; VGPRBlocks: 0
; NumSGPRsForWavesPerEU: 4
; NumVGPRsForWavesPerEU: 1
; Occupancy: 10
; WaveLimiterHint : 0
; COMPUTE_PGM_RSRC2:SCRATCH_EN: 0
; COMPUTE_PGM_RSRC2:USER_SGPR: 6
; COMPUTE_PGM_RSRC2:TRAP_HANDLER: 0
; COMPUTE_PGM_RSRC2:TGID_X_EN: 1
; COMPUTE_PGM_RSRC2:TGID_Y_EN: 0
; COMPUTE_PGM_RSRC2:TGID_Z_EN: 0
; COMPUTE_PGM_RSRC2:TIDIG_COMP_CNT: 0
	.section	.text._ZN7rocprim17ROCPRIM_400000_NS6detail17trampoline_kernelINS0_14default_configENS1_29reduce_by_key_config_selectorIN3c108BFloat16ElN6thrust23THRUST_200600_302600_NS4plusIlEEEEZZNS1_33reduce_by_key_impl_wrapped_configILNS1_25lookback_scan_determinismE0ES3_SB_PS6_NS8_17constant_iteratorIiNS8_11use_defaultESG_EENS8_10device_ptrIS6_EENSI_IlEEPmSA_NS8_8equal_toIS6_EEEE10hipError_tPvRmT2_T3_mT4_T5_T6_T7_T8_P12ihipStream_tbENKUlT_T0_E_clISt17integral_constantIbLb0EES15_EEDaS10_S11_EUlS10_E_NS1_11comp_targetILNS1_3genE4ELNS1_11target_archE910ELNS1_3gpuE8ELNS1_3repE0EEENS1_30default_config_static_selectorELNS0_4arch9wavefront6targetE1EEEvT1_,"axG",@progbits,_ZN7rocprim17ROCPRIM_400000_NS6detail17trampoline_kernelINS0_14default_configENS1_29reduce_by_key_config_selectorIN3c108BFloat16ElN6thrust23THRUST_200600_302600_NS4plusIlEEEEZZNS1_33reduce_by_key_impl_wrapped_configILNS1_25lookback_scan_determinismE0ES3_SB_PS6_NS8_17constant_iteratorIiNS8_11use_defaultESG_EENS8_10device_ptrIS6_EENSI_IlEEPmSA_NS8_8equal_toIS6_EEEE10hipError_tPvRmT2_T3_mT4_T5_T6_T7_T8_P12ihipStream_tbENKUlT_T0_E_clISt17integral_constantIbLb0EES15_EEDaS10_S11_EUlS10_E_NS1_11comp_targetILNS1_3genE4ELNS1_11target_archE910ELNS1_3gpuE8ELNS1_3repE0EEENS1_30default_config_static_selectorELNS0_4arch9wavefront6targetE1EEEvT1_,comdat
	.protected	_ZN7rocprim17ROCPRIM_400000_NS6detail17trampoline_kernelINS0_14default_configENS1_29reduce_by_key_config_selectorIN3c108BFloat16ElN6thrust23THRUST_200600_302600_NS4plusIlEEEEZZNS1_33reduce_by_key_impl_wrapped_configILNS1_25lookback_scan_determinismE0ES3_SB_PS6_NS8_17constant_iteratorIiNS8_11use_defaultESG_EENS8_10device_ptrIS6_EENSI_IlEEPmSA_NS8_8equal_toIS6_EEEE10hipError_tPvRmT2_T3_mT4_T5_T6_T7_T8_P12ihipStream_tbENKUlT_T0_E_clISt17integral_constantIbLb0EES15_EEDaS10_S11_EUlS10_E_NS1_11comp_targetILNS1_3genE4ELNS1_11target_archE910ELNS1_3gpuE8ELNS1_3repE0EEENS1_30default_config_static_selectorELNS0_4arch9wavefront6targetE1EEEvT1_ ; -- Begin function _ZN7rocprim17ROCPRIM_400000_NS6detail17trampoline_kernelINS0_14default_configENS1_29reduce_by_key_config_selectorIN3c108BFloat16ElN6thrust23THRUST_200600_302600_NS4plusIlEEEEZZNS1_33reduce_by_key_impl_wrapped_configILNS1_25lookback_scan_determinismE0ES3_SB_PS6_NS8_17constant_iteratorIiNS8_11use_defaultESG_EENS8_10device_ptrIS6_EENSI_IlEEPmSA_NS8_8equal_toIS6_EEEE10hipError_tPvRmT2_T3_mT4_T5_T6_T7_T8_P12ihipStream_tbENKUlT_T0_E_clISt17integral_constantIbLb0EES15_EEDaS10_S11_EUlS10_E_NS1_11comp_targetILNS1_3genE4ELNS1_11target_archE910ELNS1_3gpuE8ELNS1_3repE0EEENS1_30default_config_static_selectorELNS0_4arch9wavefront6targetE1EEEvT1_
	.globl	_ZN7rocprim17ROCPRIM_400000_NS6detail17trampoline_kernelINS0_14default_configENS1_29reduce_by_key_config_selectorIN3c108BFloat16ElN6thrust23THRUST_200600_302600_NS4plusIlEEEEZZNS1_33reduce_by_key_impl_wrapped_configILNS1_25lookback_scan_determinismE0ES3_SB_PS6_NS8_17constant_iteratorIiNS8_11use_defaultESG_EENS8_10device_ptrIS6_EENSI_IlEEPmSA_NS8_8equal_toIS6_EEEE10hipError_tPvRmT2_T3_mT4_T5_T6_T7_T8_P12ihipStream_tbENKUlT_T0_E_clISt17integral_constantIbLb0EES15_EEDaS10_S11_EUlS10_E_NS1_11comp_targetILNS1_3genE4ELNS1_11target_archE910ELNS1_3gpuE8ELNS1_3repE0EEENS1_30default_config_static_selectorELNS0_4arch9wavefront6targetE1EEEvT1_
	.p2align	8
	.type	_ZN7rocprim17ROCPRIM_400000_NS6detail17trampoline_kernelINS0_14default_configENS1_29reduce_by_key_config_selectorIN3c108BFloat16ElN6thrust23THRUST_200600_302600_NS4plusIlEEEEZZNS1_33reduce_by_key_impl_wrapped_configILNS1_25lookback_scan_determinismE0ES3_SB_PS6_NS8_17constant_iteratorIiNS8_11use_defaultESG_EENS8_10device_ptrIS6_EENSI_IlEEPmSA_NS8_8equal_toIS6_EEEE10hipError_tPvRmT2_T3_mT4_T5_T6_T7_T8_P12ihipStream_tbENKUlT_T0_E_clISt17integral_constantIbLb0EES15_EEDaS10_S11_EUlS10_E_NS1_11comp_targetILNS1_3genE4ELNS1_11target_archE910ELNS1_3gpuE8ELNS1_3repE0EEENS1_30default_config_static_selectorELNS0_4arch9wavefront6targetE1EEEvT1_,@function
_ZN7rocprim17ROCPRIM_400000_NS6detail17trampoline_kernelINS0_14default_configENS1_29reduce_by_key_config_selectorIN3c108BFloat16ElN6thrust23THRUST_200600_302600_NS4plusIlEEEEZZNS1_33reduce_by_key_impl_wrapped_configILNS1_25lookback_scan_determinismE0ES3_SB_PS6_NS8_17constant_iteratorIiNS8_11use_defaultESG_EENS8_10device_ptrIS6_EENSI_IlEEPmSA_NS8_8equal_toIS6_EEEE10hipError_tPvRmT2_T3_mT4_T5_T6_T7_T8_P12ihipStream_tbENKUlT_T0_E_clISt17integral_constantIbLb0EES15_EEDaS10_S11_EUlS10_E_NS1_11comp_targetILNS1_3genE4ELNS1_11target_archE910ELNS1_3gpuE8ELNS1_3repE0EEENS1_30default_config_static_selectorELNS0_4arch9wavefront6targetE1EEEvT1_: ; @_ZN7rocprim17ROCPRIM_400000_NS6detail17trampoline_kernelINS0_14default_configENS1_29reduce_by_key_config_selectorIN3c108BFloat16ElN6thrust23THRUST_200600_302600_NS4plusIlEEEEZZNS1_33reduce_by_key_impl_wrapped_configILNS1_25lookback_scan_determinismE0ES3_SB_PS6_NS8_17constant_iteratorIiNS8_11use_defaultESG_EENS8_10device_ptrIS6_EENSI_IlEEPmSA_NS8_8equal_toIS6_EEEE10hipError_tPvRmT2_T3_mT4_T5_T6_T7_T8_P12ihipStream_tbENKUlT_T0_E_clISt17integral_constantIbLb0EES15_EEDaS10_S11_EUlS10_E_NS1_11comp_targetILNS1_3genE4ELNS1_11target_archE910ELNS1_3gpuE8ELNS1_3repE0EEENS1_30default_config_static_selectorELNS0_4arch9wavefront6targetE1EEEvT1_
; %bb.0:
	.section	.rodata,"a",@progbits
	.p2align	6, 0x0
	.amdhsa_kernel _ZN7rocprim17ROCPRIM_400000_NS6detail17trampoline_kernelINS0_14default_configENS1_29reduce_by_key_config_selectorIN3c108BFloat16ElN6thrust23THRUST_200600_302600_NS4plusIlEEEEZZNS1_33reduce_by_key_impl_wrapped_configILNS1_25lookback_scan_determinismE0ES3_SB_PS6_NS8_17constant_iteratorIiNS8_11use_defaultESG_EENS8_10device_ptrIS6_EENSI_IlEEPmSA_NS8_8equal_toIS6_EEEE10hipError_tPvRmT2_T3_mT4_T5_T6_T7_T8_P12ihipStream_tbENKUlT_T0_E_clISt17integral_constantIbLb0EES15_EEDaS10_S11_EUlS10_E_NS1_11comp_targetILNS1_3genE4ELNS1_11target_archE910ELNS1_3gpuE8ELNS1_3repE0EEENS1_30default_config_static_selectorELNS0_4arch9wavefront6targetE1EEEvT1_
		.amdhsa_group_segment_fixed_size 0
		.amdhsa_private_segment_fixed_size 0
		.amdhsa_kernarg_size 144
		.amdhsa_user_sgpr_count 6
		.amdhsa_user_sgpr_private_segment_buffer 1
		.amdhsa_user_sgpr_dispatch_ptr 0
		.amdhsa_user_sgpr_queue_ptr 0
		.amdhsa_user_sgpr_kernarg_segment_ptr 1
		.amdhsa_user_sgpr_dispatch_id 0
		.amdhsa_user_sgpr_flat_scratch_init 0
		.amdhsa_user_sgpr_private_segment_size 0
		.amdhsa_uses_dynamic_stack 0
		.amdhsa_system_sgpr_private_segment_wavefront_offset 0
		.amdhsa_system_sgpr_workgroup_id_x 1
		.amdhsa_system_sgpr_workgroup_id_y 0
		.amdhsa_system_sgpr_workgroup_id_z 0
		.amdhsa_system_sgpr_workgroup_info 0
		.amdhsa_system_vgpr_workitem_id 0
		.amdhsa_next_free_vgpr 1
		.amdhsa_next_free_sgpr 0
		.amdhsa_reserve_vcc 0
		.amdhsa_reserve_flat_scratch 0
		.amdhsa_float_round_mode_32 0
		.amdhsa_float_round_mode_16_64 0
		.amdhsa_float_denorm_mode_32 3
		.amdhsa_float_denorm_mode_16_64 3
		.amdhsa_dx10_clamp 1
		.amdhsa_ieee_mode 1
		.amdhsa_fp16_overflow 0
		.amdhsa_exception_fp_ieee_invalid_op 0
		.amdhsa_exception_fp_denorm_src 0
		.amdhsa_exception_fp_ieee_div_zero 0
		.amdhsa_exception_fp_ieee_overflow 0
		.amdhsa_exception_fp_ieee_underflow 0
		.amdhsa_exception_fp_ieee_inexact 0
		.amdhsa_exception_int_div_zero 0
	.end_amdhsa_kernel
	.section	.text._ZN7rocprim17ROCPRIM_400000_NS6detail17trampoline_kernelINS0_14default_configENS1_29reduce_by_key_config_selectorIN3c108BFloat16ElN6thrust23THRUST_200600_302600_NS4plusIlEEEEZZNS1_33reduce_by_key_impl_wrapped_configILNS1_25lookback_scan_determinismE0ES3_SB_PS6_NS8_17constant_iteratorIiNS8_11use_defaultESG_EENS8_10device_ptrIS6_EENSI_IlEEPmSA_NS8_8equal_toIS6_EEEE10hipError_tPvRmT2_T3_mT4_T5_T6_T7_T8_P12ihipStream_tbENKUlT_T0_E_clISt17integral_constantIbLb0EES15_EEDaS10_S11_EUlS10_E_NS1_11comp_targetILNS1_3genE4ELNS1_11target_archE910ELNS1_3gpuE8ELNS1_3repE0EEENS1_30default_config_static_selectorELNS0_4arch9wavefront6targetE1EEEvT1_,"axG",@progbits,_ZN7rocprim17ROCPRIM_400000_NS6detail17trampoline_kernelINS0_14default_configENS1_29reduce_by_key_config_selectorIN3c108BFloat16ElN6thrust23THRUST_200600_302600_NS4plusIlEEEEZZNS1_33reduce_by_key_impl_wrapped_configILNS1_25lookback_scan_determinismE0ES3_SB_PS6_NS8_17constant_iteratorIiNS8_11use_defaultESG_EENS8_10device_ptrIS6_EENSI_IlEEPmSA_NS8_8equal_toIS6_EEEE10hipError_tPvRmT2_T3_mT4_T5_T6_T7_T8_P12ihipStream_tbENKUlT_T0_E_clISt17integral_constantIbLb0EES15_EEDaS10_S11_EUlS10_E_NS1_11comp_targetILNS1_3genE4ELNS1_11target_archE910ELNS1_3gpuE8ELNS1_3repE0EEENS1_30default_config_static_selectorELNS0_4arch9wavefront6targetE1EEEvT1_,comdat
.Lfunc_end2054:
	.size	_ZN7rocprim17ROCPRIM_400000_NS6detail17trampoline_kernelINS0_14default_configENS1_29reduce_by_key_config_selectorIN3c108BFloat16ElN6thrust23THRUST_200600_302600_NS4plusIlEEEEZZNS1_33reduce_by_key_impl_wrapped_configILNS1_25lookback_scan_determinismE0ES3_SB_PS6_NS8_17constant_iteratorIiNS8_11use_defaultESG_EENS8_10device_ptrIS6_EENSI_IlEEPmSA_NS8_8equal_toIS6_EEEE10hipError_tPvRmT2_T3_mT4_T5_T6_T7_T8_P12ihipStream_tbENKUlT_T0_E_clISt17integral_constantIbLb0EES15_EEDaS10_S11_EUlS10_E_NS1_11comp_targetILNS1_3genE4ELNS1_11target_archE910ELNS1_3gpuE8ELNS1_3repE0EEENS1_30default_config_static_selectorELNS0_4arch9wavefront6targetE1EEEvT1_, .Lfunc_end2054-_ZN7rocprim17ROCPRIM_400000_NS6detail17trampoline_kernelINS0_14default_configENS1_29reduce_by_key_config_selectorIN3c108BFloat16ElN6thrust23THRUST_200600_302600_NS4plusIlEEEEZZNS1_33reduce_by_key_impl_wrapped_configILNS1_25lookback_scan_determinismE0ES3_SB_PS6_NS8_17constant_iteratorIiNS8_11use_defaultESG_EENS8_10device_ptrIS6_EENSI_IlEEPmSA_NS8_8equal_toIS6_EEEE10hipError_tPvRmT2_T3_mT4_T5_T6_T7_T8_P12ihipStream_tbENKUlT_T0_E_clISt17integral_constantIbLb0EES15_EEDaS10_S11_EUlS10_E_NS1_11comp_targetILNS1_3genE4ELNS1_11target_archE910ELNS1_3gpuE8ELNS1_3repE0EEENS1_30default_config_static_selectorELNS0_4arch9wavefront6targetE1EEEvT1_
                                        ; -- End function
	.set _ZN7rocprim17ROCPRIM_400000_NS6detail17trampoline_kernelINS0_14default_configENS1_29reduce_by_key_config_selectorIN3c108BFloat16ElN6thrust23THRUST_200600_302600_NS4plusIlEEEEZZNS1_33reduce_by_key_impl_wrapped_configILNS1_25lookback_scan_determinismE0ES3_SB_PS6_NS8_17constant_iteratorIiNS8_11use_defaultESG_EENS8_10device_ptrIS6_EENSI_IlEEPmSA_NS8_8equal_toIS6_EEEE10hipError_tPvRmT2_T3_mT4_T5_T6_T7_T8_P12ihipStream_tbENKUlT_T0_E_clISt17integral_constantIbLb0EES15_EEDaS10_S11_EUlS10_E_NS1_11comp_targetILNS1_3genE4ELNS1_11target_archE910ELNS1_3gpuE8ELNS1_3repE0EEENS1_30default_config_static_selectorELNS0_4arch9wavefront6targetE1EEEvT1_.num_vgpr, 0
	.set _ZN7rocprim17ROCPRIM_400000_NS6detail17trampoline_kernelINS0_14default_configENS1_29reduce_by_key_config_selectorIN3c108BFloat16ElN6thrust23THRUST_200600_302600_NS4plusIlEEEEZZNS1_33reduce_by_key_impl_wrapped_configILNS1_25lookback_scan_determinismE0ES3_SB_PS6_NS8_17constant_iteratorIiNS8_11use_defaultESG_EENS8_10device_ptrIS6_EENSI_IlEEPmSA_NS8_8equal_toIS6_EEEE10hipError_tPvRmT2_T3_mT4_T5_T6_T7_T8_P12ihipStream_tbENKUlT_T0_E_clISt17integral_constantIbLb0EES15_EEDaS10_S11_EUlS10_E_NS1_11comp_targetILNS1_3genE4ELNS1_11target_archE910ELNS1_3gpuE8ELNS1_3repE0EEENS1_30default_config_static_selectorELNS0_4arch9wavefront6targetE1EEEvT1_.num_agpr, 0
	.set _ZN7rocprim17ROCPRIM_400000_NS6detail17trampoline_kernelINS0_14default_configENS1_29reduce_by_key_config_selectorIN3c108BFloat16ElN6thrust23THRUST_200600_302600_NS4plusIlEEEEZZNS1_33reduce_by_key_impl_wrapped_configILNS1_25lookback_scan_determinismE0ES3_SB_PS6_NS8_17constant_iteratorIiNS8_11use_defaultESG_EENS8_10device_ptrIS6_EENSI_IlEEPmSA_NS8_8equal_toIS6_EEEE10hipError_tPvRmT2_T3_mT4_T5_T6_T7_T8_P12ihipStream_tbENKUlT_T0_E_clISt17integral_constantIbLb0EES15_EEDaS10_S11_EUlS10_E_NS1_11comp_targetILNS1_3genE4ELNS1_11target_archE910ELNS1_3gpuE8ELNS1_3repE0EEENS1_30default_config_static_selectorELNS0_4arch9wavefront6targetE1EEEvT1_.numbered_sgpr, 0
	.set _ZN7rocprim17ROCPRIM_400000_NS6detail17trampoline_kernelINS0_14default_configENS1_29reduce_by_key_config_selectorIN3c108BFloat16ElN6thrust23THRUST_200600_302600_NS4plusIlEEEEZZNS1_33reduce_by_key_impl_wrapped_configILNS1_25lookback_scan_determinismE0ES3_SB_PS6_NS8_17constant_iteratorIiNS8_11use_defaultESG_EENS8_10device_ptrIS6_EENSI_IlEEPmSA_NS8_8equal_toIS6_EEEE10hipError_tPvRmT2_T3_mT4_T5_T6_T7_T8_P12ihipStream_tbENKUlT_T0_E_clISt17integral_constantIbLb0EES15_EEDaS10_S11_EUlS10_E_NS1_11comp_targetILNS1_3genE4ELNS1_11target_archE910ELNS1_3gpuE8ELNS1_3repE0EEENS1_30default_config_static_selectorELNS0_4arch9wavefront6targetE1EEEvT1_.num_named_barrier, 0
	.set _ZN7rocprim17ROCPRIM_400000_NS6detail17trampoline_kernelINS0_14default_configENS1_29reduce_by_key_config_selectorIN3c108BFloat16ElN6thrust23THRUST_200600_302600_NS4plusIlEEEEZZNS1_33reduce_by_key_impl_wrapped_configILNS1_25lookback_scan_determinismE0ES3_SB_PS6_NS8_17constant_iteratorIiNS8_11use_defaultESG_EENS8_10device_ptrIS6_EENSI_IlEEPmSA_NS8_8equal_toIS6_EEEE10hipError_tPvRmT2_T3_mT4_T5_T6_T7_T8_P12ihipStream_tbENKUlT_T0_E_clISt17integral_constantIbLb0EES15_EEDaS10_S11_EUlS10_E_NS1_11comp_targetILNS1_3genE4ELNS1_11target_archE910ELNS1_3gpuE8ELNS1_3repE0EEENS1_30default_config_static_selectorELNS0_4arch9wavefront6targetE1EEEvT1_.private_seg_size, 0
	.set _ZN7rocprim17ROCPRIM_400000_NS6detail17trampoline_kernelINS0_14default_configENS1_29reduce_by_key_config_selectorIN3c108BFloat16ElN6thrust23THRUST_200600_302600_NS4plusIlEEEEZZNS1_33reduce_by_key_impl_wrapped_configILNS1_25lookback_scan_determinismE0ES3_SB_PS6_NS8_17constant_iteratorIiNS8_11use_defaultESG_EENS8_10device_ptrIS6_EENSI_IlEEPmSA_NS8_8equal_toIS6_EEEE10hipError_tPvRmT2_T3_mT4_T5_T6_T7_T8_P12ihipStream_tbENKUlT_T0_E_clISt17integral_constantIbLb0EES15_EEDaS10_S11_EUlS10_E_NS1_11comp_targetILNS1_3genE4ELNS1_11target_archE910ELNS1_3gpuE8ELNS1_3repE0EEENS1_30default_config_static_selectorELNS0_4arch9wavefront6targetE1EEEvT1_.uses_vcc, 0
	.set _ZN7rocprim17ROCPRIM_400000_NS6detail17trampoline_kernelINS0_14default_configENS1_29reduce_by_key_config_selectorIN3c108BFloat16ElN6thrust23THRUST_200600_302600_NS4plusIlEEEEZZNS1_33reduce_by_key_impl_wrapped_configILNS1_25lookback_scan_determinismE0ES3_SB_PS6_NS8_17constant_iteratorIiNS8_11use_defaultESG_EENS8_10device_ptrIS6_EENSI_IlEEPmSA_NS8_8equal_toIS6_EEEE10hipError_tPvRmT2_T3_mT4_T5_T6_T7_T8_P12ihipStream_tbENKUlT_T0_E_clISt17integral_constantIbLb0EES15_EEDaS10_S11_EUlS10_E_NS1_11comp_targetILNS1_3genE4ELNS1_11target_archE910ELNS1_3gpuE8ELNS1_3repE0EEENS1_30default_config_static_selectorELNS0_4arch9wavefront6targetE1EEEvT1_.uses_flat_scratch, 0
	.set _ZN7rocprim17ROCPRIM_400000_NS6detail17trampoline_kernelINS0_14default_configENS1_29reduce_by_key_config_selectorIN3c108BFloat16ElN6thrust23THRUST_200600_302600_NS4plusIlEEEEZZNS1_33reduce_by_key_impl_wrapped_configILNS1_25lookback_scan_determinismE0ES3_SB_PS6_NS8_17constant_iteratorIiNS8_11use_defaultESG_EENS8_10device_ptrIS6_EENSI_IlEEPmSA_NS8_8equal_toIS6_EEEE10hipError_tPvRmT2_T3_mT4_T5_T6_T7_T8_P12ihipStream_tbENKUlT_T0_E_clISt17integral_constantIbLb0EES15_EEDaS10_S11_EUlS10_E_NS1_11comp_targetILNS1_3genE4ELNS1_11target_archE910ELNS1_3gpuE8ELNS1_3repE0EEENS1_30default_config_static_selectorELNS0_4arch9wavefront6targetE1EEEvT1_.has_dyn_sized_stack, 0
	.set _ZN7rocprim17ROCPRIM_400000_NS6detail17trampoline_kernelINS0_14default_configENS1_29reduce_by_key_config_selectorIN3c108BFloat16ElN6thrust23THRUST_200600_302600_NS4plusIlEEEEZZNS1_33reduce_by_key_impl_wrapped_configILNS1_25lookback_scan_determinismE0ES3_SB_PS6_NS8_17constant_iteratorIiNS8_11use_defaultESG_EENS8_10device_ptrIS6_EENSI_IlEEPmSA_NS8_8equal_toIS6_EEEE10hipError_tPvRmT2_T3_mT4_T5_T6_T7_T8_P12ihipStream_tbENKUlT_T0_E_clISt17integral_constantIbLb0EES15_EEDaS10_S11_EUlS10_E_NS1_11comp_targetILNS1_3genE4ELNS1_11target_archE910ELNS1_3gpuE8ELNS1_3repE0EEENS1_30default_config_static_selectorELNS0_4arch9wavefront6targetE1EEEvT1_.has_recursion, 0
	.set _ZN7rocprim17ROCPRIM_400000_NS6detail17trampoline_kernelINS0_14default_configENS1_29reduce_by_key_config_selectorIN3c108BFloat16ElN6thrust23THRUST_200600_302600_NS4plusIlEEEEZZNS1_33reduce_by_key_impl_wrapped_configILNS1_25lookback_scan_determinismE0ES3_SB_PS6_NS8_17constant_iteratorIiNS8_11use_defaultESG_EENS8_10device_ptrIS6_EENSI_IlEEPmSA_NS8_8equal_toIS6_EEEE10hipError_tPvRmT2_T3_mT4_T5_T6_T7_T8_P12ihipStream_tbENKUlT_T0_E_clISt17integral_constantIbLb0EES15_EEDaS10_S11_EUlS10_E_NS1_11comp_targetILNS1_3genE4ELNS1_11target_archE910ELNS1_3gpuE8ELNS1_3repE0EEENS1_30default_config_static_selectorELNS0_4arch9wavefront6targetE1EEEvT1_.has_indirect_call, 0
	.section	.AMDGPU.csdata,"",@progbits
; Kernel info:
; codeLenInByte = 0
; TotalNumSgprs: 4
; NumVgprs: 0
; ScratchSize: 0
; MemoryBound: 0
; FloatMode: 240
; IeeeMode: 1
; LDSByteSize: 0 bytes/workgroup (compile time only)
; SGPRBlocks: 0
; VGPRBlocks: 0
; NumSGPRsForWavesPerEU: 4
; NumVGPRsForWavesPerEU: 1
; Occupancy: 10
; WaveLimiterHint : 0
; COMPUTE_PGM_RSRC2:SCRATCH_EN: 0
; COMPUTE_PGM_RSRC2:USER_SGPR: 6
; COMPUTE_PGM_RSRC2:TRAP_HANDLER: 0
; COMPUTE_PGM_RSRC2:TGID_X_EN: 1
; COMPUTE_PGM_RSRC2:TGID_Y_EN: 0
; COMPUTE_PGM_RSRC2:TGID_Z_EN: 0
; COMPUTE_PGM_RSRC2:TIDIG_COMP_CNT: 0
	.section	.text._ZN7rocprim17ROCPRIM_400000_NS6detail17trampoline_kernelINS0_14default_configENS1_29reduce_by_key_config_selectorIN3c108BFloat16ElN6thrust23THRUST_200600_302600_NS4plusIlEEEEZZNS1_33reduce_by_key_impl_wrapped_configILNS1_25lookback_scan_determinismE0ES3_SB_PS6_NS8_17constant_iteratorIiNS8_11use_defaultESG_EENS8_10device_ptrIS6_EENSI_IlEEPmSA_NS8_8equal_toIS6_EEEE10hipError_tPvRmT2_T3_mT4_T5_T6_T7_T8_P12ihipStream_tbENKUlT_T0_E_clISt17integral_constantIbLb0EES15_EEDaS10_S11_EUlS10_E_NS1_11comp_targetILNS1_3genE3ELNS1_11target_archE908ELNS1_3gpuE7ELNS1_3repE0EEENS1_30default_config_static_selectorELNS0_4arch9wavefront6targetE1EEEvT1_,"axG",@progbits,_ZN7rocprim17ROCPRIM_400000_NS6detail17trampoline_kernelINS0_14default_configENS1_29reduce_by_key_config_selectorIN3c108BFloat16ElN6thrust23THRUST_200600_302600_NS4plusIlEEEEZZNS1_33reduce_by_key_impl_wrapped_configILNS1_25lookback_scan_determinismE0ES3_SB_PS6_NS8_17constant_iteratorIiNS8_11use_defaultESG_EENS8_10device_ptrIS6_EENSI_IlEEPmSA_NS8_8equal_toIS6_EEEE10hipError_tPvRmT2_T3_mT4_T5_T6_T7_T8_P12ihipStream_tbENKUlT_T0_E_clISt17integral_constantIbLb0EES15_EEDaS10_S11_EUlS10_E_NS1_11comp_targetILNS1_3genE3ELNS1_11target_archE908ELNS1_3gpuE7ELNS1_3repE0EEENS1_30default_config_static_selectorELNS0_4arch9wavefront6targetE1EEEvT1_,comdat
	.protected	_ZN7rocprim17ROCPRIM_400000_NS6detail17trampoline_kernelINS0_14default_configENS1_29reduce_by_key_config_selectorIN3c108BFloat16ElN6thrust23THRUST_200600_302600_NS4plusIlEEEEZZNS1_33reduce_by_key_impl_wrapped_configILNS1_25lookback_scan_determinismE0ES3_SB_PS6_NS8_17constant_iteratorIiNS8_11use_defaultESG_EENS8_10device_ptrIS6_EENSI_IlEEPmSA_NS8_8equal_toIS6_EEEE10hipError_tPvRmT2_T3_mT4_T5_T6_T7_T8_P12ihipStream_tbENKUlT_T0_E_clISt17integral_constantIbLb0EES15_EEDaS10_S11_EUlS10_E_NS1_11comp_targetILNS1_3genE3ELNS1_11target_archE908ELNS1_3gpuE7ELNS1_3repE0EEENS1_30default_config_static_selectorELNS0_4arch9wavefront6targetE1EEEvT1_ ; -- Begin function _ZN7rocprim17ROCPRIM_400000_NS6detail17trampoline_kernelINS0_14default_configENS1_29reduce_by_key_config_selectorIN3c108BFloat16ElN6thrust23THRUST_200600_302600_NS4plusIlEEEEZZNS1_33reduce_by_key_impl_wrapped_configILNS1_25lookback_scan_determinismE0ES3_SB_PS6_NS8_17constant_iteratorIiNS8_11use_defaultESG_EENS8_10device_ptrIS6_EENSI_IlEEPmSA_NS8_8equal_toIS6_EEEE10hipError_tPvRmT2_T3_mT4_T5_T6_T7_T8_P12ihipStream_tbENKUlT_T0_E_clISt17integral_constantIbLb0EES15_EEDaS10_S11_EUlS10_E_NS1_11comp_targetILNS1_3genE3ELNS1_11target_archE908ELNS1_3gpuE7ELNS1_3repE0EEENS1_30default_config_static_selectorELNS0_4arch9wavefront6targetE1EEEvT1_
	.globl	_ZN7rocprim17ROCPRIM_400000_NS6detail17trampoline_kernelINS0_14default_configENS1_29reduce_by_key_config_selectorIN3c108BFloat16ElN6thrust23THRUST_200600_302600_NS4plusIlEEEEZZNS1_33reduce_by_key_impl_wrapped_configILNS1_25lookback_scan_determinismE0ES3_SB_PS6_NS8_17constant_iteratorIiNS8_11use_defaultESG_EENS8_10device_ptrIS6_EENSI_IlEEPmSA_NS8_8equal_toIS6_EEEE10hipError_tPvRmT2_T3_mT4_T5_T6_T7_T8_P12ihipStream_tbENKUlT_T0_E_clISt17integral_constantIbLb0EES15_EEDaS10_S11_EUlS10_E_NS1_11comp_targetILNS1_3genE3ELNS1_11target_archE908ELNS1_3gpuE7ELNS1_3repE0EEENS1_30default_config_static_selectorELNS0_4arch9wavefront6targetE1EEEvT1_
	.p2align	8
	.type	_ZN7rocprim17ROCPRIM_400000_NS6detail17trampoline_kernelINS0_14default_configENS1_29reduce_by_key_config_selectorIN3c108BFloat16ElN6thrust23THRUST_200600_302600_NS4plusIlEEEEZZNS1_33reduce_by_key_impl_wrapped_configILNS1_25lookback_scan_determinismE0ES3_SB_PS6_NS8_17constant_iteratorIiNS8_11use_defaultESG_EENS8_10device_ptrIS6_EENSI_IlEEPmSA_NS8_8equal_toIS6_EEEE10hipError_tPvRmT2_T3_mT4_T5_T6_T7_T8_P12ihipStream_tbENKUlT_T0_E_clISt17integral_constantIbLb0EES15_EEDaS10_S11_EUlS10_E_NS1_11comp_targetILNS1_3genE3ELNS1_11target_archE908ELNS1_3gpuE7ELNS1_3repE0EEENS1_30default_config_static_selectorELNS0_4arch9wavefront6targetE1EEEvT1_,@function
_ZN7rocprim17ROCPRIM_400000_NS6detail17trampoline_kernelINS0_14default_configENS1_29reduce_by_key_config_selectorIN3c108BFloat16ElN6thrust23THRUST_200600_302600_NS4plusIlEEEEZZNS1_33reduce_by_key_impl_wrapped_configILNS1_25lookback_scan_determinismE0ES3_SB_PS6_NS8_17constant_iteratorIiNS8_11use_defaultESG_EENS8_10device_ptrIS6_EENSI_IlEEPmSA_NS8_8equal_toIS6_EEEE10hipError_tPvRmT2_T3_mT4_T5_T6_T7_T8_P12ihipStream_tbENKUlT_T0_E_clISt17integral_constantIbLb0EES15_EEDaS10_S11_EUlS10_E_NS1_11comp_targetILNS1_3genE3ELNS1_11target_archE908ELNS1_3gpuE7ELNS1_3repE0EEENS1_30default_config_static_selectorELNS0_4arch9wavefront6targetE1EEEvT1_: ; @_ZN7rocprim17ROCPRIM_400000_NS6detail17trampoline_kernelINS0_14default_configENS1_29reduce_by_key_config_selectorIN3c108BFloat16ElN6thrust23THRUST_200600_302600_NS4plusIlEEEEZZNS1_33reduce_by_key_impl_wrapped_configILNS1_25lookback_scan_determinismE0ES3_SB_PS6_NS8_17constant_iteratorIiNS8_11use_defaultESG_EENS8_10device_ptrIS6_EENSI_IlEEPmSA_NS8_8equal_toIS6_EEEE10hipError_tPvRmT2_T3_mT4_T5_T6_T7_T8_P12ihipStream_tbENKUlT_T0_E_clISt17integral_constantIbLb0EES15_EEDaS10_S11_EUlS10_E_NS1_11comp_targetILNS1_3genE3ELNS1_11target_archE908ELNS1_3gpuE7ELNS1_3repE0EEENS1_30default_config_static_selectorELNS0_4arch9wavefront6targetE1EEEvT1_
; %bb.0:
	.section	.rodata,"a",@progbits
	.p2align	6, 0x0
	.amdhsa_kernel _ZN7rocprim17ROCPRIM_400000_NS6detail17trampoline_kernelINS0_14default_configENS1_29reduce_by_key_config_selectorIN3c108BFloat16ElN6thrust23THRUST_200600_302600_NS4plusIlEEEEZZNS1_33reduce_by_key_impl_wrapped_configILNS1_25lookback_scan_determinismE0ES3_SB_PS6_NS8_17constant_iteratorIiNS8_11use_defaultESG_EENS8_10device_ptrIS6_EENSI_IlEEPmSA_NS8_8equal_toIS6_EEEE10hipError_tPvRmT2_T3_mT4_T5_T6_T7_T8_P12ihipStream_tbENKUlT_T0_E_clISt17integral_constantIbLb0EES15_EEDaS10_S11_EUlS10_E_NS1_11comp_targetILNS1_3genE3ELNS1_11target_archE908ELNS1_3gpuE7ELNS1_3repE0EEENS1_30default_config_static_selectorELNS0_4arch9wavefront6targetE1EEEvT1_
		.amdhsa_group_segment_fixed_size 0
		.amdhsa_private_segment_fixed_size 0
		.amdhsa_kernarg_size 144
		.amdhsa_user_sgpr_count 6
		.amdhsa_user_sgpr_private_segment_buffer 1
		.amdhsa_user_sgpr_dispatch_ptr 0
		.amdhsa_user_sgpr_queue_ptr 0
		.amdhsa_user_sgpr_kernarg_segment_ptr 1
		.amdhsa_user_sgpr_dispatch_id 0
		.amdhsa_user_sgpr_flat_scratch_init 0
		.amdhsa_user_sgpr_private_segment_size 0
		.amdhsa_uses_dynamic_stack 0
		.amdhsa_system_sgpr_private_segment_wavefront_offset 0
		.amdhsa_system_sgpr_workgroup_id_x 1
		.amdhsa_system_sgpr_workgroup_id_y 0
		.amdhsa_system_sgpr_workgroup_id_z 0
		.amdhsa_system_sgpr_workgroup_info 0
		.amdhsa_system_vgpr_workitem_id 0
		.amdhsa_next_free_vgpr 1
		.amdhsa_next_free_sgpr 0
		.amdhsa_reserve_vcc 0
		.amdhsa_reserve_flat_scratch 0
		.amdhsa_float_round_mode_32 0
		.amdhsa_float_round_mode_16_64 0
		.amdhsa_float_denorm_mode_32 3
		.amdhsa_float_denorm_mode_16_64 3
		.amdhsa_dx10_clamp 1
		.amdhsa_ieee_mode 1
		.amdhsa_fp16_overflow 0
		.amdhsa_exception_fp_ieee_invalid_op 0
		.amdhsa_exception_fp_denorm_src 0
		.amdhsa_exception_fp_ieee_div_zero 0
		.amdhsa_exception_fp_ieee_overflow 0
		.amdhsa_exception_fp_ieee_underflow 0
		.amdhsa_exception_fp_ieee_inexact 0
		.amdhsa_exception_int_div_zero 0
	.end_amdhsa_kernel
	.section	.text._ZN7rocprim17ROCPRIM_400000_NS6detail17trampoline_kernelINS0_14default_configENS1_29reduce_by_key_config_selectorIN3c108BFloat16ElN6thrust23THRUST_200600_302600_NS4plusIlEEEEZZNS1_33reduce_by_key_impl_wrapped_configILNS1_25lookback_scan_determinismE0ES3_SB_PS6_NS8_17constant_iteratorIiNS8_11use_defaultESG_EENS8_10device_ptrIS6_EENSI_IlEEPmSA_NS8_8equal_toIS6_EEEE10hipError_tPvRmT2_T3_mT4_T5_T6_T7_T8_P12ihipStream_tbENKUlT_T0_E_clISt17integral_constantIbLb0EES15_EEDaS10_S11_EUlS10_E_NS1_11comp_targetILNS1_3genE3ELNS1_11target_archE908ELNS1_3gpuE7ELNS1_3repE0EEENS1_30default_config_static_selectorELNS0_4arch9wavefront6targetE1EEEvT1_,"axG",@progbits,_ZN7rocprim17ROCPRIM_400000_NS6detail17trampoline_kernelINS0_14default_configENS1_29reduce_by_key_config_selectorIN3c108BFloat16ElN6thrust23THRUST_200600_302600_NS4plusIlEEEEZZNS1_33reduce_by_key_impl_wrapped_configILNS1_25lookback_scan_determinismE0ES3_SB_PS6_NS8_17constant_iteratorIiNS8_11use_defaultESG_EENS8_10device_ptrIS6_EENSI_IlEEPmSA_NS8_8equal_toIS6_EEEE10hipError_tPvRmT2_T3_mT4_T5_T6_T7_T8_P12ihipStream_tbENKUlT_T0_E_clISt17integral_constantIbLb0EES15_EEDaS10_S11_EUlS10_E_NS1_11comp_targetILNS1_3genE3ELNS1_11target_archE908ELNS1_3gpuE7ELNS1_3repE0EEENS1_30default_config_static_selectorELNS0_4arch9wavefront6targetE1EEEvT1_,comdat
.Lfunc_end2055:
	.size	_ZN7rocprim17ROCPRIM_400000_NS6detail17trampoline_kernelINS0_14default_configENS1_29reduce_by_key_config_selectorIN3c108BFloat16ElN6thrust23THRUST_200600_302600_NS4plusIlEEEEZZNS1_33reduce_by_key_impl_wrapped_configILNS1_25lookback_scan_determinismE0ES3_SB_PS6_NS8_17constant_iteratorIiNS8_11use_defaultESG_EENS8_10device_ptrIS6_EENSI_IlEEPmSA_NS8_8equal_toIS6_EEEE10hipError_tPvRmT2_T3_mT4_T5_T6_T7_T8_P12ihipStream_tbENKUlT_T0_E_clISt17integral_constantIbLb0EES15_EEDaS10_S11_EUlS10_E_NS1_11comp_targetILNS1_3genE3ELNS1_11target_archE908ELNS1_3gpuE7ELNS1_3repE0EEENS1_30default_config_static_selectorELNS0_4arch9wavefront6targetE1EEEvT1_, .Lfunc_end2055-_ZN7rocprim17ROCPRIM_400000_NS6detail17trampoline_kernelINS0_14default_configENS1_29reduce_by_key_config_selectorIN3c108BFloat16ElN6thrust23THRUST_200600_302600_NS4plusIlEEEEZZNS1_33reduce_by_key_impl_wrapped_configILNS1_25lookback_scan_determinismE0ES3_SB_PS6_NS8_17constant_iteratorIiNS8_11use_defaultESG_EENS8_10device_ptrIS6_EENSI_IlEEPmSA_NS8_8equal_toIS6_EEEE10hipError_tPvRmT2_T3_mT4_T5_T6_T7_T8_P12ihipStream_tbENKUlT_T0_E_clISt17integral_constantIbLb0EES15_EEDaS10_S11_EUlS10_E_NS1_11comp_targetILNS1_3genE3ELNS1_11target_archE908ELNS1_3gpuE7ELNS1_3repE0EEENS1_30default_config_static_selectorELNS0_4arch9wavefront6targetE1EEEvT1_
                                        ; -- End function
	.set _ZN7rocprim17ROCPRIM_400000_NS6detail17trampoline_kernelINS0_14default_configENS1_29reduce_by_key_config_selectorIN3c108BFloat16ElN6thrust23THRUST_200600_302600_NS4plusIlEEEEZZNS1_33reduce_by_key_impl_wrapped_configILNS1_25lookback_scan_determinismE0ES3_SB_PS6_NS8_17constant_iteratorIiNS8_11use_defaultESG_EENS8_10device_ptrIS6_EENSI_IlEEPmSA_NS8_8equal_toIS6_EEEE10hipError_tPvRmT2_T3_mT4_T5_T6_T7_T8_P12ihipStream_tbENKUlT_T0_E_clISt17integral_constantIbLb0EES15_EEDaS10_S11_EUlS10_E_NS1_11comp_targetILNS1_3genE3ELNS1_11target_archE908ELNS1_3gpuE7ELNS1_3repE0EEENS1_30default_config_static_selectorELNS0_4arch9wavefront6targetE1EEEvT1_.num_vgpr, 0
	.set _ZN7rocprim17ROCPRIM_400000_NS6detail17trampoline_kernelINS0_14default_configENS1_29reduce_by_key_config_selectorIN3c108BFloat16ElN6thrust23THRUST_200600_302600_NS4plusIlEEEEZZNS1_33reduce_by_key_impl_wrapped_configILNS1_25lookback_scan_determinismE0ES3_SB_PS6_NS8_17constant_iteratorIiNS8_11use_defaultESG_EENS8_10device_ptrIS6_EENSI_IlEEPmSA_NS8_8equal_toIS6_EEEE10hipError_tPvRmT2_T3_mT4_T5_T6_T7_T8_P12ihipStream_tbENKUlT_T0_E_clISt17integral_constantIbLb0EES15_EEDaS10_S11_EUlS10_E_NS1_11comp_targetILNS1_3genE3ELNS1_11target_archE908ELNS1_3gpuE7ELNS1_3repE0EEENS1_30default_config_static_selectorELNS0_4arch9wavefront6targetE1EEEvT1_.num_agpr, 0
	.set _ZN7rocprim17ROCPRIM_400000_NS6detail17trampoline_kernelINS0_14default_configENS1_29reduce_by_key_config_selectorIN3c108BFloat16ElN6thrust23THRUST_200600_302600_NS4plusIlEEEEZZNS1_33reduce_by_key_impl_wrapped_configILNS1_25lookback_scan_determinismE0ES3_SB_PS6_NS8_17constant_iteratorIiNS8_11use_defaultESG_EENS8_10device_ptrIS6_EENSI_IlEEPmSA_NS8_8equal_toIS6_EEEE10hipError_tPvRmT2_T3_mT4_T5_T6_T7_T8_P12ihipStream_tbENKUlT_T0_E_clISt17integral_constantIbLb0EES15_EEDaS10_S11_EUlS10_E_NS1_11comp_targetILNS1_3genE3ELNS1_11target_archE908ELNS1_3gpuE7ELNS1_3repE0EEENS1_30default_config_static_selectorELNS0_4arch9wavefront6targetE1EEEvT1_.numbered_sgpr, 0
	.set _ZN7rocprim17ROCPRIM_400000_NS6detail17trampoline_kernelINS0_14default_configENS1_29reduce_by_key_config_selectorIN3c108BFloat16ElN6thrust23THRUST_200600_302600_NS4plusIlEEEEZZNS1_33reduce_by_key_impl_wrapped_configILNS1_25lookback_scan_determinismE0ES3_SB_PS6_NS8_17constant_iteratorIiNS8_11use_defaultESG_EENS8_10device_ptrIS6_EENSI_IlEEPmSA_NS8_8equal_toIS6_EEEE10hipError_tPvRmT2_T3_mT4_T5_T6_T7_T8_P12ihipStream_tbENKUlT_T0_E_clISt17integral_constantIbLb0EES15_EEDaS10_S11_EUlS10_E_NS1_11comp_targetILNS1_3genE3ELNS1_11target_archE908ELNS1_3gpuE7ELNS1_3repE0EEENS1_30default_config_static_selectorELNS0_4arch9wavefront6targetE1EEEvT1_.num_named_barrier, 0
	.set _ZN7rocprim17ROCPRIM_400000_NS6detail17trampoline_kernelINS0_14default_configENS1_29reduce_by_key_config_selectorIN3c108BFloat16ElN6thrust23THRUST_200600_302600_NS4plusIlEEEEZZNS1_33reduce_by_key_impl_wrapped_configILNS1_25lookback_scan_determinismE0ES3_SB_PS6_NS8_17constant_iteratorIiNS8_11use_defaultESG_EENS8_10device_ptrIS6_EENSI_IlEEPmSA_NS8_8equal_toIS6_EEEE10hipError_tPvRmT2_T3_mT4_T5_T6_T7_T8_P12ihipStream_tbENKUlT_T0_E_clISt17integral_constantIbLb0EES15_EEDaS10_S11_EUlS10_E_NS1_11comp_targetILNS1_3genE3ELNS1_11target_archE908ELNS1_3gpuE7ELNS1_3repE0EEENS1_30default_config_static_selectorELNS0_4arch9wavefront6targetE1EEEvT1_.private_seg_size, 0
	.set _ZN7rocprim17ROCPRIM_400000_NS6detail17trampoline_kernelINS0_14default_configENS1_29reduce_by_key_config_selectorIN3c108BFloat16ElN6thrust23THRUST_200600_302600_NS4plusIlEEEEZZNS1_33reduce_by_key_impl_wrapped_configILNS1_25lookback_scan_determinismE0ES3_SB_PS6_NS8_17constant_iteratorIiNS8_11use_defaultESG_EENS8_10device_ptrIS6_EENSI_IlEEPmSA_NS8_8equal_toIS6_EEEE10hipError_tPvRmT2_T3_mT4_T5_T6_T7_T8_P12ihipStream_tbENKUlT_T0_E_clISt17integral_constantIbLb0EES15_EEDaS10_S11_EUlS10_E_NS1_11comp_targetILNS1_3genE3ELNS1_11target_archE908ELNS1_3gpuE7ELNS1_3repE0EEENS1_30default_config_static_selectorELNS0_4arch9wavefront6targetE1EEEvT1_.uses_vcc, 0
	.set _ZN7rocprim17ROCPRIM_400000_NS6detail17trampoline_kernelINS0_14default_configENS1_29reduce_by_key_config_selectorIN3c108BFloat16ElN6thrust23THRUST_200600_302600_NS4plusIlEEEEZZNS1_33reduce_by_key_impl_wrapped_configILNS1_25lookback_scan_determinismE0ES3_SB_PS6_NS8_17constant_iteratorIiNS8_11use_defaultESG_EENS8_10device_ptrIS6_EENSI_IlEEPmSA_NS8_8equal_toIS6_EEEE10hipError_tPvRmT2_T3_mT4_T5_T6_T7_T8_P12ihipStream_tbENKUlT_T0_E_clISt17integral_constantIbLb0EES15_EEDaS10_S11_EUlS10_E_NS1_11comp_targetILNS1_3genE3ELNS1_11target_archE908ELNS1_3gpuE7ELNS1_3repE0EEENS1_30default_config_static_selectorELNS0_4arch9wavefront6targetE1EEEvT1_.uses_flat_scratch, 0
	.set _ZN7rocprim17ROCPRIM_400000_NS6detail17trampoline_kernelINS0_14default_configENS1_29reduce_by_key_config_selectorIN3c108BFloat16ElN6thrust23THRUST_200600_302600_NS4plusIlEEEEZZNS1_33reduce_by_key_impl_wrapped_configILNS1_25lookback_scan_determinismE0ES3_SB_PS6_NS8_17constant_iteratorIiNS8_11use_defaultESG_EENS8_10device_ptrIS6_EENSI_IlEEPmSA_NS8_8equal_toIS6_EEEE10hipError_tPvRmT2_T3_mT4_T5_T6_T7_T8_P12ihipStream_tbENKUlT_T0_E_clISt17integral_constantIbLb0EES15_EEDaS10_S11_EUlS10_E_NS1_11comp_targetILNS1_3genE3ELNS1_11target_archE908ELNS1_3gpuE7ELNS1_3repE0EEENS1_30default_config_static_selectorELNS0_4arch9wavefront6targetE1EEEvT1_.has_dyn_sized_stack, 0
	.set _ZN7rocprim17ROCPRIM_400000_NS6detail17trampoline_kernelINS0_14default_configENS1_29reduce_by_key_config_selectorIN3c108BFloat16ElN6thrust23THRUST_200600_302600_NS4plusIlEEEEZZNS1_33reduce_by_key_impl_wrapped_configILNS1_25lookback_scan_determinismE0ES3_SB_PS6_NS8_17constant_iteratorIiNS8_11use_defaultESG_EENS8_10device_ptrIS6_EENSI_IlEEPmSA_NS8_8equal_toIS6_EEEE10hipError_tPvRmT2_T3_mT4_T5_T6_T7_T8_P12ihipStream_tbENKUlT_T0_E_clISt17integral_constantIbLb0EES15_EEDaS10_S11_EUlS10_E_NS1_11comp_targetILNS1_3genE3ELNS1_11target_archE908ELNS1_3gpuE7ELNS1_3repE0EEENS1_30default_config_static_selectorELNS0_4arch9wavefront6targetE1EEEvT1_.has_recursion, 0
	.set _ZN7rocprim17ROCPRIM_400000_NS6detail17trampoline_kernelINS0_14default_configENS1_29reduce_by_key_config_selectorIN3c108BFloat16ElN6thrust23THRUST_200600_302600_NS4plusIlEEEEZZNS1_33reduce_by_key_impl_wrapped_configILNS1_25lookback_scan_determinismE0ES3_SB_PS6_NS8_17constant_iteratorIiNS8_11use_defaultESG_EENS8_10device_ptrIS6_EENSI_IlEEPmSA_NS8_8equal_toIS6_EEEE10hipError_tPvRmT2_T3_mT4_T5_T6_T7_T8_P12ihipStream_tbENKUlT_T0_E_clISt17integral_constantIbLb0EES15_EEDaS10_S11_EUlS10_E_NS1_11comp_targetILNS1_3genE3ELNS1_11target_archE908ELNS1_3gpuE7ELNS1_3repE0EEENS1_30default_config_static_selectorELNS0_4arch9wavefront6targetE1EEEvT1_.has_indirect_call, 0
	.section	.AMDGPU.csdata,"",@progbits
; Kernel info:
; codeLenInByte = 0
; TotalNumSgprs: 4
; NumVgprs: 0
; ScratchSize: 0
; MemoryBound: 0
; FloatMode: 240
; IeeeMode: 1
; LDSByteSize: 0 bytes/workgroup (compile time only)
; SGPRBlocks: 0
; VGPRBlocks: 0
; NumSGPRsForWavesPerEU: 4
; NumVGPRsForWavesPerEU: 1
; Occupancy: 10
; WaveLimiterHint : 0
; COMPUTE_PGM_RSRC2:SCRATCH_EN: 0
; COMPUTE_PGM_RSRC2:USER_SGPR: 6
; COMPUTE_PGM_RSRC2:TRAP_HANDLER: 0
; COMPUTE_PGM_RSRC2:TGID_X_EN: 1
; COMPUTE_PGM_RSRC2:TGID_Y_EN: 0
; COMPUTE_PGM_RSRC2:TGID_Z_EN: 0
; COMPUTE_PGM_RSRC2:TIDIG_COMP_CNT: 0
	.section	.text._ZN7rocprim17ROCPRIM_400000_NS6detail17trampoline_kernelINS0_14default_configENS1_29reduce_by_key_config_selectorIN3c108BFloat16ElN6thrust23THRUST_200600_302600_NS4plusIlEEEEZZNS1_33reduce_by_key_impl_wrapped_configILNS1_25lookback_scan_determinismE0ES3_SB_PS6_NS8_17constant_iteratorIiNS8_11use_defaultESG_EENS8_10device_ptrIS6_EENSI_IlEEPmSA_NS8_8equal_toIS6_EEEE10hipError_tPvRmT2_T3_mT4_T5_T6_T7_T8_P12ihipStream_tbENKUlT_T0_E_clISt17integral_constantIbLb0EES15_EEDaS10_S11_EUlS10_E_NS1_11comp_targetILNS1_3genE2ELNS1_11target_archE906ELNS1_3gpuE6ELNS1_3repE0EEENS1_30default_config_static_selectorELNS0_4arch9wavefront6targetE1EEEvT1_,"axG",@progbits,_ZN7rocprim17ROCPRIM_400000_NS6detail17trampoline_kernelINS0_14default_configENS1_29reduce_by_key_config_selectorIN3c108BFloat16ElN6thrust23THRUST_200600_302600_NS4plusIlEEEEZZNS1_33reduce_by_key_impl_wrapped_configILNS1_25lookback_scan_determinismE0ES3_SB_PS6_NS8_17constant_iteratorIiNS8_11use_defaultESG_EENS8_10device_ptrIS6_EENSI_IlEEPmSA_NS8_8equal_toIS6_EEEE10hipError_tPvRmT2_T3_mT4_T5_T6_T7_T8_P12ihipStream_tbENKUlT_T0_E_clISt17integral_constantIbLb0EES15_EEDaS10_S11_EUlS10_E_NS1_11comp_targetILNS1_3genE2ELNS1_11target_archE906ELNS1_3gpuE6ELNS1_3repE0EEENS1_30default_config_static_selectorELNS0_4arch9wavefront6targetE1EEEvT1_,comdat
	.protected	_ZN7rocprim17ROCPRIM_400000_NS6detail17trampoline_kernelINS0_14default_configENS1_29reduce_by_key_config_selectorIN3c108BFloat16ElN6thrust23THRUST_200600_302600_NS4plusIlEEEEZZNS1_33reduce_by_key_impl_wrapped_configILNS1_25lookback_scan_determinismE0ES3_SB_PS6_NS8_17constant_iteratorIiNS8_11use_defaultESG_EENS8_10device_ptrIS6_EENSI_IlEEPmSA_NS8_8equal_toIS6_EEEE10hipError_tPvRmT2_T3_mT4_T5_T6_T7_T8_P12ihipStream_tbENKUlT_T0_E_clISt17integral_constantIbLb0EES15_EEDaS10_S11_EUlS10_E_NS1_11comp_targetILNS1_3genE2ELNS1_11target_archE906ELNS1_3gpuE6ELNS1_3repE0EEENS1_30default_config_static_selectorELNS0_4arch9wavefront6targetE1EEEvT1_ ; -- Begin function _ZN7rocprim17ROCPRIM_400000_NS6detail17trampoline_kernelINS0_14default_configENS1_29reduce_by_key_config_selectorIN3c108BFloat16ElN6thrust23THRUST_200600_302600_NS4plusIlEEEEZZNS1_33reduce_by_key_impl_wrapped_configILNS1_25lookback_scan_determinismE0ES3_SB_PS6_NS8_17constant_iteratorIiNS8_11use_defaultESG_EENS8_10device_ptrIS6_EENSI_IlEEPmSA_NS8_8equal_toIS6_EEEE10hipError_tPvRmT2_T3_mT4_T5_T6_T7_T8_P12ihipStream_tbENKUlT_T0_E_clISt17integral_constantIbLb0EES15_EEDaS10_S11_EUlS10_E_NS1_11comp_targetILNS1_3genE2ELNS1_11target_archE906ELNS1_3gpuE6ELNS1_3repE0EEENS1_30default_config_static_selectorELNS0_4arch9wavefront6targetE1EEEvT1_
	.globl	_ZN7rocprim17ROCPRIM_400000_NS6detail17trampoline_kernelINS0_14default_configENS1_29reduce_by_key_config_selectorIN3c108BFloat16ElN6thrust23THRUST_200600_302600_NS4plusIlEEEEZZNS1_33reduce_by_key_impl_wrapped_configILNS1_25lookback_scan_determinismE0ES3_SB_PS6_NS8_17constant_iteratorIiNS8_11use_defaultESG_EENS8_10device_ptrIS6_EENSI_IlEEPmSA_NS8_8equal_toIS6_EEEE10hipError_tPvRmT2_T3_mT4_T5_T6_T7_T8_P12ihipStream_tbENKUlT_T0_E_clISt17integral_constantIbLb0EES15_EEDaS10_S11_EUlS10_E_NS1_11comp_targetILNS1_3genE2ELNS1_11target_archE906ELNS1_3gpuE6ELNS1_3repE0EEENS1_30default_config_static_selectorELNS0_4arch9wavefront6targetE1EEEvT1_
	.p2align	8
	.type	_ZN7rocprim17ROCPRIM_400000_NS6detail17trampoline_kernelINS0_14default_configENS1_29reduce_by_key_config_selectorIN3c108BFloat16ElN6thrust23THRUST_200600_302600_NS4plusIlEEEEZZNS1_33reduce_by_key_impl_wrapped_configILNS1_25lookback_scan_determinismE0ES3_SB_PS6_NS8_17constant_iteratorIiNS8_11use_defaultESG_EENS8_10device_ptrIS6_EENSI_IlEEPmSA_NS8_8equal_toIS6_EEEE10hipError_tPvRmT2_T3_mT4_T5_T6_T7_T8_P12ihipStream_tbENKUlT_T0_E_clISt17integral_constantIbLb0EES15_EEDaS10_S11_EUlS10_E_NS1_11comp_targetILNS1_3genE2ELNS1_11target_archE906ELNS1_3gpuE6ELNS1_3repE0EEENS1_30default_config_static_selectorELNS0_4arch9wavefront6targetE1EEEvT1_,@function
_ZN7rocprim17ROCPRIM_400000_NS6detail17trampoline_kernelINS0_14default_configENS1_29reduce_by_key_config_selectorIN3c108BFloat16ElN6thrust23THRUST_200600_302600_NS4plusIlEEEEZZNS1_33reduce_by_key_impl_wrapped_configILNS1_25lookback_scan_determinismE0ES3_SB_PS6_NS8_17constant_iteratorIiNS8_11use_defaultESG_EENS8_10device_ptrIS6_EENSI_IlEEPmSA_NS8_8equal_toIS6_EEEE10hipError_tPvRmT2_T3_mT4_T5_T6_T7_T8_P12ihipStream_tbENKUlT_T0_E_clISt17integral_constantIbLb0EES15_EEDaS10_S11_EUlS10_E_NS1_11comp_targetILNS1_3genE2ELNS1_11target_archE906ELNS1_3gpuE6ELNS1_3repE0EEENS1_30default_config_static_selectorELNS0_4arch9wavefront6targetE1EEEvT1_: ; @_ZN7rocprim17ROCPRIM_400000_NS6detail17trampoline_kernelINS0_14default_configENS1_29reduce_by_key_config_selectorIN3c108BFloat16ElN6thrust23THRUST_200600_302600_NS4plusIlEEEEZZNS1_33reduce_by_key_impl_wrapped_configILNS1_25lookback_scan_determinismE0ES3_SB_PS6_NS8_17constant_iteratorIiNS8_11use_defaultESG_EENS8_10device_ptrIS6_EENSI_IlEEPmSA_NS8_8equal_toIS6_EEEE10hipError_tPvRmT2_T3_mT4_T5_T6_T7_T8_P12ihipStream_tbENKUlT_T0_E_clISt17integral_constantIbLb0EES15_EEDaS10_S11_EUlS10_E_NS1_11comp_targetILNS1_3genE2ELNS1_11target_archE906ELNS1_3gpuE6ELNS1_3repE0EEENS1_30default_config_static_selectorELNS0_4arch9wavefront6targetE1EEEvT1_
; %bb.0:
	s_load_dwordx16 s[40:55], s[4:5], 0x40
	s_load_dwordx4 s[8:11], s[4:5], 0x0
	s_load_dword s12, s[4:5], 0x18
	s_load_dwordx4 s[56:59], s[4:5], 0x20
	s_load_dwordx2 s[38:39], s[4:5], 0x30
	s_add_u32 s0, s0, s7
	s_waitcnt lgkmcnt(0)
	s_mul_i32 s7, s48, s47
	s_mul_hi_u32 s13, s48, s46
	s_addc_u32 s1, s1, 0
	s_add_i32 s7, s13, s7
	s_mul_i32 s13, s49, s46
	s_add_i32 s7, s7, s13
	s_lshl_b64 s[10:11], s[10:11], 1
	s_add_u32 s10, s8, s10
	s_addc_u32 s11, s9, s11
	s_mul_i32 s8, s6, 0xf00
	s_mov_b32 s9, 0
	s_lshl_b64 s[8:9], s[8:9], 1
	s_add_u32 s34, s10, s8
	s_mul_i32 s13, s48, s46
	s_addc_u32 s35, s11, s9
	s_add_u32 s8, s13, s6
	s_addc_u32 s9, s7, 0
	s_add_u32 s16, s50, -1
	s_addc_u32 s17, s51, -1
	s_cmp_eq_u64 s[8:9], s[16:17]
	s_cselect_b64 s[48:49], -1, 0
	s_cmp_lg_u64 s[8:9], s[16:17]
	s_mov_b64 s[14:15], -1
	s_cselect_b64 s[10:11], -1, 0
	s_mul_i32 s33, s16, 0xfffff100
	s_and_b64 vcc, exec, s[48:49]
	s_cbranch_vccnz .LBB2056_2
; %bb.1:
	v_lshlrev_b32_e32 v4, 1, v0
	v_mov_b32_e32 v1, s35
	v_add_co_u32_e32 v2, vcc, s34, v4
	v_addc_co_u32_e32 v3, vcc, 0, v1, vcc
	v_add_co_u32_e32 v1, vcc, 0x1000, v2
	v_addc_co_u32_e32 v2, vcc, 0, v3, vcc
	global_load_ushort v5, v4, s[34:35]
	global_load_ushort v6, v4, s[34:35] offset:512
	global_load_ushort v7, v4, s[34:35] offset:1024
	;; [unrolled: 1-line block ×7, first 2 shown]
	global_load_ushort v13, v[1:2], off
	global_load_ushort v14, v[1:2], off offset:512
	global_load_ushort v15, v[1:2], off offset:1024
	;; [unrolled: 1-line block ×6, first 2 shown]
	v_mad_u32_u24 v20, v0, 28, v4
	s_ashr_i32 s13, s12, 31
	s_movk_i32 s7, 0xffea
	v_mov_b32_e32 v2, s12
	v_mul_u32_u24_e32 v1, 15, v0
	v_mov_b32_e32 v3, s13
	v_mad_i32_i24 v21, v0, s7, v20
	s_waitcnt vmcnt(14)
	ds_write_b16 v4, v5
	s_waitcnt vmcnt(13)
	ds_write_b16 v4, v6 offset:512
	s_waitcnt vmcnt(12)
	ds_write_b16 v4, v7 offset:1024
	;; [unrolled: 2-line block ×14, first 2 shown]
	s_waitcnt lgkmcnt(0)
	s_barrier
	ds_read_b32 v76, v20
	ds_read_u16 v75, v20 offset:4
	ds_read_b128 v[5:8], v20 offset:6
	ds_read_b64 v[33:34], v20 offset:22
	s_waitcnt lgkmcnt(0)
	s_barrier
	ds_write2st64_b64 v21, v[2:3], v[2:3] offset1:4
	ds_write2st64_b64 v21, v[2:3], v[2:3] offset0:8 offset1:12
	ds_write2st64_b64 v21, v[2:3], v[2:3] offset0:16 offset1:20
	;; [unrolled: 1-line block ×6, first 2 shown]
	ds_write_b64 v21, v[2:3] offset:28672
	s_waitcnt lgkmcnt(0)
	s_barrier
	s_load_dwordx2 s[60:61], s[4:5], 0x80
	s_add_i32 s33, s33, s52
	s_cbranch_execz .LBB2056_3
	s_branch .LBB2056_34
.LBB2056_2:
                                        ; implicit-def: $vgpr5
                                        ; implicit-def: $vgpr33
                                        ; implicit-def: $vgpr76
                                        ; implicit-def: $vgpr75
                                        ; implicit-def: $vgpr1
	s_load_dwordx2 s[60:61], s[4:5], 0x80
	s_andn2_b64 vcc, exec, s[14:15]
	s_add_i32 s33, s33, s52
	s_cbranch_vccnz .LBB2056_34
.LBB2056_3:
	v_cmp_gt_u32_e32 vcc, s33, v0
                                        ; implicit-def: $vgpr1
	s_and_saveexec_b64 s[4:5], vcc
	s_cbranch_execz .LBB2056_5
; %bb.4:
	v_lshlrev_b32_e32 v1, 1, v0
	global_load_ushort v1, v1, s[34:35]
.LBB2056_5:
	s_or_b64 exec, exec, s[4:5]
	v_or_b32_e32 v2, 0x100, v0
	v_cmp_gt_u32_e32 vcc, s33, v2
                                        ; implicit-def: $vgpr2
	s_and_saveexec_b64 s[4:5], vcc
	s_cbranch_execz .LBB2056_7
; %bb.6:
	v_lshlrev_b32_e32 v2, 1, v0
	global_load_ushort v2, v2, s[34:35] offset:512
.LBB2056_7:
	s_or_b64 exec, exec, s[4:5]
	v_or_b32_e32 v3, 0x200, v0
	v_cmp_gt_u32_e32 vcc, s33, v3
                                        ; implicit-def: $vgpr3
	s_and_saveexec_b64 s[4:5], vcc
	s_cbranch_execz .LBB2056_9
; %bb.8:
	v_lshlrev_b32_e32 v3, 1, v0
	global_load_ushort v3, v3, s[34:35] offset:1024
.LBB2056_9:
	s_or_b64 exec, exec, s[4:5]
	v_or_b32_e32 v4, 0x300, v0
	v_cmp_gt_u32_e32 vcc, s33, v4
                                        ; implicit-def: $vgpr4
	s_and_saveexec_b64 s[4:5], vcc
	s_cbranch_execz .LBB2056_11
; %bb.10:
	v_lshlrev_b32_e32 v4, 1, v0
	global_load_ushort v4, v4, s[34:35] offset:1536
.LBB2056_11:
	s_or_b64 exec, exec, s[4:5]
	v_or_b32_e32 v5, 0x400, v0
	v_cmp_gt_u32_e32 vcc, s33, v5
                                        ; implicit-def: $vgpr5
	s_and_saveexec_b64 s[4:5], vcc
	s_cbranch_execz .LBB2056_13
; %bb.12:
	v_lshlrev_b32_e32 v5, 1, v0
	global_load_ushort v5, v5, s[34:35] offset:2048
.LBB2056_13:
	s_or_b64 exec, exec, s[4:5]
	v_or_b32_e32 v6, 0x500, v0
	v_cmp_gt_u32_e32 vcc, s33, v6
                                        ; implicit-def: $vgpr6
	s_and_saveexec_b64 s[4:5], vcc
	s_cbranch_execz .LBB2056_15
; %bb.14:
	v_lshlrev_b32_e32 v6, 1, v0
	global_load_ushort v6, v6, s[34:35] offset:2560
.LBB2056_15:
	s_or_b64 exec, exec, s[4:5]
	v_or_b32_e32 v7, 0x600, v0
	v_cmp_gt_u32_e32 vcc, s33, v7
                                        ; implicit-def: $vgpr7
	s_and_saveexec_b64 s[4:5], vcc
	s_cbranch_execz .LBB2056_17
; %bb.16:
	v_lshlrev_b32_e32 v7, 1, v0
	global_load_ushort v7, v7, s[34:35] offset:3072
.LBB2056_17:
	s_or_b64 exec, exec, s[4:5]
	v_or_b32_e32 v8, 0x700, v0
	v_cmp_gt_u32_e32 vcc, s33, v8
                                        ; implicit-def: $vgpr8
	s_and_saveexec_b64 s[4:5], vcc
	s_cbranch_execz .LBB2056_19
; %bb.18:
	v_lshlrev_b32_e32 v8, 1, v0
	global_load_ushort v8, v8, s[34:35] offset:3584
.LBB2056_19:
	s_or_b64 exec, exec, s[4:5]
	v_or_b32_e32 v10, 0x800, v0
	v_cmp_gt_u32_e32 vcc, s33, v10
                                        ; implicit-def: $vgpr9
	s_and_saveexec_b64 s[4:5], vcc
	s_cbranch_execz .LBB2056_21
; %bb.20:
	v_lshlrev_b32_e32 v9, 1, v10
	global_load_ushort v9, v9, s[34:35]
.LBB2056_21:
	s_or_b64 exec, exec, s[4:5]
	v_or_b32_e32 v11, 0x900, v0
	v_cmp_gt_u32_e32 vcc, s33, v11
                                        ; implicit-def: $vgpr10
	s_and_saveexec_b64 s[4:5], vcc
	s_cbranch_execz .LBB2056_23
; %bb.22:
	v_lshlrev_b32_e32 v10, 1, v11
	global_load_ushort v10, v10, s[34:35]
.LBB2056_23:
	s_or_b64 exec, exec, s[4:5]
	v_or_b32_e32 v12, 0xa00, v0
	v_cmp_gt_u32_e32 vcc, s33, v12
                                        ; implicit-def: $vgpr11
	s_and_saveexec_b64 s[4:5], vcc
	s_cbranch_execz .LBB2056_25
; %bb.24:
	v_lshlrev_b32_e32 v11, 1, v12
	global_load_ushort v11, v11, s[34:35]
.LBB2056_25:
	s_or_b64 exec, exec, s[4:5]
	v_or_b32_e32 v13, 0xb00, v0
	v_cmp_gt_u32_e32 vcc, s33, v13
                                        ; implicit-def: $vgpr12
	s_and_saveexec_b64 s[4:5], vcc
	s_cbranch_execz .LBB2056_27
; %bb.26:
	v_lshlrev_b32_e32 v12, 1, v13
	global_load_ushort v12, v12, s[34:35]
.LBB2056_27:
	s_or_b64 exec, exec, s[4:5]
	v_or_b32_e32 v14, 0xc00, v0
	v_cmp_gt_u32_e32 vcc, s33, v14
                                        ; implicit-def: $vgpr13
	s_and_saveexec_b64 s[4:5], vcc
	s_cbranch_execz .LBB2056_29
; %bb.28:
	v_lshlrev_b32_e32 v13, 1, v14
	global_load_ushort v13, v13, s[34:35]
.LBB2056_29:
	s_or_b64 exec, exec, s[4:5]
	v_or_b32_e32 v15, 0xd00, v0
	v_cmp_gt_u32_e32 vcc, s33, v15
                                        ; implicit-def: $vgpr14
	s_and_saveexec_b64 s[4:5], vcc
	s_cbranch_execz .LBB2056_31
; %bb.30:
	v_lshlrev_b32_e32 v14, 1, v15
	global_load_ushort v14, v14, s[34:35]
.LBB2056_31:
	s_or_b64 exec, exec, s[4:5]
	v_or_b32_e32 v16, 0xe00, v0
	v_cmp_gt_u32_e32 vcc, s33, v16
                                        ; implicit-def: $vgpr15
	s_and_saveexec_b64 s[4:5], vcc
	s_cbranch_execz .LBB2056_33
; %bb.32:
	v_lshlrev_b32_e32 v15, 1, v16
	global_load_ushort v15, v15, s[34:35]
.LBB2056_33:
	s_or_b64 exec, exec, s[4:5]
	v_lshlrev_b32_e32 v16, 1, v0
	s_waitcnt vmcnt(0)
	ds_write_b16 v16, v1
	ds_write_b16 v16, v2 offset:512
	ds_write_b16 v16, v3 offset:1024
	;; [unrolled: 1-line block ×14, first 2 shown]
	v_mad_u32_u24 v2, v0, 28, v16
	s_waitcnt lgkmcnt(0)
	s_barrier
	ds_read_b32 v76, v2
	ds_read_u16 v75, v2 offset:4
	ds_read_b128 v[5:8], v2 offset:6
	ds_read_b64 v[33:34], v2 offset:22
	s_movk_i32 s4, 0xffea
	s_ashr_i32 s13, s12, 31
	v_mad_i32_i24 v4, v0, s4, v2
	v_mov_b32_e32 v2, s12
	v_mul_u32_u24_e32 v1, 15, v0
	v_mov_b32_e32 v3, s13
	s_waitcnt lgkmcnt(0)
	s_barrier
	ds_write2st64_b64 v4, v[2:3], v[2:3] offset1:4
	ds_write2st64_b64 v4, v[2:3], v[2:3] offset0:8 offset1:12
	ds_write2st64_b64 v4, v[2:3], v[2:3] offset0:16 offset1:20
	;; [unrolled: 1-line block ×6, first 2 shown]
	ds_write_b64 v4, v[2:3] offset:28672
	s_waitcnt lgkmcnt(0)
	s_barrier
.LBB2056_34:
	v_lshlrev_b32_e32 v29, 3, v1
	s_waitcnt lgkmcnt(0)
	ds_read_b64 v[69:70], v29 offset:112
	ds_read2_b64 v[1:4], v29 offset0:12 offset1:13
	ds_read2_b64 v[9:12], v29 offset0:10 offset1:11
	;; [unrolled: 1-line block ×6, first 2 shown]
	ds_read2_b64 v[29:32], v29 offset1:1
	s_cmp_eq_u64 s[8:9], 0
	s_cselect_b64 s[50:51], -1, 0
	s_cmp_lg_u64 s[8:9], 0
	s_mov_b64 s[36:37], 0
	s_cselect_b64 s[4:5], -1, 0
	v_lshrrev_b32_e32 v80, 16, v5
	v_lshrrev_b32_e32 v79, 16, v6
	;; [unrolled: 1-line block ×6, first 2 shown]
	s_and_b64 vcc, exec, s[10:11]
	s_waitcnt lgkmcnt(0)
	s_barrier
	s_cbranch_vccz .LBB2056_39
; %bb.35:
	s_and_b64 vcc, exec, s[4:5]
	s_cbranch_vccz .LBB2056_40
; %bb.36:
	v_mov_b32_e32 v35, 0
	global_load_ushort v35, v35, s[34:35] offset:-2
	v_lshlrev_b32_e32 v37, 16, v34
	v_lshlrev_b32_e32 v38, 16, v73
	v_cmp_neq_f32_e32 vcc, v37, v38
	v_cndmask_b32_e64 v38, 0, 1, vcc
	buffer_store_dword v38, off, s[0:3], 0 offset:56
	v_lshlrev_b32_e32 v38, 16, v74
	v_cmp_neq_f32_e32 vcc, v38, v37
	v_cndmask_b32_e64 v37, 0, 1, vcc
	buffer_store_dword v37, off, s[0:3], 0 offset:52
	;; [unrolled: 4-line block ×11, first 2 shown]
	v_lshlrev_b32_e32 v38, 16, v75
	v_cmp_neq_f32_e32 vcc, v38, v37
	v_cndmask_b32_e64 v37, 0, 1, vcc
	v_and_b32_e32 v39, 0xffff0000, v76
	buffer_store_dword v37, off, s[0:3], 0 offset:12
	v_lshlrev_b32_e32 v37, 16, v76
	v_cmp_neq_f32_e32 vcc, v39, v38
	v_cndmask_b32_e64 v38, 0, 1, vcc
	v_cmp_neq_f32_e32 vcc, v37, v39
	v_lshlrev_b32_e32 v36, 1, v0
	buffer_store_dword v38, off, s[0:3], 0 offset:8
	v_cndmask_b32_e64 v38, 0, 1, vcc
	v_cmp_ne_u32_e32 vcc, 0, v0
	ds_write_b16 v36, v73
	buffer_store_dword v38, off, s[0:3], 0 offset:4
	s_waitcnt vmcnt(0) lgkmcnt(0)
	s_barrier
	s_and_saveexec_b64 s[10:11], vcc
; %bb.37:
	v_add_u32_e32 v35, -2, v36
	ds_read_u16 v35, v35
; %bb.38:
	s_or_b64 exec, exec, s[10:11]
	s_waitcnt lgkmcnt(0)
	v_lshlrev_b32_e32 v35, 16, v35
	v_cmp_neq_f32_e64 s[10:11], v37, v35
	s_mov_b64 s[36:37], -1
	s_branch .LBB2056_44
.LBB2056_39:
                                        ; implicit-def: $sgpr10_sgpr11
	s_cbranch_execnz .LBB2056_45
	s_branch .LBB2056_53
.LBB2056_40:
                                        ; implicit-def: $sgpr10_sgpr11
	s_cbranch_execz .LBB2056_44
; %bb.41:
	v_lshlrev_b32_e32 v36, 16, v34
	v_lshlrev_b32_e32 v38, 16, v73
	v_cmp_neq_f32_e32 vcc, v36, v38
	v_cndmask_b32_e64 v38, 0, 1, vcc
	buffer_store_dword v38, off, s[0:3], 0 offset:56
	v_lshlrev_b32_e32 v38, 16, v74
	v_cmp_neq_f32_e32 vcc, v38, v36
	v_cndmask_b32_e64 v36, 0, 1, vcc
	buffer_store_dword v36, off, s[0:3], 0 offset:52
	;; [unrolled: 4-line block ×11, first 2 shown]
	v_lshlrev_b32_e32 v38, 16, v75
	v_cmp_neq_f32_e32 vcc, v38, v36
	v_cndmask_b32_e64 v36, 0, 1, vcc
	v_and_b32_e32 v39, 0xffff0000, v76
	buffer_store_dword v36, off, s[0:3], 0 offset:12
	v_lshlrev_b32_e32 v36, 16, v76
	v_cmp_neq_f32_e32 vcc, v39, v38
	v_cndmask_b32_e64 v38, 0, 1, vcc
	v_cmp_neq_f32_e32 vcc, v36, v39
	v_mov_b32_e32 v37, 1
	v_lshlrev_b32_e32 v35, 1, v0
	buffer_store_dword v38, off, s[0:3], 0 offset:8
	v_cndmask_b32_e64 v38, 0, 1, vcc
	v_cmp_ne_u32_e32 vcc, 0, v0
	ds_write_b16 v35, v73
	buffer_store_dword v38, off, s[0:3], 0 offset:4
	s_waitcnt vmcnt(0) lgkmcnt(0)
	s_barrier
	buffer_store_dword v37, off, s[0:3], 0
                                        ; implicit-def: $sgpr10_sgpr11
	s_and_saveexec_b64 s[12:13], vcc
	s_xor_b64 s[12:13], exec, s[12:13]
	s_cbranch_execz .LBB2056_43
; %bb.42:
	v_add_u32_e32 v35, -2, v35
	ds_read_u16 v35, v35
	s_or_b64 s[36:37], s[36:37], exec
	s_waitcnt lgkmcnt(0)
	v_lshlrev_b32_e32 v35, 16, v35
	v_cmp_neq_f32_e64 s[10:11], v36, v35
.LBB2056_43:
	s_or_b64 exec, exec, s[12:13]
.LBB2056_44:
	s_branch .LBB2056_53
.LBB2056_45:
	s_mul_i32 s7, s9, 0xfffff100
	s_mul_hi_u32 s9, s8, 0xfffff100
	s_sub_i32 s9, s9, s8
	s_add_i32 s9, s9, s7
	s_mul_i32 s7, s8, 0xfffff100
	s_add_u32 s52, s7, s52
	v_lshlrev_b32_e32 v87, 16, v34
	v_lshlrev_b32_e32 v88, 16, v73
	;; [unrolled: 1-line block ×13, first 2 shown]
	s_addc_u32 s53, s9, s53
	s_and_b64 vcc, exec, s[4:5]
	v_mad_u32_u24 v35, v0, 15, 14
	v_cmp_neq_f32_e64 s[28:29], v87, v88
	v_mad_u32_u24 v61, v0, 15, 13
	v_cmp_neq_f32_e64 s[26:27], v86, v87
	;; [unrolled: 2-line block ×12, first 2 shown]
	v_mad_u32_u24 v39, v0, 15, 2
	v_mad_u32_u24 v37, v0, 15, 1
	v_lshlrev_b32_e32 v65, 16, v76
	v_cmp_ne_u32_e64 s[4:5], 0, v0
	s_cbranch_vccz .LBB2056_49
; %bb.46:
	v_mov_b32_e32 v36, 0
	global_load_ushort v89, v36, s[34:35] offset:-2
	v_cmp_gt_u64_e32 vcc, s[52:53], v[35:36]
	v_mov_b32_e32 v62, v36
	s_and_b64 s[28:29], vcc, s[28:29]
	v_cmp_gt_u64_e32 vcc, s[52:53], v[61:62]
	v_mov_b32_e32 v60, v36
	s_and_b64 s[26:27], vcc, s[26:27]
	;; [unrolled: 3-line block ×6, first 2 shown]
	v_cmp_gt_u64_e32 vcc, s[52:53], v[51:52]
	v_mov_b32_e32 v50, v36
	v_cndmask_b32_e64 v38, 0, 1, s[28:29]
	s_and_b64 s[16:17], vcc, s[16:17]
	v_cmp_gt_u64_e32 vcc, s[52:53], v[49:50]
	buffer_store_dword v38, off, s[0:3], 0 offset:56
	v_cndmask_b32_e64 v38, 0, 1, s[26:27]
	v_mov_b32_e32 v48, v36
	buffer_store_dword v38, off, s[0:3], 0 offset:52
	v_cndmask_b32_e64 v38, 0, 1, s[24:25]
	s_and_b64 s[14:15], vcc, s[14:15]
	v_cmp_gt_u64_e32 vcc, s[52:53], v[47:48]
	buffer_store_dword v38, off, s[0:3], 0 offset:48
	v_cndmask_b32_e64 v38, 0, 1, s[22:23]
	v_mov_b32_e32 v46, v36
	buffer_store_dword v38, off, s[0:3], 0 offset:44
	v_cndmask_b32_e64 v38, 0, 1, s[20:21]
	s_and_b64 s[12:13], vcc, s[12:13]
	v_cmp_gt_u64_e32 vcc, s[52:53], v[45:46]
	buffer_store_dword v38, off, s[0:3], 0 offset:40
	v_cndmask_b32_e64 v38, 0, 1, s[18:19]
	v_mov_b32_e32 v44, v36
	buffer_store_dword v38, off, s[0:3], 0 offset:36
	v_cndmask_b32_e64 v38, 0, 1, s[16:17]
	s_and_b64 s[10:11], vcc, s[10:11]
	v_cmp_gt_u64_e32 vcc, s[52:53], v[43:44]
	buffer_store_dword v38, off, s[0:3], 0 offset:32
	v_cndmask_b32_e64 v38, 0, 1, s[14:15]
	v_mov_b32_e32 v42, v36
	buffer_store_dword v38, off, s[0:3], 0 offset:28
	v_cndmask_b32_e64 v38, 0, 1, s[12:13]
	s_and_b64 s[8:9], vcc, s[8:9]
	v_cmp_gt_u64_e32 vcc, s[52:53], v[41:42]
	buffer_store_dword v38, off, s[0:3], 0 offset:24
	v_cndmask_b32_e64 v38, 0, 1, s[10:11]
	buffer_store_dword v38, off, s[0:3], 0 offset:20
	v_cndmask_b32_e64 v38, 0, 1, s[8:9]
	s_and_b64 s[8:9], vcc, s[30:31]
	buffer_store_dword v38, off, s[0:3], 0 offset:16
	v_cndmask_b32_e64 v38, 0, 1, s[8:9]
	buffer_store_dword v38, off, s[0:3], 0 offset:12
	v_mov_b32_e32 v40, v36
	v_mov_b32_e32 v38, v36
	v_cmp_gt_u64_e32 vcc, s[52:53], v[39:40]
	v_cmp_gt_u64_e64 s[8:9], s[52:53], v[37:38]
	v_and_b32_e32 v38, 0xffff0000, v76
	v_cmp_neq_f32_e64 s[10:11], v38, v66
	s_and_b64 s[10:11], vcc, s[10:11]
	v_cmp_neq_f32_e32 vcc, v65, v38
	s_and_b64 s[8:9], s[8:9], vcc
	v_lshlrev_b32_e32 v64, 1, v0
	v_mul_u32_u24_e32 v63, 15, v0
	v_cndmask_b32_e64 v40, 0, 1, s[10:11]
	v_cndmask_b32_e64 v38, 0, 1, s[8:9]
	ds_write_b16 v64, v73
	buffer_store_dword v40, off, s[0:3], 0 offset:8
	buffer_store_dword v38, off, s[0:3], 0 offset:4
	s_waitcnt vmcnt(0) lgkmcnt(0)
	s_barrier
	s_and_saveexec_b64 s[8:9], s[4:5]
; %bb.47:
	v_add_u32_e32 v38, -2, v64
	ds_read_u16 v89, v38
; %bb.48:
	s_or_b64 exec, exec, s[8:9]
	v_mov_b32_e32 v64, v36
	v_cmp_gt_u64_e32 vcc, s[52:53], v[63:64]
	s_waitcnt lgkmcnt(0)
	v_lshlrev_b32_e32 v36, 16, v89
	v_cmp_neq_f32_e64 s[4:5], v65, v36
	s_and_b64 s[10:11], vcc, s[4:5]
	s_mov_b64 s[36:37], -1
	s_branch .LBB2056_53
.LBB2056_49:
                                        ; implicit-def: $sgpr10_sgpr11
	s_cbranch_execz .LBB2056_53
; %bb.50:
	v_mov_b32_e32 v36, 0
	v_cmp_gt_u64_e32 vcc, s[52:53], v[35:36]
	v_cmp_neq_f32_e64 s[4:5], v87, v88
	v_mov_b32_e32 v62, v36
	s_and_b64 s[4:5], vcc, s[4:5]
	v_cmp_gt_u64_e32 vcc, s[52:53], v[61:62]
	v_cndmask_b32_e64 v35, 0, 1, s[4:5]
	v_cmp_neq_f32_e64 s[4:5], v86, v87
	v_mov_b32_e32 v60, v36
	s_and_b64 s[4:5], vcc, s[4:5]
	v_cmp_gt_u64_e32 vcc, s[52:53], v[59:60]
	buffer_store_dword v35, off, s[0:3], 0 offset:56
	v_cndmask_b32_e64 v35, 0, 1, s[4:5]
	v_cmp_neq_f32_e64 s[4:5], v85, v86
	v_mov_b32_e32 v58, v36
	s_and_b64 s[4:5], vcc, s[4:5]
	v_cmp_gt_u64_e32 vcc, s[52:53], v[57:58]
	buffer_store_dword v35, off, s[0:3], 0 offset:52
	;; [unrolled: 6-line block ×10, first 2 shown]
	v_cndmask_b32_e64 v35, 0, 1, s[4:5]
	v_cmp_neq_f32_e64 s[4:5], v66, v67
	s_and_b64 s[4:5], vcc, s[4:5]
	buffer_store_dword v35, off, s[0:3], 0 offset:16
	v_cndmask_b32_e64 v35, 0, 1, s[4:5]
	v_mov_b32_e32 v40, v36
	buffer_store_dword v35, off, s[0:3], 0 offset:12
	v_cmp_gt_u64_e32 vcc, s[52:53], v[39:40]
	v_mov_b32_e32 v38, v36
	v_and_b32_e32 v35, 0xffff0000, v76
	v_cmp_gt_u64_e64 s[4:5], s[52:53], v[37:38]
	v_cmp_neq_f32_e64 s[8:9], v35, v66
	s_and_b64 s[8:9], vcc, s[8:9]
	v_cmp_neq_f32_e32 vcc, v65, v35
	s_and_b64 s[4:5], s[4:5], vcc
	v_mov_b32_e32 v64, 1
	v_lshlrev_b32_e32 v63, 1, v0
	v_cndmask_b32_e64 v37, 0, 1, s[8:9]
	v_cndmask_b32_e64 v35, 0, 1, s[4:5]
	v_cmp_ne_u32_e32 vcc, 0, v0
	ds_write_b16 v63, v73
	buffer_store_dword v37, off, s[0:3], 0 offset:8
	buffer_store_dword v35, off, s[0:3], 0 offset:4
	s_waitcnt vmcnt(0) lgkmcnt(0)
	s_barrier
	buffer_store_dword v64, off, s[0:3], 0
                                        ; implicit-def: $sgpr10_sgpr11
	s_and_saveexec_b64 s[8:9], vcc
	s_cbranch_execz .LBB2056_52
; %bb.51:
	v_add_u32_e32 v35, -2, v63
	ds_read_u16 v37, v35
	v_mul_u32_u24_e32 v35, 15, v0
	v_cmp_gt_u64_e32 vcc, s[52:53], v[35:36]
	s_or_b64 s[36:37], s[36:37], exec
	s_waitcnt lgkmcnt(0)
	v_lshlrev_b32_e32 v35, 16, v37
	v_cmp_neq_f32_e64 s[4:5], v65, v35
	s_and_b64 s[10:11], vcc, s[4:5]
.LBB2056_52:
	s_or_b64 exec, exec, s[8:9]
.LBB2056_53:
	v_mov_b32_e32 v81, 1
	s_and_saveexec_b64 s[4:5], s[36:37]
	s_cbranch_execz .LBB2056_55
; %bb.54:
	v_cndmask_b32_e64 v81, 0, 1, s[10:11]
	buffer_store_dword v81, off, s[0:3], 0
.LBB2056_55:
	s_or_b64 exec, exec, s[4:5]
	buffer_load_dword v94, off, s[0:3], 0 offset:4
	buffer_load_dword v93, off, s[0:3], 0 offset:8
	;; [unrolled: 1-line block ×14, first 2 shown]
	s_cmp_eq_u64 s[46:47], 0
	s_cselect_b64 s[46:47], -1, 0
	s_cmp_lg_u32 s6, 0
	v_mbcnt_lo_u32_b32 v96, -1, 0
	s_waitcnt vmcnt(13)
	v_cmp_eq_u32_e64 s[28:29], 0, v94
	s_waitcnt vmcnt(12)
	v_add3_u32 v35, v94, v81, v93
	v_cmp_eq_u32_e64 s[26:27], 0, v93
	s_waitcnt vmcnt(11)
	v_cmp_eq_u32_e64 s[24:25], 0, v92
	s_waitcnt vmcnt(10)
	;; [unrolled: 2-line block ×12, first 2 shown]
	v_cmp_eq_u32_e32 vcc, 0, v95
	v_add3_u32 v97, v35, v92, v82
	s_cbranch_scc0 .LBB2056_117
; %bb.56:
	v_cndmask_b32_e64 v36, 0, v29, s[28:29]
	v_cndmask_b32_e64 v35, 0, v30, s[28:29]
	v_add_co_u32_e64 v36, s[30:31], v36, v31
	v_addc_co_u32_e64 v35, s[30:31], v35, v32, s[30:31]
	v_cndmask_b32_e64 v36, 0, v36, s[26:27]
	v_cndmask_b32_e64 v35, 0, v35, s[26:27]
	v_add_co_u32_e64 v36, s[30:31], v36, v25
	v_addc_co_u32_e64 v35, s[30:31], v35, v26, s[30:31]
	;; [unrolled: 4-line block ×11, first 2 shown]
	v_cndmask_b32_e64 v36, 0, v36, s[34:35]
	v_add3_u32 v37, v97, v83, v84
	v_cndmask_b32_e64 v35, 0, v35, s[34:35]
	v_add_co_u32_e64 v36, s[30:31], v36, v1
	v_add3_u32 v37, v37, v85, v86
	v_addc_co_u32_e64 v35, s[30:31], v35, v2, s[30:31]
	v_cndmask_b32_e64 v36, 0, v36, s[4:5]
	v_add3_u32 v37, v37, v87, v88
	v_cndmask_b32_e64 v35, 0, v35, s[4:5]
	v_add_co_u32_e64 v36, s[30:31], v36, v3
	v_add3_u32 v37, v37, v89, v90
	v_addc_co_u32_e64 v35, s[30:31], v35, v4, s[30:31]
	v_cndmask_b32_e32 v36, 0, v36, vcc
	v_add3_u32 v39, v37, v91, v95
	v_cndmask_b32_e32 v35, 0, v35, vcc
	v_add_co_u32_e32 v37, vcc, v36, v69
	v_mbcnt_hi_u32_b32 v44, -1, v96
	v_addc_co_u32_e32 v38, vcc, v35, v70, vcc
	v_and_b32_e32 v35, 15, v44
	v_mov_b32_dpp v40, v39 row_shr:1 row_mask:0xf bank_mask:0xf
	v_mov_b32_dpp v36, v37 row_shr:1 row_mask:0xf bank_mask:0xf
	;; [unrolled: 1-line block ×3, first 2 shown]
	v_cmp_ne_u32_e32 vcc, 0, v35
	s_and_saveexec_b64 s[30:31], vcc
; %bb.57:
	v_cmp_eq_u32_e32 vcc, 0, v39
	v_cndmask_b32_e32 v36, 0, v36, vcc
	v_add_u32_e32 v40, v40, v39
	v_cndmask_b32_e32 v39, 0, v41, vcc
	v_add_co_u32_e32 v37, vcc, v36, v37
	v_addc_co_u32_e32 v38, vcc, v39, v38, vcc
	v_mov_b32_e32 v39, v40
; %bb.58:
	s_or_b64 exec, exec, s[30:31]
	s_nop 0
	v_mov_b32_dpp v40, v39 row_shr:2 row_mask:0xf bank_mask:0xf
	v_mov_b32_dpp v36, v37 row_shr:2 row_mask:0xf bank_mask:0xf
	v_mov_b32_dpp v41, v38 row_shr:2 row_mask:0xf bank_mask:0xf
	v_cmp_lt_u32_e32 vcc, 1, v35
	s_and_saveexec_b64 s[30:31], vcc
; %bb.59:
	v_cmp_eq_u32_e32 vcc, 0, v39
	v_cndmask_b32_e32 v36, 0, v36, vcc
	v_add_u32_e32 v40, v40, v39
	v_cndmask_b32_e32 v39, 0, v41, vcc
	v_add_co_u32_e32 v37, vcc, v36, v37
	v_addc_co_u32_e32 v38, vcc, v39, v38, vcc
	v_mov_b32_e32 v39, v40
; %bb.60:
	s_or_b64 exec, exec, s[30:31]
	s_nop 0
	v_mov_b32_dpp v40, v39 row_shr:4 row_mask:0xf bank_mask:0xf
	v_mov_b32_dpp v36, v37 row_shr:4 row_mask:0xf bank_mask:0xf
	v_mov_b32_dpp v41, v38 row_shr:4 row_mask:0xf bank_mask:0xf
	v_cmp_lt_u32_e32 vcc, 3, v35
	;; [unrolled: 16-line block ×3, first 2 shown]
	s_and_saveexec_b64 s[30:31], vcc
; %bb.63:
	v_cmp_eq_u32_e32 vcc, 0, v39
	v_cndmask_b32_e32 v36, 0, v36, vcc
	v_add_u32_e32 v35, v40, v39
	v_cndmask_b32_e32 v39, 0, v41, vcc
	v_add_co_u32_e32 v37, vcc, v36, v37
	v_addc_co_u32_e32 v38, vcc, v39, v38, vcc
	v_mov_b32_e32 v39, v35
; %bb.64:
	s_or_b64 exec, exec, s[30:31]
	v_and_b32_e32 v41, 16, v44
	v_mov_b32_dpp v36, v39 row_bcast:15 row_mask:0xf bank_mask:0xf
	v_mov_b32_dpp v35, v37 row_bcast:15 row_mask:0xf bank_mask:0xf
	;; [unrolled: 1-line block ×3, first 2 shown]
	v_cmp_ne_u32_e32 vcc, 0, v41
	s_and_saveexec_b64 s[30:31], vcc
; %bb.65:
	v_cmp_eq_u32_e32 vcc, 0, v39
	v_cndmask_b32_e32 v35, 0, v35, vcc
	v_add_u32_e32 v36, v36, v39
	v_cndmask_b32_e32 v39, 0, v40, vcc
	v_add_co_u32_e32 v37, vcc, v35, v37
	v_addc_co_u32_e32 v38, vcc, v39, v38, vcc
	v_mov_b32_e32 v39, v36
; %bb.66:
	s_or_b64 exec, exec, s[30:31]
	s_nop 0
	v_mov_b32_dpp v36, v39 row_bcast:31 row_mask:0xf bank_mask:0xf
	v_mov_b32_dpp v35, v37 row_bcast:31 row_mask:0xf bank_mask:0xf
	;; [unrolled: 1-line block ×3, first 2 shown]
	v_cmp_lt_u32_e32 vcc, 31, v44
	s_and_saveexec_b64 s[30:31], vcc
; %bb.67:
	v_cmp_eq_u32_e32 vcc, 0, v39
	v_cndmask_b32_e32 v35, 0, v35, vcc
	v_add_u32_e32 v36, v36, v39
	v_cndmask_b32_e32 v39, 0, v40, vcc
	v_add_co_u32_e32 v37, vcc, v35, v37
	v_addc_co_u32_e32 v38, vcc, v39, v38, vcc
	v_mov_b32_e32 v39, v36
; %bb.68:
	s_or_b64 exec, exec, s[30:31]
	v_lshrrev_b32_e32 v35, 6, v0
	v_or_b32_e32 v36, 63, v0
	v_cmp_eq_u32_e32 vcc, v0, v36
	v_lshlrev_b32_e32 v40, 4, v35
	s_and_saveexec_b64 s[30:31], vcc
	s_cbranch_execz .LBB2056_70
; %bb.69:
	ds_write_b32 v40, v39 offset:1056
	ds_write_b64 v40, v[37:38] offset:1064
.LBB2056_70:
	s_or_b64 exec, exec, s[30:31]
	v_cmp_gt_u32_e32 vcc, 4, v0
	s_waitcnt lgkmcnt(0)
	s_barrier
	s_and_saveexec_b64 s[30:31], vcc
	s_cbranch_execz .LBB2056_76
; %bb.71:
	v_lshlrev_b32_e32 v41, 4, v0
	ds_read_b32 v42, v41 offset:1056
	ds_read_b64 v[35:36], v41 offset:1064
	v_and_b32_e32 v43, 3, v44
	v_cmp_ne_u32_e32 vcc, 0, v43
	s_waitcnt lgkmcnt(1)
	v_mov_b32_dpp v46, v42 row_shr:1 row_mask:0xf bank_mask:0xf
	s_waitcnt lgkmcnt(0)
	v_mov_b32_dpp v45, v35 row_shr:1 row_mask:0xf bank_mask:0xf
	v_mov_b32_dpp v47, v36 row_shr:1 row_mask:0xf bank_mask:0xf
	s_and_saveexec_b64 s[36:37], vcc
; %bb.72:
	v_cmp_eq_u32_e32 vcc, 0, v42
	v_cndmask_b32_e32 v45, 0, v45, vcc
	v_add_u32_e32 v46, v46, v42
	v_cndmask_b32_e32 v42, 0, v47, vcc
	v_add_co_u32_e32 v35, vcc, v45, v35
	v_addc_co_u32_e32 v36, vcc, v42, v36, vcc
	v_mov_b32_e32 v42, v46
; %bb.73:
	s_or_b64 exec, exec, s[36:37]
	s_nop 0
	v_mov_b32_dpp v46, v42 row_shr:2 row_mask:0xf bank_mask:0xf
	v_mov_b32_dpp v45, v35 row_shr:2 row_mask:0xf bank_mask:0xf
	;; [unrolled: 1-line block ×3, first 2 shown]
	v_cmp_lt_u32_e32 vcc, 1, v43
	s_and_saveexec_b64 s[36:37], vcc
; %bb.74:
	v_cmp_eq_u32_e32 vcc, 0, v42
	v_cndmask_b32_e32 v45, 0, v45, vcc
	v_add_u32_e32 v43, v46, v42
	v_cndmask_b32_e32 v42, 0, v47, vcc
	v_add_co_u32_e32 v35, vcc, v45, v35
	v_addc_co_u32_e32 v36, vcc, v42, v36, vcc
	v_mov_b32_e32 v42, v43
; %bb.75:
	s_or_b64 exec, exec, s[36:37]
	ds_write_b32 v41, v42 offset:1056
	ds_write_b64 v41, v[35:36] offset:1064
.LBB2056_76:
	s_or_b64 exec, exec, s[30:31]
	v_mov_b32_e32 v35, 0
	v_cmp_gt_u32_e32 vcc, 64, v0
	v_cmp_lt_u32_e64 s[30:31], 63, v0
	v_mov_b32_e32 v36, 0
	v_mov_b32_e32 v47, 0
	s_waitcnt lgkmcnt(0)
	s_barrier
	s_and_saveexec_b64 s[36:37], s[30:31]
	s_cbranch_execz .LBB2056_78
; %bb.77:
	ds_read_b32 v47, v40 offset:1040
	ds_read_b64 v[35:36], v40 offset:1048
	v_cmp_eq_u32_e64 s[30:31], 0, v39
	s_waitcnt lgkmcnt(1)
	v_add_u32_e32 v40, v47, v39
	s_waitcnt lgkmcnt(0)
	v_cndmask_b32_e64 v41, 0, v35, s[30:31]
	v_cndmask_b32_e64 v39, 0, v36, s[30:31]
	v_add_co_u32_e64 v37, s[30:31], v41, v37
	v_addc_co_u32_e64 v38, s[30:31], v39, v38, s[30:31]
	v_mov_b32_e32 v39, v40
.LBB2056_78:
	s_or_b64 exec, exec, s[36:37]
	v_subrev_co_u32_e64 v40, s[30:31], 1, v44
	v_and_b32_e32 v41, 64, v44
	v_cmp_lt_i32_e64 s[36:37], v40, v41
	v_cndmask_b32_e64 v40, v40, v44, s[36:37]
	v_lshlrev_b32_e32 v40, 2, v40
	ds_bpermute_b32 v48, v40, v39
	ds_bpermute_b32 v49, v40, v37
	;; [unrolled: 1-line block ×3, first 2 shown]
	s_and_saveexec_b64 s[52:53], vcc
	s_cbranch_execz .LBB2056_122
; %bb.79:
	v_mov_b32_e32 v41, 0
	ds_read_b32 v51, v41 offset:1104
	ds_read_b64 v[37:38], v41 offset:1112
	s_and_saveexec_b64 s[36:37], s[30:31]
	s_cbranch_execz .LBB2056_81
; %bb.80:
	s_add_i32 s62, s6, 64
	s_mov_b32 s63, 0
	s_lshl_b64 s[64:65], s[62:63], 4
	s_add_u32 s64, s40, s64
	s_addc_u32 s65, s41, s65
	v_mov_b32_e32 v39, 1
	v_mov_b32_e32 v40, s62
	s_waitcnt lgkmcnt(1)
	global_store_dword v41, v51, s[64:65]
	s_waitcnt lgkmcnt(0)
	global_store_dwordx2 v41, v[37:38], s[64:65] offset:8
	s_waitcnt vmcnt(0)
	buffer_wbinvl1_vol
	global_store_byte v40, v39, s[44:45]
.LBB2056_81:
	s_or_b64 exec, exec, s[36:37]
	v_xad_u32 v39, v44, -1, s6
	v_add_u32_e32 v40, 64, v39
	global_load_ubyte v52, v40, s[44:45] glc
	s_waitcnt vmcnt(0)
	v_cmp_eq_u16_e32 vcc, 0, v52
	s_and_saveexec_b64 s[36:37], vcc
	s_cbranch_execz .LBB2056_85
; %bb.82:
	v_mov_b32_e32 v43, s45
	v_add_co_u32_e32 v42, vcc, s44, v40
	v_addc_co_u32_e32 v43, vcc, 0, v43, vcc
	s_mov_b64 s[62:63], 0
.LBB2056_83:                            ; =>This Inner Loop Header: Depth=1
	global_load_ubyte v52, v[42:43], off glc
	s_waitcnt vmcnt(0)
	v_cmp_ne_u16_e32 vcc, 0, v52
	s_or_b64 s[62:63], vcc, s[62:63]
	s_andn2_b64 exec, exec, s[62:63]
	s_cbranch_execnz .LBB2056_83
; %bb.84:
	s_or_b64 exec, exec, s[62:63]
.LBB2056_85:
	s_or_b64 exec, exec, s[36:37]
	v_mov_b32_e32 v42, s43
	v_mov_b32_e32 v43, s41
	v_cmp_eq_u16_e32 vcc, 1, v52
	v_cndmask_b32_e32 v42, v42, v43, vcc
	v_mov_b32_e32 v43, s42
	v_mov_b32_e32 v45, s40
	v_lshlrev_b64 v[40:41], 4, v[40:41]
	v_cndmask_b32_e32 v43, v43, v45, vcc
	v_add_co_u32_e32 v40, vcc, v43, v40
	v_addc_co_u32_e32 v41, vcc, v42, v41, vcc
	s_waitcnt lgkmcnt(0)
	buffer_wbinvl1_vol
	global_load_dword v67, v[40:41], off
	global_load_dwordx2 v[45:46], v[40:41], off offset:8
	v_and_b32_e32 v53, 63, v44
	v_lshlrev_b64 v[41:42], v44, -1
	v_cmp_ne_u32_e64 s[36:37], 63, v53
	v_cmp_eq_u16_e32 vcc, 2, v52
	v_addc_co_u32_e64 v40, s[36:37], 0, v44, s[36:37]
	v_and_b32_e32 v43, vcc_hi, v42
	v_lshlrev_b32_e32 v54, 2, v40
	v_or_b32_e32 v40, 0x80000000, v43
	v_and_b32_e32 v57, vcc_lo, v41
	v_ffbl_b32_e32 v40, v40
	v_add_u32_e32 v40, 32, v40
	v_ffbl_b32_e32 v57, v57
	v_min_u32_e32 v40, v57, v40
	v_cmp_lt_u32_e32 vcc, v53, v40
	s_waitcnt vmcnt(1)
	ds_bpermute_b32 v55, v54, v67
	s_waitcnt vmcnt(0)
	ds_bpermute_b32 v43, v54, v45
	ds_bpermute_b32 v56, v54, v46
	s_and_saveexec_b64 s[36:37], vcc
	s_cbranch_execz .LBB2056_87
; %bb.86:
	v_cmp_eq_u32_e32 vcc, 0, v67
	s_waitcnt lgkmcnt(1)
	v_cndmask_b32_e32 v43, 0, v43, vcc
	v_add_u32_e32 v55, v55, v67
	s_waitcnt lgkmcnt(0)
	v_cndmask_b32_e32 v56, 0, v56, vcc
	v_add_co_u32_e32 v45, vcc, v43, v45
	v_addc_co_u32_e32 v46, vcc, v56, v46, vcc
	v_mov_b32_e32 v67, v55
.LBB2056_87:
	s_or_b64 exec, exec, s[36:37]
	v_cmp_gt_u32_e32 vcc, 62, v53
	s_waitcnt lgkmcnt(1)
	v_cndmask_b32_e64 v43, 0, 2, vcc
	v_add_lshl_u32 v55, v43, v44, 2
	ds_bpermute_b32 v57, v55, v67
	ds_bpermute_b32 v43, v55, v45
	ds_bpermute_b32 v58, v55, v46
	s_waitcnt lgkmcnt(3)
	v_add_u32_e32 v56, 2, v53
	v_cmp_le_u32_e32 vcc, v56, v40
	s_and_saveexec_b64 s[36:37], vcc
	s_cbranch_execz .LBB2056_89
; %bb.88:
	v_cmp_eq_u32_e32 vcc, 0, v67
	s_waitcnt lgkmcnt(1)
	v_cndmask_b32_e32 v43, 0, v43, vcc
	v_add_u32_e32 v57, v57, v67
	s_waitcnt lgkmcnt(0)
	v_cndmask_b32_e32 v58, 0, v58, vcc
	v_add_co_u32_e32 v45, vcc, v43, v45
	v_addc_co_u32_e32 v46, vcc, v58, v46, vcc
	v_mov_b32_e32 v67, v57
.LBB2056_89:
	s_or_b64 exec, exec, s[36:37]
	v_cmp_gt_u32_e32 vcc, 60, v53
	s_waitcnt lgkmcnt(1)
	v_cndmask_b32_e64 v43, 0, 4, vcc
	v_add_lshl_u32 v57, v43, v44, 2
	ds_bpermute_b32 v59, v57, v67
	ds_bpermute_b32 v43, v57, v45
	ds_bpermute_b32 v60, v57, v46
	s_waitcnt lgkmcnt(3)
	v_add_u32_e32 v58, 4, v53
	v_cmp_le_u32_e32 vcc, v58, v40
	;; [unrolled: 24-line block ×4, first 2 shown]
	s_and_saveexec_b64 s[36:37], vcc
	s_cbranch_execz .LBB2056_95
; %bb.94:
	v_cmp_eq_u32_e32 vcc, 0, v67
	s_waitcnt lgkmcnt(1)
	v_cndmask_b32_e32 v43, 0, v43, vcc
	v_add_u32_e32 v63, v63, v67
	s_waitcnt lgkmcnt(0)
	v_cndmask_b32_e32 v64, 0, v64, vcc
	v_add_co_u32_e32 v45, vcc, v43, v45
	v_addc_co_u32_e32 v46, vcc, v64, v46, vcc
	v_mov_b32_e32 v67, v63
.LBB2056_95:
	s_or_b64 exec, exec, s[36:37]
	s_waitcnt lgkmcnt(1)
	v_mov_b32_e32 v43, 0x80
	s_waitcnt lgkmcnt(0)
	v_lshl_or_b32 v64, v44, 2, v43
	ds_bpermute_b32 v44, v64, v67
	ds_bpermute_b32 v43, v64, v45
	;; [unrolled: 1-line block ×3, first 2 shown]
	v_add_u32_e32 v65, 32, v53
	v_cmp_le_u32_e32 vcc, v65, v40
	s_and_saveexec_b64 s[36:37], vcc
	s_cbranch_execz .LBB2056_97
; %bb.96:
	v_cmp_eq_u32_e32 vcc, 0, v67
	s_waitcnt lgkmcnt(1)
	v_cndmask_b32_e32 v43, 0, v43, vcc
	v_add_u32_e32 v40, v44, v67
	s_waitcnt lgkmcnt(0)
	v_cndmask_b32_e32 v44, 0, v63, vcc
	v_add_co_u32_e32 v45, vcc, v43, v45
	v_addc_co_u32_e32 v46, vcc, v44, v46, vcc
	v_mov_b32_e32 v67, v40
.LBB2056_97:
	s_or_b64 exec, exec, s[36:37]
	v_mov_b32_e32 v40, 0
	v_mov_b32_e32 v66, 2
	s_branch .LBB2056_100
.LBB2056_98:                            ;   in Loop: Header=BB2056_100 Depth=1
	s_or_b64 exec, exec, s[36:37]
	v_cmp_eq_u32_e32 vcc, 0, v63
	v_cndmask_b32_e32 v45, 0, v45, vcc
	v_cndmask_b32_e32 v46, 0, v46, vcc
	v_add_co_u32_e32 v45, vcc, v45, v43
	v_subrev_u32_e32 v39, 64, v39
	v_add_u32_e32 v67, v68, v63
	v_addc_co_u32_e32 v46, vcc, v46, v44, vcc
	s_mov_b64 s[36:37], 0
.LBB2056_99:                            ;   in Loop: Header=BB2056_100 Depth=1
	s_and_b64 vcc, exec, s[36:37]
	s_cbranch_vccnz .LBB2056_118
.LBB2056_100:                           ; =>This Loop Header: Depth=1
                                        ;     Child Loop BB2056_103 Depth 2
	s_waitcnt lgkmcnt(1)
	v_mov_b32_e32 v43, v45
	v_cmp_ne_u16_sdwa s[36:37], v52, v66 src0_sel:BYTE_0 src1_sel:DWORD
	v_mov_b32_e32 v44, v46
	s_waitcnt lgkmcnt(0)
	v_mov_b32_e32 v63, v67
	s_cmp_lg_u64 s[36:37], exec
	s_mov_b64 s[36:37], -1
                                        ; implicit-def: $vgpr45_vgpr46
                                        ; implicit-def: $vgpr67
                                        ; implicit-def: $vgpr52
	s_cbranch_scc1 .LBB2056_99
; %bb.101:                              ;   in Loop: Header=BB2056_100 Depth=1
	global_load_ubyte v52, v39, s[44:45] glc
	s_waitcnt vmcnt(0)
	v_cmp_eq_u16_e32 vcc, 0, v52
	s_and_saveexec_b64 s[36:37], vcc
	s_cbranch_execz .LBB2056_105
; %bb.102:                              ;   in Loop: Header=BB2056_100 Depth=1
	v_mov_b32_e32 v46, s45
	v_add_co_u32_e32 v45, vcc, s44, v39
	v_addc_co_u32_e32 v46, vcc, 0, v46, vcc
	s_mov_b64 s[62:63], 0
.LBB2056_103:                           ;   Parent Loop BB2056_100 Depth=1
                                        ; =>  This Inner Loop Header: Depth=2
	global_load_ubyte v52, v[45:46], off glc
	s_waitcnt vmcnt(0)
	v_cmp_ne_u16_e32 vcc, 0, v52
	s_or_b64 s[62:63], vcc, s[62:63]
	s_andn2_b64 exec, exec, s[62:63]
	s_cbranch_execnz .LBB2056_103
; %bb.104:                              ;   in Loop: Header=BB2056_100 Depth=1
	s_or_b64 exec, exec, s[62:63]
.LBB2056_105:                           ;   in Loop: Header=BB2056_100 Depth=1
	s_or_b64 exec, exec, s[36:37]
	v_mov_b32_e32 v45, s43
	v_mov_b32_e32 v46, s41
	v_cmp_eq_u16_e32 vcc, 1, v52
	v_cndmask_b32_e32 v67, v45, v46, vcc
	v_mov_b32_e32 v45, s42
	v_mov_b32_e32 v46, s40
	v_cndmask_b32_e32 v68, v45, v46, vcc
	v_lshlrev_b64 v[45:46], 4, v[39:40]
	buffer_wbinvl1_vol
	v_add_co_u32_e32 v45, vcc, v68, v45
	v_addc_co_u32_e32 v46, vcc, v67, v46, vcc
	global_load_dword v68, v[45:46], off
	s_nop 0
	global_load_dwordx2 v[45:46], v[45:46], off offset:8
	v_cmp_eq_u16_e32 vcc, 2, v52
	v_and_b32_e32 v67, vcc_hi, v42
	v_or_b32_e32 v67, 0x80000000, v67
	v_and_b32_e32 v99, vcc_lo, v41
	v_ffbl_b32_e32 v67, v67
	v_add_u32_e32 v67, 32, v67
	v_ffbl_b32_e32 v99, v99
	v_min_u32_e32 v67, v99, v67
	v_cmp_lt_u32_e32 vcc, v53, v67
	s_waitcnt vmcnt(1)
	ds_bpermute_b32 v72, v54, v68
	s_waitcnt vmcnt(0)
	ds_bpermute_b32 v71, v54, v45
	ds_bpermute_b32 v98, v54, v46
	s_and_saveexec_b64 s[36:37], vcc
	s_cbranch_execz .LBB2056_107
; %bb.106:                              ;   in Loop: Header=BB2056_100 Depth=1
	v_cmp_eq_u32_e32 vcc, 0, v68
	s_waitcnt lgkmcnt(1)
	v_cndmask_b32_e32 v71, 0, v71, vcc
	v_add_u32_e32 v72, v72, v68
	s_waitcnt lgkmcnt(0)
	v_cndmask_b32_e32 v68, 0, v98, vcc
	v_add_co_u32_e32 v45, vcc, v71, v45
	v_addc_co_u32_e32 v46, vcc, v68, v46, vcc
	v_mov_b32_e32 v68, v72
.LBB2056_107:                           ;   in Loop: Header=BB2056_100 Depth=1
	s_or_b64 exec, exec, s[36:37]
	s_waitcnt lgkmcnt(2)
	ds_bpermute_b32 v72, v55, v68
	s_waitcnt lgkmcnt(2)
	ds_bpermute_b32 v71, v55, v45
	s_waitcnt lgkmcnt(2)
	ds_bpermute_b32 v98, v55, v46
	v_cmp_le_u32_e32 vcc, v56, v67
	s_and_saveexec_b64 s[36:37], vcc
	s_cbranch_execz .LBB2056_109
; %bb.108:                              ;   in Loop: Header=BB2056_100 Depth=1
	v_cmp_eq_u32_e32 vcc, 0, v68
	s_waitcnt lgkmcnt(1)
	v_cndmask_b32_e32 v71, 0, v71, vcc
	v_add_u32_e32 v72, v72, v68
	s_waitcnt lgkmcnt(0)
	v_cndmask_b32_e32 v68, 0, v98, vcc
	v_add_co_u32_e32 v45, vcc, v71, v45
	v_addc_co_u32_e32 v46, vcc, v68, v46, vcc
	v_mov_b32_e32 v68, v72
.LBB2056_109:                           ;   in Loop: Header=BB2056_100 Depth=1
	s_or_b64 exec, exec, s[36:37]
	s_waitcnt lgkmcnt(2)
	ds_bpermute_b32 v72, v57, v68
	s_waitcnt lgkmcnt(2)
	ds_bpermute_b32 v71, v57, v45
	s_waitcnt lgkmcnt(2)
	ds_bpermute_b32 v98, v57, v46
	v_cmp_le_u32_e32 vcc, v58, v67
	;; [unrolled: 21-line block ×5, first 2 shown]
	s_and_saveexec_b64 s[36:37], vcc
	s_cbranch_execz .LBB2056_98
; %bb.116:                              ;   in Loop: Header=BB2056_100 Depth=1
	v_cmp_eq_u32_e32 vcc, 0, v68
	s_waitcnt lgkmcnt(1)
	v_cndmask_b32_e32 v71, 0, v71, vcc
	v_add_u32_e32 v67, v72, v68
	s_waitcnt lgkmcnt(0)
	v_cndmask_b32_e32 v68, 0, v98, vcc
	v_add_co_u32_e32 v45, vcc, v71, v45
	v_addc_co_u32_e32 v46, vcc, v68, v46, vcc
	v_mov_b32_e32 v68, v67
	s_branch .LBB2056_98
.LBB2056_117:
                                        ; implicit-def: $vgpr35
                                        ; implicit-def: $vgpr37_vgpr38
                                        ; implicit-def: $vgpr39
                                        ; implicit-def: $vgpr65_vgpr66
                                        ; implicit-def: $vgpr41_vgpr42
                                        ; implicit-def: $vgpr43_vgpr44
                                        ; implicit-def: $vgpr45_vgpr46
                                        ; implicit-def: $vgpr47_vgpr48
                                        ; implicit-def: $vgpr49_vgpr50
                                        ; implicit-def: $vgpr51_vgpr52
                                        ; implicit-def: $vgpr53_vgpr54
                                        ; implicit-def: $vgpr55_vgpr56
                                        ; implicit-def: $vgpr57_vgpr58
                                        ; implicit-def: $vgpr59_vgpr60
                                        ; implicit-def: $vgpr61_vgpr62
                                        ; implicit-def: $vgpr63_vgpr64
                                        ; implicit-def: $vgpr67_vgpr68
                                        ; implicit-def: $vgpr71_vgpr72
                                        ; implicit-def: $vgpr36
	s_cbranch_execnz .LBB2056_123
	s_branch .LBB2056_150
.LBB2056_118:
	s_and_saveexec_b64 s[36:37], s[30:31]
	s_cbranch_execz .LBB2056_120
; %bb.119:
	s_mov_b32 s7, 0
	v_cmp_eq_u32_e32 vcc, 0, v51
	s_add_i32 s6, s6, 64
	v_cndmask_b32_e32 v39, 0, v43, vcc
	s_lshl_b64 s[40:41], s[6:7], 4
	v_cndmask_b32_e32 v40, 0, v44, vcc
	v_add_co_u32_e32 v39, vcc, v39, v37
	s_add_u32 s40, s42, s40
	v_add_u32_e32 v41, v63, v51
	v_addc_co_u32_e32 v40, vcc, v40, v38, vcc
	s_addc_u32 s41, s43, s41
	v_mov_b32_e32 v42, 0
	global_store_dword v42, v41, s[40:41]
	global_store_dwordx2 v42, v[39:40], s[40:41] offset:8
	v_mov_b32_e32 v39, 2
	v_mov_b32_e32 v40, s6
	s_waitcnt vmcnt(0) lgkmcnt(0)
	buffer_wbinvl1_vol
	global_store_byte v40, v39, s[44:45]
	ds_write_b32 v42, v51 offset:1024
	ds_write_b64 v42, v[37:38] offset:1032
	ds_write_b32 v42, v63 offset:1040
	ds_write_b64 v42, v[43:44] offset:1048
.LBB2056_120:
	s_or_b64 exec, exec, s[36:37]
	v_cmp_eq_u32_e32 vcc, 0, v0
	s_and_b64 exec, exec, vcc
	s_cbranch_execz .LBB2056_122
; %bb.121:
	v_mov_b32_e32 v37, 0
	ds_write_b32 v37, v63 offset:1104
	ds_write_b64 v37, v[43:44] offset:1112
.LBB2056_122:
	s_or_b64 exec, exec, s[52:53]
	v_mov_b32_e32 v40, 0
	s_waitcnt vmcnt(0) lgkmcnt(0)
	s_barrier
	ds_read_b32 v39, v40 offset:1104
	ds_read_b64 v[37:38], v40 offset:1112
	v_cndmask_b32_e64 v41, v48, v47, s[30:31]
	v_cmp_eq_u32_e32 vcc, 0, v41
	v_cndmask_b32_e64 v35, v49, v35, s[30:31]
	v_cndmask_b32_e64 v36, v50, v36, s[30:31]
	s_waitcnt lgkmcnt(0)
	v_cndmask_b32_e32 v43, 0, v37, vcc
	v_cndmask_b32_e32 v42, 0, v38, vcc
	v_add_co_u32_e32 v35, vcc, v43, v35
	v_addc_co_u32_e32 v42, vcc, v42, v36, vcc
	v_cmp_eq_u32_e32 vcc, 0, v0
	v_cndmask_b32_e64 v36, v41, 0, vcc
	v_cndmask_b32_e32 v66, v42, v38, vcc
	v_cndmask_b32_e32 v65, v35, v37, vcc
	v_cmp_eq_u32_e32 vcc, 0, v81
	v_cndmask_b32_e32 v37, 0, v65, vcc
	v_cndmask_b32_e32 v35, 0, v66, vcc
	v_add_co_u32_e32 v41, vcc, v37, v29
	v_addc_co_u32_e32 v42, vcc, v35, v30, vcc
	v_cndmask_b32_e64 v37, 0, v41, s[28:29]
	v_cndmask_b32_e64 v35, 0, v42, s[28:29]
	v_add_co_u32_e32 v43, vcc, v37, v31
	v_addc_co_u32_e32 v44, vcc, v35, v32, vcc
	v_cndmask_b32_e64 v37, 0, v43, s[26:27]
	v_cndmask_b32_e64 v35, 0, v44, s[26:27]
	;; [unrolled: 4-line block ×11, first 2 shown]
	v_add_co_u32_e32 v63, vcc, v37, v11
	v_add_u32_e32 v36, v39, v36
	v_addc_co_u32_e32 v64, vcc, v35, v12, vcc
	s_barrier
	ds_read_b32 v35, v40 offset:1024
	ds_read_b64 v[37:38], v40 offset:1032
	ds_read_b32 v39, v40 offset:1040
	ds_read_b64 v[98:99], v40 offset:1048
	v_cndmask_b32_e64 v67, 0, v63, s[34:35]
	v_cndmask_b32_e64 v68, 0, v64, s[34:35]
	v_add_co_u32_e32 v67, vcc, v67, v1
	v_addc_co_u32_e32 v68, vcc, v68, v2, vcc
	s_waitcnt lgkmcnt(3)
	v_cmp_eq_u32_e32 vcc, 0, v35
	s_waitcnt lgkmcnt(0)
	v_cndmask_b32_e32 v98, 0, v98, vcc
	v_cndmask_b32_e32 v40, 0, v99, vcc
	v_add_co_u32_e32 v37, vcc, v98, v37
	v_cndmask_b32_e64 v72, 0, v68, s[4:5]
	v_cndmask_b32_e64 v71, 0, v67, s[4:5]
	v_addc_co_u32_e32 v38, vcc, v40, v38, vcc
	s_branch .LBB2056_150
.LBB2056_123:
	s_cmp_eq_u64 s[60:61], 0
	s_cselect_b64 s[4:5], -1, 0
	s_or_b64 s[4:5], s[46:47], s[4:5]
	v_mov_b32_e32 v40, v30
	s_and_b64 vcc, exec, s[4:5]
	v_mov_b32_e32 v39, v29
	s_cbranch_vccnz .LBB2056_125
; %bb.124:
	v_mov_b32_e32 v35, 0
	global_load_dwordx2 v[39:40], v35, s[60:61]
.LBB2056_125:
	v_cmp_eq_u32_e64 s[26:27], 0, v94
	v_cndmask_b32_e64 v36, 0, v29, s[26:27]
	v_cndmask_b32_e64 v35, 0, v30, s[26:27]
	v_add_co_u32_e32 v36, vcc, v36, v31
	v_cmp_eq_u32_e64 s[24:25], 0, v93
	v_addc_co_u32_e32 v35, vcc, v35, v32, vcc
	v_cndmask_b32_e64 v36, 0, v36, s[24:25]
	v_cndmask_b32_e64 v35, 0, v35, s[24:25]
	v_add_co_u32_e32 v36, vcc, v36, v25
	v_cmp_eq_u32_e64 s[22:23], 0, v92
	v_addc_co_u32_e32 v35, vcc, v35, v26, vcc
	;; [unrolled: 5-line block ×11, first 2 shown]
	v_cndmask_b32_e64 v36, 0, v36, s[6:7]
	v_cndmask_b32_e64 v35, 0, v35, s[6:7]
	v_add_co_u32_e32 v36, vcc, v36, v1
	v_addc_co_u32_e32 v35, vcc, v35, v2, vcc
	v_cmp_eq_u32_e32 vcc, 0, v91
	v_add3_u32 v37, v97, v83, v84
	v_cndmask_b32_e32 v36, 0, v36, vcc
	v_add3_u32 v37, v37, v85, v86
	v_cndmask_b32_e32 v35, 0, v35, vcc
	v_add_co_u32_e64 v36, s[28:29], v36, v3
	v_add3_u32 v37, v37, v87, v88
	v_addc_co_u32_e64 v35, s[28:29], v35, v4, s[28:29]
	v_add3_u32 v37, v37, v89, v90
	v_cmp_eq_u32_e64 s[28:29], 0, v95
	v_add3_u32 v42, v37, v91, v95
	v_cndmask_b32_e64 v37, 0, v35, s[28:29]
	v_cndmask_b32_e64 v35, 0, v36, s[28:29]
	v_add_co_u32_e64 v35, s[28:29], v35, v69
	v_mbcnt_hi_u32_b32 v41, -1, v96
	v_addc_co_u32_e64 v36, s[28:29], v37, v70, s[28:29]
	v_and_b32_e32 v37, 15, v41
	v_mov_b32_dpp v43, v42 row_shr:1 row_mask:0xf bank_mask:0xf
	v_mov_b32_dpp v38, v35 row_shr:1 row_mask:0xf bank_mask:0xf
	;; [unrolled: 1-line block ×3, first 2 shown]
	v_cmp_ne_u32_e64 s[28:29], 0, v37
	s_and_saveexec_b64 s[30:31], s[28:29]
; %bb.126:
	v_cmp_eq_u32_e64 s[28:29], 0, v42
	v_cndmask_b32_e64 v38, 0, v38, s[28:29]
	v_add_u32_e32 v43, v43, v42
	v_cndmask_b32_e64 v42, 0, v44, s[28:29]
	v_add_co_u32_e64 v35, s[28:29], v38, v35
	v_addc_co_u32_e64 v36, s[28:29], v42, v36, s[28:29]
	v_mov_b32_e32 v42, v43
; %bb.127:
	s_or_b64 exec, exec, s[30:31]
	s_nop 0
	v_mov_b32_dpp v43, v42 row_shr:2 row_mask:0xf bank_mask:0xf
	v_mov_b32_dpp v38, v35 row_shr:2 row_mask:0xf bank_mask:0xf
	v_mov_b32_dpp v44, v36 row_shr:2 row_mask:0xf bank_mask:0xf
	v_cmp_lt_u32_e64 s[28:29], 1, v37
	s_and_saveexec_b64 s[30:31], s[28:29]
; %bb.128:
	v_cmp_eq_u32_e64 s[28:29], 0, v42
	v_cndmask_b32_e64 v38, 0, v38, s[28:29]
	v_add_u32_e32 v43, v43, v42
	v_cndmask_b32_e64 v42, 0, v44, s[28:29]
	v_add_co_u32_e64 v35, s[28:29], v38, v35
	v_addc_co_u32_e64 v36, s[28:29], v42, v36, s[28:29]
	v_mov_b32_e32 v42, v43
; %bb.129:
	s_or_b64 exec, exec, s[30:31]
	s_nop 0
	v_mov_b32_dpp v43, v42 row_shr:4 row_mask:0xf bank_mask:0xf
	v_mov_b32_dpp v38, v35 row_shr:4 row_mask:0xf bank_mask:0xf
	v_mov_b32_dpp v44, v36 row_shr:4 row_mask:0xf bank_mask:0xf
	v_cmp_lt_u32_e64 s[28:29], 3, v37
	;; [unrolled: 16-line block ×3, first 2 shown]
	s_and_saveexec_b64 s[30:31], s[28:29]
; %bb.132:
	v_cmp_eq_u32_e64 s[28:29], 0, v42
	v_cndmask_b32_e64 v38, 0, v38, s[28:29]
	v_add_u32_e32 v37, v43, v42
	v_cndmask_b32_e64 v42, 0, v44, s[28:29]
	v_add_co_u32_e64 v35, s[28:29], v38, v35
	v_addc_co_u32_e64 v36, s[28:29], v42, v36, s[28:29]
	v_mov_b32_e32 v42, v37
; %bb.133:
	s_or_b64 exec, exec, s[30:31]
	v_and_b32_e32 v44, 16, v41
	v_mov_b32_dpp v38, v42 row_bcast:15 row_mask:0xf bank_mask:0xf
	v_mov_b32_dpp v37, v35 row_bcast:15 row_mask:0xf bank_mask:0xf
	;; [unrolled: 1-line block ×3, first 2 shown]
	v_cmp_ne_u32_e64 s[28:29], 0, v44
	s_and_saveexec_b64 s[30:31], s[28:29]
; %bb.134:
	v_cmp_eq_u32_e64 s[28:29], 0, v42
	v_cndmask_b32_e64 v37, 0, v37, s[28:29]
	v_add_u32_e32 v38, v38, v42
	v_cndmask_b32_e64 v42, 0, v43, s[28:29]
	v_add_co_u32_e64 v35, s[28:29], v37, v35
	v_addc_co_u32_e64 v36, s[28:29], v42, v36, s[28:29]
	v_mov_b32_e32 v42, v38
; %bb.135:
	s_or_b64 exec, exec, s[30:31]
	s_nop 0
	v_mov_b32_dpp v38, v42 row_bcast:31 row_mask:0xf bank_mask:0xf
	v_mov_b32_dpp v37, v35 row_bcast:31 row_mask:0xf bank_mask:0xf
	;; [unrolled: 1-line block ×3, first 2 shown]
	v_cmp_lt_u32_e64 s[28:29], 31, v41
	s_and_saveexec_b64 s[30:31], s[28:29]
; %bb.136:
	v_cmp_eq_u32_e64 s[28:29], 0, v42
	v_cndmask_b32_e64 v37, 0, v37, s[28:29]
	v_add_u32_e32 v38, v38, v42
	v_cndmask_b32_e64 v42, 0, v43, s[28:29]
	v_add_co_u32_e64 v35, s[28:29], v37, v35
	v_addc_co_u32_e64 v36, s[28:29], v42, v36, s[28:29]
	v_mov_b32_e32 v42, v38
; %bb.137:
	s_or_b64 exec, exec, s[30:31]
	v_lshrrev_b32_e32 v37, 6, v0
	v_or_b32_e32 v38, 63, v0
	v_cmp_eq_u32_e64 s[28:29], v0, v38
	v_lshlrev_b32_e32 v43, 4, v37
	s_and_saveexec_b64 s[30:31], s[28:29]
	s_cbranch_execz .LBB2056_139
; %bb.138:
	ds_write_b32 v43, v42 offset:1056
	ds_write_b64 v43, v[35:36] offset:1064
.LBB2056_139:
	s_or_b64 exec, exec, s[30:31]
	v_cmp_gt_u32_e64 s[28:29], 4, v0
	s_waitcnt vmcnt(0) lgkmcnt(0)
	s_barrier
	s_and_saveexec_b64 s[30:31], s[28:29]
	s_cbranch_execz .LBB2056_145
; %bb.140:
	v_lshlrev_b32_e32 v44, 4, v0
	ds_read_b32 v45, v44 offset:1056
	ds_read_b64 v[37:38], v44 offset:1064
	v_and_b32_e32 v46, 3, v41
	v_cmp_ne_u32_e64 s[28:29], 0, v46
	s_waitcnt lgkmcnt(1)
	v_mov_b32_dpp v48, v45 row_shr:1 row_mask:0xf bank_mask:0xf
	s_waitcnt lgkmcnt(0)
	v_mov_b32_dpp v47, v37 row_shr:1 row_mask:0xf bank_mask:0xf
	v_mov_b32_dpp v49, v38 row_shr:1 row_mask:0xf bank_mask:0xf
	s_and_saveexec_b64 s[34:35], s[28:29]
; %bb.141:
	v_cmp_eq_u32_e64 s[28:29], 0, v45
	v_cndmask_b32_e64 v47, 0, v47, s[28:29]
	v_add_u32_e32 v48, v48, v45
	v_cndmask_b32_e64 v45, 0, v49, s[28:29]
	v_add_co_u32_e64 v37, s[28:29], v47, v37
	v_addc_co_u32_e64 v38, s[28:29], v45, v38, s[28:29]
	v_mov_b32_e32 v45, v48
; %bb.142:
	s_or_b64 exec, exec, s[34:35]
	s_nop 0
	v_mov_b32_dpp v48, v45 row_shr:2 row_mask:0xf bank_mask:0xf
	v_mov_b32_dpp v47, v37 row_shr:2 row_mask:0xf bank_mask:0xf
	;; [unrolled: 1-line block ×3, first 2 shown]
	v_cmp_lt_u32_e64 s[28:29], 1, v46
	s_and_saveexec_b64 s[34:35], s[28:29]
; %bb.143:
	v_cmp_eq_u32_e64 s[28:29], 0, v45
	v_cndmask_b32_e64 v47, 0, v47, s[28:29]
	v_add_u32_e32 v46, v48, v45
	v_cndmask_b32_e64 v45, 0, v49, s[28:29]
	v_add_co_u32_e64 v37, s[28:29], v47, v37
	v_addc_co_u32_e64 v38, s[28:29], v45, v38, s[28:29]
	v_mov_b32_e32 v45, v46
; %bb.144:
	s_or_b64 exec, exec, s[34:35]
	ds_write_b32 v44, v45 offset:1056
	ds_write_b64 v44, v[37:38] offset:1064
.LBB2056_145:
	s_or_b64 exec, exec, s[30:31]
	v_mov_b32_e32 v37, v39
	v_cmp_lt_u32_e64 s[28:29], 63, v0
	v_mov_b32_e32 v69, 0
	v_mov_b32_e32 v44, 0
	;; [unrolled: 1-line block ×3, first 2 shown]
	s_waitcnt lgkmcnt(0)
	s_barrier
	s_and_saveexec_b64 s[30:31], s[28:29]
	s_cbranch_execz .LBB2056_147
; %bb.146:
	ds_read_b32 v44, v43 offset:1040
	ds_read_b64 v[37:38], v43 offset:1048
	s_waitcnt lgkmcnt(1)
	v_cmp_eq_u32_e64 s[28:29], 0, v44
	v_cndmask_b32_e64 v45, 0, v39, s[28:29]
	v_cndmask_b32_e64 v43, 0, v40, s[28:29]
	s_waitcnt lgkmcnt(0)
	v_add_co_u32_e64 v37, s[28:29], v45, v37
	v_addc_co_u32_e64 v38, s[28:29], v43, v38, s[28:29]
.LBB2056_147:
	s_or_b64 exec, exec, s[30:31]
	v_cmp_eq_u32_e64 s[28:29], 0, v42
	v_cndmask_b32_e64 v45, 0, v37, s[28:29]
	v_add_u32_e32 v43, v44, v42
	v_cndmask_b32_e64 v42, 0, v38, s[28:29]
	v_add_co_u32_e64 v35, s[28:29], v45, v35
	v_addc_co_u32_e64 v36, s[28:29], v42, v36, s[28:29]
	v_subrev_co_u32_e64 v42, s[28:29], 1, v41
	v_and_b32_e32 v45, 64, v41
	v_cmp_lt_i32_e64 s[30:31], v42, v45
	v_cndmask_b32_e64 v41, v42, v41, s[30:31]
	v_lshlrev_b32_e32 v41, 2, v41
	ds_bpermute_b32 v42, v41, v43
	ds_bpermute_b32 v43, v41, v36
	;; [unrolled: 1-line block ×3, first 2 shown]
	v_cmp_eq_u32_e64 s[30:31], 0, v81
	s_waitcnt lgkmcnt(2)
	v_cndmask_b32_e64 v36, v42, v44, s[28:29]
	s_waitcnt lgkmcnt(1)
	v_cndmask_b32_e64 v66, v43, v38, s[28:29]
	;; [unrolled: 2-line block ×3, first 2 shown]
	v_cmp_eq_u32_e64 s[28:29], 0, v0
	v_cndmask_b32_e64 v35, v65, v39, s[28:29]
	v_cndmask_b32_e64 v37, v66, v40, s[28:29]
	;; [unrolled: 1-line block ×4, first 2 shown]
	v_add_co_u32_e64 v41, s[30:31], v35, v29
	v_addc_co_u32_e64 v42, s[30:31], v37, v30, s[30:31]
	v_cndmask_b32_e64 v30, 0, v41, s[26:27]
	v_cndmask_b32_e64 v29, 0, v42, s[26:27]
	v_add_co_u32_e64 v43, s[26:27], v30, v31
	v_addc_co_u32_e64 v44, s[26:27], v29, v32, s[26:27]
	v_cndmask_b32_e64 v30, 0, v43, s[24:25]
	v_cndmask_b32_e64 v29, 0, v44, s[24:25]
	;; [unrolled: 4-line block ×11, first 2 shown]
	v_add_co_u32_e64 v63, s[4:5], v10, v11
	v_addc_co_u32_e64 v64, s[4:5], v9, v12, s[4:5]
	v_cndmask_b32_e64 v10, 0, v63, s[6:7]
	ds_read_b32 v35, v69 offset:1104
	v_cndmask_b32_e64 v9, 0, v64, s[6:7]
	v_add_co_u32_e64 v67, s[4:5], v10, v1
	v_addc_co_u32_e64 v68, s[4:5], v9, v2, s[4:5]
	ds_read_b64 v[1:2], v69 offset:1112
	v_cndmask_b32_e32 v72, 0, v68, vcc
	v_cndmask_b32_e32 v71, 0, v67, vcc
	s_waitcnt lgkmcnt(1)
	v_cmp_eq_u32_e32 vcc, 0, v35
	v_cndmask_b32_e32 v10, 0, v39, vcc
	v_cndmask_b32_e32 v9, 0, v40, vcc
	s_waitcnt lgkmcnt(0)
	v_add_co_u32_e32 v37, vcc, v10, v1
	v_addc_co_u32_e32 v38, vcc, v9, v2, vcc
	s_and_saveexec_b64 s[4:5], s[28:29]
	s_cbranch_execz .LBB2056_149
; %bb.148:
	v_mov_b32_e32 v66, v40
	v_mov_b32_e32 v36, 0
	;; [unrolled: 1-line block ×4, first 2 shown]
	global_store_dword v36, v35, s[42:43] offset:1024
	global_store_dwordx2 v36, v[37:38], s[42:43] offset:1032
	s_waitcnt vmcnt(0)
	buffer_wbinvl1_vol
	global_store_byte v36, v1, s[44:45] offset:64
.LBB2056_149:
	s_or_b64 exec, exec, s[4:5]
	v_mov_b32_e32 v39, 0
.LBB2056_150:
	s_cmp_eq_u64 s[54:55], 0
	s_cselect_b64 s[4:5], -1, 0
	s_or_b64 s[4:5], s[46:47], s[4:5]
	v_mov_b32_e32 v9, 0
	s_and_b64 vcc, exec, s[4:5]
	v_mov_b32_e32 v10, 0
	s_waitcnt vmcnt(0)
	s_barrier
	s_cbranch_vccnz .LBB2056_152
; %bb.151:
	v_mov_b32_e32 v1, 0
	global_load_dwordx2 v[9:10], v1, s[54:55]
.LBB2056_152:
	buffer_load_dword v27, off, s[0:3], 0
	buffer_load_dword v28, off, s[0:3], 0 offset:4
	buffer_load_dword v29, off, s[0:3], 0 offset:8
	;; [unrolled: 1-line block ×13, first 2 shown]
	v_add_u32_e32 v24, v36, v81
	buffer_load_dword v81, off, s[0:3], 0 offset:56
	s_waitcnt vmcnt(15)
	v_lshlrev_b64 v[1:2], 1, v[9:10]
	v_mov_b32_e32 v40, 0
	v_mov_b32_e32 v13, s57
	v_lshlrev_b64 v[11:12], 1, v[39:40]
	v_add_co_u32_e32 v1, vcc, s56, v1
	v_addc_co_u32_e32 v2, vcc, v13, v2, vcc
	v_add_co_u32_e32 v25, vcc, v1, v11
	v_addc_co_u32_e32 v26, vcc, v2, v12, vcc
	v_add_u32_e32 v23, v24, v94
	v_add_u32_e32 v22, v23, v93
	;; [unrolled: 1-line block ×11, first 2 shown]
	s_movk_i32 s36, 0x100
	v_add_u32_e32 v12, v13, v90
	v_add_u32_e32 v11, v12, v91
	s_mov_b64 s[40:41], -1
	s_waitcnt vmcnt(14)
	v_cmp_eq_u32_e32 vcc, 0, v27
	v_cndmask_b32_e64 v1, 1, 2, vcc
	s_waitcnt vmcnt(13)
	v_cmp_eq_u32_e32 vcc, 0, v28
	v_cndmask_b32_e64 v2, 1, 2, vcc
	s_waitcnt vmcnt(12)
	v_cmp_eq_u32_e32 vcc, 0, v29
	v_cmp_ne_u32_e64 s[34:35], 0, v27
	v_cndmask_b32_e64 v27, 1, 2, vcc
	s_waitcnt vmcnt(11)
	v_cmp_eq_u32_e32 vcc, 0, v30
	v_and_b32_e32 v1, v2, v1
	v_cmp_ne_u32_e64 s[30:31], 0, v28
	v_cndmask_b32_e64 v28, 1, 2, vcc
	s_waitcnt vmcnt(10)
	v_cmp_eq_u32_e32 vcc, 0, v31
	v_and_b32_e32 v1, v1, v27
	;; [unrolled: 5-line block ×8, first 2 shown]
	v_cndmask_b32_e64 v82, 1, 2, vcc
	s_waitcnt vmcnt(3)
	v_cmp_eq_u32_e32 vcc, 0, v98
	v_and_b32_e32 v1, v1, v70
	v_cndmask_b32_e64 v83, 1, 2, vcc
	s_waitcnt vmcnt(2)
	v_cmp_eq_u32_e32 vcc, 0, v99
	v_and_b32_e32 v1, v1, v82
	v_cndmask_b32_e64 v84, 1, 2, vcc
	v_and_b32_e32 v1, v1, v83
	s_waitcnt vmcnt(1)
	v_cmp_eq_u32_e32 vcc, 0, v100
	v_and_b32_e32 v1, v1, v84
	v_cndmask_b32_e64 v2, 1, 2, vcc
	s_waitcnt vmcnt(0)
	v_cmp_eq_u32_e32 vcc, 0, v81
	v_and_b32_e32 v1, v1, v2
	v_cndmask_b32_e64 v2, 1, 2, vcc
	v_and_b32_e32 v1, v1, v2
	v_cmp_gt_u32_e32 vcc, s36, v35
	v_cmp_ne_u32_e64 s[16:17], 0, v95
	v_cmp_ne_u32_e64 s[14:15], 0, v96
	;; [unrolled: 1-line block ×7, first 2 shown]
	v_cmp_gt_i16_e64 s[36:37], 2, v1
	s_cbranch_vccz .LBB2056_159
; %bb.153:
	s_and_saveexec_b64 s[40:41], s[36:37]
	s_cbranch_execz .LBB2056_158
; %bb.154:
	v_cmp_ne_u16_e32 vcc, 1, v1
	s_mov_b64 s[42:43], 0
	s_and_saveexec_b64 s[36:37], vcc
	s_xor_b64 s[36:37], exec, s[36:37]
	s_cbranch_execnz .LBB2056_206
; %bb.155:
	s_andn2_saveexec_b64 s[36:37], s[36:37]
	s_cbranch_execnz .LBB2056_222
.LBB2056_156:
	s_or_b64 exec, exec, s[36:37]
	s_and_b64 exec, exec, s[42:43]
	s_cbranch_execz .LBB2056_158
.LBB2056_157:
	v_sub_u32_e32 v27, v11, v39
	v_mov_b32_e32 v28, 0
	v_lshlrev_b64 v[27:28], 1, v[27:28]
	v_add_co_u32_e32 v27, vcc, v25, v27
	v_addc_co_u32_e32 v28, vcc, v26, v28, vcc
	global_store_short v[27:28], v73, off
.LBB2056_158:
	s_or_b64 exec, exec, s[40:41]
	s_mov_b64 s[40:41], 0
.LBB2056_159:
	s_and_b64 vcc, exec, s[40:41]
	s_cbranch_vccz .LBB2056_181
; %bb.160:
	v_cmp_gt_i16_e32 vcc, 2, v1
	s_and_saveexec_b64 s[36:37], vcc
	s_cbranch_execz .LBB2056_165
; %bb.161:
	v_cmp_ne_u16_e32 vcc, 1, v1
	s_mov_b64 s[42:43], 0
	s_and_saveexec_b64 s[40:41], vcc
	s_xor_b64 s[40:41], exec, s[40:41]
	s_cbranch_execnz .LBB2056_223
; %bb.162:
	s_andn2_saveexec_b64 s[4:5], s[40:41]
	s_cbranch_execnz .LBB2056_239
.LBB2056_163:
	s_or_b64 exec, exec, s[4:5]
	s_and_b64 exec, exec, s[42:43]
.LBB2056_164:
	v_sub_u32_e32 v1, v11, v39
	v_lshlrev_b32_e32 v1, 1, v1
	ds_write_b16 v1, v73
.LBB2056_165:
	s_or_b64 exec, exec, s[36:37]
	v_cmp_lt_u32_e32 vcc, v0, v35
	s_waitcnt vmcnt(0) lgkmcnt(0)
	s_barrier
	s_and_saveexec_b64 s[6:7], vcc
	s_cbranch_execz .LBB2056_180
; %bb.166:
	v_xad_u32 v2, v0, -1, v35
	s_movk_i32 s4, 0x1900
	s_movk_i32 s8, 0x18ff
	v_cmp_gt_u32_e64 s[4:5], s4, v2
	v_cmp_lt_u32_e32 vcc, s8, v2
	v_mov_b32_e32 v1, v0
	s_and_saveexec_b64 s[8:9], vcc
	s_cbranch_execz .LBB2056_177
; %bb.167:
	v_sub_u32_e32 v1, v0, v35
	v_or_b32_e32 v1, 0xff, v1
	v_cmp_ge_u32_e32 vcc, v1, v0
	s_mov_b64 s[12:13], -1
	v_mov_b32_e32 v1, v0
	s_and_saveexec_b64 s[10:11], vcc
	s_cbranch_execz .LBB2056_176
; %bb.168:
	v_lshrrev_b32_e32 v7, 8, v2
	v_add_u32_e32 v2, -1, v7
	v_or_b32_e32 v1, 0x100, v0
	v_lshrrev_b32_e32 v5, 1, v2
	v_add_u32_e32 v27, 1, v5
	v_mov_b32_e32 v6, v1
	s_mov_b32 s16, 0
	v_cmp_lt_u32_e32 vcc, 13, v2
	v_mov_b32_e32 v30, 0
	v_lshlrev_b32_e32 v8, 1, v0
	v_mov_b32_e32 v5, v0
	s_and_saveexec_b64 s[12:13], vcc
	s_cbranch_execz .LBB2056_172
; %bb.169:
	v_mov_b32_e32 v6, v1
	v_and_b32_e32 v28, -8, v27
	s_mov_b64 s[14:15], 0
	v_mov_b32_e32 v2, 0
	v_mov_b32_e32 v29, v8
	;; [unrolled: 1-line block ×3, first 2 shown]
.LBB2056_170:                           ; =>This Inner Loop Header: Depth=1
	v_mov_b32_e32 v1, v5
	v_add_u32_e32 v28, -8, v28
	v_lshlrev_b64 v[81:82], 1, v[1:2]
	v_add_u32_e32 v30, 0x200, v6
	v_mov_b32_e32 v31, v2
	s_add_i32 s16, s16, 16
	v_cmp_eq_u32_e32 vcc, 0, v28
	v_lshlrev_b64 v[83:84], 1, v[30:31]
	s_or_b64 s[14:15], vcc, s[14:15]
	v_add_co_u32_e32 v81, vcc, v25, v81
	v_add_u32_e32 v32, 0x400, v6
	v_mov_b32_e32 v33, v2
	v_addc_co_u32_e32 v82, vcc, v26, v82, vcc
	v_lshlrev_b64 v[31:32], 1, v[32:33]
	v_add_co_u32_e32 v83, vcc, v25, v83
	v_add_u32_e32 v69, 0x600, v6
	v_mov_b32_e32 v70, v2
	v_addc_co_u32_e32 v84, vcc, v26, v84, vcc
	v_lshlrev_b64 v[33:34], 1, v[69:70]
	;; [unrolled: 5-line block ×6, first 2 shown]
	v_add_co_u32_e32 v75, vcc, v25, v75
	v_mov_b32_e32 v1, v6
	v_addc_co_u32_e32 v76, vcc, v26, v76, vcc
	v_lshlrev_b64 v[79:80], 1, v[1:2]
	v_add_co_u32_e32 v77, vcc, v25, v77
	v_add_u32_e32 v1, 0x200, v5
	v_addc_co_u32_e32 v78, vcc, v26, v78, vcc
	v_lshlrev_b64 v[85:86], 1, v[1:2]
	v_add_co_u32_e32 v79, vcc, v25, v79
	v_add_u32_e32 v1, 0x400, v5
	v_addc_co_u32_e32 v80, vcc, v26, v80, vcc
	ds_read_u16 v89, v29
	ds_read_u16 v90, v29 offset:512
	ds_read_u16 v91, v29 offset:1024
	;; [unrolled: 1-line block ×15, first 2 shown]
	v_lshlrev_b64 v[87:88], 1, v[1:2]
	s_waitcnt lgkmcnt(14)
	global_store_short v[81:82], v89, off
	global_store_short v[79:80], v90, off
	v_add_co_u32_e32 v79, vcc, v25, v85
	v_add_u32_e32 v1, 0x600, v5
	v_addc_co_u32_e32 v80, vcc, v26, v86, vcc
	v_lshlrev_b64 v[81:82], 1, v[1:2]
	s_waitcnt lgkmcnt(13)
	global_store_short v[79:80], v91, off
	s_waitcnt lgkmcnt(12)
	global_store_short v[83:84], v92, off
	v_add_co_u32_e32 v79, vcc, v25, v87
	v_add_u32_e32 v1, 0x800, v5
	v_addc_co_u32_e32 v80, vcc, v26, v88, vcc
	v_lshlrev_b64 v[83:84], 1, v[1:2]
	s_waitcnt lgkmcnt(11)
	global_store_short v[79:80], v93, off
	s_waitcnt lgkmcnt(10)
	;; [unrolled: 8-line block ×5, first 2 shown]
	global_store_short v[73:74], v100, off
	v_add_co_u32_e32 v31, vcc, v25, v33
	v_addc_co_u32_e32 v32, vcc, v26, v34, vcc
	s_waitcnt lgkmcnt(3)
	global_store_short v[31:32], v101, off
	s_waitcnt lgkmcnt(2)
	global_store_short v[75:76], v102, off
	v_add_co_u32_e32 v31, vcc, v25, v69
	v_add_u32_e32 v29, 0x2000, v29
	v_add_u32_e32 v6, 0x1000, v6
	v_mov_b32_e32 v30, s16
	v_add_u32_e32 v5, 0x1000, v5
	v_addc_co_u32_e32 v32, vcc, v26, v70, vcc
	s_waitcnt lgkmcnt(1)
	global_store_short v[31:32], v103, off
	s_waitcnt lgkmcnt(0)
	global_store_short v[77:78], v104, off
	s_andn2_b64 exec, exec, s[14:15]
	s_cbranch_execnz .LBB2056_170
; %bb.171:
	s_or_b64 exec, exec, s[14:15]
.LBB2056_172:
	s_or_b64 exec, exec, s[12:13]
	v_and_b32_e32 v27, 7, v27
	v_cmp_ne_u32_e32 vcc, 0, v27
	s_and_saveexec_b64 s[12:13], vcc
	s_cbranch_execz .LBB2056_175
; %bb.173:
	v_lshl_or_b32 v8, v30, 9, v8
	s_mov_b64 s[14:15], 0
	v_mov_b32_e32 v2, 0
.LBB2056_174:                           ; =>This Inner Loop Header: Depth=1
	v_mov_b32_e32 v1, v5
	ds_read_u16 v32, v8
	ds_read_u16 v33, v8 offset:512
	v_add_u32_e32 v27, -1, v27
	v_lshlrev_b64 v[28:29], 1, v[1:2]
	v_mov_b32_e32 v1, v6
	v_cmp_eq_u32_e32 vcc, 0, v27
	v_lshlrev_b64 v[30:31], 1, v[1:2]
	s_or_b64 s[14:15], vcc, s[14:15]
	v_add_co_u32_e32 v28, vcc, v25, v28
	v_addc_co_u32_e32 v29, vcc, v26, v29, vcc
	v_add_u32_e32 v5, 0x200, v5
	v_add_u32_e32 v8, 0x400, v8
	;; [unrolled: 1-line block ×3, first 2 shown]
	v_add_co_u32_e32 v30, vcc, v25, v30
	v_addc_co_u32_e32 v31, vcc, v26, v31, vcc
	s_waitcnt lgkmcnt(1)
	global_store_short v[28:29], v32, off
	s_waitcnt lgkmcnt(0)
	global_store_short v[30:31], v33, off
	s_andn2_b64 exec, exec, s[14:15]
	s_cbranch_execnz .LBB2056_174
.LBB2056_175:
	s_or_b64 exec, exec, s[12:13]
	v_add_u32_e32 v2, 1, v7
	v_and_b32_e32 v5, 0x1fffffe, v2
	v_cmp_ne_u32_e32 vcc, v2, v5
	v_lshl_or_b32 v1, v5, 8, v0
	s_orn2_b64 s[12:13], vcc, exec
.LBB2056_176:
	s_or_b64 exec, exec, s[10:11]
	s_andn2_b64 s[4:5], s[4:5], exec
	s_and_b64 s[10:11], s[12:13], exec
	s_or_b64 s[4:5], s[4:5], s[10:11]
.LBB2056_177:
	s_or_b64 exec, exec, s[8:9]
	s_and_b64 exec, exec, s[4:5]
	s_cbranch_execz .LBB2056_180
; %bb.178:
	v_lshlrev_b32_e32 v5, 1, v1
	s_mov_b64 s[8:9], 0
	v_mov_b32_e32 v2, 0
.LBB2056_179:                           ; =>This Inner Loop Header: Depth=1
	ds_read_u16 v8, v5
	v_lshlrev_b64 v[6:7], 1, v[1:2]
	v_add_u32_e32 v1, 0x100, v1
	v_cmp_ge_u32_e32 vcc, v1, v35
	v_add_co_u32_e64 v6, s[4:5], v25, v6
	v_add_u32_e32 v5, 0x200, v5
	v_addc_co_u32_e64 v7, s[4:5], v26, v7, s[4:5]
	s_or_b64 s[8:9], vcc, s[8:9]
	s_waitcnt lgkmcnt(0)
	global_store_short v[6:7], v8, off
	s_andn2_b64 exec, exec, s[8:9]
	s_cbranch_execnz .LBB2056_179
.LBB2056_180:
	s_or_b64 exec, exec, s[6:7]
.LBB2056_181:
	v_cmp_eq_u32_e32 vcc, 0, v0
	s_and_b64 s[6:7], vcc, s[50:51]
	s_waitcnt vmcnt(0)
	s_barrier
	s_and_saveexec_b64 s[4:5], s[6:7]
	s_cbranch_execz .LBB2056_183
; %bb.182:
	v_mov_b32_e32 v1, 0
	buffer_store_dword v1, off, s[0:3], 0
.LBB2056_183:
	s_or_b64 exec, exec, s[4:5]
	s_mul_hi_u32 s4, s33, 0x88888889
	s_lshr_b32 s4, s4, 3
	v_cmp_eq_u32_e32 vcc, s4, v0
	s_and_b64 s[6:7], s[48:49], vcc
	s_and_saveexec_b64 s[4:5], s[6:7]
	s_cbranch_execz .LBB2056_185
; %bb.184:
	s_lshl_b32 s6, s33, 2
	v_mov_b32_e32 v1, s6
	s_movk_i32 s6, 0xffc4
	v_mad_i32_i24 v1, v0, s6, v1
	v_mov_b32_e32 v2, 1
	buffer_store_dword v2, v1, s[0:3], 0 offen
.LBB2056_185:
	s_or_b64 exec, exec, s[4:5]
	buffer_load_dword v25, off, s[0:3], 0
	buffer_load_dword v26, off, s[0:3], 0 offset:4
	buffer_load_dword v27, off, s[0:3], 0 offset:8
	;; [unrolled: 1-line block ×13, first 2 shown]
	v_add_co_u32_e32 v1, vcc, v71, v3
	v_addc_co_u32_e32 v2, vcc, v72, v4, vcc
	buffer_load_dword v72, off, s[0:3], 0 offset:56
	v_lshlrev_b64 v[3:4], 3, v[9:10]
	v_mov_b32_e32 v71, s59
	v_lshlrev_b64 v[6:7], 3, v[39:40]
	v_add_co_u32_e32 v3, vcc, s58, v3
	v_addc_co_u32_e32 v4, vcc, v71, v4, vcc
	v_cndmask_b32_e64 v5, 0, 1, s[50:51]
	v_add_co_u32_e32 v3, vcc, v3, v6
	v_lshlrev_b32_e32 v75, 3, v5
	v_addc_co_u32_e32 v4, vcc, v4, v7, vcc
	v_add_co_u32_e32 v6, vcc, v3, v75
	v_addc_co_u32_e32 v7, vcc, 0, v4, vcc
	v_add_co_u32_e32 v6, vcc, -8, v6
	v_addc_co_u32_e32 v7, vcc, -1, v7, vcc
	s_cmpk_lg_i32 s33, 0xf00
	s_cselect_b64 s[4:5], -1, 0
	s_and_b64 s[4:5], s[48:49], s[4:5]
	v_sub_u32_e32 v40, v35, v5
	v_add_u32_e32 v8, v39, v5
	v_cndmask_b32_e64 v5, 0, 1, s[4:5]
	v_add_u32_e32 v5, v40, v5
	s_movk_i32 s36, 0x100
	s_mov_b64 s[40:41], -1
	s_waitcnt vmcnt(14)
	v_cmp_eq_u32_e32 vcc, 0, v25
	v_cmp_ne_u32_e64 s[34:35], 0, v25
	v_cndmask_b32_e64 v25, 1, 2, vcc
	s_waitcnt vmcnt(13)
	v_cmp_eq_u32_e32 vcc, 0, v26
	v_cmp_ne_u32_e64 s[30:31], 0, v26
	v_cndmask_b32_e64 v26, 1, 2, vcc
	;; [unrolled: 4-line block ×3, first 2 shown]
	s_waitcnt vmcnt(11)
	v_cmp_eq_u32_e32 vcc, 0, v28
	v_and_b32_e32 v25, v26, v25
	v_cmp_ne_u32_e64 s[26:27], 0, v28
	v_cndmask_b32_e64 v28, 1, 2, vcc
	s_waitcnt vmcnt(10)
	v_cmp_eq_u32_e32 vcc, 0, v29
	v_and_b32_e32 v25, v25, v27
	v_cmp_ne_u32_e64 s[24:25], 0, v29
	v_cndmask_b32_e64 v29, 1, 2, vcc
	;; [unrolled: 5-line block ×7, first 2 shown]
	s_waitcnt vmcnt(4)
	v_cmp_eq_u32_e32 vcc, 0, v69
	v_and_b32_e32 v25, v25, v33
	v_cndmask_b32_e64 v40, 1, 2, vcc
	v_and_b32_e32 v25, v25, v34
	s_waitcnt vmcnt(3)
	v_cmp_eq_u32_e32 vcc, 0, v70
	v_and_b32_e32 v25, v25, v40
	v_cndmask_b32_e64 v26, 1, 2, vcc
	s_waitcnt vmcnt(2)
	v_cmp_eq_u32_e32 vcc, 0, v73
	v_and_b32_e32 v25, v25, v26
	v_cndmask_b32_e64 v26, 1, 2, vcc
	;; [unrolled: 4-line block ×4, first 2 shown]
	v_and_b32_e32 v25, v25, v26
	v_cmp_gt_u32_e32 vcc, s36, v5
	v_cmp_ne_u32_e64 s[12:13], 0, v69
	v_cmp_ne_u32_e64 s[8:9], 0, v70
	;; [unrolled: 1-line block ×5, first 2 shown]
	v_cmp_gt_i16_e64 s[36:37], 2, v25
	s_cbranch_vccz .LBB2056_192
; %bb.186:
	s_and_saveexec_b64 s[40:41], s[36:37]
	s_cbranch_execz .LBB2056_191
; %bb.187:
	v_cmp_ne_u16_e32 vcc, 1, v25
	s_mov_b64 s[42:43], 0
	s_and_saveexec_b64 s[36:37], vcc
	s_xor_b64 s[36:37], exec, s[36:37]
	s_cbranch_execnz .LBB2056_240
; %bb.188:
	s_andn2_saveexec_b64 s[36:37], s[36:37]
	s_cbranch_execnz .LBB2056_256
.LBB2056_189:
	s_or_b64 exec, exec, s[36:37]
	s_and_b64 exec, exec, s[42:43]
	s_cbranch_execz .LBB2056_191
.LBB2056_190:
	v_sub_u32_e32 v26, v11, v8
	v_mov_b32_e32 v27, 0
	v_lshlrev_b64 v[26:27], 3, v[26:27]
	v_add_co_u32_e32 v26, vcc, v6, v26
	v_addc_co_u32_e32 v27, vcc, v7, v27, vcc
	global_store_dwordx2 v[26:27], v[1:2], off
.LBB2056_191:
	s_or_b64 exec, exec, s[40:41]
	s_mov_b64 s[40:41], 0
.LBB2056_192:
	s_and_b64 vcc, exec, s[40:41]
	s_cbranch_vccz .LBB2056_202
; %bb.193:
	v_cmp_gt_i16_e32 vcc, 2, v25
	s_and_saveexec_b64 s[36:37], vcc
	s_cbranch_execz .LBB2056_198
; %bb.194:
	v_cmp_ne_u16_e32 vcc, 1, v25
	s_mov_b64 s[42:43], 0
	s_and_saveexec_b64 s[40:41], vcc
	s_xor_b64 s[40:41], exec, s[40:41]
	s_cbranch_execnz .LBB2056_257
; %bb.195:
	s_andn2_saveexec_b64 s[4:5], s[40:41]
	s_cbranch_execnz .LBB2056_273
.LBB2056_196:
	s_or_b64 exec, exec, s[4:5]
	s_and_b64 exec, exec, s[42:43]
.LBB2056_197:
	v_sub_u32_e32 v8, v11, v8
	v_lshlrev_b32_e32 v8, 3, v8
	ds_write_b64 v8, v[1:2]
.LBB2056_198:
	s_or_b64 exec, exec, s[36:37]
	v_cmp_lt_u32_e32 vcc, v0, v5
	s_waitcnt vmcnt(0) lgkmcnt(0)
	s_barrier
	s_and_saveexec_b64 s[6:7], vcc
	s_cbranch_execz .LBB2056_201
; %bb.199:
	v_lshlrev_b32_e32 v8, 3, v0
	s_mov_b64 s[8:9], 0
	v_mov_b32_e32 v2, 0
	v_mov_b32_e32 v1, v0
.LBB2056_200:                           ; =>This Inner Loop Header: Depth=1
	ds_read_b64 v[13:14], v8
	v_lshlrev_b64 v[11:12], 3, v[1:2]
	v_add_u32_e32 v1, 0x100, v1
	v_cmp_ge_u32_e32 vcc, v1, v5
	v_add_co_u32_e64 v11, s[4:5], v6, v11
	v_add_u32_e32 v8, 0x800, v8
	v_addc_co_u32_e64 v12, s[4:5], v7, v12, s[4:5]
	s_or_b64 s[8:9], vcc, s[8:9]
	s_waitcnt lgkmcnt(0)
	global_store_dwordx2 v[11:12], v[13:14], off
	s_andn2_b64 exec, exec, s[8:9]
	s_cbranch_execnz .LBB2056_200
.LBB2056_201:
	s_or_b64 exec, exec, s[6:7]
.LBB2056_202:
	s_movk_i32 s4, 0xff
	v_cmp_eq_u32_e32 vcc, s4, v0
	s_and_b64 s[4:5], vcc, s[48:49]
	s_and_saveexec_b64 s[6:7], s[4:5]
	s_cbranch_execz .LBB2056_205
; %bb.203:
	v_add_co_u32_e32 v0, vcc, v35, v39
	v_addc_co_u32_e64 v1, s[4:5], 0, 0, vcc
	v_add_co_u32_e32 v0, vcc, v0, v9
	v_mov_b32_e32 v36, 0
	v_addc_co_u32_e32 v1, vcc, v1, v10, vcc
	s_cmpk_lg_i32 s33, 0xf00
	global_store_dwordx2 v36, v[0:1], s[38:39]
	s_cbranch_scc1 .LBB2056_205
; %bb.204:
	v_lshlrev_b64 v[0:1], 3, v[35:36]
	v_add_co_u32_e32 v0, vcc, v3, v0
	v_addc_co_u32_e32 v1, vcc, v4, v1, vcc
	global_store_dwordx2 v[0:1], v[37:38], off offset:-8
.LBB2056_205:
	s_endpgm
.LBB2056_206:
	s_and_saveexec_b64 s[42:43], s[34:35]
	s_cbranch_execnz .LBB2056_274
; %bb.207:
	s_or_b64 exec, exec, s[42:43]
	s_and_saveexec_b64 s[42:43], s[30:31]
	s_cbranch_execnz .LBB2056_275
.LBB2056_208:
	s_or_b64 exec, exec, s[42:43]
	s_and_saveexec_b64 s[42:43], s[28:29]
	s_cbranch_execnz .LBB2056_276
.LBB2056_209:
	s_or_b64 exec, exec, s[42:43]
	s_and_saveexec_b64 s[42:43], s[26:27]
	s_cbranch_execnz .LBB2056_277
.LBB2056_210:
	s_or_b64 exec, exec, s[42:43]
	s_and_saveexec_b64 s[42:43], s[24:25]
	s_cbranch_execnz .LBB2056_278
.LBB2056_211:
	s_or_b64 exec, exec, s[42:43]
	s_and_saveexec_b64 s[42:43], s[22:23]
	s_cbranch_execnz .LBB2056_279
.LBB2056_212:
	s_or_b64 exec, exec, s[42:43]
	s_and_saveexec_b64 s[42:43], s[20:21]
	s_cbranch_execnz .LBB2056_280
.LBB2056_213:
	s_or_b64 exec, exec, s[42:43]
	s_and_saveexec_b64 s[42:43], s[18:19]
	s_cbranch_execnz .LBB2056_281
.LBB2056_214:
	s_or_b64 exec, exec, s[42:43]
	s_and_saveexec_b64 s[42:43], s[16:17]
	s_cbranch_execnz .LBB2056_282
.LBB2056_215:
	s_or_b64 exec, exec, s[42:43]
	s_and_saveexec_b64 s[42:43], s[14:15]
	s_cbranch_execnz .LBB2056_283
.LBB2056_216:
	s_or_b64 exec, exec, s[42:43]
	s_and_saveexec_b64 s[42:43], s[12:13]
	s_cbranch_execnz .LBB2056_284
.LBB2056_217:
	s_or_b64 exec, exec, s[42:43]
	s_and_saveexec_b64 s[42:43], s[10:11]
	s_cbranch_execnz .LBB2056_285
.LBB2056_218:
	s_or_b64 exec, exec, s[42:43]
	s_and_saveexec_b64 s[42:43], s[8:9]
	s_cbranch_execnz .LBB2056_286
.LBB2056_219:
	s_or_b64 exec, exec, s[42:43]
	s_and_saveexec_b64 s[42:43], s[4:5]
	s_cbranch_execz .LBB2056_221
.LBB2056_220:
	v_sub_u32_e32 v27, v12, v39
	v_mov_b32_e32 v28, 0
	v_lshlrev_b64 v[27:28], 1, v[27:28]
	v_add_co_u32_e32 v27, vcc, v25, v27
	v_addc_co_u32_e32 v28, vcc, v26, v28, vcc
	global_store_short v[27:28], v34, off
.LBB2056_221:
	s_or_b64 exec, exec, s[42:43]
	s_and_b64 s[42:43], s[6:7], exec
	s_andn2_saveexec_b64 s[36:37], s[36:37]
	s_cbranch_execz .LBB2056_156
.LBB2056_222:
	v_sub_u32_e32 v27, v36, v39
	v_mov_b32_e32 v28, 0
	v_lshlrev_b64 v[29:30], 1, v[27:28]
	v_sub_u32_e32 v27, v24, v39
	v_add_co_u32_e32 v29, vcc, v25, v29
	v_addc_co_u32_e32 v30, vcc, v26, v30, vcc
	global_store_short v[29:30], v76, off
	v_lshlrev_b64 v[29:30], 1, v[27:28]
	v_sub_u32_e32 v27, v23, v39
	v_add_co_u32_e32 v29, vcc, v25, v29
	v_addc_co_u32_e32 v30, vcc, v26, v30, vcc
	global_store_short_d16_hi v[29:30], v76, off
	v_lshlrev_b64 v[29:30], 1, v[27:28]
	v_sub_u32_e32 v27, v22, v39
	v_add_co_u32_e32 v29, vcc, v25, v29
	v_addc_co_u32_e32 v30, vcc, v26, v30, vcc
	global_store_short v[29:30], v75, off
	v_lshlrev_b64 v[29:30], 1, v[27:28]
	v_sub_u32_e32 v27, v21, v39
	v_add_co_u32_e32 v29, vcc, v25, v29
	v_addc_co_u32_e32 v30, vcc, v26, v30, vcc
	global_store_short v[29:30], v5, off
	v_lshlrev_b64 v[29:30], 1, v[27:28]
	v_sub_u32_e32 v27, v20, v39
	v_add_co_u32_e32 v29, vcc, v25, v29
	v_addc_co_u32_e32 v30, vcc, v26, v30, vcc
	global_store_short v[29:30], v80, off
	v_lshlrev_b64 v[29:30], 1, v[27:28]
	v_sub_u32_e32 v27, v19, v39
	v_add_co_u32_e32 v29, vcc, v25, v29
	v_addc_co_u32_e32 v30, vcc, v26, v30, vcc
	global_store_short v[29:30], v6, off
	v_lshlrev_b64 v[29:30], 1, v[27:28]
	v_sub_u32_e32 v27, v18, v39
	v_add_co_u32_e32 v29, vcc, v25, v29
	v_addc_co_u32_e32 v30, vcc, v26, v30, vcc
	global_store_short v[29:30], v79, off
	v_lshlrev_b64 v[29:30], 1, v[27:28]
	v_sub_u32_e32 v27, v17, v39
	v_add_co_u32_e32 v29, vcc, v25, v29
	v_addc_co_u32_e32 v30, vcc, v26, v30, vcc
	global_store_short v[29:30], v7, off
	v_lshlrev_b64 v[29:30], 1, v[27:28]
	v_sub_u32_e32 v27, v16, v39
	v_add_co_u32_e32 v29, vcc, v25, v29
	v_addc_co_u32_e32 v30, vcc, v26, v30, vcc
	global_store_short v[29:30], v78, off
	v_lshlrev_b64 v[29:30], 1, v[27:28]
	v_sub_u32_e32 v27, v15, v39
	v_add_co_u32_e32 v29, vcc, v25, v29
	v_addc_co_u32_e32 v30, vcc, v26, v30, vcc
	global_store_short v[29:30], v8, off
	v_lshlrev_b64 v[29:30], 1, v[27:28]
	v_sub_u32_e32 v27, v14, v39
	v_add_co_u32_e32 v29, vcc, v25, v29
	v_addc_co_u32_e32 v30, vcc, v26, v30, vcc
	global_store_short v[29:30], v77, off
	v_lshlrev_b64 v[29:30], 1, v[27:28]
	v_sub_u32_e32 v27, v13, v39
	v_add_co_u32_e32 v29, vcc, v25, v29
	v_addc_co_u32_e32 v30, vcc, v26, v30, vcc
	global_store_short v[29:30], v33, off
	v_lshlrev_b64 v[29:30], 1, v[27:28]
	v_sub_u32_e32 v27, v12, v39
	v_add_co_u32_e32 v29, vcc, v25, v29
	v_lshlrev_b64 v[27:28], 1, v[27:28]
	v_addc_co_u32_e32 v30, vcc, v26, v30, vcc
	v_add_co_u32_e32 v27, vcc, v25, v27
	v_addc_co_u32_e32 v28, vcc, v26, v28, vcc
	s_or_b64 s[42:43], s[42:43], exec
	global_store_short v[29:30], v74, off
	global_store_short v[27:28], v34, off
	s_or_b64 exec, exec, s[36:37]
	s_and_b64 exec, exec, s[42:43]
	s_cbranch_execnz .LBB2056_157
	s_branch .LBB2056_158
.LBB2056_223:
	s_and_saveexec_b64 s[42:43], s[34:35]
	s_cbranch_execnz .LBB2056_287
; %bb.224:
	s_or_b64 exec, exec, s[42:43]
	s_and_saveexec_b64 s[34:35], s[30:31]
	s_cbranch_execnz .LBB2056_288
.LBB2056_225:
	s_or_b64 exec, exec, s[34:35]
	s_and_saveexec_b64 s[30:31], s[28:29]
	s_cbranch_execnz .LBB2056_289
.LBB2056_226:
	s_or_b64 exec, exec, s[30:31]
	s_and_saveexec_b64 s[28:29], s[26:27]
	s_cbranch_execnz .LBB2056_290
.LBB2056_227:
	s_or_b64 exec, exec, s[28:29]
	s_and_saveexec_b64 s[26:27], s[24:25]
	s_cbranch_execnz .LBB2056_291
.LBB2056_228:
	s_or_b64 exec, exec, s[26:27]
	s_and_saveexec_b64 s[24:25], s[22:23]
	s_cbranch_execnz .LBB2056_292
.LBB2056_229:
	s_or_b64 exec, exec, s[24:25]
	s_and_saveexec_b64 s[22:23], s[20:21]
	s_cbranch_execnz .LBB2056_293
.LBB2056_230:
	s_or_b64 exec, exec, s[22:23]
	s_and_saveexec_b64 s[20:21], s[18:19]
	s_cbranch_execnz .LBB2056_294
.LBB2056_231:
	s_or_b64 exec, exec, s[20:21]
	s_and_saveexec_b64 s[18:19], s[16:17]
	s_cbranch_execnz .LBB2056_295
.LBB2056_232:
	s_or_b64 exec, exec, s[18:19]
	s_and_saveexec_b64 s[16:17], s[14:15]
	s_cbranch_execnz .LBB2056_296
.LBB2056_233:
	s_or_b64 exec, exec, s[16:17]
	s_and_saveexec_b64 s[14:15], s[12:13]
	s_cbranch_execnz .LBB2056_297
.LBB2056_234:
	s_or_b64 exec, exec, s[14:15]
	s_and_saveexec_b64 s[12:13], s[10:11]
	s_cbranch_execnz .LBB2056_298
.LBB2056_235:
	s_or_b64 exec, exec, s[12:13]
	s_and_saveexec_b64 s[10:11], s[8:9]
	s_cbranch_execnz .LBB2056_299
.LBB2056_236:
	s_or_b64 exec, exec, s[10:11]
	s_and_saveexec_b64 s[8:9], s[4:5]
.LBB2056_237:
	v_sub_u32_e32 v1, v12, v39
	v_lshlrev_b32_e32 v1, 1, v1
	ds_write_b16 v1, v34
.LBB2056_238:
	s_or_b64 exec, exec, s[8:9]
	s_and_b64 s[42:43], s[6:7], exec
                                        ; implicit-def: $vgpr5
                                        ; implicit-def: $vgpr33
                                        ; implicit-def: $vgpr76
                                        ; implicit-def: $vgpr75
                                        ; implicit-def: $vgpr80
                                        ; implicit-def: $vgpr79
                                        ; implicit-def: $vgpr78
                                        ; implicit-def: $vgpr77
                                        ; implicit-def: $vgpr74
	s_andn2_saveexec_b64 s[4:5], s[40:41]
	s_cbranch_execz .LBB2056_163
.LBB2056_239:
	v_sub_u32_e32 v1, v36, v39
	v_lshlrev_b32_e32 v1, 1, v1
	ds_write_b16 v1, v76
	v_sub_u32_e32 v1, v24, v39
	v_lshlrev_b32_e32 v1, 1, v1
	ds_write_b16_d16_hi v1, v76
	v_sub_u32_e32 v1, v23, v39
	v_lshlrev_b32_e32 v1, 1, v1
	ds_write_b16 v1, v75
	v_sub_u32_e32 v1, v22, v39
	v_lshlrev_b32_e32 v1, 1, v1
	ds_write_b16 v1, v5
	;; [unrolled: 3-line block ×11, first 2 shown]
	v_sub_u32_e32 v1, v12, v39
	v_lshlrev_b32_e32 v1, 1, v1
	s_or_b64 s[42:43], s[42:43], exec
	ds_write_b16 v1, v34
	s_or_b64 exec, exec, s[4:5]
	s_and_b64 exec, exec, s[42:43]
	s_cbranch_execnz .LBB2056_164
	s_branch .LBB2056_165
.LBB2056_240:
	s_and_saveexec_b64 s[42:43], s[34:35]
	s_cbranch_execnz .LBB2056_300
; %bb.241:
	s_or_b64 exec, exec, s[42:43]
	s_and_saveexec_b64 s[42:43], s[30:31]
	s_cbranch_execnz .LBB2056_301
.LBB2056_242:
	s_or_b64 exec, exec, s[42:43]
	s_and_saveexec_b64 s[42:43], s[28:29]
	s_cbranch_execnz .LBB2056_302
.LBB2056_243:
	s_or_b64 exec, exec, s[42:43]
	s_and_saveexec_b64 s[42:43], s[26:27]
	s_cbranch_execnz .LBB2056_303
.LBB2056_244:
	s_or_b64 exec, exec, s[42:43]
	s_and_saveexec_b64 s[42:43], s[24:25]
	s_cbranch_execnz .LBB2056_304
.LBB2056_245:
	s_or_b64 exec, exec, s[42:43]
	s_and_saveexec_b64 s[42:43], s[22:23]
	s_cbranch_execnz .LBB2056_305
.LBB2056_246:
	s_or_b64 exec, exec, s[42:43]
	s_and_saveexec_b64 s[42:43], s[20:21]
	s_cbranch_execnz .LBB2056_306
.LBB2056_247:
	s_or_b64 exec, exec, s[42:43]
	s_and_saveexec_b64 s[42:43], s[18:19]
	s_cbranch_execnz .LBB2056_307
.LBB2056_248:
	s_or_b64 exec, exec, s[42:43]
	s_and_saveexec_b64 s[42:43], s[16:17]
	s_cbranch_execnz .LBB2056_308
.LBB2056_249:
	s_or_b64 exec, exec, s[42:43]
	s_and_saveexec_b64 s[42:43], s[14:15]
	s_cbranch_execnz .LBB2056_309
.LBB2056_250:
	s_or_b64 exec, exec, s[42:43]
	s_and_saveexec_b64 s[42:43], s[12:13]
	s_cbranch_execnz .LBB2056_310
.LBB2056_251:
	s_or_b64 exec, exec, s[42:43]
	s_and_saveexec_b64 s[42:43], s[8:9]
	s_cbranch_execnz .LBB2056_311
.LBB2056_252:
	s_or_b64 exec, exec, s[42:43]
	s_and_saveexec_b64 s[42:43], s[10:11]
	s_cbranch_execnz .LBB2056_312
.LBB2056_253:
	s_or_b64 exec, exec, s[42:43]
	s_and_saveexec_b64 s[42:43], s[6:7]
	s_cbranch_execz .LBB2056_255
.LBB2056_254:
	v_sub_u32_e32 v26, v12, v8
	v_mov_b32_e32 v27, 0
	v_lshlrev_b64 v[26:27], 3, v[26:27]
	v_add_co_u32_e32 v26, vcc, v6, v26
	v_addc_co_u32_e32 v27, vcc, v7, v27, vcc
	global_store_dwordx2 v[26:27], v[67:68], off
.LBB2056_255:
	s_or_b64 exec, exec, s[42:43]
	s_and_b64 s[42:43], s[4:5], exec
	s_andn2_saveexec_b64 s[36:37], s[36:37]
	s_cbranch_execz .LBB2056_189
.LBB2056_256:
	v_sub_u32_e32 v26, v36, v8
	v_mov_b32_e32 v27, 0
	v_lshlrev_b64 v[28:29], 3, v[26:27]
	v_sub_u32_e32 v26, v24, v8
	v_add_co_u32_e32 v28, vcc, v6, v28
	v_addc_co_u32_e32 v29, vcc, v7, v29, vcc
	global_store_dwordx2 v[28:29], v[65:66], off
	v_lshlrev_b64 v[28:29], 3, v[26:27]
	v_sub_u32_e32 v26, v23, v8
	v_add_co_u32_e32 v28, vcc, v6, v28
	v_addc_co_u32_e32 v29, vcc, v7, v29, vcc
	global_store_dwordx2 v[28:29], v[41:42], off
	;; [unrolled: 5-line block ×12, first 2 shown]
	v_lshlrev_b64 v[28:29], 3, v[26:27]
	v_sub_u32_e32 v26, v12, v8
	v_add_co_u32_e32 v28, vcc, v6, v28
	v_lshlrev_b64 v[26:27], 3, v[26:27]
	v_addc_co_u32_e32 v29, vcc, v7, v29, vcc
	v_add_co_u32_e32 v26, vcc, v6, v26
	v_addc_co_u32_e32 v27, vcc, v7, v27, vcc
	s_or_b64 s[42:43], s[42:43], exec
	global_store_dwordx2 v[28:29], v[63:64], off
	global_store_dwordx2 v[26:27], v[67:68], off
	s_or_b64 exec, exec, s[36:37]
	s_and_b64 exec, exec, s[42:43]
	s_cbranch_execnz .LBB2056_190
	s_branch .LBB2056_191
.LBB2056_257:
	s_and_saveexec_b64 s[42:43], s[34:35]
	s_cbranch_execnz .LBB2056_313
; %bb.258:
	s_or_b64 exec, exec, s[42:43]
	s_and_saveexec_b64 s[34:35], s[30:31]
	s_cbranch_execnz .LBB2056_314
.LBB2056_259:
	s_or_b64 exec, exec, s[34:35]
	s_and_saveexec_b64 s[30:31], s[28:29]
	s_cbranch_execnz .LBB2056_315
.LBB2056_260:
	s_or_b64 exec, exec, s[30:31]
	s_and_saveexec_b64 s[28:29], s[26:27]
	s_cbranch_execnz .LBB2056_316
.LBB2056_261:
	s_or_b64 exec, exec, s[28:29]
	s_and_saveexec_b64 s[26:27], s[24:25]
	s_cbranch_execnz .LBB2056_317
.LBB2056_262:
	s_or_b64 exec, exec, s[26:27]
	s_and_saveexec_b64 s[24:25], s[22:23]
	s_cbranch_execnz .LBB2056_318
.LBB2056_263:
	s_or_b64 exec, exec, s[24:25]
	s_and_saveexec_b64 s[22:23], s[20:21]
	s_cbranch_execnz .LBB2056_319
.LBB2056_264:
	s_or_b64 exec, exec, s[22:23]
	s_and_saveexec_b64 s[20:21], s[18:19]
	s_cbranch_execnz .LBB2056_320
.LBB2056_265:
	s_or_b64 exec, exec, s[20:21]
	s_and_saveexec_b64 s[18:19], s[16:17]
	s_cbranch_execnz .LBB2056_321
.LBB2056_266:
	s_or_b64 exec, exec, s[18:19]
	s_and_saveexec_b64 s[16:17], s[14:15]
	s_cbranch_execnz .LBB2056_322
.LBB2056_267:
	s_or_b64 exec, exec, s[16:17]
	s_and_saveexec_b64 s[14:15], s[12:13]
	s_cbranch_execnz .LBB2056_323
.LBB2056_268:
	s_or_b64 exec, exec, s[14:15]
	s_and_saveexec_b64 s[12:13], s[8:9]
	s_cbranch_execnz .LBB2056_324
.LBB2056_269:
	s_or_b64 exec, exec, s[12:13]
	s_and_saveexec_b64 s[8:9], s[10:11]
	s_cbranch_execnz .LBB2056_325
.LBB2056_270:
	s_or_b64 exec, exec, s[8:9]
	s_and_saveexec_b64 s[8:9], s[6:7]
.LBB2056_271:
	v_sub_u32_e32 v12, v12, v8
	v_lshlrev_b32_e32 v12, 3, v12
	ds_write_b64 v12, v[67:68]
.LBB2056_272:
	s_or_b64 exec, exec, s[8:9]
	s_and_b64 s[42:43], s[4:5], exec
                                        ; implicit-def: $vgpr65_vgpr66
                                        ; implicit-def: $vgpr41_vgpr42
                                        ; implicit-def: $vgpr43_vgpr44
                                        ; implicit-def: $vgpr45_vgpr46
                                        ; implicit-def: $vgpr47_vgpr48
                                        ; implicit-def: $vgpr49_vgpr50
                                        ; implicit-def: $vgpr51_vgpr52
                                        ; implicit-def: $vgpr53_vgpr54
                                        ; implicit-def: $vgpr55_vgpr56
                                        ; implicit-def: $vgpr57_vgpr58
                                        ; implicit-def: $vgpr59_vgpr60
                                        ; implicit-def: $vgpr61_vgpr62
                                        ; implicit-def: $vgpr63_vgpr64
                                        ; implicit-def: $vgpr67_vgpr68
                                        ; implicit-def: $vgpr36
                                        ; implicit-def: $vgpr24
                                        ; implicit-def: $vgpr23
                                        ; implicit-def: $vgpr22
                                        ; implicit-def: $vgpr21
                                        ; implicit-def: $vgpr20
                                        ; implicit-def: $vgpr19
                                        ; implicit-def: $vgpr18
                                        ; implicit-def: $vgpr17
                                        ; implicit-def: $vgpr16
                                        ; implicit-def: $vgpr15
                                        ; implicit-def: $vgpr14
                                        ; implicit-def: $vgpr13
                                        ; implicit-def: $vgpr12
	s_andn2_saveexec_b64 s[4:5], s[40:41]
	s_cbranch_execz .LBB2056_196
.LBB2056_273:
	v_sub_u32_e32 v25, v36, v8
	v_sub_u32_e32 v24, v24, v8
	;; [unrolled: 1-line block ×14, first 2 shown]
	v_lshlrev_b32_e32 v25, 3, v25
	v_lshlrev_b32_e32 v24, 3, v24
	;; [unrolled: 1-line block ×14, first 2 shown]
	s_or_b64 s[42:43], s[42:43], exec
	ds_write_b64 v25, v[65:66]
	ds_write_b64 v24, v[41:42]
	;; [unrolled: 1-line block ×14, first 2 shown]
	s_or_b64 exec, exec, s[4:5]
	s_and_b64 exec, exec, s[42:43]
	s_cbranch_execnz .LBB2056_197
	s_branch .LBB2056_198
.LBB2056_274:
	v_sub_u32_e32 v27, v36, v39
	v_mov_b32_e32 v28, 0
	v_lshlrev_b64 v[27:28], 1, v[27:28]
	v_add_co_u32_e32 v27, vcc, v25, v27
	v_addc_co_u32_e32 v28, vcc, v26, v28, vcc
	global_store_short v[27:28], v76, off
	s_or_b64 exec, exec, s[42:43]
	s_and_saveexec_b64 s[42:43], s[30:31]
	s_cbranch_execz .LBB2056_208
.LBB2056_275:
	v_sub_u32_e32 v27, v24, v39
	v_mov_b32_e32 v28, 0
	v_lshlrev_b64 v[27:28], 1, v[27:28]
	v_add_co_u32_e32 v27, vcc, v25, v27
	v_addc_co_u32_e32 v28, vcc, v26, v28, vcc
	global_store_short_d16_hi v[27:28], v76, off
	s_or_b64 exec, exec, s[42:43]
	s_and_saveexec_b64 s[42:43], s[28:29]
	s_cbranch_execz .LBB2056_209
.LBB2056_276:
	v_sub_u32_e32 v27, v23, v39
	v_mov_b32_e32 v28, 0
	v_lshlrev_b64 v[27:28], 1, v[27:28]
	v_add_co_u32_e32 v27, vcc, v25, v27
	v_addc_co_u32_e32 v28, vcc, v26, v28, vcc
	global_store_short v[27:28], v75, off
	s_or_b64 exec, exec, s[42:43]
	s_and_saveexec_b64 s[42:43], s[26:27]
	s_cbranch_execz .LBB2056_210
.LBB2056_277:
	v_sub_u32_e32 v27, v22, v39
	v_mov_b32_e32 v28, 0
	v_lshlrev_b64 v[27:28], 1, v[27:28]
	v_add_co_u32_e32 v27, vcc, v25, v27
	v_addc_co_u32_e32 v28, vcc, v26, v28, vcc
	global_store_short v[27:28], v5, off
	s_or_b64 exec, exec, s[42:43]
	s_and_saveexec_b64 s[42:43], s[24:25]
	s_cbranch_execz .LBB2056_211
.LBB2056_278:
	v_sub_u32_e32 v27, v21, v39
	v_mov_b32_e32 v28, 0
	v_lshlrev_b64 v[27:28], 1, v[27:28]
	v_add_co_u32_e32 v27, vcc, v25, v27
	v_addc_co_u32_e32 v28, vcc, v26, v28, vcc
	global_store_short v[27:28], v80, off
	s_or_b64 exec, exec, s[42:43]
	s_and_saveexec_b64 s[42:43], s[22:23]
	s_cbranch_execz .LBB2056_212
.LBB2056_279:
	v_sub_u32_e32 v27, v20, v39
	v_mov_b32_e32 v28, 0
	v_lshlrev_b64 v[27:28], 1, v[27:28]
	v_add_co_u32_e32 v27, vcc, v25, v27
	v_addc_co_u32_e32 v28, vcc, v26, v28, vcc
	global_store_short v[27:28], v6, off
	s_or_b64 exec, exec, s[42:43]
	s_and_saveexec_b64 s[42:43], s[20:21]
	s_cbranch_execz .LBB2056_213
.LBB2056_280:
	v_sub_u32_e32 v27, v19, v39
	v_mov_b32_e32 v28, 0
	v_lshlrev_b64 v[27:28], 1, v[27:28]
	v_add_co_u32_e32 v27, vcc, v25, v27
	v_addc_co_u32_e32 v28, vcc, v26, v28, vcc
	global_store_short v[27:28], v79, off
	s_or_b64 exec, exec, s[42:43]
	s_and_saveexec_b64 s[42:43], s[18:19]
	s_cbranch_execz .LBB2056_214
.LBB2056_281:
	v_sub_u32_e32 v27, v18, v39
	v_mov_b32_e32 v28, 0
	v_lshlrev_b64 v[27:28], 1, v[27:28]
	v_add_co_u32_e32 v27, vcc, v25, v27
	v_addc_co_u32_e32 v28, vcc, v26, v28, vcc
	global_store_short v[27:28], v7, off
	s_or_b64 exec, exec, s[42:43]
	s_and_saveexec_b64 s[42:43], s[16:17]
	s_cbranch_execz .LBB2056_215
.LBB2056_282:
	v_sub_u32_e32 v27, v17, v39
	v_mov_b32_e32 v28, 0
	v_lshlrev_b64 v[27:28], 1, v[27:28]
	v_add_co_u32_e32 v27, vcc, v25, v27
	v_addc_co_u32_e32 v28, vcc, v26, v28, vcc
	global_store_short v[27:28], v78, off
	s_or_b64 exec, exec, s[42:43]
	s_and_saveexec_b64 s[42:43], s[14:15]
	s_cbranch_execz .LBB2056_216
.LBB2056_283:
	v_sub_u32_e32 v27, v16, v39
	v_mov_b32_e32 v28, 0
	v_lshlrev_b64 v[27:28], 1, v[27:28]
	v_add_co_u32_e32 v27, vcc, v25, v27
	v_addc_co_u32_e32 v28, vcc, v26, v28, vcc
	global_store_short v[27:28], v8, off
	s_or_b64 exec, exec, s[42:43]
	s_and_saveexec_b64 s[42:43], s[12:13]
	s_cbranch_execz .LBB2056_217
.LBB2056_284:
	v_sub_u32_e32 v27, v15, v39
	v_mov_b32_e32 v28, 0
	v_lshlrev_b64 v[27:28], 1, v[27:28]
	v_add_co_u32_e32 v27, vcc, v25, v27
	v_addc_co_u32_e32 v28, vcc, v26, v28, vcc
	global_store_short v[27:28], v77, off
	s_or_b64 exec, exec, s[42:43]
	s_and_saveexec_b64 s[42:43], s[10:11]
	s_cbranch_execz .LBB2056_218
.LBB2056_285:
	v_sub_u32_e32 v27, v14, v39
	v_mov_b32_e32 v28, 0
	v_lshlrev_b64 v[27:28], 1, v[27:28]
	v_add_co_u32_e32 v27, vcc, v25, v27
	v_addc_co_u32_e32 v28, vcc, v26, v28, vcc
	global_store_short v[27:28], v33, off
	s_or_b64 exec, exec, s[42:43]
	s_and_saveexec_b64 s[42:43], s[8:9]
	s_cbranch_execz .LBB2056_219
.LBB2056_286:
	v_sub_u32_e32 v27, v13, v39
	v_mov_b32_e32 v28, 0
	v_lshlrev_b64 v[27:28], 1, v[27:28]
	v_add_co_u32_e32 v27, vcc, v25, v27
	v_addc_co_u32_e32 v28, vcc, v26, v28, vcc
	global_store_short v[27:28], v74, off
	s_or_b64 exec, exec, s[42:43]
	s_and_saveexec_b64 s[42:43], s[4:5]
	s_cbranch_execnz .LBB2056_220
	s_branch .LBB2056_221
.LBB2056_287:
	v_sub_u32_e32 v1, v36, v39
	v_lshlrev_b32_e32 v1, 1, v1
	ds_write_b16 v1, v76
	s_or_b64 exec, exec, s[42:43]
	s_and_saveexec_b64 s[34:35], s[30:31]
	s_cbranch_execz .LBB2056_225
.LBB2056_288:
	v_sub_u32_e32 v1, v24, v39
	v_lshlrev_b32_e32 v1, 1, v1
	ds_write_b16_d16_hi v1, v76
	s_or_b64 exec, exec, s[34:35]
	s_and_saveexec_b64 s[30:31], s[28:29]
	s_cbranch_execz .LBB2056_226
.LBB2056_289:
	v_sub_u32_e32 v1, v23, v39
	v_lshlrev_b32_e32 v1, 1, v1
	ds_write_b16 v1, v75
	s_or_b64 exec, exec, s[30:31]
	s_and_saveexec_b64 s[28:29], s[26:27]
	s_cbranch_execz .LBB2056_227
.LBB2056_290:
	v_sub_u32_e32 v1, v22, v39
	v_lshlrev_b32_e32 v1, 1, v1
	ds_write_b16 v1, v5
	s_or_b64 exec, exec, s[28:29]
	s_and_saveexec_b64 s[26:27], s[24:25]
	s_cbranch_execz .LBB2056_228
.LBB2056_291:
	v_sub_u32_e32 v1, v21, v39
	v_lshlrev_b32_e32 v1, 1, v1
	ds_write_b16 v1, v80
	s_or_b64 exec, exec, s[26:27]
	s_and_saveexec_b64 s[24:25], s[22:23]
	s_cbranch_execz .LBB2056_229
.LBB2056_292:
	v_sub_u32_e32 v1, v20, v39
	v_lshlrev_b32_e32 v1, 1, v1
	ds_write_b16 v1, v6
	s_or_b64 exec, exec, s[24:25]
	s_and_saveexec_b64 s[22:23], s[20:21]
	s_cbranch_execz .LBB2056_230
.LBB2056_293:
	v_sub_u32_e32 v1, v19, v39
	v_lshlrev_b32_e32 v1, 1, v1
	ds_write_b16 v1, v79
	s_or_b64 exec, exec, s[22:23]
	s_and_saveexec_b64 s[20:21], s[18:19]
	s_cbranch_execz .LBB2056_231
.LBB2056_294:
	v_sub_u32_e32 v1, v18, v39
	v_lshlrev_b32_e32 v1, 1, v1
	ds_write_b16 v1, v7
	s_or_b64 exec, exec, s[20:21]
	s_and_saveexec_b64 s[18:19], s[16:17]
	s_cbranch_execz .LBB2056_232
.LBB2056_295:
	v_sub_u32_e32 v1, v17, v39
	v_lshlrev_b32_e32 v1, 1, v1
	ds_write_b16 v1, v78
	s_or_b64 exec, exec, s[18:19]
	s_and_saveexec_b64 s[16:17], s[14:15]
	s_cbranch_execz .LBB2056_233
.LBB2056_296:
	v_sub_u32_e32 v1, v16, v39
	v_lshlrev_b32_e32 v1, 1, v1
	ds_write_b16 v1, v8
	s_or_b64 exec, exec, s[16:17]
	s_and_saveexec_b64 s[14:15], s[12:13]
	s_cbranch_execz .LBB2056_234
.LBB2056_297:
	v_sub_u32_e32 v1, v15, v39
	v_lshlrev_b32_e32 v1, 1, v1
	ds_write_b16 v1, v77
	s_or_b64 exec, exec, s[14:15]
	s_and_saveexec_b64 s[12:13], s[10:11]
	s_cbranch_execz .LBB2056_235
.LBB2056_298:
	v_sub_u32_e32 v1, v14, v39
	v_lshlrev_b32_e32 v1, 1, v1
	ds_write_b16 v1, v33
	s_or_b64 exec, exec, s[12:13]
	s_and_saveexec_b64 s[10:11], s[8:9]
	s_cbranch_execz .LBB2056_236
.LBB2056_299:
	v_sub_u32_e32 v1, v13, v39
	v_lshlrev_b32_e32 v1, 1, v1
	ds_write_b16 v1, v74
	s_or_b64 exec, exec, s[10:11]
	s_and_saveexec_b64 s[8:9], s[4:5]
	s_cbranch_execnz .LBB2056_237
	s_branch .LBB2056_238
.LBB2056_300:
	v_sub_u32_e32 v26, v36, v8
	v_mov_b32_e32 v27, 0
	v_lshlrev_b64 v[26:27], 3, v[26:27]
	v_add_co_u32_e32 v26, vcc, v6, v26
	v_addc_co_u32_e32 v27, vcc, v7, v27, vcc
	global_store_dwordx2 v[26:27], v[65:66], off
	s_or_b64 exec, exec, s[42:43]
	s_and_saveexec_b64 s[42:43], s[30:31]
	s_cbranch_execz .LBB2056_242
.LBB2056_301:
	v_sub_u32_e32 v26, v24, v8
	v_mov_b32_e32 v27, 0
	v_lshlrev_b64 v[26:27], 3, v[26:27]
	v_add_co_u32_e32 v26, vcc, v6, v26
	v_addc_co_u32_e32 v27, vcc, v7, v27, vcc
	global_store_dwordx2 v[26:27], v[41:42], off
	s_or_b64 exec, exec, s[42:43]
	s_and_saveexec_b64 s[42:43], s[28:29]
	s_cbranch_execz .LBB2056_243
.LBB2056_302:
	v_sub_u32_e32 v26, v23, v8
	v_mov_b32_e32 v27, 0
	v_lshlrev_b64 v[26:27], 3, v[26:27]
	v_add_co_u32_e32 v26, vcc, v6, v26
	v_addc_co_u32_e32 v27, vcc, v7, v27, vcc
	global_store_dwordx2 v[26:27], v[43:44], off
	s_or_b64 exec, exec, s[42:43]
	s_and_saveexec_b64 s[42:43], s[26:27]
	s_cbranch_execz .LBB2056_244
.LBB2056_303:
	v_sub_u32_e32 v26, v22, v8
	v_mov_b32_e32 v27, 0
	v_lshlrev_b64 v[26:27], 3, v[26:27]
	v_add_co_u32_e32 v26, vcc, v6, v26
	v_addc_co_u32_e32 v27, vcc, v7, v27, vcc
	global_store_dwordx2 v[26:27], v[45:46], off
	s_or_b64 exec, exec, s[42:43]
	s_and_saveexec_b64 s[42:43], s[24:25]
	s_cbranch_execz .LBB2056_245
.LBB2056_304:
	v_sub_u32_e32 v26, v21, v8
	v_mov_b32_e32 v27, 0
	v_lshlrev_b64 v[26:27], 3, v[26:27]
	v_add_co_u32_e32 v26, vcc, v6, v26
	v_addc_co_u32_e32 v27, vcc, v7, v27, vcc
	global_store_dwordx2 v[26:27], v[47:48], off
	s_or_b64 exec, exec, s[42:43]
	s_and_saveexec_b64 s[42:43], s[22:23]
	s_cbranch_execz .LBB2056_246
.LBB2056_305:
	v_sub_u32_e32 v26, v20, v8
	v_mov_b32_e32 v27, 0
	v_lshlrev_b64 v[26:27], 3, v[26:27]
	v_add_co_u32_e32 v26, vcc, v6, v26
	v_addc_co_u32_e32 v27, vcc, v7, v27, vcc
	global_store_dwordx2 v[26:27], v[49:50], off
	s_or_b64 exec, exec, s[42:43]
	s_and_saveexec_b64 s[42:43], s[20:21]
	s_cbranch_execz .LBB2056_247
.LBB2056_306:
	v_sub_u32_e32 v26, v19, v8
	v_mov_b32_e32 v27, 0
	v_lshlrev_b64 v[26:27], 3, v[26:27]
	v_add_co_u32_e32 v26, vcc, v6, v26
	v_addc_co_u32_e32 v27, vcc, v7, v27, vcc
	global_store_dwordx2 v[26:27], v[51:52], off
	s_or_b64 exec, exec, s[42:43]
	s_and_saveexec_b64 s[42:43], s[18:19]
	s_cbranch_execz .LBB2056_248
.LBB2056_307:
	v_sub_u32_e32 v26, v18, v8
	v_mov_b32_e32 v27, 0
	v_lshlrev_b64 v[26:27], 3, v[26:27]
	v_add_co_u32_e32 v26, vcc, v6, v26
	v_addc_co_u32_e32 v27, vcc, v7, v27, vcc
	global_store_dwordx2 v[26:27], v[53:54], off
	s_or_b64 exec, exec, s[42:43]
	s_and_saveexec_b64 s[42:43], s[16:17]
	s_cbranch_execz .LBB2056_249
.LBB2056_308:
	v_sub_u32_e32 v26, v17, v8
	v_mov_b32_e32 v27, 0
	v_lshlrev_b64 v[26:27], 3, v[26:27]
	v_add_co_u32_e32 v26, vcc, v6, v26
	v_addc_co_u32_e32 v27, vcc, v7, v27, vcc
	global_store_dwordx2 v[26:27], v[55:56], off
	s_or_b64 exec, exec, s[42:43]
	s_and_saveexec_b64 s[42:43], s[14:15]
	s_cbranch_execz .LBB2056_250
.LBB2056_309:
	v_sub_u32_e32 v26, v16, v8
	v_mov_b32_e32 v27, 0
	v_lshlrev_b64 v[26:27], 3, v[26:27]
	v_add_co_u32_e32 v26, vcc, v6, v26
	v_addc_co_u32_e32 v27, vcc, v7, v27, vcc
	global_store_dwordx2 v[26:27], v[57:58], off
	s_or_b64 exec, exec, s[42:43]
	s_and_saveexec_b64 s[42:43], s[12:13]
	s_cbranch_execz .LBB2056_251
.LBB2056_310:
	v_sub_u32_e32 v26, v15, v8
	v_mov_b32_e32 v27, 0
	v_lshlrev_b64 v[26:27], 3, v[26:27]
	v_add_co_u32_e32 v26, vcc, v6, v26
	v_addc_co_u32_e32 v27, vcc, v7, v27, vcc
	global_store_dwordx2 v[26:27], v[59:60], off
	s_or_b64 exec, exec, s[42:43]
	s_and_saveexec_b64 s[42:43], s[8:9]
	s_cbranch_execz .LBB2056_252
.LBB2056_311:
	v_sub_u32_e32 v26, v14, v8
	v_mov_b32_e32 v27, 0
	v_lshlrev_b64 v[26:27], 3, v[26:27]
	v_add_co_u32_e32 v26, vcc, v6, v26
	v_addc_co_u32_e32 v27, vcc, v7, v27, vcc
	global_store_dwordx2 v[26:27], v[61:62], off
	s_or_b64 exec, exec, s[42:43]
	s_and_saveexec_b64 s[42:43], s[10:11]
	s_cbranch_execz .LBB2056_253
.LBB2056_312:
	v_sub_u32_e32 v26, v13, v8
	v_mov_b32_e32 v27, 0
	v_lshlrev_b64 v[26:27], 3, v[26:27]
	v_add_co_u32_e32 v26, vcc, v6, v26
	v_addc_co_u32_e32 v27, vcc, v7, v27, vcc
	global_store_dwordx2 v[26:27], v[63:64], off
	s_or_b64 exec, exec, s[42:43]
	s_and_saveexec_b64 s[42:43], s[6:7]
	s_cbranch_execnz .LBB2056_254
	s_branch .LBB2056_255
.LBB2056_313:
	v_sub_u32_e32 v25, v36, v8
	v_lshlrev_b32_e32 v25, 3, v25
	ds_write_b64 v25, v[65:66]
	s_or_b64 exec, exec, s[42:43]
	s_and_saveexec_b64 s[34:35], s[30:31]
	s_cbranch_execz .LBB2056_259
.LBB2056_314:
	v_sub_u32_e32 v24, v24, v8
	v_lshlrev_b32_e32 v24, 3, v24
	ds_write_b64 v24, v[41:42]
	s_or_b64 exec, exec, s[34:35]
	s_and_saveexec_b64 s[30:31], s[28:29]
	s_cbranch_execz .LBB2056_260
.LBB2056_315:
	v_sub_u32_e32 v23, v23, v8
	v_lshlrev_b32_e32 v23, 3, v23
	ds_write_b64 v23, v[43:44]
	s_or_b64 exec, exec, s[30:31]
	s_and_saveexec_b64 s[28:29], s[26:27]
	s_cbranch_execz .LBB2056_261
.LBB2056_316:
	v_sub_u32_e32 v22, v22, v8
	v_lshlrev_b32_e32 v22, 3, v22
	ds_write_b64 v22, v[45:46]
	s_or_b64 exec, exec, s[28:29]
	s_and_saveexec_b64 s[26:27], s[24:25]
	s_cbranch_execz .LBB2056_262
.LBB2056_317:
	v_sub_u32_e32 v21, v21, v8
	v_lshlrev_b32_e32 v21, 3, v21
	ds_write_b64 v21, v[47:48]
	s_or_b64 exec, exec, s[26:27]
	s_and_saveexec_b64 s[24:25], s[22:23]
	s_cbranch_execz .LBB2056_263
.LBB2056_318:
	v_sub_u32_e32 v20, v20, v8
	v_lshlrev_b32_e32 v20, 3, v20
	ds_write_b64 v20, v[49:50]
	s_or_b64 exec, exec, s[24:25]
	s_and_saveexec_b64 s[22:23], s[20:21]
	s_cbranch_execz .LBB2056_264
.LBB2056_319:
	v_sub_u32_e32 v19, v19, v8
	v_lshlrev_b32_e32 v19, 3, v19
	ds_write_b64 v19, v[51:52]
	s_or_b64 exec, exec, s[22:23]
	s_and_saveexec_b64 s[20:21], s[18:19]
	s_cbranch_execz .LBB2056_265
.LBB2056_320:
	v_sub_u32_e32 v18, v18, v8
	v_lshlrev_b32_e32 v18, 3, v18
	ds_write_b64 v18, v[53:54]
	s_or_b64 exec, exec, s[20:21]
	s_and_saveexec_b64 s[18:19], s[16:17]
	s_cbranch_execz .LBB2056_266
.LBB2056_321:
	v_sub_u32_e32 v17, v17, v8
	v_lshlrev_b32_e32 v17, 3, v17
	ds_write_b64 v17, v[55:56]
	s_or_b64 exec, exec, s[18:19]
	s_and_saveexec_b64 s[16:17], s[14:15]
	s_cbranch_execz .LBB2056_267
.LBB2056_322:
	v_sub_u32_e32 v16, v16, v8
	v_lshlrev_b32_e32 v16, 3, v16
	ds_write_b64 v16, v[57:58]
	s_or_b64 exec, exec, s[16:17]
	s_and_saveexec_b64 s[14:15], s[12:13]
	s_cbranch_execz .LBB2056_268
.LBB2056_323:
	v_sub_u32_e32 v15, v15, v8
	v_lshlrev_b32_e32 v15, 3, v15
	ds_write_b64 v15, v[59:60]
	s_or_b64 exec, exec, s[14:15]
	s_and_saveexec_b64 s[12:13], s[8:9]
	s_cbranch_execz .LBB2056_269
.LBB2056_324:
	v_sub_u32_e32 v14, v14, v8
	v_lshlrev_b32_e32 v14, 3, v14
	ds_write_b64 v14, v[61:62]
	s_or_b64 exec, exec, s[12:13]
	s_and_saveexec_b64 s[8:9], s[10:11]
	s_cbranch_execz .LBB2056_270
.LBB2056_325:
	v_sub_u32_e32 v13, v13, v8
	v_lshlrev_b32_e32 v13, 3, v13
	ds_write_b64 v13, v[63:64]
	s_or_b64 exec, exec, s[8:9]
	s_and_saveexec_b64 s[8:9], s[6:7]
	s_cbranch_execnz .LBB2056_271
	s_branch .LBB2056_272
	.section	.rodata,"a",@progbits
	.p2align	6, 0x0
	.amdhsa_kernel _ZN7rocprim17ROCPRIM_400000_NS6detail17trampoline_kernelINS0_14default_configENS1_29reduce_by_key_config_selectorIN3c108BFloat16ElN6thrust23THRUST_200600_302600_NS4plusIlEEEEZZNS1_33reduce_by_key_impl_wrapped_configILNS1_25lookback_scan_determinismE0ES3_SB_PS6_NS8_17constant_iteratorIiNS8_11use_defaultESG_EENS8_10device_ptrIS6_EENSI_IlEEPmSA_NS8_8equal_toIS6_EEEE10hipError_tPvRmT2_T3_mT4_T5_T6_T7_T8_P12ihipStream_tbENKUlT_T0_E_clISt17integral_constantIbLb0EES15_EEDaS10_S11_EUlS10_E_NS1_11comp_targetILNS1_3genE2ELNS1_11target_archE906ELNS1_3gpuE6ELNS1_3repE0EEENS1_30default_config_static_selectorELNS0_4arch9wavefront6targetE1EEEvT1_
		.amdhsa_group_segment_fixed_size 30720
		.amdhsa_private_segment_fixed_size 64
		.amdhsa_kernarg_size 144
		.amdhsa_user_sgpr_count 6
		.amdhsa_user_sgpr_private_segment_buffer 1
		.amdhsa_user_sgpr_dispatch_ptr 0
		.amdhsa_user_sgpr_queue_ptr 0
		.amdhsa_user_sgpr_kernarg_segment_ptr 1
		.amdhsa_user_sgpr_dispatch_id 0
		.amdhsa_user_sgpr_flat_scratch_init 0
		.amdhsa_user_sgpr_private_segment_size 0
		.amdhsa_uses_dynamic_stack 0
		.amdhsa_system_sgpr_private_segment_wavefront_offset 1
		.amdhsa_system_sgpr_workgroup_id_x 1
		.amdhsa_system_sgpr_workgroup_id_y 0
		.amdhsa_system_sgpr_workgroup_id_z 0
		.amdhsa_system_sgpr_workgroup_info 0
		.amdhsa_system_vgpr_workitem_id 0
		.amdhsa_next_free_vgpr 105
		.amdhsa_next_free_sgpr 98
		.amdhsa_reserve_vcc 1
		.amdhsa_reserve_flat_scratch 0
		.amdhsa_float_round_mode_32 0
		.amdhsa_float_round_mode_16_64 0
		.amdhsa_float_denorm_mode_32 3
		.amdhsa_float_denorm_mode_16_64 3
		.amdhsa_dx10_clamp 1
		.amdhsa_ieee_mode 1
		.amdhsa_fp16_overflow 0
		.amdhsa_exception_fp_ieee_invalid_op 0
		.amdhsa_exception_fp_denorm_src 0
		.amdhsa_exception_fp_ieee_div_zero 0
		.amdhsa_exception_fp_ieee_overflow 0
		.amdhsa_exception_fp_ieee_underflow 0
		.amdhsa_exception_fp_ieee_inexact 0
		.amdhsa_exception_int_div_zero 0
	.end_amdhsa_kernel
	.section	.text._ZN7rocprim17ROCPRIM_400000_NS6detail17trampoline_kernelINS0_14default_configENS1_29reduce_by_key_config_selectorIN3c108BFloat16ElN6thrust23THRUST_200600_302600_NS4plusIlEEEEZZNS1_33reduce_by_key_impl_wrapped_configILNS1_25lookback_scan_determinismE0ES3_SB_PS6_NS8_17constant_iteratorIiNS8_11use_defaultESG_EENS8_10device_ptrIS6_EENSI_IlEEPmSA_NS8_8equal_toIS6_EEEE10hipError_tPvRmT2_T3_mT4_T5_T6_T7_T8_P12ihipStream_tbENKUlT_T0_E_clISt17integral_constantIbLb0EES15_EEDaS10_S11_EUlS10_E_NS1_11comp_targetILNS1_3genE2ELNS1_11target_archE906ELNS1_3gpuE6ELNS1_3repE0EEENS1_30default_config_static_selectorELNS0_4arch9wavefront6targetE1EEEvT1_,"axG",@progbits,_ZN7rocprim17ROCPRIM_400000_NS6detail17trampoline_kernelINS0_14default_configENS1_29reduce_by_key_config_selectorIN3c108BFloat16ElN6thrust23THRUST_200600_302600_NS4plusIlEEEEZZNS1_33reduce_by_key_impl_wrapped_configILNS1_25lookback_scan_determinismE0ES3_SB_PS6_NS8_17constant_iteratorIiNS8_11use_defaultESG_EENS8_10device_ptrIS6_EENSI_IlEEPmSA_NS8_8equal_toIS6_EEEE10hipError_tPvRmT2_T3_mT4_T5_T6_T7_T8_P12ihipStream_tbENKUlT_T0_E_clISt17integral_constantIbLb0EES15_EEDaS10_S11_EUlS10_E_NS1_11comp_targetILNS1_3genE2ELNS1_11target_archE906ELNS1_3gpuE6ELNS1_3repE0EEENS1_30default_config_static_selectorELNS0_4arch9wavefront6targetE1EEEvT1_,comdat
.Lfunc_end2056:
	.size	_ZN7rocprim17ROCPRIM_400000_NS6detail17trampoline_kernelINS0_14default_configENS1_29reduce_by_key_config_selectorIN3c108BFloat16ElN6thrust23THRUST_200600_302600_NS4plusIlEEEEZZNS1_33reduce_by_key_impl_wrapped_configILNS1_25lookback_scan_determinismE0ES3_SB_PS6_NS8_17constant_iteratorIiNS8_11use_defaultESG_EENS8_10device_ptrIS6_EENSI_IlEEPmSA_NS8_8equal_toIS6_EEEE10hipError_tPvRmT2_T3_mT4_T5_T6_T7_T8_P12ihipStream_tbENKUlT_T0_E_clISt17integral_constantIbLb0EES15_EEDaS10_S11_EUlS10_E_NS1_11comp_targetILNS1_3genE2ELNS1_11target_archE906ELNS1_3gpuE6ELNS1_3repE0EEENS1_30default_config_static_selectorELNS0_4arch9wavefront6targetE1EEEvT1_, .Lfunc_end2056-_ZN7rocprim17ROCPRIM_400000_NS6detail17trampoline_kernelINS0_14default_configENS1_29reduce_by_key_config_selectorIN3c108BFloat16ElN6thrust23THRUST_200600_302600_NS4plusIlEEEEZZNS1_33reduce_by_key_impl_wrapped_configILNS1_25lookback_scan_determinismE0ES3_SB_PS6_NS8_17constant_iteratorIiNS8_11use_defaultESG_EENS8_10device_ptrIS6_EENSI_IlEEPmSA_NS8_8equal_toIS6_EEEE10hipError_tPvRmT2_T3_mT4_T5_T6_T7_T8_P12ihipStream_tbENKUlT_T0_E_clISt17integral_constantIbLb0EES15_EEDaS10_S11_EUlS10_E_NS1_11comp_targetILNS1_3genE2ELNS1_11target_archE906ELNS1_3gpuE6ELNS1_3repE0EEENS1_30default_config_static_selectorELNS0_4arch9wavefront6targetE1EEEvT1_
                                        ; -- End function
	.set _ZN7rocprim17ROCPRIM_400000_NS6detail17trampoline_kernelINS0_14default_configENS1_29reduce_by_key_config_selectorIN3c108BFloat16ElN6thrust23THRUST_200600_302600_NS4plusIlEEEEZZNS1_33reduce_by_key_impl_wrapped_configILNS1_25lookback_scan_determinismE0ES3_SB_PS6_NS8_17constant_iteratorIiNS8_11use_defaultESG_EENS8_10device_ptrIS6_EENSI_IlEEPmSA_NS8_8equal_toIS6_EEEE10hipError_tPvRmT2_T3_mT4_T5_T6_T7_T8_P12ihipStream_tbENKUlT_T0_E_clISt17integral_constantIbLb0EES15_EEDaS10_S11_EUlS10_E_NS1_11comp_targetILNS1_3genE2ELNS1_11target_archE906ELNS1_3gpuE6ELNS1_3repE0EEENS1_30default_config_static_selectorELNS0_4arch9wavefront6targetE1EEEvT1_.num_vgpr, 105
	.set _ZN7rocprim17ROCPRIM_400000_NS6detail17trampoline_kernelINS0_14default_configENS1_29reduce_by_key_config_selectorIN3c108BFloat16ElN6thrust23THRUST_200600_302600_NS4plusIlEEEEZZNS1_33reduce_by_key_impl_wrapped_configILNS1_25lookback_scan_determinismE0ES3_SB_PS6_NS8_17constant_iteratorIiNS8_11use_defaultESG_EENS8_10device_ptrIS6_EENSI_IlEEPmSA_NS8_8equal_toIS6_EEEE10hipError_tPvRmT2_T3_mT4_T5_T6_T7_T8_P12ihipStream_tbENKUlT_T0_E_clISt17integral_constantIbLb0EES15_EEDaS10_S11_EUlS10_E_NS1_11comp_targetILNS1_3genE2ELNS1_11target_archE906ELNS1_3gpuE6ELNS1_3repE0EEENS1_30default_config_static_selectorELNS0_4arch9wavefront6targetE1EEEvT1_.num_agpr, 0
	.set _ZN7rocprim17ROCPRIM_400000_NS6detail17trampoline_kernelINS0_14default_configENS1_29reduce_by_key_config_selectorIN3c108BFloat16ElN6thrust23THRUST_200600_302600_NS4plusIlEEEEZZNS1_33reduce_by_key_impl_wrapped_configILNS1_25lookback_scan_determinismE0ES3_SB_PS6_NS8_17constant_iteratorIiNS8_11use_defaultESG_EENS8_10device_ptrIS6_EENSI_IlEEPmSA_NS8_8equal_toIS6_EEEE10hipError_tPvRmT2_T3_mT4_T5_T6_T7_T8_P12ihipStream_tbENKUlT_T0_E_clISt17integral_constantIbLb0EES15_EEDaS10_S11_EUlS10_E_NS1_11comp_targetILNS1_3genE2ELNS1_11target_archE906ELNS1_3gpuE6ELNS1_3repE0EEENS1_30default_config_static_selectorELNS0_4arch9wavefront6targetE1EEEvT1_.numbered_sgpr, 66
	.set _ZN7rocprim17ROCPRIM_400000_NS6detail17trampoline_kernelINS0_14default_configENS1_29reduce_by_key_config_selectorIN3c108BFloat16ElN6thrust23THRUST_200600_302600_NS4plusIlEEEEZZNS1_33reduce_by_key_impl_wrapped_configILNS1_25lookback_scan_determinismE0ES3_SB_PS6_NS8_17constant_iteratorIiNS8_11use_defaultESG_EENS8_10device_ptrIS6_EENSI_IlEEPmSA_NS8_8equal_toIS6_EEEE10hipError_tPvRmT2_T3_mT4_T5_T6_T7_T8_P12ihipStream_tbENKUlT_T0_E_clISt17integral_constantIbLb0EES15_EEDaS10_S11_EUlS10_E_NS1_11comp_targetILNS1_3genE2ELNS1_11target_archE906ELNS1_3gpuE6ELNS1_3repE0EEENS1_30default_config_static_selectorELNS0_4arch9wavefront6targetE1EEEvT1_.num_named_barrier, 0
	.set _ZN7rocprim17ROCPRIM_400000_NS6detail17trampoline_kernelINS0_14default_configENS1_29reduce_by_key_config_selectorIN3c108BFloat16ElN6thrust23THRUST_200600_302600_NS4plusIlEEEEZZNS1_33reduce_by_key_impl_wrapped_configILNS1_25lookback_scan_determinismE0ES3_SB_PS6_NS8_17constant_iteratorIiNS8_11use_defaultESG_EENS8_10device_ptrIS6_EENSI_IlEEPmSA_NS8_8equal_toIS6_EEEE10hipError_tPvRmT2_T3_mT4_T5_T6_T7_T8_P12ihipStream_tbENKUlT_T0_E_clISt17integral_constantIbLb0EES15_EEDaS10_S11_EUlS10_E_NS1_11comp_targetILNS1_3genE2ELNS1_11target_archE906ELNS1_3gpuE6ELNS1_3repE0EEENS1_30default_config_static_selectorELNS0_4arch9wavefront6targetE1EEEvT1_.private_seg_size, 64
	.set _ZN7rocprim17ROCPRIM_400000_NS6detail17trampoline_kernelINS0_14default_configENS1_29reduce_by_key_config_selectorIN3c108BFloat16ElN6thrust23THRUST_200600_302600_NS4plusIlEEEEZZNS1_33reduce_by_key_impl_wrapped_configILNS1_25lookback_scan_determinismE0ES3_SB_PS6_NS8_17constant_iteratorIiNS8_11use_defaultESG_EENS8_10device_ptrIS6_EENSI_IlEEPmSA_NS8_8equal_toIS6_EEEE10hipError_tPvRmT2_T3_mT4_T5_T6_T7_T8_P12ihipStream_tbENKUlT_T0_E_clISt17integral_constantIbLb0EES15_EEDaS10_S11_EUlS10_E_NS1_11comp_targetILNS1_3genE2ELNS1_11target_archE906ELNS1_3gpuE6ELNS1_3repE0EEENS1_30default_config_static_selectorELNS0_4arch9wavefront6targetE1EEEvT1_.uses_vcc, 1
	.set _ZN7rocprim17ROCPRIM_400000_NS6detail17trampoline_kernelINS0_14default_configENS1_29reduce_by_key_config_selectorIN3c108BFloat16ElN6thrust23THRUST_200600_302600_NS4plusIlEEEEZZNS1_33reduce_by_key_impl_wrapped_configILNS1_25lookback_scan_determinismE0ES3_SB_PS6_NS8_17constant_iteratorIiNS8_11use_defaultESG_EENS8_10device_ptrIS6_EENSI_IlEEPmSA_NS8_8equal_toIS6_EEEE10hipError_tPvRmT2_T3_mT4_T5_T6_T7_T8_P12ihipStream_tbENKUlT_T0_E_clISt17integral_constantIbLb0EES15_EEDaS10_S11_EUlS10_E_NS1_11comp_targetILNS1_3genE2ELNS1_11target_archE906ELNS1_3gpuE6ELNS1_3repE0EEENS1_30default_config_static_selectorELNS0_4arch9wavefront6targetE1EEEvT1_.uses_flat_scratch, 0
	.set _ZN7rocprim17ROCPRIM_400000_NS6detail17trampoline_kernelINS0_14default_configENS1_29reduce_by_key_config_selectorIN3c108BFloat16ElN6thrust23THRUST_200600_302600_NS4plusIlEEEEZZNS1_33reduce_by_key_impl_wrapped_configILNS1_25lookback_scan_determinismE0ES3_SB_PS6_NS8_17constant_iteratorIiNS8_11use_defaultESG_EENS8_10device_ptrIS6_EENSI_IlEEPmSA_NS8_8equal_toIS6_EEEE10hipError_tPvRmT2_T3_mT4_T5_T6_T7_T8_P12ihipStream_tbENKUlT_T0_E_clISt17integral_constantIbLb0EES15_EEDaS10_S11_EUlS10_E_NS1_11comp_targetILNS1_3genE2ELNS1_11target_archE906ELNS1_3gpuE6ELNS1_3repE0EEENS1_30default_config_static_selectorELNS0_4arch9wavefront6targetE1EEEvT1_.has_dyn_sized_stack, 0
	.set _ZN7rocprim17ROCPRIM_400000_NS6detail17trampoline_kernelINS0_14default_configENS1_29reduce_by_key_config_selectorIN3c108BFloat16ElN6thrust23THRUST_200600_302600_NS4plusIlEEEEZZNS1_33reduce_by_key_impl_wrapped_configILNS1_25lookback_scan_determinismE0ES3_SB_PS6_NS8_17constant_iteratorIiNS8_11use_defaultESG_EENS8_10device_ptrIS6_EENSI_IlEEPmSA_NS8_8equal_toIS6_EEEE10hipError_tPvRmT2_T3_mT4_T5_T6_T7_T8_P12ihipStream_tbENKUlT_T0_E_clISt17integral_constantIbLb0EES15_EEDaS10_S11_EUlS10_E_NS1_11comp_targetILNS1_3genE2ELNS1_11target_archE906ELNS1_3gpuE6ELNS1_3repE0EEENS1_30default_config_static_selectorELNS0_4arch9wavefront6targetE1EEEvT1_.has_recursion, 0
	.set _ZN7rocprim17ROCPRIM_400000_NS6detail17trampoline_kernelINS0_14default_configENS1_29reduce_by_key_config_selectorIN3c108BFloat16ElN6thrust23THRUST_200600_302600_NS4plusIlEEEEZZNS1_33reduce_by_key_impl_wrapped_configILNS1_25lookback_scan_determinismE0ES3_SB_PS6_NS8_17constant_iteratorIiNS8_11use_defaultESG_EENS8_10device_ptrIS6_EENSI_IlEEPmSA_NS8_8equal_toIS6_EEEE10hipError_tPvRmT2_T3_mT4_T5_T6_T7_T8_P12ihipStream_tbENKUlT_T0_E_clISt17integral_constantIbLb0EES15_EEDaS10_S11_EUlS10_E_NS1_11comp_targetILNS1_3genE2ELNS1_11target_archE906ELNS1_3gpuE6ELNS1_3repE0EEENS1_30default_config_static_selectorELNS0_4arch9wavefront6targetE1EEEvT1_.has_indirect_call, 0
	.section	.AMDGPU.csdata,"",@progbits
; Kernel info:
; codeLenInByte = 17528
; TotalNumSgprs: 70
; NumVgprs: 105
; ScratchSize: 64
; MemoryBound: 0
; FloatMode: 240
; IeeeMode: 1
; LDSByteSize: 30720 bytes/workgroup (compile time only)
; SGPRBlocks: 12
; VGPRBlocks: 26
; NumSGPRsForWavesPerEU: 102
; NumVGPRsForWavesPerEU: 105
; Occupancy: 2
; WaveLimiterHint : 1
; COMPUTE_PGM_RSRC2:SCRATCH_EN: 1
; COMPUTE_PGM_RSRC2:USER_SGPR: 6
; COMPUTE_PGM_RSRC2:TRAP_HANDLER: 0
; COMPUTE_PGM_RSRC2:TGID_X_EN: 1
; COMPUTE_PGM_RSRC2:TGID_Y_EN: 0
; COMPUTE_PGM_RSRC2:TGID_Z_EN: 0
; COMPUTE_PGM_RSRC2:TIDIG_COMP_CNT: 0
	.section	.text._ZN7rocprim17ROCPRIM_400000_NS6detail17trampoline_kernelINS0_14default_configENS1_29reduce_by_key_config_selectorIN3c108BFloat16ElN6thrust23THRUST_200600_302600_NS4plusIlEEEEZZNS1_33reduce_by_key_impl_wrapped_configILNS1_25lookback_scan_determinismE0ES3_SB_PS6_NS8_17constant_iteratorIiNS8_11use_defaultESG_EENS8_10device_ptrIS6_EENSI_IlEEPmSA_NS8_8equal_toIS6_EEEE10hipError_tPvRmT2_T3_mT4_T5_T6_T7_T8_P12ihipStream_tbENKUlT_T0_E_clISt17integral_constantIbLb0EES15_EEDaS10_S11_EUlS10_E_NS1_11comp_targetILNS1_3genE10ELNS1_11target_archE1201ELNS1_3gpuE5ELNS1_3repE0EEENS1_30default_config_static_selectorELNS0_4arch9wavefront6targetE1EEEvT1_,"axG",@progbits,_ZN7rocprim17ROCPRIM_400000_NS6detail17trampoline_kernelINS0_14default_configENS1_29reduce_by_key_config_selectorIN3c108BFloat16ElN6thrust23THRUST_200600_302600_NS4plusIlEEEEZZNS1_33reduce_by_key_impl_wrapped_configILNS1_25lookback_scan_determinismE0ES3_SB_PS6_NS8_17constant_iteratorIiNS8_11use_defaultESG_EENS8_10device_ptrIS6_EENSI_IlEEPmSA_NS8_8equal_toIS6_EEEE10hipError_tPvRmT2_T3_mT4_T5_T6_T7_T8_P12ihipStream_tbENKUlT_T0_E_clISt17integral_constantIbLb0EES15_EEDaS10_S11_EUlS10_E_NS1_11comp_targetILNS1_3genE10ELNS1_11target_archE1201ELNS1_3gpuE5ELNS1_3repE0EEENS1_30default_config_static_selectorELNS0_4arch9wavefront6targetE1EEEvT1_,comdat
	.protected	_ZN7rocprim17ROCPRIM_400000_NS6detail17trampoline_kernelINS0_14default_configENS1_29reduce_by_key_config_selectorIN3c108BFloat16ElN6thrust23THRUST_200600_302600_NS4plusIlEEEEZZNS1_33reduce_by_key_impl_wrapped_configILNS1_25lookback_scan_determinismE0ES3_SB_PS6_NS8_17constant_iteratorIiNS8_11use_defaultESG_EENS8_10device_ptrIS6_EENSI_IlEEPmSA_NS8_8equal_toIS6_EEEE10hipError_tPvRmT2_T3_mT4_T5_T6_T7_T8_P12ihipStream_tbENKUlT_T0_E_clISt17integral_constantIbLb0EES15_EEDaS10_S11_EUlS10_E_NS1_11comp_targetILNS1_3genE10ELNS1_11target_archE1201ELNS1_3gpuE5ELNS1_3repE0EEENS1_30default_config_static_selectorELNS0_4arch9wavefront6targetE1EEEvT1_ ; -- Begin function _ZN7rocprim17ROCPRIM_400000_NS6detail17trampoline_kernelINS0_14default_configENS1_29reduce_by_key_config_selectorIN3c108BFloat16ElN6thrust23THRUST_200600_302600_NS4plusIlEEEEZZNS1_33reduce_by_key_impl_wrapped_configILNS1_25lookback_scan_determinismE0ES3_SB_PS6_NS8_17constant_iteratorIiNS8_11use_defaultESG_EENS8_10device_ptrIS6_EENSI_IlEEPmSA_NS8_8equal_toIS6_EEEE10hipError_tPvRmT2_T3_mT4_T5_T6_T7_T8_P12ihipStream_tbENKUlT_T0_E_clISt17integral_constantIbLb0EES15_EEDaS10_S11_EUlS10_E_NS1_11comp_targetILNS1_3genE10ELNS1_11target_archE1201ELNS1_3gpuE5ELNS1_3repE0EEENS1_30default_config_static_selectorELNS0_4arch9wavefront6targetE1EEEvT1_
	.globl	_ZN7rocprim17ROCPRIM_400000_NS6detail17trampoline_kernelINS0_14default_configENS1_29reduce_by_key_config_selectorIN3c108BFloat16ElN6thrust23THRUST_200600_302600_NS4plusIlEEEEZZNS1_33reduce_by_key_impl_wrapped_configILNS1_25lookback_scan_determinismE0ES3_SB_PS6_NS8_17constant_iteratorIiNS8_11use_defaultESG_EENS8_10device_ptrIS6_EENSI_IlEEPmSA_NS8_8equal_toIS6_EEEE10hipError_tPvRmT2_T3_mT4_T5_T6_T7_T8_P12ihipStream_tbENKUlT_T0_E_clISt17integral_constantIbLb0EES15_EEDaS10_S11_EUlS10_E_NS1_11comp_targetILNS1_3genE10ELNS1_11target_archE1201ELNS1_3gpuE5ELNS1_3repE0EEENS1_30default_config_static_selectorELNS0_4arch9wavefront6targetE1EEEvT1_
	.p2align	8
	.type	_ZN7rocprim17ROCPRIM_400000_NS6detail17trampoline_kernelINS0_14default_configENS1_29reduce_by_key_config_selectorIN3c108BFloat16ElN6thrust23THRUST_200600_302600_NS4plusIlEEEEZZNS1_33reduce_by_key_impl_wrapped_configILNS1_25lookback_scan_determinismE0ES3_SB_PS6_NS8_17constant_iteratorIiNS8_11use_defaultESG_EENS8_10device_ptrIS6_EENSI_IlEEPmSA_NS8_8equal_toIS6_EEEE10hipError_tPvRmT2_T3_mT4_T5_T6_T7_T8_P12ihipStream_tbENKUlT_T0_E_clISt17integral_constantIbLb0EES15_EEDaS10_S11_EUlS10_E_NS1_11comp_targetILNS1_3genE10ELNS1_11target_archE1201ELNS1_3gpuE5ELNS1_3repE0EEENS1_30default_config_static_selectorELNS0_4arch9wavefront6targetE1EEEvT1_,@function
_ZN7rocprim17ROCPRIM_400000_NS6detail17trampoline_kernelINS0_14default_configENS1_29reduce_by_key_config_selectorIN3c108BFloat16ElN6thrust23THRUST_200600_302600_NS4plusIlEEEEZZNS1_33reduce_by_key_impl_wrapped_configILNS1_25lookback_scan_determinismE0ES3_SB_PS6_NS8_17constant_iteratorIiNS8_11use_defaultESG_EENS8_10device_ptrIS6_EENSI_IlEEPmSA_NS8_8equal_toIS6_EEEE10hipError_tPvRmT2_T3_mT4_T5_T6_T7_T8_P12ihipStream_tbENKUlT_T0_E_clISt17integral_constantIbLb0EES15_EEDaS10_S11_EUlS10_E_NS1_11comp_targetILNS1_3genE10ELNS1_11target_archE1201ELNS1_3gpuE5ELNS1_3repE0EEENS1_30default_config_static_selectorELNS0_4arch9wavefront6targetE1EEEvT1_: ; @_ZN7rocprim17ROCPRIM_400000_NS6detail17trampoline_kernelINS0_14default_configENS1_29reduce_by_key_config_selectorIN3c108BFloat16ElN6thrust23THRUST_200600_302600_NS4plusIlEEEEZZNS1_33reduce_by_key_impl_wrapped_configILNS1_25lookback_scan_determinismE0ES3_SB_PS6_NS8_17constant_iteratorIiNS8_11use_defaultESG_EENS8_10device_ptrIS6_EENSI_IlEEPmSA_NS8_8equal_toIS6_EEEE10hipError_tPvRmT2_T3_mT4_T5_T6_T7_T8_P12ihipStream_tbENKUlT_T0_E_clISt17integral_constantIbLb0EES15_EEDaS10_S11_EUlS10_E_NS1_11comp_targetILNS1_3genE10ELNS1_11target_archE1201ELNS1_3gpuE5ELNS1_3repE0EEENS1_30default_config_static_selectorELNS0_4arch9wavefront6targetE1EEEvT1_
; %bb.0:
	.section	.rodata,"a",@progbits
	.p2align	6, 0x0
	.amdhsa_kernel _ZN7rocprim17ROCPRIM_400000_NS6detail17trampoline_kernelINS0_14default_configENS1_29reduce_by_key_config_selectorIN3c108BFloat16ElN6thrust23THRUST_200600_302600_NS4plusIlEEEEZZNS1_33reduce_by_key_impl_wrapped_configILNS1_25lookback_scan_determinismE0ES3_SB_PS6_NS8_17constant_iteratorIiNS8_11use_defaultESG_EENS8_10device_ptrIS6_EENSI_IlEEPmSA_NS8_8equal_toIS6_EEEE10hipError_tPvRmT2_T3_mT4_T5_T6_T7_T8_P12ihipStream_tbENKUlT_T0_E_clISt17integral_constantIbLb0EES15_EEDaS10_S11_EUlS10_E_NS1_11comp_targetILNS1_3genE10ELNS1_11target_archE1201ELNS1_3gpuE5ELNS1_3repE0EEENS1_30default_config_static_selectorELNS0_4arch9wavefront6targetE1EEEvT1_
		.amdhsa_group_segment_fixed_size 0
		.amdhsa_private_segment_fixed_size 0
		.amdhsa_kernarg_size 144
		.amdhsa_user_sgpr_count 6
		.amdhsa_user_sgpr_private_segment_buffer 1
		.amdhsa_user_sgpr_dispatch_ptr 0
		.amdhsa_user_sgpr_queue_ptr 0
		.amdhsa_user_sgpr_kernarg_segment_ptr 1
		.amdhsa_user_sgpr_dispatch_id 0
		.amdhsa_user_sgpr_flat_scratch_init 0
		.amdhsa_user_sgpr_private_segment_size 0
		.amdhsa_uses_dynamic_stack 0
		.amdhsa_system_sgpr_private_segment_wavefront_offset 0
		.amdhsa_system_sgpr_workgroup_id_x 1
		.amdhsa_system_sgpr_workgroup_id_y 0
		.amdhsa_system_sgpr_workgroup_id_z 0
		.amdhsa_system_sgpr_workgroup_info 0
		.amdhsa_system_vgpr_workitem_id 0
		.amdhsa_next_free_vgpr 1
		.amdhsa_next_free_sgpr 0
		.amdhsa_reserve_vcc 0
		.amdhsa_reserve_flat_scratch 0
		.amdhsa_float_round_mode_32 0
		.amdhsa_float_round_mode_16_64 0
		.amdhsa_float_denorm_mode_32 3
		.amdhsa_float_denorm_mode_16_64 3
		.amdhsa_dx10_clamp 1
		.amdhsa_ieee_mode 1
		.amdhsa_fp16_overflow 0
		.amdhsa_exception_fp_ieee_invalid_op 0
		.amdhsa_exception_fp_denorm_src 0
		.amdhsa_exception_fp_ieee_div_zero 0
		.amdhsa_exception_fp_ieee_overflow 0
		.amdhsa_exception_fp_ieee_underflow 0
		.amdhsa_exception_fp_ieee_inexact 0
		.amdhsa_exception_int_div_zero 0
	.end_amdhsa_kernel
	.section	.text._ZN7rocprim17ROCPRIM_400000_NS6detail17trampoline_kernelINS0_14default_configENS1_29reduce_by_key_config_selectorIN3c108BFloat16ElN6thrust23THRUST_200600_302600_NS4plusIlEEEEZZNS1_33reduce_by_key_impl_wrapped_configILNS1_25lookback_scan_determinismE0ES3_SB_PS6_NS8_17constant_iteratorIiNS8_11use_defaultESG_EENS8_10device_ptrIS6_EENSI_IlEEPmSA_NS8_8equal_toIS6_EEEE10hipError_tPvRmT2_T3_mT4_T5_T6_T7_T8_P12ihipStream_tbENKUlT_T0_E_clISt17integral_constantIbLb0EES15_EEDaS10_S11_EUlS10_E_NS1_11comp_targetILNS1_3genE10ELNS1_11target_archE1201ELNS1_3gpuE5ELNS1_3repE0EEENS1_30default_config_static_selectorELNS0_4arch9wavefront6targetE1EEEvT1_,"axG",@progbits,_ZN7rocprim17ROCPRIM_400000_NS6detail17trampoline_kernelINS0_14default_configENS1_29reduce_by_key_config_selectorIN3c108BFloat16ElN6thrust23THRUST_200600_302600_NS4plusIlEEEEZZNS1_33reduce_by_key_impl_wrapped_configILNS1_25lookback_scan_determinismE0ES3_SB_PS6_NS8_17constant_iteratorIiNS8_11use_defaultESG_EENS8_10device_ptrIS6_EENSI_IlEEPmSA_NS8_8equal_toIS6_EEEE10hipError_tPvRmT2_T3_mT4_T5_T6_T7_T8_P12ihipStream_tbENKUlT_T0_E_clISt17integral_constantIbLb0EES15_EEDaS10_S11_EUlS10_E_NS1_11comp_targetILNS1_3genE10ELNS1_11target_archE1201ELNS1_3gpuE5ELNS1_3repE0EEENS1_30default_config_static_selectorELNS0_4arch9wavefront6targetE1EEEvT1_,comdat
.Lfunc_end2057:
	.size	_ZN7rocprim17ROCPRIM_400000_NS6detail17trampoline_kernelINS0_14default_configENS1_29reduce_by_key_config_selectorIN3c108BFloat16ElN6thrust23THRUST_200600_302600_NS4plusIlEEEEZZNS1_33reduce_by_key_impl_wrapped_configILNS1_25lookback_scan_determinismE0ES3_SB_PS6_NS8_17constant_iteratorIiNS8_11use_defaultESG_EENS8_10device_ptrIS6_EENSI_IlEEPmSA_NS8_8equal_toIS6_EEEE10hipError_tPvRmT2_T3_mT4_T5_T6_T7_T8_P12ihipStream_tbENKUlT_T0_E_clISt17integral_constantIbLb0EES15_EEDaS10_S11_EUlS10_E_NS1_11comp_targetILNS1_3genE10ELNS1_11target_archE1201ELNS1_3gpuE5ELNS1_3repE0EEENS1_30default_config_static_selectorELNS0_4arch9wavefront6targetE1EEEvT1_, .Lfunc_end2057-_ZN7rocprim17ROCPRIM_400000_NS6detail17trampoline_kernelINS0_14default_configENS1_29reduce_by_key_config_selectorIN3c108BFloat16ElN6thrust23THRUST_200600_302600_NS4plusIlEEEEZZNS1_33reduce_by_key_impl_wrapped_configILNS1_25lookback_scan_determinismE0ES3_SB_PS6_NS8_17constant_iteratorIiNS8_11use_defaultESG_EENS8_10device_ptrIS6_EENSI_IlEEPmSA_NS8_8equal_toIS6_EEEE10hipError_tPvRmT2_T3_mT4_T5_T6_T7_T8_P12ihipStream_tbENKUlT_T0_E_clISt17integral_constantIbLb0EES15_EEDaS10_S11_EUlS10_E_NS1_11comp_targetILNS1_3genE10ELNS1_11target_archE1201ELNS1_3gpuE5ELNS1_3repE0EEENS1_30default_config_static_selectorELNS0_4arch9wavefront6targetE1EEEvT1_
                                        ; -- End function
	.set _ZN7rocprim17ROCPRIM_400000_NS6detail17trampoline_kernelINS0_14default_configENS1_29reduce_by_key_config_selectorIN3c108BFloat16ElN6thrust23THRUST_200600_302600_NS4plusIlEEEEZZNS1_33reduce_by_key_impl_wrapped_configILNS1_25lookback_scan_determinismE0ES3_SB_PS6_NS8_17constant_iteratorIiNS8_11use_defaultESG_EENS8_10device_ptrIS6_EENSI_IlEEPmSA_NS8_8equal_toIS6_EEEE10hipError_tPvRmT2_T3_mT4_T5_T6_T7_T8_P12ihipStream_tbENKUlT_T0_E_clISt17integral_constantIbLb0EES15_EEDaS10_S11_EUlS10_E_NS1_11comp_targetILNS1_3genE10ELNS1_11target_archE1201ELNS1_3gpuE5ELNS1_3repE0EEENS1_30default_config_static_selectorELNS0_4arch9wavefront6targetE1EEEvT1_.num_vgpr, 0
	.set _ZN7rocprim17ROCPRIM_400000_NS6detail17trampoline_kernelINS0_14default_configENS1_29reduce_by_key_config_selectorIN3c108BFloat16ElN6thrust23THRUST_200600_302600_NS4plusIlEEEEZZNS1_33reduce_by_key_impl_wrapped_configILNS1_25lookback_scan_determinismE0ES3_SB_PS6_NS8_17constant_iteratorIiNS8_11use_defaultESG_EENS8_10device_ptrIS6_EENSI_IlEEPmSA_NS8_8equal_toIS6_EEEE10hipError_tPvRmT2_T3_mT4_T5_T6_T7_T8_P12ihipStream_tbENKUlT_T0_E_clISt17integral_constantIbLb0EES15_EEDaS10_S11_EUlS10_E_NS1_11comp_targetILNS1_3genE10ELNS1_11target_archE1201ELNS1_3gpuE5ELNS1_3repE0EEENS1_30default_config_static_selectorELNS0_4arch9wavefront6targetE1EEEvT1_.num_agpr, 0
	.set _ZN7rocprim17ROCPRIM_400000_NS6detail17trampoline_kernelINS0_14default_configENS1_29reduce_by_key_config_selectorIN3c108BFloat16ElN6thrust23THRUST_200600_302600_NS4plusIlEEEEZZNS1_33reduce_by_key_impl_wrapped_configILNS1_25lookback_scan_determinismE0ES3_SB_PS6_NS8_17constant_iteratorIiNS8_11use_defaultESG_EENS8_10device_ptrIS6_EENSI_IlEEPmSA_NS8_8equal_toIS6_EEEE10hipError_tPvRmT2_T3_mT4_T5_T6_T7_T8_P12ihipStream_tbENKUlT_T0_E_clISt17integral_constantIbLb0EES15_EEDaS10_S11_EUlS10_E_NS1_11comp_targetILNS1_3genE10ELNS1_11target_archE1201ELNS1_3gpuE5ELNS1_3repE0EEENS1_30default_config_static_selectorELNS0_4arch9wavefront6targetE1EEEvT1_.numbered_sgpr, 0
	.set _ZN7rocprim17ROCPRIM_400000_NS6detail17trampoline_kernelINS0_14default_configENS1_29reduce_by_key_config_selectorIN3c108BFloat16ElN6thrust23THRUST_200600_302600_NS4plusIlEEEEZZNS1_33reduce_by_key_impl_wrapped_configILNS1_25lookback_scan_determinismE0ES3_SB_PS6_NS8_17constant_iteratorIiNS8_11use_defaultESG_EENS8_10device_ptrIS6_EENSI_IlEEPmSA_NS8_8equal_toIS6_EEEE10hipError_tPvRmT2_T3_mT4_T5_T6_T7_T8_P12ihipStream_tbENKUlT_T0_E_clISt17integral_constantIbLb0EES15_EEDaS10_S11_EUlS10_E_NS1_11comp_targetILNS1_3genE10ELNS1_11target_archE1201ELNS1_3gpuE5ELNS1_3repE0EEENS1_30default_config_static_selectorELNS0_4arch9wavefront6targetE1EEEvT1_.num_named_barrier, 0
	.set _ZN7rocprim17ROCPRIM_400000_NS6detail17trampoline_kernelINS0_14default_configENS1_29reduce_by_key_config_selectorIN3c108BFloat16ElN6thrust23THRUST_200600_302600_NS4plusIlEEEEZZNS1_33reduce_by_key_impl_wrapped_configILNS1_25lookback_scan_determinismE0ES3_SB_PS6_NS8_17constant_iteratorIiNS8_11use_defaultESG_EENS8_10device_ptrIS6_EENSI_IlEEPmSA_NS8_8equal_toIS6_EEEE10hipError_tPvRmT2_T3_mT4_T5_T6_T7_T8_P12ihipStream_tbENKUlT_T0_E_clISt17integral_constantIbLb0EES15_EEDaS10_S11_EUlS10_E_NS1_11comp_targetILNS1_3genE10ELNS1_11target_archE1201ELNS1_3gpuE5ELNS1_3repE0EEENS1_30default_config_static_selectorELNS0_4arch9wavefront6targetE1EEEvT1_.private_seg_size, 0
	.set _ZN7rocprim17ROCPRIM_400000_NS6detail17trampoline_kernelINS0_14default_configENS1_29reduce_by_key_config_selectorIN3c108BFloat16ElN6thrust23THRUST_200600_302600_NS4plusIlEEEEZZNS1_33reduce_by_key_impl_wrapped_configILNS1_25lookback_scan_determinismE0ES3_SB_PS6_NS8_17constant_iteratorIiNS8_11use_defaultESG_EENS8_10device_ptrIS6_EENSI_IlEEPmSA_NS8_8equal_toIS6_EEEE10hipError_tPvRmT2_T3_mT4_T5_T6_T7_T8_P12ihipStream_tbENKUlT_T0_E_clISt17integral_constantIbLb0EES15_EEDaS10_S11_EUlS10_E_NS1_11comp_targetILNS1_3genE10ELNS1_11target_archE1201ELNS1_3gpuE5ELNS1_3repE0EEENS1_30default_config_static_selectorELNS0_4arch9wavefront6targetE1EEEvT1_.uses_vcc, 0
	.set _ZN7rocprim17ROCPRIM_400000_NS6detail17trampoline_kernelINS0_14default_configENS1_29reduce_by_key_config_selectorIN3c108BFloat16ElN6thrust23THRUST_200600_302600_NS4plusIlEEEEZZNS1_33reduce_by_key_impl_wrapped_configILNS1_25lookback_scan_determinismE0ES3_SB_PS6_NS8_17constant_iteratorIiNS8_11use_defaultESG_EENS8_10device_ptrIS6_EENSI_IlEEPmSA_NS8_8equal_toIS6_EEEE10hipError_tPvRmT2_T3_mT4_T5_T6_T7_T8_P12ihipStream_tbENKUlT_T0_E_clISt17integral_constantIbLb0EES15_EEDaS10_S11_EUlS10_E_NS1_11comp_targetILNS1_3genE10ELNS1_11target_archE1201ELNS1_3gpuE5ELNS1_3repE0EEENS1_30default_config_static_selectorELNS0_4arch9wavefront6targetE1EEEvT1_.uses_flat_scratch, 0
	.set _ZN7rocprim17ROCPRIM_400000_NS6detail17trampoline_kernelINS0_14default_configENS1_29reduce_by_key_config_selectorIN3c108BFloat16ElN6thrust23THRUST_200600_302600_NS4plusIlEEEEZZNS1_33reduce_by_key_impl_wrapped_configILNS1_25lookback_scan_determinismE0ES3_SB_PS6_NS8_17constant_iteratorIiNS8_11use_defaultESG_EENS8_10device_ptrIS6_EENSI_IlEEPmSA_NS8_8equal_toIS6_EEEE10hipError_tPvRmT2_T3_mT4_T5_T6_T7_T8_P12ihipStream_tbENKUlT_T0_E_clISt17integral_constantIbLb0EES15_EEDaS10_S11_EUlS10_E_NS1_11comp_targetILNS1_3genE10ELNS1_11target_archE1201ELNS1_3gpuE5ELNS1_3repE0EEENS1_30default_config_static_selectorELNS0_4arch9wavefront6targetE1EEEvT1_.has_dyn_sized_stack, 0
	.set _ZN7rocprim17ROCPRIM_400000_NS6detail17trampoline_kernelINS0_14default_configENS1_29reduce_by_key_config_selectorIN3c108BFloat16ElN6thrust23THRUST_200600_302600_NS4plusIlEEEEZZNS1_33reduce_by_key_impl_wrapped_configILNS1_25lookback_scan_determinismE0ES3_SB_PS6_NS8_17constant_iteratorIiNS8_11use_defaultESG_EENS8_10device_ptrIS6_EENSI_IlEEPmSA_NS8_8equal_toIS6_EEEE10hipError_tPvRmT2_T3_mT4_T5_T6_T7_T8_P12ihipStream_tbENKUlT_T0_E_clISt17integral_constantIbLb0EES15_EEDaS10_S11_EUlS10_E_NS1_11comp_targetILNS1_3genE10ELNS1_11target_archE1201ELNS1_3gpuE5ELNS1_3repE0EEENS1_30default_config_static_selectorELNS0_4arch9wavefront6targetE1EEEvT1_.has_recursion, 0
	.set _ZN7rocprim17ROCPRIM_400000_NS6detail17trampoline_kernelINS0_14default_configENS1_29reduce_by_key_config_selectorIN3c108BFloat16ElN6thrust23THRUST_200600_302600_NS4plusIlEEEEZZNS1_33reduce_by_key_impl_wrapped_configILNS1_25lookback_scan_determinismE0ES3_SB_PS6_NS8_17constant_iteratorIiNS8_11use_defaultESG_EENS8_10device_ptrIS6_EENSI_IlEEPmSA_NS8_8equal_toIS6_EEEE10hipError_tPvRmT2_T3_mT4_T5_T6_T7_T8_P12ihipStream_tbENKUlT_T0_E_clISt17integral_constantIbLb0EES15_EEDaS10_S11_EUlS10_E_NS1_11comp_targetILNS1_3genE10ELNS1_11target_archE1201ELNS1_3gpuE5ELNS1_3repE0EEENS1_30default_config_static_selectorELNS0_4arch9wavefront6targetE1EEEvT1_.has_indirect_call, 0
	.section	.AMDGPU.csdata,"",@progbits
; Kernel info:
; codeLenInByte = 0
; TotalNumSgprs: 4
; NumVgprs: 0
; ScratchSize: 0
; MemoryBound: 0
; FloatMode: 240
; IeeeMode: 1
; LDSByteSize: 0 bytes/workgroup (compile time only)
; SGPRBlocks: 0
; VGPRBlocks: 0
; NumSGPRsForWavesPerEU: 4
; NumVGPRsForWavesPerEU: 1
; Occupancy: 10
; WaveLimiterHint : 0
; COMPUTE_PGM_RSRC2:SCRATCH_EN: 0
; COMPUTE_PGM_RSRC2:USER_SGPR: 6
; COMPUTE_PGM_RSRC2:TRAP_HANDLER: 0
; COMPUTE_PGM_RSRC2:TGID_X_EN: 1
; COMPUTE_PGM_RSRC2:TGID_Y_EN: 0
; COMPUTE_PGM_RSRC2:TGID_Z_EN: 0
; COMPUTE_PGM_RSRC2:TIDIG_COMP_CNT: 0
	.section	.text._ZN7rocprim17ROCPRIM_400000_NS6detail17trampoline_kernelINS0_14default_configENS1_29reduce_by_key_config_selectorIN3c108BFloat16ElN6thrust23THRUST_200600_302600_NS4plusIlEEEEZZNS1_33reduce_by_key_impl_wrapped_configILNS1_25lookback_scan_determinismE0ES3_SB_PS6_NS8_17constant_iteratorIiNS8_11use_defaultESG_EENS8_10device_ptrIS6_EENSI_IlEEPmSA_NS8_8equal_toIS6_EEEE10hipError_tPvRmT2_T3_mT4_T5_T6_T7_T8_P12ihipStream_tbENKUlT_T0_E_clISt17integral_constantIbLb0EES15_EEDaS10_S11_EUlS10_E_NS1_11comp_targetILNS1_3genE10ELNS1_11target_archE1200ELNS1_3gpuE4ELNS1_3repE0EEENS1_30default_config_static_selectorELNS0_4arch9wavefront6targetE1EEEvT1_,"axG",@progbits,_ZN7rocprim17ROCPRIM_400000_NS6detail17trampoline_kernelINS0_14default_configENS1_29reduce_by_key_config_selectorIN3c108BFloat16ElN6thrust23THRUST_200600_302600_NS4plusIlEEEEZZNS1_33reduce_by_key_impl_wrapped_configILNS1_25lookback_scan_determinismE0ES3_SB_PS6_NS8_17constant_iteratorIiNS8_11use_defaultESG_EENS8_10device_ptrIS6_EENSI_IlEEPmSA_NS8_8equal_toIS6_EEEE10hipError_tPvRmT2_T3_mT4_T5_T6_T7_T8_P12ihipStream_tbENKUlT_T0_E_clISt17integral_constantIbLb0EES15_EEDaS10_S11_EUlS10_E_NS1_11comp_targetILNS1_3genE10ELNS1_11target_archE1200ELNS1_3gpuE4ELNS1_3repE0EEENS1_30default_config_static_selectorELNS0_4arch9wavefront6targetE1EEEvT1_,comdat
	.protected	_ZN7rocprim17ROCPRIM_400000_NS6detail17trampoline_kernelINS0_14default_configENS1_29reduce_by_key_config_selectorIN3c108BFloat16ElN6thrust23THRUST_200600_302600_NS4plusIlEEEEZZNS1_33reduce_by_key_impl_wrapped_configILNS1_25lookback_scan_determinismE0ES3_SB_PS6_NS8_17constant_iteratorIiNS8_11use_defaultESG_EENS8_10device_ptrIS6_EENSI_IlEEPmSA_NS8_8equal_toIS6_EEEE10hipError_tPvRmT2_T3_mT4_T5_T6_T7_T8_P12ihipStream_tbENKUlT_T0_E_clISt17integral_constantIbLb0EES15_EEDaS10_S11_EUlS10_E_NS1_11comp_targetILNS1_3genE10ELNS1_11target_archE1200ELNS1_3gpuE4ELNS1_3repE0EEENS1_30default_config_static_selectorELNS0_4arch9wavefront6targetE1EEEvT1_ ; -- Begin function _ZN7rocprim17ROCPRIM_400000_NS6detail17trampoline_kernelINS0_14default_configENS1_29reduce_by_key_config_selectorIN3c108BFloat16ElN6thrust23THRUST_200600_302600_NS4plusIlEEEEZZNS1_33reduce_by_key_impl_wrapped_configILNS1_25lookback_scan_determinismE0ES3_SB_PS6_NS8_17constant_iteratorIiNS8_11use_defaultESG_EENS8_10device_ptrIS6_EENSI_IlEEPmSA_NS8_8equal_toIS6_EEEE10hipError_tPvRmT2_T3_mT4_T5_T6_T7_T8_P12ihipStream_tbENKUlT_T0_E_clISt17integral_constantIbLb0EES15_EEDaS10_S11_EUlS10_E_NS1_11comp_targetILNS1_3genE10ELNS1_11target_archE1200ELNS1_3gpuE4ELNS1_3repE0EEENS1_30default_config_static_selectorELNS0_4arch9wavefront6targetE1EEEvT1_
	.globl	_ZN7rocprim17ROCPRIM_400000_NS6detail17trampoline_kernelINS0_14default_configENS1_29reduce_by_key_config_selectorIN3c108BFloat16ElN6thrust23THRUST_200600_302600_NS4plusIlEEEEZZNS1_33reduce_by_key_impl_wrapped_configILNS1_25lookback_scan_determinismE0ES3_SB_PS6_NS8_17constant_iteratorIiNS8_11use_defaultESG_EENS8_10device_ptrIS6_EENSI_IlEEPmSA_NS8_8equal_toIS6_EEEE10hipError_tPvRmT2_T3_mT4_T5_T6_T7_T8_P12ihipStream_tbENKUlT_T0_E_clISt17integral_constantIbLb0EES15_EEDaS10_S11_EUlS10_E_NS1_11comp_targetILNS1_3genE10ELNS1_11target_archE1200ELNS1_3gpuE4ELNS1_3repE0EEENS1_30default_config_static_selectorELNS0_4arch9wavefront6targetE1EEEvT1_
	.p2align	8
	.type	_ZN7rocprim17ROCPRIM_400000_NS6detail17trampoline_kernelINS0_14default_configENS1_29reduce_by_key_config_selectorIN3c108BFloat16ElN6thrust23THRUST_200600_302600_NS4plusIlEEEEZZNS1_33reduce_by_key_impl_wrapped_configILNS1_25lookback_scan_determinismE0ES3_SB_PS6_NS8_17constant_iteratorIiNS8_11use_defaultESG_EENS8_10device_ptrIS6_EENSI_IlEEPmSA_NS8_8equal_toIS6_EEEE10hipError_tPvRmT2_T3_mT4_T5_T6_T7_T8_P12ihipStream_tbENKUlT_T0_E_clISt17integral_constantIbLb0EES15_EEDaS10_S11_EUlS10_E_NS1_11comp_targetILNS1_3genE10ELNS1_11target_archE1200ELNS1_3gpuE4ELNS1_3repE0EEENS1_30default_config_static_selectorELNS0_4arch9wavefront6targetE1EEEvT1_,@function
_ZN7rocprim17ROCPRIM_400000_NS6detail17trampoline_kernelINS0_14default_configENS1_29reduce_by_key_config_selectorIN3c108BFloat16ElN6thrust23THRUST_200600_302600_NS4plusIlEEEEZZNS1_33reduce_by_key_impl_wrapped_configILNS1_25lookback_scan_determinismE0ES3_SB_PS6_NS8_17constant_iteratorIiNS8_11use_defaultESG_EENS8_10device_ptrIS6_EENSI_IlEEPmSA_NS8_8equal_toIS6_EEEE10hipError_tPvRmT2_T3_mT4_T5_T6_T7_T8_P12ihipStream_tbENKUlT_T0_E_clISt17integral_constantIbLb0EES15_EEDaS10_S11_EUlS10_E_NS1_11comp_targetILNS1_3genE10ELNS1_11target_archE1200ELNS1_3gpuE4ELNS1_3repE0EEENS1_30default_config_static_selectorELNS0_4arch9wavefront6targetE1EEEvT1_: ; @_ZN7rocprim17ROCPRIM_400000_NS6detail17trampoline_kernelINS0_14default_configENS1_29reduce_by_key_config_selectorIN3c108BFloat16ElN6thrust23THRUST_200600_302600_NS4plusIlEEEEZZNS1_33reduce_by_key_impl_wrapped_configILNS1_25lookback_scan_determinismE0ES3_SB_PS6_NS8_17constant_iteratorIiNS8_11use_defaultESG_EENS8_10device_ptrIS6_EENSI_IlEEPmSA_NS8_8equal_toIS6_EEEE10hipError_tPvRmT2_T3_mT4_T5_T6_T7_T8_P12ihipStream_tbENKUlT_T0_E_clISt17integral_constantIbLb0EES15_EEDaS10_S11_EUlS10_E_NS1_11comp_targetILNS1_3genE10ELNS1_11target_archE1200ELNS1_3gpuE4ELNS1_3repE0EEENS1_30default_config_static_selectorELNS0_4arch9wavefront6targetE1EEEvT1_
; %bb.0:
	.section	.rodata,"a",@progbits
	.p2align	6, 0x0
	.amdhsa_kernel _ZN7rocprim17ROCPRIM_400000_NS6detail17trampoline_kernelINS0_14default_configENS1_29reduce_by_key_config_selectorIN3c108BFloat16ElN6thrust23THRUST_200600_302600_NS4plusIlEEEEZZNS1_33reduce_by_key_impl_wrapped_configILNS1_25lookback_scan_determinismE0ES3_SB_PS6_NS8_17constant_iteratorIiNS8_11use_defaultESG_EENS8_10device_ptrIS6_EENSI_IlEEPmSA_NS8_8equal_toIS6_EEEE10hipError_tPvRmT2_T3_mT4_T5_T6_T7_T8_P12ihipStream_tbENKUlT_T0_E_clISt17integral_constantIbLb0EES15_EEDaS10_S11_EUlS10_E_NS1_11comp_targetILNS1_3genE10ELNS1_11target_archE1200ELNS1_3gpuE4ELNS1_3repE0EEENS1_30default_config_static_selectorELNS0_4arch9wavefront6targetE1EEEvT1_
		.amdhsa_group_segment_fixed_size 0
		.amdhsa_private_segment_fixed_size 0
		.amdhsa_kernarg_size 144
		.amdhsa_user_sgpr_count 6
		.amdhsa_user_sgpr_private_segment_buffer 1
		.amdhsa_user_sgpr_dispatch_ptr 0
		.amdhsa_user_sgpr_queue_ptr 0
		.amdhsa_user_sgpr_kernarg_segment_ptr 1
		.amdhsa_user_sgpr_dispatch_id 0
		.amdhsa_user_sgpr_flat_scratch_init 0
		.amdhsa_user_sgpr_private_segment_size 0
		.amdhsa_uses_dynamic_stack 0
		.amdhsa_system_sgpr_private_segment_wavefront_offset 0
		.amdhsa_system_sgpr_workgroup_id_x 1
		.amdhsa_system_sgpr_workgroup_id_y 0
		.amdhsa_system_sgpr_workgroup_id_z 0
		.amdhsa_system_sgpr_workgroup_info 0
		.amdhsa_system_vgpr_workitem_id 0
		.amdhsa_next_free_vgpr 1
		.amdhsa_next_free_sgpr 0
		.amdhsa_reserve_vcc 0
		.amdhsa_reserve_flat_scratch 0
		.amdhsa_float_round_mode_32 0
		.amdhsa_float_round_mode_16_64 0
		.amdhsa_float_denorm_mode_32 3
		.amdhsa_float_denorm_mode_16_64 3
		.amdhsa_dx10_clamp 1
		.amdhsa_ieee_mode 1
		.amdhsa_fp16_overflow 0
		.amdhsa_exception_fp_ieee_invalid_op 0
		.amdhsa_exception_fp_denorm_src 0
		.amdhsa_exception_fp_ieee_div_zero 0
		.amdhsa_exception_fp_ieee_overflow 0
		.amdhsa_exception_fp_ieee_underflow 0
		.amdhsa_exception_fp_ieee_inexact 0
		.amdhsa_exception_int_div_zero 0
	.end_amdhsa_kernel
	.section	.text._ZN7rocprim17ROCPRIM_400000_NS6detail17trampoline_kernelINS0_14default_configENS1_29reduce_by_key_config_selectorIN3c108BFloat16ElN6thrust23THRUST_200600_302600_NS4plusIlEEEEZZNS1_33reduce_by_key_impl_wrapped_configILNS1_25lookback_scan_determinismE0ES3_SB_PS6_NS8_17constant_iteratorIiNS8_11use_defaultESG_EENS8_10device_ptrIS6_EENSI_IlEEPmSA_NS8_8equal_toIS6_EEEE10hipError_tPvRmT2_T3_mT4_T5_T6_T7_T8_P12ihipStream_tbENKUlT_T0_E_clISt17integral_constantIbLb0EES15_EEDaS10_S11_EUlS10_E_NS1_11comp_targetILNS1_3genE10ELNS1_11target_archE1200ELNS1_3gpuE4ELNS1_3repE0EEENS1_30default_config_static_selectorELNS0_4arch9wavefront6targetE1EEEvT1_,"axG",@progbits,_ZN7rocprim17ROCPRIM_400000_NS6detail17trampoline_kernelINS0_14default_configENS1_29reduce_by_key_config_selectorIN3c108BFloat16ElN6thrust23THRUST_200600_302600_NS4plusIlEEEEZZNS1_33reduce_by_key_impl_wrapped_configILNS1_25lookback_scan_determinismE0ES3_SB_PS6_NS8_17constant_iteratorIiNS8_11use_defaultESG_EENS8_10device_ptrIS6_EENSI_IlEEPmSA_NS8_8equal_toIS6_EEEE10hipError_tPvRmT2_T3_mT4_T5_T6_T7_T8_P12ihipStream_tbENKUlT_T0_E_clISt17integral_constantIbLb0EES15_EEDaS10_S11_EUlS10_E_NS1_11comp_targetILNS1_3genE10ELNS1_11target_archE1200ELNS1_3gpuE4ELNS1_3repE0EEENS1_30default_config_static_selectorELNS0_4arch9wavefront6targetE1EEEvT1_,comdat
.Lfunc_end2058:
	.size	_ZN7rocprim17ROCPRIM_400000_NS6detail17trampoline_kernelINS0_14default_configENS1_29reduce_by_key_config_selectorIN3c108BFloat16ElN6thrust23THRUST_200600_302600_NS4plusIlEEEEZZNS1_33reduce_by_key_impl_wrapped_configILNS1_25lookback_scan_determinismE0ES3_SB_PS6_NS8_17constant_iteratorIiNS8_11use_defaultESG_EENS8_10device_ptrIS6_EENSI_IlEEPmSA_NS8_8equal_toIS6_EEEE10hipError_tPvRmT2_T3_mT4_T5_T6_T7_T8_P12ihipStream_tbENKUlT_T0_E_clISt17integral_constantIbLb0EES15_EEDaS10_S11_EUlS10_E_NS1_11comp_targetILNS1_3genE10ELNS1_11target_archE1200ELNS1_3gpuE4ELNS1_3repE0EEENS1_30default_config_static_selectorELNS0_4arch9wavefront6targetE1EEEvT1_, .Lfunc_end2058-_ZN7rocprim17ROCPRIM_400000_NS6detail17trampoline_kernelINS0_14default_configENS1_29reduce_by_key_config_selectorIN3c108BFloat16ElN6thrust23THRUST_200600_302600_NS4plusIlEEEEZZNS1_33reduce_by_key_impl_wrapped_configILNS1_25lookback_scan_determinismE0ES3_SB_PS6_NS8_17constant_iteratorIiNS8_11use_defaultESG_EENS8_10device_ptrIS6_EENSI_IlEEPmSA_NS8_8equal_toIS6_EEEE10hipError_tPvRmT2_T3_mT4_T5_T6_T7_T8_P12ihipStream_tbENKUlT_T0_E_clISt17integral_constantIbLb0EES15_EEDaS10_S11_EUlS10_E_NS1_11comp_targetILNS1_3genE10ELNS1_11target_archE1200ELNS1_3gpuE4ELNS1_3repE0EEENS1_30default_config_static_selectorELNS0_4arch9wavefront6targetE1EEEvT1_
                                        ; -- End function
	.set _ZN7rocprim17ROCPRIM_400000_NS6detail17trampoline_kernelINS0_14default_configENS1_29reduce_by_key_config_selectorIN3c108BFloat16ElN6thrust23THRUST_200600_302600_NS4plusIlEEEEZZNS1_33reduce_by_key_impl_wrapped_configILNS1_25lookback_scan_determinismE0ES3_SB_PS6_NS8_17constant_iteratorIiNS8_11use_defaultESG_EENS8_10device_ptrIS6_EENSI_IlEEPmSA_NS8_8equal_toIS6_EEEE10hipError_tPvRmT2_T3_mT4_T5_T6_T7_T8_P12ihipStream_tbENKUlT_T0_E_clISt17integral_constantIbLb0EES15_EEDaS10_S11_EUlS10_E_NS1_11comp_targetILNS1_3genE10ELNS1_11target_archE1200ELNS1_3gpuE4ELNS1_3repE0EEENS1_30default_config_static_selectorELNS0_4arch9wavefront6targetE1EEEvT1_.num_vgpr, 0
	.set _ZN7rocprim17ROCPRIM_400000_NS6detail17trampoline_kernelINS0_14default_configENS1_29reduce_by_key_config_selectorIN3c108BFloat16ElN6thrust23THRUST_200600_302600_NS4plusIlEEEEZZNS1_33reduce_by_key_impl_wrapped_configILNS1_25lookback_scan_determinismE0ES3_SB_PS6_NS8_17constant_iteratorIiNS8_11use_defaultESG_EENS8_10device_ptrIS6_EENSI_IlEEPmSA_NS8_8equal_toIS6_EEEE10hipError_tPvRmT2_T3_mT4_T5_T6_T7_T8_P12ihipStream_tbENKUlT_T0_E_clISt17integral_constantIbLb0EES15_EEDaS10_S11_EUlS10_E_NS1_11comp_targetILNS1_3genE10ELNS1_11target_archE1200ELNS1_3gpuE4ELNS1_3repE0EEENS1_30default_config_static_selectorELNS0_4arch9wavefront6targetE1EEEvT1_.num_agpr, 0
	.set _ZN7rocprim17ROCPRIM_400000_NS6detail17trampoline_kernelINS0_14default_configENS1_29reduce_by_key_config_selectorIN3c108BFloat16ElN6thrust23THRUST_200600_302600_NS4plusIlEEEEZZNS1_33reduce_by_key_impl_wrapped_configILNS1_25lookback_scan_determinismE0ES3_SB_PS6_NS8_17constant_iteratorIiNS8_11use_defaultESG_EENS8_10device_ptrIS6_EENSI_IlEEPmSA_NS8_8equal_toIS6_EEEE10hipError_tPvRmT2_T3_mT4_T5_T6_T7_T8_P12ihipStream_tbENKUlT_T0_E_clISt17integral_constantIbLb0EES15_EEDaS10_S11_EUlS10_E_NS1_11comp_targetILNS1_3genE10ELNS1_11target_archE1200ELNS1_3gpuE4ELNS1_3repE0EEENS1_30default_config_static_selectorELNS0_4arch9wavefront6targetE1EEEvT1_.numbered_sgpr, 0
	.set _ZN7rocprim17ROCPRIM_400000_NS6detail17trampoline_kernelINS0_14default_configENS1_29reduce_by_key_config_selectorIN3c108BFloat16ElN6thrust23THRUST_200600_302600_NS4plusIlEEEEZZNS1_33reduce_by_key_impl_wrapped_configILNS1_25lookback_scan_determinismE0ES3_SB_PS6_NS8_17constant_iteratorIiNS8_11use_defaultESG_EENS8_10device_ptrIS6_EENSI_IlEEPmSA_NS8_8equal_toIS6_EEEE10hipError_tPvRmT2_T3_mT4_T5_T6_T7_T8_P12ihipStream_tbENKUlT_T0_E_clISt17integral_constantIbLb0EES15_EEDaS10_S11_EUlS10_E_NS1_11comp_targetILNS1_3genE10ELNS1_11target_archE1200ELNS1_3gpuE4ELNS1_3repE0EEENS1_30default_config_static_selectorELNS0_4arch9wavefront6targetE1EEEvT1_.num_named_barrier, 0
	.set _ZN7rocprim17ROCPRIM_400000_NS6detail17trampoline_kernelINS0_14default_configENS1_29reduce_by_key_config_selectorIN3c108BFloat16ElN6thrust23THRUST_200600_302600_NS4plusIlEEEEZZNS1_33reduce_by_key_impl_wrapped_configILNS1_25lookback_scan_determinismE0ES3_SB_PS6_NS8_17constant_iteratorIiNS8_11use_defaultESG_EENS8_10device_ptrIS6_EENSI_IlEEPmSA_NS8_8equal_toIS6_EEEE10hipError_tPvRmT2_T3_mT4_T5_T6_T7_T8_P12ihipStream_tbENKUlT_T0_E_clISt17integral_constantIbLb0EES15_EEDaS10_S11_EUlS10_E_NS1_11comp_targetILNS1_3genE10ELNS1_11target_archE1200ELNS1_3gpuE4ELNS1_3repE0EEENS1_30default_config_static_selectorELNS0_4arch9wavefront6targetE1EEEvT1_.private_seg_size, 0
	.set _ZN7rocprim17ROCPRIM_400000_NS6detail17trampoline_kernelINS0_14default_configENS1_29reduce_by_key_config_selectorIN3c108BFloat16ElN6thrust23THRUST_200600_302600_NS4plusIlEEEEZZNS1_33reduce_by_key_impl_wrapped_configILNS1_25lookback_scan_determinismE0ES3_SB_PS6_NS8_17constant_iteratorIiNS8_11use_defaultESG_EENS8_10device_ptrIS6_EENSI_IlEEPmSA_NS8_8equal_toIS6_EEEE10hipError_tPvRmT2_T3_mT4_T5_T6_T7_T8_P12ihipStream_tbENKUlT_T0_E_clISt17integral_constantIbLb0EES15_EEDaS10_S11_EUlS10_E_NS1_11comp_targetILNS1_3genE10ELNS1_11target_archE1200ELNS1_3gpuE4ELNS1_3repE0EEENS1_30default_config_static_selectorELNS0_4arch9wavefront6targetE1EEEvT1_.uses_vcc, 0
	.set _ZN7rocprim17ROCPRIM_400000_NS6detail17trampoline_kernelINS0_14default_configENS1_29reduce_by_key_config_selectorIN3c108BFloat16ElN6thrust23THRUST_200600_302600_NS4plusIlEEEEZZNS1_33reduce_by_key_impl_wrapped_configILNS1_25lookback_scan_determinismE0ES3_SB_PS6_NS8_17constant_iteratorIiNS8_11use_defaultESG_EENS8_10device_ptrIS6_EENSI_IlEEPmSA_NS8_8equal_toIS6_EEEE10hipError_tPvRmT2_T3_mT4_T5_T6_T7_T8_P12ihipStream_tbENKUlT_T0_E_clISt17integral_constantIbLb0EES15_EEDaS10_S11_EUlS10_E_NS1_11comp_targetILNS1_3genE10ELNS1_11target_archE1200ELNS1_3gpuE4ELNS1_3repE0EEENS1_30default_config_static_selectorELNS0_4arch9wavefront6targetE1EEEvT1_.uses_flat_scratch, 0
	.set _ZN7rocprim17ROCPRIM_400000_NS6detail17trampoline_kernelINS0_14default_configENS1_29reduce_by_key_config_selectorIN3c108BFloat16ElN6thrust23THRUST_200600_302600_NS4plusIlEEEEZZNS1_33reduce_by_key_impl_wrapped_configILNS1_25lookback_scan_determinismE0ES3_SB_PS6_NS8_17constant_iteratorIiNS8_11use_defaultESG_EENS8_10device_ptrIS6_EENSI_IlEEPmSA_NS8_8equal_toIS6_EEEE10hipError_tPvRmT2_T3_mT4_T5_T6_T7_T8_P12ihipStream_tbENKUlT_T0_E_clISt17integral_constantIbLb0EES15_EEDaS10_S11_EUlS10_E_NS1_11comp_targetILNS1_3genE10ELNS1_11target_archE1200ELNS1_3gpuE4ELNS1_3repE0EEENS1_30default_config_static_selectorELNS0_4arch9wavefront6targetE1EEEvT1_.has_dyn_sized_stack, 0
	.set _ZN7rocprim17ROCPRIM_400000_NS6detail17trampoline_kernelINS0_14default_configENS1_29reduce_by_key_config_selectorIN3c108BFloat16ElN6thrust23THRUST_200600_302600_NS4plusIlEEEEZZNS1_33reduce_by_key_impl_wrapped_configILNS1_25lookback_scan_determinismE0ES3_SB_PS6_NS8_17constant_iteratorIiNS8_11use_defaultESG_EENS8_10device_ptrIS6_EENSI_IlEEPmSA_NS8_8equal_toIS6_EEEE10hipError_tPvRmT2_T3_mT4_T5_T6_T7_T8_P12ihipStream_tbENKUlT_T0_E_clISt17integral_constantIbLb0EES15_EEDaS10_S11_EUlS10_E_NS1_11comp_targetILNS1_3genE10ELNS1_11target_archE1200ELNS1_3gpuE4ELNS1_3repE0EEENS1_30default_config_static_selectorELNS0_4arch9wavefront6targetE1EEEvT1_.has_recursion, 0
	.set _ZN7rocprim17ROCPRIM_400000_NS6detail17trampoline_kernelINS0_14default_configENS1_29reduce_by_key_config_selectorIN3c108BFloat16ElN6thrust23THRUST_200600_302600_NS4plusIlEEEEZZNS1_33reduce_by_key_impl_wrapped_configILNS1_25lookback_scan_determinismE0ES3_SB_PS6_NS8_17constant_iteratorIiNS8_11use_defaultESG_EENS8_10device_ptrIS6_EENSI_IlEEPmSA_NS8_8equal_toIS6_EEEE10hipError_tPvRmT2_T3_mT4_T5_T6_T7_T8_P12ihipStream_tbENKUlT_T0_E_clISt17integral_constantIbLb0EES15_EEDaS10_S11_EUlS10_E_NS1_11comp_targetILNS1_3genE10ELNS1_11target_archE1200ELNS1_3gpuE4ELNS1_3repE0EEENS1_30default_config_static_selectorELNS0_4arch9wavefront6targetE1EEEvT1_.has_indirect_call, 0
	.section	.AMDGPU.csdata,"",@progbits
; Kernel info:
; codeLenInByte = 0
; TotalNumSgprs: 4
; NumVgprs: 0
; ScratchSize: 0
; MemoryBound: 0
; FloatMode: 240
; IeeeMode: 1
; LDSByteSize: 0 bytes/workgroup (compile time only)
; SGPRBlocks: 0
; VGPRBlocks: 0
; NumSGPRsForWavesPerEU: 4
; NumVGPRsForWavesPerEU: 1
; Occupancy: 10
; WaveLimiterHint : 0
; COMPUTE_PGM_RSRC2:SCRATCH_EN: 0
; COMPUTE_PGM_RSRC2:USER_SGPR: 6
; COMPUTE_PGM_RSRC2:TRAP_HANDLER: 0
; COMPUTE_PGM_RSRC2:TGID_X_EN: 1
; COMPUTE_PGM_RSRC2:TGID_Y_EN: 0
; COMPUTE_PGM_RSRC2:TGID_Z_EN: 0
; COMPUTE_PGM_RSRC2:TIDIG_COMP_CNT: 0
	.section	.text._ZN7rocprim17ROCPRIM_400000_NS6detail17trampoline_kernelINS0_14default_configENS1_29reduce_by_key_config_selectorIN3c108BFloat16ElN6thrust23THRUST_200600_302600_NS4plusIlEEEEZZNS1_33reduce_by_key_impl_wrapped_configILNS1_25lookback_scan_determinismE0ES3_SB_PS6_NS8_17constant_iteratorIiNS8_11use_defaultESG_EENS8_10device_ptrIS6_EENSI_IlEEPmSA_NS8_8equal_toIS6_EEEE10hipError_tPvRmT2_T3_mT4_T5_T6_T7_T8_P12ihipStream_tbENKUlT_T0_E_clISt17integral_constantIbLb0EES15_EEDaS10_S11_EUlS10_E_NS1_11comp_targetILNS1_3genE9ELNS1_11target_archE1100ELNS1_3gpuE3ELNS1_3repE0EEENS1_30default_config_static_selectorELNS0_4arch9wavefront6targetE1EEEvT1_,"axG",@progbits,_ZN7rocprim17ROCPRIM_400000_NS6detail17trampoline_kernelINS0_14default_configENS1_29reduce_by_key_config_selectorIN3c108BFloat16ElN6thrust23THRUST_200600_302600_NS4plusIlEEEEZZNS1_33reduce_by_key_impl_wrapped_configILNS1_25lookback_scan_determinismE0ES3_SB_PS6_NS8_17constant_iteratorIiNS8_11use_defaultESG_EENS8_10device_ptrIS6_EENSI_IlEEPmSA_NS8_8equal_toIS6_EEEE10hipError_tPvRmT2_T3_mT4_T5_T6_T7_T8_P12ihipStream_tbENKUlT_T0_E_clISt17integral_constantIbLb0EES15_EEDaS10_S11_EUlS10_E_NS1_11comp_targetILNS1_3genE9ELNS1_11target_archE1100ELNS1_3gpuE3ELNS1_3repE0EEENS1_30default_config_static_selectorELNS0_4arch9wavefront6targetE1EEEvT1_,comdat
	.protected	_ZN7rocprim17ROCPRIM_400000_NS6detail17trampoline_kernelINS0_14default_configENS1_29reduce_by_key_config_selectorIN3c108BFloat16ElN6thrust23THRUST_200600_302600_NS4plusIlEEEEZZNS1_33reduce_by_key_impl_wrapped_configILNS1_25lookback_scan_determinismE0ES3_SB_PS6_NS8_17constant_iteratorIiNS8_11use_defaultESG_EENS8_10device_ptrIS6_EENSI_IlEEPmSA_NS8_8equal_toIS6_EEEE10hipError_tPvRmT2_T3_mT4_T5_T6_T7_T8_P12ihipStream_tbENKUlT_T0_E_clISt17integral_constantIbLb0EES15_EEDaS10_S11_EUlS10_E_NS1_11comp_targetILNS1_3genE9ELNS1_11target_archE1100ELNS1_3gpuE3ELNS1_3repE0EEENS1_30default_config_static_selectorELNS0_4arch9wavefront6targetE1EEEvT1_ ; -- Begin function _ZN7rocprim17ROCPRIM_400000_NS6detail17trampoline_kernelINS0_14default_configENS1_29reduce_by_key_config_selectorIN3c108BFloat16ElN6thrust23THRUST_200600_302600_NS4plusIlEEEEZZNS1_33reduce_by_key_impl_wrapped_configILNS1_25lookback_scan_determinismE0ES3_SB_PS6_NS8_17constant_iteratorIiNS8_11use_defaultESG_EENS8_10device_ptrIS6_EENSI_IlEEPmSA_NS8_8equal_toIS6_EEEE10hipError_tPvRmT2_T3_mT4_T5_T6_T7_T8_P12ihipStream_tbENKUlT_T0_E_clISt17integral_constantIbLb0EES15_EEDaS10_S11_EUlS10_E_NS1_11comp_targetILNS1_3genE9ELNS1_11target_archE1100ELNS1_3gpuE3ELNS1_3repE0EEENS1_30default_config_static_selectorELNS0_4arch9wavefront6targetE1EEEvT1_
	.globl	_ZN7rocprim17ROCPRIM_400000_NS6detail17trampoline_kernelINS0_14default_configENS1_29reduce_by_key_config_selectorIN3c108BFloat16ElN6thrust23THRUST_200600_302600_NS4plusIlEEEEZZNS1_33reduce_by_key_impl_wrapped_configILNS1_25lookback_scan_determinismE0ES3_SB_PS6_NS8_17constant_iteratorIiNS8_11use_defaultESG_EENS8_10device_ptrIS6_EENSI_IlEEPmSA_NS8_8equal_toIS6_EEEE10hipError_tPvRmT2_T3_mT4_T5_T6_T7_T8_P12ihipStream_tbENKUlT_T0_E_clISt17integral_constantIbLb0EES15_EEDaS10_S11_EUlS10_E_NS1_11comp_targetILNS1_3genE9ELNS1_11target_archE1100ELNS1_3gpuE3ELNS1_3repE0EEENS1_30default_config_static_selectorELNS0_4arch9wavefront6targetE1EEEvT1_
	.p2align	8
	.type	_ZN7rocprim17ROCPRIM_400000_NS6detail17trampoline_kernelINS0_14default_configENS1_29reduce_by_key_config_selectorIN3c108BFloat16ElN6thrust23THRUST_200600_302600_NS4plusIlEEEEZZNS1_33reduce_by_key_impl_wrapped_configILNS1_25lookback_scan_determinismE0ES3_SB_PS6_NS8_17constant_iteratorIiNS8_11use_defaultESG_EENS8_10device_ptrIS6_EENSI_IlEEPmSA_NS8_8equal_toIS6_EEEE10hipError_tPvRmT2_T3_mT4_T5_T6_T7_T8_P12ihipStream_tbENKUlT_T0_E_clISt17integral_constantIbLb0EES15_EEDaS10_S11_EUlS10_E_NS1_11comp_targetILNS1_3genE9ELNS1_11target_archE1100ELNS1_3gpuE3ELNS1_3repE0EEENS1_30default_config_static_selectorELNS0_4arch9wavefront6targetE1EEEvT1_,@function
_ZN7rocprim17ROCPRIM_400000_NS6detail17trampoline_kernelINS0_14default_configENS1_29reduce_by_key_config_selectorIN3c108BFloat16ElN6thrust23THRUST_200600_302600_NS4plusIlEEEEZZNS1_33reduce_by_key_impl_wrapped_configILNS1_25lookback_scan_determinismE0ES3_SB_PS6_NS8_17constant_iteratorIiNS8_11use_defaultESG_EENS8_10device_ptrIS6_EENSI_IlEEPmSA_NS8_8equal_toIS6_EEEE10hipError_tPvRmT2_T3_mT4_T5_T6_T7_T8_P12ihipStream_tbENKUlT_T0_E_clISt17integral_constantIbLb0EES15_EEDaS10_S11_EUlS10_E_NS1_11comp_targetILNS1_3genE9ELNS1_11target_archE1100ELNS1_3gpuE3ELNS1_3repE0EEENS1_30default_config_static_selectorELNS0_4arch9wavefront6targetE1EEEvT1_: ; @_ZN7rocprim17ROCPRIM_400000_NS6detail17trampoline_kernelINS0_14default_configENS1_29reduce_by_key_config_selectorIN3c108BFloat16ElN6thrust23THRUST_200600_302600_NS4plusIlEEEEZZNS1_33reduce_by_key_impl_wrapped_configILNS1_25lookback_scan_determinismE0ES3_SB_PS6_NS8_17constant_iteratorIiNS8_11use_defaultESG_EENS8_10device_ptrIS6_EENSI_IlEEPmSA_NS8_8equal_toIS6_EEEE10hipError_tPvRmT2_T3_mT4_T5_T6_T7_T8_P12ihipStream_tbENKUlT_T0_E_clISt17integral_constantIbLb0EES15_EEDaS10_S11_EUlS10_E_NS1_11comp_targetILNS1_3genE9ELNS1_11target_archE1100ELNS1_3gpuE3ELNS1_3repE0EEENS1_30default_config_static_selectorELNS0_4arch9wavefront6targetE1EEEvT1_
; %bb.0:
	.section	.rodata,"a",@progbits
	.p2align	6, 0x0
	.amdhsa_kernel _ZN7rocprim17ROCPRIM_400000_NS6detail17trampoline_kernelINS0_14default_configENS1_29reduce_by_key_config_selectorIN3c108BFloat16ElN6thrust23THRUST_200600_302600_NS4plusIlEEEEZZNS1_33reduce_by_key_impl_wrapped_configILNS1_25lookback_scan_determinismE0ES3_SB_PS6_NS8_17constant_iteratorIiNS8_11use_defaultESG_EENS8_10device_ptrIS6_EENSI_IlEEPmSA_NS8_8equal_toIS6_EEEE10hipError_tPvRmT2_T3_mT4_T5_T6_T7_T8_P12ihipStream_tbENKUlT_T0_E_clISt17integral_constantIbLb0EES15_EEDaS10_S11_EUlS10_E_NS1_11comp_targetILNS1_3genE9ELNS1_11target_archE1100ELNS1_3gpuE3ELNS1_3repE0EEENS1_30default_config_static_selectorELNS0_4arch9wavefront6targetE1EEEvT1_
		.amdhsa_group_segment_fixed_size 0
		.amdhsa_private_segment_fixed_size 0
		.amdhsa_kernarg_size 144
		.amdhsa_user_sgpr_count 6
		.amdhsa_user_sgpr_private_segment_buffer 1
		.amdhsa_user_sgpr_dispatch_ptr 0
		.amdhsa_user_sgpr_queue_ptr 0
		.amdhsa_user_sgpr_kernarg_segment_ptr 1
		.amdhsa_user_sgpr_dispatch_id 0
		.amdhsa_user_sgpr_flat_scratch_init 0
		.amdhsa_user_sgpr_private_segment_size 0
		.amdhsa_uses_dynamic_stack 0
		.amdhsa_system_sgpr_private_segment_wavefront_offset 0
		.amdhsa_system_sgpr_workgroup_id_x 1
		.amdhsa_system_sgpr_workgroup_id_y 0
		.amdhsa_system_sgpr_workgroup_id_z 0
		.amdhsa_system_sgpr_workgroup_info 0
		.amdhsa_system_vgpr_workitem_id 0
		.amdhsa_next_free_vgpr 1
		.amdhsa_next_free_sgpr 0
		.amdhsa_reserve_vcc 0
		.amdhsa_reserve_flat_scratch 0
		.amdhsa_float_round_mode_32 0
		.amdhsa_float_round_mode_16_64 0
		.amdhsa_float_denorm_mode_32 3
		.amdhsa_float_denorm_mode_16_64 3
		.amdhsa_dx10_clamp 1
		.amdhsa_ieee_mode 1
		.amdhsa_fp16_overflow 0
		.amdhsa_exception_fp_ieee_invalid_op 0
		.amdhsa_exception_fp_denorm_src 0
		.amdhsa_exception_fp_ieee_div_zero 0
		.amdhsa_exception_fp_ieee_overflow 0
		.amdhsa_exception_fp_ieee_underflow 0
		.amdhsa_exception_fp_ieee_inexact 0
		.amdhsa_exception_int_div_zero 0
	.end_amdhsa_kernel
	.section	.text._ZN7rocprim17ROCPRIM_400000_NS6detail17trampoline_kernelINS0_14default_configENS1_29reduce_by_key_config_selectorIN3c108BFloat16ElN6thrust23THRUST_200600_302600_NS4plusIlEEEEZZNS1_33reduce_by_key_impl_wrapped_configILNS1_25lookback_scan_determinismE0ES3_SB_PS6_NS8_17constant_iteratorIiNS8_11use_defaultESG_EENS8_10device_ptrIS6_EENSI_IlEEPmSA_NS8_8equal_toIS6_EEEE10hipError_tPvRmT2_T3_mT4_T5_T6_T7_T8_P12ihipStream_tbENKUlT_T0_E_clISt17integral_constantIbLb0EES15_EEDaS10_S11_EUlS10_E_NS1_11comp_targetILNS1_3genE9ELNS1_11target_archE1100ELNS1_3gpuE3ELNS1_3repE0EEENS1_30default_config_static_selectorELNS0_4arch9wavefront6targetE1EEEvT1_,"axG",@progbits,_ZN7rocprim17ROCPRIM_400000_NS6detail17trampoline_kernelINS0_14default_configENS1_29reduce_by_key_config_selectorIN3c108BFloat16ElN6thrust23THRUST_200600_302600_NS4plusIlEEEEZZNS1_33reduce_by_key_impl_wrapped_configILNS1_25lookback_scan_determinismE0ES3_SB_PS6_NS8_17constant_iteratorIiNS8_11use_defaultESG_EENS8_10device_ptrIS6_EENSI_IlEEPmSA_NS8_8equal_toIS6_EEEE10hipError_tPvRmT2_T3_mT4_T5_T6_T7_T8_P12ihipStream_tbENKUlT_T0_E_clISt17integral_constantIbLb0EES15_EEDaS10_S11_EUlS10_E_NS1_11comp_targetILNS1_3genE9ELNS1_11target_archE1100ELNS1_3gpuE3ELNS1_3repE0EEENS1_30default_config_static_selectorELNS0_4arch9wavefront6targetE1EEEvT1_,comdat
.Lfunc_end2059:
	.size	_ZN7rocprim17ROCPRIM_400000_NS6detail17trampoline_kernelINS0_14default_configENS1_29reduce_by_key_config_selectorIN3c108BFloat16ElN6thrust23THRUST_200600_302600_NS4plusIlEEEEZZNS1_33reduce_by_key_impl_wrapped_configILNS1_25lookback_scan_determinismE0ES3_SB_PS6_NS8_17constant_iteratorIiNS8_11use_defaultESG_EENS8_10device_ptrIS6_EENSI_IlEEPmSA_NS8_8equal_toIS6_EEEE10hipError_tPvRmT2_T3_mT4_T5_T6_T7_T8_P12ihipStream_tbENKUlT_T0_E_clISt17integral_constantIbLb0EES15_EEDaS10_S11_EUlS10_E_NS1_11comp_targetILNS1_3genE9ELNS1_11target_archE1100ELNS1_3gpuE3ELNS1_3repE0EEENS1_30default_config_static_selectorELNS0_4arch9wavefront6targetE1EEEvT1_, .Lfunc_end2059-_ZN7rocprim17ROCPRIM_400000_NS6detail17trampoline_kernelINS0_14default_configENS1_29reduce_by_key_config_selectorIN3c108BFloat16ElN6thrust23THRUST_200600_302600_NS4plusIlEEEEZZNS1_33reduce_by_key_impl_wrapped_configILNS1_25lookback_scan_determinismE0ES3_SB_PS6_NS8_17constant_iteratorIiNS8_11use_defaultESG_EENS8_10device_ptrIS6_EENSI_IlEEPmSA_NS8_8equal_toIS6_EEEE10hipError_tPvRmT2_T3_mT4_T5_T6_T7_T8_P12ihipStream_tbENKUlT_T0_E_clISt17integral_constantIbLb0EES15_EEDaS10_S11_EUlS10_E_NS1_11comp_targetILNS1_3genE9ELNS1_11target_archE1100ELNS1_3gpuE3ELNS1_3repE0EEENS1_30default_config_static_selectorELNS0_4arch9wavefront6targetE1EEEvT1_
                                        ; -- End function
	.set _ZN7rocprim17ROCPRIM_400000_NS6detail17trampoline_kernelINS0_14default_configENS1_29reduce_by_key_config_selectorIN3c108BFloat16ElN6thrust23THRUST_200600_302600_NS4plusIlEEEEZZNS1_33reduce_by_key_impl_wrapped_configILNS1_25lookback_scan_determinismE0ES3_SB_PS6_NS8_17constant_iteratorIiNS8_11use_defaultESG_EENS8_10device_ptrIS6_EENSI_IlEEPmSA_NS8_8equal_toIS6_EEEE10hipError_tPvRmT2_T3_mT4_T5_T6_T7_T8_P12ihipStream_tbENKUlT_T0_E_clISt17integral_constantIbLb0EES15_EEDaS10_S11_EUlS10_E_NS1_11comp_targetILNS1_3genE9ELNS1_11target_archE1100ELNS1_3gpuE3ELNS1_3repE0EEENS1_30default_config_static_selectorELNS0_4arch9wavefront6targetE1EEEvT1_.num_vgpr, 0
	.set _ZN7rocprim17ROCPRIM_400000_NS6detail17trampoline_kernelINS0_14default_configENS1_29reduce_by_key_config_selectorIN3c108BFloat16ElN6thrust23THRUST_200600_302600_NS4plusIlEEEEZZNS1_33reduce_by_key_impl_wrapped_configILNS1_25lookback_scan_determinismE0ES3_SB_PS6_NS8_17constant_iteratorIiNS8_11use_defaultESG_EENS8_10device_ptrIS6_EENSI_IlEEPmSA_NS8_8equal_toIS6_EEEE10hipError_tPvRmT2_T3_mT4_T5_T6_T7_T8_P12ihipStream_tbENKUlT_T0_E_clISt17integral_constantIbLb0EES15_EEDaS10_S11_EUlS10_E_NS1_11comp_targetILNS1_3genE9ELNS1_11target_archE1100ELNS1_3gpuE3ELNS1_3repE0EEENS1_30default_config_static_selectorELNS0_4arch9wavefront6targetE1EEEvT1_.num_agpr, 0
	.set _ZN7rocprim17ROCPRIM_400000_NS6detail17trampoline_kernelINS0_14default_configENS1_29reduce_by_key_config_selectorIN3c108BFloat16ElN6thrust23THRUST_200600_302600_NS4plusIlEEEEZZNS1_33reduce_by_key_impl_wrapped_configILNS1_25lookback_scan_determinismE0ES3_SB_PS6_NS8_17constant_iteratorIiNS8_11use_defaultESG_EENS8_10device_ptrIS6_EENSI_IlEEPmSA_NS8_8equal_toIS6_EEEE10hipError_tPvRmT2_T3_mT4_T5_T6_T7_T8_P12ihipStream_tbENKUlT_T0_E_clISt17integral_constantIbLb0EES15_EEDaS10_S11_EUlS10_E_NS1_11comp_targetILNS1_3genE9ELNS1_11target_archE1100ELNS1_3gpuE3ELNS1_3repE0EEENS1_30default_config_static_selectorELNS0_4arch9wavefront6targetE1EEEvT1_.numbered_sgpr, 0
	.set _ZN7rocprim17ROCPRIM_400000_NS6detail17trampoline_kernelINS0_14default_configENS1_29reduce_by_key_config_selectorIN3c108BFloat16ElN6thrust23THRUST_200600_302600_NS4plusIlEEEEZZNS1_33reduce_by_key_impl_wrapped_configILNS1_25lookback_scan_determinismE0ES3_SB_PS6_NS8_17constant_iteratorIiNS8_11use_defaultESG_EENS8_10device_ptrIS6_EENSI_IlEEPmSA_NS8_8equal_toIS6_EEEE10hipError_tPvRmT2_T3_mT4_T5_T6_T7_T8_P12ihipStream_tbENKUlT_T0_E_clISt17integral_constantIbLb0EES15_EEDaS10_S11_EUlS10_E_NS1_11comp_targetILNS1_3genE9ELNS1_11target_archE1100ELNS1_3gpuE3ELNS1_3repE0EEENS1_30default_config_static_selectorELNS0_4arch9wavefront6targetE1EEEvT1_.num_named_barrier, 0
	.set _ZN7rocprim17ROCPRIM_400000_NS6detail17trampoline_kernelINS0_14default_configENS1_29reduce_by_key_config_selectorIN3c108BFloat16ElN6thrust23THRUST_200600_302600_NS4plusIlEEEEZZNS1_33reduce_by_key_impl_wrapped_configILNS1_25lookback_scan_determinismE0ES3_SB_PS6_NS8_17constant_iteratorIiNS8_11use_defaultESG_EENS8_10device_ptrIS6_EENSI_IlEEPmSA_NS8_8equal_toIS6_EEEE10hipError_tPvRmT2_T3_mT4_T5_T6_T7_T8_P12ihipStream_tbENKUlT_T0_E_clISt17integral_constantIbLb0EES15_EEDaS10_S11_EUlS10_E_NS1_11comp_targetILNS1_3genE9ELNS1_11target_archE1100ELNS1_3gpuE3ELNS1_3repE0EEENS1_30default_config_static_selectorELNS0_4arch9wavefront6targetE1EEEvT1_.private_seg_size, 0
	.set _ZN7rocprim17ROCPRIM_400000_NS6detail17trampoline_kernelINS0_14default_configENS1_29reduce_by_key_config_selectorIN3c108BFloat16ElN6thrust23THRUST_200600_302600_NS4plusIlEEEEZZNS1_33reduce_by_key_impl_wrapped_configILNS1_25lookback_scan_determinismE0ES3_SB_PS6_NS8_17constant_iteratorIiNS8_11use_defaultESG_EENS8_10device_ptrIS6_EENSI_IlEEPmSA_NS8_8equal_toIS6_EEEE10hipError_tPvRmT2_T3_mT4_T5_T6_T7_T8_P12ihipStream_tbENKUlT_T0_E_clISt17integral_constantIbLb0EES15_EEDaS10_S11_EUlS10_E_NS1_11comp_targetILNS1_3genE9ELNS1_11target_archE1100ELNS1_3gpuE3ELNS1_3repE0EEENS1_30default_config_static_selectorELNS0_4arch9wavefront6targetE1EEEvT1_.uses_vcc, 0
	.set _ZN7rocprim17ROCPRIM_400000_NS6detail17trampoline_kernelINS0_14default_configENS1_29reduce_by_key_config_selectorIN3c108BFloat16ElN6thrust23THRUST_200600_302600_NS4plusIlEEEEZZNS1_33reduce_by_key_impl_wrapped_configILNS1_25lookback_scan_determinismE0ES3_SB_PS6_NS8_17constant_iteratorIiNS8_11use_defaultESG_EENS8_10device_ptrIS6_EENSI_IlEEPmSA_NS8_8equal_toIS6_EEEE10hipError_tPvRmT2_T3_mT4_T5_T6_T7_T8_P12ihipStream_tbENKUlT_T0_E_clISt17integral_constantIbLb0EES15_EEDaS10_S11_EUlS10_E_NS1_11comp_targetILNS1_3genE9ELNS1_11target_archE1100ELNS1_3gpuE3ELNS1_3repE0EEENS1_30default_config_static_selectorELNS0_4arch9wavefront6targetE1EEEvT1_.uses_flat_scratch, 0
	.set _ZN7rocprim17ROCPRIM_400000_NS6detail17trampoline_kernelINS0_14default_configENS1_29reduce_by_key_config_selectorIN3c108BFloat16ElN6thrust23THRUST_200600_302600_NS4plusIlEEEEZZNS1_33reduce_by_key_impl_wrapped_configILNS1_25lookback_scan_determinismE0ES3_SB_PS6_NS8_17constant_iteratorIiNS8_11use_defaultESG_EENS8_10device_ptrIS6_EENSI_IlEEPmSA_NS8_8equal_toIS6_EEEE10hipError_tPvRmT2_T3_mT4_T5_T6_T7_T8_P12ihipStream_tbENKUlT_T0_E_clISt17integral_constantIbLb0EES15_EEDaS10_S11_EUlS10_E_NS1_11comp_targetILNS1_3genE9ELNS1_11target_archE1100ELNS1_3gpuE3ELNS1_3repE0EEENS1_30default_config_static_selectorELNS0_4arch9wavefront6targetE1EEEvT1_.has_dyn_sized_stack, 0
	.set _ZN7rocprim17ROCPRIM_400000_NS6detail17trampoline_kernelINS0_14default_configENS1_29reduce_by_key_config_selectorIN3c108BFloat16ElN6thrust23THRUST_200600_302600_NS4plusIlEEEEZZNS1_33reduce_by_key_impl_wrapped_configILNS1_25lookback_scan_determinismE0ES3_SB_PS6_NS8_17constant_iteratorIiNS8_11use_defaultESG_EENS8_10device_ptrIS6_EENSI_IlEEPmSA_NS8_8equal_toIS6_EEEE10hipError_tPvRmT2_T3_mT4_T5_T6_T7_T8_P12ihipStream_tbENKUlT_T0_E_clISt17integral_constantIbLb0EES15_EEDaS10_S11_EUlS10_E_NS1_11comp_targetILNS1_3genE9ELNS1_11target_archE1100ELNS1_3gpuE3ELNS1_3repE0EEENS1_30default_config_static_selectorELNS0_4arch9wavefront6targetE1EEEvT1_.has_recursion, 0
	.set _ZN7rocprim17ROCPRIM_400000_NS6detail17trampoline_kernelINS0_14default_configENS1_29reduce_by_key_config_selectorIN3c108BFloat16ElN6thrust23THRUST_200600_302600_NS4plusIlEEEEZZNS1_33reduce_by_key_impl_wrapped_configILNS1_25lookback_scan_determinismE0ES3_SB_PS6_NS8_17constant_iteratorIiNS8_11use_defaultESG_EENS8_10device_ptrIS6_EENSI_IlEEPmSA_NS8_8equal_toIS6_EEEE10hipError_tPvRmT2_T3_mT4_T5_T6_T7_T8_P12ihipStream_tbENKUlT_T0_E_clISt17integral_constantIbLb0EES15_EEDaS10_S11_EUlS10_E_NS1_11comp_targetILNS1_3genE9ELNS1_11target_archE1100ELNS1_3gpuE3ELNS1_3repE0EEENS1_30default_config_static_selectorELNS0_4arch9wavefront6targetE1EEEvT1_.has_indirect_call, 0
	.section	.AMDGPU.csdata,"",@progbits
; Kernel info:
; codeLenInByte = 0
; TotalNumSgprs: 4
; NumVgprs: 0
; ScratchSize: 0
; MemoryBound: 0
; FloatMode: 240
; IeeeMode: 1
; LDSByteSize: 0 bytes/workgroup (compile time only)
; SGPRBlocks: 0
; VGPRBlocks: 0
; NumSGPRsForWavesPerEU: 4
; NumVGPRsForWavesPerEU: 1
; Occupancy: 10
; WaveLimiterHint : 0
; COMPUTE_PGM_RSRC2:SCRATCH_EN: 0
; COMPUTE_PGM_RSRC2:USER_SGPR: 6
; COMPUTE_PGM_RSRC2:TRAP_HANDLER: 0
; COMPUTE_PGM_RSRC2:TGID_X_EN: 1
; COMPUTE_PGM_RSRC2:TGID_Y_EN: 0
; COMPUTE_PGM_RSRC2:TGID_Z_EN: 0
; COMPUTE_PGM_RSRC2:TIDIG_COMP_CNT: 0
	.section	.text._ZN7rocprim17ROCPRIM_400000_NS6detail17trampoline_kernelINS0_14default_configENS1_29reduce_by_key_config_selectorIN3c108BFloat16ElN6thrust23THRUST_200600_302600_NS4plusIlEEEEZZNS1_33reduce_by_key_impl_wrapped_configILNS1_25lookback_scan_determinismE0ES3_SB_PS6_NS8_17constant_iteratorIiNS8_11use_defaultESG_EENS8_10device_ptrIS6_EENSI_IlEEPmSA_NS8_8equal_toIS6_EEEE10hipError_tPvRmT2_T3_mT4_T5_T6_T7_T8_P12ihipStream_tbENKUlT_T0_E_clISt17integral_constantIbLb0EES15_EEDaS10_S11_EUlS10_E_NS1_11comp_targetILNS1_3genE8ELNS1_11target_archE1030ELNS1_3gpuE2ELNS1_3repE0EEENS1_30default_config_static_selectorELNS0_4arch9wavefront6targetE1EEEvT1_,"axG",@progbits,_ZN7rocprim17ROCPRIM_400000_NS6detail17trampoline_kernelINS0_14default_configENS1_29reduce_by_key_config_selectorIN3c108BFloat16ElN6thrust23THRUST_200600_302600_NS4plusIlEEEEZZNS1_33reduce_by_key_impl_wrapped_configILNS1_25lookback_scan_determinismE0ES3_SB_PS6_NS8_17constant_iteratorIiNS8_11use_defaultESG_EENS8_10device_ptrIS6_EENSI_IlEEPmSA_NS8_8equal_toIS6_EEEE10hipError_tPvRmT2_T3_mT4_T5_T6_T7_T8_P12ihipStream_tbENKUlT_T0_E_clISt17integral_constantIbLb0EES15_EEDaS10_S11_EUlS10_E_NS1_11comp_targetILNS1_3genE8ELNS1_11target_archE1030ELNS1_3gpuE2ELNS1_3repE0EEENS1_30default_config_static_selectorELNS0_4arch9wavefront6targetE1EEEvT1_,comdat
	.protected	_ZN7rocprim17ROCPRIM_400000_NS6detail17trampoline_kernelINS0_14default_configENS1_29reduce_by_key_config_selectorIN3c108BFloat16ElN6thrust23THRUST_200600_302600_NS4plusIlEEEEZZNS1_33reduce_by_key_impl_wrapped_configILNS1_25lookback_scan_determinismE0ES3_SB_PS6_NS8_17constant_iteratorIiNS8_11use_defaultESG_EENS8_10device_ptrIS6_EENSI_IlEEPmSA_NS8_8equal_toIS6_EEEE10hipError_tPvRmT2_T3_mT4_T5_T6_T7_T8_P12ihipStream_tbENKUlT_T0_E_clISt17integral_constantIbLb0EES15_EEDaS10_S11_EUlS10_E_NS1_11comp_targetILNS1_3genE8ELNS1_11target_archE1030ELNS1_3gpuE2ELNS1_3repE0EEENS1_30default_config_static_selectorELNS0_4arch9wavefront6targetE1EEEvT1_ ; -- Begin function _ZN7rocprim17ROCPRIM_400000_NS6detail17trampoline_kernelINS0_14default_configENS1_29reduce_by_key_config_selectorIN3c108BFloat16ElN6thrust23THRUST_200600_302600_NS4plusIlEEEEZZNS1_33reduce_by_key_impl_wrapped_configILNS1_25lookback_scan_determinismE0ES3_SB_PS6_NS8_17constant_iteratorIiNS8_11use_defaultESG_EENS8_10device_ptrIS6_EENSI_IlEEPmSA_NS8_8equal_toIS6_EEEE10hipError_tPvRmT2_T3_mT4_T5_T6_T7_T8_P12ihipStream_tbENKUlT_T0_E_clISt17integral_constantIbLb0EES15_EEDaS10_S11_EUlS10_E_NS1_11comp_targetILNS1_3genE8ELNS1_11target_archE1030ELNS1_3gpuE2ELNS1_3repE0EEENS1_30default_config_static_selectorELNS0_4arch9wavefront6targetE1EEEvT1_
	.globl	_ZN7rocprim17ROCPRIM_400000_NS6detail17trampoline_kernelINS0_14default_configENS1_29reduce_by_key_config_selectorIN3c108BFloat16ElN6thrust23THRUST_200600_302600_NS4plusIlEEEEZZNS1_33reduce_by_key_impl_wrapped_configILNS1_25lookback_scan_determinismE0ES3_SB_PS6_NS8_17constant_iteratorIiNS8_11use_defaultESG_EENS8_10device_ptrIS6_EENSI_IlEEPmSA_NS8_8equal_toIS6_EEEE10hipError_tPvRmT2_T3_mT4_T5_T6_T7_T8_P12ihipStream_tbENKUlT_T0_E_clISt17integral_constantIbLb0EES15_EEDaS10_S11_EUlS10_E_NS1_11comp_targetILNS1_3genE8ELNS1_11target_archE1030ELNS1_3gpuE2ELNS1_3repE0EEENS1_30default_config_static_selectorELNS0_4arch9wavefront6targetE1EEEvT1_
	.p2align	8
	.type	_ZN7rocprim17ROCPRIM_400000_NS6detail17trampoline_kernelINS0_14default_configENS1_29reduce_by_key_config_selectorIN3c108BFloat16ElN6thrust23THRUST_200600_302600_NS4plusIlEEEEZZNS1_33reduce_by_key_impl_wrapped_configILNS1_25lookback_scan_determinismE0ES3_SB_PS6_NS8_17constant_iteratorIiNS8_11use_defaultESG_EENS8_10device_ptrIS6_EENSI_IlEEPmSA_NS8_8equal_toIS6_EEEE10hipError_tPvRmT2_T3_mT4_T5_T6_T7_T8_P12ihipStream_tbENKUlT_T0_E_clISt17integral_constantIbLb0EES15_EEDaS10_S11_EUlS10_E_NS1_11comp_targetILNS1_3genE8ELNS1_11target_archE1030ELNS1_3gpuE2ELNS1_3repE0EEENS1_30default_config_static_selectorELNS0_4arch9wavefront6targetE1EEEvT1_,@function
_ZN7rocprim17ROCPRIM_400000_NS6detail17trampoline_kernelINS0_14default_configENS1_29reduce_by_key_config_selectorIN3c108BFloat16ElN6thrust23THRUST_200600_302600_NS4plusIlEEEEZZNS1_33reduce_by_key_impl_wrapped_configILNS1_25lookback_scan_determinismE0ES3_SB_PS6_NS8_17constant_iteratorIiNS8_11use_defaultESG_EENS8_10device_ptrIS6_EENSI_IlEEPmSA_NS8_8equal_toIS6_EEEE10hipError_tPvRmT2_T3_mT4_T5_T6_T7_T8_P12ihipStream_tbENKUlT_T0_E_clISt17integral_constantIbLb0EES15_EEDaS10_S11_EUlS10_E_NS1_11comp_targetILNS1_3genE8ELNS1_11target_archE1030ELNS1_3gpuE2ELNS1_3repE0EEENS1_30default_config_static_selectorELNS0_4arch9wavefront6targetE1EEEvT1_: ; @_ZN7rocprim17ROCPRIM_400000_NS6detail17trampoline_kernelINS0_14default_configENS1_29reduce_by_key_config_selectorIN3c108BFloat16ElN6thrust23THRUST_200600_302600_NS4plusIlEEEEZZNS1_33reduce_by_key_impl_wrapped_configILNS1_25lookback_scan_determinismE0ES3_SB_PS6_NS8_17constant_iteratorIiNS8_11use_defaultESG_EENS8_10device_ptrIS6_EENSI_IlEEPmSA_NS8_8equal_toIS6_EEEE10hipError_tPvRmT2_T3_mT4_T5_T6_T7_T8_P12ihipStream_tbENKUlT_T0_E_clISt17integral_constantIbLb0EES15_EEDaS10_S11_EUlS10_E_NS1_11comp_targetILNS1_3genE8ELNS1_11target_archE1030ELNS1_3gpuE2ELNS1_3repE0EEENS1_30default_config_static_selectorELNS0_4arch9wavefront6targetE1EEEvT1_
; %bb.0:
	.section	.rodata,"a",@progbits
	.p2align	6, 0x0
	.amdhsa_kernel _ZN7rocprim17ROCPRIM_400000_NS6detail17trampoline_kernelINS0_14default_configENS1_29reduce_by_key_config_selectorIN3c108BFloat16ElN6thrust23THRUST_200600_302600_NS4plusIlEEEEZZNS1_33reduce_by_key_impl_wrapped_configILNS1_25lookback_scan_determinismE0ES3_SB_PS6_NS8_17constant_iteratorIiNS8_11use_defaultESG_EENS8_10device_ptrIS6_EENSI_IlEEPmSA_NS8_8equal_toIS6_EEEE10hipError_tPvRmT2_T3_mT4_T5_T6_T7_T8_P12ihipStream_tbENKUlT_T0_E_clISt17integral_constantIbLb0EES15_EEDaS10_S11_EUlS10_E_NS1_11comp_targetILNS1_3genE8ELNS1_11target_archE1030ELNS1_3gpuE2ELNS1_3repE0EEENS1_30default_config_static_selectorELNS0_4arch9wavefront6targetE1EEEvT1_
		.amdhsa_group_segment_fixed_size 0
		.amdhsa_private_segment_fixed_size 0
		.amdhsa_kernarg_size 144
		.amdhsa_user_sgpr_count 6
		.amdhsa_user_sgpr_private_segment_buffer 1
		.amdhsa_user_sgpr_dispatch_ptr 0
		.amdhsa_user_sgpr_queue_ptr 0
		.amdhsa_user_sgpr_kernarg_segment_ptr 1
		.amdhsa_user_sgpr_dispatch_id 0
		.amdhsa_user_sgpr_flat_scratch_init 0
		.amdhsa_user_sgpr_private_segment_size 0
		.amdhsa_uses_dynamic_stack 0
		.amdhsa_system_sgpr_private_segment_wavefront_offset 0
		.amdhsa_system_sgpr_workgroup_id_x 1
		.amdhsa_system_sgpr_workgroup_id_y 0
		.amdhsa_system_sgpr_workgroup_id_z 0
		.amdhsa_system_sgpr_workgroup_info 0
		.amdhsa_system_vgpr_workitem_id 0
		.amdhsa_next_free_vgpr 1
		.amdhsa_next_free_sgpr 0
		.amdhsa_reserve_vcc 0
		.amdhsa_reserve_flat_scratch 0
		.amdhsa_float_round_mode_32 0
		.amdhsa_float_round_mode_16_64 0
		.amdhsa_float_denorm_mode_32 3
		.amdhsa_float_denorm_mode_16_64 3
		.amdhsa_dx10_clamp 1
		.amdhsa_ieee_mode 1
		.amdhsa_fp16_overflow 0
		.amdhsa_exception_fp_ieee_invalid_op 0
		.amdhsa_exception_fp_denorm_src 0
		.amdhsa_exception_fp_ieee_div_zero 0
		.amdhsa_exception_fp_ieee_overflow 0
		.amdhsa_exception_fp_ieee_underflow 0
		.amdhsa_exception_fp_ieee_inexact 0
		.amdhsa_exception_int_div_zero 0
	.end_amdhsa_kernel
	.section	.text._ZN7rocprim17ROCPRIM_400000_NS6detail17trampoline_kernelINS0_14default_configENS1_29reduce_by_key_config_selectorIN3c108BFloat16ElN6thrust23THRUST_200600_302600_NS4plusIlEEEEZZNS1_33reduce_by_key_impl_wrapped_configILNS1_25lookback_scan_determinismE0ES3_SB_PS6_NS8_17constant_iteratorIiNS8_11use_defaultESG_EENS8_10device_ptrIS6_EENSI_IlEEPmSA_NS8_8equal_toIS6_EEEE10hipError_tPvRmT2_T3_mT4_T5_T6_T7_T8_P12ihipStream_tbENKUlT_T0_E_clISt17integral_constantIbLb0EES15_EEDaS10_S11_EUlS10_E_NS1_11comp_targetILNS1_3genE8ELNS1_11target_archE1030ELNS1_3gpuE2ELNS1_3repE0EEENS1_30default_config_static_selectorELNS0_4arch9wavefront6targetE1EEEvT1_,"axG",@progbits,_ZN7rocprim17ROCPRIM_400000_NS6detail17trampoline_kernelINS0_14default_configENS1_29reduce_by_key_config_selectorIN3c108BFloat16ElN6thrust23THRUST_200600_302600_NS4plusIlEEEEZZNS1_33reduce_by_key_impl_wrapped_configILNS1_25lookback_scan_determinismE0ES3_SB_PS6_NS8_17constant_iteratorIiNS8_11use_defaultESG_EENS8_10device_ptrIS6_EENSI_IlEEPmSA_NS8_8equal_toIS6_EEEE10hipError_tPvRmT2_T3_mT4_T5_T6_T7_T8_P12ihipStream_tbENKUlT_T0_E_clISt17integral_constantIbLb0EES15_EEDaS10_S11_EUlS10_E_NS1_11comp_targetILNS1_3genE8ELNS1_11target_archE1030ELNS1_3gpuE2ELNS1_3repE0EEENS1_30default_config_static_selectorELNS0_4arch9wavefront6targetE1EEEvT1_,comdat
.Lfunc_end2060:
	.size	_ZN7rocprim17ROCPRIM_400000_NS6detail17trampoline_kernelINS0_14default_configENS1_29reduce_by_key_config_selectorIN3c108BFloat16ElN6thrust23THRUST_200600_302600_NS4plusIlEEEEZZNS1_33reduce_by_key_impl_wrapped_configILNS1_25lookback_scan_determinismE0ES3_SB_PS6_NS8_17constant_iteratorIiNS8_11use_defaultESG_EENS8_10device_ptrIS6_EENSI_IlEEPmSA_NS8_8equal_toIS6_EEEE10hipError_tPvRmT2_T3_mT4_T5_T6_T7_T8_P12ihipStream_tbENKUlT_T0_E_clISt17integral_constantIbLb0EES15_EEDaS10_S11_EUlS10_E_NS1_11comp_targetILNS1_3genE8ELNS1_11target_archE1030ELNS1_3gpuE2ELNS1_3repE0EEENS1_30default_config_static_selectorELNS0_4arch9wavefront6targetE1EEEvT1_, .Lfunc_end2060-_ZN7rocprim17ROCPRIM_400000_NS6detail17trampoline_kernelINS0_14default_configENS1_29reduce_by_key_config_selectorIN3c108BFloat16ElN6thrust23THRUST_200600_302600_NS4plusIlEEEEZZNS1_33reduce_by_key_impl_wrapped_configILNS1_25lookback_scan_determinismE0ES3_SB_PS6_NS8_17constant_iteratorIiNS8_11use_defaultESG_EENS8_10device_ptrIS6_EENSI_IlEEPmSA_NS8_8equal_toIS6_EEEE10hipError_tPvRmT2_T3_mT4_T5_T6_T7_T8_P12ihipStream_tbENKUlT_T0_E_clISt17integral_constantIbLb0EES15_EEDaS10_S11_EUlS10_E_NS1_11comp_targetILNS1_3genE8ELNS1_11target_archE1030ELNS1_3gpuE2ELNS1_3repE0EEENS1_30default_config_static_selectorELNS0_4arch9wavefront6targetE1EEEvT1_
                                        ; -- End function
	.set _ZN7rocprim17ROCPRIM_400000_NS6detail17trampoline_kernelINS0_14default_configENS1_29reduce_by_key_config_selectorIN3c108BFloat16ElN6thrust23THRUST_200600_302600_NS4plusIlEEEEZZNS1_33reduce_by_key_impl_wrapped_configILNS1_25lookback_scan_determinismE0ES3_SB_PS6_NS8_17constant_iteratorIiNS8_11use_defaultESG_EENS8_10device_ptrIS6_EENSI_IlEEPmSA_NS8_8equal_toIS6_EEEE10hipError_tPvRmT2_T3_mT4_T5_T6_T7_T8_P12ihipStream_tbENKUlT_T0_E_clISt17integral_constantIbLb0EES15_EEDaS10_S11_EUlS10_E_NS1_11comp_targetILNS1_3genE8ELNS1_11target_archE1030ELNS1_3gpuE2ELNS1_3repE0EEENS1_30default_config_static_selectorELNS0_4arch9wavefront6targetE1EEEvT1_.num_vgpr, 0
	.set _ZN7rocprim17ROCPRIM_400000_NS6detail17trampoline_kernelINS0_14default_configENS1_29reduce_by_key_config_selectorIN3c108BFloat16ElN6thrust23THRUST_200600_302600_NS4plusIlEEEEZZNS1_33reduce_by_key_impl_wrapped_configILNS1_25lookback_scan_determinismE0ES3_SB_PS6_NS8_17constant_iteratorIiNS8_11use_defaultESG_EENS8_10device_ptrIS6_EENSI_IlEEPmSA_NS8_8equal_toIS6_EEEE10hipError_tPvRmT2_T3_mT4_T5_T6_T7_T8_P12ihipStream_tbENKUlT_T0_E_clISt17integral_constantIbLb0EES15_EEDaS10_S11_EUlS10_E_NS1_11comp_targetILNS1_3genE8ELNS1_11target_archE1030ELNS1_3gpuE2ELNS1_3repE0EEENS1_30default_config_static_selectorELNS0_4arch9wavefront6targetE1EEEvT1_.num_agpr, 0
	.set _ZN7rocprim17ROCPRIM_400000_NS6detail17trampoline_kernelINS0_14default_configENS1_29reduce_by_key_config_selectorIN3c108BFloat16ElN6thrust23THRUST_200600_302600_NS4plusIlEEEEZZNS1_33reduce_by_key_impl_wrapped_configILNS1_25lookback_scan_determinismE0ES3_SB_PS6_NS8_17constant_iteratorIiNS8_11use_defaultESG_EENS8_10device_ptrIS6_EENSI_IlEEPmSA_NS8_8equal_toIS6_EEEE10hipError_tPvRmT2_T3_mT4_T5_T6_T7_T8_P12ihipStream_tbENKUlT_T0_E_clISt17integral_constantIbLb0EES15_EEDaS10_S11_EUlS10_E_NS1_11comp_targetILNS1_3genE8ELNS1_11target_archE1030ELNS1_3gpuE2ELNS1_3repE0EEENS1_30default_config_static_selectorELNS0_4arch9wavefront6targetE1EEEvT1_.numbered_sgpr, 0
	.set _ZN7rocprim17ROCPRIM_400000_NS6detail17trampoline_kernelINS0_14default_configENS1_29reduce_by_key_config_selectorIN3c108BFloat16ElN6thrust23THRUST_200600_302600_NS4plusIlEEEEZZNS1_33reduce_by_key_impl_wrapped_configILNS1_25lookback_scan_determinismE0ES3_SB_PS6_NS8_17constant_iteratorIiNS8_11use_defaultESG_EENS8_10device_ptrIS6_EENSI_IlEEPmSA_NS8_8equal_toIS6_EEEE10hipError_tPvRmT2_T3_mT4_T5_T6_T7_T8_P12ihipStream_tbENKUlT_T0_E_clISt17integral_constantIbLb0EES15_EEDaS10_S11_EUlS10_E_NS1_11comp_targetILNS1_3genE8ELNS1_11target_archE1030ELNS1_3gpuE2ELNS1_3repE0EEENS1_30default_config_static_selectorELNS0_4arch9wavefront6targetE1EEEvT1_.num_named_barrier, 0
	.set _ZN7rocprim17ROCPRIM_400000_NS6detail17trampoline_kernelINS0_14default_configENS1_29reduce_by_key_config_selectorIN3c108BFloat16ElN6thrust23THRUST_200600_302600_NS4plusIlEEEEZZNS1_33reduce_by_key_impl_wrapped_configILNS1_25lookback_scan_determinismE0ES3_SB_PS6_NS8_17constant_iteratorIiNS8_11use_defaultESG_EENS8_10device_ptrIS6_EENSI_IlEEPmSA_NS8_8equal_toIS6_EEEE10hipError_tPvRmT2_T3_mT4_T5_T6_T7_T8_P12ihipStream_tbENKUlT_T0_E_clISt17integral_constantIbLb0EES15_EEDaS10_S11_EUlS10_E_NS1_11comp_targetILNS1_3genE8ELNS1_11target_archE1030ELNS1_3gpuE2ELNS1_3repE0EEENS1_30default_config_static_selectorELNS0_4arch9wavefront6targetE1EEEvT1_.private_seg_size, 0
	.set _ZN7rocprim17ROCPRIM_400000_NS6detail17trampoline_kernelINS0_14default_configENS1_29reduce_by_key_config_selectorIN3c108BFloat16ElN6thrust23THRUST_200600_302600_NS4plusIlEEEEZZNS1_33reduce_by_key_impl_wrapped_configILNS1_25lookback_scan_determinismE0ES3_SB_PS6_NS8_17constant_iteratorIiNS8_11use_defaultESG_EENS8_10device_ptrIS6_EENSI_IlEEPmSA_NS8_8equal_toIS6_EEEE10hipError_tPvRmT2_T3_mT4_T5_T6_T7_T8_P12ihipStream_tbENKUlT_T0_E_clISt17integral_constantIbLb0EES15_EEDaS10_S11_EUlS10_E_NS1_11comp_targetILNS1_3genE8ELNS1_11target_archE1030ELNS1_3gpuE2ELNS1_3repE0EEENS1_30default_config_static_selectorELNS0_4arch9wavefront6targetE1EEEvT1_.uses_vcc, 0
	.set _ZN7rocprim17ROCPRIM_400000_NS6detail17trampoline_kernelINS0_14default_configENS1_29reduce_by_key_config_selectorIN3c108BFloat16ElN6thrust23THRUST_200600_302600_NS4plusIlEEEEZZNS1_33reduce_by_key_impl_wrapped_configILNS1_25lookback_scan_determinismE0ES3_SB_PS6_NS8_17constant_iteratorIiNS8_11use_defaultESG_EENS8_10device_ptrIS6_EENSI_IlEEPmSA_NS8_8equal_toIS6_EEEE10hipError_tPvRmT2_T3_mT4_T5_T6_T7_T8_P12ihipStream_tbENKUlT_T0_E_clISt17integral_constantIbLb0EES15_EEDaS10_S11_EUlS10_E_NS1_11comp_targetILNS1_3genE8ELNS1_11target_archE1030ELNS1_3gpuE2ELNS1_3repE0EEENS1_30default_config_static_selectorELNS0_4arch9wavefront6targetE1EEEvT1_.uses_flat_scratch, 0
	.set _ZN7rocprim17ROCPRIM_400000_NS6detail17trampoline_kernelINS0_14default_configENS1_29reduce_by_key_config_selectorIN3c108BFloat16ElN6thrust23THRUST_200600_302600_NS4plusIlEEEEZZNS1_33reduce_by_key_impl_wrapped_configILNS1_25lookback_scan_determinismE0ES3_SB_PS6_NS8_17constant_iteratorIiNS8_11use_defaultESG_EENS8_10device_ptrIS6_EENSI_IlEEPmSA_NS8_8equal_toIS6_EEEE10hipError_tPvRmT2_T3_mT4_T5_T6_T7_T8_P12ihipStream_tbENKUlT_T0_E_clISt17integral_constantIbLb0EES15_EEDaS10_S11_EUlS10_E_NS1_11comp_targetILNS1_3genE8ELNS1_11target_archE1030ELNS1_3gpuE2ELNS1_3repE0EEENS1_30default_config_static_selectorELNS0_4arch9wavefront6targetE1EEEvT1_.has_dyn_sized_stack, 0
	.set _ZN7rocprim17ROCPRIM_400000_NS6detail17trampoline_kernelINS0_14default_configENS1_29reduce_by_key_config_selectorIN3c108BFloat16ElN6thrust23THRUST_200600_302600_NS4plusIlEEEEZZNS1_33reduce_by_key_impl_wrapped_configILNS1_25lookback_scan_determinismE0ES3_SB_PS6_NS8_17constant_iteratorIiNS8_11use_defaultESG_EENS8_10device_ptrIS6_EENSI_IlEEPmSA_NS8_8equal_toIS6_EEEE10hipError_tPvRmT2_T3_mT4_T5_T6_T7_T8_P12ihipStream_tbENKUlT_T0_E_clISt17integral_constantIbLb0EES15_EEDaS10_S11_EUlS10_E_NS1_11comp_targetILNS1_3genE8ELNS1_11target_archE1030ELNS1_3gpuE2ELNS1_3repE0EEENS1_30default_config_static_selectorELNS0_4arch9wavefront6targetE1EEEvT1_.has_recursion, 0
	.set _ZN7rocprim17ROCPRIM_400000_NS6detail17trampoline_kernelINS0_14default_configENS1_29reduce_by_key_config_selectorIN3c108BFloat16ElN6thrust23THRUST_200600_302600_NS4plusIlEEEEZZNS1_33reduce_by_key_impl_wrapped_configILNS1_25lookback_scan_determinismE0ES3_SB_PS6_NS8_17constant_iteratorIiNS8_11use_defaultESG_EENS8_10device_ptrIS6_EENSI_IlEEPmSA_NS8_8equal_toIS6_EEEE10hipError_tPvRmT2_T3_mT4_T5_T6_T7_T8_P12ihipStream_tbENKUlT_T0_E_clISt17integral_constantIbLb0EES15_EEDaS10_S11_EUlS10_E_NS1_11comp_targetILNS1_3genE8ELNS1_11target_archE1030ELNS1_3gpuE2ELNS1_3repE0EEENS1_30default_config_static_selectorELNS0_4arch9wavefront6targetE1EEEvT1_.has_indirect_call, 0
	.section	.AMDGPU.csdata,"",@progbits
; Kernel info:
; codeLenInByte = 0
; TotalNumSgprs: 4
; NumVgprs: 0
; ScratchSize: 0
; MemoryBound: 0
; FloatMode: 240
; IeeeMode: 1
; LDSByteSize: 0 bytes/workgroup (compile time only)
; SGPRBlocks: 0
; VGPRBlocks: 0
; NumSGPRsForWavesPerEU: 4
; NumVGPRsForWavesPerEU: 1
; Occupancy: 10
; WaveLimiterHint : 0
; COMPUTE_PGM_RSRC2:SCRATCH_EN: 0
; COMPUTE_PGM_RSRC2:USER_SGPR: 6
; COMPUTE_PGM_RSRC2:TRAP_HANDLER: 0
; COMPUTE_PGM_RSRC2:TGID_X_EN: 1
; COMPUTE_PGM_RSRC2:TGID_Y_EN: 0
; COMPUTE_PGM_RSRC2:TGID_Z_EN: 0
; COMPUTE_PGM_RSRC2:TIDIG_COMP_CNT: 0
	.section	.text._ZN7rocprim17ROCPRIM_400000_NS6detail17trampoline_kernelINS0_14default_configENS1_29reduce_by_key_config_selectorIN3c108BFloat16ElN6thrust23THRUST_200600_302600_NS4plusIlEEEEZZNS1_33reduce_by_key_impl_wrapped_configILNS1_25lookback_scan_determinismE0ES3_SB_PS6_NS8_17constant_iteratorIiNS8_11use_defaultESG_EENS8_10device_ptrIS6_EENSI_IlEEPmSA_NS8_8equal_toIS6_EEEE10hipError_tPvRmT2_T3_mT4_T5_T6_T7_T8_P12ihipStream_tbENKUlT_T0_E_clISt17integral_constantIbLb1EES15_EEDaS10_S11_EUlS10_E_NS1_11comp_targetILNS1_3genE0ELNS1_11target_archE4294967295ELNS1_3gpuE0ELNS1_3repE0EEENS1_30default_config_static_selectorELNS0_4arch9wavefront6targetE1EEEvT1_,"axG",@progbits,_ZN7rocprim17ROCPRIM_400000_NS6detail17trampoline_kernelINS0_14default_configENS1_29reduce_by_key_config_selectorIN3c108BFloat16ElN6thrust23THRUST_200600_302600_NS4plusIlEEEEZZNS1_33reduce_by_key_impl_wrapped_configILNS1_25lookback_scan_determinismE0ES3_SB_PS6_NS8_17constant_iteratorIiNS8_11use_defaultESG_EENS8_10device_ptrIS6_EENSI_IlEEPmSA_NS8_8equal_toIS6_EEEE10hipError_tPvRmT2_T3_mT4_T5_T6_T7_T8_P12ihipStream_tbENKUlT_T0_E_clISt17integral_constantIbLb1EES15_EEDaS10_S11_EUlS10_E_NS1_11comp_targetILNS1_3genE0ELNS1_11target_archE4294967295ELNS1_3gpuE0ELNS1_3repE0EEENS1_30default_config_static_selectorELNS0_4arch9wavefront6targetE1EEEvT1_,comdat
	.protected	_ZN7rocprim17ROCPRIM_400000_NS6detail17trampoline_kernelINS0_14default_configENS1_29reduce_by_key_config_selectorIN3c108BFloat16ElN6thrust23THRUST_200600_302600_NS4plusIlEEEEZZNS1_33reduce_by_key_impl_wrapped_configILNS1_25lookback_scan_determinismE0ES3_SB_PS6_NS8_17constant_iteratorIiNS8_11use_defaultESG_EENS8_10device_ptrIS6_EENSI_IlEEPmSA_NS8_8equal_toIS6_EEEE10hipError_tPvRmT2_T3_mT4_T5_T6_T7_T8_P12ihipStream_tbENKUlT_T0_E_clISt17integral_constantIbLb1EES15_EEDaS10_S11_EUlS10_E_NS1_11comp_targetILNS1_3genE0ELNS1_11target_archE4294967295ELNS1_3gpuE0ELNS1_3repE0EEENS1_30default_config_static_selectorELNS0_4arch9wavefront6targetE1EEEvT1_ ; -- Begin function _ZN7rocprim17ROCPRIM_400000_NS6detail17trampoline_kernelINS0_14default_configENS1_29reduce_by_key_config_selectorIN3c108BFloat16ElN6thrust23THRUST_200600_302600_NS4plusIlEEEEZZNS1_33reduce_by_key_impl_wrapped_configILNS1_25lookback_scan_determinismE0ES3_SB_PS6_NS8_17constant_iteratorIiNS8_11use_defaultESG_EENS8_10device_ptrIS6_EENSI_IlEEPmSA_NS8_8equal_toIS6_EEEE10hipError_tPvRmT2_T3_mT4_T5_T6_T7_T8_P12ihipStream_tbENKUlT_T0_E_clISt17integral_constantIbLb1EES15_EEDaS10_S11_EUlS10_E_NS1_11comp_targetILNS1_3genE0ELNS1_11target_archE4294967295ELNS1_3gpuE0ELNS1_3repE0EEENS1_30default_config_static_selectorELNS0_4arch9wavefront6targetE1EEEvT1_
	.globl	_ZN7rocprim17ROCPRIM_400000_NS6detail17trampoline_kernelINS0_14default_configENS1_29reduce_by_key_config_selectorIN3c108BFloat16ElN6thrust23THRUST_200600_302600_NS4plusIlEEEEZZNS1_33reduce_by_key_impl_wrapped_configILNS1_25lookback_scan_determinismE0ES3_SB_PS6_NS8_17constant_iteratorIiNS8_11use_defaultESG_EENS8_10device_ptrIS6_EENSI_IlEEPmSA_NS8_8equal_toIS6_EEEE10hipError_tPvRmT2_T3_mT4_T5_T6_T7_T8_P12ihipStream_tbENKUlT_T0_E_clISt17integral_constantIbLb1EES15_EEDaS10_S11_EUlS10_E_NS1_11comp_targetILNS1_3genE0ELNS1_11target_archE4294967295ELNS1_3gpuE0ELNS1_3repE0EEENS1_30default_config_static_selectorELNS0_4arch9wavefront6targetE1EEEvT1_
	.p2align	8
	.type	_ZN7rocprim17ROCPRIM_400000_NS6detail17trampoline_kernelINS0_14default_configENS1_29reduce_by_key_config_selectorIN3c108BFloat16ElN6thrust23THRUST_200600_302600_NS4plusIlEEEEZZNS1_33reduce_by_key_impl_wrapped_configILNS1_25lookback_scan_determinismE0ES3_SB_PS6_NS8_17constant_iteratorIiNS8_11use_defaultESG_EENS8_10device_ptrIS6_EENSI_IlEEPmSA_NS8_8equal_toIS6_EEEE10hipError_tPvRmT2_T3_mT4_T5_T6_T7_T8_P12ihipStream_tbENKUlT_T0_E_clISt17integral_constantIbLb1EES15_EEDaS10_S11_EUlS10_E_NS1_11comp_targetILNS1_3genE0ELNS1_11target_archE4294967295ELNS1_3gpuE0ELNS1_3repE0EEENS1_30default_config_static_selectorELNS0_4arch9wavefront6targetE1EEEvT1_,@function
_ZN7rocprim17ROCPRIM_400000_NS6detail17trampoline_kernelINS0_14default_configENS1_29reduce_by_key_config_selectorIN3c108BFloat16ElN6thrust23THRUST_200600_302600_NS4plusIlEEEEZZNS1_33reduce_by_key_impl_wrapped_configILNS1_25lookback_scan_determinismE0ES3_SB_PS6_NS8_17constant_iteratorIiNS8_11use_defaultESG_EENS8_10device_ptrIS6_EENSI_IlEEPmSA_NS8_8equal_toIS6_EEEE10hipError_tPvRmT2_T3_mT4_T5_T6_T7_T8_P12ihipStream_tbENKUlT_T0_E_clISt17integral_constantIbLb1EES15_EEDaS10_S11_EUlS10_E_NS1_11comp_targetILNS1_3genE0ELNS1_11target_archE4294967295ELNS1_3gpuE0ELNS1_3repE0EEENS1_30default_config_static_selectorELNS0_4arch9wavefront6targetE1EEEvT1_: ; @_ZN7rocprim17ROCPRIM_400000_NS6detail17trampoline_kernelINS0_14default_configENS1_29reduce_by_key_config_selectorIN3c108BFloat16ElN6thrust23THRUST_200600_302600_NS4plusIlEEEEZZNS1_33reduce_by_key_impl_wrapped_configILNS1_25lookback_scan_determinismE0ES3_SB_PS6_NS8_17constant_iteratorIiNS8_11use_defaultESG_EENS8_10device_ptrIS6_EENSI_IlEEPmSA_NS8_8equal_toIS6_EEEE10hipError_tPvRmT2_T3_mT4_T5_T6_T7_T8_P12ihipStream_tbENKUlT_T0_E_clISt17integral_constantIbLb1EES15_EEDaS10_S11_EUlS10_E_NS1_11comp_targetILNS1_3genE0ELNS1_11target_archE4294967295ELNS1_3gpuE0ELNS1_3repE0EEENS1_30default_config_static_selectorELNS0_4arch9wavefront6targetE1EEEvT1_
; %bb.0:
	.section	.rodata,"a",@progbits
	.p2align	6, 0x0
	.amdhsa_kernel _ZN7rocprim17ROCPRIM_400000_NS6detail17trampoline_kernelINS0_14default_configENS1_29reduce_by_key_config_selectorIN3c108BFloat16ElN6thrust23THRUST_200600_302600_NS4plusIlEEEEZZNS1_33reduce_by_key_impl_wrapped_configILNS1_25lookback_scan_determinismE0ES3_SB_PS6_NS8_17constant_iteratorIiNS8_11use_defaultESG_EENS8_10device_ptrIS6_EENSI_IlEEPmSA_NS8_8equal_toIS6_EEEE10hipError_tPvRmT2_T3_mT4_T5_T6_T7_T8_P12ihipStream_tbENKUlT_T0_E_clISt17integral_constantIbLb1EES15_EEDaS10_S11_EUlS10_E_NS1_11comp_targetILNS1_3genE0ELNS1_11target_archE4294967295ELNS1_3gpuE0ELNS1_3repE0EEENS1_30default_config_static_selectorELNS0_4arch9wavefront6targetE1EEEvT1_
		.amdhsa_group_segment_fixed_size 0
		.amdhsa_private_segment_fixed_size 0
		.amdhsa_kernarg_size 144
		.amdhsa_user_sgpr_count 6
		.amdhsa_user_sgpr_private_segment_buffer 1
		.amdhsa_user_sgpr_dispatch_ptr 0
		.amdhsa_user_sgpr_queue_ptr 0
		.amdhsa_user_sgpr_kernarg_segment_ptr 1
		.amdhsa_user_sgpr_dispatch_id 0
		.amdhsa_user_sgpr_flat_scratch_init 0
		.amdhsa_user_sgpr_private_segment_size 0
		.amdhsa_uses_dynamic_stack 0
		.amdhsa_system_sgpr_private_segment_wavefront_offset 0
		.amdhsa_system_sgpr_workgroup_id_x 1
		.amdhsa_system_sgpr_workgroup_id_y 0
		.amdhsa_system_sgpr_workgroup_id_z 0
		.amdhsa_system_sgpr_workgroup_info 0
		.amdhsa_system_vgpr_workitem_id 0
		.amdhsa_next_free_vgpr 1
		.amdhsa_next_free_sgpr 0
		.amdhsa_reserve_vcc 0
		.amdhsa_reserve_flat_scratch 0
		.amdhsa_float_round_mode_32 0
		.amdhsa_float_round_mode_16_64 0
		.amdhsa_float_denorm_mode_32 3
		.amdhsa_float_denorm_mode_16_64 3
		.amdhsa_dx10_clamp 1
		.amdhsa_ieee_mode 1
		.amdhsa_fp16_overflow 0
		.amdhsa_exception_fp_ieee_invalid_op 0
		.amdhsa_exception_fp_denorm_src 0
		.amdhsa_exception_fp_ieee_div_zero 0
		.amdhsa_exception_fp_ieee_overflow 0
		.amdhsa_exception_fp_ieee_underflow 0
		.amdhsa_exception_fp_ieee_inexact 0
		.amdhsa_exception_int_div_zero 0
	.end_amdhsa_kernel
	.section	.text._ZN7rocprim17ROCPRIM_400000_NS6detail17trampoline_kernelINS0_14default_configENS1_29reduce_by_key_config_selectorIN3c108BFloat16ElN6thrust23THRUST_200600_302600_NS4plusIlEEEEZZNS1_33reduce_by_key_impl_wrapped_configILNS1_25lookback_scan_determinismE0ES3_SB_PS6_NS8_17constant_iteratorIiNS8_11use_defaultESG_EENS8_10device_ptrIS6_EENSI_IlEEPmSA_NS8_8equal_toIS6_EEEE10hipError_tPvRmT2_T3_mT4_T5_T6_T7_T8_P12ihipStream_tbENKUlT_T0_E_clISt17integral_constantIbLb1EES15_EEDaS10_S11_EUlS10_E_NS1_11comp_targetILNS1_3genE0ELNS1_11target_archE4294967295ELNS1_3gpuE0ELNS1_3repE0EEENS1_30default_config_static_selectorELNS0_4arch9wavefront6targetE1EEEvT1_,"axG",@progbits,_ZN7rocprim17ROCPRIM_400000_NS6detail17trampoline_kernelINS0_14default_configENS1_29reduce_by_key_config_selectorIN3c108BFloat16ElN6thrust23THRUST_200600_302600_NS4plusIlEEEEZZNS1_33reduce_by_key_impl_wrapped_configILNS1_25lookback_scan_determinismE0ES3_SB_PS6_NS8_17constant_iteratorIiNS8_11use_defaultESG_EENS8_10device_ptrIS6_EENSI_IlEEPmSA_NS8_8equal_toIS6_EEEE10hipError_tPvRmT2_T3_mT4_T5_T6_T7_T8_P12ihipStream_tbENKUlT_T0_E_clISt17integral_constantIbLb1EES15_EEDaS10_S11_EUlS10_E_NS1_11comp_targetILNS1_3genE0ELNS1_11target_archE4294967295ELNS1_3gpuE0ELNS1_3repE0EEENS1_30default_config_static_selectorELNS0_4arch9wavefront6targetE1EEEvT1_,comdat
.Lfunc_end2061:
	.size	_ZN7rocprim17ROCPRIM_400000_NS6detail17trampoline_kernelINS0_14default_configENS1_29reduce_by_key_config_selectorIN3c108BFloat16ElN6thrust23THRUST_200600_302600_NS4plusIlEEEEZZNS1_33reduce_by_key_impl_wrapped_configILNS1_25lookback_scan_determinismE0ES3_SB_PS6_NS8_17constant_iteratorIiNS8_11use_defaultESG_EENS8_10device_ptrIS6_EENSI_IlEEPmSA_NS8_8equal_toIS6_EEEE10hipError_tPvRmT2_T3_mT4_T5_T6_T7_T8_P12ihipStream_tbENKUlT_T0_E_clISt17integral_constantIbLb1EES15_EEDaS10_S11_EUlS10_E_NS1_11comp_targetILNS1_3genE0ELNS1_11target_archE4294967295ELNS1_3gpuE0ELNS1_3repE0EEENS1_30default_config_static_selectorELNS0_4arch9wavefront6targetE1EEEvT1_, .Lfunc_end2061-_ZN7rocprim17ROCPRIM_400000_NS6detail17trampoline_kernelINS0_14default_configENS1_29reduce_by_key_config_selectorIN3c108BFloat16ElN6thrust23THRUST_200600_302600_NS4plusIlEEEEZZNS1_33reduce_by_key_impl_wrapped_configILNS1_25lookback_scan_determinismE0ES3_SB_PS6_NS8_17constant_iteratorIiNS8_11use_defaultESG_EENS8_10device_ptrIS6_EENSI_IlEEPmSA_NS8_8equal_toIS6_EEEE10hipError_tPvRmT2_T3_mT4_T5_T6_T7_T8_P12ihipStream_tbENKUlT_T0_E_clISt17integral_constantIbLb1EES15_EEDaS10_S11_EUlS10_E_NS1_11comp_targetILNS1_3genE0ELNS1_11target_archE4294967295ELNS1_3gpuE0ELNS1_3repE0EEENS1_30default_config_static_selectorELNS0_4arch9wavefront6targetE1EEEvT1_
                                        ; -- End function
	.set _ZN7rocprim17ROCPRIM_400000_NS6detail17trampoline_kernelINS0_14default_configENS1_29reduce_by_key_config_selectorIN3c108BFloat16ElN6thrust23THRUST_200600_302600_NS4plusIlEEEEZZNS1_33reduce_by_key_impl_wrapped_configILNS1_25lookback_scan_determinismE0ES3_SB_PS6_NS8_17constant_iteratorIiNS8_11use_defaultESG_EENS8_10device_ptrIS6_EENSI_IlEEPmSA_NS8_8equal_toIS6_EEEE10hipError_tPvRmT2_T3_mT4_T5_T6_T7_T8_P12ihipStream_tbENKUlT_T0_E_clISt17integral_constantIbLb1EES15_EEDaS10_S11_EUlS10_E_NS1_11comp_targetILNS1_3genE0ELNS1_11target_archE4294967295ELNS1_3gpuE0ELNS1_3repE0EEENS1_30default_config_static_selectorELNS0_4arch9wavefront6targetE1EEEvT1_.num_vgpr, 0
	.set _ZN7rocprim17ROCPRIM_400000_NS6detail17trampoline_kernelINS0_14default_configENS1_29reduce_by_key_config_selectorIN3c108BFloat16ElN6thrust23THRUST_200600_302600_NS4plusIlEEEEZZNS1_33reduce_by_key_impl_wrapped_configILNS1_25lookback_scan_determinismE0ES3_SB_PS6_NS8_17constant_iteratorIiNS8_11use_defaultESG_EENS8_10device_ptrIS6_EENSI_IlEEPmSA_NS8_8equal_toIS6_EEEE10hipError_tPvRmT2_T3_mT4_T5_T6_T7_T8_P12ihipStream_tbENKUlT_T0_E_clISt17integral_constantIbLb1EES15_EEDaS10_S11_EUlS10_E_NS1_11comp_targetILNS1_3genE0ELNS1_11target_archE4294967295ELNS1_3gpuE0ELNS1_3repE0EEENS1_30default_config_static_selectorELNS0_4arch9wavefront6targetE1EEEvT1_.num_agpr, 0
	.set _ZN7rocprim17ROCPRIM_400000_NS6detail17trampoline_kernelINS0_14default_configENS1_29reduce_by_key_config_selectorIN3c108BFloat16ElN6thrust23THRUST_200600_302600_NS4plusIlEEEEZZNS1_33reduce_by_key_impl_wrapped_configILNS1_25lookback_scan_determinismE0ES3_SB_PS6_NS8_17constant_iteratorIiNS8_11use_defaultESG_EENS8_10device_ptrIS6_EENSI_IlEEPmSA_NS8_8equal_toIS6_EEEE10hipError_tPvRmT2_T3_mT4_T5_T6_T7_T8_P12ihipStream_tbENKUlT_T0_E_clISt17integral_constantIbLb1EES15_EEDaS10_S11_EUlS10_E_NS1_11comp_targetILNS1_3genE0ELNS1_11target_archE4294967295ELNS1_3gpuE0ELNS1_3repE0EEENS1_30default_config_static_selectorELNS0_4arch9wavefront6targetE1EEEvT1_.numbered_sgpr, 0
	.set _ZN7rocprim17ROCPRIM_400000_NS6detail17trampoline_kernelINS0_14default_configENS1_29reduce_by_key_config_selectorIN3c108BFloat16ElN6thrust23THRUST_200600_302600_NS4plusIlEEEEZZNS1_33reduce_by_key_impl_wrapped_configILNS1_25lookback_scan_determinismE0ES3_SB_PS6_NS8_17constant_iteratorIiNS8_11use_defaultESG_EENS8_10device_ptrIS6_EENSI_IlEEPmSA_NS8_8equal_toIS6_EEEE10hipError_tPvRmT2_T3_mT4_T5_T6_T7_T8_P12ihipStream_tbENKUlT_T0_E_clISt17integral_constantIbLb1EES15_EEDaS10_S11_EUlS10_E_NS1_11comp_targetILNS1_3genE0ELNS1_11target_archE4294967295ELNS1_3gpuE0ELNS1_3repE0EEENS1_30default_config_static_selectorELNS0_4arch9wavefront6targetE1EEEvT1_.num_named_barrier, 0
	.set _ZN7rocprim17ROCPRIM_400000_NS6detail17trampoline_kernelINS0_14default_configENS1_29reduce_by_key_config_selectorIN3c108BFloat16ElN6thrust23THRUST_200600_302600_NS4plusIlEEEEZZNS1_33reduce_by_key_impl_wrapped_configILNS1_25lookback_scan_determinismE0ES3_SB_PS6_NS8_17constant_iteratorIiNS8_11use_defaultESG_EENS8_10device_ptrIS6_EENSI_IlEEPmSA_NS8_8equal_toIS6_EEEE10hipError_tPvRmT2_T3_mT4_T5_T6_T7_T8_P12ihipStream_tbENKUlT_T0_E_clISt17integral_constantIbLb1EES15_EEDaS10_S11_EUlS10_E_NS1_11comp_targetILNS1_3genE0ELNS1_11target_archE4294967295ELNS1_3gpuE0ELNS1_3repE0EEENS1_30default_config_static_selectorELNS0_4arch9wavefront6targetE1EEEvT1_.private_seg_size, 0
	.set _ZN7rocprim17ROCPRIM_400000_NS6detail17trampoline_kernelINS0_14default_configENS1_29reduce_by_key_config_selectorIN3c108BFloat16ElN6thrust23THRUST_200600_302600_NS4plusIlEEEEZZNS1_33reduce_by_key_impl_wrapped_configILNS1_25lookback_scan_determinismE0ES3_SB_PS6_NS8_17constant_iteratorIiNS8_11use_defaultESG_EENS8_10device_ptrIS6_EENSI_IlEEPmSA_NS8_8equal_toIS6_EEEE10hipError_tPvRmT2_T3_mT4_T5_T6_T7_T8_P12ihipStream_tbENKUlT_T0_E_clISt17integral_constantIbLb1EES15_EEDaS10_S11_EUlS10_E_NS1_11comp_targetILNS1_3genE0ELNS1_11target_archE4294967295ELNS1_3gpuE0ELNS1_3repE0EEENS1_30default_config_static_selectorELNS0_4arch9wavefront6targetE1EEEvT1_.uses_vcc, 0
	.set _ZN7rocprim17ROCPRIM_400000_NS6detail17trampoline_kernelINS0_14default_configENS1_29reduce_by_key_config_selectorIN3c108BFloat16ElN6thrust23THRUST_200600_302600_NS4plusIlEEEEZZNS1_33reduce_by_key_impl_wrapped_configILNS1_25lookback_scan_determinismE0ES3_SB_PS6_NS8_17constant_iteratorIiNS8_11use_defaultESG_EENS8_10device_ptrIS6_EENSI_IlEEPmSA_NS8_8equal_toIS6_EEEE10hipError_tPvRmT2_T3_mT4_T5_T6_T7_T8_P12ihipStream_tbENKUlT_T0_E_clISt17integral_constantIbLb1EES15_EEDaS10_S11_EUlS10_E_NS1_11comp_targetILNS1_3genE0ELNS1_11target_archE4294967295ELNS1_3gpuE0ELNS1_3repE0EEENS1_30default_config_static_selectorELNS0_4arch9wavefront6targetE1EEEvT1_.uses_flat_scratch, 0
	.set _ZN7rocprim17ROCPRIM_400000_NS6detail17trampoline_kernelINS0_14default_configENS1_29reduce_by_key_config_selectorIN3c108BFloat16ElN6thrust23THRUST_200600_302600_NS4plusIlEEEEZZNS1_33reduce_by_key_impl_wrapped_configILNS1_25lookback_scan_determinismE0ES3_SB_PS6_NS8_17constant_iteratorIiNS8_11use_defaultESG_EENS8_10device_ptrIS6_EENSI_IlEEPmSA_NS8_8equal_toIS6_EEEE10hipError_tPvRmT2_T3_mT4_T5_T6_T7_T8_P12ihipStream_tbENKUlT_T0_E_clISt17integral_constantIbLb1EES15_EEDaS10_S11_EUlS10_E_NS1_11comp_targetILNS1_3genE0ELNS1_11target_archE4294967295ELNS1_3gpuE0ELNS1_3repE0EEENS1_30default_config_static_selectorELNS0_4arch9wavefront6targetE1EEEvT1_.has_dyn_sized_stack, 0
	.set _ZN7rocprim17ROCPRIM_400000_NS6detail17trampoline_kernelINS0_14default_configENS1_29reduce_by_key_config_selectorIN3c108BFloat16ElN6thrust23THRUST_200600_302600_NS4plusIlEEEEZZNS1_33reduce_by_key_impl_wrapped_configILNS1_25lookback_scan_determinismE0ES3_SB_PS6_NS8_17constant_iteratorIiNS8_11use_defaultESG_EENS8_10device_ptrIS6_EENSI_IlEEPmSA_NS8_8equal_toIS6_EEEE10hipError_tPvRmT2_T3_mT4_T5_T6_T7_T8_P12ihipStream_tbENKUlT_T0_E_clISt17integral_constantIbLb1EES15_EEDaS10_S11_EUlS10_E_NS1_11comp_targetILNS1_3genE0ELNS1_11target_archE4294967295ELNS1_3gpuE0ELNS1_3repE0EEENS1_30default_config_static_selectorELNS0_4arch9wavefront6targetE1EEEvT1_.has_recursion, 0
	.set _ZN7rocprim17ROCPRIM_400000_NS6detail17trampoline_kernelINS0_14default_configENS1_29reduce_by_key_config_selectorIN3c108BFloat16ElN6thrust23THRUST_200600_302600_NS4plusIlEEEEZZNS1_33reduce_by_key_impl_wrapped_configILNS1_25lookback_scan_determinismE0ES3_SB_PS6_NS8_17constant_iteratorIiNS8_11use_defaultESG_EENS8_10device_ptrIS6_EENSI_IlEEPmSA_NS8_8equal_toIS6_EEEE10hipError_tPvRmT2_T3_mT4_T5_T6_T7_T8_P12ihipStream_tbENKUlT_T0_E_clISt17integral_constantIbLb1EES15_EEDaS10_S11_EUlS10_E_NS1_11comp_targetILNS1_3genE0ELNS1_11target_archE4294967295ELNS1_3gpuE0ELNS1_3repE0EEENS1_30default_config_static_selectorELNS0_4arch9wavefront6targetE1EEEvT1_.has_indirect_call, 0
	.section	.AMDGPU.csdata,"",@progbits
; Kernel info:
; codeLenInByte = 0
; TotalNumSgprs: 4
; NumVgprs: 0
; ScratchSize: 0
; MemoryBound: 0
; FloatMode: 240
; IeeeMode: 1
; LDSByteSize: 0 bytes/workgroup (compile time only)
; SGPRBlocks: 0
; VGPRBlocks: 0
; NumSGPRsForWavesPerEU: 4
; NumVGPRsForWavesPerEU: 1
; Occupancy: 10
; WaveLimiterHint : 0
; COMPUTE_PGM_RSRC2:SCRATCH_EN: 0
; COMPUTE_PGM_RSRC2:USER_SGPR: 6
; COMPUTE_PGM_RSRC2:TRAP_HANDLER: 0
; COMPUTE_PGM_RSRC2:TGID_X_EN: 1
; COMPUTE_PGM_RSRC2:TGID_Y_EN: 0
; COMPUTE_PGM_RSRC2:TGID_Z_EN: 0
; COMPUTE_PGM_RSRC2:TIDIG_COMP_CNT: 0
	.section	.text._ZN7rocprim17ROCPRIM_400000_NS6detail17trampoline_kernelINS0_14default_configENS1_29reduce_by_key_config_selectorIN3c108BFloat16ElN6thrust23THRUST_200600_302600_NS4plusIlEEEEZZNS1_33reduce_by_key_impl_wrapped_configILNS1_25lookback_scan_determinismE0ES3_SB_PS6_NS8_17constant_iteratorIiNS8_11use_defaultESG_EENS8_10device_ptrIS6_EENSI_IlEEPmSA_NS8_8equal_toIS6_EEEE10hipError_tPvRmT2_T3_mT4_T5_T6_T7_T8_P12ihipStream_tbENKUlT_T0_E_clISt17integral_constantIbLb1EES15_EEDaS10_S11_EUlS10_E_NS1_11comp_targetILNS1_3genE5ELNS1_11target_archE942ELNS1_3gpuE9ELNS1_3repE0EEENS1_30default_config_static_selectorELNS0_4arch9wavefront6targetE1EEEvT1_,"axG",@progbits,_ZN7rocprim17ROCPRIM_400000_NS6detail17trampoline_kernelINS0_14default_configENS1_29reduce_by_key_config_selectorIN3c108BFloat16ElN6thrust23THRUST_200600_302600_NS4plusIlEEEEZZNS1_33reduce_by_key_impl_wrapped_configILNS1_25lookback_scan_determinismE0ES3_SB_PS6_NS8_17constant_iteratorIiNS8_11use_defaultESG_EENS8_10device_ptrIS6_EENSI_IlEEPmSA_NS8_8equal_toIS6_EEEE10hipError_tPvRmT2_T3_mT4_T5_T6_T7_T8_P12ihipStream_tbENKUlT_T0_E_clISt17integral_constantIbLb1EES15_EEDaS10_S11_EUlS10_E_NS1_11comp_targetILNS1_3genE5ELNS1_11target_archE942ELNS1_3gpuE9ELNS1_3repE0EEENS1_30default_config_static_selectorELNS0_4arch9wavefront6targetE1EEEvT1_,comdat
	.protected	_ZN7rocprim17ROCPRIM_400000_NS6detail17trampoline_kernelINS0_14default_configENS1_29reduce_by_key_config_selectorIN3c108BFloat16ElN6thrust23THRUST_200600_302600_NS4plusIlEEEEZZNS1_33reduce_by_key_impl_wrapped_configILNS1_25lookback_scan_determinismE0ES3_SB_PS6_NS8_17constant_iteratorIiNS8_11use_defaultESG_EENS8_10device_ptrIS6_EENSI_IlEEPmSA_NS8_8equal_toIS6_EEEE10hipError_tPvRmT2_T3_mT4_T5_T6_T7_T8_P12ihipStream_tbENKUlT_T0_E_clISt17integral_constantIbLb1EES15_EEDaS10_S11_EUlS10_E_NS1_11comp_targetILNS1_3genE5ELNS1_11target_archE942ELNS1_3gpuE9ELNS1_3repE0EEENS1_30default_config_static_selectorELNS0_4arch9wavefront6targetE1EEEvT1_ ; -- Begin function _ZN7rocprim17ROCPRIM_400000_NS6detail17trampoline_kernelINS0_14default_configENS1_29reduce_by_key_config_selectorIN3c108BFloat16ElN6thrust23THRUST_200600_302600_NS4plusIlEEEEZZNS1_33reduce_by_key_impl_wrapped_configILNS1_25lookback_scan_determinismE0ES3_SB_PS6_NS8_17constant_iteratorIiNS8_11use_defaultESG_EENS8_10device_ptrIS6_EENSI_IlEEPmSA_NS8_8equal_toIS6_EEEE10hipError_tPvRmT2_T3_mT4_T5_T6_T7_T8_P12ihipStream_tbENKUlT_T0_E_clISt17integral_constantIbLb1EES15_EEDaS10_S11_EUlS10_E_NS1_11comp_targetILNS1_3genE5ELNS1_11target_archE942ELNS1_3gpuE9ELNS1_3repE0EEENS1_30default_config_static_selectorELNS0_4arch9wavefront6targetE1EEEvT1_
	.globl	_ZN7rocprim17ROCPRIM_400000_NS6detail17trampoline_kernelINS0_14default_configENS1_29reduce_by_key_config_selectorIN3c108BFloat16ElN6thrust23THRUST_200600_302600_NS4plusIlEEEEZZNS1_33reduce_by_key_impl_wrapped_configILNS1_25lookback_scan_determinismE0ES3_SB_PS6_NS8_17constant_iteratorIiNS8_11use_defaultESG_EENS8_10device_ptrIS6_EENSI_IlEEPmSA_NS8_8equal_toIS6_EEEE10hipError_tPvRmT2_T3_mT4_T5_T6_T7_T8_P12ihipStream_tbENKUlT_T0_E_clISt17integral_constantIbLb1EES15_EEDaS10_S11_EUlS10_E_NS1_11comp_targetILNS1_3genE5ELNS1_11target_archE942ELNS1_3gpuE9ELNS1_3repE0EEENS1_30default_config_static_selectorELNS0_4arch9wavefront6targetE1EEEvT1_
	.p2align	8
	.type	_ZN7rocprim17ROCPRIM_400000_NS6detail17trampoline_kernelINS0_14default_configENS1_29reduce_by_key_config_selectorIN3c108BFloat16ElN6thrust23THRUST_200600_302600_NS4plusIlEEEEZZNS1_33reduce_by_key_impl_wrapped_configILNS1_25lookback_scan_determinismE0ES3_SB_PS6_NS8_17constant_iteratorIiNS8_11use_defaultESG_EENS8_10device_ptrIS6_EENSI_IlEEPmSA_NS8_8equal_toIS6_EEEE10hipError_tPvRmT2_T3_mT4_T5_T6_T7_T8_P12ihipStream_tbENKUlT_T0_E_clISt17integral_constantIbLb1EES15_EEDaS10_S11_EUlS10_E_NS1_11comp_targetILNS1_3genE5ELNS1_11target_archE942ELNS1_3gpuE9ELNS1_3repE0EEENS1_30default_config_static_selectorELNS0_4arch9wavefront6targetE1EEEvT1_,@function
_ZN7rocprim17ROCPRIM_400000_NS6detail17trampoline_kernelINS0_14default_configENS1_29reduce_by_key_config_selectorIN3c108BFloat16ElN6thrust23THRUST_200600_302600_NS4plusIlEEEEZZNS1_33reduce_by_key_impl_wrapped_configILNS1_25lookback_scan_determinismE0ES3_SB_PS6_NS8_17constant_iteratorIiNS8_11use_defaultESG_EENS8_10device_ptrIS6_EENSI_IlEEPmSA_NS8_8equal_toIS6_EEEE10hipError_tPvRmT2_T3_mT4_T5_T6_T7_T8_P12ihipStream_tbENKUlT_T0_E_clISt17integral_constantIbLb1EES15_EEDaS10_S11_EUlS10_E_NS1_11comp_targetILNS1_3genE5ELNS1_11target_archE942ELNS1_3gpuE9ELNS1_3repE0EEENS1_30default_config_static_selectorELNS0_4arch9wavefront6targetE1EEEvT1_: ; @_ZN7rocprim17ROCPRIM_400000_NS6detail17trampoline_kernelINS0_14default_configENS1_29reduce_by_key_config_selectorIN3c108BFloat16ElN6thrust23THRUST_200600_302600_NS4plusIlEEEEZZNS1_33reduce_by_key_impl_wrapped_configILNS1_25lookback_scan_determinismE0ES3_SB_PS6_NS8_17constant_iteratorIiNS8_11use_defaultESG_EENS8_10device_ptrIS6_EENSI_IlEEPmSA_NS8_8equal_toIS6_EEEE10hipError_tPvRmT2_T3_mT4_T5_T6_T7_T8_P12ihipStream_tbENKUlT_T0_E_clISt17integral_constantIbLb1EES15_EEDaS10_S11_EUlS10_E_NS1_11comp_targetILNS1_3genE5ELNS1_11target_archE942ELNS1_3gpuE9ELNS1_3repE0EEENS1_30default_config_static_selectorELNS0_4arch9wavefront6targetE1EEEvT1_
; %bb.0:
	.section	.rodata,"a",@progbits
	.p2align	6, 0x0
	.amdhsa_kernel _ZN7rocprim17ROCPRIM_400000_NS6detail17trampoline_kernelINS0_14default_configENS1_29reduce_by_key_config_selectorIN3c108BFloat16ElN6thrust23THRUST_200600_302600_NS4plusIlEEEEZZNS1_33reduce_by_key_impl_wrapped_configILNS1_25lookback_scan_determinismE0ES3_SB_PS6_NS8_17constant_iteratorIiNS8_11use_defaultESG_EENS8_10device_ptrIS6_EENSI_IlEEPmSA_NS8_8equal_toIS6_EEEE10hipError_tPvRmT2_T3_mT4_T5_T6_T7_T8_P12ihipStream_tbENKUlT_T0_E_clISt17integral_constantIbLb1EES15_EEDaS10_S11_EUlS10_E_NS1_11comp_targetILNS1_3genE5ELNS1_11target_archE942ELNS1_3gpuE9ELNS1_3repE0EEENS1_30default_config_static_selectorELNS0_4arch9wavefront6targetE1EEEvT1_
		.amdhsa_group_segment_fixed_size 0
		.amdhsa_private_segment_fixed_size 0
		.amdhsa_kernarg_size 144
		.amdhsa_user_sgpr_count 6
		.amdhsa_user_sgpr_private_segment_buffer 1
		.amdhsa_user_sgpr_dispatch_ptr 0
		.amdhsa_user_sgpr_queue_ptr 0
		.amdhsa_user_sgpr_kernarg_segment_ptr 1
		.amdhsa_user_sgpr_dispatch_id 0
		.amdhsa_user_sgpr_flat_scratch_init 0
		.amdhsa_user_sgpr_private_segment_size 0
		.amdhsa_uses_dynamic_stack 0
		.amdhsa_system_sgpr_private_segment_wavefront_offset 0
		.amdhsa_system_sgpr_workgroup_id_x 1
		.amdhsa_system_sgpr_workgroup_id_y 0
		.amdhsa_system_sgpr_workgroup_id_z 0
		.amdhsa_system_sgpr_workgroup_info 0
		.amdhsa_system_vgpr_workitem_id 0
		.amdhsa_next_free_vgpr 1
		.amdhsa_next_free_sgpr 0
		.amdhsa_reserve_vcc 0
		.amdhsa_reserve_flat_scratch 0
		.amdhsa_float_round_mode_32 0
		.amdhsa_float_round_mode_16_64 0
		.amdhsa_float_denorm_mode_32 3
		.amdhsa_float_denorm_mode_16_64 3
		.amdhsa_dx10_clamp 1
		.amdhsa_ieee_mode 1
		.amdhsa_fp16_overflow 0
		.amdhsa_exception_fp_ieee_invalid_op 0
		.amdhsa_exception_fp_denorm_src 0
		.amdhsa_exception_fp_ieee_div_zero 0
		.amdhsa_exception_fp_ieee_overflow 0
		.amdhsa_exception_fp_ieee_underflow 0
		.amdhsa_exception_fp_ieee_inexact 0
		.amdhsa_exception_int_div_zero 0
	.end_amdhsa_kernel
	.section	.text._ZN7rocprim17ROCPRIM_400000_NS6detail17trampoline_kernelINS0_14default_configENS1_29reduce_by_key_config_selectorIN3c108BFloat16ElN6thrust23THRUST_200600_302600_NS4plusIlEEEEZZNS1_33reduce_by_key_impl_wrapped_configILNS1_25lookback_scan_determinismE0ES3_SB_PS6_NS8_17constant_iteratorIiNS8_11use_defaultESG_EENS8_10device_ptrIS6_EENSI_IlEEPmSA_NS8_8equal_toIS6_EEEE10hipError_tPvRmT2_T3_mT4_T5_T6_T7_T8_P12ihipStream_tbENKUlT_T0_E_clISt17integral_constantIbLb1EES15_EEDaS10_S11_EUlS10_E_NS1_11comp_targetILNS1_3genE5ELNS1_11target_archE942ELNS1_3gpuE9ELNS1_3repE0EEENS1_30default_config_static_selectorELNS0_4arch9wavefront6targetE1EEEvT1_,"axG",@progbits,_ZN7rocprim17ROCPRIM_400000_NS6detail17trampoline_kernelINS0_14default_configENS1_29reduce_by_key_config_selectorIN3c108BFloat16ElN6thrust23THRUST_200600_302600_NS4plusIlEEEEZZNS1_33reduce_by_key_impl_wrapped_configILNS1_25lookback_scan_determinismE0ES3_SB_PS6_NS8_17constant_iteratorIiNS8_11use_defaultESG_EENS8_10device_ptrIS6_EENSI_IlEEPmSA_NS8_8equal_toIS6_EEEE10hipError_tPvRmT2_T3_mT4_T5_T6_T7_T8_P12ihipStream_tbENKUlT_T0_E_clISt17integral_constantIbLb1EES15_EEDaS10_S11_EUlS10_E_NS1_11comp_targetILNS1_3genE5ELNS1_11target_archE942ELNS1_3gpuE9ELNS1_3repE0EEENS1_30default_config_static_selectorELNS0_4arch9wavefront6targetE1EEEvT1_,comdat
.Lfunc_end2062:
	.size	_ZN7rocprim17ROCPRIM_400000_NS6detail17trampoline_kernelINS0_14default_configENS1_29reduce_by_key_config_selectorIN3c108BFloat16ElN6thrust23THRUST_200600_302600_NS4plusIlEEEEZZNS1_33reduce_by_key_impl_wrapped_configILNS1_25lookback_scan_determinismE0ES3_SB_PS6_NS8_17constant_iteratorIiNS8_11use_defaultESG_EENS8_10device_ptrIS6_EENSI_IlEEPmSA_NS8_8equal_toIS6_EEEE10hipError_tPvRmT2_T3_mT4_T5_T6_T7_T8_P12ihipStream_tbENKUlT_T0_E_clISt17integral_constantIbLb1EES15_EEDaS10_S11_EUlS10_E_NS1_11comp_targetILNS1_3genE5ELNS1_11target_archE942ELNS1_3gpuE9ELNS1_3repE0EEENS1_30default_config_static_selectorELNS0_4arch9wavefront6targetE1EEEvT1_, .Lfunc_end2062-_ZN7rocprim17ROCPRIM_400000_NS6detail17trampoline_kernelINS0_14default_configENS1_29reduce_by_key_config_selectorIN3c108BFloat16ElN6thrust23THRUST_200600_302600_NS4plusIlEEEEZZNS1_33reduce_by_key_impl_wrapped_configILNS1_25lookback_scan_determinismE0ES3_SB_PS6_NS8_17constant_iteratorIiNS8_11use_defaultESG_EENS8_10device_ptrIS6_EENSI_IlEEPmSA_NS8_8equal_toIS6_EEEE10hipError_tPvRmT2_T3_mT4_T5_T6_T7_T8_P12ihipStream_tbENKUlT_T0_E_clISt17integral_constantIbLb1EES15_EEDaS10_S11_EUlS10_E_NS1_11comp_targetILNS1_3genE5ELNS1_11target_archE942ELNS1_3gpuE9ELNS1_3repE0EEENS1_30default_config_static_selectorELNS0_4arch9wavefront6targetE1EEEvT1_
                                        ; -- End function
	.set _ZN7rocprim17ROCPRIM_400000_NS6detail17trampoline_kernelINS0_14default_configENS1_29reduce_by_key_config_selectorIN3c108BFloat16ElN6thrust23THRUST_200600_302600_NS4plusIlEEEEZZNS1_33reduce_by_key_impl_wrapped_configILNS1_25lookback_scan_determinismE0ES3_SB_PS6_NS8_17constant_iteratorIiNS8_11use_defaultESG_EENS8_10device_ptrIS6_EENSI_IlEEPmSA_NS8_8equal_toIS6_EEEE10hipError_tPvRmT2_T3_mT4_T5_T6_T7_T8_P12ihipStream_tbENKUlT_T0_E_clISt17integral_constantIbLb1EES15_EEDaS10_S11_EUlS10_E_NS1_11comp_targetILNS1_3genE5ELNS1_11target_archE942ELNS1_3gpuE9ELNS1_3repE0EEENS1_30default_config_static_selectorELNS0_4arch9wavefront6targetE1EEEvT1_.num_vgpr, 0
	.set _ZN7rocprim17ROCPRIM_400000_NS6detail17trampoline_kernelINS0_14default_configENS1_29reduce_by_key_config_selectorIN3c108BFloat16ElN6thrust23THRUST_200600_302600_NS4plusIlEEEEZZNS1_33reduce_by_key_impl_wrapped_configILNS1_25lookback_scan_determinismE0ES3_SB_PS6_NS8_17constant_iteratorIiNS8_11use_defaultESG_EENS8_10device_ptrIS6_EENSI_IlEEPmSA_NS8_8equal_toIS6_EEEE10hipError_tPvRmT2_T3_mT4_T5_T6_T7_T8_P12ihipStream_tbENKUlT_T0_E_clISt17integral_constantIbLb1EES15_EEDaS10_S11_EUlS10_E_NS1_11comp_targetILNS1_3genE5ELNS1_11target_archE942ELNS1_3gpuE9ELNS1_3repE0EEENS1_30default_config_static_selectorELNS0_4arch9wavefront6targetE1EEEvT1_.num_agpr, 0
	.set _ZN7rocprim17ROCPRIM_400000_NS6detail17trampoline_kernelINS0_14default_configENS1_29reduce_by_key_config_selectorIN3c108BFloat16ElN6thrust23THRUST_200600_302600_NS4plusIlEEEEZZNS1_33reduce_by_key_impl_wrapped_configILNS1_25lookback_scan_determinismE0ES3_SB_PS6_NS8_17constant_iteratorIiNS8_11use_defaultESG_EENS8_10device_ptrIS6_EENSI_IlEEPmSA_NS8_8equal_toIS6_EEEE10hipError_tPvRmT2_T3_mT4_T5_T6_T7_T8_P12ihipStream_tbENKUlT_T0_E_clISt17integral_constantIbLb1EES15_EEDaS10_S11_EUlS10_E_NS1_11comp_targetILNS1_3genE5ELNS1_11target_archE942ELNS1_3gpuE9ELNS1_3repE0EEENS1_30default_config_static_selectorELNS0_4arch9wavefront6targetE1EEEvT1_.numbered_sgpr, 0
	.set _ZN7rocprim17ROCPRIM_400000_NS6detail17trampoline_kernelINS0_14default_configENS1_29reduce_by_key_config_selectorIN3c108BFloat16ElN6thrust23THRUST_200600_302600_NS4plusIlEEEEZZNS1_33reduce_by_key_impl_wrapped_configILNS1_25lookback_scan_determinismE0ES3_SB_PS6_NS8_17constant_iteratorIiNS8_11use_defaultESG_EENS8_10device_ptrIS6_EENSI_IlEEPmSA_NS8_8equal_toIS6_EEEE10hipError_tPvRmT2_T3_mT4_T5_T6_T7_T8_P12ihipStream_tbENKUlT_T0_E_clISt17integral_constantIbLb1EES15_EEDaS10_S11_EUlS10_E_NS1_11comp_targetILNS1_3genE5ELNS1_11target_archE942ELNS1_3gpuE9ELNS1_3repE0EEENS1_30default_config_static_selectorELNS0_4arch9wavefront6targetE1EEEvT1_.num_named_barrier, 0
	.set _ZN7rocprim17ROCPRIM_400000_NS6detail17trampoline_kernelINS0_14default_configENS1_29reduce_by_key_config_selectorIN3c108BFloat16ElN6thrust23THRUST_200600_302600_NS4plusIlEEEEZZNS1_33reduce_by_key_impl_wrapped_configILNS1_25lookback_scan_determinismE0ES3_SB_PS6_NS8_17constant_iteratorIiNS8_11use_defaultESG_EENS8_10device_ptrIS6_EENSI_IlEEPmSA_NS8_8equal_toIS6_EEEE10hipError_tPvRmT2_T3_mT4_T5_T6_T7_T8_P12ihipStream_tbENKUlT_T0_E_clISt17integral_constantIbLb1EES15_EEDaS10_S11_EUlS10_E_NS1_11comp_targetILNS1_3genE5ELNS1_11target_archE942ELNS1_3gpuE9ELNS1_3repE0EEENS1_30default_config_static_selectorELNS0_4arch9wavefront6targetE1EEEvT1_.private_seg_size, 0
	.set _ZN7rocprim17ROCPRIM_400000_NS6detail17trampoline_kernelINS0_14default_configENS1_29reduce_by_key_config_selectorIN3c108BFloat16ElN6thrust23THRUST_200600_302600_NS4plusIlEEEEZZNS1_33reduce_by_key_impl_wrapped_configILNS1_25lookback_scan_determinismE0ES3_SB_PS6_NS8_17constant_iteratorIiNS8_11use_defaultESG_EENS8_10device_ptrIS6_EENSI_IlEEPmSA_NS8_8equal_toIS6_EEEE10hipError_tPvRmT2_T3_mT4_T5_T6_T7_T8_P12ihipStream_tbENKUlT_T0_E_clISt17integral_constantIbLb1EES15_EEDaS10_S11_EUlS10_E_NS1_11comp_targetILNS1_3genE5ELNS1_11target_archE942ELNS1_3gpuE9ELNS1_3repE0EEENS1_30default_config_static_selectorELNS0_4arch9wavefront6targetE1EEEvT1_.uses_vcc, 0
	.set _ZN7rocprim17ROCPRIM_400000_NS6detail17trampoline_kernelINS0_14default_configENS1_29reduce_by_key_config_selectorIN3c108BFloat16ElN6thrust23THRUST_200600_302600_NS4plusIlEEEEZZNS1_33reduce_by_key_impl_wrapped_configILNS1_25lookback_scan_determinismE0ES3_SB_PS6_NS8_17constant_iteratorIiNS8_11use_defaultESG_EENS8_10device_ptrIS6_EENSI_IlEEPmSA_NS8_8equal_toIS6_EEEE10hipError_tPvRmT2_T3_mT4_T5_T6_T7_T8_P12ihipStream_tbENKUlT_T0_E_clISt17integral_constantIbLb1EES15_EEDaS10_S11_EUlS10_E_NS1_11comp_targetILNS1_3genE5ELNS1_11target_archE942ELNS1_3gpuE9ELNS1_3repE0EEENS1_30default_config_static_selectorELNS0_4arch9wavefront6targetE1EEEvT1_.uses_flat_scratch, 0
	.set _ZN7rocprim17ROCPRIM_400000_NS6detail17trampoline_kernelINS0_14default_configENS1_29reduce_by_key_config_selectorIN3c108BFloat16ElN6thrust23THRUST_200600_302600_NS4plusIlEEEEZZNS1_33reduce_by_key_impl_wrapped_configILNS1_25lookback_scan_determinismE0ES3_SB_PS6_NS8_17constant_iteratorIiNS8_11use_defaultESG_EENS8_10device_ptrIS6_EENSI_IlEEPmSA_NS8_8equal_toIS6_EEEE10hipError_tPvRmT2_T3_mT4_T5_T6_T7_T8_P12ihipStream_tbENKUlT_T0_E_clISt17integral_constantIbLb1EES15_EEDaS10_S11_EUlS10_E_NS1_11comp_targetILNS1_3genE5ELNS1_11target_archE942ELNS1_3gpuE9ELNS1_3repE0EEENS1_30default_config_static_selectorELNS0_4arch9wavefront6targetE1EEEvT1_.has_dyn_sized_stack, 0
	.set _ZN7rocprim17ROCPRIM_400000_NS6detail17trampoline_kernelINS0_14default_configENS1_29reduce_by_key_config_selectorIN3c108BFloat16ElN6thrust23THRUST_200600_302600_NS4plusIlEEEEZZNS1_33reduce_by_key_impl_wrapped_configILNS1_25lookback_scan_determinismE0ES3_SB_PS6_NS8_17constant_iteratorIiNS8_11use_defaultESG_EENS8_10device_ptrIS6_EENSI_IlEEPmSA_NS8_8equal_toIS6_EEEE10hipError_tPvRmT2_T3_mT4_T5_T6_T7_T8_P12ihipStream_tbENKUlT_T0_E_clISt17integral_constantIbLb1EES15_EEDaS10_S11_EUlS10_E_NS1_11comp_targetILNS1_3genE5ELNS1_11target_archE942ELNS1_3gpuE9ELNS1_3repE0EEENS1_30default_config_static_selectorELNS0_4arch9wavefront6targetE1EEEvT1_.has_recursion, 0
	.set _ZN7rocprim17ROCPRIM_400000_NS6detail17trampoline_kernelINS0_14default_configENS1_29reduce_by_key_config_selectorIN3c108BFloat16ElN6thrust23THRUST_200600_302600_NS4plusIlEEEEZZNS1_33reduce_by_key_impl_wrapped_configILNS1_25lookback_scan_determinismE0ES3_SB_PS6_NS8_17constant_iteratorIiNS8_11use_defaultESG_EENS8_10device_ptrIS6_EENSI_IlEEPmSA_NS8_8equal_toIS6_EEEE10hipError_tPvRmT2_T3_mT4_T5_T6_T7_T8_P12ihipStream_tbENKUlT_T0_E_clISt17integral_constantIbLb1EES15_EEDaS10_S11_EUlS10_E_NS1_11comp_targetILNS1_3genE5ELNS1_11target_archE942ELNS1_3gpuE9ELNS1_3repE0EEENS1_30default_config_static_selectorELNS0_4arch9wavefront6targetE1EEEvT1_.has_indirect_call, 0
	.section	.AMDGPU.csdata,"",@progbits
; Kernel info:
; codeLenInByte = 0
; TotalNumSgprs: 4
; NumVgprs: 0
; ScratchSize: 0
; MemoryBound: 0
; FloatMode: 240
; IeeeMode: 1
; LDSByteSize: 0 bytes/workgroup (compile time only)
; SGPRBlocks: 0
; VGPRBlocks: 0
; NumSGPRsForWavesPerEU: 4
; NumVGPRsForWavesPerEU: 1
; Occupancy: 10
; WaveLimiterHint : 0
; COMPUTE_PGM_RSRC2:SCRATCH_EN: 0
; COMPUTE_PGM_RSRC2:USER_SGPR: 6
; COMPUTE_PGM_RSRC2:TRAP_HANDLER: 0
; COMPUTE_PGM_RSRC2:TGID_X_EN: 1
; COMPUTE_PGM_RSRC2:TGID_Y_EN: 0
; COMPUTE_PGM_RSRC2:TGID_Z_EN: 0
; COMPUTE_PGM_RSRC2:TIDIG_COMP_CNT: 0
	.section	.text._ZN7rocprim17ROCPRIM_400000_NS6detail17trampoline_kernelINS0_14default_configENS1_29reduce_by_key_config_selectorIN3c108BFloat16ElN6thrust23THRUST_200600_302600_NS4plusIlEEEEZZNS1_33reduce_by_key_impl_wrapped_configILNS1_25lookback_scan_determinismE0ES3_SB_PS6_NS8_17constant_iteratorIiNS8_11use_defaultESG_EENS8_10device_ptrIS6_EENSI_IlEEPmSA_NS8_8equal_toIS6_EEEE10hipError_tPvRmT2_T3_mT4_T5_T6_T7_T8_P12ihipStream_tbENKUlT_T0_E_clISt17integral_constantIbLb1EES15_EEDaS10_S11_EUlS10_E_NS1_11comp_targetILNS1_3genE4ELNS1_11target_archE910ELNS1_3gpuE8ELNS1_3repE0EEENS1_30default_config_static_selectorELNS0_4arch9wavefront6targetE1EEEvT1_,"axG",@progbits,_ZN7rocprim17ROCPRIM_400000_NS6detail17trampoline_kernelINS0_14default_configENS1_29reduce_by_key_config_selectorIN3c108BFloat16ElN6thrust23THRUST_200600_302600_NS4plusIlEEEEZZNS1_33reduce_by_key_impl_wrapped_configILNS1_25lookback_scan_determinismE0ES3_SB_PS6_NS8_17constant_iteratorIiNS8_11use_defaultESG_EENS8_10device_ptrIS6_EENSI_IlEEPmSA_NS8_8equal_toIS6_EEEE10hipError_tPvRmT2_T3_mT4_T5_T6_T7_T8_P12ihipStream_tbENKUlT_T0_E_clISt17integral_constantIbLb1EES15_EEDaS10_S11_EUlS10_E_NS1_11comp_targetILNS1_3genE4ELNS1_11target_archE910ELNS1_3gpuE8ELNS1_3repE0EEENS1_30default_config_static_selectorELNS0_4arch9wavefront6targetE1EEEvT1_,comdat
	.protected	_ZN7rocprim17ROCPRIM_400000_NS6detail17trampoline_kernelINS0_14default_configENS1_29reduce_by_key_config_selectorIN3c108BFloat16ElN6thrust23THRUST_200600_302600_NS4plusIlEEEEZZNS1_33reduce_by_key_impl_wrapped_configILNS1_25lookback_scan_determinismE0ES3_SB_PS6_NS8_17constant_iteratorIiNS8_11use_defaultESG_EENS8_10device_ptrIS6_EENSI_IlEEPmSA_NS8_8equal_toIS6_EEEE10hipError_tPvRmT2_T3_mT4_T5_T6_T7_T8_P12ihipStream_tbENKUlT_T0_E_clISt17integral_constantIbLb1EES15_EEDaS10_S11_EUlS10_E_NS1_11comp_targetILNS1_3genE4ELNS1_11target_archE910ELNS1_3gpuE8ELNS1_3repE0EEENS1_30default_config_static_selectorELNS0_4arch9wavefront6targetE1EEEvT1_ ; -- Begin function _ZN7rocprim17ROCPRIM_400000_NS6detail17trampoline_kernelINS0_14default_configENS1_29reduce_by_key_config_selectorIN3c108BFloat16ElN6thrust23THRUST_200600_302600_NS4plusIlEEEEZZNS1_33reduce_by_key_impl_wrapped_configILNS1_25lookback_scan_determinismE0ES3_SB_PS6_NS8_17constant_iteratorIiNS8_11use_defaultESG_EENS8_10device_ptrIS6_EENSI_IlEEPmSA_NS8_8equal_toIS6_EEEE10hipError_tPvRmT2_T3_mT4_T5_T6_T7_T8_P12ihipStream_tbENKUlT_T0_E_clISt17integral_constantIbLb1EES15_EEDaS10_S11_EUlS10_E_NS1_11comp_targetILNS1_3genE4ELNS1_11target_archE910ELNS1_3gpuE8ELNS1_3repE0EEENS1_30default_config_static_selectorELNS0_4arch9wavefront6targetE1EEEvT1_
	.globl	_ZN7rocprim17ROCPRIM_400000_NS6detail17trampoline_kernelINS0_14default_configENS1_29reduce_by_key_config_selectorIN3c108BFloat16ElN6thrust23THRUST_200600_302600_NS4plusIlEEEEZZNS1_33reduce_by_key_impl_wrapped_configILNS1_25lookback_scan_determinismE0ES3_SB_PS6_NS8_17constant_iteratorIiNS8_11use_defaultESG_EENS8_10device_ptrIS6_EENSI_IlEEPmSA_NS8_8equal_toIS6_EEEE10hipError_tPvRmT2_T3_mT4_T5_T6_T7_T8_P12ihipStream_tbENKUlT_T0_E_clISt17integral_constantIbLb1EES15_EEDaS10_S11_EUlS10_E_NS1_11comp_targetILNS1_3genE4ELNS1_11target_archE910ELNS1_3gpuE8ELNS1_3repE0EEENS1_30default_config_static_selectorELNS0_4arch9wavefront6targetE1EEEvT1_
	.p2align	8
	.type	_ZN7rocprim17ROCPRIM_400000_NS6detail17trampoline_kernelINS0_14default_configENS1_29reduce_by_key_config_selectorIN3c108BFloat16ElN6thrust23THRUST_200600_302600_NS4plusIlEEEEZZNS1_33reduce_by_key_impl_wrapped_configILNS1_25lookback_scan_determinismE0ES3_SB_PS6_NS8_17constant_iteratorIiNS8_11use_defaultESG_EENS8_10device_ptrIS6_EENSI_IlEEPmSA_NS8_8equal_toIS6_EEEE10hipError_tPvRmT2_T3_mT4_T5_T6_T7_T8_P12ihipStream_tbENKUlT_T0_E_clISt17integral_constantIbLb1EES15_EEDaS10_S11_EUlS10_E_NS1_11comp_targetILNS1_3genE4ELNS1_11target_archE910ELNS1_3gpuE8ELNS1_3repE0EEENS1_30default_config_static_selectorELNS0_4arch9wavefront6targetE1EEEvT1_,@function
_ZN7rocprim17ROCPRIM_400000_NS6detail17trampoline_kernelINS0_14default_configENS1_29reduce_by_key_config_selectorIN3c108BFloat16ElN6thrust23THRUST_200600_302600_NS4plusIlEEEEZZNS1_33reduce_by_key_impl_wrapped_configILNS1_25lookback_scan_determinismE0ES3_SB_PS6_NS8_17constant_iteratorIiNS8_11use_defaultESG_EENS8_10device_ptrIS6_EENSI_IlEEPmSA_NS8_8equal_toIS6_EEEE10hipError_tPvRmT2_T3_mT4_T5_T6_T7_T8_P12ihipStream_tbENKUlT_T0_E_clISt17integral_constantIbLb1EES15_EEDaS10_S11_EUlS10_E_NS1_11comp_targetILNS1_3genE4ELNS1_11target_archE910ELNS1_3gpuE8ELNS1_3repE0EEENS1_30default_config_static_selectorELNS0_4arch9wavefront6targetE1EEEvT1_: ; @_ZN7rocprim17ROCPRIM_400000_NS6detail17trampoline_kernelINS0_14default_configENS1_29reduce_by_key_config_selectorIN3c108BFloat16ElN6thrust23THRUST_200600_302600_NS4plusIlEEEEZZNS1_33reduce_by_key_impl_wrapped_configILNS1_25lookback_scan_determinismE0ES3_SB_PS6_NS8_17constant_iteratorIiNS8_11use_defaultESG_EENS8_10device_ptrIS6_EENSI_IlEEPmSA_NS8_8equal_toIS6_EEEE10hipError_tPvRmT2_T3_mT4_T5_T6_T7_T8_P12ihipStream_tbENKUlT_T0_E_clISt17integral_constantIbLb1EES15_EEDaS10_S11_EUlS10_E_NS1_11comp_targetILNS1_3genE4ELNS1_11target_archE910ELNS1_3gpuE8ELNS1_3repE0EEENS1_30default_config_static_selectorELNS0_4arch9wavefront6targetE1EEEvT1_
; %bb.0:
	.section	.rodata,"a",@progbits
	.p2align	6, 0x0
	.amdhsa_kernel _ZN7rocprim17ROCPRIM_400000_NS6detail17trampoline_kernelINS0_14default_configENS1_29reduce_by_key_config_selectorIN3c108BFloat16ElN6thrust23THRUST_200600_302600_NS4plusIlEEEEZZNS1_33reduce_by_key_impl_wrapped_configILNS1_25lookback_scan_determinismE0ES3_SB_PS6_NS8_17constant_iteratorIiNS8_11use_defaultESG_EENS8_10device_ptrIS6_EENSI_IlEEPmSA_NS8_8equal_toIS6_EEEE10hipError_tPvRmT2_T3_mT4_T5_T6_T7_T8_P12ihipStream_tbENKUlT_T0_E_clISt17integral_constantIbLb1EES15_EEDaS10_S11_EUlS10_E_NS1_11comp_targetILNS1_3genE4ELNS1_11target_archE910ELNS1_3gpuE8ELNS1_3repE0EEENS1_30default_config_static_selectorELNS0_4arch9wavefront6targetE1EEEvT1_
		.amdhsa_group_segment_fixed_size 0
		.amdhsa_private_segment_fixed_size 0
		.amdhsa_kernarg_size 144
		.amdhsa_user_sgpr_count 6
		.amdhsa_user_sgpr_private_segment_buffer 1
		.amdhsa_user_sgpr_dispatch_ptr 0
		.amdhsa_user_sgpr_queue_ptr 0
		.amdhsa_user_sgpr_kernarg_segment_ptr 1
		.amdhsa_user_sgpr_dispatch_id 0
		.amdhsa_user_sgpr_flat_scratch_init 0
		.amdhsa_user_sgpr_private_segment_size 0
		.amdhsa_uses_dynamic_stack 0
		.amdhsa_system_sgpr_private_segment_wavefront_offset 0
		.amdhsa_system_sgpr_workgroup_id_x 1
		.amdhsa_system_sgpr_workgroup_id_y 0
		.amdhsa_system_sgpr_workgroup_id_z 0
		.amdhsa_system_sgpr_workgroup_info 0
		.amdhsa_system_vgpr_workitem_id 0
		.amdhsa_next_free_vgpr 1
		.amdhsa_next_free_sgpr 0
		.amdhsa_reserve_vcc 0
		.amdhsa_reserve_flat_scratch 0
		.amdhsa_float_round_mode_32 0
		.amdhsa_float_round_mode_16_64 0
		.amdhsa_float_denorm_mode_32 3
		.amdhsa_float_denorm_mode_16_64 3
		.amdhsa_dx10_clamp 1
		.amdhsa_ieee_mode 1
		.amdhsa_fp16_overflow 0
		.amdhsa_exception_fp_ieee_invalid_op 0
		.amdhsa_exception_fp_denorm_src 0
		.amdhsa_exception_fp_ieee_div_zero 0
		.amdhsa_exception_fp_ieee_overflow 0
		.amdhsa_exception_fp_ieee_underflow 0
		.amdhsa_exception_fp_ieee_inexact 0
		.amdhsa_exception_int_div_zero 0
	.end_amdhsa_kernel
	.section	.text._ZN7rocprim17ROCPRIM_400000_NS6detail17trampoline_kernelINS0_14default_configENS1_29reduce_by_key_config_selectorIN3c108BFloat16ElN6thrust23THRUST_200600_302600_NS4plusIlEEEEZZNS1_33reduce_by_key_impl_wrapped_configILNS1_25lookback_scan_determinismE0ES3_SB_PS6_NS8_17constant_iteratorIiNS8_11use_defaultESG_EENS8_10device_ptrIS6_EENSI_IlEEPmSA_NS8_8equal_toIS6_EEEE10hipError_tPvRmT2_T3_mT4_T5_T6_T7_T8_P12ihipStream_tbENKUlT_T0_E_clISt17integral_constantIbLb1EES15_EEDaS10_S11_EUlS10_E_NS1_11comp_targetILNS1_3genE4ELNS1_11target_archE910ELNS1_3gpuE8ELNS1_3repE0EEENS1_30default_config_static_selectorELNS0_4arch9wavefront6targetE1EEEvT1_,"axG",@progbits,_ZN7rocprim17ROCPRIM_400000_NS6detail17trampoline_kernelINS0_14default_configENS1_29reduce_by_key_config_selectorIN3c108BFloat16ElN6thrust23THRUST_200600_302600_NS4plusIlEEEEZZNS1_33reduce_by_key_impl_wrapped_configILNS1_25lookback_scan_determinismE0ES3_SB_PS6_NS8_17constant_iteratorIiNS8_11use_defaultESG_EENS8_10device_ptrIS6_EENSI_IlEEPmSA_NS8_8equal_toIS6_EEEE10hipError_tPvRmT2_T3_mT4_T5_T6_T7_T8_P12ihipStream_tbENKUlT_T0_E_clISt17integral_constantIbLb1EES15_EEDaS10_S11_EUlS10_E_NS1_11comp_targetILNS1_3genE4ELNS1_11target_archE910ELNS1_3gpuE8ELNS1_3repE0EEENS1_30default_config_static_selectorELNS0_4arch9wavefront6targetE1EEEvT1_,comdat
.Lfunc_end2063:
	.size	_ZN7rocprim17ROCPRIM_400000_NS6detail17trampoline_kernelINS0_14default_configENS1_29reduce_by_key_config_selectorIN3c108BFloat16ElN6thrust23THRUST_200600_302600_NS4plusIlEEEEZZNS1_33reduce_by_key_impl_wrapped_configILNS1_25lookback_scan_determinismE0ES3_SB_PS6_NS8_17constant_iteratorIiNS8_11use_defaultESG_EENS8_10device_ptrIS6_EENSI_IlEEPmSA_NS8_8equal_toIS6_EEEE10hipError_tPvRmT2_T3_mT4_T5_T6_T7_T8_P12ihipStream_tbENKUlT_T0_E_clISt17integral_constantIbLb1EES15_EEDaS10_S11_EUlS10_E_NS1_11comp_targetILNS1_3genE4ELNS1_11target_archE910ELNS1_3gpuE8ELNS1_3repE0EEENS1_30default_config_static_selectorELNS0_4arch9wavefront6targetE1EEEvT1_, .Lfunc_end2063-_ZN7rocprim17ROCPRIM_400000_NS6detail17trampoline_kernelINS0_14default_configENS1_29reduce_by_key_config_selectorIN3c108BFloat16ElN6thrust23THRUST_200600_302600_NS4plusIlEEEEZZNS1_33reduce_by_key_impl_wrapped_configILNS1_25lookback_scan_determinismE0ES3_SB_PS6_NS8_17constant_iteratorIiNS8_11use_defaultESG_EENS8_10device_ptrIS6_EENSI_IlEEPmSA_NS8_8equal_toIS6_EEEE10hipError_tPvRmT2_T3_mT4_T5_T6_T7_T8_P12ihipStream_tbENKUlT_T0_E_clISt17integral_constantIbLb1EES15_EEDaS10_S11_EUlS10_E_NS1_11comp_targetILNS1_3genE4ELNS1_11target_archE910ELNS1_3gpuE8ELNS1_3repE0EEENS1_30default_config_static_selectorELNS0_4arch9wavefront6targetE1EEEvT1_
                                        ; -- End function
	.set _ZN7rocprim17ROCPRIM_400000_NS6detail17trampoline_kernelINS0_14default_configENS1_29reduce_by_key_config_selectorIN3c108BFloat16ElN6thrust23THRUST_200600_302600_NS4plusIlEEEEZZNS1_33reduce_by_key_impl_wrapped_configILNS1_25lookback_scan_determinismE0ES3_SB_PS6_NS8_17constant_iteratorIiNS8_11use_defaultESG_EENS8_10device_ptrIS6_EENSI_IlEEPmSA_NS8_8equal_toIS6_EEEE10hipError_tPvRmT2_T3_mT4_T5_T6_T7_T8_P12ihipStream_tbENKUlT_T0_E_clISt17integral_constantIbLb1EES15_EEDaS10_S11_EUlS10_E_NS1_11comp_targetILNS1_3genE4ELNS1_11target_archE910ELNS1_3gpuE8ELNS1_3repE0EEENS1_30default_config_static_selectorELNS0_4arch9wavefront6targetE1EEEvT1_.num_vgpr, 0
	.set _ZN7rocprim17ROCPRIM_400000_NS6detail17trampoline_kernelINS0_14default_configENS1_29reduce_by_key_config_selectorIN3c108BFloat16ElN6thrust23THRUST_200600_302600_NS4plusIlEEEEZZNS1_33reduce_by_key_impl_wrapped_configILNS1_25lookback_scan_determinismE0ES3_SB_PS6_NS8_17constant_iteratorIiNS8_11use_defaultESG_EENS8_10device_ptrIS6_EENSI_IlEEPmSA_NS8_8equal_toIS6_EEEE10hipError_tPvRmT2_T3_mT4_T5_T6_T7_T8_P12ihipStream_tbENKUlT_T0_E_clISt17integral_constantIbLb1EES15_EEDaS10_S11_EUlS10_E_NS1_11comp_targetILNS1_3genE4ELNS1_11target_archE910ELNS1_3gpuE8ELNS1_3repE0EEENS1_30default_config_static_selectorELNS0_4arch9wavefront6targetE1EEEvT1_.num_agpr, 0
	.set _ZN7rocprim17ROCPRIM_400000_NS6detail17trampoline_kernelINS0_14default_configENS1_29reduce_by_key_config_selectorIN3c108BFloat16ElN6thrust23THRUST_200600_302600_NS4plusIlEEEEZZNS1_33reduce_by_key_impl_wrapped_configILNS1_25lookback_scan_determinismE0ES3_SB_PS6_NS8_17constant_iteratorIiNS8_11use_defaultESG_EENS8_10device_ptrIS6_EENSI_IlEEPmSA_NS8_8equal_toIS6_EEEE10hipError_tPvRmT2_T3_mT4_T5_T6_T7_T8_P12ihipStream_tbENKUlT_T0_E_clISt17integral_constantIbLb1EES15_EEDaS10_S11_EUlS10_E_NS1_11comp_targetILNS1_3genE4ELNS1_11target_archE910ELNS1_3gpuE8ELNS1_3repE0EEENS1_30default_config_static_selectorELNS0_4arch9wavefront6targetE1EEEvT1_.numbered_sgpr, 0
	.set _ZN7rocprim17ROCPRIM_400000_NS6detail17trampoline_kernelINS0_14default_configENS1_29reduce_by_key_config_selectorIN3c108BFloat16ElN6thrust23THRUST_200600_302600_NS4plusIlEEEEZZNS1_33reduce_by_key_impl_wrapped_configILNS1_25lookback_scan_determinismE0ES3_SB_PS6_NS8_17constant_iteratorIiNS8_11use_defaultESG_EENS8_10device_ptrIS6_EENSI_IlEEPmSA_NS8_8equal_toIS6_EEEE10hipError_tPvRmT2_T3_mT4_T5_T6_T7_T8_P12ihipStream_tbENKUlT_T0_E_clISt17integral_constantIbLb1EES15_EEDaS10_S11_EUlS10_E_NS1_11comp_targetILNS1_3genE4ELNS1_11target_archE910ELNS1_3gpuE8ELNS1_3repE0EEENS1_30default_config_static_selectorELNS0_4arch9wavefront6targetE1EEEvT1_.num_named_barrier, 0
	.set _ZN7rocprim17ROCPRIM_400000_NS6detail17trampoline_kernelINS0_14default_configENS1_29reduce_by_key_config_selectorIN3c108BFloat16ElN6thrust23THRUST_200600_302600_NS4plusIlEEEEZZNS1_33reduce_by_key_impl_wrapped_configILNS1_25lookback_scan_determinismE0ES3_SB_PS6_NS8_17constant_iteratorIiNS8_11use_defaultESG_EENS8_10device_ptrIS6_EENSI_IlEEPmSA_NS8_8equal_toIS6_EEEE10hipError_tPvRmT2_T3_mT4_T5_T6_T7_T8_P12ihipStream_tbENKUlT_T0_E_clISt17integral_constantIbLb1EES15_EEDaS10_S11_EUlS10_E_NS1_11comp_targetILNS1_3genE4ELNS1_11target_archE910ELNS1_3gpuE8ELNS1_3repE0EEENS1_30default_config_static_selectorELNS0_4arch9wavefront6targetE1EEEvT1_.private_seg_size, 0
	.set _ZN7rocprim17ROCPRIM_400000_NS6detail17trampoline_kernelINS0_14default_configENS1_29reduce_by_key_config_selectorIN3c108BFloat16ElN6thrust23THRUST_200600_302600_NS4plusIlEEEEZZNS1_33reduce_by_key_impl_wrapped_configILNS1_25lookback_scan_determinismE0ES3_SB_PS6_NS8_17constant_iteratorIiNS8_11use_defaultESG_EENS8_10device_ptrIS6_EENSI_IlEEPmSA_NS8_8equal_toIS6_EEEE10hipError_tPvRmT2_T3_mT4_T5_T6_T7_T8_P12ihipStream_tbENKUlT_T0_E_clISt17integral_constantIbLb1EES15_EEDaS10_S11_EUlS10_E_NS1_11comp_targetILNS1_3genE4ELNS1_11target_archE910ELNS1_3gpuE8ELNS1_3repE0EEENS1_30default_config_static_selectorELNS0_4arch9wavefront6targetE1EEEvT1_.uses_vcc, 0
	.set _ZN7rocprim17ROCPRIM_400000_NS6detail17trampoline_kernelINS0_14default_configENS1_29reduce_by_key_config_selectorIN3c108BFloat16ElN6thrust23THRUST_200600_302600_NS4plusIlEEEEZZNS1_33reduce_by_key_impl_wrapped_configILNS1_25lookback_scan_determinismE0ES3_SB_PS6_NS8_17constant_iteratorIiNS8_11use_defaultESG_EENS8_10device_ptrIS6_EENSI_IlEEPmSA_NS8_8equal_toIS6_EEEE10hipError_tPvRmT2_T3_mT4_T5_T6_T7_T8_P12ihipStream_tbENKUlT_T0_E_clISt17integral_constantIbLb1EES15_EEDaS10_S11_EUlS10_E_NS1_11comp_targetILNS1_3genE4ELNS1_11target_archE910ELNS1_3gpuE8ELNS1_3repE0EEENS1_30default_config_static_selectorELNS0_4arch9wavefront6targetE1EEEvT1_.uses_flat_scratch, 0
	.set _ZN7rocprim17ROCPRIM_400000_NS6detail17trampoline_kernelINS0_14default_configENS1_29reduce_by_key_config_selectorIN3c108BFloat16ElN6thrust23THRUST_200600_302600_NS4plusIlEEEEZZNS1_33reduce_by_key_impl_wrapped_configILNS1_25lookback_scan_determinismE0ES3_SB_PS6_NS8_17constant_iteratorIiNS8_11use_defaultESG_EENS8_10device_ptrIS6_EENSI_IlEEPmSA_NS8_8equal_toIS6_EEEE10hipError_tPvRmT2_T3_mT4_T5_T6_T7_T8_P12ihipStream_tbENKUlT_T0_E_clISt17integral_constantIbLb1EES15_EEDaS10_S11_EUlS10_E_NS1_11comp_targetILNS1_3genE4ELNS1_11target_archE910ELNS1_3gpuE8ELNS1_3repE0EEENS1_30default_config_static_selectorELNS0_4arch9wavefront6targetE1EEEvT1_.has_dyn_sized_stack, 0
	.set _ZN7rocprim17ROCPRIM_400000_NS6detail17trampoline_kernelINS0_14default_configENS1_29reduce_by_key_config_selectorIN3c108BFloat16ElN6thrust23THRUST_200600_302600_NS4plusIlEEEEZZNS1_33reduce_by_key_impl_wrapped_configILNS1_25lookback_scan_determinismE0ES3_SB_PS6_NS8_17constant_iteratorIiNS8_11use_defaultESG_EENS8_10device_ptrIS6_EENSI_IlEEPmSA_NS8_8equal_toIS6_EEEE10hipError_tPvRmT2_T3_mT4_T5_T6_T7_T8_P12ihipStream_tbENKUlT_T0_E_clISt17integral_constantIbLb1EES15_EEDaS10_S11_EUlS10_E_NS1_11comp_targetILNS1_3genE4ELNS1_11target_archE910ELNS1_3gpuE8ELNS1_3repE0EEENS1_30default_config_static_selectorELNS0_4arch9wavefront6targetE1EEEvT1_.has_recursion, 0
	.set _ZN7rocprim17ROCPRIM_400000_NS6detail17trampoline_kernelINS0_14default_configENS1_29reduce_by_key_config_selectorIN3c108BFloat16ElN6thrust23THRUST_200600_302600_NS4plusIlEEEEZZNS1_33reduce_by_key_impl_wrapped_configILNS1_25lookback_scan_determinismE0ES3_SB_PS6_NS8_17constant_iteratorIiNS8_11use_defaultESG_EENS8_10device_ptrIS6_EENSI_IlEEPmSA_NS8_8equal_toIS6_EEEE10hipError_tPvRmT2_T3_mT4_T5_T6_T7_T8_P12ihipStream_tbENKUlT_T0_E_clISt17integral_constantIbLb1EES15_EEDaS10_S11_EUlS10_E_NS1_11comp_targetILNS1_3genE4ELNS1_11target_archE910ELNS1_3gpuE8ELNS1_3repE0EEENS1_30default_config_static_selectorELNS0_4arch9wavefront6targetE1EEEvT1_.has_indirect_call, 0
	.section	.AMDGPU.csdata,"",@progbits
; Kernel info:
; codeLenInByte = 0
; TotalNumSgprs: 4
; NumVgprs: 0
; ScratchSize: 0
; MemoryBound: 0
; FloatMode: 240
; IeeeMode: 1
; LDSByteSize: 0 bytes/workgroup (compile time only)
; SGPRBlocks: 0
; VGPRBlocks: 0
; NumSGPRsForWavesPerEU: 4
; NumVGPRsForWavesPerEU: 1
; Occupancy: 10
; WaveLimiterHint : 0
; COMPUTE_PGM_RSRC2:SCRATCH_EN: 0
; COMPUTE_PGM_RSRC2:USER_SGPR: 6
; COMPUTE_PGM_RSRC2:TRAP_HANDLER: 0
; COMPUTE_PGM_RSRC2:TGID_X_EN: 1
; COMPUTE_PGM_RSRC2:TGID_Y_EN: 0
; COMPUTE_PGM_RSRC2:TGID_Z_EN: 0
; COMPUTE_PGM_RSRC2:TIDIG_COMP_CNT: 0
	.section	.text._ZN7rocprim17ROCPRIM_400000_NS6detail17trampoline_kernelINS0_14default_configENS1_29reduce_by_key_config_selectorIN3c108BFloat16ElN6thrust23THRUST_200600_302600_NS4plusIlEEEEZZNS1_33reduce_by_key_impl_wrapped_configILNS1_25lookback_scan_determinismE0ES3_SB_PS6_NS8_17constant_iteratorIiNS8_11use_defaultESG_EENS8_10device_ptrIS6_EENSI_IlEEPmSA_NS8_8equal_toIS6_EEEE10hipError_tPvRmT2_T3_mT4_T5_T6_T7_T8_P12ihipStream_tbENKUlT_T0_E_clISt17integral_constantIbLb1EES15_EEDaS10_S11_EUlS10_E_NS1_11comp_targetILNS1_3genE3ELNS1_11target_archE908ELNS1_3gpuE7ELNS1_3repE0EEENS1_30default_config_static_selectorELNS0_4arch9wavefront6targetE1EEEvT1_,"axG",@progbits,_ZN7rocprim17ROCPRIM_400000_NS6detail17trampoline_kernelINS0_14default_configENS1_29reduce_by_key_config_selectorIN3c108BFloat16ElN6thrust23THRUST_200600_302600_NS4plusIlEEEEZZNS1_33reduce_by_key_impl_wrapped_configILNS1_25lookback_scan_determinismE0ES3_SB_PS6_NS8_17constant_iteratorIiNS8_11use_defaultESG_EENS8_10device_ptrIS6_EENSI_IlEEPmSA_NS8_8equal_toIS6_EEEE10hipError_tPvRmT2_T3_mT4_T5_T6_T7_T8_P12ihipStream_tbENKUlT_T0_E_clISt17integral_constantIbLb1EES15_EEDaS10_S11_EUlS10_E_NS1_11comp_targetILNS1_3genE3ELNS1_11target_archE908ELNS1_3gpuE7ELNS1_3repE0EEENS1_30default_config_static_selectorELNS0_4arch9wavefront6targetE1EEEvT1_,comdat
	.protected	_ZN7rocprim17ROCPRIM_400000_NS6detail17trampoline_kernelINS0_14default_configENS1_29reduce_by_key_config_selectorIN3c108BFloat16ElN6thrust23THRUST_200600_302600_NS4plusIlEEEEZZNS1_33reduce_by_key_impl_wrapped_configILNS1_25lookback_scan_determinismE0ES3_SB_PS6_NS8_17constant_iteratorIiNS8_11use_defaultESG_EENS8_10device_ptrIS6_EENSI_IlEEPmSA_NS8_8equal_toIS6_EEEE10hipError_tPvRmT2_T3_mT4_T5_T6_T7_T8_P12ihipStream_tbENKUlT_T0_E_clISt17integral_constantIbLb1EES15_EEDaS10_S11_EUlS10_E_NS1_11comp_targetILNS1_3genE3ELNS1_11target_archE908ELNS1_3gpuE7ELNS1_3repE0EEENS1_30default_config_static_selectorELNS0_4arch9wavefront6targetE1EEEvT1_ ; -- Begin function _ZN7rocprim17ROCPRIM_400000_NS6detail17trampoline_kernelINS0_14default_configENS1_29reduce_by_key_config_selectorIN3c108BFloat16ElN6thrust23THRUST_200600_302600_NS4plusIlEEEEZZNS1_33reduce_by_key_impl_wrapped_configILNS1_25lookback_scan_determinismE0ES3_SB_PS6_NS8_17constant_iteratorIiNS8_11use_defaultESG_EENS8_10device_ptrIS6_EENSI_IlEEPmSA_NS8_8equal_toIS6_EEEE10hipError_tPvRmT2_T3_mT4_T5_T6_T7_T8_P12ihipStream_tbENKUlT_T0_E_clISt17integral_constantIbLb1EES15_EEDaS10_S11_EUlS10_E_NS1_11comp_targetILNS1_3genE3ELNS1_11target_archE908ELNS1_3gpuE7ELNS1_3repE0EEENS1_30default_config_static_selectorELNS0_4arch9wavefront6targetE1EEEvT1_
	.globl	_ZN7rocprim17ROCPRIM_400000_NS6detail17trampoline_kernelINS0_14default_configENS1_29reduce_by_key_config_selectorIN3c108BFloat16ElN6thrust23THRUST_200600_302600_NS4plusIlEEEEZZNS1_33reduce_by_key_impl_wrapped_configILNS1_25lookback_scan_determinismE0ES3_SB_PS6_NS8_17constant_iteratorIiNS8_11use_defaultESG_EENS8_10device_ptrIS6_EENSI_IlEEPmSA_NS8_8equal_toIS6_EEEE10hipError_tPvRmT2_T3_mT4_T5_T6_T7_T8_P12ihipStream_tbENKUlT_T0_E_clISt17integral_constantIbLb1EES15_EEDaS10_S11_EUlS10_E_NS1_11comp_targetILNS1_3genE3ELNS1_11target_archE908ELNS1_3gpuE7ELNS1_3repE0EEENS1_30default_config_static_selectorELNS0_4arch9wavefront6targetE1EEEvT1_
	.p2align	8
	.type	_ZN7rocprim17ROCPRIM_400000_NS6detail17trampoline_kernelINS0_14default_configENS1_29reduce_by_key_config_selectorIN3c108BFloat16ElN6thrust23THRUST_200600_302600_NS4plusIlEEEEZZNS1_33reduce_by_key_impl_wrapped_configILNS1_25lookback_scan_determinismE0ES3_SB_PS6_NS8_17constant_iteratorIiNS8_11use_defaultESG_EENS8_10device_ptrIS6_EENSI_IlEEPmSA_NS8_8equal_toIS6_EEEE10hipError_tPvRmT2_T3_mT4_T5_T6_T7_T8_P12ihipStream_tbENKUlT_T0_E_clISt17integral_constantIbLb1EES15_EEDaS10_S11_EUlS10_E_NS1_11comp_targetILNS1_3genE3ELNS1_11target_archE908ELNS1_3gpuE7ELNS1_3repE0EEENS1_30default_config_static_selectorELNS0_4arch9wavefront6targetE1EEEvT1_,@function
_ZN7rocprim17ROCPRIM_400000_NS6detail17trampoline_kernelINS0_14default_configENS1_29reduce_by_key_config_selectorIN3c108BFloat16ElN6thrust23THRUST_200600_302600_NS4plusIlEEEEZZNS1_33reduce_by_key_impl_wrapped_configILNS1_25lookback_scan_determinismE0ES3_SB_PS6_NS8_17constant_iteratorIiNS8_11use_defaultESG_EENS8_10device_ptrIS6_EENSI_IlEEPmSA_NS8_8equal_toIS6_EEEE10hipError_tPvRmT2_T3_mT4_T5_T6_T7_T8_P12ihipStream_tbENKUlT_T0_E_clISt17integral_constantIbLb1EES15_EEDaS10_S11_EUlS10_E_NS1_11comp_targetILNS1_3genE3ELNS1_11target_archE908ELNS1_3gpuE7ELNS1_3repE0EEENS1_30default_config_static_selectorELNS0_4arch9wavefront6targetE1EEEvT1_: ; @_ZN7rocprim17ROCPRIM_400000_NS6detail17trampoline_kernelINS0_14default_configENS1_29reduce_by_key_config_selectorIN3c108BFloat16ElN6thrust23THRUST_200600_302600_NS4plusIlEEEEZZNS1_33reduce_by_key_impl_wrapped_configILNS1_25lookback_scan_determinismE0ES3_SB_PS6_NS8_17constant_iteratorIiNS8_11use_defaultESG_EENS8_10device_ptrIS6_EENSI_IlEEPmSA_NS8_8equal_toIS6_EEEE10hipError_tPvRmT2_T3_mT4_T5_T6_T7_T8_P12ihipStream_tbENKUlT_T0_E_clISt17integral_constantIbLb1EES15_EEDaS10_S11_EUlS10_E_NS1_11comp_targetILNS1_3genE3ELNS1_11target_archE908ELNS1_3gpuE7ELNS1_3repE0EEENS1_30default_config_static_selectorELNS0_4arch9wavefront6targetE1EEEvT1_
; %bb.0:
	.section	.rodata,"a",@progbits
	.p2align	6, 0x0
	.amdhsa_kernel _ZN7rocprim17ROCPRIM_400000_NS6detail17trampoline_kernelINS0_14default_configENS1_29reduce_by_key_config_selectorIN3c108BFloat16ElN6thrust23THRUST_200600_302600_NS4plusIlEEEEZZNS1_33reduce_by_key_impl_wrapped_configILNS1_25lookback_scan_determinismE0ES3_SB_PS6_NS8_17constant_iteratorIiNS8_11use_defaultESG_EENS8_10device_ptrIS6_EENSI_IlEEPmSA_NS8_8equal_toIS6_EEEE10hipError_tPvRmT2_T3_mT4_T5_T6_T7_T8_P12ihipStream_tbENKUlT_T0_E_clISt17integral_constantIbLb1EES15_EEDaS10_S11_EUlS10_E_NS1_11comp_targetILNS1_3genE3ELNS1_11target_archE908ELNS1_3gpuE7ELNS1_3repE0EEENS1_30default_config_static_selectorELNS0_4arch9wavefront6targetE1EEEvT1_
		.amdhsa_group_segment_fixed_size 0
		.amdhsa_private_segment_fixed_size 0
		.amdhsa_kernarg_size 144
		.amdhsa_user_sgpr_count 6
		.amdhsa_user_sgpr_private_segment_buffer 1
		.amdhsa_user_sgpr_dispatch_ptr 0
		.amdhsa_user_sgpr_queue_ptr 0
		.amdhsa_user_sgpr_kernarg_segment_ptr 1
		.amdhsa_user_sgpr_dispatch_id 0
		.amdhsa_user_sgpr_flat_scratch_init 0
		.amdhsa_user_sgpr_private_segment_size 0
		.amdhsa_uses_dynamic_stack 0
		.amdhsa_system_sgpr_private_segment_wavefront_offset 0
		.amdhsa_system_sgpr_workgroup_id_x 1
		.amdhsa_system_sgpr_workgroup_id_y 0
		.amdhsa_system_sgpr_workgroup_id_z 0
		.amdhsa_system_sgpr_workgroup_info 0
		.amdhsa_system_vgpr_workitem_id 0
		.amdhsa_next_free_vgpr 1
		.amdhsa_next_free_sgpr 0
		.amdhsa_reserve_vcc 0
		.amdhsa_reserve_flat_scratch 0
		.amdhsa_float_round_mode_32 0
		.amdhsa_float_round_mode_16_64 0
		.amdhsa_float_denorm_mode_32 3
		.amdhsa_float_denorm_mode_16_64 3
		.amdhsa_dx10_clamp 1
		.amdhsa_ieee_mode 1
		.amdhsa_fp16_overflow 0
		.amdhsa_exception_fp_ieee_invalid_op 0
		.amdhsa_exception_fp_denorm_src 0
		.amdhsa_exception_fp_ieee_div_zero 0
		.amdhsa_exception_fp_ieee_overflow 0
		.amdhsa_exception_fp_ieee_underflow 0
		.amdhsa_exception_fp_ieee_inexact 0
		.amdhsa_exception_int_div_zero 0
	.end_amdhsa_kernel
	.section	.text._ZN7rocprim17ROCPRIM_400000_NS6detail17trampoline_kernelINS0_14default_configENS1_29reduce_by_key_config_selectorIN3c108BFloat16ElN6thrust23THRUST_200600_302600_NS4plusIlEEEEZZNS1_33reduce_by_key_impl_wrapped_configILNS1_25lookback_scan_determinismE0ES3_SB_PS6_NS8_17constant_iteratorIiNS8_11use_defaultESG_EENS8_10device_ptrIS6_EENSI_IlEEPmSA_NS8_8equal_toIS6_EEEE10hipError_tPvRmT2_T3_mT4_T5_T6_T7_T8_P12ihipStream_tbENKUlT_T0_E_clISt17integral_constantIbLb1EES15_EEDaS10_S11_EUlS10_E_NS1_11comp_targetILNS1_3genE3ELNS1_11target_archE908ELNS1_3gpuE7ELNS1_3repE0EEENS1_30default_config_static_selectorELNS0_4arch9wavefront6targetE1EEEvT1_,"axG",@progbits,_ZN7rocprim17ROCPRIM_400000_NS6detail17trampoline_kernelINS0_14default_configENS1_29reduce_by_key_config_selectorIN3c108BFloat16ElN6thrust23THRUST_200600_302600_NS4plusIlEEEEZZNS1_33reduce_by_key_impl_wrapped_configILNS1_25lookback_scan_determinismE0ES3_SB_PS6_NS8_17constant_iteratorIiNS8_11use_defaultESG_EENS8_10device_ptrIS6_EENSI_IlEEPmSA_NS8_8equal_toIS6_EEEE10hipError_tPvRmT2_T3_mT4_T5_T6_T7_T8_P12ihipStream_tbENKUlT_T0_E_clISt17integral_constantIbLb1EES15_EEDaS10_S11_EUlS10_E_NS1_11comp_targetILNS1_3genE3ELNS1_11target_archE908ELNS1_3gpuE7ELNS1_3repE0EEENS1_30default_config_static_selectorELNS0_4arch9wavefront6targetE1EEEvT1_,comdat
.Lfunc_end2064:
	.size	_ZN7rocprim17ROCPRIM_400000_NS6detail17trampoline_kernelINS0_14default_configENS1_29reduce_by_key_config_selectorIN3c108BFloat16ElN6thrust23THRUST_200600_302600_NS4plusIlEEEEZZNS1_33reduce_by_key_impl_wrapped_configILNS1_25lookback_scan_determinismE0ES3_SB_PS6_NS8_17constant_iteratorIiNS8_11use_defaultESG_EENS8_10device_ptrIS6_EENSI_IlEEPmSA_NS8_8equal_toIS6_EEEE10hipError_tPvRmT2_T3_mT4_T5_T6_T7_T8_P12ihipStream_tbENKUlT_T0_E_clISt17integral_constantIbLb1EES15_EEDaS10_S11_EUlS10_E_NS1_11comp_targetILNS1_3genE3ELNS1_11target_archE908ELNS1_3gpuE7ELNS1_3repE0EEENS1_30default_config_static_selectorELNS0_4arch9wavefront6targetE1EEEvT1_, .Lfunc_end2064-_ZN7rocprim17ROCPRIM_400000_NS6detail17trampoline_kernelINS0_14default_configENS1_29reduce_by_key_config_selectorIN3c108BFloat16ElN6thrust23THRUST_200600_302600_NS4plusIlEEEEZZNS1_33reduce_by_key_impl_wrapped_configILNS1_25lookback_scan_determinismE0ES3_SB_PS6_NS8_17constant_iteratorIiNS8_11use_defaultESG_EENS8_10device_ptrIS6_EENSI_IlEEPmSA_NS8_8equal_toIS6_EEEE10hipError_tPvRmT2_T3_mT4_T5_T6_T7_T8_P12ihipStream_tbENKUlT_T0_E_clISt17integral_constantIbLb1EES15_EEDaS10_S11_EUlS10_E_NS1_11comp_targetILNS1_3genE3ELNS1_11target_archE908ELNS1_3gpuE7ELNS1_3repE0EEENS1_30default_config_static_selectorELNS0_4arch9wavefront6targetE1EEEvT1_
                                        ; -- End function
	.set _ZN7rocprim17ROCPRIM_400000_NS6detail17trampoline_kernelINS0_14default_configENS1_29reduce_by_key_config_selectorIN3c108BFloat16ElN6thrust23THRUST_200600_302600_NS4plusIlEEEEZZNS1_33reduce_by_key_impl_wrapped_configILNS1_25lookback_scan_determinismE0ES3_SB_PS6_NS8_17constant_iteratorIiNS8_11use_defaultESG_EENS8_10device_ptrIS6_EENSI_IlEEPmSA_NS8_8equal_toIS6_EEEE10hipError_tPvRmT2_T3_mT4_T5_T6_T7_T8_P12ihipStream_tbENKUlT_T0_E_clISt17integral_constantIbLb1EES15_EEDaS10_S11_EUlS10_E_NS1_11comp_targetILNS1_3genE3ELNS1_11target_archE908ELNS1_3gpuE7ELNS1_3repE0EEENS1_30default_config_static_selectorELNS0_4arch9wavefront6targetE1EEEvT1_.num_vgpr, 0
	.set _ZN7rocprim17ROCPRIM_400000_NS6detail17trampoline_kernelINS0_14default_configENS1_29reduce_by_key_config_selectorIN3c108BFloat16ElN6thrust23THRUST_200600_302600_NS4plusIlEEEEZZNS1_33reduce_by_key_impl_wrapped_configILNS1_25lookback_scan_determinismE0ES3_SB_PS6_NS8_17constant_iteratorIiNS8_11use_defaultESG_EENS8_10device_ptrIS6_EENSI_IlEEPmSA_NS8_8equal_toIS6_EEEE10hipError_tPvRmT2_T3_mT4_T5_T6_T7_T8_P12ihipStream_tbENKUlT_T0_E_clISt17integral_constantIbLb1EES15_EEDaS10_S11_EUlS10_E_NS1_11comp_targetILNS1_3genE3ELNS1_11target_archE908ELNS1_3gpuE7ELNS1_3repE0EEENS1_30default_config_static_selectorELNS0_4arch9wavefront6targetE1EEEvT1_.num_agpr, 0
	.set _ZN7rocprim17ROCPRIM_400000_NS6detail17trampoline_kernelINS0_14default_configENS1_29reduce_by_key_config_selectorIN3c108BFloat16ElN6thrust23THRUST_200600_302600_NS4plusIlEEEEZZNS1_33reduce_by_key_impl_wrapped_configILNS1_25lookback_scan_determinismE0ES3_SB_PS6_NS8_17constant_iteratorIiNS8_11use_defaultESG_EENS8_10device_ptrIS6_EENSI_IlEEPmSA_NS8_8equal_toIS6_EEEE10hipError_tPvRmT2_T3_mT4_T5_T6_T7_T8_P12ihipStream_tbENKUlT_T0_E_clISt17integral_constantIbLb1EES15_EEDaS10_S11_EUlS10_E_NS1_11comp_targetILNS1_3genE3ELNS1_11target_archE908ELNS1_3gpuE7ELNS1_3repE0EEENS1_30default_config_static_selectorELNS0_4arch9wavefront6targetE1EEEvT1_.numbered_sgpr, 0
	.set _ZN7rocprim17ROCPRIM_400000_NS6detail17trampoline_kernelINS0_14default_configENS1_29reduce_by_key_config_selectorIN3c108BFloat16ElN6thrust23THRUST_200600_302600_NS4plusIlEEEEZZNS1_33reduce_by_key_impl_wrapped_configILNS1_25lookback_scan_determinismE0ES3_SB_PS6_NS8_17constant_iteratorIiNS8_11use_defaultESG_EENS8_10device_ptrIS6_EENSI_IlEEPmSA_NS8_8equal_toIS6_EEEE10hipError_tPvRmT2_T3_mT4_T5_T6_T7_T8_P12ihipStream_tbENKUlT_T0_E_clISt17integral_constantIbLb1EES15_EEDaS10_S11_EUlS10_E_NS1_11comp_targetILNS1_3genE3ELNS1_11target_archE908ELNS1_3gpuE7ELNS1_3repE0EEENS1_30default_config_static_selectorELNS0_4arch9wavefront6targetE1EEEvT1_.num_named_barrier, 0
	.set _ZN7rocprim17ROCPRIM_400000_NS6detail17trampoline_kernelINS0_14default_configENS1_29reduce_by_key_config_selectorIN3c108BFloat16ElN6thrust23THRUST_200600_302600_NS4plusIlEEEEZZNS1_33reduce_by_key_impl_wrapped_configILNS1_25lookback_scan_determinismE0ES3_SB_PS6_NS8_17constant_iteratorIiNS8_11use_defaultESG_EENS8_10device_ptrIS6_EENSI_IlEEPmSA_NS8_8equal_toIS6_EEEE10hipError_tPvRmT2_T3_mT4_T5_T6_T7_T8_P12ihipStream_tbENKUlT_T0_E_clISt17integral_constantIbLb1EES15_EEDaS10_S11_EUlS10_E_NS1_11comp_targetILNS1_3genE3ELNS1_11target_archE908ELNS1_3gpuE7ELNS1_3repE0EEENS1_30default_config_static_selectorELNS0_4arch9wavefront6targetE1EEEvT1_.private_seg_size, 0
	.set _ZN7rocprim17ROCPRIM_400000_NS6detail17trampoline_kernelINS0_14default_configENS1_29reduce_by_key_config_selectorIN3c108BFloat16ElN6thrust23THRUST_200600_302600_NS4plusIlEEEEZZNS1_33reduce_by_key_impl_wrapped_configILNS1_25lookback_scan_determinismE0ES3_SB_PS6_NS8_17constant_iteratorIiNS8_11use_defaultESG_EENS8_10device_ptrIS6_EENSI_IlEEPmSA_NS8_8equal_toIS6_EEEE10hipError_tPvRmT2_T3_mT4_T5_T6_T7_T8_P12ihipStream_tbENKUlT_T0_E_clISt17integral_constantIbLb1EES15_EEDaS10_S11_EUlS10_E_NS1_11comp_targetILNS1_3genE3ELNS1_11target_archE908ELNS1_3gpuE7ELNS1_3repE0EEENS1_30default_config_static_selectorELNS0_4arch9wavefront6targetE1EEEvT1_.uses_vcc, 0
	.set _ZN7rocprim17ROCPRIM_400000_NS6detail17trampoline_kernelINS0_14default_configENS1_29reduce_by_key_config_selectorIN3c108BFloat16ElN6thrust23THRUST_200600_302600_NS4plusIlEEEEZZNS1_33reduce_by_key_impl_wrapped_configILNS1_25lookback_scan_determinismE0ES3_SB_PS6_NS8_17constant_iteratorIiNS8_11use_defaultESG_EENS8_10device_ptrIS6_EENSI_IlEEPmSA_NS8_8equal_toIS6_EEEE10hipError_tPvRmT2_T3_mT4_T5_T6_T7_T8_P12ihipStream_tbENKUlT_T0_E_clISt17integral_constantIbLb1EES15_EEDaS10_S11_EUlS10_E_NS1_11comp_targetILNS1_3genE3ELNS1_11target_archE908ELNS1_3gpuE7ELNS1_3repE0EEENS1_30default_config_static_selectorELNS0_4arch9wavefront6targetE1EEEvT1_.uses_flat_scratch, 0
	.set _ZN7rocprim17ROCPRIM_400000_NS6detail17trampoline_kernelINS0_14default_configENS1_29reduce_by_key_config_selectorIN3c108BFloat16ElN6thrust23THRUST_200600_302600_NS4plusIlEEEEZZNS1_33reduce_by_key_impl_wrapped_configILNS1_25lookback_scan_determinismE0ES3_SB_PS6_NS8_17constant_iteratorIiNS8_11use_defaultESG_EENS8_10device_ptrIS6_EENSI_IlEEPmSA_NS8_8equal_toIS6_EEEE10hipError_tPvRmT2_T3_mT4_T5_T6_T7_T8_P12ihipStream_tbENKUlT_T0_E_clISt17integral_constantIbLb1EES15_EEDaS10_S11_EUlS10_E_NS1_11comp_targetILNS1_3genE3ELNS1_11target_archE908ELNS1_3gpuE7ELNS1_3repE0EEENS1_30default_config_static_selectorELNS0_4arch9wavefront6targetE1EEEvT1_.has_dyn_sized_stack, 0
	.set _ZN7rocprim17ROCPRIM_400000_NS6detail17trampoline_kernelINS0_14default_configENS1_29reduce_by_key_config_selectorIN3c108BFloat16ElN6thrust23THRUST_200600_302600_NS4plusIlEEEEZZNS1_33reduce_by_key_impl_wrapped_configILNS1_25lookback_scan_determinismE0ES3_SB_PS6_NS8_17constant_iteratorIiNS8_11use_defaultESG_EENS8_10device_ptrIS6_EENSI_IlEEPmSA_NS8_8equal_toIS6_EEEE10hipError_tPvRmT2_T3_mT4_T5_T6_T7_T8_P12ihipStream_tbENKUlT_T0_E_clISt17integral_constantIbLb1EES15_EEDaS10_S11_EUlS10_E_NS1_11comp_targetILNS1_3genE3ELNS1_11target_archE908ELNS1_3gpuE7ELNS1_3repE0EEENS1_30default_config_static_selectorELNS0_4arch9wavefront6targetE1EEEvT1_.has_recursion, 0
	.set _ZN7rocprim17ROCPRIM_400000_NS6detail17trampoline_kernelINS0_14default_configENS1_29reduce_by_key_config_selectorIN3c108BFloat16ElN6thrust23THRUST_200600_302600_NS4plusIlEEEEZZNS1_33reduce_by_key_impl_wrapped_configILNS1_25lookback_scan_determinismE0ES3_SB_PS6_NS8_17constant_iteratorIiNS8_11use_defaultESG_EENS8_10device_ptrIS6_EENSI_IlEEPmSA_NS8_8equal_toIS6_EEEE10hipError_tPvRmT2_T3_mT4_T5_T6_T7_T8_P12ihipStream_tbENKUlT_T0_E_clISt17integral_constantIbLb1EES15_EEDaS10_S11_EUlS10_E_NS1_11comp_targetILNS1_3genE3ELNS1_11target_archE908ELNS1_3gpuE7ELNS1_3repE0EEENS1_30default_config_static_selectorELNS0_4arch9wavefront6targetE1EEEvT1_.has_indirect_call, 0
	.section	.AMDGPU.csdata,"",@progbits
; Kernel info:
; codeLenInByte = 0
; TotalNumSgprs: 4
; NumVgprs: 0
; ScratchSize: 0
; MemoryBound: 0
; FloatMode: 240
; IeeeMode: 1
; LDSByteSize: 0 bytes/workgroup (compile time only)
; SGPRBlocks: 0
; VGPRBlocks: 0
; NumSGPRsForWavesPerEU: 4
; NumVGPRsForWavesPerEU: 1
; Occupancy: 10
; WaveLimiterHint : 0
; COMPUTE_PGM_RSRC2:SCRATCH_EN: 0
; COMPUTE_PGM_RSRC2:USER_SGPR: 6
; COMPUTE_PGM_RSRC2:TRAP_HANDLER: 0
; COMPUTE_PGM_RSRC2:TGID_X_EN: 1
; COMPUTE_PGM_RSRC2:TGID_Y_EN: 0
; COMPUTE_PGM_RSRC2:TGID_Z_EN: 0
; COMPUTE_PGM_RSRC2:TIDIG_COMP_CNT: 0
	.section	.text._ZN7rocprim17ROCPRIM_400000_NS6detail17trampoline_kernelINS0_14default_configENS1_29reduce_by_key_config_selectorIN3c108BFloat16ElN6thrust23THRUST_200600_302600_NS4plusIlEEEEZZNS1_33reduce_by_key_impl_wrapped_configILNS1_25lookback_scan_determinismE0ES3_SB_PS6_NS8_17constant_iteratorIiNS8_11use_defaultESG_EENS8_10device_ptrIS6_EENSI_IlEEPmSA_NS8_8equal_toIS6_EEEE10hipError_tPvRmT2_T3_mT4_T5_T6_T7_T8_P12ihipStream_tbENKUlT_T0_E_clISt17integral_constantIbLb1EES15_EEDaS10_S11_EUlS10_E_NS1_11comp_targetILNS1_3genE2ELNS1_11target_archE906ELNS1_3gpuE6ELNS1_3repE0EEENS1_30default_config_static_selectorELNS0_4arch9wavefront6targetE1EEEvT1_,"axG",@progbits,_ZN7rocprim17ROCPRIM_400000_NS6detail17trampoline_kernelINS0_14default_configENS1_29reduce_by_key_config_selectorIN3c108BFloat16ElN6thrust23THRUST_200600_302600_NS4plusIlEEEEZZNS1_33reduce_by_key_impl_wrapped_configILNS1_25lookback_scan_determinismE0ES3_SB_PS6_NS8_17constant_iteratorIiNS8_11use_defaultESG_EENS8_10device_ptrIS6_EENSI_IlEEPmSA_NS8_8equal_toIS6_EEEE10hipError_tPvRmT2_T3_mT4_T5_T6_T7_T8_P12ihipStream_tbENKUlT_T0_E_clISt17integral_constantIbLb1EES15_EEDaS10_S11_EUlS10_E_NS1_11comp_targetILNS1_3genE2ELNS1_11target_archE906ELNS1_3gpuE6ELNS1_3repE0EEENS1_30default_config_static_selectorELNS0_4arch9wavefront6targetE1EEEvT1_,comdat
	.protected	_ZN7rocprim17ROCPRIM_400000_NS6detail17trampoline_kernelINS0_14default_configENS1_29reduce_by_key_config_selectorIN3c108BFloat16ElN6thrust23THRUST_200600_302600_NS4plusIlEEEEZZNS1_33reduce_by_key_impl_wrapped_configILNS1_25lookback_scan_determinismE0ES3_SB_PS6_NS8_17constant_iteratorIiNS8_11use_defaultESG_EENS8_10device_ptrIS6_EENSI_IlEEPmSA_NS8_8equal_toIS6_EEEE10hipError_tPvRmT2_T3_mT4_T5_T6_T7_T8_P12ihipStream_tbENKUlT_T0_E_clISt17integral_constantIbLb1EES15_EEDaS10_S11_EUlS10_E_NS1_11comp_targetILNS1_3genE2ELNS1_11target_archE906ELNS1_3gpuE6ELNS1_3repE0EEENS1_30default_config_static_selectorELNS0_4arch9wavefront6targetE1EEEvT1_ ; -- Begin function _ZN7rocprim17ROCPRIM_400000_NS6detail17trampoline_kernelINS0_14default_configENS1_29reduce_by_key_config_selectorIN3c108BFloat16ElN6thrust23THRUST_200600_302600_NS4plusIlEEEEZZNS1_33reduce_by_key_impl_wrapped_configILNS1_25lookback_scan_determinismE0ES3_SB_PS6_NS8_17constant_iteratorIiNS8_11use_defaultESG_EENS8_10device_ptrIS6_EENSI_IlEEPmSA_NS8_8equal_toIS6_EEEE10hipError_tPvRmT2_T3_mT4_T5_T6_T7_T8_P12ihipStream_tbENKUlT_T0_E_clISt17integral_constantIbLb1EES15_EEDaS10_S11_EUlS10_E_NS1_11comp_targetILNS1_3genE2ELNS1_11target_archE906ELNS1_3gpuE6ELNS1_3repE0EEENS1_30default_config_static_selectorELNS0_4arch9wavefront6targetE1EEEvT1_
	.globl	_ZN7rocprim17ROCPRIM_400000_NS6detail17trampoline_kernelINS0_14default_configENS1_29reduce_by_key_config_selectorIN3c108BFloat16ElN6thrust23THRUST_200600_302600_NS4plusIlEEEEZZNS1_33reduce_by_key_impl_wrapped_configILNS1_25lookback_scan_determinismE0ES3_SB_PS6_NS8_17constant_iteratorIiNS8_11use_defaultESG_EENS8_10device_ptrIS6_EENSI_IlEEPmSA_NS8_8equal_toIS6_EEEE10hipError_tPvRmT2_T3_mT4_T5_T6_T7_T8_P12ihipStream_tbENKUlT_T0_E_clISt17integral_constantIbLb1EES15_EEDaS10_S11_EUlS10_E_NS1_11comp_targetILNS1_3genE2ELNS1_11target_archE906ELNS1_3gpuE6ELNS1_3repE0EEENS1_30default_config_static_selectorELNS0_4arch9wavefront6targetE1EEEvT1_
	.p2align	8
	.type	_ZN7rocprim17ROCPRIM_400000_NS6detail17trampoline_kernelINS0_14default_configENS1_29reduce_by_key_config_selectorIN3c108BFloat16ElN6thrust23THRUST_200600_302600_NS4plusIlEEEEZZNS1_33reduce_by_key_impl_wrapped_configILNS1_25lookback_scan_determinismE0ES3_SB_PS6_NS8_17constant_iteratorIiNS8_11use_defaultESG_EENS8_10device_ptrIS6_EENSI_IlEEPmSA_NS8_8equal_toIS6_EEEE10hipError_tPvRmT2_T3_mT4_T5_T6_T7_T8_P12ihipStream_tbENKUlT_T0_E_clISt17integral_constantIbLb1EES15_EEDaS10_S11_EUlS10_E_NS1_11comp_targetILNS1_3genE2ELNS1_11target_archE906ELNS1_3gpuE6ELNS1_3repE0EEENS1_30default_config_static_selectorELNS0_4arch9wavefront6targetE1EEEvT1_,@function
_ZN7rocprim17ROCPRIM_400000_NS6detail17trampoline_kernelINS0_14default_configENS1_29reduce_by_key_config_selectorIN3c108BFloat16ElN6thrust23THRUST_200600_302600_NS4plusIlEEEEZZNS1_33reduce_by_key_impl_wrapped_configILNS1_25lookback_scan_determinismE0ES3_SB_PS6_NS8_17constant_iteratorIiNS8_11use_defaultESG_EENS8_10device_ptrIS6_EENSI_IlEEPmSA_NS8_8equal_toIS6_EEEE10hipError_tPvRmT2_T3_mT4_T5_T6_T7_T8_P12ihipStream_tbENKUlT_T0_E_clISt17integral_constantIbLb1EES15_EEDaS10_S11_EUlS10_E_NS1_11comp_targetILNS1_3genE2ELNS1_11target_archE906ELNS1_3gpuE6ELNS1_3repE0EEENS1_30default_config_static_selectorELNS0_4arch9wavefront6targetE1EEEvT1_: ; @_ZN7rocprim17ROCPRIM_400000_NS6detail17trampoline_kernelINS0_14default_configENS1_29reduce_by_key_config_selectorIN3c108BFloat16ElN6thrust23THRUST_200600_302600_NS4plusIlEEEEZZNS1_33reduce_by_key_impl_wrapped_configILNS1_25lookback_scan_determinismE0ES3_SB_PS6_NS8_17constant_iteratorIiNS8_11use_defaultESG_EENS8_10device_ptrIS6_EENSI_IlEEPmSA_NS8_8equal_toIS6_EEEE10hipError_tPvRmT2_T3_mT4_T5_T6_T7_T8_P12ihipStream_tbENKUlT_T0_E_clISt17integral_constantIbLb1EES15_EEDaS10_S11_EUlS10_E_NS1_11comp_targetILNS1_3genE2ELNS1_11target_archE906ELNS1_3gpuE6ELNS1_3repE0EEENS1_30default_config_static_selectorELNS0_4arch9wavefront6targetE1EEEvT1_
; %bb.0:
	s_endpgm
	.section	.rodata,"a",@progbits
	.p2align	6, 0x0
	.amdhsa_kernel _ZN7rocprim17ROCPRIM_400000_NS6detail17trampoline_kernelINS0_14default_configENS1_29reduce_by_key_config_selectorIN3c108BFloat16ElN6thrust23THRUST_200600_302600_NS4plusIlEEEEZZNS1_33reduce_by_key_impl_wrapped_configILNS1_25lookback_scan_determinismE0ES3_SB_PS6_NS8_17constant_iteratorIiNS8_11use_defaultESG_EENS8_10device_ptrIS6_EENSI_IlEEPmSA_NS8_8equal_toIS6_EEEE10hipError_tPvRmT2_T3_mT4_T5_T6_T7_T8_P12ihipStream_tbENKUlT_T0_E_clISt17integral_constantIbLb1EES15_EEDaS10_S11_EUlS10_E_NS1_11comp_targetILNS1_3genE2ELNS1_11target_archE906ELNS1_3gpuE6ELNS1_3repE0EEENS1_30default_config_static_selectorELNS0_4arch9wavefront6targetE1EEEvT1_
		.amdhsa_group_segment_fixed_size 0
		.amdhsa_private_segment_fixed_size 0
		.amdhsa_kernarg_size 144
		.amdhsa_user_sgpr_count 6
		.amdhsa_user_sgpr_private_segment_buffer 1
		.amdhsa_user_sgpr_dispatch_ptr 0
		.amdhsa_user_sgpr_queue_ptr 0
		.amdhsa_user_sgpr_kernarg_segment_ptr 1
		.amdhsa_user_sgpr_dispatch_id 0
		.amdhsa_user_sgpr_flat_scratch_init 0
		.amdhsa_user_sgpr_private_segment_size 0
		.amdhsa_uses_dynamic_stack 0
		.amdhsa_system_sgpr_private_segment_wavefront_offset 0
		.amdhsa_system_sgpr_workgroup_id_x 1
		.amdhsa_system_sgpr_workgroup_id_y 0
		.amdhsa_system_sgpr_workgroup_id_z 0
		.amdhsa_system_sgpr_workgroup_info 0
		.amdhsa_system_vgpr_workitem_id 0
		.amdhsa_next_free_vgpr 1
		.amdhsa_next_free_sgpr 0
		.amdhsa_reserve_vcc 0
		.amdhsa_reserve_flat_scratch 0
		.amdhsa_float_round_mode_32 0
		.amdhsa_float_round_mode_16_64 0
		.amdhsa_float_denorm_mode_32 3
		.amdhsa_float_denorm_mode_16_64 3
		.amdhsa_dx10_clamp 1
		.amdhsa_ieee_mode 1
		.amdhsa_fp16_overflow 0
		.amdhsa_exception_fp_ieee_invalid_op 0
		.amdhsa_exception_fp_denorm_src 0
		.amdhsa_exception_fp_ieee_div_zero 0
		.amdhsa_exception_fp_ieee_overflow 0
		.amdhsa_exception_fp_ieee_underflow 0
		.amdhsa_exception_fp_ieee_inexact 0
		.amdhsa_exception_int_div_zero 0
	.end_amdhsa_kernel
	.section	.text._ZN7rocprim17ROCPRIM_400000_NS6detail17trampoline_kernelINS0_14default_configENS1_29reduce_by_key_config_selectorIN3c108BFloat16ElN6thrust23THRUST_200600_302600_NS4plusIlEEEEZZNS1_33reduce_by_key_impl_wrapped_configILNS1_25lookback_scan_determinismE0ES3_SB_PS6_NS8_17constant_iteratorIiNS8_11use_defaultESG_EENS8_10device_ptrIS6_EENSI_IlEEPmSA_NS8_8equal_toIS6_EEEE10hipError_tPvRmT2_T3_mT4_T5_T6_T7_T8_P12ihipStream_tbENKUlT_T0_E_clISt17integral_constantIbLb1EES15_EEDaS10_S11_EUlS10_E_NS1_11comp_targetILNS1_3genE2ELNS1_11target_archE906ELNS1_3gpuE6ELNS1_3repE0EEENS1_30default_config_static_selectorELNS0_4arch9wavefront6targetE1EEEvT1_,"axG",@progbits,_ZN7rocprim17ROCPRIM_400000_NS6detail17trampoline_kernelINS0_14default_configENS1_29reduce_by_key_config_selectorIN3c108BFloat16ElN6thrust23THRUST_200600_302600_NS4plusIlEEEEZZNS1_33reduce_by_key_impl_wrapped_configILNS1_25lookback_scan_determinismE0ES3_SB_PS6_NS8_17constant_iteratorIiNS8_11use_defaultESG_EENS8_10device_ptrIS6_EENSI_IlEEPmSA_NS8_8equal_toIS6_EEEE10hipError_tPvRmT2_T3_mT4_T5_T6_T7_T8_P12ihipStream_tbENKUlT_T0_E_clISt17integral_constantIbLb1EES15_EEDaS10_S11_EUlS10_E_NS1_11comp_targetILNS1_3genE2ELNS1_11target_archE906ELNS1_3gpuE6ELNS1_3repE0EEENS1_30default_config_static_selectorELNS0_4arch9wavefront6targetE1EEEvT1_,comdat
.Lfunc_end2065:
	.size	_ZN7rocprim17ROCPRIM_400000_NS6detail17trampoline_kernelINS0_14default_configENS1_29reduce_by_key_config_selectorIN3c108BFloat16ElN6thrust23THRUST_200600_302600_NS4plusIlEEEEZZNS1_33reduce_by_key_impl_wrapped_configILNS1_25lookback_scan_determinismE0ES3_SB_PS6_NS8_17constant_iteratorIiNS8_11use_defaultESG_EENS8_10device_ptrIS6_EENSI_IlEEPmSA_NS8_8equal_toIS6_EEEE10hipError_tPvRmT2_T3_mT4_T5_T6_T7_T8_P12ihipStream_tbENKUlT_T0_E_clISt17integral_constantIbLb1EES15_EEDaS10_S11_EUlS10_E_NS1_11comp_targetILNS1_3genE2ELNS1_11target_archE906ELNS1_3gpuE6ELNS1_3repE0EEENS1_30default_config_static_selectorELNS0_4arch9wavefront6targetE1EEEvT1_, .Lfunc_end2065-_ZN7rocprim17ROCPRIM_400000_NS6detail17trampoline_kernelINS0_14default_configENS1_29reduce_by_key_config_selectorIN3c108BFloat16ElN6thrust23THRUST_200600_302600_NS4plusIlEEEEZZNS1_33reduce_by_key_impl_wrapped_configILNS1_25lookback_scan_determinismE0ES3_SB_PS6_NS8_17constant_iteratorIiNS8_11use_defaultESG_EENS8_10device_ptrIS6_EENSI_IlEEPmSA_NS8_8equal_toIS6_EEEE10hipError_tPvRmT2_T3_mT4_T5_T6_T7_T8_P12ihipStream_tbENKUlT_T0_E_clISt17integral_constantIbLb1EES15_EEDaS10_S11_EUlS10_E_NS1_11comp_targetILNS1_3genE2ELNS1_11target_archE906ELNS1_3gpuE6ELNS1_3repE0EEENS1_30default_config_static_selectorELNS0_4arch9wavefront6targetE1EEEvT1_
                                        ; -- End function
	.set _ZN7rocprim17ROCPRIM_400000_NS6detail17trampoline_kernelINS0_14default_configENS1_29reduce_by_key_config_selectorIN3c108BFloat16ElN6thrust23THRUST_200600_302600_NS4plusIlEEEEZZNS1_33reduce_by_key_impl_wrapped_configILNS1_25lookback_scan_determinismE0ES3_SB_PS6_NS8_17constant_iteratorIiNS8_11use_defaultESG_EENS8_10device_ptrIS6_EENSI_IlEEPmSA_NS8_8equal_toIS6_EEEE10hipError_tPvRmT2_T3_mT4_T5_T6_T7_T8_P12ihipStream_tbENKUlT_T0_E_clISt17integral_constantIbLb1EES15_EEDaS10_S11_EUlS10_E_NS1_11comp_targetILNS1_3genE2ELNS1_11target_archE906ELNS1_3gpuE6ELNS1_3repE0EEENS1_30default_config_static_selectorELNS0_4arch9wavefront6targetE1EEEvT1_.num_vgpr, 0
	.set _ZN7rocprim17ROCPRIM_400000_NS6detail17trampoline_kernelINS0_14default_configENS1_29reduce_by_key_config_selectorIN3c108BFloat16ElN6thrust23THRUST_200600_302600_NS4plusIlEEEEZZNS1_33reduce_by_key_impl_wrapped_configILNS1_25lookback_scan_determinismE0ES3_SB_PS6_NS8_17constant_iteratorIiNS8_11use_defaultESG_EENS8_10device_ptrIS6_EENSI_IlEEPmSA_NS8_8equal_toIS6_EEEE10hipError_tPvRmT2_T3_mT4_T5_T6_T7_T8_P12ihipStream_tbENKUlT_T0_E_clISt17integral_constantIbLb1EES15_EEDaS10_S11_EUlS10_E_NS1_11comp_targetILNS1_3genE2ELNS1_11target_archE906ELNS1_3gpuE6ELNS1_3repE0EEENS1_30default_config_static_selectorELNS0_4arch9wavefront6targetE1EEEvT1_.num_agpr, 0
	.set _ZN7rocprim17ROCPRIM_400000_NS6detail17trampoline_kernelINS0_14default_configENS1_29reduce_by_key_config_selectorIN3c108BFloat16ElN6thrust23THRUST_200600_302600_NS4plusIlEEEEZZNS1_33reduce_by_key_impl_wrapped_configILNS1_25lookback_scan_determinismE0ES3_SB_PS6_NS8_17constant_iteratorIiNS8_11use_defaultESG_EENS8_10device_ptrIS6_EENSI_IlEEPmSA_NS8_8equal_toIS6_EEEE10hipError_tPvRmT2_T3_mT4_T5_T6_T7_T8_P12ihipStream_tbENKUlT_T0_E_clISt17integral_constantIbLb1EES15_EEDaS10_S11_EUlS10_E_NS1_11comp_targetILNS1_3genE2ELNS1_11target_archE906ELNS1_3gpuE6ELNS1_3repE0EEENS1_30default_config_static_selectorELNS0_4arch9wavefront6targetE1EEEvT1_.numbered_sgpr, 0
	.set _ZN7rocprim17ROCPRIM_400000_NS6detail17trampoline_kernelINS0_14default_configENS1_29reduce_by_key_config_selectorIN3c108BFloat16ElN6thrust23THRUST_200600_302600_NS4plusIlEEEEZZNS1_33reduce_by_key_impl_wrapped_configILNS1_25lookback_scan_determinismE0ES3_SB_PS6_NS8_17constant_iteratorIiNS8_11use_defaultESG_EENS8_10device_ptrIS6_EENSI_IlEEPmSA_NS8_8equal_toIS6_EEEE10hipError_tPvRmT2_T3_mT4_T5_T6_T7_T8_P12ihipStream_tbENKUlT_T0_E_clISt17integral_constantIbLb1EES15_EEDaS10_S11_EUlS10_E_NS1_11comp_targetILNS1_3genE2ELNS1_11target_archE906ELNS1_3gpuE6ELNS1_3repE0EEENS1_30default_config_static_selectorELNS0_4arch9wavefront6targetE1EEEvT1_.num_named_barrier, 0
	.set _ZN7rocprim17ROCPRIM_400000_NS6detail17trampoline_kernelINS0_14default_configENS1_29reduce_by_key_config_selectorIN3c108BFloat16ElN6thrust23THRUST_200600_302600_NS4plusIlEEEEZZNS1_33reduce_by_key_impl_wrapped_configILNS1_25lookback_scan_determinismE0ES3_SB_PS6_NS8_17constant_iteratorIiNS8_11use_defaultESG_EENS8_10device_ptrIS6_EENSI_IlEEPmSA_NS8_8equal_toIS6_EEEE10hipError_tPvRmT2_T3_mT4_T5_T6_T7_T8_P12ihipStream_tbENKUlT_T0_E_clISt17integral_constantIbLb1EES15_EEDaS10_S11_EUlS10_E_NS1_11comp_targetILNS1_3genE2ELNS1_11target_archE906ELNS1_3gpuE6ELNS1_3repE0EEENS1_30default_config_static_selectorELNS0_4arch9wavefront6targetE1EEEvT1_.private_seg_size, 0
	.set _ZN7rocprim17ROCPRIM_400000_NS6detail17trampoline_kernelINS0_14default_configENS1_29reduce_by_key_config_selectorIN3c108BFloat16ElN6thrust23THRUST_200600_302600_NS4plusIlEEEEZZNS1_33reduce_by_key_impl_wrapped_configILNS1_25lookback_scan_determinismE0ES3_SB_PS6_NS8_17constant_iteratorIiNS8_11use_defaultESG_EENS8_10device_ptrIS6_EENSI_IlEEPmSA_NS8_8equal_toIS6_EEEE10hipError_tPvRmT2_T3_mT4_T5_T6_T7_T8_P12ihipStream_tbENKUlT_T0_E_clISt17integral_constantIbLb1EES15_EEDaS10_S11_EUlS10_E_NS1_11comp_targetILNS1_3genE2ELNS1_11target_archE906ELNS1_3gpuE6ELNS1_3repE0EEENS1_30default_config_static_selectorELNS0_4arch9wavefront6targetE1EEEvT1_.uses_vcc, 0
	.set _ZN7rocprim17ROCPRIM_400000_NS6detail17trampoline_kernelINS0_14default_configENS1_29reduce_by_key_config_selectorIN3c108BFloat16ElN6thrust23THRUST_200600_302600_NS4plusIlEEEEZZNS1_33reduce_by_key_impl_wrapped_configILNS1_25lookback_scan_determinismE0ES3_SB_PS6_NS8_17constant_iteratorIiNS8_11use_defaultESG_EENS8_10device_ptrIS6_EENSI_IlEEPmSA_NS8_8equal_toIS6_EEEE10hipError_tPvRmT2_T3_mT4_T5_T6_T7_T8_P12ihipStream_tbENKUlT_T0_E_clISt17integral_constantIbLb1EES15_EEDaS10_S11_EUlS10_E_NS1_11comp_targetILNS1_3genE2ELNS1_11target_archE906ELNS1_3gpuE6ELNS1_3repE0EEENS1_30default_config_static_selectorELNS0_4arch9wavefront6targetE1EEEvT1_.uses_flat_scratch, 0
	.set _ZN7rocprim17ROCPRIM_400000_NS6detail17trampoline_kernelINS0_14default_configENS1_29reduce_by_key_config_selectorIN3c108BFloat16ElN6thrust23THRUST_200600_302600_NS4plusIlEEEEZZNS1_33reduce_by_key_impl_wrapped_configILNS1_25lookback_scan_determinismE0ES3_SB_PS6_NS8_17constant_iteratorIiNS8_11use_defaultESG_EENS8_10device_ptrIS6_EENSI_IlEEPmSA_NS8_8equal_toIS6_EEEE10hipError_tPvRmT2_T3_mT4_T5_T6_T7_T8_P12ihipStream_tbENKUlT_T0_E_clISt17integral_constantIbLb1EES15_EEDaS10_S11_EUlS10_E_NS1_11comp_targetILNS1_3genE2ELNS1_11target_archE906ELNS1_3gpuE6ELNS1_3repE0EEENS1_30default_config_static_selectorELNS0_4arch9wavefront6targetE1EEEvT1_.has_dyn_sized_stack, 0
	.set _ZN7rocprim17ROCPRIM_400000_NS6detail17trampoline_kernelINS0_14default_configENS1_29reduce_by_key_config_selectorIN3c108BFloat16ElN6thrust23THRUST_200600_302600_NS4plusIlEEEEZZNS1_33reduce_by_key_impl_wrapped_configILNS1_25lookback_scan_determinismE0ES3_SB_PS6_NS8_17constant_iteratorIiNS8_11use_defaultESG_EENS8_10device_ptrIS6_EENSI_IlEEPmSA_NS8_8equal_toIS6_EEEE10hipError_tPvRmT2_T3_mT4_T5_T6_T7_T8_P12ihipStream_tbENKUlT_T0_E_clISt17integral_constantIbLb1EES15_EEDaS10_S11_EUlS10_E_NS1_11comp_targetILNS1_3genE2ELNS1_11target_archE906ELNS1_3gpuE6ELNS1_3repE0EEENS1_30default_config_static_selectorELNS0_4arch9wavefront6targetE1EEEvT1_.has_recursion, 0
	.set _ZN7rocprim17ROCPRIM_400000_NS6detail17trampoline_kernelINS0_14default_configENS1_29reduce_by_key_config_selectorIN3c108BFloat16ElN6thrust23THRUST_200600_302600_NS4plusIlEEEEZZNS1_33reduce_by_key_impl_wrapped_configILNS1_25lookback_scan_determinismE0ES3_SB_PS6_NS8_17constant_iteratorIiNS8_11use_defaultESG_EENS8_10device_ptrIS6_EENSI_IlEEPmSA_NS8_8equal_toIS6_EEEE10hipError_tPvRmT2_T3_mT4_T5_T6_T7_T8_P12ihipStream_tbENKUlT_T0_E_clISt17integral_constantIbLb1EES15_EEDaS10_S11_EUlS10_E_NS1_11comp_targetILNS1_3genE2ELNS1_11target_archE906ELNS1_3gpuE6ELNS1_3repE0EEENS1_30default_config_static_selectorELNS0_4arch9wavefront6targetE1EEEvT1_.has_indirect_call, 0
	.section	.AMDGPU.csdata,"",@progbits
; Kernel info:
; codeLenInByte = 4
; TotalNumSgprs: 4
; NumVgprs: 0
; ScratchSize: 0
; MemoryBound: 0
; FloatMode: 240
; IeeeMode: 1
; LDSByteSize: 0 bytes/workgroup (compile time only)
; SGPRBlocks: 0
; VGPRBlocks: 0
; NumSGPRsForWavesPerEU: 4
; NumVGPRsForWavesPerEU: 1
; Occupancy: 10
; WaveLimiterHint : 0
; COMPUTE_PGM_RSRC2:SCRATCH_EN: 0
; COMPUTE_PGM_RSRC2:USER_SGPR: 6
; COMPUTE_PGM_RSRC2:TRAP_HANDLER: 0
; COMPUTE_PGM_RSRC2:TGID_X_EN: 1
; COMPUTE_PGM_RSRC2:TGID_Y_EN: 0
; COMPUTE_PGM_RSRC2:TGID_Z_EN: 0
; COMPUTE_PGM_RSRC2:TIDIG_COMP_CNT: 0
	.section	.text._ZN7rocprim17ROCPRIM_400000_NS6detail17trampoline_kernelINS0_14default_configENS1_29reduce_by_key_config_selectorIN3c108BFloat16ElN6thrust23THRUST_200600_302600_NS4plusIlEEEEZZNS1_33reduce_by_key_impl_wrapped_configILNS1_25lookback_scan_determinismE0ES3_SB_PS6_NS8_17constant_iteratorIiNS8_11use_defaultESG_EENS8_10device_ptrIS6_EENSI_IlEEPmSA_NS8_8equal_toIS6_EEEE10hipError_tPvRmT2_T3_mT4_T5_T6_T7_T8_P12ihipStream_tbENKUlT_T0_E_clISt17integral_constantIbLb1EES15_EEDaS10_S11_EUlS10_E_NS1_11comp_targetILNS1_3genE10ELNS1_11target_archE1201ELNS1_3gpuE5ELNS1_3repE0EEENS1_30default_config_static_selectorELNS0_4arch9wavefront6targetE1EEEvT1_,"axG",@progbits,_ZN7rocprim17ROCPRIM_400000_NS6detail17trampoline_kernelINS0_14default_configENS1_29reduce_by_key_config_selectorIN3c108BFloat16ElN6thrust23THRUST_200600_302600_NS4plusIlEEEEZZNS1_33reduce_by_key_impl_wrapped_configILNS1_25lookback_scan_determinismE0ES3_SB_PS6_NS8_17constant_iteratorIiNS8_11use_defaultESG_EENS8_10device_ptrIS6_EENSI_IlEEPmSA_NS8_8equal_toIS6_EEEE10hipError_tPvRmT2_T3_mT4_T5_T6_T7_T8_P12ihipStream_tbENKUlT_T0_E_clISt17integral_constantIbLb1EES15_EEDaS10_S11_EUlS10_E_NS1_11comp_targetILNS1_3genE10ELNS1_11target_archE1201ELNS1_3gpuE5ELNS1_3repE0EEENS1_30default_config_static_selectorELNS0_4arch9wavefront6targetE1EEEvT1_,comdat
	.protected	_ZN7rocprim17ROCPRIM_400000_NS6detail17trampoline_kernelINS0_14default_configENS1_29reduce_by_key_config_selectorIN3c108BFloat16ElN6thrust23THRUST_200600_302600_NS4plusIlEEEEZZNS1_33reduce_by_key_impl_wrapped_configILNS1_25lookback_scan_determinismE0ES3_SB_PS6_NS8_17constant_iteratorIiNS8_11use_defaultESG_EENS8_10device_ptrIS6_EENSI_IlEEPmSA_NS8_8equal_toIS6_EEEE10hipError_tPvRmT2_T3_mT4_T5_T6_T7_T8_P12ihipStream_tbENKUlT_T0_E_clISt17integral_constantIbLb1EES15_EEDaS10_S11_EUlS10_E_NS1_11comp_targetILNS1_3genE10ELNS1_11target_archE1201ELNS1_3gpuE5ELNS1_3repE0EEENS1_30default_config_static_selectorELNS0_4arch9wavefront6targetE1EEEvT1_ ; -- Begin function _ZN7rocprim17ROCPRIM_400000_NS6detail17trampoline_kernelINS0_14default_configENS1_29reduce_by_key_config_selectorIN3c108BFloat16ElN6thrust23THRUST_200600_302600_NS4plusIlEEEEZZNS1_33reduce_by_key_impl_wrapped_configILNS1_25lookback_scan_determinismE0ES3_SB_PS6_NS8_17constant_iteratorIiNS8_11use_defaultESG_EENS8_10device_ptrIS6_EENSI_IlEEPmSA_NS8_8equal_toIS6_EEEE10hipError_tPvRmT2_T3_mT4_T5_T6_T7_T8_P12ihipStream_tbENKUlT_T0_E_clISt17integral_constantIbLb1EES15_EEDaS10_S11_EUlS10_E_NS1_11comp_targetILNS1_3genE10ELNS1_11target_archE1201ELNS1_3gpuE5ELNS1_3repE0EEENS1_30default_config_static_selectorELNS0_4arch9wavefront6targetE1EEEvT1_
	.globl	_ZN7rocprim17ROCPRIM_400000_NS6detail17trampoline_kernelINS0_14default_configENS1_29reduce_by_key_config_selectorIN3c108BFloat16ElN6thrust23THRUST_200600_302600_NS4plusIlEEEEZZNS1_33reduce_by_key_impl_wrapped_configILNS1_25lookback_scan_determinismE0ES3_SB_PS6_NS8_17constant_iteratorIiNS8_11use_defaultESG_EENS8_10device_ptrIS6_EENSI_IlEEPmSA_NS8_8equal_toIS6_EEEE10hipError_tPvRmT2_T3_mT4_T5_T6_T7_T8_P12ihipStream_tbENKUlT_T0_E_clISt17integral_constantIbLb1EES15_EEDaS10_S11_EUlS10_E_NS1_11comp_targetILNS1_3genE10ELNS1_11target_archE1201ELNS1_3gpuE5ELNS1_3repE0EEENS1_30default_config_static_selectorELNS0_4arch9wavefront6targetE1EEEvT1_
	.p2align	8
	.type	_ZN7rocprim17ROCPRIM_400000_NS6detail17trampoline_kernelINS0_14default_configENS1_29reduce_by_key_config_selectorIN3c108BFloat16ElN6thrust23THRUST_200600_302600_NS4plusIlEEEEZZNS1_33reduce_by_key_impl_wrapped_configILNS1_25lookback_scan_determinismE0ES3_SB_PS6_NS8_17constant_iteratorIiNS8_11use_defaultESG_EENS8_10device_ptrIS6_EENSI_IlEEPmSA_NS8_8equal_toIS6_EEEE10hipError_tPvRmT2_T3_mT4_T5_T6_T7_T8_P12ihipStream_tbENKUlT_T0_E_clISt17integral_constantIbLb1EES15_EEDaS10_S11_EUlS10_E_NS1_11comp_targetILNS1_3genE10ELNS1_11target_archE1201ELNS1_3gpuE5ELNS1_3repE0EEENS1_30default_config_static_selectorELNS0_4arch9wavefront6targetE1EEEvT1_,@function
_ZN7rocprim17ROCPRIM_400000_NS6detail17trampoline_kernelINS0_14default_configENS1_29reduce_by_key_config_selectorIN3c108BFloat16ElN6thrust23THRUST_200600_302600_NS4plusIlEEEEZZNS1_33reduce_by_key_impl_wrapped_configILNS1_25lookback_scan_determinismE0ES3_SB_PS6_NS8_17constant_iteratorIiNS8_11use_defaultESG_EENS8_10device_ptrIS6_EENSI_IlEEPmSA_NS8_8equal_toIS6_EEEE10hipError_tPvRmT2_T3_mT4_T5_T6_T7_T8_P12ihipStream_tbENKUlT_T0_E_clISt17integral_constantIbLb1EES15_EEDaS10_S11_EUlS10_E_NS1_11comp_targetILNS1_3genE10ELNS1_11target_archE1201ELNS1_3gpuE5ELNS1_3repE0EEENS1_30default_config_static_selectorELNS0_4arch9wavefront6targetE1EEEvT1_: ; @_ZN7rocprim17ROCPRIM_400000_NS6detail17trampoline_kernelINS0_14default_configENS1_29reduce_by_key_config_selectorIN3c108BFloat16ElN6thrust23THRUST_200600_302600_NS4plusIlEEEEZZNS1_33reduce_by_key_impl_wrapped_configILNS1_25lookback_scan_determinismE0ES3_SB_PS6_NS8_17constant_iteratorIiNS8_11use_defaultESG_EENS8_10device_ptrIS6_EENSI_IlEEPmSA_NS8_8equal_toIS6_EEEE10hipError_tPvRmT2_T3_mT4_T5_T6_T7_T8_P12ihipStream_tbENKUlT_T0_E_clISt17integral_constantIbLb1EES15_EEDaS10_S11_EUlS10_E_NS1_11comp_targetILNS1_3genE10ELNS1_11target_archE1201ELNS1_3gpuE5ELNS1_3repE0EEENS1_30default_config_static_selectorELNS0_4arch9wavefront6targetE1EEEvT1_
; %bb.0:
	.section	.rodata,"a",@progbits
	.p2align	6, 0x0
	.amdhsa_kernel _ZN7rocprim17ROCPRIM_400000_NS6detail17trampoline_kernelINS0_14default_configENS1_29reduce_by_key_config_selectorIN3c108BFloat16ElN6thrust23THRUST_200600_302600_NS4plusIlEEEEZZNS1_33reduce_by_key_impl_wrapped_configILNS1_25lookback_scan_determinismE0ES3_SB_PS6_NS8_17constant_iteratorIiNS8_11use_defaultESG_EENS8_10device_ptrIS6_EENSI_IlEEPmSA_NS8_8equal_toIS6_EEEE10hipError_tPvRmT2_T3_mT4_T5_T6_T7_T8_P12ihipStream_tbENKUlT_T0_E_clISt17integral_constantIbLb1EES15_EEDaS10_S11_EUlS10_E_NS1_11comp_targetILNS1_3genE10ELNS1_11target_archE1201ELNS1_3gpuE5ELNS1_3repE0EEENS1_30default_config_static_selectorELNS0_4arch9wavefront6targetE1EEEvT1_
		.amdhsa_group_segment_fixed_size 0
		.amdhsa_private_segment_fixed_size 0
		.amdhsa_kernarg_size 144
		.amdhsa_user_sgpr_count 6
		.amdhsa_user_sgpr_private_segment_buffer 1
		.amdhsa_user_sgpr_dispatch_ptr 0
		.amdhsa_user_sgpr_queue_ptr 0
		.amdhsa_user_sgpr_kernarg_segment_ptr 1
		.amdhsa_user_sgpr_dispatch_id 0
		.amdhsa_user_sgpr_flat_scratch_init 0
		.amdhsa_user_sgpr_private_segment_size 0
		.amdhsa_uses_dynamic_stack 0
		.amdhsa_system_sgpr_private_segment_wavefront_offset 0
		.amdhsa_system_sgpr_workgroup_id_x 1
		.amdhsa_system_sgpr_workgroup_id_y 0
		.amdhsa_system_sgpr_workgroup_id_z 0
		.amdhsa_system_sgpr_workgroup_info 0
		.amdhsa_system_vgpr_workitem_id 0
		.amdhsa_next_free_vgpr 1
		.amdhsa_next_free_sgpr 0
		.amdhsa_reserve_vcc 0
		.amdhsa_reserve_flat_scratch 0
		.amdhsa_float_round_mode_32 0
		.amdhsa_float_round_mode_16_64 0
		.amdhsa_float_denorm_mode_32 3
		.amdhsa_float_denorm_mode_16_64 3
		.amdhsa_dx10_clamp 1
		.amdhsa_ieee_mode 1
		.amdhsa_fp16_overflow 0
		.amdhsa_exception_fp_ieee_invalid_op 0
		.amdhsa_exception_fp_denorm_src 0
		.amdhsa_exception_fp_ieee_div_zero 0
		.amdhsa_exception_fp_ieee_overflow 0
		.amdhsa_exception_fp_ieee_underflow 0
		.amdhsa_exception_fp_ieee_inexact 0
		.amdhsa_exception_int_div_zero 0
	.end_amdhsa_kernel
	.section	.text._ZN7rocprim17ROCPRIM_400000_NS6detail17trampoline_kernelINS0_14default_configENS1_29reduce_by_key_config_selectorIN3c108BFloat16ElN6thrust23THRUST_200600_302600_NS4plusIlEEEEZZNS1_33reduce_by_key_impl_wrapped_configILNS1_25lookback_scan_determinismE0ES3_SB_PS6_NS8_17constant_iteratorIiNS8_11use_defaultESG_EENS8_10device_ptrIS6_EENSI_IlEEPmSA_NS8_8equal_toIS6_EEEE10hipError_tPvRmT2_T3_mT4_T5_T6_T7_T8_P12ihipStream_tbENKUlT_T0_E_clISt17integral_constantIbLb1EES15_EEDaS10_S11_EUlS10_E_NS1_11comp_targetILNS1_3genE10ELNS1_11target_archE1201ELNS1_3gpuE5ELNS1_3repE0EEENS1_30default_config_static_selectorELNS0_4arch9wavefront6targetE1EEEvT1_,"axG",@progbits,_ZN7rocprim17ROCPRIM_400000_NS6detail17trampoline_kernelINS0_14default_configENS1_29reduce_by_key_config_selectorIN3c108BFloat16ElN6thrust23THRUST_200600_302600_NS4plusIlEEEEZZNS1_33reduce_by_key_impl_wrapped_configILNS1_25lookback_scan_determinismE0ES3_SB_PS6_NS8_17constant_iteratorIiNS8_11use_defaultESG_EENS8_10device_ptrIS6_EENSI_IlEEPmSA_NS8_8equal_toIS6_EEEE10hipError_tPvRmT2_T3_mT4_T5_T6_T7_T8_P12ihipStream_tbENKUlT_T0_E_clISt17integral_constantIbLb1EES15_EEDaS10_S11_EUlS10_E_NS1_11comp_targetILNS1_3genE10ELNS1_11target_archE1201ELNS1_3gpuE5ELNS1_3repE0EEENS1_30default_config_static_selectorELNS0_4arch9wavefront6targetE1EEEvT1_,comdat
.Lfunc_end2066:
	.size	_ZN7rocprim17ROCPRIM_400000_NS6detail17trampoline_kernelINS0_14default_configENS1_29reduce_by_key_config_selectorIN3c108BFloat16ElN6thrust23THRUST_200600_302600_NS4plusIlEEEEZZNS1_33reduce_by_key_impl_wrapped_configILNS1_25lookback_scan_determinismE0ES3_SB_PS6_NS8_17constant_iteratorIiNS8_11use_defaultESG_EENS8_10device_ptrIS6_EENSI_IlEEPmSA_NS8_8equal_toIS6_EEEE10hipError_tPvRmT2_T3_mT4_T5_T6_T7_T8_P12ihipStream_tbENKUlT_T0_E_clISt17integral_constantIbLb1EES15_EEDaS10_S11_EUlS10_E_NS1_11comp_targetILNS1_3genE10ELNS1_11target_archE1201ELNS1_3gpuE5ELNS1_3repE0EEENS1_30default_config_static_selectorELNS0_4arch9wavefront6targetE1EEEvT1_, .Lfunc_end2066-_ZN7rocprim17ROCPRIM_400000_NS6detail17trampoline_kernelINS0_14default_configENS1_29reduce_by_key_config_selectorIN3c108BFloat16ElN6thrust23THRUST_200600_302600_NS4plusIlEEEEZZNS1_33reduce_by_key_impl_wrapped_configILNS1_25lookback_scan_determinismE0ES3_SB_PS6_NS8_17constant_iteratorIiNS8_11use_defaultESG_EENS8_10device_ptrIS6_EENSI_IlEEPmSA_NS8_8equal_toIS6_EEEE10hipError_tPvRmT2_T3_mT4_T5_T6_T7_T8_P12ihipStream_tbENKUlT_T0_E_clISt17integral_constantIbLb1EES15_EEDaS10_S11_EUlS10_E_NS1_11comp_targetILNS1_3genE10ELNS1_11target_archE1201ELNS1_3gpuE5ELNS1_3repE0EEENS1_30default_config_static_selectorELNS0_4arch9wavefront6targetE1EEEvT1_
                                        ; -- End function
	.set _ZN7rocprim17ROCPRIM_400000_NS6detail17trampoline_kernelINS0_14default_configENS1_29reduce_by_key_config_selectorIN3c108BFloat16ElN6thrust23THRUST_200600_302600_NS4plusIlEEEEZZNS1_33reduce_by_key_impl_wrapped_configILNS1_25lookback_scan_determinismE0ES3_SB_PS6_NS8_17constant_iteratorIiNS8_11use_defaultESG_EENS8_10device_ptrIS6_EENSI_IlEEPmSA_NS8_8equal_toIS6_EEEE10hipError_tPvRmT2_T3_mT4_T5_T6_T7_T8_P12ihipStream_tbENKUlT_T0_E_clISt17integral_constantIbLb1EES15_EEDaS10_S11_EUlS10_E_NS1_11comp_targetILNS1_3genE10ELNS1_11target_archE1201ELNS1_3gpuE5ELNS1_3repE0EEENS1_30default_config_static_selectorELNS0_4arch9wavefront6targetE1EEEvT1_.num_vgpr, 0
	.set _ZN7rocprim17ROCPRIM_400000_NS6detail17trampoline_kernelINS0_14default_configENS1_29reduce_by_key_config_selectorIN3c108BFloat16ElN6thrust23THRUST_200600_302600_NS4plusIlEEEEZZNS1_33reduce_by_key_impl_wrapped_configILNS1_25lookback_scan_determinismE0ES3_SB_PS6_NS8_17constant_iteratorIiNS8_11use_defaultESG_EENS8_10device_ptrIS6_EENSI_IlEEPmSA_NS8_8equal_toIS6_EEEE10hipError_tPvRmT2_T3_mT4_T5_T6_T7_T8_P12ihipStream_tbENKUlT_T0_E_clISt17integral_constantIbLb1EES15_EEDaS10_S11_EUlS10_E_NS1_11comp_targetILNS1_3genE10ELNS1_11target_archE1201ELNS1_3gpuE5ELNS1_3repE0EEENS1_30default_config_static_selectorELNS0_4arch9wavefront6targetE1EEEvT1_.num_agpr, 0
	.set _ZN7rocprim17ROCPRIM_400000_NS6detail17trampoline_kernelINS0_14default_configENS1_29reduce_by_key_config_selectorIN3c108BFloat16ElN6thrust23THRUST_200600_302600_NS4plusIlEEEEZZNS1_33reduce_by_key_impl_wrapped_configILNS1_25lookback_scan_determinismE0ES3_SB_PS6_NS8_17constant_iteratorIiNS8_11use_defaultESG_EENS8_10device_ptrIS6_EENSI_IlEEPmSA_NS8_8equal_toIS6_EEEE10hipError_tPvRmT2_T3_mT4_T5_T6_T7_T8_P12ihipStream_tbENKUlT_T0_E_clISt17integral_constantIbLb1EES15_EEDaS10_S11_EUlS10_E_NS1_11comp_targetILNS1_3genE10ELNS1_11target_archE1201ELNS1_3gpuE5ELNS1_3repE0EEENS1_30default_config_static_selectorELNS0_4arch9wavefront6targetE1EEEvT1_.numbered_sgpr, 0
	.set _ZN7rocprim17ROCPRIM_400000_NS6detail17trampoline_kernelINS0_14default_configENS1_29reduce_by_key_config_selectorIN3c108BFloat16ElN6thrust23THRUST_200600_302600_NS4plusIlEEEEZZNS1_33reduce_by_key_impl_wrapped_configILNS1_25lookback_scan_determinismE0ES3_SB_PS6_NS8_17constant_iteratorIiNS8_11use_defaultESG_EENS8_10device_ptrIS6_EENSI_IlEEPmSA_NS8_8equal_toIS6_EEEE10hipError_tPvRmT2_T3_mT4_T5_T6_T7_T8_P12ihipStream_tbENKUlT_T0_E_clISt17integral_constantIbLb1EES15_EEDaS10_S11_EUlS10_E_NS1_11comp_targetILNS1_3genE10ELNS1_11target_archE1201ELNS1_3gpuE5ELNS1_3repE0EEENS1_30default_config_static_selectorELNS0_4arch9wavefront6targetE1EEEvT1_.num_named_barrier, 0
	.set _ZN7rocprim17ROCPRIM_400000_NS6detail17trampoline_kernelINS0_14default_configENS1_29reduce_by_key_config_selectorIN3c108BFloat16ElN6thrust23THRUST_200600_302600_NS4plusIlEEEEZZNS1_33reduce_by_key_impl_wrapped_configILNS1_25lookback_scan_determinismE0ES3_SB_PS6_NS8_17constant_iteratorIiNS8_11use_defaultESG_EENS8_10device_ptrIS6_EENSI_IlEEPmSA_NS8_8equal_toIS6_EEEE10hipError_tPvRmT2_T3_mT4_T5_T6_T7_T8_P12ihipStream_tbENKUlT_T0_E_clISt17integral_constantIbLb1EES15_EEDaS10_S11_EUlS10_E_NS1_11comp_targetILNS1_3genE10ELNS1_11target_archE1201ELNS1_3gpuE5ELNS1_3repE0EEENS1_30default_config_static_selectorELNS0_4arch9wavefront6targetE1EEEvT1_.private_seg_size, 0
	.set _ZN7rocprim17ROCPRIM_400000_NS6detail17trampoline_kernelINS0_14default_configENS1_29reduce_by_key_config_selectorIN3c108BFloat16ElN6thrust23THRUST_200600_302600_NS4plusIlEEEEZZNS1_33reduce_by_key_impl_wrapped_configILNS1_25lookback_scan_determinismE0ES3_SB_PS6_NS8_17constant_iteratorIiNS8_11use_defaultESG_EENS8_10device_ptrIS6_EENSI_IlEEPmSA_NS8_8equal_toIS6_EEEE10hipError_tPvRmT2_T3_mT4_T5_T6_T7_T8_P12ihipStream_tbENKUlT_T0_E_clISt17integral_constantIbLb1EES15_EEDaS10_S11_EUlS10_E_NS1_11comp_targetILNS1_3genE10ELNS1_11target_archE1201ELNS1_3gpuE5ELNS1_3repE0EEENS1_30default_config_static_selectorELNS0_4arch9wavefront6targetE1EEEvT1_.uses_vcc, 0
	.set _ZN7rocprim17ROCPRIM_400000_NS6detail17trampoline_kernelINS0_14default_configENS1_29reduce_by_key_config_selectorIN3c108BFloat16ElN6thrust23THRUST_200600_302600_NS4plusIlEEEEZZNS1_33reduce_by_key_impl_wrapped_configILNS1_25lookback_scan_determinismE0ES3_SB_PS6_NS8_17constant_iteratorIiNS8_11use_defaultESG_EENS8_10device_ptrIS6_EENSI_IlEEPmSA_NS8_8equal_toIS6_EEEE10hipError_tPvRmT2_T3_mT4_T5_T6_T7_T8_P12ihipStream_tbENKUlT_T0_E_clISt17integral_constantIbLb1EES15_EEDaS10_S11_EUlS10_E_NS1_11comp_targetILNS1_3genE10ELNS1_11target_archE1201ELNS1_3gpuE5ELNS1_3repE0EEENS1_30default_config_static_selectorELNS0_4arch9wavefront6targetE1EEEvT1_.uses_flat_scratch, 0
	.set _ZN7rocprim17ROCPRIM_400000_NS6detail17trampoline_kernelINS0_14default_configENS1_29reduce_by_key_config_selectorIN3c108BFloat16ElN6thrust23THRUST_200600_302600_NS4plusIlEEEEZZNS1_33reduce_by_key_impl_wrapped_configILNS1_25lookback_scan_determinismE0ES3_SB_PS6_NS8_17constant_iteratorIiNS8_11use_defaultESG_EENS8_10device_ptrIS6_EENSI_IlEEPmSA_NS8_8equal_toIS6_EEEE10hipError_tPvRmT2_T3_mT4_T5_T6_T7_T8_P12ihipStream_tbENKUlT_T0_E_clISt17integral_constantIbLb1EES15_EEDaS10_S11_EUlS10_E_NS1_11comp_targetILNS1_3genE10ELNS1_11target_archE1201ELNS1_3gpuE5ELNS1_3repE0EEENS1_30default_config_static_selectorELNS0_4arch9wavefront6targetE1EEEvT1_.has_dyn_sized_stack, 0
	.set _ZN7rocprim17ROCPRIM_400000_NS6detail17trampoline_kernelINS0_14default_configENS1_29reduce_by_key_config_selectorIN3c108BFloat16ElN6thrust23THRUST_200600_302600_NS4plusIlEEEEZZNS1_33reduce_by_key_impl_wrapped_configILNS1_25lookback_scan_determinismE0ES3_SB_PS6_NS8_17constant_iteratorIiNS8_11use_defaultESG_EENS8_10device_ptrIS6_EENSI_IlEEPmSA_NS8_8equal_toIS6_EEEE10hipError_tPvRmT2_T3_mT4_T5_T6_T7_T8_P12ihipStream_tbENKUlT_T0_E_clISt17integral_constantIbLb1EES15_EEDaS10_S11_EUlS10_E_NS1_11comp_targetILNS1_3genE10ELNS1_11target_archE1201ELNS1_3gpuE5ELNS1_3repE0EEENS1_30default_config_static_selectorELNS0_4arch9wavefront6targetE1EEEvT1_.has_recursion, 0
	.set _ZN7rocprim17ROCPRIM_400000_NS6detail17trampoline_kernelINS0_14default_configENS1_29reduce_by_key_config_selectorIN3c108BFloat16ElN6thrust23THRUST_200600_302600_NS4plusIlEEEEZZNS1_33reduce_by_key_impl_wrapped_configILNS1_25lookback_scan_determinismE0ES3_SB_PS6_NS8_17constant_iteratorIiNS8_11use_defaultESG_EENS8_10device_ptrIS6_EENSI_IlEEPmSA_NS8_8equal_toIS6_EEEE10hipError_tPvRmT2_T3_mT4_T5_T6_T7_T8_P12ihipStream_tbENKUlT_T0_E_clISt17integral_constantIbLb1EES15_EEDaS10_S11_EUlS10_E_NS1_11comp_targetILNS1_3genE10ELNS1_11target_archE1201ELNS1_3gpuE5ELNS1_3repE0EEENS1_30default_config_static_selectorELNS0_4arch9wavefront6targetE1EEEvT1_.has_indirect_call, 0
	.section	.AMDGPU.csdata,"",@progbits
; Kernel info:
; codeLenInByte = 0
; TotalNumSgprs: 4
; NumVgprs: 0
; ScratchSize: 0
; MemoryBound: 0
; FloatMode: 240
; IeeeMode: 1
; LDSByteSize: 0 bytes/workgroup (compile time only)
; SGPRBlocks: 0
; VGPRBlocks: 0
; NumSGPRsForWavesPerEU: 4
; NumVGPRsForWavesPerEU: 1
; Occupancy: 10
; WaveLimiterHint : 0
; COMPUTE_PGM_RSRC2:SCRATCH_EN: 0
; COMPUTE_PGM_RSRC2:USER_SGPR: 6
; COMPUTE_PGM_RSRC2:TRAP_HANDLER: 0
; COMPUTE_PGM_RSRC2:TGID_X_EN: 1
; COMPUTE_PGM_RSRC2:TGID_Y_EN: 0
; COMPUTE_PGM_RSRC2:TGID_Z_EN: 0
; COMPUTE_PGM_RSRC2:TIDIG_COMP_CNT: 0
	.section	.text._ZN7rocprim17ROCPRIM_400000_NS6detail17trampoline_kernelINS0_14default_configENS1_29reduce_by_key_config_selectorIN3c108BFloat16ElN6thrust23THRUST_200600_302600_NS4plusIlEEEEZZNS1_33reduce_by_key_impl_wrapped_configILNS1_25lookback_scan_determinismE0ES3_SB_PS6_NS8_17constant_iteratorIiNS8_11use_defaultESG_EENS8_10device_ptrIS6_EENSI_IlEEPmSA_NS8_8equal_toIS6_EEEE10hipError_tPvRmT2_T3_mT4_T5_T6_T7_T8_P12ihipStream_tbENKUlT_T0_E_clISt17integral_constantIbLb1EES15_EEDaS10_S11_EUlS10_E_NS1_11comp_targetILNS1_3genE10ELNS1_11target_archE1200ELNS1_3gpuE4ELNS1_3repE0EEENS1_30default_config_static_selectorELNS0_4arch9wavefront6targetE1EEEvT1_,"axG",@progbits,_ZN7rocprim17ROCPRIM_400000_NS6detail17trampoline_kernelINS0_14default_configENS1_29reduce_by_key_config_selectorIN3c108BFloat16ElN6thrust23THRUST_200600_302600_NS4plusIlEEEEZZNS1_33reduce_by_key_impl_wrapped_configILNS1_25lookback_scan_determinismE0ES3_SB_PS6_NS8_17constant_iteratorIiNS8_11use_defaultESG_EENS8_10device_ptrIS6_EENSI_IlEEPmSA_NS8_8equal_toIS6_EEEE10hipError_tPvRmT2_T3_mT4_T5_T6_T7_T8_P12ihipStream_tbENKUlT_T0_E_clISt17integral_constantIbLb1EES15_EEDaS10_S11_EUlS10_E_NS1_11comp_targetILNS1_3genE10ELNS1_11target_archE1200ELNS1_3gpuE4ELNS1_3repE0EEENS1_30default_config_static_selectorELNS0_4arch9wavefront6targetE1EEEvT1_,comdat
	.protected	_ZN7rocprim17ROCPRIM_400000_NS6detail17trampoline_kernelINS0_14default_configENS1_29reduce_by_key_config_selectorIN3c108BFloat16ElN6thrust23THRUST_200600_302600_NS4plusIlEEEEZZNS1_33reduce_by_key_impl_wrapped_configILNS1_25lookback_scan_determinismE0ES3_SB_PS6_NS8_17constant_iteratorIiNS8_11use_defaultESG_EENS8_10device_ptrIS6_EENSI_IlEEPmSA_NS8_8equal_toIS6_EEEE10hipError_tPvRmT2_T3_mT4_T5_T6_T7_T8_P12ihipStream_tbENKUlT_T0_E_clISt17integral_constantIbLb1EES15_EEDaS10_S11_EUlS10_E_NS1_11comp_targetILNS1_3genE10ELNS1_11target_archE1200ELNS1_3gpuE4ELNS1_3repE0EEENS1_30default_config_static_selectorELNS0_4arch9wavefront6targetE1EEEvT1_ ; -- Begin function _ZN7rocprim17ROCPRIM_400000_NS6detail17trampoline_kernelINS0_14default_configENS1_29reduce_by_key_config_selectorIN3c108BFloat16ElN6thrust23THRUST_200600_302600_NS4plusIlEEEEZZNS1_33reduce_by_key_impl_wrapped_configILNS1_25lookback_scan_determinismE0ES3_SB_PS6_NS8_17constant_iteratorIiNS8_11use_defaultESG_EENS8_10device_ptrIS6_EENSI_IlEEPmSA_NS8_8equal_toIS6_EEEE10hipError_tPvRmT2_T3_mT4_T5_T6_T7_T8_P12ihipStream_tbENKUlT_T0_E_clISt17integral_constantIbLb1EES15_EEDaS10_S11_EUlS10_E_NS1_11comp_targetILNS1_3genE10ELNS1_11target_archE1200ELNS1_3gpuE4ELNS1_3repE0EEENS1_30default_config_static_selectorELNS0_4arch9wavefront6targetE1EEEvT1_
	.globl	_ZN7rocprim17ROCPRIM_400000_NS6detail17trampoline_kernelINS0_14default_configENS1_29reduce_by_key_config_selectorIN3c108BFloat16ElN6thrust23THRUST_200600_302600_NS4plusIlEEEEZZNS1_33reduce_by_key_impl_wrapped_configILNS1_25lookback_scan_determinismE0ES3_SB_PS6_NS8_17constant_iteratorIiNS8_11use_defaultESG_EENS8_10device_ptrIS6_EENSI_IlEEPmSA_NS8_8equal_toIS6_EEEE10hipError_tPvRmT2_T3_mT4_T5_T6_T7_T8_P12ihipStream_tbENKUlT_T0_E_clISt17integral_constantIbLb1EES15_EEDaS10_S11_EUlS10_E_NS1_11comp_targetILNS1_3genE10ELNS1_11target_archE1200ELNS1_3gpuE4ELNS1_3repE0EEENS1_30default_config_static_selectorELNS0_4arch9wavefront6targetE1EEEvT1_
	.p2align	8
	.type	_ZN7rocprim17ROCPRIM_400000_NS6detail17trampoline_kernelINS0_14default_configENS1_29reduce_by_key_config_selectorIN3c108BFloat16ElN6thrust23THRUST_200600_302600_NS4plusIlEEEEZZNS1_33reduce_by_key_impl_wrapped_configILNS1_25lookback_scan_determinismE0ES3_SB_PS6_NS8_17constant_iteratorIiNS8_11use_defaultESG_EENS8_10device_ptrIS6_EENSI_IlEEPmSA_NS8_8equal_toIS6_EEEE10hipError_tPvRmT2_T3_mT4_T5_T6_T7_T8_P12ihipStream_tbENKUlT_T0_E_clISt17integral_constantIbLb1EES15_EEDaS10_S11_EUlS10_E_NS1_11comp_targetILNS1_3genE10ELNS1_11target_archE1200ELNS1_3gpuE4ELNS1_3repE0EEENS1_30default_config_static_selectorELNS0_4arch9wavefront6targetE1EEEvT1_,@function
_ZN7rocprim17ROCPRIM_400000_NS6detail17trampoline_kernelINS0_14default_configENS1_29reduce_by_key_config_selectorIN3c108BFloat16ElN6thrust23THRUST_200600_302600_NS4plusIlEEEEZZNS1_33reduce_by_key_impl_wrapped_configILNS1_25lookback_scan_determinismE0ES3_SB_PS6_NS8_17constant_iteratorIiNS8_11use_defaultESG_EENS8_10device_ptrIS6_EENSI_IlEEPmSA_NS8_8equal_toIS6_EEEE10hipError_tPvRmT2_T3_mT4_T5_T6_T7_T8_P12ihipStream_tbENKUlT_T0_E_clISt17integral_constantIbLb1EES15_EEDaS10_S11_EUlS10_E_NS1_11comp_targetILNS1_3genE10ELNS1_11target_archE1200ELNS1_3gpuE4ELNS1_3repE0EEENS1_30default_config_static_selectorELNS0_4arch9wavefront6targetE1EEEvT1_: ; @_ZN7rocprim17ROCPRIM_400000_NS6detail17trampoline_kernelINS0_14default_configENS1_29reduce_by_key_config_selectorIN3c108BFloat16ElN6thrust23THRUST_200600_302600_NS4plusIlEEEEZZNS1_33reduce_by_key_impl_wrapped_configILNS1_25lookback_scan_determinismE0ES3_SB_PS6_NS8_17constant_iteratorIiNS8_11use_defaultESG_EENS8_10device_ptrIS6_EENSI_IlEEPmSA_NS8_8equal_toIS6_EEEE10hipError_tPvRmT2_T3_mT4_T5_T6_T7_T8_P12ihipStream_tbENKUlT_T0_E_clISt17integral_constantIbLb1EES15_EEDaS10_S11_EUlS10_E_NS1_11comp_targetILNS1_3genE10ELNS1_11target_archE1200ELNS1_3gpuE4ELNS1_3repE0EEENS1_30default_config_static_selectorELNS0_4arch9wavefront6targetE1EEEvT1_
; %bb.0:
	.section	.rodata,"a",@progbits
	.p2align	6, 0x0
	.amdhsa_kernel _ZN7rocprim17ROCPRIM_400000_NS6detail17trampoline_kernelINS0_14default_configENS1_29reduce_by_key_config_selectorIN3c108BFloat16ElN6thrust23THRUST_200600_302600_NS4plusIlEEEEZZNS1_33reduce_by_key_impl_wrapped_configILNS1_25lookback_scan_determinismE0ES3_SB_PS6_NS8_17constant_iteratorIiNS8_11use_defaultESG_EENS8_10device_ptrIS6_EENSI_IlEEPmSA_NS8_8equal_toIS6_EEEE10hipError_tPvRmT2_T3_mT4_T5_T6_T7_T8_P12ihipStream_tbENKUlT_T0_E_clISt17integral_constantIbLb1EES15_EEDaS10_S11_EUlS10_E_NS1_11comp_targetILNS1_3genE10ELNS1_11target_archE1200ELNS1_3gpuE4ELNS1_3repE0EEENS1_30default_config_static_selectorELNS0_4arch9wavefront6targetE1EEEvT1_
		.amdhsa_group_segment_fixed_size 0
		.amdhsa_private_segment_fixed_size 0
		.amdhsa_kernarg_size 144
		.amdhsa_user_sgpr_count 6
		.amdhsa_user_sgpr_private_segment_buffer 1
		.amdhsa_user_sgpr_dispatch_ptr 0
		.amdhsa_user_sgpr_queue_ptr 0
		.amdhsa_user_sgpr_kernarg_segment_ptr 1
		.amdhsa_user_sgpr_dispatch_id 0
		.amdhsa_user_sgpr_flat_scratch_init 0
		.amdhsa_user_sgpr_private_segment_size 0
		.amdhsa_uses_dynamic_stack 0
		.amdhsa_system_sgpr_private_segment_wavefront_offset 0
		.amdhsa_system_sgpr_workgroup_id_x 1
		.amdhsa_system_sgpr_workgroup_id_y 0
		.amdhsa_system_sgpr_workgroup_id_z 0
		.amdhsa_system_sgpr_workgroup_info 0
		.amdhsa_system_vgpr_workitem_id 0
		.amdhsa_next_free_vgpr 1
		.amdhsa_next_free_sgpr 0
		.amdhsa_reserve_vcc 0
		.amdhsa_reserve_flat_scratch 0
		.amdhsa_float_round_mode_32 0
		.amdhsa_float_round_mode_16_64 0
		.amdhsa_float_denorm_mode_32 3
		.amdhsa_float_denorm_mode_16_64 3
		.amdhsa_dx10_clamp 1
		.amdhsa_ieee_mode 1
		.amdhsa_fp16_overflow 0
		.amdhsa_exception_fp_ieee_invalid_op 0
		.amdhsa_exception_fp_denorm_src 0
		.amdhsa_exception_fp_ieee_div_zero 0
		.amdhsa_exception_fp_ieee_overflow 0
		.amdhsa_exception_fp_ieee_underflow 0
		.amdhsa_exception_fp_ieee_inexact 0
		.amdhsa_exception_int_div_zero 0
	.end_amdhsa_kernel
	.section	.text._ZN7rocprim17ROCPRIM_400000_NS6detail17trampoline_kernelINS0_14default_configENS1_29reduce_by_key_config_selectorIN3c108BFloat16ElN6thrust23THRUST_200600_302600_NS4plusIlEEEEZZNS1_33reduce_by_key_impl_wrapped_configILNS1_25lookback_scan_determinismE0ES3_SB_PS6_NS8_17constant_iteratorIiNS8_11use_defaultESG_EENS8_10device_ptrIS6_EENSI_IlEEPmSA_NS8_8equal_toIS6_EEEE10hipError_tPvRmT2_T3_mT4_T5_T6_T7_T8_P12ihipStream_tbENKUlT_T0_E_clISt17integral_constantIbLb1EES15_EEDaS10_S11_EUlS10_E_NS1_11comp_targetILNS1_3genE10ELNS1_11target_archE1200ELNS1_3gpuE4ELNS1_3repE0EEENS1_30default_config_static_selectorELNS0_4arch9wavefront6targetE1EEEvT1_,"axG",@progbits,_ZN7rocprim17ROCPRIM_400000_NS6detail17trampoline_kernelINS0_14default_configENS1_29reduce_by_key_config_selectorIN3c108BFloat16ElN6thrust23THRUST_200600_302600_NS4plusIlEEEEZZNS1_33reduce_by_key_impl_wrapped_configILNS1_25lookback_scan_determinismE0ES3_SB_PS6_NS8_17constant_iteratorIiNS8_11use_defaultESG_EENS8_10device_ptrIS6_EENSI_IlEEPmSA_NS8_8equal_toIS6_EEEE10hipError_tPvRmT2_T3_mT4_T5_T6_T7_T8_P12ihipStream_tbENKUlT_T0_E_clISt17integral_constantIbLb1EES15_EEDaS10_S11_EUlS10_E_NS1_11comp_targetILNS1_3genE10ELNS1_11target_archE1200ELNS1_3gpuE4ELNS1_3repE0EEENS1_30default_config_static_selectorELNS0_4arch9wavefront6targetE1EEEvT1_,comdat
.Lfunc_end2067:
	.size	_ZN7rocprim17ROCPRIM_400000_NS6detail17trampoline_kernelINS0_14default_configENS1_29reduce_by_key_config_selectorIN3c108BFloat16ElN6thrust23THRUST_200600_302600_NS4plusIlEEEEZZNS1_33reduce_by_key_impl_wrapped_configILNS1_25lookback_scan_determinismE0ES3_SB_PS6_NS8_17constant_iteratorIiNS8_11use_defaultESG_EENS8_10device_ptrIS6_EENSI_IlEEPmSA_NS8_8equal_toIS6_EEEE10hipError_tPvRmT2_T3_mT4_T5_T6_T7_T8_P12ihipStream_tbENKUlT_T0_E_clISt17integral_constantIbLb1EES15_EEDaS10_S11_EUlS10_E_NS1_11comp_targetILNS1_3genE10ELNS1_11target_archE1200ELNS1_3gpuE4ELNS1_3repE0EEENS1_30default_config_static_selectorELNS0_4arch9wavefront6targetE1EEEvT1_, .Lfunc_end2067-_ZN7rocprim17ROCPRIM_400000_NS6detail17trampoline_kernelINS0_14default_configENS1_29reduce_by_key_config_selectorIN3c108BFloat16ElN6thrust23THRUST_200600_302600_NS4plusIlEEEEZZNS1_33reduce_by_key_impl_wrapped_configILNS1_25lookback_scan_determinismE0ES3_SB_PS6_NS8_17constant_iteratorIiNS8_11use_defaultESG_EENS8_10device_ptrIS6_EENSI_IlEEPmSA_NS8_8equal_toIS6_EEEE10hipError_tPvRmT2_T3_mT4_T5_T6_T7_T8_P12ihipStream_tbENKUlT_T0_E_clISt17integral_constantIbLb1EES15_EEDaS10_S11_EUlS10_E_NS1_11comp_targetILNS1_3genE10ELNS1_11target_archE1200ELNS1_3gpuE4ELNS1_3repE0EEENS1_30default_config_static_selectorELNS0_4arch9wavefront6targetE1EEEvT1_
                                        ; -- End function
	.set _ZN7rocprim17ROCPRIM_400000_NS6detail17trampoline_kernelINS0_14default_configENS1_29reduce_by_key_config_selectorIN3c108BFloat16ElN6thrust23THRUST_200600_302600_NS4plusIlEEEEZZNS1_33reduce_by_key_impl_wrapped_configILNS1_25lookback_scan_determinismE0ES3_SB_PS6_NS8_17constant_iteratorIiNS8_11use_defaultESG_EENS8_10device_ptrIS6_EENSI_IlEEPmSA_NS8_8equal_toIS6_EEEE10hipError_tPvRmT2_T3_mT4_T5_T6_T7_T8_P12ihipStream_tbENKUlT_T0_E_clISt17integral_constantIbLb1EES15_EEDaS10_S11_EUlS10_E_NS1_11comp_targetILNS1_3genE10ELNS1_11target_archE1200ELNS1_3gpuE4ELNS1_3repE0EEENS1_30default_config_static_selectorELNS0_4arch9wavefront6targetE1EEEvT1_.num_vgpr, 0
	.set _ZN7rocprim17ROCPRIM_400000_NS6detail17trampoline_kernelINS0_14default_configENS1_29reduce_by_key_config_selectorIN3c108BFloat16ElN6thrust23THRUST_200600_302600_NS4plusIlEEEEZZNS1_33reduce_by_key_impl_wrapped_configILNS1_25lookback_scan_determinismE0ES3_SB_PS6_NS8_17constant_iteratorIiNS8_11use_defaultESG_EENS8_10device_ptrIS6_EENSI_IlEEPmSA_NS8_8equal_toIS6_EEEE10hipError_tPvRmT2_T3_mT4_T5_T6_T7_T8_P12ihipStream_tbENKUlT_T0_E_clISt17integral_constantIbLb1EES15_EEDaS10_S11_EUlS10_E_NS1_11comp_targetILNS1_3genE10ELNS1_11target_archE1200ELNS1_3gpuE4ELNS1_3repE0EEENS1_30default_config_static_selectorELNS0_4arch9wavefront6targetE1EEEvT1_.num_agpr, 0
	.set _ZN7rocprim17ROCPRIM_400000_NS6detail17trampoline_kernelINS0_14default_configENS1_29reduce_by_key_config_selectorIN3c108BFloat16ElN6thrust23THRUST_200600_302600_NS4plusIlEEEEZZNS1_33reduce_by_key_impl_wrapped_configILNS1_25lookback_scan_determinismE0ES3_SB_PS6_NS8_17constant_iteratorIiNS8_11use_defaultESG_EENS8_10device_ptrIS6_EENSI_IlEEPmSA_NS8_8equal_toIS6_EEEE10hipError_tPvRmT2_T3_mT4_T5_T6_T7_T8_P12ihipStream_tbENKUlT_T0_E_clISt17integral_constantIbLb1EES15_EEDaS10_S11_EUlS10_E_NS1_11comp_targetILNS1_3genE10ELNS1_11target_archE1200ELNS1_3gpuE4ELNS1_3repE0EEENS1_30default_config_static_selectorELNS0_4arch9wavefront6targetE1EEEvT1_.numbered_sgpr, 0
	.set _ZN7rocprim17ROCPRIM_400000_NS6detail17trampoline_kernelINS0_14default_configENS1_29reduce_by_key_config_selectorIN3c108BFloat16ElN6thrust23THRUST_200600_302600_NS4plusIlEEEEZZNS1_33reduce_by_key_impl_wrapped_configILNS1_25lookback_scan_determinismE0ES3_SB_PS6_NS8_17constant_iteratorIiNS8_11use_defaultESG_EENS8_10device_ptrIS6_EENSI_IlEEPmSA_NS8_8equal_toIS6_EEEE10hipError_tPvRmT2_T3_mT4_T5_T6_T7_T8_P12ihipStream_tbENKUlT_T0_E_clISt17integral_constantIbLb1EES15_EEDaS10_S11_EUlS10_E_NS1_11comp_targetILNS1_3genE10ELNS1_11target_archE1200ELNS1_3gpuE4ELNS1_3repE0EEENS1_30default_config_static_selectorELNS0_4arch9wavefront6targetE1EEEvT1_.num_named_barrier, 0
	.set _ZN7rocprim17ROCPRIM_400000_NS6detail17trampoline_kernelINS0_14default_configENS1_29reduce_by_key_config_selectorIN3c108BFloat16ElN6thrust23THRUST_200600_302600_NS4plusIlEEEEZZNS1_33reduce_by_key_impl_wrapped_configILNS1_25lookback_scan_determinismE0ES3_SB_PS6_NS8_17constant_iteratorIiNS8_11use_defaultESG_EENS8_10device_ptrIS6_EENSI_IlEEPmSA_NS8_8equal_toIS6_EEEE10hipError_tPvRmT2_T3_mT4_T5_T6_T7_T8_P12ihipStream_tbENKUlT_T0_E_clISt17integral_constantIbLb1EES15_EEDaS10_S11_EUlS10_E_NS1_11comp_targetILNS1_3genE10ELNS1_11target_archE1200ELNS1_3gpuE4ELNS1_3repE0EEENS1_30default_config_static_selectorELNS0_4arch9wavefront6targetE1EEEvT1_.private_seg_size, 0
	.set _ZN7rocprim17ROCPRIM_400000_NS6detail17trampoline_kernelINS0_14default_configENS1_29reduce_by_key_config_selectorIN3c108BFloat16ElN6thrust23THRUST_200600_302600_NS4plusIlEEEEZZNS1_33reduce_by_key_impl_wrapped_configILNS1_25lookback_scan_determinismE0ES3_SB_PS6_NS8_17constant_iteratorIiNS8_11use_defaultESG_EENS8_10device_ptrIS6_EENSI_IlEEPmSA_NS8_8equal_toIS6_EEEE10hipError_tPvRmT2_T3_mT4_T5_T6_T7_T8_P12ihipStream_tbENKUlT_T0_E_clISt17integral_constantIbLb1EES15_EEDaS10_S11_EUlS10_E_NS1_11comp_targetILNS1_3genE10ELNS1_11target_archE1200ELNS1_3gpuE4ELNS1_3repE0EEENS1_30default_config_static_selectorELNS0_4arch9wavefront6targetE1EEEvT1_.uses_vcc, 0
	.set _ZN7rocprim17ROCPRIM_400000_NS6detail17trampoline_kernelINS0_14default_configENS1_29reduce_by_key_config_selectorIN3c108BFloat16ElN6thrust23THRUST_200600_302600_NS4plusIlEEEEZZNS1_33reduce_by_key_impl_wrapped_configILNS1_25lookback_scan_determinismE0ES3_SB_PS6_NS8_17constant_iteratorIiNS8_11use_defaultESG_EENS8_10device_ptrIS6_EENSI_IlEEPmSA_NS8_8equal_toIS6_EEEE10hipError_tPvRmT2_T3_mT4_T5_T6_T7_T8_P12ihipStream_tbENKUlT_T0_E_clISt17integral_constantIbLb1EES15_EEDaS10_S11_EUlS10_E_NS1_11comp_targetILNS1_3genE10ELNS1_11target_archE1200ELNS1_3gpuE4ELNS1_3repE0EEENS1_30default_config_static_selectorELNS0_4arch9wavefront6targetE1EEEvT1_.uses_flat_scratch, 0
	.set _ZN7rocprim17ROCPRIM_400000_NS6detail17trampoline_kernelINS0_14default_configENS1_29reduce_by_key_config_selectorIN3c108BFloat16ElN6thrust23THRUST_200600_302600_NS4plusIlEEEEZZNS1_33reduce_by_key_impl_wrapped_configILNS1_25lookback_scan_determinismE0ES3_SB_PS6_NS8_17constant_iteratorIiNS8_11use_defaultESG_EENS8_10device_ptrIS6_EENSI_IlEEPmSA_NS8_8equal_toIS6_EEEE10hipError_tPvRmT2_T3_mT4_T5_T6_T7_T8_P12ihipStream_tbENKUlT_T0_E_clISt17integral_constantIbLb1EES15_EEDaS10_S11_EUlS10_E_NS1_11comp_targetILNS1_3genE10ELNS1_11target_archE1200ELNS1_3gpuE4ELNS1_3repE0EEENS1_30default_config_static_selectorELNS0_4arch9wavefront6targetE1EEEvT1_.has_dyn_sized_stack, 0
	.set _ZN7rocprim17ROCPRIM_400000_NS6detail17trampoline_kernelINS0_14default_configENS1_29reduce_by_key_config_selectorIN3c108BFloat16ElN6thrust23THRUST_200600_302600_NS4plusIlEEEEZZNS1_33reduce_by_key_impl_wrapped_configILNS1_25lookback_scan_determinismE0ES3_SB_PS6_NS8_17constant_iteratorIiNS8_11use_defaultESG_EENS8_10device_ptrIS6_EENSI_IlEEPmSA_NS8_8equal_toIS6_EEEE10hipError_tPvRmT2_T3_mT4_T5_T6_T7_T8_P12ihipStream_tbENKUlT_T0_E_clISt17integral_constantIbLb1EES15_EEDaS10_S11_EUlS10_E_NS1_11comp_targetILNS1_3genE10ELNS1_11target_archE1200ELNS1_3gpuE4ELNS1_3repE0EEENS1_30default_config_static_selectorELNS0_4arch9wavefront6targetE1EEEvT1_.has_recursion, 0
	.set _ZN7rocprim17ROCPRIM_400000_NS6detail17trampoline_kernelINS0_14default_configENS1_29reduce_by_key_config_selectorIN3c108BFloat16ElN6thrust23THRUST_200600_302600_NS4plusIlEEEEZZNS1_33reduce_by_key_impl_wrapped_configILNS1_25lookback_scan_determinismE0ES3_SB_PS6_NS8_17constant_iteratorIiNS8_11use_defaultESG_EENS8_10device_ptrIS6_EENSI_IlEEPmSA_NS8_8equal_toIS6_EEEE10hipError_tPvRmT2_T3_mT4_T5_T6_T7_T8_P12ihipStream_tbENKUlT_T0_E_clISt17integral_constantIbLb1EES15_EEDaS10_S11_EUlS10_E_NS1_11comp_targetILNS1_3genE10ELNS1_11target_archE1200ELNS1_3gpuE4ELNS1_3repE0EEENS1_30default_config_static_selectorELNS0_4arch9wavefront6targetE1EEEvT1_.has_indirect_call, 0
	.section	.AMDGPU.csdata,"",@progbits
; Kernel info:
; codeLenInByte = 0
; TotalNumSgprs: 4
; NumVgprs: 0
; ScratchSize: 0
; MemoryBound: 0
; FloatMode: 240
; IeeeMode: 1
; LDSByteSize: 0 bytes/workgroup (compile time only)
; SGPRBlocks: 0
; VGPRBlocks: 0
; NumSGPRsForWavesPerEU: 4
; NumVGPRsForWavesPerEU: 1
; Occupancy: 10
; WaveLimiterHint : 0
; COMPUTE_PGM_RSRC2:SCRATCH_EN: 0
; COMPUTE_PGM_RSRC2:USER_SGPR: 6
; COMPUTE_PGM_RSRC2:TRAP_HANDLER: 0
; COMPUTE_PGM_RSRC2:TGID_X_EN: 1
; COMPUTE_PGM_RSRC2:TGID_Y_EN: 0
; COMPUTE_PGM_RSRC2:TGID_Z_EN: 0
; COMPUTE_PGM_RSRC2:TIDIG_COMP_CNT: 0
	.section	.text._ZN7rocprim17ROCPRIM_400000_NS6detail17trampoline_kernelINS0_14default_configENS1_29reduce_by_key_config_selectorIN3c108BFloat16ElN6thrust23THRUST_200600_302600_NS4plusIlEEEEZZNS1_33reduce_by_key_impl_wrapped_configILNS1_25lookback_scan_determinismE0ES3_SB_PS6_NS8_17constant_iteratorIiNS8_11use_defaultESG_EENS8_10device_ptrIS6_EENSI_IlEEPmSA_NS8_8equal_toIS6_EEEE10hipError_tPvRmT2_T3_mT4_T5_T6_T7_T8_P12ihipStream_tbENKUlT_T0_E_clISt17integral_constantIbLb1EES15_EEDaS10_S11_EUlS10_E_NS1_11comp_targetILNS1_3genE9ELNS1_11target_archE1100ELNS1_3gpuE3ELNS1_3repE0EEENS1_30default_config_static_selectorELNS0_4arch9wavefront6targetE1EEEvT1_,"axG",@progbits,_ZN7rocprim17ROCPRIM_400000_NS6detail17trampoline_kernelINS0_14default_configENS1_29reduce_by_key_config_selectorIN3c108BFloat16ElN6thrust23THRUST_200600_302600_NS4plusIlEEEEZZNS1_33reduce_by_key_impl_wrapped_configILNS1_25lookback_scan_determinismE0ES3_SB_PS6_NS8_17constant_iteratorIiNS8_11use_defaultESG_EENS8_10device_ptrIS6_EENSI_IlEEPmSA_NS8_8equal_toIS6_EEEE10hipError_tPvRmT2_T3_mT4_T5_T6_T7_T8_P12ihipStream_tbENKUlT_T0_E_clISt17integral_constantIbLb1EES15_EEDaS10_S11_EUlS10_E_NS1_11comp_targetILNS1_3genE9ELNS1_11target_archE1100ELNS1_3gpuE3ELNS1_3repE0EEENS1_30default_config_static_selectorELNS0_4arch9wavefront6targetE1EEEvT1_,comdat
	.protected	_ZN7rocprim17ROCPRIM_400000_NS6detail17trampoline_kernelINS0_14default_configENS1_29reduce_by_key_config_selectorIN3c108BFloat16ElN6thrust23THRUST_200600_302600_NS4plusIlEEEEZZNS1_33reduce_by_key_impl_wrapped_configILNS1_25lookback_scan_determinismE0ES3_SB_PS6_NS8_17constant_iteratorIiNS8_11use_defaultESG_EENS8_10device_ptrIS6_EENSI_IlEEPmSA_NS8_8equal_toIS6_EEEE10hipError_tPvRmT2_T3_mT4_T5_T6_T7_T8_P12ihipStream_tbENKUlT_T0_E_clISt17integral_constantIbLb1EES15_EEDaS10_S11_EUlS10_E_NS1_11comp_targetILNS1_3genE9ELNS1_11target_archE1100ELNS1_3gpuE3ELNS1_3repE0EEENS1_30default_config_static_selectorELNS0_4arch9wavefront6targetE1EEEvT1_ ; -- Begin function _ZN7rocprim17ROCPRIM_400000_NS6detail17trampoline_kernelINS0_14default_configENS1_29reduce_by_key_config_selectorIN3c108BFloat16ElN6thrust23THRUST_200600_302600_NS4plusIlEEEEZZNS1_33reduce_by_key_impl_wrapped_configILNS1_25lookback_scan_determinismE0ES3_SB_PS6_NS8_17constant_iteratorIiNS8_11use_defaultESG_EENS8_10device_ptrIS6_EENSI_IlEEPmSA_NS8_8equal_toIS6_EEEE10hipError_tPvRmT2_T3_mT4_T5_T6_T7_T8_P12ihipStream_tbENKUlT_T0_E_clISt17integral_constantIbLb1EES15_EEDaS10_S11_EUlS10_E_NS1_11comp_targetILNS1_3genE9ELNS1_11target_archE1100ELNS1_3gpuE3ELNS1_3repE0EEENS1_30default_config_static_selectorELNS0_4arch9wavefront6targetE1EEEvT1_
	.globl	_ZN7rocprim17ROCPRIM_400000_NS6detail17trampoline_kernelINS0_14default_configENS1_29reduce_by_key_config_selectorIN3c108BFloat16ElN6thrust23THRUST_200600_302600_NS4plusIlEEEEZZNS1_33reduce_by_key_impl_wrapped_configILNS1_25lookback_scan_determinismE0ES3_SB_PS6_NS8_17constant_iteratorIiNS8_11use_defaultESG_EENS8_10device_ptrIS6_EENSI_IlEEPmSA_NS8_8equal_toIS6_EEEE10hipError_tPvRmT2_T3_mT4_T5_T6_T7_T8_P12ihipStream_tbENKUlT_T0_E_clISt17integral_constantIbLb1EES15_EEDaS10_S11_EUlS10_E_NS1_11comp_targetILNS1_3genE9ELNS1_11target_archE1100ELNS1_3gpuE3ELNS1_3repE0EEENS1_30default_config_static_selectorELNS0_4arch9wavefront6targetE1EEEvT1_
	.p2align	8
	.type	_ZN7rocprim17ROCPRIM_400000_NS6detail17trampoline_kernelINS0_14default_configENS1_29reduce_by_key_config_selectorIN3c108BFloat16ElN6thrust23THRUST_200600_302600_NS4plusIlEEEEZZNS1_33reduce_by_key_impl_wrapped_configILNS1_25lookback_scan_determinismE0ES3_SB_PS6_NS8_17constant_iteratorIiNS8_11use_defaultESG_EENS8_10device_ptrIS6_EENSI_IlEEPmSA_NS8_8equal_toIS6_EEEE10hipError_tPvRmT2_T3_mT4_T5_T6_T7_T8_P12ihipStream_tbENKUlT_T0_E_clISt17integral_constantIbLb1EES15_EEDaS10_S11_EUlS10_E_NS1_11comp_targetILNS1_3genE9ELNS1_11target_archE1100ELNS1_3gpuE3ELNS1_3repE0EEENS1_30default_config_static_selectorELNS0_4arch9wavefront6targetE1EEEvT1_,@function
_ZN7rocprim17ROCPRIM_400000_NS6detail17trampoline_kernelINS0_14default_configENS1_29reduce_by_key_config_selectorIN3c108BFloat16ElN6thrust23THRUST_200600_302600_NS4plusIlEEEEZZNS1_33reduce_by_key_impl_wrapped_configILNS1_25lookback_scan_determinismE0ES3_SB_PS6_NS8_17constant_iteratorIiNS8_11use_defaultESG_EENS8_10device_ptrIS6_EENSI_IlEEPmSA_NS8_8equal_toIS6_EEEE10hipError_tPvRmT2_T3_mT4_T5_T6_T7_T8_P12ihipStream_tbENKUlT_T0_E_clISt17integral_constantIbLb1EES15_EEDaS10_S11_EUlS10_E_NS1_11comp_targetILNS1_3genE9ELNS1_11target_archE1100ELNS1_3gpuE3ELNS1_3repE0EEENS1_30default_config_static_selectorELNS0_4arch9wavefront6targetE1EEEvT1_: ; @_ZN7rocprim17ROCPRIM_400000_NS6detail17trampoline_kernelINS0_14default_configENS1_29reduce_by_key_config_selectorIN3c108BFloat16ElN6thrust23THRUST_200600_302600_NS4plusIlEEEEZZNS1_33reduce_by_key_impl_wrapped_configILNS1_25lookback_scan_determinismE0ES3_SB_PS6_NS8_17constant_iteratorIiNS8_11use_defaultESG_EENS8_10device_ptrIS6_EENSI_IlEEPmSA_NS8_8equal_toIS6_EEEE10hipError_tPvRmT2_T3_mT4_T5_T6_T7_T8_P12ihipStream_tbENKUlT_T0_E_clISt17integral_constantIbLb1EES15_EEDaS10_S11_EUlS10_E_NS1_11comp_targetILNS1_3genE9ELNS1_11target_archE1100ELNS1_3gpuE3ELNS1_3repE0EEENS1_30default_config_static_selectorELNS0_4arch9wavefront6targetE1EEEvT1_
; %bb.0:
	.section	.rodata,"a",@progbits
	.p2align	6, 0x0
	.amdhsa_kernel _ZN7rocprim17ROCPRIM_400000_NS6detail17trampoline_kernelINS0_14default_configENS1_29reduce_by_key_config_selectorIN3c108BFloat16ElN6thrust23THRUST_200600_302600_NS4plusIlEEEEZZNS1_33reduce_by_key_impl_wrapped_configILNS1_25lookback_scan_determinismE0ES3_SB_PS6_NS8_17constant_iteratorIiNS8_11use_defaultESG_EENS8_10device_ptrIS6_EENSI_IlEEPmSA_NS8_8equal_toIS6_EEEE10hipError_tPvRmT2_T3_mT4_T5_T6_T7_T8_P12ihipStream_tbENKUlT_T0_E_clISt17integral_constantIbLb1EES15_EEDaS10_S11_EUlS10_E_NS1_11comp_targetILNS1_3genE9ELNS1_11target_archE1100ELNS1_3gpuE3ELNS1_3repE0EEENS1_30default_config_static_selectorELNS0_4arch9wavefront6targetE1EEEvT1_
		.amdhsa_group_segment_fixed_size 0
		.amdhsa_private_segment_fixed_size 0
		.amdhsa_kernarg_size 144
		.amdhsa_user_sgpr_count 6
		.amdhsa_user_sgpr_private_segment_buffer 1
		.amdhsa_user_sgpr_dispatch_ptr 0
		.amdhsa_user_sgpr_queue_ptr 0
		.amdhsa_user_sgpr_kernarg_segment_ptr 1
		.amdhsa_user_sgpr_dispatch_id 0
		.amdhsa_user_sgpr_flat_scratch_init 0
		.amdhsa_user_sgpr_private_segment_size 0
		.amdhsa_uses_dynamic_stack 0
		.amdhsa_system_sgpr_private_segment_wavefront_offset 0
		.amdhsa_system_sgpr_workgroup_id_x 1
		.amdhsa_system_sgpr_workgroup_id_y 0
		.amdhsa_system_sgpr_workgroup_id_z 0
		.amdhsa_system_sgpr_workgroup_info 0
		.amdhsa_system_vgpr_workitem_id 0
		.amdhsa_next_free_vgpr 1
		.amdhsa_next_free_sgpr 0
		.amdhsa_reserve_vcc 0
		.amdhsa_reserve_flat_scratch 0
		.amdhsa_float_round_mode_32 0
		.amdhsa_float_round_mode_16_64 0
		.amdhsa_float_denorm_mode_32 3
		.amdhsa_float_denorm_mode_16_64 3
		.amdhsa_dx10_clamp 1
		.amdhsa_ieee_mode 1
		.amdhsa_fp16_overflow 0
		.amdhsa_exception_fp_ieee_invalid_op 0
		.amdhsa_exception_fp_denorm_src 0
		.amdhsa_exception_fp_ieee_div_zero 0
		.amdhsa_exception_fp_ieee_overflow 0
		.amdhsa_exception_fp_ieee_underflow 0
		.amdhsa_exception_fp_ieee_inexact 0
		.amdhsa_exception_int_div_zero 0
	.end_amdhsa_kernel
	.section	.text._ZN7rocprim17ROCPRIM_400000_NS6detail17trampoline_kernelINS0_14default_configENS1_29reduce_by_key_config_selectorIN3c108BFloat16ElN6thrust23THRUST_200600_302600_NS4plusIlEEEEZZNS1_33reduce_by_key_impl_wrapped_configILNS1_25lookback_scan_determinismE0ES3_SB_PS6_NS8_17constant_iteratorIiNS8_11use_defaultESG_EENS8_10device_ptrIS6_EENSI_IlEEPmSA_NS8_8equal_toIS6_EEEE10hipError_tPvRmT2_T3_mT4_T5_T6_T7_T8_P12ihipStream_tbENKUlT_T0_E_clISt17integral_constantIbLb1EES15_EEDaS10_S11_EUlS10_E_NS1_11comp_targetILNS1_3genE9ELNS1_11target_archE1100ELNS1_3gpuE3ELNS1_3repE0EEENS1_30default_config_static_selectorELNS0_4arch9wavefront6targetE1EEEvT1_,"axG",@progbits,_ZN7rocprim17ROCPRIM_400000_NS6detail17trampoline_kernelINS0_14default_configENS1_29reduce_by_key_config_selectorIN3c108BFloat16ElN6thrust23THRUST_200600_302600_NS4plusIlEEEEZZNS1_33reduce_by_key_impl_wrapped_configILNS1_25lookback_scan_determinismE0ES3_SB_PS6_NS8_17constant_iteratorIiNS8_11use_defaultESG_EENS8_10device_ptrIS6_EENSI_IlEEPmSA_NS8_8equal_toIS6_EEEE10hipError_tPvRmT2_T3_mT4_T5_T6_T7_T8_P12ihipStream_tbENKUlT_T0_E_clISt17integral_constantIbLb1EES15_EEDaS10_S11_EUlS10_E_NS1_11comp_targetILNS1_3genE9ELNS1_11target_archE1100ELNS1_3gpuE3ELNS1_3repE0EEENS1_30default_config_static_selectorELNS0_4arch9wavefront6targetE1EEEvT1_,comdat
.Lfunc_end2068:
	.size	_ZN7rocprim17ROCPRIM_400000_NS6detail17trampoline_kernelINS0_14default_configENS1_29reduce_by_key_config_selectorIN3c108BFloat16ElN6thrust23THRUST_200600_302600_NS4plusIlEEEEZZNS1_33reduce_by_key_impl_wrapped_configILNS1_25lookback_scan_determinismE0ES3_SB_PS6_NS8_17constant_iteratorIiNS8_11use_defaultESG_EENS8_10device_ptrIS6_EENSI_IlEEPmSA_NS8_8equal_toIS6_EEEE10hipError_tPvRmT2_T3_mT4_T5_T6_T7_T8_P12ihipStream_tbENKUlT_T0_E_clISt17integral_constantIbLb1EES15_EEDaS10_S11_EUlS10_E_NS1_11comp_targetILNS1_3genE9ELNS1_11target_archE1100ELNS1_3gpuE3ELNS1_3repE0EEENS1_30default_config_static_selectorELNS0_4arch9wavefront6targetE1EEEvT1_, .Lfunc_end2068-_ZN7rocprim17ROCPRIM_400000_NS6detail17trampoline_kernelINS0_14default_configENS1_29reduce_by_key_config_selectorIN3c108BFloat16ElN6thrust23THRUST_200600_302600_NS4plusIlEEEEZZNS1_33reduce_by_key_impl_wrapped_configILNS1_25lookback_scan_determinismE0ES3_SB_PS6_NS8_17constant_iteratorIiNS8_11use_defaultESG_EENS8_10device_ptrIS6_EENSI_IlEEPmSA_NS8_8equal_toIS6_EEEE10hipError_tPvRmT2_T3_mT4_T5_T6_T7_T8_P12ihipStream_tbENKUlT_T0_E_clISt17integral_constantIbLb1EES15_EEDaS10_S11_EUlS10_E_NS1_11comp_targetILNS1_3genE9ELNS1_11target_archE1100ELNS1_3gpuE3ELNS1_3repE0EEENS1_30default_config_static_selectorELNS0_4arch9wavefront6targetE1EEEvT1_
                                        ; -- End function
	.set _ZN7rocprim17ROCPRIM_400000_NS6detail17trampoline_kernelINS0_14default_configENS1_29reduce_by_key_config_selectorIN3c108BFloat16ElN6thrust23THRUST_200600_302600_NS4plusIlEEEEZZNS1_33reduce_by_key_impl_wrapped_configILNS1_25lookback_scan_determinismE0ES3_SB_PS6_NS8_17constant_iteratorIiNS8_11use_defaultESG_EENS8_10device_ptrIS6_EENSI_IlEEPmSA_NS8_8equal_toIS6_EEEE10hipError_tPvRmT2_T3_mT4_T5_T6_T7_T8_P12ihipStream_tbENKUlT_T0_E_clISt17integral_constantIbLb1EES15_EEDaS10_S11_EUlS10_E_NS1_11comp_targetILNS1_3genE9ELNS1_11target_archE1100ELNS1_3gpuE3ELNS1_3repE0EEENS1_30default_config_static_selectorELNS0_4arch9wavefront6targetE1EEEvT1_.num_vgpr, 0
	.set _ZN7rocprim17ROCPRIM_400000_NS6detail17trampoline_kernelINS0_14default_configENS1_29reduce_by_key_config_selectorIN3c108BFloat16ElN6thrust23THRUST_200600_302600_NS4plusIlEEEEZZNS1_33reduce_by_key_impl_wrapped_configILNS1_25lookback_scan_determinismE0ES3_SB_PS6_NS8_17constant_iteratorIiNS8_11use_defaultESG_EENS8_10device_ptrIS6_EENSI_IlEEPmSA_NS8_8equal_toIS6_EEEE10hipError_tPvRmT2_T3_mT4_T5_T6_T7_T8_P12ihipStream_tbENKUlT_T0_E_clISt17integral_constantIbLb1EES15_EEDaS10_S11_EUlS10_E_NS1_11comp_targetILNS1_3genE9ELNS1_11target_archE1100ELNS1_3gpuE3ELNS1_3repE0EEENS1_30default_config_static_selectorELNS0_4arch9wavefront6targetE1EEEvT1_.num_agpr, 0
	.set _ZN7rocprim17ROCPRIM_400000_NS6detail17trampoline_kernelINS0_14default_configENS1_29reduce_by_key_config_selectorIN3c108BFloat16ElN6thrust23THRUST_200600_302600_NS4plusIlEEEEZZNS1_33reduce_by_key_impl_wrapped_configILNS1_25lookback_scan_determinismE0ES3_SB_PS6_NS8_17constant_iteratorIiNS8_11use_defaultESG_EENS8_10device_ptrIS6_EENSI_IlEEPmSA_NS8_8equal_toIS6_EEEE10hipError_tPvRmT2_T3_mT4_T5_T6_T7_T8_P12ihipStream_tbENKUlT_T0_E_clISt17integral_constantIbLb1EES15_EEDaS10_S11_EUlS10_E_NS1_11comp_targetILNS1_3genE9ELNS1_11target_archE1100ELNS1_3gpuE3ELNS1_3repE0EEENS1_30default_config_static_selectorELNS0_4arch9wavefront6targetE1EEEvT1_.numbered_sgpr, 0
	.set _ZN7rocprim17ROCPRIM_400000_NS6detail17trampoline_kernelINS0_14default_configENS1_29reduce_by_key_config_selectorIN3c108BFloat16ElN6thrust23THRUST_200600_302600_NS4plusIlEEEEZZNS1_33reduce_by_key_impl_wrapped_configILNS1_25lookback_scan_determinismE0ES3_SB_PS6_NS8_17constant_iteratorIiNS8_11use_defaultESG_EENS8_10device_ptrIS6_EENSI_IlEEPmSA_NS8_8equal_toIS6_EEEE10hipError_tPvRmT2_T3_mT4_T5_T6_T7_T8_P12ihipStream_tbENKUlT_T0_E_clISt17integral_constantIbLb1EES15_EEDaS10_S11_EUlS10_E_NS1_11comp_targetILNS1_3genE9ELNS1_11target_archE1100ELNS1_3gpuE3ELNS1_3repE0EEENS1_30default_config_static_selectorELNS0_4arch9wavefront6targetE1EEEvT1_.num_named_barrier, 0
	.set _ZN7rocprim17ROCPRIM_400000_NS6detail17trampoline_kernelINS0_14default_configENS1_29reduce_by_key_config_selectorIN3c108BFloat16ElN6thrust23THRUST_200600_302600_NS4plusIlEEEEZZNS1_33reduce_by_key_impl_wrapped_configILNS1_25lookback_scan_determinismE0ES3_SB_PS6_NS8_17constant_iteratorIiNS8_11use_defaultESG_EENS8_10device_ptrIS6_EENSI_IlEEPmSA_NS8_8equal_toIS6_EEEE10hipError_tPvRmT2_T3_mT4_T5_T6_T7_T8_P12ihipStream_tbENKUlT_T0_E_clISt17integral_constantIbLb1EES15_EEDaS10_S11_EUlS10_E_NS1_11comp_targetILNS1_3genE9ELNS1_11target_archE1100ELNS1_3gpuE3ELNS1_3repE0EEENS1_30default_config_static_selectorELNS0_4arch9wavefront6targetE1EEEvT1_.private_seg_size, 0
	.set _ZN7rocprim17ROCPRIM_400000_NS6detail17trampoline_kernelINS0_14default_configENS1_29reduce_by_key_config_selectorIN3c108BFloat16ElN6thrust23THRUST_200600_302600_NS4plusIlEEEEZZNS1_33reduce_by_key_impl_wrapped_configILNS1_25lookback_scan_determinismE0ES3_SB_PS6_NS8_17constant_iteratorIiNS8_11use_defaultESG_EENS8_10device_ptrIS6_EENSI_IlEEPmSA_NS8_8equal_toIS6_EEEE10hipError_tPvRmT2_T3_mT4_T5_T6_T7_T8_P12ihipStream_tbENKUlT_T0_E_clISt17integral_constantIbLb1EES15_EEDaS10_S11_EUlS10_E_NS1_11comp_targetILNS1_3genE9ELNS1_11target_archE1100ELNS1_3gpuE3ELNS1_3repE0EEENS1_30default_config_static_selectorELNS0_4arch9wavefront6targetE1EEEvT1_.uses_vcc, 0
	.set _ZN7rocprim17ROCPRIM_400000_NS6detail17trampoline_kernelINS0_14default_configENS1_29reduce_by_key_config_selectorIN3c108BFloat16ElN6thrust23THRUST_200600_302600_NS4plusIlEEEEZZNS1_33reduce_by_key_impl_wrapped_configILNS1_25lookback_scan_determinismE0ES3_SB_PS6_NS8_17constant_iteratorIiNS8_11use_defaultESG_EENS8_10device_ptrIS6_EENSI_IlEEPmSA_NS8_8equal_toIS6_EEEE10hipError_tPvRmT2_T3_mT4_T5_T6_T7_T8_P12ihipStream_tbENKUlT_T0_E_clISt17integral_constantIbLb1EES15_EEDaS10_S11_EUlS10_E_NS1_11comp_targetILNS1_3genE9ELNS1_11target_archE1100ELNS1_3gpuE3ELNS1_3repE0EEENS1_30default_config_static_selectorELNS0_4arch9wavefront6targetE1EEEvT1_.uses_flat_scratch, 0
	.set _ZN7rocprim17ROCPRIM_400000_NS6detail17trampoline_kernelINS0_14default_configENS1_29reduce_by_key_config_selectorIN3c108BFloat16ElN6thrust23THRUST_200600_302600_NS4plusIlEEEEZZNS1_33reduce_by_key_impl_wrapped_configILNS1_25lookback_scan_determinismE0ES3_SB_PS6_NS8_17constant_iteratorIiNS8_11use_defaultESG_EENS8_10device_ptrIS6_EENSI_IlEEPmSA_NS8_8equal_toIS6_EEEE10hipError_tPvRmT2_T3_mT4_T5_T6_T7_T8_P12ihipStream_tbENKUlT_T0_E_clISt17integral_constantIbLb1EES15_EEDaS10_S11_EUlS10_E_NS1_11comp_targetILNS1_3genE9ELNS1_11target_archE1100ELNS1_3gpuE3ELNS1_3repE0EEENS1_30default_config_static_selectorELNS0_4arch9wavefront6targetE1EEEvT1_.has_dyn_sized_stack, 0
	.set _ZN7rocprim17ROCPRIM_400000_NS6detail17trampoline_kernelINS0_14default_configENS1_29reduce_by_key_config_selectorIN3c108BFloat16ElN6thrust23THRUST_200600_302600_NS4plusIlEEEEZZNS1_33reduce_by_key_impl_wrapped_configILNS1_25lookback_scan_determinismE0ES3_SB_PS6_NS8_17constant_iteratorIiNS8_11use_defaultESG_EENS8_10device_ptrIS6_EENSI_IlEEPmSA_NS8_8equal_toIS6_EEEE10hipError_tPvRmT2_T3_mT4_T5_T6_T7_T8_P12ihipStream_tbENKUlT_T0_E_clISt17integral_constantIbLb1EES15_EEDaS10_S11_EUlS10_E_NS1_11comp_targetILNS1_3genE9ELNS1_11target_archE1100ELNS1_3gpuE3ELNS1_3repE0EEENS1_30default_config_static_selectorELNS0_4arch9wavefront6targetE1EEEvT1_.has_recursion, 0
	.set _ZN7rocprim17ROCPRIM_400000_NS6detail17trampoline_kernelINS0_14default_configENS1_29reduce_by_key_config_selectorIN3c108BFloat16ElN6thrust23THRUST_200600_302600_NS4plusIlEEEEZZNS1_33reduce_by_key_impl_wrapped_configILNS1_25lookback_scan_determinismE0ES3_SB_PS6_NS8_17constant_iteratorIiNS8_11use_defaultESG_EENS8_10device_ptrIS6_EENSI_IlEEPmSA_NS8_8equal_toIS6_EEEE10hipError_tPvRmT2_T3_mT4_T5_T6_T7_T8_P12ihipStream_tbENKUlT_T0_E_clISt17integral_constantIbLb1EES15_EEDaS10_S11_EUlS10_E_NS1_11comp_targetILNS1_3genE9ELNS1_11target_archE1100ELNS1_3gpuE3ELNS1_3repE0EEENS1_30default_config_static_selectorELNS0_4arch9wavefront6targetE1EEEvT1_.has_indirect_call, 0
	.section	.AMDGPU.csdata,"",@progbits
; Kernel info:
; codeLenInByte = 0
; TotalNumSgprs: 4
; NumVgprs: 0
; ScratchSize: 0
; MemoryBound: 0
; FloatMode: 240
; IeeeMode: 1
; LDSByteSize: 0 bytes/workgroup (compile time only)
; SGPRBlocks: 0
; VGPRBlocks: 0
; NumSGPRsForWavesPerEU: 4
; NumVGPRsForWavesPerEU: 1
; Occupancy: 10
; WaveLimiterHint : 0
; COMPUTE_PGM_RSRC2:SCRATCH_EN: 0
; COMPUTE_PGM_RSRC2:USER_SGPR: 6
; COMPUTE_PGM_RSRC2:TRAP_HANDLER: 0
; COMPUTE_PGM_RSRC2:TGID_X_EN: 1
; COMPUTE_PGM_RSRC2:TGID_Y_EN: 0
; COMPUTE_PGM_RSRC2:TGID_Z_EN: 0
; COMPUTE_PGM_RSRC2:TIDIG_COMP_CNT: 0
	.section	.text._ZN7rocprim17ROCPRIM_400000_NS6detail17trampoline_kernelINS0_14default_configENS1_29reduce_by_key_config_selectorIN3c108BFloat16ElN6thrust23THRUST_200600_302600_NS4plusIlEEEEZZNS1_33reduce_by_key_impl_wrapped_configILNS1_25lookback_scan_determinismE0ES3_SB_PS6_NS8_17constant_iteratorIiNS8_11use_defaultESG_EENS8_10device_ptrIS6_EENSI_IlEEPmSA_NS8_8equal_toIS6_EEEE10hipError_tPvRmT2_T3_mT4_T5_T6_T7_T8_P12ihipStream_tbENKUlT_T0_E_clISt17integral_constantIbLb1EES15_EEDaS10_S11_EUlS10_E_NS1_11comp_targetILNS1_3genE8ELNS1_11target_archE1030ELNS1_3gpuE2ELNS1_3repE0EEENS1_30default_config_static_selectorELNS0_4arch9wavefront6targetE1EEEvT1_,"axG",@progbits,_ZN7rocprim17ROCPRIM_400000_NS6detail17trampoline_kernelINS0_14default_configENS1_29reduce_by_key_config_selectorIN3c108BFloat16ElN6thrust23THRUST_200600_302600_NS4plusIlEEEEZZNS1_33reduce_by_key_impl_wrapped_configILNS1_25lookback_scan_determinismE0ES3_SB_PS6_NS8_17constant_iteratorIiNS8_11use_defaultESG_EENS8_10device_ptrIS6_EENSI_IlEEPmSA_NS8_8equal_toIS6_EEEE10hipError_tPvRmT2_T3_mT4_T5_T6_T7_T8_P12ihipStream_tbENKUlT_T0_E_clISt17integral_constantIbLb1EES15_EEDaS10_S11_EUlS10_E_NS1_11comp_targetILNS1_3genE8ELNS1_11target_archE1030ELNS1_3gpuE2ELNS1_3repE0EEENS1_30default_config_static_selectorELNS0_4arch9wavefront6targetE1EEEvT1_,comdat
	.protected	_ZN7rocprim17ROCPRIM_400000_NS6detail17trampoline_kernelINS0_14default_configENS1_29reduce_by_key_config_selectorIN3c108BFloat16ElN6thrust23THRUST_200600_302600_NS4plusIlEEEEZZNS1_33reduce_by_key_impl_wrapped_configILNS1_25lookback_scan_determinismE0ES3_SB_PS6_NS8_17constant_iteratorIiNS8_11use_defaultESG_EENS8_10device_ptrIS6_EENSI_IlEEPmSA_NS8_8equal_toIS6_EEEE10hipError_tPvRmT2_T3_mT4_T5_T6_T7_T8_P12ihipStream_tbENKUlT_T0_E_clISt17integral_constantIbLb1EES15_EEDaS10_S11_EUlS10_E_NS1_11comp_targetILNS1_3genE8ELNS1_11target_archE1030ELNS1_3gpuE2ELNS1_3repE0EEENS1_30default_config_static_selectorELNS0_4arch9wavefront6targetE1EEEvT1_ ; -- Begin function _ZN7rocprim17ROCPRIM_400000_NS6detail17trampoline_kernelINS0_14default_configENS1_29reduce_by_key_config_selectorIN3c108BFloat16ElN6thrust23THRUST_200600_302600_NS4plusIlEEEEZZNS1_33reduce_by_key_impl_wrapped_configILNS1_25lookback_scan_determinismE0ES3_SB_PS6_NS8_17constant_iteratorIiNS8_11use_defaultESG_EENS8_10device_ptrIS6_EENSI_IlEEPmSA_NS8_8equal_toIS6_EEEE10hipError_tPvRmT2_T3_mT4_T5_T6_T7_T8_P12ihipStream_tbENKUlT_T0_E_clISt17integral_constantIbLb1EES15_EEDaS10_S11_EUlS10_E_NS1_11comp_targetILNS1_3genE8ELNS1_11target_archE1030ELNS1_3gpuE2ELNS1_3repE0EEENS1_30default_config_static_selectorELNS0_4arch9wavefront6targetE1EEEvT1_
	.globl	_ZN7rocprim17ROCPRIM_400000_NS6detail17trampoline_kernelINS0_14default_configENS1_29reduce_by_key_config_selectorIN3c108BFloat16ElN6thrust23THRUST_200600_302600_NS4plusIlEEEEZZNS1_33reduce_by_key_impl_wrapped_configILNS1_25lookback_scan_determinismE0ES3_SB_PS6_NS8_17constant_iteratorIiNS8_11use_defaultESG_EENS8_10device_ptrIS6_EENSI_IlEEPmSA_NS8_8equal_toIS6_EEEE10hipError_tPvRmT2_T3_mT4_T5_T6_T7_T8_P12ihipStream_tbENKUlT_T0_E_clISt17integral_constantIbLb1EES15_EEDaS10_S11_EUlS10_E_NS1_11comp_targetILNS1_3genE8ELNS1_11target_archE1030ELNS1_3gpuE2ELNS1_3repE0EEENS1_30default_config_static_selectorELNS0_4arch9wavefront6targetE1EEEvT1_
	.p2align	8
	.type	_ZN7rocprim17ROCPRIM_400000_NS6detail17trampoline_kernelINS0_14default_configENS1_29reduce_by_key_config_selectorIN3c108BFloat16ElN6thrust23THRUST_200600_302600_NS4plusIlEEEEZZNS1_33reduce_by_key_impl_wrapped_configILNS1_25lookback_scan_determinismE0ES3_SB_PS6_NS8_17constant_iteratorIiNS8_11use_defaultESG_EENS8_10device_ptrIS6_EENSI_IlEEPmSA_NS8_8equal_toIS6_EEEE10hipError_tPvRmT2_T3_mT4_T5_T6_T7_T8_P12ihipStream_tbENKUlT_T0_E_clISt17integral_constantIbLb1EES15_EEDaS10_S11_EUlS10_E_NS1_11comp_targetILNS1_3genE8ELNS1_11target_archE1030ELNS1_3gpuE2ELNS1_3repE0EEENS1_30default_config_static_selectorELNS0_4arch9wavefront6targetE1EEEvT1_,@function
_ZN7rocprim17ROCPRIM_400000_NS6detail17trampoline_kernelINS0_14default_configENS1_29reduce_by_key_config_selectorIN3c108BFloat16ElN6thrust23THRUST_200600_302600_NS4plusIlEEEEZZNS1_33reduce_by_key_impl_wrapped_configILNS1_25lookback_scan_determinismE0ES3_SB_PS6_NS8_17constant_iteratorIiNS8_11use_defaultESG_EENS8_10device_ptrIS6_EENSI_IlEEPmSA_NS8_8equal_toIS6_EEEE10hipError_tPvRmT2_T3_mT4_T5_T6_T7_T8_P12ihipStream_tbENKUlT_T0_E_clISt17integral_constantIbLb1EES15_EEDaS10_S11_EUlS10_E_NS1_11comp_targetILNS1_3genE8ELNS1_11target_archE1030ELNS1_3gpuE2ELNS1_3repE0EEENS1_30default_config_static_selectorELNS0_4arch9wavefront6targetE1EEEvT1_: ; @_ZN7rocprim17ROCPRIM_400000_NS6detail17trampoline_kernelINS0_14default_configENS1_29reduce_by_key_config_selectorIN3c108BFloat16ElN6thrust23THRUST_200600_302600_NS4plusIlEEEEZZNS1_33reduce_by_key_impl_wrapped_configILNS1_25lookback_scan_determinismE0ES3_SB_PS6_NS8_17constant_iteratorIiNS8_11use_defaultESG_EENS8_10device_ptrIS6_EENSI_IlEEPmSA_NS8_8equal_toIS6_EEEE10hipError_tPvRmT2_T3_mT4_T5_T6_T7_T8_P12ihipStream_tbENKUlT_T0_E_clISt17integral_constantIbLb1EES15_EEDaS10_S11_EUlS10_E_NS1_11comp_targetILNS1_3genE8ELNS1_11target_archE1030ELNS1_3gpuE2ELNS1_3repE0EEENS1_30default_config_static_selectorELNS0_4arch9wavefront6targetE1EEEvT1_
; %bb.0:
	.section	.rodata,"a",@progbits
	.p2align	6, 0x0
	.amdhsa_kernel _ZN7rocprim17ROCPRIM_400000_NS6detail17trampoline_kernelINS0_14default_configENS1_29reduce_by_key_config_selectorIN3c108BFloat16ElN6thrust23THRUST_200600_302600_NS4plusIlEEEEZZNS1_33reduce_by_key_impl_wrapped_configILNS1_25lookback_scan_determinismE0ES3_SB_PS6_NS8_17constant_iteratorIiNS8_11use_defaultESG_EENS8_10device_ptrIS6_EENSI_IlEEPmSA_NS8_8equal_toIS6_EEEE10hipError_tPvRmT2_T3_mT4_T5_T6_T7_T8_P12ihipStream_tbENKUlT_T0_E_clISt17integral_constantIbLb1EES15_EEDaS10_S11_EUlS10_E_NS1_11comp_targetILNS1_3genE8ELNS1_11target_archE1030ELNS1_3gpuE2ELNS1_3repE0EEENS1_30default_config_static_selectorELNS0_4arch9wavefront6targetE1EEEvT1_
		.amdhsa_group_segment_fixed_size 0
		.amdhsa_private_segment_fixed_size 0
		.amdhsa_kernarg_size 144
		.amdhsa_user_sgpr_count 6
		.amdhsa_user_sgpr_private_segment_buffer 1
		.amdhsa_user_sgpr_dispatch_ptr 0
		.amdhsa_user_sgpr_queue_ptr 0
		.amdhsa_user_sgpr_kernarg_segment_ptr 1
		.amdhsa_user_sgpr_dispatch_id 0
		.amdhsa_user_sgpr_flat_scratch_init 0
		.amdhsa_user_sgpr_private_segment_size 0
		.amdhsa_uses_dynamic_stack 0
		.amdhsa_system_sgpr_private_segment_wavefront_offset 0
		.amdhsa_system_sgpr_workgroup_id_x 1
		.amdhsa_system_sgpr_workgroup_id_y 0
		.amdhsa_system_sgpr_workgroup_id_z 0
		.amdhsa_system_sgpr_workgroup_info 0
		.amdhsa_system_vgpr_workitem_id 0
		.amdhsa_next_free_vgpr 1
		.amdhsa_next_free_sgpr 0
		.amdhsa_reserve_vcc 0
		.amdhsa_reserve_flat_scratch 0
		.amdhsa_float_round_mode_32 0
		.amdhsa_float_round_mode_16_64 0
		.amdhsa_float_denorm_mode_32 3
		.amdhsa_float_denorm_mode_16_64 3
		.amdhsa_dx10_clamp 1
		.amdhsa_ieee_mode 1
		.amdhsa_fp16_overflow 0
		.amdhsa_exception_fp_ieee_invalid_op 0
		.amdhsa_exception_fp_denorm_src 0
		.amdhsa_exception_fp_ieee_div_zero 0
		.amdhsa_exception_fp_ieee_overflow 0
		.amdhsa_exception_fp_ieee_underflow 0
		.amdhsa_exception_fp_ieee_inexact 0
		.amdhsa_exception_int_div_zero 0
	.end_amdhsa_kernel
	.section	.text._ZN7rocprim17ROCPRIM_400000_NS6detail17trampoline_kernelINS0_14default_configENS1_29reduce_by_key_config_selectorIN3c108BFloat16ElN6thrust23THRUST_200600_302600_NS4plusIlEEEEZZNS1_33reduce_by_key_impl_wrapped_configILNS1_25lookback_scan_determinismE0ES3_SB_PS6_NS8_17constant_iteratorIiNS8_11use_defaultESG_EENS8_10device_ptrIS6_EENSI_IlEEPmSA_NS8_8equal_toIS6_EEEE10hipError_tPvRmT2_T3_mT4_T5_T6_T7_T8_P12ihipStream_tbENKUlT_T0_E_clISt17integral_constantIbLb1EES15_EEDaS10_S11_EUlS10_E_NS1_11comp_targetILNS1_3genE8ELNS1_11target_archE1030ELNS1_3gpuE2ELNS1_3repE0EEENS1_30default_config_static_selectorELNS0_4arch9wavefront6targetE1EEEvT1_,"axG",@progbits,_ZN7rocprim17ROCPRIM_400000_NS6detail17trampoline_kernelINS0_14default_configENS1_29reduce_by_key_config_selectorIN3c108BFloat16ElN6thrust23THRUST_200600_302600_NS4plusIlEEEEZZNS1_33reduce_by_key_impl_wrapped_configILNS1_25lookback_scan_determinismE0ES3_SB_PS6_NS8_17constant_iteratorIiNS8_11use_defaultESG_EENS8_10device_ptrIS6_EENSI_IlEEPmSA_NS8_8equal_toIS6_EEEE10hipError_tPvRmT2_T3_mT4_T5_T6_T7_T8_P12ihipStream_tbENKUlT_T0_E_clISt17integral_constantIbLb1EES15_EEDaS10_S11_EUlS10_E_NS1_11comp_targetILNS1_3genE8ELNS1_11target_archE1030ELNS1_3gpuE2ELNS1_3repE0EEENS1_30default_config_static_selectorELNS0_4arch9wavefront6targetE1EEEvT1_,comdat
.Lfunc_end2069:
	.size	_ZN7rocprim17ROCPRIM_400000_NS6detail17trampoline_kernelINS0_14default_configENS1_29reduce_by_key_config_selectorIN3c108BFloat16ElN6thrust23THRUST_200600_302600_NS4plusIlEEEEZZNS1_33reduce_by_key_impl_wrapped_configILNS1_25lookback_scan_determinismE0ES3_SB_PS6_NS8_17constant_iteratorIiNS8_11use_defaultESG_EENS8_10device_ptrIS6_EENSI_IlEEPmSA_NS8_8equal_toIS6_EEEE10hipError_tPvRmT2_T3_mT4_T5_T6_T7_T8_P12ihipStream_tbENKUlT_T0_E_clISt17integral_constantIbLb1EES15_EEDaS10_S11_EUlS10_E_NS1_11comp_targetILNS1_3genE8ELNS1_11target_archE1030ELNS1_3gpuE2ELNS1_3repE0EEENS1_30default_config_static_selectorELNS0_4arch9wavefront6targetE1EEEvT1_, .Lfunc_end2069-_ZN7rocprim17ROCPRIM_400000_NS6detail17trampoline_kernelINS0_14default_configENS1_29reduce_by_key_config_selectorIN3c108BFloat16ElN6thrust23THRUST_200600_302600_NS4plusIlEEEEZZNS1_33reduce_by_key_impl_wrapped_configILNS1_25lookback_scan_determinismE0ES3_SB_PS6_NS8_17constant_iteratorIiNS8_11use_defaultESG_EENS8_10device_ptrIS6_EENSI_IlEEPmSA_NS8_8equal_toIS6_EEEE10hipError_tPvRmT2_T3_mT4_T5_T6_T7_T8_P12ihipStream_tbENKUlT_T0_E_clISt17integral_constantIbLb1EES15_EEDaS10_S11_EUlS10_E_NS1_11comp_targetILNS1_3genE8ELNS1_11target_archE1030ELNS1_3gpuE2ELNS1_3repE0EEENS1_30default_config_static_selectorELNS0_4arch9wavefront6targetE1EEEvT1_
                                        ; -- End function
	.set _ZN7rocprim17ROCPRIM_400000_NS6detail17trampoline_kernelINS0_14default_configENS1_29reduce_by_key_config_selectorIN3c108BFloat16ElN6thrust23THRUST_200600_302600_NS4plusIlEEEEZZNS1_33reduce_by_key_impl_wrapped_configILNS1_25lookback_scan_determinismE0ES3_SB_PS6_NS8_17constant_iteratorIiNS8_11use_defaultESG_EENS8_10device_ptrIS6_EENSI_IlEEPmSA_NS8_8equal_toIS6_EEEE10hipError_tPvRmT2_T3_mT4_T5_T6_T7_T8_P12ihipStream_tbENKUlT_T0_E_clISt17integral_constantIbLb1EES15_EEDaS10_S11_EUlS10_E_NS1_11comp_targetILNS1_3genE8ELNS1_11target_archE1030ELNS1_3gpuE2ELNS1_3repE0EEENS1_30default_config_static_selectorELNS0_4arch9wavefront6targetE1EEEvT1_.num_vgpr, 0
	.set _ZN7rocprim17ROCPRIM_400000_NS6detail17trampoline_kernelINS0_14default_configENS1_29reduce_by_key_config_selectorIN3c108BFloat16ElN6thrust23THRUST_200600_302600_NS4plusIlEEEEZZNS1_33reduce_by_key_impl_wrapped_configILNS1_25lookback_scan_determinismE0ES3_SB_PS6_NS8_17constant_iteratorIiNS8_11use_defaultESG_EENS8_10device_ptrIS6_EENSI_IlEEPmSA_NS8_8equal_toIS6_EEEE10hipError_tPvRmT2_T3_mT4_T5_T6_T7_T8_P12ihipStream_tbENKUlT_T0_E_clISt17integral_constantIbLb1EES15_EEDaS10_S11_EUlS10_E_NS1_11comp_targetILNS1_3genE8ELNS1_11target_archE1030ELNS1_3gpuE2ELNS1_3repE0EEENS1_30default_config_static_selectorELNS0_4arch9wavefront6targetE1EEEvT1_.num_agpr, 0
	.set _ZN7rocprim17ROCPRIM_400000_NS6detail17trampoline_kernelINS0_14default_configENS1_29reduce_by_key_config_selectorIN3c108BFloat16ElN6thrust23THRUST_200600_302600_NS4plusIlEEEEZZNS1_33reduce_by_key_impl_wrapped_configILNS1_25lookback_scan_determinismE0ES3_SB_PS6_NS8_17constant_iteratorIiNS8_11use_defaultESG_EENS8_10device_ptrIS6_EENSI_IlEEPmSA_NS8_8equal_toIS6_EEEE10hipError_tPvRmT2_T3_mT4_T5_T6_T7_T8_P12ihipStream_tbENKUlT_T0_E_clISt17integral_constantIbLb1EES15_EEDaS10_S11_EUlS10_E_NS1_11comp_targetILNS1_3genE8ELNS1_11target_archE1030ELNS1_3gpuE2ELNS1_3repE0EEENS1_30default_config_static_selectorELNS0_4arch9wavefront6targetE1EEEvT1_.numbered_sgpr, 0
	.set _ZN7rocprim17ROCPRIM_400000_NS6detail17trampoline_kernelINS0_14default_configENS1_29reduce_by_key_config_selectorIN3c108BFloat16ElN6thrust23THRUST_200600_302600_NS4plusIlEEEEZZNS1_33reduce_by_key_impl_wrapped_configILNS1_25lookback_scan_determinismE0ES3_SB_PS6_NS8_17constant_iteratorIiNS8_11use_defaultESG_EENS8_10device_ptrIS6_EENSI_IlEEPmSA_NS8_8equal_toIS6_EEEE10hipError_tPvRmT2_T3_mT4_T5_T6_T7_T8_P12ihipStream_tbENKUlT_T0_E_clISt17integral_constantIbLb1EES15_EEDaS10_S11_EUlS10_E_NS1_11comp_targetILNS1_3genE8ELNS1_11target_archE1030ELNS1_3gpuE2ELNS1_3repE0EEENS1_30default_config_static_selectorELNS0_4arch9wavefront6targetE1EEEvT1_.num_named_barrier, 0
	.set _ZN7rocprim17ROCPRIM_400000_NS6detail17trampoline_kernelINS0_14default_configENS1_29reduce_by_key_config_selectorIN3c108BFloat16ElN6thrust23THRUST_200600_302600_NS4plusIlEEEEZZNS1_33reduce_by_key_impl_wrapped_configILNS1_25lookback_scan_determinismE0ES3_SB_PS6_NS8_17constant_iteratorIiNS8_11use_defaultESG_EENS8_10device_ptrIS6_EENSI_IlEEPmSA_NS8_8equal_toIS6_EEEE10hipError_tPvRmT2_T3_mT4_T5_T6_T7_T8_P12ihipStream_tbENKUlT_T0_E_clISt17integral_constantIbLb1EES15_EEDaS10_S11_EUlS10_E_NS1_11comp_targetILNS1_3genE8ELNS1_11target_archE1030ELNS1_3gpuE2ELNS1_3repE0EEENS1_30default_config_static_selectorELNS0_4arch9wavefront6targetE1EEEvT1_.private_seg_size, 0
	.set _ZN7rocprim17ROCPRIM_400000_NS6detail17trampoline_kernelINS0_14default_configENS1_29reduce_by_key_config_selectorIN3c108BFloat16ElN6thrust23THRUST_200600_302600_NS4plusIlEEEEZZNS1_33reduce_by_key_impl_wrapped_configILNS1_25lookback_scan_determinismE0ES3_SB_PS6_NS8_17constant_iteratorIiNS8_11use_defaultESG_EENS8_10device_ptrIS6_EENSI_IlEEPmSA_NS8_8equal_toIS6_EEEE10hipError_tPvRmT2_T3_mT4_T5_T6_T7_T8_P12ihipStream_tbENKUlT_T0_E_clISt17integral_constantIbLb1EES15_EEDaS10_S11_EUlS10_E_NS1_11comp_targetILNS1_3genE8ELNS1_11target_archE1030ELNS1_3gpuE2ELNS1_3repE0EEENS1_30default_config_static_selectorELNS0_4arch9wavefront6targetE1EEEvT1_.uses_vcc, 0
	.set _ZN7rocprim17ROCPRIM_400000_NS6detail17trampoline_kernelINS0_14default_configENS1_29reduce_by_key_config_selectorIN3c108BFloat16ElN6thrust23THRUST_200600_302600_NS4plusIlEEEEZZNS1_33reduce_by_key_impl_wrapped_configILNS1_25lookback_scan_determinismE0ES3_SB_PS6_NS8_17constant_iteratorIiNS8_11use_defaultESG_EENS8_10device_ptrIS6_EENSI_IlEEPmSA_NS8_8equal_toIS6_EEEE10hipError_tPvRmT2_T3_mT4_T5_T6_T7_T8_P12ihipStream_tbENKUlT_T0_E_clISt17integral_constantIbLb1EES15_EEDaS10_S11_EUlS10_E_NS1_11comp_targetILNS1_3genE8ELNS1_11target_archE1030ELNS1_3gpuE2ELNS1_3repE0EEENS1_30default_config_static_selectorELNS0_4arch9wavefront6targetE1EEEvT1_.uses_flat_scratch, 0
	.set _ZN7rocprim17ROCPRIM_400000_NS6detail17trampoline_kernelINS0_14default_configENS1_29reduce_by_key_config_selectorIN3c108BFloat16ElN6thrust23THRUST_200600_302600_NS4plusIlEEEEZZNS1_33reduce_by_key_impl_wrapped_configILNS1_25lookback_scan_determinismE0ES3_SB_PS6_NS8_17constant_iteratorIiNS8_11use_defaultESG_EENS8_10device_ptrIS6_EENSI_IlEEPmSA_NS8_8equal_toIS6_EEEE10hipError_tPvRmT2_T3_mT4_T5_T6_T7_T8_P12ihipStream_tbENKUlT_T0_E_clISt17integral_constantIbLb1EES15_EEDaS10_S11_EUlS10_E_NS1_11comp_targetILNS1_3genE8ELNS1_11target_archE1030ELNS1_3gpuE2ELNS1_3repE0EEENS1_30default_config_static_selectorELNS0_4arch9wavefront6targetE1EEEvT1_.has_dyn_sized_stack, 0
	.set _ZN7rocprim17ROCPRIM_400000_NS6detail17trampoline_kernelINS0_14default_configENS1_29reduce_by_key_config_selectorIN3c108BFloat16ElN6thrust23THRUST_200600_302600_NS4plusIlEEEEZZNS1_33reduce_by_key_impl_wrapped_configILNS1_25lookback_scan_determinismE0ES3_SB_PS6_NS8_17constant_iteratorIiNS8_11use_defaultESG_EENS8_10device_ptrIS6_EENSI_IlEEPmSA_NS8_8equal_toIS6_EEEE10hipError_tPvRmT2_T3_mT4_T5_T6_T7_T8_P12ihipStream_tbENKUlT_T0_E_clISt17integral_constantIbLb1EES15_EEDaS10_S11_EUlS10_E_NS1_11comp_targetILNS1_3genE8ELNS1_11target_archE1030ELNS1_3gpuE2ELNS1_3repE0EEENS1_30default_config_static_selectorELNS0_4arch9wavefront6targetE1EEEvT1_.has_recursion, 0
	.set _ZN7rocprim17ROCPRIM_400000_NS6detail17trampoline_kernelINS0_14default_configENS1_29reduce_by_key_config_selectorIN3c108BFloat16ElN6thrust23THRUST_200600_302600_NS4plusIlEEEEZZNS1_33reduce_by_key_impl_wrapped_configILNS1_25lookback_scan_determinismE0ES3_SB_PS6_NS8_17constant_iteratorIiNS8_11use_defaultESG_EENS8_10device_ptrIS6_EENSI_IlEEPmSA_NS8_8equal_toIS6_EEEE10hipError_tPvRmT2_T3_mT4_T5_T6_T7_T8_P12ihipStream_tbENKUlT_T0_E_clISt17integral_constantIbLb1EES15_EEDaS10_S11_EUlS10_E_NS1_11comp_targetILNS1_3genE8ELNS1_11target_archE1030ELNS1_3gpuE2ELNS1_3repE0EEENS1_30default_config_static_selectorELNS0_4arch9wavefront6targetE1EEEvT1_.has_indirect_call, 0
	.section	.AMDGPU.csdata,"",@progbits
; Kernel info:
; codeLenInByte = 0
; TotalNumSgprs: 4
; NumVgprs: 0
; ScratchSize: 0
; MemoryBound: 0
; FloatMode: 240
; IeeeMode: 1
; LDSByteSize: 0 bytes/workgroup (compile time only)
; SGPRBlocks: 0
; VGPRBlocks: 0
; NumSGPRsForWavesPerEU: 4
; NumVGPRsForWavesPerEU: 1
; Occupancy: 10
; WaveLimiterHint : 0
; COMPUTE_PGM_RSRC2:SCRATCH_EN: 0
; COMPUTE_PGM_RSRC2:USER_SGPR: 6
; COMPUTE_PGM_RSRC2:TRAP_HANDLER: 0
; COMPUTE_PGM_RSRC2:TGID_X_EN: 1
; COMPUTE_PGM_RSRC2:TGID_Y_EN: 0
; COMPUTE_PGM_RSRC2:TGID_Z_EN: 0
; COMPUTE_PGM_RSRC2:TIDIG_COMP_CNT: 0
	.section	.text._ZN7rocprim17ROCPRIM_400000_NS6detail17trampoline_kernelINS0_14default_configENS1_29reduce_by_key_config_selectorIN3c108BFloat16ElN6thrust23THRUST_200600_302600_NS4plusIlEEEEZZNS1_33reduce_by_key_impl_wrapped_configILNS1_25lookback_scan_determinismE0ES3_SB_PS6_NS8_17constant_iteratorIiNS8_11use_defaultESG_EENS8_10device_ptrIS6_EENSI_IlEEPmSA_NS8_8equal_toIS6_EEEE10hipError_tPvRmT2_T3_mT4_T5_T6_T7_T8_P12ihipStream_tbENKUlT_T0_E_clISt17integral_constantIbLb1EES14_IbLb0EEEEDaS10_S11_EUlS10_E_NS1_11comp_targetILNS1_3genE0ELNS1_11target_archE4294967295ELNS1_3gpuE0ELNS1_3repE0EEENS1_30default_config_static_selectorELNS0_4arch9wavefront6targetE1EEEvT1_,"axG",@progbits,_ZN7rocprim17ROCPRIM_400000_NS6detail17trampoline_kernelINS0_14default_configENS1_29reduce_by_key_config_selectorIN3c108BFloat16ElN6thrust23THRUST_200600_302600_NS4plusIlEEEEZZNS1_33reduce_by_key_impl_wrapped_configILNS1_25lookback_scan_determinismE0ES3_SB_PS6_NS8_17constant_iteratorIiNS8_11use_defaultESG_EENS8_10device_ptrIS6_EENSI_IlEEPmSA_NS8_8equal_toIS6_EEEE10hipError_tPvRmT2_T3_mT4_T5_T6_T7_T8_P12ihipStream_tbENKUlT_T0_E_clISt17integral_constantIbLb1EES14_IbLb0EEEEDaS10_S11_EUlS10_E_NS1_11comp_targetILNS1_3genE0ELNS1_11target_archE4294967295ELNS1_3gpuE0ELNS1_3repE0EEENS1_30default_config_static_selectorELNS0_4arch9wavefront6targetE1EEEvT1_,comdat
	.protected	_ZN7rocprim17ROCPRIM_400000_NS6detail17trampoline_kernelINS0_14default_configENS1_29reduce_by_key_config_selectorIN3c108BFloat16ElN6thrust23THRUST_200600_302600_NS4plusIlEEEEZZNS1_33reduce_by_key_impl_wrapped_configILNS1_25lookback_scan_determinismE0ES3_SB_PS6_NS8_17constant_iteratorIiNS8_11use_defaultESG_EENS8_10device_ptrIS6_EENSI_IlEEPmSA_NS8_8equal_toIS6_EEEE10hipError_tPvRmT2_T3_mT4_T5_T6_T7_T8_P12ihipStream_tbENKUlT_T0_E_clISt17integral_constantIbLb1EES14_IbLb0EEEEDaS10_S11_EUlS10_E_NS1_11comp_targetILNS1_3genE0ELNS1_11target_archE4294967295ELNS1_3gpuE0ELNS1_3repE0EEENS1_30default_config_static_selectorELNS0_4arch9wavefront6targetE1EEEvT1_ ; -- Begin function _ZN7rocprim17ROCPRIM_400000_NS6detail17trampoline_kernelINS0_14default_configENS1_29reduce_by_key_config_selectorIN3c108BFloat16ElN6thrust23THRUST_200600_302600_NS4plusIlEEEEZZNS1_33reduce_by_key_impl_wrapped_configILNS1_25lookback_scan_determinismE0ES3_SB_PS6_NS8_17constant_iteratorIiNS8_11use_defaultESG_EENS8_10device_ptrIS6_EENSI_IlEEPmSA_NS8_8equal_toIS6_EEEE10hipError_tPvRmT2_T3_mT4_T5_T6_T7_T8_P12ihipStream_tbENKUlT_T0_E_clISt17integral_constantIbLb1EES14_IbLb0EEEEDaS10_S11_EUlS10_E_NS1_11comp_targetILNS1_3genE0ELNS1_11target_archE4294967295ELNS1_3gpuE0ELNS1_3repE0EEENS1_30default_config_static_selectorELNS0_4arch9wavefront6targetE1EEEvT1_
	.globl	_ZN7rocprim17ROCPRIM_400000_NS6detail17trampoline_kernelINS0_14default_configENS1_29reduce_by_key_config_selectorIN3c108BFloat16ElN6thrust23THRUST_200600_302600_NS4plusIlEEEEZZNS1_33reduce_by_key_impl_wrapped_configILNS1_25lookback_scan_determinismE0ES3_SB_PS6_NS8_17constant_iteratorIiNS8_11use_defaultESG_EENS8_10device_ptrIS6_EENSI_IlEEPmSA_NS8_8equal_toIS6_EEEE10hipError_tPvRmT2_T3_mT4_T5_T6_T7_T8_P12ihipStream_tbENKUlT_T0_E_clISt17integral_constantIbLb1EES14_IbLb0EEEEDaS10_S11_EUlS10_E_NS1_11comp_targetILNS1_3genE0ELNS1_11target_archE4294967295ELNS1_3gpuE0ELNS1_3repE0EEENS1_30default_config_static_selectorELNS0_4arch9wavefront6targetE1EEEvT1_
	.p2align	8
	.type	_ZN7rocprim17ROCPRIM_400000_NS6detail17trampoline_kernelINS0_14default_configENS1_29reduce_by_key_config_selectorIN3c108BFloat16ElN6thrust23THRUST_200600_302600_NS4plusIlEEEEZZNS1_33reduce_by_key_impl_wrapped_configILNS1_25lookback_scan_determinismE0ES3_SB_PS6_NS8_17constant_iteratorIiNS8_11use_defaultESG_EENS8_10device_ptrIS6_EENSI_IlEEPmSA_NS8_8equal_toIS6_EEEE10hipError_tPvRmT2_T3_mT4_T5_T6_T7_T8_P12ihipStream_tbENKUlT_T0_E_clISt17integral_constantIbLb1EES14_IbLb0EEEEDaS10_S11_EUlS10_E_NS1_11comp_targetILNS1_3genE0ELNS1_11target_archE4294967295ELNS1_3gpuE0ELNS1_3repE0EEENS1_30default_config_static_selectorELNS0_4arch9wavefront6targetE1EEEvT1_,@function
_ZN7rocprim17ROCPRIM_400000_NS6detail17trampoline_kernelINS0_14default_configENS1_29reduce_by_key_config_selectorIN3c108BFloat16ElN6thrust23THRUST_200600_302600_NS4plusIlEEEEZZNS1_33reduce_by_key_impl_wrapped_configILNS1_25lookback_scan_determinismE0ES3_SB_PS6_NS8_17constant_iteratorIiNS8_11use_defaultESG_EENS8_10device_ptrIS6_EENSI_IlEEPmSA_NS8_8equal_toIS6_EEEE10hipError_tPvRmT2_T3_mT4_T5_T6_T7_T8_P12ihipStream_tbENKUlT_T0_E_clISt17integral_constantIbLb1EES14_IbLb0EEEEDaS10_S11_EUlS10_E_NS1_11comp_targetILNS1_3genE0ELNS1_11target_archE4294967295ELNS1_3gpuE0ELNS1_3repE0EEENS1_30default_config_static_selectorELNS0_4arch9wavefront6targetE1EEEvT1_: ; @_ZN7rocprim17ROCPRIM_400000_NS6detail17trampoline_kernelINS0_14default_configENS1_29reduce_by_key_config_selectorIN3c108BFloat16ElN6thrust23THRUST_200600_302600_NS4plusIlEEEEZZNS1_33reduce_by_key_impl_wrapped_configILNS1_25lookback_scan_determinismE0ES3_SB_PS6_NS8_17constant_iteratorIiNS8_11use_defaultESG_EENS8_10device_ptrIS6_EENSI_IlEEPmSA_NS8_8equal_toIS6_EEEE10hipError_tPvRmT2_T3_mT4_T5_T6_T7_T8_P12ihipStream_tbENKUlT_T0_E_clISt17integral_constantIbLb1EES14_IbLb0EEEEDaS10_S11_EUlS10_E_NS1_11comp_targetILNS1_3genE0ELNS1_11target_archE4294967295ELNS1_3gpuE0ELNS1_3repE0EEENS1_30default_config_static_selectorELNS0_4arch9wavefront6targetE1EEEvT1_
; %bb.0:
	.section	.rodata,"a",@progbits
	.p2align	6, 0x0
	.amdhsa_kernel _ZN7rocprim17ROCPRIM_400000_NS6detail17trampoline_kernelINS0_14default_configENS1_29reduce_by_key_config_selectorIN3c108BFloat16ElN6thrust23THRUST_200600_302600_NS4plusIlEEEEZZNS1_33reduce_by_key_impl_wrapped_configILNS1_25lookback_scan_determinismE0ES3_SB_PS6_NS8_17constant_iteratorIiNS8_11use_defaultESG_EENS8_10device_ptrIS6_EENSI_IlEEPmSA_NS8_8equal_toIS6_EEEE10hipError_tPvRmT2_T3_mT4_T5_T6_T7_T8_P12ihipStream_tbENKUlT_T0_E_clISt17integral_constantIbLb1EES14_IbLb0EEEEDaS10_S11_EUlS10_E_NS1_11comp_targetILNS1_3genE0ELNS1_11target_archE4294967295ELNS1_3gpuE0ELNS1_3repE0EEENS1_30default_config_static_selectorELNS0_4arch9wavefront6targetE1EEEvT1_
		.amdhsa_group_segment_fixed_size 0
		.amdhsa_private_segment_fixed_size 0
		.amdhsa_kernarg_size 144
		.amdhsa_user_sgpr_count 6
		.amdhsa_user_sgpr_private_segment_buffer 1
		.amdhsa_user_sgpr_dispatch_ptr 0
		.amdhsa_user_sgpr_queue_ptr 0
		.amdhsa_user_sgpr_kernarg_segment_ptr 1
		.amdhsa_user_sgpr_dispatch_id 0
		.amdhsa_user_sgpr_flat_scratch_init 0
		.amdhsa_user_sgpr_private_segment_size 0
		.amdhsa_uses_dynamic_stack 0
		.amdhsa_system_sgpr_private_segment_wavefront_offset 0
		.amdhsa_system_sgpr_workgroup_id_x 1
		.amdhsa_system_sgpr_workgroup_id_y 0
		.amdhsa_system_sgpr_workgroup_id_z 0
		.amdhsa_system_sgpr_workgroup_info 0
		.amdhsa_system_vgpr_workitem_id 0
		.amdhsa_next_free_vgpr 1
		.amdhsa_next_free_sgpr 0
		.amdhsa_reserve_vcc 0
		.amdhsa_reserve_flat_scratch 0
		.amdhsa_float_round_mode_32 0
		.amdhsa_float_round_mode_16_64 0
		.amdhsa_float_denorm_mode_32 3
		.amdhsa_float_denorm_mode_16_64 3
		.amdhsa_dx10_clamp 1
		.amdhsa_ieee_mode 1
		.amdhsa_fp16_overflow 0
		.amdhsa_exception_fp_ieee_invalid_op 0
		.amdhsa_exception_fp_denorm_src 0
		.amdhsa_exception_fp_ieee_div_zero 0
		.amdhsa_exception_fp_ieee_overflow 0
		.amdhsa_exception_fp_ieee_underflow 0
		.amdhsa_exception_fp_ieee_inexact 0
		.amdhsa_exception_int_div_zero 0
	.end_amdhsa_kernel
	.section	.text._ZN7rocprim17ROCPRIM_400000_NS6detail17trampoline_kernelINS0_14default_configENS1_29reduce_by_key_config_selectorIN3c108BFloat16ElN6thrust23THRUST_200600_302600_NS4plusIlEEEEZZNS1_33reduce_by_key_impl_wrapped_configILNS1_25lookback_scan_determinismE0ES3_SB_PS6_NS8_17constant_iteratorIiNS8_11use_defaultESG_EENS8_10device_ptrIS6_EENSI_IlEEPmSA_NS8_8equal_toIS6_EEEE10hipError_tPvRmT2_T3_mT4_T5_T6_T7_T8_P12ihipStream_tbENKUlT_T0_E_clISt17integral_constantIbLb1EES14_IbLb0EEEEDaS10_S11_EUlS10_E_NS1_11comp_targetILNS1_3genE0ELNS1_11target_archE4294967295ELNS1_3gpuE0ELNS1_3repE0EEENS1_30default_config_static_selectorELNS0_4arch9wavefront6targetE1EEEvT1_,"axG",@progbits,_ZN7rocprim17ROCPRIM_400000_NS6detail17trampoline_kernelINS0_14default_configENS1_29reduce_by_key_config_selectorIN3c108BFloat16ElN6thrust23THRUST_200600_302600_NS4plusIlEEEEZZNS1_33reduce_by_key_impl_wrapped_configILNS1_25lookback_scan_determinismE0ES3_SB_PS6_NS8_17constant_iteratorIiNS8_11use_defaultESG_EENS8_10device_ptrIS6_EENSI_IlEEPmSA_NS8_8equal_toIS6_EEEE10hipError_tPvRmT2_T3_mT4_T5_T6_T7_T8_P12ihipStream_tbENKUlT_T0_E_clISt17integral_constantIbLb1EES14_IbLb0EEEEDaS10_S11_EUlS10_E_NS1_11comp_targetILNS1_3genE0ELNS1_11target_archE4294967295ELNS1_3gpuE0ELNS1_3repE0EEENS1_30default_config_static_selectorELNS0_4arch9wavefront6targetE1EEEvT1_,comdat
.Lfunc_end2070:
	.size	_ZN7rocprim17ROCPRIM_400000_NS6detail17trampoline_kernelINS0_14default_configENS1_29reduce_by_key_config_selectorIN3c108BFloat16ElN6thrust23THRUST_200600_302600_NS4plusIlEEEEZZNS1_33reduce_by_key_impl_wrapped_configILNS1_25lookback_scan_determinismE0ES3_SB_PS6_NS8_17constant_iteratorIiNS8_11use_defaultESG_EENS8_10device_ptrIS6_EENSI_IlEEPmSA_NS8_8equal_toIS6_EEEE10hipError_tPvRmT2_T3_mT4_T5_T6_T7_T8_P12ihipStream_tbENKUlT_T0_E_clISt17integral_constantIbLb1EES14_IbLb0EEEEDaS10_S11_EUlS10_E_NS1_11comp_targetILNS1_3genE0ELNS1_11target_archE4294967295ELNS1_3gpuE0ELNS1_3repE0EEENS1_30default_config_static_selectorELNS0_4arch9wavefront6targetE1EEEvT1_, .Lfunc_end2070-_ZN7rocprim17ROCPRIM_400000_NS6detail17trampoline_kernelINS0_14default_configENS1_29reduce_by_key_config_selectorIN3c108BFloat16ElN6thrust23THRUST_200600_302600_NS4plusIlEEEEZZNS1_33reduce_by_key_impl_wrapped_configILNS1_25lookback_scan_determinismE0ES3_SB_PS6_NS8_17constant_iteratorIiNS8_11use_defaultESG_EENS8_10device_ptrIS6_EENSI_IlEEPmSA_NS8_8equal_toIS6_EEEE10hipError_tPvRmT2_T3_mT4_T5_T6_T7_T8_P12ihipStream_tbENKUlT_T0_E_clISt17integral_constantIbLb1EES14_IbLb0EEEEDaS10_S11_EUlS10_E_NS1_11comp_targetILNS1_3genE0ELNS1_11target_archE4294967295ELNS1_3gpuE0ELNS1_3repE0EEENS1_30default_config_static_selectorELNS0_4arch9wavefront6targetE1EEEvT1_
                                        ; -- End function
	.set _ZN7rocprim17ROCPRIM_400000_NS6detail17trampoline_kernelINS0_14default_configENS1_29reduce_by_key_config_selectorIN3c108BFloat16ElN6thrust23THRUST_200600_302600_NS4plusIlEEEEZZNS1_33reduce_by_key_impl_wrapped_configILNS1_25lookback_scan_determinismE0ES3_SB_PS6_NS8_17constant_iteratorIiNS8_11use_defaultESG_EENS8_10device_ptrIS6_EENSI_IlEEPmSA_NS8_8equal_toIS6_EEEE10hipError_tPvRmT2_T3_mT4_T5_T6_T7_T8_P12ihipStream_tbENKUlT_T0_E_clISt17integral_constantIbLb1EES14_IbLb0EEEEDaS10_S11_EUlS10_E_NS1_11comp_targetILNS1_3genE0ELNS1_11target_archE4294967295ELNS1_3gpuE0ELNS1_3repE0EEENS1_30default_config_static_selectorELNS0_4arch9wavefront6targetE1EEEvT1_.num_vgpr, 0
	.set _ZN7rocprim17ROCPRIM_400000_NS6detail17trampoline_kernelINS0_14default_configENS1_29reduce_by_key_config_selectorIN3c108BFloat16ElN6thrust23THRUST_200600_302600_NS4plusIlEEEEZZNS1_33reduce_by_key_impl_wrapped_configILNS1_25lookback_scan_determinismE0ES3_SB_PS6_NS8_17constant_iteratorIiNS8_11use_defaultESG_EENS8_10device_ptrIS6_EENSI_IlEEPmSA_NS8_8equal_toIS6_EEEE10hipError_tPvRmT2_T3_mT4_T5_T6_T7_T8_P12ihipStream_tbENKUlT_T0_E_clISt17integral_constantIbLb1EES14_IbLb0EEEEDaS10_S11_EUlS10_E_NS1_11comp_targetILNS1_3genE0ELNS1_11target_archE4294967295ELNS1_3gpuE0ELNS1_3repE0EEENS1_30default_config_static_selectorELNS0_4arch9wavefront6targetE1EEEvT1_.num_agpr, 0
	.set _ZN7rocprim17ROCPRIM_400000_NS6detail17trampoline_kernelINS0_14default_configENS1_29reduce_by_key_config_selectorIN3c108BFloat16ElN6thrust23THRUST_200600_302600_NS4plusIlEEEEZZNS1_33reduce_by_key_impl_wrapped_configILNS1_25lookback_scan_determinismE0ES3_SB_PS6_NS8_17constant_iteratorIiNS8_11use_defaultESG_EENS8_10device_ptrIS6_EENSI_IlEEPmSA_NS8_8equal_toIS6_EEEE10hipError_tPvRmT2_T3_mT4_T5_T6_T7_T8_P12ihipStream_tbENKUlT_T0_E_clISt17integral_constantIbLb1EES14_IbLb0EEEEDaS10_S11_EUlS10_E_NS1_11comp_targetILNS1_3genE0ELNS1_11target_archE4294967295ELNS1_3gpuE0ELNS1_3repE0EEENS1_30default_config_static_selectorELNS0_4arch9wavefront6targetE1EEEvT1_.numbered_sgpr, 0
	.set _ZN7rocprim17ROCPRIM_400000_NS6detail17trampoline_kernelINS0_14default_configENS1_29reduce_by_key_config_selectorIN3c108BFloat16ElN6thrust23THRUST_200600_302600_NS4plusIlEEEEZZNS1_33reduce_by_key_impl_wrapped_configILNS1_25lookback_scan_determinismE0ES3_SB_PS6_NS8_17constant_iteratorIiNS8_11use_defaultESG_EENS8_10device_ptrIS6_EENSI_IlEEPmSA_NS8_8equal_toIS6_EEEE10hipError_tPvRmT2_T3_mT4_T5_T6_T7_T8_P12ihipStream_tbENKUlT_T0_E_clISt17integral_constantIbLb1EES14_IbLb0EEEEDaS10_S11_EUlS10_E_NS1_11comp_targetILNS1_3genE0ELNS1_11target_archE4294967295ELNS1_3gpuE0ELNS1_3repE0EEENS1_30default_config_static_selectorELNS0_4arch9wavefront6targetE1EEEvT1_.num_named_barrier, 0
	.set _ZN7rocprim17ROCPRIM_400000_NS6detail17trampoline_kernelINS0_14default_configENS1_29reduce_by_key_config_selectorIN3c108BFloat16ElN6thrust23THRUST_200600_302600_NS4plusIlEEEEZZNS1_33reduce_by_key_impl_wrapped_configILNS1_25lookback_scan_determinismE0ES3_SB_PS6_NS8_17constant_iteratorIiNS8_11use_defaultESG_EENS8_10device_ptrIS6_EENSI_IlEEPmSA_NS8_8equal_toIS6_EEEE10hipError_tPvRmT2_T3_mT4_T5_T6_T7_T8_P12ihipStream_tbENKUlT_T0_E_clISt17integral_constantIbLb1EES14_IbLb0EEEEDaS10_S11_EUlS10_E_NS1_11comp_targetILNS1_3genE0ELNS1_11target_archE4294967295ELNS1_3gpuE0ELNS1_3repE0EEENS1_30default_config_static_selectorELNS0_4arch9wavefront6targetE1EEEvT1_.private_seg_size, 0
	.set _ZN7rocprim17ROCPRIM_400000_NS6detail17trampoline_kernelINS0_14default_configENS1_29reduce_by_key_config_selectorIN3c108BFloat16ElN6thrust23THRUST_200600_302600_NS4plusIlEEEEZZNS1_33reduce_by_key_impl_wrapped_configILNS1_25lookback_scan_determinismE0ES3_SB_PS6_NS8_17constant_iteratorIiNS8_11use_defaultESG_EENS8_10device_ptrIS6_EENSI_IlEEPmSA_NS8_8equal_toIS6_EEEE10hipError_tPvRmT2_T3_mT4_T5_T6_T7_T8_P12ihipStream_tbENKUlT_T0_E_clISt17integral_constantIbLb1EES14_IbLb0EEEEDaS10_S11_EUlS10_E_NS1_11comp_targetILNS1_3genE0ELNS1_11target_archE4294967295ELNS1_3gpuE0ELNS1_3repE0EEENS1_30default_config_static_selectorELNS0_4arch9wavefront6targetE1EEEvT1_.uses_vcc, 0
	.set _ZN7rocprim17ROCPRIM_400000_NS6detail17trampoline_kernelINS0_14default_configENS1_29reduce_by_key_config_selectorIN3c108BFloat16ElN6thrust23THRUST_200600_302600_NS4plusIlEEEEZZNS1_33reduce_by_key_impl_wrapped_configILNS1_25lookback_scan_determinismE0ES3_SB_PS6_NS8_17constant_iteratorIiNS8_11use_defaultESG_EENS8_10device_ptrIS6_EENSI_IlEEPmSA_NS8_8equal_toIS6_EEEE10hipError_tPvRmT2_T3_mT4_T5_T6_T7_T8_P12ihipStream_tbENKUlT_T0_E_clISt17integral_constantIbLb1EES14_IbLb0EEEEDaS10_S11_EUlS10_E_NS1_11comp_targetILNS1_3genE0ELNS1_11target_archE4294967295ELNS1_3gpuE0ELNS1_3repE0EEENS1_30default_config_static_selectorELNS0_4arch9wavefront6targetE1EEEvT1_.uses_flat_scratch, 0
	.set _ZN7rocprim17ROCPRIM_400000_NS6detail17trampoline_kernelINS0_14default_configENS1_29reduce_by_key_config_selectorIN3c108BFloat16ElN6thrust23THRUST_200600_302600_NS4plusIlEEEEZZNS1_33reduce_by_key_impl_wrapped_configILNS1_25lookback_scan_determinismE0ES3_SB_PS6_NS8_17constant_iteratorIiNS8_11use_defaultESG_EENS8_10device_ptrIS6_EENSI_IlEEPmSA_NS8_8equal_toIS6_EEEE10hipError_tPvRmT2_T3_mT4_T5_T6_T7_T8_P12ihipStream_tbENKUlT_T0_E_clISt17integral_constantIbLb1EES14_IbLb0EEEEDaS10_S11_EUlS10_E_NS1_11comp_targetILNS1_3genE0ELNS1_11target_archE4294967295ELNS1_3gpuE0ELNS1_3repE0EEENS1_30default_config_static_selectorELNS0_4arch9wavefront6targetE1EEEvT1_.has_dyn_sized_stack, 0
	.set _ZN7rocprim17ROCPRIM_400000_NS6detail17trampoline_kernelINS0_14default_configENS1_29reduce_by_key_config_selectorIN3c108BFloat16ElN6thrust23THRUST_200600_302600_NS4plusIlEEEEZZNS1_33reduce_by_key_impl_wrapped_configILNS1_25lookback_scan_determinismE0ES3_SB_PS6_NS8_17constant_iteratorIiNS8_11use_defaultESG_EENS8_10device_ptrIS6_EENSI_IlEEPmSA_NS8_8equal_toIS6_EEEE10hipError_tPvRmT2_T3_mT4_T5_T6_T7_T8_P12ihipStream_tbENKUlT_T0_E_clISt17integral_constantIbLb1EES14_IbLb0EEEEDaS10_S11_EUlS10_E_NS1_11comp_targetILNS1_3genE0ELNS1_11target_archE4294967295ELNS1_3gpuE0ELNS1_3repE0EEENS1_30default_config_static_selectorELNS0_4arch9wavefront6targetE1EEEvT1_.has_recursion, 0
	.set _ZN7rocprim17ROCPRIM_400000_NS6detail17trampoline_kernelINS0_14default_configENS1_29reduce_by_key_config_selectorIN3c108BFloat16ElN6thrust23THRUST_200600_302600_NS4plusIlEEEEZZNS1_33reduce_by_key_impl_wrapped_configILNS1_25lookback_scan_determinismE0ES3_SB_PS6_NS8_17constant_iteratorIiNS8_11use_defaultESG_EENS8_10device_ptrIS6_EENSI_IlEEPmSA_NS8_8equal_toIS6_EEEE10hipError_tPvRmT2_T3_mT4_T5_T6_T7_T8_P12ihipStream_tbENKUlT_T0_E_clISt17integral_constantIbLb1EES14_IbLb0EEEEDaS10_S11_EUlS10_E_NS1_11comp_targetILNS1_3genE0ELNS1_11target_archE4294967295ELNS1_3gpuE0ELNS1_3repE0EEENS1_30default_config_static_selectorELNS0_4arch9wavefront6targetE1EEEvT1_.has_indirect_call, 0
	.section	.AMDGPU.csdata,"",@progbits
; Kernel info:
; codeLenInByte = 0
; TotalNumSgprs: 4
; NumVgprs: 0
; ScratchSize: 0
; MemoryBound: 0
; FloatMode: 240
; IeeeMode: 1
; LDSByteSize: 0 bytes/workgroup (compile time only)
; SGPRBlocks: 0
; VGPRBlocks: 0
; NumSGPRsForWavesPerEU: 4
; NumVGPRsForWavesPerEU: 1
; Occupancy: 10
; WaveLimiterHint : 0
; COMPUTE_PGM_RSRC2:SCRATCH_EN: 0
; COMPUTE_PGM_RSRC2:USER_SGPR: 6
; COMPUTE_PGM_RSRC2:TRAP_HANDLER: 0
; COMPUTE_PGM_RSRC2:TGID_X_EN: 1
; COMPUTE_PGM_RSRC2:TGID_Y_EN: 0
; COMPUTE_PGM_RSRC2:TGID_Z_EN: 0
; COMPUTE_PGM_RSRC2:TIDIG_COMP_CNT: 0
	.section	.text._ZN7rocprim17ROCPRIM_400000_NS6detail17trampoline_kernelINS0_14default_configENS1_29reduce_by_key_config_selectorIN3c108BFloat16ElN6thrust23THRUST_200600_302600_NS4plusIlEEEEZZNS1_33reduce_by_key_impl_wrapped_configILNS1_25lookback_scan_determinismE0ES3_SB_PS6_NS8_17constant_iteratorIiNS8_11use_defaultESG_EENS8_10device_ptrIS6_EENSI_IlEEPmSA_NS8_8equal_toIS6_EEEE10hipError_tPvRmT2_T3_mT4_T5_T6_T7_T8_P12ihipStream_tbENKUlT_T0_E_clISt17integral_constantIbLb1EES14_IbLb0EEEEDaS10_S11_EUlS10_E_NS1_11comp_targetILNS1_3genE5ELNS1_11target_archE942ELNS1_3gpuE9ELNS1_3repE0EEENS1_30default_config_static_selectorELNS0_4arch9wavefront6targetE1EEEvT1_,"axG",@progbits,_ZN7rocprim17ROCPRIM_400000_NS6detail17trampoline_kernelINS0_14default_configENS1_29reduce_by_key_config_selectorIN3c108BFloat16ElN6thrust23THRUST_200600_302600_NS4plusIlEEEEZZNS1_33reduce_by_key_impl_wrapped_configILNS1_25lookback_scan_determinismE0ES3_SB_PS6_NS8_17constant_iteratorIiNS8_11use_defaultESG_EENS8_10device_ptrIS6_EENSI_IlEEPmSA_NS8_8equal_toIS6_EEEE10hipError_tPvRmT2_T3_mT4_T5_T6_T7_T8_P12ihipStream_tbENKUlT_T0_E_clISt17integral_constantIbLb1EES14_IbLb0EEEEDaS10_S11_EUlS10_E_NS1_11comp_targetILNS1_3genE5ELNS1_11target_archE942ELNS1_3gpuE9ELNS1_3repE0EEENS1_30default_config_static_selectorELNS0_4arch9wavefront6targetE1EEEvT1_,comdat
	.protected	_ZN7rocprim17ROCPRIM_400000_NS6detail17trampoline_kernelINS0_14default_configENS1_29reduce_by_key_config_selectorIN3c108BFloat16ElN6thrust23THRUST_200600_302600_NS4plusIlEEEEZZNS1_33reduce_by_key_impl_wrapped_configILNS1_25lookback_scan_determinismE0ES3_SB_PS6_NS8_17constant_iteratorIiNS8_11use_defaultESG_EENS8_10device_ptrIS6_EENSI_IlEEPmSA_NS8_8equal_toIS6_EEEE10hipError_tPvRmT2_T3_mT4_T5_T6_T7_T8_P12ihipStream_tbENKUlT_T0_E_clISt17integral_constantIbLb1EES14_IbLb0EEEEDaS10_S11_EUlS10_E_NS1_11comp_targetILNS1_3genE5ELNS1_11target_archE942ELNS1_3gpuE9ELNS1_3repE0EEENS1_30default_config_static_selectorELNS0_4arch9wavefront6targetE1EEEvT1_ ; -- Begin function _ZN7rocprim17ROCPRIM_400000_NS6detail17trampoline_kernelINS0_14default_configENS1_29reduce_by_key_config_selectorIN3c108BFloat16ElN6thrust23THRUST_200600_302600_NS4plusIlEEEEZZNS1_33reduce_by_key_impl_wrapped_configILNS1_25lookback_scan_determinismE0ES3_SB_PS6_NS8_17constant_iteratorIiNS8_11use_defaultESG_EENS8_10device_ptrIS6_EENSI_IlEEPmSA_NS8_8equal_toIS6_EEEE10hipError_tPvRmT2_T3_mT4_T5_T6_T7_T8_P12ihipStream_tbENKUlT_T0_E_clISt17integral_constantIbLb1EES14_IbLb0EEEEDaS10_S11_EUlS10_E_NS1_11comp_targetILNS1_3genE5ELNS1_11target_archE942ELNS1_3gpuE9ELNS1_3repE0EEENS1_30default_config_static_selectorELNS0_4arch9wavefront6targetE1EEEvT1_
	.globl	_ZN7rocprim17ROCPRIM_400000_NS6detail17trampoline_kernelINS0_14default_configENS1_29reduce_by_key_config_selectorIN3c108BFloat16ElN6thrust23THRUST_200600_302600_NS4plusIlEEEEZZNS1_33reduce_by_key_impl_wrapped_configILNS1_25lookback_scan_determinismE0ES3_SB_PS6_NS8_17constant_iteratorIiNS8_11use_defaultESG_EENS8_10device_ptrIS6_EENSI_IlEEPmSA_NS8_8equal_toIS6_EEEE10hipError_tPvRmT2_T3_mT4_T5_T6_T7_T8_P12ihipStream_tbENKUlT_T0_E_clISt17integral_constantIbLb1EES14_IbLb0EEEEDaS10_S11_EUlS10_E_NS1_11comp_targetILNS1_3genE5ELNS1_11target_archE942ELNS1_3gpuE9ELNS1_3repE0EEENS1_30default_config_static_selectorELNS0_4arch9wavefront6targetE1EEEvT1_
	.p2align	8
	.type	_ZN7rocprim17ROCPRIM_400000_NS6detail17trampoline_kernelINS0_14default_configENS1_29reduce_by_key_config_selectorIN3c108BFloat16ElN6thrust23THRUST_200600_302600_NS4plusIlEEEEZZNS1_33reduce_by_key_impl_wrapped_configILNS1_25lookback_scan_determinismE0ES3_SB_PS6_NS8_17constant_iteratorIiNS8_11use_defaultESG_EENS8_10device_ptrIS6_EENSI_IlEEPmSA_NS8_8equal_toIS6_EEEE10hipError_tPvRmT2_T3_mT4_T5_T6_T7_T8_P12ihipStream_tbENKUlT_T0_E_clISt17integral_constantIbLb1EES14_IbLb0EEEEDaS10_S11_EUlS10_E_NS1_11comp_targetILNS1_3genE5ELNS1_11target_archE942ELNS1_3gpuE9ELNS1_3repE0EEENS1_30default_config_static_selectorELNS0_4arch9wavefront6targetE1EEEvT1_,@function
_ZN7rocprim17ROCPRIM_400000_NS6detail17trampoline_kernelINS0_14default_configENS1_29reduce_by_key_config_selectorIN3c108BFloat16ElN6thrust23THRUST_200600_302600_NS4plusIlEEEEZZNS1_33reduce_by_key_impl_wrapped_configILNS1_25lookback_scan_determinismE0ES3_SB_PS6_NS8_17constant_iteratorIiNS8_11use_defaultESG_EENS8_10device_ptrIS6_EENSI_IlEEPmSA_NS8_8equal_toIS6_EEEE10hipError_tPvRmT2_T3_mT4_T5_T6_T7_T8_P12ihipStream_tbENKUlT_T0_E_clISt17integral_constantIbLb1EES14_IbLb0EEEEDaS10_S11_EUlS10_E_NS1_11comp_targetILNS1_3genE5ELNS1_11target_archE942ELNS1_3gpuE9ELNS1_3repE0EEENS1_30default_config_static_selectorELNS0_4arch9wavefront6targetE1EEEvT1_: ; @_ZN7rocprim17ROCPRIM_400000_NS6detail17trampoline_kernelINS0_14default_configENS1_29reduce_by_key_config_selectorIN3c108BFloat16ElN6thrust23THRUST_200600_302600_NS4plusIlEEEEZZNS1_33reduce_by_key_impl_wrapped_configILNS1_25lookback_scan_determinismE0ES3_SB_PS6_NS8_17constant_iteratorIiNS8_11use_defaultESG_EENS8_10device_ptrIS6_EENSI_IlEEPmSA_NS8_8equal_toIS6_EEEE10hipError_tPvRmT2_T3_mT4_T5_T6_T7_T8_P12ihipStream_tbENKUlT_T0_E_clISt17integral_constantIbLb1EES14_IbLb0EEEEDaS10_S11_EUlS10_E_NS1_11comp_targetILNS1_3genE5ELNS1_11target_archE942ELNS1_3gpuE9ELNS1_3repE0EEENS1_30default_config_static_selectorELNS0_4arch9wavefront6targetE1EEEvT1_
; %bb.0:
	.section	.rodata,"a",@progbits
	.p2align	6, 0x0
	.amdhsa_kernel _ZN7rocprim17ROCPRIM_400000_NS6detail17trampoline_kernelINS0_14default_configENS1_29reduce_by_key_config_selectorIN3c108BFloat16ElN6thrust23THRUST_200600_302600_NS4plusIlEEEEZZNS1_33reduce_by_key_impl_wrapped_configILNS1_25lookback_scan_determinismE0ES3_SB_PS6_NS8_17constant_iteratorIiNS8_11use_defaultESG_EENS8_10device_ptrIS6_EENSI_IlEEPmSA_NS8_8equal_toIS6_EEEE10hipError_tPvRmT2_T3_mT4_T5_T6_T7_T8_P12ihipStream_tbENKUlT_T0_E_clISt17integral_constantIbLb1EES14_IbLb0EEEEDaS10_S11_EUlS10_E_NS1_11comp_targetILNS1_3genE5ELNS1_11target_archE942ELNS1_3gpuE9ELNS1_3repE0EEENS1_30default_config_static_selectorELNS0_4arch9wavefront6targetE1EEEvT1_
		.amdhsa_group_segment_fixed_size 0
		.amdhsa_private_segment_fixed_size 0
		.amdhsa_kernarg_size 144
		.amdhsa_user_sgpr_count 6
		.amdhsa_user_sgpr_private_segment_buffer 1
		.amdhsa_user_sgpr_dispatch_ptr 0
		.amdhsa_user_sgpr_queue_ptr 0
		.amdhsa_user_sgpr_kernarg_segment_ptr 1
		.amdhsa_user_sgpr_dispatch_id 0
		.amdhsa_user_sgpr_flat_scratch_init 0
		.amdhsa_user_sgpr_private_segment_size 0
		.amdhsa_uses_dynamic_stack 0
		.amdhsa_system_sgpr_private_segment_wavefront_offset 0
		.amdhsa_system_sgpr_workgroup_id_x 1
		.amdhsa_system_sgpr_workgroup_id_y 0
		.amdhsa_system_sgpr_workgroup_id_z 0
		.amdhsa_system_sgpr_workgroup_info 0
		.amdhsa_system_vgpr_workitem_id 0
		.amdhsa_next_free_vgpr 1
		.amdhsa_next_free_sgpr 0
		.amdhsa_reserve_vcc 0
		.amdhsa_reserve_flat_scratch 0
		.amdhsa_float_round_mode_32 0
		.amdhsa_float_round_mode_16_64 0
		.amdhsa_float_denorm_mode_32 3
		.amdhsa_float_denorm_mode_16_64 3
		.amdhsa_dx10_clamp 1
		.amdhsa_ieee_mode 1
		.amdhsa_fp16_overflow 0
		.amdhsa_exception_fp_ieee_invalid_op 0
		.amdhsa_exception_fp_denorm_src 0
		.amdhsa_exception_fp_ieee_div_zero 0
		.amdhsa_exception_fp_ieee_overflow 0
		.amdhsa_exception_fp_ieee_underflow 0
		.amdhsa_exception_fp_ieee_inexact 0
		.amdhsa_exception_int_div_zero 0
	.end_amdhsa_kernel
	.section	.text._ZN7rocprim17ROCPRIM_400000_NS6detail17trampoline_kernelINS0_14default_configENS1_29reduce_by_key_config_selectorIN3c108BFloat16ElN6thrust23THRUST_200600_302600_NS4plusIlEEEEZZNS1_33reduce_by_key_impl_wrapped_configILNS1_25lookback_scan_determinismE0ES3_SB_PS6_NS8_17constant_iteratorIiNS8_11use_defaultESG_EENS8_10device_ptrIS6_EENSI_IlEEPmSA_NS8_8equal_toIS6_EEEE10hipError_tPvRmT2_T3_mT4_T5_T6_T7_T8_P12ihipStream_tbENKUlT_T0_E_clISt17integral_constantIbLb1EES14_IbLb0EEEEDaS10_S11_EUlS10_E_NS1_11comp_targetILNS1_3genE5ELNS1_11target_archE942ELNS1_3gpuE9ELNS1_3repE0EEENS1_30default_config_static_selectorELNS0_4arch9wavefront6targetE1EEEvT1_,"axG",@progbits,_ZN7rocprim17ROCPRIM_400000_NS6detail17trampoline_kernelINS0_14default_configENS1_29reduce_by_key_config_selectorIN3c108BFloat16ElN6thrust23THRUST_200600_302600_NS4plusIlEEEEZZNS1_33reduce_by_key_impl_wrapped_configILNS1_25lookback_scan_determinismE0ES3_SB_PS6_NS8_17constant_iteratorIiNS8_11use_defaultESG_EENS8_10device_ptrIS6_EENSI_IlEEPmSA_NS8_8equal_toIS6_EEEE10hipError_tPvRmT2_T3_mT4_T5_T6_T7_T8_P12ihipStream_tbENKUlT_T0_E_clISt17integral_constantIbLb1EES14_IbLb0EEEEDaS10_S11_EUlS10_E_NS1_11comp_targetILNS1_3genE5ELNS1_11target_archE942ELNS1_3gpuE9ELNS1_3repE0EEENS1_30default_config_static_selectorELNS0_4arch9wavefront6targetE1EEEvT1_,comdat
.Lfunc_end2071:
	.size	_ZN7rocprim17ROCPRIM_400000_NS6detail17trampoline_kernelINS0_14default_configENS1_29reduce_by_key_config_selectorIN3c108BFloat16ElN6thrust23THRUST_200600_302600_NS4plusIlEEEEZZNS1_33reduce_by_key_impl_wrapped_configILNS1_25lookback_scan_determinismE0ES3_SB_PS6_NS8_17constant_iteratorIiNS8_11use_defaultESG_EENS8_10device_ptrIS6_EENSI_IlEEPmSA_NS8_8equal_toIS6_EEEE10hipError_tPvRmT2_T3_mT4_T5_T6_T7_T8_P12ihipStream_tbENKUlT_T0_E_clISt17integral_constantIbLb1EES14_IbLb0EEEEDaS10_S11_EUlS10_E_NS1_11comp_targetILNS1_3genE5ELNS1_11target_archE942ELNS1_3gpuE9ELNS1_3repE0EEENS1_30default_config_static_selectorELNS0_4arch9wavefront6targetE1EEEvT1_, .Lfunc_end2071-_ZN7rocprim17ROCPRIM_400000_NS6detail17trampoline_kernelINS0_14default_configENS1_29reduce_by_key_config_selectorIN3c108BFloat16ElN6thrust23THRUST_200600_302600_NS4plusIlEEEEZZNS1_33reduce_by_key_impl_wrapped_configILNS1_25lookback_scan_determinismE0ES3_SB_PS6_NS8_17constant_iteratorIiNS8_11use_defaultESG_EENS8_10device_ptrIS6_EENSI_IlEEPmSA_NS8_8equal_toIS6_EEEE10hipError_tPvRmT2_T3_mT4_T5_T6_T7_T8_P12ihipStream_tbENKUlT_T0_E_clISt17integral_constantIbLb1EES14_IbLb0EEEEDaS10_S11_EUlS10_E_NS1_11comp_targetILNS1_3genE5ELNS1_11target_archE942ELNS1_3gpuE9ELNS1_3repE0EEENS1_30default_config_static_selectorELNS0_4arch9wavefront6targetE1EEEvT1_
                                        ; -- End function
	.set _ZN7rocprim17ROCPRIM_400000_NS6detail17trampoline_kernelINS0_14default_configENS1_29reduce_by_key_config_selectorIN3c108BFloat16ElN6thrust23THRUST_200600_302600_NS4plusIlEEEEZZNS1_33reduce_by_key_impl_wrapped_configILNS1_25lookback_scan_determinismE0ES3_SB_PS6_NS8_17constant_iteratorIiNS8_11use_defaultESG_EENS8_10device_ptrIS6_EENSI_IlEEPmSA_NS8_8equal_toIS6_EEEE10hipError_tPvRmT2_T3_mT4_T5_T6_T7_T8_P12ihipStream_tbENKUlT_T0_E_clISt17integral_constantIbLb1EES14_IbLb0EEEEDaS10_S11_EUlS10_E_NS1_11comp_targetILNS1_3genE5ELNS1_11target_archE942ELNS1_3gpuE9ELNS1_3repE0EEENS1_30default_config_static_selectorELNS0_4arch9wavefront6targetE1EEEvT1_.num_vgpr, 0
	.set _ZN7rocprim17ROCPRIM_400000_NS6detail17trampoline_kernelINS0_14default_configENS1_29reduce_by_key_config_selectorIN3c108BFloat16ElN6thrust23THRUST_200600_302600_NS4plusIlEEEEZZNS1_33reduce_by_key_impl_wrapped_configILNS1_25lookback_scan_determinismE0ES3_SB_PS6_NS8_17constant_iteratorIiNS8_11use_defaultESG_EENS8_10device_ptrIS6_EENSI_IlEEPmSA_NS8_8equal_toIS6_EEEE10hipError_tPvRmT2_T3_mT4_T5_T6_T7_T8_P12ihipStream_tbENKUlT_T0_E_clISt17integral_constantIbLb1EES14_IbLb0EEEEDaS10_S11_EUlS10_E_NS1_11comp_targetILNS1_3genE5ELNS1_11target_archE942ELNS1_3gpuE9ELNS1_3repE0EEENS1_30default_config_static_selectorELNS0_4arch9wavefront6targetE1EEEvT1_.num_agpr, 0
	.set _ZN7rocprim17ROCPRIM_400000_NS6detail17trampoline_kernelINS0_14default_configENS1_29reduce_by_key_config_selectorIN3c108BFloat16ElN6thrust23THRUST_200600_302600_NS4plusIlEEEEZZNS1_33reduce_by_key_impl_wrapped_configILNS1_25lookback_scan_determinismE0ES3_SB_PS6_NS8_17constant_iteratorIiNS8_11use_defaultESG_EENS8_10device_ptrIS6_EENSI_IlEEPmSA_NS8_8equal_toIS6_EEEE10hipError_tPvRmT2_T3_mT4_T5_T6_T7_T8_P12ihipStream_tbENKUlT_T0_E_clISt17integral_constantIbLb1EES14_IbLb0EEEEDaS10_S11_EUlS10_E_NS1_11comp_targetILNS1_3genE5ELNS1_11target_archE942ELNS1_3gpuE9ELNS1_3repE0EEENS1_30default_config_static_selectorELNS0_4arch9wavefront6targetE1EEEvT1_.numbered_sgpr, 0
	.set _ZN7rocprim17ROCPRIM_400000_NS6detail17trampoline_kernelINS0_14default_configENS1_29reduce_by_key_config_selectorIN3c108BFloat16ElN6thrust23THRUST_200600_302600_NS4plusIlEEEEZZNS1_33reduce_by_key_impl_wrapped_configILNS1_25lookback_scan_determinismE0ES3_SB_PS6_NS8_17constant_iteratorIiNS8_11use_defaultESG_EENS8_10device_ptrIS6_EENSI_IlEEPmSA_NS8_8equal_toIS6_EEEE10hipError_tPvRmT2_T3_mT4_T5_T6_T7_T8_P12ihipStream_tbENKUlT_T0_E_clISt17integral_constantIbLb1EES14_IbLb0EEEEDaS10_S11_EUlS10_E_NS1_11comp_targetILNS1_3genE5ELNS1_11target_archE942ELNS1_3gpuE9ELNS1_3repE0EEENS1_30default_config_static_selectorELNS0_4arch9wavefront6targetE1EEEvT1_.num_named_barrier, 0
	.set _ZN7rocprim17ROCPRIM_400000_NS6detail17trampoline_kernelINS0_14default_configENS1_29reduce_by_key_config_selectorIN3c108BFloat16ElN6thrust23THRUST_200600_302600_NS4plusIlEEEEZZNS1_33reduce_by_key_impl_wrapped_configILNS1_25lookback_scan_determinismE0ES3_SB_PS6_NS8_17constant_iteratorIiNS8_11use_defaultESG_EENS8_10device_ptrIS6_EENSI_IlEEPmSA_NS8_8equal_toIS6_EEEE10hipError_tPvRmT2_T3_mT4_T5_T6_T7_T8_P12ihipStream_tbENKUlT_T0_E_clISt17integral_constantIbLb1EES14_IbLb0EEEEDaS10_S11_EUlS10_E_NS1_11comp_targetILNS1_3genE5ELNS1_11target_archE942ELNS1_3gpuE9ELNS1_3repE0EEENS1_30default_config_static_selectorELNS0_4arch9wavefront6targetE1EEEvT1_.private_seg_size, 0
	.set _ZN7rocprim17ROCPRIM_400000_NS6detail17trampoline_kernelINS0_14default_configENS1_29reduce_by_key_config_selectorIN3c108BFloat16ElN6thrust23THRUST_200600_302600_NS4plusIlEEEEZZNS1_33reduce_by_key_impl_wrapped_configILNS1_25lookback_scan_determinismE0ES3_SB_PS6_NS8_17constant_iteratorIiNS8_11use_defaultESG_EENS8_10device_ptrIS6_EENSI_IlEEPmSA_NS8_8equal_toIS6_EEEE10hipError_tPvRmT2_T3_mT4_T5_T6_T7_T8_P12ihipStream_tbENKUlT_T0_E_clISt17integral_constantIbLb1EES14_IbLb0EEEEDaS10_S11_EUlS10_E_NS1_11comp_targetILNS1_3genE5ELNS1_11target_archE942ELNS1_3gpuE9ELNS1_3repE0EEENS1_30default_config_static_selectorELNS0_4arch9wavefront6targetE1EEEvT1_.uses_vcc, 0
	.set _ZN7rocprim17ROCPRIM_400000_NS6detail17trampoline_kernelINS0_14default_configENS1_29reduce_by_key_config_selectorIN3c108BFloat16ElN6thrust23THRUST_200600_302600_NS4plusIlEEEEZZNS1_33reduce_by_key_impl_wrapped_configILNS1_25lookback_scan_determinismE0ES3_SB_PS6_NS8_17constant_iteratorIiNS8_11use_defaultESG_EENS8_10device_ptrIS6_EENSI_IlEEPmSA_NS8_8equal_toIS6_EEEE10hipError_tPvRmT2_T3_mT4_T5_T6_T7_T8_P12ihipStream_tbENKUlT_T0_E_clISt17integral_constantIbLb1EES14_IbLb0EEEEDaS10_S11_EUlS10_E_NS1_11comp_targetILNS1_3genE5ELNS1_11target_archE942ELNS1_3gpuE9ELNS1_3repE0EEENS1_30default_config_static_selectorELNS0_4arch9wavefront6targetE1EEEvT1_.uses_flat_scratch, 0
	.set _ZN7rocprim17ROCPRIM_400000_NS6detail17trampoline_kernelINS0_14default_configENS1_29reduce_by_key_config_selectorIN3c108BFloat16ElN6thrust23THRUST_200600_302600_NS4plusIlEEEEZZNS1_33reduce_by_key_impl_wrapped_configILNS1_25lookback_scan_determinismE0ES3_SB_PS6_NS8_17constant_iteratorIiNS8_11use_defaultESG_EENS8_10device_ptrIS6_EENSI_IlEEPmSA_NS8_8equal_toIS6_EEEE10hipError_tPvRmT2_T3_mT4_T5_T6_T7_T8_P12ihipStream_tbENKUlT_T0_E_clISt17integral_constantIbLb1EES14_IbLb0EEEEDaS10_S11_EUlS10_E_NS1_11comp_targetILNS1_3genE5ELNS1_11target_archE942ELNS1_3gpuE9ELNS1_3repE0EEENS1_30default_config_static_selectorELNS0_4arch9wavefront6targetE1EEEvT1_.has_dyn_sized_stack, 0
	.set _ZN7rocprim17ROCPRIM_400000_NS6detail17trampoline_kernelINS0_14default_configENS1_29reduce_by_key_config_selectorIN3c108BFloat16ElN6thrust23THRUST_200600_302600_NS4plusIlEEEEZZNS1_33reduce_by_key_impl_wrapped_configILNS1_25lookback_scan_determinismE0ES3_SB_PS6_NS8_17constant_iteratorIiNS8_11use_defaultESG_EENS8_10device_ptrIS6_EENSI_IlEEPmSA_NS8_8equal_toIS6_EEEE10hipError_tPvRmT2_T3_mT4_T5_T6_T7_T8_P12ihipStream_tbENKUlT_T0_E_clISt17integral_constantIbLb1EES14_IbLb0EEEEDaS10_S11_EUlS10_E_NS1_11comp_targetILNS1_3genE5ELNS1_11target_archE942ELNS1_3gpuE9ELNS1_3repE0EEENS1_30default_config_static_selectorELNS0_4arch9wavefront6targetE1EEEvT1_.has_recursion, 0
	.set _ZN7rocprim17ROCPRIM_400000_NS6detail17trampoline_kernelINS0_14default_configENS1_29reduce_by_key_config_selectorIN3c108BFloat16ElN6thrust23THRUST_200600_302600_NS4plusIlEEEEZZNS1_33reduce_by_key_impl_wrapped_configILNS1_25lookback_scan_determinismE0ES3_SB_PS6_NS8_17constant_iteratorIiNS8_11use_defaultESG_EENS8_10device_ptrIS6_EENSI_IlEEPmSA_NS8_8equal_toIS6_EEEE10hipError_tPvRmT2_T3_mT4_T5_T6_T7_T8_P12ihipStream_tbENKUlT_T0_E_clISt17integral_constantIbLb1EES14_IbLb0EEEEDaS10_S11_EUlS10_E_NS1_11comp_targetILNS1_3genE5ELNS1_11target_archE942ELNS1_3gpuE9ELNS1_3repE0EEENS1_30default_config_static_selectorELNS0_4arch9wavefront6targetE1EEEvT1_.has_indirect_call, 0
	.section	.AMDGPU.csdata,"",@progbits
; Kernel info:
; codeLenInByte = 0
; TotalNumSgprs: 4
; NumVgprs: 0
; ScratchSize: 0
; MemoryBound: 0
; FloatMode: 240
; IeeeMode: 1
; LDSByteSize: 0 bytes/workgroup (compile time only)
; SGPRBlocks: 0
; VGPRBlocks: 0
; NumSGPRsForWavesPerEU: 4
; NumVGPRsForWavesPerEU: 1
; Occupancy: 10
; WaveLimiterHint : 0
; COMPUTE_PGM_RSRC2:SCRATCH_EN: 0
; COMPUTE_PGM_RSRC2:USER_SGPR: 6
; COMPUTE_PGM_RSRC2:TRAP_HANDLER: 0
; COMPUTE_PGM_RSRC2:TGID_X_EN: 1
; COMPUTE_PGM_RSRC2:TGID_Y_EN: 0
; COMPUTE_PGM_RSRC2:TGID_Z_EN: 0
; COMPUTE_PGM_RSRC2:TIDIG_COMP_CNT: 0
	.section	.text._ZN7rocprim17ROCPRIM_400000_NS6detail17trampoline_kernelINS0_14default_configENS1_29reduce_by_key_config_selectorIN3c108BFloat16ElN6thrust23THRUST_200600_302600_NS4plusIlEEEEZZNS1_33reduce_by_key_impl_wrapped_configILNS1_25lookback_scan_determinismE0ES3_SB_PS6_NS8_17constant_iteratorIiNS8_11use_defaultESG_EENS8_10device_ptrIS6_EENSI_IlEEPmSA_NS8_8equal_toIS6_EEEE10hipError_tPvRmT2_T3_mT4_T5_T6_T7_T8_P12ihipStream_tbENKUlT_T0_E_clISt17integral_constantIbLb1EES14_IbLb0EEEEDaS10_S11_EUlS10_E_NS1_11comp_targetILNS1_3genE4ELNS1_11target_archE910ELNS1_3gpuE8ELNS1_3repE0EEENS1_30default_config_static_selectorELNS0_4arch9wavefront6targetE1EEEvT1_,"axG",@progbits,_ZN7rocprim17ROCPRIM_400000_NS6detail17trampoline_kernelINS0_14default_configENS1_29reduce_by_key_config_selectorIN3c108BFloat16ElN6thrust23THRUST_200600_302600_NS4plusIlEEEEZZNS1_33reduce_by_key_impl_wrapped_configILNS1_25lookback_scan_determinismE0ES3_SB_PS6_NS8_17constant_iteratorIiNS8_11use_defaultESG_EENS8_10device_ptrIS6_EENSI_IlEEPmSA_NS8_8equal_toIS6_EEEE10hipError_tPvRmT2_T3_mT4_T5_T6_T7_T8_P12ihipStream_tbENKUlT_T0_E_clISt17integral_constantIbLb1EES14_IbLb0EEEEDaS10_S11_EUlS10_E_NS1_11comp_targetILNS1_3genE4ELNS1_11target_archE910ELNS1_3gpuE8ELNS1_3repE0EEENS1_30default_config_static_selectorELNS0_4arch9wavefront6targetE1EEEvT1_,comdat
	.protected	_ZN7rocprim17ROCPRIM_400000_NS6detail17trampoline_kernelINS0_14default_configENS1_29reduce_by_key_config_selectorIN3c108BFloat16ElN6thrust23THRUST_200600_302600_NS4plusIlEEEEZZNS1_33reduce_by_key_impl_wrapped_configILNS1_25lookback_scan_determinismE0ES3_SB_PS6_NS8_17constant_iteratorIiNS8_11use_defaultESG_EENS8_10device_ptrIS6_EENSI_IlEEPmSA_NS8_8equal_toIS6_EEEE10hipError_tPvRmT2_T3_mT4_T5_T6_T7_T8_P12ihipStream_tbENKUlT_T0_E_clISt17integral_constantIbLb1EES14_IbLb0EEEEDaS10_S11_EUlS10_E_NS1_11comp_targetILNS1_3genE4ELNS1_11target_archE910ELNS1_3gpuE8ELNS1_3repE0EEENS1_30default_config_static_selectorELNS0_4arch9wavefront6targetE1EEEvT1_ ; -- Begin function _ZN7rocprim17ROCPRIM_400000_NS6detail17trampoline_kernelINS0_14default_configENS1_29reduce_by_key_config_selectorIN3c108BFloat16ElN6thrust23THRUST_200600_302600_NS4plusIlEEEEZZNS1_33reduce_by_key_impl_wrapped_configILNS1_25lookback_scan_determinismE0ES3_SB_PS6_NS8_17constant_iteratorIiNS8_11use_defaultESG_EENS8_10device_ptrIS6_EENSI_IlEEPmSA_NS8_8equal_toIS6_EEEE10hipError_tPvRmT2_T3_mT4_T5_T6_T7_T8_P12ihipStream_tbENKUlT_T0_E_clISt17integral_constantIbLb1EES14_IbLb0EEEEDaS10_S11_EUlS10_E_NS1_11comp_targetILNS1_3genE4ELNS1_11target_archE910ELNS1_3gpuE8ELNS1_3repE0EEENS1_30default_config_static_selectorELNS0_4arch9wavefront6targetE1EEEvT1_
	.globl	_ZN7rocprim17ROCPRIM_400000_NS6detail17trampoline_kernelINS0_14default_configENS1_29reduce_by_key_config_selectorIN3c108BFloat16ElN6thrust23THRUST_200600_302600_NS4plusIlEEEEZZNS1_33reduce_by_key_impl_wrapped_configILNS1_25lookback_scan_determinismE0ES3_SB_PS6_NS8_17constant_iteratorIiNS8_11use_defaultESG_EENS8_10device_ptrIS6_EENSI_IlEEPmSA_NS8_8equal_toIS6_EEEE10hipError_tPvRmT2_T3_mT4_T5_T6_T7_T8_P12ihipStream_tbENKUlT_T0_E_clISt17integral_constantIbLb1EES14_IbLb0EEEEDaS10_S11_EUlS10_E_NS1_11comp_targetILNS1_3genE4ELNS1_11target_archE910ELNS1_3gpuE8ELNS1_3repE0EEENS1_30default_config_static_selectorELNS0_4arch9wavefront6targetE1EEEvT1_
	.p2align	8
	.type	_ZN7rocprim17ROCPRIM_400000_NS6detail17trampoline_kernelINS0_14default_configENS1_29reduce_by_key_config_selectorIN3c108BFloat16ElN6thrust23THRUST_200600_302600_NS4plusIlEEEEZZNS1_33reduce_by_key_impl_wrapped_configILNS1_25lookback_scan_determinismE0ES3_SB_PS6_NS8_17constant_iteratorIiNS8_11use_defaultESG_EENS8_10device_ptrIS6_EENSI_IlEEPmSA_NS8_8equal_toIS6_EEEE10hipError_tPvRmT2_T3_mT4_T5_T6_T7_T8_P12ihipStream_tbENKUlT_T0_E_clISt17integral_constantIbLb1EES14_IbLb0EEEEDaS10_S11_EUlS10_E_NS1_11comp_targetILNS1_3genE4ELNS1_11target_archE910ELNS1_3gpuE8ELNS1_3repE0EEENS1_30default_config_static_selectorELNS0_4arch9wavefront6targetE1EEEvT1_,@function
_ZN7rocprim17ROCPRIM_400000_NS6detail17trampoline_kernelINS0_14default_configENS1_29reduce_by_key_config_selectorIN3c108BFloat16ElN6thrust23THRUST_200600_302600_NS4plusIlEEEEZZNS1_33reduce_by_key_impl_wrapped_configILNS1_25lookback_scan_determinismE0ES3_SB_PS6_NS8_17constant_iteratorIiNS8_11use_defaultESG_EENS8_10device_ptrIS6_EENSI_IlEEPmSA_NS8_8equal_toIS6_EEEE10hipError_tPvRmT2_T3_mT4_T5_T6_T7_T8_P12ihipStream_tbENKUlT_T0_E_clISt17integral_constantIbLb1EES14_IbLb0EEEEDaS10_S11_EUlS10_E_NS1_11comp_targetILNS1_3genE4ELNS1_11target_archE910ELNS1_3gpuE8ELNS1_3repE0EEENS1_30default_config_static_selectorELNS0_4arch9wavefront6targetE1EEEvT1_: ; @_ZN7rocprim17ROCPRIM_400000_NS6detail17trampoline_kernelINS0_14default_configENS1_29reduce_by_key_config_selectorIN3c108BFloat16ElN6thrust23THRUST_200600_302600_NS4plusIlEEEEZZNS1_33reduce_by_key_impl_wrapped_configILNS1_25lookback_scan_determinismE0ES3_SB_PS6_NS8_17constant_iteratorIiNS8_11use_defaultESG_EENS8_10device_ptrIS6_EENSI_IlEEPmSA_NS8_8equal_toIS6_EEEE10hipError_tPvRmT2_T3_mT4_T5_T6_T7_T8_P12ihipStream_tbENKUlT_T0_E_clISt17integral_constantIbLb1EES14_IbLb0EEEEDaS10_S11_EUlS10_E_NS1_11comp_targetILNS1_3genE4ELNS1_11target_archE910ELNS1_3gpuE8ELNS1_3repE0EEENS1_30default_config_static_selectorELNS0_4arch9wavefront6targetE1EEEvT1_
; %bb.0:
	.section	.rodata,"a",@progbits
	.p2align	6, 0x0
	.amdhsa_kernel _ZN7rocprim17ROCPRIM_400000_NS6detail17trampoline_kernelINS0_14default_configENS1_29reduce_by_key_config_selectorIN3c108BFloat16ElN6thrust23THRUST_200600_302600_NS4plusIlEEEEZZNS1_33reduce_by_key_impl_wrapped_configILNS1_25lookback_scan_determinismE0ES3_SB_PS6_NS8_17constant_iteratorIiNS8_11use_defaultESG_EENS8_10device_ptrIS6_EENSI_IlEEPmSA_NS8_8equal_toIS6_EEEE10hipError_tPvRmT2_T3_mT4_T5_T6_T7_T8_P12ihipStream_tbENKUlT_T0_E_clISt17integral_constantIbLb1EES14_IbLb0EEEEDaS10_S11_EUlS10_E_NS1_11comp_targetILNS1_3genE4ELNS1_11target_archE910ELNS1_3gpuE8ELNS1_3repE0EEENS1_30default_config_static_selectorELNS0_4arch9wavefront6targetE1EEEvT1_
		.amdhsa_group_segment_fixed_size 0
		.amdhsa_private_segment_fixed_size 0
		.amdhsa_kernarg_size 144
		.amdhsa_user_sgpr_count 6
		.amdhsa_user_sgpr_private_segment_buffer 1
		.amdhsa_user_sgpr_dispatch_ptr 0
		.amdhsa_user_sgpr_queue_ptr 0
		.amdhsa_user_sgpr_kernarg_segment_ptr 1
		.amdhsa_user_sgpr_dispatch_id 0
		.amdhsa_user_sgpr_flat_scratch_init 0
		.amdhsa_user_sgpr_private_segment_size 0
		.amdhsa_uses_dynamic_stack 0
		.amdhsa_system_sgpr_private_segment_wavefront_offset 0
		.amdhsa_system_sgpr_workgroup_id_x 1
		.amdhsa_system_sgpr_workgroup_id_y 0
		.amdhsa_system_sgpr_workgroup_id_z 0
		.amdhsa_system_sgpr_workgroup_info 0
		.amdhsa_system_vgpr_workitem_id 0
		.amdhsa_next_free_vgpr 1
		.amdhsa_next_free_sgpr 0
		.amdhsa_reserve_vcc 0
		.amdhsa_reserve_flat_scratch 0
		.amdhsa_float_round_mode_32 0
		.amdhsa_float_round_mode_16_64 0
		.amdhsa_float_denorm_mode_32 3
		.amdhsa_float_denorm_mode_16_64 3
		.amdhsa_dx10_clamp 1
		.amdhsa_ieee_mode 1
		.amdhsa_fp16_overflow 0
		.amdhsa_exception_fp_ieee_invalid_op 0
		.amdhsa_exception_fp_denorm_src 0
		.amdhsa_exception_fp_ieee_div_zero 0
		.amdhsa_exception_fp_ieee_overflow 0
		.amdhsa_exception_fp_ieee_underflow 0
		.amdhsa_exception_fp_ieee_inexact 0
		.amdhsa_exception_int_div_zero 0
	.end_amdhsa_kernel
	.section	.text._ZN7rocprim17ROCPRIM_400000_NS6detail17trampoline_kernelINS0_14default_configENS1_29reduce_by_key_config_selectorIN3c108BFloat16ElN6thrust23THRUST_200600_302600_NS4plusIlEEEEZZNS1_33reduce_by_key_impl_wrapped_configILNS1_25lookback_scan_determinismE0ES3_SB_PS6_NS8_17constant_iteratorIiNS8_11use_defaultESG_EENS8_10device_ptrIS6_EENSI_IlEEPmSA_NS8_8equal_toIS6_EEEE10hipError_tPvRmT2_T3_mT4_T5_T6_T7_T8_P12ihipStream_tbENKUlT_T0_E_clISt17integral_constantIbLb1EES14_IbLb0EEEEDaS10_S11_EUlS10_E_NS1_11comp_targetILNS1_3genE4ELNS1_11target_archE910ELNS1_3gpuE8ELNS1_3repE0EEENS1_30default_config_static_selectorELNS0_4arch9wavefront6targetE1EEEvT1_,"axG",@progbits,_ZN7rocprim17ROCPRIM_400000_NS6detail17trampoline_kernelINS0_14default_configENS1_29reduce_by_key_config_selectorIN3c108BFloat16ElN6thrust23THRUST_200600_302600_NS4plusIlEEEEZZNS1_33reduce_by_key_impl_wrapped_configILNS1_25lookback_scan_determinismE0ES3_SB_PS6_NS8_17constant_iteratorIiNS8_11use_defaultESG_EENS8_10device_ptrIS6_EENSI_IlEEPmSA_NS8_8equal_toIS6_EEEE10hipError_tPvRmT2_T3_mT4_T5_T6_T7_T8_P12ihipStream_tbENKUlT_T0_E_clISt17integral_constantIbLb1EES14_IbLb0EEEEDaS10_S11_EUlS10_E_NS1_11comp_targetILNS1_3genE4ELNS1_11target_archE910ELNS1_3gpuE8ELNS1_3repE0EEENS1_30default_config_static_selectorELNS0_4arch9wavefront6targetE1EEEvT1_,comdat
.Lfunc_end2072:
	.size	_ZN7rocprim17ROCPRIM_400000_NS6detail17trampoline_kernelINS0_14default_configENS1_29reduce_by_key_config_selectorIN3c108BFloat16ElN6thrust23THRUST_200600_302600_NS4plusIlEEEEZZNS1_33reduce_by_key_impl_wrapped_configILNS1_25lookback_scan_determinismE0ES3_SB_PS6_NS8_17constant_iteratorIiNS8_11use_defaultESG_EENS8_10device_ptrIS6_EENSI_IlEEPmSA_NS8_8equal_toIS6_EEEE10hipError_tPvRmT2_T3_mT4_T5_T6_T7_T8_P12ihipStream_tbENKUlT_T0_E_clISt17integral_constantIbLb1EES14_IbLb0EEEEDaS10_S11_EUlS10_E_NS1_11comp_targetILNS1_3genE4ELNS1_11target_archE910ELNS1_3gpuE8ELNS1_3repE0EEENS1_30default_config_static_selectorELNS0_4arch9wavefront6targetE1EEEvT1_, .Lfunc_end2072-_ZN7rocprim17ROCPRIM_400000_NS6detail17trampoline_kernelINS0_14default_configENS1_29reduce_by_key_config_selectorIN3c108BFloat16ElN6thrust23THRUST_200600_302600_NS4plusIlEEEEZZNS1_33reduce_by_key_impl_wrapped_configILNS1_25lookback_scan_determinismE0ES3_SB_PS6_NS8_17constant_iteratorIiNS8_11use_defaultESG_EENS8_10device_ptrIS6_EENSI_IlEEPmSA_NS8_8equal_toIS6_EEEE10hipError_tPvRmT2_T3_mT4_T5_T6_T7_T8_P12ihipStream_tbENKUlT_T0_E_clISt17integral_constantIbLb1EES14_IbLb0EEEEDaS10_S11_EUlS10_E_NS1_11comp_targetILNS1_3genE4ELNS1_11target_archE910ELNS1_3gpuE8ELNS1_3repE0EEENS1_30default_config_static_selectorELNS0_4arch9wavefront6targetE1EEEvT1_
                                        ; -- End function
	.set _ZN7rocprim17ROCPRIM_400000_NS6detail17trampoline_kernelINS0_14default_configENS1_29reduce_by_key_config_selectorIN3c108BFloat16ElN6thrust23THRUST_200600_302600_NS4plusIlEEEEZZNS1_33reduce_by_key_impl_wrapped_configILNS1_25lookback_scan_determinismE0ES3_SB_PS6_NS8_17constant_iteratorIiNS8_11use_defaultESG_EENS8_10device_ptrIS6_EENSI_IlEEPmSA_NS8_8equal_toIS6_EEEE10hipError_tPvRmT2_T3_mT4_T5_T6_T7_T8_P12ihipStream_tbENKUlT_T0_E_clISt17integral_constantIbLb1EES14_IbLb0EEEEDaS10_S11_EUlS10_E_NS1_11comp_targetILNS1_3genE4ELNS1_11target_archE910ELNS1_3gpuE8ELNS1_3repE0EEENS1_30default_config_static_selectorELNS0_4arch9wavefront6targetE1EEEvT1_.num_vgpr, 0
	.set _ZN7rocprim17ROCPRIM_400000_NS6detail17trampoline_kernelINS0_14default_configENS1_29reduce_by_key_config_selectorIN3c108BFloat16ElN6thrust23THRUST_200600_302600_NS4plusIlEEEEZZNS1_33reduce_by_key_impl_wrapped_configILNS1_25lookback_scan_determinismE0ES3_SB_PS6_NS8_17constant_iteratorIiNS8_11use_defaultESG_EENS8_10device_ptrIS6_EENSI_IlEEPmSA_NS8_8equal_toIS6_EEEE10hipError_tPvRmT2_T3_mT4_T5_T6_T7_T8_P12ihipStream_tbENKUlT_T0_E_clISt17integral_constantIbLb1EES14_IbLb0EEEEDaS10_S11_EUlS10_E_NS1_11comp_targetILNS1_3genE4ELNS1_11target_archE910ELNS1_3gpuE8ELNS1_3repE0EEENS1_30default_config_static_selectorELNS0_4arch9wavefront6targetE1EEEvT1_.num_agpr, 0
	.set _ZN7rocprim17ROCPRIM_400000_NS6detail17trampoline_kernelINS0_14default_configENS1_29reduce_by_key_config_selectorIN3c108BFloat16ElN6thrust23THRUST_200600_302600_NS4plusIlEEEEZZNS1_33reduce_by_key_impl_wrapped_configILNS1_25lookback_scan_determinismE0ES3_SB_PS6_NS8_17constant_iteratorIiNS8_11use_defaultESG_EENS8_10device_ptrIS6_EENSI_IlEEPmSA_NS8_8equal_toIS6_EEEE10hipError_tPvRmT2_T3_mT4_T5_T6_T7_T8_P12ihipStream_tbENKUlT_T0_E_clISt17integral_constantIbLb1EES14_IbLb0EEEEDaS10_S11_EUlS10_E_NS1_11comp_targetILNS1_3genE4ELNS1_11target_archE910ELNS1_3gpuE8ELNS1_3repE0EEENS1_30default_config_static_selectorELNS0_4arch9wavefront6targetE1EEEvT1_.numbered_sgpr, 0
	.set _ZN7rocprim17ROCPRIM_400000_NS6detail17trampoline_kernelINS0_14default_configENS1_29reduce_by_key_config_selectorIN3c108BFloat16ElN6thrust23THRUST_200600_302600_NS4plusIlEEEEZZNS1_33reduce_by_key_impl_wrapped_configILNS1_25lookback_scan_determinismE0ES3_SB_PS6_NS8_17constant_iteratorIiNS8_11use_defaultESG_EENS8_10device_ptrIS6_EENSI_IlEEPmSA_NS8_8equal_toIS6_EEEE10hipError_tPvRmT2_T3_mT4_T5_T6_T7_T8_P12ihipStream_tbENKUlT_T0_E_clISt17integral_constantIbLb1EES14_IbLb0EEEEDaS10_S11_EUlS10_E_NS1_11comp_targetILNS1_3genE4ELNS1_11target_archE910ELNS1_3gpuE8ELNS1_3repE0EEENS1_30default_config_static_selectorELNS0_4arch9wavefront6targetE1EEEvT1_.num_named_barrier, 0
	.set _ZN7rocprim17ROCPRIM_400000_NS6detail17trampoline_kernelINS0_14default_configENS1_29reduce_by_key_config_selectorIN3c108BFloat16ElN6thrust23THRUST_200600_302600_NS4plusIlEEEEZZNS1_33reduce_by_key_impl_wrapped_configILNS1_25lookback_scan_determinismE0ES3_SB_PS6_NS8_17constant_iteratorIiNS8_11use_defaultESG_EENS8_10device_ptrIS6_EENSI_IlEEPmSA_NS8_8equal_toIS6_EEEE10hipError_tPvRmT2_T3_mT4_T5_T6_T7_T8_P12ihipStream_tbENKUlT_T0_E_clISt17integral_constantIbLb1EES14_IbLb0EEEEDaS10_S11_EUlS10_E_NS1_11comp_targetILNS1_3genE4ELNS1_11target_archE910ELNS1_3gpuE8ELNS1_3repE0EEENS1_30default_config_static_selectorELNS0_4arch9wavefront6targetE1EEEvT1_.private_seg_size, 0
	.set _ZN7rocprim17ROCPRIM_400000_NS6detail17trampoline_kernelINS0_14default_configENS1_29reduce_by_key_config_selectorIN3c108BFloat16ElN6thrust23THRUST_200600_302600_NS4plusIlEEEEZZNS1_33reduce_by_key_impl_wrapped_configILNS1_25lookback_scan_determinismE0ES3_SB_PS6_NS8_17constant_iteratorIiNS8_11use_defaultESG_EENS8_10device_ptrIS6_EENSI_IlEEPmSA_NS8_8equal_toIS6_EEEE10hipError_tPvRmT2_T3_mT4_T5_T6_T7_T8_P12ihipStream_tbENKUlT_T0_E_clISt17integral_constantIbLb1EES14_IbLb0EEEEDaS10_S11_EUlS10_E_NS1_11comp_targetILNS1_3genE4ELNS1_11target_archE910ELNS1_3gpuE8ELNS1_3repE0EEENS1_30default_config_static_selectorELNS0_4arch9wavefront6targetE1EEEvT1_.uses_vcc, 0
	.set _ZN7rocprim17ROCPRIM_400000_NS6detail17trampoline_kernelINS0_14default_configENS1_29reduce_by_key_config_selectorIN3c108BFloat16ElN6thrust23THRUST_200600_302600_NS4plusIlEEEEZZNS1_33reduce_by_key_impl_wrapped_configILNS1_25lookback_scan_determinismE0ES3_SB_PS6_NS8_17constant_iteratorIiNS8_11use_defaultESG_EENS8_10device_ptrIS6_EENSI_IlEEPmSA_NS8_8equal_toIS6_EEEE10hipError_tPvRmT2_T3_mT4_T5_T6_T7_T8_P12ihipStream_tbENKUlT_T0_E_clISt17integral_constantIbLb1EES14_IbLb0EEEEDaS10_S11_EUlS10_E_NS1_11comp_targetILNS1_3genE4ELNS1_11target_archE910ELNS1_3gpuE8ELNS1_3repE0EEENS1_30default_config_static_selectorELNS0_4arch9wavefront6targetE1EEEvT1_.uses_flat_scratch, 0
	.set _ZN7rocprim17ROCPRIM_400000_NS6detail17trampoline_kernelINS0_14default_configENS1_29reduce_by_key_config_selectorIN3c108BFloat16ElN6thrust23THRUST_200600_302600_NS4plusIlEEEEZZNS1_33reduce_by_key_impl_wrapped_configILNS1_25lookback_scan_determinismE0ES3_SB_PS6_NS8_17constant_iteratorIiNS8_11use_defaultESG_EENS8_10device_ptrIS6_EENSI_IlEEPmSA_NS8_8equal_toIS6_EEEE10hipError_tPvRmT2_T3_mT4_T5_T6_T7_T8_P12ihipStream_tbENKUlT_T0_E_clISt17integral_constantIbLb1EES14_IbLb0EEEEDaS10_S11_EUlS10_E_NS1_11comp_targetILNS1_3genE4ELNS1_11target_archE910ELNS1_3gpuE8ELNS1_3repE0EEENS1_30default_config_static_selectorELNS0_4arch9wavefront6targetE1EEEvT1_.has_dyn_sized_stack, 0
	.set _ZN7rocprim17ROCPRIM_400000_NS6detail17trampoline_kernelINS0_14default_configENS1_29reduce_by_key_config_selectorIN3c108BFloat16ElN6thrust23THRUST_200600_302600_NS4plusIlEEEEZZNS1_33reduce_by_key_impl_wrapped_configILNS1_25lookback_scan_determinismE0ES3_SB_PS6_NS8_17constant_iteratorIiNS8_11use_defaultESG_EENS8_10device_ptrIS6_EENSI_IlEEPmSA_NS8_8equal_toIS6_EEEE10hipError_tPvRmT2_T3_mT4_T5_T6_T7_T8_P12ihipStream_tbENKUlT_T0_E_clISt17integral_constantIbLb1EES14_IbLb0EEEEDaS10_S11_EUlS10_E_NS1_11comp_targetILNS1_3genE4ELNS1_11target_archE910ELNS1_3gpuE8ELNS1_3repE0EEENS1_30default_config_static_selectorELNS0_4arch9wavefront6targetE1EEEvT1_.has_recursion, 0
	.set _ZN7rocprim17ROCPRIM_400000_NS6detail17trampoline_kernelINS0_14default_configENS1_29reduce_by_key_config_selectorIN3c108BFloat16ElN6thrust23THRUST_200600_302600_NS4plusIlEEEEZZNS1_33reduce_by_key_impl_wrapped_configILNS1_25lookback_scan_determinismE0ES3_SB_PS6_NS8_17constant_iteratorIiNS8_11use_defaultESG_EENS8_10device_ptrIS6_EENSI_IlEEPmSA_NS8_8equal_toIS6_EEEE10hipError_tPvRmT2_T3_mT4_T5_T6_T7_T8_P12ihipStream_tbENKUlT_T0_E_clISt17integral_constantIbLb1EES14_IbLb0EEEEDaS10_S11_EUlS10_E_NS1_11comp_targetILNS1_3genE4ELNS1_11target_archE910ELNS1_3gpuE8ELNS1_3repE0EEENS1_30default_config_static_selectorELNS0_4arch9wavefront6targetE1EEEvT1_.has_indirect_call, 0
	.section	.AMDGPU.csdata,"",@progbits
; Kernel info:
; codeLenInByte = 0
; TotalNumSgprs: 4
; NumVgprs: 0
; ScratchSize: 0
; MemoryBound: 0
; FloatMode: 240
; IeeeMode: 1
; LDSByteSize: 0 bytes/workgroup (compile time only)
; SGPRBlocks: 0
; VGPRBlocks: 0
; NumSGPRsForWavesPerEU: 4
; NumVGPRsForWavesPerEU: 1
; Occupancy: 10
; WaveLimiterHint : 0
; COMPUTE_PGM_RSRC2:SCRATCH_EN: 0
; COMPUTE_PGM_RSRC2:USER_SGPR: 6
; COMPUTE_PGM_RSRC2:TRAP_HANDLER: 0
; COMPUTE_PGM_RSRC2:TGID_X_EN: 1
; COMPUTE_PGM_RSRC2:TGID_Y_EN: 0
; COMPUTE_PGM_RSRC2:TGID_Z_EN: 0
; COMPUTE_PGM_RSRC2:TIDIG_COMP_CNT: 0
	.section	.text._ZN7rocprim17ROCPRIM_400000_NS6detail17trampoline_kernelINS0_14default_configENS1_29reduce_by_key_config_selectorIN3c108BFloat16ElN6thrust23THRUST_200600_302600_NS4plusIlEEEEZZNS1_33reduce_by_key_impl_wrapped_configILNS1_25lookback_scan_determinismE0ES3_SB_PS6_NS8_17constant_iteratorIiNS8_11use_defaultESG_EENS8_10device_ptrIS6_EENSI_IlEEPmSA_NS8_8equal_toIS6_EEEE10hipError_tPvRmT2_T3_mT4_T5_T6_T7_T8_P12ihipStream_tbENKUlT_T0_E_clISt17integral_constantIbLb1EES14_IbLb0EEEEDaS10_S11_EUlS10_E_NS1_11comp_targetILNS1_3genE3ELNS1_11target_archE908ELNS1_3gpuE7ELNS1_3repE0EEENS1_30default_config_static_selectorELNS0_4arch9wavefront6targetE1EEEvT1_,"axG",@progbits,_ZN7rocprim17ROCPRIM_400000_NS6detail17trampoline_kernelINS0_14default_configENS1_29reduce_by_key_config_selectorIN3c108BFloat16ElN6thrust23THRUST_200600_302600_NS4plusIlEEEEZZNS1_33reduce_by_key_impl_wrapped_configILNS1_25lookback_scan_determinismE0ES3_SB_PS6_NS8_17constant_iteratorIiNS8_11use_defaultESG_EENS8_10device_ptrIS6_EENSI_IlEEPmSA_NS8_8equal_toIS6_EEEE10hipError_tPvRmT2_T3_mT4_T5_T6_T7_T8_P12ihipStream_tbENKUlT_T0_E_clISt17integral_constantIbLb1EES14_IbLb0EEEEDaS10_S11_EUlS10_E_NS1_11comp_targetILNS1_3genE3ELNS1_11target_archE908ELNS1_3gpuE7ELNS1_3repE0EEENS1_30default_config_static_selectorELNS0_4arch9wavefront6targetE1EEEvT1_,comdat
	.protected	_ZN7rocprim17ROCPRIM_400000_NS6detail17trampoline_kernelINS0_14default_configENS1_29reduce_by_key_config_selectorIN3c108BFloat16ElN6thrust23THRUST_200600_302600_NS4plusIlEEEEZZNS1_33reduce_by_key_impl_wrapped_configILNS1_25lookback_scan_determinismE0ES3_SB_PS6_NS8_17constant_iteratorIiNS8_11use_defaultESG_EENS8_10device_ptrIS6_EENSI_IlEEPmSA_NS8_8equal_toIS6_EEEE10hipError_tPvRmT2_T3_mT4_T5_T6_T7_T8_P12ihipStream_tbENKUlT_T0_E_clISt17integral_constantIbLb1EES14_IbLb0EEEEDaS10_S11_EUlS10_E_NS1_11comp_targetILNS1_3genE3ELNS1_11target_archE908ELNS1_3gpuE7ELNS1_3repE0EEENS1_30default_config_static_selectorELNS0_4arch9wavefront6targetE1EEEvT1_ ; -- Begin function _ZN7rocprim17ROCPRIM_400000_NS6detail17trampoline_kernelINS0_14default_configENS1_29reduce_by_key_config_selectorIN3c108BFloat16ElN6thrust23THRUST_200600_302600_NS4plusIlEEEEZZNS1_33reduce_by_key_impl_wrapped_configILNS1_25lookback_scan_determinismE0ES3_SB_PS6_NS8_17constant_iteratorIiNS8_11use_defaultESG_EENS8_10device_ptrIS6_EENSI_IlEEPmSA_NS8_8equal_toIS6_EEEE10hipError_tPvRmT2_T3_mT4_T5_T6_T7_T8_P12ihipStream_tbENKUlT_T0_E_clISt17integral_constantIbLb1EES14_IbLb0EEEEDaS10_S11_EUlS10_E_NS1_11comp_targetILNS1_3genE3ELNS1_11target_archE908ELNS1_3gpuE7ELNS1_3repE0EEENS1_30default_config_static_selectorELNS0_4arch9wavefront6targetE1EEEvT1_
	.globl	_ZN7rocprim17ROCPRIM_400000_NS6detail17trampoline_kernelINS0_14default_configENS1_29reduce_by_key_config_selectorIN3c108BFloat16ElN6thrust23THRUST_200600_302600_NS4plusIlEEEEZZNS1_33reduce_by_key_impl_wrapped_configILNS1_25lookback_scan_determinismE0ES3_SB_PS6_NS8_17constant_iteratorIiNS8_11use_defaultESG_EENS8_10device_ptrIS6_EENSI_IlEEPmSA_NS8_8equal_toIS6_EEEE10hipError_tPvRmT2_T3_mT4_T5_T6_T7_T8_P12ihipStream_tbENKUlT_T0_E_clISt17integral_constantIbLb1EES14_IbLb0EEEEDaS10_S11_EUlS10_E_NS1_11comp_targetILNS1_3genE3ELNS1_11target_archE908ELNS1_3gpuE7ELNS1_3repE0EEENS1_30default_config_static_selectorELNS0_4arch9wavefront6targetE1EEEvT1_
	.p2align	8
	.type	_ZN7rocprim17ROCPRIM_400000_NS6detail17trampoline_kernelINS0_14default_configENS1_29reduce_by_key_config_selectorIN3c108BFloat16ElN6thrust23THRUST_200600_302600_NS4plusIlEEEEZZNS1_33reduce_by_key_impl_wrapped_configILNS1_25lookback_scan_determinismE0ES3_SB_PS6_NS8_17constant_iteratorIiNS8_11use_defaultESG_EENS8_10device_ptrIS6_EENSI_IlEEPmSA_NS8_8equal_toIS6_EEEE10hipError_tPvRmT2_T3_mT4_T5_T6_T7_T8_P12ihipStream_tbENKUlT_T0_E_clISt17integral_constantIbLb1EES14_IbLb0EEEEDaS10_S11_EUlS10_E_NS1_11comp_targetILNS1_3genE3ELNS1_11target_archE908ELNS1_3gpuE7ELNS1_3repE0EEENS1_30default_config_static_selectorELNS0_4arch9wavefront6targetE1EEEvT1_,@function
_ZN7rocprim17ROCPRIM_400000_NS6detail17trampoline_kernelINS0_14default_configENS1_29reduce_by_key_config_selectorIN3c108BFloat16ElN6thrust23THRUST_200600_302600_NS4plusIlEEEEZZNS1_33reduce_by_key_impl_wrapped_configILNS1_25lookback_scan_determinismE0ES3_SB_PS6_NS8_17constant_iteratorIiNS8_11use_defaultESG_EENS8_10device_ptrIS6_EENSI_IlEEPmSA_NS8_8equal_toIS6_EEEE10hipError_tPvRmT2_T3_mT4_T5_T6_T7_T8_P12ihipStream_tbENKUlT_T0_E_clISt17integral_constantIbLb1EES14_IbLb0EEEEDaS10_S11_EUlS10_E_NS1_11comp_targetILNS1_3genE3ELNS1_11target_archE908ELNS1_3gpuE7ELNS1_3repE0EEENS1_30default_config_static_selectorELNS0_4arch9wavefront6targetE1EEEvT1_: ; @_ZN7rocprim17ROCPRIM_400000_NS6detail17trampoline_kernelINS0_14default_configENS1_29reduce_by_key_config_selectorIN3c108BFloat16ElN6thrust23THRUST_200600_302600_NS4plusIlEEEEZZNS1_33reduce_by_key_impl_wrapped_configILNS1_25lookback_scan_determinismE0ES3_SB_PS6_NS8_17constant_iteratorIiNS8_11use_defaultESG_EENS8_10device_ptrIS6_EENSI_IlEEPmSA_NS8_8equal_toIS6_EEEE10hipError_tPvRmT2_T3_mT4_T5_T6_T7_T8_P12ihipStream_tbENKUlT_T0_E_clISt17integral_constantIbLb1EES14_IbLb0EEEEDaS10_S11_EUlS10_E_NS1_11comp_targetILNS1_3genE3ELNS1_11target_archE908ELNS1_3gpuE7ELNS1_3repE0EEENS1_30default_config_static_selectorELNS0_4arch9wavefront6targetE1EEEvT1_
; %bb.0:
	.section	.rodata,"a",@progbits
	.p2align	6, 0x0
	.amdhsa_kernel _ZN7rocprim17ROCPRIM_400000_NS6detail17trampoline_kernelINS0_14default_configENS1_29reduce_by_key_config_selectorIN3c108BFloat16ElN6thrust23THRUST_200600_302600_NS4plusIlEEEEZZNS1_33reduce_by_key_impl_wrapped_configILNS1_25lookback_scan_determinismE0ES3_SB_PS6_NS8_17constant_iteratorIiNS8_11use_defaultESG_EENS8_10device_ptrIS6_EENSI_IlEEPmSA_NS8_8equal_toIS6_EEEE10hipError_tPvRmT2_T3_mT4_T5_T6_T7_T8_P12ihipStream_tbENKUlT_T0_E_clISt17integral_constantIbLb1EES14_IbLb0EEEEDaS10_S11_EUlS10_E_NS1_11comp_targetILNS1_3genE3ELNS1_11target_archE908ELNS1_3gpuE7ELNS1_3repE0EEENS1_30default_config_static_selectorELNS0_4arch9wavefront6targetE1EEEvT1_
		.amdhsa_group_segment_fixed_size 0
		.amdhsa_private_segment_fixed_size 0
		.amdhsa_kernarg_size 144
		.amdhsa_user_sgpr_count 6
		.amdhsa_user_sgpr_private_segment_buffer 1
		.amdhsa_user_sgpr_dispatch_ptr 0
		.amdhsa_user_sgpr_queue_ptr 0
		.amdhsa_user_sgpr_kernarg_segment_ptr 1
		.amdhsa_user_sgpr_dispatch_id 0
		.amdhsa_user_sgpr_flat_scratch_init 0
		.amdhsa_user_sgpr_private_segment_size 0
		.amdhsa_uses_dynamic_stack 0
		.amdhsa_system_sgpr_private_segment_wavefront_offset 0
		.amdhsa_system_sgpr_workgroup_id_x 1
		.amdhsa_system_sgpr_workgroup_id_y 0
		.amdhsa_system_sgpr_workgroup_id_z 0
		.amdhsa_system_sgpr_workgroup_info 0
		.amdhsa_system_vgpr_workitem_id 0
		.amdhsa_next_free_vgpr 1
		.amdhsa_next_free_sgpr 0
		.amdhsa_reserve_vcc 0
		.amdhsa_reserve_flat_scratch 0
		.amdhsa_float_round_mode_32 0
		.amdhsa_float_round_mode_16_64 0
		.amdhsa_float_denorm_mode_32 3
		.amdhsa_float_denorm_mode_16_64 3
		.amdhsa_dx10_clamp 1
		.amdhsa_ieee_mode 1
		.amdhsa_fp16_overflow 0
		.amdhsa_exception_fp_ieee_invalid_op 0
		.amdhsa_exception_fp_denorm_src 0
		.amdhsa_exception_fp_ieee_div_zero 0
		.amdhsa_exception_fp_ieee_overflow 0
		.amdhsa_exception_fp_ieee_underflow 0
		.amdhsa_exception_fp_ieee_inexact 0
		.amdhsa_exception_int_div_zero 0
	.end_amdhsa_kernel
	.section	.text._ZN7rocprim17ROCPRIM_400000_NS6detail17trampoline_kernelINS0_14default_configENS1_29reduce_by_key_config_selectorIN3c108BFloat16ElN6thrust23THRUST_200600_302600_NS4plusIlEEEEZZNS1_33reduce_by_key_impl_wrapped_configILNS1_25lookback_scan_determinismE0ES3_SB_PS6_NS8_17constant_iteratorIiNS8_11use_defaultESG_EENS8_10device_ptrIS6_EENSI_IlEEPmSA_NS8_8equal_toIS6_EEEE10hipError_tPvRmT2_T3_mT4_T5_T6_T7_T8_P12ihipStream_tbENKUlT_T0_E_clISt17integral_constantIbLb1EES14_IbLb0EEEEDaS10_S11_EUlS10_E_NS1_11comp_targetILNS1_3genE3ELNS1_11target_archE908ELNS1_3gpuE7ELNS1_3repE0EEENS1_30default_config_static_selectorELNS0_4arch9wavefront6targetE1EEEvT1_,"axG",@progbits,_ZN7rocprim17ROCPRIM_400000_NS6detail17trampoline_kernelINS0_14default_configENS1_29reduce_by_key_config_selectorIN3c108BFloat16ElN6thrust23THRUST_200600_302600_NS4plusIlEEEEZZNS1_33reduce_by_key_impl_wrapped_configILNS1_25lookback_scan_determinismE0ES3_SB_PS6_NS8_17constant_iteratorIiNS8_11use_defaultESG_EENS8_10device_ptrIS6_EENSI_IlEEPmSA_NS8_8equal_toIS6_EEEE10hipError_tPvRmT2_T3_mT4_T5_T6_T7_T8_P12ihipStream_tbENKUlT_T0_E_clISt17integral_constantIbLb1EES14_IbLb0EEEEDaS10_S11_EUlS10_E_NS1_11comp_targetILNS1_3genE3ELNS1_11target_archE908ELNS1_3gpuE7ELNS1_3repE0EEENS1_30default_config_static_selectorELNS0_4arch9wavefront6targetE1EEEvT1_,comdat
.Lfunc_end2073:
	.size	_ZN7rocprim17ROCPRIM_400000_NS6detail17trampoline_kernelINS0_14default_configENS1_29reduce_by_key_config_selectorIN3c108BFloat16ElN6thrust23THRUST_200600_302600_NS4plusIlEEEEZZNS1_33reduce_by_key_impl_wrapped_configILNS1_25lookback_scan_determinismE0ES3_SB_PS6_NS8_17constant_iteratorIiNS8_11use_defaultESG_EENS8_10device_ptrIS6_EENSI_IlEEPmSA_NS8_8equal_toIS6_EEEE10hipError_tPvRmT2_T3_mT4_T5_T6_T7_T8_P12ihipStream_tbENKUlT_T0_E_clISt17integral_constantIbLb1EES14_IbLb0EEEEDaS10_S11_EUlS10_E_NS1_11comp_targetILNS1_3genE3ELNS1_11target_archE908ELNS1_3gpuE7ELNS1_3repE0EEENS1_30default_config_static_selectorELNS0_4arch9wavefront6targetE1EEEvT1_, .Lfunc_end2073-_ZN7rocprim17ROCPRIM_400000_NS6detail17trampoline_kernelINS0_14default_configENS1_29reduce_by_key_config_selectorIN3c108BFloat16ElN6thrust23THRUST_200600_302600_NS4plusIlEEEEZZNS1_33reduce_by_key_impl_wrapped_configILNS1_25lookback_scan_determinismE0ES3_SB_PS6_NS8_17constant_iteratorIiNS8_11use_defaultESG_EENS8_10device_ptrIS6_EENSI_IlEEPmSA_NS8_8equal_toIS6_EEEE10hipError_tPvRmT2_T3_mT4_T5_T6_T7_T8_P12ihipStream_tbENKUlT_T0_E_clISt17integral_constantIbLb1EES14_IbLb0EEEEDaS10_S11_EUlS10_E_NS1_11comp_targetILNS1_3genE3ELNS1_11target_archE908ELNS1_3gpuE7ELNS1_3repE0EEENS1_30default_config_static_selectorELNS0_4arch9wavefront6targetE1EEEvT1_
                                        ; -- End function
	.set _ZN7rocprim17ROCPRIM_400000_NS6detail17trampoline_kernelINS0_14default_configENS1_29reduce_by_key_config_selectorIN3c108BFloat16ElN6thrust23THRUST_200600_302600_NS4plusIlEEEEZZNS1_33reduce_by_key_impl_wrapped_configILNS1_25lookback_scan_determinismE0ES3_SB_PS6_NS8_17constant_iteratorIiNS8_11use_defaultESG_EENS8_10device_ptrIS6_EENSI_IlEEPmSA_NS8_8equal_toIS6_EEEE10hipError_tPvRmT2_T3_mT4_T5_T6_T7_T8_P12ihipStream_tbENKUlT_T0_E_clISt17integral_constantIbLb1EES14_IbLb0EEEEDaS10_S11_EUlS10_E_NS1_11comp_targetILNS1_3genE3ELNS1_11target_archE908ELNS1_3gpuE7ELNS1_3repE0EEENS1_30default_config_static_selectorELNS0_4arch9wavefront6targetE1EEEvT1_.num_vgpr, 0
	.set _ZN7rocprim17ROCPRIM_400000_NS6detail17trampoline_kernelINS0_14default_configENS1_29reduce_by_key_config_selectorIN3c108BFloat16ElN6thrust23THRUST_200600_302600_NS4plusIlEEEEZZNS1_33reduce_by_key_impl_wrapped_configILNS1_25lookback_scan_determinismE0ES3_SB_PS6_NS8_17constant_iteratorIiNS8_11use_defaultESG_EENS8_10device_ptrIS6_EENSI_IlEEPmSA_NS8_8equal_toIS6_EEEE10hipError_tPvRmT2_T3_mT4_T5_T6_T7_T8_P12ihipStream_tbENKUlT_T0_E_clISt17integral_constantIbLb1EES14_IbLb0EEEEDaS10_S11_EUlS10_E_NS1_11comp_targetILNS1_3genE3ELNS1_11target_archE908ELNS1_3gpuE7ELNS1_3repE0EEENS1_30default_config_static_selectorELNS0_4arch9wavefront6targetE1EEEvT1_.num_agpr, 0
	.set _ZN7rocprim17ROCPRIM_400000_NS6detail17trampoline_kernelINS0_14default_configENS1_29reduce_by_key_config_selectorIN3c108BFloat16ElN6thrust23THRUST_200600_302600_NS4plusIlEEEEZZNS1_33reduce_by_key_impl_wrapped_configILNS1_25lookback_scan_determinismE0ES3_SB_PS6_NS8_17constant_iteratorIiNS8_11use_defaultESG_EENS8_10device_ptrIS6_EENSI_IlEEPmSA_NS8_8equal_toIS6_EEEE10hipError_tPvRmT2_T3_mT4_T5_T6_T7_T8_P12ihipStream_tbENKUlT_T0_E_clISt17integral_constantIbLb1EES14_IbLb0EEEEDaS10_S11_EUlS10_E_NS1_11comp_targetILNS1_3genE3ELNS1_11target_archE908ELNS1_3gpuE7ELNS1_3repE0EEENS1_30default_config_static_selectorELNS0_4arch9wavefront6targetE1EEEvT1_.numbered_sgpr, 0
	.set _ZN7rocprim17ROCPRIM_400000_NS6detail17trampoline_kernelINS0_14default_configENS1_29reduce_by_key_config_selectorIN3c108BFloat16ElN6thrust23THRUST_200600_302600_NS4plusIlEEEEZZNS1_33reduce_by_key_impl_wrapped_configILNS1_25lookback_scan_determinismE0ES3_SB_PS6_NS8_17constant_iteratorIiNS8_11use_defaultESG_EENS8_10device_ptrIS6_EENSI_IlEEPmSA_NS8_8equal_toIS6_EEEE10hipError_tPvRmT2_T3_mT4_T5_T6_T7_T8_P12ihipStream_tbENKUlT_T0_E_clISt17integral_constantIbLb1EES14_IbLb0EEEEDaS10_S11_EUlS10_E_NS1_11comp_targetILNS1_3genE3ELNS1_11target_archE908ELNS1_3gpuE7ELNS1_3repE0EEENS1_30default_config_static_selectorELNS0_4arch9wavefront6targetE1EEEvT1_.num_named_barrier, 0
	.set _ZN7rocprim17ROCPRIM_400000_NS6detail17trampoline_kernelINS0_14default_configENS1_29reduce_by_key_config_selectorIN3c108BFloat16ElN6thrust23THRUST_200600_302600_NS4plusIlEEEEZZNS1_33reduce_by_key_impl_wrapped_configILNS1_25lookback_scan_determinismE0ES3_SB_PS6_NS8_17constant_iteratorIiNS8_11use_defaultESG_EENS8_10device_ptrIS6_EENSI_IlEEPmSA_NS8_8equal_toIS6_EEEE10hipError_tPvRmT2_T3_mT4_T5_T6_T7_T8_P12ihipStream_tbENKUlT_T0_E_clISt17integral_constantIbLb1EES14_IbLb0EEEEDaS10_S11_EUlS10_E_NS1_11comp_targetILNS1_3genE3ELNS1_11target_archE908ELNS1_3gpuE7ELNS1_3repE0EEENS1_30default_config_static_selectorELNS0_4arch9wavefront6targetE1EEEvT1_.private_seg_size, 0
	.set _ZN7rocprim17ROCPRIM_400000_NS6detail17trampoline_kernelINS0_14default_configENS1_29reduce_by_key_config_selectorIN3c108BFloat16ElN6thrust23THRUST_200600_302600_NS4plusIlEEEEZZNS1_33reduce_by_key_impl_wrapped_configILNS1_25lookback_scan_determinismE0ES3_SB_PS6_NS8_17constant_iteratorIiNS8_11use_defaultESG_EENS8_10device_ptrIS6_EENSI_IlEEPmSA_NS8_8equal_toIS6_EEEE10hipError_tPvRmT2_T3_mT4_T5_T6_T7_T8_P12ihipStream_tbENKUlT_T0_E_clISt17integral_constantIbLb1EES14_IbLb0EEEEDaS10_S11_EUlS10_E_NS1_11comp_targetILNS1_3genE3ELNS1_11target_archE908ELNS1_3gpuE7ELNS1_3repE0EEENS1_30default_config_static_selectorELNS0_4arch9wavefront6targetE1EEEvT1_.uses_vcc, 0
	.set _ZN7rocprim17ROCPRIM_400000_NS6detail17trampoline_kernelINS0_14default_configENS1_29reduce_by_key_config_selectorIN3c108BFloat16ElN6thrust23THRUST_200600_302600_NS4plusIlEEEEZZNS1_33reduce_by_key_impl_wrapped_configILNS1_25lookback_scan_determinismE0ES3_SB_PS6_NS8_17constant_iteratorIiNS8_11use_defaultESG_EENS8_10device_ptrIS6_EENSI_IlEEPmSA_NS8_8equal_toIS6_EEEE10hipError_tPvRmT2_T3_mT4_T5_T6_T7_T8_P12ihipStream_tbENKUlT_T0_E_clISt17integral_constantIbLb1EES14_IbLb0EEEEDaS10_S11_EUlS10_E_NS1_11comp_targetILNS1_3genE3ELNS1_11target_archE908ELNS1_3gpuE7ELNS1_3repE0EEENS1_30default_config_static_selectorELNS0_4arch9wavefront6targetE1EEEvT1_.uses_flat_scratch, 0
	.set _ZN7rocprim17ROCPRIM_400000_NS6detail17trampoline_kernelINS0_14default_configENS1_29reduce_by_key_config_selectorIN3c108BFloat16ElN6thrust23THRUST_200600_302600_NS4plusIlEEEEZZNS1_33reduce_by_key_impl_wrapped_configILNS1_25lookback_scan_determinismE0ES3_SB_PS6_NS8_17constant_iteratorIiNS8_11use_defaultESG_EENS8_10device_ptrIS6_EENSI_IlEEPmSA_NS8_8equal_toIS6_EEEE10hipError_tPvRmT2_T3_mT4_T5_T6_T7_T8_P12ihipStream_tbENKUlT_T0_E_clISt17integral_constantIbLb1EES14_IbLb0EEEEDaS10_S11_EUlS10_E_NS1_11comp_targetILNS1_3genE3ELNS1_11target_archE908ELNS1_3gpuE7ELNS1_3repE0EEENS1_30default_config_static_selectorELNS0_4arch9wavefront6targetE1EEEvT1_.has_dyn_sized_stack, 0
	.set _ZN7rocprim17ROCPRIM_400000_NS6detail17trampoline_kernelINS0_14default_configENS1_29reduce_by_key_config_selectorIN3c108BFloat16ElN6thrust23THRUST_200600_302600_NS4plusIlEEEEZZNS1_33reduce_by_key_impl_wrapped_configILNS1_25lookback_scan_determinismE0ES3_SB_PS6_NS8_17constant_iteratorIiNS8_11use_defaultESG_EENS8_10device_ptrIS6_EENSI_IlEEPmSA_NS8_8equal_toIS6_EEEE10hipError_tPvRmT2_T3_mT4_T5_T6_T7_T8_P12ihipStream_tbENKUlT_T0_E_clISt17integral_constantIbLb1EES14_IbLb0EEEEDaS10_S11_EUlS10_E_NS1_11comp_targetILNS1_3genE3ELNS1_11target_archE908ELNS1_3gpuE7ELNS1_3repE0EEENS1_30default_config_static_selectorELNS0_4arch9wavefront6targetE1EEEvT1_.has_recursion, 0
	.set _ZN7rocprim17ROCPRIM_400000_NS6detail17trampoline_kernelINS0_14default_configENS1_29reduce_by_key_config_selectorIN3c108BFloat16ElN6thrust23THRUST_200600_302600_NS4plusIlEEEEZZNS1_33reduce_by_key_impl_wrapped_configILNS1_25lookback_scan_determinismE0ES3_SB_PS6_NS8_17constant_iteratorIiNS8_11use_defaultESG_EENS8_10device_ptrIS6_EENSI_IlEEPmSA_NS8_8equal_toIS6_EEEE10hipError_tPvRmT2_T3_mT4_T5_T6_T7_T8_P12ihipStream_tbENKUlT_T0_E_clISt17integral_constantIbLb1EES14_IbLb0EEEEDaS10_S11_EUlS10_E_NS1_11comp_targetILNS1_3genE3ELNS1_11target_archE908ELNS1_3gpuE7ELNS1_3repE0EEENS1_30default_config_static_selectorELNS0_4arch9wavefront6targetE1EEEvT1_.has_indirect_call, 0
	.section	.AMDGPU.csdata,"",@progbits
; Kernel info:
; codeLenInByte = 0
; TotalNumSgprs: 4
; NumVgprs: 0
; ScratchSize: 0
; MemoryBound: 0
; FloatMode: 240
; IeeeMode: 1
; LDSByteSize: 0 bytes/workgroup (compile time only)
; SGPRBlocks: 0
; VGPRBlocks: 0
; NumSGPRsForWavesPerEU: 4
; NumVGPRsForWavesPerEU: 1
; Occupancy: 10
; WaveLimiterHint : 0
; COMPUTE_PGM_RSRC2:SCRATCH_EN: 0
; COMPUTE_PGM_RSRC2:USER_SGPR: 6
; COMPUTE_PGM_RSRC2:TRAP_HANDLER: 0
; COMPUTE_PGM_RSRC2:TGID_X_EN: 1
; COMPUTE_PGM_RSRC2:TGID_Y_EN: 0
; COMPUTE_PGM_RSRC2:TGID_Z_EN: 0
; COMPUTE_PGM_RSRC2:TIDIG_COMP_CNT: 0
	.section	.text._ZN7rocprim17ROCPRIM_400000_NS6detail17trampoline_kernelINS0_14default_configENS1_29reduce_by_key_config_selectorIN3c108BFloat16ElN6thrust23THRUST_200600_302600_NS4plusIlEEEEZZNS1_33reduce_by_key_impl_wrapped_configILNS1_25lookback_scan_determinismE0ES3_SB_PS6_NS8_17constant_iteratorIiNS8_11use_defaultESG_EENS8_10device_ptrIS6_EENSI_IlEEPmSA_NS8_8equal_toIS6_EEEE10hipError_tPvRmT2_T3_mT4_T5_T6_T7_T8_P12ihipStream_tbENKUlT_T0_E_clISt17integral_constantIbLb1EES14_IbLb0EEEEDaS10_S11_EUlS10_E_NS1_11comp_targetILNS1_3genE2ELNS1_11target_archE906ELNS1_3gpuE6ELNS1_3repE0EEENS1_30default_config_static_selectorELNS0_4arch9wavefront6targetE1EEEvT1_,"axG",@progbits,_ZN7rocprim17ROCPRIM_400000_NS6detail17trampoline_kernelINS0_14default_configENS1_29reduce_by_key_config_selectorIN3c108BFloat16ElN6thrust23THRUST_200600_302600_NS4plusIlEEEEZZNS1_33reduce_by_key_impl_wrapped_configILNS1_25lookback_scan_determinismE0ES3_SB_PS6_NS8_17constant_iteratorIiNS8_11use_defaultESG_EENS8_10device_ptrIS6_EENSI_IlEEPmSA_NS8_8equal_toIS6_EEEE10hipError_tPvRmT2_T3_mT4_T5_T6_T7_T8_P12ihipStream_tbENKUlT_T0_E_clISt17integral_constantIbLb1EES14_IbLb0EEEEDaS10_S11_EUlS10_E_NS1_11comp_targetILNS1_3genE2ELNS1_11target_archE906ELNS1_3gpuE6ELNS1_3repE0EEENS1_30default_config_static_selectorELNS0_4arch9wavefront6targetE1EEEvT1_,comdat
	.protected	_ZN7rocprim17ROCPRIM_400000_NS6detail17trampoline_kernelINS0_14default_configENS1_29reduce_by_key_config_selectorIN3c108BFloat16ElN6thrust23THRUST_200600_302600_NS4plusIlEEEEZZNS1_33reduce_by_key_impl_wrapped_configILNS1_25lookback_scan_determinismE0ES3_SB_PS6_NS8_17constant_iteratorIiNS8_11use_defaultESG_EENS8_10device_ptrIS6_EENSI_IlEEPmSA_NS8_8equal_toIS6_EEEE10hipError_tPvRmT2_T3_mT4_T5_T6_T7_T8_P12ihipStream_tbENKUlT_T0_E_clISt17integral_constantIbLb1EES14_IbLb0EEEEDaS10_S11_EUlS10_E_NS1_11comp_targetILNS1_3genE2ELNS1_11target_archE906ELNS1_3gpuE6ELNS1_3repE0EEENS1_30default_config_static_selectorELNS0_4arch9wavefront6targetE1EEEvT1_ ; -- Begin function _ZN7rocprim17ROCPRIM_400000_NS6detail17trampoline_kernelINS0_14default_configENS1_29reduce_by_key_config_selectorIN3c108BFloat16ElN6thrust23THRUST_200600_302600_NS4plusIlEEEEZZNS1_33reduce_by_key_impl_wrapped_configILNS1_25lookback_scan_determinismE0ES3_SB_PS6_NS8_17constant_iteratorIiNS8_11use_defaultESG_EENS8_10device_ptrIS6_EENSI_IlEEPmSA_NS8_8equal_toIS6_EEEE10hipError_tPvRmT2_T3_mT4_T5_T6_T7_T8_P12ihipStream_tbENKUlT_T0_E_clISt17integral_constantIbLb1EES14_IbLb0EEEEDaS10_S11_EUlS10_E_NS1_11comp_targetILNS1_3genE2ELNS1_11target_archE906ELNS1_3gpuE6ELNS1_3repE0EEENS1_30default_config_static_selectorELNS0_4arch9wavefront6targetE1EEEvT1_
	.globl	_ZN7rocprim17ROCPRIM_400000_NS6detail17trampoline_kernelINS0_14default_configENS1_29reduce_by_key_config_selectorIN3c108BFloat16ElN6thrust23THRUST_200600_302600_NS4plusIlEEEEZZNS1_33reduce_by_key_impl_wrapped_configILNS1_25lookback_scan_determinismE0ES3_SB_PS6_NS8_17constant_iteratorIiNS8_11use_defaultESG_EENS8_10device_ptrIS6_EENSI_IlEEPmSA_NS8_8equal_toIS6_EEEE10hipError_tPvRmT2_T3_mT4_T5_T6_T7_T8_P12ihipStream_tbENKUlT_T0_E_clISt17integral_constantIbLb1EES14_IbLb0EEEEDaS10_S11_EUlS10_E_NS1_11comp_targetILNS1_3genE2ELNS1_11target_archE906ELNS1_3gpuE6ELNS1_3repE0EEENS1_30default_config_static_selectorELNS0_4arch9wavefront6targetE1EEEvT1_
	.p2align	8
	.type	_ZN7rocprim17ROCPRIM_400000_NS6detail17trampoline_kernelINS0_14default_configENS1_29reduce_by_key_config_selectorIN3c108BFloat16ElN6thrust23THRUST_200600_302600_NS4plusIlEEEEZZNS1_33reduce_by_key_impl_wrapped_configILNS1_25lookback_scan_determinismE0ES3_SB_PS6_NS8_17constant_iteratorIiNS8_11use_defaultESG_EENS8_10device_ptrIS6_EENSI_IlEEPmSA_NS8_8equal_toIS6_EEEE10hipError_tPvRmT2_T3_mT4_T5_T6_T7_T8_P12ihipStream_tbENKUlT_T0_E_clISt17integral_constantIbLb1EES14_IbLb0EEEEDaS10_S11_EUlS10_E_NS1_11comp_targetILNS1_3genE2ELNS1_11target_archE906ELNS1_3gpuE6ELNS1_3repE0EEENS1_30default_config_static_selectorELNS0_4arch9wavefront6targetE1EEEvT1_,@function
_ZN7rocprim17ROCPRIM_400000_NS6detail17trampoline_kernelINS0_14default_configENS1_29reduce_by_key_config_selectorIN3c108BFloat16ElN6thrust23THRUST_200600_302600_NS4plusIlEEEEZZNS1_33reduce_by_key_impl_wrapped_configILNS1_25lookback_scan_determinismE0ES3_SB_PS6_NS8_17constant_iteratorIiNS8_11use_defaultESG_EENS8_10device_ptrIS6_EENSI_IlEEPmSA_NS8_8equal_toIS6_EEEE10hipError_tPvRmT2_T3_mT4_T5_T6_T7_T8_P12ihipStream_tbENKUlT_T0_E_clISt17integral_constantIbLb1EES14_IbLb0EEEEDaS10_S11_EUlS10_E_NS1_11comp_targetILNS1_3genE2ELNS1_11target_archE906ELNS1_3gpuE6ELNS1_3repE0EEENS1_30default_config_static_selectorELNS0_4arch9wavefront6targetE1EEEvT1_: ; @_ZN7rocprim17ROCPRIM_400000_NS6detail17trampoline_kernelINS0_14default_configENS1_29reduce_by_key_config_selectorIN3c108BFloat16ElN6thrust23THRUST_200600_302600_NS4plusIlEEEEZZNS1_33reduce_by_key_impl_wrapped_configILNS1_25lookback_scan_determinismE0ES3_SB_PS6_NS8_17constant_iteratorIiNS8_11use_defaultESG_EENS8_10device_ptrIS6_EENSI_IlEEPmSA_NS8_8equal_toIS6_EEEE10hipError_tPvRmT2_T3_mT4_T5_T6_T7_T8_P12ihipStream_tbENKUlT_T0_E_clISt17integral_constantIbLb1EES14_IbLb0EEEEDaS10_S11_EUlS10_E_NS1_11comp_targetILNS1_3genE2ELNS1_11target_archE906ELNS1_3gpuE6ELNS1_3repE0EEENS1_30default_config_static_selectorELNS0_4arch9wavefront6targetE1EEEvT1_
; %bb.0:
	s_endpgm
	.section	.rodata,"a",@progbits
	.p2align	6, 0x0
	.amdhsa_kernel _ZN7rocprim17ROCPRIM_400000_NS6detail17trampoline_kernelINS0_14default_configENS1_29reduce_by_key_config_selectorIN3c108BFloat16ElN6thrust23THRUST_200600_302600_NS4plusIlEEEEZZNS1_33reduce_by_key_impl_wrapped_configILNS1_25lookback_scan_determinismE0ES3_SB_PS6_NS8_17constant_iteratorIiNS8_11use_defaultESG_EENS8_10device_ptrIS6_EENSI_IlEEPmSA_NS8_8equal_toIS6_EEEE10hipError_tPvRmT2_T3_mT4_T5_T6_T7_T8_P12ihipStream_tbENKUlT_T0_E_clISt17integral_constantIbLb1EES14_IbLb0EEEEDaS10_S11_EUlS10_E_NS1_11comp_targetILNS1_3genE2ELNS1_11target_archE906ELNS1_3gpuE6ELNS1_3repE0EEENS1_30default_config_static_selectorELNS0_4arch9wavefront6targetE1EEEvT1_
		.amdhsa_group_segment_fixed_size 0
		.amdhsa_private_segment_fixed_size 0
		.amdhsa_kernarg_size 144
		.amdhsa_user_sgpr_count 6
		.amdhsa_user_sgpr_private_segment_buffer 1
		.amdhsa_user_sgpr_dispatch_ptr 0
		.amdhsa_user_sgpr_queue_ptr 0
		.amdhsa_user_sgpr_kernarg_segment_ptr 1
		.amdhsa_user_sgpr_dispatch_id 0
		.amdhsa_user_sgpr_flat_scratch_init 0
		.amdhsa_user_sgpr_private_segment_size 0
		.amdhsa_uses_dynamic_stack 0
		.amdhsa_system_sgpr_private_segment_wavefront_offset 0
		.amdhsa_system_sgpr_workgroup_id_x 1
		.amdhsa_system_sgpr_workgroup_id_y 0
		.amdhsa_system_sgpr_workgroup_id_z 0
		.amdhsa_system_sgpr_workgroup_info 0
		.amdhsa_system_vgpr_workitem_id 0
		.amdhsa_next_free_vgpr 1
		.amdhsa_next_free_sgpr 0
		.amdhsa_reserve_vcc 0
		.amdhsa_reserve_flat_scratch 0
		.amdhsa_float_round_mode_32 0
		.amdhsa_float_round_mode_16_64 0
		.amdhsa_float_denorm_mode_32 3
		.amdhsa_float_denorm_mode_16_64 3
		.amdhsa_dx10_clamp 1
		.amdhsa_ieee_mode 1
		.amdhsa_fp16_overflow 0
		.amdhsa_exception_fp_ieee_invalid_op 0
		.amdhsa_exception_fp_denorm_src 0
		.amdhsa_exception_fp_ieee_div_zero 0
		.amdhsa_exception_fp_ieee_overflow 0
		.amdhsa_exception_fp_ieee_underflow 0
		.amdhsa_exception_fp_ieee_inexact 0
		.amdhsa_exception_int_div_zero 0
	.end_amdhsa_kernel
	.section	.text._ZN7rocprim17ROCPRIM_400000_NS6detail17trampoline_kernelINS0_14default_configENS1_29reduce_by_key_config_selectorIN3c108BFloat16ElN6thrust23THRUST_200600_302600_NS4plusIlEEEEZZNS1_33reduce_by_key_impl_wrapped_configILNS1_25lookback_scan_determinismE0ES3_SB_PS6_NS8_17constant_iteratorIiNS8_11use_defaultESG_EENS8_10device_ptrIS6_EENSI_IlEEPmSA_NS8_8equal_toIS6_EEEE10hipError_tPvRmT2_T3_mT4_T5_T6_T7_T8_P12ihipStream_tbENKUlT_T0_E_clISt17integral_constantIbLb1EES14_IbLb0EEEEDaS10_S11_EUlS10_E_NS1_11comp_targetILNS1_3genE2ELNS1_11target_archE906ELNS1_3gpuE6ELNS1_3repE0EEENS1_30default_config_static_selectorELNS0_4arch9wavefront6targetE1EEEvT1_,"axG",@progbits,_ZN7rocprim17ROCPRIM_400000_NS6detail17trampoline_kernelINS0_14default_configENS1_29reduce_by_key_config_selectorIN3c108BFloat16ElN6thrust23THRUST_200600_302600_NS4plusIlEEEEZZNS1_33reduce_by_key_impl_wrapped_configILNS1_25lookback_scan_determinismE0ES3_SB_PS6_NS8_17constant_iteratorIiNS8_11use_defaultESG_EENS8_10device_ptrIS6_EENSI_IlEEPmSA_NS8_8equal_toIS6_EEEE10hipError_tPvRmT2_T3_mT4_T5_T6_T7_T8_P12ihipStream_tbENKUlT_T0_E_clISt17integral_constantIbLb1EES14_IbLb0EEEEDaS10_S11_EUlS10_E_NS1_11comp_targetILNS1_3genE2ELNS1_11target_archE906ELNS1_3gpuE6ELNS1_3repE0EEENS1_30default_config_static_selectorELNS0_4arch9wavefront6targetE1EEEvT1_,comdat
.Lfunc_end2074:
	.size	_ZN7rocprim17ROCPRIM_400000_NS6detail17trampoline_kernelINS0_14default_configENS1_29reduce_by_key_config_selectorIN3c108BFloat16ElN6thrust23THRUST_200600_302600_NS4plusIlEEEEZZNS1_33reduce_by_key_impl_wrapped_configILNS1_25lookback_scan_determinismE0ES3_SB_PS6_NS8_17constant_iteratorIiNS8_11use_defaultESG_EENS8_10device_ptrIS6_EENSI_IlEEPmSA_NS8_8equal_toIS6_EEEE10hipError_tPvRmT2_T3_mT4_T5_T6_T7_T8_P12ihipStream_tbENKUlT_T0_E_clISt17integral_constantIbLb1EES14_IbLb0EEEEDaS10_S11_EUlS10_E_NS1_11comp_targetILNS1_3genE2ELNS1_11target_archE906ELNS1_3gpuE6ELNS1_3repE0EEENS1_30default_config_static_selectorELNS0_4arch9wavefront6targetE1EEEvT1_, .Lfunc_end2074-_ZN7rocprim17ROCPRIM_400000_NS6detail17trampoline_kernelINS0_14default_configENS1_29reduce_by_key_config_selectorIN3c108BFloat16ElN6thrust23THRUST_200600_302600_NS4plusIlEEEEZZNS1_33reduce_by_key_impl_wrapped_configILNS1_25lookback_scan_determinismE0ES3_SB_PS6_NS8_17constant_iteratorIiNS8_11use_defaultESG_EENS8_10device_ptrIS6_EENSI_IlEEPmSA_NS8_8equal_toIS6_EEEE10hipError_tPvRmT2_T3_mT4_T5_T6_T7_T8_P12ihipStream_tbENKUlT_T0_E_clISt17integral_constantIbLb1EES14_IbLb0EEEEDaS10_S11_EUlS10_E_NS1_11comp_targetILNS1_3genE2ELNS1_11target_archE906ELNS1_3gpuE6ELNS1_3repE0EEENS1_30default_config_static_selectorELNS0_4arch9wavefront6targetE1EEEvT1_
                                        ; -- End function
	.set _ZN7rocprim17ROCPRIM_400000_NS6detail17trampoline_kernelINS0_14default_configENS1_29reduce_by_key_config_selectorIN3c108BFloat16ElN6thrust23THRUST_200600_302600_NS4plusIlEEEEZZNS1_33reduce_by_key_impl_wrapped_configILNS1_25lookback_scan_determinismE0ES3_SB_PS6_NS8_17constant_iteratorIiNS8_11use_defaultESG_EENS8_10device_ptrIS6_EENSI_IlEEPmSA_NS8_8equal_toIS6_EEEE10hipError_tPvRmT2_T3_mT4_T5_T6_T7_T8_P12ihipStream_tbENKUlT_T0_E_clISt17integral_constantIbLb1EES14_IbLb0EEEEDaS10_S11_EUlS10_E_NS1_11comp_targetILNS1_3genE2ELNS1_11target_archE906ELNS1_3gpuE6ELNS1_3repE0EEENS1_30default_config_static_selectorELNS0_4arch9wavefront6targetE1EEEvT1_.num_vgpr, 0
	.set _ZN7rocprim17ROCPRIM_400000_NS6detail17trampoline_kernelINS0_14default_configENS1_29reduce_by_key_config_selectorIN3c108BFloat16ElN6thrust23THRUST_200600_302600_NS4plusIlEEEEZZNS1_33reduce_by_key_impl_wrapped_configILNS1_25lookback_scan_determinismE0ES3_SB_PS6_NS8_17constant_iteratorIiNS8_11use_defaultESG_EENS8_10device_ptrIS6_EENSI_IlEEPmSA_NS8_8equal_toIS6_EEEE10hipError_tPvRmT2_T3_mT4_T5_T6_T7_T8_P12ihipStream_tbENKUlT_T0_E_clISt17integral_constantIbLb1EES14_IbLb0EEEEDaS10_S11_EUlS10_E_NS1_11comp_targetILNS1_3genE2ELNS1_11target_archE906ELNS1_3gpuE6ELNS1_3repE0EEENS1_30default_config_static_selectorELNS0_4arch9wavefront6targetE1EEEvT1_.num_agpr, 0
	.set _ZN7rocprim17ROCPRIM_400000_NS6detail17trampoline_kernelINS0_14default_configENS1_29reduce_by_key_config_selectorIN3c108BFloat16ElN6thrust23THRUST_200600_302600_NS4plusIlEEEEZZNS1_33reduce_by_key_impl_wrapped_configILNS1_25lookback_scan_determinismE0ES3_SB_PS6_NS8_17constant_iteratorIiNS8_11use_defaultESG_EENS8_10device_ptrIS6_EENSI_IlEEPmSA_NS8_8equal_toIS6_EEEE10hipError_tPvRmT2_T3_mT4_T5_T6_T7_T8_P12ihipStream_tbENKUlT_T0_E_clISt17integral_constantIbLb1EES14_IbLb0EEEEDaS10_S11_EUlS10_E_NS1_11comp_targetILNS1_3genE2ELNS1_11target_archE906ELNS1_3gpuE6ELNS1_3repE0EEENS1_30default_config_static_selectorELNS0_4arch9wavefront6targetE1EEEvT1_.numbered_sgpr, 0
	.set _ZN7rocprim17ROCPRIM_400000_NS6detail17trampoline_kernelINS0_14default_configENS1_29reduce_by_key_config_selectorIN3c108BFloat16ElN6thrust23THRUST_200600_302600_NS4plusIlEEEEZZNS1_33reduce_by_key_impl_wrapped_configILNS1_25lookback_scan_determinismE0ES3_SB_PS6_NS8_17constant_iteratorIiNS8_11use_defaultESG_EENS8_10device_ptrIS6_EENSI_IlEEPmSA_NS8_8equal_toIS6_EEEE10hipError_tPvRmT2_T3_mT4_T5_T6_T7_T8_P12ihipStream_tbENKUlT_T0_E_clISt17integral_constantIbLb1EES14_IbLb0EEEEDaS10_S11_EUlS10_E_NS1_11comp_targetILNS1_3genE2ELNS1_11target_archE906ELNS1_3gpuE6ELNS1_3repE0EEENS1_30default_config_static_selectorELNS0_4arch9wavefront6targetE1EEEvT1_.num_named_barrier, 0
	.set _ZN7rocprim17ROCPRIM_400000_NS6detail17trampoline_kernelINS0_14default_configENS1_29reduce_by_key_config_selectorIN3c108BFloat16ElN6thrust23THRUST_200600_302600_NS4plusIlEEEEZZNS1_33reduce_by_key_impl_wrapped_configILNS1_25lookback_scan_determinismE0ES3_SB_PS6_NS8_17constant_iteratorIiNS8_11use_defaultESG_EENS8_10device_ptrIS6_EENSI_IlEEPmSA_NS8_8equal_toIS6_EEEE10hipError_tPvRmT2_T3_mT4_T5_T6_T7_T8_P12ihipStream_tbENKUlT_T0_E_clISt17integral_constantIbLb1EES14_IbLb0EEEEDaS10_S11_EUlS10_E_NS1_11comp_targetILNS1_3genE2ELNS1_11target_archE906ELNS1_3gpuE6ELNS1_3repE0EEENS1_30default_config_static_selectorELNS0_4arch9wavefront6targetE1EEEvT1_.private_seg_size, 0
	.set _ZN7rocprim17ROCPRIM_400000_NS6detail17trampoline_kernelINS0_14default_configENS1_29reduce_by_key_config_selectorIN3c108BFloat16ElN6thrust23THRUST_200600_302600_NS4plusIlEEEEZZNS1_33reduce_by_key_impl_wrapped_configILNS1_25lookback_scan_determinismE0ES3_SB_PS6_NS8_17constant_iteratorIiNS8_11use_defaultESG_EENS8_10device_ptrIS6_EENSI_IlEEPmSA_NS8_8equal_toIS6_EEEE10hipError_tPvRmT2_T3_mT4_T5_T6_T7_T8_P12ihipStream_tbENKUlT_T0_E_clISt17integral_constantIbLb1EES14_IbLb0EEEEDaS10_S11_EUlS10_E_NS1_11comp_targetILNS1_3genE2ELNS1_11target_archE906ELNS1_3gpuE6ELNS1_3repE0EEENS1_30default_config_static_selectorELNS0_4arch9wavefront6targetE1EEEvT1_.uses_vcc, 0
	.set _ZN7rocprim17ROCPRIM_400000_NS6detail17trampoline_kernelINS0_14default_configENS1_29reduce_by_key_config_selectorIN3c108BFloat16ElN6thrust23THRUST_200600_302600_NS4plusIlEEEEZZNS1_33reduce_by_key_impl_wrapped_configILNS1_25lookback_scan_determinismE0ES3_SB_PS6_NS8_17constant_iteratorIiNS8_11use_defaultESG_EENS8_10device_ptrIS6_EENSI_IlEEPmSA_NS8_8equal_toIS6_EEEE10hipError_tPvRmT2_T3_mT4_T5_T6_T7_T8_P12ihipStream_tbENKUlT_T0_E_clISt17integral_constantIbLb1EES14_IbLb0EEEEDaS10_S11_EUlS10_E_NS1_11comp_targetILNS1_3genE2ELNS1_11target_archE906ELNS1_3gpuE6ELNS1_3repE0EEENS1_30default_config_static_selectorELNS0_4arch9wavefront6targetE1EEEvT1_.uses_flat_scratch, 0
	.set _ZN7rocprim17ROCPRIM_400000_NS6detail17trampoline_kernelINS0_14default_configENS1_29reduce_by_key_config_selectorIN3c108BFloat16ElN6thrust23THRUST_200600_302600_NS4plusIlEEEEZZNS1_33reduce_by_key_impl_wrapped_configILNS1_25lookback_scan_determinismE0ES3_SB_PS6_NS8_17constant_iteratorIiNS8_11use_defaultESG_EENS8_10device_ptrIS6_EENSI_IlEEPmSA_NS8_8equal_toIS6_EEEE10hipError_tPvRmT2_T3_mT4_T5_T6_T7_T8_P12ihipStream_tbENKUlT_T0_E_clISt17integral_constantIbLb1EES14_IbLb0EEEEDaS10_S11_EUlS10_E_NS1_11comp_targetILNS1_3genE2ELNS1_11target_archE906ELNS1_3gpuE6ELNS1_3repE0EEENS1_30default_config_static_selectorELNS0_4arch9wavefront6targetE1EEEvT1_.has_dyn_sized_stack, 0
	.set _ZN7rocprim17ROCPRIM_400000_NS6detail17trampoline_kernelINS0_14default_configENS1_29reduce_by_key_config_selectorIN3c108BFloat16ElN6thrust23THRUST_200600_302600_NS4plusIlEEEEZZNS1_33reduce_by_key_impl_wrapped_configILNS1_25lookback_scan_determinismE0ES3_SB_PS6_NS8_17constant_iteratorIiNS8_11use_defaultESG_EENS8_10device_ptrIS6_EENSI_IlEEPmSA_NS8_8equal_toIS6_EEEE10hipError_tPvRmT2_T3_mT4_T5_T6_T7_T8_P12ihipStream_tbENKUlT_T0_E_clISt17integral_constantIbLb1EES14_IbLb0EEEEDaS10_S11_EUlS10_E_NS1_11comp_targetILNS1_3genE2ELNS1_11target_archE906ELNS1_3gpuE6ELNS1_3repE0EEENS1_30default_config_static_selectorELNS0_4arch9wavefront6targetE1EEEvT1_.has_recursion, 0
	.set _ZN7rocprim17ROCPRIM_400000_NS6detail17trampoline_kernelINS0_14default_configENS1_29reduce_by_key_config_selectorIN3c108BFloat16ElN6thrust23THRUST_200600_302600_NS4plusIlEEEEZZNS1_33reduce_by_key_impl_wrapped_configILNS1_25lookback_scan_determinismE0ES3_SB_PS6_NS8_17constant_iteratorIiNS8_11use_defaultESG_EENS8_10device_ptrIS6_EENSI_IlEEPmSA_NS8_8equal_toIS6_EEEE10hipError_tPvRmT2_T3_mT4_T5_T6_T7_T8_P12ihipStream_tbENKUlT_T0_E_clISt17integral_constantIbLb1EES14_IbLb0EEEEDaS10_S11_EUlS10_E_NS1_11comp_targetILNS1_3genE2ELNS1_11target_archE906ELNS1_3gpuE6ELNS1_3repE0EEENS1_30default_config_static_selectorELNS0_4arch9wavefront6targetE1EEEvT1_.has_indirect_call, 0
	.section	.AMDGPU.csdata,"",@progbits
; Kernel info:
; codeLenInByte = 4
; TotalNumSgprs: 4
; NumVgprs: 0
; ScratchSize: 0
; MemoryBound: 0
; FloatMode: 240
; IeeeMode: 1
; LDSByteSize: 0 bytes/workgroup (compile time only)
; SGPRBlocks: 0
; VGPRBlocks: 0
; NumSGPRsForWavesPerEU: 4
; NumVGPRsForWavesPerEU: 1
; Occupancy: 10
; WaveLimiterHint : 0
; COMPUTE_PGM_RSRC2:SCRATCH_EN: 0
; COMPUTE_PGM_RSRC2:USER_SGPR: 6
; COMPUTE_PGM_RSRC2:TRAP_HANDLER: 0
; COMPUTE_PGM_RSRC2:TGID_X_EN: 1
; COMPUTE_PGM_RSRC2:TGID_Y_EN: 0
; COMPUTE_PGM_RSRC2:TGID_Z_EN: 0
; COMPUTE_PGM_RSRC2:TIDIG_COMP_CNT: 0
	.section	.text._ZN7rocprim17ROCPRIM_400000_NS6detail17trampoline_kernelINS0_14default_configENS1_29reduce_by_key_config_selectorIN3c108BFloat16ElN6thrust23THRUST_200600_302600_NS4plusIlEEEEZZNS1_33reduce_by_key_impl_wrapped_configILNS1_25lookback_scan_determinismE0ES3_SB_PS6_NS8_17constant_iteratorIiNS8_11use_defaultESG_EENS8_10device_ptrIS6_EENSI_IlEEPmSA_NS8_8equal_toIS6_EEEE10hipError_tPvRmT2_T3_mT4_T5_T6_T7_T8_P12ihipStream_tbENKUlT_T0_E_clISt17integral_constantIbLb1EES14_IbLb0EEEEDaS10_S11_EUlS10_E_NS1_11comp_targetILNS1_3genE10ELNS1_11target_archE1201ELNS1_3gpuE5ELNS1_3repE0EEENS1_30default_config_static_selectorELNS0_4arch9wavefront6targetE1EEEvT1_,"axG",@progbits,_ZN7rocprim17ROCPRIM_400000_NS6detail17trampoline_kernelINS0_14default_configENS1_29reduce_by_key_config_selectorIN3c108BFloat16ElN6thrust23THRUST_200600_302600_NS4plusIlEEEEZZNS1_33reduce_by_key_impl_wrapped_configILNS1_25lookback_scan_determinismE0ES3_SB_PS6_NS8_17constant_iteratorIiNS8_11use_defaultESG_EENS8_10device_ptrIS6_EENSI_IlEEPmSA_NS8_8equal_toIS6_EEEE10hipError_tPvRmT2_T3_mT4_T5_T6_T7_T8_P12ihipStream_tbENKUlT_T0_E_clISt17integral_constantIbLb1EES14_IbLb0EEEEDaS10_S11_EUlS10_E_NS1_11comp_targetILNS1_3genE10ELNS1_11target_archE1201ELNS1_3gpuE5ELNS1_3repE0EEENS1_30default_config_static_selectorELNS0_4arch9wavefront6targetE1EEEvT1_,comdat
	.protected	_ZN7rocprim17ROCPRIM_400000_NS6detail17trampoline_kernelINS0_14default_configENS1_29reduce_by_key_config_selectorIN3c108BFloat16ElN6thrust23THRUST_200600_302600_NS4plusIlEEEEZZNS1_33reduce_by_key_impl_wrapped_configILNS1_25lookback_scan_determinismE0ES3_SB_PS6_NS8_17constant_iteratorIiNS8_11use_defaultESG_EENS8_10device_ptrIS6_EENSI_IlEEPmSA_NS8_8equal_toIS6_EEEE10hipError_tPvRmT2_T3_mT4_T5_T6_T7_T8_P12ihipStream_tbENKUlT_T0_E_clISt17integral_constantIbLb1EES14_IbLb0EEEEDaS10_S11_EUlS10_E_NS1_11comp_targetILNS1_3genE10ELNS1_11target_archE1201ELNS1_3gpuE5ELNS1_3repE0EEENS1_30default_config_static_selectorELNS0_4arch9wavefront6targetE1EEEvT1_ ; -- Begin function _ZN7rocprim17ROCPRIM_400000_NS6detail17trampoline_kernelINS0_14default_configENS1_29reduce_by_key_config_selectorIN3c108BFloat16ElN6thrust23THRUST_200600_302600_NS4plusIlEEEEZZNS1_33reduce_by_key_impl_wrapped_configILNS1_25lookback_scan_determinismE0ES3_SB_PS6_NS8_17constant_iteratorIiNS8_11use_defaultESG_EENS8_10device_ptrIS6_EENSI_IlEEPmSA_NS8_8equal_toIS6_EEEE10hipError_tPvRmT2_T3_mT4_T5_T6_T7_T8_P12ihipStream_tbENKUlT_T0_E_clISt17integral_constantIbLb1EES14_IbLb0EEEEDaS10_S11_EUlS10_E_NS1_11comp_targetILNS1_3genE10ELNS1_11target_archE1201ELNS1_3gpuE5ELNS1_3repE0EEENS1_30default_config_static_selectorELNS0_4arch9wavefront6targetE1EEEvT1_
	.globl	_ZN7rocprim17ROCPRIM_400000_NS6detail17trampoline_kernelINS0_14default_configENS1_29reduce_by_key_config_selectorIN3c108BFloat16ElN6thrust23THRUST_200600_302600_NS4plusIlEEEEZZNS1_33reduce_by_key_impl_wrapped_configILNS1_25lookback_scan_determinismE0ES3_SB_PS6_NS8_17constant_iteratorIiNS8_11use_defaultESG_EENS8_10device_ptrIS6_EENSI_IlEEPmSA_NS8_8equal_toIS6_EEEE10hipError_tPvRmT2_T3_mT4_T5_T6_T7_T8_P12ihipStream_tbENKUlT_T0_E_clISt17integral_constantIbLb1EES14_IbLb0EEEEDaS10_S11_EUlS10_E_NS1_11comp_targetILNS1_3genE10ELNS1_11target_archE1201ELNS1_3gpuE5ELNS1_3repE0EEENS1_30default_config_static_selectorELNS0_4arch9wavefront6targetE1EEEvT1_
	.p2align	8
	.type	_ZN7rocprim17ROCPRIM_400000_NS6detail17trampoline_kernelINS0_14default_configENS1_29reduce_by_key_config_selectorIN3c108BFloat16ElN6thrust23THRUST_200600_302600_NS4plusIlEEEEZZNS1_33reduce_by_key_impl_wrapped_configILNS1_25lookback_scan_determinismE0ES3_SB_PS6_NS8_17constant_iteratorIiNS8_11use_defaultESG_EENS8_10device_ptrIS6_EENSI_IlEEPmSA_NS8_8equal_toIS6_EEEE10hipError_tPvRmT2_T3_mT4_T5_T6_T7_T8_P12ihipStream_tbENKUlT_T0_E_clISt17integral_constantIbLb1EES14_IbLb0EEEEDaS10_S11_EUlS10_E_NS1_11comp_targetILNS1_3genE10ELNS1_11target_archE1201ELNS1_3gpuE5ELNS1_3repE0EEENS1_30default_config_static_selectorELNS0_4arch9wavefront6targetE1EEEvT1_,@function
_ZN7rocprim17ROCPRIM_400000_NS6detail17trampoline_kernelINS0_14default_configENS1_29reduce_by_key_config_selectorIN3c108BFloat16ElN6thrust23THRUST_200600_302600_NS4plusIlEEEEZZNS1_33reduce_by_key_impl_wrapped_configILNS1_25lookback_scan_determinismE0ES3_SB_PS6_NS8_17constant_iteratorIiNS8_11use_defaultESG_EENS8_10device_ptrIS6_EENSI_IlEEPmSA_NS8_8equal_toIS6_EEEE10hipError_tPvRmT2_T3_mT4_T5_T6_T7_T8_P12ihipStream_tbENKUlT_T0_E_clISt17integral_constantIbLb1EES14_IbLb0EEEEDaS10_S11_EUlS10_E_NS1_11comp_targetILNS1_3genE10ELNS1_11target_archE1201ELNS1_3gpuE5ELNS1_3repE0EEENS1_30default_config_static_selectorELNS0_4arch9wavefront6targetE1EEEvT1_: ; @_ZN7rocprim17ROCPRIM_400000_NS6detail17trampoline_kernelINS0_14default_configENS1_29reduce_by_key_config_selectorIN3c108BFloat16ElN6thrust23THRUST_200600_302600_NS4plusIlEEEEZZNS1_33reduce_by_key_impl_wrapped_configILNS1_25lookback_scan_determinismE0ES3_SB_PS6_NS8_17constant_iteratorIiNS8_11use_defaultESG_EENS8_10device_ptrIS6_EENSI_IlEEPmSA_NS8_8equal_toIS6_EEEE10hipError_tPvRmT2_T3_mT4_T5_T6_T7_T8_P12ihipStream_tbENKUlT_T0_E_clISt17integral_constantIbLb1EES14_IbLb0EEEEDaS10_S11_EUlS10_E_NS1_11comp_targetILNS1_3genE10ELNS1_11target_archE1201ELNS1_3gpuE5ELNS1_3repE0EEENS1_30default_config_static_selectorELNS0_4arch9wavefront6targetE1EEEvT1_
; %bb.0:
	.section	.rodata,"a",@progbits
	.p2align	6, 0x0
	.amdhsa_kernel _ZN7rocprim17ROCPRIM_400000_NS6detail17trampoline_kernelINS0_14default_configENS1_29reduce_by_key_config_selectorIN3c108BFloat16ElN6thrust23THRUST_200600_302600_NS4plusIlEEEEZZNS1_33reduce_by_key_impl_wrapped_configILNS1_25lookback_scan_determinismE0ES3_SB_PS6_NS8_17constant_iteratorIiNS8_11use_defaultESG_EENS8_10device_ptrIS6_EENSI_IlEEPmSA_NS8_8equal_toIS6_EEEE10hipError_tPvRmT2_T3_mT4_T5_T6_T7_T8_P12ihipStream_tbENKUlT_T0_E_clISt17integral_constantIbLb1EES14_IbLb0EEEEDaS10_S11_EUlS10_E_NS1_11comp_targetILNS1_3genE10ELNS1_11target_archE1201ELNS1_3gpuE5ELNS1_3repE0EEENS1_30default_config_static_selectorELNS0_4arch9wavefront6targetE1EEEvT1_
		.amdhsa_group_segment_fixed_size 0
		.amdhsa_private_segment_fixed_size 0
		.amdhsa_kernarg_size 144
		.amdhsa_user_sgpr_count 6
		.amdhsa_user_sgpr_private_segment_buffer 1
		.amdhsa_user_sgpr_dispatch_ptr 0
		.amdhsa_user_sgpr_queue_ptr 0
		.amdhsa_user_sgpr_kernarg_segment_ptr 1
		.amdhsa_user_sgpr_dispatch_id 0
		.amdhsa_user_sgpr_flat_scratch_init 0
		.amdhsa_user_sgpr_private_segment_size 0
		.amdhsa_uses_dynamic_stack 0
		.amdhsa_system_sgpr_private_segment_wavefront_offset 0
		.amdhsa_system_sgpr_workgroup_id_x 1
		.amdhsa_system_sgpr_workgroup_id_y 0
		.amdhsa_system_sgpr_workgroup_id_z 0
		.amdhsa_system_sgpr_workgroup_info 0
		.amdhsa_system_vgpr_workitem_id 0
		.amdhsa_next_free_vgpr 1
		.amdhsa_next_free_sgpr 0
		.amdhsa_reserve_vcc 0
		.amdhsa_reserve_flat_scratch 0
		.amdhsa_float_round_mode_32 0
		.amdhsa_float_round_mode_16_64 0
		.amdhsa_float_denorm_mode_32 3
		.amdhsa_float_denorm_mode_16_64 3
		.amdhsa_dx10_clamp 1
		.amdhsa_ieee_mode 1
		.amdhsa_fp16_overflow 0
		.amdhsa_exception_fp_ieee_invalid_op 0
		.amdhsa_exception_fp_denorm_src 0
		.amdhsa_exception_fp_ieee_div_zero 0
		.amdhsa_exception_fp_ieee_overflow 0
		.amdhsa_exception_fp_ieee_underflow 0
		.amdhsa_exception_fp_ieee_inexact 0
		.amdhsa_exception_int_div_zero 0
	.end_amdhsa_kernel
	.section	.text._ZN7rocprim17ROCPRIM_400000_NS6detail17trampoline_kernelINS0_14default_configENS1_29reduce_by_key_config_selectorIN3c108BFloat16ElN6thrust23THRUST_200600_302600_NS4plusIlEEEEZZNS1_33reduce_by_key_impl_wrapped_configILNS1_25lookback_scan_determinismE0ES3_SB_PS6_NS8_17constant_iteratorIiNS8_11use_defaultESG_EENS8_10device_ptrIS6_EENSI_IlEEPmSA_NS8_8equal_toIS6_EEEE10hipError_tPvRmT2_T3_mT4_T5_T6_T7_T8_P12ihipStream_tbENKUlT_T0_E_clISt17integral_constantIbLb1EES14_IbLb0EEEEDaS10_S11_EUlS10_E_NS1_11comp_targetILNS1_3genE10ELNS1_11target_archE1201ELNS1_3gpuE5ELNS1_3repE0EEENS1_30default_config_static_selectorELNS0_4arch9wavefront6targetE1EEEvT1_,"axG",@progbits,_ZN7rocprim17ROCPRIM_400000_NS6detail17trampoline_kernelINS0_14default_configENS1_29reduce_by_key_config_selectorIN3c108BFloat16ElN6thrust23THRUST_200600_302600_NS4plusIlEEEEZZNS1_33reduce_by_key_impl_wrapped_configILNS1_25lookback_scan_determinismE0ES3_SB_PS6_NS8_17constant_iteratorIiNS8_11use_defaultESG_EENS8_10device_ptrIS6_EENSI_IlEEPmSA_NS8_8equal_toIS6_EEEE10hipError_tPvRmT2_T3_mT4_T5_T6_T7_T8_P12ihipStream_tbENKUlT_T0_E_clISt17integral_constantIbLb1EES14_IbLb0EEEEDaS10_S11_EUlS10_E_NS1_11comp_targetILNS1_3genE10ELNS1_11target_archE1201ELNS1_3gpuE5ELNS1_3repE0EEENS1_30default_config_static_selectorELNS0_4arch9wavefront6targetE1EEEvT1_,comdat
.Lfunc_end2075:
	.size	_ZN7rocprim17ROCPRIM_400000_NS6detail17trampoline_kernelINS0_14default_configENS1_29reduce_by_key_config_selectorIN3c108BFloat16ElN6thrust23THRUST_200600_302600_NS4plusIlEEEEZZNS1_33reduce_by_key_impl_wrapped_configILNS1_25lookback_scan_determinismE0ES3_SB_PS6_NS8_17constant_iteratorIiNS8_11use_defaultESG_EENS8_10device_ptrIS6_EENSI_IlEEPmSA_NS8_8equal_toIS6_EEEE10hipError_tPvRmT2_T3_mT4_T5_T6_T7_T8_P12ihipStream_tbENKUlT_T0_E_clISt17integral_constantIbLb1EES14_IbLb0EEEEDaS10_S11_EUlS10_E_NS1_11comp_targetILNS1_3genE10ELNS1_11target_archE1201ELNS1_3gpuE5ELNS1_3repE0EEENS1_30default_config_static_selectorELNS0_4arch9wavefront6targetE1EEEvT1_, .Lfunc_end2075-_ZN7rocprim17ROCPRIM_400000_NS6detail17trampoline_kernelINS0_14default_configENS1_29reduce_by_key_config_selectorIN3c108BFloat16ElN6thrust23THRUST_200600_302600_NS4plusIlEEEEZZNS1_33reduce_by_key_impl_wrapped_configILNS1_25lookback_scan_determinismE0ES3_SB_PS6_NS8_17constant_iteratorIiNS8_11use_defaultESG_EENS8_10device_ptrIS6_EENSI_IlEEPmSA_NS8_8equal_toIS6_EEEE10hipError_tPvRmT2_T3_mT4_T5_T6_T7_T8_P12ihipStream_tbENKUlT_T0_E_clISt17integral_constantIbLb1EES14_IbLb0EEEEDaS10_S11_EUlS10_E_NS1_11comp_targetILNS1_3genE10ELNS1_11target_archE1201ELNS1_3gpuE5ELNS1_3repE0EEENS1_30default_config_static_selectorELNS0_4arch9wavefront6targetE1EEEvT1_
                                        ; -- End function
	.set _ZN7rocprim17ROCPRIM_400000_NS6detail17trampoline_kernelINS0_14default_configENS1_29reduce_by_key_config_selectorIN3c108BFloat16ElN6thrust23THRUST_200600_302600_NS4plusIlEEEEZZNS1_33reduce_by_key_impl_wrapped_configILNS1_25lookback_scan_determinismE0ES3_SB_PS6_NS8_17constant_iteratorIiNS8_11use_defaultESG_EENS8_10device_ptrIS6_EENSI_IlEEPmSA_NS8_8equal_toIS6_EEEE10hipError_tPvRmT2_T3_mT4_T5_T6_T7_T8_P12ihipStream_tbENKUlT_T0_E_clISt17integral_constantIbLb1EES14_IbLb0EEEEDaS10_S11_EUlS10_E_NS1_11comp_targetILNS1_3genE10ELNS1_11target_archE1201ELNS1_3gpuE5ELNS1_3repE0EEENS1_30default_config_static_selectorELNS0_4arch9wavefront6targetE1EEEvT1_.num_vgpr, 0
	.set _ZN7rocprim17ROCPRIM_400000_NS6detail17trampoline_kernelINS0_14default_configENS1_29reduce_by_key_config_selectorIN3c108BFloat16ElN6thrust23THRUST_200600_302600_NS4plusIlEEEEZZNS1_33reduce_by_key_impl_wrapped_configILNS1_25lookback_scan_determinismE0ES3_SB_PS6_NS8_17constant_iteratorIiNS8_11use_defaultESG_EENS8_10device_ptrIS6_EENSI_IlEEPmSA_NS8_8equal_toIS6_EEEE10hipError_tPvRmT2_T3_mT4_T5_T6_T7_T8_P12ihipStream_tbENKUlT_T0_E_clISt17integral_constantIbLb1EES14_IbLb0EEEEDaS10_S11_EUlS10_E_NS1_11comp_targetILNS1_3genE10ELNS1_11target_archE1201ELNS1_3gpuE5ELNS1_3repE0EEENS1_30default_config_static_selectorELNS0_4arch9wavefront6targetE1EEEvT1_.num_agpr, 0
	.set _ZN7rocprim17ROCPRIM_400000_NS6detail17trampoline_kernelINS0_14default_configENS1_29reduce_by_key_config_selectorIN3c108BFloat16ElN6thrust23THRUST_200600_302600_NS4plusIlEEEEZZNS1_33reduce_by_key_impl_wrapped_configILNS1_25lookback_scan_determinismE0ES3_SB_PS6_NS8_17constant_iteratorIiNS8_11use_defaultESG_EENS8_10device_ptrIS6_EENSI_IlEEPmSA_NS8_8equal_toIS6_EEEE10hipError_tPvRmT2_T3_mT4_T5_T6_T7_T8_P12ihipStream_tbENKUlT_T0_E_clISt17integral_constantIbLb1EES14_IbLb0EEEEDaS10_S11_EUlS10_E_NS1_11comp_targetILNS1_3genE10ELNS1_11target_archE1201ELNS1_3gpuE5ELNS1_3repE0EEENS1_30default_config_static_selectorELNS0_4arch9wavefront6targetE1EEEvT1_.numbered_sgpr, 0
	.set _ZN7rocprim17ROCPRIM_400000_NS6detail17trampoline_kernelINS0_14default_configENS1_29reduce_by_key_config_selectorIN3c108BFloat16ElN6thrust23THRUST_200600_302600_NS4plusIlEEEEZZNS1_33reduce_by_key_impl_wrapped_configILNS1_25lookback_scan_determinismE0ES3_SB_PS6_NS8_17constant_iteratorIiNS8_11use_defaultESG_EENS8_10device_ptrIS6_EENSI_IlEEPmSA_NS8_8equal_toIS6_EEEE10hipError_tPvRmT2_T3_mT4_T5_T6_T7_T8_P12ihipStream_tbENKUlT_T0_E_clISt17integral_constantIbLb1EES14_IbLb0EEEEDaS10_S11_EUlS10_E_NS1_11comp_targetILNS1_3genE10ELNS1_11target_archE1201ELNS1_3gpuE5ELNS1_3repE0EEENS1_30default_config_static_selectorELNS0_4arch9wavefront6targetE1EEEvT1_.num_named_barrier, 0
	.set _ZN7rocprim17ROCPRIM_400000_NS6detail17trampoline_kernelINS0_14default_configENS1_29reduce_by_key_config_selectorIN3c108BFloat16ElN6thrust23THRUST_200600_302600_NS4plusIlEEEEZZNS1_33reduce_by_key_impl_wrapped_configILNS1_25lookback_scan_determinismE0ES3_SB_PS6_NS8_17constant_iteratorIiNS8_11use_defaultESG_EENS8_10device_ptrIS6_EENSI_IlEEPmSA_NS8_8equal_toIS6_EEEE10hipError_tPvRmT2_T3_mT4_T5_T6_T7_T8_P12ihipStream_tbENKUlT_T0_E_clISt17integral_constantIbLb1EES14_IbLb0EEEEDaS10_S11_EUlS10_E_NS1_11comp_targetILNS1_3genE10ELNS1_11target_archE1201ELNS1_3gpuE5ELNS1_3repE0EEENS1_30default_config_static_selectorELNS0_4arch9wavefront6targetE1EEEvT1_.private_seg_size, 0
	.set _ZN7rocprim17ROCPRIM_400000_NS6detail17trampoline_kernelINS0_14default_configENS1_29reduce_by_key_config_selectorIN3c108BFloat16ElN6thrust23THRUST_200600_302600_NS4plusIlEEEEZZNS1_33reduce_by_key_impl_wrapped_configILNS1_25lookback_scan_determinismE0ES3_SB_PS6_NS8_17constant_iteratorIiNS8_11use_defaultESG_EENS8_10device_ptrIS6_EENSI_IlEEPmSA_NS8_8equal_toIS6_EEEE10hipError_tPvRmT2_T3_mT4_T5_T6_T7_T8_P12ihipStream_tbENKUlT_T0_E_clISt17integral_constantIbLb1EES14_IbLb0EEEEDaS10_S11_EUlS10_E_NS1_11comp_targetILNS1_3genE10ELNS1_11target_archE1201ELNS1_3gpuE5ELNS1_3repE0EEENS1_30default_config_static_selectorELNS0_4arch9wavefront6targetE1EEEvT1_.uses_vcc, 0
	.set _ZN7rocprim17ROCPRIM_400000_NS6detail17trampoline_kernelINS0_14default_configENS1_29reduce_by_key_config_selectorIN3c108BFloat16ElN6thrust23THRUST_200600_302600_NS4plusIlEEEEZZNS1_33reduce_by_key_impl_wrapped_configILNS1_25lookback_scan_determinismE0ES3_SB_PS6_NS8_17constant_iteratorIiNS8_11use_defaultESG_EENS8_10device_ptrIS6_EENSI_IlEEPmSA_NS8_8equal_toIS6_EEEE10hipError_tPvRmT2_T3_mT4_T5_T6_T7_T8_P12ihipStream_tbENKUlT_T0_E_clISt17integral_constantIbLb1EES14_IbLb0EEEEDaS10_S11_EUlS10_E_NS1_11comp_targetILNS1_3genE10ELNS1_11target_archE1201ELNS1_3gpuE5ELNS1_3repE0EEENS1_30default_config_static_selectorELNS0_4arch9wavefront6targetE1EEEvT1_.uses_flat_scratch, 0
	.set _ZN7rocprim17ROCPRIM_400000_NS6detail17trampoline_kernelINS0_14default_configENS1_29reduce_by_key_config_selectorIN3c108BFloat16ElN6thrust23THRUST_200600_302600_NS4plusIlEEEEZZNS1_33reduce_by_key_impl_wrapped_configILNS1_25lookback_scan_determinismE0ES3_SB_PS6_NS8_17constant_iteratorIiNS8_11use_defaultESG_EENS8_10device_ptrIS6_EENSI_IlEEPmSA_NS8_8equal_toIS6_EEEE10hipError_tPvRmT2_T3_mT4_T5_T6_T7_T8_P12ihipStream_tbENKUlT_T0_E_clISt17integral_constantIbLb1EES14_IbLb0EEEEDaS10_S11_EUlS10_E_NS1_11comp_targetILNS1_3genE10ELNS1_11target_archE1201ELNS1_3gpuE5ELNS1_3repE0EEENS1_30default_config_static_selectorELNS0_4arch9wavefront6targetE1EEEvT1_.has_dyn_sized_stack, 0
	.set _ZN7rocprim17ROCPRIM_400000_NS6detail17trampoline_kernelINS0_14default_configENS1_29reduce_by_key_config_selectorIN3c108BFloat16ElN6thrust23THRUST_200600_302600_NS4plusIlEEEEZZNS1_33reduce_by_key_impl_wrapped_configILNS1_25lookback_scan_determinismE0ES3_SB_PS6_NS8_17constant_iteratorIiNS8_11use_defaultESG_EENS8_10device_ptrIS6_EENSI_IlEEPmSA_NS8_8equal_toIS6_EEEE10hipError_tPvRmT2_T3_mT4_T5_T6_T7_T8_P12ihipStream_tbENKUlT_T0_E_clISt17integral_constantIbLb1EES14_IbLb0EEEEDaS10_S11_EUlS10_E_NS1_11comp_targetILNS1_3genE10ELNS1_11target_archE1201ELNS1_3gpuE5ELNS1_3repE0EEENS1_30default_config_static_selectorELNS0_4arch9wavefront6targetE1EEEvT1_.has_recursion, 0
	.set _ZN7rocprim17ROCPRIM_400000_NS6detail17trampoline_kernelINS0_14default_configENS1_29reduce_by_key_config_selectorIN3c108BFloat16ElN6thrust23THRUST_200600_302600_NS4plusIlEEEEZZNS1_33reduce_by_key_impl_wrapped_configILNS1_25lookback_scan_determinismE0ES3_SB_PS6_NS8_17constant_iteratorIiNS8_11use_defaultESG_EENS8_10device_ptrIS6_EENSI_IlEEPmSA_NS8_8equal_toIS6_EEEE10hipError_tPvRmT2_T3_mT4_T5_T6_T7_T8_P12ihipStream_tbENKUlT_T0_E_clISt17integral_constantIbLb1EES14_IbLb0EEEEDaS10_S11_EUlS10_E_NS1_11comp_targetILNS1_3genE10ELNS1_11target_archE1201ELNS1_3gpuE5ELNS1_3repE0EEENS1_30default_config_static_selectorELNS0_4arch9wavefront6targetE1EEEvT1_.has_indirect_call, 0
	.section	.AMDGPU.csdata,"",@progbits
; Kernel info:
; codeLenInByte = 0
; TotalNumSgprs: 4
; NumVgprs: 0
; ScratchSize: 0
; MemoryBound: 0
; FloatMode: 240
; IeeeMode: 1
; LDSByteSize: 0 bytes/workgroup (compile time only)
; SGPRBlocks: 0
; VGPRBlocks: 0
; NumSGPRsForWavesPerEU: 4
; NumVGPRsForWavesPerEU: 1
; Occupancy: 10
; WaveLimiterHint : 0
; COMPUTE_PGM_RSRC2:SCRATCH_EN: 0
; COMPUTE_PGM_RSRC2:USER_SGPR: 6
; COMPUTE_PGM_RSRC2:TRAP_HANDLER: 0
; COMPUTE_PGM_RSRC2:TGID_X_EN: 1
; COMPUTE_PGM_RSRC2:TGID_Y_EN: 0
; COMPUTE_PGM_RSRC2:TGID_Z_EN: 0
; COMPUTE_PGM_RSRC2:TIDIG_COMP_CNT: 0
	.section	.text._ZN7rocprim17ROCPRIM_400000_NS6detail17trampoline_kernelINS0_14default_configENS1_29reduce_by_key_config_selectorIN3c108BFloat16ElN6thrust23THRUST_200600_302600_NS4plusIlEEEEZZNS1_33reduce_by_key_impl_wrapped_configILNS1_25lookback_scan_determinismE0ES3_SB_PS6_NS8_17constant_iteratorIiNS8_11use_defaultESG_EENS8_10device_ptrIS6_EENSI_IlEEPmSA_NS8_8equal_toIS6_EEEE10hipError_tPvRmT2_T3_mT4_T5_T6_T7_T8_P12ihipStream_tbENKUlT_T0_E_clISt17integral_constantIbLb1EES14_IbLb0EEEEDaS10_S11_EUlS10_E_NS1_11comp_targetILNS1_3genE10ELNS1_11target_archE1200ELNS1_3gpuE4ELNS1_3repE0EEENS1_30default_config_static_selectorELNS0_4arch9wavefront6targetE1EEEvT1_,"axG",@progbits,_ZN7rocprim17ROCPRIM_400000_NS6detail17trampoline_kernelINS0_14default_configENS1_29reduce_by_key_config_selectorIN3c108BFloat16ElN6thrust23THRUST_200600_302600_NS4plusIlEEEEZZNS1_33reduce_by_key_impl_wrapped_configILNS1_25lookback_scan_determinismE0ES3_SB_PS6_NS8_17constant_iteratorIiNS8_11use_defaultESG_EENS8_10device_ptrIS6_EENSI_IlEEPmSA_NS8_8equal_toIS6_EEEE10hipError_tPvRmT2_T3_mT4_T5_T6_T7_T8_P12ihipStream_tbENKUlT_T0_E_clISt17integral_constantIbLb1EES14_IbLb0EEEEDaS10_S11_EUlS10_E_NS1_11comp_targetILNS1_3genE10ELNS1_11target_archE1200ELNS1_3gpuE4ELNS1_3repE0EEENS1_30default_config_static_selectorELNS0_4arch9wavefront6targetE1EEEvT1_,comdat
	.protected	_ZN7rocprim17ROCPRIM_400000_NS6detail17trampoline_kernelINS0_14default_configENS1_29reduce_by_key_config_selectorIN3c108BFloat16ElN6thrust23THRUST_200600_302600_NS4plusIlEEEEZZNS1_33reduce_by_key_impl_wrapped_configILNS1_25lookback_scan_determinismE0ES3_SB_PS6_NS8_17constant_iteratorIiNS8_11use_defaultESG_EENS8_10device_ptrIS6_EENSI_IlEEPmSA_NS8_8equal_toIS6_EEEE10hipError_tPvRmT2_T3_mT4_T5_T6_T7_T8_P12ihipStream_tbENKUlT_T0_E_clISt17integral_constantIbLb1EES14_IbLb0EEEEDaS10_S11_EUlS10_E_NS1_11comp_targetILNS1_3genE10ELNS1_11target_archE1200ELNS1_3gpuE4ELNS1_3repE0EEENS1_30default_config_static_selectorELNS0_4arch9wavefront6targetE1EEEvT1_ ; -- Begin function _ZN7rocprim17ROCPRIM_400000_NS6detail17trampoline_kernelINS0_14default_configENS1_29reduce_by_key_config_selectorIN3c108BFloat16ElN6thrust23THRUST_200600_302600_NS4plusIlEEEEZZNS1_33reduce_by_key_impl_wrapped_configILNS1_25lookback_scan_determinismE0ES3_SB_PS6_NS8_17constant_iteratorIiNS8_11use_defaultESG_EENS8_10device_ptrIS6_EENSI_IlEEPmSA_NS8_8equal_toIS6_EEEE10hipError_tPvRmT2_T3_mT4_T5_T6_T7_T8_P12ihipStream_tbENKUlT_T0_E_clISt17integral_constantIbLb1EES14_IbLb0EEEEDaS10_S11_EUlS10_E_NS1_11comp_targetILNS1_3genE10ELNS1_11target_archE1200ELNS1_3gpuE4ELNS1_3repE0EEENS1_30default_config_static_selectorELNS0_4arch9wavefront6targetE1EEEvT1_
	.globl	_ZN7rocprim17ROCPRIM_400000_NS6detail17trampoline_kernelINS0_14default_configENS1_29reduce_by_key_config_selectorIN3c108BFloat16ElN6thrust23THRUST_200600_302600_NS4plusIlEEEEZZNS1_33reduce_by_key_impl_wrapped_configILNS1_25lookback_scan_determinismE0ES3_SB_PS6_NS8_17constant_iteratorIiNS8_11use_defaultESG_EENS8_10device_ptrIS6_EENSI_IlEEPmSA_NS8_8equal_toIS6_EEEE10hipError_tPvRmT2_T3_mT4_T5_T6_T7_T8_P12ihipStream_tbENKUlT_T0_E_clISt17integral_constantIbLb1EES14_IbLb0EEEEDaS10_S11_EUlS10_E_NS1_11comp_targetILNS1_3genE10ELNS1_11target_archE1200ELNS1_3gpuE4ELNS1_3repE0EEENS1_30default_config_static_selectorELNS0_4arch9wavefront6targetE1EEEvT1_
	.p2align	8
	.type	_ZN7rocprim17ROCPRIM_400000_NS6detail17trampoline_kernelINS0_14default_configENS1_29reduce_by_key_config_selectorIN3c108BFloat16ElN6thrust23THRUST_200600_302600_NS4plusIlEEEEZZNS1_33reduce_by_key_impl_wrapped_configILNS1_25lookback_scan_determinismE0ES3_SB_PS6_NS8_17constant_iteratorIiNS8_11use_defaultESG_EENS8_10device_ptrIS6_EENSI_IlEEPmSA_NS8_8equal_toIS6_EEEE10hipError_tPvRmT2_T3_mT4_T5_T6_T7_T8_P12ihipStream_tbENKUlT_T0_E_clISt17integral_constantIbLb1EES14_IbLb0EEEEDaS10_S11_EUlS10_E_NS1_11comp_targetILNS1_3genE10ELNS1_11target_archE1200ELNS1_3gpuE4ELNS1_3repE0EEENS1_30default_config_static_selectorELNS0_4arch9wavefront6targetE1EEEvT1_,@function
_ZN7rocprim17ROCPRIM_400000_NS6detail17trampoline_kernelINS0_14default_configENS1_29reduce_by_key_config_selectorIN3c108BFloat16ElN6thrust23THRUST_200600_302600_NS4plusIlEEEEZZNS1_33reduce_by_key_impl_wrapped_configILNS1_25lookback_scan_determinismE0ES3_SB_PS6_NS8_17constant_iteratorIiNS8_11use_defaultESG_EENS8_10device_ptrIS6_EENSI_IlEEPmSA_NS8_8equal_toIS6_EEEE10hipError_tPvRmT2_T3_mT4_T5_T6_T7_T8_P12ihipStream_tbENKUlT_T0_E_clISt17integral_constantIbLb1EES14_IbLb0EEEEDaS10_S11_EUlS10_E_NS1_11comp_targetILNS1_3genE10ELNS1_11target_archE1200ELNS1_3gpuE4ELNS1_3repE0EEENS1_30default_config_static_selectorELNS0_4arch9wavefront6targetE1EEEvT1_: ; @_ZN7rocprim17ROCPRIM_400000_NS6detail17trampoline_kernelINS0_14default_configENS1_29reduce_by_key_config_selectorIN3c108BFloat16ElN6thrust23THRUST_200600_302600_NS4plusIlEEEEZZNS1_33reduce_by_key_impl_wrapped_configILNS1_25lookback_scan_determinismE0ES3_SB_PS6_NS8_17constant_iteratorIiNS8_11use_defaultESG_EENS8_10device_ptrIS6_EENSI_IlEEPmSA_NS8_8equal_toIS6_EEEE10hipError_tPvRmT2_T3_mT4_T5_T6_T7_T8_P12ihipStream_tbENKUlT_T0_E_clISt17integral_constantIbLb1EES14_IbLb0EEEEDaS10_S11_EUlS10_E_NS1_11comp_targetILNS1_3genE10ELNS1_11target_archE1200ELNS1_3gpuE4ELNS1_3repE0EEENS1_30default_config_static_selectorELNS0_4arch9wavefront6targetE1EEEvT1_
; %bb.0:
	.section	.rodata,"a",@progbits
	.p2align	6, 0x0
	.amdhsa_kernel _ZN7rocprim17ROCPRIM_400000_NS6detail17trampoline_kernelINS0_14default_configENS1_29reduce_by_key_config_selectorIN3c108BFloat16ElN6thrust23THRUST_200600_302600_NS4plusIlEEEEZZNS1_33reduce_by_key_impl_wrapped_configILNS1_25lookback_scan_determinismE0ES3_SB_PS6_NS8_17constant_iteratorIiNS8_11use_defaultESG_EENS8_10device_ptrIS6_EENSI_IlEEPmSA_NS8_8equal_toIS6_EEEE10hipError_tPvRmT2_T3_mT4_T5_T6_T7_T8_P12ihipStream_tbENKUlT_T0_E_clISt17integral_constantIbLb1EES14_IbLb0EEEEDaS10_S11_EUlS10_E_NS1_11comp_targetILNS1_3genE10ELNS1_11target_archE1200ELNS1_3gpuE4ELNS1_3repE0EEENS1_30default_config_static_selectorELNS0_4arch9wavefront6targetE1EEEvT1_
		.amdhsa_group_segment_fixed_size 0
		.amdhsa_private_segment_fixed_size 0
		.amdhsa_kernarg_size 144
		.amdhsa_user_sgpr_count 6
		.amdhsa_user_sgpr_private_segment_buffer 1
		.amdhsa_user_sgpr_dispatch_ptr 0
		.amdhsa_user_sgpr_queue_ptr 0
		.amdhsa_user_sgpr_kernarg_segment_ptr 1
		.amdhsa_user_sgpr_dispatch_id 0
		.amdhsa_user_sgpr_flat_scratch_init 0
		.amdhsa_user_sgpr_private_segment_size 0
		.amdhsa_uses_dynamic_stack 0
		.amdhsa_system_sgpr_private_segment_wavefront_offset 0
		.amdhsa_system_sgpr_workgroup_id_x 1
		.amdhsa_system_sgpr_workgroup_id_y 0
		.amdhsa_system_sgpr_workgroup_id_z 0
		.amdhsa_system_sgpr_workgroup_info 0
		.amdhsa_system_vgpr_workitem_id 0
		.amdhsa_next_free_vgpr 1
		.amdhsa_next_free_sgpr 0
		.amdhsa_reserve_vcc 0
		.amdhsa_reserve_flat_scratch 0
		.amdhsa_float_round_mode_32 0
		.amdhsa_float_round_mode_16_64 0
		.amdhsa_float_denorm_mode_32 3
		.amdhsa_float_denorm_mode_16_64 3
		.amdhsa_dx10_clamp 1
		.amdhsa_ieee_mode 1
		.amdhsa_fp16_overflow 0
		.amdhsa_exception_fp_ieee_invalid_op 0
		.amdhsa_exception_fp_denorm_src 0
		.amdhsa_exception_fp_ieee_div_zero 0
		.amdhsa_exception_fp_ieee_overflow 0
		.amdhsa_exception_fp_ieee_underflow 0
		.amdhsa_exception_fp_ieee_inexact 0
		.amdhsa_exception_int_div_zero 0
	.end_amdhsa_kernel
	.section	.text._ZN7rocprim17ROCPRIM_400000_NS6detail17trampoline_kernelINS0_14default_configENS1_29reduce_by_key_config_selectorIN3c108BFloat16ElN6thrust23THRUST_200600_302600_NS4plusIlEEEEZZNS1_33reduce_by_key_impl_wrapped_configILNS1_25lookback_scan_determinismE0ES3_SB_PS6_NS8_17constant_iteratorIiNS8_11use_defaultESG_EENS8_10device_ptrIS6_EENSI_IlEEPmSA_NS8_8equal_toIS6_EEEE10hipError_tPvRmT2_T3_mT4_T5_T6_T7_T8_P12ihipStream_tbENKUlT_T0_E_clISt17integral_constantIbLb1EES14_IbLb0EEEEDaS10_S11_EUlS10_E_NS1_11comp_targetILNS1_3genE10ELNS1_11target_archE1200ELNS1_3gpuE4ELNS1_3repE0EEENS1_30default_config_static_selectorELNS0_4arch9wavefront6targetE1EEEvT1_,"axG",@progbits,_ZN7rocprim17ROCPRIM_400000_NS6detail17trampoline_kernelINS0_14default_configENS1_29reduce_by_key_config_selectorIN3c108BFloat16ElN6thrust23THRUST_200600_302600_NS4plusIlEEEEZZNS1_33reduce_by_key_impl_wrapped_configILNS1_25lookback_scan_determinismE0ES3_SB_PS6_NS8_17constant_iteratorIiNS8_11use_defaultESG_EENS8_10device_ptrIS6_EENSI_IlEEPmSA_NS8_8equal_toIS6_EEEE10hipError_tPvRmT2_T3_mT4_T5_T6_T7_T8_P12ihipStream_tbENKUlT_T0_E_clISt17integral_constantIbLb1EES14_IbLb0EEEEDaS10_S11_EUlS10_E_NS1_11comp_targetILNS1_3genE10ELNS1_11target_archE1200ELNS1_3gpuE4ELNS1_3repE0EEENS1_30default_config_static_selectorELNS0_4arch9wavefront6targetE1EEEvT1_,comdat
.Lfunc_end2076:
	.size	_ZN7rocprim17ROCPRIM_400000_NS6detail17trampoline_kernelINS0_14default_configENS1_29reduce_by_key_config_selectorIN3c108BFloat16ElN6thrust23THRUST_200600_302600_NS4plusIlEEEEZZNS1_33reduce_by_key_impl_wrapped_configILNS1_25lookback_scan_determinismE0ES3_SB_PS6_NS8_17constant_iteratorIiNS8_11use_defaultESG_EENS8_10device_ptrIS6_EENSI_IlEEPmSA_NS8_8equal_toIS6_EEEE10hipError_tPvRmT2_T3_mT4_T5_T6_T7_T8_P12ihipStream_tbENKUlT_T0_E_clISt17integral_constantIbLb1EES14_IbLb0EEEEDaS10_S11_EUlS10_E_NS1_11comp_targetILNS1_3genE10ELNS1_11target_archE1200ELNS1_3gpuE4ELNS1_3repE0EEENS1_30default_config_static_selectorELNS0_4arch9wavefront6targetE1EEEvT1_, .Lfunc_end2076-_ZN7rocprim17ROCPRIM_400000_NS6detail17trampoline_kernelINS0_14default_configENS1_29reduce_by_key_config_selectorIN3c108BFloat16ElN6thrust23THRUST_200600_302600_NS4plusIlEEEEZZNS1_33reduce_by_key_impl_wrapped_configILNS1_25lookback_scan_determinismE0ES3_SB_PS6_NS8_17constant_iteratorIiNS8_11use_defaultESG_EENS8_10device_ptrIS6_EENSI_IlEEPmSA_NS8_8equal_toIS6_EEEE10hipError_tPvRmT2_T3_mT4_T5_T6_T7_T8_P12ihipStream_tbENKUlT_T0_E_clISt17integral_constantIbLb1EES14_IbLb0EEEEDaS10_S11_EUlS10_E_NS1_11comp_targetILNS1_3genE10ELNS1_11target_archE1200ELNS1_3gpuE4ELNS1_3repE0EEENS1_30default_config_static_selectorELNS0_4arch9wavefront6targetE1EEEvT1_
                                        ; -- End function
	.set _ZN7rocprim17ROCPRIM_400000_NS6detail17trampoline_kernelINS0_14default_configENS1_29reduce_by_key_config_selectorIN3c108BFloat16ElN6thrust23THRUST_200600_302600_NS4plusIlEEEEZZNS1_33reduce_by_key_impl_wrapped_configILNS1_25lookback_scan_determinismE0ES3_SB_PS6_NS8_17constant_iteratorIiNS8_11use_defaultESG_EENS8_10device_ptrIS6_EENSI_IlEEPmSA_NS8_8equal_toIS6_EEEE10hipError_tPvRmT2_T3_mT4_T5_T6_T7_T8_P12ihipStream_tbENKUlT_T0_E_clISt17integral_constantIbLb1EES14_IbLb0EEEEDaS10_S11_EUlS10_E_NS1_11comp_targetILNS1_3genE10ELNS1_11target_archE1200ELNS1_3gpuE4ELNS1_3repE0EEENS1_30default_config_static_selectorELNS0_4arch9wavefront6targetE1EEEvT1_.num_vgpr, 0
	.set _ZN7rocprim17ROCPRIM_400000_NS6detail17trampoline_kernelINS0_14default_configENS1_29reduce_by_key_config_selectorIN3c108BFloat16ElN6thrust23THRUST_200600_302600_NS4plusIlEEEEZZNS1_33reduce_by_key_impl_wrapped_configILNS1_25lookback_scan_determinismE0ES3_SB_PS6_NS8_17constant_iteratorIiNS8_11use_defaultESG_EENS8_10device_ptrIS6_EENSI_IlEEPmSA_NS8_8equal_toIS6_EEEE10hipError_tPvRmT2_T3_mT4_T5_T6_T7_T8_P12ihipStream_tbENKUlT_T0_E_clISt17integral_constantIbLb1EES14_IbLb0EEEEDaS10_S11_EUlS10_E_NS1_11comp_targetILNS1_3genE10ELNS1_11target_archE1200ELNS1_3gpuE4ELNS1_3repE0EEENS1_30default_config_static_selectorELNS0_4arch9wavefront6targetE1EEEvT1_.num_agpr, 0
	.set _ZN7rocprim17ROCPRIM_400000_NS6detail17trampoline_kernelINS0_14default_configENS1_29reduce_by_key_config_selectorIN3c108BFloat16ElN6thrust23THRUST_200600_302600_NS4plusIlEEEEZZNS1_33reduce_by_key_impl_wrapped_configILNS1_25lookback_scan_determinismE0ES3_SB_PS6_NS8_17constant_iteratorIiNS8_11use_defaultESG_EENS8_10device_ptrIS6_EENSI_IlEEPmSA_NS8_8equal_toIS6_EEEE10hipError_tPvRmT2_T3_mT4_T5_T6_T7_T8_P12ihipStream_tbENKUlT_T0_E_clISt17integral_constantIbLb1EES14_IbLb0EEEEDaS10_S11_EUlS10_E_NS1_11comp_targetILNS1_3genE10ELNS1_11target_archE1200ELNS1_3gpuE4ELNS1_3repE0EEENS1_30default_config_static_selectorELNS0_4arch9wavefront6targetE1EEEvT1_.numbered_sgpr, 0
	.set _ZN7rocprim17ROCPRIM_400000_NS6detail17trampoline_kernelINS0_14default_configENS1_29reduce_by_key_config_selectorIN3c108BFloat16ElN6thrust23THRUST_200600_302600_NS4plusIlEEEEZZNS1_33reduce_by_key_impl_wrapped_configILNS1_25lookback_scan_determinismE0ES3_SB_PS6_NS8_17constant_iteratorIiNS8_11use_defaultESG_EENS8_10device_ptrIS6_EENSI_IlEEPmSA_NS8_8equal_toIS6_EEEE10hipError_tPvRmT2_T3_mT4_T5_T6_T7_T8_P12ihipStream_tbENKUlT_T0_E_clISt17integral_constantIbLb1EES14_IbLb0EEEEDaS10_S11_EUlS10_E_NS1_11comp_targetILNS1_3genE10ELNS1_11target_archE1200ELNS1_3gpuE4ELNS1_3repE0EEENS1_30default_config_static_selectorELNS0_4arch9wavefront6targetE1EEEvT1_.num_named_barrier, 0
	.set _ZN7rocprim17ROCPRIM_400000_NS6detail17trampoline_kernelINS0_14default_configENS1_29reduce_by_key_config_selectorIN3c108BFloat16ElN6thrust23THRUST_200600_302600_NS4plusIlEEEEZZNS1_33reduce_by_key_impl_wrapped_configILNS1_25lookback_scan_determinismE0ES3_SB_PS6_NS8_17constant_iteratorIiNS8_11use_defaultESG_EENS8_10device_ptrIS6_EENSI_IlEEPmSA_NS8_8equal_toIS6_EEEE10hipError_tPvRmT2_T3_mT4_T5_T6_T7_T8_P12ihipStream_tbENKUlT_T0_E_clISt17integral_constantIbLb1EES14_IbLb0EEEEDaS10_S11_EUlS10_E_NS1_11comp_targetILNS1_3genE10ELNS1_11target_archE1200ELNS1_3gpuE4ELNS1_3repE0EEENS1_30default_config_static_selectorELNS0_4arch9wavefront6targetE1EEEvT1_.private_seg_size, 0
	.set _ZN7rocprim17ROCPRIM_400000_NS6detail17trampoline_kernelINS0_14default_configENS1_29reduce_by_key_config_selectorIN3c108BFloat16ElN6thrust23THRUST_200600_302600_NS4plusIlEEEEZZNS1_33reduce_by_key_impl_wrapped_configILNS1_25lookback_scan_determinismE0ES3_SB_PS6_NS8_17constant_iteratorIiNS8_11use_defaultESG_EENS8_10device_ptrIS6_EENSI_IlEEPmSA_NS8_8equal_toIS6_EEEE10hipError_tPvRmT2_T3_mT4_T5_T6_T7_T8_P12ihipStream_tbENKUlT_T0_E_clISt17integral_constantIbLb1EES14_IbLb0EEEEDaS10_S11_EUlS10_E_NS1_11comp_targetILNS1_3genE10ELNS1_11target_archE1200ELNS1_3gpuE4ELNS1_3repE0EEENS1_30default_config_static_selectorELNS0_4arch9wavefront6targetE1EEEvT1_.uses_vcc, 0
	.set _ZN7rocprim17ROCPRIM_400000_NS6detail17trampoline_kernelINS0_14default_configENS1_29reduce_by_key_config_selectorIN3c108BFloat16ElN6thrust23THRUST_200600_302600_NS4plusIlEEEEZZNS1_33reduce_by_key_impl_wrapped_configILNS1_25lookback_scan_determinismE0ES3_SB_PS6_NS8_17constant_iteratorIiNS8_11use_defaultESG_EENS8_10device_ptrIS6_EENSI_IlEEPmSA_NS8_8equal_toIS6_EEEE10hipError_tPvRmT2_T3_mT4_T5_T6_T7_T8_P12ihipStream_tbENKUlT_T0_E_clISt17integral_constantIbLb1EES14_IbLb0EEEEDaS10_S11_EUlS10_E_NS1_11comp_targetILNS1_3genE10ELNS1_11target_archE1200ELNS1_3gpuE4ELNS1_3repE0EEENS1_30default_config_static_selectorELNS0_4arch9wavefront6targetE1EEEvT1_.uses_flat_scratch, 0
	.set _ZN7rocprim17ROCPRIM_400000_NS6detail17trampoline_kernelINS0_14default_configENS1_29reduce_by_key_config_selectorIN3c108BFloat16ElN6thrust23THRUST_200600_302600_NS4plusIlEEEEZZNS1_33reduce_by_key_impl_wrapped_configILNS1_25lookback_scan_determinismE0ES3_SB_PS6_NS8_17constant_iteratorIiNS8_11use_defaultESG_EENS8_10device_ptrIS6_EENSI_IlEEPmSA_NS8_8equal_toIS6_EEEE10hipError_tPvRmT2_T3_mT4_T5_T6_T7_T8_P12ihipStream_tbENKUlT_T0_E_clISt17integral_constantIbLb1EES14_IbLb0EEEEDaS10_S11_EUlS10_E_NS1_11comp_targetILNS1_3genE10ELNS1_11target_archE1200ELNS1_3gpuE4ELNS1_3repE0EEENS1_30default_config_static_selectorELNS0_4arch9wavefront6targetE1EEEvT1_.has_dyn_sized_stack, 0
	.set _ZN7rocprim17ROCPRIM_400000_NS6detail17trampoline_kernelINS0_14default_configENS1_29reduce_by_key_config_selectorIN3c108BFloat16ElN6thrust23THRUST_200600_302600_NS4plusIlEEEEZZNS1_33reduce_by_key_impl_wrapped_configILNS1_25lookback_scan_determinismE0ES3_SB_PS6_NS8_17constant_iteratorIiNS8_11use_defaultESG_EENS8_10device_ptrIS6_EENSI_IlEEPmSA_NS8_8equal_toIS6_EEEE10hipError_tPvRmT2_T3_mT4_T5_T6_T7_T8_P12ihipStream_tbENKUlT_T0_E_clISt17integral_constantIbLb1EES14_IbLb0EEEEDaS10_S11_EUlS10_E_NS1_11comp_targetILNS1_3genE10ELNS1_11target_archE1200ELNS1_3gpuE4ELNS1_3repE0EEENS1_30default_config_static_selectorELNS0_4arch9wavefront6targetE1EEEvT1_.has_recursion, 0
	.set _ZN7rocprim17ROCPRIM_400000_NS6detail17trampoline_kernelINS0_14default_configENS1_29reduce_by_key_config_selectorIN3c108BFloat16ElN6thrust23THRUST_200600_302600_NS4plusIlEEEEZZNS1_33reduce_by_key_impl_wrapped_configILNS1_25lookback_scan_determinismE0ES3_SB_PS6_NS8_17constant_iteratorIiNS8_11use_defaultESG_EENS8_10device_ptrIS6_EENSI_IlEEPmSA_NS8_8equal_toIS6_EEEE10hipError_tPvRmT2_T3_mT4_T5_T6_T7_T8_P12ihipStream_tbENKUlT_T0_E_clISt17integral_constantIbLb1EES14_IbLb0EEEEDaS10_S11_EUlS10_E_NS1_11comp_targetILNS1_3genE10ELNS1_11target_archE1200ELNS1_3gpuE4ELNS1_3repE0EEENS1_30default_config_static_selectorELNS0_4arch9wavefront6targetE1EEEvT1_.has_indirect_call, 0
	.section	.AMDGPU.csdata,"",@progbits
; Kernel info:
; codeLenInByte = 0
; TotalNumSgprs: 4
; NumVgprs: 0
; ScratchSize: 0
; MemoryBound: 0
; FloatMode: 240
; IeeeMode: 1
; LDSByteSize: 0 bytes/workgroup (compile time only)
; SGPRBlocks: 0
; VGPRBlocks: 0
; NumSGPRsForWavesPerEU: 4
; NumVGPRsForWavesPerEU: 1
; Occupancy: 10
; WaveLimiterHint : 0
; COMPUTE_PGM_RSRC2:SCRATCH_EN: 0
; COMPUTE_PGM_RSRC2:USER_SGPR: 6
; COMPUTE_PGM_RSRC2:TRAP_HANDLER: 0
; COMPUTE_PGM_RSRC2:TGID_X_EN: 1
; COMPUTE_PGM_RSRC2:TGID_Y_EN: 0
; COMPUTE_PGM_RSRC2:TGID_Z_EN: 0
; COMPUTE_PGM_RSRC2:TIDIG_COMP_CNT: 0
	.section	.text._ZN7rocprim17ROCPRIM_400000_NS6detail17trampoline_kernelINS0_14default_configENS1_29reduce_by_key_config_selectorIN3c108BFloat16ElN6thrust23THRUST_200600_302600_NS4plusIlEEEEZZNS1_33reduce_by_key_impl_wrapped_configILNS1_25lookback_scan_determinismE0ES3_SB_PS6_NS8_17constant_iteratorIiNS8_11use_defaultESG_EENS8_10device_ptrIS6_EENSI_IlEEPmSA_NS8_8equal_toIS6_EEEE10hipError_tPvRmT2_T3_mT4_T5_T6_T7_T8_P12ihipStream_tbENKUlT_T0_E_clISt17integral_constantIbLb1EES14_IbLb0EEEEDaS10_S11_EUlS10_E_NS1_11comp_targetILNS1_3genE9ELNS1_11target_archE1100ELNS1_3gpuE3ELNS1_3repE0EEENS1_30default_config_static_selectorELNS0_4arch9wavefront6targetE1EEEvT1_,"axG",@progbits,_ZN7rocprim17ROCPRIM_400000_NS6detail17trampoline_kernelINS0_14default_configENS1_29reduce_by_key_config_selectorIN3c108BFloat16ElN6thrust23THRUST_200600_302600_NS4plusIlEEEEZZNS1_33reduce_by_key_impl_wrapped_configILNS1_25lookback_scan_determinismE0ES3_SB_PS6_NS8_17constant_iteratorIiNS8_11use_defaultESG_EENS8_10device_ptrIS6_EENSI_IlEEPmSA_NS8_8equal_toIS6_EEEE10hipError_tPvRmT2_T3_mT4_T5_T6_T7_T8_P12ihipStream_tbENKUlT_T0_E_clISt17integral_constantIbLb1EES14_IbLb0EEEEDaS10_S11_EUlS10_E_NS1_11comp_targetILNS1_3genE9ELNS1_11target_archE1100ELNS1_3gpuE3ELNS1_3repE0EEENS1_30default_config_static_selectorELNS0_4arch9wavefront6targetE1EEEvT1_,comdat
	.protected	_ZN7rocprim17ROCPRIM_400000_NS6detail17trampoline_kernelINS0_14default_configENS1_29reduce_by_key_config_selectorIN3c108BFloat16ElN6thrust23THRUST_200600_302600_NS4plusIlEEEEZZNS1_33reduce_by_key_impl_wrapped_configILNS1_25lookback_scan_determinismE0ES3_SB_PS6_NS8_17constant_iteratorIiNS8_11use_defaultESG_EENS8_10device_ptrIS6_EENSI_IlEEPmSA_NS8_8equal_toIS6_EEEE10hipError_tPvRmT2_T3_mT4_T5_T6_T7_T8_P12ihipStream_tbENKUlT_T0_E_clISt17integral_constantIbLb1EES14_IbLb0EEEEDaS10_S11_EUlS10_E_NS1_11comp_targetILNS1_3genE9ELNS1_11target_archE1100ELNS1_3gpuE3ELNS1_3repE0EEENS1_30default_config_static_selectorELNS0_4arch9wavefront6targetE1EEEvT1_ ; -- Begin function _ZN7rocprim17ROCPRIM_400000_NS6detail17trampoline_kernelINS0_14default_configENS1_29reduce_by_key_config_selectorIN3c108BFloat16ElN6thrust23THRUST_200600_302600_NS4plusIlEEEEZZNS1_33reduce_by_key_impl_wrapped_configILNS1_25lookback_scan_determinismE0ES3_SB_PS6_NS8_17constant_iteratorIiNS8_11use_defaultESG_EENS8_10device_ptrIS6_EENSI_IlEEPmSA_NS8_8equal_toIS6_EEEE10hipError_tPvRmT2_T3_mT4_T5_T6_T7_T8_P12ihipStream_tbENKUlT_T0_E_clISt17integral_constantIbLb1EES14_IbLb0EEEEDaS10_S11_EUlS10_E_NS1_11comp_targetILNS1_3genE9ELNS1_11target_archE1100ELNS1_3gpuE3ELNS1_3repE0EEENS1_30default_config_static_selectorELNS0_4arch9wavefront6targetE1EEEvT1_
	.globl	_ZN7rocprim17ROCPRIM_400000_NS6detail17trampoline_kernelINS0_14default_configENS1_29reduce_by_key_config_selectorIN3c108BFloat16ElN6thrust23THRUST_200600_302600_NS4plusIlEEEEZZNS1_33reduce_by_key_impl_wrapped_configILNS1_25lookback_scan_determinismE0ES3_SB_PS6_NS8_17constant_iteratorIiNS8_11use_defaultESG_EENS8_10device_ptrIS6_EENSI_IlEEPmSA_NS8_8equal_toIS6_EEEE10hipError_tPvRmT2_T3_mT4_T5_T6_T7_T8_P12ihipStream_tbENKUlT_T0_E_clISt17integral_constantIbLb1EES14_IbLb0EEEEDaS10_S11_EUlS10_E_NS1_11comp_targetILNS1_3genE9ELNS1_11target_archE1100ELNS1_3gpuE3ELNS1_3repE0EEENS1_30default_config_static_selectorELNS0_4arch9wavefront6targetE1EEEvT1_
	.p2align	8
	.type	_ZN7rocprim17ROCPRIM_400000_NS6detail17trampoline_kernelINS0_14default_configENS1_29reduce_by_key_config_selectorIN3c108BFloat16ElN6thrust23THRUST_200600_302600_NS4plusIlEEEEZZNS1_33reduce_by_key_impl_wrapped_configILNS1_25lookback_scan_determinismE0ES3_SB_PS6_NS8_17constant_iteratorIiNS8_11use_defaultESG_EENS8_10device_ptrIS6_EENSI_IlEEPmSA_NS8_8equal_toIS6_EEEE10hipError_tPvRmT2_T3_mT4_T5_T6_T7_T8_P12ihipStream_tbENKUlT_T0_E_clISt17integral_constantIbLb1EES14_IbLb0EEEEDaS10_S11_EUlS10_E_NS1_11comp_targetILNS1_3genE9ELNS1_11target_archE1100ELNS1_3gpuE3ELNS1_3repE0EEENS1_30default_config_static_selectorELNS0_4arch9wavefront6targetE1EEEvT1_,@function
_ZN7rocprim17ROCPRIM_400000_NS6detail17trampoline_kernelINS0_14default_configENS1_29reduce_by_key_config_selectorIN3c108BFloat16ElN6thrust23THRUST_200600_302600_NS4plusIlEEEEZZNS1_33reduce_by_key_impl_wrapped_configILNS1_25lookback_scan_determinismE0ES3_SB_PS6_NS8_17constant_iteratorIiNS8_11use_defaultESG_EENS8_10device_ptrIS6_EENSI_IlEEPmSA_NS8_8equal_toIS6_EEEE10hipError_tPvRmT2_T3_mT4_T5_T6_T7_T8_P12ihipStream_tbENKUlT_T0_E_clISt17integral_constantIbLb1EES14_IbLb0EEEEDaS10_S11_EUlS10_E_NS1_11comp_targetILNS1_3genE9ELNS1_11target_archE1100ELNS1_3gpuE3ELNS1_3repE0EEENS1_30default_config_static_selectorELNS0_4arch9wavefront6targetE1EEEvT1_: ; @_ZN7rocprim17ROCPRIM_400000_NS6detail17trampoline_kernelINS0_14default_configENS1_29reduce_by_key_config_selectorIN3c108BFloat16ElN6thrust23THRUST_200600_302600_NS4plusIlEEEEZZNS1_33reduce_by_key_impl_wrapped_configILNS1_25lookback_scan_determinismE0ES3_SB_PS6_NS8_17constant_iteratorIiNS8_11use_defaultESG_EENS8_10device_ptrIS6_EENSI_IlEEPmSA_NS8_8equal_toIS6_EEEE10hipError_tPvRmT2_T3_mT4_T5_T6_T7_T8_P12ihipStream_tbENKUlT_T0_E_clISt17integral_constantIbLb1EES14_IbLb0EEEEDaS10_S11_EUlS10_E_NS1_11comp_targetILNS1_3genE9ELNS1_11target_archE1100ELNS1_3gpuE3ELNS1_3repE0EEENS1_30default_config_static_selectorELNS0_4arch9wavefront6targetE1EEEvT1_
; %bb.0:
	.section	.rodata,"a",@progbits
	.p2align	6, 0x0
	.amdhsa_kernel _ZN7rocprim17ROCPRIM_400000_NS6detail17trampoline_kernelINS0_14default_configENS1_29reduce_by_key_config_selectorIN3c108BFloat16ElN6thrust23THRUST_200600_302600_NS4plusIlEEEEZZNS1_33reduce_by_key_impl_wrapped_configILNS1_25lookback_scan_determinismE0ES3_SB_PS6_NS8_17constant_iteratorIiNS8_11use_defaultESG_EENS8_10device_ptrIS6_EENSI_IlEEPmSA_NS8_8equal_toIS6_EEEE10hipError_tPvRmT2_T3_mT4_T5_T6_T7_T8_P12ihipStream_tbENKUlT_T0_E_clISt17integral_constantIbLb1EES14_IbLb0EEEEDaS10_S11_EUlS10_E_NS1_11comp_targetILNS1_3genE9ELNS1_11target_archE1100ELNS1_3gpuE3ELNS1_3repE0EEENS1_30default_config_static_selectorELNS0_4arch9wavefront6targetE1EEEvT1_
		.amdhsa_group_segment_fixed_size 0
		.amdhsa_private_segment_fixed_size 0
		.amdhsa_kernarg_size 144
		.amdhsa_user_sgpr_count 6
		.amdhsa_user_sgpr_private_segment_buffer 1
		.amdhsa_user_sgpr_dispatch_ptr 0
		.amdhsa_user_sgpr_queue_ptr 0
		.amdhsa_user_sgpr_kernarg_segment_ptr 1
		.amdhsa_user_sgpr_dispatch_id 0
		.amdhsa_user_sgpr_flat_scratch_init 0
		.amdhsa_user_sgpr_private_segment_size 0
		.amdhsa_uses_dynamic_stack 0
		.amdhsa_system_sgpr_private_segment_wavefront_offset 0
		.amdhsa_system_sgpr_workgroup_id_x 1
		.amdhsa_system_sgpr_workgroup_id_y 0
		.amdhsa_system_sgpr_workgroup_id_z 0
		.amdhsa_system_sgpr_workgroup_info 0
		.amdhsa_system_vgpr_workitem_id 0
		.amdhsa_next_free_vgpr 1
		.amdhsa_next_free_sgpr 0
		.amdhsa_reserve_vcc 0
		.amdhsa_reserve_flat_scratch 0
		.amdhsa_float_round_mode_32 0
		.amdhsa_float_round_mode_16_64 0
		.amdhsa_float_denorm_mode_32 3
		.amdhsa_float_denorm_mode_16_64 3
		.amdhsa_dx10_clamp 1
		.amdhsa_ieee_mode 1
		.amdhsa_fp16_overflow 0
		.amdhsa_exception_fp_ieee_invalid_op 0
		.amdhsa_exception_fp_denorm_src 0
		.amdhsa_exception_fp_ieee_div_zero 0
		.amdhsa_exception_fp_ieee_overflow 0
		.amdhsa_exception_fp_ieee_underflow 0
		.amdhsa_exception_fp_ieee_inexact 0
		.amdhsa_exception_int_div_zero 0
	.end_amdhsa_kernel
	.section	.text._ZN7rocprim17ROCPRIM_400000_NS6detail17trampoline_kernelINS0_14default_configENS1_29reduce_by_key_config_selectorIN3c108BFloat16ElN6thrust23THRUST_200600_302600_NS4plusIlEEEEZZNS1_33reduce_by_key_impl_wrapped_configILNS1_25lookback_scan_determinismE0ES3_SB_PS6_NS8_17constant_iteratorIiNS8_11use_defaultESG_EENS8_10device_ptrIS6_EENSI_IlEEPmSA_NS8_8equal_toIS6_EEEE10hipError_tPvRmT2_T3_mT4_T5_T6_T7_T8_P12ihipStream_tbENKUlT_T0_E_clISt17integral_constantIbLb1EES14_IbLb0EEEEDaS10_S11_EUlS10_E_NS1_11comp_targetILNS1_3genE9ELNS1_11target_archE1100ELNS1_3gpuE3ELNS1_3repE0EEENS1_30default_config_static_selectorELNS0_4arch9wavefront6targetE1EEEvT1_,"axG",@progbits,_ZN7rocprim17ROCPRIM_400000_NS6detail17trampoline_kernelINS0_14default_configENS1_29reduce_by_key_config_selectorIN3c108BFloat16ElN6thrust23THRUST_200600_302600_NS4plusIlEEEEZZNS1_33reduce_by_key_impl_wrapped_configILNS1_25lookback_scan_determinismE0ES3_SB_PS6_NS8_17constant_iteratorIiNS8_11use_defaultESG_EENS8_10device_ptrIS6_EENSI_IlEEPmSA_NS8_8equal_toIS6_EEEE10hipError_tPvRmT2_T3_mT4_T5_T6_T7_T8_P12ihipStream_tbENKUlT_T0_E_clISt17integral_constantIbLb1EES14_IbLb0EEEEDaS10_S11_EUlS10_E_NS1_11comp_targetILNS1_3genE9ELNS1_11target_archE1100ELNS1_3gpuE3ELNS1_3repE0EEENS1_30default_config_static_selectorELNS0_4arch9wavefront6targetE1EEEvT1_,comdat
.Lfunc_end2077:
	.size	_ZN7rocprim17ROCPRIM_400000_NS6detail17trampoline_kernelINS0_14default_configENS1_29reduce_by_key_config_selectorIN3c108BFloat16ElN6thrust23THRUST_200600_302600_NS4plusIlEEEEZZNS1_33reduce_by_key_impl_wrapped_configILNS1_25lookback_scan_determinismE0ES3_SB_PS6_NS8_17constant_iteratorIiNS8_11use_defaultESG_EENS8_10device_ptrIS6_EENSI_IlEEPmSA_NS8_8equal_toIS6_EEEE10hipError_tPvRmT2_T3_mT4_T5_T6_T7_T8_P12ihipStream_tbENKUlT_T0_E_clISt17integral_constantIbLb1EES14_IbLb0EEEEDaS10_S11_EUlS10_E_NS1_11comp_targetILNS1_3genE9ELNS1_11target_archE1100ELNS1_3gpuE3ELNS1_3repE0EEENS1_30default_config_static_selectorELNS0_4arch9wavefront6targetE1EEEvT1_, .Lfunc_end2077-_ZN7rocprim17ROCPRIM_400000_NS6detail17trampoline_kernelINS0_14default_configENS1_29reduce_by_key_config_selectorIN3c108BFloat16ElN6thrust23THRUST_200600_302600_NS4plusIlEEEEZZNS1_33reduce_by_key_impl_wrapped_configILNS1_25lookback_scan_determinismE0ES3_SB_PS6_NS8_17constant_iteratorIiNS8_11use_defaultESG_EENS8_10device_ptrIS6_EENSI_IlEEPmSA_NS8_8equal_toIS6_EEEE10hipError_tPvRmT2_T3_mT4_T5_T6_T7_T8_P12ihipStream_tbENKUlT_T0_E_clISt17integral_constantIbLb1EES14_IbLb0EEEEDaS10_S11_EUlS10_E_NS1_11comp_targetILNS1_3genE9ELNS1_11target_archE1100ELNS1_3gpuE3ELNS1_3repE0EEENS1_30default_config_static_selectorELNS0_4arch9wavefront6targetE1EEEvT1_
                                        ; -- End function
	.set _ZN7rocprim17ROCPRIM_400000_NS6detail17trampoline_kernelINS0_14default_configENS1_29reduce_by_key_config_selectorIN3c108BFloat16ElN6thrust23THRUST_200600_302600_NS4plusIlEEEEZZNS1_33reduce_by_key_impl_wrapped_configILNS1_25lookback_scan_determinismE0ES3_SB_PS6_NS8_17constant_iteratorIiNS8_11use_defaultESG_EENS8_10device_ptrIS6_EENSI_IlEEPmSA_NS8_8equal_toIS6_EEEE10hipError_tPvRmT2_T3_mT4_T5_T6_T7_T8_P12ihipStream_tbENKUlT_T0_E_clISt17integral_constantIbLb1EES14_IbLb0EEEEDaS10_S11_EUlS10_E_NS1_11comp_targetILNS1_3genE9ELNS1_11target_archE1100ELNS1_3gpuE3ELNS1_3repE0EEENS1_30default_config_static_selectorELNS0_4arch9wavefront6targetE1EEEvT1_.num_vgpr, 0
	.set _ZN7rocprim17ROCPRIM_400000_NS6detail17trampoline_kernelINS0_14default_configENS1_29reduce_by_key_config_selectorIN3c108BFloat16ElN6thrust23THRUST_200600_302600_NS4plusIlEEEEZZNS1_33reduce_by_key_impl_wrapped_configILNS1_25lookback_scan_determinismE0ES3_SB_PS6_NS8_17constant_iteratorIiNS8_11use_defaultESG_EENS8_10device_ptrIS6_EENSI_IlEEPmSA_NS8_8equal_toIS6_EEEE10hipError_tPvRmT2_T3_mT4_T5_T6_T7_T8_P12ihipStream_tbENKUlT_T0_E_clISt17integral_constantIbLb1EES14_IbLb0EEEEDaS10_S11_EUlS10_E_NS1_11comp_targetILNS1_3genE9ELNS1_11target_archE1100ELNS1_3gpuE3ELNS1_3repE0EEENS1_30default_config_static_selectorELNS0_4arch9wavefront6targetE1EEEvT1_.num_agpr, 0
	.set _ZN7rocprim17ROCPRIM_400000_NS6detail17trampoline_kernelINS0_14default_configENS1_29reduce_by_key_config_selectorIN3c108BFloat16ElN6thrust23THRUST_200600_302600_NS4plusIlEEEEZZNS1_33reduce_by_key_impl_wrapped_configILNS1_25lookback_scan_determinismE0ES3_SB_PS6_NS8_17constant_iteratorIiNS8_11use_defaultESG_EENS8_10device_ptrIS6_EENSI_IlEEPmSA_NS8_8equal_toIS6_EEEE10hipError_tPvRmT2_T3_mT4_T5_T6_T7_T8_P12ihipStream_tbENKUlT_T0_E_clISt17integral_constantIbLb1EES14_IbLb0EEEEDaS10_S11_EUlS10_E_NS1_11comp_targetILNS1_3genE9ELNS1_11target_archE1100ELNS1_3gpuE3ELNS1_3repE0EEENS1_30default_config_static_selectorELNS0_4arch9wavefront6targetE1EEEvT1_.numbered_sgpr, 0
	.set _ZN7rocprim17ROCPRIM_400000_NS6detail17trampoline_kernelINS0_14default_configENS1_29reduce_by_key_config_selectorIN3c108BFloat16ElN6thrust23THRUST_200600_302600_NS4plusIlEEEEZZNS1_33reduce_by_key_impl_wrapped_configILNS1_25lookback_scan_determinismE0ES3_SB_PS6_NS8_17constant_iteratorIiNS8_11use_defaultESG_EENS8_10device_ptrIS6_EENSI_IlEEPmSA_NS8_8equal_toIS6_EEEE10hipError_tPvRmT2_T3_mT4_T5_T6_T7_T8_P12ihipStream_tbENKUlT_T0_E_clISt17integral_constantIbLb1EES14_IbLb0EEEEDaS10_S11_EUlS10_E_NS1_11comp_targetILNS1_3genE9ELNS1_11target_archE1100ELNS1_3gpuE3ELNS1_3repE0EEENS1_30default_config_static_selectorELNS0_4arch9wavefront6targetE1EEEvT1_.num_named_barrier, 0
	.set _ZN7rocprim17ROCPRIM_400000_NS6detail17trampoline_kernelINS0_14default_configENS1_29reduce_by_key_config_selectorIN3c108BFloat16ElN6thrust23THRUST_200600_302600_NS4plusIlEEEEZZNS1_33reduce_by_key_impl_wrapped_configILNS1_25lookback_scan_determinismE0ES3_SB_PS6_NS8_17constant_iteratorIiNS8_11use_defaultESG_EENS8_10device_ptrIS6_EENSI_IlEEPmSA_NS8_8equal_toIS6_EEEE10hipError_tPvRmT2_T3_mT4_T5_T6_T7_T8_P12ihipStream_tbENKUlT_T0_E_clISt17integral_constantIbLb1EES14_IbLb0EEEEDaS10_S11_EUlS10_E_NS1_11comp_targetILNS1_3genE9ELNS1_11target_archE1100ELNS1_3gpuE3ELNS1_3repE0EEENS1_30default_config_static_selectorELNS0_4arch9wavefront6targetE1EEEvT1_.private_seg_size, 0
	.set _ZN7rocprim17ROCPRIM_400000_NS6detail17trampoline_kernelINS0_14default_configENS1_29reduce_by_key_config_selectorIN3c108BFloat16ElN6thrust23THRUST_200600_302600_NS4plusIlEEEEZZNS1_33reduce_by_key_impl_wrapped_configILNS1_25lookback_scan_determinismE0ES3_SB_PS6_NS8_17constant_iteratorIiNS8_11use_defaultESG_EENS8_10device_ptrIS6_EENSI_IlEEPmSA_NS8_8equal_toIS6_EEEE10hipError_tPvRmT2_T3_mT4_T5_T6_T7_T8_P12ihipStream_tbENKUlT_T0_E_clISt17integral_constantIbLb1EES14_IbLb0EEEEDaS10_S11_EUlS10_E_NS1_11comp_targetILNS1_3genE9ELNS1_11target_archE1100ELNS1_3gpuE3ELNS1_3repE0EEENS1_30default_config_static_selectorELNS0_4arch9wavefront6targetE1EEEvT1_.uses_vcc, 0
	.set _ZN7rocprim17ROCPRIM_400000_NS6detail17trampoline_kernelINS0_14default_configENS1_29reduce_by_key_config_selectorIN3c108BFloat16ElN6thrust23THRUST_200600_302600_NS4plusIlEEEEZZNS1_33reduce_by_key_impl_wrapped_configILNS1_25lookback_scan_determinismE0ES3_SB_PS6_NS8_17constant_iteratorIiNS8_11use_defaultESG_EENS8_10device_ptrIS6_EENSI_IlEEPmSA_NS8_8equal_toIS6_EEEE10hipError_tPvRmT2_T3_mT4_T5_T6_T7_T8_P12ihipStream_tbENKUlT_T0_E_clISt17integral_constantIbLb1EES14_IbLb0EEEEDaS10_S11_EUlS10_E_NS1_11comp_targetILNS1_3genE9ELNS1_11target_archE1100ELNS1_3gpuE3ELNS1_3repE0EEENS1_30default_config_static_selectorELNS0_4arch9wavefront6targetE1EEEvT1_.uses_flat_scratch, 0
	.set _ZN7rocprim17ROCPRIM_400000_NS6detail17trampoline_kernelINS0_14default_configENS1_29reduce_by_key_config_selectorIN3c108BFloat16ElN6thrust23THRUST_200600_302600_NS4plusIlEEEEZZNS1_33reduce_by_key_impl_wrapped_configILNS1_25lookback_scan_determinismE0ES3_SB_PS6_NS8_17constant_iteratorIiNS8_11use_defaultESG_EENS8_10device_ptrIS6_EENSI_IlEEPmSA_NS8_8equal_toIS6_EEEE10hipError_tPvRmT2_T3_mT4_T5_T6_T7_T8_P12ihipStream_tbENKUlT_T0_E_clISt17integral_constantIbLb1EES14_IbLb0EEEEDaS10_S11_EUlS10_E_NS1_11comp_targetILNS1_3genE9ELNS1_11target_archE1100ELNS1_3gpuE3ELNS1_3repE0EEENS1_30default_config_static_selectorELNS0_4arch9wavefront6targetE1EEEvT1_.has_dyn_sized_stack, 0
	.set _ZN7rocprim17ROCPRIM_400000_NS6detail17trampoline_kernelINS0_14default_configENS1_29reduce_by_key_config_selectorIN3c108BFloat16ElN6thrust23THRUST_200600_302600_NS4plusIlEEEEZZNS1_33reduce_by_key_impl_wrapped_configILNS1_25lookback_scan_determinismE0ES3_SB_PS6_NS8_17constant_iteratorIiNS8_11use_defaultESG_EENS8_10device_ptrIS6_EENSI_IlEEPmSA_NS8_8equal_toIS6_EEEE10hipError_tPvRmT2_T3_mT4_T5_T6_T7_T8_P12ihipStream_tbENKUlT_T0_E_clISt17integral_constantIbLb1EES14_IbLb0EEEEDaS10_S11_EUlS10_E_NS1_11comp_targetILNS1_3genE9ELNS1_11target_archE1100ELNS1_3gpuE3ELNS1_3repE0EEENS1_30default_config_static_selectorELNS0_4arch9wavefront6targetE1EEEvT1_.has_recursion, 0
	.set _ZN7rocprim17ROCPRIM_400000_NS6detail17trampoline_kernelINS0_14default_configENS1_29reduce_by_key_config_selectorIN3c108BFloat16ElN6thrust23THRUST_200600_302600_NS4plusIlEEEEZZNS1_33reduce_by_key_impl_wrapped_configILNS1_25lookback_scan_determinismE0ES3_SB_PS6_NS8_17constant_iteratorIiNS8_11use_defaultESG_EENS8_10device_ptrIS6_EENSI_IlEEPmSA_NS8_8equal_toIS6_EEEE10hipError_tPvRmT2_T3_mT4_T5_T6_T7_T8_P12ihipStream_tbENKUlT_T0_E_clISt17integral_constantIbLb1EES14_IbLb0EEEEDaS10_S11_EUlS10_E_NS1_11comp_targetILNS1_3genE9ELNS1_11target_archE1100ELNS1_3gpuE3ELNS1_3repE0EEENS1_30default_config_static_selectorELNS0_4arch9wavefront6targetE1EEEvT1_.has_indirect_call, 0
	.section	.AMDGPU.csdata,"",@progbits
; Kernel info:
; codeLenInByte = 0
; TotalNumSgprs: 4
; NumVgprs: 0
; ScratchSize: 0
; MemoryBound: 0
; FloatMode: 240
; IeeeMode: 1
; LDSByteSize: 0 bytes/workgroup (compile time only)
; SGPRBlocks: 0
; VGPRBlocks: 0
; NumSGPRsForWavesPerEU: 4
; NumVGPRsForWavesPerEU: 1
; Occupancy: 10
; WaveLimiterHint : 0
; COMPUTE_PGM_RSRC2:SCRATCH_EN: 0
; COMPUTE_PGM_RSRC2:USER_SGPR: 6
; COMPUTE_PGM_RSRC2:TRAP_HANDLER: 0
; COMPUTE_PGM_RSRC2:TGID_X_EN: 1
; COMPUTE_PGM_RSRC2:TGID_Y_EN: 0
; COMPUTE_PGM_RSRC2:TGID_Z_EN: 0
; COMPUTE_PGM_RSRC2:TIDIG_COMP_CNT: 0
	.section	.text._ZN7rocprim17ROCPRIM_400000_NS6detail17trampoline_kernelINS0_14default_configENS1_29reduce_by_key_config_selectorIN3c108BFloat16ElN6thrust23THRUST_200600_302600_NS4plusIlEEEEZZNS1_33reduce_by_key_impl_wrapped_configILNS1_25lookback_scan_determinismE0ES3_SB_PS6_NS8_17constant_iteratorIiNS8_11use_defaultESG_EENS8_10device_ptrIS6_EENSI_IlEEPmSA_NS8_8equal_toIS6_EEEE10hipError_tPvRmT2_T3_mT4_T5_T6_T7_T8_P12ihipStream_tbENKUlT_T0_E_clISt17integral_constantIbLb1EES14_IbLb0EEEEDaS10_S11_EUlS10_E_NS1_11comp_targetILNS1_3genE8ELNS1_11target_archE1030ELNS1_3gpuE2ELNS1_3repE0EEENS1_30default_config_static_selectorELNS0_4arch9wavefront6targetE1EEEvT1_,"axG",@progbits,_ZN7rocprim17ROCPRIM_400000_NS6detail17trampoline_kernelINS0_14default_configENS1_29reduce_by_key_config_selectorIN3c108BFloat16ElN6thrust23THRUST_200600_302600_NS4plusIlEEEEZZNS1_33reduce_by_key_impl_wrapped_configILNS1_25lookback_scan_determinismE0ES3_SB_PS6_NS8_17constant_iteratorIiNS8_11use_defaultESG_EENS8_10device_ptrIS6_EENSI_IlEEPmSA_NS8_8equal_toIS6_EEEE10hipError_tPvRmT2_T3_mT4_T5_T6_T7_T8_P12ihipStream_tbENKUlT_T0_E_clISt17integral_constantIbLb1EES14_IbLb0EEEEDaS10_S11_EUlS10_E_NS1_11comp_targetILNS1_3genE8ELNS1_11target_archE1030ELNS1_3gpuE2ELNS1_3repE0EEENS1_30default_config_static_selectorELNS0_4arch9wavefront6targetE1EEEvT1_,comdat
	.protected	_ZN7rocprim17ROCPRIM_400000_NS6detail17trampoline_kernelINS0_14default_configENS1_29reduce_by_key_config_selectorIN3c108BFloat16ElN6thrust23THRUST_200600_302600_NS4plusIlEEEEZZNS1_33reduce_by_key_impl_wrapped_configILNS1_25lookback_scan_determinismE0ES3_SB_PS6_NS8_17constant_iteratorIiNS8_11use_defaultESG_EENS8_10device_ptrIS6_EENSI_IlEEPmSA_NS8_8equal_toIS6_EEEE10hipError_tPvRmT2_T3_mT4_T5_T6_T7_T8_P12ihipStream_tbENKUlT_T0_E_clISt17integral_constantIbLb1EES14_IbLb0EEEEDaS10_S11_EUlS10_E_NS1_11comp_targetILNS1_3genE8ELNS1_11target_archE1030ELNS1_3gpuE2ELNS1_3repE0EEENS1_30default_config_static_selectorELNS0_4arch9wavefront6targetE1EEEvT1_ ; -- Begin function _ZN7rocprim17ROCPRIM_400000_NS6detail17trampoline_kernelINS0_14default_configENS1_29reduce_by_key_config_selectorIN3c108BFloat16ElN6thrust23THRUST_200600_302600_NS4plusIlEEEEZZNS1_33reduce_by_key_impl_wrapped_configILNS1_25lookback_scan_determinismE0ES3_SB_PS6_NS8_17constant_iteratorIiNS8_11use_defaultESG_EENS8_10device_ptrIS6_EENSI_IlEEPmSA_NS8_8equal_toIS6_EEEE10hipError_tPvRmT2_T3_mT4_T5_T6_T7_T8_P12ihipStream_tbENKUlT_T0_E_clISt17integral_constantIbLb1EES14_IbLb0EEEEDaS10_S11_EUlS10_E_NS1_11comp_targetILNS1_3genE8ELNS1_11target_archE1030ELNS1_3gpuE2ELNS1_3repE0EEENS1_30default_config_static_selectorELNS0_4arch9wavefront6targetE1EEEvT1_
	.globl	_ZN7rocprim17ROCPRIM_400000_NS6detail17trampoline_kernelINS0_14default_configENS1_29reduce_by_key_config_selectorIN3c108BFloat16ElN6thrust23THRUST_200600_302600_NS4plusIlEEEEZZNS1_33reduce_by_key_impl_wrapped_configILNS1_25lookback_scan_determinismE0ES3_SB_PS6_NS8_17constant_iteratorIiNS8_11use_defaultESG_EENS8_10device_ptrIS6_EENSI_IlEEPmSA_NS8_8equal_toIS6_EEEE10hipError_tPvRmT2_T3_mT4_T5_T6_T7_T8_P12ihipStream_tbENKUlT_T0_E_clISt17integral_constantIbLb1EES14_IbLb0EEEEDaS10_S11_EUlS10_E_NS1_11comp_targetILNS1_3genE8ELNS1_11target_archE1030ELNS1_3gpuE2ELNS1_3repE0EEENS1_30default_config_static_selectorELNS0_4arch9wavefront6targetE1EEEvT1_
	.p2align	8
	.type	_ZN7rocprim17ROCPRIM_400000_NS6detail17trampoline_kernelINS0_14default_configENS1_29reduce_by_key_config_selectorIN3c108BFloat16ElN6thrust23THRUST_200600_302600_NS4plusIlEEEEZZNS1_33reduce_by_key_impl_wrapped_configILNS1_25lookback_scan_determinismE0ES3_SB_PS6_NS8_17constant_iteratorIiNS8_11use_defaultESG_EENS8_10device_ptrIS6_EENSI_IlEEPmSA_NS8_8equal_toIS6_EEEE10hipError_tPvRmT2_T3_mT4_T5_T6_T7_T8_P12ihipStream_tbENKUlT_T0_E_clISt17integral_constantIbLb1EES14_IbLb0EEEEDaS10_S11_EUlS10_E_NS1_11comp_targetILNS1_3genE8ELNS1_11target_archE1030ELNS1_3gpuE2ELNS1_3repE0EEENS1_30default_config_static_selectorELNS0_4arch9wavefront6targetE1EEEvT1_,@function
_ZN7rocprim17ROCPRIM_400000_NS6detail17trampoline_kernelINS0_14default_configENS1_29reduce_by_key_config_selectorIN3c108BFloat16ElN6thrust23THRUST_200600_302600_NS4plusIlEEEEZZNS1_33reduce_by_key_impl_wrapped_configILNS1_25lookback_scan_determinismE0ES3_SB_PS6_NS8_17constant_iteratorIiNS8_11use_defaultESG_EENS8_10device_ptrIS6_EENSI_IlEEPmSA_NS8_8equal_toIS6_EEEE10hipError_tPvRmT2_T3_mT4_T5_T6_T7_T8_P12ihipStream_tbENKUlT_T0_E_clISt17integral_constantIbLb1EES14_IbLb0EEEEDaS10_S11_EUlS10_E_NS1_11comp_targetILNS1_3genE8ELNS1_11target_archE1030ELNS1_3gpuE2ELNS1_3repE0EEENS1_30default_config_static_selectorELNS0_4arch9wavefront6targetE1EEEvT1_: ; @_ZN7rocprim17ROCPRIM_400000_NS6detail17trampoline_kernelINS0_14default_configENS1_29reduce_by_key_config_selectorIN3c108BFloat16ElN6thrust23THRUST_200600_302600_NS4plusIlEEEEZZNS1_33reduce_by_key_impl_wrapped_configILNS1_25lookback_scan_determinismE0ES3_SB_PS6_NS8_17constant_iteratorIiNS8_11use_defaultESG_EENS8_10device_ptrIS6_EENSI_IlEEPmSA_NS8_8equal_toIS6_EEEE10hipError_tPvRmT2_T3_mT4_T5_T6_T7_T8_P12ihipStream_tbENKUlT_T0_E_clISt17integral_constantIbLb1EES14_IbLb0EEEEDaS10_S11_EUlS10_E_NS1_11comp_targetILNS1_3genE8ELNS1_11target_archE1030ELNS1_3gpuE2ELNS1_3repE0EEENS1_30default_config_static_selectorELNS0_4arch9wavefront6targetE1EEEvT1_
; %bb.0:
	.section	.rodata,"a",@progbits
	.p2align	6, 0x0
	.amdhsa_kernel _ZN7rocprim17ROCPRIM_400000_NS6detail17trampoline_kernelINS0_14default_configENS1_29reduce_by_key_config_selectorIN3c108BFloat16ElN6thrust23THRUST_200600_302600_NS4plusIlEEEEZZNS1_33reduce_by_key_impl_wrapped_configILNS1_25lookback_scan_determinismE0ES3_SB_PS6_NS8_17constant_iteratorIiNS8_11use_defaultESG_EENS8_10device_ptrIS6_EENSI_IlEEPmSA_NS8_8equal_toIS6_EEEE10hipError_tPvRmT2_T3_mT4_T5_T6_T7_T8_P12ihipStream_tbENKUlT_T0_E_clISt17integral_constantIbLb1EES14_IbLb0EEEEDaS10_S11_EUlS10_E_NS1_11comp_targetILNS1_3genE8ELNS1_11target_archE1030ELNS1_3gpuE2ELNS1_3repE0EEENS1_30default_config_static_selectorELNS0_4arch9wavefront6targetE1EEEvT1_
		.amdhsa_group_segment_fixed_size 0
		.amdhsa_private_segment_fixed_size 0
		.amdhsa_kernarg_size 144
		.amdhsa_user_sgpr_count 6
		.amdhsa_user_sgpr_private_segment_buffer 1
		.amdhsa_user_sgpr_dispatch_ptr 0
		.amdhsa_user_sgpr_queue_ptr 0
		.amdhsa_user_sgpr_kernarg_segment_ptr 1
		.amdhsa_user_sgpr_dispatch_id 0
		.amdhsa_user_sgpr_flat_scratch_init 0
		.amdhsa_user_sgpr_private_segment_size 0
		.amdhsa_uses_dynamic_stack 0
		.amdhsa_system_sgpr_private_segment_wavefront_offset 0
		.amdhsa_system_sgpr_workgroup_id_x 1
		.amdhsa_system_sgpr_workgroup_id_y 0
		.amdhsa_system_sgpr_workgroup_id_z 0
		.amdhsa_system_sgpr_workgroup_info 0
		.amdhsa_system_vgpr_workitem_id 0
		.amdhsa_next_free_vgpr 1
		.amdhsa_next_free_sgpr 0
		.amdhsa_reserve_vcc 0
		.amdhsa_reserve_flat_scratch 0
		.amdhsa_float_round_mode_32 0
		.amdhsa_float_round_mode_16_64 0
		.amdhsa_float_denorm_mode_32 3
		.amdhsa_float_denorm_mode_16_64 3
		.amdhsa_dx10_clamp 1
		.amdhsa_ieee_mode 1
		.amdhsa_fp16_overflow 0
		.amdhsa_exception_fp_ieee_invalid_op 0
		.amdhsa_exception_fp_denorm_src 0
		.amdhsa_exception_fp_ieee_div_zero 0
		.amdhsa_exception_fp_ieee_overflow 0
		.amdhsa_exception_fp_ieee_underflow 0
		.amdhsa_exception_fp_ieee_inexact 0
		.amdhsa_exception_int_div_zero 0
	.end_amdhsa_kernel
	.section	.text._ZN7rocprim17ROCPRIM_400000_NS6detail17trampoline_kernelINS0_14default_configENS1_29reduce_by_key_config_selectorIN3c108BFloat16ElN6thrust23THRUST_200600_302600_NS4plusIlEEEEZZNS1_33reduce_by_key_impl_wrapped_configILNS1_25lookback_scan_determinismE0ES3_SB_PS6_NS8_17constant_iteratorIiNS8_11use_defaultESG_EENS8_10device_ptrIS6_EENSI_IlEEPmSA_NS8_8equal_toIS6_EEEE10hipError_tPvRmT2_T3_mT4_T5_T6_T7_T8_P12ihipStream_tbENKUlT_T0_E_clISt17integral_constantIbLb1EES14_IbLb0EEEEDaS10_S11_EUlS10_E_NS1_11comp_targetILNS1_3genE8ELNS1_11target_archE1030ELNS1_3gpuE2ELNS1_3repE0EEENS1_30default_config_static_selectorELNS0_4arch9wavefront6targetE1EEEvT1_,"axG",@progbits,_ZN7rocprim17ROCPRIM_400000_NS6detail17trampoline_kernelINS0_14default_configENS1_29reduce_by_key_config_selectorIN3c108BFloat16ElN6thrust23THRUST_200600_302600_NS4plusIlEEEEZZNS1_33reduce_by_key_impl_wrapped_configILNS1_25lookback_scan_determinismE0ES3_SB_PS6_NS8_17constant_iteratorIiNS8_11use_defaultESG_EENS8_10device_ptrIS6_EENSI_IlEEPmSA_NS8_8equal_toIS6_EEEE10hipError_tPvRmT2_T3_mT4_T5_T6_T7_T8_P12ihipStream_tbENKUlT_T0_E_clISt17integral_constantIbLb1EES14_IbLb0EEEEDaS10_S11_EUlS10_E_NS1_11comp_targetILNS1_3genE8ELNS1_11target_archE1030ELNS1_3gpuE2ELNS1_3repE0EEENS1_30default_config_static_selectorELNS0_4arch9wavefront6targetE1EEEvT1_,comdat
.Lfunc_end2078:
	.size	_ZN7rocprim17ROCPRIM_400000_NS6detail17trampoline_kernelINS0_14default_configENS1_29reduce_by_key_config_selectorIN3c108BFloat16ElN6thrust23THRUST_200600_302600_NS4plusIlEEEEZZNS1_33reduce_by_key_impl_wrapped_configILNS1_25lookback_scan_determinismE0ES3_SB_PS6_NS8_17constant_iteratorIiNS8_11use_defaultESG_EENS8_10device_ptrIS6_EENSI_IlEEPmSA_NS8_8equal_toIS6_EEEE10hipError_tPvRmT2_T3_mT4_T5_T6_T7_T8_P12ihipStream_tbENKUlT_T0_E_clISt17integral_constantIbLb1EES14_IbLb0EEEEDaS10_S11_EUlS10_E_NS1_11comp_targetILNS1_3genE8ELNS1_11target_archE1030ELNS1_3gpuE2ELNS1_3repE0EEENS1_30default_config_static_selectorELNS0_4arch9wavefront6targetE1EEEvT1_, .Lfunc_end2078-_ZN7rocprim17ROCPRIM_400000_NS6detail17trampoline_kernelINS0_14default_configENS1_29reduce_by_key_config_selectorIN3c108BFloat16ElN6thrust23THRUST_200600_302600_NS4plusIlEEEEZZNS1_33reduce_by_key_impl_wrapped_configILNS1_25lookback_scan_determinismE0ES3_SB_PS6_NS8_17constant_iteratorIiNS8_11use_defaultESG_EENS8_10device_ptrIS6_EENSI_IlEEPmSA_NS8_8equal_toIS6_EEEE10hipError_tPvRmT2_T3_mT4_T5_T6_T7_T8_P12ihipStream_tbENKUlT_T0_E_clISt17integral_constantIbLb1EES14_IbLb0EEEEDaS10_S11_EUlS10_E_NS1_11comp_targetILNS1_3genE8ELNS1_11target_archE1030ELNS1_3gpuE2ELNS1_3repE0EEENS1_30default_config_static_selectorELNS0_4arch9wavefront6targetE1EEEvT1_
                                        ; -- End function
	.set _ZN7rocprim17ROCPRIM_400000_NS6detail17trampoline_kernelINS0_14default_configENS1_29reduce_by_key_config_selectorIN3c108BFloat16ElN6thrust23THRUST_200600_302600_NS4plusIlEEEEZZNS1_33reduce_by_key_impl_wrapped_configILNS1_25lookback_scan_determinismE0ES3_SB_PS6_NS8_17constant_iteratorIiNS8_11use_defaultESG_EENS8_10device_ptrIS6_EENSI_IlEEPmSA_NS8_8equal_toIS6_EEEE10hipError_tPvRmT2_T3_mT4_T5_T6_T7_T8_P12ihipStream_tbENKUlT_T0_E_clISt17integral_constantIbLb1EES14_IbLb0EEEEDaS10_S11_EUlS10_E_NS1_11comp_targetILNS1_3genE8ELNS1_11target_archE1030ELNS1_3gpuE2ELNS1_3repE0EEENS1_30default_config_static_selectorELNS0_4arch9wavefront6targetE1EEEvT1_.num_vgpr, 0
	.set _ZN7rocprim17ROCPRIM_400000_NS6detail17trampoline_kernelINS0_14default_configENS1_29reduce_by_key_config_selectorIN3c108BFloat16ElN6thrust23THRUST_200600_302600_NS4plusIlEEEEZZNS1_33reduce_by_key_impl_wrapped_configILNS1_25lookback_scan_determinismE0ES3_SB_PS6_NS8_17constant_iteratorIiNS8_11use_defaultESG_EENS8_10device_ptrIS6_EENSI_IlEEPmSA_NS8_8equal_toIS6_EEEE10hipError_tPvRmT2_T3_mT4_T5_T6_T7_T8_P12ihipStream_tbENKUlT_T0_E_clISt17integral_constantIbLb1EES14_IbLb0EEEEDaS10_S11_EUlS10_E_NS1_11comp_targetILNS1_3genE8ELNS1_11target_archE1030ELNS1_3gpuE2ELNS1_3repE0EEENS1_30default_config_static_selectorELNS0_4arch9wavefront6targetE1EEEvT1_.num_agpr, 0
	.set _ZN7rocprim17ROCPRIM_400000_NS6detail17trampoline_kernelINS0_14default_configENS1_29reduce_by_key_config_selectorIN3c108BFloat16ElN6thrust23THRUST_200600_302600_NS4plusIlEEEEZZNS1_33reduce_by_key_impl_wrapped_configILNS1_25lookback_scan_determinismE0ES3_SB_PS6_NS8_17constant_iteratorIiNS8_11use_defaultESG_EENS8_10device_ptrIS6_EENSI_IlEEPmSA_NS8_8equal_toIS6_EEEE10hipError_tPvRmT2_T3_mT4_T5_T6_T7_T8_P12ihipStream_tbENKUlT_T0_E_clISt17integral_constantIbLb1EES14_IbLb0EEEEDaS10_S11_EUlS10_E_NS1_11comp_targetILNS1_3genE8ELNS1_11target_archE1030ELNS1_3gpuE2ELNS1_3repE0EEENS1_30default_config_static_selectorELNS0_4arch9wavefront6targetE1EEEvT1_.numbered_sgpr, 0
	.set _ZN7rocprim17ROCPRIM_400000_NS6detail17trampoline_kernelINS0_14default_configENS1_29reduce_by_key_config_selectorIN3c108BFloat16ElN6thrust23THRUST_200600_302600_NS4plusIlEEEEZZNS1_33reduce_by_key_impl_wrapped_configILNS1_25lookback_scan_determinismE0ES3_SB_PS6_NS8_17constant_iteratorIiNS8_11use_defaultESG_EENS8_10device_ptrIS6_EENSI_IlEEPmSA_NS8_8equal_toIS6_EEEE10hipError_tPvRmT2_T3_mT4_T5_T6_T7_T8_P12ihipStream_tbENKUlT_T0_E_clISt17integral_constantIbLb1EES14_IbLb0EEEEDaS10_S11_EUlS10_E_NS1_11comp_targetILNS1_3genE8ELNS1_11target_archE1030ELNS1_3gpuE2ELNS1_3repE0EEENS1_30default_config_static_selectorELNS0_4arch9wavefront6targetE1EEEvT1_.num_named_barrier, 0
	.set _ZN7rocprim17ROCPRIM_400000_NS6detail17trampoline_kernelINS0_14default_configENS1_29reduce_by_key_config_selectorIN3c108BFloat16ElN6thrust23THRUST_200600_302600_NS4plusIlEEEEZZNS1_33reduce_by_key_impl_wrapped_configILNS1_25lookback_scan_determinismE0ES3_SB_PS6_NS8_17constant_iteratorIiNS8_11use_defaultESG_EENS8_10device_ptrIS6_EENSI_IlEEPmSA_NS8_8equal_toIS6_EEEE10hipError_tPvRmT2_T3_mT4_T5_T6_T7_T8_P12ihipStream_tbENKUlT_T0_E_clISt17integral_constantIbLb1EES14_IbLb0EEEEDaS10_S11_EUlS10_E_NS1_11comp_targetILNS1_3genE8ELNS1_11target_archE1030ELNS1_3gpuE2ELNS1_3repE0EEENS1_30default_config_static_selectorELNS0_4arch9wavefront6targetE1EEEvT1_.private_seg_size, 0
	.set _ZN7rocprim17ROCPRIM_400000_NS6detail17trampoline_kernelINS0_14default_configENS1_29reduce_by_key_config_selectorIN3c108BFloat16ElN6thrust23THRUST_200600_302600_NS4plusIlEEEEZZNS1_33reduce_by_key_impl_wrapped_configILNS1_25lookback_scan_determinismE0ES3_SB_PS6_NS8_17constant_iteratorIiNS8_11use_defaultESG_EENS8_10device_ptrIS6_EENSI_IlEEPmSA_NS8_8equal_toIS6_EEEE10hipError_tPvRmT2_T3_mT4_T5_T6_T7_T8_P12ihipStream_tbENKUlT_T0_E_clISt17integral_constantIbLb1EES14_IbLb0EEEEDaS10_S11_EUlS10_E_NS1_11comp_targetILNS1_3genE8ELNS1_11target_archE1030ELNS1_3gpuE2ELNS1_3repE0EEENS1_30default_config_static_selectorELNS0_4arch9wavefront6targetE1EEEvT1_.uses_vcc, 0
	.set _ZN7rocprim17ROCPRIM_400000_NS6detail17trampoline_kernelINS0_14default_configENS1_29reduce_by_key_config_selectorIN3c108BFloat16ElN6thrust23THRUST_200600_302600_NS4plusIlEEEEZZNS1_33reduce_by_key_impl_wrapped_configILNS1_25lookback_scan_determinismE0ES3_SB_PS6_NS8_17constant_iteratorIiNS8_11use_defaultESG_EENS8_10device_ptrIS6_EENSI_IlEEPmSA_NS8_8equal_toIS6_EEEE10hipError_tPvRmT2_T3_mT4_T5_T6_T7_T8_P12ihipStream_tbENKUlT_T0_E_clISt17integral_constantIbLb1EES14_IbLb0EEEEDaS10_S11_EUlS10_E_NS1_11comp_targetILNS1_3genE8ELNS1_11target_archE1030ELNS1_3gpuE2ELNS1_3repE0EEENS1_30default_config_static_selectorELNS0_4arch9wavefront6targetE1EEEvT1_.uses_flat_scratch, 0
	.set _ZN7rocprim17ROCPRIM_400000_NS6detail17trampoline_kernelINS0_14default_configENS1_29reduce_by_key_config_selectorIN3c108BFloat16ElN6thrust23THRUST_200600_302600_NS4plusIlEEEEZZNS1_33reduce_by_key_impl_wrapped_configILNS1_25lookback_scan_determinismE0ES3_SB_PS6_NS8_17constant_iteratorIiNS8_11use_defaultESG_EENS8_10device_ptrIS6_EENSI_IlEEPmSA_NS8_8equal_toIS6_EEEE10hipError_tPvRmT2_T3_mT4_T5_T6_T7_T8_P12ihipStream_tbENKUlT_T0_E_clISt17integral_constantIbLb1EES14_IbLb0EEEEDaS10_S11_EUlS10_E_NS1_11comp_targetILNS1_3genE8ELNS1_11target_archE1030ELNS1_3gpuE2ELNS1_3repE0EEENS1_30default_config_static_selectorELNS0_4arch9wavefront6targetE1EEEvT1_.has_dyn_sized_stack, 0
	.set _ZN7rocprim17ROCPRIM_400000_NS6detail17trampoline_kernelINS0_14default_configENS1_29reduce_by_key_config_selectorIN3c108BFloat16ElN6thrust23THRUST_200600_302600_NS4plusIlEEEEZZNS1_33reduce_by_key_impl_wrapped_configILNS1_25lookback_scan_determinismE0ES3_SB_PS6_NS8_17constant_iteratorIiNS8_11use_defaultESG_EENS8_10device_ptrIS6_EENSI_IlEEPmSA_NS8_8equal_toIS6_EEEE10hipError_tPvRmT2_T3_mT4_T5_T6_T7_T8_P12ihipStream_tbENKUlT_T0_E_clISt17integral_constantIbLb1EES14_IbLb0EEEEDaS10_S11_EUlS10_E_NS1_11comp_targetILNS1_3genE8ELNS1_11target_archE1030ELNS1_3gpuE2ELNS1_3repE0EEENS1_30default_config_static_selectorELNS0_4arch9wavefront6targetE1EEEvT1_.has_recursion, 0
	.set _ZN7rocprim17ROCPRIM_400000_NS6detail17trampoline_kernelINS0_14default_configENS1_29reduce_by_key_config_selectorIN3c108BFloat16ElN6thrust23THRUST_200600_302600_NS4plusIlEEEEZZNS1_33reduce_by_key_impl_wrapped_configILNS1_25lookback_scan_determinismE0ES3_SB_PS6_NS8_17constant_iteratorIiNS8_11use_defaultESG_EENS8_10device_ptrIS6_EENSI_IlEEPmSA_NS8_8equal_toIS6_EEEE10hipError_tPvRmT2_T3_mT4_T5_T6_T7_T8_P12ihipStream_tbENKUlT_T0_E_clISt17integral_constantIbLb1EES14_IbLb0EEEEDaS10_S11_EUlS10_E_NS1_11comp_targetILNS1_3genE8ELNS1_11target_archE1030ELNS1_3gpuE2ELNS1_3repE0EEENS1_30default_config_static_selectorELNS0_4arch9wavefront6targetE1EEEvT1_.has_indirect_call, 0
	.section	.AMDGPU.csdata,"",@progbits
; Kernel info:
; codeLenInByte = 0
; TotalNumSgprs: 4
; NumVgprs: 0
; ScratchSize: 0
; MemoryBound: 0
; FloatMode: 240
; IeeeMode: 1
; LDSByteSize: 0 bytes/workgroup (compile time only)
; SGPRBlocks: 0
; VGPRBlocks: 0
; NumSGPRsForWavesPerEU: 4
; NumVGPRsForWavesPerEU: 1
; Occupancy: 10
; WaveLimiterHint : 0
; COMPUTE_PGM_RSRC2:SCRATCH_EN: 0
; COMPUTE_PGM_RSRC2:USER_SGPR: 6
; COMPUTE_PGM_RSRC2:TRAP_HANDLER: 0
; COMPUTE_PGM_RSRC2:TGID_X_EN: 1
; COMPUTE_PGM_RSRC2:TGID_Y_EN: 0
; COMPUTE_PGM_RSRC2:TGID_Z_EN: 0
; COMPUTE_PGM_RSRC2:TIDIG_COMP_CNT: 0
	.section	.text._ZN7rocprim17ROCPRIM_400000_NS6detail17trampoline_kernelINS0_14default_configENS1_29reduce_by_key_config_selectorIN3c108BFloat16ElN6thrust23THRUST_200600_302600_NS4plusIlEEEEZZNS1_33reduce_by_key_impl_wrapped_configILNS1_25lookback_scan_determinismE0ES3_SB_PS6_NS8_17constant_iteratorIiNS8_11use_defaultESG_EENS8_10device_ptrIS6_EENSI_IlEEPmSA_NS8_8equal_toIS6_EEEE10hipError_tPvRmT2_T3_mT4_T5_T6_T7_T8_P12ihipStream_tbENKUlT_T0_E_clISt17integral_constantIbLb0EES14_IbLb1EEEEDaS10_S11_EUlS10_E_NS1_11comp_targetILNS1_3genE0ELNS1_11target_archE4294967295ELNS1_3gpuE0ELNS1_3repE0EEENS1_30default_config_static_selectorELNS0_4arch9wavefront6targetE1EEEvT1_,"axG",@progbits,_ZN7rocprim17ROCPRIM_400000_NS6detail17trampoline_kernelINS0_14default_configENS1_29reduce_by_key_config_selectorIN3c108BFloat16ElN6thrust23THRUST_200600_302600_NS4plusIlEEEEZZNS1_33reduce_by_key_impl_wrapped_configILNS1_25lookback_scan_determinismE0ES3_SB_PS6_NS8_17constant_iteratorIiNS8_11use_defaultESG_EENS8_10device_ptrIS6_EENSI_IlEEPmSA_NS8_8equal_toIS6_EEEE10hipError_tPvRmT2_T3_mT4_T5_T6_T7_T8_P12ihipStream_tbENKUlT_T0_E_clISt17integral_constantIbLb0EES14_IbLb1EEEEDaS10_S11_EUlS10_E_NS1_11comp_targetILNS1_3genE0ELNS1_11target_archE4294967295ELNS1_3gpuE0ELNS1_3repE0EEENS1_30default_config_static_selectorELNS0_4arch9wavefront6targetE1EEEvT1_,comdat
	.protected	_ZN7rocprim17ROCPRIM_400000_NS6detail17trampoline_kernelINS0_14default_configENS1_29reduce_by_key_config_selectorIN3c108BFloat16ElN6thrust23THRUST_200600_302600_NS4plusIlEEEEZZNS1_33reduce_by_key_impl_wrapped_configILNS1_25lookback_scan_determinismE0ES3_SB_PS6_NS8_17constant_iteratorIiNS8_11use_defaultESG_EENS8_10device_ptrIS6_EENSI_IlEEPmSA_NS8_8equal_toIS6_EEEE10hipError_tPvRmT2_T3_mT4_T5_T6_T7_T8_P12ihipStream_tbENKUlT_T0_E_clISt17integral_constantIbLb0EES14_IbLb1EEEEDaS10_S11_EUlS10_E_NS1_11comp_targetILNS1_3genE0ELNS1_11target_archE4294967295ELNS1_3gpuE0ELNS1_3repE0EEENS1_30default_config_static_selectorELNS0_4arch9wavefront6targetE1EEEvT1_ ; -- Begin function _ZN7rocprim17ROCPRIM_400000_NS6detail17trampoline_kernelINS0_14default_configENS1_29reduce_by_key_config_selectorIN3c108BFloat16ElN6thrust23THRUST_200600_302600_NS4plusIlEEEEZZNS1_33reduce_by_key_impl_wrapped_configILNS1_25lookback_scan_determinismE0ES3_SB_PS6_NS8_17constant_iteratorIiNS8_11use_defaultESG_EENS8_10device_ptrIS6_EENSI_IlEEPmSA_NS8_8equal_toIS6_EEEE10hipError_tPvRmT2_T3_mT4_T5_T6_T7_T8_P12ihipStream_tbENKUlT_T0_E_clISt17integral_constantIbLb0EES14_IbLb1EEEEDaS10_S11_EUlS10_E_NS1_11comp_targetILNS1_3genE0ELNS1_11target_archE4294967295ELNS1_3gpuE0ELNS1_3repE0EEENS1_30default_config_static_selectorELNS0_4arch9wavefront6targetE1EEEvT1_
	.globl	_ZN7rocprim17ROCPRIM_400000_NS6detail17trampoline_kernelINS0_14default_configENS1_29reduce_by_key_config_selectorIN3c108BFloat16ElN6thrust23THRUST_200600_302600_NS4plusIlEEEEZZNS1_33reduce_by_key_impl_wrapped_configILNS1_25lookback_scan_determinismE0ES3_SB_PS6_NS8_17constant_iteratorIiNS8_11use_defaultESG_EENS8_10device_ptrIS6_EENSI_IlEEPmSA_NS8_8equal_toIS6_EEEE10hipError_tPvRmT2_T3_mT4_T5_T6_T7_T8_P12ihipStream_tbENKUlT_T0_E_clISt17integral_constantIbLb0EES14_IbLb1EEEEDaS10_S11_EUlS10_E_NS1_11comp_targetILNS1_3genE0ELNS1_11target_archE4294967295ELNS1_3gpuE0ELNS1_3repE0EEENS1_30default_config_static_selectorELNS0_4arch9wavefront6targetE1EEEvT1_
	.p2align	8
	.type	_ZN7rocprim17ROCPRIM_400000_NS6detail17trampoline_kernelINS0_14default_configENS1_29reduce_by_key_config_selectorIN3c108BFloat16ElN6thrust23THRUST_200600_302600_NS4plusIlEEEEZZNS1_33reduce_by_key_impl_wrapped_configILNS1_25lookback_scan_determinismE0ES3_SB_PS6_NS8_17constant_iteratorIiNS8_11use_defaultESG_EENS8_10device_ptrIS6_EENSI_IlEEPmSA_NS8_8equal_toIS6_EEEE10hipError_tPvRmT2_T3_mT4_T5_T6_T7_T8_P12ihipStream_tbENKUlT_T0_E_clISt17integral_constantIbLb0EES14_IbLb1EEEEDaS10_S11_EUlS10_E_NS1_11comp_targetILNS1_3genE0ELNS1_11target_archE4294967295ELNS1_3gpuE0ELNS1_3repE0EEENS1_30default_config_static_selectorELNS0_4arch9wavefront6targetE1EEEvT1_,@function
_ZN7rocprim17ROCPRIM_400000_NS6detail17trampoline_kernelINS0_14default_configENS1_29reduce_by_key_config_selectorIN3c108BFloat16ElN6thrust23THRUST_200600_302600_NS4plusIlEEEEZZNS1_33reduce_by_key_impl_wrapped_configILNS1_25lookback_scan_determinismE0ES3_SB_PS6_NS8_17constant_iteratorIiNS8_11use_defaultESG_EENS8_10device_ptrIS6_EENSI_IlEEPmSA_NS8_8equal_toIS6_EEEE10hipError_tPvRmT2_T3_mT4_T5_T6_T7_T8_P12ihipStream_tbENKUlT_T0_E_clISt17integral_constantIbLb0EES14_IbLb1EEEEDaS10_S11_EUlS10_E_NS1_11comp_targetILNS1_3genE0ELNS1_11target_archE4294967295ELNS1_3gpuE0ELNS1_3repE0EEENS1_30default_config_static_selectorELNS0_4arch9wavefront6targetE1EEEvT1_: ; @_ZN7rocprim17ROCPRIM_400000_NS6detail17trampoline_kernelINS0_14default_configENS1_29reduce_by_key_config_selectorIN3c108BFloat16ElN6thrust23THRUST_200600_302600_NS4plusIlEEEEZZNS1_33reduce_by_key_impl_wrapped_configILNS1_25lookback_scan_determinismE0ES3_SB_PS6_NS8_17constant_iteratorIiNS8_11use_defaultESG_EENS8_10device_ptrIS6_EENSI_IlEEPmSA_NS8_8equal_toIS6_EEEE10hipError_tPvRmT2_T3_mT4_T5_T6_T7_T8_P12ihipStream_tbENKUlT_T0_E_clISt17integral_constantIbLb0EES14_IbLb1EEEEDaS10_S11_EUlS10_E_NS1_11comp_targetILNS1_3genE0ELNS1_11target_archE4294967295ELNS1_3gpuE0ELNS1_3repE0EEENS1_30default_config_static_selectorELNS0_4arch9wavefront6targetE1EEEvT1_
; %bb.0:
	.section	.rodata,"a",@progbits
	.p2align	6, 0x0
	.amdhsa_kernel _ZN7rocprim17ROCPRIM_400000_NS6detail17trampoline_kernelINS0_14default_configENS1_29reduce_by_key_config_selectorIN3c108BFloat16ElN6thrust23THRUST_200600_302600_NS4plusIlEEEEZZNS1_33reduce_by_key_impl_wrapped_configILNS1_25lookback_scan_determinismE0ES3_SB_PS6_NS8_17constant_iteratorIiNS8_11use_defaultESG_EENS8_10device_ptrIS6_EENSI_IlEEPmSA_NS8_8equal_toIS6_EEEE10hipError_tPvRmT2_T3_mT4_T5_T6_T7_T8_P12ihipStream_tbENKUlT_T0_E_clISt17integral_constantIbLb0EES14_IbLb1EEEEDaS10_S11_EUlS10_E_NS1_11comp_targetILNS1_3genE0ELNS1_11target_archE4294967295ELNS1_3gpuE0ELNS1_3repE0EEENS1_30default_config_static_selectorELNS0_4arch9wavefront6targetE1EEEvT1_
		.amdhsa_group_segment_fixed_size 0
		.amdhsa_private_segment_fixed_size 0
		.amdhsa_kernarg_size 144
		.amdhsa_user_sgpr_count 6
		.amdhsa_user_sgpr_private_segment_buffer 1
		.amdhsa_user_sgpr_dispatch_ptr 0
		.amdhsa_user_sgpr_queue_ptr 0
		.amdhsa_user_sgpr_kernarg_segment_ptr 1
		.amdhsa_user_sgpr_dispatch_id 0
		.amdhsa_user_sgpr_flat_scratch_init 0
		.amdhsa_user_sgpr_private_segment_size 0
		.amdhsa_uses_dynamic_stack 0
		.amdhsa_system_sgpr_private_segment_wavefront_offset 0
		.amdhsa_system_sgpr_workgroup_id_x 1
		.amdhsa_system_sgpr_workgroup_id_y 0
		.amdhsa_system_sgpr_workgroup_id_z 0
		.amdhsa_system_sgpr_workgroup_info 0
		.amdhsa_system_vgpr_workitem_id 0
		.amdhsa_next_free_vgpr 1
		.amdhsa_next_free_sgpr 0
		.amdhsa_reserve_vcc 0
		.amdhsa_reserve_flat_scratch 0
		.amdhsa_float_round_mode_32 0
		.amdhsa_float_round_mode_16_64 0
		.amdhsa_float_denorm_mode_32 3
		.amdhsa_float_denorm_mode_16_64 3
		.amdhsa_dx10_clamp 1
		.amdhsa_ieee_mode 1
		.amdhsa_fp16_overflow 0
		.amdhsa_exception_fp_ieee_invalid_op 0
		.amdhsa_exception_fp_denorm_src 0
		.amdhsa_exception_fp_ieee_div_zero 0
		.amdhsa_exception_fp_ieee_overflow 0
		.amdhsa_exception_fp_ieee_underflow 0
		.amdhsa_exception_fp_ieee_inexact 0
		.amdhsa_exception_int_div_zero 0
	.end_amdhsa_kernel
	.section	.text._ZN7rocprim17ROCPRIM_400000_NS6detail17trampoline_kernelINS0_14default_configENS1_29reduce_by_key_config_selectorIN3c108BFloat16ElN6thrust23THRUST_200600_302600_NS4plusIlEEEEZZNS1_33reduce_by_key_impl_wrapped_configILNS1_25lookback_scan_determinismE0ES3_SB_PS6_NS8_17constant_iteratorIiNS8_11use_defaultESG_EENS8_10device_ptrIS6_EENSI_IlEEPmSA_NS8_8equal_toIS6_EEEE10hipError_tPvRmT2_T3_mT4_T5_T6_T7_T8_P12ihipStream_tbENKUlT_T0_E_clISt17integral_constantIbLb0EES14_IbLb1EEEEDaS10_S11_EUlS10_E_NS1_11comp_targetILNS1_3genE0ELNS1_11target_archE4294967295ELNS1_3gpuE0ELNS1_3repE0EEENS1_30default_config_static_selectorELNS0_4arch9wavefront6targetE1EEEvT1_,"axG",@progbits,_ZN7rocprim17ROCPRIM_400000_NS6detail17trampoline_kernelINS0_14default_configENS1_29reduce_by_key_config_selectorIN3c108BFloat16ElN6thrust23THRUST_200600_302600_NS4plusIlEEEEZZNS1_33reduce_by_key_impl_wrapped_configILNS1_25lookback_scan_determinismE0ES3_SB_PS6_NS8_17constant_iteratorIiNS8_11use_defaultESG_EENS8_10device_ptrIS6_EENSI_IlEEPmSA_NS8_8equal_toIS6_EEEE10hipError_tPvRmT2_T3_mT4_T5_T6_T7_T8_P12ihipStream_tbENKUlT_T0_E_clISt17integral_constantIbLb0EES14_IbLb1EEEEDaS10_S11_EUlS10_E_NS1_11comp_targetILNS1_3genE0ELNS1_11target_archE4294967295ELNS1_3gpuE0ELNS1_3repE0EEENS1_30default_config_static_selectorELNS0_4arch9wavefront6targetE1EEEvT1_,comdat
.Lfunc_end2079:
	.size	_ZN7rocprim17ROCPRIM_400000_NS6detail17trampoline_kernelINS0_14default_configENS1_29reduce_by_key_config_selectorIN3c108BFloat16ElN6thrust23THRUST_200600_302600_NS4plusIlEEEEZZNS1_33reduce_by_key_impl_wrapped_configILNS1_25lookback_scan_determinismE0ES3_SB_PS6_NS8_17constant_iteratorIiNS8_11use_defaultESG_EENS8_10device_ptrIS6_EENSI_IlEEPmSA_NS8_8equal_toIS6_EEEE10hipError_tPvRmT2_T3_mT4_T5_T6_T7_T8_P12ihipStream_tbENKUlT_T0_E_clISt17integral_constantIbLb0EES14_IbLb1EEEEDaS10_S11_EUlS10_E_NS1_11comp_targetILNS1_3genE0ELNS1_11target_archE4294967295ELNS1_3gpuE0ELNS1_3repE0EEENS1_30default_config_static_selectorELNS0_4arch9wavefront6targetE1EEEvT1_, .Lfunc_end2079-_ZN7rocprim17ROCPRIM_400000_NS6detail17trampoline_kernelINS0_14default_configENS1_29reduce_by_key_config_selectorIN3c108BFloat16ElN6thrust23THRUST_200600_302600_NS4plusIlEEEEZZNS1_33reduce_by_key_impl_wrapped_configILNS1_25lookback_scan_determinismE0ES3_SB_PS6_NS8_17constant_iteratorIiNS8_11use_defaultESG_EENS8_10device_ptrIS6_EENSI_IlEEPmSA_NS8_8equal_toIS6_EEEE10hipError_tPvRmT2_T3_mT4_T5_T6_T7_T8_P12ihipStream_tbENKUlT_T0_E_clISt17integral_constantIbLb0EES14_IbLb1EEEEDaS10_S11_EUlS10_E_NS1_11comp_targetILNS1_3genE0ELNS1_11target_archE4294967295ELNS1_3gpuE0ELNS1_3repE0EEENS1_30default_config_static_selectorELNS0_4arch9wavefront6targetE1EEEvT1_
                                        ; -- End function
	.set _ZN7rocprim17ROCPRIM_400000_NS6detail17trampoline_kernelINS0_14default_configENS1_29reduce_by_key_config_selectorIN3c108BFloat16ElN6thrust23THRUST_200600_302600_NS4plusIlEEEEZZNS1_33reduce_by_key_impl_wrapped_configILNS1_25lookback_scan_determinismE0ES3_SB_PS6_NS8_17constant_iteratorIiNS8_11use_defaultESG_EENS8_10device_ptrIS6_EENSI_IlEEPmSA_NS8_8equal_toIS6_EEEE10hipError_tPvRmT2_T3_mT4_T5_T6_T7_T8_P12ihipStream_tbENKUlT_T0_E_clISt17integral_constantIbLb0EES14_IbLb1EEEEDaS10_S11_EUlS10_E_NS1_11comp_targetILNS1_3genE0ELNS1_11target_archE4294967295ELNS1_3gpuE0ELNS1_3repE0EEENS1_30default_config_static_selectorELNS0_4arch9wavefront6targetE1EEEvT1_.num_vgpr, 0
	.set _ZN7rocprim17ROCPRIM_400000_NS6detail17trampoline_kernelINS0_14default_configENS1_29reduce_by_key_config_selectorIN3c108BFloat16ElN6thrust23THRUST_200600_302600_NS4plusIlEEEEZZNS1_33reduce_by_key_impl_wrapped_configILNS1_25lookback_scan_determinismE0ES3_SB_PS6_NS8_17constant_iteratorIiNS8_11use_defaultESG_EENS8_10device_ptrIS6_EENSI_IlEEPmSA_NS8_8equal_toIS6_EEEE10hipError_tPvRmT2_T3_mT4_T5_T6_T7_T8_P12ihipStream_tbENKUlT_T0_E_clISt17integral_constantIbLb0EES14_IbLb1EEEEDaS10_S11_EUlS10_E_NS1_11comp_targetILNS1_3genE0ELNS1_11target_archE4294967295ELNS1_3gpuE0ELNS1_3repE0EEENS1_30default_config_static_selectorELNS0_4arch9wavefront6targetE1EEEvT1_.num_agpr, 0
	.set _ZN7rocprim17ROCPRIM_400000_NS6detail17trampoline_kernelINS0_14default_configENS1_29reduce_by_key_config_selectorIN3c108BFloat16ElN6thrust23THRUST_200600_302600_NS4plusIlEEEEZZNS1_33reduce_by_key_impl_wrapped_configILNS1_25lookback_scan_determinismE0ES3_SB_PS6_NS8_17constant_iteratorIiNS8_11use_defaultESG_EENS8_10device_ptrIS6_EENSI_IlEEPmSA_NS8_8equal_toIS6_EEEE10hipError_tPvRmT2_T3_mT4_T5_T6_T7_T8_P12ihipStream_tbENKUlT_T0_E_clISt17integral_constantIbLb0EES14_IbLb1EEEEDaS10_S11_EUlS10_E_NS1_11comp_targetILNS1_3genE0ELNS1_11target_archE4294967295ELNS1_3gpuE0ELNS1_3repE0EEENS1_30default_config_static_selectorELNS0_4arch9wavefront6targetE1EEEvT1_.numbered_sgpr, 0
	.set _ZN7rocprim17ROCPRIM_400000_NS6detail17trampoline_kernelINS0_14default_configENS1_29reduce_by_key_config_selectorIN3c108BFloat16ElN6thrust23THRUST_200600_302600_NS4plusIlEEEEZZNS1_33reduce_by_key_impl_wrapped_configILNS1_25lookback_scan_determinismE0ES3_SB_PS6_NS8_17constant_iteratorIiNS8_11use_defaultESG_EENS8_10device_ptrIS6_EENSI_IlEEPmSA_NS8_8equal_toIS6_EEEE10hipError_tPvRmT2_T3_mT4_T5_T6_T7_T8_P12ihipStream_tbENKUlT_T0_E_clISt17integral_constantIbLb0EES14_IbLb1EEEEDaS10_S11_EUlS10_E_NS1_11comp_targetILNS1_3genE0ELNS1_11target_archE4294967295ELNS1_3gpuE0ELNS1_3repE0EEENS1_30default_config_static_selectorELNS0_4arch9wavefront6targetE1EEEvT1_.num_named_barrier, 0
	.set _ZN7rocprim17ROCPRIM_400000_NS6detail17trampoline_kernelINS0_14default_configENS1_29reduce_by_key_config_selectorIN3c108BFloat16ElN6thrust23THRUST_200600_302600_NS4plusIlEEEEZZNS1_33reduce_by_key_impl_wrapped_configILNS1_25lookback_scan_determinismE0ES3_SB_PS6_NS8_17constant_iteratorIiNS8_11use_defaultESG_EENS8_10device_ptrIS6_EENSI_IlEEPmSA_NS8_8equal_toIS6_EEEE10hipError_tPvRmT2_T3_mT4_T5_T6_T7_T8_P12ihipStream_tbENKUlT_T0_E_clISt17integral_constantIbLb0EES14_IbLb1EEEEDaS10_S11_EUlS10_E_NS1_11comp_targetILNS1_3genE0ELNS1_11target_archE4294967295ELNS1_3gpuE0ELNS1_3repE0EEENS1_30default_config_static_selectorELNS0_4arch9wavefront6targetE1EEEvT1_.private_seg_size, 0
	.set _ZN7rocprim17ROCPRIM_400000_NS6detail17trampoline_kernelINS0_14default_configENS1_29reduce_by_key_config_selectorIN3c108BFloat16ElN6thrust23THRUST_200600_302600_NS4plusIlEEEEZZNS1_33reduce_by_key_impl_wrapped_configILNS1_25lookback_scan_determinismE0ES3_SB_PS6_NS8_17constant_iteratorIiNS8_11use_defaultESG_EENS8_10device_ptrIS6_EENSI_IlEEPmSA_NS8_8equal_toIS6_EEEE10hipError_tPvRmT2_T3_mT4_T5_T6_T7_T8_P12ihipStream_tbENKUlT_T0_E_clISt17integral_constantIbLb0EES14_IbLb1EEEEDaS10_S11_EUlS10_E_NS1_11comp_targetILNS1_3genE0ELNS1_11target_archE4294967295ELNS1_3gpuE0ELNS1_3repE0EEENS1_30default_config_static_selectorELNS0_4arch9wavefront6targetE1EEEvT1_.uses_vcc, 0
	.set _ZN7rocprim17ROCPRIM_400000_NS6detail17trampoline_kernelINS0_14default_configENS1_29reduce_by_key_config_selectorIN3c108BFloat16ElN6thrust23THRUST_200600_302600_NS4plusIlEEEEZZNS1_33reduce_by_key_impl_wrapped_configILNS1_25lookback_scan_determinismE0ES3_SB_PS6_NS8_17constant_iteratorIiNS8_11use_defaultESG_EENS8_10device_ptrIS6_EENSI_IlEEPmSA_NS8_8equal_toIS6_EEEE10hipError_tPvRmT2_T3_mT4_T5_T6_T7_T8_P12ihipStream_tbENKUlT_T0_E_clISt17integral_constantIbLb0EES14_IbLb1EEEEDaS10_S11_EUlS10_E_NS1_11comp_targetILNS1_3genE0ELNS1_11target_archE4294967295ELNS1_3gpuE0ELNS1_3repE0EEENS1_30default_config_static_selectorELNS0_4arch9wavefront6targetE1EEEvT1_.uses_flat_scratch, 0
	.set _ZN7rocprim17ROCPRIM_400000_NS6detail17trampoline_kernelINS0_14default_configENS1_29reduce_by_key_config_selectorIN3c108BFloat16ElN6thrust23THRUST_200600_302600_NS4plusIlEEEEZZNS1_33reduce_by_key_impl_wrapped_configILNS1_25lookback_scan_determinismE0ES3_SB_PS6_NS8_17constant_iteratorIiNS8_11use_defaultESG_EENS8_10device_ptrIS6_EENSI_IlEEPmSA_NS8_8equal_toIS6_EEEE10hipError_tPvRmT2_T3_mT4_T5_T6_T7_T8_P12ihipStream_tbENKUlT_T0_E_clISt17integral_constantIbLb0EES14_IbLb1EEEEDaS10_S11_EUlS10_E_NS1_11comp_targetILNS1_3genE0ELNS1_11target_archE4294967295ELNS1_3gpuE0ELNS1_3repE0EEENS1_30default_config_static_selectorELNS0_4arch9wavefront6targetE1EEEvT1_.has_dyn_sized_stack, 0
	.set _ZN7rocprim17ROCPRIM_400000_NS6detail17trampoline_kernelINS0_14default_configENS1_29reduce_by_key_config_selectorIN3c108BFloat16ElN6thrust23THRUST_200600_302600_NS4plusIlEEEEZZNS1_33reduce_by_key_impl_wrapped_configILNS1_25lookback_scan_determinismE0ES3_SB_PS6_NS8_17constant_iteratorIiNS8_11use_defaultESG_EENS8_10device_ptrIS6_EENSI_IlEEPmSA_NS8_8equal_toIS6_EEEE10hipError_tPvRmT2_T3_mT4_T5_T6_T7_T8_P12ihipStream_tbENKUlT_T0_E_clISt17integral_constantIbLb0EES14_IbLb1EEEEDaS10_S11_EUlS10_E_NS1_11comp_targetILNS1_3genE0ELNS1_11target_archE4294967295ELNS1_3gpuE0ELNS1_3repE0EEENS1_30default_config_static_selectorELNS0_4arch9wavefront6targetE1EEEvT1_.has_recursion, 0
	.set _ZN7rocprim17ROCPRIM_400000_NS6detail17trampoline_kernelINS0_14default_configENS1_29reduce_by_key_config_selectorIN3c108BFloat16ElN6thrust23THRUST_200600_302600_NS4plusIlEEEEZZNS1_33reduce_by_key_impl_wrapped_configILNS1_25lookback_scan_determinismE0ES3_SB_PS6_NS8_17constant_iteratorIiNS8_11use_defaultESG_EENS8_10device_ptrIS6_EENSI_IlEEPmSA_NS8_8equal_toIS6_EEEE10hipError_tPvRmT2_T3_mT4_T5_T6_T7_T8_P12ihipStream_tbENKUlT_T0_E_clISt17integral_constantIbLb0EES14_IbLb1EEEEDaS10_S11_EUlS10_E_NS1_11comp_targetILNS1_3genE0ELNS1_11target_archE4294967295ELNS1_3gpuE0ELNS1_3repE0EEENS1_30default_config_static_selectorELNS0_4arch9wavefront6targetE1EEEvT1_.has_indirect_call, 0
	.section	.AMDGPU.csdata,"",@progbits
; Kernel info:
; codeLenInByte = 0
; TotalNumSgprs: 4
; NumVgprs: 0
; ScratchSize: 0
; MemoryBound: 0
; FloatMode: 240
; IeeeMode: 1
; LDSByteSize: 0 bytes/workgroup (compile time only)
; SGPRBlocks: 0
; VGPRBlocks: 0
; NumSGPRsForWavesPerEU: 4
; NumVGPRsForWavesPerEU: 1
; Occupancy: 10
; WaveLimiterHint : 0
; COMPUTE_PGM_RSRC2:SCRATCH_EN: 0
; COMPUTE_PGM_RSRC2:USER_SGPR: 6
; COMPUTE_PGM_RSRC2:TRAP_HANDLER: 0
; COMPUTE_PGM_RSRC2:TGID_X_EN: 1
; COMPUTE_PGM_RSRC2:TGID_Y_EN: 0
; COMPUTE_PGM_RSRC2:TGID_Z_EN: 0
; COMPUTE_PGM_RSRC2:TIDIG_COMP_CNT: 0
	.section	.text._ZN7rocprim17ROCPRIM_400000_NS6detail17trampoline_kernelINS0_14default_configENS1_29reduce_by_key_config_selectorIN3c108BFloat16ElN6thrust23THRUST_200600_302600_NS4plusIlEEEEZZNS1_33reduce_by_key_impl_wrapped_configILNS1_25lookback_scan_determinismE0ES3_SB_PS6_NS8_17constant_iteratorIiNS8_11use_defaultESG_EENS8_10device_ptrIS6_EENSI_IlEEPmSA_NS8_8equal_toIS6_EEEE10hipError_tPvRmT2_T3_mT4_T5_T6_T7_T8_P12ihipStream_tbENKUlT_T0_E_clISt17integral_constantIbLb0EES14_IbLb1EEEEDaS10_S11_EUlS10_E_NS1_11comp_targetILNS1_3genE5ELNS1_11target_archE942ELNS1_3gpuE9ELNS1_3repE0EEENS1_30default_config_static_selectorELNS0_4arch9wavefront6targetE1EEEvT1_,"axG",@progbits,_ZN7rocprim17ROCPRIM_400000_NS6detail17trampoline_kernelINS0_14default_configENS1_29reduce_by_key_config_selectorIN3c108BFloat16ElN6thrust23THRUST_200600_302600_NS4plusIlEEEEZZNS1_33reduce_by_key_impl_wrapped_configILNS1_25lookback_scan_determinismE0ES3_SB_PS6_NS8_17constant_iteratorIiNS8_11use_defaultESG_EENS8_10device_ptrIS6_EENSI_IlEEPmSA_NS8_8equal_toIS6_EEEE10hipError_tPvRmT2_T3_mT4_T5_T6_T7_T8_P12ihipStream_tbENKUlT_T0_E_clISt17integral_constantIbLb0EES14_IbLb1EEEEDaS10_S11_EUlS10_E_NS1_11comp_targetILNS1_3genE5ELNS1_11target_archE942ELNS1_3gpuE9ELNS1_3repE0EEENS1_30default_config_static_selectorELNS0_4arch9wavefront6targetE1EEEvT1_,comdat
	.protected	_ZN7rocprim17ROCPRIM_400000_NS6detail17trampoline_kernelINS0_14default_configENS1_29reduce_by_key_config_selectorIN3c108BFloat16ElN6thrust23THRUST_200600_302600_NS4plusIlEEEEZZNS1_33reduce_by_key_impl_wrapped_configILNS1_25lookback_scan_determinismE0ES3_SB_PS6_NS8_17constant_iteratorIiNS8_11use_defaultESG_EENS8_10device_ptrIS6_EENSI_IlEEPmSA_NS8_8equal_toIS6_EEEE10hipError_tPvRmT2_T3_mT4_T5_T6_T7_T8_P12ihipStream_tbENKUlT_T0_E_clISt17integral_constantIbLb0EES14_IbLb1EEEEDaS10_S11_EUlS10_E_NS1_11comp_targetILNS1_3genE5ELNS1_11target_archE942ELNS1_3gpuE9ELNS1_3repE0EEENS1_30default_config_static_selectorELNS0_4arch9wavefront6targetE1EEEvT1_ ; -- Begin function _ZN7rocprim17ROCPRIM_400000_NS6detail17trampoline_kernelINS0_14default_configENS1_29reduce_by_key_config_selectorIN3c108BFloat16ElN6thrust23THRUST_200600_302600_NS4plusIlEEEEZZNS1_33reduce_by_key_impl_wrapped_configILNS1_25lookback_scan_determinismE0ES3_SB_PS6_NS8_17constant_iteratorIiNS8_11use_defaultESG_EENS8_10device_ptrIS6_EENSI_IlEEPmSA_NS8_8equal_toIS6_EEEE10hipError_tPvRmT2_T3_mT4_T5_T6_T7_T8_P12ihipStream_tbENKUlT_T0_E_clISt17integral_constantIbLb0EES14_IbLb1EEEEDaS10_S11_EUlS10_E_NS1_11comp_targetILNS1_3genE5ELNS1_11target_archE942ELNS1_3gpuE9ELNS1_3repE0EEENS1_30default_config_static_selectorELNS0_4arch9wavefront6targetE1EEEvT1_
	.globl	_ZN7rocprim17ROCPRIM_400000_NS6detail17trampoline_kernelINS0_14default_configENS1_29reduce_by_key_config_selectorIN3c108BFloat16ElN6thrust23THRUST_200600_302600_NS4plusIlEEEEZZNS1_33reduce_by_key_impl_wrapped_configILNS1_25lookback_scan_determinismE0ES3_SB_PS6_NS8_17constant_iteratorIiNS8_11use_defaultESG_EENS8_10device_ptrIS6_EENSI_IlEEPmSA_NS8_8equal_toIS6_EEEE10hipError_tPvRmT2_T3_mT4_T5_T6_T7_T8_P12ihipStream_tbENKUlT_T0_E_clISt17integral_constantIbLb0EES14_IbLb1EEEEDaS10_S11_EUlS10_E_NS1_11comp_targetILNS1_3genE5ELNS1_11target_archE942ELNS1_3gpuE9ELNS1_3repE0EEENS1_30default_config_static_selectorELNS0_4arch9wavefront6targetE1EEEvT1_
	.p2align	8
	.type	_ZN7rocprim17ROCPRIM_400000_NS6detail17trampoline_kernelINS0_14default_configENS1_29reduce_by_key_config_selectorIN3c108BFloat16ElN6thrust23THRUST_200600_302600_NS4plusIlEEEEZZNS1_33reduce_by_key_impl_wrapped_configILNS1_25lookback_scan_determinismE0ES3_SB_PS6_NS8_17constant_iteratorIiNS8_11use_defaultESG_EENS8_10device_ptrIS6_EENSI_IlEEPmSA_NS8_8equal_toIS6_EEEE10hipError_tPvRmT2_T3_mT4_T5_T6_T7_T8_P12ihipStream_tbENKUlT_T0_E_clISt17integral_constantIbLb0EES14_IbLb1EEEEDaS10_S11_EUlS10_E_NS1_11comp_targetILNS1_3genE5ELNS1_11target_archE942ELNS1_3gpuE9ELNS1_3repE0EEENS1_30default_config_static_selectorELNS0_4arch9wavefront6targetE1EEEvT1_,@function
_ZN7rocprim17ROCPRIM_400000_NS6detail17trampoline_kernelINS0_14default_configENS1_29reduce_by_key_config_selectorIN3c108BFloat16ElN6thrust23THRUST_200600_302600_NS4plusIlEEEEZZNS1_33reduce_by_key_impl_wrapped_configILNS1_25lookback_scan_determinismE0ES3_SB_PS6_NS8_17constant_iteratorIiNS8_11use_defaultESG_EENS8_10device_ptrIS6_EENSI_IlEEPmSA_NS8_8equal_toIS6_EEEE10hipError_tPvRmT2_T3_mT4_T5_T6_T7_T8_P12ihipStream_tbENKUlT_T0_E_clISt17integral_constantIbLb0EES14_IbLb1EEEEDaS10_S11_EUlS10_E_NS1_11comp_targetILNS1_3genE5ELNS1_11target_archE942ELNS1_3gpuE9ELNS1_3repE0EEENS1_30default_config_static_selectorELNS0_4arch9wavefront6targetE1EEEvT1_: ; @_ZN7rocprim17ROCPRIM_400000_NS6detail17trampoline_kernelINS0_14default_configENS1_29reduce_by_key_config_selectorIN3c108BFloat16ElN6thrust23THRUST_200600_302600_NS4plusIlEEEEZZNS1_33reduce_by_key_impl_wrapped_configILNS1_25lookback_scan_determinismE0ES3_SB_PS6_NS8_17constant_iteratorIiNS8_11use_defaultESG_EENS8_10device_ptrIS6_EENSI_IlEEPmSA_NS8_8equal_toIS6_EEEE10hipError_tPvRmT2_T3_mT4_T5_T6_T7_T8_P12ihipStream_tbENKUlT_T0_E_clISt17integral_constantIbLb0EES14_IbLb1EEEEDaS10_S11_EUlS10_E_NS1_11comp_targetILNS1_3genE5ELNS1_11target_archE942ELNS1_3gpuE9ELNS1_3repE0EEENS1_30default_config_static_selectorELNS0_4arch9wavefront6targetE1EEEvT1_
; %bb.0:
	.section	.rodata,"a",@progbits
	.p2align	6, 0x0
	.amdhsa_kernel _ZN7rocprim17ROCPRIM_400000_NS6detail17trampoline_kernelINS0_14default_configENS1_29reduce_by_key_config_selectorIN3c108BFloat16ElN6thrust23THRUST_200600_302600_NS4plusIlEEEEZZNS1_33reduce_by_key_impl_wrapped_configILNS1_25lookback_scan_determinismE0ES3_SB_PS6_NS8_17constant_iteratorIiNS8_11use_defaultESG_EENS8_10device_ptrIS6_EENSI_IlEEPmSA_NS8_8equal_toIS6_EEEE10hipError_tPvRmT2_T3_mT4_T5_T6_T7_T8_P12ihipStream_tbENKUlT_T0_E_clISt17integral_constantIbLb0EES14_IbLb1EEEEDaS10_S11_EUlS10_E_NS1_11comp_targetILNS1_3genE5ELNS1_11target_archE942ELNS1_3gpuE9ELNS1_3repE0EEENS1_30default_config_static_selectorELNS0_4arch9wavefront6targetE1EEEvT1_
		.amdhsa_group_segment_fixed_size 0
		.amdhsa_private_segment_fixed_size 0
		.amdhsa_kernarg_size 144
		.amdhsa_user_sgpr_count 6
		.amdhsa_user_sgpr_private_segment_buffer 1
		.amdhsa_user_sgpr_dispatch_ptr 0
		.amdhsa_user_sgpr_queue_ptr 0
		.amdhsa_user_sgpr_kernarg_segment_ptr 1
		.amdhsa_user_sgpr_dispatch_id 0
		.amdhsa_user_sgpr_flat_scratch_init 0
		.amdhsa_user_sgpr_private_segment_size 0
		.amdhsa_uses_dynamic_stack 0
		.amdhsa_system_sgpr_private_segment_wavefront_offset 0
		.amdhsa_system_sgpr_workgroup_id_x 1
		.amdhsa_system_sgpr_workgroup_id_y 0
		.amdhsa_system_sgpr_workgroup_id_z 0
		.amdhsa_system_sgpr_workgroup_info 0
		.amdhsa_system_vgpr_workitem_id 0
		.amdhsa_next_free_vgpr 1
		.amdhsa_next_free_sgpr 0
		.amdhsa_reserve_vcc 0
		.amdhsa_reserve_flat_scratch 0
		.amdhsa_float_round_mode_32 0
		.amdhsa_float_round_mode_16_64 0
		.amdhsa_float_denorm_mode_32 3
		.amdhsa_float_denorm_mode_16_64 3
		.amdhsa_dx10_clamp 1
		.amdhsa_ieee_mode 1
		.amdhsa_fp16_overflow 0
		.amdhsa_exception_fp_ieee_invalid_op 0
		.amdhsa_exception_fp_denorm_src 0
		.amdhsa_exception_fp_ieee_div_zero 0
		.amdhsa_exception_fp_ieee_overflow 0
		.amdhsa_exception_fp_ieee_underflow 0
		.amdhsa_exception_fp_ieee_inexact 0
		.amdhsa_exception_int_div_zero 0
	.end_amdhsa_kernel
	.section	.text._ZN7rocprim17ROCPRIM_400000_NS6detail17trampoline_kernelINS0_14default_configENS1_29reduce_by_key_config_selectorIN3c108BFloat16ElN6thrust23THRUST_200600_302600_NS4plusIlEEEEZZNS1_33reduce_by_key_impl_wrapped_configILNS1_25lookback_scan_determinismE0ES3_SB_PS6_NS8_17constant_iteratorIiNS8_11use_defaultESG_EENS8_10device_ptrIS6_EENSI_IlEEPmSA_NS8_8equal_toIS6_EEEE10hipError_tPvRmT2_T3_mT4_T5_T6_T7_T8_P12ihipStream_tbENKUlT_T0_E_clISt17integral_constantIbLb0EES14_IbLb1EEEEDaS10_S11_EUlS10_E_NS1_11comp_targetILNS1_3genE5ELNS1_11target_archE942ELNS1_3gpuE9ELNS1_3repE0EEENS1_30default_config_static_selectorELNS0_4arch9wavefront6targetE1EEEvT1_,"axG",@progbits,_ZN7rocprim17ROCPRIM_400000_NS6detail17trampoline_kernelINS0_14default_configENS1_29reduce_by_key_config_selectorIN3c108BFloat16ElN6thrust23THRUST_200600_302600_NS4plusIlEEEEZZNS1_33reduce_by_key_impl_wrapped_configILNS1_25lookback_scan_determinismE0ES3_SB_PS6_NS8_17constant_iteratorIiNS8_11use_defaultESG_EENS8_10device_ptrIS6_EENSI_IlEEPmSA_NS8_8equal_toIS6_EEEE10hipError_tPvRmT2_T3_mT4_T5_T6_T7_T8_P12ihipStream_tbENKUlT_T0_E_clISt17integral_constantIbLb0EES14_IbLb1EEEEDaS10_S11_EUlS10_E_NS1_11comp_targetILNS1_3genE5ELNS1_11target_archE942ELNS1_3gpuE9ELNS1_3repE0EEENS1_30default_config_static_selectorELNS0_4arch9wavefront6targetE1EEEvT1_,comdat
.Lfunc_end2080:
	.size	_ZN7rocprim17ROCPRIM_400000_NS6detail17trampoline_kernelINS0_14default_configENS1_29reduce_by_key_config_selectorIN3c108BFloat16ElN6thrust23THRUST_200600_302600_NS4plusIlEEEEZZNS1_33reduce_by_key_impl_wrapped_configILNS1_25lookback_scan_determinismE0ES3_SB_PS6_NS8_17constant_iteratorIiNS8_11use_defaultESG_EENS8_10device_ptrIS6_EENSI_IlEEPmSA_NS8_8equal_toIS6_EEEE10hipError_tPvRmT2_T3_mT4_T5_T6_T7_T8_P12ihipStream_tbENKUlT_T0_E_clISt17integral_constantIbLb0EES14_IbLb1EEEEDaS10_S11_EUlS10_E_NS1_11comp_targetILNS1_3genE5ELNS1_11target_archE942ELNS1_3gpuE9ELNS1_3repE0EEENS1_30default_config_static_selectorELNS0_4arch9wavefront6targetE1EEEvT1_, .Lfunc_end2080-_ZN7rocprim17ROCPRIM_400000_NS6detail17trampoline_kernelINS0_14default_configENS1_29reduce_by_key_config_selectorIN3c108BFloat16ElN6thrust23THRUST_200600_302600_NS4plusIlEEEEZZNS1_33reduce_by_key_impl_wrapped_configILNS1_25lookback_scan_determinismE0ES3_SB_PS6_NS8_17constant_iteratorIiNS8_11use_defaultESG_EENS8_10device_ptrIS6_EENSI_IlEEPmSA_NS8_8equal_toIS6_EEEE10hipError_tPvRmT2_T3_mT4_T5_T6_T7_T8_P12ihipStream_tbENKUlT_T0_E_clISt17integral_constantIbLb0EES14_IbLb1EEEEDaS10_S11_EUlS10_E_NS1_11comp_targetILNS1_3genE5ELNS1_11target_archE942ELNS1_3gpuE9ELNS1_3repE0EEENS1_30default_config_static_selectorELNS0_4arch9wavefront6targetE1EEEvT1_
                                        ; -- End function
	.set _ZN7rocprim17ROCPRIM_400000_NS6detail17trampoline_kernelINS0_14default_configENS1_29reduce_by_key_config_selectorIN3c108BFloat16ElN6thrust23THRUST_200600_302600_NS4plusIlEEEEZZNS1_33reduce_by_key_impl_wrapped_configILNS1_25lookback_scan_determinismE0ES3_SB_PS6_NS8_17constant_iteratorIiNS8_11use_defaultESG_EENS8_10device_ptrIS6_EENSI_IlEEPmSA_NS8_8equal_toIS6_EEEE10hipError_tPvRmT2_T3_mT4_T5_T6_T7_T8_P12ihipStream_tbENKUlT_T0_E_clISt17integral_constantIbLb0EES14_IbLb1EEEEDaS10_S11_EUlS10_E_NS1_11comp_targetILNS1_3genE5ELNS1_11target_archE942ELNS1_3gpuE9ELNS1_3repE0EEENS1_30default_config_static_selectorELNS0_4arch9wavefront6targetE1EEEvT1_.num_vgpr, 0
	.set _ZN7rocprim17ROCPRIM_400000_NS6detail17trampoline_kernelINS0_14default_configENS1_29reduce_by_key_config_selectorIN3c108BFloat16ElN6thrust23THRUST_200600_302600_NS4plusIlEEEEZZNS1_33reduce_by_key_impl_wrapped_configILNS1_25lookback_scan_determinismE0ES3_SB_PS6_NS8_17constant_iteratorIiNS8_11use_defaultESG_EENS8_10device_ptrIS6_EENSI_IlEEPmSA_NS8_8equal_toIS6_EEEE10hipError_tPvRmT2_T3_mT4_T5_T6_T7_T8_P12ihipStream_tbENKUlT_T0_E_clISt17integral_constantIbLb0EES14_IbLb1EEEEDaS10_S11_EUlS10_E_NS1_11comp_targetILNS1_3genE5ELNS1_11target_archE942ELNS1_3gpuE9ELNS1_3repE0EEENS1_30default_config_static_selectorELNS0_4arch9wavefront6targetE1EEEvT1_.num_agpr, 0
	.set _ZN7rocprim17ROCPRIM_400000_NS6detail17trampoline_kernelINS0_14default_configENS1_29reduce_by_key_config_selectorIN3c108BFloat16ElN6thrust23THRUST_200600_302600_NS4plusIlEEEEZZNS1_33reduce_by_key_impl_wrapped_configILNS1_25lookback_scan_determinismE0ES3_SB_PS6_NS8_17constant_iteratorIiNS8_11use_defaultESG_EENS8_10device_ptrIS6_EENSI_IlEEPmSA_NS8_8equal_toIS6_EEEE10hipError_tPvRmT2_T3_mT4_T5_T6_T7_T8_P12ihipStream_tbENKUlT_T0_E_clISt17integral_constantIbLb0EES14_IbLb1EEEEDaS10_S11_EUlS10_E_NS1_11comp_targetILNS1_3genE5ELNS1_11target_archE942ELNS1_3gpuE9ELNS1_3repE0EEENS1_30default_config_static_selectorELNS0_4arch9wavefront6targetE1EEEvT1_.numbered_sgpr, 0
	.set _ZN7rocprim17ROCPRIM_400000_NS6detail17trampoline_kernelINS0_14default_configENS1_29reduce_by_key_config_selectorIN3c108BFloat16ElN6thrust23THRUST_200600_302600_NS4plusIlEEEEZZNS1_33reduce_by_key_impl_wrapped_configILNS1_25lookback_scan_determinismE0ES3_SB_PS6_NS8_17constant_iteratorIiNS8_11use_defaultESG_EENS8_10device_ptrIS6_EENSI_IlEEPmSA_NS8_8equal_toIS6_EEEE10hipError_tPvRmT2_T3_mT4_T5_T6_T7_T8_P12ihipStream_tbENKUlT_T0_E_clISt17integral_constantIbLb0EES14_IbLb1EEEEDaS10_S11_EUlS10_E_NS1_11comp_targetILNS1_3genE5ELNS1_11target_archE942ELNS1_3gpuE9ELNS1_3repE0EEENS1_30default_config_static_selectorELNS0_4arch9wavefront6targetE1EEEvT1_.num_named_barrier, 0
	.set _ZN7rocprim17ROCPRIM_400000_NS6detail17trampoline_kernelINS0_14default_configENS1_29reduce_by_key_config_selectorIN3c108BFloat16ElN6thrust23THRUST_200600_302600_NS4plusIlEEEEZZNS1_33reduce_by_key_impl_wrapped_configILNS1_25lookback_scan_determinismE0ES3_SB_PS6_NS8_17constant_iteratorIiNS8_11use_defaultESG_EENS8_10device_ptrIS6_EENSI_IlEEPmSA_NS8_8equal_toIS6_EEEE10hipError_tPvRmT2_T3_mT4_T5_T6_T7_T8_P12ihipStream_tbENKUlT_T0_E_clISt17integral_constantIbLb0EES14_IbLb1EEEEDaS10_S11_EUlS10_E_NS1_11comp_targetILNS1_3genE5ELNS1_11target_archE942ELNS1_3gpuE9ELNS1_3repE0EEENS1_30default_config_static_selectorELNS0_4arch9wavefront6targetE1EEEvT1_.private_seg_size, 0
	.set _ZN7rocprim17ROCPRIM_400000_NS6detail17trampoline_kernelINS0_14default_configENS1_29reduce_by_key_config_selectorIN3c108BFloat16ElN6thrust23THRUST_200600_302600_NS4plusIlEEEEZZNS1_33reduce_by_key_impl_wrapped_configILNS1_25lookback_scan_determinismE0ES3_SB_PS6_NS8_17constant_iteratorIiNS8_11use_defaultESG_EENS8_10device_ptrIS6_EENSI_IlEEPmSA_NS8_8equal_toIS6_EEEE10hipError_tPvRmT2_T3_mT4_T5_T6_T7_T8_P12ihipStream_tbENKUlT_T0_E_clISt17integral_constantIbLb0EES14_IbLb1EEEEDaS10_S11_EUlS10_E_NS1_11comp_targetILNS1_3genE5ELNS1_11target_archE942ELNS1_3gpuE9ELNS1_3repE0EEENS1_30default_config_static_selectorELNS0_4arch9wavefront6targetE1EEEvT1_.uses_vcc, 0
	.set _ZN7rocprim17ROCPRIM_400000_NS6detail17trampoline_kernelINS0_14default_configENS1_29reduce_by_key_config_selectorIN3c108BFloat16ElN6thrust23THRUST_200600_302600_NS4plusIlEEEEZZNS1_33reduce_by_key_impl_wrapped_configILNS1_25lookback_scan_determinismE0ES3_SB_PS6_NS8_17constant_iteratorIiNS8_11use_defaultESG_EENS8_10device_ptrIS6_EENSI_IlEEPmSA_NS8_8equal_toIS6_EEEE10hipError_tPvRmT2_T3_mT4_T5_T6_T7_T8_P12ihipStream_tbENKUlT_T0_E_clISt17integral_constantIbLb0EES14_IbLb1EEEEDaS10_S11_EUlS10_E_NS1_11comp_targetILNS1_3genE5ELNS1_11target_archE942ELNS1_3gpuE9ELNS1_3repE0EEENS1_30default_config_static_selectorELNS0_4arch9wavefront6targetE1EEEvT1_.uses_flat_scratch, 0
	.set _ZN7rocprim17ROCPRIM_400000_NS6detail17trampoline_kernelINS0_14default_configENS1_29reduce_by_key_config_selectorIN3c108BFloat16ElN6thrust23THRUST_200600_302600_NS4plusIlEEEEZZNS1_33reduce_by_key_impl_wrapped_configILNS1_25lookback_scan_determinismE0ES3_SB_PS6_NS8_17constant_iteratorIiNS8_11use_defaultESG_EENS8_10device_ptrIS6_EENSI_IlEEPmSA_NS8_8equal_toIS6_EEEE10hipError_tPvRmT2_T3_mT4_T5_T6_T7_T8_P12ihipStream_tbENKUlT_T0_E_clISt17integral_constantIbLb0EES14_IbLb1EEEEDaS10_S11_EUlS10_E_NS1_11comp_targetILNS1_3genE5ELNS1_11target_archE942ELNS1_3gpuE9ELNS1_3repE0EEENS1_30default_config_static_selectorELNS0_4arch9wavefront6targetE1EEEvT1_.has_dyn_sized_stack, 0
	.set _ZN7rocprim17ROCPRIM_400000_NS6detail17trampoline_kernelINS0_14default_configENS1_29reduce_by_key_config_selectorIN3c108BFloat16ElN6thrust23THRUST_200600_302600_NS4plusIlEEEEZZNS1_33reduce_by_key_impl_wrapped_configILNS1_25lookback_scan_determinismE0ES3_SB_PS6_NS8_17constant_iteratorIiNS8_11use_defaultESG_EENS8_10device_ptrIS6_EENSI_IlEEPmSA_NS8_8equal_toIS6_EEEE10hipError_tPvRmT2_T3_mT4_T5_T6_T7_T8_P12ihipStream_tbENKUlT_T0_E_clISt17integral_constantIbLb0EES14_IbLb1EEEEDaS10_S11_EUlS10_E_NS1_11comp_targetILNS1_3genE5ELNS1_11target_archE942ELNS1_3gpuE9ELNS1_3repE0EEENS1_30default_config_static_selectorELNS0_4arch9wavefront6targetE1EEEvT1_.has_recursion, 0
	.set _ZN7rocprim17ROCPRIM_400000_NS6detail17trampoline_kernelINS0_14default_configENS1_29reduce_by_key_config_selectorIN3c108BFloat16ElN6thrust23THRUST_200600_302600_NS4plusIlEEEEZZNS1_33reduce_by_key_impl_wrapped_configILNS1_25lookback_scan_determinismE0ES3_SB_PS6_NS8_17constant_iteratorIiNS8_11use_defaultESG_EENS8_10device_ptrIS6_EENSI_IlEEPmSA_NS8_8equal_toIS6_EEEE10hipError_tPvRmT2_T3_mT4_T5_T6_T7_T8_P12ihipStream_tbENKUlT_T0_E_clISt17integral_constantIbLb0EES14_IbLb1EEEEDaS10_S11_EUlS10_E_NS1_11comp_targetILNS1_3genE5ELNS1_11target_archE942ELNS1_3gpuE9ELNS1_3repE0EEENS1_30default_config_static_selectorELNS0_4arch9wavefront6targetE1EEEvT1_.has_indirect_call, 0
	.section	.AMDGPU.csdata,"",@progbits
; Kernel info:
; codeLenInByte = 0
; TotalNumSgprs: 4
; NumVgprs: 0
; ScratchSize: 0
; MemoryBound: 0
; FloatMode: 240
; IeeeMode: 1
; LDSByteSize: 0 bytes/workgroup (compile time only)
; SGPRBlocks: 0
; VGPRBlocks: 0
; NumSGPRsForWavesPerEU: 4
; NumVGPRsForWavesPerEU: 1
; Occupancy: 10
; WaveLimiterHint : 0
; COMPUTE_PGM_RSRC2:SCRATCH_EN: 0
; COMPUTE_PGM_RSRC2:USER_SGPR: 6
; COMPUTE_PGM_RSRC2:TRAP_HANDLER: 0
; COMPUTE_PGM_RSRC2:TGID_X_EN: 1
; COMPUTE_PGM_RSRC2:TGID_Y_EN: 0
; COMPUTE_PGM_RSRC2:TGID_Z_EN: 0
; COMPUTE_PGM_RSRC2:TIDIG_COMP_CNT: 0
	.section	.text._ZN7rocprim17ROCPRIM_400000_NS6detail17trampoline_kernelINS0_14default_configENS1_29reduce_by_key_config_selectorIN3c108BFloat16ElN6thrust23THRUST_200600_302600_NS4plusIlEEEEZZNS1_33reduce_by_key_impl_wrapped_configILNS1_25lookback_scan_determinismE0ES3_SB_PS6_NS8_17constant_iteratorIiNS8_11use_defaultESG_EENS8_10device_ptrIS6_EENSI_IlEEPmSA_NS8_8equal_toIS6_EEEE10hipError_tPvRmT2_T3_mT4_T5_T6_T7_T8_P12ihipStream_tbENKUlT_T0_E_clISt17integral_constantIbLb0EES14_IbLb1EEEEDaS10_S11_EUlS10_E_NS1_11comp_targetILNS1_3genE4ELNS1_11target_archE910ELNS1_3gpuE8ELNS1_3repE0EEENS1_30default_config_static_selectorELNS0_4arch9wavefront6targetE1EEEvT1_,"axG",@progbits,_ZN7rocprim17ROCPRIM_400000_NS6detail17trampoline_kernelINS0_14default_configENS1_29reduce_by_key_config_selectorIN3c108BFloat16ElN6thrust23THRUST_200600_302600_NS4plusIlEEEEZZNS1_33reduce_by_key_impl_wrapped_configILNS1_25lookback_scan_determinismE0ES3_SB_PS6_NS8_17constant_iteratorIiNS8_11use_defaultESG_EENS8_10device_ptrIS6_EENSI_IlEEPmSA_NS8_8equal_toIS6_EEEE10hipError_tPvRmT2_T3_mT4_T5_T6_T7_T8_P12ihipStream_tbENKUlT_T0_E_clISt17integral_constantIbLb0EES14_IbLb1EEEEDaS10_S11_EUlS10_E_NS1_11comp_targetILNS1_3genE4ELNS1_11target_archE910ELNS1_3gpuE8ELNS1_3repE0EEENS1_30default_config_static_selectorELNS0_4arch9wavefront6targetE1EEEvT1_,comdat
	.protected	_ZN7rocprim17ROCPRIM_400000_NS6detail17trampoline_kernelINS0_14default_configENS1_29reduce_by_key_config_selectorIN3c108BFloat16ElN6thrust23THRUST_200600_302600_NS4plusIlEEEEZZNS1_33reduce_by_key_impl_wrapped_configILNS1_25lookback_scan_determinismE0ES3_SB_PS6_NS8_17constant_iteratorIiNS8_11use_defaultESG_EENS8_10device_ptrIS6_EENSI_IlEEPmSA_NS8_8equal_toIS6_EEEE10hipError_tPvRmT2_T3_mT4_T5_T6_T7_T8_P12ihipStream_tbENKUlT_T0_E_clISt17integral_constantIbLb0EES14_IbLb1EEEEDaS10_S11_EUlS10_E_NS1_11comp_targetILNS1_3genE4ELNS1_11target_archE910ELNS1_3gpuE8ELNS1_3repE0EEENS1_30default_config_static_selectorELNS0_4arch9wavefront6targetE1EEEvT1_ ; -- Begin function _ZN7rocprim17ROCPRIM_400000_NS6detail17trampoline_kernelINS0_14default_configENS1_29reduce_by_key_config_selectorIN3c108BFloat16ElN6thrust23THRUST_200600_302600_NS4plusIlEEEEZZNS1_33reduce_by_key_impl_wrapped_configILNS1_25lookback_scan_determinismE0ES3_SB_PS6_NS8_17constant_iteratorIiNS8_11use_defaultESG_EENS8_10device_ptrIS6_EENSI_IlEEPmSA_NS8_8equal_toIS6_EEEE10hipError_tPvRmT2_T3_mT4_T5_T6_T7_T8_P12ihipStream_tbENKUlT_T0_E_clISt17integral_constantIbLb0EES14_IbLb1EEEEDaS10_S11_EUlS10_E_NS1_11comp_targetILNS1_3genE4ELNS1_11target_archE910ELNS1_3gpuE8ELNS1_3repE0EEENS1_30default_config_static_selectorELNS0_4arch9wavefront6targetE1EEEvT1_
	.globl	_ZN7rocprim17ROCPRIM_400000_NS6detail17trampoline_kernelINS0_14default_configENS1_29reduce_by_key_config_selectorIN3c108BFloat16ElN6thrust23THRUST_200600_302600_NS4plusIlEEEEZZNS1_33reduce_by_key_impl_wrapped_configILNS1_25lookback_scan_determinismE0ES3_SB_PS6_NS8_17constant_iteratorIiNS8_11use_defaultESG_EENS8_10device_ptrIS6_EENSI_IlEEPmSA_NS8_8equal_toIS6_EEEE10hipError_tPvRmT2_T3_mT4_T5_T6_T7_T8_P12ihipStream_tbENKUlT_T0_E_clISt17integral_constantIbLb0EES14_IbLb1EEEEDaS10_S11_EUlS10_E_NS1_11comp_targetILNS1_3genE4ELNS1_11target_archE910ELNS1_3gpuE8ELNS1_3repE0EEENS1_30default_config_static_selectorELNS0_4arch9wavefront6targetE1EEEvT1_
	.p2align	8
	.type	_ZN7rocprim17ROCPRIM_400000_NS6detail17trampoline_kernelINS0_14default_configENS1_29reduce_by_key_config_selectorIN3c108BFloat16ElN6thrust23THRUST_200600_302600_NS4plusIlEEEEZZNS1_33reduce_by_key_impl_wrapped_configILNS1_25lookback_scan_determinismE0ES3_SB_PS6_NS8_17constant_iteratorIiNS8_11use_defaultESG_EENS8_10device_ptrIS6_EENSI_IlEEPmSA_NS8_8equal_toIS6_EEEE10hipError_tPvRmT2_T3_mT4_T5_T6_T7_T8_P12ihipStream_tbENKUlT_T0_E_clISt17integral_constantIbLb0EES14_IbLb1EEEEDaS10_S11_EUlS10_E_NS1_11comp_targetILNS1_3genE4ELNS1_11target_archE910ELNS1_3gpuE8ELNS1_3repE0EEENS1_30default_config_static_selectorELNS0_4arch9wavefront6targetE1EEEvT1_,@function
_ZN7rocprim17ROCPRIM_400000_NS6detail17trampoline_kernelINS0_14default_configENS1_29reduce_by_key_config_selectorIN3c108BFloat16ElN6thrust23THRUST_200600_302600_NS4plusIlEEEEZZNS1_33reduce_by_key_impl_wrapped_configILNS1_25lookback_scan_determinismE0ES3_SB_PS6_NS8_17constant_iteratorIiNS8_11use_defaultESG_EENS8_10device_ptrIS6_EENSI_IlEEPmSA_NS8_8equal_toIS6_EEEE10hipError_tPvRmT2_T3_mT4_T5_T6_T7_T8_P12ihipStream_tbENKUlT_T0_E_clISt17integral_constantIbLb0EES14_IbLb1EEEEDaS10_S11_EUlS10_E_NS1_11comp_targetILNS1_3genE4ELNS1_11target_archE910ELNS1_3gpuE8ELNS1_3repE0EEENS1_30default_config_static_selectorELNS0_4arch9wavefront6targetE1EEEvT1_: ; @_ZN7rocprim17ROCPRIM_400000_NS6detail17trampoline_kernelINS0_14default_configENS1_29reduce_by_key_config_selectorIN3c108BFloat16ElN6thrust23THRUST_200600_302600_NS4plusIlEEEEZZNS1_33reduce_by_key_impl_wrapped_configILNS1_25lookback_scan_determinismE0ES3_SB_PS6_NS8_17constant_iteratorIiNS8_11use_defaultESG_EENS8_10device_ptrIS6_EENSI_IlEEPmSA_NS8_8equal_toIS6_EEEE10hipError_tPvRmT2_T3_mT4_T5_T6_T7_T8_P12ihipStream_tbENKUlT_T0_E_clISt17integral_constantIbLb0EES14_IbLb1EEEEDaS10_S11_EUlS10_E_NS1_11comp_targetILNS1_3genE4ELNS1_11target_archE910ELNS1_3gpuE8ELNS1_3repE0EEENS1_30default_config_static_selectorELNS0_4arch9wavefront6targetE1EEEvT1_
; %bb.0:
	.section	.rodata,"a",@progbits
	.p2align	6, 0x0
	.amdhsa_kernel _ZN7rocprim17ROCPRIM_400000_NS6detail17trampoline_kernelINS0_14default_configENS1_29reduce_by_key_config_selectorIN3c108BFloat16ElN6thrust23THRUST_200600_302600_NS4plusIlEEEEZZNS1_33reduce_by_key_impl_wrapped_configILNS1_25lookback_scan_determinismE0ES3_SB_PS6_NS8_17constant_iteratorIiNS8_11use_defaultESG_EENS8_10device_ptrIS6_EENSI_IlEEPmSA_NS8_8equal_toIS6_EEEE10hipError_tPvRmT2_T3_mT4_T5_T6_T7_T8_P12ihipStream_tbENKUlT_T0_E_clISt17integral_constantIbLb0EES14_IbLb1EEEEDaS10_S11_EUlS10_E_NS1_11comp_targetILNS1_3genE4ELNS1_11target_archE910ELNS1_3gpuE8ELNS1_3repE0EEENS1_30default_config_static_selectorELNS0_4arch9wavefront6targetE1EEEvT1_
		.amdhsa_group_segment_fixed_size 0
		.amdhsa_private_segment_fixed_size 0
		.amdhsa_kernarg_size 144
		.amdhsa_user_sgpr_count 6
		.amdhsa_user_sgpr_private_segment_buffer 1
		.amdhsa_user_sgpr_dispatch_ptr 0
		.amdhsa_user_sgpr_queue_ptr 0
		.amdhsa_user_sgpr_kernarg_segment_ptr 1
		.amdhsa_user_sgpr_dispatch_id 0
		.amdhsa_user_sgpr_flat_scratch_init 0
		.amdhsa_user_sgpr_private_segment_size 0
		.amdhsa_uses_dynamic_stack 0
		.amdhsa_system_sgpr_private_segment_wavefront_offset 0
		.amdhsa_system_sgpr_workgroup_id_x 1
		.amdhsa_system_sgpr_workgroup_id_y 0
		.amdhsa_system_sgpr_workgroup_id_z 0
		.amdhsa_system_sgpr_workgroup_info 0
		.amdhsa_system_vgpr_workitem_id 0
		.amdhsa_next_free_vgpr 1
		.amdhsa_next_free_sgpr 0
		.amdhsa_reserve_vcc 0
		.amdhsa_reserve_flat_scratch 0
		.amdhsa_float_round_mode_32 0
		.amdhsa_float_round_mode_16_64 0
		.amdhsa_float_denorm_mode_32 3
		.amdhsa_float_denorm_mode_16_64 3
		.amdhsa_dx10_clamp 1
		.amdhsa_ieee_mode 1
		.amdhsa_fp16_overflow 0
		.amdhsa_exception_fp_ieee_invalid_op 0
		.amdhsa_exception_fp_denorm_src 0
		.amdhsa_exception_fp_ieee_div_zero 0
		.amdhsa_exception_fp_ieee_overflow 0
		.amdhsa_exception_fp_ieee_underflow 0
		.amdhsa_exception_fp_ieee_inexact 0
		.amdhsa_exception_int_div_zero 0
	.end_amdhsa_kernel
	.section	.text._ZN7rocprim17ROCPRIM_400000_NS6detail17trampoline_kernelINS0_14default_configENS1_29reduce_by_key_config_selectorIN3c108BFloat16ElN6thrust23THRUST_200600_302600_NS4plusIlEEEEZZNS1_33reduce_by_key_impl_wrapped_configILNS1_25lookback_scan_determinismE0ES3_SB_PS6_NS8_17constant_iteratorIiNS8_11use_defaultESG_EENS8_10device_ptrIS6_EENSI_IlEEPmSA_NS8_8equal_toIS6_EEEE10hipError_tPvRmT2_T3_mT4_T5_T6_T7_T8_P12ihipStream_tbENKUlT_T0_E_clISt17integral_constantIbLb0EES14_IbLb1EEEEDaS10_S11_EUlS10_E_NS1_11comp_targetILNS1_3genE4ELNS1_11target_archE910ELNS1_3gpuE8ELNS1_3repE0EEENS1_30default_config_static_selectorELNS0_4arch9wavefront6targetE1EEEvT1_,"axG",@progbits,_ZN7rocprim17ROCPRIM_400000_NS6detail17trampoline_kernelINS0_14default_configENS1_29reduce_by_key_config_selectorIN3c108BFloat16ElN6thrust23THRUST_200600_302600_NS4plusIlEEEEZZNS1_33reduce_by_key_impl_wrapped_configILNS1_25lookback_scan_determinismE0ES3_SB_PS6_NS8_17constant_iteratorIiNS8_11use_defaultESG_EENS8_10device_ptrIS6_EENSI_IlEEPmSA_NS8_8equal_toIS6_EEEE10hipError_tPvRmT2_T3_mT4_T5_T6_T7_T8_P12ihipStream_tbENKUlT_T0_E_clISt17integral_constantIbLb0EES14_IbLb1EEEEDaS10_S11_EUlS10_E_NS1_11comp_targetILNS1_3genE4ELNS1_11target_archE910ELNS1_3gpuE8ELNS1_3repE0EEENS1_30default_config_static_selectorELNS0_4arch9wavefront6targetE1EEEvT1_,comdat
.Lfunc_end2081:
	.size	_ZN7rocprim17ROCPRIM_400000_NS6detail17trampoline_kernelINS0_14default_configENS1_29reduce_by_key_config_selectorIN3c108BFloat16ElN6thrust23THRUST_200600_302600_NS4plusIlEEEEZZNS1_33reduce_by_key_impl_wrapped_configILNS1_25lookback_scan_determinismE0ES3_SB_PS6_NS8_17constant_iteratorIiNS8_11use_defaultESG_EENS8_10device_ptrIS6_EENSI_IlEEPmSA_NS8_8equal_toIS6_EEEE10hipError_tPvRmT2_T3_mT4_T5_T6_T7_T8_P12ihipStream_tbENKUlT_T0_E_clISt17integral_constantIbLb0EES14_IbLb1EEEEDaS10_S11_EUlS10_E_NS1_11comp_targetILNS1_3genE4ELNS1_11target_archE910ELNS1_3gpuE8ELNS1_3repE0EEENS1_30default_config_static_selectorELNS0_4arch9wavefront6targetE1EEEvT1_, .Lfunc_end2081-_ZN7rocprim17ROCPRIM_400000_NS6detail17trampoline_kernelINS0_14default_configENS1_29reduce_by_key_config_selectorIN3c108BFloat16ElN6thrust23THRUST_200600_302600_NS4plusIlEEEEZZNS1_33reduce_by_key_impl_wrapped_configILNS1_25lookback_scan_determinismE0ES3_SB_PS6_NS8_17constant_iteratorIiNS8_11use_defaultESG_EENS8_10device_ptrIS6_EENSI_IlEEPmSA_NS8_8equal_toIS6_EEEE10hipError_tPvRmT2_T3_mT4_T5_T6_T7_T8_P12ihipStream_tbENKUlT_T0_E_clISt17integral_constantIbLb0EES14_IbLb1EEEEDaS10_S11_EUlS10_E_NS1_11comp_targetILNS1_3genE4ELNS1_11target_archE910ELNS1_3gpuE8ELNS1_3repE0EEENS1_30default_config_static_selectorELNS0_4arch9wavefront6targetE1EEEvT1_
                                        ; -- End function
	.set _ZN7rocprim17ROCPRIM_400000_NS6detail17trampoline_kernelINS0_14default_configENS1_29reduce_by_key_config_selectorIN3c108BFloat16ElN6thrust23THRUST_200600_302600_NS4plusIlEEEEZZNS1_33reduce_by_key_impl_wrapped_configILNS1_25lookback_scan_determinismE0ES3_SB_PS6_NS8_17constant_iteratorIiNS8_11use_defaultESG_EENS8_10device_ptrIS6_EENSI_IlEEPmSA_NS8_8equal_toIS6_EEEE10hipError_tPvRmT2_T3_mT4_T5_T6_T7_T8_P12ihipStream_tbENKUlT_T0_E_clISt17integral_constantIbLb0EES14_IbLb1EEEEDaS10_S11_EUlS10_E_NS1_11comp_targetILNS1_3genE4ELNS1_11target_archE910ELNS1_3gpuE8ELNS1_3repE0EEENS1_30default_config_static_selectorELNS0_4arch9wavefront6targetE1EEEvT1_.num_vgpr, 0
	.set _ZN7rocprim17ROCPRIM_400000_NS6detail17trampoline_kernelINS0_14default_configENS1_29reduce_by_key_config_selectorIN3c108BFloat16ElN6thrust23THRUST_200600_302600_NS4plusIlEEEEZZNS1_33reduce_by_key_impl_wrapped_configILNS1_25lookback_scan_determinismE0ES3_SB_PS6_NS8_17constant_iteratorIiNS8_11use_defaultESG_EENS8_10device_ptrIS6_EENSI_IlEEPmSA_NS8_8equal_toIS6_EEEE10hipError_tPvRmT2_T3_mT4_T5_T6_T7_T8_P12ihipStream_tbENKUlT_T0_E_clISt17integral_constantIbLb0EES14_IbLb1EEEEDaS10_S11_EUlS10_E_NS1_11comp_targetILNS1_3genE4ELNS1_11target_archE910ELNS1_3gpuE8ELNS1_3repE0EEENS1_30default_config_static_selectorELNS0_4arch9wavefront6targetE1EEEvT1_.num_agpr, 0
	.set _ZN7rocprim17ROCPRIM_400000_NS6detail17trampoline_kernelINS0_14default_configENS1_29reduce_by_key_config_selectorIN3c108BFloat16ElN6thrust23THRUST_200600_302600_NS4plusIlEEEEZZNS1_33reduce_by_key_impl_wrapped_configILNS1_25lookback_scan_determinismE0ES3_SB_PS6_NS8_17constant_iteratorIiNS8_11use_defaultESG_EENS8_10device_ptrIS6_EENSI_IlEEPmSA_NS8_8equal_toIS6_EEEE10hipError_tPvRmT2_T3_mT4_T5_T6_T7_T8_P12ihipStream_tbENKUlT_T0_E_clISt17integral_constantIbLb0EES14_IbLb1EEEEDaS10_S11_EUlS10_E_NS1_11comp_targetILNS1_3genE4ELNS1_11target_archE910ELNS1_3gpuE8ELNS1_3repE0EEENS1_30default_config_static_selectorELNS0_4arch9wavefront6targetE1EEEvT1_.numbered_sgpr, 0
	.set _ZN7rocprim17ROCPRIM_400000_NS6detail17trampoline_kernelINS0_14default_configENS1_29reduce_by_key_config_selectorIN3c108BFloat16ElN6thrust23THRUST_200600_302600_NS4plusIlEEEEZZNS1_33reduce_by_key_impl_wrapped_configILNS1_25lookback_scan_determinismE0ES3_SB_PS6_NS8_17constant_iteratorIiNS8_11use_defaultESG_EENS8_10device_ptrIS6_EENSI_IlEEPmSA_NS8_8equal_toIS6_EEEE10hipError_tPvRmT2_T3_mT4_T5_T6_T7_T8_P12ihipStream_tbENKUlT_T0_E_clISt17integral_constantIbLb0EES14_IbLb1EEEEDaS10_S11_EUlS10_E_NS1_11comp_targetILNS1_3genE4ELNS1_11target_archE910ELNS1_3gpuE8ELNS1_3repE0EEENS1_30default_config_static_selectorELNS0_4arch9wavefront6targetE1EEEvT1_.num_named_barrier, 0
	.set _ZN7rocprim17ROCPRIM_400000_NS6detail17trampoline_kernelINS0_14default_configENS1_29reduce_by_key_config_selectorIN3c108BFloat16ElN6thrust23THRUST_200600_302600_NS4plusIlEEEEZZNS1_33reduce_by_key_impl_wrapped_configILNS1_25lookback_scan_determinismE0ES3_SB_PS6_NS8_17constant_iteratorIiNS8_11use_defaultESG_EENS8_10device_ptrIS6_EENSI_IlEEPmSA_NS8_8equal_toIS6_EEEE10hipError_tPvRmT2_T3_mT4_T5_T6_T7_T8_P12ihipStream_tbENKUlT_T0_E_clISt17integral_constantIbLb0EES14_IbLb1EEEEDaS10_S11_EUlS10_E_NS1_11comp_targetILNS1_3genE4ELNS1_11target_archE910ELNS1_3gpuE8ELNS1_3repE0EEENS1_30default_config_static_selectorELNS0_4arch9wavefront6targetE1EEEvT1_.private_seg_size, 0
	.set _ZN7rocprim17ROCPRIM_400000_NS6detail17trampoline_kernelINS0_14default_configENS1_29reduce_by_key_config_selectorIN3c108BFloat16ElN6thrust23THRUST_200600_302600_NS4plusIlEEEEZZNS1_33reduce_by_key_impl_wrapped_configILNS1_25lookback_scan_determinismE0ES3_SB_PS6_NS8_17constant_iteratorIiNS8_11use_defaultESG_EENS8_10device_ptrIS6_EENSI_IlEEPmSA_NS8_8equal_toIS6_EEEE10hipError_tPvRmT2_T3_mT4_T5_T6_T7_T8_P12ihipStream_tbENKUlT_T0_E_clISt17integral_constantIbLb0EES14_IbLb1EEEEDaS10_S11_EUlS10_E_NS1_11comp_targetILNS1_3genE4ELNS1_11target_archE910ELNS1_3gpuE8ELNS1_3repE0EEENS1_30default_config_static_selectorELNS0_4arch9wavefront6targetE1EEEvT1_.uses_vcc, 0
	.set _ZN7rocprim17ROCPRIM_400000_NS6detail17trampoline_kernelINS0_14default_configENS1_29reduce_by_key_config_selectorIN3c108BFloat16ElN6thrust23THRUST_200600_302600_NS4plusIlEEEEZZNS1_33reduce_by_key_impl_wrapped_configILNS1_25lookback_scan_determinismE0ES3_SB_PS6_NS8_17constant_iteratorIiNS8_11use_defaultESG_EENS8_10device_ptrIS6_EENSI_IlEEPmSA_NS8_8equal_toIS6_EEEE10hipError_tPvRmT2_T3_mT4_T5_T6_T7_T8_P12ihipStream_tbENKUlT_T0_E_clISt17integral_constantIbLb0EES14_IbLb1EEEEDaS10_S11_EUlS10_E_NS1_11comp_targetILNS1_3genE4ELNS1_11target_archE910ELNS1_3gpuE8ELNS1_3repE0EEENS1_30default_config_static_selectorELNS0_4arch9wavefront6targetE1EEEvT1_.uses_flat_scratch, 0
	.set _ZN7rocprim17ROCPRIM_400000_NS6detail17trampoline_kernelINS0_14default_configENS1_29reduce_by_key_config_selectorIN3c108BFloat16ElN6thrust23THRUST_200600_302600_NS4plusIlEEEEZZNS1_33reduce_by_key_impl_wrapped_configILNS1_25lookback_scan_determinismE0ES3_SB_PS6_NS8_17constant_iteratorIiNS8_11use_defaultESG_EENS8_10device_ptrIS6_EENSI_IlEEPmSA_NS8_8equal_toIS6_EEEE10hipError_tPvRmT2_T3_mT4_T5_T6_T7_T8_P12ihipStream_tbENKUlT_T0_E_clISt17integral_constantIbLb0EES14_IbLb1EEEEDaS10_S11_EUlS10_E_NS1_11comp_targetILNS1_3genE4ELNS1_11target_archE910ELNS1_3gpuE8ELNS1_3repE0EEENS1_30default_config_static_selectorELNS0_4arch9wavefront6targetE1EEEvT1_.has_dyn_sized_stack, 0
	.set _ZN7rocprim17ROCPRIM_400000_NS6detail17trampoline_kernelINS0_14default_configENS1_29reduce_by_key_config_selectorIN3c108BFloat16ElN6thrust23THRUST_200600_302600_NS4plusIlEEEEZZNS1_33reduce_by_key_impl_wrapped_configILNS1_25lookback_scan_determinismE0ES3_SB_PS6_NS8_17constant_iteratorIiNS8_11use_defaultESG_EENS8_10device_ptrIS6_EENSI_IlEEPmSA_NS8_8equal_toIS6_EEEE10hipError_tPvRmT2_T3_mT4_T5_T6_T7_T8_P12ihipStream_tbENKUlT_T0_E_clISt17integral_constantIbLb0EES14_IbLb1EEEEDaS10_S11_EUlS10_E_NS1_11comp_targetILNS1_3genE4ELNS1_11target_archE910ELNS1_3gpuE8ELNS1_3repE0EEENS1_30default_config_static_selectorELNS0_4arch9wavefront6targetE1EEEvT1_.has_recursion, 0
	.set _ZN7rocprim17ROCPRIM_400000_NS6detail17trampoline_kernelINS0_14default_configENS1_29reduce_by_key_config_selectorIN3c108BFloat16ElN6thrust23THRUST_200600_302600_NS4plusIlEEEEZZNS1_33reduce_by_key_impl_wrapped_configILNS1_25lookback_scan_determinismE0ES3_SB_PS6_NS8_17constant_iteratorIiNS8_11use_defaultESG_EENS8_10device_ptrIS6_EENSI_IlEEPmSA_NS8_8equal_toIS6_EEEE10hipError_tPvRmT2_T3_mT4_T5_T6_T7_T8_P12ihipStream_tbENKUlT_T0_E_clISt17integral_constantIbLb0EES14_IbLb1EEEEDaS10_S11_EUlS10_E_NS1_11comp_targetILNS1_3genE4ELNS1_11target_archE910ELNS1_3gpuE8ELNS1_3repE0EEENS1_30default_config_static_selectorELNS0_4arch9wavefront6targetE1EEEvT1_.has_indirect_call, 0
	.section	.AMDGPU.csdata,"",@progbits
; Kernel info:
; codeLenInByte = 0
; TotalNumSgprs: 4
; NumVgprs: 0
; ScratchSize: 0
; MemoryBound: 0
; FloatMode: 240
; IeeeMode: 1
; LDSByteSize: 0 bytes/workgroup (compile time only)
; SGPRBlocks: 0
; VGPRBlocks: 0
; NumSGPRsForWavesPerEU: 4
; NumVGPRsForWavesPerEU: 1
; Occupancy: 10
; WaveLimiterHint : 0
; COMPUTE_PGM_RSRC2:SCRATCH_EN: 0
; COMPUTE_PGM_RSRC2:USER_SGPR: 6
; COMPUTE_PGM_RSRC2:TRAP_HANDLER: 0
; COMPUTE_PGM_RSRC2:TGID_X_EN: 1
; COMPUTE_PGM_RSRC2:TGID_Y_EN: 0
; COMPUTE_PGM_RSRC2:TGID_Z_EN: 0
; COMPUTE_PGM_RSRC2:TIDIG_COMP_CNT: 0
	.section	.text._ZN7rocprim17ROCPRIM_400000_NS6detail17trampoline_kernelINS0_14default_configENS1_29reduce_by_key_config_selectorIN3c108BFloat16ElN6thrust23THRUST_200600_302600_NS4plusIlEEEEZZNS1_33reduce_by_key_impl_wrapped_configILNS1_25lookback_scan_determinismE0ES3_SB_PS6_NS8_17constant_iteratorIiNS8_11use_defaultESG_EENS8_10device_ptrIS6_EENSI_IlEEPmSA_NS8_8equal_toIS6_EEEE10hipError_tPvRmT2_T3_mT4_T5_T6_T7_T8_P12ihipStream_tbENKUlT_T0_E_clISt17integral_constantIbLb0EES14_IbLb1EEEEDaS10_S11_EUlS10_E_NS1_11comp_targetILNS1_3genE3ELNS1_11target_archE908ELNS1_3gpuE7ELNS1_3repE0EEENS1_30default_config_static_selectorELNS0_4arch9wavefront6targetE1EEEvT1_,"axG",@progbits,_ZN7rocprim17ROCPRIM_400000_NS6detail17trampoline_kernelINS0_14default_configENS1_29reduce_by_key_config_selectorIN3c108BFloat16ElN6thrust23THRUST_200600_302600_NS4plusIlEEEEZZNS1_33reduce_by_key_impl_wrapped_configILNS1_25lookback_scan_determinismE0ES3_SB_PS6_NS8_17constant_iteratorIiNS8_11use_defaultESG_EENS8_10device_ptrIS6_EENSI_IlEEPmSA_NS8_8equal_toIS6_EEEE10hipError_tPvRmT2_T3_mT4_T5_T6_T7_T8_P12ihipStream_tbENKUlT_T0_E_clISt17integral_constantIbLb0EES14_IbLb1EEEEDaS10_S11_EUlS10_E_NS1_11comp_targetILNS1_3genE3ELNS1_11target_archE908ELNS1_3gpuE7ELNS1_3repE0EEENS1_30default_config_static_selectorELNS0_4arch9wavefront6targetE1EEEvT1_,comdat
	.protected	_ZN7rocprim17ROCPRIM_400000_NS6detail17trampoline_kernelINS0_14default_configENS1_29reduce_by_key_config_selectorIN3c108BFloat16ElN6thrust23THRUST_200600_302600_NS4plusIlEEEEZZNS1_33reduce_by_key_impl_wrapped_configILNS1_25lookback_scan_determinismE0ES3_SB_PS6_NS8_17constant_iteratorIiNS8_11use_defaultESG_EENS8_10device_ptrIS6_EENSI_IlEEPmSA_NS8_8equal_toIS6_EEEE10hipError_tPvRmT2_T3_mT4_T5_T6_T7_T8_P12ihipStream_tbENKUlT_T0_E_clISt17integral_constantIbLb0EES14_IbLb1EEEEDaS10_S11_EUlS10_E_NS1_11comp_targetILNS1_3genE3ELNS1_11target_archE908ELNS1_3gpuE7ELNS1_3repE0EEENS1_30default_config_static_selectorELNS0_4arch9wavefront6targetE1EEEvT1_ ; -- Begin function _ZN7rocprim17ROCPRIM_400000_NS6detail17trampoline_kernelINS0_14default_configENS1_29reduce_by_key_config_selectorIN3c108BFloat16ElN6thrust23THRUST_200600_302600_NS4plusIlEEEEZZNS1_33reduce_by_key_impl_wrapped_configILNS1_25lookback_scan_determinismE0ES3_SB_PS6_NS8_17constant_iteratorIiNS8_11use_defaultESG_EENS8_10device_ptrIS6_EENSI_IlEEPmSA_NS8_8equal_toIS6_EEEE10hipError_tPvRmT2_T3_mT4_T5_T6_T7_T8_P12ihipStream_tbENKUlT_T0_E_clISt17integral_constantIbLb0EES14_IbLb1EEEEDaS10_S11_EUlS10_E_NS1_11comp_targetILNS1_3genE3ELNS1_11target_archE908ELNS1_3gpuE7ELNS1_3repE0EEENS1_30default_config_static_selectorELNS0_4arch9wavefront6targetE1EEEvT1_
	.globl	_ZN7rocprim17ROCPRIM_400000_NS6detail17trampoline_kernelINS0_14default_configENS1_29reduce_by_key_config_selectorIN3c108BFloat16ElN6thrust23THRUST_200600_302600_NS4plusIlEEEEZZNS1_33reduce_by_key_impl_wrapped_configILNS1_25lookback_scan_determinismE0ES3_SB_PS6_NS8_17constant_iteratorIiNS8_11use_defaultESG_EENS8_10device_ptrIS6_EENSI_IlEEPmSA_NS8_8equal_toIS6_EEEE10hipError_tPvRmT2_T3_mT4_T5_T6_T7_T8_P12ihipStream_tbENKUlT_T0_E_clISt17integral_constantIbLb0EES14_IbLb1EEEEDaS10_S11_EUlS10_E_NS1_11comp_targetILNS1_3genE3ELNS1_11target_archE908ELNS1_3gpuE7ELNS1_3repE0EEENS1_30default_config_static_selectorELNS0_4arch9wavefront6targetE1EEEvT1_
	.p2align	8
	.type	_ZN7rocprim17ROCPRIM_400000_NS6detail17trampoline_kernelINS0_14default_configENS1_29reduce_by_key_config_selectorIN3c108BFloat16ElN6thrust23THRUST_200600_302600_NS4plusIlEEEEZZNS1_33reduce_by_key_impl_wrapped_configILNS1_25lookback_scan_determinismE0ES3_SB_PS6_NS8_17constant_iteratorIiNS8_11use_defaultESG_EENS8_10device_ptrIS6_EENSI_IlEEPmSA_NS8_8equal_toIS6_EEEE10hipError_tPvRmT2_T3_mT4_T5_T6_T7_T8_P12ihipStream_tbENKUlT_T0_E_clISt17integral_constantIbLb0EES14_IbLb1EEEEDaS10_S11_EUlS10_E_NS1_11comp_targetILNS1_3genE3ELNS1_11target_archE908ELNS1_3gpuE7ELNS1_3repE0EEENS1_30default_config_static_selectorELNS0_4arch9wavefront6targetE1EEEvT1_,@function
_ZN7rocprim17ROCPRIM_400000_NS6detail17trampoline_kernelINS0_14default_configENS1_29reduce_by_key_config_selectorIN3c108BFloat16ElN6thrust23THRUST_200600_302600_NS4plusIlEEEEZZNS1_33reduce_by_key_impl_wrapped_configILNS1_25lookback_scan_determinismE0ES3_SB_PS6_NS8_17constant_iteratorIiNS8_11use_defaultESG_EENS8_10device_ptrIS6_EENSI_IlEEPmSA_NS8_8equal_toIS6_EEEE10hipError_tPvRmT2_T3_mT4_T5_T6_T7_T8_P12ihipStream_tbENKUlT_T0_E_clISt17integral_constantIbLb0EES14_IbLb1EEEEDaS10_S11_EUlS10_E_NS1_11comp_targetILNS1_3genE3ELNS1_11target_archE908ELNS1_3gpuE7ELNS1_3repE0EEENS1_30default_config_static_selectorELNS0_4arch9wavefront6targetE1EEEvT1_: ; @_ZN7rocprim17ROCPRIM_400000_NS6detail17trampoline_kernelINS0_14default_configENS1_29reduce_by_key_config_selectorIN3c108BFloat16ElN6thrust23THRUST_200600_302600_NS4plusIlEEEEZZNS1_33reduce_by_key_impl_wrapped_configILNS1_25lookback_scan_determinismE0ES3_SB_PS6_NS8_17constant_iteratorIiNS8_11use_defaultESG_EENS8_10device_ptrIS6_EENSI_IlEEPmSA_NS8_8equal_toIS6_EEEE10hipError_tPvRmT2_T3_mT4_T5_T6_T7_T8_P12ihipStream_tbENKUlT_T0_E_clISt17integral_constantIbLb0EES14_IbLb1EEEEDaS10_S11_EUlS10_E_NS1_11comp_targetILNS1_3genE3ELNS1_11target_archE908ELNS1_3gpuE7ELNS1_3repE0EEENS1_30default_config_static_selectorELNS0_4arch9wavefront6targetE1EEEvT1_
; %bb.0:
	.section	.rodata,"a",@progbits
	.p2align	6, 0x0
	.amdhsa_kernel _ZN7rocprim17ROCPRIM_400000_NS6detail17trampoline_kernelINS0_14default_configENS1_29reduce_by_key_config_selectorIN3c108BFloat16ElN6thrust23THRUST_200600_302600_NS4plusIlEEEEZZNS1_33reduce_by_key_impl_wrapped_configILNS1_25lookback_scan_determinismE0ES3_SB_PS6_NS8_17constant_iteratorIiNS8_11use_defaultESG_EENS8_10device_ptrIS6_EENSI_IlEEPmSA_NS8_8equal_toIS6_EEEE10hipError_tPvRmT2_T3_mT4_T5_T6_T7_T8_P12ihipStream_tbENKUlT_T0_E_clISt17integral_constantIbLb0EES14_IbLb1EEEEDaS10_S11_EUlS10_E_NS1_11comp_targetILNS1_3genE3ELNS1_11target_archE908ELNS1_3gpuE7ELNS1_3repE0EEENS1_30default_config_static_selectorELNS0_4arch9wavefront6targetE1EEEvT1_
		.amdhsa_group_segment_fixed_size 0
		.amdhsa_private_segment_fixed_size 0
		.amdhsa_kernarg_size 144
		.amdhsa_user_sgpr_count 6
		.amdhsa_user_sgpr_private_segment_buffer 1
		.amdhsa_user_sgpr_dispatch_ptr 0
		.amdhsa_user_sgpr_queue_ptr 0
		.amdhsa_user_sgpr_kernarg_segment_ptr 1
		.amdhsa_user_sgpr_dispatch_id 0
		.amdhsa_user_sgpr_flat_scratch_init 0
		.amdhsa_user_sgpr_private_segment_size 0
		.amdhsa_uses_dynamic_stack 0
		.amdhsa_system_sgpr_private_segment_wavefront_offset 0
		.amdhsa_system_sgpr_workgroup_id_x 1
		.amdhsa_system_sgpr_workgroup_id_y 0
		.amdhsa_system_sgpr_workgroup_id_z 0
		.amdhsa_system_sgpr_workgroup_info 0
		.amdhsa_system_vgpr_workitem_id 0
		.amdhsa_next_free_vgpr 1
		.amdhsa_next_free_sgpr 0
		.amdhsa_reserve_vcc 0
		.amdhsa_reserve_flat_scratch 0
		.amdhsa_float_round_mode_32 0
		.amdhsa_float_round_mode_16_64 0
		.amdhsa_float_denorm_mode_32 3
		.amdhsa_float_denorm_mode_16_64 3
		.amdhsa_dx10_clamp 1
		.amdhsa_ieee_mode 1
		.amdhsa_fp16_overflow 0
		.amdhsa_exception_fp_ieee_invalid_op 0
		.amdhsa_exception_fp_denorm_src 0
		.amdhsa_exception_fp_ieee_div_zero 0
		.amdhsa_exception_fp_ieee_overflow 0
		.amdhsa_exception_fp_ieee_underflow 0
		.amdhsa_exception_fp_ieee_inexact 0
		.amdhsa_exception_int_div_zero 0
	.end_amdhsa_kernel
	.section	.text._ZN7rocprim17ROCPRIM_400000_NS6detail17trampoline_kernelINS0_14default_configENS1_29reduce_by_key_config_selectorIN3c108BFloat16ElN6thrust23THRUST_200600_302600_NS4plusIlEEEEZZNS1_33reduce_by_key_impl_wrapped_configILNS1_25lookback_scan_determinismE0ES3_SB_PS6_NS8_17constant_iteratorIiNS8_11use_defaultESG_EENS8_10device_ptrIS6_EENSI_IlEEPmSA_NS8_8equal_toIS6_EEEE10hipError_tPvRmT2_T3_mT4_T5_T6_T7_T8_P12ihipStream_tbENKUlT_T0_E_clISt17integral_constantIbLb0EES14_IbLb1EEEEDaS10_S11_EUlS10_E_NS1_11comp_targetILNS1_3genE3ELNS1_11target_archE908ELNS1_3gpuE7ELNS1_3repE0EEENS1_30default_config_static_selectorELNS0_4arch9wavefront6targetE1EEEvT1_,"axG",@progbits,_ZN7rocprim17ROCPRIM_400000_NS6detail17trampoline_kernelINS0_14default_configENS1_29reduce_by_key_config_selectorIN3c108BFloat16ElN6thrust23THRUST_200600_302600_NS4plusIlEEEEZZNS1_33reduce_by_key_impl_wrapped_configILNS1_25lookback_scan_determinismE0ES3_SB_PS6_NS8_17constant_iteratorIiNS8_11use_defaultESG_EENS8_10device_ptrIS6_EENSI_IlEEPmSA_NS8_8equal_toIS6_EEEE10hipError_tPvRmT2_T3_mT4_T5_T6_T7_T8_P12ihipStream_tbENKUlT_T0_E_clISt17integral_constantIbLb0EES14_IbLb1EEEEDaS10_S11_EUlS10_E_NS1_11comp_targetILNS1_3genE3ELNS1_11target_archE908ELNS1_3gpuE7ELNS1_3repE0EEENS1_30default_config_static_selectorELNS0_4arch9wavefront6targetE1EEEvT1_,comdat
.Lfunc_end2082:
	.size	_ZN7rocprim17ROCPRIM_400000_NS6detail17trampoline_kernelINS0_14default_configENS1_29reduce_by_key_config_selectorIN3c108BFloat16ElN6thrust23THRUST_200600_302600_NS4plusIlEEEEZZNS1_33reduce_by_key_impl_wrapped_configILNS1_25lookback_scan_determinismE0ES3_SB_PS6_NS8_17constant_iteratorIiNS8_11use_defaultESG_EENS8_10device_ptrIS6_EENSI_IlEEPmSA_NS8_8equal_toIS6_EEEE10hipError_tPvRmT2_T3_mT4_T5_T6_T7_T8_P12ihipStream_tbENKUlT_T0_E_clISt17integral_constantIbLb0EES14_IbLb1EEEEDaS10_S11_EUlS10_E_NS1_11comp_targetILNS1_3genE3ELNS1_11target_archE908ELNS1_3gpuE7ELNS1_3repE0EEENS1_30default_config_static_selectorELNS0_4arch9wavefront6targetE1EEEvT1_, .Lfunc_end2082-_ZN7rocprim17ROCPRIM_400000_NS6detail17trampoline_kernelINS0_14default_configENS1_29reduce_by_key_config_selectorIN3c108BFloat16ElN6thrust23THRUST_200600_302600_NS4plusIlEEEEZZNS1_33reduce_by_key_impl_wrapped_configILNS1_25lookback_scan_determinismE0ES3_SB_PS6_NS8_17constant_iteratorIiNS8_11use_defaultESG_EENS8_10device_ptrIS6_EENSI_IlEEPmSA_NS8_8equal_toIS6_EEEE10hipError_tPvRmT2_T3_mT4_T5_T6_T7_T8_P12ihipStream_tbENKUlT_T0_E_clISt17integral_constantIbLb0EES14_IbLb1EEEEDaS10_S11_EUlS10_E_NS1_11comp_targetILNS1_3genE3ELNS1_11target_archE908ELNS1_3gpuE7ELNS1_3repE0EEENS1_30default_config_static_selectorELNS0_4arch9wavefront6targetE1EEEvT1_
                                        ; -- End function
	.set _ZN7rocprim17ROCPRIM_400000_NS6detail17trampoline_kernelINS0_14default_configENS1_29reduce_by_key_config_selectorIN3c108BFloat16ElN6thrust23THRUST_200600_302600_NS4plusIlEEEEZZNS1_33reduce_by_key_impl_wrapped_configILNS1_25lookback_scan_determinismE0ES3_SB_PS6_NS8_17constant_iteratorIiNS8_11use_defaultESG_EENS8_10device_ptrIS6_EENSI_IlEEPmSA_NS8_8equal_toIS6_EEEE10hipError_tPvRmT2_T3_mT4_T5_T6_T7_T8_P12ihipStream_tbENKUlT_T0_E_clISt17integral_constantIbLb0EES14_IbLb1EEEEDaS10_S11_EUlS10_E_NS1_11comp_targetILNS1_3genE3ELNS1_11target_archE908ELNS1_3gpuE7ELNS1_3repE0EEENS1_30default_config_static_selectorELNS0_4arch9wavefront6targetE1EEEvT1_.num_vgpr, 0
	.set _ZN7rocprim17ROCPRIM_400000_NS6detail17trampoline_kernelINS0_14default_configENS1_29reduce_by_key_config_selectorIN3c108BFloat16ElN6thrust23THRUST_200600_302600_NS4plusIlEEEEZZNS1_33reduce_by_key_impl_wrapped_configILNS1_25lookback_scan_determinismE0ES3_SB_PS6_NS8_17constant_iteratorIiNS8_11use_defaultESG_EENS8_10device_ptrIS6_EENSI_IlEEPmSA_NS8_8equal_toIS6_EEEE10hipError_tPvRmT2_T3_mT4_T5_T6_T7_T8_P12ihipStream_tbENKUlT_T0_E_clISt17integral_constantIbLb0EES14_IbLb1EEEEDaS10_S11_EUlS10_E_NS1_11comp_targetILNS1_3genE3ELNS1_11target_archE908ELNS1_3gpuE7ELNS1_3repE0EEENS1_30default_config_static_selectorELNS0_4arch9wavefront6targetE1EEEvT1_.num_agpr, 0
	.set _ZN7rocprim17ROCPRIM_400000_NS6detail17trampoline_kernelINS0_14default_configENS1_29reduce_by_key_config_selectorIN3c108BFloat16ElN6thrust23THRUST_200600_302600_NS4plusIlEEEEZZNS1_33reduce_by_key_impl_wrapped_configILNS1_25lookback_scan_determinismE0ES3_SB_PS6_NS8_17constant_iteratorIiNS8_11use_defaultESG_EENS8_10device_ptrIS6_EENSI_IlEEPmSA_NS8_8equal_toIS6_EEEE10hipError_tPvRmT2_T3_mT4_T5_T6_T7_T8_P12ihipStream_tbENKUlT_T0_E_clISt17integral_constantIbLb0EES14_IbLb1EEEEDaS10_S11_EUlS10_E_NS1_11comp_targetILNS1_3genE3ELNS1_11target_archE908ELNS1_3gpuE7ELNS1_3repE0EEENS1_30default_config_static_selectorELNS0_4arch9wavefront6targetE1EEEvT1_.numbered_sgpr, 0
	.set _ZN7rocprim17ROCPRIM_400000_NS6detail17trampoline_kernelINS0_14default_configENS1_29reduce_by_key_config_selectorIN3c108BFloat16ElN6thrust23THRUST_200600_302600_NS4plusIlEEEEZZNS1_33reduce_by_key_impl_wrapped_configILNS1_25lookback_scan_determinismE0ES3_SB_PS6_NS8_17constant_iteratorIiNS8_11use_defaultESG_EENS8_10device_ptrIS6_EENSI_IlEEPmSA_NS8_8equal_toIS6_EEEE10hipError_tPvRmT2_T3_mT4_T5_T6_T7_T8_P12ihipStream_tbENKUlT_T0_E_clISt17integral_constantIbLb0EES14_IbLb1EEEEDaS10_S11_EUlS10_E_NS1_11comp_targetILNS1_3genE3ELNS1_11target_archE908ELNS1_3gpuE7ELNS1_3repE0EEENS1_30default_config_static_selectorELNS0_4arch9wavefront6targetE1EEEvT1_.num_named_barrier, 0
	.set _ZN7rocprim17ROCPRIM_400000_NS6detail17trampoline_kernelINS0_14default_configENS1_29reduce_by_key_config_selectorIN3c108BFloat16ElN6thrust23THRUST_200600_302600_NS4plusIlEEEEZZNS1_33reduce_by_key_impl_wrapped_configILNS1_25lookback_scan_determinismE0ES3_SB_PS6_NS8_17constant_iteratorIiNS8_11use_defaultESG_EENS8_10device_ptrIS6_EENSI_IlEEPmSA_NS8_8equal_toIS6_EEEE10hipError_tPvRmT2_T3_mT4_T5_T6_T7_T8_P12ihipStream_tbENKUlT_T0_E_clISt17integral_constantIbLb0EES14_IbLb1EEEEDaS10_S11_EUlS10_E_NS1_11comp_targetILNS1_3genE3ELNS1_11target_archE908ELNS1_3gpuE7ELNS1_3repE0EEENS1_30default_config_static_selectorELNS0_4arch9wavefront6targetE1EEEvT1_.private_seg_size, 0
	.set _ZN7rocprim17ROCPRIM_400000_NS6detail17trampoline_kernelINS0_14default_configENS1_29reduce_by_key_config_selectorIN3c108BFloat16ElN6thrust23THRUST_200600_302600_NS4plusIlEEEEZZNS1_33reduce_by_key_impl_wrapped_configILNS1_25lookback_scan_determinismE0ES3_SB_PS6_NS8_17constant_iteratorIiNS8_11use_defaultESG_EENS8_10device_ptrIS6_EENSI_IlEEPmSA_NS8_8equal_toIS6_EEEE10hipError_tPvRmT2_T3_mT4_T5_T6_T7_T8_P12ihipStream_tbENKUlT_T0_E_clISt17integral_constantIbLb0EES14_IbLb1EEEEDaS10_S11_EUlS10_E_NS1_11comp_targetILNS1_3genE3ELNS1_11target_archE908ELNS1_3gpuE7ELNS1_3repE0EEENS1_30default_config_static_selectorELNS0_4arch9wavefront6targetE1EEEvT1_.uses_vcc, 0
	.set _ZN7rocprim17ROCPRIM_400000_NS6detail17trampoline_kernelINS0_14default_configENS1_29reduce_by_key_config_selectorIN3c108BFloat16ElN6thrust23THRUST_200600_302600_NS4plusIlEEEEZZNS1_33reduce_by_key_impl_wrapped_configILNS1_25lookback_scan_determinismE0ES3_SB_PS6_NS8_17constant_iteratorIiNS8_11use_defaultESG_EENS8_10device_ptrIS6_EENSI_IlEEPmSA_NS8_8equal_toIS6_EEEE10hipError_tPvRmT2_T3_mT4_T5_T6_T7_T8_P12ihipStream_tbENKUlT_T0_E_clISt17integral_constantIbLb0EES14_IbLb1EEEEDaS10_S11_EUlS10_E_NS1_11comp_targetILNS1_3genE3ELNS1_11target_archE908ELNS1_3gpuE7ELNS1_3repE0EEENS1_30default_config_static_selectorELNS0_4arch9wavefront6targetE1EEEvT1_.uses_flat_scratch, 0
	.set _ZN7rocprim17ROCPRIM_400000_NS6detail17trampoline_kernelINS0_14default_configENS1_29reduce_by_key_config_selectorIN3c108BFloat16ElN6thrust23THRUST_200600_302600_NS4plusIlEEEEZZNS1_33reduce_by_key_impl_wrapped_configILNS1_25lookback_scan_determinismE0ES3_SB_PS6_NS8_17constant_iteratorIiNS8_11use_defaultESG_EENS8_10device_ptrIS6_EENSI_IlEEPmSA_NS8_8equal_toIS6_EEEE10hipError_tPvRmT2_T3_mT4_T5_T6_T7_T8_P12ihipStream_tbENKUlT_T0_E_clISt17integral_constantIbLb0EES14_IbLb1EEEEDaS10_S11_EUlS10_E_NS1_11comp_targetILNS1_3genE3ELNS1_11target_archE908ELNS1_3gpuE7ELNS1_3repE0EEENS1_30default_config_static_selectorELNS0_4arch9wavefront6targetE1EEEvT1_.has_dyn_sized_stack, 0
	.set _ZN7rocprim17ROCPRIM_400000_NS6detail17trampoline_kernelINS0_14default_configENS1_29reduce_by_key_config_selectorIN3c108BFloat16ElN6thrust23THRUST_200600_302600_NS4plusIlEEEEZZNS1_33reduce_by_key_impl_wrapped_configILNS1_25lookback_scan_determinismE0ES3_SB_PS6_NS8_17constant_iteratorIiNS8_11use_defaultESG_EENS8_10device_ptrIS6_EENSI_IlEEPmSA_NS8_8equal_toIS6_EEEE10hipError_tPvRmT2_T3_mT4_T5_T6_T7_T8_P12ihipStream_tbENKUlT_T0_E_clISt17integral_constantIbLb0EES14_IbLb1EEEEDaS10_S11_EUlS10_E_NS1_11comp_targetILNS1_3genE3ELNS1_11target_archE908ELNS1_3gpuE7ELNS1_3repE0EEENS1_30default_config_static_selectorELNS0_4arch9wavefront6targetE1EEEvT1_.has_recursion, 0
	.set _ZN7rocprim17ROCPRIM_400000_NS6detail17trampoline_kernelINS0_14default_configENS1_29reduce_by_key_config_selectorIN3c108BFloat16ElN6thrust23THRUST_200600_302600_NS4plusIlEEEEZZNS1_33reduce_by_key_impl_wrapped_configILNS1_25lookback_scan_determinismE0ES3_SB_PS6_NS8_17constant_iteratorIiNS8_11use_defaultESG_EENS8_10device_ptrIS6_EENSI_IlEEPmSA_NS8_8equal_toIS6_EEEE10hipError_tPvRmT2_T3_mT4_T5_T6_T7_T8_P12ihipStream_tbENKUlT_T0_E_clISt17integral_constantIbLb0EES14_IbLb1EEEEDaS10_S11_EUlS10_E_NS1_11comp_targetILNS1_3genE3ELNS1_11target_archE908ELNS1_3gpuE7ELNS1_3repE0EEENS1_30default_config_static_selectorELNS0_4arch9wavefront6targetE1EEEvT1_.has_indirect_call, 0
	.section	.AMDGPU.csdata,"",@progbits
; Kernel info:
; codeLenInByte = 0
; TotalNumSgprs: 4
; NumVgprs: 0
; ScratchSize: 0
; MemoryBound: 0
; FloatMode: 240
; IeeeMode: 1
; LDSByteSize: 0 bytes/workgroup (compile time only)
; SGPRBlocks: 0
; VGPRBlocks: 0
; NumSGPRsForWavesPerEU: 4
; NumVGPRsForWavesPerEU: 1
; Occupancy: 10
; WaveLimiterHint : 0
; COMPUTE_PGM_RSRC2:SCRATCH_EN: 0
; COMPUTE_PGM_RSRC2:USER_SGPR: 6
; COMPUTE_PGM_RSRC2:TRAP_HANDLER: 0
; COMPUTE_PGM_RSRC2:TGID_X_EN: 1
; COMPUTE_PGM_RSRC2:TGID_Y_EN: 0
; COMPUTE_PGM_RSRC2:TGID_Z_EN: 0
; COMPUTE_PGM_RSRC2:TIDIG_COMP_CNT: 0
	.section	.text._ZN7rocprim17ROCPRIM_400000_NS6detail17trampoline_kernelINS0_14default_configENS1_29reduce_by_key_config_selectorIN3c108BFloat16ElN6thrust23THRUST_200600_302600_NS4plusIlEEEEZZNS1_33reduce_by_key_impl_wrapped_configILNS1_25lookback_scan_determinismE0ES3_SB_PS6_NS8_17constant_iteratorIiNS8_11use_defaultESG_EENS8_10device_ptrIS6_EENSI_IlEEPmSA_NS8_8equal_toIS6_EEEE10hipError_tPvRmT2_T3_mT4_T5_T6_T7_T8_P12ihipStream_tbENKUlT_T0_E_clISt17integral_constantIbLb0EES14_IbLb1EEEEDaS10_S11_EUlS10_E_NS1_11comp_targetILNS1_3genE2ELNS1_11target_archE906ELNS1_3gpuE6ELNS1_3repE0EEENS1_30default_config_static_selectorELNS0_4arch9wavefront6targetE1EEEvT1_,"axG",@progbits,_ZN7rocprim17ROCPRIM_400000_NS6detail17trampoline_kernelINS0_14default_configENS1_29reduce_by_key_config_selectorIN3c108BFloat16ElN6thrust23THRUST_200600_302600_NS4plusIlEEEEZZNS1_33reduce_by_key_impl_wrapped_configILNS1_25lookback_scan_determinismE0ES3_SB_PS6_NS8_17constant_iteratorIiNS8_11use_defaultESG_EENS8_10device_ptrIS6_EENSI_IlEEPmSA_NS8_8equal_toIS6_EEEE10hipError_tPvRmT2_T3_mT4_T5_T6_T7_T8_P12ihipStream_tbENKUlT_T0_E_clISt17integral_constantIbLb0EES14_IbLb1EEEEDaS10_S11_EUlS10_E_NS1_11comp_targetILNS1_3genE2ELNS1_11target_archE906ELNS1_3gpuE6ELNS1_3repE0EEENS1_30default_config_static_selectorELNS0_4arch9wavefront6targetE1EEEvT1_,comdat
	.protected	_ZN7rocprim17ROCPRIM_400000_NS6detail17trampoline_kernelINS0_14default_configENS1_29reduce_by_key_config_selectorIN3c108BFloat16ElN6thrust23THRUST_200600_302600_NS4plusIlEEEEZZNS1_33reduce_by_key_impl_wrapped_configILNS1_25lookback_scan_determinismE0ES3_SB_PS6_NS8_17constant_iteratorIiNS8_11use_defaultESG_EENS8_10device_ptrIS6_EENSI_IlEEPmSA_NS8_8equal_toIS6_EEEE10hipError_tPvRmT2_T3_mT4_T5_T6_T7_T8_P12ihipStream_tbENKUlT_T0_E_clISt17integral_constantIbLb0EES14_IbLb1EEEEDaS10_S11_EUlS10_E_NS1_11comp_targetILNS1_3genE2ELNS1_11target_archE906ELNS1_3gpuE6ELNS1_3repE0EEENS1_30default_config_static_selectorELNS0_4arch9wavefront6targetE1EEEvT1_ ; -- Begin function _ZN7rocprim17ROCPRIM_400000_NS6detail17trampoline_kernelINS0_14default_configENS1_29reduce_by_key_config_selectorIN3c108BFloat16ElN6thrust23THRUST_200600_302600_NS4plusIlEEEEZZNS1_33reduce_by_key_impl_wrapped_configILNS1_25lookback_scan_determinismE0ES3_SB_PS6_NS8_17constant_iteratorIiNS8_11use_defaultESG_EENS8_10device_ptrIS6_EENSI_IlEEPmSA_NS8_8equal_toIS6_EEEE10hipError_tPvRmT2_T3_mT4_T5_T6_T7_T8_P12ihipStream_tbENKUlT_T0_E_clISt17integral_constantIbLb0EES14_IbLb1EEEEDaS10_S11_EUlS10_E_NS1_11comp_targetILNS1_3genE2ELNS1_11target_archE906ELNS1_3gpuE6ELNS1_3repE0EEENS1_30default_config_static_selectorELNS0_4arch9wavefront6targetE1EEEvT1_
	.globl	_ZN7rocprim17ROCPRIM_400000_NS6detail17trampoline_kernelINS0_14default_configENS1_29reduce_by_key_config_selectorIN3c108BFloat16ElN6thrust23THRUST_200600_302600_NS4plusIlEEEEZZNS1_33reduce_by_key_impl_wrapped_configILNS1_25lookback_scan_determinismE0ES3_SB_PS6_NS8_17constant_iteratorIiNS8_11use_defaultESG_EENS8_10device_ptrIS6_EENSI_IlEEPmSA_NS8_8equal_toIS6_EEEE10hipError_tPvRmT2_T3_mT4_T5_T6_T7_T8_P12ihipStream_tbENKUlT_T0_E_clISt17integral_constantIbLb0EES14_IbLb1EEEEDaS10_S11_EUlS10_E_NS1_11comp_targetILNS1_3genE2ELNS1_11target_archE906ELNS1_3gpuE6ELNS1_3repE0EEENS1_30default_config_static_selectorELNS0_4arch9wavefront6targetE1EEEvT1_
	.p2align	8
	.type	_ZN7rocprim17ROCPRIM_400000_NS6detail17trampoline_kernelINS0_14default_configENS1_29reduce_by_key_config_selectorIN3c108BFloat16ElN6thrust23THRUST_200600_302600_NS4plusIlEEEEZZNS1_33reduce_by_key_impl_wrapped_configILNS1_25lookback_scan_determinismE0ES3_SB_PS6_NS8_17constant_iteratorIiNS8_11use_defaultESG_EENS8_10device_ptrIS6_EENSI_IlEEPmSA_NS8_8equal_toIS6_EEEE10hipError_tPvRmT2_T3_mT4_T5_T6_T7_T8_P12ihipStream_tbENKUlT_T0_E_clISt17integral_constantIbLb0EES14_IbLb1EEEEDaS10_S11_EUlS10_E_NS1_11comp_targetILNS1_3genE2ELNS1_11target_archE906ELNS1_3gpuE6ELNS1_3repE0EEENS1_30default_config_static_selectorELNS0_4arch9wavefront6targetE1EEEvT1_,@function
_ZN7rocprim17ROCPRIM_400000_NS6detail17trampoline_kernelINS0_14default_configENS1_29reduce_by_key_config_selectorIN3c108BFloat16ElN6thrust23THRUST_200600_302600_NS4plusIlEEEEZZNS1_33reduce_by_key_impl_wrapped_configILNS1_25lookback_scan_determinismE0ES3_SB_PS6_NS8_17constant_iteratorIiNS8_11use_defaultESG_EENS8_10device_ptrIS6_EENSI_IlEEPmSA_NS8_8equal_toIS6_EEEE10hipError_tPvRmT2_T3_mT4_T5_T6_T7_T8_P12ihipStream_tbENKUlT_T0_E_clISt17integral_constantIbLb0EES14_IbLb1EEEEDaS10_S11_EUlS10_E_NS1_11comp_targetILNS1_3genE2ELNS1_11target_archE906ELNS1_3gpuE6ELNS1_3repE0EEENS1_30default_config_static_selectorELNS0_4arch9wavefront6targetE1EEEvT1_: ; @_ZN7rocprim17ROCPRIM_400000_NS6detail17trampoline_kernelINS0_14default_configENS1_29reduce_by_key_config_selectorIN3c108BFloat16ElN6thrust23THRUST_200600_302600_NS4plusIlEEEEZZNS1_33reduce_by_key_impl_wrapped_configILNS1_25lookback_scan_determinismE0ES3_SB_PS6_NS8_17constant_iteratorIiNS8_11use_defaultESG_EENS8_10device_ptrIS6_EENSI_IlEEPmSA_NS8_8equal_toIS6_EEEE10hipError_tPvRmT2_T3_mT4_T5_T6_T7_T8_P12ihipStream_tbENKUlT_T0_E_clISt17integral_constantIbLb0EES14_IbLb1EEEEDaS10_S11_EUlS10_E_NS1_11comp_targetILNS1_3genE2ELNS1_11target_archE906ELNS1_3gpuE6ELNS1_3repE0EEENS1_30default_config_static_selectorELNS0_4arch9wavefront6targetE1EEEvT1_
; %bb.0:
	s_load_dwordx4 s[56:59], s[4:5], 0x20
	s_load_dwordx2 s[60:61], s[4:5], 0x30
	s_load_dwordx2 s[36:37], s[4:5], 0x80
	s_add_u32 s0, s0, s7
	s_addc_u32 s1, s1, 0
	v_cmp_ne_u32_e64 s[6:7], 0, v0
	v_cmp_eq_u32_e64 s[38:39], 0, v0
	s_and_saveexec_b64 s[8:9], s[38:39]
	s_cbranch_execz .LBB2083_4
; %bb.1:
	s_mov_b64 s[12:13], exec
	v_mbcnt_lo_u32_b32 v1, s12, 0
	v_mbcnt_hi_u32_b32 v1, s13, v1
	v_cmp_eq_u32_e32 vcc, 0, v1
                                        ; implicit-def: $vgpr2
	s_and_saveexec_b64 s[10:11], vcc
	s_cbranch_execz .LBB2083_3
; %bb.2:
	s_load_dwordx2 s[14:15], s[4:5], 0x88
	s_bcnt1_i32_b64 s12, s[12:13]
	v_mov_b32_e32 v2, 0
	v_mov_b32_e32 v3, s12
	s_waitcnt lgkmcnt(0)
	global_atomic_add v2, v2, v3, s[14:15] glc
.LBB2083_3:
	s_or_b64 exec, exec, s[10:11]
	s_waitcnt vmcnt(0)
	v_readfirstlane_b32 s10, v2
	v_add_u32_e32 v1, s10, v1
	v_mov_b32_e32 v2, 0
	ds_write_b32 v2, v1
.LBB2083_4:
	s_or_b64 exec, exec, s[8:9]
	s_load_dwordx4 s[8:11], s[4:5], 0x0
	s_load_dword s12, s[4:5], 0x18
	s_load_dwordx16 s[40:55], s[4:5], 0x40
	v_mov_b32_e32 v2, 0
	s_waitcnt lgkmcnt(0)
	s_barrier
	ds_read_b32 v1, v2
	s_mul_i32 s4, s48, s47
	s_mul_hi_u32 s5, s48, s46
	s_add_i32 s4, s5, s4
	s_mul_i32 s5, s49, s46
	s_add_i32 s13, s4, s5
	s_lshl_b64 s[4:5], s[10:11], 1
	s_add_u32 s4, s8, s4
	s_movk_i32 s8, 0xf00
	s_waitcnt lgkmcnt(0)
	v_readfirstlane_b32 s64, v1
	v_mul_lo_u32 v1, v1, s8
	s_mul_i32 s14, s48, s46
	s_addc_u32 s5, s9, s5
	v_mov_b32_e32 v3, s5
	v_lshlrev_b64 v[1:2], 1, v[1:2]
	s_mov_b64 s[10:11], -1
	v_add_co_u32_e32 v35, vcc, s4, v1
	s_add_u32 s4, s14, s64
	s_addc_u32 s5, s13, 0
	s_add_u32 s14, s50, -1
	s_addc_u32 s15, s51, -1
	s_cmp_eq_u64 s[4:5], s[14:15]
	v_addc_co_u32_e32 v36, vcc, v3, v2, vcc
	s_cselect_b64 s[48:49], -1, 0
	s_cmp_lg_u64 s[4:5], s[14:15]
	s_cselect_b64 s[8:9], -1, 0
	s_mul_i32 s33, s14, 0xfffff100
	s_and_b64 vcc, exec, s[48:49]
	s_barrier
	s_cbranch_vccnz .LBB2083_6
; %bb.5:
	v_lshlrev_b32_e32 v4, 1, v0
	v_add_co_u32_e32 v1, vcc, v35, v4
	v_addc_co_u32_e32 v2, vcc, 0, v36, vcc
	v_add_co_u32_e32 v1, vcc, 0x1000, v1
	v_readfirstlane_b32 s10, v35
	v_readfirstlane_b32 s11, v36
	v_addc_co_u32_e32 v2, vcc, 0, v2, vcc
	s_nop 3
	global_load_ushort v5, v4, s[10:11]
	global_load_ushort v6, v4, s[10:11] offset:512
	global_load_ushort v7, v4, s[10:11] offset:1024
	;; [unrolled: 1-line block ×7, first 2 shown]
	global_load_ushort v13, v[1:2], off
	global_load_ushort v14, v[1:2], off offset:512
	global_load_ushort v15, v[1:2], off offset:1024
	;; [unrolled: 1-line block ×6, first 2 shown]
	v_mad_u32_u24 v20, v0, 28, v4
	s_ashr_i32 s13, s12, 31
	s_movk_i32 s10, 0xffea
	v_mov_b32_e32 v2, s12
	v_mul_u32_u24_e32 v1, 15, v0
	v_mov_b32_e32 v3, s13
	v_mad_i32_i24 v21, v0, s10, v20
	s_waitcnt vmcnt(14)
	ds_write_b16 v4, v5
	s_waitcnt vmcnt(13)
	ds_write_b16 v4, v6 offset:512
	s_waitcnt vmcnt(12)
	ds_write_b16 v4, v7 offset:1024
	;; [unrolled: 2-line block ×14, first 2 shown]
	s_waitcnt lgkmcnt(0)
	s_barrier
	ds_read_b32 v77, v20
	ds_read_u16 v75, v20 offset:4
	ds_read_b128 v[5:8], v20 offset:6
	ds_read_b64 v[33:34], v20 offset:22
	s_waitcnt lgkmcnt(0)
	s_barrier
	ds_write2st64_b64 v21, v[2:3], v[2:3] offset1:4
	ds_write2st64_b64 v21, v[2:3], v[2:3] offset0:8 offset1:12
	ds_write2st64_b64 v21, v[2:3], v[2:3] offset0:16 offset1:20
	;; [unrolled: 1-line block ×6, first 2 shown]
	ds_write_b64 v21, v[2:3] offset:28672
	s_waitcnt lgkmcnt(0)
	s_barrier
	s_add_i32 s33, s33, s52
	s_cbranch_execz .LBB2083_7
	s_branch .LBB2083_38
.LBB2083_6:
                                        ; implicit-def: $vgpr5
                                        ; implicit-def: $vgpr33
                                        ; implicit-def: $vgpr77
                                        ; implicit-def: $vgpr75
                                        ; implicit-def: $vgpr1
	s_andn2_b64 vcc, exec, s[10:11]
	s_add_i32 s33, s33, s52
	s_cbranch_vccnz .LBB2083_38
.LBB2083_7:
	v_cmp_gt_u32_e32 vcc, s33, v0
                                        ; implicit-def: $vgpr1
	s_and_saveexec_b64 s[10:11], vcc
	s_cbranch_execz .LBB2083_9
; %bb.8:
	v_lshlrev_b32_e32 v1, 1, v0
	v_readfirstlane_b32 s14, v35
	v_readfirstlane_b32 s15, v36
	s_nop 4
	global_load_ushort v1, v1, s[14:15]
.LBB2083_9:
	s_or_b64 exec, exec, s[10:11]
	v_or_b32_e32 v2, 0x100, v0
	v_cmp_gt_u32_e32 vcc, s33, v2
                                        ; implicit-def: $vgpr2
	s_and_saveexec_b64 s[10:11], vcc
	s_cbranch_execz .LBB2083_11
; %bb.10:
	v_lshlrev_b32_e32 v2, 1, v0
	v_readfirstlane_b32 s14, v35
	v_readfirstlane_b32 s15, v36
	s_nop 4
	global_load_ushort v2, v2, s[14:15] offset:512
.LBB2083_11:
	s_or_b64 exec, exec, s[10:11]
	v_or_b32_e32 v3, 0x200, v0
	v_cmp_gt_u32_e32 vcc, s33, v3
                                        ; implicit-def: $vgpr3
	s_and_saveexec_b64 s[10:11], vcc
	s_cbranch_execz .LBB2083_13
; %bb.12:
	v_lshlrev_b32_e32 v3, 1, v0
	v_readfirstlane_b32 s14, v35
	v_readfirstlane_b32 s15, v36
	s_nop 4
	global_load_ushort v3, v3, s[14:15] offset:1024
.LBB2083_13:
	s_or_b64 exec, exec, s[10:11]
	v_or_b32_e32 v4, 0x300, v0
	v_cmp_gt_u32_e32 vcc, s33, v4
                                        ; implicit-def: $vgpr4
	s_and_saveexec_b64 s[10:11], vcc
	s_cbranch_execz .LBB2083_15
; %bb.14:
	v_lshlrev_b32_e32 v4, 1, v0
	v_readfirstlane_b32 s14, v35
	v_readfirstlane_b32 s15, v36
	s_nop 4
	global_load_ushort v4, v4, s[14:15] offset:1536
.LBB2083_15:
	s_or_b64 exec, exec, s[10:11]
	v_or_b32_e32 v5, 0x400, v0
	v_cmp_gt_u32_e32 vcc, s33, v5
                                        ; implicit-def: $vgpr5
	s_and_saveexec_b64 s[10:11], vcc
	s_cbranch_execz .LBB2083_17
; %bb.16:
	v_lshlrev_b32_e32 v5, 1, v0
	v_readfirstlane_b32 s14, v35
	v_readfirstlane_b32 s15, v36
	s_nop 4
	global_load_ushort v5, v5, s[14:15] offset:2048
.LBB2083_17:
	s_or_b64 exec, exec, s[10:11]
	v_or_b32_e32 v6, 0x500, v0
	v_cmp_gt_u32_e32 vcc, s33, v6
                                        ; implicit-def: $vgpr6
	s_and_saveexec_b64 s[10:11], vcc
	s_cbranch_execz .LBB2083_19
; %bb.18:
	v_lshlrev_b32_e32 v6, 1, v0
	v_readfirstlane_b32 s14, v35
	v_readfirstlane_b32 s15, v36
	s_nop 4
	global_load_ushort v6, v6, s[14:15] offset:2560
.LBB2083_19:
	s_or_b64 exec, exec, s[10:11]
	v_or_b32_e32 v7, 0x600, v0
	v_cmp_gt_u32_e32 vcc, s33, v7
                                        ; implicit-def: $vgpr7
	s_and_saveexec_b64 s[10:11], vcc
	s_cbranch_execz .LBB2083_21
; %bb.20:
	v_lshlrev_b32_e32 v7, 1, v0
	v_readfirstlane_b32 s14, v35
	v_readfirstlane_b32 s15, v36
	s_nop 4
	global_load_ushort v7, v7, s[14:15] offset:3072
.LBB2083_21:
	s_or_b64 exec, exec, s[10:11]
	v_or_b32_e32 v8, 0x700, v0
	v_cmp_gt_u32_e32 vcc, s33, v8
                                        ; implicit-def: $vgpr8
	s_and_saveexec_b64 s[10:11], vcc
	s_cbranch_execz .LBB2083_23
; %bb.22:
	v_lshlrev_b32_e32 v8, 1, v0
	v_readfirstlane_b32 s14, v35
	v_readfirstlane_b32 s15, v36
	s_nop 4
	global_load_ushort v8, v8, s[14:15] offset:3584
.LBB2083_23:
	s_or_b64 exec, exec, s[10:11]
	v_or_b32_e32 v10, 0x800, v0
	v_cmp_gt_u32_e32 vcc, s33, v10
                                        ; implicit-def: $vgpr9
	s_and_saveexec_b64 s[10:11], vcc
	s_cbranch_execz .LBB2083_25
; %bb.24:
	v_lshlrev_b32_e32 v9, 1, v10
	v_readfirstlane_b32 s14, v35
	v_readfirstlane_b32 s15, v36
	s_nop 4
	global_load_ushort v9, v9, s[14:15]
.LBB2083_25:
	s_or_b64 exec, exec, s[10:11]
	v_or_b32_e32 v11, 0x900, v0
	v_cmp_gt_u32_e32 vcc, s33, v11
                                        ; implicit-def: $vgpr10
	s_and_saveexec_b64 s[10:11], vcc
	s_cbranch_execz .LBB2083_27
; %bb.26:
	v_lshlrev_b32_e32 v10, 1, v11
	v_readfirstlane_b32 s14, v35
	v_readfirstlane_b32 s15, v36
	s_nop 4
	global_load_ushort v10, v10, s[14:15]
.LBB2083_27:
	s_or_b64 exec, exec, s[10:11]
	v_or_b32_e32 v12, 0xa00, v0
	v_cmp_gt_u32_e32 vcc, s33, v12
                                        ; implicit-def: $vgpr11
	s_and_saveexec_b64 s[10:11], vcc
	s_cbranch_execz .LBB2083_29
; %bb.28:
	v_lshlrev_b32_e32 v11, 1, v12
	v_readfirstlane_b32 s14, v35
	v_readfirstlane_b32 s15, v36
	s_nop 4
	global_load_ushort v11, v11, s[14:15]
.LBB2083_29:
	s_or_b64 exec, exec, s[10:11]
	v_or_b32_e32 v13, 0xb00, v0
	v_cmp_gt_u32_e32 vcc, s33, v13
                                        ; implicit-def: $vgpr12
	s_and_saveexec_b64 s[10:11], vcc
	s_cbranch_execz .LBB2083_31
; %bb.30:
	v_lshlrev_b32_e32 v12, 1, v13
	v_readfirstlane_b32 s14, v35
	v_readfirstlane_b32 s15, v36
	s_nop 4
	global_load_ushort v12, v12, s[14:15]
.LBB2083_31:
	s_or_b64 exec, exec, s[10:11]
	v_or_b32_e32 v14, 0xc00, v0
	v_cmp_gt_u32_e32 vcc, s33, v14
                                        ; implicit-def: $vgpr13
	s_and_saveexec_b64 s[10:11], vcc
	s_cbranch_execz .LBB2083_33
; %bb.32:
	v_lshlrev_b32_e32 v13, 1, v14
	v_readfirstlane_b32 s14, v35
	v_readfirstlane_b32 s15, v36
	s_nop 4
	global_load_ushort v13, v13, s[14:15]
.LBB2083_33:
	s_or_b64 exec, exec, s[10:11]
	v_or_b32_e32 v15, 0xd00, v0
	v_cmp_gt_u32_e32 vcc, s33, v15
                                        ; implicit-def: $vgpr14
	s_and_saveexec_b64 s[10:11], vcc
	s_cbranch_execz .LBB2083_35
; %bb.34:
	v_lshlrev_b32_e32 v14, 1, v15
	v_readfirstlane_b32 s14, v35
	v_readfirstlane_b32 s15, v36
	s_nop 4
	global_load_ushort v14, v14, s[14:15]
.LBB2083_35:
	s_or_b64 exec, exec, s[10:11]
	v_or_b32_e32 v16, 0xe00, v0
	v_cmp_gt_u32_e32 vcc, s33, v16
                                        ; implicit-def: $vgpr15
	s_and_saveexec_b64 s[10:11], vcc
	s_cbranch_execz .LBB2083_37
; %bb.36:
	v_lshlrev_b32_e32 v15, 1, v16
	v_readfirstlane_b32 s14, v35
	v_readfirstlane_b32 s15, v36
	s_nop 4
	global_load_ushort v15, v15, s[14:15]
.LBB2083_37:
	s_or_b64 exec, exec, s[10:11]
	v_lshlrev_b32_e32 v16, 1, v0
	s_waitcnt vmcnt(0)
	ds_write_b16 v16, v1
	ds_write_b16 v16, v2 offset:512
	ds_write_b16 v16, v3 offset:1024
	;; [unrolled: 1-line block ×14, first 2 shown]
	v_mad_u32_u24 v2, v0, 28, v16
	s_waitcnt lgkmcnt(0)
	s_barrier
	ds_read_b32 v77, v2
	ds_read_u16 v75, v2 offset:4
	ds_read_b128 v[5:8], v2 offset:6
	ds_read_b64 v[33:34], v2 offset:22
	s_movk_i32 s10, 0xffea
	s_ashr_i32 s13, s12, 31
	v_mad_i32_i24 v4, v0, s10, v2
	v_mov_b32_e32 v2, s12
	v_mul_u32_u24_e32 v1, 15, v0
	v_mov_b32_e32 v3, s13
	s_waitcnt lgkmcnt(0)
	s_barrier
	ds_write2st64_b64 v4, v[2:3], v[2:3] offset1:4
	ds_write2st64_b64 v4, v[2:3], v[2:3] offset0:8 offset1:12
	ds_write2st64_b64 v4, v[2:3], v[2:3] offset0:16 offset1:20
	;; [unrolled: 1-line block ×6, first 2 shown]
	ds_write_b64 v4, v[2:3] offset:28672
	s_waitcnt lgkmcnt(0)
	s_barrier
.LBB2083_38:
	v_lshlrev_b32_e32 v29, 3, v1
	ds_read_b64 v[69:70], v29 offset:112
	ds_read2_b64 v[1:4], v29 offset0:12 offset1:13
	ds_read2_b64 v[9:12], v29 offset0:10 offset1:11
	;; [unrolled: 1-line block ×6, first 2 shown]
	ds_read2_b64 v[29:32], v29 offset1:1
	s_cmp_eq_u64 s[4:5], 0
	s_cselect_b64 s[50:51], -1, 0
	s_cmp_lg_u64 s[4:5], 0
	s_mov_b64 s[30:31], 0
	s_cselect_b64 s[10:11], -1, 0
	v_lshrrev_b32_e32 v80, 16, v5
	v_lshrrev_b32_e32 v79, 16, v6
	;; [unrolled: 1-line block ×6, first 2 shown]
	s_and_b64 vcc, exec, s[8:9]
	s_waitcnt lgkmcnt(0)
	s_barrier
	s_cbranch_vccz .LBB2083_43
; %bb.39:
	s_and_b64 vcc, exec, s[10:11]
	s_cbranch_vccz .LBB2083_44
; %bb.40:
	global_load_ushort v37, v[35:36], off offset:-2
	v_lshlrev_b32_e32 v39, 16, v34
	v_lshlrev_b32_e32 v40, 16, v73
	v_cmp_neq_f32_e32 vcc, v39, v40
	v_cndmask_b32_e64 v40, 0, 1, vcc
	buffer_store_dword v40, off, s[0:3], 0 offset:56
	v_lshlrev_b32_e32 v40, 16, v74
	v_cmp_neq_f32_e32 vcc, v40, v39
	v_cndmask_b32_e64 v39, 0, 1, vcc
	buffer_store_dword v39, off, s[0:3], 0 offset:52
	;; [unrolled: 4-line block ×11, first 2 shown]
	v_lshlrev_b32_e32 v40, 16, v75
	v_cmp_neq_f32_e32 vcc, v40, v39
	v_cndmask_b32_e64 v39, 0, 1, vcc
	v_and_b32_e32 v41, 0xffff0000, v77
	buffer_store_dword v39, off, s[0:3], 0 offset:12
	v_lshlrev_b32_e32 v39, 16, v77
	v_cmp_neq_f32_e32 vcc, v41, v40
	v_cndmask_b32_e64 v40, 0, 1, vcc
	v_cmp_neq_f32_e32 vcc, v39, v41
	v_lshlrev_b32_e32 v38, 1, v0
	buffer_store_dword v40, off, s[0:3], 0 offset:8
	v_cndmask_b32_e64 v40, 0, 1, vcc
	ds_write_b16 v38, v73
	buffer_store_dword v40, off, s[0:3], 0 offset:4
	s_waitcnt vmcnt(0) lgkmcnt(0)
	s_barrier
	s_and_saveexec_b64 s[8:9], s[6:7]
; %bb.41:
	v_add_u32_e32 v37, -2, v38
	ds_read_u16 v37, v37
; %bb.42:
	s_or_b64 exec, exec, s[8:9]
	s_waitcnt lgkmcnt(0)
	v_lshlrev_b32_e32 v37, 16, v37
	v_cmp_neq_f32_e64 s[8:9], v39, v37
	s_mov_b64 s[30:31], -1
	s_branch .LBB2083_48
.LBB2083_43:
                                        ; implicit-def: $sgpr8_sgpr9
	s_cbranch_execnz .LBB2083_49
	s_branch .LBB2083_57
.LBB2083_44:
                                        ; implicit-def: $sgpr8_sgpr9
	s_cbranch_execz .LBB2083_48
; %bb.45:
	v_lshlrev_b32_e32 v38, 16, v34
	v_lshlrev_b32_e32 v40, 16, v73
	v_cmp_neq_f32_e32 vcc, v38, v40
	v_cndmask_b32_e64 v40, 0, 1, vcc
	buffer_store_dword v40, off, s[0:3], 0 offset:56
	v_lshlrev_b32_e32 v40, 16, v74
	v_cmp_neq_f32_e32 vcc, v40, v38
	v_cndmask_b32_e64 v38, 0, 1, vcc
	buffer_store_dword v38, off, s[0:3], 0 offset:52
	v_lshlrev_b32_e32 v38, 16, v33
	v_cmp_neq_f32_e32 vcc, v38, v40
	v_cndmask_b32_e64 v40, 0, 1, vcc
	buffer_store_dword v40, off, s[0:3], 0 offset:48
	v_lshlrev_b32_e32 v40, 16, v76
	v_cmp_neq_f32_e32 vcc, v40, v38
	v_cndmask_b32_e64 v38, 0, 1, vcc
	buffer_store_dword v38, off, s[0:3], 0 offset:44
	v_lshlrev_b32_e32 v38, 16, v8
	v_cmp_neq_f32_e32 vcc, v38, v40
	v_cndmask_b32_e64 v40, 0, 1, vcc
	buffer_store_dword v40, off, s[0:3], 0 offset:40
	v_lshlrev_b32_e32 v40, 16, v78
	v_cmp_neq_f32_e32 vcc, v40, v38
	v_cndmask_b32_e64 v38, 0, 1, vcc
	buffer_store_dword v38, off, s[0:3], 0 offset:36
	v_lshlrev_b32_e32 v38, 16, v7
	v_cmp_neq_f32_e32 vcc, v38, v40
	v_cndmask_b32_e64 v40, 0, 1, vcc
	buffer_store_dword v40, off, s[0:3], 0 offset:32
	v_lshlrev_b32_e32 v40, 16, v79
	v_cmp_neq_f32_e32 vcc, v40, v38
	v_cndmask_b32_e64 v38, 0, 1, vcc
	buffer_store_dword v38, off, s[0:3], 0 offset:28
	v_lshlrev_b32_e32 v38, 16, v6
	v_cmp_neq_f32_e32 vcc, v38, v40
	v_cndmask_b32_e64 v40, 0, 1, vcc
	buffer_store_dword v40, off, s[0:3], 0 offset:24
	v_lshlrev_b32_e32 v40, 16, v80
	v_cmp_neq_f32_e32 vcc, v40, v38
	v_cndmask_b32_e64 v38, 0, 1, vcc
	buffer_store_dword v38, off, s[0:3], 0 offset:20
	v_lshlrev_b32_e32 v38, 16, v5
	v_cmp_neq_f32_e32 vcc, v38, v40
	v_cndmask_b32_e64 v40, 0, 1, vcc
	buffer_store_dword v40, off, s[0:3], 0 offset:16
	v_lshlrev_b32_e32 v40, 16, v75
	v_cmp_neq_f32_e32 vcc, v40, v38
	v_cndmask_b32_e64 v38, 0, 1, vcc
	v_and_b32_e32 v41, 0xffff0000, v77
	buffer_store_dword v38, off, s[0:3], 0 offset:12
	v_lshlrev_b32_e32 v38, 16, v77
	v_cmp_neq_f32_e32 vcc, v41, v40
	v_cndmask_b32_e64 v40, 0, 1, vcc
	v_cmp_neq_f32_e32 vcc, v38, v41
	v_mov_b32_e32 v39, 1
	v_lshlrev_b32_e32 v37, 1, v0
	buffer_store_dword v40, off, s[0:3], 0 offset:8
	v_cndmask_b32_e64 v40, 0, 1, vcc
	ds_write_b16 v37, v73
	buffer_store_dword v40, off, s[0:3], 0 offset:4
	s_waitcnt vmcnt(0) lgkmcnt(0)
	s_barrier
	buffer_store_dword v39, off, s[0:3], 0
                                        ; implicit-def: $sgpr8_sgpr9
	s_and_saveexec_b64 s[12:13], s[6:7]
	s_xor_b64 s[12:13], exec, s[12:13]
	s_cbranch_execz .LBB2083_47
; %bb.46:
	v_add_u32_e32 v37, -2, v37
	ds_read_u16 v37, v37
	s_or_b64 s[30:31], s[30:31], exec
	s_waitcnt lgkmcnt(0)
	v_lshlrev_b32_e32 v37, 16, v37
	v_cmp_neq_f32_e64 s[8:9], v38, v37
.LBB2083_47:
	s_or_b64 exec, exec, s[12:13]
.LBB2083_48:
	s_branch .LBB2083_57
.LBB2083_49:
	s_mul_hi_u32 s8, s4, 0xfffff100
	s_mulk_i32 s5, 0xf100
	s_sub_i32 s8, s8, s4
	s_add_i32 s8, s8, s5
	s_mulk_i32 s4, 0xf100
	s_add_u32 s34, s4, s52
	v_lshlrev_b32_e32 v87, 16, v34
	v_lshlrev_b32_e32 v88, 16, v73
	v_lshlrev_b32_e32 v86, 16, v74
	v_lshlrev_b32_e32 v85, 16, v33
	v_lshlrev_b32_e32 v84, 16, v76
	v_lshlrev_b32_e32 v83, 16, v8
	v_lshlrev_b32_e32 v82, 16, v78
	v_lshlrev_b32_e32 v81, 16, v7
	v_lshlrev_b32_e32 v72, 16, v79
	v_lshlrev_b32_e32 v71, 16, v6
	v_lshlrev_b32_e32 v68, 16, v80
	v_lshlrev_b32_e32 v67, 16, v5
	v_lshlrev_b32_e32 v66, 16, v75
	s_addc_u32 s35, s8, s53
	s_and_b64 vcc, exec, s[10:11]
	v_mad_u32_u24 v37, v0, 15, 14
	v_cmp_neq_f32_e64 s[28:29], v87, v88
	v_mad_u32_u24 v63, v0, 15, 13
	v_cmp_neq_f32_e64 s[4:5], v86, v87
	;; [unrolled: 2-line block ×12, first 2 shown]
	v_mad_u32_u24 v41, v0, 15, 2
	v_mad_u32_u24 v39, v0, 15, 1
	v_lshlrev_b32_e32 v65, 16, v77
	s_cbranch_vccz .LBB2083_53
; %bb.50:
	global_load_ushort v89, v[35:36], off offset:-2
	v_mov_b32_e32 v38, 0
	v_cmp_gt_u64_e32 vcc, s[34:35], v[37:38]
	v_mov_b32_e32 v64, v38
	s_and_b64 s[28:29], vcc, s[28:29]
	v_cmp_gt_u64_e32 vcc, s[34:35], v[63:64]
	v_mov_b32_e32 v62, v38
	s_and_b64 s[4:5], vcc, s[4:5]
	v_cmp_gt_u64_e32 vcc, s[34:35], v[61:62]
	v_cndmask_b32_e64 v40, 0, 1, s[28:29]
	v_mov_b32_e32 v60, v38
	buffer_store_dword v40, off, s[0:3], 0 offset:56
	v_cndmask_b32_e64 v40, 0, 1, s[4:5]
	s_and_b64 s[4:5], vcc, s[26:27]
	v_cmp_gt_u64_e32 vcc, s[34:35], v[59:60]
	v_mov_b32_e32 v58, v38
	buffer_store_dword v40, off, s[0:3], 0 offset:52
	v_cndmask_b32_e64 v40, 0, 1, s[4:5]
	s_and_b64 s[4:5], vcc, s[24:25]
	v_cmp_gt_u64_e32 vcc, s[34:35], v[57:58]
	;; [unrolled: 5-line block ×9, first 2 shown]
	buffer_store_dword v40, off, s[0:3], 0 offset:20
	v_cndmask_b32_e64 v40, 0, 1, s[4:5]
	s_and_b64 s[4:5], vcc, s[8:9]
	buffer_store_dword v40, off, s[0:3], 0 offset:16
	v_cndmask_b32_e64 v40, 0, 1, s[4:5]
	buffer_store_dword v40, off, s[0:3], 0 offset:12
	v_mov_b32_e32 v42, v38
	v_mov_b32_e32 v40, v38
	v_cmp_gt_u64_e32 vcc, s[34:35], v[41:42]
	v_cmp_gt_u64_e64 s[4:5], s[34:35], v[39:40]
	v_and_b32_e32 v40, 0xffff0000, v77
	v_cmp_neq_f32_e64 s[8:9], v40, v66
	s_and_b64 s[8:9], vcc, s[8:9]
	v_cmp_neq_f32_e32 vcc, v65, v40
	s_and_b64 s[4:5], s[4:5], vcc
	v_lshlrev_b32_e32 v36, 1, v0
	v_mul_u32_u24_e32 v35, 15, v0
	v_cndmask_b32_e64 v42, 0, 1, s[8:9]
	v_cndmask_b32_e64 v40, 0, 1, s[4:5]
	ds_write_b16 v36, v73
	buffer_store_dword v42, off, s[0:3], 0 offset:8
	buffer_store_dword v40, off, s[0:3], 0 offset:4
	s_waitcnt vmcnt(0) lgkmcnt(0)
	s_barrier
	s_and_saveexec_b64 s[4:5], s[6:7]
; %bb.51:
	v_add_u32_e32 v36, -2, v36
	ds_read_u16 v89, v36
; %bb.52:
	s_or_b64 exec, exec, s[4:5]
	v_mov_b32_e32 v36, v38
	v_cmp_gt_u64_e32 vcc, s[34:35], v[35:36]
	s_waitcnt lgkmcnt(0)
	v_lshlrev_b32_e32 v35, 16, v89
	v_cmp_neq_f32_e64 s[4:5], v65, v35
	s_and_b64 s[8:9], vcc, s[4:5]
	s_mov_b64 s[30:31], -1
	s_branch .LBB2083_57
.LBB2083_53:
                                        ; implicit-def: $sgpr8_sgpr9
	s_cbranch_execz .LBB2083_57
; %bb.54:
	v_mov_b32_e32 v38, 0
	v_cmp_gt_u64_e32 vcc, s[34:35], v[37:38]
	v_cmp_neq_f32_e64 s[4:5], v87, v88
	v_mov_b32_e32 v64, v38
	s_and_b64 s[4:5], vcc, s[4:5]
	v_cmp_gt_u64_e32 vcc, s[34:35], v[63:64]
	v_cndmask_b32_e64 v37, 0, 1, s[4:5]
	v_cmp_neq_f32_e64 s[4:5], v86, v87
	v_mov_b32_e32 v62, v38
	s_and_b64 s[4:5], vcc, s[4:5]
	v_cmp_gt_u64_e32 vcc, s[34:35], v[61:62]
	buffer_store_dword v37, off, s[0:3], 0 offset:56
	v_cndmask_b32_e64 v37, 0, 1, s[4:5]
	v_cmp_neq_f32_e64 s[4:5], v85, v86
	v_mov_b32_e32 v60, v38
	s_and_b64 s[4:5], vcc, s[4:5]
	v_cmp_gt_u64_e32 vcc, s[34:35], v[59:60]
	buffer_store_dword v37, off, s[0:3], 0 offset:52
	;; [unrolled: 6-line block ×10, first 2 shown]
	v_cndmask_b32_e64 v37, 0, 1, s[4:5]
	v_cmp_neq_f32_e64 s[4:5], v66, v67
	s_and_b64 s[4:5], vcc, s[4:5]
	buffer_store_dword v37, off, s[0:3], 0 offset:16
	v_cndmask_b32_e64 v37, 0, 1, s[4:5]
	v_mov_b32_e32 v42, v38
	buffer_store_dword v37, off, s[0:3], 0 offset:12
	v_cmp_gt_u64_e32 vcc, s[34:35], v[41:42]
	v_mov_b32_e32 v40, v38
	v_and_b32_e32 v37, 0xffff0000, v77
	v_cmp_gt_u64_e64 s[4:5], s[34:35], v[39:40]
	v_cmp_neq_f32_e64 s[8:9], v37, v66
	s_and_b64 s[8:9], vcc, s[8:9]
	v_cmp_neq_f32_e32 vcc, v65, v37
	s_and_b64 s[4:5], s[4:5], vcc
	v_mov_b32_e32 v36, 1
	v_lshlrev_b32_e32 v35, 1, v0
	v_cndmask_b32_e64 v39, 0, 1, s[8:9]
	v_cndmask_b32_e64 v37, 0, 1, s[4:5]
	ds_write_b16 v35, v73
	buffer_store_dword v39, off, s[0:3], 0 offset:8
	buffer_store_dword v37, off, s[0:3], 0 offset:4
	s_waitcnt vmcnt(0) lgkmcnt(0)
	s_barrier
	buffer_store_dword v36, off, s[0:3], 0
                                        ; implicit-def: $sgpr8_sgpr9
	s_and_saveexec_b64 s[10:11], s[6:7]
	s_cbranch_execz .LBB2083_56
; %bb.55:
	v_add_u32_e32 v35, -2, v35
	ds_read_u16 v35, v35
	v_mul_u32_u24_e32 v37, 15, v0
	v_cmp_gt_u64_e32 vcc, s[34:35], v[37:38]
	s_or_b64 s[30:31], s[30:31], exec
	s_waitcnt lgkmcnt(0)
	v_lshlrev_b32_e32 v35, 16, v35
	v_cmp_neq_f32_e64 s[4:5], v65, v35
	s_and_b64 s[8:9], vcc, s[4:5]
.LBB2083_56:
	s_or_b64 exec, exec, s[10:11]
.LBB2083_57:
	v_mov_b32_e32 v81, 1
	s_and_saveexec_b64 s[4:5], s[30:31]
	s_cbranch_execz .LBB2083_59
; %bb.58:
	v_cndmask_b32_e64 v81, 0, 1, s[8:9]
	buffer_store_dword v81, off, s[0:3], 0
.LBB2083_59:
	s_or_b64 exec, exec, s[4:5]
	buffer_load_dword v94, off, s[0:3], 0 offset:4
	buffer_load_dword v93, off, s[0:3], 0 offset:8
	;; [unrolled: 1-line block ×14, first 2 shown]
	s_cmp_eq_u64 s[46:47], 0
	s_cselect_b64 s[46:47], -1, 0
	s_cmp_lg_u32 s64, 0
	v_mbcnt_lo_u32_b32 v96, -1, 0
	s_waitcnt vmcnt(13)
	v_cmp_eq_u32_e64 s[30:31], 0, v94
	s_waitcnt vmcnt(12)
	v_add3_u32 v35, v94, v81, v93
	v_cmp_eq_u32_e64 s[28:29], 0, v93
	s_waitcnt vmcnt(11)
	v_cmp_eq_u32_e64 s[26:27], 0, v92
	s_waitcnt vmcnt(10)
	;; [unrolled: 2-line block ×12, first 2 shown]
	v_cmp_eq_u32_e32 vcc, 0, v95
	v_add3_u32 v97, v35, v92, v82
	s_cbranch_scc0 .LBB2083_121
; %bb.60:
	v_cndmask_b32_e64 v36, 0, v29, s[30:31]
	v_cndmask_b32_e64 v35, 0, v30, s[30:31]
	v_add_co_u32_e64 v36, s[4:5], v36, v31
	v_addc_co_u32_e64 v35, s[4:5], v35, v32, s[4:5]
	v_cndmask_b32_e64 v36, 0, v36, s[28:29]
	v_cndmask_b32_e64 v35, 0, v35, s[28:29]
	v_add_co_u32_e64 v36, s[4:5], v36, v25
	v_addc_co_u32_e64 v35, s[4:5], v35, v26, s[4:5]
	;; [unrolled: 4-line block ×11, first 2 shown]
	v_cndmask_b32_e64 v36, 0, v36, s[8:9]
	v_add3_u32 v37, v97, v83, v84
	v_cndmask_b32_e64 v35, 0, v35, s[8:9]
	v_add_co_u32_e64 v36, s[4:5], v36, v1
	v_add3_u32 v37, v37, v85, v86
	v_addc_co_u32_e64 v35, s[4:5], v35, v2, s[4:5]
	v_cndmask_b32_e64 v36, 0, v36, s[6:7]
	v_add3_u32 v37, v37, v87, v88
	v_cndmask_b32_e64 v35, 0, v35, s[6:7]
	v_add_co_u32_e64 v36, s[4:5], v36, v3
	v_add3_u32 v37, v37, v89, v90
	v_addc_co_u32_e64 v35, s[4:5], v35, v4, s[4:5]
	v_cndmask_b32_e32 v36, 0, v36, vcc
	v_add3_u32 v39, v37, v91, v95
	v_cndmask_b32_e32 v35, 0, v35, vcc
	v_add_co_u32_e32 v37, vcc, v36, v69
	v_mbcnt_hi_u32_b32 v44, -1, v96
	v_addc_co_u32_e32 v38, vcc, v35, v70, vcc
	v_and_b32_e32 v35, 15, v44
	v_mov_b32_dpp v40, v39 row_shr:1 row_mask:0xf bank_mask:0xf
	v_mov_b32_dpp v36, v37 row_shr:1 row_mask:0xf bank_mask:0xf
	;; [unrolled: 1-line block ×3, first 2 shown]
	v_cmp_ne_u32_e32 vcc, 0, v35
	s_and_saveexec_b64 s[4:5], vcc
; %bb.61:
	v_cmp_eq_u32_e32 vcc, 0, v39
	v_cndmask_b32_e32 v36, 0, v36, vcc
	v_add_u32_e32 v40, v40, v39
	v_cndmask_b32_e32 v39, 0, v41, vcc
	v_add_co_u32_e32 v37, vcc, v36, v37
	v_addc_co_u32_e32 v38, vcc, v39, v38, vcc
	v_mov_b32_e32 v39, v40
; %bb.62:
	s_or_b64 exec, exec, s[4:5]
	s_nop 0
	v_mov_b32_dpp v40, v39 row_shr:2 row_mask:0xf bank_mask:0xf
	v_mov_b32_dpp v36, v37 row_shr:2 row_mask:0xf bank_mask:0xf
	v_mov_b32_dpp v41, v38 row_shr:2 row_mask:0xf bank_mask:0xf
	v_cmp_lt_u32_e32 vcc, 1, v35
	s_and_saveexec_b64 s[4:5], vcc
; %bb.63:
	v_cmp_eq_u32_e32 vcc, 0, v39
	v_cndmask_b32_e32 v36, 0, v36, vcc
	v_add_u32_e32 v40, v40, v39
	v_cndmask_b32_e32 v39, 0, v41, vcc
	v_add_co_u32_e32 v37, vcc, v36, v37
	v_addc_co_u32_e32 v38, vcc, v39, v38, vcc
	v_mov_b32_e32 v39, v40
; %bb.64:
	s_or_b64 exec, exec, s[4:5]
	s_nop 0
	v_mov_b32_dpp v40, v39 row_shr:4 row_mask:0xf bank_mask:0xf
	v_mov_b32_dpp v36, v37 row_shr:4 row_mask:0xf bank_mask:0xf
	v_mov_b32_dpp v41, v38 row_shr:4 row_mask:0xf bank_mask:0xf
	v_cmp_lt_u32_e32 vcc, 3, v35
	;; [unrolled: 16-line block ×3, first 2 shown]
	s_and_saveexec_b64 s[4:5], vcc
; %bb.67:
	v_cmp_eq_u32_e32 vcc, 0, v39
	v_cndmask_b32_e32 v36, 0, v36, vcc
	v_add_u32_e32 v35, v40, v39
	v_cndmask_b32_e32 v39, 0, v41, vcc
	v_add_co_u32_e32 v37, vcc, v36, v37
	v_addc_co_u32_e32 v38, vcc, v39, v38, vcc
	v_mov_b32_e32 v39, v35
; %bb.68:
	s_or_b64 exec, exec, s[4:5]
	v_and_b32_e32 v41, 16, v44
	v_mov_b32_dpp v36, v39 row_bcast:15 row_mask:0xf bank_mask:0xf
	v_mov_b32_dpp v35, v37 row_bcast:15 row_mask:0xf bank_mask:0xf
	;; [unrolled: 1-line block ×3, first 2 shown]
	v_cmp_ne_u32_e32 vcc, 0, v41
	s_and_saveexec_b64 s[4:5], vcc
; %bb.69:
	v_cmp_eq_u32_e32 vcc, 0, v39
	v_cndmask_b32_e32 v35, 0, v35, vcc
	v_add_u32_e32 v36, v36, v39
	v_cndmask_b32_e32 v39, 0, v40, vcc
	v_add_co_u32_e32 v37, vcc, v35, v37
	v_addc_co_u32_e32 v38, vcc, v39, v38, vcc
	v_mov_b32_e32 v39, v36
; %bb.70:
	s_or_b64 exec, exec, s[4:5]
	s_nop 0
	v_mov_b32_dpp v36, v39 row_bcast:31 row_mask:0xf bank_mask:0xf
	v_mov_b32_dpp v35, v37 row_bcast:31 row_mask:0xf bank_mask:0xf
	v_mov_b32_dpp v40, v38 row_bcast:31 row_mask:0xf bank_mask:0xf
	v_cmp_lt_u32_e32 vcc, 31, v44
	s_and_saveexec_b64 s[4:5], vcc
; %bb.71:
	v_cmp_eq_u32_e32 vcc, 0, v39
	v_cndmask_b32_e32 v35, 0, v35, vcc
	v_add_u32_e32 v36, v36, v39
	v_cndmask_b32_e32 v39, 0, v40, vcc
	v_add_co_u32_e32 v37, vcc, v35, v37
	v_addc_co_u32_e32 v38, vcc, v39, v38, vcc
	v_mov_b32_e32 v39, v36
; %bb.72:
	s_or_b64 exec, exec, s[4:5]
	v_lshrrev_b32_e32 v35, 6, v0
	v_or_b32_e32 v36, 63, v0
	v_cmp_eq_u32_e32 vcc, v0, v36
	v_lshlrev_b32_e32 v40, 4, v35
	s_and_saveexec_b64 s[4:5], vcc
	s_cbranch_execz .LBB2083_74
; %bb.73:
	ds_write_b32 v40, v39 offset:1056
	ds_write_b64 v40, v[37:38] offset:1064
.LBB2083_74:
	s_or_b64 exec, exec, s[4:5]
	v_cmp_gt_u32_e32 vcc, 4, v0
	s_waitcnt lgkmcnt(0)
	s_barrier
	s_and_saveexec_b64 s[4:5], vcc
	s_cbranch_execz .LBB2083_80
; %bb.75:
	v_lshlrev_b32_e32 v41, 4, v0
	ds_read_b32 v42, v41 offset:1056
	ds_read_b64 v[35:36], v41 offset:1064
	v_and_b32_e32 v43, 3, v44
	v_cmp_ne_u32_e32 vcc, 0, v43
	s_waitcnt lgkmcnt(1)
	v_mov_b32_dpp v46, v42 row_shr:1 row_mask:0xf bank_mask:0xf
	s_waitcnt lgkmcnt(0)
	v_mov_b32_dpp v45, v35 row_shr:1 row_mask:0xf bank_mask:0xf
	v_mov_b32_dpp v47, v36 row_shr:1 row_mask:0xf bank_mask:0xf
	s_and_saveexec_b64 s[34:35], vcc
; %bb.76:
	v_cmp_eq_u32_e32 vcc, 0, v42
	v_cndmask_b32_e32 v45, 0, v45, vcc
	v_add_u32_e32 v46, v46, v42
	v_cndmask_b32_e32 v42, 0, v47, vcc
	v_add_co_u32_e32 v35, vcc, v45, v35
	v_addc_co_u32_e32 v36, vcc, v42, v36, vcc
	v_mov_b32_e32 v42, v46
; %bb.77:
	s_or_b64 exec, exec, s[34:35]
	s_nop 0
	v_mov_b32_dpp v46, v42 row_shr:2 row_mask:0xf bank_mask:0xf
	v_mov_b32_dpp v45, v35 row_shr:2 row_mask:0xf bank_mask:0xf
	v_mov_b32_dpp v47, v36 row_shr:2 row_mask:0xf bank_mask:0xf
	v_cmp_lt_u32_e32 vcc, 1, v43
	s_and_saveexec_b64 s[34:35], vcc
; %bb.78:
	v_cmp_eq_u32_e32 vcc, 0, v42
	v_cndmask_b32_e32 v45, 0, v45, vcc
	v_add_u32_e32 v43, v46, v42
	v_cndmask_b32_e32 v42, 0, v47, vcc
	v_add_co_u32_e32 v35, vcc, v45, v35
	v_addc_co_u32_e32 v36, vcc, v42, v36, vcc
	v_mov_b32_e32 v42, v43
; %bb.79:
	s_or_b64 exec, exec, s[34:35]
	ds_write_b32 v41, v42 offset:1056
	ds_write_b64 v41, v[35:36] offset:1064
.LBB2083_80:
	s_or_b64 exec, exec, s[4:5]
	v_mov_b32_e32 v35, 0
	v_cmp_gt_u32_e32 vcc, 64, v0
	v_cmp_lt_u32_e64 s[4:5], 63, v0
	v_mov_b32_e32 v36, 0
	v_mov_b32_e32 v47, 0
	s_waitcnt lgkmcnt(0)
	s_barrier
	s_and_saveexec_b64 s[34:35], s[4:5]
	s_cbranch_execz .LBB2083_82
; %bb.81:
	ds_read_b32 v47, v40 offset:1040
	ds_read_b64 v[35:36], v40 offset:1048
	v_cmp_eq_u32_e64 s[4:5], 0, v39
	s_waitcnt lgkmcnt(1)
	v_add_u32_e32 v40, v47, v39
	s_waitcnt lgkmcnt(0)
	v_cndmask_b32_e64 v41, 0, v35, s[4:5]
	v_cndmask_b32_e64 v39, 0, v36, s[4:5]
	v_add_co_u32_e64 v37, s[4:5], v41, v37
	v_addc_co_u32_e64 v38, s[4:5], v39, v38, s[4:5]
	v_mov_b32_e32 v39, v40
.LBB2083_82:
	s_or_b64 exec, exec, s[34:35]
	v_subrev_co_u32_e64 v40, s[34:35], 1, v44
	v_and_b32_e32 v41, 64, v44
	v_cmp_lt_i32_e64 s[4:5], v40, v41
	v_cndmask_b32_e64 v40, v40, v44, s[4:5]
	v_lshlrev_b32_e32 v40, 2, v40
	ds_bpermute_b32 v48, v40, v39
	ds_bpermute_b32 v49, v40, v37
	;; [unrolled: 1-line block ×3, first 2 shown]
	s_and_saveexec_b64 s[52:53], vcc
	s_cbranch_execz .LBB2083_126
; %bb.83:
	v_mov_b32_e32 v41, 0
	ds_read_b32 v51, v41 offset:1104
	ds_read_b64 v[37:38], v41 offset:1112
	s_and_saveexec_b64 s[4:5], s[34:35]
	s_cbranch_execz .LBB2083_85
; %bb.84:
	s_add_i32 s62, s64, 64
	s_mov_b32 s63, 0
	s_lshl_b64 s[66:67], s[62:63], 4
	s_add_u32 s66, s40, s66
	s_addc_u32 s67, s41, s67
	v_mov_b32_e32 v39, 1
	v_mov_b32_e32 v40, s62
	s_waitcnt lgkmcnt(1)
	global_store_dword v41, v51, s[66:67]
	s_waitcnt lgkmcnt(0)
	global_store_dwordx2 v41, v[37:38], s[66:67] offset:8
	s_waitcnt vmcnt(0)
	buffer_wbinvl1_vol
	global_store_byte v40, v39, s[44:45]
.LBB2083_85:
	s_or_b64 exec, exec, s[4:5]
	v_xad_u32 v39, v44, -1, s64
	v_add_u32_e32 v40, 64, v39
	global_load_ubyte v52, v40, s[44:45] glc
	s_waitcnt vmcnt(0)
	v_cmp_eq_u16_e32 vcc, 0, v52
	s_and_saveexec_b64 s[4:5], vcc
	s_cbranch_execz .LBB2083_89
; %bb.86:
	v_mov_b32_e32 v43, s45
	v_add_co_u32_e32 v42, vcc, s44, v40
	v_addc_co_u32_e32 v43, vcc, 0, v43, vcc
	s_mov_b64 s[62:63], 0
.LBB2083_87:                            ; =>This Inner Loop Header: Depth=1
	global_load_ubyte v52, v[42:43], off glc
	s_waitcnt vmcnt(0)
	v_cmp_ne_u16_e32 vcc, 0, v52
	s_or_b64 s[62:63], vcc, s[62:63]
	s_andn2_b64 exec, exec, s[62:63]
	s_cbranch_execnz .LBB2083_87
; %bb.88:
	s_or_b64 exec, exec, s[62:63]
.LBB2083_89:
	s_or_b64 exec, exec, s[4:5]
	v_mov_b32_e32 v42, s43
	v_mov_b32_e32 v43, s41
	v_cmp_eq_u16_e32 vcc, 1, v52
	v_cndmask_b32_e32 v42, v42, v43, vcc
	v_mov_b32_e32 v43, s42
	v_mov_b32_e32 v45, s40
	v_lshlrev_b64 v[40:41], 4, v[40:41]
	v_cndmask_b32_e32 v43, v43, v45, vcc
	v_add_co_u32_e32 v40, vcc, v43, v40
	v_addc_co_u32_e32 v41, vcc, v42, v41, vcc
	s_waitcnt lgkmcnt(0)
	buffer_wbinvl1_vol
	global_load_dword v67, v[40:41], off
	global_load_dwordx2 v[45:46], v[40:41], off offset:8
	v_and_b32_e32 v53, 63, v44
	v_lshlrev_b64 v[41:42], v44, -1
	v_cmp_ne_u32_e64 s[4:5], 63, v53
	v_cmp_eq_u16_e32 vcc, 2, v52
	v_addc_co_u32_e64 v40, s[4:5], 0, v44, s[4:5]
	v_and_b32_e32 v43, vcc_hi, v42
	v_lshlrev_b32_e32 v54, 2, v40
	v_or_b32_e32 v40, 0x80000000, v43
	v_and_b32_e32 v57, vcc_lo, v41
	v_ffbl_b32_e32 v40, v40
	v_add_u32_e32 v40, 32, v40
	v_ffbl_b32_e32 v57, v57
	v_min_u32_e32 v40, v57, v40
	v_cmp_lt_u32_e32 vcc, v53, v40
	s_waitcnt vmcnt(1)
	ds_bpermute_b32 v55, v54, v67
	s_waitcnt vmcnt(0)
	ds_bpermute_b32 v43, v54, v45
	ds_bpermute_b32 v56, v54, v46
	s_and_saveexec_b64 s[4:5], vcc
	s_cbranch_execz .LBB2083_91
; %bb.90:
	v_cmp_eq_u32_e32 vcc, 0, v67
	s_waitcnt lgkmcnt(1)
	v_cndmask_b32_e32 v43, 0, v43, vcc
	v_add_u32_e32 v55, v55, v67
	s_waitcnt lgkmcnt(0)
	v_cndmask_b32_e32 v56, 0, v56, vcc
	v_add_co_u32_e32 v45, vcc, v43, v45
	v_addc_co_u32_e32 v46, vcc, v56, v46, vcc
	v_mov_b32_e32 v67, v55
.LBB2083_91:
	s_or_b64 exec, exec, s[4:5]
	v_cmp_gt_u32_e32 vcc, 62, v53
	s_waitcnt lgkmcnt(1)
	v_cndmask_b32_e64 v43, 0, 2, vcc
	v_add_lshl_u32 v55, v43, v44, 2
	ds_bpermute_b32 v57, v55, v67
	ds_bpermute_b32 v43, v55, v45
	ds_bpermute_b32 v58, v55, v46
	s_waitcnt lgkmcnt(3)
	v_add_u32_e32 v56, 2, v53
	v_cmp_le_u32_e32 vcc, v56, v40
	s_and_saveexec_b64 s[4:5], vcc
	s_cbranch_execz .LBB2083_93
; %bb.92:
	v_cmp_eq_u32_e32 vcc, 0, v67
	s_waitcnt lgkmcnt(1)
	v_cndmask_b32_e32 v43, 0, v43, vcc
	v_add_u32_e32 v57, v57, v67
	s_waitcnt lgkmcnt(0)
	v_cndmask_b32_e32 v58, 0, v58, vcc
	v_add_co_u32_e32 v45, vcc, v43, v45
	v_addc_co_u32_e32 v46, vcc, v58, v46, vcc
	v_mov_b32_e32 v67, v57
.LBB2083_93:
	s_or_b64 exec, exec, s[4:5]
	v_cmp_gt_u32_e32 vcc, 60, v53
	s_waitcnt lgkmcnt(1)
	v_cndmask_b32_e64 v43, 0, 4, vcc
	v_add_lshl_u32 v57, v43, v44, 2
	ds_bpermute_b32 v59, v57, v67
	ds_bpermute_b32 v43, v57, v45
	ds_bpermute_b32 v60, v57, v46
	s_waitcnt lgkmcnt(3)
	v_add_u32_e32 v58, 4, v53
	v_cmp_le_u32_e32 vcc, v58, v40
	;; [unrolled: 24-line block ×4, first 2 shown]
	s_and_saveexec_b64 s[4:5], vcc
	s_cbranch_execz .LBB2083_99
; %bb.98:
	v_cmp_eq_u32_e32 vcc, 0, v67
	s_waitcnt lgkmcnt(1)
	v_cndmask_b32_e32 v43, 0, v43, vcc
	v_add_u32_e32 v63, v63, v67
	s_waitcnt lgkmcnt(0)
	v_cndmask_b32_e32 v64, 0, v64, vcc
	v_add_co_u32_e32 v45, vcc, v43, v45
	v_addc_co_u32_e32 v46, vcc, v64, v46, vcc
	v_mov_b32_e32 v67, v63
.LBB2083_99:
	s_or_b64 exec, exec, s[4:5]
	s_waitcnt lgkmcnt(1)
	v_mov_b32_e32 v43, 0x80
	s_waitcnt lgkmcnt(0)
	v_lshl_or_b32 v64, v44, 2, v43
	ds_bpermute_b32 v44, v64, v67
	ds_bpermute_b32 v43, v64, v45
	;; [unrolled: 1-line block ×3, first 2 shown]
	v_add_u32_e32 v65, 32, v53
	v_cmp_le_u32_e32 vcc, v65, v40
	s_and_saveexec_b64 s[4:5], vcc
	s_cbranch_execz .LBB2083_101
; %bb.100:
	v_cmp_eq_u32_e32 vcc, 0, v67
	s_waitcnt lgkmcnt(1)
	v_cndmask_b32_e32 v43, 0, v43, vcc
	v_add_u32_e32 v40, v44, v67
	s_waitcnt lgkmcnt(0)
	v_cndmask_b32_e32 v44, 0, v63, vcc
	v_add_co_u32_e32 v45, vcc, v43, v45
	v_addc_co_u32_e32 v46, vcc, v44, v46, vcc
	v_mov_b32_e32 v67, v40
.LBB2083_101:
	s_or_b64 exec, exec, s[4:5]
	v_mov_b32_e32 v40, 0
	v_mov_b32_e32 v66, 2
	s_branch .LBB2083_104
.LBB2083_102:                           ;   in Loop: Header=BB2083_104 Depth=1
	s_or_b64 exec, exec, s[4:5]
	v_cmp_eq_u32_e32 vcc, 0, v63
	v_cndmask_b32_e32 v45, 0, v45, vcc
	v_cndmask_b32_e32 v46, 0, v46, vcc
	v_add_co_u32_e32 v45, vcc, v45, v43
	v_subrev_u32_e32 v39, 64, v39
	v_add_u32_e32 v67, v68, v63
	v_addc_co_u32_e32 v46, vcc, v46, v44, vcc
	s_mov_b64 s[4:5], 0
.LBB2083_103:                           ;   in Loop: Header=BB2083_104 Depth=1
	s_and_b64 vcc, exec, s[4:5]
	s_cbranch_vccnz .LBB2083_122
.LBB2083_104:                           ; =>This Loop Header: Depth=1
                                        ;     Child Loop BB2083_107 Depth 2
	s_waitcnt lgkmcnt(1)
	v_mov_b32_e32 v43, v45
	v_cmp_ne_u16_sdwa s[4:5], v52, v66 src0_sel:BYTE_0 src1_sel:DWORD
	v_mov_b32_e32 v44, v46
	s_waitcnt lgkmcnt(0)
	v_mov_b32_e32 v63, v67
	s_cmp_lg_u64 s[4:5], exec
	s_mov_b64 s[4:5], -1
                                        ; implicit-def: $vgpr45_vgpr46
                                        ; implicit-def: $vgpr67
                                        ; implicit-def: $vgpr52
	s_cbranch_scc1 .LBB2083_103
; %bb.105:                              ;   in Loop: Header=BB2083_104 Depth=1
	global_load_ubyte v52, v39, s[44:45] glc
	s_waitcnt vmcnt(0)
	v_cmp_eq_u16_e32 vcc, 0, v52
	s_and_saveexec_b64 s[4:5], vcc
	s_cbranch_execz .LBB2083_109
; %bb.106:                              ;   in Loop: Header=BB2083_104 Depth=1
	v_mov_b32_e32 v46, s45
	v_add_co_u32_e32 v45, vcc, s44, v39
	v_addc_co_u32_e32 v46, vcc, 0, v46, vcc
	s_mov_b64 s[62:63], 0
.LBB2083_107:                           ;   Parent Loop BB2083_104 Depth=1
                                        ; =>  This Inner Loop Header: Depth=2
	global_load_ubyte v52, v[45:46], off glc
	s_waitcnt vmcnt(0)
	v_cmp_ne_u16_e32 vcc, 0, v52
	s_or_b64 s[62:63], vcc, s[62:63]
	s_andn2_b64 exec, exec, s[62:63]
	s_cbranch_execnz .LBB2083_107
; %bb.108:                              ;   in Loop: Header=BB2083_104 Depth=1
	s_or_b64 exec, exec, s[62:63]
.LBB2083_109:                           ;   in Loop: Header=BB2083_104 Depth=1
	s_or_b64 exec, exec, s[4:5]
	v_mov_b32_e32 v45, s43
	v_mov_b32_e32 v46, s41
	v_cmp_eq_u16_e32 vcc, 1, v52
	v_cndmask_b32_e32 v67, v45, v46, vcc
	v_mov_b32_e32 v45, s42
	v_mov_b32_e32 v46, s40
	v_cndmask_b32_e32 v68, v45, v46, vcc
	v_lshlrev_b64 v[45:46], 4, v[39:40]
	buffer_wbinvl1_vol
	v_add_co_u32_e32 v45, vcc, v68, v45
	v_addc_co_u32_e32 v46, vcc, v67, v46, vcc
	global_load_dword v68, v[45:46], off
	s_nop 0
	global_load_dwordx2 v[45:46], v[45:46], off offset:8
	v_cmp_eq_u16_e32 vcc, 2, v52
	v_and_b32_e32 v67, vcc_hi, v42
	v_or_b32_e32 v67, 0x80000000, v67
	v_and_b32_e32 v99, vcc_lo, v41
	v_ffbl_b32_e32 v67, v67
	v_add_u32_e32 v67, 32, v67
	v_ffbl_b32_e32 v99, v99
	v_min_u32_e32 v67, v99, v67
	v_cmp_lt_u32_e32 vcc, v53, v67
	s_waitcnt vmcnt(1)
	ds_bpermute_b32 v72, v54, v68
	s_waitcnt vmcnt(0)
	ds_bpermute_b32 v71, v54, v45
	ds_bpermute_b32 v98, v54, v46
	s_and_saveexec_b64 s[4:5], vcc
	s_cbranch_execz .LBB2083_111
; %bb.110:                              ;   in Loop: Header=BB2083_104 Depth=1
	v_cmp_eq_u32_e32 vcc, 0, v68
	s_waitcnt lgkmcnt(1)
	v_cndmask_b32_e32 v71, 0, v71, vcc
	v_add_u32_e32 v72, v72, v68
	s_waitcnt lgkmcnt(0)
	v_cndmask_b32_e32 v68, 0, v98, vcc
	v_add_co_u32_e32 v45, vcc, v71, v45
	v_addc_co_u32_e32 v46, vcc, v68, v46, vcc
	v_mov_b32_e32 v68, v72
.LBB2083_111:                           ;   in Loop: Header=BB2083_104 Depth=1
	s_or_b64 exec, exec, s[4:5]
	s_waitcnt lgkmcnt(2)
	ds_bpermute_b32 v72, v55, v68
	s_waitcnt lgkmcnt(2)
	ds_bpermute_b32 v71, v55, v45
	s_waitcnt lgkmcnt(2)
	ds_bpermute_b32 v98, v55, v46
	v_cmp_le_u32_e32 vcc, v56, v67
	s_and_saveexec_b64 s[4:5], vcc
	s_cbranch_execz .LBB2083_113
; %bb.112:                              ;   in Loop: Header=BB2083_104 Depth=1
	v_cmp_eq_u32_e32 vcc, 0, v68
	s_waitcnt lgkmcnt(1)
	v_cndmask_b32_e32 v71, 0, v71, vcc
	v_add_u32_e32 v72, v72, v68
	s_waitcnt lgkmcnt(0)
	v_cndmask_b32_e32 v68, 0, v98, vcc
	v_add_co_u32_e32 v45, vcc, v71, v45
	v_addc_co_u32_e32 v46, vcc, v68, v46, vcc
	v_mov_b32_e32 v68, v72
.LBB2083_113:                           ;   in Loop: Header=BB2083_104 Depth=1
	s_or_b64 exec, exec, s[4:5]
	s_waitcnt lgkmcnt(2)
	ds_bpermute_b32 v72, v57, v68
	s_waitcnt lgkmcnt(2)
	ds_bpermute_b32 v71, v57, v45
	s_waitcnt lgkmcnt(2)
	ds_bpermute_b32 v98, v57, v46
	v_cmp_le_u32_e32 vcc, v58, v67
	;; [unrolled: 21-line block ×5, first 2 shown]
	s_and_saveexec_b64 s[4:5], vcc
	s_cbranch_execz .LBB2083_102
; %bb.120:                              ;   in Loop: Header=BB2083_104 Depth=1
	v_cmp_eq_u32_e32 vcc, 0, v68
	s_waitcnt lgkmcnt(1)
	v_cndmask_b32_e32 v71, 0, v71, vcc
	v_add_u32_e32 v67, v72, v68
	s_waitcnt lgkmcnt(0)
	v_cndmask_b32_e32 v68, 0, v98, vcc
	v_add_co_u32_e32 v45, vcc, v71, v45
	v_addc_co_u32_e32 v46, vcc, v68, v46, vcc
	v_mov_b32_e32 v68, v67
	s_branch .LBB2083_102
.LBB2083_121:
                                        ; implicit-def: $vgpr35
                                        ; implicit-def: $vgpr37_vgpr38
                                        ; implicit-def: $vgpr39
                                        ; implicit-def: $vgpr65_vgpr66
                                        ; implicit-def: $vgpr41_vgpr42
                                        ; implicit-def: $vgpr43_vgpr44
                                        ; implicit-def: $vgpr45_vgpr46
                                        ; implicit-def: $vgpr47_vgpr48
                                        ; implicit-def: $vgpr49_vgpr50
                                        ; implicit-def: $vgpr51_vgpr52
                                        ; implicit-def: $vgpr53_vgpr54
                                        ; implicit-def: $vgpr55_vgpr56
                                        ; implicit-def: $vgpr57_vgpr58
                                        ; implicit-def: $vgpr59_vgpr60
                                        ; implicit-def: $vgpr61_vgpr62
                                        ; implicit-def: $vgpr63_vgpr64
                                        ; implicit-def: $vgpr67_vgpr68
                                        ; implicit-def: $vgpr71_vgpr72
                                        ; implicit-def: $vgpr36
	s_cbranch_execnz .LBB2083_127
	s_branch .LBB2083_154
.LBB2083_122:
	s_and_saveexec_b64 s[4:5], s[34:35]
	s_cbranch_execz .LBB2083_124
; %bb.123:
	s_mov_b32 s41, 0
	v_cmp_eq_u32_e32 vcc, 0, v51
	s_add_i32 s40, s64, 64
	v_cndmask_b32_e32 v39, 0, v43, vcc
	s_lshl_b64 s[62:63], s[40:41], 4
	v_cndmask_b32_e32 v40, 0, v44, vcc
	v_add_co_u32_e32 v39, vcc, v39, v37
	s_add_u32 s62, s42, s62
	v_add_u32_e32 v41, v63, v51
	v_addc_co_u32_e32 v40, vcc, v40, v38, vcc
	s_addc_u32 s63, s43, s63
	v_mov_b32_e32 v42, 0
	global_store_dword v42, v41, s[62:63]
	global_store_dwordx2 v42, v[39:40], s[62:63] offset:8
	v_mov_b32_e32 v39, 2
	v_mov_b32_e32 v40, s40
	s_waitcnt vmcnt(0) lgkmcnt(0)
	buffer_wbinvl1_vol
	global_store_byte v40, v39, s[44:45]
	ds_write_b32 v42, v51 offset:1024
	ds_write_b64 v42, v[37:38] offset:1032
	ds_write_b32 v42, v63 offset:1040
	ds_write_b64 v42, v[43:44] offset:1048
.LBB2083_124:
	s_or_b64 exec, exec, s[4:5]
	s_and_b64 exec, exec, s[38:39]
	s_cbranch_execz .LBB2083_126
; %bb.125:
	v_mov_b32_e32 v37, 0
	ds_write_b32 v37, v63 offset:1104
	ds_write_b64 v37, v[43:44] offset:1112
.LBB2083_126:
	s_or_b64 exec, exec, s[52:53]
	v_mov_b32_e32 v40, 0
	s_waitcnt vmcnt(0) lgkmcnt(0)
	s_barrier
	ds_read_b32 v39, v40 offset:1104
	ds_read_b64 v[37:38], v40 offset:1112
	v_cndmask_b32_e64 v41, v48, v47, s[34:35]
	v_cmp_eq_u32_e32 vcc, 0, v41
	v_cndmask_b32_e64 v35, v49, v35, s[34:35]
	v_cndmask_b32_e64 v36, v50, v36, s[34:35]
	s_waitcnt lgkmcnt(0)
	v_cndmask_b32_e32 v43, 0, v37, vcc
	v_cndmask_b32_e32 v42, 0, v38, vcc
	v_add_co_u32_e32 v35, vcc, v43, v35
	v_addc_co_u32_e32 v42, vcc, v42, v36, vcc
	v_cndmask_b32_e64 v65, v35, v37, s[38:39]
	v_cmp_eq_u32_e32 vcc, 0, v81
	v_cndmask_b32_e64 v66, v42, v38, s[38:39]
	v_cndmask_b32_e32 v37, 0, v65, vcc
	v_cndmask_b32_e64 v36, v41, 0, s[38:39]
	v_cndmask_b32_e32 v35, 0, v66, vcc
	v_add_co_u32_e32 v41, vcc, v37, v29
	v_addc_co_u32_e32 v42, vcc, v35, v30, vcc
	v_cndmask_b32_e64 v37, 0, v41, s[30:31]
	v_cndmask_b32_e64 v35, 0, v42, s[30:31]
	v_add_co_u32_e32 v43, vcc, v37, v31
	v_addc_co_u32_e32 v44, vcc, v35, v32, vcc
	v_cndmask_b32_e64 v37, 0, v43, s[28:29]
	v_cndmask_b32_e64 v35, 0, v44, s[28:29]
	;; [unrolled: 4-line block ×11, first 2 shown]
	v_add_co_u32_e32 v63, vcc, v37, v11
	v_add_u32_e32 v36, v39, v36
	v_addc_co_u32_e32 v64, vcc, v35, v12, vcc
	s_barrier
	ds_read_b32 v35, v40 offset:1024
	ds_read_b64 v[37:38], v40 offset:1032
	ds_read_b32 v39, v40 offset:1040
	ds_read_b64 v[98:99], v40 offset:1048
	v_cndmask_b32_e64 v67, 0, v63, s[8:9]
	v_cndmask_b32_e64 v68, 0, v64, s[8:9]
	v_add_co_u32_e32 v67, vcc, v67, v1
	v_addc_co_u32_e32 v68, vcc, v68, v2, vcc
	s_waitcnt lgkmcnt(3)
	v_cmp_eq_u32_e32 vcc, 0, v35
	s_waitcnt lgkmcnt(0)
	v_cndmask_b32_e32 v98, 0, v98, vcc
	v_cndmask_b32_e32 v40, 0, v99, vcc
	v_add_co_u32_e32 v37, vcc, v98, v37
	v_cndmask_b32_e64 v72, 0, v68, s[6:7]
	v_cndmask_b32_e64 v71, 0, v67, s[6:7]
	v_addc_co_u32_e32 v38, vcc, v40, v38, vcc
	s_branch .LBB2083_154
.LBB2083_127:
	s_cmp_eq_u64 s[36:37], 0
	s_cselect_b64 s[4:5], -1, 0
	s_or_b64 s[4:5], s[46:47], s[4:5]
	v_mov_b32_e32 v40, v30
	s_and_b64 vcc, exec, s[4:5]
	v_mov_b32_e32 v39, v29
	s_cbranch_vccnz .LBB2083_129
; %bb.128:
	v_mov_b32_e32 v35, 0
	global_load_dwordx2 v[39:40], v35, s[36:37]
.LBB2083_129:
	v_cmp_eq_u32_e64 s[28:29], 0, v94
	v_cndmask_b32_e64 v36, 0, v29, s[28:29]
	v_cndmask_b32_e64 v35, 0, v30, s[28:29]
	v_add_co_u32_e32 v36, vcc, v36, v31
	v_cmp_eq_u32_e64 s[26:27], 0, v93
	v_addc_co_u32_e32 v35, vcc, v35, v32, vcc
	v_cndmask_b32_e64 v36, 0, v36, s[26:27]
	v_cndmask_b32_e64 v35, 0, v35, s[26:27]
	v_add_co_u32_e32 v36, vcc, v36, v25
	v_cmp_eq_u32_e64 s[24:25], 0, v92
	v_addc_co_u32_e32 v35, vcc, v35, v26, vcc
	;; [unrolled: 5-line block ×11, first 2 shown]
	v_cndmask_b32_e64 v36, 0, v36, s[8:9]
	v_cndmask_b32_e64 v35, 0, v35, s[8:9]
	v_add_co_u32_e32 v36, vcc, v36, v1
	v_addc_co_u32_e32 v35, vcc, v35, v2, vcc
	v_cmp_eq_u32_e32 vcc, 0, v91
	v_add3_u32 v37, v97, v83, v84
	v_cndmask_b32_e32 v36, 0, v36, vcc
	v_add3_u32 v37, v37, v85, v86
	v_cndmask_b32_e32 v35, 0, v35, vcc
	v_add_co_u32_e64 v36, s[4:5], v36, v3
	v_add3_u32 v37, v37, v87, v88
	v_addc_co_u32_e64 v35, s[4:5], v35, v4, s[4:5]
	v_add3_u32 v37, v37, v89, v90
	v_cmp_eq_u32_e64 s[4:5], 0, v95
	v_add3_u32 v42, v37, v91, v95
	v_cndmask_b32_e64 v37, 0, v35, s[4:5]
	v_cndmask_b32_e64 v35, 0, v36, s[4:5]
	v_add_co_u32_e64 v35, s[4:5], v35, v69
	v_mbcnt_hi_u32_b32 v41, -1, v96
	v_addc_co_u32_e64 v36, s[4:5], v37, v70, s[4:5]
	v_and_b32_e32 v37, 15, v41
	v_mov_b32_dpp v43, v42 row_shr:1 row_mask:0xf bank_mask:0xf
	v_mov_b32_dpp v38, v35 row_shr:1 row_mask:0xf bank_mask:0xf
	;; [unrolled: 1-line block ×3, first 2 shown]
	v_cmp_ne_u32_e64 s[4:5], 0, v37
	s_and_saveexec_b64 s[30:31], s[4:5]
; %bb.130:
	v_cmp_eq_u32_e64 s[4:5], 0, v42
	v_cndmask_b32_e64 v38, 0, v38, s[4:5]
	v_add_u32_e32 v43, v43, v42
	v_cndmask_b32_e64 v42, 0, v44, s[4:5]
	v_add_co_u32_e64 v35, s[4:5], v38, v35
	v_addc_co_u32_e64 v36, s[4:5], v42, v36, s[4:5]
	v_mov_b32_e32 v42, v43
; %bb.131:
	s_or_b64 exec, exec, s[30:31]
	s_nop 0
	v_mov_b32_dpp v43, v42 row_shr:2 row_mask:0xf bank_mask:0xf
	v_mov_b32_dpp v38, v35 row_shr:2 row_mask:0xf bank_mask:0xf
	v_mov_b32_dpp v44, v36 row_shr:2 row_mask:0xf bank_mask:0xf
	v_cmp_lt_u32_e64 s[4:5], 1, v37
	s_and_saveexec_b64 s[30:31], s[4:5]
; %bb.132:
	v_cmp_eq_u32_e64 s[4:5], 0, v42
	v_cndmask_b32_e64 v38, 0, v38, s[4:5]
	v_add_u32_e32 v43, v43, v42
	v_cndmask_b32_e64 v42, 0, v44, s[4:5]
	v_add_co_u32_e64 v35, s[4:5], v38, v35
	v_addc_co_u32_e64 v36, s[4:5], v42, v36, s[4:5]
	v_mov_b32_e32 v42, v43
; %bb.133:
	s_or_b64 exec, exec, s[30:31]
	s_nop 0
	v_mov_b32_dpp v43, v42 row_shr:4 row_mask:0xf bank_mask:0xf
	v_mov_b32_dpp v38, v35 row_shr:4 row_mask:0xf bank_mask:0xf
	v_mov_b32_dpp v44, v36 row_shr:4 row_mask:0xf bank_mask:0xf
	v_cmp_lt_u32_e64 s[4:5], 3, v37
	;; [unrolled: 16-line block ×3, first 2 shown]
	s_and_saveexec_b64 s[30:31], s[4:5]
; %bb.136:
	v_cmp_eq_u32_e64 s[4:5], 0, v42
	v_cndmask_b32_e64 v38, 0, v38, s[4:5]
	v_add_u32_e32 v37, v43, v42
	v_cndmask_b32_e64 v42, 0, v44, s[4:5]
	v_add_co_u32_e64 v35, s[4:5], v38, v35
	v_addc_co_u32_e64 v36, s[4:5], v42, v36, s[4:5]
	v_mov_b32_e32 v42, v37
; %bb.137:
	s_or_b64 exec, exec, s[30:31]
	v_and_b32_e32 v44, 16, v41
	v_mov_b32_dpp v38, v42 row_bcast:15 row_mask:0xf bank_mask:0xf
	v_mov_b32_dpp v37, v35 row_bcast:15 row_mask:0xf bank_mask:0xf
	;; [unrolled: 1-line block ×3, first 2 shown]
	v_cmp_ne_u32_e64 s[4:5], 0, v44
	s_and_saveexec_b64 s[30:31], s[4:5]
; %bb.138:
	v_cmp_eq_u32_e64 s[4:5], 0, v42
	v_cndmask_b32_e64 v37, 0, v37, s[4:5]
	v_add_u32_e32 v38, v38, v42
	v_cndmask_b32_e64 v42, 0, v43, s[4:5]
	v_add_co_u32_e64 v35, s[4:5], v37, v35
	v_addc_co_u32_e64 v36, s[4:5], v42, v36, s[4:5]
	v_mov_b32_e32 v42, v38
; %bb.139:
	s_or_b64 exec, exec, s[30:31]
	s_nop 0
	v_mov_b32_dpp v38, v42 row_bcast:31 row_mask:0xf bank_mask:0xf
	v_mov_b32_dpp v37, v35 row_bcast:31 row_mask:0xf bank_mask:0xf
	;; [unrolled: 1-line block ×3, first 2 shown]
	v_cmp_lt_u32_e64 s[4:5], 31, v41
	s_and_saveexec_b64 s[30:31], s[4:5]
; %bb.140:
	v_cmp_eq_u32_e64 s[4:5], 0, v42
	v_cndmask_b32_e64 v37, 0, v37, s[4:5]
	v_add_u32_e32 v38, v38, v42
	v_cndmask_b32_e64 v42, 0, v43, s[4:5]
	v_add_co_u32_e64 v35, s[4:5], v37, v35
	v_addc_co_u32_e64 v36, s[4:5], v42, v36, s[4:5]
	v_mov_b32_e32 v42, v38
; %bb.141:
	s_or_b64 exec, exec, s[30:31]
	v_lshrrev_b32_e32 v37, 6, v0
	v_or_b32_e32 v38, 63, v0
	v_cmp_eq_u32_e64 s[4:5], v0, v38
	v_lshlrev_b32_e32 v43, 4, v37
	s_and_saveexec_b64 s[30:31], s[4:5]
	s_cbranch_execz .LBB2083_143
; %bb.142:
	ds_write_b32 v43, v42 offset:1056
	ds_write_b64 v43, v[35:36] offset:1064
.LBB2083_143:
	s_or_b64 exec, exec, s[30:31]
	v_cmp_gt_u32_e64 s[4:5], 4, v0
	s_waitcnt vmcnt(0) lgkmcnt(0)
	s_barrier
	s_and_saveexec_b64 s[30:31], s[4:5]
	s_cbranch_execz .LBB2083_149
; %bb.144:
	v_lshlrev_b32_e32 v44, 4, v0
	ds_read_b32 v45, v44 offset:1056
	ds_read_b64 v[37:38], v44 offset:1064
	v_and_b32_e32 v46, 3, v41
	v_cmp_ne_u32_e64 s[4:5], 0, v46
	s_waitcnt lgkmcnt(1)
	v_mov_b32_dpp v48, v45 row_shr:1 row_mask:0xf bank_mask:0xf
	s_waitcnt lgkmcnt(0)
	v_mov_b32_dpp v47, v37 row_shr:1 row_mask:0xf bank_mask:0xf
	v_mov_b32_dpp v49, v38 row_shr:1 row_mask:0xf bank_mask:0xf
	s_and_saveexec_b64 s[34:35], s[4:5]
; %bb.145:
	v_cmp_eq_u32_e64 s[4:5], 0, v45
	v_cndmask_b32_e64 v47, 0, v47, s[4:5]
	v_add_u32_e32 v48, v48, v45
	v_cndmask_b32_e64 v45, 0, v49, s[4:5]
	v_add_co_u32_e64 v37, s[4:5], v47, v37
	v_addc_co_u32_e64 v38, s[4:5], v45, v38, s[4:5]
	v_mov_b32_e32 v45, v48
; %bb.146:
	s_or_b64 exec, exec, s[34:35]
	s_nop 0
	v_mov_b32_dpp v48, v45 row_shr:2 row_mask:0xf bank_mask:0xf
	v_mov_b32_dpp v47, v37 row_shr:2 row_mask:0xf bank_mask:0xf
	;; [unrolled: 1-line block ×3, first 2 shown]
	v_cmp_lt_u32_e64 s[4:5], 1, v46
	s_and_saveexec_b64 s[34:35], s[4:5]
; %bb.147:
	v_cmp_eq_u32_e64 s[4:5], 0, v45
	v_cndmask_b32_e64 v47, 0, v47, s[4:5]
	v_add_u32_e32 v46, v48, v45
	v_cndmask_b32_e64 v45, 0, v49, s[4:5]
	v_add_co_u32_e64 v37, s[4:5], v47, v37
	v_addc_co_u32_e64 v38, s[4:5], v45, v38, s[4:5]
	v_mov_b32_e32 v45, v46
; %bb.148:
	s_or_b64 exec, exec, s[34:35]
	ds_write_b32 v44, v45 offset:1056
	ds_write_b64 v44, v[37:38] offset:1064
.LBB2083_149:
	s_or_b64 exec, exec, s[30:31]
	v_mov_b32_e32 v37, v39
	v_cmp_lt_u32_e64 s[4:5], 63, v0
	v_mov_b32_e32 v69, 0
	v_mov_b32_e32 v44, 0
	;; [unrolled: 1-line block ×3, first 2 shown]
	s_waitcnt lgkmcnt(0)
	s_barrier
	s_and_saveexec_b64 s[30:31], s[4:5]
	s_cbranch_execz .LBB2083_151
; %bb.150:
	ds_read_b32 v44, v43 offset:1040
	ds_read_b64 v[37:38], v43 offset:1048
	s_waitcnt lgkmcnt(1)
	v_cmp_eq_u32_e64 s[4:5], 0, v44
	v_cndmask_b32_e64 v45, 0, v39, s[4:5]
	v_cndmask_b32_e64 v43, 0, v40, s[4:5]
	s_waitcnt lgkmcnt(0)
	v_add_co_u32_e64 v37, s[4:5], v45, v37
	v_addc_co_u32_e64 v38, s[4:5], v43, v38, s[4:5]
.LBB2083_151:
	s_or_b64 exec, exec, s[30:31]
	v_cmp_eq_u32_e64 s[4:5], 0, v42
	v_cndmask_b32_e64 v45, 0, v37, s[4:5]
	v_add_u32_e32 v43, v44, v42
	v_cndmask_b32_e64 v42, 0, v38, s[4:5]
	v_add_co_u32_e64 v35, s[4:5], v45, v35
	v_addc_co_u32_e64 v36, s[4:5], v42, v36, s[4:5]
	v_subrev_co_u32_e64 v42, s[4:5], 1, v41
	v_and_b32_e32 v45, 64, v41
	v_cmp_lt_i32_e64 s[30:31], v42, v45
	v_cndmask_b32_e64 v41, v42, v41, s[30:31]
	v_lshlrev_b32_e32 v41, 2, v41
	ds_bpermute_b32 v35, v41, v35
	ds_bpermute_b32 v42, v41, v43
	;; [unrolled: 1-line block ×3, first 2 shown]
	s_waitcnt lgkmcnt(2)
	v_cndmask_b32_e64 v65, v35, v37, s[4:5]
	s_waitcnt lgkmcnt(1)
	v_cndmask_b32_e64 v36, v42, v44, s[4:5]
	;; [unrolled: 2-line block ×3, first 2 shown]
	v_cndmask_b32_e64 v35, v65, v39, s[38:39]
	v_cmp_eq_u32_e64 s[4:5], 0, v81
	v_cndmask_b32_e64 v37, v66, v40, s[38:39]
	v_cndmask_b32_e64 v35, 0, v35, s[4:5]
	;; [unrolled: 1-line block ×3, first 2 shown]
	v_add_co_u32_e64 v41, s[4:5], v35, v29
	v_addc_co_u32_e64 v42, s[4:5], v37, v30, s[4:5]
	v_cndmask_b32_e64 v30, 0, v41, s[28:29]
	v_cndmask_b32_e64 v29, 0, v42, s[28:29]
	v_add_co_u32_e64 v43, s[4:5], v30, v31
	v_addc_co_u32_e64 v44, s[4:5], v29, v32, s[4:5]
	v_cndmask_b32_e64 v30, 0, v43, s[26:27]
	v_cndmask_b32_e64 v29, 0, v44, s[26:27]
	;; [unrolled: 4-line block ×11, first 2 shown]
	v_add_co_u32_e64 v63, s[4:5], v10, v11
	v_addc_co_u32_e64 v64, s[4:5], v9, v12, s[4:5]
	v_cndmask_b32_e64 v10, 0, v63, s[8:9]
	ds_read_b32 v35, v69 offset:1104
	v_cndmask_b32_e64 v9, 0, v64, s[8:9]
	v_add_co_u32_e64 v67, s[4:5], v10, v1
	v_addc_co_u32_e64 v68, s[4:5], v9, v2, s[4:5]
	ds_read_b64 v[1:2], v69 offset:1112
	v_cndmask_b32_e32 v72, 0, v68, vcc
	v_cndmask_b32_e32 v71, 0, v67, vcc
	s_waitcnt lgkmcnt(1)
	v_cmp_eq_u32_e32 vcc, 0, v35
	v_cndmask_b32_e32 v10, 0, v39, vcc
	v_cndmask_b32_e32 v9, 0, v40, vcc
	s_waitcnt lgkmcnt(0)
	v_add_co_u32_e32 v37, vcc, v10, v1
	v_addc_co_u32_e32 v38, vcc, v9, v2, vcc
	s_and_saveexec_b64 s[4:5], s[38:39]
	s_cbranch_execz .LBB2083_153
; %bb.152:
	v_mov_b32_e32 v66, v40
	v_mov_b32_e32 v36, 0
	;; [unrolled: 1-line block ×4, first 2 shown]
	global_store_dword v36, v35, s[42:43] offset:1024
	global_store_dwordx2 v36, v[37:38], s[42:43] offset:1032
	s_waitcnt vmcnt(0)
	buffer_wbinvl1_vol
	global_store_byte v36, v1, s[44:45] offset:64
.LBB2083_153:
	s_or_b64 exec, exec, s[4:5]
	v_mov_b32_e32 v39, 0
.LBB2083_154:
	s_cmp_eq_u64 s[54:55], 0
	s_cselect_b64 s[4:5], -1, 0
	s_or_b64 s[4:5], s[46:47], s[4:5]
	v_mov_b32_e32 v9, 0
	s_and_b64 vcc, exec, s[4:5]
	v_mov_b32_e32 v10, 0
	s_waitcnt vmcnt(0)
	s_barrier
	s_cbranch_vccnz .LBB2083_156
; %bb.155:
	v_mov_b32_e32 v1, 0
	global_load_dwordx2 v[9:10], v1, s[54:55]
.LBB2083_156:
	buffer_load_dword v27, off, s[0:3], 0
	buffer_load_dword v28, off, s[0:3], 0 offset:4
	buffer_load_dword v29, off, s[0:3], 0 offset:8
	;; [unrolled: 1-line block ×13, first 2 shown]
	v_add_u32_e32 v24, v36, v81
	buffer_load_dword v81, off, s[0:3], 0 offset:56
	s_waitcnt vmcnt(15)
	v_lshlrev_b64 v[1:2], 1, v[9:10]
	v_mov_b32_e32 v40, 0
	v_mov_b32_e32 v13, s57
	v_lshlrev_b64 v[11:12], 1, v[39:40]
	v_add_co_u32_e32 v1, vcc, s56, v1
	v_addc_co_u32_e32 v2, vcc, v13, v2, vcc
	v_add_co_u32_e32 v25, vcc, v1, v11
	v_addc_co_u32_e32 v26, vcc, v2, v12, vcc
	v_add_u32_e32 v23, v24, v94
	v_add_u32_e32 v22, v23, v93
	;; [unrolled: 1-line block ×11, first 2 shown]
	s_movk_i32 s4, 0x100
	v_add_u32_e32 v12, v13, v90
	v_add_u32_e32 v11, v12, v91
	s_mov_b64 s[40:41], -1
	s_waitcnt vmcnt(14)
	v_cmp_eq_u32_e32 vcc, 0, v27
	v_cndmask_b32_e64 v1, 1, 2, vcc
	s_waitcnt vmcnt(13)
	v_cmp_eq_u32_e32 vcc, 0, v28
	v_cndmask_b32_e64 v2, 1, 2, vcc
	s_waitcnt vmcnt(12)
	v_cmp_eq_u32_e32 vcc, 0, v29
	v_cmp_ne_u32_e64 s[36:37], 0, v27
	v_cndmask_b32_e64 v27, 1, 2, vcc
	s_waitcnt vmcnt(11)
	v_cmp_eq_u32_e32 vcc, 0, v30
	v_and_b32_e32 v1, v2, v1
	v_cmp_ne_u32_e64 s[34:35], 0, v28
	v_cndmask_b32_e64 v28, 1, 2, vcc
	s_waitcnt vmcnt(10)
	v_cmp_eq_u32_e32 vcc, 0, v31
	v_and_b32_e32 v1, v1, v27
	;; [unrolled: 5-line block ×8, first 2 shown]
	v_cndmask_b32_e64 v82, 1, 2, vcc
	s_waitcnt vmcnt(3)
	v_cmp_eq_u32_e32 vcc, 0, v98
	v_and_b32_e32 v1, v1, v70
	v_cndmask_b32_e64 v83, 1, 2, vcc
	s_waitcnt vmcnt(2)
	v_cmp_eq_u32_e32 vcc, 0, v99
	v_and_b32_e32 v1, v1, v82
	v_cndmask_b32_e64 v84, 1, 2, vcc
	v_and_b32_e32 v1, v1, v83
	s_waitcnt vmcnt(1)
	v_cmp_eq_u32_e32 vcc, 0, v100
	v_and_b32_e32 v1, v1, v84
	v_cndmask_b32_e64 v2, 1, 2, vcc
	s_waitcnt vmcnt(0)
	v_cmp_eq_u32_e32 vcc, 0, v81
	v_and_b32_e32 v1, v1, v2
	v_cndmask_b32_e64 v2, 1, 2, vcc
	v_and_b32_e32 v1, v1, v2
	v_cmp_gt_u32_e32 vcc, s4, v35
	v_cmp_ne_u32_e64 s[18:19], 0, v95
	v_cmp_ne_u32_e64 s[16:17], 0, v96
	;; [unrolled: 1-line block ×7, first 2 shown]
	v_cmp_gt_i16_e64 s[4:5], 2, v1
	s_cbranch_vccz .LBB2083_163
; %bb.157:
	s_and_saveexec_b64 s[40:41], s[4:5]
	s_cbranch_execz .LBB2083_162
; %bb.158:
	v_cmp_ne_u16_e32 vcc, 1, v1
	s_mov_b64 s[42:43], 0
	s_and_saveexec_b64 s[4:5], vcc
	s_xor_b64 s[4:5], exec, s[4:5]
	s_cbranch_execnz .LBB2083_210
; %bb.159:
	s_andn2_saveexec_b64 s[4:5], s[4:5]
	s_cbranch_execnz .LBB2083_226
.LBB2083_160:
	s_or_b64 exec, exec, s[4:5]
	s_and_b64 exec, exec, s[42:43]
	s_cbranch_execz .LBB2083_162
.LBB2083_161:
	v_sub_u32_e32 v27, v11, v39
	v_mov_b32_e32 v28, 0
	v_lshlrev_b64 v[27:28], 1, v[27:28]
	v_add_co_u32_e32 v27, vcc, v25, v27
	v_addc_co_u32_e32 v28, vcc, v26, v28, vcc
	global_store_short v[27:28], v73, off
.LBB2083_162:
	s_or_b64 exec, exec, s[40:41]
	s_mov_b64 s[40:41], 0
.LBB2083_163:
	s_and_b64 vcc, exec, s[40:41]
	s_cbranch_vccz .LBB2083_185
; %bb.164:
	v_cmp_gt_i16_e32 vcc, 2, v1
	s_and_saveexec_b64 s[4:5], vcc
	s_cbranch_execz .LBB2083_169
; %bb.165:
	v_cmp_ne_u16_e32 vcc, 1, v1
	s_mov_b64 s[42:43], 0
	s_and_saveexec_b64 s[40:41], vcc
	s_xor_b64 s[40:41], exec, s[40:41]
	s_cbranch_execnz .LBB2083_227
; %bb.166:
	s_andn2_saveexec_b64 s[6:7], s[40:41]
	s_cbranch_execnz .LBB2083_243
.LBB2083_167:
	s_or_b64 exec, exec, s[6:7]
	s_and_b64 exec, exec, s[42:43]
.LBB2083_168:
	v_sub_u32_e32 v1, v11, v39
	v_lshlrev_b32_e32 v1, 1, v1
	ds_write_b16 v1, v73
.LBB2083_169:
	s_or_b64 exec, exec, s[4:5]
	v_cmp_lt_u32_e32 vcc, v0, v35
	s_waitcnt vmcnt(0) lgkmcnt(0)
	s_barrier
	s_and_saveexec_b64 s[6:7], vcc
	s_cbranch_execz .LBB2083_184
; %bb.170:
	v_xad_u32 v2, v0, -1, v35
	s_movk_i32 s4, 0x1900
	s_movk_i32 s8, 0x18ff
	v_cmp_gt_u32_e64 s[4:5], s4, v2
	v_cmp_lt_u32_e32 vcc, s8, v2
	v_mov_b32_e32 v1, v0
	s_and_saveexec_b64 s[8:9], vcc
	s_cbranch_execz .LBB2083_181
; %bb.171:
	v_sub_u32_e32 v1, v0, v35
	v_or_b32_e32 v1, 0xff, v1
	v_cmp_ge_u32_e32 vcc, v1, v0
	s_mov_b64 s[12:13], -1
	v_mov_b32_e32 v1, v0
	s_and_saveexec_b64 s[10:11], vcc
	s_cbranch_execz .LBB2083_180
; %bb.172:
	v_lshrrev_b32_e32 v7, 8, v2
	v_add_u32_e32 v2, -1, v7
	v_or_b32_e32 v1, 0x100, v0
	v_lshrrev_b32_e32 v5, 1, v2
	v_add_u32_e32 v27, 1, v5
	v_mov_b32_e32 v6, v1
	s_mov_b32 s16, 0
	v_cmp_lt_u32_e32 vcc, 13, v2
	v_mov_b32_e32 v30, 0
	v_lshlrev_b32_e32 v8, 1, v0
	v_mov_b32_e32 v5, v0
	s_and_saveexec_b64 s[12:13], vcc
	s_cbranch_execz .LBB2083_176
; %bb.173:
	v_mov_b32_e32 v6, v1
	v_and_b32_e32 v28, -8, v27
	s_mov_b64 s[14:15], 0
	v_mov_b32_e32 v2, 0
	v_mov_b32_e32 v29, v8
	v_mov_b32_e32 v5, v0
.LBB2083_174:                           ; =>This Inner Loop Header: Depth=1
	v_mov_b32_e32 v1, v5
	v_add_u32_e32 v28, -8, v28
	v_lshlrev_b64 v[81:82], 1, v[1:2]
	v_add_u32_e32 v30, 0x200, v6
	v_mov_b32_e32 v31, v2
	s_add_i32 s16, s16, 16
	v_cmp_eq_u32_e32 vcc, 0, v28
	v_lshlrev_b64 v[83:84], 1, v[30:31]
	s_or_b64 s[14:15], vcc, s[14:15]
	v_add_co_u32_e32 v81, vcc, v25, v81
	v_add_u32_e32 v32, 0x400, v6
	v_mov_b32_e32 v33, v2
	v_addc_co_u32_e32 v82, vcc, v26, v82, vcc
	v_lshlrev_b64 v[31:32], 1, v[32:33]
	v_add_co_u32_e32 v83, vcc, v25, v83
	v_add_u32_e32 v69, 0x600, v6
	v_mov_b32_e32 v70, v2
	v_addc_co_u32_e32 v84, vcc, v26, v84, vcc
	v_lshlrev_b64 v[33:34], 1, v[69:70]
	;; [unrolled: 5-line block ×6, first 2 shown]
	v_add_co_u32_e32 v75, vcc, v25, v75
	v_mov_b32_e32 v1, v6
	v_addc_co_u32_e32 v76, vcc, v26, v76, vcc
	v_lshlrev_b64 v[79:80], 1, v[1:2]
	v_add_co_u32_e32 v77, vcc, v25, v77
	v_add_u32_e32 v1, 0x200, v5
	v_addc_co_u32_e32 v78, vcc, v26, v78, vcc
	v_lshlrev_b64 v[85:86], 1, v[1:2]
	v_add_co_u32_e32 v79, vcc, v25, v79
	v_add_u32_e32 v1, 0x400, v5
	v_addc_co_u32_e32 v80, vcc, v26, v80, vcc
	ds_read_u16 v89, v29
	ds_read_u16 v90, v29 offset:512
	ds_read_u16 v91, v29 offset:1024
	;; [unrolled: 1-line block ×15, first 2 shown]
	v_lshlrev_b64 v[87:88], 1, v[1:2]
	s_waitcnt lgkmcnt(14)
	global_store_short v[81:82], v89, off
	global_store_short v[79:80], v90, off
	v_add_co_u32_e32 v79, vcc, v25, v85
	v_add_u32_e32 v1, 0x600, v5
	v_addc_co_u32_e32 v80, vcc, v26, v86, vcc
	v_lshlrev_b64 v[81:82], 1, v[1:2]
	s_waitcnt lgkmcnt(13)
	global_store_short v[79:80], v91, off
	s_waitcnt lgkmcnt(12)
	global_store_short v[83:84], v92, off
	v_add_co_u32_e32 v79, vcc, v25, v87
	v_add_u32_e32 v1, 0x800, v5
	v_addc_co_u32_e32 v80, vcc, v26, v88, vcc
	v_lshlrev_b64 v[83:84], 1, v[1:2]
	s_waitcnt lgkmcnt(11)
	global_store_short v[79:80], v93, off
	s_waitcnt lgkmcnt(10)
	;; [unrolled: 8-line block ×5, first 2 shown]
	global_store_short v[73:74], v100, off
	v_add_co_u32_e32 v31, vcc, v25, v33
	v_addc_co_u32_e32 v32, vcc, v26, v34, vcc
	s_waitcnt lgkmcnt(3)
	global_store_short v[31:32], v101, off
	s_waitcnt lgkmcnt(2)
	global_store_short v[75:76], v102, off
	v_add_co_u32_e32 v31, vcc, v25, v69
	v_add_u32_e32 v29, 0x2000, v29
	v_add_u32_e32 v6, 0x1000, v6
	v_mov_b32_e32 v30, s16
	v_add_u32_e32 v5, 0x1000, v5
	v_addc_co_u32_e32 v32, vcc, v26, v70, vcc
	s_waitcnt lgkmcnt(1)
	global_store_short v[31:32], v103, off
	s_waitcnt lgkmcnt(0)
	global_store_short v[77:78], v104, off
	s_andn2_b64 exec, exec, s[14:15]
	s_cbranch_execnz .LBB2083_174
; %bb.175:
	s_or_b64 exec, exec, s[14:15]
.LBB2083_176:
	s_or_b64 exec, exec, s[12:13]
	v_and_b32_e32 v27, 7, v27
	v_cmp_ne_u32_e32 vcc, 0, v27
	s_and_saveexec_b64 s[12:13], vcc
	s_cbranch_execz .LBB2083_179
; %bb.177:
	v_lshl_or_b32 v8, v30, 9, v8
	s_mov_b64 s[14:15], 0
	v_mov_b32_e32 v2, 0
.LBB2083_178:                           ; =>This Inner Loop Header: Depth=1
	v_mov_b32_e32 v1, v5
	ds_read_u16 v32, v8
	ds_read_u16 v33, v8 offset:512
	v_add_u32_e32 v27, -1, v27
	v_lshlrev_b64 v[28:29], 1, v[1:2]
	v_mov_b32_e32 v1, v6
	v_cmp_eq_u32_e32 vcc, 0, v27
	v_lshlrev_b64 v[30:31], 1, v[1:2]
	s_or_b64 s[14:15], vcc, s[14:15]
	v_add_co_u32_e32 v28, vcc, v25, v28
	v_addc_co_u32_e32 v29, vcc, v26, v29, vcc
	v_add_u32_e32 v5, 0x200, v5
	v_add_u32_e32 v8, 0x400, v8
	;; [unrolled: 1-line block ×3, first 2 shown]
	v_add_co_u32_e32 v30, vcc, v25, v30
	v_addc_co_u32_e32 v31, vcc, v26, v31, vcc
	s_waitcnt lgkmcnt(1)
	global_store_short v[28:29], v32, off
	s_waitcnt lgkmcnt(0)
	global_store_short v[30:31], v33, off
	s_andn2_b64 exec, exec, s[14:15]
	s_cbranch_execnz .LBB2083_178
.LBB2083_179:
	s_or_b64 exec, exec, s[12:13]
	v_add_u32_e32 v2, 1, v7
	v_and_b32_e32 v5, 0x1fffffe, v2
	v_cmp_ne_u32_e32 vcc, v2, v5
	v_lshl_or_b32 v1, v5, 8, v0
	s_orn2_b64 s[12:13], vcc, exec
.LBB2083_180:
	s_or_b64 exec, exec, s[10:11]
	s_andn2_b64 s[4:5], s[4:5], exec
	s_and_b64 s[10:11], s[12:13], exec
	s_or_b64 s[4:5], s[4:5], s[10:11]
.LBB2083_181:
	s_or_b64 exec, exec, s[8:9]
	s_and_b64 exec, exec, s[4:5]
	s_cbranch_execz .LBB2083_184
; %bb.182:
	v_lshlrev_b32_e32 v5, 1, v1
	s_mov_b64 s[8:9], 0
	v_mov_b32_e32 v2, 0
.LBB2083_183:                           ; =>This Inner Loop Header: Depth=1
	ds_read_u16 v8, v5
	v_lshlrev_b64 v[6:7], 1, v[1:2]
	v_add_u32_e32 v1, 0x100, v1
	v_cmp_ge_u32_e32 vcc, v1, v35
	v_add_co_u32_e64 v6, s[4:5], v25, v6
	v_add_u32_e32 v5, 0x200, v5
	v_addc_co_u32_e64 v7, s[4:5], v26, v7, s[4:5]
	s_or_b64 s[8:9], vcc, s[8:9]
	s_waitcnt lgkmcnt(0)
	global_store_short v[6:7], v8, off
	s_andn2_b64 exec, exec, s[8:9]
	s_cbranch_execnz .LBB2083_183
.LBB2083_184:
	s_or_b64 exec, exec, s[6:7]
.LBB2083_185:
	s_and_b64 s[6:7], s[38:39], s[50:51]
	s_waitcnt vmcnt(0)
	s_barrier
	s_and_saveexec_b64 s[4:5], s[6:7]
	s_cbranch_execz .LBB2083_187
; %bb.186:
	v_mov_b32_e32 v1, 0
	buffer_store_dword v1, off, s[0:3], 0
.LBB2083_187:
	s_or_b64 exec, exec, s[4:5]
	s_mul_hi_u32 s4, s33, 0x88888889
	s_lshr_b32 s4, s4, 3
	v_cmp_eq_u32_e32 vcc, s4, v0
	s_and_b64 s[6:7], vcc, s[48:49]
	s_and_saveexec_b64 s[4:5], s[6:7]
	s_cbranch_execz .LBB2083_189
; %bb.188:
	s_lshl_b32 s6, s33, 2
	v_mov_b32_e32 v1, s6
	s_movk_i32 s6, 0xffc4
	v_mad_i32_i24 v1, v0, s6, v1
	v_mov_b32_e32 v2, 1
	buffer_store_dword v2, v1, s[0:3], 0 offen
.LBB2083_189:
	s_or_b64 exec, exec, s[4:5]
	buffer_load_dword v25, off, s[0:3], 0
	buffer_load_dword v26, off, s[0:3], 0 offset:4
	buffer_load_dword v27, off, s[0:3], 0 offset:8
	buffer_load_dword v28, off, s[0:3], 0 offset:12
	buffer_load_dword v29, off, s[0:3], 0 offset:16
	buffer_load_dword v30, off, s[0:3], 0 offset:20
	buffer_load_dword v31, off, s[0:3], 0 offset:24
	buffer_load_dword v32, off, s[0:3], 0 offset:28
	buffer_load_dword v33, off, s[0:3], 0 offset:32
	buffer_load_dword v34, off, s[0:3], 0 offset:36
	buffer_load_dword v69, off, s[0:3], 0 offset:40
	buffer_load_dword v70, off, s[0:3], 0 offset:44
	buffer_load_dword v73, off, s[0:3], 0 offset:48
	buffer_load_dword v74, off, s[0:3], 0 offset:52
	v_add_co_u32_e32 v1, vcc, v71, v3
	v_addc_co_u32_e32 v2, vcc, v72, v4, vcc
	buffer_load_dword v72, off, s[0:3], 0 offset:56
	v_lshlrev_b64 v[3:4], 3, v[9:10]
	v_mov_b32_e32 v71, s59
	v_lshlrev_b64 v[6:7], 3, v[39:40]
	v_add_co_u32_e32 v3, vcc, s58, v3
	v_addc_co_u32_e32 v4, vcc, v71, v4, vcc
	v_cndmask_b32_e64 v5, 0, 1, s[50:51]
	v_add_co_u32_e32 v3, vcc, v3, v6
	v_lshlrev_b32_e32 v75, 3, v5
	v_addc_co_u32_e32 v4, vcc, v4, v7, vcc
	v_add_co_u32_e32 v6, vcc, v3, v75
	v_addc_co_u32_e32 v7, vcc, 0, v4, vcc
	v_add_co_u32_e32 v6, vcc, -8, v6
	v_addc_co_u32_e32 v7, vcc, -1, v7, vcc
	s_cmpk_lg_i32 s33, 0xf00
	s_cselect_b64 s[4:5], -1, 0
	s_and_b64 s[4:5], s[4:5], s[48:49]
	v_sub_u32_e32 v40, v35, v5
	v_add_u32_e32 v8, v39, v5
	v_cndmask_b32_e64 v5, 0, 1, s[4:5]
	v_add_u32_e32 v5, v40, v5
	s_movk_i32 s36, 0x100
	s_mov_b64 s[38:39], -1
	s_waitcnt vmcnt(14)
	v_cmp_eq_u32_e32 vcc, 0, v25
	v_cmp_ne_u32_e64 s[34:35], 0, v25
	v_cndmask_b32_e64 v25, 1, 2, vcc
	s_waitcnt vmcnt(13)
	v_cmp_eq_u32_e32 vcc, 0, v26
	v_cmp_ne_u32_e64 s[30:31], 0, v26
	v_cndmask_b32_e64 v26, 1, 2, vcc
	;; [unrolled: 4-line block ×3, first 2 shown]
	s_waitcnt vmcnt(11)
	v_cmp_eq_u32_e32 vcc, 0, v28
	v_and_b32_e32 v25, v26, v25
	v_cmp_ne_u32_e64 s[26:27], 0, v28
	v_cndmask_b32_e64 v28, 1, 2, vcc
	s_waitcnt vmcnt(10)
	v_cmp_eq_u32_e32 vcc, 0, v29
	v_and_b32_e32 v25, v25, v27
	v_cmp_ne_u32_e64 s[24:25], 0, v29
	v_cndmask_b32_e64 v29, 1, 2, vcc
	s_waitcnt vmcnt(9)
	v_cmp_eq_u32_e32 vcc, 0, v30
	v_and_b32_e32 v25, v25, v28
	v_cmp_ne_u32_e64 s[22:23], 0, v30
	v_cndmask_b32_e64 v30, 1, 2, vcc
	s_waitcnt vmcnt(8)
	v_cmp_eq_u32_e32 vcc, 0, v31
	v_and_b32_e32 v25, v25, v29
	v_cmp_ne_u32_e64 s[20:21], 0, v31
	v_cndmask_b32_e64 v31, 1, 2, vcc
	s_waitcnt vmcnt(7)
	v_cmp_eq_u32_e32 vcc, 0, v32
	v_and_b32_e32 v25, v25, v30
	v_cmp_ne_u32_e64 s[18:19], 0, v32
	v_cndmask_b32_e64 v32, 1, 2, vcc
	s_waitcnt vmcnt(6)
	v_cmp_eq_u32_e32 vcc, 0, v33
	v_and_b32_e32 v25, v25, v31
	v_cmp_ne_u32_e64 s[16:17], 0, v33
	v_cndmask_b32_e64 v33, 1, 2, vcc
	s_waitcnt vmcnt(5)
	v_cmp_eq_u32_e32 vcc, 0, v34
	v_and_b32_e32 v25, v25, v32
	v_cmp_ne_u32_e64 s[14:15], 0, v34
	v_cndmask_b32_e64 v34, 1, 2, vcc
	s_waitcnt vmcnt(4)
	v_cmp_eq_u32_e32 vcc, 0, v69
	v_and_b32_e32 v25, v25, v33
	v_cndmask_b32_e64 v40, 1, 2, vcc
	v_and_b32_e32 v25, v25, v34
	s_waitcnt vmcnt(3)
	v_cmp_eq_u32_e32 vcc, 0, v70
	v_and_b32_e32 v25, v25, v40
	v_cndmask_b32_e64 v26, 1, 2, vcc
	s_waitcnt vmcnt(2)
	v_cmp_eq_u32_e32 vcc, 0, v73
	v_and_b32_e32 v25, v25, v26
	v_cndmask_b32_e64 v26, 1, 2, vcc
	;; [unrolled: 4-line block ×4, first 2 shown]
	v_and_b32_e32 v25, v25, v26
	v_cmp_gt_u32_e32 vcc, s36, v5
	v_cmp_ne_u32_e64 s[12:13], 0, v69
	v_cmp_ne_u32_e64 s[8:9], 0, v70
	v_cmp_ne_u32_e64 s[10:11], 0, v73
	v_cmp_ne_u32_e64 s[6:7], 0, v74
	v_cmp_ne_u32_e64 s[4:5], 0, v72
	v_cmp_gt_i16_e64 s[36:37], 2, v25
	s_cbranch_vccz .LBB2083_196
; %bb.190:
	s_and_saveexec_b64 s[38:39], s[36:37]
	s_cbranch_execz .LBB2083_195
; %bb.191:
	v_cmp_ne_u16_e32 vcc, 1, v25
	s_mov_b64 s[40:41], 0
	s_and_saveexec_b64 s[36:37], vcc
	s_xor_b64 s[36:37], exec, s[36:37]
	s_cbranch_execnz .LBB2083_244
; %bb.192:
	s_andn2_saveexec_b64 s[36:37], s[36:37]
	s_cbranch_execnz .LBB2083_260
.LBB2083_193:
	s_or_b64 exec, exec, s[36:37]
	s_and_b64 exec, exec, s[40:41]
	s_cbranch_execz .LBB2083_195
.LBB2083_194:
	v_sub_u32_e32 v26, v11, v8
	v_mov_b32_e32 v27, 0
	v_lshlrev_b64 v[26:27], 3, v[26:27]
	v_add_co_u32_e32 v26, vcc, v6, v26
	v_addc_co_u32_e32 v27, vcc, v7, v27, vcc
	global_store_dwordx2 v[26:27], v[1:2], off
.LBB2083_195:
	s_or_b64 exec, exec, s[38:39]
	s_mov_b64 s[38:39], 0
.LBB2083_196:
	s_and_b64 vcc, exec, s[38:39]
	s_cbranch_vccz .LBB2083_206
; %bb.197:
	v_cmp_gt_i16_e32 vcc, 2, v25
	s_and_saveexec_b64 s[36:37], vcc
	s_cbranch_execz .LBB2083_202
; %bb.198:
	v_cmp_ne_u16_e32 vcc, 1, v25
	s_mov_b64 s[40:41], 0
	s_and_saveexec_b64 s[38:39], vcc
	s_xor_b64 s[38:39], exec, s[38:39]
	s_cbranch_execnz .LBB2083_261
; %bb.199:
	s_andn2_saveexec_b64 s[4:5], s[38:39]
	s_cbranch_execnz .LBB2083_277
.LBB2083_200:
	s_or_b64 exec, exec, s[4:5]
	s_and_b64 exec, exec, s[40:41]
.LBB2083_201:
	v_sub_u32_e32 v8, v11, v8
	v_lshlrev_b32_e32 v8, 3, v8
	ds_write_b64 v8, v[1:2]
.LBB2083_202:
	s_or_b64 exec, exec, s[36:37]
	v_cmp_lt_u32_e32 vcc, v0, v5
	s_waitcnt vmcnt(0) lgkmcnt(0)
	s_barrier
	s_and_saveexec_b64 s[6:7], vcc
	s_cbranch_execz .LBB2083_205
; %bb.203:
	v_lshlrev_b32_e32 v8, 3, v0
	s_mov_b64 s[8:9], 0
	v_mov_b32_e32 v2, 0
	v_mov_b32_e32 v1, v0
.LBB2083_204:                           ; =>This Inner Loop Header: Depth=1
	ds_read_b64 v[13:14], v8
	v_lshlrev_b64 v[11:12], 3, v[1:2]
	v_add_u32_e32 v1, 0x100, v1
	v_cmp_ge_u32_e32 vcc, v1, v5
	v_add_co_u32_e64 v11, s[4:5], v6, v11
	v_add_u32_e32 v8, 0x800, v8
	v_addc_co_u32_e64 v12, s[4:5], v7, v12, s[4:5]
	s_or_b64 s[8:9], vcc, s[8:9]
	s_waitcnt lgkmcnt(0)
	global_store_dwordx2 v[11:12], v[13:14], off
	s_andn2_b64 exec, exec, s[8:9]
	s_cbranch_execnz .LBB2083_204
.LBB2083_205:
	s_or_b64 exec, exec, s[6:7]
.LBB2083_206:
	s_movk_i32 s4, 0xff
	v_cmp_eq_u32_e32 vcc, s4, v0
	s_and_b64 s[4:5], vcc, s[48:49]
	s_and_saveexec_b64 s[6:7], s[4:5]
	s_cbranch_execz .LBB2083_209
; %bb.207:
	v_add_co_u32_e32 v0, vcc, v35, v39
	v_addc_co_u32_e64 v1, s[4:5], 0, 0, vcc
	v_add_co_u32_e32 v0, vcc, v0, v9
	v_mov_b32_e32 v36, 0
	v_addc_co_u32_e32 v1, vcc, v1, v10, vcc
	s_cmpk_lg_i32 s33, 0xf00
	global_store_dwordx2 v36, v[0:1], s[60:61]
	s_cbranch_scc1 .LBB2083_209
; %bb.208:
	v_lshlrev_b64 v[0:1], 3, v[35:36]
	v_add_co_u32_e32 v0, vcc, v3, v0
	v_addc_co_u32_e32 v1, vcc, v4, v1, vcc
	global_store_dwordx2 v[0:1], v[37:38], off offset:-8
.LBB2083_209:
	s_endpgm
.LBB2083_210:
	s_and_saveexec_b64 s[42:43], s[36:37]
	s_cbranch_execnz .LBB2083_278
; %bb.211:
	s_or_b64 exec, exec, s[42:43]
	s_and_saveexec_b64 s[42:43], s[34:35]
	s_cbranch_execnz .LBB2083_279
.LBB2083_212:
	s_or_b64 exec, exec, s[42:43]
	s_and_saveexec_b64 s[42:43], s[30:31]
	s_cbranch_execnz .LBB2083_280
.LBB2083_213:
	s_or_b64 exec, exec, s[42:43]
	s_and_saveexec_b64 s[42:43], s[28:29]
	s_cbranch_execnz .LBB2083_281
.LBB2083_214:
	s_or_b64 exec, exec, s[42:43]
	s_and_saveexec_b64 s[42:43], s[26:27]
	s_cbranch_execnz .LBB2083_282
.LBB2083_215:
	s_or_b64 exec, exec, s[42:43]
	s_and_saveexec_b64 s[42:43], s[24:25]
	s_cbranch_execnz .LBB2083_283
.LBB2083_216:
	s_or_b64 exec, exec, s[42:43]
	s_and_saveexec_b64 s[42:43], s[22:23]
	s_cbranch_execnz .LBB2083_284
.LBB2083_217:
	s_or_b64 exec, exec, s[42:43]
	s_and_saveexec_b64 s[42:43], s[20:21]
	s_cbranch_execnz .LBB2083_285
.LBB2083_218:
	s_or_b64 exec, exec, s[42:43]
	s_and_saveexec_b64 s[42:43], s[18:19]
	s_cbranch_execnz .LBB2083_286
.LBB2083_219:
	s_or_b64 exec, exec, s[42:43]
	s_and_saveexec_b64 s[42:43], s[16:17]
	s_cbranch_execnz .LBB2083_287
.LBB2083_220:
	s_or_b64 exec, exec, s[42:43]
	s_and_saveexec_b64 s[42:43], s[14:15]
	s_cbranch_execnz .LBB2083_288
.LBB2083_221:
	s_or_b64 exec, exec, s[42:43]
	s_and_saveexec_b64 s[42:43], s[12:13]
	s_cbranch_execnz .LBB2083_289
.LBB2083_222:
	s_or_b64 exec, exec, s[42:43]
	s_and_saveexec_b64 s[42:43], s[10:11]
	s_cbranch_execnz .LBB2083_290
.LBB2083_223:
	s_or_b64 exec, exec, s[42:43]
	s_and_saveexec_b64 s[42:43], s[6:7]
	s_cbranch_execz .LBB2083_225
.LBB2083_224:
	v_sub_u32_e32 v27, v12, v39
	v_mov_b32_e32 v28, 0
	v_lshlrev_b64 v[27:28], 1, v[27:28]
	v_add_co_u32_e32 v27, vcc, v25, v27
	v_addc_co_u32_e32 v28, vcc, v26, v28, vcc
	global_store_short v[27:28], v34, off
.LBB2083_225:
	s_or_b64 exec, exec, s[42:43]
	s_and_b64 s[42:43], s[8:9], exec
	s_andn2_saveexec_b64 s[4:5], s[4:5]
	s_cbranch_execz .LBB2083_160
.LBB2083_226:
	v_sub_u32_e32 v27, v36, v39
	v_mov_b32_e32 v28, 0
	v_lshlrev_b64 v[29:30], 1, v[27:28]
	v_sub_u32_e32 v27, v24, v39
	v_add_co_u32_e32 v29, vcc, v25, v29
	v_addc_co_u32_e32 v30, vcc, v26, v30, vcc
	global_store_short v[29:30], v77, off
	v_lshlrev_b64 v[29:30], 1, v[27:28]
	v_sub_u32_e32 v27, v23, v39
	v_add_co_u32_e32 v29, vcc, v25, v29
	v_addc_co_u32_e32 v30, vcc, v26, v30, vcc
	global_store_short_d16_hi v[29:30], v77, off
	v_lshlrev_b64 v[29:30], 1, v[27:28]
	v_sub_u32_e32 v27, v22, v39
	v_add_co_u32_e32 v29, vcc, v25, v29
	v_addc_co_u32_e32 v30, vcc, v26, v30, vcc
	global_store_short v[29:30], v75, off
	v_lshlrev_b64 v[29:30], 1, v[27:28]
	v_sub_u32_e32 v27, v21, v39
	v_add_co_u32_e32 v29, vcc, v25, v29
	v_addc_co_u32_e32 v30, vcc, v26, v30, vcc
	global_store_short v[29:30], v5, off
	;; [unrolled: 5-line block ×10, first 2 shown]
	v_lshlrev_b64 v[29:30], 1, v[27:28]
	v_sub_u32_e32 v27, v12, v39
	v_add_co_u32_e32 v29, vcc, v25, v29
	v_lshlrev_b64 v[27:28], 1, v[27:28]
	v_addc_co_u32_e32 v30, vcc, v26, v30, vcc
	v_add_co_u32_e32 v27, vcc, v25, v27
	v_addc_co_u32_e32 v28, vcc, v26, v28, vcc
	s_or_b64 s[42:43], s[42:43], exec
	global_store_short v[29:30], v74, off
	global_store_short v[27:28], v34, off
	s_or_b64 exec, exec, s[4:5]
	s_and_b64 exec, exec, s[42:43]
	s_cbranch_execnz .LBB2083_161
	s_branch .LBB2083_162
.LBB2083_227:
	s_and_saveexec_b64 s[42:43], s[36:37]
	s_cbranch_execnz .LBB2083_291
; %bb.228:
	s_or_b64 exec, exec, s[42:43]
	s_and_saveexec_b64 s[36:37], s[34:35]
	s_cbranch_execnz .LBB2083_292
.LBB2083_229:
	s_or_b64 exec, exec, s[36:37]
	s_and_saveexec_b64 s[34:35], s[30:31]
	s_cbranch_execnz .LBB2083_293
.LBB2083_230:
	s_or_b64 exec, exec, s[34:35]
	s_and_saveexec_b64 s[30:31], s[28:29]
	s_cbranch_execnz .LBB2083_294
.LBB2083_231:
	s_or_b64 exec, exec, s[30:31]
	s_and_saveexec_b64 s[28:29], s[26:27]
	s_cbranch_execnz .LBB2083_295
.LBB2083_232:
	s_or_b64 exec, exec, s[28:29]
	s_and_saveexec_b64 s[26:27], s[24:25]
	s_cbranch_execnz .LBB2083_296
.LBB2083_233:
	s_or_b64 exec, exec, s[26:27]
	s_and_saveexec_b64 s[24:25], s[22:23]
	s_cbranch_execnz .LBB2083_297
.LBB2083_234:
	s_or_b64 exec, exec, s[24:25]
	s_and_saveexec_b64 s[22:23], s[20:21]
	s_cbranch_execnz .LBB2083_298
.LBB2083_235:
	s_or_b64 exec, exec, s[22:23]
	s_and_saveexec_b64 s[20:21], s[18:19]
	s_cbranch_execnz .LBB2083_299
.LBB2083_236:
	s_or_b64 exec, exec, s[20:21]
	s_and_saveexec_b64 s[18:19], s[16:17]
	s_cbranch_execnz .LBB2083_300
.LBB2083_237:
	s_or_b64 exec, exec, s[18:19]
	s_and_saveexec_b64 s[16:17], s[14:15]
	s_cbranch_execnz .LBB2083_301
.LBB2083_238:
	s_or_b64 exec, exec, s[16:17]
	s_and_saveexec_b64 s[14:15], s[12:13]
	s_cbranch_execnz .LBB2083_302
.LBB2083_239:
	s_or_b64 exec, exec, s[14:15]
	s_and_saveexec_b64 s[12:13], s[10:11]
	s_cbranch_execnz .LBB2083_303
.LBB2083_240:
	s_or_b64 exec, exec, s[12:13]
	s_and_saveexec_b64 s[10:11], s[6:7]
.LBB2083_241:
	v_sub_u32_e32 v1, v12, v39
	v_lshlrev_b32_e32 v1, 1, v1
	ds_write_b16 v1, v34
.LBB2083_242:
	s_or_b64 exec, exec, s[10:11]
	s_and_b64 s[42:43], s[8:9], exec
                                        ; implicit-def: $vgpr5
                                        ; implicit-def: $vgpr33
                                        ; implicit-def: $vgpr77
                                        ; implicit-def: $vgpr75
                                        ; implicit-def: $vgpr80
                                        ; implicit-def: $vgpr79
                                        ; implicit-def: $vgpr78
                                        ; implicit-def: $vgpr76
                                        ; implicit-def: $vgpr74
	s_andn2_saveexec_b64 s[6:7], s[40:41]
	s_cbranch_execz .LBB2083_167
.LBB2083_243:
	v_sub_u32_e32 v1, v36, v39
	v_lshlrev_b32_e32 v1, 1, v1
	ds_write_b16 v1, v77
	v_sub_u32_e32 v1, v24, v39
	v_lshlrev_b32_e32 v1, 1, v1
	ds_write_b16_d16_hi v1, v77
	v_sub_u32_e32 v1, v23, v39
	v_lshlrev_b32_e32 v1, 1, v1
	ds_write_b16 v1, v75
	v_sub_u32_e32 v1, v22, v39
	v_lshlrev_b32_e32 v1, 1, v1
	ds_write_b16 v1, v5
	;; [unrolled: 3-line block ×11, first 2 shown]
	v_sub_u32_e32 v1, v12, v39
	v_lshlrev_b32_e32 v1, 1, v1
	s_or_b64 s[42:43], s[42:43], exec
	ds_write_b16 v1, v34
	s_or_b64 exec, exec, s[6:7]
	s_and_b64 exec, exec, s[42:43]
	s_cbranch_execnz .LBB2083_168
	s_branch .LBB2083_169
.LBB2083_244:
	s_and_saveexec_b64 s[40:41], s[34:35]
	s_cbranch_execnz .LBB2083_304
; %bb.245:
	s_or_b64 exec, exec, s[40:41]
	s_and_saveexec_b64 s[40:41], s[30:31]
	s_cbranch_execnz .LBB2083_305
.LBB2083_246:
	s_or_b64 exec, exec, s[40:41]
	s_and_saveexec_b64 s[40:41], s[28:29]
	s_cbranch_execnz .LBB2083_306
.LBB2083_247:
	s_or_b64 exec, exec, s[40:41]
	s_and_saveexec_b64 s[40:41], s[26:27]
	s_cbranch_execnz .LBB2083_307
.LBB2083_248:
	s_or_b64 exec, exec, s[40:41]
	s_and_saveexec_b64 s[40:41], s[24:25]
	s_cbranch_execnz .LBB2083_308
.LBB2083_249:
	s_or_b64 exec, exec, s[40:41]
	s_and_saveexec_b64 s[40:41], s[22:23]
	s_cbranch_execnz .LBB2083_309
.LBB2083_250:
	s_or_b64 exec, exec, s[40:41]
	s_and_saveexec_b64 s[40:41], s[20:21]
	s_cbranch_execnz .LBB2083_310
.LBB2083_251:
	s_or_b64 exec, exec, s[40:41]
	s_and_saveexec_b64 s[40:41], s[18:19]
	s_cbranch_execnz .LBB2083_311
.LBB2083_252:
	s_or_b64 exec, exec, s[40:41]
	s_and_saveexec_b64 s[40:41], s[16:17]
	s_cbranch_execnz .LBB2083_312
.LBB2083_253:
	s_or_b64 exec, exec, s[40:41]
	s_and_saveexec_b64 s[40:41], s[14:15]
	s_cbranch_execnz .LBB2083_313
.LBB2083_254:
	s_or_b64 exec, exec, s[40:41]
	s_and_saveexec_b64 s[40:41], s[12:13]
	s_cbranch_execnz .LBB2083_314
.LBB2083_255:
	s_or_b64 exec, exec, s[40:41]
	s_and_saveexec_b64 s[40:41], s[8:9]
	s_cbranch_execnz .LBB2083_315
.LBB2083_256:
	s_or_b64 exec, exec, s[40:41]
	s_and_saveexec_b64 s[40:41], s[10:11]
	s_cbranch_execnz .LBB2083_316
.LBB2083_257:
	s_or_b64 exec, exec, s[40:41]
	s_and_saveexec_b64 s[40:41], s[6:7]
	s_cbranch_execz .LBB2083_259
.LBB2083_258:
	v_sub_u32_e32 v26, v12, v8
	v_mov_b32_e32 v27, 0
	v_lshlrev_b64 v[26:27], 3, v[26:27]
	v_add_co_u32_e32 v26, vcc, v6, v26
	v_addc_co_u32_e32 v27, vcc, v7, v27, vcc
	global_store_dwordx2 v[26:27], v[67:68], off
.LBB2083_259:
	s_or_b64 exec, exec, s[40:41]
	s_and_b64 s[40:41], s[4:5], exec
	s_andn2_saveexec_b64 s[36:37], s[36:37]
	s_cbranch_execz .LBB2083_193
.LBB2083_260:
	v_sub_u32_e32 v26, v36, v8
	v_mov_b32_e32 v27, 0
	v_lshlrev_b64 v[28:29], 3, v[26:27]
	v_sub_u32_e32 v26, v24, v8
	v_add_co_u32_e32 v28, vcc, v6, v28
	v_addc_co_u32_e32 v29, vcc, v7, v29, vcc
	global_store_dwordx2 v[28:29], v[65:66], off
	v_lshlrev_b64 v[28:29], 3, v[26:27]
	v_sub_u32_e32 v26, v23, v8
	v_add_co_u32_e32 v28, vcc, v6, v28
	v_addc_co_u32_e32 v29, vcc, v7, v29, vcc
	global_store_dwordx2 v[28:29], v[41:42], off
	;; [unrolled: 5-line block ×12, first 2 shown]
	v_lshlrev_b64 v[28:29], 3, v[26:27]
	v_sub_u32_e32 v26, v12, v8
	v_add_co_u32_e32 v28, vcc, v6, v28
	v_lshlrev_b64 v[26:27], 3, v[26:27]
	v_addc_co_u32_e32 v29, vcc, v7, v29, vcc
	v_add_co_u32_e32 v26, vcc, v6, v26
	v_addc_co_u32_e32 v27, vcc, v7, v27, vcc
	s_or_b64 s[40:41], s[40:41], exec
	global_store_dwordx2 v[28:29], v[63:64], off
	global_store_dwordx2 v[26:27], v[67:68], off
	s_or_b64 exec, exec, s[36:37]
	s_and_b64 exec, exec, s[40:41]
	s_cbranch_execnz .LBB2083_194
	s_branch .LBB2083_195
.LBB2083_261:
	s_and_saveexec_b64 s[40:41], s[34:35]
	s_cbranch_execnz .LBB2083_317
; %bb.262:
	s_or_b64 exec, exec, s[40:41]
	s_and_saveexec_b64 s[34:35], s[30:31]
	s_cbranch_execnz .LBB2083_318
.LBB2083_263:
	s_or_b64 exec, exec, s[34:35]
	s_and_saveexec_b64 s[30:31], s[28:29]
	s_cbranch_execnz .LBB2083_319
.LBB2083_264:
	s_or_b64 exec, exec, s[30:31]
	s_and_saveexec_b64 s[28:29], s[26:27]
	s_cbranch_execnz .LBB2083_320
.LBB2083_265:
	s_or_b64 exec, exec, s[28:29]
	s_and_saveexec_b64 s[26:27], s[24:25]
	s_cbranch_execnz .LBB2083_321
.LBB2083_266:
	s_or_b64 exec, exec, s[26:27]
	s_and_saveexec_b64 s[24:25], s[22:23]
	s_cbranch_execnz .LBB2083_322
.LBB2083_267:
	s_or_b64 exec, exec, s[24:25]
	s_and_saveexec_b64 s[22:23], s[20:21]
	s_cbranch_execnz .LBB2083_323
.LBB2083_268:
	s_or_b64 exec, exec, s[22:23]
	s_and_saveexec_b64 s[20:21], s[18:19]
	s_cbranch_execnz .LBB2083_324
.LBB2083_269:
	s_or_b64 exec, exec, s[20:21]
	s_and_saveexec_b64 s[18:19], s[16:17]
	s_cbranch_execnz .LBB2083_325
.LBB2083_270:
	s_or_b64 exec, exec, s[18:19]
	s_and_saveexec_b64 s[16:17], s[14:15]
	s_cbranch_execnz .LBB2083_326
.LBB2083_271:
	s_or_b64 exec, exec, s[16:17]
	s_and_saveexec_b64 s[14:15], s[12:13]
	s_cbranch_execnz .LBB2083_327
.LBB2083_272:
	s_or_b64 exec, exec, s[14:15]
	s_and_saveexec_b64 s[12:13], s[8:9]
	s_cbranch_execnz .LBB2083_328
.LBB2083_273:
	s_or_b64 exec, exec, s[12:13]
	s_and_saveexec_b64 s[8:9], s[10:11]
	s_cbranch_execnz .LBB2083_329
.LBB2083_274:
	s_or_b64 exec, exec, s[8:9]
	s_and_saveexec_b64 s[8:9], s[6:7]
.LBB2083_275:
	v_sub_u32_e32 v12, v12, v8
	v_lshlrev_b32_e32 v12, 3, v12
	ds_write_b64 v12, v[67:68]
.LBB2083_276:
	s_or_b64 exec, exec, s[8:9]
	s_and_b64 s[40:41], s[4:5], exec
                                        ; implicit-def: $vgpr65_vgpr66
                                        ; implicit-def: $vgpr41_vgpr42
                                        ; implicit-def: $vgpr43_vgpr44
                                        ; implicit-def: $vgpr45_vgpr46
                                        ; implicit-def: $vgpr47_vgpr48
                                        ; implicit-def: $vgpr49_vgpr50
                                        ; implicit-def: $vgpr51_vgpr52
                                        ; implicit-def: $vgpr53_vgpr54
                                        ; implicit-def: $vgpr55_vgpr56
                                        ; implicit-def: $vgpr57_vgpr58
                                        ; implicit-def: $vgpr59_vgpr60
                                        ; implicit-def: $vgpr61_vgpr62
                                        ; implicit-def: $vgpr63_vgpr64
                                        ; implicit-def: $vgpr67_vgpr68
                                        ; implicit-def: $vgpr36
                                        ; implicit-def: $vgpr24
                                        ; implicit-def: $vgpr23
                                        ; implicit-def: $vgpr22
                                        ; implicit-def: $vgpr21
                                        ; implicit-def: $vgpr20
                                        ; implicit-def: $vgpr19
                                        ; implicit-def: $vgpr18
                                        ; implicit-def: $vgpr17
                                        ; implicit-def: $vgpr16
                                        ; implicit-def: $vgpr15
                                        ; implicit-def: $vgpr14
                                        ; implicit-def: $vgpr13
                                        ; implicit-def: $vgpr12
	s_andn2_saveexec_b64 s[4:5], s[38:39]
	s_cbranch_execz .LBB2083_200
.LBB2083_277:
	v_sub_u32_e32 v25, v36, v8
	v_sub_u32_e32 v24, v24, v8
	v_sub_u32_e32 v23, v23, v8
	v_sub_u32_e32 v22, v22, v8
	v_sub_u32_e32 v21, v21, v8
	v_sub_u32_e32 v20, v20, v8
	v_sub_u32_e32 v19, v19, v8
	v_sub_u32_e32 v18, v18, v8
	v_sub_u32_e32 v17, v17, v8
	v_sub_u32_e32 v16, v16, v8
	v_sub_u32_e32 v15, v15, v8
	v_sub_u32_e32 v14, v14, v8
	v_sub_u32_e32 v13, v13, v8
	v_sub_u32_e32 v12, v12, v8
	v_lshlrev_b32_e32 v25, 3, v25
	v_lshlrev_b32_e32 v24, 3, v24
	v_lshlrev_b32_e32 v23, 3, v23
	v_lshlrev_b32_e32 v22, 3, v22
	v_lshlrev_b32_e32 v21, 3, v21
	v_lshlrev_b32_e32 v20, 3, v20
	v_lshlrev_b32_e32 v19, 3, v19
	v_lshlrev_b32_e32 v18, 3, v18
	v_lshlrev_b32_e32 v17, 3, v17
	v_lshlrev_b32_e32 v16, 3, v16
	v_lshlrev_b32_e32 v15, 3, v15
	v_lshlrev_b32_e32 v14, 3, v14
	v_lshlrev_b32_e32 v13, 3, v13
	v_lshlrev_b32_e32 v12, 3, v12
	s_or_b64 s[40:41], s[40:41], exec
	ds_write_b64 v25, v[65:66]
	ds_write_b64 v24, v[41:42]
	;; [unrolled: 1-line block ×14, first 2 shown]
	s_or_b64 exec, exec, s[4:5]
	s_and_b64 exec, exec, s[40:41]
	s_cbranch_execnz .LBB2083_201
	s_branch .LBB2083_202
.LBB2083_278:
	v_sub_u32_e32 v27, v36, v39
	v_mov_b32_e32 v28, 0
	v_lshlrev_b64 v[27:28], 1, v[27:28]
	v_add_co_u32_e32 v27, vcc, v25, v27
	v_addc_co_u32_e32 v28, vcc, v26, v28, vcc
	global_store_short v[27:28], v77, off
	s_or_b64 exec, exec, s[42:43]
	s_and_saveexec_b64 s[42:43], s[34:35]
	s_cbranch_execz .LBB2083_212
.LBB2083_279:
	v_sub_u32_e32 v27, v24, v39
	v_mov_b32_e32 v28, 0
	v_lshlrev_b64 v[27:28], 1, v[27:28]
	v_add_co_u32_e32 v27, vcc, v25, v27
	v_addc_co_u32_e32 v28, vcc, v26, v28, vcc
	global_store_short_d16_hi v[27:28], v77, off
	s_or_b64 exec, exec, s[42:43]
	s_and_saveexec_b64 s[42:43], s[30:31]
	s_cbranch_execz .LBB2083_213
.LBB2083_280:
	v_sub_u32_e32 v27, v23, v39
	v_mov_b32_e32 v28, 0
	v_lshlrev_b64 v[27:28], 1, v[27:28]
	v_add_co_u32_e32 v27, vcc, v25, v27
	v_addc_co_u32_e32 v28, vcc, v26, v28, vcc
	global_store_short v[27:28], v75, off
	s_or_b64 exec, exec, s[42:43]
	s_and_saveexec_b64 s[42:43], s[28:29]
	s_cbranch_execz .LBB2083_214
.LBB2083_281:
	v_sub_u32_e32 v27, v22, v39
	v_mov_b32_e32 v28, 0
	v_lshlrev_b64 v[27:28], 1, v[27:28]
	v_add_co_u32_e32 v27, vcc, v25, v27
	v_addc_co_u32_e32 v28, vcc, v26, v28, vcc
	global_store_short v[27:28], v5, off
	s_or_b64 exec, exec, s[42:43]
	s_and_saveexec_b64 s[42:43], s[26:27]
	s_cbranch_execz .LBB2083_215
.LBB2083_282:
	v_sub_u32_e32 v27, v21, v39
	v_mov_b32_e32 v28, 0
	v_lshlrev_b64 v[27:28], 1, v[27:28]
	v_add_co_u32_e32 v27, vcc, v25, v27
	v_addc_co_u32_e32 v28, vcc, v26, v28, vcc
	global_store_short v[27:28], v80, off
	s_or_b64 exec, exec, s[42:43]
	s_and_saveexec_b64 s[42:43], s[24:25]
	s_cbranch_execz .LBB2083_216
.LBB2083_283:
	v_sub_u32_e32 v27, v20, v39
	v_mov_b32_e32 v28, 0
	v_lshlrev_b64 v[27:28], 1, v[27:28]
	v_add_co_u32_e32 v27, vcc, v25, v27
	v_addc_co_u32_e32 v28, vcc, v26, v28, vcc
	global_store_short v[27:28], v6, off
	s_or_b64 exec, exec, s[42:43]
	s_and_saveexec_b64 s[42:43], s[22:23]
	s_cbranch_execz .LBB2083_217
.LBB2083_284:
	v_sub_u32_e32 v27, v19, v39
	v_mov_b32_e32 v28, 0
	v_lshlrev_b64 v[27:28], 1, v[27:28]
	v_add_co_u32_e32 v27, vcc, v25, v27
	v_addc_co_u32_e32 v28, vcc, v26, v28, vcc
	global_store_short v[27:28], v79, off
	s_or_b64 exec, exec, s[42:43]
	s_and_saveexec_b64 s[42:43], s[20:21]
	s_cbranch_execz .LBB2083_218
.LBB2083_285:
	v_sub_u32_e32 v27, v18, v39
	v_mov_b32_e32 v28, 0
	v_lshlrev_b64 v[27:28], 1, v[27:28]
	v_add_co_u32_e32 v27, vcc, v25, v27
	v_addc_co_u32_e32 v28, vcc, v26, v28, vcc
	global_store_short v[27:28], v7, off
	s_or_b64 exec, exec, s[42:43]
	s_and_saveexec_b64 s[42:43], s[18:19]
	s_cbranch_execz .LBB2083_219
.LBB2083_286:
	v_sub_u32_e32 v27, v17, v39
	v_mov_b32_e32 v28, 0
	v_lshlrev_b64 v[27:28], 1, v[27:28]
	v_add_co_u32_e32 v27, vcc, v25, v27
	v_addc_co_u32_e32 v28, vcc, v26, v28, vcc
	global_store_short v[27:28], v78, off
	s_or_b64 exec, exec, s[42:43]
	s_and_saveexec_b64 s[42:43], s[16:17]
	s_cbranch_execz .LBB2083_220
.LBB2083_287:
	v_sub_u32_e32 v27, v16, v39
	v_mov_b32_e32 v28, 0
	v_lshlrev_b64 v[27:28], 1, v[27:28]
	v_add_co_u32_e32 v27, vcc, v25, v27
	v_addc_co_u32_e32 v28, vcc, v26, v28, vcc
	global_store_short v[27:28], v8, off
	s_or_b64 exec, exec, s[42:43]
	s_and_saveexec_b64 s[42:43], s[14:15]
	s_cbranch_execz .LBB2083_221
.LBB2083_288:
	v_sub_u32_e32 v27, v15, v39
	v_mov_b32_e32 v28, 0
	v_lshlrev_b64 v[27:28], 1, v[27:28]
	v_add_co_u32_e32 v27, vcc, v25, v27
	v_addc_co_u32_e32 v28, vcc, v26, v28, vcc
	global_store_short v[27:28], v76, off
	s_or_b64 exec, exec, s[42:43]
	s_and_saveexec_b64 s[42:43], s[12:13]
	s_cbranch_execz .LBB2083_222
.LBB2083_289:
	v_sub_u32_e32 v27, v14, v39
	v_mov_b32_e32 v28, 0
	v_lshlrev_b64 v[27:28], 1, v[27:28]
	v_add_co_u32_e32 v27, vcc, v25, v27
	v_addc_co_u32_e32 v28, vcc, v26, v28, vcc
	global_store_short v[27:28], v33, off
	s_or_b64 exec, exec, s[42:43]
	s_and_saveexec_b64 s[42:43], s[10:11]
	s_cbranch_execz .LBB2083_223
.LBB2083_290:
	v_sub_u32_e32 v27, v13, v39
	v_mov_b32_e32 v28, 0
	v_lshlrev_b64 v[27:28], 1, v[27:28]
	v_add_co_u32_e32 v27, vcc, v25, v27
	v_addc_co_u32_e32 v28, vcc, v26, v28, vcc
	global_store_short v[27:28], v74, off
	s_or_b64 exec, exec, s[42:43]
	s_and_saveexec_b64 s[42:43], s[6:7]
	s_cbranch_execnz .LBB2083_224
	s_branch .LBB2083_225
.LBB2083_291:
	v_sub_u32_e32 v1, v36, v39
	v_lshlrev_b32_e32 v1, 1, v1
	ds_write_b16 v1, v77
	s_or_b64 exec, exec, s[42:43]
	s_and_saveexec_b64 s[36:37], s[34:35]
	s_cbranch_execz .LBB2083_229
.LBB2083_292:
	v_sub_u32_e32 v1, v24, v39
	v_lshlrev_b32_e32 v1, 1, v1
	ds_write_b16_d16_hi v1, v77
	s_or_b64 exec, exec, s[36:37]
	s_and_saveexec_b64 s[34:35], s[30:31]
	s_cbranch_execz .LBB2083_230
.LBB2083_293:
	v_sub_u32_e32 v1, v23, v39
	v_lshlrev_b32_e32 v1, 1, v1
	ds_write_b16 v1, v75
	s_or_b64 exec, exec, s[34:35]
	s_and_saveexec_b64 s[30:31], s[28:29]
	s_cbranch_execz .LBB2083_231
.LBB2083_294:
	v_sub_u32_e32 v1, v22, v39
	v_lshlrev_b32_e32 v1, 1, v1
	ds_write_b16 v1, v5
	s_or_b64 exec, exec, s[30:31]
	s_and_saveexec_b64 s[28:29], s[26:27]
	s_cbranch_execz .LBB2083_232
.LBB2083_295:
	v_sub_u32_e32 v1, v21, v39
	v_lshlrev_b32_e32 v1, 1, v1
	ds_write_b16 v1, v80
	s_or_b64 exec, exec, s[28:29]
	s_and_saveexec_b64 s[26:27], s[24:25]
	s_cbranch_execz .LBB2083_233
.LBB2083_296:
	v_sub_u32_e32 v1, v20, v39
	v_lshlrev_b32_e32 v1, 1, v1
	ds_write_b16 v1, v6
	s_or_b64 exec, exec, s[26:27]
	s_and_saveexec_b64 s[24:25], s[22:23]
	s_cbranch_execz .LBB2083_234
.LBB2083_297:
	v_sub_u32_e32 v1, v19, v39
	v_lshlrev_b32_e32 v1, 1, v1
	ds_write_b16 v1, v79
	s_or_b64 exec, exec, s[24:25]
	s_and_saveexec_b64 s[22:23], s[20:21]
	s_cbranch_execz .LBB2083_235
.LBB2083_298:
	v_sub_u32_e32 v1, v18, v39
	v_lshlrev_b32_e32 v1, 1, v1
	ds_write_b16 v1, v7
	s_or_b64 exec, exec, s[22:23]
	s_and_saveexec_b64 s[20:21], s[18:19]
	s_cbranch_execz .LBB2083_236
.LBB2083_299:
	v_sub_u32_e32 v1, v17, v39
	v_lshlrev_b32_e32 v1, 1, v1
	ds_write_b16 v1, v78
	s_or_b64 exec, exec, s[20:21]
	s_and_saveexec_b64 s[18:19], s[16:17]
	s_cbranch_execz .LBB2083_237
.LBB2083_300:
	v_sub_u32_e32 v1, v16, v39
	v_lshlrev_b32_e32 v1, 1, v1
	ds_write_b16 v1, v8
	s_or_b64 exec, exec, s[18:19]
	s_and_saveexec_b64 s[16:17], s[14:15]
	s_cbranch_execz .LBB2083_238
.LBB2083_301:
	v_sub_u32_e32 v1, v15, v39
	v_lshlrev_b32_e32 v1, 1, v1
	ds_write_b16 v1, v76
	s_or_b64 exec, exec, s[16:17]
	s_and_saveexec_b64 s[14:15], s[12:13]
	s_cbranch_execz .LBB2083_239
.LBB2083_302:
	v_sub_u32_e32 v1, v14, v39
	v_lshlrev_b32_e32 v1, 1, v1
	ds_write_b16 v1, v33
	s_or_b64 exec, exec, s[14:15]
	s_and_saveexec_b64 s[12:13], s[10:11]
	s_cbranch_execz .LBB2083_240
.LBB2083_303:
	v_sub_u32_e32 v1, v13, v39
	v_lshlrev_b32_e32 v1, 1, v1
	ds_write_b16 v1, v74
	s_or_b64 exec, exec, s[12:13]
	s_and_saveexec_b64 s[10:11], s[6:7]
	s_cbranch_execnz .LBB2083_241
	s_branch .LBB2083_242
.LBB2083_304:
	v_sub_u32_e32 v26, v36, v8
	v_mov_b32_e32 v27, 0
	v_lshlrev_b64 v[26:27], 3, v[26:27]
	v_add_co_u32_e32 v26, vcc, v6, v26
	v_addc_co_u32_e32 v27, vcc, v7, v27, vcc
	global_store_dwordx2 v[26:27], v[65:66], off
	s_or_b64 exec, exec, s[40:41]
	s_and_saveexec_b64 s[40:41], s[30:31]
	s_cbranch_execz .LBB2083_246
.LBB2083_305:
	v_sub_u32_e32 v26, v24, v8
	v_mov_b32_e32 v27, 0
	v_lshlrev_b64 v[26:27], 3, v[26:27]
	v_add_co_u32_e32 v26, vcc, v6, v26
	v_addc_co_u32_e32 v27, vcc, v7, v27, vcc
	global_store_dwordx2 v[26:27], v[41:42], off
	s_or_b64 exec, exec, s[40:41]
	s_and_saveexec_b64 s[40:41], s[28:29]
	s_cbranch_execz .LBB2083_247
.LBB2083_306:
	v_sub_u32_e32 v26, v23, v8
	v_mov_b32_e32 v27, 0
	v_lshlrev_b64 v[26:27], 3, v[26:27]
	v_add_co_u32_e32 v26, vcc, v6, v26
	v_addc_co_u32_e32 v27, vcc, v7, v27, vcc
	global_store_dwordx2 v[26:27], v[43:44], off
	s_or_b64 exec, exec, s[40:41]
	s_and_saveexec_b64 s[40:41], s[26:27]
	s_cbranch_execz .LBB2083_248
.LBB2083_307:
	v_sub_u32_e32 v26, v22, v8
	v_mov_b32_e32 v27, 0
	v_lshlrev_b64 v[26:27], 3, v[26:27]
	v_add_co_u32_e32 v26, vcc, v6, v26
	v_addc_co_u32_e32 v27, vcc, v7, v27, vcc
	global_store_dwordx2 v[26:27], v[45:46], off
	s_or_b64 exec, exec, s[40:41]
	s_and_saveexec_b64 s[40:41], s[24:25]
	s_cbranch_execz .LBB2083_249
.LBB2083_308:
	v_sub_u32_e32 v26, v21, v8
	v_mov_b32_e32 v27, 0
	v_lshlrev_b64 v[26:27], 3, v[26:27]
	v_add_co_u32_e32 v26, vcc, v6, v26
	v_addc_co_u32_e32 v27, vcc, v7, v27, vcc
	global_store_dwordx2 v[26:27], v[47:48], off
	s_or_b64 exec, exec, s[40:41]
	s_and_saveexec_b64 s[40:41], s[22:23]
	s_cbranch_execz .LBB2083_250
.LBB2083_309:
	v_sub_u32_e32 v26, v20, v8
	v_mov_b32_e32 v27, 0
	v_lshlrev_b64 v[26:27], 3, v[26:27]
	v_add_co_u32_e32 v26, vcc, v6, v26
	v_addc_co_u32_e32 v27, vcc, v7, v27, vcc
	global_store_dwordx2 v[26:27], v[49:50], off
	s_or_b64 exec, exec, s[40:41]
	s_and_saveexec_b64 s[40:41], s[20:21]
	s_cbranch_execz .LBB2083_251
.LBB2083_310:
	v_sub_u32_e32 v26, v19, v8
	v_mov_b32_e32 v27, 0
	v_lshlrev_b64 v[26:27], 3, v[26:27]
	v_add_co_u32_e32 v26, vcc, v6, v26
	v_addc_co_u32_e32 v27, vcc, v7, v27, vcc
	global_store_dwordx2 v[26:27], v[51:52], off
	s_or_b64 exec, exec, s[40:41]
	s_and_saveexec_b64 s[40:41], s[18:19]
	s_cbranch_execz .LBB2083_252
.LBB2083_311:
	v_sub_u32_e32 v26, v18, v8
	v_mov_b32_e32 v27, 0
	v_lshlrev_b64 v[26:27], 3, v[26:27]
	v_add_co_u32_e32 v26, vcc, v6, v26
	v_addc_co_u32_e32 v27, vcc, v7, v27, vcc
	global_store_dwordx2 v[26:27], v[53:54], off
	s_or_b64 exec, exec, s[40:41]
	s_and_saveexec_b64 s[40:41], s[16:17]
	s_cbranch_execz .LBB2083_253
.LBB2083_312:
	v_sub_u32_e32 v26, v17, v8
	v_mov_b32_e32 v27, 0
	v_lshlrev_b64 v[26:27], 3, v[26:27]
	v_add_co_u32_e32 v26, vcc, v6, v26
	v_addc_co_u32_e32 v27, vcc, v7, v27, vcc
	global_store_dwordx2 v[26:27], v[55:56], off
	s_or_b64 exec, exec, s[40:41]
	s_and_saveexec_b64 s[40:41], s[14:15]
	s_cbranch_execz .LBB2083_254
.LBB2083_313:
	v_sub_u32_e32 v26, v16, v8
	v_mov_b32_e32 v27, 0
	v_lshlrev_b64 v[26:27], 3, v[26:27]
	v_add_co_u32_e32 v26, vcc, v6, v26
	v_addc_co_u32_e32 v27, vcc, v7, v27, vcc
	global_store_dwordx2 v[26:27], v[57:58], off
	s_or_b64 exec, exec, s[40:41]
	s_and_saveexec_b64 s[40:41], s[12:13]
	s_cbranch_execz .LBB2083_255
.LBB2083_314:
	v_sub_u32_e32 v26, v15, v8
	v_mov_b32_e32 v27, 0
	v_lshlrev_b64 v[26:27], 3, v[26:27]
	v_add_co_u32_e32 v26, vcc, v6, v26
	v_addc_co_u32_e32 v27, vcc, v7, v27, vcc
	global_store_dwordx2 v[26:27], v[59:60], off
	s_or_b64 exec, exec, s[40:41]
	s_and_saveexec_b64 s[40:41], s[8:9]
	s_cbranch_execz .LBB2083_256
.LBB2083_315:
	v_sub_u32_e32 v26, v14, v8
	v_mov_b32_e32 v27, 0
	v_lshlrev_b64 v[26:27], 3, v[26:27]
	v_add_co_u32_e32 v26, vcc, v6, v26
	v_addc_co_u32_e32 v27, vcc, v7, v27, vcc
	global_store_dwordx2 v[26:27], v[61:62], off
	s_or_b64 exec, exec, s[40:41]
	s_and_saveexec_b64 s[40:41], s[10:11]
	s_cbranch_execz .LBB2083_257
.LBB2083_316:
	v_sub_u32_e32 v26, v13, v8
	v_mov_b32_e32 v27, 0
	v_lshlrev_b64 v[26:27], 3, v[26:27]
	v_add_co_u32_e32 v26, vcc, v6, v26
	v_addc_co_u32_e32 v27, vcc, v7, v27, vcc
	global_store_dwordx2 v[26:27], v[63:64], off
	s_or_b64 exec, exec, s[40:41]
	s_and_saveexec_b64 s[40:41], s[6:7]
	s_cbranch_execnz .LBB2083_258
	s_branch .LBB2083_259
.LBB2083_317:
	v_sub_u32_e32 v25, v36, v8
	v_lshlrev_b32_e32 v25, 3, v25
	ds_write_b64 v25, v[65:66]
	s_or_b64 exec, exec, s[40:41]
	s_and_saveexec_b64 s[34:35], s[30:31]
	s_cbranch_execz .LBB2083_263
.LBB2083_318:
	v_sub_u32_e32 v24, v24, v8
	v_lshlrev_b32_e32 v24, 3, v24
	ds_write_b64 v24, v[41:42]
	s_or_b64 exec, exec, s[34:35]
	s_and_saveexec_b64 s[30:31], s[28:29]
	s_cbranch_execz .LBB2083_264
.LBB2083_319:
	v_sub_u32_e32 v23, v23, v8
	v_lshlrev_b32_e32 v23, 3, v23
	ds_write_b64 v23, v[43:44]
	s_or_b64 exec, exec, s[30:31]
	s_and_saveexec_b64 s[28:29], s[26:27]
	s_cbranch_execz .LBB2083_265
.LBB2083_320:
	v_sub_u32_e32 v22, v22, v8
	v_lshlrev_b32_e32 v22, 3, v22
	ds_write_b64 v22, v[45:46]
	s_or_b64 exec, exec, s[28:29]
	s_and_saveexec_b64 s[26:27], s[24:25]
	s_cbranch_execz .LBB2083_266
.LBB2083_321:
	v_sub_u32_e32 v21, v21, v8
	v_lshlrev_b32_e32 v21, 3, v21
	ds_write_b64 v21, v[47:48]
	s_or_b64 exec, exec, s[26:27]
	s_and_saveexec_b64 s[24:25], s[22:23]
	s_cbranch_execz .LBB2083_267
.LBB2083_322:
	v_sub_u32_e32 v20, v20, v8
	v_lshlrev_b32_e32 v20, 3, v20
	ds_write_b64 v20, v[49:50]
	s_or_b64 exec, exec, s[24:25]
	s_and_saveexec_b64 s[22:23], s[20:21]
	s_cbranch_execz .LBB2083_268
.LBB2083_323:
	v_sub_u32_e32 v19, v19, v8
	v_lshlrev_b32_e32 v19, 3, v19
	ds_write_b64 v19, v[51:52]
	s_or_b64 exec, exec, s[22:23]
	s_and_saveexec_b64 s[20:21], s[18:19]
	s_cbranch_execz .LBB2083_269
.LBB2083_324:
	v_sub_u32_e32 v18, v18, v8
	v_lshlrev_b32_e32 v18, 3, v18
	ds_write_b64 v18, v[53:54]
	s_or_b64 exec, exec, s[20:21]
	s_and_saveexec_b64 s[18:19], s[16:17]
	s_cbranch_execz .LBB2083_270
.LBB2083_325:
	v_sub_u32_e32 v17, v17, v8
	v_lshlrev_b32_e32 v17, 3, v17
	ds_write_b64 v17, v[55:56]
	s_or_b64 exec, exec, s[18:19]
	s_and_saveexec_b64 s[16:17], s[14:15]
	s_cbranch_execz .LBB2083_271
.LBB2083_326:
	v_sub_u32_e32 v16, v16, v8
	v_lshlrev_b32_e32 v16, 3, v16
	ds_write_b64 v16, v[57:58]
	s_or_b64 exec, exec, s[16:17]
	s_and_saveexec_b64 s[14:15], s[12:13]
	s_cbranch_execz .LBB2083_272
.LBB2083_327:
	v_sub_u32_e32 v15, v15, v8
	v_lshlrev_b32_e32 v15, 3, v15
	ds_write_b64 v15, v[59:60]
	s_or_b64 exec, exec, s[14:15]
	s_and_saveexec_b64 s[12:13], s[8:9]
	s_cbranch_execz .LBB2083_273
.LBB2083_328:
	v_sub_u32_e32 v14, v14, v8
	v_lshlrev_b32_e32 v14, 3, v14
	ds_write_b64 v14, v[61:62]
	s_or_b64 exec, exec, s[12:13]
	s_and_saveexec_b64 s[8:9], s[10:11]
	s_cbranch_execz .LBB2083_274
.LBB2083_329:
	v_sub_u32_e32 v13, v13, v8
	v_lshlrev_b32_e32 v13, 3, v13
	ds_write_b64 v13, v[63:64]
	s_or_b64 exec, exec, s[8:9]
	s_and_saveexec_b64 s[8:9], s[6:7]
	s_cbranch_execnz .LBB2083_275
	s_branch .LBB2083_276
	.section	.rodata,"a",@progbits
	.p2align	6, 0x0
	.amdhsa_kernel _ZN7rocprim17ROCPRIM_400000_NS6detail17trampoline_kernelINS0_14default_configENS1_29reduce_by_key_config_selectorIN3c108BFloat16ElN6thrust23THRUST_200600_302600_NS4plusIlEEEEZZNS1_33reduce_by_key_impl_wrapped_configILNS1_25lookback_scan_determinismE0ES3_SB_PS6_NS8_17constant_iteratorIiNS8_11use_defaultESG_EENS8_10device_ptrIS6_EENSI_IlEEPmSA_NS8_8equal_toIS6_EEEE10hipError_tPvRmT2_T3_mT4_T5_T6_T7_T8_P12ihipStream_tbENKUlT_T0_E_clISt17integral_constantIbLb0EES14_IbLb1EEEEDaS10_S11_EUlS10_E_NS1_11comp_targetILNS1_3genE2ELNS1_11target_archE906ELNS1_3gpuE6ELNS1_3repE0EEENS1_30default_config_static_selectorELNS0_4arch9wavefront6targetE1EEEvT1_
		.amdhsa_group_segment_fixed_size 30720
		.amdhsa_private_segment_fixed_size 64
		.amdhsa_kernarg_size 144
		.amdhsa_user_sgpr_count 6
		.amdhsa_user_sgpr_private_segment_buffer 1
		.amdhsa_user_sgpr_dispatch_ptr 0
		.amdhsa_user_sgpr_queue_ptr 0
		.amdhsa_user_sgpr_kernarg_segment_ptr 1
		.amdhsa_user_sgpr_dispatch_id 0
		.amdhsa_user_sgpr_flat_scratch_init 0
		.amdhsa_user_sgpr_private_segment_size 0
		.amdhsa_uses_dynamic_stack 0
		.amdhsa_system_sgpr_private_segment_wavefront_offset 1
		.amdhsa_system_sgpr_workgroup_id_x 1
		.amdhsa_system_sgpr_workgroup_id_y 0
		.amdhsa_system_sgpr_workgroup_id_z 0
		.amdhsa_system_sgpr_workgroup_info 0
		.amdhsa_system_vgpr_workitem_id 0
		.amdhsa_next_free_vgpr 105
		.amdhsa_next_free_sgpr 98
		.amdhsa_reserve_vcc 1
		.amdhsa_reserve_flat_scratch 0
		.amdhsa_float_round_mode_32 0
		.amdhsa_float_round_mode_16_64 0
		.amdhsa_float_denorm_mode_32 3
		.amdhsa_float_denorm_mode_16_64 3
		.amdhsa_dx10_clamp 1
		.amdhsa_ieee_mode 1
		.amdhsa_fp16_overflow 0
		.amdhsa_exception_fp_ieee_invalid_op 0
		.amdhsa_exception_fp_denorm_src 0
		.amdhsa_exception_fp_ieee_div_zero 0
		.amdhsa_exception_fp_ieee_overflow 0
		.amdhsa_exception_fp_ieee_underflow 0
		.amdhsa_exception_fp_ieee_inexact 0
		.amdhsa_exception_int_div_zero 0
	.end_amdhsa_kernel
	.section	.text._ZN7rocprim17ROCPRIM_400000_NS6detail17trampoline_kernelINS0_14default_configENS1_29reduce_by_key_config_selectorIN3c108BFloat16ElN6thrust23THRUST_200600_302600_NS4plusIlEEEEZZNS1_33reduce_by_key_impl_wrapped_configILNS1_25lookback_scan_determinismE0ES3_SB_PS6_NS8_17constant_iteratorIiNS8_11use_defaultESG_EENS8_10device_ptrIS6_EENSI_IlEEPmSA_NS8_8equal_toIS6_EEEE10hipError_tPvRmT2_T3_mT4_T5_T6_T7_T8_P12ihipStream_tbENKUlT_T0_E_clISt17integral_constantIbLb0EES14_IbLb1EEEEDaS10_S11_EUlS10_E_NS1_11comp_targetILNS1_3genE2ELNS1_11target_archE906ELNS1_3gpuE6ELNS1_3repE0EEENS1_30default_config_static_selectorELNS0_4arch9wavefront6targetE1EEEvT1_,"axG",@progbits,_ZN7rocprim17ROCPRIM_400000_NS6detail17trampoline_kernelINS0_14default_configENS1_29reduce_by_key_config_selectorIN3c108BFloat16ElN6thrust23THRUST_200600_302600_NS4plusIlEEEEZZNS1_33reduce_by_key_impl_wrapped_configILNS1_25lookback_scan_determinismE0ES3_SB_PS6_NS8_17constant_iteratorIiNS8_11use_defaultESG_EENS8_10device_ptrIS6_EENSI_IlEEPmSA_NS8_8equal_toIS6_EEEE10hipError_tPvRmT2_T3_mT4_T5_T6_T7_T8_P12ihipStream_tbENKUlT_T0_E_clISt17integral_constantIbLb0EES14_IbLb1EEEEDaS10_S11_EUlS10_E_NS1_11comp_targetILNS1_3genE2ELNS1_11target_archE906ELNS1_3gpuE6ELNS1_3repE0EEENS1_30default_config_static_selectorELNS0_4arch9wavefront6targetE1EEEvT1_,comdat
.Lfunc_end2083:
	.size	_ZN7rocprim17ROCPRIM_400000_NS6detail17trampoline_kernelINS0_14default_configENS1_29reduce_by_key_config_selectorIN3c108BFloat16ElN6thrust23THRUST_200600_302600_NS4plusIlEEEEZZNS1_33reduce_by_key_impl_wrapped_configILNS1_25lookback_scan_determinismE0ES3_SB_PS6_NS8_17constant_iteratorIiNS8_11use_defaultESG_EENS8_10device_ptrIS6_EENSI_IlEEPmSA_NS8_8equal_toIS6_EEEE10hipError_tPvRmT2_T3_mT4_T5_T6_T7_T8_P12ihipStream_tbENKUlT_T0_E_clISt17integral_constantIbLb0EES14_IbLb1EEEEDaS10_S11_EUlS10_E_NS1_11comp_targetILNS1_3genE2ELNS1_11target_archE906ELNS1_3gpuE6ELNS1_3repE0EEENS1_30default_config_static_selectorELNS0_4arch9wavefront6targetE1EEEvT1_, .Lfunc_end2083-_ZN7rocprim17ROCPRIM_400000_NS6detail17trampoline_kernelINS0_14default_configENS1_29reduce_by_key_config_selectorIN3c108BFloat16ElN6thrust23THRUST_200600_302600_NS4plusIlEEEEZZNS1_33reduce_by_key_impl_wrapped_configILNS1_25lookback_scan_determinismE0ES3_SB_PS6_NS8_17constant_iteratorIiNS8_11use_defaultESG_EENS8_10device_ptrIS6_EENSI_IlEEPmSA_NS8_8equal_toIS6_EEEE10hipError_tPvRmT2_T3_mT4_T5_T6_T7_T8_P12ihipStream_tbENKUlT_T0_E_clISt17integral_constantIbLb0EES14_IbLb1EEEEDaS10_S11_EUlS10_E_NS1_11comp_targetILNS1_3genE2ELNS1_11target_archE906ELNS1_3gpuE6ELNS1_3repE0EEENS1_30default_config_static_selectorELNS0_4arch9wavefront6targetE1EEEvT1_
                                        ; -- End function
	.set _ZN7rocprim17ROCPRIM_400000_NS6detail17trampoline_kernelINS0_14default_configENS1_29reduce_by_key_config_selectorIN3c108BFloat16ElN6thrust23THRUST_200600_302600_NS4plusIlEEEEZZNS1_33reduce_by_key_impl_wrapped_configILNS1_25lookback_scan_determinismE0ES3_SB_PS6_NS8_17constant_iteratorIiNS8_11use_defaultESG_EENS8_10device_ptrIS6_EENSI_IlEEPmSA_NS8_8equal_toIS6_EEEE10hipError_tPvRmT2_T3_mT4_T5_T6_T7_T8_P12ihipStream_tbENKUlT_T0_E_clISt17integral_constantIbLb0EES14_IbLb1EEEEDaS10_S11_EUlS10_E_NS1_11comp_targetILNS1_3genE2ELNS1_11target_archE906ELNS1_3gpuE6ELNS1_3repE0EEENS1_30default_config_static_selectorELNS0_4arch9wavefront6targetE1EEEvT1_.num_vgpr, 105
	.set _ZN7rocprim17ROCPRIM_400000_NS6detail17trampoline_kernelINS0_14default_configENS1_29reduce_by_key_config_selectorIN3c108BFloat16ElN6thrust23THRUST_200600_302600_NS4plusIlEEEEZZNS1_33reduce_by_key_impl_wrapped_configILNS1_25lookback_scan_determinismE0ES3_SB_PS6_NS8_17constant_iteratorIiNS8_11use_defaultESG_EENS8_10device_ptrIS6_EENSI_IlEEPmSA_NS8_8equal_toIS6_EEEE10hipError_tPvRmT2_T3_mT4_T5_T6_T7_T8_P12ihipStream_tbENKUlT_T0_E_clISt17integral_constantIbLb0EES14_IbLb1EEEEDaS10_S11_EUlS10_E_NS1_11comp_targetILNS1_3genE2ELNS1_11target_archE906ELNS1_3gpuE6ELNS1_3repE0EEENS1_30default_config_static_selectorELNS0_4arch9wavefront6targetE1EEEvT1_.num_agpr, 0
	.set _ZN7rocprim17ROCPRIM_400000_NS6detail17trampoline_kernelINS0_14default_configENS1_29reduce_by_key_config_selectorIN3c108BFloat16ElN6thrust23THRUST_200600_302600_NS4plusIlEEEEZZNS1_33reduce_by_key_impl_wrapped_configILNS1_25lookback_scan_determinismE0ES3_SB_PS6_NS8_17constant_iteratorIiNS8_11use_defaultESG_EENS8_10device_ptrIS6_EENSI_IlEEPmSA_NS8_8equal_toIS6_EEEE10hipError_tPvRmT2_T3_mT4_T5_T6_T7_T8_P12ihipStream_tbENKUlT_T0_E_clISt17integral_constantIbLb0EES14_IbLb1EEEEDaS10_S11_EUlS10_E_NS1_11comp_targetILNS1_3genE2ELNS1_11target_archE906ELNS1_3gpuE6ELNS1_3repE0EEENS1_30default_config_static_selectorELNS0_4arch9wavefront6targetE1EEEvT1_.numbered_sgpr, 68
	.set _ZN7rocprim17ROCPRIM_400000_NS6detail17trampoline_kernelINS0_14default_configENS1_29reduce_by_key_config_selectorIN3c108BFloat16ElN6thrust23THRUST_200600_302600_NS4plusIlEEEEZZNS1_33reduce_by_key_impl_wrapped_configILNS1_25lookback_scan_determinismE0ES3_SB_PS6_NS8_17constant_iteratorIiNS8_11use_defaultESG_EENS8_10device_ptrIS6_EENSI_IlEEPmSA_NS8_8equal_toIS6_EEEE10hipError_tPvRmT2_T3_mT4_T5_T6_T7_T8_P12ihipStream_tbENKUlT_T0_E_clISt17integral_constantIbLb0EES14_IbLb1EEEEDaS10_S11_EUlS10_E_NS1_11comp_targetILNS1_3genE2ELNS1_11target_archE906ELNS1_3gpuE6ELNS1_3repE0EEENS1_30default_config_static_selectorELNS0_4arch9wavefront6targetE1EEEvT1_.num_named_barrier, 0
	.set _ZN7rocprim17ROCPRIM_400000_NS6detail17trampoline_kernelINS0_14default_configENS1_29reduce_by_key_config_selectorIN3c108BFloat16ElN6thrust23THRUST_200600_302600_NS4plusIlEEEEZZNS1_33reduce_by_key_impl_wrapped_configILNS1_25lookback_scan_determinismE0ES3_SB_PS6_NS8_17constant_iteratorIiNS8_11use_defaultESG_EENS8_10device_ptrIS6_EENSI_IlEEPmSA_NS8_8equal_toIS6_EEEE10hipError_tPvRmT2_T3_mT4_T5_T6_T7_T8_P12ihipStream_tbENKUlT_T0_E_clISt17integral_constantIbLb0EES14_IbLb1EEEEDaS10_S11_EUlS10_E_NS1_11comp_targetILNS1_3genE2ELNS1_11target_archE906ELNS1_3gpuE6ELNS1_3repE0EEENS1_30default_config_static_selectorELNS0_4arch9wavefront6targetE1EEEvT1_.private_seg_size, 64
	.set _ZN7rocprim17ROCPRIM_400000_NS6detail17trampoline_kernelINS0_14default_configENS1_29reduce_by_key_config_selectorIN3c108BFloat16ElN6thrust23THRUST_200600_302600_NS4plusIlEEEEZZNS1_33reduce_by_key_impl_wrapped_configILNS1_25lookback_scan_determinismE0ES3_SB_PS6_NS8_17constant_iteratorIiNS8_11use_defaultESG_EENS8_10device_ptrIS6_EENSI_IlEEPmSA_NS8_8equal_toIS6_EEEE10hipError_tPvRmT2_T3_mT4_T5_T6_T7_T8_P12ihipStream_tbENKUlT_T0_E_clISt17integral_constantIbLb0EES14_IbLb1EEEEDaS10_S11_EUlS10_E_NS1_11comp_targetILNS1_3genE2ELNS1_11target_archE906ELNS1_3gpuE6ELNS1_3repE0EEENS1_30default_config_static_selectorELNS0_4arch9wavefront6targetE1EEEvT1_.uses_vcc, 1
	.set _ZN7rocprim17ROCPRIM_400000_NS6detail17trampoline_kernelINS0_14default_configENS1_29reduce_by_key_config_selectorIN3c108BFloat16ElN6thrust23THRUST_200600_302600_NS4plusIlEEEEZZNS1_33reduce_by_key_impl_wrapped_configILNS1_25lookback_scan_determinismE0ES3_SB_PS6_NS8_17constant_iteratorIiNS8_11use_defaultESG_EENS8_10device_ptrIS6_EENSI_IlEEPmSA_NS8_8equal_toIS6_EEEE10hipError_tPvRmT2_T3_mT4_T5_T6_T7_T8_P12ihipStream_tbENKUlT_T0_E_clISt17integral_constantIbLb0EES14_IbLb1EEEEDaS10_S11_EUlS10_E_NS1_11comp_targetILNS1_3genE2ELNS1_11target_archE906ELNS1_3gpuE6ELNS1_3repE0EEENS1_30default_config_static_selectorELNS0_4arch9wavefront6targetE1EEEvT1_.uses_flat_scratch, 0
	.set _ZN7rocprim17ROCPRIM_400000_NS6detail17trampoline_kernelINS0_14default_configENS1_29reduce_by_key_config_selectorIN3c108BFloat16ElN6thrust23THRUST_200600_302600_NS4plusIlEEEEZZNS1_33reduce_by_key_impl_wrapped_configILNS1_25lookback_scan_determinismE0ES3_SB_PS6_NS8_17constant_iteratorIiNS8_11use_defaultESG_EENS8_10device_ptrIS6_EENSI_IlEEPmSA_NS8_8equal_toIS6_EEEE10hipError_tPvRmT2_T3_mT4_T5_T6_T7_T8_P12ihipStream_tbENKUlT_T0_E_clISt17integral_constantIbLb0EES14_IbLb1EEEEDaS10_S11_EUlS10_E_NS1_11comp_targetILNS1_3genE2ELNS1_11target_archE906ELNS1_3gpuE6ELNS1_3repE0EEENS1_30default_config_static_selectorELNS0_4arch9wavefront6targetE1EEEvT1_.has_dyn_sized_stack, 0
	.set _ZN7rocprim17ROCPRIM_400000_NS6detail17trampoline_kernelINS0_14default_configENS1_29reduce_by_key_config_selectorIN3c108BFloat16ElN6thrust23THRUST_200600_302600_NS4plusIlEEEEZZNS1_33reduce_by_key_impl_wrapped_configILNS1_25lookback_scan_determinismE0ES3_SB_PS6_NS8_17constant_iteratorIiNS8_11use_defaultESG_EENS8_10device_ptrIS6_EENSI_IlEEPmSA_NS8_8equal_toIS6_EEEE10hipError_tPvRmT2_T3_mT4_T5_T6_T7_T8_P12ihipStream_tbENKUlT_T0_E_clISt17integral_constantIbLb0EES14_IbLb1EEEEDaS10_S11_EUlS10_E_NS1_11comp_targetILNS1_3genE2ELNS1_11target_archE906ELNS1_3gpuE6ELNS1_3repE0EEENS1_30default_config_static_selectorELNS0_4arch9wavefront6targetE1EEEvT1_.has_recursion, 0
	.set _ZN7rocprim17ROCPRIM_400000_NS6detail17trampoline_kernelINS0_14default_configENS1_29reduce_by_key_config_selectorIN3c108BFloat16ElN6thrust23THRUST_200600_302600_NS4plusIlEEEEZZNS1_33reduce_by_key_impl_wrapped_configILNS1_25lookback_scan_determinismE0ES3_SB_PS6_NS8_17constant_iteratorIiNS8_11use_defaultESG_EENS8_10device_ptrIS6_EENSI_IlEEPmSA_NS8_8equal_toIS6_EEEE10hipError_tPvRmT2_T3_mT4_T5_T6_T7_T8_P12ihipStream_tbENKUlT_T0_E_clISt17integral_constantIbLb0EES14_IbLb1EEEEDaS10_S11_EUlS10_E_NS1_11comp_targetILNS1_3genE2ELNS1_11target_archE906ELNS1_3gpuE6ELNS1_3repE0EEENS1_30default_config_static_selectorELNS0_4arch9wavefront6targetE1EEEvT1_.has_indirect_call, 0
	.section	.AMDGPU.csdata,"",@progbits
; Kernel info:
; codeLenInByte = 17816
; TotalNumSgprs: 72
; NumVgprs: 105
; ScratchSize: 64
; MemoryBound: 0
; FloatMode: 240
; IeeeMode: 1
; LDSByteSize: 30720 bytes/workgroup (compile time only)
; SGPRBlocks: 12
; VGPRBlocks: 26
; NumSGPRsForWavesPerEU: 102
; NumVGPRsForWavesPerEU: 105
; Occupancy: 2
; WaveLimiterHint : 1
; COMPUTE_PGM_RSRC2:SCRATCH_EN: 1
; COMPUTE_PGM_RSRC2:USER_SGPR: 6
; COMPUTE_PGM_RSRC2:TRAP_HANDLER: 0
; COMPUTE_PGM_RSRC2:TGID_X_EN: 1
; COMPUTE_PGM_RSRC2:TGID_Y_EN: 0
; COMPUTE_PGM_RSRC2:TGID_Z_EN: 0
; COMPUTE_PGM_RSRC2:TIDIG_COMP_CNT: 0
	.section	.text._ZN7rocprim17ROCPRIM_400000_NS6detail17trampoline_kernelINS0_14default_configENS1_29reduce_by_key_config_selectorIN3c108BFloat16ElN6thrust23THRUST_200600_302600_NS4plusIlEEEEZZNS1_33reduce_by_key_impl_wrapped_configILNS1_25lookback_scan_determinismE0ES3_SB_PS6_NS8_17constant_iteratorIiNS8_11use_defaultESG_EENS8_10device_ptrIS6_EENSI_IlEEPmSA_NS8_8equal_toIS6_EEEE10hipError_tPvRmT2_T3_mT4_T5_T6_T7_T8_P12ihipStream_tbENKUlT_T0_E_clISt17integral_constantIbLb0EES14_IbLb1EEEEDaS10_S11_EUlS10_E_NS1_11comp_targetILNS1_3genE10ELNS1_11target_archE1201ELNS1_3gpuE5ELNS1_3repE0EEENS1_30default_config_static_selectorELNS0_4arch9wavefront6targetE1EEEvT1_,"axG",@progbits,_ZN7rocprim17ROCPRIM_400000_NS6detail17trampoline_kernelINS0_14default_configENS1_29reduce_by_key_config_selectorIN3c108BFloat16ElN6thrust23THRUST_200600_302600_NS4plusIlEEEEZZNS1_33reduce_by_key_impl_wrapped_configILNS1_25lookback_scan_determinismE0ES3_SB_PS6_NS8_17constant_iteratorIiNS8_11use_defaultESG_EENS8_10device_ptrIS6_EENSI_IlEEPmSA_NS8_8equal_toIS6_EEEE10hipError_tPvRmT2_T3_mT4_T5_T6_T7_T8_P12ihipStream_tbENKUlT_T0_E_clISt17integral_constantIbLb0EES14_IbLb1EEEEDaS10_S11_EUlS10_E_NS1_11comp_targetILNS1_3genE10ELNS1_11target_archE1201ELNS1_3gpuE5ELNS1_3repE0EEENS1_30default_config_static_selectorELNS0_4arch9wavefront6targetE1EEEvT1_,comdat
	.protected	_ZN7rocprim17ROCPRIM_400000_NS6detail17trampoline_kernelINS0_14default_configENS1_29reduce_by_key_config_selectorIN3c108BFloat16ElN6thrust23THRUST_200600_302600_NS4plusIlEEEEZZNS1_33reduce_by_key_impl_wrapped_configILNS1_25lookback_scan_determinismE0ES3_SB_PS6_NS8_17constant_iteratorIiNS8_11use_defaultESG_EENS8_10device_ptrIS6_EENSI_IlEEPmSA_NS8_8equal_toIS6_EEEE10hipError_tPvRmT2_T3_mT4_T5_T6_T7_T8_P12ihipStream_tbENKUlT_T0_E_clISt17integral_constantIbLb0EES14_IbLb1EEEEDaS10_S11_EUlS10_E_NS1_11comp_targetILNS1_3genE10ELNS1_11target_archE1201ELNS1_3gpuE5ELNS1_3repE0EEENS1_30default_config_static_selectorELNS0_4arch9wavefront6targetE1EEEvT1_ ; -- Begin function _ZN7rocprim17ROCPRIM_400000_NS6detail17trampoline_kernelINS0_14default_configENS1_29reduce_by_key_config_selectorIN3c108BFloat16ElN6thrust23THRUST_200600_302600_NS4plusIlEEEEZZNS1_33reduce_by_key_impl_wrapped_configILNS1_25lookback_scan_determinismE0ES3_SB_PS6_NS8_17constant_iteratorIiNS8_11use_defaultESG_EENS8_10device_ptrIS6_EENSI_IlEEPmSA_NS8_8equal_toIS6_EEEE10hipError_tPvRmT2_T3_mT4_T5_T6_T7_T8_P12ihipStream_tbENKUlT_T0_E_clISt17integral_constantIbLb0EES14_IbLb1EEEEDaS10_S11_EUlS10_E_NS1_11comp_targetILNS1_3genE10ELNS1_11target_archE1201ELNS1_3gpuE5ELNS1_3repE0EEENS1_30default_config_static_selectorELNS0_4arch9wavefront6targetE1EEEvT1_
	.globl	_ZN7rocprim17ROCPRIM_400000_NS6detail17trampoline_kernelINS0_14default_configENS1_29reduce_by_key_config_selectorIN3c108BFloat16ElN6thrust23THRUST_200600_302600_NS4plusIlEEEEZZNS1_33reduce_by_key_impl_wrapped_configILNS1_25lookback_scan_determinismE0ES3_SB_PS6_NS8_17constant_iteratorIiNS8_11use_defaultESG_EENS8_10device_ptrIS6_EENSI_IlEEPmSA_NS8_8equal_toIS6_EEEE10hipError_tPvRmT2_T3_mT4_T5_T6_T7_T8_P12ihipStream_tbENKUlT_T0_E_clISt17integral_constantIbLb0EES14_IbLb1EEEEDaS10_S11_EUlS10_E_NS1_11comp_targetILNS1_3genE10ELNS1_11target_archE1201ELNS1_3gpuE5ELNS1_3repE0EEENS1_30default_config_static_selectorELNS0_4arch9wavefront6targetE1EEEvT1_
	.p2align	8
	.type	_ZN7rocprim17ROCPRIM_400000_NS6detail17trampoline_kernelINS0_14default_configENS1_29reduce_by_key_config_selectorIN3c108BFloat16ElN6thrust23THRUST_200600_302600_NS4plusIlEEEEZZNS1_33reduce_by_key_impl_wrapped_configILNS1_25lookback_scan_determinismE0ES3_SB_PS6_NS8_17constant_iteratorIiNS8_11use_defaultESG_EENS8_10device_ptrIS6_EENSI_IlEEPmSA_NS8_8equal_toIS6_EEEE10hipError_tPvRmT2_T3_mT4_T5_T6_T7_T8_P12ihipStream_tbENKUlT_T0_E_clISt17integral_constantIbLb0EES14_IbLb1EEEEDaS10_S11_EUlS10_E_NS1_11comp_targetILNS1_3genE10ELNS1_11target_archE1201ELNS1_3gpuE5ELNS1_3repE0EEENS1_30default_config_static_selectorELNS0_4arch9wavefront6targetE1EEEvT1_,@function
_ZN7rocprim17ROCPRIM_400000_NS6detail17trampoline_kernelINS0_14default_configENS1_29reduce_by_key_config_selectorIN3c108BFloat16ElN6thrust23THRUST_200600_302600_NS4plusIlEEEEZZNS1_33reduce_by_key_impl_wrapped_configILNS1_25lookback_scan_determinismE0ES3_SB_PS6_NS8_17constant_iteratorIiNS8_11use_defaultESG_EENS8_10device_ptrIS6_EENSI_IlEEPmSA_NS8_8equal_toIS6_EEEE10hipError_tPvRmT2_T3_mT4_T5_T6_T7_T8_P12ihipStream_tbENKUlT_T0_E_clISt17integral_constantIbLb0EES14_IbLb1EEEEDaS10_S11_EUlS10_E_NS1_11comp_targetILNS1_3genE10ELNS1_11target_archE1201ELNS1_3gpuE5ELNS1_3repE0EEENS1_30default_config_static_selectorELNS0_4arch9wavefront6targetE1EEEvT1_: ; @_ZN7rocprim17ROCPRIM_400000_NS6detail17trampoline_kernelINS0_14default_configENS1_29reduce_by_key_config_selectorIN3c108BFloat16ElN6thrust23THRUST_200600_302600_NS4plusIlEEEEZZNS1_33reduce_by_key_impl_wrapped_configILNS1_25lookback_scan_determinismE0ES3_SB_PS6_NS8_17constant_iteratorIiNS8_11use_defaultESG_EENS8_10device_ptrIS6_EENSI_IlEEPmSA_NS8_8equal_toIS6_EEEE10hipError_tPvRmT2_T3_mT4_T5_T6_T7_T8_P12ihipStream_tbENKUlT_T0_E_clISt17integral_constantIbLb0EES14_IbLb1EEEEDaS10_S11_EUlS10_E_NS1_11comp_targetILNS1_3genE10ELNS1_11target_archE1201ELNS1_3gpuE5ELNS1_3repE0EEENS1_30default_config_static_selectorELNS0_4arch9wavefront6targetE1EEEvT1_
; %bb.0:
	.section	.rodata,"a",@progbits
	.p2align	6, 0x0
	.amdhsa_kernel _ZN7rocprim17ROCPRIM_400000_NS6detail17trampoline_kernelINS0_14default_configENS1_29reduce_by_key_config_selectorIN3c108BFloat16ElN6thrust23THRUST_200600_302600_NS4plusIlEEEEZZNS1_33reduce_by_key_impl_wrapped_configILNS1_25lookback_scan_determinismE0ES3_SB_PS6_NS8_17constant_iteratorIiNS8_11use_defaultESG_EENS8_10device_ptrIS6_EENSI_IlEEPmSA_NS8_8equal_toIS6_EEEE10hipError_tPvRmT2_T3_mT4_T5_T6_T7_T8_P12ihipStream_tbENKUlT_T0_E_clISt17integral_constantIbLb0EES14_IbLb1EEEEDaS10_S11_EUlS10_E_NS1_11comp_targetILNS1_3genE10ELNS1_11target_archE1201ELNS1_3gpuE5ELNS1_3repE0EEENS1_30default_config_static_selectorELNS0_4arch9wavefront6targetE1EEEvT1_
		.amdhsa_group_segment_fixed_size 0
		.amdhsa_private_segment_fixed_size 0
		.amdhsa_kernarg_size 144
		.amdhsa_user_sgpr_count 6
		.amdhsa_user_sgpr_private_segment_buffer 1
		.amdhsa_user_sgpr_dispatch_ptr 0
		.amdhsa_user_sgpr_queue_ptr 0
		.amdhsa_user_sgpr_kernarg_segment_ptr 1
		.amdhsa_user_sgpr_dispatch_id 0
		.amdhsa_user_sgpr_flat_scratch_init 0
		.amdhsa_user_sgpr_private_segment_size 0
		.amdhsa_uses_dynamic_stack 0
		.amdhsa_system_sgpr_private_segment_wavefront_offset 0
		.amdhsa_system_sgpr_workgroup_id_x 1
		.amdhsa_system_sgpr_workgroup_id_y 0
		.amdhsa_system_sgpr_workgroup_id_z 0
		.amdhsa_system_sgpr_workgroup_info 0
		.amdhsa_system_vgpr_workitem_id 0
		.amdhsa_next_free_vgpr 1
		.amdhsa_next_free_sgpr 0
		.amdhsa_reserve_vcc 0
		.amdhsa_reserve_flat_scratch 0
		.amdhsa_float_round_mode_32 0
		.amdhsa_float_round_mode_16_64 0
		.amdhsa_float_denorm_mode_32 3
		.amdhsa_float_denorm_mode_16_64 3
		.amdhsa_dx10_clamp 1
		.amdhsa_ieee_mode 1
		.amdhsa_fp16_overflow 0
		.amdhsa_exception_fp_ieee_invalid_op 0
		.amdhsa_exception_fp_denorm_src 0
		.amdhsa_exception_fp_ieee_div_zero 0
		.amdhsa_exception_fp_ieee_overflow 0
		.amdhsa_exception_fp_ieee_underflow 0
		.amdhsa_exception_fp_ieee_inexact 0
		.amdhsa_exception_int_div_zero 0
	.end_amdhsa_kernel
	.section	.text._ZN7rocprim17ROCPRIM_400000_NS6detail17trampoline_kernelINS0_14default_configENS1_29reduce_by_key_config_selectorIN3c108BFloat16ElN6thrust23THRUST_200600_302600_NS4plusIlEEEEZZNS1_33reduce_by_key_impl_wrapped_configILNS1_25lookback_scan_determinismE0ES3_SB_PS6_NS8_17constant_iteratorIiNS8_11use_defaultESG_EENS8_10device_ptrIS6_EENSI_IlEEPmSA_NS8_8equal_toIS6_EEEE10hipError_tPvRmT2_T3_mT4_T5_T6_T7_T8_P12ihipStream_tbENKUlT_T0_E_clISt17integral_constantIbLb0EES14_IbLb1EEEEDaS10_S11_EUlS10_E_NS1_11comp_targetILNS1_3genE10ELNS1_11target_archE1201ELNS1_3gpuE5ELNS1_3repE0EEENS1_30default_config_static_selectorELNS0_4arch9wavefront6targetE1EEEvT1_,"axG",@progbits,_ZN7rocprim17ROCPRIM_400000_NS6detail17trampoline_kernelINS0_14default_configENS1_29reduce_by_key_config_selectorIN3c108BFloat16ElN6thrust23THRUST_200600_302600_NS4plusIlEEEEZZNS1_33reduce_by_key_impl_wrapped_configILNS1_25lookback_scan_determinismE0ES3_SB_PS6_NS8_17constant_iteratorIiNS8_11use_defaultESG_EENS8_10device_ptrIS6_EENSI_IlEEPmSA_NS8_8equal_toIS6_EEEE10hipError_tPvRmT2_T3_mT4_T5_T6_T7_T8_P12ihipStream_tbENKUlT_T0_E_clISt17integral_constantIbLb0EES14_IbLb1EEEEDaS10_S11_EUlS10_E_NS1_11comp_targetILNS1_3genE10ELNS1_11target_archE1201ELNS1_3gpuE5ELNS1_3repE0EEENS1_30default_config_static_selectorELNS0_4arch9wavefront6targetE1EEEvT1_,comdat
.Lfunc_end2084:
	.size	_ZN7rocprim17ROCPRIM_400000_NS6detail17trampoline_kernelINS0_14default_configENS1_29reduce_by_key_config_selectorIN3c108BFloat16ElN6thrust23THRUST_200600_302600_NS4plusIlEEEEZZNS1_33reduce_by_key_impl_wrapped_configILNS1_25lookback_scan_determinismE0ES3_SB_PS6_NS8_17constant_iteratorIiNS8_11use_defaultESG_EENS8_10device_ptrIS6_EENSI_IlEEPmSA_NS8_8equal_toIS6_EEEE10hipError_tPvRmT2_T3_mT4_T5_T6_T7_T8_P12ihipStream_tbENKUlT_T0_E_clISt17integral_constantIbLb0EES14_IbLb1EEEEDaS10_S11_EUlS10_E_NS1_11comp_targetILNS1_3genE10ELNS1_11target_archE1201ELNS1_3gpuE5ELNS1_3repE0EEENS1_30default_config_static_selectorELNS0_4arch9wavefront6targetE1EEEvT1_, .Lfunc_end2084-_ZN7rocprim17ROCPRIM_400000_NS6detail17trampoline_kernelINS0_14default_configENS1_29reduce_by_key_config_selectorIN3c108BFloat16ElN6thrust23THRUST_200600_302600_NS4plusIlEEEEZZNS1_33reduce_by_key_impl_wrapped_configILNS1_25lookback_scan_determinismE0ES3_SB_PS6_NS8_17constant_iteratorIiNS8_11use_defaultESG_EENS8_10device_ptrIS6_EENSI_IlEEPmSA_NS8_8equal_toIS6_EEEE10hipError_tPvRmT2_T3_mT4_T5_T6_T7_T8_P12ihipStream_tbENKUlT_T0_E_clISt17integral_constantIbLb0EES14_IbLb1EEEEDaS10_S11_EUlS10_E_NS1_11comp_targetILNS1_3genE10ELNS1_11target_archE1201ELNS1_3gpuE5ELNS1_3repE0EEENS1_30default_config_static_selectorELNS0_4arch9wavefront6targetE1EEEvT1_
                                        ; -- End function
	.set _ZN7rocprim17ROCPRIM_400000_NS6detail17trampoline_kernelINS0_14default_configENS1_29reduce_by_key_config_selectorIN3c108BFloat16ElN6thrust23THRUST_200600_302600_NS4plusIlEEEEZZNS1_33reduce_by_key_impl_wrapped_configILNS1_25lookback_scan_determinismE0ES3_SB_PS6_NS8_17constant_iteratorIiNS8_11use_defaultESG_EENS8_10device_ptrIS6_EENSI_IlEEPmSA_NS8_8equal_toIS6_EEEE10hipError_tPvRmT2_T3_mT4_T5_T6_T7_T8_P12ihipStream_tbENKUlT_T0_E_clISt17integral_constantIbLb0EES14_IbLb1EEEEDaS10_S11_EUlS10_E_NS1_11comp_targetILNS1_3genE10ELNS1_11target_archE1201ELNS1_3gpuE5ELNS1_3repE0EEENS1_30default_config_static_selectorELNS0_4arch9wavefront6targetE1EEEvT1_.num_vgpr, 0
	.set _ZN7rocprim17ROCPRIM_400000_NS6detail17trampoline_kernelINS0_14default_configENS1_29reduce_by_key_config_selectorIN3c108BFloat16ElN6thrust23THRUST_200600_302600_NS4plusIlEEEEZZNS1_33reduce_by_key_impl_wrapped_configILNS1_25lookback_scan_determinismE0ES3_SB_PS6_NS8_17constant_iteratorIiNS8_11use_defaultESG_EENS8_10device_ptrIS6_EENSI_IlEEPmSA_NS8_8equal_toIS6_EEEE10hipError_tPvRmT2_T3_mT4_T5_T6_T7_T8_P12ihipStream_tbENKUlT_T0_E_clISt17integral_constantIbLb0EES14_IbLb1EEEEDaS10_S11_EUlS10_E_NS1_11comp_targetILNS1_3genE10ELNS1_11target_archE1201ELNS1_3gpuE5ELNS1_3repE0EEENS1_30default_config_static_selectorELNS0_4arch9wavefront6targetE1EEEvT1_.num_agpr, 0
	.set _ZN7rocprim17ROCPRIM_400000_NS6detail17trampoline_kernelINS0_14default_configENS1_29reduce_by_key_config_selectorIN3c108BFloat16ElN6thrust23THRUST_200600_302600_NS4plusIlEEEEZZNS1_33reduce_by_key_impl_wrapped_configILNS1_25lookback_scan_determinismE0ES3_SB_PS6_NS8_17constant_iteratorIiNS8_11use_defaultESG_EENS8_10device_ptrIS6_EENSI_IlEEPmSA_NS8_8equal_toIS6_EEEE10hipError_tPvRmT2_T3_mT4_T5_T6_T7_T8_P12ihipStream_tbENKUlT_T0_E_clISt17integral_constantIbLb0EES14_IbLb1EEEEDaS10_S11_EUlS10_E_NS1_11comp_targetILNS1_3genE10ELNS1_11target_archE1201ELNS1_3gpuE5ELNS1_3repE0EEENS1_30default_config_static_selectorELNS0_4arch9wavefront6targetE1EEEvT1_.numbered_sgpr, 0
	.set _ZN7rocprim17ROCPRIM_400000_NS6detail17trampoline_kernelINS0_14default_configENS1_29reduce_by_key_config_selectorIN3c108BFloat16ElN6thrust23THRUST_200600_302600_NS4plusIlEEEEZZNS1_33reduce_by_key_impl_wrapped_configILNS1_25lookback_scan_determinismE0ES3_SB_PS6_NS8_17constant_iteratorIiNS8_11use_defaultESG_EENS8_10device_ptrIS6_EENSI_IlEEPmSA_NS8_8equal_toIS6_EEEE10hipError_tPvRmT2_T3_mT4_T5_T6_T7_T8_P12ihipStream_tbENKUlT_T0_E_clISt17integral_constantIbLb0EES14_IbLb1EEEEDaS10_S11_EUlS10_E_NS1_11comp_targetILNS1_3genE10ELNS1_11target_archE1201ELNS1_3gpuE5ELNS1_3repE0EEENS1_30default_config_static_selectorELNS0_4arch9wavefront6targetE1EEEvT1_.num_named_barrier, 0
	.set _ZN7rocprim17ROCPRIM_400000_NS6detail17trampoline_kernelINS0_14default_configENS1_29reduce_by_key_config_selectorIN3c108BFloat16ElN6thrust23THRUST_200600_302600_NS4plusIlEEEEZZNS1_33reduce_by_key_impl_wrapped_configILNS1_25lookback_scan_determinismE0ES3_SB_PS6_NS8_17constant_iteratorIiNS8_11use_defaultESG_EENS8_10device_ptrIS6_EENSI_IlEEPmSA_NS8_8equal_toIS6_EEEE10hipError_tPvRmT2_T3_mT4_T5_T6_T7_T8_P12ihipStream_tbENKUlT_T0_E_clISt17integral_constantIbLb0EES14_IbLb1EEEEDaS10_S11_EUlS10_E_NS1_11comp_targetILNS1_3genE10ELNS1_11target_archE1201ELNS1_3gpuE5ELNS1_3repE0EEENS1_30default_config_static_selectorELNS0_4arch9wavefront6targetE1EEEvT1_.private_seg_size, 0
	.set _ZN7rocprim17ROCPRIM_400000_NS6detail17trampoline_kernelINS0_14default_configENS1_29reduce_by_key_config_selectorIN3c108BFloat16ElN6thrust23THRUST_200600_302600_NS4plusIlEEEEZZNS1_33reduce_by_key_impl_wrapped_configILNS1_25lookback_scan_determinismE0ES3_SB_PS6_NS8_17constant_iteratorIiNS8_11use_defaultESG_EENS8_10device_ptrIS6_EENSI_IlEEPmSA_NS8_8equal_toIS6_EEEE10hipError_tPvRmT2_T3_mT4_T5_T6_T7_T8_P12ihipStream_tbENKUlT_T0_E_clISt17integral_constantIbLb0EES14_IbLb1EEEEDaS10_S11_EUlS10_E_NS1_11comp_targetILNS1_3genE10ELNS1_11target_archE1201ELNS1_3gpuE5ELNS1_3repE0EEENS1_30default_config_static_selectorELNS0_4arch9wavefront6targetE1EEEvT1_.uses_vcc, 0
	.set _ZN7rocprim17ROCPRIM_400000_NS6detail17trampoline_kernelINS0_14default_configENS1_29reduce_by_key_config_selectorIN3c108BFloat16ElN6thrust23THRUST_200600_302600_NS4plusIlEEEEZZNS1_33reduce_by_key_impl_wrapped_configILNS1_25lookback_scan_determinismE0ES3_SB_PS6_NS8_17constant_iteratorIiNS8_11use_defaultESG_EENS8_10device_ptrIS6_EENSI_IlEEPmSA_NS8_8equal_toIS6_EEEE10hipError_tPvRmT2_T3_mT4_T5_T6_T7_T8_P12ihipStream_tbENKUlT_T0_E_clISt17integral_constantIbLb0EES14_IbLb1EEEEDaS10_S11_EUlS10_E_NS1_11comp_targetILNS1_3genE10ELNS1_11target_archE1201ELNS1_3gpuE5ELNS1_3repE0EEENS1_30default_config_static_selectorELNS0_4arch9wavefront6targetE1EEEvT1_.uses_flat_scratch, 0
	.set _ZN7rocprim17ROCPRIM_400000_NS6detail17trampoline_kernelINS0_14default_configENS1_29reduce_by_key_config_selectorIN3c108BFloat16ElN6thrust23THRUST_200600_302600_NS4plusIlEEEEZZNS1_33reduce_by_key_impl_wrapped_configILNS1_25lookback_scan_determinismE0ES3_SB_PS6_NS8_17constant_iteratorIiNS8_11use_defaultESG_EENS8_10device_ptrIS6_EENSI_IlEEPmSA_NS8_8equal_toIS6_EEEE10hipError_tPvRmT2_T3_mT4_T5_T6_T7_T8_P12ihipStream_tbENKUlT_T0_E_clISt17integral_constantIbLb0EES14_IbLb1EEEEDaS10_S11_EUlS10_E_NS1_11comp_targetILNS1_3genE10ELNS1_11target_archE1201ELNS1_3gpuE5ELNS1_3repE0EEENS1_30default_config_static_selectorELNS0_4arch9wavefront6targetE1EEEvT1_.has_dyn_sized_stack, 0
	.set _ZN7rocprim17ROCPRIM_400000_NS6detail17trampoline_kernelINS0_14default_configENS1_29reduce_by_key_config_selectorIN3c108BFloat16ElN6thrust23THRUST_200600_302600_NS4plusIlEEEEZZNS1_33reduce_by_key_impl_wrapped_configILNS1_25lookback_scan_determinismE0ES3_SB_PS6_NS8_17constant_iteratorIiNS8_11use_defaultESG_EENS8_10device_ptrIS6_EENSI_IlEEPmSA_NS8_8equal_toIS6_EEEE10hipError_tPvRmT2_T3_mT4_T5_T6_T7_T8_P12ihipStream_tbENKUlT_T0_E_clISt17integral_constantIbLb0EES14_IbLb1EEEEDaS10_S11_EUlS10_E_NS1_11comp_targetILNS1_3genE10ELNS1_11target_archE1201ELNS1_3gpuE5ELNS1_3repE0EEENS1_30default_config_static_selectorELNS0_4arch9wavefront6targetE1EEEvT1_.has_recursion, 0
	.set _ZN7rocprim17ROCPRIM_400000_NS6detail17trampoline_kernelINS0_14default_configENS1_29reduce_by_key_config_selectorIN3c108BFloat16ElN6thrust23THRUST_200600_302600_NS4plusIlEEEEZZNS1_33reduce_by_key_impl_wrapped_configILNS1_25lookback_scan_determinismE0ES3_SB_PS6_NS8_17constant_iteratorIiNS8_11use_defaultESG_EENS8_10device_ptrIS6_EENSI_IlEEPmSA_NS8_8equal_toIS6_EEEE10hipError_tPvRmT2_T3_mT4_T5_T6_T7_T8_P12ihipStream_tbENKUlT_T0_E_clISt17integral_constantIbLb0EES14_IbLb1EEEEDaS10_S11_EUlS10_E_NS1_11comp_targetILNS1_3genE10ELNS1_11target_archE1201ELNS1_3gpuE5ELNS1_3repE0EEENS1_30default_config_static_selectorELNS0_4arch9wavefront6targetE1EEEvT1_.has_indirect_call, 0
	.section	.AMDGPU.csdata,"",@progbits
; Kernel info:
; codeLenInByte = 0
; TotalNumSgprs: 4
; NumVgprs: 0
; ScratchSize: 0
; MemoryBound: 0
; FloatMode: 240
; IeeeMode: 1
; LDSByteSize: 0 bytes/workgroup (compile time only)
; SGPRBlocks: 0
; VGPRBlocks: 0
; NumSGPRsForWavesPerEU: 4
; NumVGPRsForWavesPerEU: 1
; Occupancy: 10
; WaveLimiterHint : 0
; COMPUTE_PGM_RSRC2:SCRATCH_EN: 0
; COMPUTE_PGM_RSRC2:USER_SGPR: 6
; COMPUTE_PGM_RSRC2:TRAP_HANDLER: 0
; COMPUTE_PGM_RSRC2:TGID_X_EN: 1
; COMPUTE_PGM_RSRC2:TGID_Y_EN: 0
; COMPUTE_PGM_RSRC2:TGID_Z_EN: 0
; COMPUTE_PGM_RSRC2:TIDIG_COMP_CNT: 0
	.section	.text._ZN7rocprim17ROCPRIM_400000_NS6detail17trampoline_kernelINS0_14default_configENS1_29reduce_by_key_config_selectorIN3c108BFloat16ElN6thrust23THRUST_200600_302600_NS4plusIlEEEEZZNS1_33reduce_by_key_impl_wrapped_configILNS1_25lookback_scan_determinismE0ES3_SB_PS6_NS8_17constant_iteratorIiNS8_11use_defaultESG_EENS8_10device_ptrIS6_EENSI_IlEEPmSA_NS8_8equal_toIS6_EEEE10hipError_tPvRmT2_T3_mT4_T5_T6_T7_T8_P12ihipStream_tbENKUlT_T0_E_clISt17integral_constantIbLb0EES14_IbLb1EEEEDaS10_S11_EUlS10_E_NS1_11comp_targetILNS1_3genE10ELNS1_11target_archE1200ELNS1_3gpuE4ELNS1_3repE0EEENS1_30default_config_static_selectorELNS0_4arch9wavefront6targetE1EEEvT1_,"axG",@progbits,_ZN7rocprim17ROCPRIM_400000_NS6detail17trampoline_kernelINS0_14default_configENS1_29reduce_by_key_config_selectorIN3c108BFloat16ElN6thrust23THRUST_200600_302600_NS4plusIlEEEEZZNS1_33reduce_by_key_impl_wrapped_configILNS1_25lookback_scan_determinismE0ES3_SB_PS6_NS8_17constant_iteratorIiNS8_11use_defaultESG_EENS8_10device_ptrIS6_EENSI_IlEEPmSA_NS8_8equal_toIS6_EEEE10hipError_tPvRmT2_T3_mT4_T5_T6_T7_T8_P12ihipStream_tbENKUlT_T0_E_clISt17integral_constantIbLb0EES14_IbLb1EEEEDaS10_S11_EUlS10_E_NS1_11comp_targetILNS1_3genE10ELNS1_11target_archE1200ELNS1_3gpuE4ELNS1_3repE0EEENS1_30default_config_static_selectorELNS0_4arch9wavefront6targetE1EEEvT1_,comdat
	.protected	_ZN7rocprim17ROCPRIM_400000_NS6detail17trampoline_kernelINS0_14default_configENS1_29reduce_by_key_config_selectorIN3c108BFloat16ElN6thrust23THRUST_200600_302600_NS4plusIlEEEEZZNS1_33reduce_by_key_impl_wrapped_configILNS1_25lookback_scan_determinismE0ES3_SB_PS6_NS8_17constant_iteratorIiNS8_11use_defaultESG_EENS8_10device_ptrIS6_EENSI_IlEEPmSA_NS8_8equal_toIS6_EEEE10hipError_tPvRmT2_T3_mT4_T5_T6_T7_T8_P12ihipStream_tbENKUlT_T0_E_clISt17integral_constantIbLb0EES14_IbLb1EEEEDaS10_S11_EUlS10_E_NS1_11comp_targetILNS1_3genE10ELNS1_11target_archE1200ELNS1_3gpuE4ELNS1_3repE0EEENS1_30default_config_static_selectorELNS0_4arch9wavefront6targetE1EEEvT1_ ; -- Begin function _ZN7rocprim17ROCPRIM_400000_NS6detail17trampoline_kernelINS0_14default_configENS1_29reduce_by_key_config_selectorIN3c108BFloat16ElN6thrust23THRUST_200600_302600_NS4plusIlEEEEZZNS1_33reduce_by_key_impl_wrapped_configILNS1_25lookback_scan_determinismE0ES3_SB_PS6_NS8_17constant_iteratorIiNS8_11use_defaultESG_EENS8_10device_ptrIS6_EENSI_IlEEPmSA_NS8_8equal_toIS6_EEEE10hipError_tPvRmT2_T3_mT4_T5_T6_T7_T8_P12ihipStream_tbENKUlT_T0_E_clISt17integral_constantIbLb0EES14_IbLb1EEEEDaS10_S11_EUlS10_E_NS1_11comp_targetILNS1_3genE10ELNS1_11target_archE1200ELNS1_3gpuE4ELNS1_3repE0EEENS1_30default_config_static_selectorELNS0_4arch9wavefront6targetE1EEEvT1_
	.globl	_ZN7rocprim17ROCPRIM_400000_NS6detail17trampoline_kernelINS0_14default_configENS1_29reduce_by_key_config_selectorIN3c108BFloat16ElN6thrust23THRUST_200600_302600_NS4plusIlEEEEZZNS1_33reduce_by_key_impl_wrapped_configILNS1_25lookback_scan_determinismE0ES3_SB_PS6_NS8_17constant_iteratorIiNS8_11use_defaultESG_EENS8_10device_ptrIS6_EENSI_IlEEPmSA_NS8_8equal_toIS6_EEEE10hipError_tPvRmT2_T3_mT4_T5_T6_T7_T8_P12ihipStream_tbENKUlT_T0_E_clISt17integral_constantIbLb0EES14_IbLb1EEEEDaS10_S11_EUlS10_E_NS1_11comp_targetILNS1_3genE10ELNS1_11target_archE1200ELNS1_3gpuE4ELNS1_3repE0EEENS1_30default_config_static_selectorELNS0_4arch9wavefront6targetE1EEEvT1_
	.p2align	8
	.type	_ZN7rocprim17ROCPRIM_400000_NS6detail17trampoline_kernelINS0_14default_configENS1_29reduce_by_key_config_selectorIN3c108BFloat16ElN6thrust23THRUST_200600_302600_NS4plusIlEEEEZZNS1_33reduce_by_key_impl_wrapped_configILNS1_25lookback_scan_determinismE0ES3_SB_PS6_NS8_17constant_iteratorIiNS8_11use_defaultESG_EENS8_10device_ptrIS6_EENSI_IlEEPmSA_NS8_8equal_toIS6_EEEE10hipError_tPvRmT2_T3_mT4_T5_T6_T7_T8_P12ihipStream_tbENKUlT_T0_E_clISt17integral_constantIbLb0EES14_IbLb1EEEEDaS10_S11_EUlS10_E_NS1_11comp_targetILNS1_3genE10ELNS1_11target_archE1200ELNS1_3gpuE4ELNS1_3repE0EEENS1_30default_config_static_selectorELNS0_4arch9wavefront6targetE1EEEvT1_,@function
_ZN7rocprim17ROCPRIM_400000_NS6detail17trampoline_kernelINS0_14default_configENS1_29reduce_by_key_config_selectorIN3c108BFloat16ElN6thrust23THRUST_200600_302600_NS4plusIlEEEEZZNS1_33reduce_by_key_impl_wrapped_configILNS1_25lookback_scan_determinismE0ES3_SB_PS6_NS8_17constant_iteratorIiNS8_11use_defaultESG_EENS8_10device_ptrIS6_EENSI_IlEEPmSA_NS8_8equal_toIS6_EEEE10hipError_tPvRmT2_T3_mT4_T5_T6_T7_T8_P12ihipStream_tbENKUlT_T0_E_clISt17integral_constantIbLb0EES14_IbLb1EEEEDaS10_S11_EUlS10_E_NS1_11comp_targetILNS1_3genE10ELNS1_11target_archE1200ELNS1_3gpuE4ELNS1_3repE0EEENS1_30default_config_static_selectorELNS0_4arch9wavefront6targetE1EEEvT1_: ; @_ZN7rocprim17ROCPRIM_400000_NS6detail17trampoline_kernelINS0_14default_configENS1_29reduce_by_key_config_selectorIN3c108BFloat16ElN6thrust23THRUST_200600_302600_NS4plusIlEEEEZZNS1_33reduce_by_key_impl_wrapped_configILNS1_25lookback_scan_determinismE0ES3_SB_PS6_NS8_17constant_iteratorIiNS8_11use_defaultESG_EENS8_10device_ptrIS6_EENSI_IlEEPmSA_NS8_8equal_toIS6_EEEE10hipError_tPvRmT2_T3_mT4_T5_T6_T7_T8_P12ihipStream_tbENKUlT_T0_E_clISt17integral_constantIbLb0EES14_IbLb1EEEEDaS10_S11_EUlS10_E_NS1_11comp_targetILNS1_3genE10ELNS1_11target_archE1200ELNS1_3gpuE4ELNS1_3repE0EEENS1_30default_config_static_selectorELNS0_4arch9wavefront6targetE1EEEvT1_
; %bb.0:
	.section	.rodata,"a",@progbits
	.p2align	6, 0x0
	.amdhsa_kernel _ZN7rocprim17ROCPRIM_400000_NS6detail17trampoline_kernelINS0_14default_configENS1_29reduce_by_key_config_selectorIN3c108BFloat16ElN6thrust23THRUST_200600_302600_NS4plusIlEEEEZZNS1_33reduce_by_key_impl_wrapped_configILNS1_25lookback_scan_determinismE0ES3_SB_PS6_NS8_17constant_iteratorIiNS8_11use_defaultESG_EENS8_10device_ptrIS6_EENSI_IlEEPmSA_NS8_8equal_toIS6_EEEE10hipError_tPvRmT2_T3_mT4_T5_T6_T7_T8_P12ihipStream_tbENKUlT_T0_E_clISt17integral_constantIbLb0EES14_IbLb1EEEEDaS10_S11_EUlS10_E_NS1_11comp_targetILNS1_3genE10ELNS1_11target_archE1200ELNS1_3gpuE4ELNS1_3repE0EEENS1_30default_config_static_selectorELNS0_4arch9wavefront6targetE1EEEvT1_
		.amdhsa_group_segment_fixed_size 0
		.amdhsa_private_segment_fixed_size 0
		.amdhsa_kernarg_size 144
		.amdhsa_user_sgpr_count 6
		.amdhsa_user_sgpr_private_segment_buffer 1
		.amdhsa_user_sgpr_dispatch_ptr 0
		.amdhsa_user_sgpr_queue_ptr 0
		.amdhsa_user_sgpr_kernarg_segment_ptr 1
		.amdhsa_user_sgpr_dispatch_id 0
		.amdhsa_user_sgpr_flat_scratch_init 0
		.amdhsa_user_sgpr_private_segment_size 0
		.amdhsa_uses_dynamic_stack 0
		.amdhsa_system_sgpr_private_segment_wavefront_offset 0
		.amdhsa_system_sgpr_workgroup_id_x 1
		.amdhsa_system_sgpr_workgroup_id_y 0
		.amdhsa_system_sgpr_workgroup_id_z 0
		.amdhsa_system_sgpr_workgroup_info 0
		.amdhsa_system_vgpr_workitem_id 0
		.amdhsa_next_free_vgpr 1
		.amdhsa_next_free_sgpr 0
		.amdhsa_reserve_vcc 0
		.amdhsa_reserve_flat_scratch 0
		.amdhsa_float_round_mode_32 0
		.amdhsa_float_round_mode_16_64 0
		.amdhsa_float_denorm_mode_32 3
		.amdhsa_float_denorm_mode_16_64 3
		.amdhsa_dx10_clamp 1
		.amdhsa_ieee_mode 1
		.amdhsa_fp16_overflow 0
		.amdhsa_exception_fp_ieee_invalid_op 0
		.amdhsa_exception_fp_denorm_src 0
		.amdhsa_exception_fp_ieee_div_zero 0
		.amdhsa_exception_fp_ieee_overflow 0
		.amdhsa_exception_fp_ieee_underflow 0
		.amdhsa_exception_fp_ieee_inexact 0
		.amdhsa_exception_int_div_zero 0
	.end_amdhsa_kernel
	.section	.text._ZN7rocprim17ROCPRIM_400000_NS6detail17trampoline_kernelINS0_14default_configENS1_29reduce_by_key_config_selectorIN3c108BFloat16ElN6thrust23THRUST_200600_302600_NS4plusIlEEEEZZNS1_33reduce_by_key_impl_wrapped_configILNS1_25lookback_scan_determinismE0ES3_SB_PS6_NS8_17constant_iteratorIiNS8_11use_defaultESG_EENS8_10device_ptrIS6_EENSI_IlEEPmSA_NS8_8equal_toIS6_EEEE10hipError_tPvRmT2_T3_mT4_T5_T6_T7_T8_P12ihipStream_tbENKUlT_T0_E_clISt17integral_constantIbLb0EES14_IbLb1EEEEDaS10_S11_EUlS10_E_NS1_11comp_targetILNS1_3genE10ELNS1_11target_archE1200ELNS1_3gpuE4ELNS1_3repE0EEENS1_30default_config_static_selectorELNS0_4arch9wavefront6targetE1EEEvT1_,"axG",@progbits,_ZN7rocprim17ROCPRIM_400000_NS6detail17trampoline_kernelINS0_14default_configENS1_29reduce_by_key_config_selectorIN3c108BFloat16ElN6thrust23THRUST_200600_302600_NS4plusIlEEEEZZNS1_33reduce_by_key_impl_wrapped_configILNS1_25lookback_scan_determinismE0ES3_SB_PS6_NS8_17constant_iteratorIiNS8_11use_defaultESG_EENS8_10device_ptrIS6_EENSI_IlEEPmSA_NS8_8equal_toIS6_EEEE10hipError_tPvRmT2_T3_mT4_T5_T6_T7_T8_P12ihipStream_tbENKUlT_T0_E_clISt17integral_constantIbLb0EES14_IbLb1EEEEDaS10_S11_EUlS10_E_NS1_11comp_targetILNS1_3genE10ELNS1_11target_archE1200ELNS1_3gpuE4ELNS1_3repE0EEENS1_30default_config_static_selectorELNS0_4arch9wavefront6targetE1EEEvT1_,comdat
.Lfunc_end2085:
	.size	_ZN7rocprim17ROCPRIM_400000_NS6detail17trampoline_kernelINS0_14default_configENS1_29reduce_by_key_config_selectorIN3c108BFloat16ElN6thrust23THRUST_200600_302600_NS4plusIlEEEEZZNS1_33reduce_by_key_impl_wrapped_configILNS1_25lookback_scan_determinismE0ES3_SB_PS6_NS8_17constant_iteratorIiNS8_11use_defaultESG_EENS8_10device_ptrIS6_EENSI_IlEEPmSA_NS8_8equal_toIS6_EEEE10hipError_tPvRmT2_T3_mT4_T5_T6_T7_T8_P12ihipStream_tbENKUlT_T0_E_clISt17integral_constantIbLb0EES14_IbLb1EEEEDaS10_S11_EUlS10_E_NS1_11comp_targetILNS1_3genE10ELNS1_11target_archE1200ELNS1_3gpuE4ELNS1_3repE0EEENS1_30default_config_static_selectorELNS0_4arch9wavefront6targetE1EEEvT1_, .Lfunc_end2085-_ZN7rocprim17ROCPRIM_400000_NS6detail17trampoline_kernelINS0_14default_configENS1_29reduce_by_key_config_selectorIN3c108BFloat16ElN6thrust23THRUST_200600_302600_NS4plusIlEEEEZZNS1_33reduce_by_key_impl_wrapped_configILNS1_25lookback_scan_determinismE0ES3_SB_PS6_NS8_17constant_iteratorIiNS8_11use_defaultESG_EENS8_10device_ptrIS6_EENSI_IlEEPmSA_NS8_8equal_toIS6_EEEE10hipError_tPvRmT2_T3_mT4_T5_T6_T7_T8_P12ihipStream_tbENKUlT_T0_E_clISt17integral_constantIbLb0EES14_IbLb1EEEEDaS10_S11_EUlS10_E_NS1_11comp_targetILNS1_3genE10ELNS1_11target_archE1200ELNS1_3gpuE4ELNS1_3repE0EEENS1_30default_config_static_selectorELNS0_4arch9wavefront6targetE1EEEvT1_
                                        ; -- End function
	.set _ZN7rocprim17ROCPRIM_400000_NS6detail17trampoline_kernelINS0_14default_configENS1_29reduce_by_key_config_selectorIN3c108BFloat16ElN6thrust23THRUST_200600_302600_NS4plusIlEEEEZZNS1_33reduce_by_key_impl_wrapped_configILNS1_25lookback_scan_determinismE0ES3_SB_PS6_NS8_17constant_iteratorIiNS8_11use_defaultESG_EENS8_10device_ptrIS6_EENSI_IlEEPmSA_NS8_8equal_toIS6_EEEE10hipError_tPvRmT2_T3_mT4_T5_T6_T7_T8_P12ihipStream_tbENKUlT_T0_E_clISt17integral_constantIbLb0EES14_IbLb1EEEEDaS10_S11_EUlS10_E_NS1_11comp_targetILNS1_3genE10ELNS1_11target_archE1200ELNS1_3gpuE4ELNS1_3repE0EEENS1_30default_config_static_selectorELNS0_4arch9wavefront6targetE1EEEvT1_.num_vgpr, 0
	.set _ZN7rocprim17ROCPRIM_400000_NS6detail17trampoline_kernelINS0_14default_configENS1_29reduce_by_key_config_selectorIN3c108BFloat16ElN6thrust23THRUST_200600_302600_NS4plusIlEEEEZZNS1_33reduce_by_key_impl_wrapped_configILNS1_25lookback_scan_determinismE0ES3_SB_PS6_NS8_17constant_iteratorIiNS8_11use_defaultESG_EENS8_10device_ptrIS6_EENSI_IlEEPmSA_NS8_8equal_toIS6_EEEE10hipError_tPvRmT2_T3_mT4_T5_T6_T7_T8_P12ihipStream_tbENKUlT_T0_E_clISt17integral_constantIbLb0EES14_IbLb1EEEEDaS10_S11_EUlS10_E_NS1_11comp_targetILNS1_3genE10ELNS1_11target_archE1200ELNS1_3gpuE4ELNS1_3repE0EEENS1_30default_config_static_selectorELNS0_4arch9wavefront6targetE1EEEvT1_.num_agpr, 0
	.set _ZN7rocprim17ROCPRIM_400000_NS6detail17trampoline_kernelINS0_14default_configENS1_29reduce_by_key_config_selectorIN3c108BFloat16ElN6thrust23THRUST_200600_302600_NS4plusIlEEEEZZNS1_33reduce_by_key_impl_wrapped_configILNS1_25lookback_scan_determinismE0ES3_SB_PS6_NS8_17constant_iteratorIiNS8_11use_defaultESG_EENS8_10device_ptrIS6_EENSI_IlEEPmSA_NS8_8equal_toIS6_EEEE10hipError_tPvRmT2_T3_mT4_T5_T6_T7_T8_P12ihipStream_tbENKUlT_T0_E_clISt17integral_constantIbLb0EES14_IbLb1EEEEDaS10_S11_EUlS10_E_NS1_11comp_targetILNS1_3genE10ELNS1_11target_archE1200ELNS1_3gpuE4ELNS1_3repE0EEENS1_30default_config_static_selectorELNS0_4arch9wavefront6targetE1EEEvT1_.numbered_sgpr, 0
	.set _ZN7rocprim17ROCPRIM_400000_NS6detail17trampoline_kernelINS0_14default_configENS1_29reduce_by_key_config_selectorIN3c108BFloat16ElN6thrust23THRUST_200600_302600_NS4plusIlEEEEZZNS1_33reduce_by_key_impl_wrapped_configILNS1_25lookback_scan_determinismE0ES3_SB_PS6_NS8_17constant_iteratorIiNS8_11use_defaultESG_EENS8_10device_ptrIS6_EENSI_IlEEPmSA_NS8_8equal_toIS6_EEEE10hipError_tPvRmT2_T3_mT4_T5_T6_T7_T8_P12ihipStream_tbENKUlT_T0_E_clISt17integral_constantIbLb0EES14_IbLb1EEEEDaS10_S11_EUlS10_E_NS1_11comp_targetILNS1_3genE10ELNS1_11target_archE1200ELNS1_3gpuE4ELNS1_3repE0EEENS1_30default_config_static_selectorELNS0_4arch9wavefront6targetE1EEEvT1_.num_named_barrier, 0
	.set _ZN7rocprim17ROCPRIM_400000_NS6detail17trampoline_kernelINS0_14default_configENS1_29reduce_by_key_config_selectorIN3c108BFloat16ElN6thrust23THRUST_200600_302600_NS4plusIlEEEEZZNS1_33reduce_by_key_impl_wrapped_configILNS1_25lookback_scan_determinismE0ES3_SB_PS6_NS8_17constant_iteratorIiNS8_11use_defaultESG_EENS8_10device_ptrIS6_EENSI_IlEEPmSA_NS8_8equal_toIS6_EEEE10hipError_tPvRmT2_T3_mT4_T5_T6_T7_T8_P12ihipStream_tbENKUlT_T0_E_clISt17integral_constantIbLb0EES14_IbLb1EEEEDaS10_S11_EUlS10_E_NS1_11comp_targetILNS1_3genE10ELNS1_11target_archE1200ELNS1_3gpuE4ELNS1_3repE0EEENS1_30default_config_static_selectorELNS0_4arch9wavefront6targetE1EEEvT1_.private_seg_size, 0
	.set _ZN7rocprim17ROCPRIM_400000_NS6detail17trampoline_kernelINS0_14default_configENS1_29reduce_by_key_config_selectorIN3c108BFloat16ElN6thrust23THRUST_200600_302600_NS4plusIlEEEEZZNS1_33reduce_by_key_impl_wrapped_configILNS1_25lookback_scan_determinismE0ES3_SB_PS6_NS8_17constant_iteratorIiNS8_11use_defaultESG_EENS8_10device_ptrIS6_EENSI_IlEEPmSA_NS8_8equal_toIS6_EEEE10hipError_tPvRmT2_T3_mT4_T5_T6_T7_T8_P12ihipStream_tbENKUlT_T0_E_clISt17integral_constantIbLb0EES14_IbLb1EEEEDaS10_S11_EUlS10_E_NS1_11comp_targetILNS1_3genE10ELNS1_11target_archE1200ELNS1_3gpuE4ELNS1_3repE0EEENS1_30default_config_static_selectorELNS0_4arch9wavefront6targetE1EEEvT1_.uses_vcc, 0
	.set _ZN7rocprim17ROCPRIM_400000_NS6detail17trampoline_kernelINS0_14default_configENS1_29reduce_by_key_config_selectorIN3c108BFloat16ElN6thrust23THRUST_200600_302600_NS4plusIlEEEEZZNS1_33reduce_by_key_impl_wrapped_configILNS1_25lookback_scan_determinismE0ES3_SB_PS6_NS8_17constant_iteratorIiNS8_11use_defaultESG_EENS8_10device_ptrIS6_EENSI_IlEEPmSA_NS8_8equal_toIS6_EEEE10hipError_tPvRmT2_T3_mT4_T5_T6_T7_T8_P12ihipStream_tbENKUlT_T0_E_clISt17integral_constantIbLb0EES14_IbLb1EEEEDaS10_S11_EUlS10_E_NS1_11comp_targetILNS1_3genE10ELNS1_11target_archE1200ELNS1_3gpuE4ELNS1_3repE0EEENS1_30default_config_static_selectorELNS0_4arch9wavefront6targetE1EEEvT1_.uses_flat_scratch, 0
	.set _ZN7rocprim17ROCPRIM_400000_NS6detail17trampoline_kernelINS0_14default_configENS1_29reduce_by_key_config_selectorIN3c108BFloat16ElN6thrust23THRUST_200600_302600_NS4plusIlEEEEZZNS1_33reduce_by_key_impl_wrapped_configILNS1_25lookback_scan_determinismE0ES3_SB_PS6_NS8_17constant_iteratorIiNS8_11use_defaultESG_EENS8_10device_ptrIS6_EENSI_IlEEPmSA_NS8_8equal_toIS6_EEEE10hipError_tPvRmT2_T3_mT4_T5_T6_T7_T8_P12ihipStream_tbENKUlT_T0_E_clISt17integral_constantIbLb0EES14_IbLb1EEEEDaS10_S11_EUlS10_E_NS1_11comp_targetILNS1_3genE10ELNS1_11target_archE1200ELNS1_3gpuE4ELNS1_3repE0EEENS1_30default_config_static_selectorELNS0_4arch9wavefront6targetE1EEEvT1_.has_dyn_sized_stack, 0
	.set _ZN7rocprim17ROCPRIM_400000_NS6detail17trampoline_kernelINS0_14default_configENS1_29reduce_by_key_config_selectorIN3c108BFloat16ElN6thrust23THRUST_200600_302600_NS4plusIlEEEEZZNS1_33reduce_by_key_impl_wrapped_configILNS1_25lookback_scan_determinismE0ES3_SB_PS6_NS8_17constant_iteratorIiNS8_11use_defaultESG_EENS8_10device_ptrIS6_EENSI_IlEEPmSA_NS8_8equal_toIS6_EEEE10hipError_tPvRmT2_T3_mT4_T5_T6_T7_T8_P12ihipStream_tbENKUlT_T0_E_clISt17integral_constantIbLb0EES14_IbLb1EEEEDaS10_S11_EUlS10_E_NS1_11comp_targetILNS1_3genE10ELNS1_11target_archE1200ELNS1_3gpuE4ELNS1_3repE0EEENS1_30default_config_static_selectorELNS0_4arch9wavefront6targetE1EEEvT1_.has_recursion, 0
	.set _ZN7rocprim17ROCPRIM_400000_NS6detail17trampoline_kernelINS0_14default_configENS1_29reduce_by_key_config_selectorIN3c108BFloat16ElN6thrust23THRUST_200600_302600_NS4plusIlEEEEZZNS1_33reduce_by_key_impl_wrapped_configILNS1_25lookback_scan_determinismE0ES3_SB_PS6_NS8_17constant_iteratorIiNS8_11use_defaultESG_EENS8_10device_ptrIS6_EENSI_IlEEPmSA_NS8_8equal_toIS6_EEEE10hipError_tPvRmT2_T3_mT4_T5_T6_T7_T8_P12ihipStream_tbENKUlT_T0_E_clISt17integral_constantIbLb0EES14_IbLb1EEEEDaS10_S11_EUlS10_E_NS1_11comp_targetILNS1_3genE10ELNS1_11target_archE1200ELNS1_3gpuE4ELNS1_3repE0EEENS1_30default_config_static_selectorELNS0_4arch9wavefront6targetE1EEEvT1_.has_indirect_call, 0
	.section	.AMDGPU.csdata,"",@progbits
; Kernel info:
; codeLenInByte = 0
; TotalNumSgprs: 4
; NumVgprs: 0
; ScratchSize: 0
; MemoryBound: 0
; FloatMode: 240
; IeeeMode: 1
; LDSByteSize: 0 bytes/workgroup (compile time only)
; SGPRBlocks: 0
; VGPRBlocks: 0
; NumSGPRsForWavesPerEU: 4
; NumVGPRsForWavesPerEU: 1
; Occupancy: 10
; WaveLimiterHint : 0
; COMPUTE_PGM_RSRC2:SCRATCH_EN: 0
; COMPUTE_PGM_RSRC2:USER_SGPR: 6
; COMPUTE_PGM_RSRC2:TRAP_HANDLER: 0
; COMPUTE_PGM_RSRC2:TGID_X_EN: 1
; COMPUTE_PGM_RSRC2:TGID_Y_EN: 0
; COMPUTE_PGM_RSRC2:TGID_Z_EN: 0
; COMPUTE_PGM_RSRC2:TIDIG_COMP_CNT: 0
	.section	.text._ZN7rocprim17ROCPRIM_400000_NS6detail17trampoline_kernelINS0_14default_configENS1_29reduce_by_key_config_selectorIN3c108BFloat16ElN6thrust23THRUST_200600_302600_NS4plusIlEEEEZZNS1_33reduce_by_key_impl_wrapped_configILNS1_25lookback_scan_determinismE0ES3_SB_PS6_NS8_17constant_iteratorIiNS8_11use_defaultESG_EENS8_10device_ptrIS6_EENSI_IlEEPmSA_NS8_8equal_toIS6_EEEE10hipError_tPvRmT2_T3_mT4_T5_T6_T7_T8_P12ihipStream_tbENKUlT_T0_E_clISt17integral_constantIbLb0EES14_IbLb1EEEEDaS10_S11_EUlS10_E_NS1_11comp_targetILNS1_3genE9ELNS1_11target_archE1100ELNS1_3gpuE3ELNS1_3repE0EEENS1_30default_config_static_selectorELNS0_4arch9wavefront6targetE1EEEvT1_,"axG",@progbits,_ZN7rocprim17ROCPRIM_400000_NS6detail17trampoline_kernelINS0_14default_configENS1_29reduce_by_key_config_selectorIN3c108BFloat16ElN6thrust23THRUST_200600_302600_NS4plusIlEEEEZZNS1_33reduce_by_key_impl_wrapped_configILNS1_25lookback_scan_determinismE0ES3_SB_PS6_NS8_17constant_iteratorIiNS8_11use_defaultESG_EENS8_10device_ptrIS6_EENSI_IlEEPmSA_NS8_8equal_toIS6_EEEE10hipError_tPvRmT2_T3_mT4_T5_T6_T7_T8_P12ihipStream_tbENKUlT_T0_E_clISt17integral_constantIbLb0EES14_IbLb1EEEEDaS10_S11_EUlS10_E_NS1_11comp_targetILNS1_3genE9ELNS1_11target_archE1100ELNS1_3gpuE3ELNS1_3repE0EEENS1_30default_config_static_selectorELNS0_4arch9wavefront6targetE1EEEvT1_,comdat
	.protected	_ZN7rocprim17ROCPRIM_400000_NS6detail17trampoline_kernelINS0_14default_configENS1_29reduce_by_key_config_selectorIN3c108BFloat16ElN6thrust23THRUST_200600_302600_NS4plusIlEEEEZZNS1_33reduce_by_key_impl_wrapped_configILNS1_25lookback_scan_determinismE0ES3_SB_PS6_NS8_17constant_iteratorIiNS8_11use_defaultESG_EENS8_10device_ptrIS6_EENSI_IlEEPmSA_NS8_8equal_toIS6_EEEE10hipError_tPvRmT2_T3_mT4_T5_T6_T7_T8_P12ihipStream_tbENKUlT_T0_E_clISt17integral_constantIbLb0EES14_IbLb1EEEEDaS10_S11_EUlS10_E_NS1_11comp_targetILNS1_3genE9ELNS1_11target_archE1100ELNS1_3gpuE3ELNS1_3repE0EEENS1_30default_config_static_selectorELNS0_4arch9wavefront6targetE1EEEvT1_ ; -- Begin function _ZN7rocprim17ROCPRIM_400000_NS6detail17trampoline_kernelINS0_14default_configENS1_29reduce_by_key_config_selectorIN3c108BFloat16ElN6thrust23THRUST_200600_302600_NS4plusIlEEEEZZNS1_33reduce_by_key_impl_wrapped_configILNS1_25lookback_scan_determinismE0ES3_SB_PS6_NS8_17constant_iteratorIiNS8_11use_defaultESG_EENS8_10device_ptrIS6_EENSI_IlEEPmSA_NS8_8equal_toIS6_EEEE10hipError_tPvRmT2_T3_mT4_T5_T6_T7_T8_P12ihipStream_tbENKUlT_T0_E_clISt17integral_constantIbLb0EES14_IbLb1EEEEDaS10_S11_EUlS10_E_NS1_11comp_targetILNS1_3genE9ELNS1_11target_archE1100ELNS1_3gpuE3ELNS1_3repE0EEENS1_30default_config_static_selectorELNS0_4arch9wavefront6targetE1EEEvT1_
	.globl	_ZN7rocprim17ROCPRIM_400000_NS6detail17trampoline_kernelINS0_14default_configENS1_29reduce_by_key_config_selectorIN3c108BFloat16ElN6thrust23THRUST_200600_302600_NS4plusIlEEEEZZNS1_33reduce_by_key_impl_wrapped_configILNS1_25lookback_scan_determinismE0ES3_SB_PS6_NS8_17constant_iteratorIiNS8_11use_defaultESG_EENS8_10device_ptrIS6_EENSI_IlEEPmSA_NS8_8equal_toIS6_EEEE10hipError_tPvRmT2_T3_mT4_T5_T6_T7_T8_P12ihipStream_tbENKUlT_T0_E_clISt17integral_constantIbLb0EES14_IbLb1EEEEDaS10_S11_EUlS10_E_NS1_11comp_targetILNS1_3genE9ELNS1_11target_archE1100ELNS1_3gpuE3ELNS1_3repE0EEENS1_30default_config_static_selectorELNS0_4arch9wavefront6targetE1EEEvT1_
	.p2align	8
	.type	_ZN7rocprim17ROCPRIM_400000_NS6detail17trampoline_kernelINS0_14default_configENS1_29reduce_by_key_config_selectorIN3c108BFloat16ElN6thrust23THRUST_200600_302600_NS4plusIlEEEEZZNS1_33reduce_by_key_impl_wrapped_configILNS1_25lookback_scan_determinismE0ES3_SB_PS6_NS8_17constant_iteratorIiNS8_11use_defaultESG_EENS8_10device_ptrIS6_EENSI_IlEEPmSA_NS8_8equal_toIS6_EEEE10hipError_tPvRmT2_T3_mT4_T5_T6_T7_T8_P12ihipStream_tbENKUlT_T0_E_clISt17integral_constantIbLb0EES14_IbLb1EEEEDaS10_S11_EUlS10_E_NS1_11comp_targetILNS1_3genE9ELNS1_11target_archE1100ELNS1_3gpuE3ELNS1_3repE0EEENS1_30default_config_static_selectorELNS0_4arch9wavefront6targetE1EEEvT1_,@function
_ZN7rocprim17ROCPRIM_400000_NS6detail17trampoline_kernelINS0_14default_configENS1_29reduce_by_key_config_selectorIN3c108BFloat16ElN6thrust23THRUST_200600_302600_NS4plusIlEEEEZZNS1_33reduce_by_key_impl_wrapped_configILNS1_25lookback_scan_determinismE0ES3_SB_PS6_NS8_17constant_iteratorIiNS8_11use_defaultESG_EENS8_10device_ptrIS6_EENSI_IlEEPmSA_NS8_8equal_toIS6_EEEE10hipError_tPvRmT2_T3_mT4_T5_T6_T7_T8_P12ihipStream_tbENKUlT_T0_E_clISt17integral_constantIbLb0EES14_IbLb1EEEEDaS10_S11_EUlS10_E_NS1_11comp_targetILNS1_3genE9ELNS1_11target_archE1100ELNS1_3gpuE3ELNS1_3repE0EEENS1_30default_config_static_selectorELNS0_4arch9wavefront6targetE1EEEvT1_: ; @_ZN7rocprim17ROCPRIM_400000_NS6detail17trampoline_kernelINS0_14default_configENS1_29reduce_by_key_config_selectorIN3c108BFloat16ElN6thrust23THRUST_200600_302600_NS4plusIlEEEEZZNS1_33reduce_by_key_impl_wrapped_configILNS1_25lookback_scan_determinismE0ES3_SB_PS6_NS8_17constant_iteratorIiNS8_11use_defaultESG_EENS8_10device_ptrIS6_EENSI_IlEEPmSA_NS8_8equal_toIS6_EEEE10hipError_tPvRmT2_T3_mT4_T5_T6_T7_T8_P12ihipStream_tbENKUlT_T0_E_clISt17integral_constantIbLb0EES14_IbLb1EEEEDaS10_S11_EUlS10_E_NS1_11comp_targetILNS1_3genE9ELNS1_11target_archE1100ELNS1_3gpuE3ELNS1_3repE0EEENS1_30default_config_static_selectorELNS0_4arch9wavefront6targetE1EEEvT1_
; %bb.0:
	.section	.rodata,"a",@progbits
	.p2align	6, 0x0
	.amdhsa_kernel _ZN7rocprim17ROCPRIM_400000_NS6detail17trampoline_kernelINS0_14default_configENS1_29reduce_by_key_config_selectorIN3c108BFloat16ElN6thrust23THRUST_200600_302600_NS4plusIlEEEEZZNS1_33reduce_by_key_impl_wrapped_configILNS1_25lookback_scan_determinismE0ES3_SB_PS6_NS8_17constant_iteratorIiNS8_11use_defaultESG_EENS8_10device_ptrIS6_EENSI_IlEEPmSA_NS8_8equal_toIS6_EEEE10hipError_tPvRmT2_T3_mT4_T5_T6_T7_T8_P12ihipStream_tbENKUlT_T0_E_clISt17integral_constantIbLb0EES14_IbLb1EEEEDaS10_S11_EUlS10_E_NS1_11comp_targetILNS1_3genE9ELNS1_11target_archE1100ELNS1_3gpuE3ELNS1_3repE0EEENS1_30default_config_static_selectorELNS0_4arch9wavefront6targetE1EEEvT1_
		.amdhsa_group_segment_fixed_size 0
		.amdhsa_private_segment_fixed_size 0
		.amdhsa_kernarg_size 144
		.amdhsa_user_sgpr_count 6
		.amdhsa_user_sgpr_private_segment_buffer 1
		.amdhsa_user_sgpr_dispatch_ptr 0
		.amdhsa_user_sgpr_queue_ptr 0
		.amdhsa_user_sgpr_kernarg_segment_ptr 1
		.amdhsa_user_sgpr_dispatch_id 0
		.amdhsa_user_sgpr_flat_scratch_init 0
		.amdhsa_user_sgpr_private_segment_size 0
		.amdhsa_uses_dynamic_stack 0
		.amdhsa_system_sgpr_private_segment_wavefront_offset 0
		.amdhsa_system_sgpr_workgroup_id_x 1
		.amdhsa_system_sgpr_workgroup_id_y 0
		.amdhsa_system_sgpr_workgroup_id_z 0
		.amdhsa_system_sgpr_workgroup_info 0
		.amdhsa_system_vgpr_workitem_id 0
		.amdhsa_next_free_vgpr 1
		.amdhsa_next_free_sgpr 0
		.amdhsa_reserve_vcc 0
		.amdhsa_reserve_flat_scratch 0
		.amdhsa_float_round_mode_32 0
		.amdhsa_float_round_mode_16_64 0
		.amdhsa_float_denorm_mode_32 3
		.amdhsa_float_denorm_mode_16_64 3
		.amdhsa_dx10_clamp 1
		.amdhsa_ieee_mode 1
		.amdhsa_fp16_overflow 0
		.amdhsa_exception_fp_ieee_invalid_op 0
		.amdhsa_exception_fp_denorm_src 0
		.amdhsa_exception_fp_ieee_div_zero 0
		.amdhsa_exception_fp_ieee_overflow 0
		.amdhsa_exception_fp_ieee_underflow 0
		.amdhsa_exception_fp_ieee_inexact 0
		.amdhsa_exception_int_div_zero 0
	.end_amdhsa_kernel
	.section	.text._ZN7rocprim17ROCPRIM_400000_NS6detail17trampoline_kernelINS0_14default_configENS1_29reduce_by_key_config_selectorIN3c108BFloat16ElN6thrust23THRUST_200600_302600_NS4plusIlEEEEZZNS1_33reduce_by_key_impl_wrapped_configILNS1_25lookback_scan_determinismE0ES3_SB_PS6_NS8_17constant_iteratorIiNS8_11use_defaultESG_EENS8_10device_ptrIS6_EENSI_IlEEPmSA_NS8_8equal_toIS6_EEEE10hipError_tPvRmT2_T3_mT4_T5_T6_T7_T8_P12ihipStream_tbENKUlT_T0_E_clISt17integral_constantIbLb0EES14_IbLb1EEEEDaS10_S11_EUlS10_E_NS1_11comp_targetILNS1_3genE9ELNS1_11target_archE1100ELNS1_3gpuE3ELNS1_3repE0EEENS1_30default_config_static_selectorELNS0_4arch9wavefront6targetE1EEEvT1_,"axG",@progbits,_ZN7rocprim17ROCPRIM_400000_NS6detail17trampoline_kernelINS0_14default_configENS1_29reduce_by_key_config_selectorIN3c108BFloat16ElN6thrust23THRUST_200600_302600_NS4plusIlEEEEZZNS1_33reduce_by_key_impl_wrapped_configILNS1_25lookback_scan_determinismE0ES3_SB_PS6_NS8_17constant_iteratorIiNS8_11use_defaultESG_EENS8_10device_ptrIS6_EENSI_IlEEPmSA_NS8_8equal_toIS6_EEEE10hipError_tPvRmT2_T3_mT4_T5_T6_T7_T8_P12ihipStream_tbENKUlT_T0_E_clISt17integral_constantIbLb0EES14_IbLb1EEEEDaS10_S11_EUlS10_E_NS1_11comp_targetILNS1_3genE9ELNS1_11target_archE1100ELNS1_3gpuE3ELNS1_3repE0EEENS1_30default_config_static_selectorELNS0_4arch9wavefront6targetE1EEEvT1_,comdat
.Lfunc_end2086:
	.size	_ZN7rocprim17ROCPRIM_400000_NS6detail17trampoline_kernelINS0_14default_configENS1_29reduce_by_key_config_selectorIN3c108BFloat16ElN6thrust23THRUST_200600_302600_NS4plusIlEEEEZZNS1_33reduce_by_key_impl_wrapped_configILNS1_25lookback_scan_determinismE0ES3_SB_PS6_NS8_17constant_iteratorIiNS8_11use_defaultESG_EENS8_10device_ptrIS6_EENSI_IlEEPmSA_NS8_8equal_toIS6_EEEE10hipError_tPvRmT2_T3_mT4_T5_T6_T7_T8_P12ihipStream_tbENKUlT_T0_E_clISt17integral_constantIbLb0EES14_IbLb1EEEEDaS10_S11_EUlS10_E_NS1_11comp_targetILNS1_3genE9ELNS1_11target_archE1100ELNS1_3gpuE3ELNS1_3repE0EEENS1_30default_config_static_selectorELNS0_4arch9wavefront6targetE1EEEvT1_, .Lfunc_end2086-_ZN7rocprim17ROCPRIM_400000_NS6detail17trampoline_kernelINS0_14default_configENS1_29reduce_by_key_config_selectorIN3c108BFloat16ElN6thrust23THRUST_200600_302600_NS4plusIlEEEEZZNS1_33reduce_by_key_impl_wrapped_configILNS1_25lookback_scan_determinismE0ES3_SB_PS6_NS8_17constant_iteratorIiNS8_11use_defaultESG_EENS8_10device_ptrIS6_EENSI_IlEEPmSA_NS8_8equal_toIS6_EEEE10hipError_tPvRmT2_T3_mT4_T5_T6_T7_T8_P12ihipStream_tbENKUlT_T0_E_clISt17integral_constantIbLb0EES14_IbLb1EEEEDaS10_S11_EUlS10_E_NS1_11comp_targetILNS1_3genE9ELNS1_11target_archE1100ELNS1_3gpuE3ELNS1_3repE0EEENS1_30default_config_static_selectorELNS0_4arch9wavefront6targetE1EEEvT1_
                                        ; -- End function
	.set _ZN7rocprim17ROCPRIM_400000_NS6detail17trampoline_kernelINS0_14default_configENS1_29reduce_by_key_config_selectorIN3c108BFloat16ElN6thrust23THRUST_200600_302600_NS4plusIlEEEEZZNS1_33reduce_by_key_impl_wrapped_configILNS1_25lookback_scan_determinismE0ES3_SB_PS6_NS8_17constant_iteratorIiNS8_11use_defaultESG_EENS8_10device_ptrIS6_EENSI_IlEEPmSA_NS8_8equal_toIS6_EEEE10hipError_tPvRmT2_T3_mT4_T5_T6_T7_T8_P12ihipStream_tbENKUlT_T0_E_clISt17integral_constantIbLb0EES14_IbLb1EEEEDaS10_S11_EUlS10_E_NS1_11comp_targetILNS1_3genE9ELNS1_11target_archE1100ELNS1_3gpuE3ELNS1_3repE0EEENS1_30default_config_static_selectorELNS0_4arch9wavefront6targetE1EEEvT1_.num_vgpr, 0
	.set _ZN7rocprim17ROCPRIM_400000_NS6detail17trampoline_kernelINS0_14default_configENS1_29reduce_by_key_config_selectorIN3c108BFloat16ElN6thrust23THRUST_200600_302600_NS4plusIlEEEEZZNS1_33reduce_by_key_impl_wrapped_configILNS1_25lookback_scan_determinismE0ES3_SB_PS6_NS8_17constant_iteratorIiNS8_11use_defaultESG_EENS8_10device_ptrIS6_EENSI_IlEEPmSA_NS8_8equal_toIS6_EEEE10hipError_tPvRmT2_T3_mT4_T5_T6_T7_T8_P12ihipStream_tbENKUlT_T0_E_clISt17integral_constantIbLb0EES14_IbLb1EEEEDaS10_S11_EUlS10_E_NS1_11comp_targetILNS1_3genE9ELNS1_11target_archE1100ELNS1_3gpuE3ELNS1_3repE0EEENS1_30default_config_static_selectorELNS0_4arch9wavefront6targetE1EEEvT1_.num_agpr, 0
	.set _ZN7rocprim17ROCPRIM_400000_NS6detail17trampoline_kernelINS0_14default_configENS1_29reduce_by_key_config_selectorIN3c108BFloat16ElN6thrust23THRUST_200600_302600_NS4plusIlEEEEZZNS1_33reduce_by_key_impl_wrapped_configILNS1_25lookback_scan_determinismE0ES3_SB_PS6_NS8_17constant_iteratorIiNS8_11use_defaultESG_EENS8_10device_ptrIS6_EENSI_IlEEPmSA_NS8_8equal_toIS6_EEEE10hipError_tPvRmT2_T3_mT4_T5_T6_T7_T8_P12ihipStream_tbENKUlT_T0_E_clISt17integral_constantIbLb0EES14_IbLb1EEEEDaS10_S11_EUlS10_E_NS1_11comp_targetILNS1_3genE9ELNS1_11target_archE1100ELNS1_3gpuE3ELNS1_3repE0EEENS1_30default_config_static_selectorELNS0_4arch9wavefront6targetE1EEEvT1_.numbered_sgpr, 0
	.set _ZN7rocprim17ROCPRIM_400000_NS6detail17trampoline_kernelINS0_14default_configENS1_29reduce_by_key_config_selectorIN3c108BFloat16ElN6thrust23THRUST_200600_302600_NS4plusIlEEEEZZNS1_33reduce_by_key_impl_wrapped_configILNS1_25lookback_scan_determinismE0ES3_SB_PS6_NS8_17constant_iteratorIiNS8_11use_defaultESG_EENS8_10device_ptrIS6_EENSI_IlEEPmSA_NS8_8equal_toIS6_EEEE10hipError_tPvRmT2_T3_mT4_T5_T6_T7_T8_P12ihipStream_tbENKUlT_T0_E_clISt17integral_constantIbLb0EES14_IbLb1EEEEDaS10_S11_EUlS10_E_NS1_11comp_targetILNS1_3genE9ELNS1_11target_archE1100ELNS1_3gpuE3ELNS1_3repE0EEENS1_30default_config_static_selectorELNS0_4arch9wavefront6targetE1EEEvT1_.num_named_barrier, 0
	.set _ZN7rocprim17ROCPRIM_400000_NS6detail17trampoline_kernelINS0_14default_configENS1_29reduce_by_key_config_selectorIN3c108BFloat16ElN6thrust23THRUST_200600_302600_NS4plusIlEEEEZZNS1_33reduce_by_key_impl_wrapped_configILNS1_25lookback_scan_determinismE0ES3_SB_PS6_NS8_17constant_iteratorIiNS8_11use_defaultESG_EENS8_10device_ptrIS6_EENSI_IlEEPmSA_NS8_8equal_toIS6_EEEE10hipError_tPvRmT2_T3_mT4_T5_T6_T7_T8_P12ihipStream_tbENKUlT_T0_E_clISt17integral_constantIbLb0EES14_IbLb1EEEEDaS10_S11_EUlS10_E_NS1_11comp_targetILNS1_3genE9ELNS1_11target_archE1100ELNS1_3gpuE3ELNS1_3repE0EEENS1_30default_config_static_selectorELNS0_4arch9wavefront6targetE1EEEvT1_.private_seg_size, 0
	.set _ZN7rocprim17ROCPRIM_400000_NS6detail17trampoline_kernelINS0_14default_configENS1_29reduce_by_key_config_selectorIN3c108BFloat16ElN6thrust23THRUST_200600_302600_NS4plusIlEEEEZZNS1_33reduce_by_key_impl_wrapped_configILNS1_25lookback_scan_determinismE0ES3_SB_PS6_NS8_17constant_iteratorIiNS8_11use_defaultESG_EENS8_10device_ptrIS6_EENSI_IlEEPmSA_NS8_8equal_toIS6_EEEE10hipError_tPvRmT2_T3_mT4_T5_T6_T7_T8_P12ihipStream_tbENKUlT_T0_E_clISt17integral_constantIbLb0EES14_IbLb1EEEEDaS10_S11_EUlS10_E_NS1_11comp_targetILNS1_3genE9ELNS1_11target_archE1100ELNS1_3gpuE3ELNS1_3repE0EEENS1_30default_config_static_selectorELNS0_4arch9wavefront6targetE1EEEvT1_.uses_vcc, 0
	.set _ZN7rocprim17ROCPRIM_400000_NS6detail17trampoline_kernelINS0_14default_configENS1_29reduce_by_key_config_selectorIN3c108BFloat16ElN6thrust23THRUST_200600_302600_NS4plusIlEEEEZZNS1_33reduce_by_key_impl_wrapped_configILNS1_25lookback_scan_determinismE0ES3_SB_PS6_NS8_17constant_iteratorIiNS8_11use_defaultESG_EENS8_10device_ptrIS6_EENSI_IlEEPmSA_NS8_8equal_toIS6_EEEE10hipError_tPvRmT2_T3_mT4_T5_T6_T7_T8_P12ihipStream_tbENKUlT_T0_E_clISt17integral_constantIbLb0EES14_IbLb1EEEEDaS10_S11_EUlS10_E_NS1_11comp_targetILNS1_3genE9ELNS1_11target_archE1100ELNS1_3gpuE3ELNS1_3repE0EEENS1_30default_config_static_selectorELNS0_4arch9wavefront6targetE1EEEvT1_.uses_flat_scratch, 0
	.set _ZN7rocprim17ROCPRIM_400000_NS6detail17trampoline_kernelINS0_14default_configENS1_29reduce_by_key_config_selectorIN3c108BFloat16ElN6thrust23THRUST_200600_302600_NS4plusIlEEEEZZNS1_33reduce_by_key_impl_wrapped_configILNS1_25lookback_scan_determinismE0ES3_SB_PS6_NS8_17constant_iteratorIiNS8_11use_defaultESG_EENS8_10device_ptrIS6_EENSI_IlEEPmSA_NS8_8equal_toIS6_EEEE10hipError_tPvRmT2_T3_mT4_T5_T6_T7_T8_P12ihipStream_tbENKUlT_T0_E_clISt17integral_constantIbLb0EES14_IbLb1EEEEDaS10_S11_EUlS10_E_NS1_11comp_targetILNS1_3genE9ELNS1_11target_archE1100ELNS1_3gpuE3ELNS1_3repE0EEENS1_30default_config_static_selectorELNS0_4arch9wavefront6targetE1EEEvT1_.has_dyn_sized_stack, 0
	.set _ZN7rocprim17ROCPRIM_400000_NS6detail17trampoline_kernelINS0_14default_configENS1_29reduce_by_key_config_selectorIN3c108BFloat16ElN6thrust23THRUST_200600_302600_NS4plusIlEEEEZZNS1_33reduce_by_key_impl_wrapped_configILNS1_25lookback_scan_determinismE0ES3_SB_PS6_NS8_17constant_iteratorIiNS8_11use_defaultESG_EENS8_10device_ptrIS6_EENSI_IlEEPmSA_NS8_8equal_toIS6_EEEE10hipError_tPvRmT2_T3_mT4_T5_T6_T7_T8_P12ihipStream_tbENKUlT_T0_E_clISt17integral_constantIbLb0EES14_IbLb1EEEEDaS10_S11_EUlS10_E_NS1_11comp_targetILNS1_3genE9ELNS1_11target_archE1100ELNS1_3gpuE3ELNS1_3repE0EEENS1_30default_config_static_selectorELNS0_4arch9wavefront6targetE1EEEvT1_.has_recursion, 0
	.set _ZN7rocprim17ROCPRIM_400000_NS6detail17trampoline_kernelINS0_14default_configENS1_29reduce_by_key_config_selectorIN3c108BFloat16ElN6thrust23THRUST_200600_302600_NS4plusIlEEEEZZNS1_33reduce_by_key_impl_wrapped_configILNS1_25lookback_scan_determinismE0ES3_SB_PS6_NS8_17constant_iteratorIiNS8_11use_defaultESG_EENS8_10device_ptrIS6_EENSI_IlEEPmSA_NS8_8equal_toIS6_EEEE10hipError_tPvRmT2_T3_mT4_T5_T6_T7_T8_P12ihipStream_tbENKUlT_T0_E_clISt17integral_constantIbLb0EES14_IbLb1EEEEDaS10_S11_EUlS10_E_NS1_11comp_targetILNS1_3genE9ELNS1_11target_archE1100ELNS1_3gpuE3ELNS1_3repE0EEENS1_30default_config_static_selectorELNS0_4arch9wavefront6targetE1EEEvT1_.has_indirect_call, 0
	.section	.AMDGPU.csdata,"",@progbits
; Kernel info:
; codeLenInByte = 0
; TotalNumSgprs: 4
; NumVgprs: 0
; ScratchSize: 0
; MemoryBound: 0
; FloatMode: 240
; IeeeMode: 1
; LDSByteSize: 0 bytes/workgroup (compile time only)
; SGPRBlocks: 0
; VGPRBlocks: 0
; NumSGPRsForWavesPerEU: 4
; NumVGPRsForWavesPerEU: 1
; Occupancy: 10
; WaveLimiterHint : 0
; COMPUTE_PGM_RSRC2:SCRATCH_EN: 0
; COMPUTE_PGM_RSRC2:USER_SGPR: 6
; COMPUTE_PGM_RSRC2:TRAP_HANDLER: 0
; COMPUTE_PGM_RSRC2:TGID_X_EN: 1
; COMPUTE_PGM_RSRC2:TGID_Y_EN: 0
; COMPUTE_PGM_RSRC2:TGID_Z_EN: 0
; COMPUTE_PGM_RSRC2:TIDIG_COMP_CNT: 0
	.section	.text._ZN7rocprim17ROCPRIM_400000_NS6detail17trampoline_kernelINS0_14default_configENS1_29reduce_by_key_config_selectorIN3c108BFloat16ElN6thrust23THRUST_200600_302600_NS4plusIlEEEEZZNS1_33reduce_by_key_impl_wrapped_configILNS1_25lookback_scan_determinismE0ES3_SB_PS6_NS8_17constant_iteratorIiNS8_11use_defaultESG_EENS8_10device_ptrIS6_EENSI_IlEEPmSA_NS8_8equal_toIS6_EEEE10hipError_tPvRmT2_T3_mT4_T5_T6_T7_T8_P12ihipStream_tbENKUlT_T0_E_clISt17integral_constantIbLb0EES14_IbLb1EEEEDaS10_S11_EUlS10_E_NS1_11comp_targetILNS1_3genE8ELNS1_11target_archE1030ELNS1_3gpuE2ELNS1_3repE0EEENS1_30default_config_static_selectorELNS0_4arch9wavefront6targetE1EEEvT1_,"axG",@progbits,_ZN7rocprim17ROCPRIM_400000_NS6detail17trampoline_kernelINS0_14default_configENS1_29reduce_by_key_config_selectorIN3c108BFloat16ElN6thrust23THRUST_200600_302600_NS4plusIlEEEEZZNS1_33reduce_by_key_impl_wrapped_configILNS1_25lookback_scan_determinismE0ES3_SB_PS6_NS8_17constant_iteratorIiNS8_11use_defaultESG_EENS8_10device_ptrIS6_EENSI_IlEEPmSA_NS8_8equal_toIS6_EEEE10hipError_tPvRmT2_T3_mT4_T5_T6_T7_T8_P12ihipStream_tbENKUlT_T0_E_clISt17integral_constantIbLb0EES14_IbLb1EEEEDaS10_S11_EUlS10_E_NS1_11comp_targetILNS1_3genE8ELNS1_11target_archE1030ELNS1_3gpuE2ELNS1_3repE0EEENS1_30default_config_static_selectorELNS0_4arch9wavefront6targetE1EEEvT1_,comdat
	.protected	_ZN7rocprim17ROCPRIM_400000_NS6detail17trampoline_kernelINS0_14default_configENS1_29reduce_by_key_config_selectorIN3c108BFloat16ElN6thrust23THRUST_200600_302600_NS4plusIlEEEEZZNS1_33reduce_by_key_impl_wrapped_configILNS1_25lookback_scan_determinismE0ES3_SB_PS6_NS8_17constant_iteratorIiNS8_11use_defaultESG_EENS8_10device_ptrIS6_EENSI_IlEEPmSA_NS8_8equal_toIS6_EEEE10hipError_tPvRmT2_T3_mT4_T5_T6_T7_T8_P12ihipStream_tbENKUlT_T0_E_clISt17integral_constantIbLb0EES14_IbLb1EEEEDaS10_S11_EUlS10_E_NS1_11comp_targetILNS1_3genE8ELNS1_11target_archE1030ELNS1_3gpuE2ELNS1_3repE0EEENS1_30default_config_static_selectorELNS0_4arch9wavefront6targetE1EEEvT1_ ; -- Begin function _ZN7rocprim17ROCPRIM_400000_NS6detail17trampoline_kernelINS0_14default_configENS1_29reduce_by_key_config_selectorIN3c108BFloat16ElN6thrust23THRUST_200600_302600_NS4plusIlEEEEZZNS1_33reduce_by_key_impl_wrapped_configILNS1_25lookback_scan_determinismE0ES3_SB_PS6_NS8_17constant_iteratorIiNS8_11use_defaultESG_EENS8_10device_ptrIS6_EENSI_IlEEPmSA_NS8_8equal_toIS6_EEEE10hipError_tPvRmT2_T3_mT4_T5_T6_T7_T8_P12ihipStream_tbENKUlT_T0_E_clISt17integral_constantIbLb0EES14_IbLb1EEEEDaS10_S11_EUlS10_E_NS1_11comp_targetILNS1_3genE8ELNS1_11target_archE1030ELNS1_3gpuE2ELNS1_3repE0EEENS1_30default_config_static_selectorELNS0_4arch9wavefront6targetE1EEEvT1_
	.globl	_ZN7rocprim17ROCPRIM_400000_NS6detail17trampoline_kernelINS0_14default_configENS1_29reduce_by_key_config_selectorIN3c108BFloat16ElN6thrust23THRUST_200600_302600_NS4plusIlEEEEZZNS1_33reduce_by_key_impl_wrapped_configILNS1_25lookback_scan_determinismE0ES3_SB_PS6_NS8_17constant_iteratorIiNS8_11use_defaultESG_EENS8_10device_ptrIS6_EENSI_IlEEPmSA_NS8_8equal_toIS6_EEEE10hipError_tPvRmT2_T3_mT4_T5_T6_T7_T8_P12ihipStream_tbENKUlT_T0_E_clISt17integral_constantIbLb0EES14_IbLb1EEEEDaS10_S11_EUlS10_E_NS1_11comp_targetILNS1_3genE8ELNS1_11target_archE1030ELNS1_3gpuE2ELNS1_3repE0EEENS1_30default_config_static_selectorELNS0_4arch9wavefront6targetE1EEEvT1_
	.p2align	8
	.type	_ZN7rocprim17ROCPRIM_400000_NS6detail17trampoline_kernelINS0_14default_configENS1_29reduce_by_key_config_selectorIN3c108BFloat16ElN6thrust23THRUST_200600_302600_NS4plusIlEEEEZZNS1_33reduce_by_key_impl_wrapped_configILNS1_25lookback_scan_determinismE0ES3_SB_PS6_NS8_17constant_iteratorIiNS8_11use_defaultESG_EENS8_10device_ptrIS6_EENSI_IlEEPmSA_NS8_8equal_toIS6_EEEE10hipError_tPvRmT2_T3_mT4_T5_T6_T7_T8_P12ihipStream_tbENKUlT_T0_E_clISt17integral_constantIbLb0EES14_IbLb1EEEEDaS10_S11_EUlS10_E_NS1_11comp_targetILNS1_3genE8ELNS1_11target_archE1030ELNS1_3gpuE2ELNS1_3repE0EEENS1_30default_config_static_selectorELNS0_4arch9wavefront6targetE1EEEvT1_,@function
_ZN7rocprim17ROCPRIM_400000_NS6detail17trampoline_kernelINS0_14default_configENS1_29reduce_by_key_config_selectorIN3c108BFloat16ElN6thrust23THRUST_200600_302600_NS4plusIlEEEEZZNS1_33reduce_by_key_impl_wrapped_configILNS1_25lookback_scan_determinismE0ES3_SB_PS6_NS8_17constant_iteratorIiNS8_11use_defaultESG_EENS8_10device_ptrIS6_EENSI_IlEEPmSA_NS8_8equal_toIS6_EEEE10hipError_tPvRmT2_T3_mT4_T5_T6_T7_T8_P12ihipStream_tbENKUlT_T0_E_clISt17integral_constantIbLb0EES14_IbLb1EEEEDaS10_S11_EUlS10_E_NS1_11comp_targetILNS1_3genE8ELNS1_11target_archE1030ELNS1_3gpuE2ELNS1_3repE0EEENS1_30default_config_static_selectorELNS0_4arch9wavefront6targetE1EEEvT1_: ; @_ZN7rocprim17ROCPRIM_400000_NS6detail17trampoline_kernelINS0_14default_configENS1_29reduce_by_key_config_selectorIN3c108BFloat16ElN6thrust23THRUST_200600_302600_NS4plusIlEEEEZZNS1_33reduce_by_key_impl_wrapped_configILNS1_25lookback_scan_determinismE0ES3_SB_PS6_NS8_17constant_iteratorIiNS8_11use_defaultESG_EENS8_10device_ptrIS6_EENSI_IlEEPmSA_NS8_8equal_toIS6_EEEE10hipError_tPvRmT2_T3_mT4_T5_T6_T7_T8_P12ihipStream_tbENKUlT_T0_E_clISt17integral_constantIbLb0EES14_IbLb1EEEEDaS10_S11_EUlS10_E_NS1_11comp_targetILNS1_3genE8ELNS1_11target_archE1030ELNS1_3gpuE2ELNS1_3repE0EEENS1_30default_config_static_selectorELNS0_4arch9wavefront6targetE1EEEvT1_
; %bb.0:
	.section	.rodata,"a",@progbits
	.p2align	6, 0x0
	.amdhsa_kernel _ZN7rocprim17ROCPRIM_400000_NS6detail17trampoline_kernelINS0_14default_configENS1_29reduce_by_key_config_selectorIN3c108BFloat16ElN6thrust23THRUST_200600_302600_NS4plusIlEEEEZZNS1_33reduce_by_key_impl_wrapped_configILNS1_25lookback_scan_determinismE0ES3_SB_PS6_NS8_17constant_iteratorIiNS8_11use_defaultESG_EENS8_10device_ptrIS6_EENSI_IlEEPmSA_NS8_8equal_toIS6_EEEE10hipError_tPvRmT2_T3_mT4_T5_T6_T7_T8_P12ihipStream_tbENKUlT_T0_E_clISt17integral_constantIbLb0EES14_IbLb1EEEEDaS10_S11_EUlS10_E_NS1_11comp_targetILNS1_3genE8ELNS1_11target_archE1030ELNS1_3gpuE2ELNS1_3repE0EEENS1_30default_config_static_selectorELNS0_4arch9wavefront6targetE1EEEvT1_
		.amdhsa_group_segment_fixed_size 0
		.amdhsa_private_segment_fixed_size 0
		.amdhsa_kernarg_size 144
		.amdhsa_user_sgpr_count 6
		.amdhsa_user_sgpr_private_segment_buffer 1
		.amdhsa_user_sgpr_dispatch_ptr 0
		.amdhsa_user_sgpr_queue_ptr 0
		.amdhsa_user_sgpr_kernarg_segment_ptr 1
		.amdhsa_user_sgpr_dispatch_id 0
		.amdhsa_user_sgpr_flat_scratch_init 0
		.amdhsa_user_sgpr_private_segment_size 0
		.amdhsa_uses_dynamic_stack 0
		.amdhsa_system_sgpr_private_segment_wavefront_offset 0
		.amdhsa_system_sgpr_workgroup_id_x 1
		.amdhsa_system_sgpr_workgroup_id_y 0
		.amdhsa_system_sgpr_workgroup_id_z 0
		.amdhsa_system_sgpr_workgroup_info 0
		.amdhsa_system_vgpr_workitem_id 0
		.amdhsa_next_free_vgpr 1
		.amdhsa_next_free_sgpr 0
		.amdhsa_reserve_vcc 0
		.amdhsa_reserve_flat_scratch 0
		.amdhsa_float_round_mode_32 0
		.amdhsa_float_round_mode_16_64 0
		.amdhsa_float_denorm_mode_32 3
		.amdhsa_float_denorm_mode_16_64 3
		.amdhsa_dx10_clamp 1
		.amdhsa_ieee_mode 1
		.amdhsa_fp16_overflow 0
		.amdhsa_exception_fp_ieee_invalid_op 0
		.amdhsa_exception_fp_denorm_src 0
		.amdhsa_exception_fp_ieee_div_zero 0
		.amdhsa_exception_fp_ieee_overflow 0
		.amdhsa_exception_fp_ieee_underflow 0
		.amdhsa_exception_fp_ieee_inexact 0
		.amdhsa_exception_int_div_zero 0
	.end_amdhsa_kernel
	.section	.text._ZN7rocprim17ROCPRIM_400000_NS6detail17trampoline_kernelINS0_14default_configENS1_29reduce_by_key_config_selectorIN3c108BFloat16ElN6thrust23THRUST_200600_302600_NS4plusIlEEEEZZNS1_33reduce_by_key_impl_wrapped_configILNS1_25lookback_scan_determinismE0ES3_SB_PS6_NS8_17constant_iteratorIiNS8_11use_defaultESG_EENS8_10device_ptrIS6_EENSI_IlEEPmSA_NS8_8equal_toIS6_EEEE10hipError_tPvRmT2_T3_mT4_T5_T6_T7_T8_P12ihipStream_tbENKUlT_T0_E_clISt17integral_constantIbLb0EES14_IbLb1EEEEDaS10_S11_EUlS10_E_NS1_11comp_targetILNS1_3genE8ELNS1_11target_archE1030ELNS1_3gpuE2ELNS1_3repE0EEENS1_30default_config_static_selectorELNS0_4arch9wavefront6targetE1EEEvT1_,"axG",@progbits,_ZN7rocprim17ROCPRIM_400000_NS6detail17trampoline_kernelINS0_14default_configENS1_29reduce_by_key_config_selectorIN3c108BFloat16ElN6thrust23THRUST_200600_302600_NS4plusIlEEEEZZNS1_33reduce_by_key_impl_wrapped_configILNS1_25lookback_scan_determinismE0ES3_SB_PS6_NS8_17constant_iteratorIiNS8_11use_defaultESG_EENS8_10device_ptrIS6_EENSI_IlEEPmSA_NS8_8equal_toIS6_EEEE10hipError_tPvRmT2_T3_mT4_T5_T6_T7_T8_P12ihipStream_tbENKUlT_T0_E_clISt17integral_constantIbLb0EES14_IbLb1EEEEDaS10_S11_EUlS10_E_NS1_11comp_targetILNS1_3genE8ELNS1_11target_archE1030ELNS1_3gpuE2ELNS1_3repE0EEENS1_30default_config_static_selectorELNS0_4arch9wavefront6targetE1EEEvT1_,comdat
.Lfunc_end2087:
	.size	_ZN7rocprim17ROCPRIM_400000_NS6detail17trampoline_kernelINS0_14default_configENS1_29reduce_by_key_config_selectorIN3c108BFloat16ElN6thrust23THRUST_200600_302600_NS4plusIlEEEEZZNS1_33reduce_by_key_impl_wrapped_configILNS1_25lookback_scan_determinismE0ES3_SB_PS6_NS8_17constant_iteratorIiNS8_11use_defaultESG_EENS8_10device_ptrIS6_EENSI_IlEEPmSA_NS8_8equal_toIS6_EEEE10hipError_tPvRmT2_T3_mT4_T5_T6_T7_T8_P12ihipStream_tbENKUlT_T0_E_clISt17integral_constantIbLb0EES14_IbLb1EEEEDaS10_S11_EUlS10_E_NS1_11comp_targetILNS1_3genE8ELNS1_11target_archE1030ELNS1_3gpuE2ELNS1_3repE0EEENS1_30default_config_static_selectorELNS0_4arch9wavefront6targetE1EEEvT1_, .Lfunc_end2087-_ZN7rocprim17ROCPRIM_400000_NS6detail17trampoline_kernelINS0_14default_configENS1_29reduce_by_key_config_selectorIN3c108BFloat16ElN6thrust23THRUST_200600_302600_NS4plusIlEEEEZZNS1_33reduce_by_key_impl_wrapped_configILNS1_25lookback_scan_determinismE0ES3_SB_PS6_NS8_17constant_iteratorIiNS8_11use_defaultESG_EENS8_10device_ptrIS6_EENSI_IlEEPmSA_NS8_8equal_toIS6_EEEE10hipError_tPvRmT2_T3_mT4_T5_T6_T7_T8_P12ihipStream_tbENKUlT_T0_E_clISt17integral_constantIbLb0EES14_IbLb1EEEEDaS10_S11_EUlS10_E_NS1_11comp_targetILNS1_3genE8ELNS1_11target_archE1030ELNS1_3gpuE2ELNS1_3repE0EEENS1_30default_config_static_selectorELNS0_4arch9wavefront6targetE1EEEvT1_
                                        ; -- End function
	.set _ZN7rocprim17ROCPRIM_400000_NS6detail17trampoline_kernelINS0_14default_configENS1_29reduce_by_key_config_selectorIN3c108BFloat16ElN6thrust23THRUST_200600_302600_NS4plusIlEEEEZZNS1_33reduce_by_key_impl_wrapped_configILNS1_25lookback_scan_determinismE0ES3_SB_PS6_NS8_17constant_iteratorIiNS8_11use_defaultESG_EENS8_10device_ptrIS6_EENSI_IlEEPmSA_NS8_8equal_toIS6_EEEE10hipError_tPvRmT2_T3_mT4_T5_T6_T7_T8_P12ihipStream_tbENKUlT_T0_E_clISt17integral_constantIbLb0EES14_IbLb1EEEEDaS10_S11_EUlS10_E_NS1_11comp_targetILNS1_3genE8ELNS1_11target_archE1030ELNS1_3gpuE2ELNS1_3repE0EEENS1_30default_config_static_selectorELNS0_4arch9wavefront6targetE1EEEvT1_.num_vgpr, 0
	.set _ZN7rocprim17ROCPRIM_400000_NS6detail17trampoline_kernelINS0_14default_configENS1_29reduce_by_key_config_selectorIN3c108BFloat16ElN6thrust23THRUST_200600_302600_NS4plusIlEEEEZZNS1_33reduce_by_key_impl_wrapped_configILNS1_25lookback_scan_determinismE0ES3_SB_PS6_NS8_17constant_iteratorIiNS8_11use_defaultESG_EENS8_10device_ptrIS6_EENSI_IlEEPmSA_NS8_8equal_toIS6_EEEE10hipError_tPvRmT2_T3_mT4_T5_T6_T7_T8_P12ihipStream_tbENKUlT_T0_E_clISt17integral_constantIbLb0EES14_IbLb1EEEEDaS10_S11_EUlS10_E_NS1_11comp_targetILNS1_3genE8ELNS1_11target_archE1030ELNS1_3gpuE2ELNS1_3repE0EEENS1_30default_config_static_selectorELNS0_4arch9wavefront6targetE1EEEvT1_.num_agpr, 0
	.set _ZN7rocprim17ROCPRIM_400000_NS6detail17trampoline_kernelINS0_14default_configENS1_29reduce_by_key_config_selectorIN3c108BFloat16ElN6thrust23THRUST_200600_302600_NS4plusIlEEEEZZNS1_33reduce_by_key_impl_wrapped_configILNS1_25lookback_scan_determinismE0ES3_SB_PS6_NS8_17constant_iteratorIiNS8_11use_defaultESG_EENS8_10device_ptrIS6_EENSI_IlEEPmSA_NS8_8equal_toIS6_EEEE10hipError_tPvRmT2_T3_mT4_T5_T6_T7_T8_P12ihipStream_tbENKUlT_T0_E_clISt17integral_constantIbLb0EES14_IbLb1EEEEDaS10_S11_EUlS10_E_NS1_11comp_targetILNS1_3genE8ELNS1_11target_archE1030ELNS1_3gpuE2ELNS1_3repE0EEENS1_30default_config_static_selectorELNS0_4arch9wavefront6targetE1EEEvT1_.numbered_sgpr, 0
	.set _ZN7rocprim17ROCPRIM_400000_NS6detail17trampoline_kernelINS0_14default_configENS1_29reduce_by_key_config_selectorIN3c108BFloat16ElN6thrust23THRUST_200600_302600_NS4plusIlEEEEZZNS1_33reduce_by_key_impl_wrapped_configILNS1_25lookback_scan_determinismE0ES3_SB_PS6_NS8_17constant_iteratorIiNS8_11use_defaultESG_EENS8_10device_ptrIS6_EENSI_IlEEPmSA_NS8_8equal_toIS6_EEEE10hipError_tPvRmT2_T3_mT4_T5_T6_T7_T8_P12ihipStream_tbENKUlT_T0_E_clISt17integral_constantIbLb0EES14_IbLb1EEEEDaS10_S11_EUlS10_E_NS1_11comp_targetILNS1_3genE8ELNS1_11target_archE1030ELNS1_3gpuE2ELNS1_3repE0EEENS1_30default_config_static_selectorELNS0_4arch9wavefront6targetE1EEEvT1_.num_named_barrier, 0
	.set _ZN7rocprim17ROCPRIM_400000_NS6detail17trampoline_kernelINS0_14default_configENS1_29reduce_by_key_config_selectorIN3c108BFloat16ElN6thrust23THRUST_200600_302600_NS4plusIlEEEEZZNS1_33reduce_by_key_impl_wrapped_configILNS1_25lookback_scan_determinismE0ES3_SB_PS6_NS8_17constant_iteratorIiNS8_11use_defaultESG_EENS8_10device_ptrIS6_EENSI_IlEEPmSA_NS8_8equal_toIS6_EEEE10hipError_tPvRmT2_T3_mT4_T5_T6_T7_T8_P12ihipStream_tbENKUlT_T0_E_clISt17integral_constantIbLb0EES14_IbLb1EEEEDaS10_S11_EUlS10_E_NS1_11comp_targetILNS1_3genE8ELNS1_11target_archE1030ELNS1_3gpuE2ELNS1_3repE0EEENS1_30default_config_static_selectorELNS0_4arch9wavefront6targetE1EEEvT1_.private_seg_size, 0
	.set _ZN7rocprim17ROCPRIM_400000_NS6detail17trampoline_kernelINS0_14default_configENS1_29reduce_by_key_config_selectorIN3c108BFloat16ElN6thrust23THRUST_200600_302600_NS4plusIlEEEEZZNS1_33reduce_by_key_impl_wrapped_configILNS1_25lookback_scan_determinismE0ES3_SB_PS6_NS8_17constant_iteratorIiNS8_11use_defaultESG_EENS8_10device_ptrIS6_EENSI_IlEEPmSA_NS8_8equal_toIS6_EEEE10hipError_tPvRmT2_T3_mT4_T5_T6_T7_T8_P12ihipStream_tbENKUlT_T0_E_clISt17integral_constantIbLb0EES14_IbLb1EEEEDaS10_S11_EUlS10_E_NS1_11comp_targetILNS1_3genE8ELNS1_11target_archE1030ELNS1_3gpuE2ELNS1_3repE0EEENS1_30default_config_static_selectorELNS0_4arch9wavefront6targetE1EEEvT1_.uses_vcc, 0
	.set _ZN7rocprim17ROCPRIM_400000_NS6detail17trampoline_kernelINS0_14default_configENS1_29reduce_by_key_config_selectorIN3c108BFloat16ElN6thrust23THRUST_200600_302600_NS4plusIlEEEEZZNS1_33reduce_by_key_impl_wrapped_configILNS1_25lookback_scan_determinismE0ES3_SB_PS6_NS8_17constant_iteratorIiNS8_11use_defaultESG_EENS8_10device_ptrIS6_EENSI_IlEEPmSA_NS8_8equal_toIS6_EEEE10hipError_tPvRmT2_T3_mT4_T5_T6_T7_T8_P12ihipStream_tbENKUlT_T0_E_clISt17integral_constantIbLb0EES14_IbLb1EEEEDaS10_S11_EUlS10_E_NS1_11comp_targetILNS1_3genE8ELNS1_11target_archE1030ELNS1_3gpuE2ELNS1_3repE0EEENS1_30default_config_static_selectorELNS0_4arch9wavefront6targetE1EEEvT1_.uses_flat_scratch, 0
	.set _ZN7rocprim17ROCPRIM_400000_NS6detail17trampoline_kernelINS0_14default_configENS1_29reduce_by_key_config_selectorIN3c108BFloat16ElN6thrust23THRUST_200600_302600_NS4plusIlEEEEZZNS1_33reduce_by_key_impl_wrapped_configILNS1_25lookback_scan_determinismE0ES3_SB_PS6_NS8_17constant_iteratorIiNS8_11use_defaultESG_EENS8_10device_ptrIS6_EENSI_IlEEPmSA_NS8_8equal_toIS6_EEEE10hipError_tPvRmT2_T3_mT4_T5_T6_T7_T8_P12ihipStream_tbENKUlT_T0_E_clISt17integral_constantIbLb0EES14_IbLb1EEEEDaS10_S11_EUlS10_E_NS1_11comp_targetILNS1_3genE8ELNS1_11target_archE1030ELNS1_3gpuE2ELNS1_3repE0EEENS1_30default_config_static_selectorELNS0_4arch9wavefront6targetE1EEEvT1_.has_dyn_sized_stack, 0
	.set _ZN7rocprim17ROCPRIM_400000_NS6detail17trampoline_kernelINS0_14default_configENS1_29reduce_by_key_config_selectorIN3c108BFloat16ElN6thrust23THRUST_200600_302600_NS4plusIlEEEEZZNS1_33reduce_by_key_impl_wrapped_configILNS1_25lookback_scan_determinismE0ES3_SB_PS6_NS8_17constant_iteratorIiNS8_11use_defaultESG_EENS8_10device_ptrIS6_EENSI_IlEEPmSA_NS8_8equal_toIS6_EEEE10hipError_tPvRmT2_T3_mT4_T5_T6_T7_T8_P12ihipStream_tbENKUlT_T0_E_clISt17integral_constantIbLb0EES14_IbLb1EEEEDaS10_S11_EUlS10_E_NS1_11comp_targetILNS1_3genE8ELNS1_11target_archE1030ELNS1_3gpuE2ELNS1_3repE0EEENS1_30default_config_static_selectorELNS0_4arch9wavefront6targetE1EEEvT1_.has_recursion, 0
	.set _ZN7rocprim17ROCPRIM_400000_NS6detail17trampoline_kernelINS0_14default_configENS1_29reduce_by_key_config_selectorIN3c108BFloat16ElN6thrust23THRUST_200600_302600_NS4plusIlEEEEZZNS1_33reduce_by_key_impl_wrapped_configILNS1_25lookback_scan_determinismE0ES3_SB_PS6_NS8_17constant_iteratorIiNS8_11use_defaultESG_EENS8_10device_ptrIS6_EENSI_IlEEPmSA_NS8_8equal_toIS6_EEEE10hipError_tPvRmT2_T3_mT4_T5_T6_T7_T8_P12ihipStream_tbENKUlT_T0_E_clISt17integral_constantIbLb0EES14_IbLb1EEEEDaS10_S11_EUlS10_E_NS1_11comp_targetILNS1_3genE8ELNS1_11target_archE1030ELNS1_3gpuE2ELNS1_3repE0EEENS1_30default_config_static_selectorELNS0_4arch9wavefront6targetE1EEEvT1_.has_indirect_call, 0
	.section	.AMDGPU.csdata,"",@progbits
; Kernel info:
; codeLenInByte = 0
; TotalNumSgprs: 4
; NumVgprs: 0
; ScratchSize: 0
; MemoryBound: 0
; FloatMode: 240
; IeeeMode: 1
; LDSByteSize: 0 bytes/workgroup (compile time only)
; SGPRBlocks: 0
; VGPRBlocks: 0
; NumSGPRsForWavesPerEU: 4
; NumVGPRsForWavesPerEU: 1
; Occupancy: 10
; WaveLimiterHint : 0
; COMPUTE_PGM_RSRC2:SCRATCH_EN: 0
; COMPUTE_PGM_RSRC2:USER_SGPR: 6
; COMPUTE_PGM_RSRC2:TRAP_HANDLER: 0
; COMPUTE_PGM_RSRC2:TGID_X_EN: 1
; COMPUTE_PGM_RSRC2:TGID_Y_EN: 0
; COMPUTE_PGM_RSRC2:TGID_Z_EN: 0
; COMPUTE_PGM_RSRC2:TIDIG_COMP_CNT: 0
	.section	.text._ZN7rocprim17ROCPRIM_400000_NS6detail17trampoline_kernelINS0_14default_configENS1_22reduce_config_selectorIN6thrust23THRUST_200600_302600_NS5tupleIblNS6_9null_typeES8_S8_S8_S8_S8_S8_S8_EEEEZNS1_11reduce_implILb1ES3_NS6_12zip_iteratorINS7_INS6_11hip_rocprim26transform_input_iterator_tIbPN3c108BFloat16ENS6_6detail10functional5actorINSJ_9compositeIJNSJ_27transparent_binary_operatorINS6_8equal_toIvEEEENSK_INSJ_8argumentILj0EEEEENSJ_5valueISG_EEEEEEEEENSD_19counting_iterator_tIlEES8_S8_S8_S8_S8_S8_S8_S8_EEEEPS9_S9_NSD_9__find_if7functorIS9_EEEE10hipError_tPvRmT1_T2_T3_mT4_P12ihipStream_tbEUlT_E0_NS1_11comp_targetILNS1_3genE0ELNS1_11target_archE4294967295ELNS1_3gpuE0ELNS1_3repE0EEENS1_30default_config_static_selectorELNS0_4arch9wavefront6targetE1EEEvS19_,"axG",@progbits,_ZN7rocprim17ROCPRIM_400000_NS6detail17trampoline_kernelINS0_14default_configENS1_22reduce_config_selectorIN6thrust23THRUST_200600_302600_NS5tupleIblNS6_9null_typeES8_S8_S8_S8_S8_S8_S8_EEEEZNS1_11reduce_implILb1ES3_NS6_12zip_iteratorINS7_INS6_11hip_rocprim26transform_input_iterator_tIbPN3c108BFloat16ENS6_6detail10functional5actorINSJ_9compositeIJNSJ_27transparent_binary_operatorINS6_8equal_toIvEEEENSK_INSJ_8argumentILj0EEEEENSJ_5valueISG_EEEEEEEEENSD_19counting_iterator_tIlEES8_S8_S8_S8_S8_S8_S8_S8_EEEEPS9_S9_NSD_9__find_if7functorIS9_EEEE10hipError_tPvRmT1_T2_T3_mT4_P12ihipStream_tbEUlT_E0_NS1_11comp_targetILNS1_3genE0ELNS1_11target_archE4294967295ELNS1_3gpuE0ELNS1_3repE0EEENS1_30default_config_static_selectorELNS0_4arch9wavefront6targetE1EEEvS19_,comdat
	.protected	_ZN7rocprim17ROCPRIM_400000_NS6detail17trampoline_kernelINS0_14default_configENS1_22reduce_config_selectorIN6thrust23THRUST_200600_302600_NS5tupleIblNS6_9null_typeES8_S8_S8_S8_S8_S8_S8_EEEEZNS1_11reduce_implILb1ES3_NS6_12zip_iteratorINS7_INS6_11hip_rocprim26transform_input_iterator_tIbPN3c108BFloat16ENS6_6detail10functional5actorINSJ_9compositeIJNSJ_27transparent_binary_operatorINS6_8equal_toIvEEEENSK_INSJ_8argumentILj0EEEEENSJ_5valueISG_EEEEEEEEENSD_19counting_iterator_tIlEES8_S8_S8_S8_S8_S8_S8_S8_EEEEPS9_S9_NSD_9__find_if7functorIS9_EEEE10hipError_tPvRmT1_T2_T3_mT4_P12ihipStream_tbEUlT_E0_NS1_11comp_targetILNS1_3genE0ELNS1_11target_archE4294967295ELNS1_3gpuE0ELNS1_3repE0EEENS1_30default_config_static_selectorELNS0_4arch9wavefront6targetE1EEEvS19_ ; -- Begin function _ZN7rocprim17ROCPRIM_400000_NS6detail17trampoline_kernelINS0_14default_configENS1_22reduce_config_selectorIN6thrust23THRUST_200600_302600_NS5tupleIblNS6_9null_typeES8_S8_S8_S8_S8_S8_S8_EEEEZNS1_11reduce_implILb1ES3_NS6_12zip_iteratorINS7_INS6_11hip_rocprim26transform_input_iterator_tIbPN3c108BFloat16ENS6_6detail10functional5actorINSJ_9compositeIJNSJ_27transparent_binary_operatorINS6_8equal_toIvEEEENSK_INSJ_8argumentILj0EEEEENSJ_5valueISG_EEEEEEEEENSD_19counting_iterator_tIlEES8_S8_S8_S8_S8_S8_S8_S8_EEEEPS9_S9_NSD_9__find_if7functorIS9_EEEE10hipError_tPvRmT1_T2_T3_mT4_P12ihipStream_tbEUlT_E0_NS1_11comp_targetILNS1_3genE0ELNS1_11target_archE4294967295ELNS1_3gpuE0ELNS1_3repE0EEENS1_30default_config_static_selectorELNS0_4arch9wavefront6targetE1EEEvS19_
	.globl	_ZN7rocprim17ROCPRIM_400000_NS6detail17trampoline_kernelINS0_14default_configENS1_22reduce_config_selectorIN6thrust23THRUST_200600_302600_NS5tupleIblNS6_9null_typeES8_S8_S8_S8_S8_S8_S8_EEEEZNS1_11reduce_implILb1ES3_NS6_12zip_iteratorINS7_INS6_11hip_rocprim26transform_input_iterator_tIbPN3c108BFloat16ENS6_6detail10functional5actorINSJ_9compositeIJNSJ_27transparent_binary_operatorINS6_8equal_toIvEEEENSK_INSJ_8argumentILj0EEEEENSJ_5valueISG_EEEEEEEEENSD_19counting_iterator_tIlEES8_S8_S8_S8_S8_S8_S8_S8_EEEEPS9_S9_NSD_9__find_if7functorIS9_EEEE10hipError_tPvRmT1_T2_T3_mT4_P12ihipStream_tbEUlT_E0_NS1_11comp_targetILNS1_3genE0ELNS1_11target_archE4294967295ELNS1_3gpuE0ELNS1_3repE0EEENS1_30default_config_static_selectorELNS0_4arch9wavefront6targetE1EEEvS19_
	.p2align	8
	.type	_ZN7rocprim17ROCPRIM_400000_NS6detail17trampoline_kernelINS0_14default_configENS1_22reduce_config_selectorIN6thrust23THRUST_200600_302600_NS5tupleIblNS6_9null_typeES8_S8_S8_S8_S8_S8_S8_EEEEZNS1_11reduce_implILb1ES3_NS6_12zip_iteratorINS7_INS6_11hip_rocprim26transform_input_iterator_tIbPN3c108BFloat16ENS6_6detail10functional5actorINSJ_9compositeIJNSJ_27transparent_binary_operatorINS6_8equal_toIvEEEENSK_INSJ_8argumentILj0EEEEENSJ_5valueISG_EEEEEEEEENSD_19counting_iterator_tIlEES8_S8_S8_S8_S8_S8_S8_S8_EEEEPS9_S9_NSD_9__find_if7functorIS9_EEEE10hipError_tPvRmT1_T2_T3_mT4_P12ihipStream_tbEUlT_E0_NS1_11comp_targetILNS1_3genE0ELNS1_11target_archE4294967295ELNS1_3gpuE0ELNS1_3repE0EEENS1_30default_config_static_selectorELNS0_4arch9wavefront6targetE1EEEvS19_,@function
_ZN7rocprim17ROCPRIM_400000_NS6detail17trampoline_kernelINS0_14default_configENS1_22reduce_config_selectorIN6thrust23THRUST_200600_302600_NS5tupleIblNS6_9null_typeES8_S8_S8_S8_S8_S8_S8_EEEEZNS1_11reduce_implILb1ES3_NS6_12zip_iteratorINS7_INS6_11hip_rocprim26transform_input_iterator_tIbPN3c108BFloat16ENS6_6detail10functional5actorINSJ_9compositeIJNSJ_27transparent_binary_operatorINS6_8equal_toIvEEEENSK_INSJ_8argumentILj0EEEEENSJ_5valueISG_EEEEEEEEENSD_19counting_iterator_tIlEES8_S8_S8_S8_S8_S8_S8_S8_EEEEPS9_S9_NSD_9__find_if7functorIS9_EEEE10hipError_tPvRmT1_T2_T3_mT4_P12ihipStream_tbEUlT_E0_NS1_11comp_targetILNS1_3genE0ELNS1_11target_archE4294967295ELNS1_3gpuE0ELNS1_3repE0EEENS1_30default_config_static_selectorELNS0_4arch9wavefront6targetE1EEEvS19_: ; @_ZN7rocprim17ROCPRIM_400000_NS6detail17trampoline_kernelINS0_14default_configENS1_22reduce_config_selectorIN6thrust23THRUST_200600_302600_NS5tupleIblNS6_9null_typeES8_S8_S8_S8_S8_S8_S8_EEEEZNS1_11reduce_implILb1ES3_NS6_12zip_iteratorINS7_INS6_11hip_rocprim26transform_input_iterator_tIbPN3c108BFloat16ENS6_6detail10functional5actorINSJ_9compositeIJNSJ_27transparent_binary_operatorINS6_8equal_toIvEEEENSK_INSJ_8argumentILj0EEEEENSJ_5valueISG_EEEEEEEEENSD_19counting_iterator_tIlEES8_S8_S8_S8_S8_S8_S8_S8_EEEEPS9_S9_NSD_9__find_if7functorIS9_EEEE10hipError_tPvRmT1_T2_T3_mT4_P12ihipStream_tbEUlT_E0_NS1_11comp_targetILNS1_3genE0ELNS1_11target_archE4294967295ELNS1_3gpuE0ELNS1_3repE0EEENS1_30default_config_static_selectorELNS0_4arch9wavefront6targetE1EEEvS19_
; %bb.0:
	.section	.rodata,"a",@progbits
	.p2align	6, 0x0
	.amdhsa_kernel _ZN7rocprim17ROCPRIM_400000_NS6detail17trampoline_kernelINS0_14default_configENS1_22reduce_config_selectorIN6thrust23THRUST_200600_302600_NS5tupleIblNS6_9null_typeES8_S8_S8_S8_S8_S8_S8_EEEEZNS1_11reduce_implILb1ES3_NS6_12zip_iteratorINS7_INS6_11hip_rocprim26transform_input_iterator_tIbPN3c108BFloat16ENS6_6detail10functional5actorINSJ_9compositeIJNSJ_27transparent_binary_operatorINS6_8equal_toIvEEEENSK_INSJ_8argumentILj0EEEEENSJ_5valueISG_EEEEEEEEENSD_19counting_iterator_tIlEES8_S8_S8_S8_S8_S8_S8_S8_EEEEPS9_S9_NSD_9__find_if7functorIS9_EEEE10hipError_tPvRmT1_T2_T3_mT4_P12ihipStream_tbEUlT_E0_NS1_11comp_targetILNS1_3genE0ELNS1_11target_archE4294967295ELNS1_3gpuE0ELNS1_3repE0EEENS1_30default_config_static_selectorELNS0_4arch9wavefront6targetE1EEEvS19_
		.amdhsa_group_segment_fixed_size 0
		.amdhsa_private_segment_fixed_size 0
		.amdhsa_kernarg_size 88
		.amdhsa_user_sgpr_count 6
		.amdhsa_user_sgpr_private_segment_buffer 1
		.amdhsa_user_sgpr_dispatch_ptr 0
		.amdhsa_user_sgpr_queue_ptr 0
		.amdhsa_user_sgpr_kernarg_segment_ptr 1
		.amdhsa_user_sgpr_dispatch_id 0
		.amdhsa_user_sgpr_flat_scratch_init 0
		.amdhsa_user_sgpr_private_segment_size 0
		.amdhsa_uses_dynamic_stack 0
		.amdhsa_system_sgpr_private_segment_wavefront_offset 0
		.amdhsa_system_sgpr_workgroup_id_x 1
		.amdhsa_system_sgpr_workgroup_id_y 0
		.amdhsa_system_sgpr_workgroup_id_z 0
		.amdhsa_system_sgpr_workgroup_info 0
		.amdhsa_system_vgpr_workitem_id 0
		.amdhsa_next_free_vgpr 1
		.amdhsa_next_free_sgpr 0
		.amdhsa_reserve_vcc 0
		.amdhsa_reserve_flat_scratch 0
		.amdhsa_float_round_mode_32 0
		.amdhsa_float_round_mode_16_64 0
		.amdhsa_float_denorm_mode_32 3
		.amdhsa_float_denorm_mode_16_64 3
		.amdhsa_dx10_clamp 1
		.amdhsa_ieee_mode 1
		.amdhsa_fp16_overflow 0
		.amdhsa_exception_fp_ieee_invalid_op 0
		.amdhsa_exception_fp_denorm_src 0
		.amdhsa_exception_fp_ieee_div_zero 0
		.amdhsa_exception_fp_ieee_overflow 0
		.amdhsa_exception_fp_ieee_underflow 0
		.amdhsa_exception_fp_ieee_inexact 0
		.amdhsa_exception_int_div_zero 0
	.end_amdhsa_kernel
	.section	.text._ZN7rocprim17ROCPRIM_400000_NS6detail17trampoline_kernelINS0_14default_configENS1_22reduce_config_selectorIN6thrust23THRUST_200600_302600_NS5tupleIblNS6_9null_typeES8_S8_S8_S8_S8_S8_S8_EEEEZNS1_11reduce_implILb1ES3_NS6_12zip_iteratorINS7_INS6_11hip_rocprim26transform_input_iterator_tIbPN3c108BFloat16ENS6_6detail10functional5actorINSJ_9compositeIJNSJ_27transparent_binary_operatorINS6_8equal_toIvEEEENSK_INSJ_8argumentILj0EEEEENSJ_5valueISG_EEEEEEEEENSD_19counting_iterator_tIlEES8_S8_S8_S8_S8_S8_S8_S8_EEEEPS9_S9_NSD_9__find_if7functorIS9_EEEE10hipError_tPvRmT1_T2_T3_mT4_P12ihipStream_tbEUlT_E0_NS1_11comp_targetILNS1_3genE0ELNS1_11target_archE4294967295ELNS1_3gpuE0ELNS1_3repE0EEENS1_30default_config_static_selectorELNS0_4arch9wavefront6targetE1EEEvS19_,"axG",@progbits,_ZN7rocprim17ROCPRIM_400000_NS6detail17trampoline_kernelINS0_14default_configENS1_22reduce_config_selectorIN6thrust23THRUST_200600_302600_NS5tupleIblNS6_9null_typeES8_S8_S8_S8_S8_S8_S8_EEEEZNS1_11reduce_implILb1ES3_NS6_12zip_iteratorINS7_INS6_11hip_rocprim26transform_input_iterator_tIbPN3c108BFloat16ENS6_6detail10functional5actorINSJ_9compositeIJNSJ_27transparent_binary_operatorINS6_8equal_toIvEEEENSK_INSJ_8argumentILj0EEEEENSJ_5valueISG_EEEEEEEEENSD_19counting_iterator_tIlEES8_S8_S8_S8_S8_S8_S8_S8_EEEEPS9_S9_NSD_9__find_if7functorIS9_EEEE10hipError_tPvRmT1_T2_T3_mT4_P12ihipStream_tbEUlT_E0_NS1_11comp_targetILNS1_3genE0ELNS1_11target_archE4294967295ELNS1_3gpuE0ELNS1_3repE0EEENS1_30default_config_static_selectorELNS0_4arch9wavefront6targetE1EEEvS19_,comdat
.Lfunc_end2088:
	.size	_ZN7rocprim17ROCPRIM_400000_NS6detail17trampoline_kernelINS0_14default_configENS1_22reduce_config_selectorIN6thrust23THRUST_200600_302600_NS5tupleIblNS6_9null_typeES8_S8_S8_S8_S8_S8_S8_EEEEZNS1_11reduce_implILb1ES3_NS6_12zip_iteratorINS7_INS6_11hip_rocprim26transform_input_iterator_tIbPN3c108BFloat16ENS6_6detail10functional5actorINSJ_9compositeIJNSJ_27transparent_binary_operatorINS6_8equal_toIvEEEENSK_INSJ_8argumentILj0EEEEENSJ_5valueISG_EEEEEEEEENSD_19counting_iterator_tIlEES8_S8_S8_S8_S8_S8_S8_S8_EEEEPS9_S9_NSD_9__find_if7functorIS9_EEEE10hipError_tPvRmT1_T2_T3_mT4_P12ihipStream_tbEUlT_E0_NS1_11comp_targetILNS1_3genE0ELNS1_11target_archE4294967295ELNS1_3gpuE0ELNS1_3repE0EEENS1_30default_config_static_selectorELNS0_4arch9wavefront6targetE1EEEvS19_, .Lfunc_end2088-_ZN7rocprim17ROCPRIM_400000_NS6detail17trampoline_kernelINS0_14default_configENS1_22reduce_config_selectorIN6thrust23THRUST_200600_302600_NS5tupleIblNS6_9null_typeES8_S8_S8_S8_S8_S8_S8_EEEEZNS1_11reduce_implILb1ES3_NS6_12zip_iteratorINS7_INS6_11hip_rocprim26transform_input_iterator_tIbPN3c108BFloat16ENS6_6detail10functional5actorINSJ_9compositeIJNSJ_27transparent_binary_operatorINS6_8equal_toIvEEEENSK_INSJ_8argumentILj0EEEEENSJ_5valueISG_EEEEEEEEENSD_19counting_iterator_tIlEES8_S8_S8_S8_S8_S8_S8_S8_EEEEPS9_S9_NSD_9__find_if7functorIS9_EEEE10hipError_tPvRmT1_T2_T3_mT4_P12ihipStream_tbEUlT_E0_NS1_11comp_targetILNS1_3genE0ELNS1_11target_archE4294967295ELNS1_3gpuE0ELNS1_3repE0EEENS1_30default_config_static_selectorELNS0_4arch9wavefront6targetE1EEEvS19_
                                        ; -- End function
	.set _ZN7rocprim17ROCPRIM_400000_NS6detail17trampoline_kernelINS0_14default_configENS1_22reduce_config_selectorIN6thrust23THRUST_200600_302600_NS5tupleIblNS6_9null_typeES8_S8_S8_S8_S8_S8_S8_EEEEZNS1_11reduce_implILb1ES3_NS6_12zip_iteratorINS7_INS6_11hip_rocprim26transform_input_iterator_tIbPN3c108BFloat16ENS6_6detail10functional5actorINSJ_9compositeIJNSJ_27transparent_binary_operatorINS6_8equal_toIvEEEENSK_INSJ_8argumentILj0EEEEENSJ_5valueISG_EEEEEEEEENSD_19counting_iterator_tIlEES8_S8_S8_S8_S8_S8_S8_S8_EEEEPS9_S9_NSD_9__find_if7functorIS9_EEEE10hipError_tPvRmT1_T2_T3_mT4_P12ihipStream_tbEUlT_E0_NS1_11comp_targetILNS1_3genE0ELNS1_11target_archE4294967295ELNS1_3gpuE0ELNS1_3repE0EEENS1_30default_config_static_selectorELNS0_4arch9wavefront6targetE1EEEvS19_.num_vgpr, 0
	.set _ZN7rocprim17ROCPRIM_400000_NS6detail17trampoline_kernelINS0_14default_configENS1_22reduce_config_selectorIN6thrust23THRUST_200600_302600_NS5tupleIblNS6_9null_typeES8_S8_S8_S8_S8_S8_S8_EEEEZNS1_11reduce_implILb1ES3_NS6_12zip_iteratorINS7_INS6_11hip_rocprim26transform_input_iterator_tIbPN3c108BFloat16ENS6_6detail10functional5actorINSJ_9compositeIJNSJ_27transparent_binary_operatorINS6_8equal_toIvEEEENSK_INSJ_8argumentILj0EEEEENSJ_5valueISG_EEEEEEEEENSD_19counting_iterator_tIlEES8_S8_S8_S8_S8_S8_S8_S8_EEEEPS9_S9_NSD_9__find_if7functorIS9_EEEE10hipError_tPvRmT1_T2_T3_mT4_P12ihipStream_tbEUlT_E0_NS1_11comp_targetILNS1_3genE0ELNS1_11target_archE4294967295ELNS1_3gpuE0ELNS1_3repE0EEENS1_30default_config_static_selectorELNS0_4arch9wavefront6targetE1EEEvS19_.num_agpr, 0
	.set _ZN7rocprim17ROCPRIM_400000_NS6detail17trampoline_kernelINS0_14default_configENS1_22reduce_config_selectorIN6thrust23THRUST_200600_302600_NS5tupleIblNS6_9null_typeES8_S8_S8_S8_S8_S8_S8_EEEEZNS1_11reduce_implILb1ES3_NS6_12zip_iteratorINS7_INS6_11hip_rocprim26transform_input_iterator_tIbPN3c108BFloat16ENS6_6detail10functional5actorINSJ_9compositeIJNSJ_27transparent_binary_operatorINS6_8equal_toIvEEEENSK_INSJ_8argumentILj0EEEEENSJ_5valueISG_EEEEEEEEENSD_19counting_iterator_tIlEES8_S8_S8_S8_S8_S8_S8_S8_EEEEPS9_S9_NSD_9__find_if7functorIS9_EEEE10hipError_tPvRmT1_T2_T3_mT4_P12ihipStream_tbEUlT_E0_NS1_11comp_targetILNS1_3genE0ELNS1_11target_archE4294967295ELNS1_3gpuE0ELNS1_3repE0EEENS1_30default_config_static_selectorELNS0_4arch9wavefront6targetE1EEEvS19_.numbered_sgpr, 0
	.set _ZN7rocprim17ROCPRIM_400000_NS6detail17trampoline_kernelINS0_14default_configENS1_22reduce_config_selectorIN6thrust23THRUST_200600_302600_NS5tupleIblNS6_9null_typeES8_S8_S8_S8_S8_S8_S8_EEEEZNS1_11reduce_implILb1ES3_NS6_12zip_iteratorINS7_INS6_11hip_rocprim26transform_input_iterator_tIbPN3c108BFloat16ENS6_6detail10functional5actorINSJ_9compositeIJNSJ_27transparent_binary_operatorINS6_8equal_toIvEEEENSK_INSJ_8argumentILj0EEEEENSJ_5valueISG_EEEEEEEEENSD_19counting_iterator_tIlEES8_S8_S8_S8_S8_S8_S8_S8_EEEEPS9_S9_NSD_9__find_if7functorIS9_EEEE10hipError_tPvRmT1_T2_T3_mT4_P12ihipStream_tbEUlT_E0_NS1_11comp_targetILNS1_3genE0ELNS1_11target_archE4294967295ELNS1_3gpuE0ELNS1_3repE0EEENS1_30default_config_static_selectorELNS0_4arch9wavefront6targetE1EEEvS19_.num_named_barrier, 0
	.set _ZN7rocprim17ROCPRIM_400000_NS6detail17trampoline_kernelINS0_14default_configENS1_22reduce_config_selectorIN6thrust23THRUST_200600_302600_NS5tupleIblNS6_9null_typeES8_S8_S8_S8_S8_S8_S8_EEEEZNS1_11reduce_implILb1ES3_NS6_12zip_iteratorINS7_INS6_11hip_rocprim26transform_input_iterator_tIbPN3c108BFloat16ENS6_6detail10functional5actorINSJ_9compositeIJNSJ_27transparent_binary_operatorINS6_8equal_toIvEEEENSK_INSJ_8argumentILj0EEEEENSJ_5valueISG_EEEEEEEEENSD_19counting_iterator_tIlEES8_S8_S8_S8_S8_S8_S8_S8_EEEEPS9_S9_NSD_9__find_if7functorIS9_EEEE10hipError_tPvRmT1_T2_T3_mT4_P12ihipStream_tbEUlT_E0_NS1_11comp_targetILNS1_3genE0ELNS1_11target_archE4294967295ELNS1_3gpuE0ELNS1_3repE0EEENS1_30default_config_static_selectorELNS0_4arch9wavefront6targetE1EEEvS19_.private_seg_size, 0
	.set _ZN7rocprim17ROCPRIM_400000_NS6detail17trampoline_kernelINS0_14default_configENS1_22reduce_config_selectorIN6thrust23THRUST_200600_302600_NS5tupleIblNS6_9null_typeES8_S8_S8_S8_S8_S8_S8_EEEEZNS1_11reduce_implILb1ES3_NS6_12zip_iteratorINS7_INS6_11hip_rocprim26transform_input_iterator_tIbPN3c108BFloat16ENS6_6detail10functional5actorINSJ_9compositeIJNSJ_27transparent_binary_operatorINS6_8equal_toIvEEEENSK_INSJ_8argumentILj0EEEEENSJ_5valueISG_EEEEEEEEENSD_19counting_iterator_tIlEES8_S8_S8_S8_S8_S8_S8_S8_EEEEPS9_S9_NSD_9__find_if7functorIS9_EEEE10hipError_tPvRmT1_T2_T3_mT4_P12ihipStream_tbEUlT_E0_NS1_11comp_targetILNS1_3genE0ELNS1_11target_archE4294967295ELNS1_3gpuE0ELNS1_3repE0EEENS1_30default_config_static_selectorELNS0_4arch9wavefront6targetE1EEEvS19_.uses_vcc, 0
	.set _ZN7rocprim17ROCPRIM_400000_NS6detail17trampoline_kernelINS0_14default_configENS1_22reduce_config_selectorIN6thrust23THRUST_200600_302600_NS5tupleIblNS6_9null_typeES8_S8_S8_S8_S8_S8_S8_EEEEZNS1_11reduce_implILb1ES3_NS6_12zip_iteratorINS7_INS6_11hip_rocprim26transform_input_iterator_tIbPN3c108BFloat16ENS6_6detail10functional5actorINSJ_9compositeIJNSJ_27transparent_binary_operatorINS6_8equal_toIvEEEENSK_INSJ_8argumentILj0EEEEENSJ_5valueISG_EEEEEEEEENSD_19counting_iterator_tIlEES8_S8_S8_S8_S8_S8_S8_S8_EEEEPS9_S9_NSD_9__find_if7functorIS9_EEEE10hipError_tPvRmT1_T2_T3_mT4_P12ihipStream_tbEUlT_E0_NS1_11comp_targetILNS1_3genE0ELNS1_11target_archE4294967295ELNS1_3gpuE0ELNS1_3repE0EEENS1_30default_config_static_selectorELNS0_4arch9wavefront6targetE1EEEvS19_.uses_flat_scratch, 0
	.set _ZN7rocprim17ROCPRIM_400000_NS6detail17trampoline_kernelINS0_14default_configENS1_22reduce_config_selectorIN6thrust23THRUST_200600_302600_NS5tupleIblNS6_9null_typeES8_S8_S8_S8_S8_S8_S8_EEEEZNS1_11reduce_implILb1ES3_NS6_12zip_iteratorINS7_INS6_11hip_rocprim26transform_input_iterator_tIbPN3c108BFloat16ENS6_6detail10functional5actorINSJ_9compositeIJNSJ_27transparent_binary_operatorINS6_8equal_toIvEEEENSK_INSJ_8argumentILj0EEEEENSJ_5valueISG_EEEEEEEEENSD_19counting_iterator_tIlEES8_S8_S8_S8_S8_S8_S8_S8_EEEEPS9_S9_NSD_9__find_if7functorIS9_EEEE10hipError_tPvRmT1_T2_T3_mT4_P12ihipStream_tbEUlT_E0_NS1_11comp_targetILNS1_3genE0ELNS1_11target_archE4294967295ELNS1_3gpuE0ELNS1_3repE0EEENS1_30default_config_static_selectorELNS0_4arch9wavefront6targetE1EEEvS19_.has_dyn_sized_stack, 0
	.set _ZN7rocprim17ROCPRIM_400000_NS6detail17trampoline_kernelINS0_14default_configENS1_22reduce_config_selectorIN6thrust23THRUST_200600_302600_NS5tupleIblNS6_9null_typeES8_S8_S8_S8_S8_S8_S8_EEEEZNS1_11reduce_implILb1ES3_NS6_12zip_iteratorINS7_INS6_11hip_rocprim26transform_input_iterator_tIbPN3c108BFloat16ENS6_6detail10functional5actorINSJ_9compositeIJNSJ_27transparent_binary_operatorINS6_8equal_toIvEEEENSK_INSJ_8argumentILj0EEEEENSJ_5valueISG_EEEEEEEEENSD_19counting_iterator_tIlEES8_S8_S8_S8_S8_S8_S8_S8_EEEEPS9_S9_NSD_9__find_if7functorIS9_EEEE10hipError_tPvRmT1_T2_T3_mT4_P12ihipStream_tbEUlT_E0_NS1_11comp_targetILNS1_3genE0ELNS1_11target_archE4294967295ELNS1_3gpuE0ELNS1_3repE0EEENS1_30default_config_static_selectorELNS0_4arch9wavefront6targetE1EEEvS19_.has_recursion, 0
	.set _ZN7rocprim17ROCPRIM_400000_NS6detail17trampoline_kernelINS0_14default_configENS1_22reduce_config_selectorIN6thrust23THRUST_200600_302600_NS5tupleIblNS6_9null_typeES8_S8_S8_S8_S8_S8_S8_EEEEZNS1_11reduce_implILb1ES3_NS6_12zip_iteratorINS7_INS6_11hip_rocprim26transform_input_iterator_tIbPN3c108BFloat16ENS6_6detail10functional5actorINSJ_9compositeIJNSJ_27transparent_binary_operatorINS6_8equal_toIvEEEENSK_INSJ_8argumentILj0EEEEENSJ_5valueISG_EEEEEEEEENSD_19counting_iterator_tIlEES8_S8_S8_S8_S8_S8_S8_S8_EEEEPS9_S9_NSD_9__find_if7functorIS9_EEEE10hipError_tPvRmT1_T2_T3_mT4_P12ihipStream_tbEUlT_E0_NS1_11comp_targetILNS1_3genE0ELNS1_11target_archE4294967295ELNS1_3gpuE0ELNS1_3repE0EEENS1_30default_config_static_selectorELNS0_4arch9wavefront6targetE1EEEvS19_.has_indirect_call, 0
	.section	.AMDGPU.csdata,"",@progbits
; Kernel info:
; codeLenInByte = 0
; TotalNumSgprs: 4
; NumVgprs: 0
; ScratchSize: 0
; MemoryBound: 0
; FloatMode: 240
; IeeeMode: 1
; LDSByteSize: 0 bytes/workgroup (compile time only)
; SGPRBlocks: 0
; VGPRBlocks: 0
; NumSGPRsForWavesPerEU: 4
; NumVGPRsForWavesPerEU: 1
; Occupancy: 10
; WaveLimiterHint : 0
; COMPUTE_PGM_RSRC2:SCRATCH_EN: 0
; COMPUTE_PGM_RSRC2:USER_SGPR: 6
; COMPUTE_PGM_RSRC2:TRAP_HANDLER: 0
; COMPUTE_PGM_RSRC2:TGID_X_EN: 1
; COMPUTE_PGM_RSRC2:TGID_Y_EN: 0
; COMPUTE_PGM_RSRC2:TGID_Z_EN: 0
; COMPUTE_PGM_RSRC2:TIDIG_COMP_CNT: 0
	.section	.text._ZN7rocprim17ROCPRIM_400000_NS6detail17trampoline_kernelINS0_14default_configENS1_22reduce_config_selectorIN6thrust23THRUST_200600_302600_NS5tupleIblNS6_9null_typeES8_S8_S8_S8_S8_S8_S8_EEEEZNS1_11reduce_implILb1ES3_NS6_12zip_iteratorINS7_INS6_11hip_rocprim26transform_input_iterator_tIbPN3c108BFloat16ENS6_6detail10functional5actorINSJ_9compositeIJNSJ_27transparent_binary_operatorINS6_8equal_toIvEEEENSK_INSJ_8argumentILj0EEEEENSJ_5valueISG_EEEEEEEEENSD_19counting_iterator_tIlEES8_S8_S8_S8_S8_S8_S8_S8_EEEEPS9_S9_NSD_9__find_if7functorIS9_EEEE10hipError_tPvRmT1_T2_T3_mT4_P12ihipStream_tbEUlT_E0_NS1_11comp_targetILNS1_3genE5ELNS1_11target_archE942ELNS1_3gpuE9ELNS1_3repE0EEENS1_30default_config_static_selectorELNS0_4arch9wavefront6targetE1EEEvS19_,"axG",@progbits,_ZN7rocprim17ROCPRIM_400000_NS6detail17trampoline_kernelINS0_14default_configENS1_22reduce_config_selectorIN6thrust23THRUST_200600_302600_NS5tupleIblNS6_9null_typeES8_S8_S8_S8_S8_S8_S8_EEEEZNS1_11reduce_implILb1ES3_NS6_12zip_iteratorINS7_INS6_11hip_rocprim26transform_input_iterator_tIbPN3c108BFloat16ENS6_6detail10functional5actorINSJ_9compositeIJNSJ_27transparent_binary_operatorINS6_8equal_toIvEEEENSK_INSJ_8argumentILj0EEEEENSJ_5valueISG_EEEEEEEEENSD_19counting_iterator_tIlEES8_S8_S8_S8_S8_S8_S8_S8_EEEEPS9_S9_NSD_9__find_if7functorIS9_EEEE10hipError_tPvRmT1_T2_T3_mT4_P12ihipStream_tbEUlT_E0_NS1_11comp_targetILNS1_3genE5ELNS1_11target_archE942ELNS1_3gpuE9ELNS1_3repE0EEENS1_30default_config_static_selectorELNS0_4arch9wavefront6targetE1EEEvS19_,comdat
	.protected	_ZN7rocprim17ROCPRIM_400000_NS6detail17trampoline_kernelINS0_14default_configENS1_22reduce_config_selectorIN6thrust23THRUST_200600_302600_NS5tupleIblNS6_9null_typeES8_S8_S8_S8_S8_S8_S8_EEEEZNS1_11reduce_implILb1ES3_NS6_12zip_iteratorINS7_INS6_11hip_rocprim26transform_input_iterator_tIbPN3c108BFloat16ENS6_6detail10functional5actorINSJ_9compositeIJNSJ_27transparent_binary_operatorINS6_8equal_toIvEEEENSK_INSJ_8argumentILj0EEEEENSJ_5valueISG_EEEEEEEEENSD_19counting_iterator_tIlEES8_S8_S8_S8_S8_S8_S8_S8_EEEEPS9_S9_NSD_9__find_if7functorIS9_EEEE10hipError_tPvRmT1_T2_T3_mT4_P12ihipStream_tbEUlT_E0_NS1_11comp_targetILNS1_3genE5ELNS1_11target_archE942ELNS1_3gpuE9ELNS1_3repE0EEENS1_30default_config_static_selectorELNS0_4arch9wavefront6targetE1EEEvS19_ ; -- Begin function _ZN7rocprim17ROCPRIM_400000_NS6detail17trampoline_kernelINS0_14default_configENS1_22reduce_config_selectorIN6thrust23THRUST_200600_302600_NS5tupleIblNS6_9null_typeES8_S8_S8_S8_S8_S8_S8_EEEEZNS1_11reduce_implILb1ES3_NS6_12zip_iteratorINS7_INS6_11hip_rocprim26transform_input_iterator_tIbPN3c108BFloat16ENS6_6detail10functional5actorINSJ_9compositeIJNSJ_27transparent_binary_operatorINS6_8equal_toIvEEEENSK_INSJ_8argumentILj0EEEEENSJ_5valueISG_EEEEEEEEENSD_19counting_iterator_tIlEES8_S8_S8_S8_S8_S8_S8_S8_EEEEPS9_S9_NSD_9__find_if7functorIS9_EEEE10hipError_tPvRmT1_T2_T3_mT4_P12ihipStream_tbEUlT_E0_NS1_11comp_targetILNS1_3genE5ELNS1_11target_archE942ELNS1_3gpuE9ELNS1_3repE0EEENS1_30default_config_static_selectorELNS0_4arch9wavefront6targetE1EEEvS19_
	.globl	_ZN7rocprim17ROCPRIM_400000_NS6detail17trampoline_kernelINS0_14default_configENS1_22reduce_config_selectorIN6thrust23THRUST_200600_302600_NS5tupleIblNS6_9null_typeES8_S8_S8_S8_S8_S8_S8_EEEEZNS1_11reduce_implILb1ES3_NS6_12zip_iteratorINS7_INS6_11hip_rocprim26transform_input_iterator_tIbPN3c108BFloat16ENS6_6detail10functional5actorINSJ_9compositeIJNSJ_27transparent_binary_operatorINS6_8equal_toIvEEEENSK_INSJ_8argumentILj0EEEEENSJ_5valueISG_EEEEEEEEENSD_19counting_iterator_tIlEES8_S8_S8_S8_S8_S8_S8_S8_EEEEPS9_S9_NSD_9__find_if7functorIS9_EEEE10hipError_tPvRmT1_T2_T3_mT4_P12ihipStream_tbEUlT_E0_NS1_11comp_targetILNS1_3genE5ELNS1_11target_archE942ELNS1_3gpuE9ELNS1_3repE0EEENS1_30default_config_static_selectorELNS0_4arch9wavefront6targetE1EEEvS19_
	.p2align	8
	.type	_ZN7rocprim17ROCPRIM_400000_NS6detail17trampoline_kernelINS0_14default_configENS1_22reduce_config_selectorIN6thrust23THRUST_200600_302600_NS5tupleIblNS6_9null_typeES8_S8_S8_S8_S8_S8_S8_EEEEZNS1_11reduce_implILb1ES3_NS6_12zip_iteratorINS7_INS6_11hip_rocprim26transform_input_iterator_tIbPN3c108BFloat16ENS6_6detail10functional5actorINSJ_9compositeIJNSJ_27transparent_binary_operatorINS6_8equal_toIvEEEENSK_INSJ_8argumentILj0EEEEENSJ_5valueISG_EEEEEEEEENSD_19counting_iterator_tIlEES8_S8_S8_S8_S8_S8_S8_S8_EEEEPS9_S9_NSD_9__find_if7functorIS9_EEEE10hipError_tPvRmT1_T2_T3_mT4_P12ihipStream_tbEUlT_E0_NS1_11comp_targetILNS1_3genE5ELNS1_11target_archE942ELNS1_3gpuE9ELNS1_3repE0EEENS1_30default_config_static_selectorELNS0_4arch9wavefront6targetE1EEEvS19_,@function
_ZN7rocprim17ROCPRIM_400000_NS6detail17trampoline_kernelINS0_14default_configENS1_22reduce_config_selectorIN6thrust23THRUST_200600_302600_NS5tupleIblNS6_9null_typeES8_S8_S8_S8_S8_S8_S8_EEEEZNS1_11reduce_implILb1ES3_NS6_12zip_iteratorINS7_INS6_11hip_rocprim26transform_input_iterator_tIbPN3c108BFloat16ENS6_6detail10functional5actorINSJ_9compositeIJNSJ_27transparent_binary_operatorINS6_8equal_toIvEEEENSK_INSJ_8argumentILj0EEEEENSJ_5valueISG_EEEEEEEEENSD_19counting_iterator_tIlEES8_S8_S8_S8_S8_S8_S8_S8_EEEEPS9_S9_NSD_9__find_if7functorIS9_EEEE10hipError_tPvRmT1_T2_T3_mT4_P12ihipStream_tbEUlT_E0_NS1_11comp_targetILNS1_3genE5ELNS1_11target_archE942ELNS1_3gpuE9ELNS1_3repE0EEENS1_30default_config_static_selectorELNS0_4arch9wavefront6targetE1EEEvS19_: ; @_ZN7rocprim17ROCPRIM_400000_NS6detail17trampoline_kernelINS0_14default_configENS1_22reduce_config_selectorIN6thrust23THRUST_200600_302600_NS5tupleIblNS6_9null_typeES8_S8_S8_S8_S8_S8_S8_EEEEZNS1_11reduce_implILb1ES3_NS6_12zip_iteratorINS7_INS6_11hip_rocprim26transform_input_iterator_tIbPN3c108BFloat16ENS6_6detail10functional5actorINSJ_9compositeIJNSJ_27transparent_binary_operatorINS6_8equal_toIvEEEENSK_INSJ_8argumentILj0EEEEENSJ_5valueISG_EEEEEEEEENSD_19counting_iterator_tIlEES8_S8_S8_S8_S8_S8_S8_S8_EEEEPS9_S9_NSD_9__find_if7functorIS9_EEEE10hipError_tPvRmT1_T2_T3_mT4_P12ihipStream_tbEUlT_E0_NS1_11comp_targetILNS1_3genE5ELNS1_11target_archE942ELNS1_3gpuE9ELNS1_3repE0EEENS1_30default_config_static_selectorELNS0_4arch9wavefront6targetE1EEEvS19_
; %bb.0:
	.section	.rodata,"a",@progbits
	.p2align	6, 0x0
	.amdhsa_kernel _ZN7rocprim17ROCPRIM_400000_NS6detail17trampoline_kernelINS0_14default_configENS1_22reduce_config_selectorIN6thrust23THRUST_200600_302600_NS5tupleIblNS6_9null_typeES8_S8_S8_S8_S8_S8_S8_EEEEZNS1_11reduce_implILb1ES3_NS6_12zip_iteratorINS7_INS6_11hip_rocprim26transform_input_iterator_tIbPN3c108BFloat16ENS6_6detail10functional5actorINSJ_9compositeIJNSJ_27transparent_binary_operatorINS6_8equal_toIvEEEENSK_INSJ_8argumentILj0EEEEENSJ_5valueISG_EEEEEEEEENSD_19counting_iterator_tIlEES8_S8_S8_S8_S8_S8_S8_S8_EEEEPS9_S9_NSD_9__find_if7functorIS9_EEEE10hipError_tPvRmT1_T2_T3_mT4_P12ihipStream_tbEUlT_E0_NS1_11comp_targetILNS1_3genE5ELNS1_11target_archE942ELNS1_3gpuE9ELNS1_3repE0EEENS1_30default_config_static_selectorELNS0_4arch9wavefront6targetE1EEEvS19_
		.amdhsa_group_segment_fixed_size 0
		.amdhsa_private_segment_fixed_size 0
		.amdhsa_kernarg_size 88
		.amdhsa_user_sgpr_count 6
		.amdhsa_user_sgpr_private_segment_buffer 1
		.amdhsa_user_sgpr_dispatch_ptr 0
		.amdhsa_user_sgpr_queue_ptr 0
		.amdhsa_user_sgpr_kernarg_segment_ptr 1
		.amdhsa_user_sgpr_dispatch_id 0
		.amdhsa_user_sgpr_flat_scratch_init 0
		.amdhsa_user_sgpr_private_segment_size 0
		.amdhsa_uses_dynamic_stack 0
		.amdhsa_system_sgpr_private_segment_wavefront_offset 0
		.amdhsa_system_sgpr_workgroup_id_x 1
		.amdhsa_system_sgpr_workgroup_id_y 0
		.amdhsa_system_sgpr_workgroup_id_z 0
		.amdhsa_system_sgpr_workgroup_info 0
		.amdhsa_system_vgpr_workitem_id 0
		.amdhsa_next_free_vgpr 1
		.amdhsa_next_free_sgpr 0
		.amdhsa_reserve_vcc 0
		.amdhsa_reserve_flat_scratch 0
		.amdhsa_float_round_mode_32 0
		.amdhsa_float_round_mode_16_64 0
		.amdhsa_float_denorm_mode_32 3
		.amdhsa_float_denorm_mode_16_64 3
		.amdhsa_dx10_clamp 1
		.amdhsa_ieee_mode 1
		.amdhsa_fp16_overflow 0
		.amdhsa_exception_fp_ieee_invalid_op 0
		.amdhsa_exception_fp_denorm_src 0
		.amdhsa_exception_fp_ieee_div_zero 0
		.amdhsa_exception_fp_ieee_overflow 0
		.amdhsa_exception_fp_ieee_underflow 0
		.amdhsa_exception_fp_ieee_inexact 0
		.amdhsa_exception_int_div_zero 0
	.end_amdhsa_kernel
	.section	.text._ZN7rocprim17ROCPRIM_400000_NS6detail17trampoline_kernelINS0_14default_configENS1_22reduce_config_selectorIN6thrust23THRUST_200600_302600_NS5tupleIblNS6_9null_typeES8_S8_S8_S8_S8_S8_S8_EEEEZNS1_11reduce_implILb1ES3_NS6_12zip_iteratorINS7_INS6_11hip_rocprim26transform_input_iterator_tIbPN3c108BFloat16ENS6_6detail10functional5actorINSJ_9compositeIJNSJ_27transparent_binary_operatorINS6_8equal_toIvEEEENSK_INSJ_8argumentILj0EEEEENSJ_5valueISG_EEEEEEEEENSD_19counting_iterator_tIlEES8_S8_S8_S8_S8_S8_S8_S8_EEEEPS9_S9_NSD_9__find_if7functorIS9_EEEE10hipError_tPvRmT1_T2_T3_mT4_P12ihipStream_tbEUlT_E0_NS1_11comp_targetILNS1_3genE5ELNS1_11target_archE942ELNS1_3gpuE9ELNS1_3repE0EEENS1_30default_config_static_selectorELNS0_4arch9wavefront6targetE1EEEvS19_,"axG",@progbits,_ZN7rocprim17ROCPRIM_400000_NS6detail17trampoline_kernelINS0_14default_configENS1_22reduce_config_selectorIN6thrust23THRUST_200600_302600_NS5tupleIblNS6_9null_typeES8_S8_S8_S8_S8_S8_S8_EEEEZNS1_11reduce_implILb1ES3_NS6_12zip_iteratorINS7_INS6_11hip_rocprim26transform_input_iterator_tIbPN3c108BFloat16ENS6_6detail10functional5actorINSJ_9compositeIJNSJ_27transparent_binary_operatorINS6_8equal_toIvEEEENSK_INSJ_8argumentILj0EEEEENSJ_5valueISG_EEEEEEEEENSD_19counting_iterator_tIlEES8_S8_S8_S8_S8_S8_S8_S8_EEEEPS9_S9_NSD_9__find_if7functorIS9_EEEE10hipError_tPvRmT1_T2_T3_mT4_P12ihipStream_tbEUlT_E0_NS1_11comp_targetILNS1_3genE5ELNS1_11target_archE942ELNS1_3gpuE9ELNS1_3repE0EEENS1_30default_config_static_selectorELNS0_4arch9wavefront6targetE1EEEvS19_,comdat
.Lfunc_end2089:
	.size	_ZN7rocprim17ROCPRIM_400000_NS6detail17trampoline_kernelINS0_14default_configENS1_22reduce_config_selectorIN6thrust23THRUST_200600_302600_NS5tupleIblNS6_9null_typeES8_S8_S8_S8_S8_S8_S8_EEEEZNS1_11reduce_implILb1ES3_NS6_12zip_iteratorINS7_INS6_11hip_rocprim26transform_input_iterator_tIbPN3c108BFloat16ENS6_6detail10functional5actorINSJ_9compositeIJNSJ_27transparent_binary_operatorINS6_8equal_toIvEEEENSK_INSJ_8argumentILj0EEEEENSJ_5valueISG_EEEEEEEEENSD_19counting_iterator_tIlEES8_S8_S8_S8_S8_S8_S8_S8_EEEEPS9_S9_NSD_9__find_if7functorIS9_EEEE10hipError_tPvRmT1_T2_T3_mT4_P12ihipStream_tbEUlT_E0_NS1_11comp_targetILNS1_3genE5ELNS1_11target_archE942ELNS1_3gpuE9ELNS1_3repE0EEENS1_30default_config_static_selectorELNS0_4arch9wavefront6targetE1EEEvS19_, .Lfunc_end2089-_ZN7rocprim17ROCPRIM_400000_NS6detail17trampoline_kernelINS0_14default_configENS1_22reduce_config_selectorIN6thrust23THRUST_200600_302600_NS5tupleIblNS6_9null_typeES8_S8_S8_S8_S8_S8_S8_EEEEZNS1_11reduce_implILb1ES3_NS6_12zip_iteratorINS7_INS6_11hip_rocprim26transform_input_iterator_tIbPN3c108BFloat16ENS6_6detail10functional5actorINSJ_9compositeIJNSJ_27transparent_binary_operatorINS6_8equal_toIvEEEENSK_INSJ_8argumentILj0EEEEENSJ_5valueISG_EEEEEEEEENSD_19counting_iterator_tIlEES8_S8_S8_S8_S8_S8_S8_S8_EEEEPS9_S9_NSD_9__find_if7functorIS9_EEEE10hipError_tPvRmT1_T2_T3_mT4_P12ihipStream_tbEUlT_E0_NS1_11comp_targetILNS1_3genE5ELNS1_11target_archE942ELNS1_3gpuE9ELNS1_3repE0EEENS1_30default_config_static_selectorELNS0_4arch9wavefront6targetE1EEEvS19_
                                        ; -- End function
	.set _ZN7rocprim17ROCPRIM_400000_NS6detail17trampoline_kernelINS0_14default_configENS1_22reduce_config_selectorIN6thrust23THRUST_200600_302600_NS5tupleIblNS6_9null_typeES8_S8_S8_S8_S8_S8_S8_EEEEZNS1_11reduce_implILb1ES3_NS6_12zip_iteratorINS7_INS6_11hip_rocprim26transform_input_iterator_tIbPN3c108BFloat16ENS6_6detail10functional5actorINSJ_9compositeIJNSJ_27transparent_binary_operatorINS6_8equal_toIvEEEENSK_INSJ_8argumentILj0EEEEENSJ_5valueISG_EEEEEEEEENSD_19counting_iterator_tIlEES8_S8_S8_S8_S8_S8_S8_S8_EEEEPS9_S9_NSD_9__find_if7functorIS9_EEEE10hipError_tPvRmT1_T2_T3_mT4_P12ihipStream_tbEUlT_E0_NS1_11comp_targetILNS1_3genE5ELNS1_11target_archE942ELNS1_3gpuE9ELNS1_3repE0EEENS1_30default_config_static_selectorELNS0_4arch9wavefront6targetE1EEEvS19_.num_vgpr, 0
	.set _ZN7rocprim17ROCPRIM_400000_NS6detail17trampoline_kernelINS0_14default_configENS1_22reduce_config_selectorIN6thrust23THRUST_200600_302600_NS5tupleIblNS6_9null_typeES8_S8_S8_S8_S8_S8_S8_EEEEZNS1_11reduce_implILb1ES3_NS6_12zip_iteratorINS7_INS6_11hip_rocprim26transform_input_iterator_tIbPN3c108BFloat16ENS6_6detail10functional5actorINSJ_9compositeIJNSJ_27transparent_binary_operatorINS6_8equal_toIvEEEENSK_INSJ_8argumentILj0EEEEENSJ_5valueISG_EEEEEEEEENSD_19counting_iterator_tIlEES8_S8_S8_S8_S8_S8_S8_S8_EEEEPS9_S9_NSD_9__find_if7functorIS9_EEEE10hipError_tPvRmT1_T2_T3_mT4_P12ihipStream_tbEUlT_E0_NS1_11comp_targetILNS1_3genE5ELNS1_11target_archE942ELNS1_3gpuE9ELNS1_3repE0EEENS1_30default_config_static_selectorELNS0_4arch9wavefront6targetE1EEEvS19_.num_agpr, 0
	.set _ZN7rocprim17ROCPRIM_400000_NS6detail17trampoline_kernelINS0_14default_configENS1_22reduce_config_selectorIN6thrust23THRUST_200600_302600_NS5tupleIblNS6_9null_typeES8_S8_S8_S8_S8_S8_S8_EEEEZNS1_11reduce_implILb1ES3_NS6_12zip_iteratorINS7_INS6_11hip_rocprim26transform_input_iterator_tIbPN3c108BFloat16ENS6_6detail10functional5actorINSJ_9compositeIJNSJ_27transparent_binary_operatorINS6_8equal_toIvEEEENSK_INSJ_8argumentILj0EEEEENSJ_5valueISG_EEEEEEEEENSD_19counting_iterator_tIlEES8_S8_S8_S8_S8_S8_S8_S8_EEEEPS9_S9_NSD_9__find_if7functorIS9_EEEE10hipError_tPvRmT1_T2_T3_mT4_P12ihipStream_tbEUlT_E0_NS1_11comp_targetILNS1_3genE5ELNS1_11target_archE942ELNS1_3gpuE9ELNS1_3repE0EEENS1_30default_config_static_selectorELNS0_4arch9wavefront6targetE1EEEvS19_.numbered_sgpr, 0
	.set _ZN7rocprim17ROCPRIM_400000_NS6detail17trampoline_kernelINS0_14default_configENS1_22reduce_config_selectorIN6thrust23THRUST_200600_302600_NS5tupleIblNS6_9null_typeES8_S8_S8_S8_S8_S8_S8_EEEEZNS1_11reduce_implILb1ES3_NS6_12zip_iteratorINS7_INS6_11hip_rocprim26transform_input_iterator_tIbPN3c108BFloat16ENS6_6detail10functional5actorINSJ_9compositeIJNSJ_27transparent_binary_operatorINS6_8equal_toIvEEEENSK_INSJ_8argumentILj0EEEEENSJ_5valueISG_EEEEEEEEENSD_19counting_iterator_tIlEES8_S8_S8_S8_S8_S8_S8_S8_EEEEPS9_S9_NSD_9__find_if7functorIS9_EEEE10hipError_tPvRmT1_T2_T3_mT4_P12ihipStream_tbEUlT_E0_NS1_11comp_targetILNS1_3genE5ELNS1_11target_archE942ELNS1_3gpuE9ELNS1_3repE0EEENS1_30default_config_static_selectorELNS0_4arch9wavefront6targetE1EEEvS19_.num_named_barrier, 0
	.set _ZN7rocprim17ROCPRIM_400000_NS6detail17trampoline_kernelINS0_14default_configENS1_22reduce_config_selectorIN6thrust23THRUST_200600_302600_NS5tupleIblNS6_9null_typeES8_S8_S8_S8_S8_S8_S8_EEEEZNS1_11reduce_implILb1ES3_NS6_12zip_iteratorINS7_INS6_11hip_rocprim26transform_input_iterator_tIbPN3c108BFloat16ENS6_6detail10functional5actorINSJ_9compositeIJNSJ_27transparent_binary_operatorINS6_8equal_toIvEEEENSK_INSJ_8argumentILj0EEEEENSJ_5valueISG_EEEEEEEEENSD_19counting_iterator_tIlEES8_S8_S8_S8_S8_S8_S8_S8_EEEEPS9_S9_NSD_9__find_if7functorIS9_EEEE10hipError_tPvRmT1_T2_T3_mT4_P12ihipStream_tbEUlT_E0_NS1_11comp_targetILNS1_3genE5ELNS1_11target_archE942ELNS1_3gpuE9ELNS1_3repE0EEENS1_30default_config_static_selectorELNS0_4arch9wavefront6targetE1EEEvS19_.private_seg_size, 0
	.set _ZN7rocprim17ROCPRIM_400000_NS6detail17trampoline_kernelINS0_14default_configENS1_22reduce_config_selectorIN6thrust23THRUST_200600_302600_NS5tupleIblNS6_9null_typeES8_S8_S8_S8_S8_S8_S8_EEEEZNS1_11reduce_implILb1ES3_NS6_12zip_iteratorINS7_INS6_11hip_rocprim26transform_input_iterator_tIbPN3c108BFloat16ENS6_6detail10functional5actorINSJ_9compositeIJNSJ_27transparent_binary_operatorINS6_8equal_toIvEEEENSK_INSJ_8argumentILj0EEEEENSJ_5valueISG_EEEEEEEEENSD_19counting_iterator_tIlEES8_S8_S8_S8_S8_S8_S8_S8_EEEEPS9_S9_NSD_9__find_if7functorIS9_EEEE10hipError_tPvRmT1_T2_T3_mT4_P12ihipStream_tbEUlT_E0_NS1_11comp_targetILNS1_3genE5ELNS1_11target_archE942ELNS1_3gpuE9ELNS1_3repE0EEENS1_30default_config_static_selectorELNS0_4arch9wavefront6targetE1EEEvS19_.uses_vcc, 0
	.set _ZN7rocprim17ROCPRIM_400000_NS6detail17trampoline_kernelINS0_14default_configENS1_22reduce_config_selectorIN6thrust23THRUST_200600_302600_NS5tupleIblNS6_9null_typeES8_S8_S8_S8_S8_S8_S8_EEEEZNS1_11reduce_implILb1ES3_NS6_12zip_iteratorINS7_INS6_11hip_rocprim26transform_input_iterator_tIbPN3c108BFloat16ENS6_6detail10functional5actorINSJ_9compositeIJNSJ_27transparent_binary_operatorINS6_8equal_toIvEEEENSK_INSJ_8argumentILj0EEEEENSJ_5valueISG_EEEEEEEEENSD_19counting_iterator_tIlEES8_S8_S8_S8_S8_S8_S8_S8_EEEEPS9_S9_NSD_9__find_if7functorIS9_EEEE10hipError_tPvRmT1_T2_T3_mT4_P12ihipStream_tbEUlT_E0_NS1_11comp_targetILNS1_3genE5ELNS1_11target_archE942ELNS1_3gpuE9ELNS1_3repE0EEENS1_30default_config_static_selectorELNS0_4arch9wavefront6targetE1EEEvS19_.uses_flat_scratch, 0
	.set _ZN7rocprim17ROCPRIM_400000_NS6detail17trampoline_kernelINS0_14default_configENS1_22reduce_config_selectorIN6thrust23THRUST_200600_302600_NS5tupleIblNS6_9null_typeES8_S8_S8_S8_S8_S8_S8_EEEEZNS1_11reduce_implILb1ES3_NS6_12zip_iteratorINS7_INS6_11hip_rocprim26transform_input_iterator_tIbPN3c108BFloat16ENS6_6detail10functional5actorINSJ_9compositeIJNSJ_27transparent_binary_operatorINS6_8equal_toIvEEEENSK_INSJ_8argumentILj0EEEEENSJ_5valueISG_EEEEEEEEENSD_19counting_iterator_tIlEES8_S8_S8_S8_S8_S8_S8_S8_EEEEPS9_S9_NSD_9__find_if7functorIS9_EEEE10hipError_tPvRmT1_T2_T3_mT4_P12ihipStream_tbEUlT_E0_NS1_11comp_targetILNS1_3genE5ELNS1_11target_archE942ELNS1_3gpuE9ELNS1_3repE0EEENS1_30default_config_static_selectorELNS0_4arch9wavefront6targetE1EEEvS19_.has_dyn_sized_stack, 0
	.set _ZN7rocprim17ROCPRIM_400000_NS6detail17trampoline_kernelINS0_14default_configENS1_22reduce_config_selectorIN6thrust23THRUST_200600_302600_NS5tupleIblNS6_9null_typeES8_S8_S8_S8_S8_S8_S8_EEEEZNS1_11reduce_implILb1ES3_NS6_12zip_iteratorINS7_INS6_11hip_rocprim26transform_input_iterator_tIbPN3c108BFloat16ENS6_6detail10functional5actorINSJ_9compositeIJNSJ_27transparent_binary_operatorINS6_8equal_toIvEEEENSK_INSJ_8argumentILj0EEEEENSJ_5valueISG_EEEEEEEEENSD_19counting_iterator_tIlEES8_S8_S8_S8_S8_S8_S8_S8_EEEEPS9_S9_NSD_9__find_if7functorIS9_EEEE10hipError_tPvRmT1_T2_T3_mT4_P12ihipStream_tbEUlT_E0_NS1_11comp_targetILNS1_3genE5ELNS1_11target_archE942ELNS1_3gpuE9ELNS1_3repE0EEENS1_30default_config_static_selectorELNS0_4arch9wavefront6targetE1EEEvS19_.has_recursion, 0
	.set _ZN7rocprim17ROCPRIM_400000_NS6detail17trampoline_kernelINS0_14default_configENS1_22reduce_config_selectorIN6thrust23THRUST_200600_302600_NS5tupleIblNS6_9null_typeES8_S8_S8_S8_S8_S8_S8_EEEEZNS1_11reduce_implILb1ES3_NS6_12zip_iteratorINS7_INS6_11hip_rocprim26transform_input_iterator_tIbPN3c108BFloat16ENS6_6detail10functional5actorINSJ_9compositeIJNSJ_27transparent_binary_operatorINS6_8equal_toIvEEEENSK_INSJ_8argumentILj0EEEEENSJ_5valueISG_EEEEEEEEENSD_19counting_iterator_tIlEES8_S8_S8_S8_S8_S8_S8_S8_EEEEPS9_S9_NSD_9__find_if7functorIS9_EEEE10hipError_tPvRmT1_T2_T3_mT4_P12ihipStream_tbEUlT_E0_NS1_11comp_targetILNS1_3genE5ELNS1_11target_archE942ELNS1_3gpuE9ELNS1_3repE0EEENS1_30default_config_static_selectorELNS0_4arch9wavefront6targetE1EEEvS19_.has_indirect_call, 0
	.section	.AMDGPU.csdata,"",@progbits
; Kernel info:
; codeLenInByte = 0
; TotalNumSgprs: 4
; NumVgprs: 0
; ScratchSize: 0
; MemoryBound: 0
; FloatMode: 240
; IeeeMode: 1
; LDSByteSize: 0 bytes/workgroup (compile time only)
; SGPRBlocks: 0
; VGPRBlocks: 0
; NumSGPRsForWavesPerEU: 4
; NumVGPRsForWavesPerEU: 1
; Occupancy: 10
; WaveLimiterHint : 0
; COMPUTE_PGM_RSRC2:SCRATCH_EN: 0
; COMPUTE_PGM_RSRC2:USER_SGPR: 6
; COMPUTE_PGM_RSRC2:TRAP_HANDLER: 0
; COMPUTE_PGM_RSRC2:TGID_X_EN: 1
; COMPUTE_PGM_RSRC2:TGID_Y_EN: 0
; COMPUTE_PGM_RSRC2:TGID_Z_EN: 0
; COMPUTE_PGM_RSRC2:TIDIG_COMP_CNT: 0
	.section	.text._ZN7rocprim17ROCPRIM_400000_NS6detail17trampoline_kernelINS0_14default_configENS1_22reduce_config_selectorIN6thrust23THRUST_200600_302600_NS5tupleIblNS6_9null_typeES8_S8_S8_S8_S8_S8_S8_EEEEZNS1_11reduce_implILb1ES3_NS6_12zip_iteratorINS7_INS6_11hip_rocprim26transform_input_iterator_tIbPN3c108BFloat16ENS6_6detail10functional5actorINSJ_9compositeIJNSJ_27transparent_binary_operatorINS6_8equal_toIvEEEENSK_INSJ_8argumentILj0EEEEENSJ_5valueISG_EEEEEEEEENSD_19counting_iterator_tIlEES8_S8_S8_S8_S8_S8_S8_S8_EEEEPS9_S9_NSD_9__find_if7functorIS9_EEEE10hipError_tPvRmT1_T2_T3_mT4_P12ihipStream_tbEUlT_E0_NS1_11comp_targetILNS1_3genE4ELNS1_11target_archE910ELNS1_3gpuE8ELNS1_3repE0EEENS1_30default_config_static_selectorELNS0_4arch9wavefront6targetE1EEEvS19_,"axG",@progbits,_ZN7rocprim17ROCPRIM_400000_NS6detail17trampoline_kernelINS0_14default_configENS1_22reduce_config_selectorIN6thrust23THRUST_200600_302600_NS5tupleIblNS6_9null_typeES8_S8_S8_S8_S8_S8_S8_EEEEZNS1_11reduce_implILb1ES3_NS6_12zip_iteratorINS7_INS6_11hip_rocprim26transform_input_iterator_tIbPN3c108BFloat16ENS6_6detail10functional5actorINSJ_9compositeIJNSJ_27transparent_binary_operatorINS6_8equal_toIvEEEENSK_INSJ_8argumentILj0EEEEENSJ_5valueISG_EEEEEEEEENSD_19counting_iterator_tIlEES8_S8_S8_S8_S8_S8_S8_S8_EEEEPS9_S9_NSD_9__find_if7functorIS9_EEEE10hipError_tPvRmT1_T2_T3_mT4_P12ihipStream_tbEUlT_E0_NS1_11comp_targetILNS1_3genE4ELNS1_11target_archE910ELNS1_3gpuE8ELNS1_3repE0EEENS1_30default_config_static_selectorELNS0_4arch9wavefront6targetE1EEEvS19_,comdat
	.protected	_ZN7rocprim17ROCPRIM_400000_NS6detail17trampoline_kernelINS0_14default_configENS1_22reduce_config_selectorIN6thrust23THRUST_200600_302600_NS5tupleIblNS6_9null_typeES8_S8_S8_S8_S8_S8_S8_EEEEZNS1_11reduce_implILb1ES3_NS6_12zip_iteratorINS7_INS6_11hip_rocprim26transform_input_iterator_tIbPN3c108BFloat16ENS6_6detail10functional5actorINSJ_9compositeIJNSJ_27transparent_binary_operatorINS6_8equal_toIvEEEENSK_INSJ_8argumentILj0EEEEENSJ_5valueISG_EEEEEEEEENSD_19counting_iterator_tIlEES8_S8_S8_S8_S8_S8_S8_S8_EEEEPS9_S9_NSD_9__find_if7functorIS9_EEEE10hipError_tPvRmT1_T2_T3_mT4_P12ihipStream_tbEUlT_E0_NS1_11comp_targetILNS1_3genE4ELNS1_11target_archE910ELNS1_3gpuE8ELNS1_3repE0EEENS1_30default_config_static_selectorELNS0_4arch9wavefront6targetE1EEEvS19_ ; -- Begin function _ZN7rocprim17ROCPRIM_400000_NS6detail17trampoline_kernelINS0_14default_configENS1_22reduce_config_selectorIN6thrust23THRUST_200600_302600_NS5tupleIblNS6_9null_typeES8_S8_S8_S8_S8_S8_S8_EEEEZNS1_11reduce_implILb1ES3_NS6_12zip_iteratorINS7_INS6_11hip_rocprim26transform_input_iterator_tIbPN3c108BFloat16ENS6_6detail10functional5actorINSJ_9compositeIJNSJ_27transparent_binary_operatorINS6_8equal_toIvEEEENSK_INSJ_8argumentILj0EEEEENSJ_5valueISG_EEEEEEEEENSD_19counting_iterator_tIlEES8_S8_S8_S8_S8_S8_S8_S8_EEEEPS9_S9_NSD_9__find_if7functorIS9_EEEE10hipError_tPvRmT1_T2_T3_mT4_P12ihipStream_tbEUlT_E0_NS1_11comp_targetILNS1_3genE4ELNS1_11target_archE910ELNS1_3gpuE8ELNS1_3repE0EEENS1_30default_config_static_selectorELNS0_4arch9wavefront6targetE1EEEvS19_
	.globl	_ZN7rocprim17ROCPRIM_400000_NS6detail17trampoline_kernelINS0_14default_configENS1_22reduce_config_selectorIN6thrust23THRUST_200600_302600_NS5tupleIblNS6_9null_typeES8_S8_S8_S8_S8_S8_S8_EEEEZNS1_11reduce_implILb1ES3_NS6_12zip_iteratorINS7_INS6_11hip_rocprim26transform_input_iterator_tIbPN3c108BFloat16ENS6_6detail10functional5actorINSJ_9compositeIJNSJ_27transparent_binary_operatorINS6_8equal_toIvEEEENSK_INSJ_8argumentILj0EEEEENSJ_5valueISG_EEEEEEEEENSD_19counting_iterator_tIlEES8_S8_S8_S8_S8_S8_S8_S8_EEEEPS9_S9_NSD_9__find_if7functorIS9_EEEE10hipError_tPvRmT1_T2_T3_mT4_P12ihipStream_tbEUlT_E0_NS1_11comp_targetILNS1_3genE4ELNS1_11target_archE910ELNS1_3gpuE8ELNS1_3repE0EEENS1_30default_config_static_selectorELNS0_4arch9wavefront6targetE1EEEvS19_
	.p2align	8
	.type	_ZN7rocprim17ROCPRIM_400000_NS6detail17trampoline_kernelINS0_14default_configENS1_22reduce_config_selectorIN6thrust23THRUST_200600_302600_NS5tupleIblNS6_9null_typeES8_S8_S8_S8_S8_S8_S8_EEEEZNS1_11reduce_implILb1ES3_NS6_12zip_iteratorINS7_INS6_11hip_rocprim26transform_input_iterator_tIbPN3c108BFloat16ENS6_6detail10functional5actorINSJ_9compositeIJNSJ_27transparent_binary_operatorINS6_8equal_toIvEEEENSK_INSJ_8argumentILj0EEEEENSJ_5valueISG_EEEEEEEEENSD_19counting_iterator_tIlEES8_S8_S8_S8_S8_S8_S8_S8_EEEEPS9_S9_NSD_9__find_if7functorIS9_EEEE10hipError_tPvRmT1_T2_T3_mT4_P12ihipStream_tbEUlT_E0_NS1_11comp_targetILNS1_3genE4ELNS1_11target_archE910ELNS1_3gpuE8ELNS1_3repE0EEENS1_30default_config_static_selectorELNS0_4arch9wavefront6targetE1EEEvS19_,@function
_ZN7rocprim17ROCPRIM_400000_NS6detail17trampoline_kernelINS0_14default_configENS1_22reduce_config_selectorIN6thrust23THRUST_200600_302600_NS5tupleIblNS6_9null_typeES8_S8_S8_S8_S8_S8_S8_EEEEZNS1_11reduce_implILb1ES3_NS6_12zip_iteratorINS7_INS6_11hip_rocprim26transform_input_iterator_tIbPN3c108BFloat16ENS6_6detail10functional5actorINSJ_9compositeIJNSJ_27transparent_binary_operatorINS6_8equal_toIvEEEENSK_INSJ_8argumentILj0EEEEENSJ_5valueISG_EEEEEEEEENSD_19counting_iterator_tIlEES8_S8_S8_S8_S8_S8_S8_S8_EEEEPS9_S9_NSD_9__find_if7functorIS9_EEEE10hipError_tPvRmT1_T2_T3_mT4_P12ihipStream_tbEUlT_E0_NS1_11comp_targetILNS1_3genE4ELNS1_11target_archE910ELNS1_3gpuE8ELNS1_3repE0EEENS1_30default_config_static_selectorELNS0_4arch9wavefront6targetE1EEEvS19_: ; @_ZN7rocprim17ROCPRIM_400000_NS6detail17trampoline_kernelINS0_14default_configENS1_22reduce_config_selectorIN6thrust23THRUST_200600_302600_NS5tupleIblNS6_9null_typeES8_S8_S8_S8_S8_S8_S8_EEEEZNS1_11reduce_implILb1ES3_NS6_12zip_iteratorINS7_INS6_11hip_rocprim26transform_input_iterator_tIbPN3c108BFloat16ENS6_6detail10functional5actorINSJ_9compositeIJNSJ_27transparent_binary_operatorINS6_8equal_toIvEEEENSK_INSJ_8argumentILj0EEEEENSJ_5valueISG_EEEEEEEEENSD_19counting_iterator_tIlEES8_S8_S8_S8_S8_S8_S8_S8_EEEEPS9_S9_NSD_9__find_if7functorIS9_EEEE10hipError_tPvRmT1_T2_T3_mT4_P12ihipStream_tbEUlT_E0_NS1_11comp_targetILNS1_3genE4ELNS1_11target_archE910ELNS1_3gpuE8ELNS1_3repE0EEENS1_30default_config_static_selectorELNS0_4arch9wavefront6targetE1EEEvS19_
; %bb.0:
	.section	.rodata,"a",@progbits
	.p2align	6, 0x0
	.amdhsa_kernel _ZN7rocprim17ROCPRIM_400000_NS6detail17trampoline_kernelINS0_14default_configENS1_22reduce_config_selectorIN6thrust23THRUST_200600_302600_NS5tupleIblNS6_9null_typeES8_S8_S8_S8_S8_S8_S8_EEEEZNS1_11reduce_implILb1ES3_NS6_12zip_iteratorINS7_INS6_11hip_rocprim26transform_input_iterator_tIbPN3c108BFloat16ENS6_6detail10functional5actorINSJ_9compositeIJNSJ_27transparent_binary_operatorINS6_8equal_toIvEEEENSK_INSJ_8argumentILj0EEEEENSJ_5valueISG_EEEEEEEEENSD_19counting_iterator_tIlEES8_S8_S8_S8_S8_S8_S8_S8_EEEEPS9_S9_NSD_9__find_if7functorIS9_EEEE10hipError_tPvRmT1_T2_T3_mT4_P12ihipStream_tbEUlT_E0_NS1_11comp_targetILNS1_3genE4ELNS1_11target_archE910ELNS1_3gpuE8ELNS1_3repE0EEENS1_30default_config_static_selectorELNS0_4arch9wavefront6targetE1EEEvS19_
		.amdhsa_group_segment_fixed_size 0
		.amdhsa_private_segment_fixed_size 0
		.amdhsa_kernarg_size 88
		.amdhsa_user_sgpr_count 6
		.amdhsa_user_sgpr_private_segment_buffer 1
		.amdhsa_user_sgpr_dispatch_ptr 0
		.amdhsa_user_sgpr_queue_ptr 0
		.amdhsa_user_sgpr_kernarg_segment_ptr 1
		.amdhsa_user_sgpr_dispatch_id 0
		.amdhsa_user_sgpr_flat_scratch_init 0
		.amdhsa_user_sgpr_private_segment_size 0
		.amdhsa_uses_dynamic_stack 0
		.amdhsa_system_sgpr_private_segment_wavefront_offset 0
		.amdhsa_system_sgpr_workgroup_id_x 1
		.amdhsa_system_sgpr_workgroup_id_y 0
		.amdhsa_system_sgpr_workgroup_id_z 0
		.amdhsa_system_sgpr_workgroup_info 0
		.amdhsa_system_vgpr_workitem_id 0
		.amdhsa_next_free_vgpr 1
		.amdhsa_next_free_sgpr 0
		.amdhsa_reserve_vcc 0
		.amdhsa_reserve_flat_scratch 0
		.amdhsa_float_round_mode_32 0
		.amdhsa_float_round_mode_16_64 0
		.amdhsa_float_denorm_mode_32 3
		.amdhsa_float_denorm_mode_16_64 3
		.amdhsa_dx10_clamp 1
		.amdhsa_ieee_mode 1
		.amdhsa_fp16_overflow 0
		.amdhsa_exception_fp_ieee_invalid_op 0
		.amdhsa_exception_fp_denorm_src 0
		.amdhsa_exception_fp_ieee_div_zero 0
		.amdhsa_exception_fp_ieee_overflow 0
		.amdhsa_exception_fp_ieee_underflow 0
		.amdhsa_exception_fp_ieee_inexact 0
		.amdhsa_exception_int_div_zero 0
	.end_amdhsa_kernel
	.section	.text._ZN7rocprim17ROCPRIM_400000_NS6detail17trampoline_kernelINS0_14default_configENS1_22reduce_config_selectorIN6thrust23THRUST_200600_302600_NS5tupleIblNS6_9null_typeES8_S8_S8_S8_S8_S8_S8_EEEEZNS1_11reduce_implILb1ES3_NS6_12zip_iteratorINS7_INS6_11hip_rocprim26transform_input_iterator_tIbPN3c108BFloat16ENS6_6detail10functional5actorINSJ_9compositeIJNSJ_27transparent_binary_operatorINS6_8equal_toIvEEEENSK_INSJ_8argumentILj0EEEEENSJ_5valueISG_EEEEEEEEENSD_19counting_iterator_tIlEES8_S8_S8_S8_S8_S8_S8_S8_EEEEPS9_S9_NSD_9__find_if7functorIS9_EEEE10hipError_tPvRmT1_T2_T3_mT4_P12ihipStream_tbEUlT_E0_NS1_11comp_targetILNS1_3genE4ELNS1_11target_archE910ELNS1_3gpuE8ELNS1_3repE0EEENS1_30default_config_static_selectorELNS0_4arch9wavefront6targetE1EEEvS19_,"axG",@progbits,_ZN7rocprim17ROCPRIM_400000_NS6detail17trampoline_kernelINS0_14default_configENS1_22reduce_config_selectorIN6thrust23THRUST_200600_302600_NS5tupleIblNS6_9null_typeES8_S8_S8_S8_S8_S8_S8_EEEEZNS1_11reduce_implILb1ES3_NS6_12zip_iteratorINS7_INS6_11hip_rocprim26transform_input_iterator_tIbPN3c108BFloat16ENS6_6detail10functional5actorINSJ_9compositeIJNSJ_27transparent_binary_operatorINS6_8equal_toIvEEEENSK_INSJ_8argumentILj0EEEEENSJ_5valueISG_EEEEEEEEENSD_19counting_iterator_tIlEES8_S8_S8_S8_S8_S8_S8_S8_EEEEPS9_S9_NSD_9__find_if7functorIS9_EEEE10hipError_tPvRmT1_T2_T3_mT4_P12ihipStream_tbEUlT_E0_NS1_11comp_targetILNS1_3genE4ELNS1_11target_archE910ELNS1_3gpuE8ELNS1_3repE0EEENS1_30default_config_static_selectorELNS0_4arch9wavefront6targetE1EEEvS19_,comdat
.Lfunc_end2090:
	.size	_ZN7rocprim17ROCPRIM_400000_NS6detail17trampoline_kernelINS0_14default_configENS1_22reduce_config_selectorIN6thrust23THRUST_200600_302600_NS5tupleIblNS6_9null_typeES8_S8_S8_S8_S8_S8_S8_EEEEZNS1_11reduce_implILb1ES3_NS6_12zip_iteratorINS7_INS6_11hip_rocprim26transform_input_iterator_tIbPN3c108BFloat16ENS6_6detail10functional5actorINSJ_9compositeIJNSJ_27transparent_binary_operatorINS6_8equal_toIvEEEENSK_INSJ_8argumentILj0EEEEENSJ_5valueISG_EEEEEEEEENSD_19counting_iterator_tIlEES8_S8_S8_S8_S8_S8_S8_S8_EEEEPS9_S9_NSD_9__find_if7functorIS9_EEEE10hipError_tPvRmT1_T2_T3_mT4_P12ihipStream_tbEUlT_E0_NS1_11comp_targetILNS1_3genE4ELNS1_11target_archE910ELNS1_3gpuE8ELNS1_3repE0EEENS1_30default_config_static_selectorELNS0_4arch9wavefront6targetE1EEEvS19_, .Lfunc_end2090-_ZN7rocprim17ROCPRIM_400000_NS6detail17trampoline_kernelINS0_14default_configENS1_22reduce_config_selectorIN6thrust23THRUST_200600_302600_NS5tupleIblNS6_9null_typeES8_S8_S8_S8_S8_S8_S8_EEEEZNS1_11reduce_implILb1ES3_NS6_12zip_iteratorINS7_INS6_11hip_rocprim26transform_input_iterator_tIbPN3c108BFloat16ENS6_6detail10functional5actorINSJ_9compositeIJNSJ_27transparent_binary_operatorINS6_8equal_toIvEEEENSK_INSJ_8argumentILj0EEEEENSJ_5valueISG_EEEEEEEEENSD_19counting_iterator_tIlEES8_S8_S8_S8_S8_S8_S8_S8_EEEEPS9_S9_NSD_9__find_if7functorIS9_EEEE10hipError_tPvRmT1_T2_T3_mT4_P12ihipStream_tbEUlT_E0_NS1_11comp_targetILNS1_3genE4ELNS1_11target_archE910ELNS1_3gpuE8ELNS1_3repE0EEENS1_30default_config_static_selectorELNS0_4arch9wavefront6targetE1EEEvS19_
                                        ; -- End function
	.set _ZN7rocprim17ROCPRIM_400000_NS6detail17trampoline_kernelINS0_14default_configENS1_22reduce_config_selectorIN6thrust23THRUST_200600_302600_NS5tupleIblNS6_9null_typeES8_S8_S8_S8_S8_S8_S8_EEEEZNS1_11reduce_implILb1ES3_NS6_12zip_iteratorINS7_INS6_11hip_rocprim26transform_input_iterator_tIbPN3c108BFloat16ENS6_6detail10functional5actorINSJ_9compositeIJNSJ_27transparent_binary_operatorINS6_8equal_toIvEEEENSK_INSJ_8argumentILj0EEEEENSJ_5valueISG_EEEEEEEEENSD_19counting_iterator_tIlEES8_S8_S8_S8_S8_S8_S8_S8_EEEEPS9_S9_NSD_9__find_if7functorIS9_EEEE10hipError_tPvRmT1_T2_T3_mT4_P12ihipStream_tbEUlT_E0_NS1_11comp_targetILNS1_3genE4ELNS1_11target_archE910ELNS1_3gpuE8ELNS1_3repE0EEENS1_30default_config_static_selectorELNS0_4arch9wavefront6targetE1EEEvS19_.num_vgpr, 0
	.set _ZN7rocprim17ROCPRIM_400000_NS6detail17trampoline_kernelINS0_14default_configENS1_22reduce_config_selectorIN6thrust23THRUST_200600_302600_NS5tupleIblNS6_9null_typeES8_S8_S8_S8_S8_S8_S8_EEEEZNS1_11reduce_implILb1ES3_NS6_12zip_iteratorINS7_INS6_11hip_rocprim26transform_input_iterator_tIbPN3c108BFloat16ENS6_6detail10functional5actorINSJ_9compositeIJNSJ_27transparent_binary_operatorINS6_8equal_toIvEEEENSK_INSJ_8argumentILj0EEEEENSJ_5valueISG_EEEEEEEEENSD_19counting_iterator_tIlEES8_S8_S8_S8_S8_S8_S8_S8_EEEEPS9_S9_NSD_9__find_if7functorIS9_EEEE10hipError_tPvRmT1_T2_T3_mT4_P12ihipStream_tbEUlT_E0_NS1_11comp_targetILNS1_3genE4ELNS1_11target_archE910ELNS1_3gpuE8ELNS1_3repE0EEENS1_30default_config_static_selectorELNS0_4arch9wavefront6targetE1EEEvS19_.num_agpr, 0
	.set _ZN7rocprim17ROCPRIM_400000_NS6detail17trampoline_kernelINS0_14default_configENS1_22reduce_config_selectorIN6thrust23THRUST_200600_302600_NS5tupleIblNS6_9null_typeES8_S8_S8_S8_S8_S8_S8_EEEEZNS1_11reduce_implILb1ES3_NS6_12zip_iteratorINS7_INS6_11hip_rocprim26transform_input_iterator_tIbPN3c108BFloat16ENS6_6detail10functional5actorINSJ_9compositeIJNSJ_27transparent_binary_operatorINS6_8equal_toIvEEEENSK_INSJ_8argumentILj0EEEEENSJ_5valueISG_EEEEEEEEENSD_19counting_iterator_tIlEES8_S8_S8_S8_S8_S8_S8_S8_EEEEPS9_S9_NSD_9__find_if7functorIS9_EEEE10hipError_tPvRmT1_T2_T3_mT4_P12ihipStream_tbEUlT_E0_NS1_11comp_targetILNS1_3genE4ELNS1_11target_archE910ELNS1_3gpuE8ELNS1_3repE0EEENS1_30default_config_static_selectorELNS0_4arch9wavefront6targetE1EEEvS19_.numbered_sgpr, 0
	.set _ZN7rocprim17ROCPRIM_400000_NS6detail17trampoline_kernelINS0_14default_configENS1_22reduce_config_selectorIN6thrust23THRUST_200600_302600_NS5tupleIblNS6_9null_typeES8_S8_S8_S8_S8_S8_S8_EEEEZNS1_11reduce_implILb1ES3_NS6_12zip_iteratorINS7_INS6_11hip_rocprim26transform_input_iterator_tIbPN3c108BFloat16ENS6_6detail10functional5actorINSJ_9compositeIJNSJ_27transparent_binary_operatorINS6_8equal_toIvEEEENSK_INSJ_8argumentILj0EEEEENSJ_5valueISG_EEEEEEEEENSD_19counting_iterator_tIlEES8_S8_S8_S8_S8_S8_S8_S8_EEEEPS9_S9_NSD_9__find_if7functorIS9_EEEE10hipError_tPvRmT1_T2_T3_mT4_P12ihipStream_tbEUlT_E0_NS1_11comp_targetILNS1_3genE4ELNS1_11target_archE910ELNS1_3gpuE8ELNS1_3repE0EEENS1_30default_config_static_selectorELNS0_4arch9wavefront6targetE1EEEvS19_.num_named_barrier, 0
	.set _ZN7rocprim17ROCPRIM_400000_NS6detail17trampoline_kernelINS0_14default_configENS1_22reduce_config_selectorIN6thrust23THRUST_200600_302600_NS5tupleIblNS6_9null_typeES8_S8_S8_S8_S8_S8_S8_EEEEZNS1_11reduce_implILb1ES3_NS6_12zip_iteratorINS7_INS6_11hip_rocprim26transform_input_iterator_tIbPN3c108BFloat16ENS6_6detail10functional5actorINSJ_9compositeIJNSJ_27transparent_binary_operatorINS6_8equal_toIvEEEENSK_INSJ_8argumentILj0EEEEENSJ_5valueISG_EEEEEEEEENSD_19counting_iterator_tIlEES8_S8_S8_S8_S8_S8_S8_S8_EEEEPS9_S9_NSD_9__find_if7functorIS9_EEEE10hipError_tPvRmT1_T2_T3_mT4_P12ihipStream_tbEUlT_E0_NS1_11comp_targetILNS1_3genE4ELNS1_11target_archE910ELNS1_3gpuE8ELNS1_3repE0EEENS1_30default_config_static_selectorELNS0_4arch9wavefront6targetE1EEEvS19_.private_seg_size, 0
	.set _ZN7rocprim17ROCPRIM_400000_NS6detail17trampoline_kernelINS0_14default_configENS1_22reduce_config_selectorIN6thrust23THRUST_200600_302600_NS5tupleIblNS6_9null_typeES8_S8_S8_S8_S8_S8_S8_EEEEZNS1_11reduce_implILb1ES3_NS6_12zip_iteratorINS7_INS6_11hip_rocprim26transform_input_iterator_tIbPN3c108BFloat16ENS6_6detail10functional5actorINSJ_9compositeIJNSJ_27transparent_binary_operatorINS6_8equal_toIvEEEENSK_INSJ_8argumentILj0EEEEENSJ_5valueISG_EEEEEEEEENSD_19counting_iterator_tIlEES8_S8_S8_S8_S8_S8_S8_S8_EEEEPS9_S9_NSD_9__find_if7functorIS9_EEEE10hipError_tPvRmT1_T2_T3_mT4_P12ihipStream_tbEUlT_E0_NS1_11comp_targetILNS1_3genE4ELNS1_11target_archE910ELNS1_3gpuE8ELNS1_3repE0EEENS1_30default_config_static_selectorELNS0_4arch9wavefront6targetE1EEEvS19_.uses_vcc, 0
	.set _ZN7rocprim17ROCPRIM_400000_NS6detail17trampoline_kernelINS0_14default_configENS1_22reduce_config_selectorIN6thrust23THRUST_200600_302600_NS5tupleIblNS6_9null_typeES8_S8_S8_S8_S8_S8_S8_EEEEZNS1_11reduce_implILb1ES3_NS6_12zip_iteratorINS7_INS6_11hip_rocprim26transform_input_iterator_tIbPN3c108BFloat16ENS6_6detail10functional5actorINSJ_9compositeIJNSJ_27transparent_binary_operatorINS6_8equal_toIvEEEENSK_INSJ_8argumentILj0EEEEENSJ_5valueISG_EEEEEEEEENSD_19counting_iterator_tIlEES8_S8_S8_S8_S8_S8_S8_S8_EEEEPS9_S9_NSD_9__find_if7functorIS9_EEEE10hipError_tPvRmT1_T2_T3_mT4_P12ihipStream_tbEUlT_E0_NS1_11comp_targetILNS1_3genE4ELNS1_11target_archE910ELNS1_3gpuE8ELNS1_3repE0EEENS1_30default_config_static_selectorELNS0_4arch9wavefront6targetE1EEEvS19_.uses_flat_scratch, 0
	.set _ZN7rocprim17ROCPRIM_400000_NS6detail17trampoline_kernelINS0_14default_configENS1_22reduce_config_selectorIN6thrust23THRUST_200600_302600_NS5tupleIblNS6_9null_typeES8_S8_S8_S8_S8_S8_S8_EEEEZNS1_11reduce_implILb1ES3_NS6_12zip_iteratorINS7_INS6_11hip_rocprim26transform_input_iterator_tIbPN3c108BFloat16ENS6_6detail10functional5actorINSJ_9compositeIJNSJ_27transparent_binary_operatorINS6_8equal_toIvEEEENSK_INSJ_8argumentILj0EEEEENSJ_5valueISG_EEEEEEEEENSD_19counting_iterator_tIlEES8_S8_S8_S8_S8_S8_S8_S8_EEEEPS9_S9_NSD_9__find_if7functorIS9_EEEE10hipError_tPvRmT1_T2_T3_mT4_P12ihipStream_tbEUlT_E0_NS1_11comp_targetILNS1_3genE4ELNS1_11target_archE910ELNS1_3gpuE8ELNS1_3repE0EEENS1_30default_config_static_selectorELNS0_4arch9wavefront6targetE1EEEvS19_.has_dyn_sized_stack, 0
	.set _ZN7rocprim17ROCPRIM_400000_NS6detail17trampoline_kernelINS0_14default_configENS1_22reduce_config_selectorIN6thrust23THRUST_200600_302600_NS5tupleIblNS6_9null_typeES8_S8_S8_S8_S8_S8_S8_EEEEZNS1_11reduce_implILb1ES3_NS6_12zip_iteratorINS7_INS6_11hip_rocprim26transform_input_iterator_tIbPN3c108BFloat16ENS6_6detail10functional5actorINSJ_9compositeIJNSJ_27transparent_binary_operatorINS6_8equal_toIvEEEENSK_INSJ_8argumentILj0EEEEENSJ_5valueISG_EEEEEEEEENSD_19counting_iterator_tIlEES8_S8_S8_S8_S8_S8_S8_S8_EEEEPS9_S9_NSD_9__find_if7functorIS9_EEEE10hipError_tPvRmT1_T2_T3_mT4_P12ihipStream_tbEUlT_E0_NS1_11comp_targetILNS1_3genE4ELNS1_11target_archE910ELNS1_3gpuE8ELNS1_3repE0EEENS1_30default_config_static_selectorELNS0_4arch9wavefront6targetE1EEEvS19_.has_recursion, 0
	.set _ZN7rocprim17ROCPRIM_400000_NS6detail17trampoline_kernelINS0_14default_configENS1_22reduce_config_selectorIN6thrust23THRUST_200600_302600_NS5tupleIblNS6_9null_typeES8_S8_S8_S8_S8_S8_S8_EEEEZNS1_11reduce_implILb1ES3_NS6_12zip_iteratorINS7_INS6_11hip_rocprim26transform_input_iterator_tIbPN3c108BFloat16ENS6_6detail10functional5actorINSJ_9compositeIJNSJ_27transparent_binary_operatorINS6_8equal_toIvEEEENSK_INSJ_8argumentILj0EEEEENSJ_5valueISG_EEEEEEEEENSD_19counting_iterator_tIlEES8_S8_S8_S8_S8_S8_S8_S8_EEEEPS9_S9_NSD_9__find_if7functorIS9_EEEE10hipError_tPvRmT1_T2_T3_mT4_P12ihipStream_tbEUlT_E0_NS1_11comp_targetILNS1_3genE4ELNS1_11target_archE910ELNS1_3gpuE8ELNS1_3repE0EEENS1_30default_config_static_selectorELNS0_4arch9wavefront6targetE1EEEvS19_.has_indirect_call, 0
	.section	.AMDGPU.csdata,"",@progbits
; Kernel info:
; codeLenInByte = 0
; TotalNumSgprs: 4
; NumVgprs: 0
; ScratchSize: 0
; MemoryBound: 0
; FloatMode: 240
; IeeeMode: 1
; LDSByteSize: 0 bytes/workgroup (compile time only)
; SGPRBlocks: 0
; VGPRBlocks: 0
; NumSGPRsForWavesPerEU: 4
; NumVGPRsForWavesPerEU: 1
; Occupancy: 10
; WaveLimiterHint : 0
; COMPUTE_PGM_RSRC2:SCRATCH_EN: 0
; COMPUTE_PGM_RSRC2:USER_SGPR: 6
; COMPUTE_PGM_RSRC2:TRAP_HANDLER: 0
; COMPUTE_PGM_RSRC2:TGID_X_EN: 1
; COMPUTE_PGM_RSRC2:TGID_Y_EN: 0
; COMPUTE_PGM_RSRC2:TGID_Z_EN: 0
; COMPUTE_PGM_RSRC2:TIDIG_COMP_CNT: 0
	.section	.text._ZN7rocprim17ROCPRIM_400000_NS6detail17trampoline_kernelINS0_14default_configENS1_22reduce_config_selectorIN6thrust23THRUST_200600_302600_NS5tupleIblNS6_9null_typeES8_S8_S8_S8_S8_S8_S8_EEEEZNS1_11reduce_implILb1ES3_NS6_12zip_iteratorINS7_INS6_11hip_rocprim26transform_input_iterator_tIbPN3c108BFloat16ENS6_6detail10functional5actorINSJ_9compositeIJNSJ_27transparent_binary_operatorINS6_8equal_toIvEEEENSK_INSJ_8argumentILj0EEEEENSJ_5valueISG_EEEEEEEEENSD_19counting_iterator_tIlEES8_S8_S8_S8_S8_S8_S8_S8_EEEEPS9_S9_NSD_9__find_if7functorIS9_EEEE10hipError_tPvRmT1_T2_T3_mT4_P12ihipStream_tbEUlT_E0_NS1_11comp_targetILNS1_3genE3ELNS1_11target_archE908ELNS1_3gpuE7ELNS1_3repE0EEENS1_30default_config_static_selectorELNS0_4arch9wavefront6targetE1EEEvS19_,"axG",@progbits,_ZN7rocprim17ROCPRIM_400000_NS6detail17trampoline_kernelINS0_14default_configENS1_22reduce_config_selectorIN6thrust23THRUST_200600_302600_NS5tupleIblNS6_9null_typeES8_S8_S8_S8_S8_S8_S8_EEEEZNS1_11reduce_implILb1ES3_NS6_12zip_iteratorINS7_INS6_11hip_rocprim26transform_input_iterator_tIbPN3c108BFloat16ENS6_6detail10functional5actorINSJ_9compositeIJNSJ_27transparent_binary_operatorINS6_8equal_toIvEEEENSK_INSJ_8argumentILj0EEEEENSJ_5valueISG_EEEEEEEEENSD_19counting_iterator_tIlEES8_S8_S8_S8_S8_S8_S8_S8_EEEEPS9_S9_NSD_9__find_if7functorIS9_EEEE10hipError_tPvRmT1_T2_T3_mT4_P12ihipStream_tbEUlT_E0_NS1_11comp_targetILNS1_3genE3ELNS1_11target_archE908ELNS1_3gpuE7ELNS1_3repE0EEENS1_30default_config_static_selectorELNS0_4arch9wavefront6targetE1EEEvS19_,comdat
	.protected	_ZN7rocprim17ROCPRIM_400000_NS6detail17trampoline_kernelINS0_14default_configENS1_22reduce_config_selectorIN6thrust23THRUST_200600_302600_NS5tupleIblNS6_9null_typeES8_S8_S8_S8_S8_S8_S8_EEEEZNS1_11reduce_implILb1ES3_NS6_12zip_iteratorINS7_INS6_11hip_rocprim26transform_input_iterator_tIbPN3c108BFloat16ENS6_6detail10functional5actorINSJ_9compositeIJNSJ_27transparent_binary_operatorINS6_8equal_toIvEEEENSK_INSJ_8argumentILj0EEEEENSJ_5valueISG_EEEEEEEEENSD_19counting_iterator_tIlEES8_S8_S8_S8_S8_S8_S8_S8_EEEEPS9_S9_NSD_9__find_if7functorIS9_EEEE10hipError_tPvRmT1_T2_T3_mT4_P12ihipStream_tbEUlT_E0_NS1_11comp_targetILNS1_3genE3ELNS1_11target_archE908ELNS1_3gpuE7ELNS1_3repE0EEENS1_30default_config_static_selectorELNS0_4arch9wavefront6targetE1EEEvS19_ ; -- Begin function _ZN7rocprim17ROCPRIM_400000_NS6detail17trampoline_kernelINS0_14default_configENS1_22reduce_config_selectorIN6thrust23THRUST_200600_302600_NS5tupleIblNS6_9null_typeES8_S8_S8_S8_S8_S8_S8_EEEEZNS1_11reduce_implILb1ES3_NS6_12zip_iteratorINS7_INS6_11hip_rocprim26transform_input_iterator_tIbPN3c108BFloat16ENS6_6detail10functional5actorINSJ_9compositeIJNSJ_27transparent_binary_operatorINS6_8equal_toIvEEEENSK_INSJ_8argumentILj0EEEEENSJ_5valueISG_EEEEEEEEENSD_19counting_iterator_tIlEES8_S8_S8_S8_S8_S8_S8_S8_EEEEPS9_S9_NSD_9__find_if7functorIS9_EEEE10hipError_tPvRmT1_T2_T3_mT4_P12ihipStream_tbEUlT_E0_NS1_11comp_targetILNS1_3genE3ELNS1_11target_archE908ELNS1_3gpuE7ELNS1_3repE0EEENS1_30default_config_static_selectorELNS0_4arch9wavefront6targetE1EEEvS19_
	.globl	_ZN7rocprim17ROCPRIM_400000_NS6detail17trampoline_kernelINS0_14default_configENS1_22reduce_config_selectorIN6thrust23THRUST_200600_302600_NS5tupleIblNS6_9null_typeES8_S8_S8_S8_S8_S8_S8_EEEEZNS1_11reduce_implILb1ES3_NS6_12zip_iteratorINS7_INS6_11hip_rocprim26transform_input_iterator_tIbPN3c108BFloat16ENS6_6detail10functional5actorINSJ_9compositeIJNSJ_27transparent_binary_operatorINS6_8equal_toIvEEEENSK_INSJ_8argumentILj0EEEEENSJ_5valueISG_EEEEEEEEENSD_19counting_iterator_tIlEES8_S8_S8_S8_S8_S8_S8_S8_EEEEPS9_S9_NSD_9__find_if7functorIS9_EEEE10hipError_tPvRmT1_T2_T3_mT4_P12ihipStream_tbEUlT_E0_NS1_11comp_targetILNS1_3genE3ELNS1_11target_archE908ELNS1_3gpuE7ELNS1_3repE0EEENS1_30default_config_static_selectorELNS0_4arch9wavefront6targetE1EEEvS19_
	.p2align	8
	.type	_ZN7rocprim17ROCPRIM_400000_NS6detail17trampoline_kernelINS0_14default_configENS1_22reduce_config_selectorIN6thrust23THRUST_200600_302600_NS5tupleIblNS6_9null_typeES8_S8_S8_S8_S8_S8_S8_EEEEZNS1_11reduce_implILb1ES3_NS6_12zip_iteratorINS7_INS6_11hip_rocprim26transform_input_iterator_tIbPN3c108BFloat16ENS6_6detail10functional5actorINSJ_9compositeIJNSJ_27transparent_binary_operatorINS6_8equal_toIvEEEENSK_INSJ_8argumentILj0EEEEENSJ_5valueISG_EEEEEEEEENSD_19counting_iterator_tIlEES8_S8_S8_S8_S8_S8_S8_S8_EEEEPS9_S9_NSD_9__find_if7functorIS9_EEEE10hipError_tPvRmT1_T2_T3_mT4_P12ihipStream_tbEUlT_E0_NS1_11comp_targetILNS1_3genE3ELNS1_11target_archE908ELNS1_3gpuE7ELNS1_3repE0EEENS1_30default_config_static_selectorELNS0_4arch9wavefront6targetE1EEEvS19_,@function
_ZN7rocprim17ROCPRIM_400000_NS6detail17trampoline_kernelINS0_14default_configENS1_22reduce_config_selectorIN6thrust23THRUST_200600_302600_NS5tupleIblNS6_9null_typeES8_S8_S8_S8_S8_S8_S8_EEEEZNS1_11reduce_implILb1ES3_NS6_12zip_iteratorINS7_INS6_11hip_rocprim26transform_input_iterator_tIbPN3c108BFloat16ENS6_6detail10functional5actorINSJ_9compositeIJNSJ_27transparent_binary_operatorINS6_8equal_toIvEEEENSK_INSJ_8argumentILj0EEEEENSJ_5valueISG_EEEEEEEEENSD_19counting_iterator_tIlEES8_S8_S8_S8_S8_S8_S8_S8_EEEEPS9_S9_NSD_9__find_if7functorIS9_EEEE10hipError_tPvRmT1_T2_T3_mT4_P12ihipStream_tbEUlT_E0_NS1_11comp_targetILNS1_3genE3ELNS1_11target_archE908ELNS1_3gpuE7ELNS1_3repE0EEENS1_30default_config_static_selectorELNS0_4arch9wavefront6targetE1EEEvS19_: ; @_ZN7rocprim17ROCPRIM_400000_NS6detail17trampoline_kernelINS0_14default_configENS1_22reduce_config_selectorIN6thrust23THRUST_200600_302600_NS5tupleIblNS6_9null_typeES8_S8_S8_S8_S8_S8_S8_EEEEZNS1_11reduce_implILb1ES3_NS6_12zip_iteratorINS7_INS6_11hip_rocprim26transform_input_iterator_tIbPN3c108BFloat16ENS6_6detail10functional5actorINSJ_9compositeIJNSJ_27transparent_binary_operatorINS6_8equal_toIvEEEENSK_INSJ_8argumentILj0EEEEENSJ_5valueISG_EEEEEEEEENSD_19counting_iterator_tIlEES8_S8_S8_S8_S8_S8_S8_S8_EEEEPS9_S9_NSD_9__find_if7functorIS9_EEEE10hipError_tPvRmT1_T2_T3_mT4_P12ihipStream_tbEUlT_E0_NS1_11comp_targetILNS1_3genE3ELNS1_11target_archE908ELNS1_3gpuE7ELNS1_3repE0EEENS1_30default_config_static_selectorELNS0_4arch9wavefront6targetE1EEEvS19_
; %bb.0:
	.section	.rodata,"a",@progbits
	.p2align	6, 0x0
	.amdhsa_kernel _ZN7rocprim17ROCPRIM_400000_NS6detail17trampoline_kernelINS0_14default_configENS1_22reduce_config_selectorIN6thrust23THRUST_200600_302600_NS5tupleIblNS6_9null_typeES8_S8_S8_S8_S8_S8_S8_EEEEZNS1_11reduce_implILb1ES3_NS6_12zip_iteratorINS7_INS6_11hip_rocprim26transform_input_iterator_tIbPN3c108BFloat16ENS6_6detail10functional5actorINSJ_9compositeIJNSJ_27transparent_binary_operatorINS6_8equal_toIvEEEENSK_INSJ_8argumentILj0EEEEENSJ_5valueISG_EEEEEEEEENSD_19counting_iterator_tIlEES8_S8_S8_S8_S8_S8_S8_S8_EEEEPS9_S9_NSD_9__find_if7functorIS9_EEEE10hipError_tPvRmT1_T2_T3_mT4_P12ihipStream_tbEUlT_E0_NS1_11comp_targetILNS1_3genE3ELNS1_11target_archE908ELNS1_3gpuE7ELNS1_3repE0EEENS1_30default_config_static_selectorELNS0_4arch9wavefront6targetE1EEEvS19_
		.amdhsa_group_segment_fixed_size 0
		.amdhsa_private_segment_fixed_size 0
		.amdhsa_kernarg_size 88
		.amdhsa_user_sgpr_count 6
		.amdhsa_user_sgpr_private_segment_buffer 1
		.amdhsa_user_sgpr_dispatch_ptr 0
		.amdhsa_user_sgpr_queue_ptr 0
		.amdhsa_user_sgpr_kernarg_segment_ptr 1
		.amdhsa_user_sgpr_dispatch_id 0
		.amdhsa_user_sgpr_flat_scratch_init 0
		.amdhsa_user_sgpr_private_segment_size 0
		.amdhsa_uses_dynamic_stack 0
		.amdhsa_system_sgpr_private_segment_wavefront_offset 0
		.amdhsa_system_sgpr_workgroup_id_x 1
		.amdhsa_system_sgpr_workgroup_id_y 0
		.amdhsa_system_sgpr_workgroup_id_z 0
		.amdhsa_system_sgpr_workgroup_info 0
		.amdhsa_system_vgpr_workitem_id 0
		.amdhsa_next_free_vgpr 1
		.amdhsa_next_free_sgpr 0
		.amdhsa_reserve_vcc 0
		.amdhsa_reserve_flat_scratch 0
		.amdhsa_float_round_mode_32 0
		.amdhsa_float_round_mode_16_64 0
		.amdhsa_float_denorm_mode_32 3
		.amdhsa_float_denorm_mode_16_64 3
		.amdhsa_dx10_clamp 1
		.amdhsa_ieee_mode 1
		.amdhsa_fp16_overflow 0
		.amdhsa_exception_fp_ieee_invalid_op 0
		.amdhsa_exception_fp_denorm_src 0
		.amdhsa_exception_fp_ieee_div_zero 0
		.amdhsa_exception_fp_ieee_overflow 0
		.amdhsa_exception_fp_ieee_underflow 0
		.amdhsa_exception_fp_ieee_inexact 0
		.amdhsa_exception_int_div_zero 0
	.end_amdhsa_kernel
	.section	.text._ZN7rocprim17ROCPRIM_400000_NS6detail17trampoline_kernelINS0_14default_configENS1_22reduce_config_selectorIN6thrust23THRUST_200600_302600_NS5tupleIblNS6_9null_typeES8_S8_S8_S8_S8_S8_S8_EEEEZNS1_11reduce_implILb1ES3_NS6_12zip_iteratorINS7_INS6_11hip_rocprim26transform_input_iterator_tIbPN3c108BFloat16ENS6_6detail10functional5actorINSJ_9compositeIJNSJ_27transparent_binary_operatorINS6_8equal_toIvEEEENSK_INSJ_8argumentILj0EEEEENSJ_5valueISG_EEEEEEEEENSD_19counting_iterator_tIlEES8_S8_S8_S8_S8_S8_S8_S8_EEEEPS9_S9_NSD_9__find_if7functorIS9_EEEE10hipError_tPvRmT1_T2_T3_mT4_P12ihipStream_tbEUlT_E0_NS1_11comp_targetILNS1_3genE3ELNS1_11target_archE908ELNS1_3gpuE7ELNS1_3repE0EEENS1_30default_config_static_selectorELNS0_4arch9wavefront6targetE1EEEvS19_,"axG",@progbits,_ZN7rocprim17ROCPRIM_400000_NS6detail17trampoline_kernelINS0_14default_configENS1_22reduce_config_selectorIN6thrust23THRUST_200600_302600_NS5tupleIblNS6_9null_typeES8_S8_S8_S8_S8_S8_S8_EEEEZNS1_11reduce_implILb1ES3_NS6_12zip_iteratorINS7_INS6_11hip_rocprim26transform_input_iterator_tIbPN3c108BFloat16ENS6_6detail10functional5actorINSJ_9compositeIJNSJ_27transparent_binary_operatorINS6_8equal_toIvEEEENSK_INSJ_8argumentILj0EEEEENSJ_5valueISG_EEEEEEEEENSD_19counting_iterator_tIlEES8_S8_S8_S8_S8_S8_S8_S8_EEEEPS9_S9_NSD_9__find_if7functorIS9_EEEE10hipError_tPvRmT1_T2_T3_mT4_P12ihipStream_tbEUlT_E0_NS1_11comp_targetILNS1_3genE3ELNS1_11target_archE908ELNS1_3gpuE7ELNS1_3repE0EEENS1_30default_config_static_selectorELNS0_4arch9wavefront6targetE1EEEvS19_,comdat
.Lfunc_end2091:
	.size	_ZN7rocprim17ROCPRIM_400000_NS6detail17trampoline_kernelINS0_14default_configENS1_22reduce_config_selectorIN6thrust23THRUST_200600_302600_NS5tupleIblNS6_9null_typeES8_S8_S8_S8_S8_S8_S8_EEEEZNS1_11reduce_implILb1ES3_NS6_12zip_iteratorINS7_INS6_11hip_rocprim26transform_input_iterator_tIbPN3c108BFloat16ENS6_6detail10functional5actorINSJ_9compositeIJNSJ_27transparent_binary_operatorINS6_8equal_toIvEEEENSK_INSJ_8argumentILj0EEEEENSJ_5valueISG_EEEEEEEEENSD_19counting_iterator_tIlEES8_S8_S8_S8_S8_S8_S8_S8_EEEEPS9_S9_NSD_9__find_if7functorIS9_EEEE10hipError_tPvRmT1_T2_T3_mT4_P12ihipStream_tbEUlT_E0_NS1_11comp_targetILNS1_3genE3ELNS1_11target_archE908ELNS1_3gpuE7ELNS1_3repE0EEENS1_30default_config_static_selectorELNS0_4arch9wavefront6targetE1EEEvS19_, .Lfunc_end2091-_ZN7rocprim17ROCPRIM_400000_NS6detail17trampoline_kernelINS0_14default_configENS1_22reduce_config_selectorIN6thrust23THRUST_200600_302600_NS5tupleIblNS6_9null_typeES8_S8_S8_S8_S8_S8_S8_EEEEZNS1_11reduce_implILb1ES3_NS6_12zip_iteratorINS7_INS6_11hip_rocprim26transform_input_iterator_tIbPN3c108BFloat16ENS6_6detail10functional5actorINSJ_9compositeIJNSJ_27transparent_binary_operatorINS6_8equal_toIvEEEENSK_INSJ_8argumentILj0EEEEENSJ_5valueISG_EEEEEEEEENSD_19counting_iterator_tIlEES8_S8_S8_S8_S8_S8_S8_S8_EEEEPS9_S9_NSD_9__find_if7functorIS9_EEEE10hipError_tPvRmT1_T2_T3_mT4_P12ihipStream_tbEUlT_E0_NS1_11comp_targetILNS1_3genE3ELNS1_11target_archE908ELNS1_3gpuE7ELNS1_3repE0EEENS1_30default_config_static_selectorELNS0_4arch9wavefront6targetE1EEEvS19_
                                        ; -- End function
	.set _ZN7rocprim17ROCPRIM_400000_NS6detail17trampoline_kernelINS0_14default_configENS1_22reduce_config_selectorIN6thrust23THRUST_200600_302600_NS5tupleIblNS6_9null_typeES8_S8_S8_S8_S8_S8_S8_EEEEZNS1_11reduce_implILb1ES3_NS6_12zip_iteratorINS7_INS6_11hip_rocprim26transform_input_iterator_tIbPN3c108BFloat16ENS6_6detail10functional5actorINSJ_9compositeIJNSJ_27transparent_binary_operatorINS6_8equal_toIvEEEENSK_INSJ_8argumentILj0EEEEENSJ_5valueISG_EEEEEEEEENSD_19counting_iterator_tIlEES8_S8_S8_S8_S8_S8_S8_S8_EEEEPS9_S9_NSD_9__find_if7functorIS9_EEEE10hipError_tPvRmT1_T2_T3_mT4_P12ihipStream_tbEUlT_E0_NS1_11comp_targetILNS1_3genE3ELNS1_11target_archE908ELNS1_3gpuE7ELNS1_3repE0EEENS1_30default_config_static_selectorELNS0_4arch9wavefront6targetE1EEEvS19_.num_vgpr, 0
	.set _ZN7rocprim17ROCPRIM_400000_NS6detail17trampoline_kernelINS0_14default_configENS1_22reduce_config_selectorIN6thrust23THRUST_200600_302600_NS5tupleIblNS6_9null_typeES8_S8_S8_S8_S8_S8_S8_EEEEZNS1_11reduce_implILb1ES3_NS6_12zip_iteratorINS7_INS6_11hip_rocprim26transform_input_iterator_tIbPN3c108BFloat16ENS6_6detail10functional5actorINSJ_9compositeIJNSJ_27transparent_binary_operatorINS6_8equal_toIvEEEENSK_INSJ_8argumentILj0EEEEENSJ_5valueISG_EEEEEEEEENSD_19counting_iterator_tIlEES8_S8_S8_S8_S8_S8_S8_S8_EEEEPS9_S9_NSD_9__find_if7functorIS9_EEEE10hipError_tPvRmT1_T2_T3_mT4_P12ihipStream_tbEUlT_E0_NS1_11comp_targetILNS1_3genE3ELNS1_11target_archE908ELNS1_3gpuE7ELNS1_3repE0EEENS1_30default_config_static_selectorELNS0_4arch9wavefront6targetE1EEEvS19_.num_agpr, 0
	.set _ZN7rocprim17ROCPRIM_400000_NS6detail17trampoline_kernelINS0_14default_configENS1_22reduce_config_selectorIN6thrust23THRUST_200600_302600_NS5tupleIblNS6_9null_typeES8_S8_S8_S8_S8_S8_S8_EEEEZNS1_11reduce_implILb1ES3_NS6_12zip_iteratorINS7_INS6_11hip_rocprim26transform_input_iterator_tIbPN3c108BFloat16ENS6_6detail10functional5actorINSJ_9compositeIJNSJ_27transparent_binary_operatorINS6_8equal_toIvEEEENSK_INSJ_8argumentILj0EEEEENSJ_5valueISG_EEEEEEEEENSD_19counting_iterator_tIlEES8_S8_S8_S8_S8_S8_S8_S8_EEEEPS9_S9_NSD_9__find_if7functorIS9_EEEE10hipError_tPvRmT1_T2_T3_mT4_P12ihipStream_tbEUlT_E0_NS1_11comp_targetILNS1_3genE3ELNS1_11target_archE908ELNS1_3gpuE7ELNS1_3repE0EEENS1_30default_config_static_selectorELNS0_4arch9wavefront6targetE1EEEvS19_.numbered_sgpr, 0
	.set _ZN7rocprim17ROCPRIM_400000_NS6detail17trampoline_kernelINS0_14default_configENS1_22reduce_config_selectorIN6thrust23THRUST_200600_302600_NS5tupleIblNS6_9null_typeES8_S8_S8_S8_S8_S8_S8_EEEEZNS1_11reduce_implILb1ES3_NS6_12zip_iteratorINS7_INS6_11hip_rocprim26transform_input_iterator_tIbPN3c108BFloat16ENS6_6detail10functional5actorINSJ_9compositeIJNSJ_27transparent_binary_operatorINS6_8equal_toIvEEEENSK_INSJ_8argumentILj0EEEEENSJ_5valueISG_EEEEEEEEENSD_19counting_iterator_tIlEES8_S8_S8_S8_S8_S8_S8_S8_EEEEPS9_S9_NSD_9__find_if7functorIS9_EEEE10hipError_tPvRmT1_T2_T3_mT4_P12ihipStream_tbEUlT_E0_NS1_11comp_targetILNS1_3genE3ELNS1_11target_archE908ELNS1_3gpuE7ELNS1_3repE0EEENS1_30default_config_static_selectorELNS0_4arch9wavefront6targetE1EEEvS19_.num_named_barrier, 0
	.set _ZN7rocprim17ROCPRIM_400000_NS6detail17trampoline_kernelINS0_14default_configENS1_22reduce_config_selectorIN6thrust23THRUST_200600_302600_NS5tupleIblNS6_9null_typeES8_S8_S8_S8_S8_S8_S8_EEEEZNS1_11reduce_implILb1ES3_NS6_12zip_iteratorINS7_INS6_11hip_rocprim26transform_input_iterator_tIbPN3c108BFloat16ENS6_6detail10functional5actorINSJ_9compositeIJNSJ_27transparent_binary_operatorINS6_8equal_toIvEEEENSK_INSJ_8argumentILj0EEEEENSJ_5valueISG_EEEEEEEEENSD_19counting_iterator_tIlEES8_S8_S8_S8_S8_S8_S8_S8_EEEEPS9_S9_NSD_9__find_if7functorIS9_EEEE10hipError_tPvRmT1_T2_T3_mT4_P12ihipStream_tbEUlT_E0_NS1_11comp_targetILNS1_3genE3ELNS1_11target_archE908ELNS1_3gpuE7ELNS1_3repE0EEENS1_30default_config_static_selectorELNS0_4arch9wavefront6targetE1EEEvS19_.private_seg_size, 0
	.set _ZN7rocprim17ROCPRIM_400000_NS6detail17trampoline_kernelINS0_14default_configENS1_22reduce_config_selectorIN6thrust23THRUST_200600_302600_NS5tupleIblNS6_9null_typeES8_S8_S8_S8_S8_S8_S8_EEEEZNS1_11reduce_implILb1ES3_NS6_12zip_iteratorINS7_INS6_11hip_rocprim26transform_input_iterator_tIbPN3c108BFloat16ENS6_6detail10functional5actorINSJ_9compositeIJNSJ_27transparent_binary_operatorINS6_8equal_toIvEEEENSK_INSJ_8argumentILj0EEEEENSJ_5valueISG_EEEEEEEEENSD_19counting_iterator_tIlEES8_S8_S8_S8_S8_S8_S8_S8_EEEEPS9_S9_NSD_9__find_if7functorIS9_EEEE10hipError_tPvRmT1_T2_T3_mT4_P12ihipStream_tbEUlT_E0_NS1_11comp_targetILNS1_3genE3ELNS1_11target_archE908ELNS1_3gpuE7ELNS1_3repE0EEENS1_30default_config_static_selectorELNS0_4arch9wavefront6targetE1EEEvS19_.uses_vcc, 0
	.set _ZN7rocprim17ROCPRIM_400000_NS6detail17trampoline_kernelINS0_14default_configENS1_22reduce_config_selectorIN6thrust23THRUST_200600_302600_NS5tupleIblNS6_9null_typeES8_S8_S8_S8_S8_S8_S8_EEEEZNS1_11reduce_implILb1ES3_NS6_12zip_iteratorINS7_INS6_11hip_rocprim26transform_input_iterator_tIbPN3c108BFloat16ENS6_6detail10functional5actorINSJ_9compositeIJNSJ_27transparent_binary_operatorINS6_8equal_toIvEEEENSK_INSJ_8argumentILj0EEEEENSJ_5valueISG_EEEEEEEEENSD_19counting_iterator_tIlEES8_S8_S8_S8_S8_S8_S8_S8_EEEEPS9_S9_NSD_9__find_if7functorIS9_EEEE10hipError_tPvRmT1_T2_T3_mT4_P12ihipStream_tbEUlT_E0_NS1_11comp_targetILNS1_3genE3ELNS1_11target_archE908ELNS1_3gpuE7ELNS1_3repE0EEENS1_30default_config_static_selectorELNS0_4arch9wavefront6targetE1EEEvS19_.uses_flat_scratch, 0
	.set _ZN7rocprim17ROCPRIM_400000_NS6detail17trampoline_kernelINS0_14default_configENS1_22reduce_config_selectorIN6thrust23THRUST_200600_302600_NS5tupleIblNS6_9null_typeES8_S8_S8_S8_S8_S8_S8_EEEEZNS1_11reduce_implILb1ES3_NS6_12zip_iteratorINS7_INS6_11hip_rocprim26transform_input_iterator_tIbPN3c108BFloat16ENS6_6detail10functional5actorINSJ_9compositeIJNSJ_27transparent_binary_operatorINS6_8equal_toIvEEEENSK_INSJ_8argumentILj0EEEEENSJ_5valueISG_EEEEEEEEENSD_19counting_iterator_tIlEES8_S8_S8_S8_S8_S8_S8_S8_EEEEPS9_S9_NSD_9__find_if7functorIS9_EEEE10hipError_tPvRmT1_T2_T3_mT4_P12ihipStream_tbEUlT_E0_NS1_11comp_targetILNS1_3genE3ELNS1_11target_archE908ELNS1_3gpuE7ELNS1_3repE0EEENS1_30default_config_static_selectorELNS0_4arch9wavefront6targetE1EEEvS19_.has_dyn_sized_stack, 0
	.set _ZN7rocprim17ROCPRIM_400000_NS6detail17trampoline_kernelINS0_14default_configENS1_22reduce_config_selectorIN6thrust23THRUST_200600_302600_NS5tupleIblNS6_9null_typeES8_S8_S8_S8_S8_S8_S8_EEEEZNS1_11reduce_implILb1ES3_NS6_12zip_iteratorINS7_INS6_11hip_rocprim26transform_input_iterator_tIbPN3c108BFloat16ENS6_6detail10functional5actorINSJ_9compositeIJNSJ_27transparent_binary_operatorINS6_8equal_toIvEEEENSK_INSJ_8argumentILj0EEEEENSJ_5valueISG_EEEEEEEEENSD_19counting_iterator_tIlEES8_S8_S8_S8_S8_S8_S8_S8_EEEEPS9_S9_NSD_9__find_if7functorIS9_EEEE10hipError_tPvRmT1_T2_T3_mT4_P12ihipStream_tbEUlT_E0_NS1_11comp_targetILNS1_3genE3ELNS1_11target_archE908ELNS1_3gpuE7ELNS1_3repE0EEENS1_30default_config_static_selectorELNS0_4arch9wavefront6targetE1EEEvS19_.has_recursion, 0
	.set _ZN7rocprim17ROCPRIM_400000_NS6detail17trampoline_kernelINS0_14default_configENS1_22reduce_config_selectorIN6thrust23THRUST_200600_302600_NS5tupleIblNS6_9null_typeES8_S8_S8_S8_S8_S8_S8_EEEEZNS1_11reduce_implILb1ES3_NS6_12zip_iteratorINS7_INS6_11hip_rocprim26transform_input_iterator_tIbPN3c108BFloat16ENS6_6detail10functional5actorINSJ_9compositeIJNSJ_27transparent_binary_operatorINS6_8equal_toIvEEEENSK_INSJ_8argumentILj0EEEEENSJ_5valueISG_EEEEEEEEENSD_19counting_iterator_tIlEES8_S8_S8_S8_S8_S8_S8_S8_EEEEPS9_S9_NSD_9__find_if7functorIS9_EEEE10hipError_tPvRmT1_T2_T3_mT4_P12ihipStream_tbEUlT_E0_NS1_11comp_targetILNS1_3genE3ELNS1_11target_archE908ELNS1_3gpuE7ELNS1_3repE0EEENS1_30default_config_static_selectorELNS0_4arch9wavefront6targetE1EEEvS19_.has_indirect_call, 0
	.section	.AMDGPU.csdata,"",@progbits
; Kernel info:
; codeLenInByte = 0
; TotalNumSgprs: 4
; NumVgprs: 0
; ScratchSize: 0
; MemoryBound: 0
; FloatMode: 240
; IeeeMode: 1
; LDSByteSize: 0 bytes/workgroup (compile time only)
; SGPRBlocks: 0
; VGPRBlocks: 0
; NumSGPRsForWavesPerEU: 4
; NumVGPRsForWavesPerEU: 1
; Occupancy: 10
; WaveLimiterHint : 0
; COMPUTE_PGM_RSRC2:SCRATCH_EN: 0
; COMPUTE_PGM_RSRC2:USER_SGPR: 6
; COMPUTE_PGM_RSRC2:TRAP_HANDLER: 0
; COMPUTE_PGM_RSRC2:TGID_X_EN: 1
; COMPUTE_PGM_RSRC2:TGID_Y_EN: 0
; COMPUTE_PGM_RSRC2:TGID_Z_EN: 0
; COMPUTE_PGM_RSRC2:TIDIG_COMP_CNT: 0
	.section	.text._ZN7rocprim17ROCPRIM_400000_NS6detail17trampoline_kernelINS0_14default_configENS1_22reduce_config_selectorIN6thrust23THRUST_200600_302600_NS5tupleIblNS6_9null_typeES8_S8_S8_S8_S8_S8_S8_EEEEZNS1_11reduce_implILb1ES3_NS6_12zip_iteratorINS7_INS6_11hip_rocprim26transform_input_iterator_tIbPN3c108BFloat16ENS6_6detail10functional5actorINSJ_9compositeIJNSJ_27transparent_binary_operatorINS6_8equal_toIvEEEENSK_INSJ_8argumentILj0EEEEENSJ_5valueISG_EEEEEEEEENSD_19counting_iterator_tIlEES8_S8_S8_S8_S8_S8_S8_S8_EEEEPS9_S9_NSD_9__find_if7functorIS9_EEEE10hipError_tPvRmT1_T2_T3_mT4_P12ihipStream_tbEUlT_E0_NS1_11comp_targetILNS1_3genE2ELNS1_11target_archE906ELNS1_3gpuE6ELNS1_3repE0EEENS1_30default_config_static_selectorELNS0_4arch9wavefront6targetE1EEEvS19_,"axG",@progbits,_ZN7rocprim17ROCPRIM_400000_NS6detail17trampoline_kernelINS0_14default_configENS1_22reduce_config_selectorIN6thrust23THRUST_200600_302600_NS5tupleIblNS6_9null_typeES8_S8_S8_S8_S8_S8_S8_EEEEZNS1_11reduce_implILb1ES3_NS6_12zip_iteratorINS7_INS6_11hip_rocprim26transform_input_iterator_tIbPN3c108BFloat16ENS6_6detail10functional5actorINSJ_9compositeIJNSJ_27transparent_binary_operatorINS6_8equal_toIvEEEENSK_INSJ_8argumentILj0EEEEENSJ_5valueISG_EEEEEEEEENSD_19counting_iterator_tIlEES8_S8_S8_S8_S8_S8_S8_S8_EEEEPS9_S9_NSD_9__find_if7functorIS9_EEEE10hipError_tPvRmT1_T2_T3_mT4_P12ihipStream_tbEUlT_E0_NS1_11comp_targetILNS1_3genE2ELNS1_11target_archE906ELNS1_3gpuE6ELNS1_3repE0EEENS1_30default_config_static_selectorELNS0_4arch9wavefront6targetE1EEEvS19_,comdat
	.protected	_ZN7rocprim17ROCPRIM_400000_NS6detail17trampoline_kernelINS0_14default_configENS1_22reduce_config_selectorIN6thrust23THRUST_200600_302600_NS5tupleIblNS6_9null_typeES8_S8_S8_S8_S8_S8_S8_EEEEZNS1_11reduce_implILb1ES3_NS6_12zip_iteratorINS7_INS6_11hip_rocprim26transform_input_iterator_tIbPN3c108BFloat16ENS6_6detail10functional5actorINSJ_9compositeIJNSJ_27transparent_binary_operatorINS6_8equal_toIvEEEENSK_INSJ_8argumentILj0EEEEENSJ_5valueISG_EEEEEEEEENSD_19counting_iterator_tIlEES8_S8_S8_S8_S8_S8_S8_S8_EEEEPS9_S9_NSD_9__find_if7functorIS9_EEEE10hipError_tPvRmT1_T2_T3_mT4_P12ihipStream_tbEUlT_E0_NS1_11comp_targetILNS1_3genE2ELNS1_11target_archE906ELNS1_3gpuE6ELNS1_3repE0EEENS1_30default_config_static_selectorELNS0_4arch9wavefront6targetE1EEEvS19_ ; -- Begin function _ZN7rocprim17ROCPRIM_400000_NS6detail17trampoline_kernelINS0_14default_configENS1_22reduce_config_selectorIN6thrust23THRUST_200600_302600_NS5tupleIblNS6_9null_typeES8_S8_S8_S8_S8_S8_S8_EEEEZNS1_11reduce_implILb1ES3_NS6_12zip_iteratorINS7_INS6_11hip_rocprim26transform_input_iterator_tIbPN3c108BFloat16ENS6_6detail10functional5actorINSJ_9compositeIJNSJ_27transparent_binary_operatorINS6_8equal_toIvEEEENSK_INSJ_8argumentILj0EEEEENSJ_5valueISG_EEEEEEEEENSD_19counting_iterator_tIlEES8_S8_S8_S8_S8_S8_S8_S8_EEEEPS9_S9_NSD_9__find_if7functorIS9_EEEE10hipError_tPvRmT1_T2_T3_mT4_P12ihipStream_tbEUlT_E0_NS1_11comp_targetILNS1_3genE2ELNS1_11target_archE906ELNS1_3gpuE6ELNS1_3repE0EEENS1_30default_config_static_selectorELNS0_4arch9wavefront6targetE1EEEvS19_
	.globl	_ZN7rocprim17ROCPRIM_400000_NS6detail17trampoline_kernelINS0_14default_configENS1_22reduce_config_selectorIN6thrust23THRUST_200600_302600_NS5tupleIblNS6_9null_typeES8_S8_S8_S8_S8_S8_S8_EEEEZNS1_11reduce_implILb1ES3_NS6_12zip_iteratorINS7_INS6_11hip_rocprim26transform_input_iterator_tIbPN3c108BFloat16ENS6_6detail10functional5actorINSJ_9compositeIJNSJ_27transparent_binary_operatorINS6_8equal_toIvEEEENSK_INSJ_8argumentILj0EEEEENSJ_5valueISG_EEEEEEEEENSD_19counting_iterator_tIlEES8_S8_S8_S8_S8_S8_S8_S8_EEEEPS9_S9_NSD_9__find_if7functorIS9_EEEE10hipError_tPvRmT1_T2_T3_mT4_P12ihipStream_tbEUlT_E0_NS1_11comp_targetILNS1_3genE2ELNS1_11target_archE906ELNS1_3gpuE6ELNS1_3repE0EEENS1_30default_config_static_selectorELNS0_4arch9wavefront6targetE1EEEvS19_
	.p2align	8
	.type	_ZN7rocprim17ROCPRIM_400000_NS6detail17trampoline_kernelINS0_14default_configENS1_22reduce_config_selectorIN6thrust23THRUST_200600_302600_NS5tupleIblNS6_9null_typeES8_S8_S8_S8_S8_S8_S8_EEEEZNS1_11reduce_implILb1ES3_NS6_12zip_iteratorINS7_INS6_11hip_rocprim26transform_input_iterator_tIbPN3c108BFloat16ENS6_6detail10functional5actorINSJ_9compositeIJNSJ_27transparent_binary_operatorINS6_8equal_toIvEEEENSK_INSJ_8argumentILj0EEEEENSJ_5valueISG_EEEEEEEEENSD_19counting_iterator_tIlEES8_S8_S8_S8_S8_S8_S8_S8_EEEEPS9_S9_NSD_9__find_if7functorIS9_EEEE10hipError_tPvRmT1_T2_T3_mT4_P12ihipStream_tbEUlT_E0_NS1_11comp_targetILNS1_3genE2ELNS1_11target_archE906ELNS1_3gpuE6ELNS1_3repE0EEENS1_30default_config_static_selectorELNS0_4arch9wavefront6targetE1EEEvS19_,@function
_ZN7rocprim17ROCPRIM_400000_NS6detail17trampoline_kernelINS0_14default_configENS1_22reduce_config_selectorIN6thrust23THRUST_200600_302600_NS5tupleIblNS6_9null_typeES8_S8_S8_S8_S8_S8_S8_EEEEZNS1_11reduce_implILb1ES3_NS6_12zip_iteratorINS7_INS6_11hip_rocprim26transform_input_iterator_tIbPN3c108BFloat16ENS6_6detail10functional5actorINSJ_9compositeIJNSJ_27transparent_binary_operatorINS6_8equal_toIvEEEENSK_INSJ_8argumentILj0EEEEENSJ_5valueISG_EEEEEEEEENSD_19counting_iterator_tIlEES8_S8_S8_S8_S8_S8_S8_S8_EEEEPS9_S9_NSD_9__find_if7functorIS9_EEEE10hipError_tPvRmT1_T2_T3_mT4_P12ihipStream_tbEUlT_E0_NS1_11comp_targetILNS1_3genE2ELNS1_11target_archE906ELNS1_3gpuE6ELNS1_3repE0EEENS1_30default_config_static_selectorELNS0_4arch9wavefront6targetE1EEEvS19_: ; @_ZN7rocprim17ROCPRIM_400000_NS6detail17trampoline_kernelINS0_14default_configENS1_22reduce_config_selectorIN6thrust23THRUST_200600_302600_NS5tupleIblNS6_9null_typeES8_S8_S8_S8_S8_S8_S8_EEEEZNS1_11reduce_implILb1ES3_NS6_12zip_iteratorINS7_INS6_11hip_rocprim26transform_input_iterator_tIbPN3c108BFloat16ENS6_6detail10functional5actorINSJ_9compositeIJNSJ_27transparent_binary_operatorINS6_8equal_toIvEEEENSK_INSJ_8argumentILj0EEEEENSJ_5valueISG_EEEEEEEEENSD_19counting_iterator_tIlEES8_S8_S8_S8_S8_S8_S8_S8_EEEEPS9_S9_NSD_9__find_if7functorIS9_EEEE10hipError_tPvRmT1_T2_T3_mT4_P12ihipStream_tbEUlT_E0_NS1_11comp_targetILNS1_3genE2ELNS1_11target_archE906ELNS1_3gpuE6ELNS1_3repE0EEENS1_30default_config_static_selectorELNS0_4arch9wavefront6targetE1EEEvS19_
; %bb.0:
	s_load_dword s2, s[4:5], 0x8
	s_load_dwordx8 s[12:19], s[4:5], 0x10
	s_load_dwordx2 s[0:1], s[4:5], 0x0
	s_load_dwordx4 s[20:23], s[4:5], 0x30
	s_mov_b32 s27, 0
	s_waitcnt lgkmcnt(0)
	s_lshr_b32 s28, s2, 16
	s_lshl_b64 s[2:3], s[14:15], 1
	s_add_u32 s8, s0, s2
	s_addc_u32 s9, s1, s3
	s_lshl_b32 s26, s6, 8
	s_lshr_b64 s[0:1], s[16:17], 8
	s_lshl_b64 s[2:3], s[26:27], 1
	s_add_u32 s24, s8, s2
	s_addc_u32 s25, s9, s3
	s_add_u32 s2, s12, s26
	s_addc_u32 s3, s13, 0
	s_add_u32 s14, s2, s14
	s_mov_b32 s7, s27
	s_addc_u32 s15, s3, s15
	s_cmp_lg_u64 s[0:1], s[6:7]
	v_lshlrev_b32_e32 v9, 1, v0
	v_mbcnt_lo_u32_b32 v8, -1, 0
	s_cbranch_scc0 .LBB2092_10
; %bb.1:
	global_load_ushort v1, v9, s[24:25]
	global_load_ushort v2, v9, s[24:25] offset:256
	v_mov_b32_e32 v4, s15
	v_add_co_u32_e32 v6, vcc, s14, v0
	v_addc_co_u32_e32 v4, vcc, 0, v4, vcc
	v_add_co_u32_e32 v7, vcc, 0x80, v6
	s_lshl_b32 s0, s28, 16
	v_addc_co_u32_e32 v10, vcc, 0, v4, vcc
	v_mbcnt_hi_u32_b32 v3, -1, v8
	v_lshlrev_b32_e32 v5, 2, v3
	v_or_b32_e32 v12, 0xfc, v5
	s_waitcnt vmcnt(1)
	v_lshlrev_b32_e32 v1, 16, v1
	s_waitcnt vmcnt(0)
	v_lshlrev_b32_e32 v2, 16, v2
	v_cmp_eq_f32_e32 vcc, s0, v2
	v_cmp_eq_f32_e64 s[0:1], s0, v1
	v_cndmask_b32_e64 v2, v10, v4, s[0:1]
	v_cndmask_b32_e64 v1, v7, v6, s[0:1]
	s_or_b64 s[0:1], s[0:1], vcc
	v_mov_b32_dpp v7, v2 quad_perm:[1,0,3,2] row_mask:0xf bank_mask:0xf bound_ctrl:1
	v_mov_b32_dpp v6, v1 quad_perm:[1,0,3,2] row_mask:0xf bank_mask:0xf bound_ctrl:1
	v_cndmask_b32_e64 v4, 0, 1, s[0:1]
	v_cmp_lt_i64_e32 vcc, v[1:2], v[6:7]
	s_and_b64 vcc, s[0:1], vcc
	v_mov_b32_dpp v10, v4 quad_perm:[1,0,3,2] row_mask:0xf bank_mask:0xf bound_ctrl:1
	v_and_b32_e32 v10, 1, v10
	v_cndmask_b32_e32 v6, v6, v1, vcc
	v_cndmask_b32_e32 v7, v7, v2, vcc
	v_cmp_eq_u32_e32 vcc, 1, v10
	v_cndmask_b32_e32 v2, v2, v7, vcc
	v_cndmask_b32_e32 v1, v1, v6, vcc
	v_cndmask_b32_e64 v4, v4, 1, vcc
	v_mov_b32_dpp v7, v2 quad_perm:[2,3,0,1] row_mask:0xf bank_mask:0xf bound_ctrl:1
	v_mov_b32_dpp v6, v1 quad_perm:[2,3,0,1] row_mask:0xf bank_mask:0xf bound_ctrl:1
	v_and_b32_e32 v11, 1, v4
	v_cmp_lt_i64_e64 s[0:1], v[1:2], v[6:7]
	v_mov_b32_dpp v10, v4 quad_perm:[2,3,0,1] row_mask:0xf bank_mask:0xf bound_ctrl:1
	v_cmp_eq_u32_e32 vcc, 1, v11
	v_and_b32_e32 v10, 1, v10
	s_and_b64 vcc, vcc, s[0:1]
	v_cmp_eq_u32_e64 s[2:3], 1, v10
	v_cndmask_b32_e32 v6, v6, v1, vcc
	v_cndmask_b32_e32 v7, v7, v2, vcc
	v_cndmask_b32_e64 v1, v1, v6, s[2:3]
	v_cndmask_b32_e64 v2, v2, v7, s[2:3]
	;; [unrolled: 1-line block ×3, first 2 shown]
	v_mov_b32_dpp v6, v1 row_ror:4 row_mask:0xf bank_mask:0xf bound_ctrl:1
	v_mov_b32_dpp v7, v2 row_ror:4 row_mask:0xf bank_mask:0xf bound_ctrl:1
	v_and_b32_e32 v11, 1, v4
	v_cmp_lt_i64_e64 s[2:3], v[1:2], v[6:7]
	v_mov_b32_dpp v10, v4 row_ror:4 row_mask:0xf bank_mask:0xf bound_ctrl:1
	v_cmp_eq_u32_e32 vcc, 1, v11
	v_and_b32_e32 v10, 1, v10
	s_and_b64 vcc, vcc, s[2:3]
	v_cmp_eq_u32_e64 s[0:1], 1, v10
	v_cndmask_b32_e32 v6, v6, v1, vcc
	v_cndmask_b32_e32 v7, v7, v2, vcc
	v_cndmask_b32_e64 v1, v1, v6, s[0:1]
	v_cndmask_b32_e64 v2, v2, v7, s[0:1]
	;; [unrolled: 1-line block ×3, first 2 shown]
	v_mov_b32_dpp v6, v1 row_ror:8 row_mask:0xf bank_mask:0xf bound_ctrl:1
	v_mov_b32_dpp v7, v2 row_ror:8 row_mask:0xf bank_mask:0xf bound_ctrl:1
	v_and_b32_e32 v11, 1, v4
	v_cmp_lt_i64_e64 s[2:3], v[1:2], v[6:7]
	v_mov_b32_dpp v10, v4 row_ror:8 row_mask:0xf bank_mask:0xf bound_ctrl:1
	v_cmp_eq_u32_e64 s[8:9], 1, v11
	v_and_b32_e32 v10, 1, v10
	s_and_b64 s[2:3], s[8:9], s[2:3]
	v_cmp_eq_u32_e64 s[10:11], 1, v10
	v_cndmask_b32_e64 v6, v6, v1, s[2:3]
	v_cndmask_b32_e64 v7, v7, v2, s[2:3]
	;; [unrolled: 1-line block ×5, first 2 shown]
	v_mov_b32_dpp v10, v4 row_bcast:15 row_mask:0xf bank_mask:0xf bound_ctrl:1
	v_mov_b32_dpp v6, v1 row_bcast:15 row_mask:0xf bank_mask:0xf bound_ctrl:1
	;; [unrolled: 1-line block ×3, first 2 shown]
	v_and_b32_e32 v11, 1, v4
	v_and_b32_e32 v10, 1, v10
	v_cmp_lt_i64_e64 s[2:3], v[1:2], v[6:7]
	v_cmp_eq_u32_e32 vcc, 1, v11
	v_cmp_eq_u32_e64 s[0:1], 1, v10
	v_cndmask_b32_e64 v4, v4, 1, s[0:1]
	s_and_b64 vcc, vcc, s[2:3]
	v_cndmask_b32_e32 v6, v6, v1, vcc
	v_mov_b32_dpp v10, v4 row_bcast:31 row_mask:0xf bank_mask:0xf bound_ctrl:1
	v_cndmask_b32_e32 v7, v7, v2, vcc
	v_and_b32_e32 v11, 1, v4
	v_and_b32_e32 v10, 1, v10
	v_cndmask_b32_e64 v1, v1, v6, s[0:1]
	v_cndmask_b32_e64 v2, v2, v7, s[0:1]
	v_cmp_eq_u32_e64 s[12:13], 1, v11
	v_cmp_eq_u32_e64 s[8:9], 1, v10
	v_mov_b32_dpp v10, v1 row_bcast:31 row_mask:0xf bank_mask:0xf bound_ctrl:1
	v_mov_b32_dpp v11, v2 row_bcast:31 row_mask:0xf bank_mask:0xf bound_ctrl:1
	v_cmp_lt_i64_e32 vcc, v[1:2], v[10:11]
	v_cndmask_b32_e64 v4, v4, 1, s[8:9]
	s_and_b64 vcc, s[12:13], vcc
	ds_bpermute_b32 v7, v12, v4
	v_cndmask_b32_e32 v4, v10, v1, vcc
	v_cndmask_b32_e32 v6, v11, v2, vcc
	v_cndmask_b32_e64 v1, v1, v4, s[8:9]
	v_cndmask_b32_e64 v2, v2, v6, s[8:9]
	ds_bpermute_b32 v1, v12, v1
	ds_bpermute_b32 v2, v12, v2
	v_cmp_eq_u32_e32 vcc, 0, v3
	s_and_saveexec_b64 s[0:1], vcc
	s_cbranch_execz .LBB2092_3
; %bb.2:
	v_lshrrev_b32_e32 v4, 2, v0
	v_and_b32_e32 v4, 16, v4
	s_waitcnt lgkmcnt(2)
	ds_write_b8 v4, v7
	s_waitcnt lgkmcnt(1)
	ds_write_b64 v4, v[1:2] offset:8
.LBB2092_3:
	s_or_b64 exec, exec, s[0:1]
	v_cmp_gt_u32_e32 vcc, 64, v0
	s_waitcnt lgkmcnt(0)
	s_barrier
	s_and_saveexec_b64 s[0:1], vcc
	s_cbranch_execz .LBB2092_9
; %bb.4:
	v_and_b32_e32 v1, 1, v3
	v_lshlrev_b32_e32 v1, 4, v1
	ds_read_u8 v10, v1
	ds_read_b64 v[3:4], v1 offset:8
	v_or_b32_e32 v2, 4, v5
	s_waitcnt lgkmcnt(1)
	v_and_b32_e32 v1, 0xff, v10
	ds_bpermute_b32 v11, v2, v1
	s_waitcnt lgkmcnt(1)
	ds_bpermute_b32 v5, v2, v3
	ds_bpermute_b32 v6, v2, v4
	s_waitcnt lgkmcnt(2)
	v_and_b32_e32 v1, v10, v11
	v_and_b32_e32 v1, 1, v1
	v_cmp_eq_u32_e32 vcc, 1, v1
                                        ; implicit-def: $vgpr1_vgpr2
	s_and_saveexec_b64 s[2:3], vcc
	s_xor_b64 s[2:3], exec, s[2:3]
	s_cbranch_execz .LBB2092_6
; %bb.5:
	s_waitcnt lgkmcnt(0)
	v_cmp_lt_i64_e32 vcc, v[5:6], v[3:4]
                                        ; implicit-def: $vgpr10
                                        ; implicit-def: $vgpr11
	v_cndmask_b32_e32 v2, v4, v6, vcc
	v_cndmask_b32_e32 v1, v3, v5, vcc
                                        ; implicit-def: $vgpr5_vgpr6
                                        ; implicit-def: $vgpr3_vgpr4
.LBB2092_6:
	s_or_saveexec_b64 s[2:3], s[2:3]
	v_mov_b32_e32 v7, 1
	s_xor_b64 exec, exec, s[2:3]
	s_cbranch_execz .LBB2092_8
; %bb.7:
	v_and_b32_e32 v1, 1, v10
	v_cmp_eq_u32_e32 vcc, 1, v1
	s_waitcnt lgkmcnt(0)
	v_cndmask_b32_e32 v2, v6, v4, vcc
	v_cndmask_b32_e32 v1, v5, v3, vcc
	v_cndmask_b32_e64 v7, v11, 1, vcc
.LBB2092_8:
	s_or_b64 exec, exec, s[2:3]
.LBB2092_9:
	s_or_b64 exec, exec, s[0:1]
	s_load_dword s10, s[4:5], 0x40
	s_load_dwordx2 s[8:9], s[4:5], 0x48
	s_branch .LBB2092_62
.LBB2092_10:
                                        ; implicit-def: $vgpr1_vgpr2
                                        ; implicit-def: $vgpr7
	s_load_dword s10, s[4:5], 0x40
	s_load_dwordx2 s[8:9], s[4:5], 0x48
	s_cbranch_execz .LBB2092_62
; %bb.11:
	s_sub_i32 s11, s16, s26
	v_mov_b32_e32 v3, 0
	v_mov_b32_e32 v1, 0
	s_lshl_b32 s4, s28, 16
	v_cmp_gt_u32_e32 vcc, s11, v0
	s_waitcnt lgkmcnt(0)
	v_mov_b32_e32 v5, 0
	v_mov_b32_e32 v4, 0
	;; [unrolled: 1-line block ×4, first 2 shown]
	s_and_saveexec_b64 s[0:1], vcc
	s_cbranch_execz .LBB2092_13
; %bb.12:
	global_load_ushort v6, v9, s[24:25]
	v_mov_b32_e32 v2, s15
	v_add_co_u32_e32 v1, vcc, s14, v0
	v_addc_co_u32_e32 v2, vcc, 0, v2, vcc
	s_waitcnt vmcnt(0)
	v_lshlrev_b32_e32 v6, 16, v6
	v_cmp_eq_f32_e32 vcc, s4, v6
	v_cndmask_b32_e64 v6, 0, 1, vcc
.LBB2092_13:
	s_or_b64 exec, exec, s[0:1]
	v_or_b32_e32 v7, 0x80, v0
	v_cmp_gt_u32_e32 vcc, s11, v7
	s_and_saveexec_b64 s[2:3], vcc
	s_cbranch_execz .LBB2092_15
; %bb.14:
	global_load_ushort v5, v9, s[24:25] offset:256
	v_mov_b32_e32 v4, s15
	v_add_co_u32_e64 v3, s[0:1], s14, v7
	v_addc_co_u32_e64 v4, s[0:1], 0, v4, s[0:1]
	s_waitcnt vmcnt(0)
	v_lshlrev_b32_e32 v5, 16, v5
	v_cmp_eq_f32_e64 s[0:1], s4, v5
	v_cndmask_b32_e64 v5, 0, 1, s[0:1]
.LBB2092_15:
	s_or_b64 exec, exec, s[2:3]
	v_and_b32_e32 v9, 0xffff, v5
	v_and_b32_e32 v5, 1, v5
	v_cmp_eq_u32_e64 s[0:1], 1, v5
	v_and_b32_e32 v5, 1, v6
	v_cmp_lt_i64_e64 s[2:3], v[3:4], v[1:2]
	v_cmp_eq_u32_e64 s[4:5], 1, v5
	v_and_b32_e32 v7, 0xffff, v6
	v_cndmask_b32_e64 v5, v9, 1, s[4:5]
	s_and_b64 s[0:1], s[0:1], s[2:3]
	v_cndmask_b32_e64 v6, v2, v4, s[0:1]
	v_cndmask_b32_e64 v9, v1, v3, s[0:1]
	v_cndmask_b32_e32 v7, v7, v5, vcc
	v_mbcnt_hi_u32_b32 v5, -1, v8
	v_cndmask_b32_e64 v3, v3, v9, s[4:5]
	v_cndmask_b32_e64 v4, v4, v6, s[4:5]
	v_and_b32_e32 v6, 63, v5
	v_cndmask_b32_e32 v2, v2, v4, vcc
	v_cndmask_b32_e32 v1, v1, v3, vcc
	v_cmp_ne_u32_e32 vcc, 63, v6
	v_addc_co_u32_e32 v3, vcc, 0, v5, vcc
	v_lshlrev_b32_e32 v4, 2, v3
	ds_bpermute_b32 v9, v4, v7
	ds_bpermute_b32 v3, v4, v1
	;; [unrolled: 1-line block ×3, first 2 shown]
	s_min_u32 s4, s11, 0x80
	v_and_b32_e32 v8, 64, v0
	v_sub_u32_e64 v8, s4, v8 clamp
	v_add_u32_e32 v10, 1, v6
	v_cmp_lt_u32_e32 vcc, v10, v8
	s_and_saveexec_b64 s[0:1], vcc
	s_cbranch_execz .LBB2092_21
; %bb.16:
	s_waitcnt lgkmcnt(2)
	v_and_b32_e32 v10, v9, v7
	v_cmp_ne_u32_e32 vcc, 0, v10
	s_and_saveexec_b64 s[2:3], vcc
	s_xor_b64 s[2:3], exec, s[2:3]
	s_cbranch_execz .LBB2092_18
; %bb.17:
	s_waitcnt lgkmcnt(0)
	v_cmp_lt_i64_e32 vcc, v[3:4], v[1:2]
                                        ; implicit-def: $vgpr7
                                        ; implicit-def: $vgpr9
	v_cndmask_b32_e32 v2, v2, v4, vcc
	v_cndmask_b32_e32 v1, v1, v3, vcc
                                        ; implicit-def: $vgpr3_vgpr4
.LBB2092_18:
	s_or_saveexec_b64 s[2:3], s[2:3]
	v_mov_b32_e32 v10, 1
	s_xor_b64 exec, exec, s[2:3]
	s_cbranch_execz .LBB2092_20
; %bb.19:
	v_and_b32_e32 v7, 1, v7
	v_cmp_eq_u32_e32 vcc, 1, v7
	s_waitcnt lgkmcnt(1)
	v_cndmask_b32_e32 v1, v3, v1, vcc
	v_and_b32_e32 v3, 0xff, v9
	s_waitcnt lgkmcnt(0)
	v_cndmask_b32_e32 v2, v4, v2, vcc
	v_cndmask_b32_e64 v10, v3, 1, vcc
.LBB2092_20:
	s_or_b64 exec, exec, s[2:3]
	v_mov_b32_e32 v7, v10
.LBB2092_21:
	s_or_b64 exec, exec, s[0:1]
	v_cmp_gt_u32_e32 vcc, 62, v6
	s_waitcnt lgkmcnt(1)
	v_cndmask_b32_e64 v3, 0, 2, vcc
	s_waitcnt lgkmcnt(0)
	v_add_lshl_u32 v4, v3, v5, 2
	ds_bpermute_b32 v9, v4, v7
	ds_bpermute_b32 v3, v4, v1
	ds_bpermute_b32 v4, v4, v2
	v_add_u32_e32 v10, 2, v6
	v_cmp_lt_u32_e32 vcc, v10, v8
	s_and_saveexec_b64 s[0:1], vcc
	s_cbranch_execz .LBB2092_27
; %bb.22:
	s_waitcnt lgkmcnt(2)
	v_and_b32_e32 v10, v7, v9
	v_and_b32_e32 v10, 1, v10
	v_cmp_eq_u32_e32 vcc, 1, v10
	s_and_saveexec_b64 s[2:3], vcc
	s_xor_b64 s[2:3], exec, s[2:3]
	s_cbranch_execz .LBB2092_24
; %bb.23:
	s_waitcnt lgkmcnt(0)
	v_cmp_lt_i64_e32 vcc, v[3:4], v[1:2]
                                        ; implicit-def: $vgpr7
                                        ; implicit-def: $vgpr9
	v_cndmask_b32_e32 v2, v2, v4, vcc
	v_cndmask_b32_e32 v1, v1, v3, vcc
                                        ; implicit-def: $vgpr3_vgpr4
.LBB2092_24:
	s_or_saveexec_b64 s[2:3], s[2:3]
	v_mov_b32_e32 v10, 1
	s_xor_b64 exec, exec, s[2:3]
	s_cbranch_execz .LBB2092_26
; %bb.25:
	v_and_b32_e32 v7, 1, v7
	v_cmp_eq_u32_e32 vcc, 1, v7
	s_waitcnt lgkmcnt(1)
	v_cndmask_b32_e32 v1, v3, v1, vcc
	v_and_b32_e32 v3, 0xff, v9
	s_waitcnt lgkmcnt(0)
	v_cndmask_b32_e32 v2, v4, v2, vcc
	v_cndmask_b32_e64 v10, v3, 1, vcc
.LBB2092_26:
	s_or_b64 exec, exec, s[2:3]
	v_mov_b32_e32 v7, v10
.LBB2092_27:
	s_or_b64 exec, exec, s[0:1]
	v_cmp_gt_u32_e32 vcc, 60, v6
	s_waitcnt lgkmcnt(1)
	v_cndmask_b32_e64 v3, 0, 4, vcc
	s_waitcnt lgkmcnt(0)
	v_add_lshl_u32 v4, v3, v5, 2
	ds_bpermute_b32 v9, v4, v7
	ds_bpermute_b32 v3, v4, v1
	ds_bpermute_b32 v4, v4, v2
	v_add_u32_e32 v10, 4, v6
	v_cmp_lt_u32_e32 vcc, v10, v8
	s_and_saveexec_b64 s[0:1], vcc
	s_cbranch_execz .LBB2092_33
; %bb.28:
	s_waitcnt lgkmcnt(2)
	v_and_b32_e32 v10, v7, v9
	v_and_b32_e32 v10, 1, v10
	v_cmp_eq_u32_e32 vcc, 1, v10
	s_and_saveexec_b64 s[2:3], vcc
	s_xor_b64 s[2:3], exec, s[2:3]
	s_cbranch_execz .LBB2092_30
; %bb.29:
	s_waitcnt lgkmcnt(0)
	v_cmp_lt_i64_e32 vcc, v[3:4], v[1:2]
                                        ; implicit-def: $vgpr7
                                        ; implicit-def: $vgpr9
	v_cndmask_b32_e32 v2, v2, v4, vcc
	v_cndmask_b32_e32 v1, v1, v3, vcc
                                        ; implicit-def: $vgpr3_vgpr4
.LBB2092_30:
	s_or_saveexec_b64 s[2:3], s[2:3]
	v_mov_b32_e32 v10, 1
	s_xor_b64 exec, exec, s[2:3]
	s_cbranch_execz .LBB2092_32
; %bb.31:
	v_and_b32_e32 v7, 1, v7
	v_cmp_eq_u32_e32 vcc, 1, v7
	s_waitcnt lgkmcnt(1)
	v_cndmask_b32_e32 v1, v3, v1, vcc
	v_and_b32_e32 v3, 0xff, v9
	s_waitcnt lgkmcnt(0)
	v_cndmask_b32_e32 v2, v4, v2, vcc
	v_cndmask_b32_e64 v10, v3, 1, vcc
.LBB2092_32:
	s_or_b64 exec, exec, s[2:3]
	v_mov_b32_e32 v7, v10
.LBB2092_33:
	;; [unrolled: 47-line block ×4, first 2 shown]
	s_or_b64 exec, exec, s[0:1]
	s_waitcnt lgkmcnt(2)
	v_lshlrev_b32_e32 v9, 2, v5
	s_waitcnt lgkmcnt(0)
	v_or_b32_e32 v4, 0x80, v9
	ds_bpermute_b32 v10, v4, v7
	ds_bpermute_b32 v3, v4, v1
	;; [unrolled: 1-line block ×3, first 2 shown]
	v_add_u32_e32 v6, 32, v6
	v_cmp_lt_u32_e32 vcc, v6, v8
	v_mov_b32_e32 v6, v7
	s_and_saveexec_b64 s[0:1], vcc
	s_cbranch_execz .LBB2092_51
; %bb.46:
	s_waitcnt lgkmcnt(2)
	v_and_b32_e32 v6, v7, v10
	v_and_b32_e32 v6, 1, v6
	v_cmp_eq_u32_e32 vcc, 1, v6
	s_and_saveexec_b64 s[2:3], vcc
	s_xor_b64 s[2:3], exec, s[2:3]
	s_cbranch_execz .LBB2092_48
; %bb.47:
	s_waitcnt lgkmcnt(0)
	v_cmp_lt_i64_e32 vcc, v[3:4], v[1:2]
                                        ; implicit-def: $vgpr7
                                        ; implicit-def: $vgpr10
	v_cndmask_b32_e32 v2, v2, v4, vcc
	v_cndmask_b32_e32 v1, v1, v3, vcc
                                        ; implicit-def: $vgpr3_vgpr4
.LBB2092_48:
	s_or_saveexec_b64 s[2:3], s[2:3]
	v_mov_b32_e32 v6, 1
	s_xor_b64 exec, exec, s[2:3]
	s_cbranch_execz .LBB2092_50
; %bb.49:
	v_and_b32_e32 v6, 1, v7
	v_cmp_eq_u32_e32 vcc, 1, v6
	v_cndmask_b32_e64 v6, v10, 1, vcc
	s_waitcnt lgkmcnt(0)
	v_cndmask_b32_e32 v2, v4, v2, vcc
	v_cndmask_b32_e32 v1, v3, v1, vcc
.LBB2092_50:
	s_or_b64 exec, exec, s[2:3]
	v_and_b32_e32 v7, 0xff, v6
.LBB2092_51:
	s_or_b64 exec, exec, s[0:1]
	v_cmp_eq_u32_e32 vcc, 0, v5
	s_and_saveexec_b64 s[0:1], vcc
	s_cbranch_execz .LBB2092_53
; %bb.52:
	s_waitcnt lgkmcnt(1)
	v_lshrrev_b32_e32 v3, 2, v0
	v_and_b32_e32 v3, 16, v3
	ds_write_b8 v3, v6 offset:32
	ds_write_b64 v3, v[1:2] offset:40
.LBB2092_53:
	s_or_b64 exec, exec, s[0:1]
	v_cmp_gt_u32_e32 vcc, 2, v0
	s_waitcnt lgkmcnt(0)
	s_barrier
	s_and_saveexec_b64 s[0:1], vcc
	s_cbranch_execz .LBB2092_61
; %bb.54:
	v_lshlrev_b32_e32 v1, 4, v5
	ds_read_u8 v6, v1 offset:32
	ds_read_b64 v[1:2], v1 offset:40
	v_or_b32_e32 v4, 4, v9
	s_add_i32 s4, s4, 63
	v_and_b32_e32 v5, 1, v5
	s_waitcnt lgkmcnt(1)
	v_and_b32_e32 v7, 0xff, v6
	s_waitcnt lgkmcnt(0)
	ds_bpermute_b32 v3, v4, v1
	ds_bpermute_b32 v8, v4, v7
	;; [unrolled: 1-line block ×3, first 2 shown]
	s_lshr_b32 s2, s4, 6
	v_add_u32_e32 v5, 1, v5
	v_cmp_gt_u32_e32 vcc, s2, v5
	s_and_saveexec_b64 s[2:3], vcc
	s_cbranch_execz .LBB2092_60
; %bb.55:
	s_waitcnt lgkmcnt(1)
	v_and_b32_e32 v5, v7, v8
	v_and_b32_e32 v5, 1, v5
	v_cmp_eq_u32_e32 vcc, 1, v5
	s_and_saveexec_b64 s[4:5], vcc
	s_xor_b64 s[4:5], exec, s[4:5]
	s_cbranch_execz .LBB2092_57
; %bb.56:
	s_waitcnt lgkmcnt(0)
	v_cmp_lt_i64_e32 vcc, v[3:4], v[1:2]
                                        ; implicit-def: $vgpr6
                                        ; implicit-def: $vgpr8
	v_cndmask_b32_e32 v2, v2, v4, vcc
	v_cndmask_b32_e32 v1, v1, v3, vcc
                                        ; implicit-def: $vgpr3_vgpr4
.LBB2092_57:
	s_or_saveexec_b64 s[4:5], s[4:5]
	v_mov_b32_e32 v7, 1
	s_xor_b64 exec, exec, s[4:5]
	s_cbranch_execz .LBB2092_59
; %bb.58:
	v_and_b32_e32 v5, 1, v6
	v_cmp_eq_u32_e32 vcc, 1, v5
	s_waitcnt lgkmcnt(0)
	v_cndmask_b32_e32 v2, v4, v2, vcc
	v_cndmask_b32_e32 v1, v3, v1, vcc
	v_cndmask_b32_e64 v7, v8, 1, vcc
.LBB2092_59:
	s_or_b64 exec, exec, s[4:5]
.LBB2092_60:
	s_or_b64 exec, exec, s[2:3]
.LBB2092_61:
	s_or_b64 exec, exec, s[0:1]
.LBB2092_62:
	v_cmp_eq_u32_e32 vcc, 0, v0
	s_and_saveexec_b64 s[0:1], vcc
	s_cbranch_execnz .LBB2092_64
; %bb.63:
	s_endpgm
.LBB2092_64:
	s_mul_i32 s0, s22, s21
	s_mul_hi_u32 s1, s22, s20
	s_add_i32 s0, s1, s0
	s_mul_i32 s1, s23, s20
	s_add_i32 s1, s0, s1
	s_mul_i32 s0, s22, s20
	s_lshl_b64 s[0:1], s[0:1], 4
	s_add_u32 s2, s18, s0
	s_addc_u32 s3, s19, s1
	s_cmp_eq_u64 s[16:17], 0
	s_waitcnt lgkmcnt(0)
	v_mov_b32_e32 v0, s9
	s_cselect_b64 vcc, -1, 0
	v_cndmask_b32_e32 v2, v2, v0, vcc
	v_mov_b32_e32 v0, s8
	s_lshl_b64 s[0:1], s[6:7], 4
	v_cndmask_b32_e32 v1, v1, v0, vcc
	v_mov_b32_e32 v0, s10
	s_add_u32 s0, s2, s0
	v_cndmask_b32_e32 v0, v7, v0, vcc
	s_addc_u32 s1, s3, s1
	v_mov_b32_e32 v3, 0
	global_store_byte v3, v0, s[0:1]
	global_store_dwordx2 v3, v[1:2], s[0:1] offset:8
	s_endpgm
	.section	.rodata,"a",@progbits
	.p2align	6, 0x0
	.amdhsa_kernel _ZN7rocprim17ROCPRIM_400000_NS6detail17trampoline_kernelINS0_14default_configENS1_22reduce_config_selectorIN6thrust23THRUST_200600_302600_NS5tupleIblNS6_9null_typeES8_S8_S8_S8_S8_S8_S8_EEEEZNS1_11reduce_implILb1ES3_NS6_12zip_iteratorINS7_INS6_11hip_rocprim26transform_input_iterator_tIbPN3c108BFloat16ENS6_6detail10functional5actorINSJ_9compositeIJNSJ_27transparent_binary_operatorINS6_8equal_toIvEEEENSK_INSJ_8argumentILj0EEEEENSJ_5valueISG_EEEEEEEEENSD_19counting_iterator_tIlEES8_S8_S8_S8_S8_S8_S8_S8_EEEEPS9_S9_NSD_9__find_if7functorIS9_EEEE10hipError_tPvRmT1_T2_T3_mT4_P12ihipStream_tbEUlT_E0_NS1_11comp_targetILNS1_3genE2ELNS1_11target_archE906ELNS1_3gpuE6ELNS1_3repE0EEENS1_30default_config_static_selectorELNS0_4arch9wavefront6targetE1EEEvS19_
		.amdhsa_group_segment_fixed_size 64
		.amdhsa_private_segment_fixed_size 0
		.amdhsa_kernarg_size 88
		.amdhsa_user_sgpr_count 6
		.amdhsa_user_sgpr_private_segment_buffer 1
		.amdhsa_user_sgpr_dispatch_ptr 0
		.amdhsa_user_sgpr_queue_ptr 0
		.amdhsa_user_sgpr_kernarg_segment_ptr 1
		.amdhsa_user_sgpr_dispatch_id 0
		.amdhsa_user_sgpr_flat_scratch_init 0
		.amdhsa_user_sgpr_private_segment_size 0
		.amdhsa_uses_dynamic_stack 0
		.amdhsa_system_sgpr_private_segment_wavefront_offset 0
		.amdhsa_system_sgpr_workgroup_id_x 1
		.amdhsa_system_sgpr_workgroup_id_y 0
		.amdhsa_system_sgpr_workgroup_id_z 0
		.amdhsa_system_sgpr_workgroup_info 0
		.amdhsa_system_vgpr_workitem_id 0
		.amdhsa_next_free_vgpr 13
		.amdhsa_next_free_sgpr 29
		.amdhsa_reserve_vcc 1
		.amdhsa_reserve_flat_scratch 0
		.amdhsa_float_round_mode_32 0
		.amdhsa_float_round_mode_16_64 0
		.amdhsa_float_denorm_mode_32 3
		.amdhsa_float_denorm_mode_16_64 3
		.amdhsa_dx10_clamp 1
		.amdhsa_ieee_mode 1
		.amdhsa_fp16_overflow 0
		.amdhsa_exception_fp_ieee_invalid_op 0
		.amdhsa_exception_fp_denorm_src 0
		.amdhsa_exception_fp_ieee_div_zero 0
		.amdhsa_exception_fp_ieee_overflow 0
		.amdhsa_exception_fp_ieee_underflow 0
		.amdhsa_exception_fp_ieee_inexact 0
		.amdhsa_exception_int_div_zero 0
	.end_amdhsa_kernel
	.section	.text._ZN7rocprim17ROCPRIM_400000_NS6detail17trampoline_kernelINS0_14default_configENS1_22reduce_config_selectorIN6thrust23THRUST_200600_302600_NS5tupleIblNS6_9null_typeES8_S8_S8_S8_S8_S8_S8_EEEEZNS1_11reduce_implILb1ES3_NS6_12zip_iteratorINS7_INS6_11hip_rocprim26transform_input_iterator_tIbPN3c108BFloat16ENS6_6detail10functional5actorINSJ_9compositeIJNSJ_27transparent_binary_operatorINS6_8equal_toIvEEEENSK_INSJ_8argumentILj0EEEEENSJ_5valueISG_EEEEEEEEENSD_19counting_iterator_tIlEES8_S8_S8_S8_S8_S8_S8_S8_EEEEPS9_S9_NSD_9__find_if7functorIS9_EEEE10hipError_tPvRmT1_T2_T3_mT4_P12ihipStream_tbEUlT_E0_NS1_11comp_targetILNS1_3genE2ELNS1_11target_archE906ELNS1_3gpuE6ELNS1_3repE0EEENS1_30default_config_static_selectorELNS0_4arch9wavefront6targetE1EEEvS19_,"axG",@progbits,_ZN7rocprim17ROCPRIM_400000_NS6detail17trampoline_kernelINS0_14default_configENS1_22reduce_config_selectorIN6thrust23THRUST_200600_302600_NS5tupleIblNS6_9null_typeES8_S8_S8_S8_S8_S8_S8_EEEEZNS1_11reduce_implILb1ES3_NS6_12zip_iteratorINS7_INS6_11hip_rocprim26transform_input_iterator_tIbPN3c108BFloat16ENS6_6detail10functional5actorINSJ_9compositeIJNSJ_27transparent_binary_operatorINS6_8equal_toIvEEEENSK_INSJ_8argumentILj0EEEEENSJ_5valueISG_EEEEEEEEENSD_19counting_iterator_tIlEES8_S8_S8_S8_S8_S8_S8_S8_EEEEPS9_S9_NSD_9__find_if7functorIS9_EEEE10hipError_tPvRmT1_T2_T3_mT4_P12ihipStream_tbEUlT_E0_NS1_11comp_targetILNS1_3genE2ELNS1_11target_archE906ELNS1_3gpuE6ELNS1_3repE0EEENS1_30default_config_static_selectorELNS0_4arch9wavefront6targetE1EEEvS19_,comdat
.Lfunc_end2092:
	.size	_ZN7rocprim17ROCPRIM_400000_NS6detail17trampoline_kernelINS0_14default_configENS1_22reduce_config_selectorIN6thrust23THRUST_200600_302600_NS5tupleIblNS6_9null_typeES8_S8_S8_S8_S8_S8_S8_EEEEZNS1_11reduce_implILb1ES3_NS6_12zip_iteratorINS7_INS6_11hip_rocprim26transform_input_iterator_tIbPN3c108BFloat16ENS6_6detail10functional5actorINSJ_9compositeIJNSJ_27transparent_binary_operatorINS6_8equal_toIvEEEENSK_INSJ_8argumentILj0EEEEENSJ_5valueISG_EEEEEEEEENSD_19counting_iterator_tIlEES8_S8_S8_S8_S8_S8_S8_S8_EEEEPS9_S9_NSD_9__find_if7functorIS9_EEEE10hipError_tPvRmT1_T2_T3_mT4_P12ihipStream_tbEUlT_E0_NS1_11comp_targetILNS1_3genE2ELNS1_11target_archE906ELNS1_3gpuE6ELNS1_3repE0EEENS1_30default_config_static_selectorELNS0_4arch9wavefront6targetE1EEEvS19_, .Lfunc_end2092-_ZN7rocprim17ROCPRIM_400000_NS6detail17trampoline_kernelINS0_14default_configENS1_22reduce_config_selectorIN6thrust23THRUST_200600_302600_NS5tupleIblNS6_9null_typeES8_S8_S8_S8_S8_S8_S8_EEEEZNS1_11reduce_implILb1ES3_NS6_12zip_iteratorINS7_INS6_11hip_rocprim26transform_input_iterator_tIbPN3c108BFloat16ENS6_6detail10functional5actorINSJ_9compositeIJNSJ_27transparent_binary_operatorINS6_8equal_toIvEEEENSK_INSJ_8argumentILj0EEEEENSJ_5valueISG_EEEEEEEEENSD_19counting_iterator_tIlEES8_S8_S8_S8_S8_S8_S8_S8_EEEEPS9_S9_NSD_9__find_if7functorIS9_EEEE10hipError_tPvRmT1_T2_T3_mT4_P12ihipStream_tbEUlT_E0_NS1_11comp_targetILNS1_3genE2ELNS1_11target_archE906ELNS1_3gpuE6ELNS1_3repE0EEENS1_30default_config_static_selectorELNS0_4arch9wavefront6targetE1EEEvS19_
                                        ; -- End function
	.set _ZN7rocprim17ROCPRIM_400000_NS6detail17trampoline_kernelINS0_14default_configENS1_22reduce_config_selectorIN6thrust23THRUST_200600_302600_NS5tupleIblNS6_9null_typeES8_S8_S8_S8_S8_S8_S8_EEEEZNS1_11reduce_implILb1ES3_NS6_12zip_iteratorINS7_INS6_11hip_rocprim26transform_input_iterator_tIbPN3c108BFloat16ENS6_6detail10functional5actorINSJ_9compositeIJNSJ_27transparent_binary_operatorINS6_8equal_toIvEEEENSK_INSJ_8argumentILj0EEEEENSJ_5valueISG_EEEEEEEEENSD_19counting_iterator_tIlEES8_S8_S8_S8_S8_S8_S8_S8_EEEEPS9_S9_NSD_9__find_if7functorIS9_EEEE10hipError_tPvRmT1_T2_T3_mT4_P12ihipStream_tbEUlT_E0_NS1_11comp_targetILNS1_3genE2ELNS1_11target_archE906ELNS1_3gpuE6ELNS1_3repE0EEENS1_30default_config_static_selectorELNS0_4arch9wavefront6targetE1EEEvS19_.num_vgpr, 13
	.set _ZN7rocprim17ROCPRIM_400000_NS6detail17trampoline_kernelINS0_14default_configENS1_22reduce_config_selectorIN6thrust23THRUST_200600_302600_NS5tupleIblNS6_9null_typeES8_S8_S8_S8_S8_S8_S8_EEEEZNS1_11reduce_implILb1ES3_NS6_12zip_iteratorINS7_INS6_11hip_rocprim26transform_input_iterator_tIbPN3c108BFloat16ENS6_6detail10functional5actorINSJ_9compositeIJNSJ_27transparent_binary_operatorINS6_8equal_toIvEEEENSK_INSJ_8argumentILj0EEEEENSJ_5valueISG_EEEEEEEEENSD_19counting_iterator_tIlEES8_S8_S8_S8_S8_S8_S8_S8_EEEEPS9_S9_NSD_9__find_if7functorIS9_EEEE10hipError_tPvRmT1_T2_T3_mT4_P12ihipStream_tbEUlT_E0_NS1_11comp_targetILNS1_3genE2ELNS1_11target_archE906ELNS1_3gpuE6ELNS1_3repE0EEENS1_30default_config_static_selectorELNS0_4arch9wavefront6targetE1EEEvS19_.num_agpr, 0
	.set _ZN7rocprim17ROCPRIM_400000_NS6detail17trampoline_kernelINS0_14default_configENS1_22reduce_config_selectorIN6thrust23THRUST_200600_302600_NS5tupleIblNS6_9null_typeES8_S8_S8_S8_S8_S8_S8_EEEEZNS1_11reduce_implILb1ES3_NS6_12zip_iteratorINS7_INS6_11hip_rocprim26transform_input_iterator_tIbPN3c108BFloat16ENS6_6detail10functional5actorINSJ_9compositeIJNSJ_27transparent_binary_operatorINS6_8equal_toIvEEEENSK_INSJ_8argumentILj0EEEEENSJ_5valueISG_EEEEEEEEENSD_19counting_iterator_tIlEES8_S8_S8_S8_S8_S8_S8_S8_EEEEPS9_S9_NSD_9__find_if7functorIS9_EEEE10hipError_tPvRmT1_T2_T3_mT4_P12ihipStream_tbEUlT_E0_NS1_11comp_targetILNS1_3genE2ELNS1_11target_archE906ELNS1_3gpuE6ELNS1_3repE0EEENS1_30default_config_static_selectorELNS0_4arch9wavefront6targetE1EEEvS19_.numbered_sgpr, 29
	.set _ZN7rocprim17ROCPRIM_400000_NS6detail17trampoline_kernelINS0_14default_configENS1_22reduce_config_selectorIN6thrust23THRUST_200600_302600_NS5tupleIblNS6_9null_typeES8_S8_S8_S8_S8_S8_S8_EEEEZNS1_11reduce_implILb1ES3_NS6_12zip_iteratorINS7_INS6_11hip_rocprim26transform_input_iterator_tIbPN3c108BFloat16ENS6_6detail10functional5actorINSJ_9compositeIJNSJ_27transparent_binary_operatorINS6_8equal_toIvEEEENSK_INSJ_8argumentILj0EEEEENSJ_5valueISG_EEEEEEEEENSD_19counting_iterator_tIlEES8_S8_S8_S8_S8_S8_S8_S8_EEEEPS9_S9_NSD_9__find_if7functorIS9_EEEE10hipError_tPvRmT1_T2_T3_mT4_P12ihipStream_tbEUlT_E0_NS1_11comp_targetILNS1_3genE2ELNS1_11target_archE906ELNS1_3gpuE6ELNS1_3repE0EEENS1_30default_config_static_selectorELNS0_4arch9wavefront6targetE1EEEvS19_.num_named_barrier, 0
	.set _ZN7rocprim17ROCPRIM_400000_NS6detail17trampoline_kernelINS0_14default_configENS1_22reduce_config_selectorIN6thrust23THRUST_200600_302600_NS5tupleIblNS6_9null_typeES8_S8_S8_S8_S8_S8_S8_EEEEZNS1_11reduce_implILb1ES3_NS6_12zip_iteratorINS7_INS6_11hip_rocprim26transform_input_iterator_tIbPN3c108BFloat16ENS6_6detail10functional5actorINSJ_9compositeIJNSJ_27transparent_binary_operatorINS6_8equal_toIvEEEENSK_INSJ_8argumentILj0EEEEENSJ_5valueISG_EEEEEEEEENSD_19counting_iterator_tIlEES8_S8_S8_S8_S8_S8_S8_S8_EEEEPS9_S9_NSD_9__find_if7functorIS9_EEEE10hipError_tPvRmT1_T2_T3_mT4_P12ihipStream_tbEUlT_E0_NS1_11comp_targetILNS1_3genE2ELNS1_11target_archE906ELNS1_3gpuE6ELNS1_3repE0EEENS1_30default_config_static_selectorELNS0_4arch9wavefront6targetE1EEEvS19_.private_seg_size, 0
	.set _ZN7rocprim17ROCPRIM_400000_NS6detail17trampoline_kernelINS0_14default_configENS1_22reduce_config_selectorIN6thrust23THRUST_200600_302600_NS5tupleIblNS6_9null_typeES8_S8_S8_S8_S8_S8_S8_EEEEZNS1_11reduce_implILb1ES3_NS6_12zip_iteratorINS7_INS6_11hip_rocprim26transform_input_iterator_tIbPN3c108BFloat16ENS6_6detail10functional5actorINSJ_9compositeIJNSJ_27transparent_binary_operatorINS6_8equal_toIvEEEENSK_INSJ_8argumentILj0EEEEENSJ_5valueISG_EEEEEEEEENSD_19counting_iterator_tIlEES8_S8_S8_S8_S8_S8_S8_S8_EEEEPS9_S9_NSD_9__find_if7functorIS9_EEEE10hipError_tPvRmT1_T2_T3_mT4_P12ihipStream_tbEUlT_E0_NS1_11comp_targetILNS1_3genE2ELNS1_11target_archE906ELNS1_3gpuE6ELNS1_3repE0EEENS1_30default_config_static_selectorELNS0_4arch9wavefront6targetE1EEEvS19_.uses_vcc, 1
	.set _ZN7rocprim17ROCPRIM_400000_NS6detail17trampoline_kernelINS0_14default_configENS1_22reduce_config_selectorIN6thrust23THRUST_200600_302600_NS5tupleIblNS6_9null_typeES8_S8_S8_S8_S8_S8_S8_EEEEZNS1_11reduce_implILb1ES3_NS6_12zip_iteratorINS7_INS6_11hip_rocprim26transform_input_iterator_tIbPN3c108BFloat16ENS6_6detail10functional5actorINSJ_9compositeIJNSJ_27transparent_binary_operatorINS6_8equal_toIvEEEENSK_INSJ_8argumentILj0EEEEENSJ_5valueISG_EEEEEEEEENSD_19counting_iterator_tIlEES8_S8_S8_S8_S8_S8_S8_S8_EEEEPS9_S9_NSD_9__find_if7functorIS9_EEEE10hipError_tPvRmT1_T2_T3_mT4_P12ihipStream_tbEUlT_E0_NS1_11comp_targetILNS1_3genE2ELNS1_11target_archE906ELNS1_3gpuE6ELNS1_3repE0EEENS1_30default_config_static_selectorELNS0_4arch9wavefront6targetE1EEEvS19_.uses_flat_scratch, 0
	.set _ZN7rocprim17ROCPRIM_400000_NS6detail17trampoline_kernelINS0_14default_configENS1_22reduce_config_selectorIN6thrust23THRUST_200600_302600_NS5tupleIblNS6_9null_typeES8_S8_S8_S8_S8_S8_S8_EEEEZNS1_11reduce_implILb1ES3_NS6_12zip_iteratorINS7_INS6_11hip_rocprim26transform_input_iterator_tIbPN3c108BFloat16ENS6_6detail10functional5actorINSJ_9compositeIJNSJ_27transparent_binary_operatorINS6_8equal_toIvEEEENSK_INSJ_8argumentILj0EEEEENSJ_5valueISG_EEEEEEEEENSD_19counting_iterator_tIlEES8_S8_S8_S8_S8_S8_S8_S8_EEEEPS9_S9_NSD_9__find_if7functorIS9_EEEE10hipError_tPvRmT1_T2_T3_mT4_P12ihipStream_tbEUlT_E0_NS1_11comp_targetILNS1_3genE2ELNS1_11target_archE906ELNS1_3gpuE6ELNS1_3repE0EEENS1_30default_config_static_selectorELNS0_4arch9wavefront6targetE1EEEvS19_.has_dyn_sized_stack, 0
	.set _ZN7rocprim17ROCPRIM_400000_NS6detail17trampoline_kernelINS0_14default_configENS1_22reduce_config_selectorIN6thrust23THRUST_200600_302600_NS5tupleIblNS6_9null_typeES8_S8_S8_S8_S8_S8_S8_EEEEZNS1_11reduce_implILb1ES3_NS6_12zip_iteratorINS7_INS6_11hip_rocprim26transform_input_iterator_tIbPN3c108BFloat16ENS6_6detail10functional5actorINSJ_9compositeIJNSJ_27transparent_binary_operatorINS6_8equal_toIvEEEENSK_INSJ_8argumentILj0EEEEENSJ_5valueISG_EEEEEEEEENSD_19counting_iterator_tIlEES8_S8_S8_S8_S8_S8_S8_S8_EEEEPS9_S9_NSD_9__find_if7functorIS9_EEEE10hipError_tPvRmT1_T2_T3_mT4_P12ihipStream_tbEUlT_E0_NS1_11comp_targetILNS1_3genE2ELNS1_11target_archE906ELNS1_3gpuE6ELNS1_3repE0EEENS1_30default_config_static_selectorELNS0_4arch9wavefront6targetE1EEEvS19_.has_recursion, 0
	.set _ZN7rocprim17ROCPRIM_400000_NS6detail17trampoline_kernelINS0_14default_configENS1_22reduce_config_selectorIN6thrust23THRUST_200600_302600_NS5tupleIblNS6_9null_typeES8_S8_S8_S8_S8_S8_S8_EEEEZNS1_11reduce_implILb1ES3_NS6_12zip_iteratorINS7_INS6_11hip_rocprim26transform_input_iterator_tIbPN3c108BFloat16ENS6_6detail10functional5actorINSJ_9compositeIJNSJ_27transparent_binary_operatorINS6_8equal_toIvEEEENSK_INSJ_8argumentILj0EEEEENSJ_5valueISG_EEEEEEEEENSD_19counting_iterator_tIlEES8_S8_S8_S8_S8_S8_S8_S8_EEEEPS9_S9_NSD_9__find_if7functorIS9_EEEE10hipError_tPvRmT1_T2_T3_mT4_P12ihipStream_tbEUlT_E0_NS1_11comp_targetILNS1_3genE2ELNS1_11target_archE906ELNS1_3gpuE6ELNS1_3repE0EEENS1_30default_config_static_selectorELNS0_4arch9wavefront6targetE1EEEvS19_.has_indirect_call, 0
	.section	.AMDGPU.csdata,"",@progbits
; Kernel info:
; codeLenInByte = 2780
; TotalNumSgprs: 33
; NumVgprs: 13
; ScratchSize: 0
; MemoryBound: 0
; FloatMode: 240
; IeeeMode: 1
; LDSByteSize: 64 bytes/workgroup (compile time only)
; SGPRBlocks: 4
; VGPRBlocks: 3
; NumSGPRsForWavesPerEU: 33
; NumVGPRsForWavesPerEU: 13
; Occupancy: 10
; WaveLimiterHint : 1
; COMPUTE_PGM_RSRC2:SCRATCH_EN: 0
; COMPUTE_PGM_RSRC2:USER_SGPR: 6
; COMPUTE_PGM_RSRC2:TRAP_HANDLER: 0
; COMPUTE_PGM_RSRC2:TGID_X_EN: 1
; COMPUTE_PGM_RSRC2:TGID_Y_EN: 0
; COMPUTE_PGM_RSRC2:TGID_Z_EN: 0
; COMPUTE_PGM_RSRC2:TIDIG_COMP_CNT: 0
	.section	.text._ZN7rocprim17ROCPRIM_400000_NS6detail17trampoline_kernelINS0_14default_configENS1_22reduce_config_selectorIN6thrust23THRUST_200600_302600_NS5tupleIblNS6_9null_typeES8_S8_S8_S8_S8_S8_S8_EEEEZNS1_11reduce_implILb1ES3_NS6_12zip_iteratorINS7_INS6_11hip_rocprim26transform_input_iterator_tIbPN3c108BFloat16ENS6_6detail10functional5actorINSJ_9compositeIJNSJ_27transparent_binary_operatorINS6_8equal_toIvEEEENSK_INSJ_8argumentILj0EEEEENSJ_5valueISG_EEEEEEEEENSD_19counting_iterator_tIlEES8_S8_S8_S8_S8_S8_S8_S8_EEEEPS9_S9_NSD_9__find_if7functorIS9_EEEE10hipError_tPvRmT1_T2_T3_mT4_P12ihipStream_tbEUlT_E0_NS1_11comp_targetILNS1_3genE10ELNS1_11target_archE1201ELNS1_3gpuE5ELNS1_3repE0EEENS1_30default_config_static_selectorELNS0_4arch9wavefront6targetE1EEEvS19_,"axG",@progbits,_ZN7rocprim17ROCPRIM_400000_NS6detail17trampoline_kernelINS0_14default_configENS1_22reduce_config_selectorIN6thrust23THRUST_200600_302600_NS5tupleIblNS6_9null_typeES8_S8_S8_S8_S8_S8_S8_EEEEZNS1_11reduce_implILb1ES3_NS6_12zip_iteratorINS7_INS6_11hip_rocprim26transform_input_iterator_tIbPN3c108BFloat16ENS6_6detail10functional5actorINSJ_9compositeIJNSJ_27transparent_binary_operatorINS6_8equal_toIvEEEENSK_INSJ_8argumentILj0EEEEENSJ_5valueISG_EEEEEEEEENSD_19counting_iterator_tIlEES8_S8_S8_S8_S8_S8_S8_S8_EEEEPS9_S9_NSD_9__find_if7functorIS9_EEEE10hipError_tPvRmT1_T2_T3_mT4_P12ihipStream_tbEUlT_E0_NS1_11comp_targetILNS1_3genE10ELNS1_11target_archE1201ELNS1_3gpuE5ELNS1_3repE0EEENS1_30default_config_static_selectorELNS0_4arch9wavefront6targetE1EEEvS19_,comdat
	.protected	_ZN7rocprim17ROCPRIM_400000_NS6detail17trampoline_kernelINS0_14default_configENS1_22reduce_config_selectorIN6thrust23THRUST_200600_302600_NS5tupleIblNS6_9null_typeES8_S8_S8_S8_S8_S8_S8_EEEEZNS1_11reduce_implILb1ES3_NS6_12zip_iteratorINS7_INS6_11hip_rocprim26transform_input_iterator_tIbPN3c108BFloat16ENS6_6detail10functional5actorINSJ_9compositeIJNSJ_27transparent_binary_operatorINS6_8equal_toIvEEEENSK_INSJ_8argumentILj0EEEEENSJ_5valueISG_EEEEEEEEENSD_19counting_iterator_tIlEES8_S8_S8_S8_S8_S8_S8_S8_EEEEPS9_S9_NSD_9__find_if7functorIS9_EEEE10hipError_tPvRmT1_T2_T3_mT4_P12ihipStream_tbEUlT_E0_NS1_11comp_targetILNS1_3genE10ELNS1_11target_archE1201ELNS1_3gpuE5ELNS1_3repE0EEENS1_30default_config_static_selectorELNS0_4arch9wavefront6targetE1EEEvS19_ ; -- Begin function _ZN7rocprim17ROCPRIM_400000_NS6detail17trampoline_kernelINS0_14default_configENS1_22reduce_config_selectorIN6thrust23THRUST_200600_302600_NS5tupleIblNS6_9null_typeES8_S8_S8_S8_S8_S8_S8_EEEEZNS1_11reduce_implILb1ES3_NS6_12zip_iteratorINS7_INS6_11hip_rocprim26transform_input_iterator_tIbPN3c108BFloat16ENS6_6detail10functional5actorINSJ_9compositeIJNSJ_27transparent_binary_operatorINS6_8equal_toIvEEEENSK_INSJ_8argumentILj0EEEEENSJ_5valueISG_EEEEEEEEENSD_19counting_iterator_tIlEES8_S8_S8_S8_S8_S8_S8_S8_EEEEPS9_S9_NSD_9__find_if7functorIS9_EEEE10hipError_tPvRmT1_T2_T3_mT4_P12ihipStream_tbEUlT_E0_NS1_11comp_targetILNS1_3genE10ELNS1_11target_archE1201ELNS1_3gpuE5ELNS1_3repE0EEENS1_30default_config_static_selectorELNS0_4arch9wavefront6targetE1EEEvS19_
	.globl	_ZN7rocprim17ROCPRIM_400000_NS6detail17trampoline_kernelINS0_14default_configENS1_22reduce_config_selectorIN6thrust23THRUST_200600_302600_NS5tupleIblNS6_9null_typeES8_S8_S8_S8_S8_S8_S8_EEEEZNS1_11reduce_implILb1ES3_NS6_12zip_iteratorINS7_INS6_11hip_rocprim26transform_input_iterator_tIbPN3c108BFloat16ENS6_6detail10functional5actorINSJ_9compositeIJNSJ_27transparent_binary_operatorINS6_8equal_toIvEEEENSK_INSJ_8argumentILj0EEEEENSJ_5valueISG_EEEEEEEEENSD_19counting_iterator_tIlEES8_S8_S8_S8_S8_S8_S8_S8_EEEEPS9_S9_NSD_9__find_if7functorIS9_EEEE10hipError_tPvRmT1_T2_T3_mT4_P12ihipStream_tbEUlT_E0_NS1_11comp_targetILNS1_3genE10ELNS1_11target_archE1201ELNS1_3gpuE5ELNS1_3repE0EEENS1_30default_config_static_selectorELNS0_4arch9wavefront6targetE1EEEvS19_
	.p2align	8
	.type	_ZN7rocprim17ROCPRIM_400000_NS6detail17trampoline_kernelINS0_14default_configENS1_22reduce_config_selectorIN6thrust23THRUST_200600_302600_NS5tupleIblNS6_9null_typeES8_S8_S8_S8_S8_S8_S8_EEEEZNS1_11reduce_implILb1ES3_NS6_12zip_iteratorINS7_INS6_11hip_rocprim26transform_input_iterator_tIbPN3c108BFloat16ENS6_6detail10functional5actorINSJ_9compositeIJNSJ_27transparent_binary_operatorINS6_8equal_toIvEEEENSK_INSJ_8argumentILj0EEEEENSJ_5valueISG_EEEEEEEEENSD_19counting_iterator_tIlEES8_S8_S8_S8_S8_S8_S8_S8_EEEEPS9_S9_NSD_9__find_if7functorIS9_EEEE10hipError_tPvRmT1_T2_T3_mT4_P12ihipStream_tbEUlT_E0_NS1_11comp_targetILNS1_3genE10ELNS1_11target_archE1201ELNS1_3gpuE5ELNS1_3repE0EEENS1_30default_config_static_selectorELNS0_4arch9wavefront6targetE1EEEvS19_,@function
_ZN7rocprim17ROCPRIM_400000_NS6detail17trampoline_kernelINS0_14default_configENS1_22reduce_config_selectorIN6thrust23THRUST_200600_302600_NS5tupleIblNS6_9null_typeES8_S8_S8_S8_S8_S8_S8_EEEEZNS1_11reduce_implILb1ES3_NS6_12zip_iteratorINS7_INS6_11hip_rocprim26transform_input_iterator_tIbPN3c108BFloat16ENS6_6detail10functional5actorINSJ_9compositeIJNSJ_27transparent_binary_operatorINS6_8equal_toIvEEEENSK_INSJ_8argumentILj0EEEEENSJ_5valueISG_EEEEEEEEENSD_19counting_iterator_tIlEES8_S8_S8_S8_S8_S8_S8_S8_EEEEPS9_S9_NSD_9__find_if7functorIS9_EEEE10hipError_tPvRmT1_T2_T3_mT4_P12ihipStream_tbEUlT_E0_NS1_11comp_targetILNS1_3genE10ELNS1_11target_archE1201ELNS1_3gpuE5ELNS1_3repE0EEENS1_30default_config_static_selectorELNS0_4arch9wavefront6targetE1EEEvS19_: ; @_ZN7rocprim17ROCPRIM_400000_NS6detail17trampoline_kernelINS0_14default_configENS1_22reduce_config_selectorIN6thrust23THRUST_200600_302600_NS5tupleIblNS6_9null_typeES8_S8_S8_S8_S8_S8_S8_EEEEZNS1_11reduce_implILb1ES3_NS6_12zip_iteratorINS7_INS6_11hip_rocprim26transform_input_iterator_tIbPN3c108BFloat16ENS6_6detail10functional5actorINSJ_9compositeIJNSJ_27transparent_binary_operatorINS6_8equal_toIvEEEENSK_INSJ_8argumentILj0EEEEENSJ_5valueISG_EEEEEEEEENSD_19counting_iterator_tIlEES8_S8_S8_S8_S8_S8_S8_S8_EEEEPS9_S9_NSD_9__find_if7functorIS9_EEEE10hipError_tPvRmT1_T2_T3_mT4_P12ihipStream_tbEUlT_E0_NS1_11comp_targetILNS1_3genE10ELNS1_11target_archE1201ELNS1_3gpuE5ELNS1_3repE0EEENS1_30default_config_static_selectorELNS0_4arch9wavefront6targetE1EEEvS19_
; %bb.0:
	.section	.rodata,"a",@progbits
	.p2align	6, 0x0
	.amdhsa_kernel _ZN7rocprim17ROCPRIM_400000_NS6detail17trampoline_kernelINS0_14default_configENS1_22reduce_config_selectorIN6thrust23THRUST_200600_302600_NS5tupleIblNS6_9null_typeES8_S8_S8_S8_S8_S8_S8_EEEEZNS1_11reduce_implILb1ES3_NS6_12zip_iteratorINS7_INS6_11hip_rocprim26transform_input_iterator_tIbPN3c108BFloat16ENS6_6detail10functional5actorINSJ_9compositeIJNSJ_27transparent_binary_operatorINS6_8equal_toIvEEEENSK_INSJ_8argumentILj0EEEEENSJ_5valueISG_EEEEEEEEENSD_19counting_iterator_tIlEES8_S8_S8_S8_S8_S8_S8_S8_EEEEPS9_S9_NSD_9__find_if7functorIS9_EEEE10hipError_tPvRmT1_T2_T3_mT4_P12ihipStream_tbEUlT_E0_NS1_11comp_targetILNS1_3genE10ELNS1_11target_archE1201ELNS1_3gpuE5ELNS1_3repE0EEENS1_30default_config_static_selectorELNS0_4arch9wavefront6targetE1EEEvS19_
		.amdhsa_group_segment_fixed_size 0
		.amdhsa_private_segment_fixed_size 0
		.amdhsa_kernarg_size 88
		.amdhsa_user_sgpr_count 6
		.amdhsa_user_sgpr_private_segment_buffer 1
		.amdhsa_user_sgpr_dispatch_ptr 0
		.amdhsa_user_sgpr_queue_ptr 0
		.amdhsa_user_sgpr_kernarg_segment_ptr 1
		.amdhsa_user_sgpr_dispatch_id 0
		.amdhsa_user_sgpr_flat_scratch_init 0
		.amdhsa_user_sgpr_private_segment_size 0
		.amdhsa_uses_dynamic_stack 0
		.amdhsa_system_sgpr_private_segment_wavefront_offset 0
		.amdhsa_system_sgpr_workgroup_id_x 1
		.amdhsa_system_sgpr_workgroup_id_y 0
		.amdhsa_system_sgpr_workgroup_id_z 0
		.amdhsa_system_sgpr_workgroup_info 0
		.amdhsa_system_vgpr_workitem_id 0
		.amdhsa_next_free_vgpr 1
		.amdhsa_next_free_sgpr 0
		.amdhsa_reserve_vcc 0
		.amdhsa_reserve_flat_scratch 0
		.amdhsa_float_round_mode_32 0
		.amdhsa_float_round_mode_16_64 0
		.amdhsa_float_denorm_mode_32 3
		.amdhsa_float_denorm_mode_16_64 3
		.amdhsa_dx10_clamp 1
		.amdhsa_ieee_mode 1
		.amdhsa_fp16_overflow 0
		.amdhsa_exception_fp_ieee_invalid_op 0
		.amdhsa_exception_fp_denorm_src 0
		.amdhsa_exception_fp_ieee_div_zero 0
		.amdhsa_exception_fp_ieee_overflow 0
		.amdhsa_exception_fp_ieee_underflow 0
		.amdhsa_exception_fp_ieee_inexact 0
		.amdhsa_exception_int_div_zero 0
	.end_amdhsa_kernel
	.section	.text._ZN7rocprim17ROCPRIM_400000_NS6detail17trampoline_kernelINS0_14default_configENS1_22reduce_config_selectorIN6thrust23THRUST_200600_302600_NS5tupleIblNS6_9null_typeES8_S8_S8_S8_S8_S8_S8_EEEEZNS1_11reduce_implILb1ES3_NS6_12zip_iteratorINS7_INS6_11hip_rocprim26transform_input_iterator_tIbPN3c108BFloat16ENS6_6detail10functional5actorINSJ_9compositeIJNSJ_27transparent_binary_operatorINS6_8equal_toIvEEEENSK_INSJ_8argumentILj0EEEEENSJ_5valueISG_EEEEEEEEENSD_19counting_iterator_tIlEES8_S8_S8_S8_S8_S8_S8_S8_EEEEPS9_S9_NSD_9__find_if7functorIS9_EEEE10hipError_tPvRmT1_T2_T3_mT4_P12ihipStream_tbEUlT_E0_NS1_11comp_targetILNS1_3genE10ELNS1_11target_archE1201ELNS1_3gpuE5ELNS1_3repE0EEENS1_30default_config_static_selectorELNS0_4arch9wavefront6targetE1EEEvS19_,"axG",@progbits,_ZN7rocprim17ROCPRIM_400000_NS6detail17trampoline_kernelINS0_14default_configENS1_22reduce_config_selectorIN6thrust23THRUST_200600_302600_NS5tupleIblNS6_9null_typeES8_S8_S8_S8_S8_S8_S8_EEEEZNS1_11reduce_implILb1ES3_NS6_12zip_iteratorINS7_INS6_11hip_rocprim26transform_input_iterator_tIbPN3c108BFloat16ENS6_6detail10functional5actorINSJ_9compositeIJNSJ_27transparent_binary_operatorINS6_8equal_toIvEEEENSK_INSJ_8argumentILj0EEEEENSJ_5valueISG_EEEEEEEEENSD_19counting_iterator_tIlEES8_S8_S8_S8_S8_S8_S8_S8_EEEEPS9_S9_NSD_9__find_if7functorIS9_EEEE10hipError_tPvRmT1_T2_T3_mT4_P12ihipStream_tbEUlT_E0_NS1_11comp_targetILNS1_3genE10ELNS1_11target_archE1201ELNS1_3gpuE5ELNS1_3repE0EEENS1_30default_config_static_selectorELNS0_4arch9wavefront6targetE1EEEvS19_,comdat
.Lfunc_end2093:
	.size	_ZN7rocprim17ROCPRIM_400000_NS6detail17trampoline_kernelINS0_14default_configENS1_22reduce_config_selectorIN6thrust23THRUST_200600_302600_NS5tupleIblNS6_9null_typeES8_S8_S8_S8_S8_S8_S8_EEEEZNS1_11reduce_implILb1ES3_NS6_12zip_iteratorINS7_INS6_11hip_rocprim26transform_input_iterator_tIbPN3c108BFloat16ENS6_6detail10functional5actorINSJ_9compositeIJNSJ_27transparent_binary_operatorINS6_8equal_toIvEEEENSK_INSJ_8argumentILj0EEEEENSJ_5valueISG_EEEEEEEEENSD_19counting_iterator_tIlEES8_S8_S8_S8_S8_S8_S8_S8_EEEEPS9_S9_NSD_9__find_if7functorIS9_EEEE10hipError_tPvRmT1_T2_T3_mT4_P12ihipStream_tbEUlT_E0_NS1_11comp_targetILNS1_3genE10ELNS1_11target_archE1201ELNS1_3gpuE5ELNS1_3repE0EEENS1_30default_config_static_selectorELNS0_4arch9wavefront6targetE1EEEvS19_, .Lfunc_end2093-_ZN7rocprim17ROCPRIM_400000_NS6detail17trampoline_kernelINS0_14default_configENS1_22reduce_config_selectorIN6thrust23THRUST_200600_302600_NS5tupleIblNS6_9null_typeES8_S8_S8_S8_S8_S8_S8_EEEEZNS1_11reduce_implILb1ES3_NS6_12zip_iteratorINS7_INS6_11hip_rocprim26transform_input_iterator_tIbPN3c108BFloat16ENS6_6detail10functional5actorINSJ_9compositeIJNSJ_27transparent_binary_operatorINS6_8equal_toIvEEEENSK_INSJ_8argumentILj0EEEEENSJ_5valueISG_EEEEEEEEENSD_19counting_iterator_tIlEES8_S8_S8_S8_S8_S8_S8_S8_EEEEPS9_S9_NSD_9__find_if7functorIS9_EEEE10hipError_tPvRmT1_T2_T3_mT4_P12ihipStream_tbEUlT_E0_NS1_11comp_targetILNS1_3genE10ELNS1_11target_archE1201ELNS1_3gpuE5ELNS1_3repE0EEENS1_30default_config_static_selectorELNS0_4arch9wavefront6targetE1EEEvS19_
                                        ; -- End function
	.set _ZN7rocprim17ROCPRIM_400000_NS6detail17trampoline_kernelINS0_14default_configENS1_22reduce_config_selectorIN6thrust23THRUST_200600_302600_NS5tupleIblNS6_9null_typeES8_S8_S8_S8_S8_S8_S8_EEEEZNS1_11reduce_implILb1ES3_NS6_12zip_iteratorINS7_INS6_11hip_rocprim26transform_input_iterator_tIbPN3c108BFloat16ENS6_6detail10functional5actorINSJ_9compositeIJNSJ_27transparent_binary_operatorINS6_8equal_toIvEEEENSK_INSJ_8argumentILj0EEEEENSJ_5valueISG_EEEEEEEEENSD_19counting_iterator_tIlEES8_S8_S8_S8_S8_S8_S8_S8_EEEEPS9_S9_NSD_9__find_if7functorIS9_EEEE10hipError_tPvRmT1_T2_T3_mT4_P12ihipStream_tbEUlT_E0_NS1_11comp_targetILNS1_3genE10ELNS1_11target_archE1201ELNS1_3gpuE5ELNS1_3repE0EEENS1_30default_config_static_selectorELNS0_4arch9wavefront6targetE1EEEvS19_.num_vgpr, 0
	.set _ZN7rocprim17ROCPRIM_400000_NS6detail17trampoline_kernelINS0_14default_configENS1_22reduce_config_selectorIN6thrust23THRUST_200600_302600_NS5tupleIblNS6_9null_typeES8_S8_S8_S8_S8_S8_S8_EEEEZNS1_11reduce_implILb1ES3_NS6_12zip_iteratorINS7_INS6_11hip_rocprim26transform_input_iterator_tIbPN3c108BFloat16ENS6_6detail10functional5actorINSJ_9compositeIJNSJ_27transparent_binary_operatorINS6_8equal_toIvEEEENSK_INSJ_8argumentILj0EEEEENSJ_5valueISG_EEEEEEEEENSD_19counting_iterator_tIlEES8_S8_S8_S8_S8_S8_S8_S8_EEEEPS9_S9_NSD_9__find_if7functorIS9_EEEE10hipError_tPvRmT1_T2_T3_mT4_P12ihipStream_tbEUlT_E0_NS1_11comp_targetILNS1_3genE10ELNS1_11target_archE1201ELNS1_3gpuE5ELNS1_3repE0EEENS1_30default_config_static_selectorELNS0_4arch9wavefront6targetE1EEEvS19_.num_agpr, 0
	.set _ZN7rocprim17ROCPRIM_400000_NS6detail17trampoline_kernelINS0_14default_configENS1_22reduce_config_selectorIN6thrust23THRUST_200600_302600_NS5tupleIblNS6_9null_typeES8_S8_S8_S8_S8_S8_S8_EEEEZNS1_11reduce_implILb1ES3_NS6_12zip_iteratorINS7_INS6_11hip_rocprim26transform_input_iterator_tIbPN3c108BFloat16ENS6_6detail10functional5actorINSJ_9compositeIJNSJ_27transparent_binary_operatorINS6_8equal_toIvEEEENSK_INSJ_8argumentILj0EEEEENSJ_5valueISG_EEEEEEEEENSD_19counting_iterator_tIlEES8_S8_S8_S8_S8_S8_S8_S8_EEEEPS9_S9_NSD_9__find_if7functorIS9_EEEE10hipError_tPvRmT1_T2_T3_mT4_P12ihipStream_tbEUlT_E0_NS1_11comp_targetILNS1_3genE10ELNS1_11target_archE1201ELNS1_3gpuE5ELNS1_3repE0EEENS1_30default_config_static_selectorELNS0_4arch9wavefront6targetE1EEEvS19_.numbered_sgpr, 0
	.set _ZN7rocprim17ROCPRIM_400000_NS6detail17trampoline_kernelINS0_14default_configENS1_22reduce_config_selectorIN6thrust23THRUST_200600_302600_NS5tupleIblNS6_9null_typeES8_S8_S8_S8_S8_S8_S8_EEEEZNS1_11reduce_implILb1ES3_NS6_12zip_iteratorINS7_INS6_11hip_rocprim26transform_input_iterator_tIbPN3c108BFloat16ENS6_6detail10functional5actorINSJ_9compositeIJNSJ_27transparent_binary_operatorINS6_8equal_toIvEEEENSK_INSJ_8argumentILj0EEEEENSJ_5valueISG_EEEEEEEEENSD_19counting_iterator_tIlEES8_S8_S8_S8_S8_S8_S8_S8_EEEEPS9_S9_NSD_9__find_if7functorIS9_EEEE10hipError_tPvRmT1_T2_T3_mT4_P12ihipStream_tbEUlT_E0_NS1_11comp_targetILNS1_3genE10ELNS1_11target_archE1201ELNS1_3gpuE5ELNS1_3repE0EEENS1_30default_config_static_selectorELNS0_4arch9wavefront6targetE1EEEvS19_.num_named_barrier, 0
	.set _ZN7rocprim17ROCPRIM_400000_NS6detail17trampoline_kernelINS0_14default_configENS1_22reduce_config_selectorIN6thrust23THRUST_200600_302600_NS5tupleIblNS6_9null_typeES8_S8_S8_S8_S8_S8_S8_EEEEZNS1_11reduce_implILb1ES3_NS6_12zip_iteratorINS7_INS6_11hip_rocprim26transform_input_iterator_tIbPN3c108BFloat16ENS6_6detail10functional5actorINSJ_9compositeIJNSJ_27transparent_binary_operatorINS6_8equal_toIvEEEENSK_INSJ_8argumentILj0EEEEENSJ_5valueISG_EEEEEEEEENSD_19counting_iterator_tIlEES8_S8_S8_S8_S8_S8_S8_S8_EEEEPS9_S9_NSD_9__find_if7functorIS9_EEEE10hipError_tPvRmT1_T2_T3_mT4_P12ihipStream_tbEUlT_E0_NS1_11comp_targetILNS1_3genE10ELNS1_11target_archE1201ELNS1_3gpuE5ELNS1_3repE0EEENS1_30default_config_static_selectorELNS0_4arch9wavefront6targetE1EEEvS19_.private_seg_size, 0
	.set _ZN7rocprim17ROCPRIM_400000_NS6detail17trampoline_kernelINS0_14default_configENS1_22reduce_config_selectorIN6thrust23THRUST_200600_302600_NS5tupleIblNS6_9null_typeES8_S8_S8_S8_S8_S8_S8_EEEEZNS1_11reduce_implILb1ES3_NS6_12zip_iteratorINS7_INS6_11hip_rocprim26transform_input_iterator_tIbPN3c108BFloat16ENS6_6detail10functional5actorINSJ_9compositeIJNSJ_27transparent_binary_operatorINS6_8equal_toIvEEEENSK_INSJ_8argumentILj0EEEEENSJ_5valueISG_EEEEEEEEENSD_19counting_iterator_tIlEES8_S8_S8_S8_S8_S8_S8_S8_EEEEPS9_S9_NSD_9__find_if7functorIS9_EEEE10hipError_tPvRmT1_T2_T3_mT4_P12ihipStream_tbEUlT_E0_NS1_11comp_targetILNS1_3genE10ELNS1_11target_archE1201ELNS1_3gpuE5ELNS1_3repE0EEENS1_30default_config_static_selectorELNS0_4arch9wavefront6targetE1EEEvS19_.uses_vcc, 0
	.set _ZN7rocprim17ROCPRIM_400000_NS6detail17trampoline_kernelINS0_14default_configENS1_22reduce_config_selectorIN6thrust23THRUST_200600_302600_NS5tupleIblNS6_9null_typeES8_S8_S8_S8_S8_S8_S8_EEEEZNS1_11reduce_implILb1ES3_NS6_12zip_iteratorINS7_INS6_11hip_rocprim26transform_input_iterator_tIbPN3c108BFloat16ENS6_6detail10functional5actorINSJ_9compositeIJNSJ_27transparent_binary_operatorINS6_8equal_toIvEEEENSK_INSJ_8argumentILj0EEEEENSJ_5valueISG_EEEEEEEEENSD_19counting_iterator_tIlEES8_S8_S8_S8_S8_S8_S8_S8_EEEEPS9_S9_NSD_9__find_if7functorIS9_EEEE10hipError_tPvRmT1_T2_T3_mT4_P12ihipStream_tbEUlT_E0_NS1_11comp_targetILNS1_3genE10ELNS1_11target_archE1201ELNS1_3gpuE5ELNS1_3repE0EEENS1_30default_config_static_selectorELNS0_4arch9wavefront6targetE1EEEvS19_.uses_flat_scratch, 0
	.set _ZN7rocprim17ROCPRIM_400000_NS6detail17trampoline_kernelINS0_14default_configENS1_22reduce_config_selectorIN6thrust23THRUST_200600_302600_NS5tupleIblNS6_9null_typeES8_S8_S8_S8_S8_S8_S8_EEEEZNS1_11reduce_implILb1ES3_NS6_12zip_iteratorINS7_INS6_11hip_rocprim26transform_input_iterator_tIbPN3c108BFloat16ENS6_6detail10functional5actorINSJ_9compositeIJNSJ_27transparent_binary_operatorINS6_8equal_toIvEEEENSK_INSJ_8argumentILj0EEEEENSJ_5valueISG_EEEEEEEEENSD_19counting_iterator_tIlEES8_S8_S8_S8_S8_S8_S8_S8_EEEEPS9_S9_NSD_9__find_if7functorIS9_EEEE10hipError_tPvRmT1_T2_T3_mT4_P12ihipStream_tbEUlT_E0_NS1_11comp_targetILNS1_3genE10ELNS1_11target_archE1201ELNS1_3gpuE5ELNS1_3repE0EEENS1_30default_config_static_selectorELNS0_4arch9wavefront6targetE1EEEvS19_.has_dyn_sized_stack, 0
	.set _ZN7rocprim17ROCPRIM_400000_NS6detail17trampoline_kernelINS0_14default_configENS1_22reduce_config_selectorIN6thrust23THRUST_200600_302600_NS5tupleIblNS6_9null_typeES8_S8_S8_S8_S8_S8_S8_EEEEZNS1_11reduce_implILb1ES3_NS6_12zip_iteratorINS7_INS6_11hip_rocprim26transform_input_iterator_tIbPN3c108BFloat16ENS6_6detail10functional5actorINSJ_9compositeIJNSJ_27transparent_binary_operatorINS6_8equal_toIvEEEENSK_INSJ_8argumentILj0EEEEENSJ_5valueISG_EEEEEEEEENSD_19counting_iterator_tIlEES8_S8_S8_S8_S8_S8_S8_S8_EEEEPS9_S9_NSD_9__find_if7functorIS9_EEEE10hipError_tPvRmT1_T2_T3_mT4_P12ihipStream_tbEUlT_E0_NS1_11comp_targetILNS1_3genE10ELNS1_11target_archE1201ELNS1_3gpuE5ELNS1_3repE0EEENS1_30default_config_static_selectorELNS0_4arch9wavefront6targetE1EEEvS19_.has_recursion, 0
	.set _ZN7rocprim17ROCPRIM_400000_NS6detail17trampoline_kernelINS0_14default_configENS1_22reduce_config_selectorIN6thrust23THRUST_200600_302600_NS5tupleIblNS6_9null_typeES8_S8_S8_S8_S8_S8_S8_EEEEZNS1_11reduce_implILb1ES3_NS6_12zip_iteratorINS7_INS6_11hip_rocprim26transform_input_iterator_tIbPN3c108BFloat16ENS6_6detail10functional5actorINSJ_9compositeIJNSJ_27transparent_binary_operatorINS6_8equal_toIvEEEENSK_INSJ_8argumentILj0EEEEENSJ_5valueISG_EEEEEEEEENSD_19counting_iterator_tIlEES8_S8_S8_S8_S8_S8_S8_S8_EEEEPS9_S9_NSD_9__find_if7functorIS9_EEEE10hipError_tPvRmT1_T2_T3_mT4_P12ihipStream_tbEUlT_E0_NS1_11comp_targetILNS1_3genE10ELNS1_11target_archE1201ELNS1_3gpuE5ELNS1_3repE0EEENS1_30default_config_static_selectorELNS0_4arch9wavefront6targetE1EEEvS19_.has_indirect_call, 0
	.section	.AMDGPU.csdata,"",@progbits
; Kernel info:
; codeLenInByte = 0
; TotalNumSgprs: 4
; NumVgprs: 0
; ScratchSize: 0
; MemoryBound: 0
; FloatMode: 240
; IeeeMode: 1
; LDSByteSize: 0 bytes/workgroup (compile time only)
; SGPRBlocks: 0
; VGPRBlocks: 0
; NumSGPRsForWavesPerEU: 4
; NumVGPRsForWavesPerEU: 1
; Occupancy: 10
; WaveLimiterHint : 0
; COMPUTE_PGM_RSRC2:SCRATCH_EN: 0
; COMPUTE_PGM_RSRC2:USER_SGPR: 6
; COMPUTE_PGM_RSRC2:TRAP_HANDLER: 0
; COMPUTE_PGM_RSRC2:TGID_X_EN: 1
; COMPUTE_PGM_RSRC2:TGID_Y_EN: 0
; COMPUTE_PGM_RSRC2:TGID_Z_EN: 0
; COMPUTE_PGM_RSRC2:TIDIG_COMP_CNT: 0
	.section	.text._ZN7rocprim17ROCPRIM_400000_NS6detail17trampoline_kernelINS0_14default_configENS1_22reduce_config_selectorIN6thrust23THRUST_200600_302600_NS5tupleIblNS6_9null_typeES8_S8_S8_S8_S8_S8_S8_EEEEZNS1_11reduce_implILb1ES3_NS6_12zip_iteratorINS7_INS6_11hip_rocprim26transform_input_iterator_tIbPN3c108BFloat16ENS6_6detail10functional5actorINSJ_9compositeIJNSJ_27transparent_binary_operatorINS6_8equal_toIvEEEENSK_INSJ_8argumentILj0EEEEENSJ_5valueISG_EEEEEEEEENSD_19counting_iterator_tIlEES8_S8_S8_S8_S8_S8_S8_S8_EEEEPS9_S9_NSD_9__find_if7functorIS9_EEEE10hipError_tPvRmT1_T2_T3_mT4_P12ihipStream_tbEUlT_E0_NS1_11comp_targetILNS1_3genE10ELNS1_11target_archE1200ELNS1_3gpuE4ELNS1_3repE0EEENS1_30default_config_static_selectorELNS0_4arch9wavefront6targetE1EEEvS19_,"axG",@progbits,_ZN7rocprim17ROCPRIM_400000_NS6detail17trampoline_kernelINS0_14default_configENS1_22reduce_config_selectorIN6thrust23THRUST_200600_302600_NS5tupleIblNS6_9null_typeES8_S8_S8_S8_S8_S8_S8_EEEEZNS1_11reduce_implILb1ES3_NS6_12zip_iteratorINS7_INS6_11hip_rocprim26transform_input_iterator_tIbPN3c108BFloat16ENS6_6detail10functional5actorINSJ_9compositeIJNSJ_27transparent_binary_operatorINS6_8equal_toIvEEEENSK_INSJ_8argumentILj0EEEEENSJ_5valueISG_EEEEEEEEENSD_19counting_iterator_tIlEES8_S8_S8_S8_S8_S8_S8_S8_EEEEPS9_S9_NSD_9__find_if7functorIS9_EEEE10hipError_tPvRmT1_T2_T3_mT4_P12ihipStream_tbEUlT_E0_NS1_11comp_targetILNS1_3genE10ELNS1_11target_archE1200ELNS1_3gpuE4ELNS1_3repE0EEENS1_30default_config_static_selectorELNS0_4arch9wavefront6targetE1EEEvS19_,comdat
	.protected	_ZN7rocprim17ROCPRIM_400000_NS6detail17trampoline_kernelINS0_14default_configENS1_22reduce_config_selectorIN6thrust23THRUST_200600_302600_NS5tupleIblNS6_9null_typeES8_S8_S8_S8_S8_S8_S8_EEEEZNS1_11reduce_implILb1ES3_NS6_12zip_iteratorINS7_INS6_11hip_rocprim26transform_input_iterator_tIbPN3c108BFloat16ENS6_6detail10functional5actorINSJ_9compositeIJNSJ_27transparent_binary_operatorINS6_8equal_toIvEEEENSK_INSJ_8argumentILj0EEEEENSJ_5valueISG_EEEEEEEEENSD_19counting_iterator_tIlEES8_S8_S8_S8_S8_S8_S8_S8_EEEEPS9_S9_NSD_9__find_if7functorIS9_EEEE10hipError_tPvRmT1_T2_T3_mT4_P12ihipStream_tbEUlT_E0_NS1_11comp_targetILNS1_3genE10ELNS1_11target_archE1200ELNS1_3gpuE4ELNS1_3repE0EEENS1_30default_config_static_selectorELNS0_4arch9wavefront6targetE1EEEvS19_ ; -- Begin function _ZN7rocprim17ROCPRIM_400000_NS6detail17trampoline_kernelINS0_14default_configENS1_22reduce_config_selectorIN6thrust23THRUST_200600_302600_NS5tupleIblNS6_9null_typeES8_S8_S8_S8_S8_S8_S8_EEEEZNS1_11reduce_implILb1ES3_NS6_12zip_iteratorINS7_INS6_11hip_rocprim26transform_input_iterator_tIbPN3c108BFloat16ENS6_6detail10functional5actorINSJ_9compositeIJNSJ_27transparent_binary_operatorINS6_8equal_toIvEEEENSK_INSJ_8argumentILj0EEEEENSJ_5valueISG_EEEEEEEEENSD_19counting_iterator_tIlEES8_S8_S8_S8_S8_S8_S8_S8_EEEEPS9_S9_NSD_9__find_if7functorIS9_EEEE10hipError_tPvRmT1_T2_T3_mT4_P12ihipStream_tbEUlT_E0_NS1_11comp_targetILNS1_3genE10ELNS1_11target_archE1200ELNS1_3gpuE4ELNS1_3repE0EEENS1_30default_config_static_selectorELNS0_4arch9wavefront6targetE1EEEvS19_
	.globl	_ZN7rocprim17ROCPRIM_400000_NS6detail17trampoline_kernelINS0_14default_configENS1_22reduce_config_selectorIN6thrust23THRUST_200600_302600_NS5tupleIblNS6_9null_typeES8_S8_S8_S8_S8_S8_S8_EEEEZNS1_11reduce_implILb1ES3_NS6_12zip_iteratorINS7_INS6_11hip_rocprim26transform_input_iterator_tIbPN3c108BFloat16ENS6_6detail10functional5actorINSJ_9compositeIJNSJ_27transparent_binary_operatorINS6_8equal_toIvEEEENSK_INSJ_8argumentILj0EEEEENSJ_5valueISG_EEEEEEEEENSD_19counting_iterator_tIlEES8_S8_S8_S8_S8_S8_S8_S8_EEEEPS9_S9_NSD_9__find_if7functorIS9_EEEE10hipError_tPvRmT1_T2_T3_mT4_P12ihipStream_tbEUlT_E0_NS1_11comp_targetILNS1_3genE10ELNS1_11target_archE1200ELNS1_3gpuE4ELNS1_3repE0EEENS1_30default_config_static_selectorELNS0_4arch9wavefront6targetE1EEEvS19_
	.p2align	8
	.type	_ZN7rocprim17ROCPRIM_400000_NS6detail17trampoline_kernelINS0_14default_configENS1_22reduce_config_selectorIN6thrust23THRUST_200600_302600_NS5tupleIblNS6_9null_typeES8_S8_S8_S8_S8_S8_S8_EEEEZNS1_11reduce_implILb1ES3_NS6_12zip_iteratorINS7_INS6_11hip_rocprim26transform_input_iterator_tIbPN3c108BFloat16ENS6_6detail10functional5actorINSJ_9compositeIJNSJ_27transparent_binary_operatorINS6_8equal_toIvEEEENSK_INSJ_8argumentILj0EEEEENSJ_5valueISG_EEEEEEEEENSD_19counting_iterator_tIlEES8_S8_S8_S8_S8_S8_S8_S8_EEEEPS9_S9_NSD_9__find_if7functorIS9_EEEE10hipError_tPvRmT1_T2_T3_mT4_P12ihipStream_tbEUlT_E0_NS1_11comp_targetILNS1_3genE10ELNS1_11target_archE1200ELNS1_3gpuE4ELNS1_3repE0EEENS1_30default_config_static_selectorELNS0_4arch9wavefront6targetE1EEEvS19_,@function
_ZN7rocprim17ROCPRIM_400000_NS6detail17trampoline_kernelINS0_14default_configENS1_22reduce_config_selectorIN6thrust23THRUST_200600_302600_NS5tupleIblNS6_9null_typeES8_S8_S8_S8_S8_S8_S8_EEEEZNS1_11reduce_implILb1ES3_NS6_12zip_iteratorINS7_INS6_11hip_rocprim26transform_input_iterator_tIbPN3c108BFloat16ENS6_6detail10functional5actorINSJ_9compositeIJNSJ_27transparent_binary_operatorINS6_8equal_toIvEEEENSK_INSJ_8argumentILj0EEEEENSJ_5valueISG_EEEEEEEEENSD_19counting_iterator_tIlEES8_S8_S8_S8_S8_S8_S8_S8_EEEEPS9_S9_NSD_9__find_if7functorIS9_EEEE10hipError_tPvRmT1_T2_T3_mT4_P12ihipStream_tbEUlT_E0_NS1_11comp_targetILNS1_3genE10ELNS1_11target_archE1200ELNS1_3gpuE4ELNS1_3repE0EEENS1_30default_config_static_selectorELNS0_4arch9wavefront6targetE1EEEvS19_: ; @_ZN7rocprim17ROCPRIM_400000_NS6detail17trampoline_kernelINS0_14default_configENS1_22reduce_config_selectorIN6thrust23THRUST_200600_302600_NS5tupleIblNS6_9null_typeES8_S8_S8_S8_S8_S8_S8_EEEEZNS1_11reduce_implILb1ES3_NS6_12zip_iteratorINS7_INS6_11hip_rocprim26transform_input_iterator_tIbPN3c108BFloat16ENS6_6detail10functional5actorINSJ_9compositeIJNSJ_27transparent_binary_operatorINS6_8equal_toIvEEEENSK_INSJ_8argumentILj0EEEEENSJ_5valueISG_EEEEEEEEENSD_19counting_iterator_tIlEES8_S8_S8_S8_S8_S8_S8_S8_EEEEPS9_S9_NSD_9__find_if7functorIS9_EEEE10hipError_tPvRmT1_T2_T3_mT4_P12ihipStream_tbEUlT_E0_NS1_11comp_targetILNS1_3genE10ELNS1_11target_archE1200ELNS1_3gpuE4ELNS1_3repE0EEENS1_30default_config_static_selectorELNS0_4arch9wavefront6targetE1EEEvS19_
; %bb.0:
	.section	.rodata,"a",@progbits
	.p2align	6, 0x0
	.amdhsa_kernel _ZN7rocprim17ROCPRIM_400000_NS6detail17trampoline_kernelINS0_14default_configENS1_22reduce_config_selectorIN6thrust23THRUST_200600_302600_NS5tupleIblNS6_9null_typeES8_S8_S8_S8_S8_S8_S8_EEEEZNS1_11reduce_implILb1ES3_NS6_12zip_iteratorINS7_INS6_11hip_rocprim26transform_input_iterator_tIbPN3c108BFloat16ENS6_6detail10functional5actorINSJ_9compositeIJNSJ_27transparent_binary_operatorINS6_8equal_toIvEEEENSK_INSJ_8argumentILj0EEEEENSJ_5valueISG_EEEEEEEEENSD_19counting_iterator_tIlEES8_S8_S8_S8_S8_S8_S8_S8_EEEEPS9_S9_NSD_9__find_if7functorIS9_EEEE10hipError_tPvRmT1_T2_T3_mT4_P12ihipStream_tbEUlT_E0_NS1_11comp_targetILNS1_3genE10ELNS1_11target_archE1200ELNS1_3gpuE4ELNS1_3repE0EEENS1_30default_config_static_selectorELNS0_4arch9wavefront6targetE1EEEvS19_
		.amdhsa_group_segment_fixed_size 0
		.amdhsa_private_segment_fixed_size 0
		.amdhsa_kernarg_size 88
		.amdhsa_user_sgpr_count 6
		.amdhsa_user_sgpr_private_segment_buffer 1
		.amdhsa_user_sgpr_dispatch_ptr 0
		.amdhsa_user_sgpr_queue_ptr 0
		.amdhsa_user_sgpr_kernarg_segment_ptr 1
		.amdhsa_user_sgpr_dispatch_id 0
		.amdhsa_user_sgpr_flat_scratch_init 0
		.amdhsa_user_sgpr_private_segment_size 0
		.amdhsa_uses_dynamic_stack 0
		.amdhsa_system_sgpr_private_segment_wavefront_offset 0
		.amdhsa_system_sgpr_workgroup_id_x 1
		.amdhsa_system_sgpr_workgroup_id_y 0
		.amdhsa_system_sgpr_workgroup_id_z 0
		.amdhsa_system_sgpr_workgroup_info 0
		.amdhsa_system_vgpr_workitem_id 0
		.amdhsa_next_free_vgpr 1
		.amdhsa_next_free_sgpr 0
		.amdhsa_reserve_vcc 0
		.amdhsa_reserve_flat_scratch 0
		.amdhsa_float_round_mode_32 0
		.amdhsa_float_round_mode_16_64 0
		.amdhsa_float_denorm_mode_32 3
		.amdhsa_float_denorm_mode_16_64 3
		.amdhsa_dx10_clamp 1
		.amdhsa_ieee_mode 1
		.amdhsa_fp16_overflow 0
		.amdhsa_exception_fp_ieee_invalid_op 0
		.amdhsa_exception_fp_denorm_src 0
		.amdhsa_exception_fp_ieee_div_zero 0
		.amdhsa_exception_fp_ieee_overflow 0
		.amdhsa_exception_fp_ieee_underflow 0
		.amdhsa_exception_fp_ieee_inexact 0
		.amdhsa_exception_int_div_zero 0
	.end_amdhsa_kernel
	.section	.text._ZN7rocprim17ROCPRIM_400000_NS6detail17trampoline_kernelINS0_14default_configENS1_22reduce_config_selectorIN6thrust23THRUST_200600_302600_NS5tupleIblNS6_9null_typeES8_S8_S8_S8_S8_S8_S8_EEEEZNS1_11reduce_implILb1ES3_NS6_12zip_iteratorINS7_INS6_11hip_rocprim26transform_input_iterator_tIbPN3c108BFloat16ENS6_6detail10functional5actorINSJ_9compositeIJNSJ_27transparent_binary_operatorINS6_8equal_toIvEEEENSK_INSJ_8argumentILj0EEEEENSJ_5valueISG_EEEEEEEEENSD_19counting_iterator_tIlEES8_S8_S8_S8_S8_S8_S8_S8_EEEEPS9_S9_NSD_9__find_if7functorIS9_EEEE10hipError_tPvRmT1_T2_T3_mT4_P12ihipStream_tbEUlT_E0_NS1_11comp_targetILNS1_3genE10ELNS1_11target_archE1200ELNS1_3gpuE4ELNS1_3repE0EEENS1_30default_config_static_selectorELNS0_4arch9wavefront6targetE1EEEvS19_,"axG",@progbits,_ZN7rocprim17ROCPRIM_400000_NS6detail17trampoline_kernelINS0_14default_configENS1_22reduce_config_selectorIN6thrust23THRUST_200600_302600_NS5tupleIblNS6_9null_typeES8_S8_S8_S8_S8_S8_S8_EEEEZNS1_11reduce_implILb1ES3_NS6_12zip_iteratorINS7_INS6_11hip_rocprim26transform_input_iterator_tIbPN3c108BFloat16ENS6_6detail10functional5actorINSJ_9compositeIJNSJ_27transparent_binary_operatorINS6_8equal_toIvEEEENSK_INSJ_8argumentILj0EEEEENSJ_5valueISG_EEEEEEEEENSD_19counting_iterator_tIlEES8_S8_S8_S8_S8_S8_S8_S8_EEEEPS9_S9_NSD_9__find_if7functorIS9_EEEE10hipError_tPvRmT1_T2_T3_mT4_P12ihipStream_tbEUlT_E0_NS1_11comp_targetILNS1_3genE10ELNS1_11target_archE1200ELNS1_3gpuE4ELNS1_3repE0EEENS1_30default_config_static_selectorELNS0_4arch9wavefront6targetE1EEEvS19_,comdat
.Lfunc_end2094:
	.size	_ZN7rocprim17ROCPRIM_400000_NS6detail17trampoline_kernelINS0_14default_configENS1_22reduce_config_selectorIN6thrust23THRUST_200600_302600_NS5tupleIblNS6_9null_typeES8_S8_S8_S8_S8_S8_S8_EEEEZNS1_11reduce_implILb1ES3_NS6_12zip_iteratorINS7_INS6_11hip_rocprim26transform_input_iterator_tIbPN3c108BFloat16ENS6_6detail10functional5actorINSJ_9compositeIJNSJ_27transparent_binary_operatorINS6_8equal_toIvEEEENSK_INSJ_8argumentILj0EEEEENSJ_5valueISG_EEEEEEEEENSD_19counting_iterator_tIlEES8_S8_S8_S8_S8_S8_S8_S8_EEEEPS9_S9_NSD_9__find_if7functorIS9_EEEE10hipError_tPvRmT1_T2_T3_mT4_P12ihipStream_tbEUlT_E0_NS1_11comp_targetILNS1_3genE10ELNS1_11target_archE1200ELNS1_3gpuE4ELNS1_3repE0EEENS1_30default_config_static_selectorELNS0_4arch9wavefront6targetE1EEEvS19_, .Lfunc_end2094-_ZN7rocprim17ROCPRIM_400000_NS6detail17trampoline_kernelINS0_14default_configENS1_22reduce_config_selectorIN6thrust23THRUST_200600_302600_NS5tupleIblNS6_9null_typeES8_S8_S8_S8_S8_S8_S8_EEEEZNS1_11reduce_implILb1ES3_NS6_12zip_iteratorINS7_INS6_11hip_rocprim26transform_input_iterator_tIbPN3c108BFloat16ENS6_6detail10functional5actorINSJ_9compositeIJNSJ_27transparent_binary_operatorINS6_8equal_toIvEEEENSK_INSJ_8argumentILj0EEEEENSJ_5valueISG_EEEEEEEEENSD_19counting_iterator_tIlEES8_S8_S8_S8_S8_S8_S8_S8_EEEEPS9_S9_NSD_9__find_if7functorIS9_EEEE10hipError_tPvRmT1_T2_T3_mT4_P12ihipStream_tbEUlT_E0_NS1_11comp_targetILNS1_3genE10ELNS1_11target_archE1200ELNS1_3gpuE4ELNS1_3repE0EEENS1_30default_config_static_selectorELNS0_4arch9wavefront6targetE1EEEvS19_
                                        ; -- End function
	.set _ZN7rocprim17ROCPRIM_400000_NS6detail17trampoline_kernelINS0_14default_configENS1_22reduce_config_selectorIN6thrust23THRUST_200600_302600_NS5tupleIblNS6_9null_typeES8_S8_S8_S8_S8_S8_S8_EEEEZNS1_11reduce_implILb1ES3_NS6_12zip_iteratorINS7_INS6_11hip_rocprim26transform_input_iterator_tIbPN3c108BFloat16ENS6_6detail10functional5actorINSJ_9compositeIJNSJ_27transparent_binary_operatorINS6_8equal_toIvEEEENSK_INSJ_8argumentILj0EEEEENSJ_5valueISG_EEEEEEEEENSD_19counting_iterator_tIlEES8_S8_S8_S8_S8_S8_S8_S8_EEEEPS9_S9_NSD_9__find_if7functorIS9_EEEE10hipError_tPvRmT1_T2_T3_mT4_P12ihipStream_tbEUlT_E0_NS1_11comp_targetILNS1_3genE10ELNS1_11target_archE1200ELNS1_3gpuE4ELNS1_3repE0EEENS1_30default_config_static_selectorELNS0_4arch9wavefront6targetE1EEEvS19_.num_vgpr, 0
	.set _ZN7rocprim17ROCPRIM_400000_NS6detail17trampoline_kernelINS0_14default_configENS1_22reduce_config_selectorIN6thrust23THRUST_200600_302600_NS5tupleIblNS6_9null_typeES8_S8_S8_S8_S8_S8_S8_EEEEZNS1_11reduce_implILb1ES3_NS6_12zip_iteratorINS7_INS6_11hip_rocprim26transform_input_iterator_tIbPN3c108BFloat16ENS6_6detail10functional5actorINSJ_9compositeIJNSJ_27transparent_binary_operatorINS6_8equal_toIvEEEENSK_INSJ_8argumentILj0EEEEENSJ_5valueISG_EEEEEEEEENSD_19counting_iterator_tIlEES8_S8_S8_S8_S8_S8_S8_S8_EEEEPS9_S9_NSD_9__find_if7functorIS9_EEEE10hipError_tPvRmT1_T2_T3_mT4_P12ihipStream_tbEUlT_E0_NS1_11comp_targetILNS1_3genE10ELNS1_11target_archE1200ELNS1_3gpuE4ELNS1_3repE0EEENS1_30default_config_static_selectorELNS0_4arch9wavefront6targetE1EEEvS19_.num_agpr, 0
	.set _ZN7rocprim17ROCPRIM_400000_NS6detail17trampoline_kernelINS0_14default_configENS1_22reduce_config_selectorIN6thrust23THRUST_200600_302600_NS5tupleIblNS6_9null_typeES8_S8_S8_S8_S8_S8_S8_EEEEZNS1_11reduce_implILb1ES3_NS6_12zip_iteratorINS7_INS6_11hip_rocprim26transform_input_iterator_tIbPN3c108BFloat16ENS6_6detail10functional5actorINSJ_9compositeIJNSJ_27transparent_binary_operatorINS6_8equal_toIvEEEENSK_INSJ_8argumentILj0EEEEENSJ_5valueISG_EEEEEEEEENSD_19counting_iterator_tIlEES8_S8_S8_S8_S8_S8_S8_S8_EEEEPS9_S9_NSD_9__find_if7functorIS9_EEEE10hipError_tPvRmT1_T2_T3_mT4_P12ihipStream_tbEUlT_E0_NS1_11comp_targetILNS1_3genE10ELNS1_11target_archE1200ELNS1_3gpuE4ELNS1_3repE0EEENS1_30default_config_static_selectorELNS0_4arch9wavefront6targetE1EEEvS19_.numbered_sgpr, 0
	.set _ZN7rocprim17ROCPRIM_400000_NS6detail17trampoline_kernelINS0_14default_configENS1_22reduce_config_selectorIN6thrust23THRUST_200600_302600_NS5tupleIblNS6_9null_typeES8_S8_S8_S8_S8_S8_S8_EEEEZNS1_11reduce_implILb1ES3_NS6_12zip_iteratorINS7_INS6_11hip_rocprim26transform_input_iterator_tIbPN3c108BFloat16ENS6_6detail10functional5actorINSJ_9compositeIJNSJ_27transparent_binary_operatorINS6_8equal_toIvEEEENSK_INSJ_8argumentILj0EEEEENSJ_5valueISG_EEEEEEEEENSD_19counting_iterator_tIlEES8_S8_S8_S8_S8_S8_S8_S8_EEEEPS9_S9_NSD_9__find_if7functorIS9_EEEE10hipError_tPvRmT1_T2_T3_mT4_P12ihipStream_tbEUlT_E0_NS1_11comp_targetILNS1_3genE10ELNS1_11target_archE1200ELNS1_3gpuE4ELNS1_3repE0EEENS1_30default_config_static_selectorELNS0_4arch9wavefront6targetE1EEEvS19_.num_named_barrier, 0
	.set _ZN7rocprim17ROCPRIM_400000_NS6detail17trampoline_kernelINS0_14default_configENS1_22reduce_config_selectorIN6thrust23THRUST_200600_302600_NS5tupleIblNS6_9null_typeES8_S8_S8_S8_S8_S8_S8_EEEEZNS1_11reduce_implILb1ES3_NS6_12zip_iteratorINS7_INS6_11hip_rocprim26transform_input_iterator_tIbPN3c108BFloat16ENS6_6detail10functional5actorINSJ_9compositeIJNSJ_27transparent_binary_operatorINS6_8equal_toIvEEEENSK_INSJ_8argumentILj0EEEEENSJ_5valueISG_EEEEEEEEENSD_19counting_iterator_tIlEES8_S8_S8_S8_S8_S8_S8_S8_EEEEPS9_S9_NSD_9__find_if7functorIS9_EEEE10hipError_tPvRmT1_T2_T3_mT4_P12ihipStream_tbEUlT_E0_NS1_11comp_targetILNS1_3genE10ELNS1_11target_archE1200ELNS1_3gpuE4ELNS1_3repE0EEENS1_30default_config_static_selectorELNS0_4arch9wavefront6targetE1EEEvS19_.private_seg_size, 0
	.set _ZN7rocprim17ROCPRIM_400000_NS6detail17trampoline_kernelINS0_14default_configENS1_22reduce_config_selectorIN6thrust23THRUST_200600_302600_NS5tupleIblNS6_9null_typeES8_S8_S8_S8_S8_S8_S8_EEEEZNS1_11reduce_implILb1ES3_NS6_12zip_iteratorINS7_INS6_11hip_rocprim26transform_input_iterator_tIbPN3c108BFloat16ENS6_6detail10functional5actorINSJ_9compositeIJNSJ_27transparent_binary_operatorINS6_8equal_toIvEEEENSK_INSJ_8argumentILj0EEEEENSJ_5valueISG_EEEEEEEEENSD_19counting_iterator_tIlEES8_S8_S8_S8_S8_S8_S8_S8_EEEEPS9_S9_NSD_9__find_if7functorIS9_EEEE10hipError_tPvRmT1_T2_T3_mT4_P12ihipStream_tbEUlT_E0_NS1_11comp_targetILNS1_3genE10ELNS1_11target_archE1200ELNS1_3gpuE4ELNS1_3repE0EEENS1_30default_config_static_selectorELNS0_4arch9wavefront6targetE1EEEvS19_.uses_vcc, 0
	.set _ZN7rocprim17ROCPRIM_400000_NS6detail17trampoline_kernelINS0_14default_configENS1_22reduce_config_selectorIN6thrust23THRUST_200600_302600_NS5tupleIblNS6_9null_typeES8_S8_S8_S8_S8_S8_S8_EEEEZNS1_11reduce_implILb1ES3_NS6_12zip_iteratorINS7_INS6_11hip_rocprim26transform_input_iterator_tIbPN3c108BFloat16ENS6_6detail10functional5actorINSJ_9compositeIJNSJ_27transparent_binary_operatorINS6_8equal_toIvEEEENSK_INSJ_8argumentILj0EEEEENSJ_5valueISG_EEEEEEEEENSD_19counting_iterator_tIlEES8_S8_S8_S8_S8_S8_S8_S8_EEEEPS9_S9_NSD_9__find_if7functorIS9_EEEE10hipError_tPvRmT1_T2_T3_mT4_P12ihipStream_tbEUlT_E0_NS1_11comp_targetILNS1_3genE10ELNS1_11target_archE1200ELNS1_3gpuE4ELNS1_3repE0EEENS1_30default_config_static_selectorELNS0_4arch9wavefront6targetE1EEEvS19_.uses_flat_scratch, 0
	.set _ZN7rocprim17ROCPRIM_400000_NS6detail17trampoline_kernelINS0_14default_configENS1_22reduce_config_selectorIN6thrust23THRUST_200600_302600_NS5tupleIblNS6_9null_typeES8_S8_S8_S8_S8_S8_S8_EEEEZNS1_11reduce_implILb1ES3_NS6_12zip_iteratorINS7_INS6_11hip_rocprim26transform_input_iterator_tIbPN3c108BFloat16ENS6_6detail10functional5actorINSJ_9compositeIJNSJ_27transparent_binary_operatorINS6_8equal_toIvEEEENSK_INSJ_8argumentILj0EEEEENSJ_5valueISG_EEEEEEEEENSD_19counting_iterator_tIlEES8_S8_S8_S8_S8_S8_S8_S8_EEEEPS9_S9_NSD_9__find_if7functorIS9_EEEE10hipError_tPvRmT1_T2_T3_mT4_P12ihipStream_tbEUlT_E0_NS1_11comp_targetILNS1_3genE10ELNS1_11target_archE1200ELNS1_3gpuE4ELNS1_3repE0EEENS1_30default_config_static_selectorELNS0_4arch9wavefront6targetE1EEEvS19_.has_dyn_sized_stack, 0
	.set _ZN7rocprim17ROCPRIM_400000_NS6detail17trampoline_kernelINS0_14default_configENS1_22reduce_config_selectorIN6thrust23THRUST_200600_302600_NS5tupleIblNS6_9null_typeES8_S8_S8_S8_S8_S8_S8_EEEEZNS1_11reduce_implILb1ES3_NS6_12zip_iteratorINS7_INS6_11hip_rocprim26transform_input_iterator_tIbPN3c108BFloat16ENS6_6detail10functional5actorINSJ_9compositeIJNSJ_27transparent_binary_operatorINS6_8equal_toIvEEEENSK_INSJ_8argumentILj0EEEEENSJ_5valueISG_EEEEEEEEENSD_19counting_iterator_tIlEES8_S8_S8_S8_S8_S8_S8_S8_EEEEPS9_S9_NSD_9__find_if7functorIS9_EEEE10hipError_tPvRmT1_T2_T3_mT4_P12ihipStream_tbEUlT_E0_NS1_11comp_targetILNS1_3genE10ELNS1_11target_archE1200ELNS1_3gpuE4ELNS1_3repE0EEENS1_30default_config_static_selectorELNS0_4arch9wavefront6targetE1EEEvS19_.has_recursion, 0
	.set _ZN7rocprim17ROCPRIM_400000_NS6detail17trampoline_kernelINS0_14default_configENS1_22reduce_config_selectorIN6thrust23THRUST_200600_302600_NS5tupleIblNS6_9null_typeES8_S8_S8_S8_S8_S8_S8_EEEEZNS1_11reduce_implILb1ES3_NS6_12zip_iteratorINS7_INS6_11hip_rocprim26transform_input_iterator_tIbPN3c108BFloat16ENS6_6detail10functional5actorINSJ_9compositeIJNSJ_27transparent_binary_operatorINS6_8equal_toIvEEEENSK_INSJ_8argumentILj0EEEEENSJ_5valueISG_EEEEEEEEENSD_19counting_iterator_tIlEES8_S8_S8_S8_S8_S8_S8_S8_EEEEPS9_S9_NSD_9__find_if7functorIS9_EEEE10hipError_tPvRmT1_T2_T3_mT4_P12ihipStream_tbEUlT_E0_NS1_11comp_targetILNS1_3genE10ELNS1_11target_archE1200ELNS1_3gpuE4ELNS1_3repE0EEENS1_30default_config_static_selectorELNS0_4arch9wavefront6targetE1EEEvS19_.has_indirect_call, 0
	.section	.AMDGPU.csdata,"",@progbits
; Kernel info:
; codeLenInByte = 0
; TotalNumSgprs: 4
; NumVgprs: 0
; ScratchSize: 0
; MemoryBound: 0
; FloatMode: 240
; IeeeMode: 1
; LDSByteSize: 0 bytes/workgroup (compile time only)
; SGPRBlocks: 0
; VGPRBlocks: 0
; NumSGPRsForWavesPerEU: 4
; NumVGPRsForWavesPerEU: 1
; Occupancy: 10
; WaveLimiterHint : 0
; COMPUTE_PGM_RSRC2:SCRATCH_EN: 0
; COMPUTE_PGM_RSRC2:USER_SGPR: 6
; COMPUTE_PGM_RSRC2:TRAP_HANDLER: 0
; COMPUTE_PGM_RSRC2:TGID_X_EN: 1
; COMPUTE_PGM_RSRC2:TGID_Y_EN: 0
; COMPUTE_PGM_RSRC2:TGID_Z_EN: 0
; COMPUTE_PGM_RSRC2:TIDIG_COMP_CNT: 0
	.section	.text._ZN7rocprim17ROCPRIM_400000_NS6detail17trampoline_kernelINS0_14default_configENS1_22reduce_config_selectorIN6thrust23THRUST_200600_302600_NS5tupleIblNS6_9null_typeES8_S8_S8_S8_S8_S8_S8_EEEEZNS1_11reduce_implILb1ES3_NS6_12zip_iteratorINS7_INS6_11hip_rocprim26transform_input_iterator_tIbPN3c108BFloat16ENS6_6detail10functional5actorINSJ_9compositeIJNSJ_27transparent_binary_operatorINS6_8equal_toIvEEEENSK_INSJ_8argumentILj0EEEEENSJ_5valueISG_EEEEEEEEENSD_19counting_iterator_tIlEES8_S8_S8_S8_S8_S8_S8_S8_EEEEPS9_S9_NSD_9__find_if7functorIS9_EEEE10hipError_tPvRmT1_T2_T3_mT4_P12ihipStream_tbEUlT_E0_NS1_11comp_targetILNS1_3genE9ELNS1_11target_archE1100ELNS1_3gpuE3ELNS1_3repE0EEENS1_30default_config_static_selectorELNS0_4arch9wavefront6targetE1EEEvS19_,"axG",@progbits,_ZN7rocprim17ROCPRIM_400000_NS6detail17trampoline_kernelINS0_14default_configENS1_22reduce_config_selectorIN6thrust23THRUST_200600_302600_NS5tupleIblNS6_9null_typeES8_S8_S8_S8_S8_S8_S8_EEEEZNS1_11reduce_implILb1ES3_NS6_12zip_iteratorINS7_INS6_11hip_rocprim26transform_input_iterator_tIbPN3c108BFloat16ENS6_6detail10functional5actorINSJ_9compositeIJNSJ_27transparent_binary_operatorINS6_8equal_toIvEEEENSK_INSJ_8argumentILj0EEEEENSJ_5valueISG_EEEEEEEEENSD_19counting_iterator_tIlEES8_S8_S8_S8_S8_S8_S8_S8_EEEEPS9_S9_NSD_9__find_if7functorIS9_EEEE10hipError_tPvRmT1_T2_T3_mT4_P12ihipStream_tbEUlT_E0_NS1_11comp_targetILNS1_3genE9ELNS1_11target_archE1100ELNS1_3gpuE3ELNS1_3repE0EEENS1_30default_config_static_selectorELNS0_4arch9wavefront6targetE1EEEvS19_,comdat
	.protected	_ZN7rocprim17ROCPRIM_400000_NS6detail17trampoline_kernelINS0_14default_configENS1_22reduce_config_selectorIN6thrust23THRUST_200600_302600_NS5tupleIblNS6_9null_typeES8_S8_S8_S8_S8_S8_S8_EEEEZNS1_11reduce_implILb1ES3_NS6_12zip_iteratorINS7_INS6_11hip_rocprim26transform_input_iterator_tIbPN3c108BFloat16ENS6_6detail10functional5actorINSJ_9compositeIJNSJ_27transparent_binary_operatorINS6_8equal_toIvEEEENSK_INSJ_8argumentILj0EEEEENSJ_5valueISG_EEEEEEEEENSD_19counting_iterator_tIlEES8_S8_S8_S8_S8_S8_S8_S8_EEEEPS9_S9_NSD_9__find_if7functorIS9_EEEE10hipError_tPvRmT1_T2_T3_mT4_P12ihipStream_tbEUlT_E0_NS1_11comp_targetILNS1_3genE9ELNS1_11target_archE1100ELNS1_3gpuE3ELNS1_3repE0EEENS1_30default_config_static_selectorELNS0_4arch9wavefront6targetE1EEEvS19_ ; -- Begin function _ZN7rocprim17ROCPRIM_400000_NS6detail17trampoline_kernelINS0_14default_configENS1_22reduce_config_selectorIN6thrust23THRUST_200600_302600_NS5tupleIblNS6_9null_typeES8_S8_S8_S8_S8_S8_S8_EEEEZNS1_11reduce_implILb1ES3_NS6_12zip_iteratorINS7_INS6_11hip_rocprim26transform_input_iterator_tIbPN3c108BFloat16ENS6_6detail10functional5actorINSJ_9compositeIJNSJ_27transparent_binary_operatorINS6_8equal_toIvEEEENSK_INSJ_8argumentILj0EEEEENSJ_5valueISG_EEEEEEEEENSD_19counting_iterator_tIlEES8_S8_S8_S8_S8_S8_S8_S8_EEEEPS9_S9_NSD_9__find_if7functorIS9_EEEE10hipError_tPvRmT1_T2_T3_mT4_P12ihipStream_tbEUlT_E0_NS1_11comp_targetILNS1_3genE9ELNS1_11target_archE1100ELNS1_3gpuE3ELNS1_3repE0EEENS1_30default_config_static_selectorELNS0_4arch9wavefront6targetE1EEEvS19_
	.globl	_ZN7rocprim17ROCPRIM_400000_NS6detail17trampoline_kernelINS0_14default_configENS1_22reduce_config_selectorIN6thrust23THRUST_200600_302600_NS5tupleIblNS6_9null_typeES8_S8_S8_S8_S8_S8_S8_EEEEZNS1_11reduce_implILb1ES3_NS6_12zip_iteratorINS7_INS6_11hip_rocprim26transform_input_iterator_tIbPN3c108BFloat16ENS6_6detail10functional5actorINSJ_9compositeIJNSJ_27transparent_binary_operatorINS6_8equal_toIvEEEENSK_INSJ_8argumentILj0EEEEENSJ_5valueISG_EEEEEEEEENSD_19counting_iterator_tIlEES8_S8_S8_S8_S8_S8_S8_S8_EEEEPS9_S9_NSD_9__find_if7functorIS9_EEEE10hipError_tPvRmT1_T2_T3_mT4_P12ihipStream_tbEUlT_E0_NS1_11comp_targetILNS1_3genE9ELNS1_11target_archE1100ELNS1_3gpuE3ELNS1_3repE0EEENS1_30default_config_static_selectorELNS0_4arch9wavefront6targetE1EEEvS19_
	.p2align	8
	.type	_ZN7rocprim17ROCPRIM_400000_NS6detail17trampoline_kernelINS0_14default_configENS1_22reduce_config_selectorIN6thrust23THRUST_200600_302600_NS5tupleIblNS6_9null_typeES8_S8_S8_S8_S8_S8_S8_EEEEZNS1_11reduce_implILb1ES3_NS6_12zip_iteratorINS7_INS6_11hip_rocprim26transform_input_iterator_tIbPN3c108BFloat16ENS6_6detail10functional5actorINSJ_9compositeIJNSJ_27transparent_binary_operatorINS6_8equal_toIvEEEENSK_INSJ_8argumentILj0EEEEENSJ_5valueISG_EEEEEEEEENSD_19counting_iterator_tIlEES8_S8_S8_S8_S8_S8_S8_S8_EEEEPS9_S9_NSD_9__find_if7functorIS9_EEEE10hipError_tPvRmT1_T2_T3_mT4_P12ihipStream_tbEUlT_E0_NS1_11comp_targetILNS1_3genE9ELNS1_11target_archE1100ELNS1_3gpuE3ELNS1_3repE0EEENS1_30default_config_static_selectorELNS0_4arch9wavefront6targetE1EEEvS19_,@function
_ZN7rocprim17ROCPRIM_400000_NS6detail17trampoline_kernelINS0_14default_configENS1_22reduce_config_selectorIN6thrust23THRUST_200600_302600_NS5tupleIblNS6_9null_typeES8_S8_S8_S8_S8_S8_S8_EEEEZNS1_11reduce_implILb1ES3_NS6_12zip_iteratorINS7_INS6_11hip_rocprim26transform_input_iterator_tIbPN3c108BFloat16ENS6_6detail10functional5actorINSJ_9compositeIJNSJ_27transparent_binary_operatorINS6_8equal_toIvEEEENSK_INSJ_8argumentILj0EEEEENSJ_5valueISG_EEEEEEEEENSD_19counting_iterator_tIlEES8_S8_S8_S8_S8_S8_S8_S8_EEEEPS9_S9_NSD_9__find_if7functorIS9_EEEE10hipError_tPvRmT1_T2_T3_mT4_P12ihipStream_tbEUlT_E0_NS1_11comp_targetILNS1_3genE9ELNS1_11target_archE1100ELNS1_3gpuE3ELNS1_3repE0EEENS1_30default_config_static_selectorELNS0_4arch9wavefront6targetE1EEEvS19_: ; @_ZN7rocprim17ROCPRIM_400000_NS6detail17trampoline_kernelINS0_14default_configENS1_22reduce_config_selectorIN6thrust23THRUST_200600_302600_NS5tupleIblNS6_9null_typeES8_S8_S8_S8_S8_S8_S8_EEEEZNS1_11reduce_implILb1ES3_NS6_12zip_iteratorINS7_INS6_11hip_rocprim26transform_input_iterator_tIbPN3c108BFloat16ENS6_6detail10functional5actorINSJ_9compositeIJNSJ_27transparent_binary_operatorINS6_8equal_toIvEEEENSK_INSJ_8argumentILj0EEEEENSJ_5valueISG_EEEEEEEEENSD_19counting_iterator_tIlEES8_S8_S8_S8_S8_S8_S8_S8_EEEEPS9_S9_NSD_9__find_if7functorIS9_EEEE10hipError_tPvRmT1_T2_T3_mT4_P12ihipStream_tbEUlT_E0_NS1_11comp_targetILNS1_3genE9ELNS1_11target_archE1100ELNS1_3gpuE3ELNS1_3repE0EEENS1_30default_config_static_selectorELNS0_4arch9wavefront6targetE1EEEvS19_
; %bb.0:
	.section	.rodata,"a",@progbits
	.p2align	6, 0x0
	.amdhsa_kernel _ZN7rocprim17ROCPRIM_400000_NS6detail17trampoline_kernelINS0_14default_configENS1_22reduce_config_selectorIN6thrust23THRUST_200600_302600_NS5tupleIblNS6_9null_typeES8_S8_S8_S8_S8_S8_S8_EEEEZNS1_11reduce_implILb1ES3_NS6_12zip_iteratorINS7_INS6_11hip_rocprim26transform_input_iterator_tIbPN3c108BFloat16ENS6_6detail10functional5actorINSJ_9compositeIJNSJ_27transparent_binary_operatorINS6_8equal_toIvEEEENSK_INSJ_8argumentILj0EEEEENSJ_5valueISG_EEEEEEEEENSD_19counting_iterator_tIlEES8_S8_S8_S8_S8_S8_S8_S8_EEEEPS9_S9_NSD_9__find_if7functorIS9_EEEE10hipError_tPvRmT1_T2_T3_mT4_P12ihipStream_tbEUlT_E0_NS1_11comp_targetILNS1_3genE9ELNS1_11target_archE1100ELNS1_3gpuE3ELNS1_3repE0EEENS1_30default_config_static_selectorELNS0_4arch9wavefront6targetE1EEEvS19_
		.amdhsa_group_segment_fixed_size 0
		.amdhsa_private_segment_fixed_size 0
		.amdhsa_kernarg_size 88
		.amdhsa_user_sgpr_count 6
		.amdhsa_user_sgpr_private_segment_buffer 1
		.amdhsa_user_sgpr_dispatch_ptr 0
		.amdhsa_user_sgpr_queue_ptr 0
		.amdhsa_user_sgpr_kernarg_segment_ptr 1
		.amdhsa_user_sgpr_dispatch_id 0
		.amdhsa_user_sgpr_flat_scratch_init 0
		.amdhsa_user_sgpr_private_segment_size 0
		.amdhsa_uses_dynamic_stack 0
		.amdhsa_system_sgpr_private_segment_wavefront_offset 0
		.amdhsa_system_sgpr_workgroup_id_x 1
		.amdhsa_system_sgpr_workgroup_id_y 0
		.amdhsa_system_sgpr_workgroup_id_z 0
		.amdhsa_system_sgpr_workgroup_info 0
		.amdhsa_system_vgpr_workitem_id 0
		.amdhsa_next_free_vgpr 1
		.amdhsa_next_free_sgpr 0
		.amdhsa_reserve_vcc 0
		.amdhsa_reserve_flat_scratch 0
		.amdhsa_float_round_mode_32 0
		.amdhsa_float_round_mode_16_64 0
		.amdhsa_float_denorm_mode_32 3
		.amdhsa_float_denorm_mode_16_64 3
		.amdhsa_dx10_clamp 1
		.amdhsa_ieee_mode 1
		.amdhsa_fp16_overflow 0
		.amdhsa_exception_fp_ieee_invalid_op 0
		.amdhsa_exception_fp_denorm_src 0
		.amdhsa_exception_fp_ieee_div_zero 0
		.amdhsa_exception_fp_ieee_overflow 0
		.amdhsa_exception_fp_ieee_underflow 0
		.amdhsa_exception_fp_ieee_inexact 0
		.amdhsa_exception_int_div_zero 0
	.end_amdhsa_kernel
	.section	.text._ZN7rocprim17ROCPRIM_400000_NS6detail17trampoline_kernelINS0_14default_configENS1_22reduce_config_selectorIN6thrust23THRUST_200600_302600_NS5tupleIblNS6_9null_typeES8_S8_S8_S8_S8_S8_S8_EEEEZNS1_11reduce_implILb1ES3_NS6_12zip_iteratorINS7_INS6_11hip_rocprim26transform_input_iterator_tIbPN3c108BFloat16ENS6_6detail10functional5actorINSJ_9compositeIJNSJ_27transparent_binary_operatorINS6_8equal_toIvEEEENSK_INSJ_8argumentILj0EEEEENSJ_5valueISG_EEEEEEEEENSD_19counting_iterator_tIlEES8_S8_S8_S8_S8_S8_S8_S8_EEEEPS9_S9_NSD_9__find_if7functorIS9_EEEE10hipError_tPvRmT1_T2_T3_mT4_P12ihipStream_tbEUlT_E0_NS1_11comp_targetILNS1_3genE9ELNS1_11target_archE1100ELNS1_3gpuE3ELNS1_3repE0EEENS1_30default_config_static_selectorELNS0_4arch9wavefront6targetE1EEEvS19_,"axG",@progbits,_ZN7rocprim17ROCPRIM_400000_NS6detail17trampoline_kernelINS0_14default_configENS1_22reduce_config_selectorIN6thrust23THRUST_200600_302600_NS5tupleIblNS6_9null_typeES8_S8_S8_S8_S8_S8_S8_EEEEZNS1_11reduce_implILb1ES3_NS6_12zip_iteratorINS7_INS6_11hip_rocprim26transform_input_iterator_tIbPN3c108BFloat16ENS6_6detail10functional5actorINSJ_9compositeIJNSJ_27transparent_binary_operatorINS6_8equal_toIvEEEENSK_INSJ_8argumentILj0EEEEENSJ_5valueISG_EEEEEEEEENSD_19counting_iterator_tIlEES8_S8_S8_S8_S8_S8_S8_S8_EEEEPS9_S9_NSD_9__find_if7functorIS9_EEEE10hipError_tPvRmT1_T2_T3_mT4_P12ihipStream_tbEUlT_E0_NS1_11comp_targetILNS1_3genE9ELNS1_11target_archE1100ELNS1_3gpuE3ELNS1_3repE0EEENS1_30default_config_static_selectorELNS0_4arch9wavefront6targetE1EEEvS19_,comdat
.Lfunc_end2095:
	.size	_ZN7rocprim17ROCPRIM_400000_NS6detail17trampoline_kernelINS0_14default_configENS1_22reduce_config_selectorIN6thrust23THRUST_200600_302600_NS5tupleIblNS6_9null_typeES8_S8_S8_S8_S8_S8_S8_EEEEZNS1_11reduce_implILb1ES3_NS6_12zip_iteratorINS7_INS6_11hip_rocprim26transform_input_iterator_tIbPN3c108BFloat16ENS6_6detail10functional5actorINSJ_9compositeIJNSJ_27transparent_binary_operatorINS6_8equal_toIvEEEENSK_INSJ_8argumentILj0EEEEENSJ_5valueISG_EEEEEEEEENSD_19counting_iterator_tIlEES8_S8_S8_S8_S8_S8_S8_S8_EEEEPS9_S9_NSD_9__find_if7functorIS9_EEEE10hipError_tPvRmT1_T2_T3_mT4_P12ihipStream_tbEUlT_E0_NS1_11comp_targetILNS1_3genE9ELNS1_11target_archE1100ELNS1_3gpuE3ELNS1_3repE0EEENS1_30default_config_static_selectorELNS0_4arch9wavefront6targetE1EEEvS19_, .Lfunc_end2095-_ZN7rocprim17ROCPRIM_400000_NS6detail17trampoline_kernelINS0_14default_configENS1_22reduce_config_selectorIN6thrust23THRUST_200600_302600_NS5tupleIblNS6_9null_typeES8_S8_S8_S8_S8_S8_S8_EEEEZNS1_11reduce_implILb1ES3_NS6_12zip_iteratorINS7_INS6_11hip_rocprim26transform_input_iterator_tIbPN3c108BFloat16ENS6_6detail10functional5actorINSJ_9compositeIJNSJ_27transparent_binary_operatorINS6_8equal_toIvEEEENSK_INSJ_8argumentILj0EEEEENSJ_5valueISG_EEEEEEEEENSD_19counting_iterator_tIlEES8_S8_S8_S8_S8_S8_S8_S8_EEEEPS9_S9_NSD_9__find_if7functorIS9_EEEE10hipError_tPvRmT1_T2_T3_mT4_P12ihipStream_tbEUlT_E0_NS1_11comp_targetILNS1_3genE9ELNS1_11target_archE1100ELNS1_3gpuE3ELNS1_3repE0EEENS1_30default_config_static_selectorELNS0_4arch9wavefront6targetE1EEEvS19_
                                        ; -- End function
	.set _ZN7rocprim17ROCPRIM_400000_NS6detail17trampoline_kernelINS0_14default_configENS1_22reduce_config_selectorIN6thrust23THRUST_200600_302600_NS5tupleIblNS6_9null_typeES8_S8_S8_S8_S8_S8_S8_EEEEZNS1_11reduce_implILb1ES3_NS6_12zip_iteratorINS7_INS6_11hip_rocprim26transform_input_iterator_tIbPN3c108BFloat16ENS6_6detail10functional5actorINSJ_9compositeIJNSJ_27transparent_binary_operatorINS6_8equal_toIvEEEENSK_INSJ_8argumentILj0EEEEENSJ_5valueISG_EEEEEEEEENSD_19counting_iterator_tIlEES8_S8_S8_S8_S8_S8_S8_S8_EEEEPS9_S9_NSD_9__find_if7functorIS9_EEEE10hipError_tPvRmT1_T2_T3_mT4_P12ihipStream_tbEUlT_E0_NS1_11comp_targetILNS1_3genE9ELNS1_11target_archE1100ELNS1_3gpuE3ELNS1_3repE0EEENS1_30default_config_static_selectorELNS0_4arch9wavefront6targetE1EEEvS19_.num_vgpr, 0
	.set _ZN7rocprim17ROCPRIM_400000_NS6detail17trampoline_kernelINS0_14default_configENS1_22reduce_config_selectorIN6thrust23THRUST_200600_302600_NS5tupleIblNS6_9null_typeES8_S8_S8_S8_S8_S8_S8_EEEEZNS1_11reduce_implILb1ES3_NS6_12zip_iteratorINS7_INS6_11hip_rocprim26transform_input_iterator_tIbPN3c108BFloat16ENS6_6detail10functional5actorINSJ_9compositeIJNSJ_27transparent_binary_operatorINS6_8equal_toIvEEEENSK_INSJ_8argumentILj0EEEEENSJ_5valueISG_EEEEEEEEENSD_19counting_iterator_tIlEES8_S8_S8_S8_S8_S8_S8_S8_EEEEPS9_S9_NSD_9__find_if7functorIS9_EEEE10hipError_tPvRmT1_T2_T3_mT4_P12ihipStream_tbEUlT_E0_NS1_11comp_targetILNS1_3genE9ELNS1_11target_archE1100ELNS1_3gpuE3ELNS1_3repE0EEENS1_30default_config_static_selectorELNS0_4arch9wavefront6targetE1EEEvS19_.num_agpr, 0
	.set _ZN7rocprim17ROCPRIM_400000_NS6detail17trampoline_kernelINS0_14default_configENS1_22reduce_config_selectorIN6thrust23THRUST_200600_302600_NS5tupleIblNS6_9null_typeES8_S8_S8_S8_S8_S8_S8_EEEEZNS1_11reduce_implILb1ES3_NS6_12zip_iteratorINS7_INS6_11hip_rocprim26transform_input_iterator_tIbPN3c108BFloat16ENS6_6detail10functional5actorINSJ_9compositeIJNSJ_27transparent_binary_operatorINS6_8equal_toIvEEEENSK_INSJ_8argumentILj0EEEEENSJ_5valueISG_EEEEEEEEENSD_19counting_iterator_tIlEES8_S8_S8_S8_S8_S8_S8_S8_EEEEPS9_S9_NSD_9__find_if7functorIS9_EEEE10hipError_tPvRmT1_T2_T3_mT4_P12ihipStream_tbEUlT_E0_NS1_11comp_targetILNS1_3genE9ELNS1_11target_archE1100ELNS1_3gpuE3ELNS1_3repE0EEENS1_30default_config_static_selectorELNS0_4arch9wavefront6targetE1EEEvS19_.numbered_sgpr, 0
	.set _ZN7rocprim17ROCPRIM_400000_NS6detail17trampoline_kernelINS0_14default_configENS1_22reduce_config_selectorIN6thrust23THRUST_200600_302600_NS5tupleIblNS6_9null_typeES8_S8_S8_S8_S8_S8_S8_EEEEZNS1_11reduce_implILb1ES3_NS6_12zip_iteratorINS7_INS6_11hip_rocprim26transform_input_iterator_tIbPN3c108BFloat16ENS6_6detail10functional5actorINSJ_9compositeIJNSJ_27transparent_binary_operatorINS6_8equal_toIvEEEENSK_INSJ_8argumentILj0EEEEENSJ_5valueISG_EEEEEEEEENSD_19counting_iterator_tIlEES8_S8_S8_S8_S8_S8_S8_S8_EEEEPS9_S9_NSD_9__find_if7functorIS9_EEEE10hipError_tPvRmT1_T2_T3_mT4_P12ihipStream_tbEUlT_E0_NS1_11comp_targetILNS1_3genE9ELNS1_11target_archE1100ELNS1_3gpuE3ELNS1_3repE0EEENS1_30default_config_static_selectorELNS0_4arch9wavefront6targetE1EEEvS19_.num_named_barrier, 0
	.set _ZN7rocprim17ROCPRIM_400000_NS6detail17trampoline_kernelINS0_14default_configENS1_22reduce_config_selectorIN6thrust23THRUST_200600_302600_NS5tupleIblNS6_9null_typeES8_S8_S8_S8_S8_S8_S8_EEEEZNS1_11reduce_implILb1ES3_NS6_12zip_iteratorINS7_INS6_11hip_rocprim26transform_input_iterator_tIbPN3c108BFloat16ENS6_6detail10functional5actorINSJ_9compositeIJNSJ_27transparent_binary_operatorINS6_8equal_toIvEEEENSK_INSJ_8argumentILj0EEEEENSJ_5valueISG_EEEEEEEEENSD_19counting_iterator_tIlEES8_S8_S8_S8_S8_S8_S8_S8_EEEEPS9_S9_NSD_9__find_if7functorIS9_EEEE10hipError_tPvRmT1_T2_T3_mT4_P12ihipStream_tbEUlT_E0_NS1_11comp_targetILNS1_3genE9ELNS1_11target_archE1100ELNS1_3gpuE3ELNS1_3repE0EEENS1_30default_config_static_selectorELNS0_4arch9wavefront6targetE1EEEvS19_.private_seg_size, 0
	.set _ZN7rocprim17ROCPRIM_400000_NS6detail17trampoline_kernelINS0_14default_configENS1_22reduce_config_selectorIN6thrust23THRUST_200600_302600_NS5tupleIblNS6_9null_typeES8_S8_S8_S8_S8_S8_S8_EEEEZNS1_11reduce_implILb1ES3_NS6_12zip_iteratorINS7_INS6_11hip_rocprim26transform_input_iterator_tIbPN3c108BFloat16ENS6_6detail10functional5actorINSJ_9compositeIJNSJ_27transparent_binary_operatorINS6_8equal_toIvEEEENSK_INSJ_8argumentILj0EEEEENSJ_5valueISG_EEEEEEEEENSD_19counting_iterator_tIlEES8_S8_S8_S8_S8_S8_S8_S8_EEEEPS9_S9_NSD_9__find_if7functorIS9_EEEE10hipError_tPvRmT1_T2_T3_mT4_P12ihipStream_tbEUlT_E0_NS1_11comp_targetILNS1_3genE9ELNS1_11target_archE1100ELNS1_3gpuE3ELNS1_3repE0EEENS1_30default_config_static_selectorELNS0_4arch9wavefront6targetE1EEEvS19_.uses_vcc, 0
	.set _ZN7rocprim17ROCPRIM_400000_NS6detail17trampoline_kernelINS0_14default_configENS1_22reduce_config_selectorIN6thrust23THRUST_200600_302600_NS5tupleIblNS6_9null_typeES8_S8_S8_S8_S8_S8_S8_EEEEZNS1_11reduce_implILb1ES3_NS6_12zip_iteratorINS7_INS6_11hip_rocprim26transform_input_iterator_tIbPN3c108BFloat16ENS6_6detail10functional5actorINSJ_9compositeIJNSJ_27transparent_binary_operatorINS6_8equal_toIvEEEENSK_INSJ_8argumentILj0EEEEENSJ_5valueISG_EEEEEEEEENSD_19counting_iterator_tIlEES8_S8_S8_S8_S8_S8_S8_S8_EEEEPS9_S9_NSD_9__find_if7functorIS9_EEEE10hipError_tPvRmT1_T2_T3_mT4_P12ihipStream_tbEUlT_E0_NS1_11comp_targetILNS1_3genE9ELNS1_11target_archE1100ELNS1_3gpuE3ELNS1_3repE0EEENS1_30default_config_static_selectorELNS0_4arch9wavefront6targetE1EEEvS19_.uses_flat_scratch, 0
	.set _ZN7rocprim17ROCPRIM_400000_NS6detail17trampoline_kernelINS0_14default_configENS1_22reduce_config_selectorIN6thrust23THRUST_200600_302600_NS5tupleIblNS6_9null_typeES8_S8_S8_S8_S8_S8_S8_EEEEZNS1_11reduce_implILb1ES3_NS6_12zip_iteratorINS7_INS6_11hip_rocprim26transform_input_iterator_tIbPN3c108BFloat16ENS6_6detail10functional5actorINSJ_9compositeIJNSJ_27transparent_binary_operatorINS6_8equal_toIvEEEENSK_INSJ_8argumentILj0EEEEENSJ_5valueISG_EEEEEEEEENSD_19counting_iterator_tIlEES8_S8_S8_S8_S8_S8_S8_S8_EEEEPS9_S9_NSD_9__find_if7functorIS9_EEEE10hipError_tPvRmT1_T2_T3_mT4_P12ihipStream_tbEUlT_E0_NS1_11comp_targetILNS1_3genE9ELNS1_11target_archE1100ELNS1_3gpuE3ELNS1_3repE0EEENS1_30default_config_static_selectorELNS0_4arch9wavefront6targetE1EEEvS19_.has_dyn_sized_stack, 0
	.set _ZN7rocprim17ROCPRIM_400000_NS6detail17trampoline_kernelINS0_14default_configENS1_22reduce_config_selectorIN6thrust23THRUST_200600_302600_NS5tupleIblNS6_9null_typeES8_S8_S8_S8_S8_S8_S8_EEEEZNS1_11reduce_implILb1ES3_NS6_12zip_iteratorINS7_INS6_11hip_rocprim26transform_input_iterator_tIbPN3c108BFloat16ENS6_6detail10functional5actorINSJ_9compositeIJNSJ_27transparent_binary_operatorINS6_8equal_toIvEEEENSK_INSJ_8argumentILj0EEEEENSJ_5valueISG_EEEEEEEEENSD_19counting_iterator_tIlEES8_S8_S8_S8_S8_S8_S8_S8_EEEEPS9_S9_NSD_9__find_if7functorIS9_EEEE10hipError_tPvRmT1_T2_T3_mT4_P12ihipStream_tbEUlT_E0_NS1_11comp_targetILNS1_3genE9ELNS1_11target_archE1100ELNS1_3gpuE3ELNS1_3repE0EEENS1_30default_config_static_selectorELNS0_4arch9wavefront6targetE1EEEvS19_.has_recursion, 0
	.set _ZN7rocprim17ROCPRIM_400000_NS6detail17trampoline_kernelINS0_14default_configENS1_22reduce_config_selectorIN6thrust23THRUST_200600_302600_NS5tupleIblNS6_9null_typeES8_S8_S8_S8_S8_S8_S8_EEEEZNS1_11reduce_implILb1ES3_NS6_12zip_iteratorINS7_INS6_11hip_rocprim26transform_input_iterator_tIbPN3c108BFloat16ENS6_6detail10functional5actorINSJ_9compositeIJNSJ_27transparent_binary_operatorINS6_8equal_toIvEEEENSK_INSJ_8argumentILj0EEEEENSJ_5valueISG_EEEEEEEEENSD_19counting_iterator_tIlEES8_S8_S8_S8_S8_S8_S8_S8_EEEEPS9_S9_NSD_9__find_if7functorIS9_EEEE10hipError_tPvRmT1_T2_T3_mT4_P12ihipStream_tbEUlT_E0_NS1_11comp_targetILNS1_3genE9ELNS1_11target_archE1100ELNS1_3gpuE3ELNS1_3repE0EEENS1_30default_config_static_selectorELNS0_4arch9wavefront6targetE1EEEvS19_.has_indirect_call, 0
	.section	.AMDGPU.csdata,"",@progbits
; Kernel info:
; codeLenInByte = 0
; TotalNumSgprs: 4
; NumVgprs: 0
; ScratchSize: 0
; MemoryBound: 0
; FloatMode: 240
; IeeeMode: 1
; LDSByteSize: 0 bytes/workgroup (compile time only)
; SGPRBlocks: 0
; VGPRBlocks: 0
; NumSGPRsForWavesPerEU: 4
; NumVGPRsForWavesPerEU: 1
; Occupancy: 10
; WaveLimiterHint : 0
; COMPUTE_PGM_RSRC2:SCRATCH_EN: 0
; COMPUTE_PGM_RSRC2:USER_SGPR: 6
; COMPUTE_PGM_RSRC2:TRAP_HANDLER: 0
; COMPUTE_PGM_RSRC2:TGID_X_EN: 1
; COMPUTE_PGM_RSRC2:TGID_Y_EN: 0
; COMPUTE_PGM_RSRC2:TGID_Z_EN: 0
; COMPUTE_PGM_RSRC2:TIDIG_COMP_CNT: 0
	.section	.text._ZN7rocprim17ROCPRIM_400000_NS6detail17trampoline_kernelINS0_14default_configENS1_22reduce_config_selectorIN6thrust23THRUST_200600_302600_NS5tupleIblNS6_9null_typeES8_S8_S8_S8_S8_S8_S8_EEEEZNS1_11reduce_implILb1ES3_NS6_12zip_iteratorINS7_INS6_11hip_rocprim26transform_input_iterator_tIbPN3c108BFloat16ENS6_6detail10functional5actorINSJ_9compositeIJNSJ_27transparent_binary_operatorINS6_8equal_toIvEEEENSK_INSJ_8argumentILj0EEEEENSJ_5valueISG_EEEEEEEEENSD_19counting_iterator_tIlEES8_S8_S8_S8_S8_S8_S8_S8_EEEEPS9_S9_NSD_9__find_if7functorIS9_EEEE10hipError_tPvRmT1_T2_T3_mT4_P12ihipStream_tbEUlT_E0_NS1_11comp_targetILNS1_3genE8ELNS1_11target_archE1030ELNS1_3gpuE2ELNS1_3repE0EEENS1_30default_config_static_selectorELNS0_4arch9wavefront6targetE1EEEvS19_,"axG",@progbits,_ZN7rocprim17ROCPRIM_400000_NS6detail17trampoline_kernelINS0_14default_configENS1_22reduce_config_selectorIN6thrust23THRUST_200600_302600_NS5tupleIblNS6_9null_typeES8_S8_S8_S8_S8_S8_S8_EEEEZNS1_11reduce_implILb1ES3_NS6_12zip_iteratorINS7_INS6_11hip_rocprim26transform_input_iterator_tIbPN3c108BFloat16ENS6_6detail10functional5actorINSJ_9compositeIJNSJ_27transparent_binary_operatorINS6_8equal_toIvEEEENSK_INSJ_8argumentILj0EEEEENSJ_5valueISG_EEEEEEEEENSD_19counting_iterator_tIlEES8_S8_S8_S8_S8_S8_S8_S8_EEEEPS9_S9_NSD_9__find_if7functorIS9_EEEE10hipError_tPvRmT1_T2_T3_mT4_P12ihipStream_tbEUlT_E0_NS1_11comp_targetILNS1_3genE8ELNS1_11target_archE1030ELNS1_3gpuE2ELNS1_3repE0EEENS1_30default_config_static_selectorELNS0_4arch9wavefront6targetE1EEEvS19_,comdat
	.protected	_ZN7rocprim17ROCPRIM_400000_NS6detail17trampoline_kernelINS0_14default_configENS1_22reduce_config_selectorIN6thrust23THRUST_200600_302600_NS5tupleIblNS6_9null_typeES8_S8_S8_S8_S8_S8_S8_EEEEZNS1_11reduce_implILb1ES3_NS6_12zip_iteratorINS7_INS6_11hip_rocprim26transform_input_iterator_tIbPN3c108BFloat16ENS6_6detail10functional5actorINSJ_9compositeIJNSJ_27transparent_binary_operatorINS6_8equal_toIvEEEENSK_INSJ_8argumentILj0EEEEENSJ_5valueISG_EEEEEEEEENSD_19counting_iterator_tIlEES8_S8_S8_S8_S8_S8_S8_S8_EEEEPS9_S9_NSD_9__find_if7functorIS9_EEEE10hipError_tPvRmT1_T2_T3_mT4_P12ihipStream_tbEUlT_E0_NS1_11comp_targetILNS1_3genE8ELNS1_11target_archE1030ELNS1_3gpuE2ELNS1_3repE0EEENS1_30default_config_static_selectorELNS0_4arch9wavefront6targetE1EEEvS19_ ; -- Begin function _ZN7rocprim17ROCPRIM_400000_NS6detail17trampoline_kernelINS0_14default_configENS1_22reduce_config_selectorIN6thrust23THRUST_200600_302600_NS5tupleIblNS6_9null_typeES8_S8_S8_S8_S8_S8_S8_EEEEZNS1_11reduce_implILb1ES3_NS6_12zip_iteratorINS7_INS6_11hip_rocprim26transform_input_iterator_tIbPN3c108BFloat16ENS6_6detail10functional5actorINSJ_9compositeIJNSJ_27transparent_binary_operatorINS6_8equal_toIvEEEENSK_INSJ_8argumentILj0EEEEENSJ_5valueISG_EEEEEEEEENSD_19counting_iterator_tIlEES8_S8_S8_S8_S8_S8_S8_S8_EEEEPS9_S9_NSD_9__find_if7functorIS9_EEEE10hipError_tPvRmT1_T2_T3_mT4_P12ihipStream_tbEUlT_E0_NS1_11comp_targetILNS1_3genE8ELNS1_11target_archE1030ELNS1_3gpuE2ELNS1_3repE0EEENS1_30default_config_static_selectorELNS0_4arch9wavefront6targetE1EEEvS19_
	.globl	_ZN7rocprim17ROCPRIM_400000_NS6detail17trampoline_kernelINS0_14default_configENS1_22reduce_config_selectorIN6thrust23THRUST_200600_302600_NS5tupleIblNS6_9null_typeES8_S8_S8_S8_S8_S8_S8_EEEEZNS1_11reduce_implILb1ES3_NS6_12zip_iteratorINS7_INS6_11hip_rocprim26transform_input_iterator_tIbPN3c108BFloat16ENS6_6detail10functional5actorINSJ_9compositeIJNSJ_27transparent_binary_operatorINS6_8equal_toIvEEEENSK_INSJ_8argumentILj0EEEEENSJ_5valueISG_EEEEEEEEENSD_19counting_iterator_tIlEES8_S8_S8_S8_S8_S8_S8_S8_EEEEPS9_S9_NSD_9__find_if7functorIS9_EEEE10hipError_tPvRmT1_T2_T3_mT4_P12ihipStream_tbEUlT_E0_NS1_11comp_targetILNS1_3genE8ELNS1_11target_archE1030ELNS1_3gpuE2ELNS1_3repE0EEENS1_30default_config_static_selectorELNS0_4arch9wavefront6targetE1EEEvS19_
	.p2align	8
	.type	_ZN7rocprim17ROCPRIM_400000_NS6detail17trampoline_kernelINS0_14default_configENS1_22reduce_config_selectorIN6thrust23THRUST_200600_302600_NS5tupleIblNS6_9null_typeES8_S8_S8_S8_S8_S8_S8_EEEEZNS1_11reduce_implILb1ES3_NS6_12zip_iteratorINS7_INS6_11hip_rocprim26transform_input_iterator_tIbPN3c108BFloat16ENS6_6detail10functional5actorINSJ_9compositeIJNSJ_27transparent_binary_operatorINS6_8equal_toIvEEEENSK_INSJ_8argumentILj0EEEEENSJ_5valueISG_EEEEEEEEENSD_19counting_iterator_tIlEES8_S8_S8_S8_S8_S8_S8_S8_EEEEPS9_S9_NSD_9__find_if7functorIS9_EEEE10hipError_tPvRmT1_T2_T3_mT4_P12ihipStream_tbEUlT_E0_NS1_11comp_targetILNS1_3genE8ELNS1_11target_archE1030ELNS1_3gpuE2ELNS1_3repE0EEENS1_30default_config_static_selectorELNS0_4arch9wavefront6targetE1EEEvS19_,@function
_ZN7rocprim17ROCPRIM_400000_NS6detail17trampoline_kernelINS0_14default_configENS1_22reduce_config_selectorIN6thrust23THRUST_200600_302600_NS5tupleIblNS6_9null_typeES8_S8_S8_S8_S8_S8_S8_EEEEZNS1_11reduce_implILb1ES3_NS6_12zip_iteratorINS7_INS6_11hip_rocprim26transform_input_iterator_tIbPN3c108BFloat16ENS6_6detail10functional5actorINSJ_9compositeIJNSJ_27transparent_binary_operatorINS6_8equal_toIvEEEENSK_INSJ_8argumentILj0EEEEENSJ_5valueISG_EEEEEEEEENSD_19counting_iterator_tIlEES8_S8_S8_S8_S8_S8_S8_S8_EEEEPS9_S9_NSD_9__find_if7functorIS9_EEEE10hipError_tPvRmT1_T2_T3_mT4_P12ihipStream_tbEUlT_E0_NS1_11comp_targetILNS1_3genE8ELNS1_11target_archE1030ELNS1_3gpuE2ELNS1_3repE0EEENS1_30default_config_static_selectorELNS0_4arch9wavefront6targetE1EEEvS19_: ; @_ZN7rocprim17ROCPRIM_400000_NS6detail17trampoline_kernelINS0_14default_configENS1_22reduce_config_selectorIN6thrust23THRUST_200600_302600_NS5tupleIblNS6_9null_typeES8_S8_S8_S8_S8_S8_S8_EEEEZNS1_11reduce_implILb1ES3_NS6_12zip_iteratorINS7_INS6_11hip_rocprim26transform_input_iterator_tIbPN3c108BFloat16ENS6_6detail10functional5actorINSJ_9compositeIJNSJ_27transparent_binary_operatorINS6_8equal_toIvEEEENSK_INSJ_8argumentILj0EEEEENSJ_5valueISG_EEEEEEEEENSD_19counting_iterator_tIlEES8_S8_S8_S8_S8_S8_S8_S8_EEEEPS9_S9_NSD_9__find_if7functorIS9_EEEE10hipError_tPvRmT1_T2_T3_mT4_P12ihipStream_tbEUlT_E0_NS1_11comp_targetILNS1_3genE8ELNS1_11target_archE1030ELNS1_3gpuE2ELNS1_3repE0EEENS1_30default_config_static_selectorELNS0_4arch9wavefront6targetE1EEEvS19_
; %bb.0:
	.section	.rodata,"a",@progbits
	.p2align	6, 0x0
	.amdhsa_kernel _ZN7rocprim17ROCPRIM_400000_NS6detail17trampoline_kernelINS0_14default_configENS1_22reduce_config_selectorIN6thrust23THRUST_200600_302600_NS5tupleIblNS6_9null_typeES8_S8_S8_S8_S8_S8_S8_EEEEZNS1_11reduce_implILb1ES3_NS6_12zip_iteratorINS7_INS6_11hip_rocprim26transform_input_iterator_tIbPN3c108BFloat16ENS6_6detail10functional5actorINSJ_9compositeIJNSJ_27transparent_binary_operatorINS6_8equal_toIvEEEENSK_INSJ_8argumentILj0EEEEENSJ_5valueISG_EEEEEEEEENSD_19counting_iterator_tIlEES8_S8_S8_S8_S8_S8_S8_S8_EEEEPS9_S9_NSD_9__find_if7functorIS9_EEEE10hipError_tPvRmT1_T2_T3_mT4_P12ihipStream_tbEUlT_E0_NS1_11comp_targetILNS1_3genE8ELNS1_11target_archE1030ELNS1_3gpuE2ELNS1_3repE0EEENS1_30default_config_static_selectorELNS0_4arch9wavefront6targetE1EEEvS19_
		.amdhsa_group_segment_fixed_size 0
		.amdhsa_private_segment_fixed_size 0
		.amdhsa_kernarg_size 88
		.amdhsa_user_sgpr_count 6
		.amdhsa_user_sgpr_private_segment_buffer 1
		.amdhsa_user_sgpr_dispatch_ptr 0
		.amdhsa_user_sgpr_queue_ptr 0
		.amdhsa_user_sgpr_kernarg_segment_ptr 1
		.amdhsa_user_sgpr_dispatch_id 0
		.amdhsa_user_sgpr_flat_scratch_init 0
		.amdhsa_user_sgpr_private_segment_size 0
		.amdhsa_uses_dynamic_stack 0
		.amdhsa_system_sgpr_private_segment_wavefront_offset 0
		.amdhsa_system_sgpr_workgroup_id_x 1
		.amdhsa_system_sgpr_workgroup_id_y 0
		.amdhsa_system_sgpr_workgroup_id_z 0
		.amdhsa_system_sgpr_workgroup_info 0
		.amdhsa_system_vgpr_workitem_id 0
		.amdhsa_next_free_vgpr 1
		.amdhsa_next_free_sgpr 0
		.amdhsa_reserve_vcc 0
		.amdhsa_reserve_flat_scratch 0
		.amdhsa_float_round_mode_32 0
		.amdhsa_float_round_mode_16_64 0
		.amdhsa_float_denorm_mode_32 3
		.amdhsa_float_denorm_mode_16_64 3
		.amdhsa_dx10_clamp 1
		.amdhsa_ieee_mode 1
		.amdhsa_fp16_overflow 0
		.amdhsa_exception_fp_ieee_invalid_op 0
		.amdhsa_exception_fp_denorm_src 0
		.amdhsa_exception_fp_ieee_div_zero 0
		.amdhsa_exception_fp_ieee_overflow 0
		.amdhsa_exception_fp_ieee_underflow 0
		.amdhsa_exception_fp_ieee_inexact 0
		.amdhsa_exception_int_div_zero 0
	.end_amdhsa_kernel
	.section	.text._ZN7rocprim17ROCPRIM_400000_NS6detail17trampoline_kernelINS0_14default_configENS1_22reduce_config_selectorIN6thrust23THRUST_200600_302600_NS5tupleIblNS6_9null_typeES8_S8_S8_S8_S8_S8_S8_EEEEZNS1_11reduce_implILb1ES3_NS6_12zip_iteratorINS7_INS6_11hip_rocprim26transform_input_iterator_tIbPN3c108BFloat16ENS6_6detail10functional5actorINSJ_9compositeIJNSJ_27transparent_binary_operatorINS6_8equal_toIvEEEENSK_INSJ_8argumentILj0EEEEENSJ_5valueISG_EEEEEEEEENSD_19counting_iterator_tIlEES8_S8_S8_S8_S8_S8_S8_S8_EEEEPS9_S9_NSD_9__find_if7functorIS9_EEEE10hipError_tPvRmT1_T2_T3_mT4_P12ihipStream_tbEUlT_E0_NS1_11comp_targetILNS1_3genE8ELNS1_11target_archE1030ELNS1_3gpuE2ELNS1_3repE0EEENS1_30default_config_static_selectorELNS0_4arch9wavefront6targetE1EEEvS19_,"axG",@progbits,_ZN7rocprim17ROCPRIM_400000_NS6detail17trampoline_kernelINS0_14default_configENS1_22reduce_config_selectorIN6thrust23THRUST_200600_302600_NS5tupleIblNS6_9null_typeES8_S8_S8_S8_S8_S8_S8_EEEEZNS1_11reduce_implILb1ES3_NS6_12zip_iteratorINS7_INS6_11hip_rocprim26transform_input_iterator_tIbPN3c108BFloat16ENS6_6detail10functional5actorINSJ_9compositeIJNSJ_27transparent_binary_operatorINS6_8equal_toIvEEEENSK_INSJ_8argumentILj0EEEEENSJ_5valueISG_EEEEEEEEENSD_19counting_iterator_tIlEES8_S8_S8_S8_S8_S8_S8_S8_EEEEPS9_S9_NSD_9__find_if7functorIS9_EEEE10hipError_tPvRmT1_T2_T3_mT4_P12ihipStream_tbEUlT_E0_NS1_11comp_targetILNS1_3genE8ELNS1_11target_archE1030ELNS1_3gpuE2ELNS1_3repE0EEENS1_30default_config_static_selectorELNS0_4arch9wavefront6targetE1EEEvS19_,comdat
.Lfunc_end2096:
	.size	_ZN7rocprim17ROCPRIM_400000_NS6detail17trampoline_kernelINS0_14default_configENS1_22reduce_config_selectorIN6thrust23THRUST_200600_302600_NS5tupleIblNS6_9null_typeES8_S8_S8_S8_S8_S8_S8_EEEEZNS1_11reduce_implILb1ES3_NS6_12zip_iteratorINS7_INS6_11hip_rocprim26transform_input_iterator_tIbPN3c108BFloat16ENS6_6detail10functional5actorINSJ_9compositeIJNSJ_27transparent_binary_operatorINS6_8equal_toIvEEEENSK_INSJ_8argumentILj0EEEEENSJ_5valueISG_EEEEEEEEENSD_19counting_iterator_tIlEES8_S8_S8_S8_S8_S8_S8_S8_EEEEPS9_S9_NSD_9__find_if7functorIS9_EEEE10hipError_tPvRmT1_T2_T3_mT4_P12ihipStream_tbEUlT_E0_NS1_11comp_targetILNS1_3genE8ELNS1_11target_archE1030ELNS1_3gpuE2ELNS1_3repE0EEENS1_30default_config_static_selectorELNS0_4arch9wavefront6targetE1EEEvS19_, .Lfunc_end2096-_ZN7rocprim17ROCPRIM_400000_NS6detail17trampoline_kernelINS0_14default_configENS1_22reduce_config_selectorIN6thrust23THRUST_200600_302600_NS5tupleIblNS6_9null_typeES8_S8_S8_S8_S8_S8_S8_EEEEZNS1_11reduce_implILb1ES3_NS6_12zip_iteratorINS7_INS6_11hip_rocprim26transform_input_iterator_tIbPN3c108BFloat16ENS6_6detail10functional5actorINSJ_9compositeIJNSJ_27transparent_binary_operatorINS6_8equal_toIvEEEENSK_INSJ_8argumentILj0EEEEENSJ_5valueISG_EEEEEEEEENSD_19counting_iterator_tIlEES8_S8_S8_S8_S8_S8_S8_S8_EEEEPS9_S9_NSD_9__find_if7functorIS9_EEEE10hipError_tPvRmT1_T2_T3_mT4_P12ihipStream_tbEUlT_E0_NS1_11comp_targetILNS1_3genE8ELNS1_11target_archE1030ELNS1_3gpuE2ELNS1_3repE0EEENS1_30default_config_static_selectorELNS0_4arch9wavefront6targetE1EEEvS19_
                                        ; -- End function
	.set _ZN7rocprim17ROCPRIM_400000_NS6detail17trampoline_kernelINS0_14default_configENS1_22reduce_config_selectorIN6thrust23THRUST_200600_302600_NS5tupleIblNS6_9null_typeES8_S8_S8_S8_S8_S8_S8_EEEEZNS1_11reduce_implILb1ES3_NS6_12zip_iteratorINS7_INS6_11hip_rocprim26transform_input_iterator_tIbPN3c108BFloat16ENS6_6detail10functional5actorINSJ_9compositeIJNSJ_27transparent_binary_operatorINS6_8equal_toIvEEEENSK_INSJ_8argumentILj0EEEEENSJ_5valueISG_EEEEEEEEENSD_19counting_iterator_tIlEES8_S8_S8_S8_S8_S8_S8_S8_EEEEPS9_S9_NSD_9__find_if7functorIS9_EEEE10hipError_tPvRmT1_T2_T3_mT4_P12ihipStream_tbEUlT_E0_NS1_11comp_targetILNS1_3genE8ELNS1_11target_archE1030ELNS1_3gpuE2ELNS1_3repE0EEENS1_30default_config_static_selectorELNS0_4arch9wavefront6targetE1EEEvS19_.num_vgpr, 0
	.set _ZN7rocprim17ROCPRIM_400000_NS6detail17trampoline_kernelINS0_14default_configENS1_22reduce_config_selectorIN6thrust23THRUST_200600_302600_NS5tupleIblNS6_9null_typeES8_S8_S8_S8_S8_S8_S8_EEEEZNS1_11reduce_implILb1ES3_NS6_12zip_iteratorINS7_INS6_11hip_rocprim26transform_input_iterator_tIbPN3c108BFloat16ENS6_6detail10functional5actorINSJ_9compositeIJNSJ_27transparent_binary_operatorINS6_8equal_toIvEEEENSK_INSJ_8argumentILj0EEEEENSJ_5valueISG_EEEEEEEEENSD_19counting_iterator_tIlEES8_S8_S8_S8_S8_S8_S8_S8_EEEEPS9_S9_NSD_9__find_if7functorIS9_EEEE10hipError_tPvRmT1_T2_T3_mT4_P12ihipStream_tbEUlT_E0_NS1_11comp_targetILNS1_3genE8ELNS1_11target_archE1030ELNS1_3gpuE2ELNS1_3repE0EEENS1_30default_config_static_selectorELNS0_4arch9wavefront6targetE1EEEvS19_.num_agpr, 0
	.set _ZN7rocprim17ROCPRIM_400000_NS6detail17trampoline_kernelINS0_14default_configENS1_22reduce_config_selectorIN6thrust23THRUST_200600_302600_NS5tupleIblNS6_9null_typeES8_S8_S8_S8_S8_S8_S8_EEEEZNS1_11reduce_implILb1ES3_NS6_12zip_iteratorINS7_INS6_11hip_rocprim26transform_input_iterator_tIbPN3c108BFloat16ENS6_6detail10functional5actorINSJ_9compositeIJNSJ_27transparent_binary_operatorINS6_8equal_toIvEEEENSK_INSJ_8argumentILj0EEEEENSJ_5valueISG_EEEEEEEEENSD_19counting_iterator_tIlEES8_S8_S8_S8_S8_S8_S8_S8_EEEEPS9_S9_NSD_9__find_if7functorIS9_EEEE10hipError_tPvRmT1_T2_T3_mT4_P12ihipStream_tbEUlT_E0_NS1_11comp_targetILNS1_3genE8ELNS1_11target_archE1030ELNS1_3gpuE2ELNS1_3repE0EEENS1_30default_config_static_selectorELNS0_4arch9wavefront6targetE1EEEvS19_.numbered_sgpr, 0
	.set _ZN7rocprim17ROCPRIM_400000_NS6detail17trampoline_kernelINS0_14default_configENS1_22reduce_config_selectorIN6thrust23THRUST_200600_302600_NS5tupleIblNS6_9null_typeES8_S8_S8_S8_S8_S8_S8_EEEEZNS1_11reduce_implILb1ES3_NS6_12zip_iteratorINS7_INS6_11hip_rocprim26transform_input_iterator_tIbPN3c108BFloat16ENS6_6detail10functional5actorINSJ_9compositeIJNSJ_27transparent_binary_operatorINS6_8equal_toIvEEEENSK_INSJ_8argumentILj0EEEEENSJ_5valueISG_EEEEEEEEENSD_19counting_iterator_tIlEES8_S8_S8_S8_S8_S8_S8_S8_EEEEPS9_S9_NSD_9__find_if7functorIS9_EEEE10hipError_tPvRmT1_T2_T3_mT4_P12ihipStream_tbEUlT_E0_NS1_11comp_targetILNS1_3genE8ELNS1_11target_archE1030ELNS1_3gpuE2ELNS1_3repE0EEENS1_30default_config_static_selectorELNS0_4arch9wavefront6targetE1EEEvS19_.num_named_barrier, 0
	.set _ZN7rocprim17ROCPRIM_400000_NS6detail17trampoline_kernelINS0_14default_configENS1_22reduce_config_selectorIN6thrust23THRUST_200600_302600_NS5tupleIblNS6_9null_typeES8_S8_S8_S8_S8_S8_S8_EEEEZNS1_11reduce_implILb1ES3_NS6_12zip_iteratorINS7_INS6_11hip_rocprim26transform_input_iterator_tIbPN3c108BFloat16ENS6_6detail10functional5actorINSJ_9compositeIJNSJ_27transparent_binary_operatorINS6_8equal_toIvEEEENSK_INSJ_8argumentILj0EEEEENSJ_5valueISG_EEEEEEEEENSD_19counting_iterator_tIlEES8_S8_S8_S8_S8_S8_S8_S8_EEEEPS9_S9_NSD_9__find_if7functorIS9_EEEE10hipError_tPvRmT1_T2_T3_mT4_P12ihipStream_tbEUlT_E0_NS1_11comp_targetILNS1_3genE8ELNS1_11target_archE1030ELNS1_3gpuE2ELNS1_3repE0EEENS1_30default_config_static_selectorELNS0_4arch9wavefront6targetE1EEEvS19_.private_seg_size, 0
	.set _ZN7rocprim17ROCPRIM_400000_NS6detail17trampoline_kernelINS0_14default_configENS1_22reduce_config_selectorIN6thrust23THRUST_200600_302600_NS5tupleIblNS6_9null_typeES8_S8_S8_S8_S8_S8_S8_EEEEZNS1_11reduce_implILb1ES3_NS6_12zip_iteratorINS7_INS6_11hip_rocprim26transform_input_iterator_tIbPN3c108BFloat16ENS6_6detail10functional5actorINSJ_9compositeIJNSJ_27transparent_binary_operatorINS6_8equal_toIvEEEENSK_INSJ_8argumentILj0EEEEENSJ_5valueISG_EEEEEEEEENSD_19counting_iterator_tIlEES8_S8_S8_S8_S8_S8_S8_S8_EEEEPS9_S9_NSD_9__find_if7functorIS9_EEEE10hipError_tPvRmT1_T2_T3_mT4_P12ihipStream_tbEUlT_E0_NS1_11comp_targetILNS1_3genE8ELNS1_11target_archE1030ELNS1_3gpuE2ELNS1_3repE0EEENS1_30default_config_static_selectorELNS0_4arch9wavefront6targetE1EEEvS19_.uses_vcc, 0
	.set _ZN7rocprim17ROCPRIM_400000_NS6detail17trampoline_kernelINS0_14default_configENS1_22reduce_config_selectorIN6thrust23THRUST_200600_302600_NS5tupleIblNS6_9null_typeES8_S8_S8_S8_S8_S8_S8_EEEEZNS1_11reduce_implILb1ES3_NS6_12zip_iteratorINS7_INS6_11hip_rocprim26transform_input_iterator_tIbPN3c108BFloat16ENS6_6detail10functional5actorINSJ_9compositeIJNSJ_27transparent_binary_operatorINS6_8equal_toIvEEEENSK_INSJ_8argumentILj0EEEEENSJ_5valueISG_EEEEEEEEENSD_19counting_iterator_tIlEES8_S8_S8_S8_S8_S8_S8_S8_EEEEPS9_S9_NSD_9__find_if7functorIS9_EEEE10hipError_tPvRmT1_T2_T3_mT4_P12ihipStream_tbEUlT_E0_NS1_11comp_targetILNS1_3genE8ELNS1_11target_archE1030ELNS1_3gpuE2ELNS1_3repE0EEENS1_30default_config_static_selectorELNS0_4arch9wavefront6targetE1EEEvS19_.uses_flat_scratch, 0
	.set _ZN7rocprim17ROCPRIM_400000_NS6detail17trampoline_kernelINS0_14default_configENS1_22reduce_config_selectorIN6thrust23THRUST_200600_302600_NS5tupleIblNS6_9null_typeES8_S8_S8_S8_S8_S8_S8_EEEEZNS1_11reduce_implILb1ES3_NS6_12zip_iteratorINS7_INS6_11hip_rocprim26transform_input_iterator_tIbPN3c108BFloat16ENS6_6detail10functional5actorINSJ_9compositeIJNSJ_27transparent_binary_operatorINS6_8equal_toIvEEEENSK_INSJ_8argumentILj0EEEEENSJ_5valueISG_EEEEEEEEENSD_19counting_iterator_tIlEES8_S8_S8_S8_S8_S8_S8_S8_EEEEPS9_S9_NSD_9__find_if7functorIS9_EEEE10hipError_tPvRmT1_T2_T3_mT4_P12ihipStream_tbEUlT_E0_NS1_11comp_targetILNS1_3genE8ELNS1_11target_archE1030ELNS1_3gpuE2ELNS1_3repE0EEENS1_30default_config_static_selectorELNS0_4arch9wavefront6targetE1EEEvS19_.has_dyn_sized_stack, 0
	.set _ZN7rocprim17ROCPRIM_400000_NS6detail17trampoline_kernelINS0_14default_configENS1_22reduce_config_selectorIN6thrust23THRUST_200600_302600_NS5tupleIblNS6_9null_typeES8_S8_S8_S8_S8_S8_S8_EEEEZNS1_11reduce_implILb1ES3_NS6_12zip_iteratorINS7_INS6_11hip_rocprim26transform_input_iterator_tIbPN3c108BFloat16ENS6_6detail10functional5actorINSJ_9compositeIJNSJ_27transparent_binary_operatorINS6_8equal_toIvEEEENSK_INSJ_8argumentILj0EEEEENSJ_5valueISG_EEEEEEEEENSD_19counting_iterator_tIlEES8_S8_S8_S8_S8_S8_S8_S8_EEEEPS9_S9_NSD_9__find_if7functorIS9_EEEE10hipError_tPvRmT1_T2_T3_mT4_P12ihipStream_tbEUlT_E0_NS1_11comp_targetILNS1_3genE8ELNS1_11target_archE1030ELNS1_3gpuE2ELNS1_3repE0EEENS1_30default_config_static_selectorELNS0_4arch9wavefront6targetE1EEEvS19_.has_recursion, 0
	.set _ZN7rocprim17ROCPRIM_400000_NS6detail17trampoline_kernelINS0_14default_configENS1_22reduce_config_selectorIN6thrust23THRUST_200600_302600_NS5tupleIblNS6_9null_typeES8_S8_S8_S8_S8_S8_S8_EEEEZNS1_11reduce_implILb1ES3_NS6_12zip_iteratorINS7_INS6_11hip_rocprim26transform_input_iterator_tIbPN3c108BFloat16ENS6_6detail10functional5actorINSJ_9compositeIJNSJ_27transparent_binary_operatorINS6_8equal_toIvEEEENSK_INSJ_8argumentILj0EEEEENSJ_5valueISG_EEEEEEEEENSD_19counting_iterator_tIlEES8_S8_S8_S8_S8_S8_S8_S8_EEEEPS9_S9_NSD_9__find_if7functorIS9_EEEE10hipError_tPvRmT1_T2_T3_mT4_P12ihipStream_tbEUlT_E0_NS1_11comp_targetILNS1_3genE8ELNS1_11target_archE1030ELNS1_3gpuE2ELNS1_3repE0EEENS1_30default_config_static_selectorELNS0_4arch9wavefront6targetE1EEEvS19_.has_indirect_call, 0
	.section	.AMDGPU.csdata,"",@progbits
; Kernel info:
; codeLenInByte = 0
; TotalNumSgprs: 4
; NumVgprs: 0
; ScratchSize: 0
; MemoryBound: 0
; FloatMode: 240
; IeeeMode: 1
; LDSByteSize: 0 bytes/workgroup (compile time only)
; SGPRBlocks: 0
; VGPRBlocks: 0
; NumSGPRsForWavesPerEU: 4
; NumVGPRsForWavesPerEU: 1
; Occupancy: 10
; WaveLimiterHint : 0
; COMPUTE_PGM_RSRC2:SCRATCH_EN: 0
; COMPUTE_PGM_RSRC2:USER_SGPR: 6
; COMPUTE_PGM_RSRC2:TRAP_HANDLER: 0
; COMPUTE_PGM_RSRC2:TGID_X_EN: 1
; COMPUTE_PGM_RSRC2:TGID_Y_EN: 0
; COMPUTE_PGM_RSRC2:TGID_Z_EN: 0
; COMPUTE_PGM_RSRC2:TIDIG_COMP_CNT: 0
	.section	.text._ZN7rocprim17ROCPRIM_400000_NS6detail17trampoline_kernelINS0_14default_configENS1_22reduce_config_selectorIN6thrust23THRUST_200600_302600_NS5tupleIblNS6_9null_typeES8_S8_S8_S8_S8_S8_S8_EEEEZNS1_11reduce_implILb1ES3_NS6_12zip_iteratorINS7_INS6_11hip_rocprim26transform_input_iterator_tIbPN3c108BFloat16ENS6_6detail10functional5actorINSJ_9compositeIJNSJ_27transparent_binary_operatorINS6_8equal_toIvEEEENSK_INSJ_8argumentILj0EEEEENSJ_5valueISG_EEEEEEEEENSD_19counting_iterator_tIlEES8_S8_S8_S8_S8_S8_S8_S8_EEEEPS9_S9_NSD_9__find_if7functorIS9_EEEE10hipError_tPvRmT1_T2_T3_mT4_P12ihipStream_tbEUlT_E1_NS1_11comp_targetILNS1_3genE0ELNS1_11target_archE4294967295ELNS1_3gpuE0ELNS1_3repE0EEENS1_30default_config_static_selectorELNS0_4arch9wavefront6targetE1EEEvS19_,"axG",@progbits,_ZN7rocprim17ROCPRIM_400000_NS6detail17trampoline_kernelINS0_14default_configENS1_22reduce_config_selectorIN6thrust23THRUST_200600_302600_NS5tupleIblNS6_9null_typeES8_S8_S8_S8_S8_S8_S8_EEEEZNS1_11reduce_implILb1ES3_NS6_12zip_iteratorINS7_INS6_11hip_rocprim26transform_input_iterator_tIbPN3c108BFloat16ENS6_6detail10functional5actorINSJ_9compositeIJNSJ_27transparent_binary_operatorINS6_8equal_toIvEEEENSK_INSJ_8argumentILj0EEEEENSJ_5valueISG_EEEEEEEEENSD_19counting_iterator_tIlEES8_S8_S8_S8_S8_S8_S8_S8_EEEEPS9_S9_NSD_9__find_if7functorIS9_EEEE10hipError_tPvRmT1_T2_T3_mT4_P12ihipStream_tbEUlT_E1_NS1_11comp_targetILNS1_3genE0ELNS1_11target_archE4294967295ELNS1_3gpuE0ELNS1_3repE0EEENS1_30default_config_static_selectorELNS0_4arch9wavefront6targetE1EEEvS19_,comdat
	.protected	_ZN7rocprim17ROCPRIM_400000_NS6detail17trampoline_kernelINS0_14default_configENS1_22reduce_config_selectorIN6thrust23THRUST_200600_302600_NS5tupleIblNS6_9null_typeES8_S8_S8_S8_S8_S8_S8_EEEEZNS1_11reduce_implILb1ES3_NS6_12zip_iteratorINS7_INS6_11hip_rocprim26transform_input_iterator_tIbPN3c108BFloat16ENS6_6detail10functional5actorINSJ_9compositeIJNSJ_27transparent_binary_operatorINS6_8equal_toIvEEEENSK_INSJ_8argumentILj0EEEEENSJ_5valueISG_EEEEEEEEENSD_19counting_iterator_tIlEES8_S8_S8_S8_S8_S8_S8_S8_EEEEPS9_S9_NSD_9__find_if7functorIS9_EEEE10hipError_tPvRmT1_T2_T3_mT4_P12ihipStream_tbEUlT_E1_NS1_11comp_targetILNS1_3genE0ELNS1_11target_archE4294967295ELNS1_3gpuE0ELNS1_3repE0EEENS1_30default_config_static_selectorELNS0_4arch9wavefront6targetE1EEEvS19_ ; -- Begin function _ZN7rocprim17ROCPRIM_400000_NS6detail17trampoline_kernelINS0_14default_configENS1_22reduce_config_selectorIN6thrust23THRUST_200600_302600_NS5tupleIblNS6_9null_typeES8_S8_S8_S8_S8_S8_S8_EEEEZNS1_11reduce_implILb1ES3_NS6_12zip_iteratorINS7_INS6_11hip_rocprim26transform_input_iterator_tIbPN3c108BFloat16ENS6_6detail10functional5actorINSJ_9compositeIJNSJ_27transparent_binary_operatorINS6_8equal_toIvEEEENSK_INSJ_8argumentILj0EEEEENSJ_5valueISG_EEEEEEEEENSD_19counting_iterator_tIlEES8_S8_S8_S8_S8_S8_S8_S8_EEEEPS9_S9_NSD_9__find_if7functorIS9_EEEE10hipError_tPvRmT1_T2_T3_mT4_P12ihipStream_tbEUlT_E1_NS1_11comp_targetILNS1_3genE0ELNS1_11target_archE4294967295ELNS1_3gpuE0ELNS1_3repE0EEENS1_30default_config_static_selectorELNS0_4arch9wavefront6targetE1EEEvS19_
	.globl	_ZN7rocprim17ROCPRIM_400000_NS6detail17trampoline_kernelINS0_14default_configENS1_22reduce_config_selectorIN6thrust23THRUST_200600_302600_NS5tupleIblNS6_9null_typeES8_S8_S8_S8_S8_S8_S8_EEEEZNS1_11reduce_implILb1ES3_NS6_12zip_iteratorINS7_INS6_11hip_rocprim26transform_input_iterator_tIbPN3c108BFloat16ENS6_6detail10functional5actorINSJ_9compositeIJNSJ_27transparent_binary_operatorINS6_8equal_toIvEEEENSK_INSJ_8argumentILj0EEEEENSJ_5valueISG_EEEEEEEEENSD_19counting_iterator_tIlEES8_S8_S8_S8_S8_S8_S8_S8_EEEEPS9_S9_NSD_9__find_if7functorIS9_EEEE10hipError_tPvRmT1_T2_T3_mT4_P12ihipStream_tbEUlT_E1_NS1_11comp_targetILNS1_3genE0ELNS1_11target_archE4294967295ELNS1_3gpuE0ELNS1_3repE0EEENS1_30default_config_static_selectorELNS0_4arch9wavefront6targetE1EEEvS19_
	.p2align	8
	.type	_ZN7rocprim17ROCPRIM_400000_NS6detail17trampoline_kernelINS0_14default_configENS1_22reduce_config_selectorIN6thrust23THRUST_200600_302600_NS5tupleIblNS6_9null_typeES8_S8_S8_S8_S8_S8_S8_EEEEZNS1_11reduce_implILb1ES3_NS6_12zip_iteratorINS7_INS6_11hip_rocprim26transform_input_iterator_tIbPN3c108BFloat16ENS6_6detail10functional5actorINSJ_9compositeIJNSJ_27transparent_binary_operatorINS6_8equal_toIvEEEENSK_INSJ_8argumentILj0EEEEENSJ_5valueISG_EEEEEEEEENSD_19counting_iterator_tIlEES8_S8_S8_S8_S8_S8_S8_S8_EEEEPS9_S9_NSD_9__find_if7functorIS9_EEEE10hipError_tPvRmT1_T2_T3_mT4_P12ihipStream_tbEUlT_E1_NS1_11comp_targetILNS1_3genE0ELNS1_11target_archE4294967295ELNS1_3gpuE0ELNS1_3repE0EEENS1_30default_config_static_selectorELNS0_4arch9wavefront6targetE1EEEvS19_,@function
_ZN7rocprim17ROCPRIM_400000_NS6detail17trampoline_kernelINS0_14default_configENS1_22reduce_config_selectorIN6thrust23THRUST_200600_302600_NS5tupleIblNS6_9null_typeES8_S8_S8_S8_S8_S8_S8_EEEEZNS1_11reduce_implILb1ES3_NS6_12zip_iteratorINS7_INS6_11hip_rocprim26transform_input_iterator_tIbPN3c108BFloat16ENS6_6detail10functional5actorINSJ_9compositeIJNSJ_27transparent_binary_operatorINS6_8equal_toIvEEEENSK_INSJ_8argumentILj0EEEEENSJ_5valueISG_EEEEEEEEENSD_19counting_iterator_tIlEES8_S8_S8_S8_S8_S8_S8_S8_EEEEPS9_S9_NSD_9__find_if7functorIS9_EEEE10hipError_tPvRmT1_T2_T3_mT4_P12ihipStream_tbEUlT_E1_NS1_11comp_targetILNS1_3genE0ELNS1_11target_archE4294967295ELNS1_3gpuE0ELNS1_3repE0EEENS1_30default_config_static_selectorELNS0_4arch9wavefront6targetE1EEEvS19_: ; @_ZN7rocprim17ROCPRIM_400000_NS6detail17trampoline_kernelINS0_14default_configENS1_22reduce_config_selectorIN6thrust23THRUST_200600_302600_NS5tupleIblNS6_9null_typeES8_S8_S8_S8_S8_S8_S8_EEEEZNS1_11reduce_implILb1ES3_NS6_12zip_iteratorINS7_INS6_11hip_rocprim26transform_input_iterator_tIbPN3c108BFloat16ENS6_6detail10functional5actorINSJ_9compositeIJNSJ_27transparent_binary_operatorINS6_8equal_toIvEEEENSK_INSJ_8argumentILj0EEEEENSJ_5valueISG_EEEEEEEEENSD_19counting_iterator_tIlEES8_S8_S8_S8_S8_S8_S8_S8_EEEEPS9_S9_NSD_9__find_if7functorIS9_EEEE10hipError_tPvRmT1_T2_T3_mT4_P12ihipStream_tbEUlT_E1_NS1_11comp_targetILNS1_3genE0ELNS1_11target_archE4294967295ELNS1_3gpuE0ELNS1_3repE0EEENS1_30default_config_static_selectorELNS0_4arch9wavefront6targetE1EEEvS19_
; %bb.0:
	.section	.rodata,"a",@progbits
	.p2align	6, 0x0
	.amdhsa_kernel _ZN7rocprim17ROCPRIM_400000_NS6detail17trampoline_kernelINS0_14default_configENS1_22reduce_config_selectorIN6thrust23THRUST_200600_302600_NS5tupleIblNS6_9null_typeES8_S8_S8_S8_S8_S8_S8_EEEEZNS1_11reduce_implILb1ES3_NS6_12zip_iteratorINS7_INS6_11hip_rocprim26transform_input_iterator_tIbPN3c108BFloat16ENS6_6detail10functional5actorINSJ_9compositeIJNSJ_27transparent_binary_operatorINS6_8equal_toIvEEEENSK_INSJ_8argumentILj0EEEEENSJ_5valueISG_EEEEEEEEENSD_19counting_iterator_tIlEES8_S8_S8_S8_S8_S8_S8_S8_EEEEPS9_S9_NSD_9__find_if7functorIS9_EEEE10hipError_tPvRmT1_T2_T3_mT4_P12ihipStream_tbEUlT_E1_NS1_11comp_targetILNS1_3genE0ELNS1_11target_archE4294967295ELNS1_3gpuE0ELNS1_3repE0EEENS1_30default_config_static_selectorELNS0_4arch9wavefront6targetE1EEEvS19_
		.amdhsa_group_segment_fixed_size 0
		.amdhsa_private_segment_fixed_size 0
		.amdhsa_kernarg_size 72
		.amdhsa_user_sgpr_count 6
		.amdhsa_user_sgpr_private_segment_buffer 1
		.amdhsa_user_sgpr_dispatch_ptr 0
		.amdhsa_user_sgpr_queue_ptr 0
		.amdhsa_user_sgpr_kernarg_segment_ptr 1
		.amdhsa_user_sgpr_dispatch_id 0
		.amdhsa_user_sgpr_flat_scratch_init 0
		.amdhsa_user_sgpr_private_segment_size 0
		.amdhsa_uses_dynamic_stack 0
		.amdhsa_system_sgpr_private_segment_wavefront_offset 0
		.amdhsa_system_sgpr_workgroup_id_x 1
		.amdhsa_system_sgpr_workgroup_id_y 0
		.amdhsa_system_sgpr_workgroup_id_z 0
		.amdhsa_system_sgpr_workgroup_info 0
		.amdhsa_system_vgpr_workitem_id 0
		.amdhsa_next_free_vgpr 1
		.amdhsa_next_free_sgpr 0
		.amdhsa_reserve_vcc 0
		.amdhsa_reserve_flat_scratch 0
		.amdhsa_float_round_mode_32 0
		.amdhsa_float_round_mode_16_64 0
		.amdhsa_float_denorm_mode_32 3
		.amdhsa_float_denorm_mode_16_64 3
		.amdhsa_dx10_clamp 1
		.amdhsa_ieee_mode 1
		.amdhsa_fp16_overflow 0
		.amdhsa_exception_fp_ieee_invalid_op 0
		.amdhsa_exception_fp_denorm_src 0
		.amdhsa_exception_fp_ieee_div_zero 0
		.amdhsa_exception_fp_ieee_overflow 0
		.amdhsa_exception_fp_ieee_underflow 0
		.amdhsa_exception_fp_ieee_inexact 0
		.amdhsa_exception_int_div_zero 0
	.end_amdhsa_kernel
	.section	.text._ZN7rocprim17ROCPRIM_400000_NS6detail17trampoline_kernelINS0_14default_configENS1_22reduce_config_selectorIN6thrust23THRUST_200600_302600_NS5tupleIblNS6_9null_typeES8_S8_S8_S8_S8_S8_S8_EEEEZNS1_11reduce_implILb1ES3_NS6_12zip_iteratorINS7_INS6_11hip_rocprim26transform_input_iterator_tIbPN3c108BFloat16ENS6_6detail10functional5actorINSJ_9compositeIJNSJ_27transparent_binary_operatorINS6_8equal_toIvEEEENSK_INSJ_8argumentILj0EEEEENSJ_5valueISG_EEEEEEEEENSD_19counting_iterator_tIlEES8_S8_S8_S8_S8_S8_S8_S8_EEEEPS9_S9_NSD_9__find_if7functorIS9_EEEE10hipError_tPvRmT1_T2_T3_mT4_P12ihipStream_tbEUlT_E1_NS1_11comp_targetILNS1_3genE0ELNS1_11target_archE4294967295ELNS1_3gpuE0ELNS1_3repE0EEENS1_30default_config_static_selectorELNS0_4arch9wavefront6targetE1EEEvS19_,"axG",@progbits,_ZN7rocprim17ROCPRIM_400000_NS6detail17trampoline_kernelINS0_14default_configENS1_22reduce_config_selectorIN6thrust23THRUST_200600_302600_NS5tupleIblNS6_9null_typeES8_S8_S8_S8_S8_S8_S8_EEEEZNS1_11reduce_implILb1ES3_NS6_12zip_iteratorINS7_INS6_11hip_rocprim26transform_input_iterator_tIbPN3c108BFloat16ENS6_6detail10functional5actorINSJ_9compositeIJNSJ_27transparent_binary_operatorINS6_8equal_toIvEEEENSK_INSJ_8argumentILj0EEEEENSJ_5valueISG_EEEEEEEEENSD_19counting_iterator_tIlEES8_S8_S8_S8_S8_S8_S8_S8_EEEEPS9_S9_NSD_9__find_if7functorIS9_EEEE10hipError_tPvRmT1_T2_T3_mT4_P12ihipStream_tbEUlT_E1_NS1_11comp_targetILNS1_3genE0ELNS1_11target_archE4294967295ELNS1_3gpuE0ELNS1_3repE0EEENS1_30default_config_static_selectorELNS0_4arch9wavefront6targetE1EEEvS19_,comdat
.Lfunc_end2097:
	.size	_ZN7rocprim17ROCPRIM_400000_NS6detail17trampoline_kernelINS0_14default_configENS1_22reduce_config_selectorIN6thrust23THRUST_200600_302600_NS5tupleIblNS6_9null_typeES8_S8_S8_S8_S8_S8_S8_EEEEZNS1_11reduce_implILb1ES3_NS6_12zip_iteratorINS7_INS6_11hip_rocprim26transform_input_iterator_tIbPN3c108BFloat16ENS6_6detail10functional5actorINSJ_9compositeIJNSJ_27transparent_binary_operatorINS6_8equal_toIvEEEENSK_INSJ_8argumentILj0EEEEENSJ_5valueISG_EEEEEEEEENSD_19counting_iterator_tIlEES8_S8_S8_S8_S8_S8_S8_S8_EEEEPS9_S9_NSD_9__find_if7functorIS9_EEEE10hipError_tPvRmT1_T2_T3_mT4_P12ihipStream_tbEUlT_E1_NS1_11comp_targetILNS1_3genE0ELNS1_11target_archE4294967295ELNS1_3gpuE0ELNS1_3repE0EEENS1_30default_config_static_selectorELNS0_4arch9wavefront6targetE1EEEvS19_, .Lfunc_end2097-_ZN7rocprim17ROCPRIM_400000_NS6detail17trampoline_kernelINS0_14default_configENS1_22reduce_config_selectorIN6thrust23THRUST_200600_302600_NS5tupleIblNS6_9null_typeES8_S8_S8_S8_S8_S8_S8_EEEEZNS1_11reduce_implILb1ES3_NS6_12zip_iteratorINS7_INS6_11hip_rocprim26transform_input_iterator_tIbPN3c108BFloat16ENS6_6detail10functional5actorINSJ_9compositeIJNSJ_27transparent_binary_operatorINS6_8equal_toIvEEEENSK_INSJ_8argumentILj0EEEEENSJ_5valueISG_EEEEEEEEENSD_19counting_iterator_tIlEES8_S8_S8_S8_S8_S8_S8_S8_EEEEPS9_S9_NSD_9__find_if7functorIS9_EEEE10hipError_tPvRmT1_T2_T3_mT4_P12ihipStream_tbEUlT_E1_NS1_11comp_targetILNS1_3genE0ELNS1_11target_archE4294967295ELNS1_3gpuE0ELNS1_3repE0EEENS1_30default_config_static_selectorELNS0_4arch9wavefront6targetE1EEEvS19_
                                        ; -- End function
	.set _ZN7rocprim17ROCPRIM_400000_NS6detail17trampoline_kernelINS0_14default_configENS1_22reduce_config_selectorIN6thrust23THRUST_200600_302600_NS5tupleIblNS6_9null_typeES8_S8_S8_S8_S8_S8_S8_EEEEZNS1_11reduce_implILb1ES3_NS6_12zip_iteratorINS7_INS6_11hip_rocprim26transform_input_iterator_tIbPN3c108BFloat16ENS6_6detail10functional5actorINSJ_9compositeIJNSJ_27transparent_binary_operatorINS6_8equal_toIvEEEENSK_INSJ_8argumentILj0EEEEENSJ_5valueISG_EEEEEEEEENSD_19counting_iterator_tIlEES8_S8_S8_S8_S8_S8_S8_S8_EEEEPS9_S9_NSD_9__find_if7functorIS9_EEEE10hipError_tPvRmT1_T2_T3_mT4_P12ihipStream_tbEUlT_E1_NS1_11comp_targetILNS1_3genE0ELNS1_11target_archE4294967295ELNS1_3gpuE0ELNS1_3repE0EEENS1_30default_config_static_selectorELNS0_4arch9wavefront6targetE1EEEvS19_.num_vgpr, 0
	.set _ZN7rocprim17ROCPRIM_400000_NS6detail17trampoline_kernelINS0_14default_configENS1_22reduce_config_selectorIN6thrust23THRUST_200600_302600_NS5tupleIblNS6_9null_typeES8_S8_S8_S8_S8_S8_S8_EEEEZNS1_11reduce_implILb1ES3_NS6_12zip_iteratorINS7_INS6_11hip_rocprim26transform_input_iterator_tIbPN3c108BFloat16ENS6_6detail10functional5actorINSJ_9compositeIJNSJ_27transparent_binary_operatorINS6_8equal_toIvEEEENSK_INSJ_8argumentILj0EEEEENSJ_5valueISG_EEEEEEEEENSD_19counting_iterator_tIlEES8_S8_S8_S8_S8_S8_S8_S8_EEEEPS9_S9_NSD_9__find_if7functorIS9_EEEE10hipError_tPvRmT1_T2_T3_mT4_P12ihipStream_tbEUlT_E1_NS1_11comp_targetILNS1_3genE0ELNS1_11target_archE4294967295ELNS1_3gpuE0ELNS1_3repE0EEENS1_30default_config_static_selectorELNS0_4arch9wavefront6targetE1EEEvS19_.num_agpr, 0
	.set _ZN7rocprim17ROCPRIM_400000_NS6detail17trampoline_kernelINS0_14default_configENS1_22reduce_config_selectorIN6thrust23THRUST_200600_302600_NS5tupleIblNS6_9null_typeES8_S8_S8_S8_S8_S8_S8_EEEEZNS1_11reduce_implILb1ES3_NS6_12zip_iteratorINS7_INS6_11hip_rocprim26transform_input_iterator_tIbPN3c108BFloat16ENS6_6detail10functional5actorINSJ_9compositeIJNSJ_27transparent_binary_operatorINS6_8equal_toIvEEEENSK_INSJ_8argumentILj0EEEEENSJ_5valueISG_EEEEEEEEENSD_19counting_iterator_tIlEES8_S8_S8_S8_S8_S8_S8_S8_EEEEPS9_S9_NSD_9__find_if7functorIS9_EEEE10hipError_tPvRmT1_T2_T3_mT4_P12ihipStream_tbEUlT_E1_NS1_11comp_targetILNS1_3genE0ELNS1_11target_archE4294967295ELNS1_3gpuE0ELNS1_3repE0EEENS1_30default_config_static_selectorELNS0_4arch9wavefront6targetE1EEEvS19_.numbered_sgpr, 0
	.set _ZN7rocprim17ROCPRIM_400000_NS6detail17trampoline_kernelINS0_14default_configENS1_22reduce_config_selectorIN6thrust23THRUST_200600_302600_NS5tupleIblNS6_9null_typeES8_S8_S8_S8_S8_S8_S8_EEEEZNS1_11reduce_implILb1ES3_NS6_12zip_iteratorINS7_INS6_11hip_rocprim26transform_input_iterator_tIbPN3c108BFloat16ENS6_6detail10functional5actorINSJ_9compositeIJNSJ_27transparent_binary_operatorINS6_8equal_toIvEEEENSK_INSJ_8argumentILj0EEEEENSJ_5valueISG_EEEEEEEEENSD_19counting_iterator_tIlEES8_S8_S8_S8_S8_S8_S8_S8_EEEEPS9_S9_NSD_9__find_if7functorIS9_EEEE10hipError_tPvRmT1_T2_T3_mT4_P12ihipStream_tbEUlT_E1_NS1_11comp_targetILNS1_3genE0ELNS1_11target_archE4294967295ELNS1_3gpuE0ELNS1_3repE0EEENS1_30default_config_static_selectorELNS0_4arch9wavefront6targetE1EEEvS19_.num_named_barrier, 0
	.set _ZN7rocprim17ROCPRIM_400000_NS6detail17trampoline_kernelINS0_14default_configENS1_22reduce_config_selectorIN6thrust23THRUST_200600_302600_NS5tupleIblNS6_9null_typeES8_S8_S8_S8_S8_S8_S8_EEEEZNS1_11reduce_implILb1ES3_NS6_12zip_iteratorINS7_INS6_11hip_rocprim26transform_input_iterator_tIbPN3c108BFloat16ENS6_6detail10functional5actorINSJ_9compositeIJNSJ_27transparent_binary_operatorINS6_8equal_toIvEEEENSK_INSJ_8argumentILj0EEEEENSJ_5valueISG_EEEEEEEEENSD_19counting_iterator_tIlEES8_S8_S8_S8_S8_S8_S8_S8_EEEEPS9_S9_NSD_9__find_if7functorIS9_EEEE10hipError_tPvRmT1_T2_T3_mT4_P12ihipStream_tbEUlT_E1_NS1_11comp_targetILNS1_3genE0ELNS1_11target_archE4294967295ELNS1_3gpuE0ELNS1_3repE0EEENS1_30default_config_static_selectorELNS0_4arch9wavefront6targetE1EEEvS19_.private_seg_size, 0
	.set _ZN7rocprim17ROCPRIM_400000_NS6detail17trampoline_kernelINS0_14default_configENS1_22reduce_config_selectorIN6thrust23THRUST_200600_302600_NS5tupleIblNS6_9null_typeES8_S8_S8_S8_S8_S8_S8_EEEEZNS1_11reduce_implILb1ES3_NS6_12zip_iteratorINS7_INS6_11hip_rocprim26transform_input_iterator_tIbPN3c108BFloat16ENS6_6detail10functional5actorINSJ_9compositeIJNSJ_27transparent_binary_operatorINS6_8equal_toIvEEEENSK_INSJ_8argumentILj0EEEEENSJ_5valueISG_EEEEEEEEENSD_19counting_iterator_tIlEES8_S8_S8_S8_S8_S8_S8_S8_EEEEPS9_S9_NSD_9__find_if7functorIS9_EEEE10hipError_tPvRmT1_T2_T3_mT4_P12ihipStream_tbEUlT_E1_NS1_11comp_targetILNS1_3genE0ELNS1_11target_archE4294967295ELNS1_3gpuE0ELNS1_3repE0EEENS1_30default_config_static_selectorELNS0_4arch9wavefront6targetE1EEEvS19_.uses_vcc, 0
	.set _ZN7rocprim17ROCPRIM_400000_NS6detail17trampoline_kernelINS0_14default_configENS1_22reduce_config_selectorIN6thrust23THRUST_200600_302600_NS5tupleIblNS6_9null_typeES8_S8_S8_S8_S8_S8_S8_EEEEZNS1_11reduce_implILb1ES3_NS6_12zip_iteratorINS7_INS6_11hip_rocprim26transform_input_iterator_tIbPN3c108BFloat16ENS6_6detail10functional5actorINSJ_9compositeIJNSJ_27transparent_binary_operatorINS6_8equal_toIvEEEENSK_INSJ_8argumentILj0EEEEENSJ_5valueISG_EEEEEEEEENSD_19counting_iterator_tIlEES8_S8_S8_S8_S8_S8_S8_S8_EEEEPS9_S9_NSD_9__find_if7functorIS9_EEEE10hipError_tPvRmT1_T2_T3_mT4_P12ihipStream_tbEUlT_E1_NS1_11comp_targetILNS1_3genE0ELNS1_11target_archE4294967295ELNS1_3gpuE0ELNS1_3repE0EEENS1_30default_config_static_selectorELNS0_4arch9wavefront6targetE1EEEvS19_.uses_flat_scratch, 0
	.set _ZN7rocprim17ROCPRIM_400000_NS6detail17trampoline_kernelINS0_14default_configENS1_22reduce_config_selectorIN6thrust23THRUST_200600_302600_NS5tupleIblNS6_9null_typeES8_S8_S8_S8_S8_S8_S8_EEEEZNS1_11reduce_implILb1ES3_NS6_12zip_iteratorINS7_INS6_11hip_rocprim26transform_input_iterator_tIbPN3c108BFloat16ENS6_6detail10functional5actorINSJ_9compositeIJNSJ_27transparent_binary_operatorINS6_8equal_toIvEEEENSK_INSJ_8argumentILj0EEEEENSJ_5valueISG_EEEEEEEEENSD_19counting_iterator_tIlEES8_S8_S8_S8_S8_S8_S8_S8_EEEEPS9_S9_NSD_9__find_if7functorIS9_EEEE10hipError_tPvRmT1_T2_T3_mT4_P12ihipStream_tbEUlT_E1_NS1_11comp_targetILNS1_3genE0ELNS1_11target_archE4294967295ELNS1_3gpuE0ELNS1_3repE0EEENS1_30default_config_static_selectorELNS0_4arch9wavefront6targetE1EEEvS19_.has_dyn_sized_stack, 0
	.set _ZN7rocprim17ROCPRIM_400000_NS6detail17trampoline_kernelINS0_14default_configENS1_22reduce_config_selectorIN6thrust23THRUST_200600_302600_NS5tupleIblNS6_9null_typeES8_S8_S8_S8_S8_S8_S8_EEEEZNS1_11reduce_implILb1ES3_NS6_12zip_iteratorINS7_INS6_11hip_rocprim26transform_input_iterator_tIbPN3c108BFloat16ENS6_6detail10functional5actorINSJ_9compositeIJNSJ_27transparent_binary_operatorINS6_8equal_toIvEEEENSK_INSJ_8argumentILj0EEEEENSJ_5valueISG_EEEEEEEEENSD_19counting_iterator_tIlEES8_S8_S8_S8_S8_S8_S8_S8_EEEEPS9_S9_NSD_9__find_if7functorIS9_EEEE10hipError_tPvRmT1_T2_T3_mT4_P12ihipStream_tbEUlT_E1_NS1_11comp_targetILNS1_3genE0ELNS1_11target_archE4294967295ELNS1_3gpuE0ELNS1_3repE0EEENS1_30default_config_static_selectorELNS0_4arch9wavefront6targetE1EEEvS19_.has_recursion, 0
	.set _ZN7rocprim17ROCPRIM_400000_NS6detail17trampoline_kernelINS0_14default_configENS1_22reduce_config_selectorIN6thrust23THRUST_200600_302600_NS5tupleIblNS6_9null_typeES8_S8_S8_S8_S8_S8_S8_EEEEZNS1_11reduce_implILb1ES3_NS6_12zip_iteratorINS7_INS6_11hip_rocprim26transform_input_iterator_tIbPN3c108BFloat16ENS6_6detail10functional5actorINSJ_9compositeIJNSJ_27transparent_binary_operatorINS6_8equal_toIvEEEENSK_INSJ_8argumentILj0EEEEENSJ_5valueISG_EEEEEEEEENSD_19counting_iterator_tIlEES8_S8_S8_S8_S8_S8_S8_S8_EEEEPS9_S9_NSD_9__find_if7functorIS9_EEEE10hipError_tPvRmT1_T2_T3_mT4_P12ihipStream_tbEUlT_E1_NS1_11comp_targetILNS1_3genE0ELNS1_11target_archE4294967295ELNS1_3gpuE0ELNS1_3repE0EEENS1_30default_config_static_selectorELNS0_4arch9wavefront6targetE1EEEvS19_.has_indirect_call, 0
	.section	.AMDGPU.csdata,"",@progbits
; Kernel info:
; codeLenInByte = 0
; TotalNumSgprs: 4
; NumVgprs: 0
; ScratchSize: 0
; MemoryBound: 0
; FloatMode: 240
; IeeeMode: 1
; LDSByteSize: 0 bytes/workgroup (compile time only)
; SGPRBlocks: 0
; VGPRBlocks: 0
; NumSGPRsForWavesPerEU: 4
; NumVGPRsForWavesPerEU: 1
; Occupancy: 10
; WaveLimiterHint : 0
; COMPUTE_PGM_RSRC2:SCRATCH_EN: 0
; COMPUTE_PGM_RSRC2:USER_SGPR: 6
; COMPUTE_PGM_RSRC2:TRAP_HANDLER: 0
; COMPUTE_PGM_RSRC2:TGID_X_EN: 1
; COMPUTE_PGM_RSRC2:TGID_Y_EN: 0
; COMPUTE_PGM_RSRC2:TGID_Z_EN: 0
; COMPUTE_PGM_RSRC2:TIDIG_COMP_CNT: 0
	.section	.text._ZN7rocprim17ROCPRIM_400000_NS6detail17trampoline_kernelINS0_14default_configENS1_22reduce_config_selectorIN6thrust23THRUST_200600_302600_NS5tupleIblNS6_9null_typeES8_S8_S8_S8_S8_S8_S8_EEEEZNS1_11reduce_implILb1ES3_NS6_12zip_iteratorINS7_INS6_11hip_rocprim26transform_input_iterator_tIbPN3c108BFloat16ENS6_6detail10functional5actorINSJ_9compositeIJNSJ_27transparent_binary_operatorINS6_8equal_toIvEEEENSK_INSJ_8argumentILj0EEEEENSJ_5valueISG_EEEEEEEEENSD_19counting_iterator_tIlEES8_S8_S8_S8_S8_S8_S8_S8_EEEEPS9_S9_NSD_9__find_if7functorIS9_EEEE10hipError_tPvRmT1_T2_T3_mT4_P12ihipStream_tbEUlT_E1_NS1_11comp_targetILNS1_3genE5ELNS1_11target_archE942ELNS1_3gpuE9ELNS1_3repE0EEENS1_30default_config_static_selectorELNS0_4arch9wavefront6targetE1EEEvS19_,"axG",@progbits,_ZN7rocprim17ROCPRIM_400000_NS6detail17trampoline_kernelINS0_14default_configENS1_22reduce_config_selectorIN6thrust23THRUST_200600_302600_NS5tupleIblNS6_9null_typeES8_S8_S8_S8_S8_S8_S8_EEEEZNS1_11reduce_implILb1ES3_NS6_12zip_iteratorINS7_INS6_11hip_rocprim26transform_input_iterator_tIbPN3c108BFloat16ENS6_6detail10functional5actorINSJ_9compositeIJNSJ_27transparent_binary_operatorINS6_8equal_toIvEEEENSK_INSJ_8argumentILj0EEEEENSJ_5valueISG_EEEEEEEEENSD_19counting_iterator_tIlEES8_S8_S8_S8_S8_S8_S8_S8_EEEEPS9_S9_NSD_9__find_if7functorIS9_EEEE10hipError_tPvRmT1_T2_T3_mT4_P12ihipStream_tbEUlT_E1_NS1_11comp_targetILNS1_3genE5ELNS1_11target_archE942ELNS1_3gpuE9ELNS1_3repE0EEENS1_30default_config_static_selectorELNS0_4arch9wavefront6targetE1EEEvS19_,comdat
	.protected	_ZN7rocprim17ROCPRIM_400000_NS6detail17trampoline_kernelINS0_14default_configENS1_22reduce_config_selectorIN6thrust23THRUST_200600_302600_NS5tupleIblNS6_9null_typeES8_S8_S8_S8_S8_S8_S8_EEEEZNS1_11reduce_implILb1ES3_NS6_12zip_iteratorINS7_INS6_11hip_rocprim26transform_input_iterator_tIbPN3c108BFloat16ENS6_6detail10functional5actorINSJ_9compositeIJNSJ_27transparent_binary_operatorINS6_8equal_toIvEEEENSK_INSJ_8argumentILj0EEEEENSJ_5valueISG_EEEEEEEEENSD_19counting_iterator_tIlEES8_S8_S8_S8_S8_S8_S8_S8_EEEEPS9_S9_NSD_9__find_if7functorIS9_EEEE10hipError_tPvRmT1_T2_T3_mT4_P12ihipStream_tbEUlT_E1_NS1_11comp_targetILNS1_3genE5ELNS1_11target_archE942ELNS1_3gpuE9ELNS1_3repE0EEENS1_30default_config_static_selectorELNS0_4arch9wavefront6targetE1EEEvS19_ ; -- Begin function _ZN7rocprim17ROCPRIM_400000_NS6detail17trampoline_kernelINS0_14default_configENS1_22reduce_config_selectorIN6thrust23THRUST_200600_302600_NS5tupleIblNS6_9null_typeES8_S8_S8_S8_S8_S8_S8_EEEEZNS1_11reduce_implILb1ES3_NS6_12zip_iteratorINS7_INS6_11hip_rocprim26transform_input_iterator_tIbPN3c108BFloat16ENS6_6detail10functional5actorINSJ_9compositeIJNSJ_27transparent_binary_operatorINS6_8equal_toIvEEEENSK_INSJ_8argumentILj0EEEEENSJ_5valueISG_EEEEEEEEENSD_19counting_iterator_tIlEES8_S8_S8_S8_S8_S8_S8_S8_EEEEPS9_S9_NSD_9__find_if7functorIS9_EEEE10hipError_tPvRmT1_T2_T3_mT4_P12ihipStream_tbEUlT_E1_NS1_11comp_targetILNS1_3genE5ELNS1_11target_archE942ELNS1_3gpuE9ELNS1_3repE0EEENS1_30default_config_static_selectorELNS0_4arch9wavefront6targetE1EEEvS19_
	.globl	_ZN7rocprim17ROCPRIM_400000_NS6detail17trampoline_kernelINS0_14default_configENS1_22reduce_config_selectorIN6thrust23THRUST_200600_302600_NS5tupleIblNS6_9null_typeES8_S8_S8_S8_S8_S8_S8_EEEEZNS1_11reduce_implILb1ES3_NS6_12zip_iteratorINS7_INS6_11hip_rocprim26transform_input_iterator_tIbPN3c108BFloat16ENS6_6detail10functional5actorINSJ_9compositeIJNSJ_27transparent_binary_operatorINS6_8equal_toIvEEEENSK_INSJ_8argumentILj0EEEEENSJ_5valueISG_EEEEEEEEENSD_19counting_iterator_tIlEES8_S8_S8_S8_S8_S8_S8_S8_EEEEPS9_S9_NSD_9__find_if7functorIS9_EEEE10hipError_tPvRmT1_T2_T3_mT4_P12ihipStream_tbEUlT_E1_NS1_11comp_targetILNS1_3genE5ELNS1_11target_archE942ELNS1_3gpuE9ELNS1_3repE0EEENS1_30default_config_static_selectorELNS0_4arch9wavefront6targetE1EEEvS19_
	.p2align	8
	.type	_ZN7rocprim17ROCPRIM_400000_NS6detail17trampoline_kernelINS0_14default_configENS1_22reduce_config_selectorIN6thrust23THRUST_200600_302600_NS5tupleIblNS6_9null_typeES8_S8_S8_S8_S8_S8_S8_EEEEZNS1_11reduce_implILb1ES3_NS6_12zip_iteratorINS7_INS6_11hip_rocprim26transform_input_iterator_tIbPN3c108BFloat16ENS6_6detail10functional5actorINSJ_9compositeIJNSJ_27transparent_binary_operatorINS6_8equal_toIvEEEENSK_INSJ_8argumentILj0EEEEENSJ_5valueISG_EEEEEEEEENSD_19counting_iterator_tIlEES8_S8_S8_S8_S8_S8_S8_S8_EEEEPS9_S9_NSD_9__find_if7functorIS9_EEEE10hipError_tPvRmT1_T2_T3_mT4_P12ihipStream_tbEUlT_E1_NS1_11comp_targetILNS1_3genE5ELNS1_11target_archE942ELNS1_3gpuE9ELNS1_3repE0EEENS1_30default_config_static_selectorELNS0_4arch9wavefront6targetE1EEEvS19_,@function
_ZN7rocprim17ROCPRIM_400000_NS6detail17trampoline_kernelINS0_14default_configENS1_22reduce_config_selectorIN6thrust23THRUST_200600_302600_NS5tupleIblNS6_9null_typeES8_S8_S8_S8_S8_S8_S8_EEEEZNS1_11reduce_implILb1ES3_NS6_12zip_iteratorINS7_INS6_11hip_rocprim26transform_input_iterator_tIbPN3c108BFloat16ENS6_6detail10functional5actorINSJ_9compositeIJNSJ_27transparent_binary_operatorINS6_8equal_toIvEEEENSK_INSJ_8argumentILj0EEEEENSJ_5valueISG_EEEEEEEEENSD_19counting_iterator_tIlEES8_S8_S8_S8_S8_S8_S8_S8_EEEEPS9_S9_NSD_9__find_if7functorIS9_EEEE10hipError_tPvRmT1_T2_T3_mT4_P12ihipStream_tbEUlT_E1_NS1_11comp_targetILNS1_3genE5ELNS1_11target_archE942ELNS1_3gpuE9ELNS1_3repE0EEENS1_30default_config_static_selectorELNS0_4arch9wavefront6targetE1EEEvS19_: ; @_ZN7rocprim17ROCPRIM_400000_NS6detail17trampoline_kernelINS0_14default_configENS1_22reduce_config_selectorIN6thrust23THRUST_200600_302600_NS5tupleIblNS6_9null_typeES8_S8_S8_S8_S8_S8_S8_EEEEZNS1_11reduce_implILb1ES3_NS6_12zip_iteratorINS7_INS6_11hip_rocprim26transform_input_iterator_tIbPN3c108BFloat16ENS6_6detail10functional5actorINSJ_9compositeIJNSJ_27transparent_binary_operatorINS6_8equal_toIvEEEENSK_INSJ_8argumentILj0EEEEENSJ_5valueISG_EEEEEEEEENSD_19counting_iterator_tIlEES8_S8_S8_S8_S8_S8_S8_S8_EEEEPS9_S9_NSD_9__find_if7functorIS9_EEEE10hipError_tPvRmT1_T2_T3_mT4_P12ihipStream_tbEUlT_E1_NS1_11comp_targetILNS1_3genE5ELNS1_11target_archE942ELNS1_3gpuE9ELNS1_3repE0EEENS1_30default_config_static_selectorELNS0_4arch9wavefront6targetE1EEEvS19_
; %bb.0:
	.section	.rodata,"a",@progbits
	.p2align	6, 0x0
	.amdhsa_kernel _ZN7rocprim17ROCPRIM_400000_NS6detail17trampoline_kernelINS0_14default_configENS1_22reduce_config_selectorIN6thrust23THRUST_200600_302600_NS5tupleIblNS6_9null_typeES8_S8_S8_S8_S8_S8_S8_EEEEZNS1_11reduce_implILb1ES3_NS6_12zip_iteratorINS7_INS6_11hip_rocprim26transform_input_iterator_tIbPN3c108BFloat16ENS6_6detail10functional5actorINSJ_9compositeIJNSJ_27transparent_binary_operatorINS6_8equal_toIvEEEENSK_INSJ_8argumentILj0EEEEENSJ_5valueISG_EEEEEEEEENSD_19counting_iterator_tIlEES8_S8_S8_S8_S8_S8_S8_S8_EEEEPS9_S9_NSD_9__find_if7functorIS9_EEEE10hipError_tPvRmT1_T2_T3_mT4_P12ihipStream_tbEUlT_E1_NS1_11comp_targetILNS1_3genE5ELNS1_11target_archE942ELNS1_3gpuE9ELNS1_3repE0EEENS1_30default_config_static_selectorELNS0_4arch9wavefront6targetE1EEEvS19_
		.amdhsa_group_segment_fixed_size 0
		.amdhsa_private_segment_fixed_size 0
		.amdhsa_kernarg_size 72
		.amdhsa_user_sgpr_count 6
		.amdhsa_user_sgpr_private_segment_buffer 1
		.amdhsa_user_sgpr_dispatch_ptr 0
		.amdhsa_user_sgpr_queue_ptr 0
		.amdhsa_user_sgpr_kernarg_segment_ptr 1
		.amdhsa_user_sgpr_dispatch_id 0
		.amdhsa_user_sgpr_flat_scratch_init 0
		.amdhsa_user_sgpr_private_segment_size 0
		.amdhsa_uses_dynamic_stack 0
		.amdhsa_system_sgpr_private_segment_wavefront_offset 0
		.amdhsa_system_sgpr_workgroup_id_x 1
		.amdhsa_system_sgpr_workgroup_id_y 0
		.amdhsa_system_sgpr_workgroup_id_z 0
		.amdhsa_system_sgpr_workgroup_info 0
		.amdhsa_system_vgpr_workitem_id 0
		.amdhsa_next_free_vgpr 1
		.amdhsa_next_free_sgpr 0
		.amdhsa_reserve_vcc 0
		.amdhsa_reserve_flat_scratch 0
		.amdhsa_float_round_mode_32 0
		.amdhsa_float_round_mode_16_64 0
		.amdhsa_float_denorm_mode_32 3
		.amdhsa_float_denorm_mode_16_64 3
		.amdhsa_dx10_clamp 1
		.amdhsa_ieee_mode 1
		.amdhsa_fp16_overflow 0
		.amdhsa_exception_fp_ieee_invalid_op 0
		.amdhsa_exception_fp_denorm_src 0
		.amdhsa_exception_fp_ieee_div_zero 0
		.amdhsa_exception_fp_ieee_overflow 0
		.amdhsa_exception_fp_ieee_underflow 0
		.amdhsa_exception_fp_ieee_inexact 0
		.amdhsa_exception_int_div_zero 0
	.end_amdhsa_kernel
	.section	.text._ZN7rocprim17ROCPRIM_400000_NS6detail17trampoline_kernelINS0_14default_configENS1_22reduce_config_selectorIN6thrust23THRUST_200600_302600_NS5tupleIblNS6_9null_typeES8_S8_S8_S8_S8_S8_S8_EEEEZNS1_11reduce_implILb1ES3_NS6_12zip_iteratorINS7_INS6_11hip_rocprim26transform_input_iterator_tIbPN3c108BFloat16ENS6_6detail10functional5actorINSJ_9compositeIJNSJ_27transparent_binary_operatorINS6_8equal_toIvEEEENSK_INSJ_8argumentILj0EEEEENSJ_5valueISG_EEEEEEEEENSD_19counting_iterator_tIlEES8_S8_S8_S8_S8_S8_S8_S8_EEEEPS9_S9_NSD_9__find_if7functorIS9_EEEE10hipError_tPvRmT1_T2_T3_mT4_P12ihipStream_tbEUlT_E1_NS1_11comp_targetILNS1_3genE5ELNS1_11target_archE942ELNS1_3gpuE9ELNS1_3repE0EEENS1_30default_config_static_selectorELNS0_4arch9wavefront6targetE1EEEvS19_,"axG",@progbits,_ZN7rocprim17ROCPRIM_400000_NS6detail17trampoline_kernelINS0_14default_configENS1_22reduce_config_selectorIN6thrust23THRUST_200600_302600_NS5tupleIblNS6_9null_typeES8_S8_S8_S8_S8_S8_S8_EEEEZNS1_11reduce_implILb1ES3_NS6_12zip_iteratorINS7_INS6_11hip_rocprim26transform_input_iterator_tIbPN3c108BFloat16ENS6_6detail10functional5actorINSJ_9compositeIJNSJ_27transparent_binary_operatorINS6_8equal_toIvEEEENSK_INSJ_8argumentILj0EEEEENSJ_5valueISG_EEEEEEEEENSD_19counting_iterator_tIlEES8_S8_S8_S8_S8_S8_S8_S8_EEEEPS9_S9_NSD_9__find_if7functorIS9_EEEE10hipError_tPvRmT1_T2_T3_mT4_P12ihipStream_tbEUlT_E1_NS1_11comp_targetILNS1_3genE5ELNS1_11target_archE942ELNS1_3gpuE9ELNS1_3repE0EEENS1_30default_config_static_selectorELNS0_4arch9wavefront6targetE1EEEvS19_,comdat
.Lfunc_end2098:
	.size	_ZN7rocprim17ROCPRIM_400000_NS6detail17trampoline_kernelINS0_14default_configENS1_22reduce_config_selectorIN6thrust23THRUST_200600_302600_NS5tupleIblNS6_9null_typeES8_S8_S8_S8_S8_S8_S8_EEEEZNS1_11reduce_implILb1ES3_NS6_12zip_iteratorINS7_INS6_11hip_rocprim26transform_input_iterator_tIbPN3c108BFloat16ENS6_6detail10functional5actorINSJ_9compositeIJNSJ_27transparent_binary_operatorINS6_8equal_toIvEEEENSK_INSJ_8argumentILj0EEEEENSJ_5valueISG_EEEEEEEEENSD_19counting_iterator_tIlEES8_S8_S8_S8_S8_S8_S8_S8_EEEEPS9_S9_NSD_9__find_if7functorIS9_EEEE10hipError_tPvRmT1_T2_T3_mT4_P12ihipStream_tbEUlT_E1_NS1_11comp_targetILNS1_3genE5ELNS1_11target_archE942ELNS1_3gpuE9ELNS1_3repE0EEENS1_30default_config_static_selectorELNS0_4arch9wavefront6targetE1EEEvS19_, .Lfunc_end2098-_ZN7rocprim17ROCPRIM_400000_NS6detail17trampoline_kernelINS0_14default_configENS1_22reduce_config_selectorIN6thrust23THRUST_200600_302600_NS5tupleIblNS6_9null_typeES8_S8_S8_S8_S8_S8_S8_EEEEZNS1_11reduce_implILb1ES3_NS6_12zip_iteratorINS7_INS6_11hip_rocprim26transform_input_iterator_tIbPN3c108BFloat16ENS6_6detail10functional5actorINSJ_9compositeIJNSJ_27transparent_binary_operatorINS6_8equal_toIvEEEENSK_INSJ_8argumentILj0EEEEENSJ_5valueISG_EEEEEEEEENSD_19counting_iterator_tIlEES8_S8_S8_S8_S8_S8_S8_S8_EEEEPS9_S9_NSD_9__find_if7functorIS9_EEEE10hipError_tPvRmT1_T2_T3_mT4_P12ihipStream_tbEUlT_E1_NS1_11comp_targetILNS1_3genE5ELNS1_11target_archE942ELNS1_3gpuE9ELNS1_3repE0EEENS1_30default_config_static_selectorELNS0_4arch9wavefront6targetE1EEEvS19_
                                        ; -- End function
	.set _ZN7rocprim17ROCPRIM_400000_NS6detail17trampoline_kernelINS0_14default_configENS1_22reduce_config_selectorIN6thrust23THRUST_200600_302600_NS5tupleIblNS6_9null_typeES8_S8_S8_S8_S8_S8_S8_EEEEZNS1_11reduce_implILb1ES3_NS6_12zip_iteratorINS7_INS6_11hip_rocprim26transform_input_iterator_tIbPN3c108BFloat16ENS6_6detail10functional5actorINSJ_9compositeIJNSJ_27transparent_binary_operatorINS6_8equal_toIvEEEENSK_INSJ_8argumentILj0EEEEENSJ_5valueISG_EEEEEEEEENSD_19counting_iterator_tIlEES8_S8_S8_S8_S8_S8_S8_S8_EEEEPS9_S9_NSD_9__find_if7functorIS9_EEEE10hipError_tPvRmT1_T2_T3_mT4_P12ihipStream_tbEUlT_E1_NS1_11comp_targetILNS1_3genE5ELNS1_11target_archE942ELNS1_3gpuE9ELNS1_3repE0EEENS1_30default_config_static_selectorELNS0_4arch9wavefront6targetE1EEEvS19_.num_vgpr, 0
	.set _ZN7rocprim17ROCPRIM_400000_NS6detail17trampoline_kernelINS0_14default_configENS1_22reduce_config_selectorIN6thrust23THRUST_200600_302600_NS5tupleIblNS6_9null_typeES8_S8_S8_S8_S8_S8_S8_EEEEZNS1_11reduce_implILb1ES3_NS6_12zip_iteratorINS7_INS6_11hip_rocprim26transform_input_iterator_tIbPN3c108BFloat16ENS6_6detail10functional5actorINSJ_9compositeIJNSJ_27transparent_binary_operatorINS6_8equal_toIvEEEENSK_INSJ_8argumentILj0EEEEENSJ_5valueISG_EEEEEEEEENSD_19counting_iterator_tIlEES8_S8_S8_S8_S8_S8_S8_S8_EEEEPS9_S9_NSD_9__find_if7functorIS9_EEEE10hipError_tPvRmT1_T2_T3_mT4_P12ihipStream_tbEUlT_E1_NS1_11comp_targetILNS1_3genE5ELNS1_11target_archE942ELNS1_3gpuE9ELNS1_3repE0EEENS1_30default_config_static_selectorELNS0_4arch9wavefront6targetE1EEEvS19_.num_agpr, 0
	.set _ZN7rocprim17ROCPRIM_400000_NS6detail17trampoline_kernelINS0_14default_configENS1_22reduce_config_selectorIN6thrust23THRUST_200600_302600_NS5tupleIblNS6_9null_typeES8_S8_S8_S8_S8_S8_S8_EEEEZNS1_11reduce_implILb1ES3_NS6_12zip_iteratorINS7_INS6_11hip_rocprim26transform_input_iterator_tIbPN3c108BFloat16ENS6_6detail10functional5actorINSJ_9compositeIJNSJ_27transparent_binary_operatorINS6_8equal_toIvEEEENSK_INSJ_8argumentILj0EEEEENSJ_5valueISG_EEEEEEEEENSD_19counting_iterator_tIlEES8_S8_S8_S8_S8_S8_S8_S8_EEEEPS9_S9_NSD_9__find_if7functorIS9_EEEE10hipError_tPvRmT1_T2_T3_mT4_P12ihipStream_tbEUlT_E1_NS1_11comp_targetILNS1_3genE5ELNS1_11target_archE942ELNS1_3gpuE9ELNS1_3repE0EEENS1_30default_config_static_selectorELNS0_4arch9wavefront6targetE1EEEvS19_.numbered_sgpr, 0
	.set _ZN7rocprim17ROCPRIM_400000_NS6detail17trampoline_kernelINS0_14default_configENS1_22reduce_config_selectorIN6thrust23THRUST_200600_302600_NS5tupleIblNS6_9null_typeES8_S8_S8_S8_S8_S8_S8_EEEEZNS1_11reduce_implILb1ES3_NS6_12zip_iteratorINS7_INS6_11hip_rocprim26transform_input_iterator_tIbPN3c108BFloat16ENS6_6detail10functional5actorINSJ_9compositeIJNSJ_27transparent_binary_operatorINS6_8equal_toIvEEEENSK_INSJ_8argumentILj0EEEEENSJ_5valueISG_EEEEEEEEENSD_19counting_iterator_tIlEES8_S8_S8_S8_S8_S8_S8_S8_EEEEPS9_S9_NSD_9__find_if7functorIS9_EEEE10hipError_tPvRmT1_T2_T3_mT4_P12ihipStream_tbEUlT_E1_NS1_11comp_targetILNS1_3genE5ELNS1_11target_archE942ELNS1_3gpuE9ELNS1_3repE0EEENS1_30default_config_static_selectorELNS0_4arch9wavefront6targetE1EEEvS19_.num_named_barrier, 0
	.set _ZN7rocprim17ROCPRIM_400000_NS6detail17trampoline_kernelINS0_14default_configENS1_22reduce_config_selectorIN6thrust23THRUST_200600_302600_NS5tupleIblNS6_9null_typeES8_S8_S8_S8_S8_S8_S8_EEEEZNS1_11reduce_implILb1ES3_NS6_12zip_iteratorINS7_INS6_11hip_rocprim26transform_input_iterator_tIbPN3c108BFloat16ENS6_6detail10functional5actorINSJ_9compositeIJNSJ_27transparent_binary_operatorINS6_8equal_toIvEEEENSK_INSJ_8argumentILj0EEEEENSJ_5valueISG_EEEEEEEEENSD_19counting_iterator_tIlEES8_S8_S8_S8_S8_S8_S8_S8_EEEEPS9_S9_NSD_9__find_if7functorIS9_EEEE10hipError_tPvRmT1_T2_T3_mT4_P12ihipStream_tbEUlT_E1_NS1_11comp_targetILNS1_3genE5ELNS1_11target_archE942ELNS1_3gpuE9ELNS1_3repE0EEENS1_30default_config_static_selectorELNS0_4arch9wavefront6targetE1EEEvS19_.private_seg_size, 0
	.set _ZN7rocprim17ROCPRIM_400000_NS6detail17trampoline_kernelINS0_14default_configENS1_22reduce_config_selectorIN6thrust23THRUST_200600_302600_NS5tupleIblNS6_9null_typeES8_S8_S8_S8_S8_S8_S8_EEEEZNS1_11reduce_implILb1ES3_NS6_12zip_iteratorINS7_INS6_11hip_rocprim26transform_input_iterator_tIbPN3c108BFloat16ENS6_6detail10functional5actorINSJ_9compositeIJNSJ_27transparent_binary_operatorINS6_8equal_toIvEEEENSK_INSJ_8argumentILj0EEEEENSJ_5valueISG_EEEEEEEEENSD_19counting_iterator_tIlEES8_S8_S8_S8_S8_S8_S8_S8_EEEEPS9_S9_NSD_9__find_if7functorIS9_EEEE10hipError_tPvRmT1_T2_T3_mT4_P12ihipStream_tbEUlT_E1_NS1_11comp_targetILNS1_3genE5ELNS1_11target_archE942ELNS1_3gpuE9ELNS1_3repE0EEENS1_30default_config_static_selectorELNS0_4arch9wavefront6targetE1EEEvS19_.uses_vcc, 0
	.set _ZN7rocprim17ROCPRIM_400000_NS6detail17trampoline_kernelINS0_14default_configENS1_22reduce_config_selectorIN6thrust23THRUST_200600_302600_NS5tupleIblNS6_9null_typeES8_S8_S8_S8_S8_S8_S8_EEEEZNS1_11reduce_implILb1ES3_NS6_12zip_iteratorINS7_INS6_11hip_rocprim26transform_input_iterator_tIbPN3c108BFloat16ENS6_6detail10functional5actorINSJ_9compositeIJNSJ_27transparent_binary_operatorINS6_8equal_toIvEEEENSK_INSJ_8argumentILj0EEEEENSJ_5valueISG_EEEEEEEEENSD_19counting_iterator_tIlEES8_S8_S8_S8_S8_S8_S8_S8_EEEEPS9_S9_NSD_9__find_if7functorIS9_EEEE10hipError_tPvRmT1_T2_T3_mT4_P12ihipStream_tbEUlT_E1_NS1_11comp_targetILNS1_3genE5ELNS1_11target_archE942ELNS1_3gpuE9ELNS1_3repE0EEENS1_30default_config_static_selectorELNS0_4arch9wavefront6targetE1EEEvS19_.uses_flat_scratch, 0
	.set _ZN7rocprim17ROCPRIM_400000_NS6detail17trampoline_kernelINS0_14default_configENS1_22reduce_config_selectorIN6thrust23THRUST_200600_302600_NS5tupleIblNS6_9null_typeES8_S8_S8_S8_S8_S8_S8_EEEEZNS1_11reduce_implILb1ES3_NS6_12zip_iteratorINS7_INS6_11hip_rocprim26transform_input_iterator_tIbPN3c108BFloat16ENS6_6detail10functional5actorINSJ_9compositeIJNSJ_27transparent_binary_operatorINS6_8equal_toIvEEEENSK_INSJ_8argumentILj0EEEEENSJ_5valueISG_EEEEEEEEENSD_19counting_iterator_tIlEES8_S8_S8_S8_S8_S8_S8_S8_EEEEPS9_S9_NSD_9__find_if7functorIS9_EEEE10hipError_tPvRmT1_T2_T3_mT4_P12ihipStream_tbEUlT_E1_NS1_11comp_targetILNS1_3genE5ELNS1_11target_archE942ELNS1_3gpuE9ELNS1_3repE0EEENS1_30default_config_static_selectorELNS0_4arch9wavefront6targetE1EEEvS19_.has_dyn_sized_stack, 0
	.set _ZN7rocprim17ROCPRIM_400000_NS6detail17trampoline_kernelINS0_14default_configENS1_22reduce_config_selectorIN6thrust23THRUST_200600_302600_NS5tupleIblNS6_9null_typeES8_S8_S8_S8_S8_S8_S8_EEEEZNS1_11reduce_implILb1ES3_NS6_12zip_iteratorINS7_INS6_11hip_rocprim26transform_input_iterator_tIbPN3c108BFloat16ENS6_6detail10functional5actorINSJ_9compositeIJNSJ_27transparent_binary_operatorINS6_8equal_toIvEEEENSK_INSJ_8argumentILj0EEEEENSJ_5valueISG_EEEEEEEEENSD_19counting_iterator_tIlEES8_S8_S8_S8_S8_S8_S8_S8_EEEEPS9_S9_NSD_9__find_if7functorIS9_EEEE10hipError_tPvRmT1_T2_T3_mT4_P12ihipStream_tbEUlT_E1_NS1_11comp_targetILNS1_3genE5ELNS1_11target_archE942ELNS1_3gpuE9ELNS1_3repE0EEENS1_30default_config_static_selectorELNS0_4arch9wavefront6targetE1EEEvS19_.has_recursion, 0
	.set _ZN7rocprim17ROCPRIM_400000_NS6detail17trampoline_kernelINS0_14default_configENS1_22reduce_config_selectorIN6thrust23THRUST_200600_302600_NS5tupleIblNS6_9null_typeES8_S8_S8_S8_S8_S8_S8_EEEEZNS1_11reduce_implILb1ES3_NS6_12zip_iteratorINS7_INS6_11hip_rocprim26transform_input_iterator_tIbPN3c108BFloat16ENS6_6detail10functional5actorINSJ_9compositeIJNSJ_27transparent_binary_operatorINS6_8equal_toIvEEEENSK_INSJ_8argumentILj0EEEEENSJ_5valueISG_EEEEEEEEENSD_19counting_iterator_tIlEES8_S8_S8_S8_S8_S8_S8_S8_EEEEPS9_S9_NSD_9__find_if7functorIS9_EEEE10hipError_tPvRmT1_T2_T3_mT4_P12ihipStream_tbEUlT_E1_NS1_11comp_targetILNS1_3genE5ELNS1_11target_archE942ELNS1_3gpuE9ELNS1_3repE0EEENS1_30default_config_static_selectorELNS0_4arch9wavefront6targetE1EEEvS19_.has_indirect_call, 0
	.section	.AMDGPU.csdata,"",@progbits
; Kernel info:
; codeLenInByte = 0
; TotalNumSgprs: 4
; NumVgprs: 0
; ScratchSize: 0
; MemoryBound: 0
; FloatMode: 240
; IeeeMode: 1
; LDSByteSize: 0 bytes/workgroup (compile time only)
; SGPRBlocks: 0
; VGPRBlocks: 0
; NumSGPRsForWavesPerEU: 4
; NumVGPRsForWavesPerEU: 1
; Occupancy: 10
; WaveLimiterHint : 0
; COMPUTE_PGM_RSRC2:SCRATCH_EN: 0
; COMPUTE_PGM_RSRC2:USER_SGPR: 6
; COMPUTE_PGM_RSRC2:TRAP_HANDLER: 0
; COMPUTE_PGM_RSRC2:TGID_X_EN: 1
; COMPUTE_PGM_RSRC2:TGID_Y_EN: 0
; COMPUTE_PGM_RSRC2:TGID_Z_EN: 0
; COMPUTE_PGM_RSRC2:TIDIG_COMP_CNT: 0
	.section	.text._ZN7rocprim17ROCPRIM_400000_NS6detail17trampoline_kernelINS0_14default_configENS1_22reduce_config_selectorIN6thrust23THRUST_200600_302600_NS5tupleIblNS6_9null_typeES8_S8_S8_S8_S8_S8_S8_EEEEZNS1_11reduce_implILb1ES3_NS6_12zip_iteratorINS7_INS6_11hip_rocprim26transform_input_iterator_tIbPN3c108BFloat16ENS6_6detail10functional5actorINSJ_9compositeIJNSJ_27transparent_binary_operatorINS6_8equal_toIvEEEENSK_INSJ_8argumentILj0EEEEENSJ_5valueISG_EEEEEEEEENSD_19counting_iterator_tIlEES8_S8_S8_S8_S8_S8_S8_S8_EEEEPS9_S9_NSD_9__find_if7functorIS9_EEEE10hipError_tPvRmT1_T2_T3_mT4_P12ihipStream_tbEUlT_E1_NS1_11comp_targetILNS1_3genE4ELNS1_11target_archE910ELNS1_3gpuE8ELNS1_3repE0EEENS1_30default_config_static_selectorELNS0_4arch9wavefront6targetE1EEEvS19_,"axG",@progbits,_ZN7rocprim17ROCPRIM_400000_NS6detail17trampoline_kernelINS0_14default_configENS1_22reduce_config_selectorIN6thrust23THRUST_200600_302600_NS5tupleIblNS6_9null_typeES8_S8_S8_S8_S8_S8_S8_EEEEZNS1_11reduce_implILb1ES3_NS6_12zip_iteratorINS7_INS6_11hip_rocprim26transform_input_iterator_tIbPN3c108BFloat16ENS6_6detail10functional5actorINSJ_9compositeIJNSJ_27transparent_binary_operatorINS6_8equal_toIvEEEENSK_INSJ_8argumentILj0EEEEENSJ_5valueISG_EEEEEEEEENSD_19counting_iterator_tIlEES8_S8_S8_S8_S8_S8_S8_S8_EEEEPS9_S9_NSD_9__find_if7functorIS9_EEEE10hipError_tPvRmT1_T2_T3_mT4_P12ihipStream_tbEUlT_E1_NS1_11comp_targetILNS1_3genE4ELNS1_11target_archE910ELNS1_3gpuE8ELNS1_3repE0EEENS1_30default_config_static_selectorELNS0_4arch9wavefront6targetE1EEEvS19_,comdat
	.protected	_ZN7rocprim17ROCPRIM_400000_NS6detail17trampoline_kernelINS0_14default_configENS1_22reduce_config_selectorIN6thrust23THRUST_200600_302600_NS5tupleIblNS6_9null_typeES8_S8_S8_S8_S8_S8_S8_EEEEZNS1_11reduce_implILb1ES3_NS6_12zip_iteratorINS7_INS6_11hip_rocprim26transform_input_iterator_tIbPN3c108BFloat16ENS6_6detail10functional5actorINSJ_9compositeIJNSJ_27transparent_binary_operatorINS6_8equal_toIvEEEENSK_INSJ_8argumentILj0EEEEENSJ_5valueISG_EEEEEEEEENSD_19counting_iterator_tIlEES8_S8_S8_S8_S8_S8_S8_S8_EEEEPS9_S9_NSD_9__find_if7functorIS9_EEEE10hipError_tPvRmT1_T2_T3_mT4_P12ihipStream_tbEUlT_E1_NS1_11comp_targetILNS1_3genE4ELNS1_11target_archE910ELNS1_3gpuE8ELNS1_3repE0EEENS1_30default_config_static_selectorELNS0_4arch9wavefront6targetE1EEEvS19_ ; -- Begin function _ZN7rocprim17ROCPRIM_400000_NS6detail17trampoline_kernelINS0_14default_configENS1_22reduce_config_selectorIN6thrust23THRUST_200600_302600_NS5tupleIblNS6_9null_typeES8_S8_S8_S8_S8_S8_S8_EEEEZNS1_11reduce_implILb1ES3_NS6_12zip_iteratorINS7_INS6_11hip_rocprim26transform_input_iterator_tIbPN3c108BFloat16ENS6_6detail10functional5actorINSJ_9compositeIJNSJ_27transparent_binary_operatorINS6_8equal_toIvEEEENSK_INSJ_8argumentILj0EEEEENSJ_5valueISG_EEEEEEEEENSD_19counting_iterator_tIlEES8_S8_S8_S8_S8_S8_S8_S8_EEEEPS9_S9_NSD_9__find_if7functorIS9_EEEE10hipError_tPvRmT1_T2_T3_mT4_P12ihipStream_tbEUlT_E1_NS1_11comp_targetILNS1_3genE4ELNS1_11target_archE910ELNS1_3gpuE8ELNS1_3repE0EEENS1_30default_config_static_selectorELNS0_4arch9wavefront6targetE1EEEvS19_
	.globl	_ZN7rocprim17ROCPRIM_400000_NS6detail17trampoline_kernelINS0_14default_configENS1_22reduce_config_selectorIN6thrust23THRUST_200600_302600_NS5tupleIblNS6_9null_typeES8_S8_S8_S8_S8_S8_S8_EEEEZNS1_11reduce_implILb1ES3_NS6_12zip_iteratorINS7_INS6_11hip_rocprim26transform_input_iterator_tIbPN3c108BFloat16ENS6_6detail10functional5actorINSJ_9compositeIJNSJ_27transparent_binary_operatorINS6_8equal_toIvEEEENSK_INSJ_8argumentILj0EEEEENSJ_5valueISG_EEEEEEEEENSD_19counting_iterator_tIlEES8_S8_S8_S8_S8_S8_S8_S8_EEEEPS9_S9_NSD_9__find_if7functorIS9_EEEE10hipError_tPvRmT1_T2_T3_mT4_P12ihipStream_tbEUlT_E1_NS1_11comp_targetILNS1_3genE4ELNS1_11target_archE910ELNS1_3gpuE8ELNS1_3repE0EEENS1_30default_config_static_selectorELNS0_4arch9wavefront6targetE1EEEvS19_
	.p2align	8
	.type	_ZN7rocprim17ROCPRIM_400000_NS6detail17trampoline_kernelINS0_14default_configENS1_22reduce_config_selectorIN6thrust23THRUST_200600_302600_NS5tupleIblNS6_9null_typeES8_S8_S8_S8_S8_S8_S8_EEEEZNS1_11reduce_implILb1ES3_NS6_12zip_iteratorINS7_INS6_11hip_rocprim26transform_input_iterator_tIbPN3c108BFloat16ENS6_6detail10functional5actorINSJ_9compositeIJNSJ_27transparent_binary_operatorINS6_8equal_toIvEEEENSK_INSJ_8argumentILj0EEEEENSJ_5valueISG_EEEEEEEEENSD_19counting_iterator_tIlEES8_S8_S8_S8_S8_S8_S8_S8_EEEEPS9_S9_NSD_9__find_if7functorIS9_EEEE10hipError_tPvRmT1_T2_T3_mT4_P12ihipStream_tbEUlT_E1_NS1_11comp_targetILNS1_3genE4ELNS1_11target_archE910ELNS1_3gpuE8ELNS1_3repE0EEENS1_30default_config_static_selectorELNS0_4arch9wavefront6targetE1EEEvS19_,@function
_ZN7rocprim17ROCPRIM_400000_NS6detail17trampoline_kernelINS0_14default_configENS1_22reduce_config_selectorIN6thrust23THRUST_200600_302600_NS5tupleIblNS6_9null_typeES8_S8_S8_S8_S8_S8_S8_EEEEZNS1_11reduce_implILb1ES3_NS6_12zip_iteratorINS7_INS6_11hip_rocprim26transform_input_iterator_tIbPN3c108BFloat16ENS6_6detail10functional5actorINSJ_9compositeIJNSJ_27transparent_binary_operatorINS6_8equal_toIvEEEENSK_INSJ_8argumentILj0EEEEENSJ_5valueISG_EEEEEEEEENSD_19counting_iterator_tIlEES8_S8_S8_S8_S8_S8_S8_S8_EEEEPS9_S9_NSD_9__find_if7functorIS9_EEEE10hipError_tPvRmT1_T2_T3_mT4_P12ihipStream_tbEUlT_E1_NS1_11comp_targetILNS1_3genE4ELNS1_11target_archE910ELNS1_3gpuE8ELNS1_3repE0EEENS1_30default_config_static_selectorELNS0_4arch9wavefront6targetE1EEEvS19_: ; @_ZN7rocprim17ROCPRIM_400000_NS6detail17trampoline_kernelINS0_14default_configENS1_22reduce_config_selectorIN6thrust23THRUST_200600_302600_NS5tupleIblNS6_9null_typeES8_S8_S8_S8_S8_S8_S8_EEEEZNS1_11reduce_implILb1ES3_NS6_12zip_iteratorINS7_INS6_11hip_rocprim26transform_input_iterator_tIbPN3c108BFloat16ENS6_6detail10functional5actorINSJ_9compositeIJNSJ_27transparent_binary_operatorINS6_8equal_toIvEEEENSK_INSJ_8argumentILj0EEEEENSJ_5valueISG_EEEEEEEEENSD_19counting_iterator_tIlEES8_S8_S8_S8_S8_S8_S8_S8_EEEEPS9_S9_NSD_9__find_if7functorIS9_EEEE10hipError_tPvRmT1_T2_T3_mT4_P12ihipStream_tbEUlT_E1_NS1_11comp_targetILNS1_3genE4ELNS1_11target_archE910ELNS1_3gpuE8ELNS1_3repE0EEENS1_30default_config_static_selectorELNS0_4arch9wavefront6targetE1EEEvS19_
; %bb.0:
	.section	.rodata,"a",@progbits
	.p2align	6, 0x0
	.amdhsa_kernel _ZN7rocprim17ROCPRIM_400000_NS6detail17trampoline_kernelINS0_14default_configENS1_22reduce_config_selectorIN6thrust23THRUST_200600_302600_NS5tupleIblNS6_9null_typeES8_S8_S8_S8_S8_S8_S8_EEEEZNS1_11reduce_implILb1ES3_NS6_12zip_iteratorINS7_INS6_11hip_rocprim26transform_input_iterator_tIbPN3c108BFloat16ENS6_6detail10functional5actorINSJ_9compositeIJNSJ_27transparent_binary_operatorINS6_8equal_toIvEEEENSK_INSJ_8argumentILj0EEEEENSJ_5valueISG_EEEEEEEEENSD_19counting_iterator_tIlEES8_S8_S8_S8_S8_S8_S8_S8_EEEEPS9_S9_NSD_9__find_if7functorIS9_EEEE10hipError_tPvRmT1_T2_T3_mT4_P12ihipStream_tbEUlT_E1_NS1_11comp_targetILNS1_3genE4ELNS1_11target_archE910ELNS1_3gpuE8ELNS1_3repE0EEENS1_30default_config_static_selectorELNS0_4arch9wavefront6targetE1EEEvS19_
		.amdhsa_group_segment_fixed_size 0
		.amdhsa_private_segment_fixed_size 0
		.amdhsa_kernarg_size 72
		.amdhsa_user_sgpr_count 6
		.amdhsa_user_sgpr_private_segment_buffer 1
		.amdhsa_user_sgpr_dispatch_ptr 0
		.amdhsa_user_sgpr_queue_ptr 0
		.amdhsa_user_sgpr_kernarg_segment_ptr 1
		.amdhsa_user_sgpr_dispatch_id 0
		.amdhsa_user_sgpr_flat_scratch_init 0
		.amdhsa_user_sgpr_private_segment_size 0
		.amdhsa_uses_dynamic_stack 0
		.amdhsa_system_sgpr_private_segment_wavefront_offset 0
		.amdhsa_system_sgpr_workgroup_id_x 1
		.amdhsa_system_sgpr_workgroup_id_y 0
		.amdhsa_system_sgpr_workgroup_id_z 0
		.amdhsa_system_sgpr_workgroup_info 0
		.amdhsa_system_vgpr_workitem_id 0
		.amdhsa_next_free_vgpr 1
		.amdhsa_next_free_sgpr 0
		.amdhsa_reserve_vcc 0
		.amdhsa_reserve_flat_scratch 0
		.amdhsa_float_round_mode_32 0
		.amdhsa_float_round_mode_16_64 0
		.amdhsa_float_denorm_mode_32 3
		.amdhsa_float_denorm_mode_16_64 3
		.amdhsa_dx10_clamp 1
		.amdhsa_ieee_mode 1
		.amdhsa_fp16_overflow 0
		.amdhsa_exception_fp_ieee_invalid_op 0
		.amdhsa_exception_fp_denorm_src 0
		.amdhsa_exception_fp_ieee_div_zero 0
		.amdhsa_exception_fp_ieee_overflow 0
		.amdhsa_exception_fp_ieee_underflow 0
		.amdhsa_exception_fp_ieee_inexact 0
		.amdhsa_exception_int_div_zero 0
	.end_amdhsa_kernel
	.section	.text._ZN7rocprim17ROCPRIM_400000_NS6detail17trampoline_kernelINS0_14default_configENS1_22reduce_config_selectorIN6thrust23THRUST_200600_302600_NS5tupleIblNS6_9null_typeES8_S8_S8_S8_S8_S8_S8_EEEEZNS1_11reduce_implILb1ES3_NS6_12zip_iteratorINS7_INS6_11hip_rocprim26transform_input_iterator_tIbPN3c108BFloat16ENS6_6detail10functional5actorINSJ_9compositeIJNSJ_27transparent_binary_operatorINS6_8equal_toIvEEEENSK_INSJ_8argumentILj0EEEEENSJ_5valueISG_EEEEEEEEENSD_19counting_iterator_tIlEES8_S8_S8_S8_S8_S8_S8_S8_EEEEPS9_S9_NSD_9__find_if7functorIS9_EEEE10hipError_tPvRmT1_T2_T3_mT4_P12ihipStream_tbEUlT_E1_NS1_11comp_targetILNS1_3genE4ELNS1_11target_archE910ELNS1_3gpuE8ELNS1_3repE0EEENS1_30default_config_static_selectorELNS0_4arch9wavefront6targetE1EEEvS19_,"axG",@progbits,_ZN7rocprim17ROCPRIM_400000_NS6detail17trampoline_kernelINS0_14default_configENS1_22reduce_config_selectorIN6thrust23THRUST_200600_302600_NS5tupleIblNS6_9null_typeES8_S8_S8_S8_S8_S8_S8_EEEEZNS1_11reduce_implILb1ES3_NS6_12zip_iteratorINS7_INS6_11hip_rocprim26transform_input_iterator_tIbPN3c108BFloat16ENS6_6detail10functional5actorINSJ_9compositeIJNSJ_27transparent_binary_operatorINS6_8equal_toIvEEEENSK_INSJ_8argumentILj0EEEEENSJ_5valueISG_EEEEEEEEENSD_19counting_iterator_tIlEES8_S8_S8_S8_S8_S8_S8_S8_EEEEPS9_S9_NSD_9__find_if7functorIS9_EEEE10hipError_tPvRmT1_T2_T3_mT4_P12ihipStream_tbEUlT_E1_NS1_11comp_targetILNS1_3genE4ELNS1_11target_archE910ELNS1_3gpuE8ELNS1_3repE0EEENS1_30default_config_static_selectorELNS0_4arch9wavefront6targetE1EEEvS19_,comdat
.Lfunc_end2099:
	.size	_ZN7rocprim17ROCPRIM_400000_NS6detail17trampoline_kernelINS0_14default_configENS1_22reduce_config_selectorIN6thrust23THRUST_200600_302600_NS5tupleIblNS6_9null_typeES8_S8_S8_S8_S8_S8_S8_EEEEZNS1_11reduce_implILb1ES3_NS6_12zip_iteratorINS7_INS6_11hip_rocprim26transform_input_iterator_tIbPN3c108BFloat16ENS6_6detail10functional5actorINSJ_9compositeIJNSJ_27transparent_binary_operatorINS6_8equal_toIvEEEENSK_INSJ_8argumentILj0EEEEENSJ_5valueISG_EEEEEEEEENSD_19counting_iterator_tIlEES8_S8_S8_S8_S8_S8_S8_S8_EEEEPS9_S9_NSD_9__find_if7functorIS9_EEEE10hipError_tPvRmT1_T2_T3_mT4_P12ihipStream_tbEUlT_E1_NS1_11comp_targetILNS1_3genE4ELNS1_11target_archE910ELNS1_3gpuE8ELNS1_3repE0EEENS1_30default_config_static_selectorELNS0_4arch9wavefront6targetE1EEEvS19_, .Lfunc_end2099-_ZN7rocprim17ROCPRIM_400000_NS6detail17trampoline_kernelINS0_14default_configENS1_22reduce_config_selectorIN6thrust23THRUST_200600_302600_NS5tupleIblNS6_9null_typeES8_S8_S8_S8_S8_S8_S8_EEEEZNS1_11reduce_implILb1ES3_NS6_12zip_iteratorINS7_INS6_11hip_rocprim26transform_input_iterator_tIbPN3c108BFloat16ENS6_6detail10functional5actorINSJ_9compositeIJNSJ_27transparent_binary_operatorINS6_8equal_toIvEEEENSK_INSJ_8argumentILj0EEEEENSJ_5valueISG_EEEEEEEEENSD_19counting_iterator_tIlEES8_S8_S8_S8_S8_S8_S8_S8_EEEEPS9_S9_NSD_9__find_if7functorIS9_EEEE10hipError_tPvRmT1_T2_T3_mT4_P12ihipStream_tbEUlT_E1_NS1_11comp_targetILNS1_3genE4ELNS1_11target_archE910ELNS1_3gpuE8ELNS1_3repE0EEENS1_30default_config_static_selectorELNS0_4arch9wavefront6targetE1EEEvS19_
                                        ; -- End function
	.set _ZN7rocprim17ROCPRIM_400000_NS6detail17trampoline_kernelINS0_14default_configENS1_22reduce_config_selectorIN6thrust23THRUST_200600_302600_NS5tupleIblNS6_9null_typeES8_S8_S8_S8_S8_S8_S8_EEEEZNS1_11reduce_implILb1ES3_NS6_12zip_iteratorINS7_INS6_11hip_rocprim26transform_input_iterator_tIbPN3c108BFloat16ENS6_6detail10functional5actorINSJ_9compositeIJNSJ_27transparent_binary_operatorINS6_8equal_toIvEEEENSK_INSJ_8argumentILj0EEEEENSJ_5valueISG_EEEEEEEEENSD_19counting_iterator_tIlEES8_S8_S8_S8_S8_S8_S8_S8_EEEEPS9_S9_NSD_9__find_if7functorIS9_EEEE10hipError_tPvRmT1_T2_T3_mT4_P12ihipStream_tbEUlT_E1_NS1_11comp_targetILNS1_3genE4ELNS1_11target_archE910ELNS1_3gpuE8ELNS1_3repE0EEENS1_30default_config_static_selectorELNS0_4arch9wavefront6targetE1EEEvS19_.num_vgpr, 0
	.set _ZN7rocprim17ROCPRIM_400000_NS6detail17trampoline_kernelINS0_14default_configENS1_22reduce_config_selectorIN6thrust23THRUST_200600_302600_NS5tupleIblNS6_9null_typeES8_S8_S8_S8_S8_S8_S8_EEEEZNS1_11reduce_implILb1ES3_NS6_12zip_iteratorINS7_INS6_11hip_rocprim26transform_input_iterator_tIbPN3c108BFloat16ENS6_6detail10functional5actorINSJ_9compositeIJNSJ_27transparent_binary_operatorINS6_8equal_toIvEEEENSK_INSJ_8argumentILj0EEEEENSJ_5valueISG_EEEEEEEEENSD_19counting_iterator_tIlEES8_S8_S8_S8_S8_S8_S8_S8_EEEEPS9_S9_NSD_9__find_if7functorIS9_EEEE10hipError_tPvRmT1_T2_T3_mT4_P12ihipStream_tbEUlT_E1_NS1_11comp_targetILNS1_3genE4ELNS1_11target_archE910ELNS1_3gpuE8ELNS1_3repE0EEENS1_30default_config_static_selectorELNS0_4arch9wavefront6targetE1EEEvS19_.num_agpr, 0
	.set _ZN7rocprim17ROCPRIM_400000_NS6detail17trampoline_kernelINS0_14default_configENS1_22reduce_config_selectorIN6thrust23THRUST_200600_302600_NS5tupleIblNS6_9null_typeES8_S8_S8_S8_S8_S8_S8_EEEEZNS1_11reduce_implILb1ES3_NS6_12zip_iteratorINS7_INS6_11hip_rocprim26transform_input_iterator_tIbPN3c108BFloat16ENS6_6detail10functional5actorINSJ_9compositeIJNSJ_27transparent_binary_operatorINS6_8equal_toIvEEEENSK_INSJ_8argumentILj0EEEEENSJ_5valueISG_EEEEEEEEENSD_19counting_iterator_tIlEES8_S8_S8_S8_S8_S8_S8_S8_EEEEPS9_S9_NSD_9__find_if7functorIS9_EEEE10hipError_tPvRmT1_T2_T3_mT4_P12ihipStream_tbEUlT_E1_NS1_11comp_targetILNS1_3genE4ELNS1_11target_archE910ELNS1_3gpuE8ELNS1_3repE0EEENS1_30default_config_static_selectorELNS0_4arch9wavefront6targetE1EEEvS19_.numbered_sgpr, 0
	.set _ZN7rocprim17ROCPRIM_400000_NS6detail17trampoline_kernelINS0_14default_configENS1_22reduce_config_selectorIN6thrust23THRUST_200600_302600_NS5tupleIblNS6_9null_typeES8_S8_S8_S8_S8_S8_S8_EEEEZNS1_11reduce_implILb1ES3_NS6_12zip_iteratorINS7_INS6_11hip_rocprim26transform_input_iterator_tIbPN3c108BFloat16ENS6_6detail10functional5actorINSJ_9compositeIJNSJ_27transparent_binary_operatorINS6_8equal_toIvEEEENSK_INSJ_8argumentILj0EEEEENSJ_5valueISG_EEEEEEEEENSD_19counting_iterator_tIlEES8_S8_S8_S8_S8_S8_S8_S8_EEEEPS9_S9_NSD_9__find_if7functorIS9_EEEE10hipError_tPvRmT1_T2_T3_mT4_P12ihipStream_tbEUlT_E1_NS1_11comp_targetILNS1_3genE4ELNS1_11target_archE910ELNS1_3gpuE8ELNS1_3repE0EEENS1_30default_config_static_selectorELNS0_4arch9wavefront6targetE1EEEvS19_.num_named_barrier, 0
	.set _ZN7rocprim17ROCPRIM_400000_NS6detail17trampoline_kernelINS0_14default_configENS1_22reduce_config_selectorIN6thrust23THRUST_200600_302600_NS5tupleIblNS6_9null_typeES8_S8_S8_S8_S8_S8_S8_EEEEZNS1_11reduce_implILb1ES3_NS6_12zip_iteratorINS7_INS6_11hip_rocprim26transform_input_iterator_tIbPN3c108BFloat16ENS6_6detail10functional5actorINSJ_9compositeIJNSJ_27transparent_binary_operatorINS6_8equal_toIvEEEENSK_INSJ_8argumentILj0EEEEENSJ_5valueISG_EEEEEEEEENSD_19counting_iterator_tIlEES8_S8_S8_S8_S8_S8_S8_S8_EEEEPS9_S9_NSD_9__find_if7functorIS9_EEEE10hipError_tPvRmT1_T2_T3_mT4_P12ihipStream_tbEUlT_E1_NS1_11comp_targetILNS1_3genE4ELNS1_11target_archE910ELNS1_3gpuE8ELNS1_3repE0EEENS1_30default_config_static_selectorELNS0_4arch9wavefront6targetE1EEEvS19_.private_seg_size, 0
	.set _ZN7rocprim17ROCPRIM_400000_NS6detail17trampoline_kernelINS0_14default_configENS1_22reduce_config_selectorIN6thrust23THRUST_200600_302600_NS5tupleIblNS6_9null_typeES8_S8_S8_S8_S8_S8_S8_EEEEZNS1_11reduce_implILb1ES3_NS6_12zip_iteratorINS7_INS6_11hip_rocprim26transform_input_iterator_tIbPN3c108BFloat16ENS6_6detail10functional5actorINSJ_9compositeIJNSJ_27transparent_binary_operatorINS6_8equal_toIvEEEENSK_INSJ_8argumentILj0EEEEENSJ_5valueISG_EEEEEEEEENSD_19counting_iterator_tIlEES8_S8_S8_S8_S8_S8_S8_S8_EEEEPS9_S9_NSD_9__find_if7functorIS9_EEEE10hipError_tPvRmT1_T2_T3_mT4_P12ihipStream_tbEUlT_E1_NS1_11comp_targetILNS1_3genE4ELNS1_11target_archE910ELNS1_3gpuE8ELNS1_3repE0EEENS1_30default_config_static_selectorELNS0_4arch9wavefront6targetE1EEEvS19_.uses_vcc, 0
	.set _ZN7rocprim17ROCPRIM_400000_NS6detail17trampoline_kernelINS0_14default_configENS1_22reduce_config_selectorIN6thrust23THRUST_200600_302600_NS5tupleIblNS6_9null_typeES8_S8_S8_S8_S8_S8_S8_EEEEZNS1_11reduce_implILb1ES3_NS6_12zip_iteratorINS7_INS6_11hip_rocprim26transform_input_iterator_tIbPN3c108BFloat16ENS6_6detail10functional5actorINSJ_9compositeIJNSJ_27transparent_binary_operatorINS6_8equal_toIvEEEENSK_INSJ_8argumentILj0EEEEENSJ_5valueISG_EEEEEEEEENSD_19counting_iterator_tIlEES8_S8_S8_S8_S8_S8_S8_S8_EEEEPS9_S9_NSD_9__find_if7functorIS9_EEEE10hipError_tPvRmT1_T2_T3_mT4_P12ihipStream_tbEUlT_E1_NS1_11comp_targetILNS1_3genE4ELNS1_11target_archE910ELNS1_3gpuE8ELNS1_3repE0EEENS1_30default_config_static_selectorELNS0_4arch9wavefront6targetE1EEEvS19_.uses_flat_scratch, 0
	.set _ZN7rocprim17ROCPRIM_400000_NS6detail17trampoline_kernelINS0_14default_configENS1_22reduce_config_selectorIN6thrust23THRUST_200600_302600_NS5tupleIblNS6_9null_typeES8_S8_S8_S8_S8_S8_S8_EEEEZNS1_11reduce_implILb1ES3_NS6_12zip_iteratorINS7_INS6_11hip_rocprim26transform_input_iterator_tIbPN3c108BFloat16ENS6_6detail10functional5actorINSJ_9compositeIJNSJ_27transparent_binary_operatorINS6_8equal_toIvEEEENSK_INSJ_8argumentILj0EEEEENSJ_5valueISG_EEEEEEEEENSD_19counting_iterator_tIlEES8_S8_S8_S8_S8_S8_S8_S8_EEEEPS9_S9_NSD_9__find_if7functorIS9_EEEE10hipError_tPvRmT1_T2_T3_mT4_P12ihipStream_tbEUlT_E1_NS1_11comp_targetILNS1_3genE4ELNS1_11target_archE910ELNS1_3gpuE8ELNS1_3repE0EEENS1_30default_config_static_selectorELNS0_4arch9wavefront6targetE1EEEvS19_.has_dyn_sized_stack, 0
	.set _ZN7rocprim17ROCPRIM_400000_NS6detail17trampoline_kernelINS0_14default_configENS1_22reduce_config_selectorIN6thrust23THRUST_200600_302600_NS5tupleIblNS6_9null_typeES8_S8_S8_S8_S8_S8_S8_EEEEZNS1_11reduce_implILb1ES3_NS6_12zip_iteratorINS7_INS6_11hip_rocprim26transform_input_iterator_tIbPN3c108BFloat16ENS6_6detail10functional5actorINSJ_9compositeIJNSJ_27transparent_binary_operatorINS6_8equal_toIvEEEENSK_INSJ_8argumentILj0EEEEENSJ_5valueISG_EEEEEEEEENSD_19counting_iterator_tIlEES8_S8_S8_S8_S8_S8_S8_S8_EEEEPS9_S9_NSD_9__find_if7functorIS9_EEEE10hipError_tPvRmT1_T2_T3_mT4_P12ihipStream_tbEUlT_E1_NS1_11comp_targetILNS1_3genE4ELNS1_11target_archE910ELNS1_3gpuE8ELNS1_3repE0EEENS1_30default_config_static_selectorELNS0_4arch9wavefront6targetE1EEEvS19_.has_recursion, 0
	.set _ZN7rocprim17ROCPRIM_400000_NS6detail17trampoline_kernelINS0_14default_configENS1_22reduce_config_selectorIN6thrust23THRUST_200600_302600_NS5tupleIblNS6_9null_typeES8_S8_S8_S8_S8_S8_S8_EEEEZNS1_11reduce_implILb1ES3_NS6_12zip_iteratorINS7_INS6_11hip_rocprim26transform_input_iterator_tIbPN3c108BFloat16ENS6_6detail10functional5actorINSJ_9compositeIJNSJ_27transparent_binary_operatorINS6_8equal_toIvEEEENSK_INSJ_8argumentILj0EEEEENSJ_5valueISG_EEEEEEEEENSD_19counting_iterator_tIlEES8_S8_S8_S8_S8_S8_S8_S8_EEEEPS9_S9_NSD_9__find_if7functorIS9_EEEE10hipError_tPvRmT1_T2_T3_mT4_P12ihipStream_tbEUlT_E1_NS1_11comp_targetILNS1_3genE4ELNS1_11target_archE910ELNS1_3gpuE8ELNS1_3repE0EEENS1_30default_config_static_selectorELNS0_4arch9wavefront6targetE1EEEvS19_.has_indirect_call, 0
	.section	.AMDGPU.csdata,"",@progbits
; Kernel info:
; codeLenInByte = 0
; TotalNumSgprs: 4
; NumVgprs: 0
; ScratchSize: 0
; MemoryBound: 0
; FloatMode: 240
; IeeeMode: 1
; LDSByteSize: 0 bytes/workgroup (compile time only)
; SGPRBlocks: 0
; VGPRBlocks: 0
; NumSGPRsForWavesPerEU: 4
; NumVGPRsForWavesPerEU: 1
; Occupancy: 10
; WaveLimiterHint : 0
; COMPUTE_PGM_RSRC2:SCRATCH_EN: 0
; COMPUTE_PGM_RSRC2:USER_SGPR: 6
; COMPUTE_PGM_RSRC2:TRAP_HANDLER: 0
; COMPUTE_PGM_RSRC2:TGID_X_EN: 1
; COMPUTE_PGM_RSRC2:TGID_Y_EN: 0
; COMPUTE_PGM_RSRC2:TGID_Z_EN: 0
; COMPUTE_PGM_RSRC2:TIDIG_COMP_CNT: 0
	.section	.text._ZN7rocprim17ROCPRIM_400000_NS6detail17trampoline_kernelINS0_14default_configENS1_22reduce_config_selectorIN6thrust23THRUST_200600_302600_NS5tupleIblNS6_9null_typeES8_S8_S8_S8_S8_S8_S8_EEEEZNS1_11reduce_implILb1ES3_NS6_12zip_iteratorINS7_INS6_11hip_rocprim26transform_input_iterator_tIbPN3c108BFloat16ENS6_6detail10functional5actorINSJ_9compositeIJNSJ_27transparent_binary_operatorINS6_8equal_toIvEEEENSK_INSJ_8argumentILj0EEEEENSJ_5valueISG_EEEEEEEEENSD_19counting_iterator_tIlEES8_S8_S8_S8_S8_S8_S8_S8_EEEEPS9_S9_NSD_9__find_if7functorIS9_EEEE10hipError_tPvRmT1_T2_T3_mT4_P12ihipStream_tbEUlT_E1_NS1_11comp_targetILNS1_3genE3ELNS1_11target_archE908ELNS1_3gpuE7ELNS1_3repE0EEENS1_30default_config_static_selectorELNS0_4arch9wavefront6targetE1EEEvS19_,"axG",@progbits,_ZN7rocprim17ROCPRIM_400000_NS6detail17trampoline_kernelINS0_14default_configENS1_22reduce_config_selectorIN6thrust23THRUST_200600_302600_NS5tupleIblNS6_9null_typeES8_S8_S8_S8_S8_S8_S8_EEEEZNS1_11reduce_implILb1ES3_NS6_12zip_iteratorINS7_INS6_11hip_rocprim26transform_input_iterator_tIbPN3c108BFloat16ENS6_6detail10functional5actorINSJ_9compositeIJNSJ_27transparent_binary_operatorINS6_8equal_toIvEEEENSK_INSJ_8argumentILj0EEEEENSJ_5valueISG_EEEEEEEEENSD_19counting_iterator_tIlEES8_S8_S8_S8_S8_S8_S8_S8_EEEEPS9_S9_NSD_9__find_if7functorIS9_EEEE10hipError_tPvRmT1_T2_T3_mT4_P12ihipStream_tbEUlT_E1_NS1_11comp_targetILNS1_3genE3ELNS1_11target_archE908ELNS1_3gpuE7ELNS1_3repE0EEENS1_30default_config_static_selectorELNS0_4arch9wavefront6targetE1EEEvS19_,comdat
	.protected	_ZN7rocprim17ROCPRIM_400000_NS6detail17trampoline_kernelINS0_14default_configENS1_22reduce_config_selectorIN6thrust23THRUST_200600_302600_NS5tupleIblNS6_9null_typeES8_S8_S8_S8_S8_S8_S8_EEEEZNS1_11reduce_implILb1ES3_NS6_12zip_iteratorINS7_INS6_11hip_rocprim26transform_input_iterator_tIbPN3c108BFloat16ENS6_6detail10functional5actorINSJ_9compositeIJNSJ_27transparent_binary_operatorINS6_8equal_toIvEEEENSK_INSJ_8argumentILj0EEEEENSJ_5valueISG_EEEEEEEEENSD_19counting_iterator_tIlEES8_S8_S8_S8_S8_S8_S8_S8_EEEEPS9_S9_NSD_9__find_if7functorIS9_EEEE10hipError_tPvRmT1_T2_T3_mT4_P12ihipStream_tbEUlT_E1_NS1_11comp_targetILNS1_3genE3ELNS1_11target_archE908ELNS1_3gpuE7ELNS1_3repE0EEENS1_30default_config_static_selectorELNS0_4arch9wavefront6targetE1EEEvS19_ ; -- Begin function _ZN7rocprim17ROCPRIM_400000_NS6detail17trampoline_kernelINS0_14default_configENS1_22reduce_config_selectorIN6thrust23THRUST_200600_302600_NS5tupleIblNS6_9null_typeES8_S8_S8_S8_S8_S8_S8_EEEEZNS1_11reduce_implILb1ES3_NS6_12zip_iteratorINS7_INS6_11hip_rocprim26transform_input_iterator_tIbPN3c108BFloat16ENS6_6detail10functional5actorINSJ_9compositeIJNSJ_27transparent_binary_operatorINS6_8equal_toIvEEEENSK_INSJ_8argumentILj0EEEEENSJ_5valueISG_EEEEEEEEENSD_19counting_iterator_tIlEES8_S8_S8_S8_S8_S8_S8_S8_EEEEPS9_S9_NSD_9__find_if7functorIS9_EEEE10hipError_tPvRmT1_T2_T3_mT4_P12ihipStream_tbEUlT_E1_NS1_11comp_targetILNS1_3genE3ELNS1_11target_archE908ELNS1_3gpuE7ELNS1_3repE0EEENS1_30default_config_static_selectorELNS0_4arch9wavefront6targetE1EEEvS19_
	.globl	_ZN7rocprim17ROCPRIM_400000_NS6detail17trampoline_kernelINS0_14default_configENS1_22reduce_config_selectorIN6thrust23THRUST_200600_302600_NS5tupleIblNS6_9null_typeES8_S8_S8_S8_S8_S8_S8_EEEEZNS1_11reduce_implILb1ES3_NS6_12zip_iteratorINS7_INS6_11hip_rocprim26transform_input_iterator_tIbPN3c108BFloat16ENS6_6detail10functional5actorINSJ_9compositeIJNSJ_27transparent_binary_operatorINS6_8equal_toIvEEEENSK_INSJ_8argumentILj0EEEEENSJ_5valueISG_EEEEEEEEENSD_19counting_iterator_tIlEES8_S8_S8_S8_S8_S8_S8_S8_EEEEPS9_S9_NSD_9__find_if7functorIS9_EEEE10hipError_tPvRmT1_T2_T3_mT4_P12ihipStream_tbEUlT_E1_NS1_11comp_targetILNS1_3genE3ELNS1_11target_archE908ELNS1_3gpuE7ELNS1_3repE0EEENS1_30default_config_static_selectorELNS0_4arch9wavefront6targetE1EEEvS19_
	.p2align	8
	.type	_ZN7rocprim17ROCPRIM_400000_NS6detail17trampoline_kernelINS0_14default_configENS1_22reduce_config_selectorIN6thrust23THRUST_200600_302600_NS5tupleIblNS6_9null_typeES8_S8_S8_S8_S8_S8_S8_EEEEZNS1_11reduce_implILb1ES3_NS6_12zip_iteratorINS7_INS6_11hip_rocprim26transform_input_iterator_tIbPN3c108BFloat16ENS6_6detail10functional5actorINSJ_9compositeIJNSJ_27transparent_binary_operatorINS6_8equal_toIvEEEENSK_INSJ_8argumentILj0EEEEENSJ_5valueISG_EEEEEEEEENSD_19counting_iterator_tIlEES8_S8_S8_S8_S8_S8_S8_S8_EEEEPS9_S9_NSD_9__find_if7functorIS9_EEEE10hipError_tPvRmT1_T2_T3_mT4_P12ihipStream_tbEUlT_E1_NS1_11comp_targetILNS1_3genE3ELNS1_11target_archE908ELNS1_3gpuE7ELNS1_3repE0EEENS1_30default_config_static_selectorELNS0_4arch9wavefront6targetE1EEEvS19_,@function
_ZN7rocprim17ROCPRIM_400000_NS6detail17trampoline_kernelINS0_14default_configENS1_22reduce_config_selectorIN6thrust23THRUST_200600_302600_NS5tupleIblNS6_9null_typeES8_S8_S8_S8_S8_S8_S8_EEEEZNS1_11reduce_implILb1ES3_NS6_12zip_iteratorINS7_INS6_11hip_rocprim26transform_input_iterator_tIbPN3c108BFloat16ENS6_6detail10functional5actorINSJ_9compositeIJNSJ_27transparent_binary_operatorINS6_8equal_toIvEEEENSK_INSJ_8argumentILj0EEEEENSJ_5valueISG_EEEEEEEEENSD_19counting_iterator_tIlEES8_S8_S8_S8_S8_S8_S8_S8_EEEEPS9_S9_NSD_9__find_if7functorIS9_EEEE10hipError_tPvRmT1_T2_T3_mT4_P12ihipStream_tbEUlT_E1_NS1_11comp_targetILNS1_3genE3ELNS1_11target_archE908ELNS1_3gpuE7ELNS1_3repE0EEENS1_30default_config_static_selectorELNS0_4arch9wavefront6targetE1EEEvS19_: ; @_ZN7rocprim17ROCPRIM_400000_NS6detail17trampoline_kernelINS0_14default_configENS1_22reduce_config_selectorIN6thrust23THRUST_200600_302600_NS5tupleIblNS6_9null_typeES8_S8_S8_S8_S8_S8_S8_EEEEZNS1_11reduce_implILb1ES3_NS6_12zip_iteratorINS7_INS6_11hip_rocprim26transform_input_iterator_tIbPN3c108BFloat16ENS6_6detail10functional5actorINSJ_9compositeIJNSJ_27transparent_binary_operatorINS6_8equal_toIvEEEENSK_INSJ_8argumentILj0EEEEENSJ_5valueISG_EEEEEEEEENSD_19counting_iterator_tIlEES8_S8_S8_S8_S8_S8_S8_S8_EEEEPS9_S9_NSD_9__find_if7functorIS9_EEEE10hipError_tPvRmT1_T2_T3_mT4_P12ihipStream_tbEUlT_E1_NS1_11comp_targetILNS1_3genE3ELNS1_11target_archE908ELNS1_3gpuE7ELNS1_3repE0EEENS1_30default_config_static_selectorELNS0_4arch9wavefront6targetE1EEEvS19_
; %bb.0:
	.section	.rodata,"a",@progbits
	.p2align	6, 0x0
	.amdhsa_kernel _ZN7rocprim17ROCPRIM_400000_NS6detail17trampoline_kernelINS0_14default_configENS1_22reduce_config_selectorIN6thrust23THRUST_200600_302600_NS5tupleIblNS6_9null_typeES8_S8_S8_S8_S8_S8_S8_EEEEZNS1_11reduce_implILb1ES3_NS6_12zip_iteratorINS7_INS6_11hip_rocprim26transform_input_iterator_tIbPN3c108BFloat16ENS6_6detail10functional5actorINSJ_9compositeIJNSJ_27transparent_binary_operatorINS6_8equal_toIvEEEENSK_INSJ_8argumentILj0EEEEENSJ_5valueISG_EEEEEEEEENSD_19counting_iterator_tIlEES8_S8_S8_S8_S8_S8_S8_S8_EEEEPS9_S9_NSD_9__find_if7functorIS9_EEEE10hipError_tPvRmT1_T2_T3_mT4_P12ihipStream_tbEUlT_E1_NS1_11comp_targetILNS1_3genE3ELNS1_11target_archE908ELNS1_3gpuE7ELNS1_3repE0EEENS1_30default_config_static_selectorELNS0_4arch9wavefront6targetE1EEEvS19_
		.amdhsa_group_segment_fixed_size 0
		.amdhsa_private_segment_fixed_size 0
		.amdhsa_kernarg_size 72
		.amdhsa_user_sgpr_count 6
		.amdhsa_user_sgpr_private_segment_buffer 1
		.amdhsa_user_sgpr_dispatch_ptr 0
		.amdhsa_user_sgpr_queue_ptr 0
		.amdhsa_user_sgpr_kernarg_segment_ptr 1
		.amdhsa_user_sgpr_dispatch_id 0
		.amdhsa_user_sgpr_flat_scratch_init 0
		.amdhsa_user_sgpr_private_segment_size 0
		.amdhsa_uses_dynamic_stack 0
		.amdhsa_system_sgpr_private_segment_wavefront_offset 0
		.amdhsa_system_sgpr_workgroup_id_x 1
		.amdhsa_system_sgpr_workgroup_id_y 0
		.amdhsa_system_sgpr_workgroup_id_z 0
		.amdhsa_system_sgpr_workgroup_info 0
		.amdhsa_system_vgpr_workitem_id 0
		.amdhsa_next_free_vgpr 1
		.amdhsa_next_free_sgpr 0
		.amdhsa_reserve_vcc 0
		.amdhsa_reserve_flat_scratch 0
		.amdhsa_float_round_mode_32 0
		.amdhsa_float_round_mode_16_64 0
		.amdhsa_float_denorm_mode_32 3
		.amdhsa_float_denorm_mode_16_64 3
		.amdhsa_dx10_clamp 1
		.amdhsa_ieee_mode 1
		.amdhsa_fp16_overflow 0
		.amdhsa_exception_fp_ieee_invalid_op 0
		.amdhsa_exception_fp_denorm_src 0
		.amdhsa_exception_fp_ieee_div_zero 0
		.amdhsa_exception_fp_ieee_overflow 0
		.amdhsa_exception_fp_ieee_underflow 0
		.amdhsa_exception_fp_ieee_inexact 0
		.amdhsa_exception_int_div_zero 0
	.end_amdhsa_kernel
	.section	.text._ZN7rocprim17ROCPRIM_400000_NS6detail17trampoline_kernelINS0_14default_configENS1_22reduce_config_selectorIN6thrust23THRUST_200600_302600_NS5tupleIblNS6_9null_typeES8_S8_S8_S8_S8_S8_S8_EEEEZNS1_11reduce_implILb1ES3_NS6_12zip_iteratorINS7_INS6_11hip_rocprim26transform_input_iterator_tIbPN3c108BFloat16ENS6_6detail10functional5actorINSJ_9compositeIJNSJ_27transparent_binary_operatorINS6_8equal_toIvEEEENSK_INSJ_8argumentILj0EEEEENSJ_5valueISG_EEEEEEEEENSD_19counting_iterator_tIlEES8_S8_S8_S8_S8_S8_S8_S8_EEEEPS9_S9_NSD_9__find_if7functorIS9_EEEE10hipError_tPvRmT1_T2_T3_mT4_P12ihipStream_tbEUlT_E1_NS1_11comp_targetILNS1_3genE3ELNS1_11target_archE908ELNS1_3gpuE7ELNS1_3repE0EEENS1_30default_config_static_selectorELNS0_4arch9wavefront6targetE1EEEvS19_,"axG",@progbits,_ZN7rocprim17ROCPRIM_400000_NS6detail17trampoline_kernelINS0_14default_configENS1_22reduce_config_selectorIN6thrust23THRUST_200600_302600_NS5tupleIblNS6_9null_typeES8_S8_S8_S8_S8_S8_S8_EEEEZNS1_11reduce_implILb1ES3_NS6_12zip_iteratorINS7_INS6_11hip_rocprim26transform_input_iterator_tIbPN3c108BFloat16ENS6_6detail10functional5actorINSJ_9compositeIJNSJ_27transparent_binary_operatorINS6_8equal_toIvEEEENSK_INSJ_8argumentILj0EEEEENSJ_5valueISG_EEEEEEEEENSD_19counting_iterator_tIlEES8_S8_S8_S8_S8_S8_S8_S8_EEEEPS9_S9_NSD_9__find_if7functorIS9_EEEE10hipError_tPvRmT1_T2_T3_mT4_P12ihipStream_tbEUlT_E1_NS1_11comp_targetILNS1_3genE3ELNS1_11target_archE908ELNS1_3gpuE7ELNS1_3repE0EEENS1_30default_config_static_selectorELNS0_4arch9wavefront6targetE1EEEvS19_,comdat
.Lfunc_end2100:
	.size	_ZN7rocprim17ROCPRIM_400000_NS6detail17trampoline_kernelINS0_14default_configENS1_22reduce_config_selectorIN6thrust23THRUST_200600_302600_NS5tupleIblNS6_9null_typeES8_S8_S8_S8_S8_S8_S8_EEEEZNS1_11reduce_implILb1ES3_NS6_12zip_iteratorINS7_INS6_11hip_rocprim26transform_input_iterator_tIbPN3c108BFloat16ENS6_6detail10functional5actorINSJ_9compositeIJNSJ_27transparent_binary_operatorINS6_8equal_toIvEEEENSK_INSJ_8argumentILj0EEEEENSJ_5valueISG_EEEEEEEEENSD_19counting_iterator_tIlEES8_S8_S8_S8_S8_S8_S8_S8_EEEEPS9_S9_NSD_9__find_if7functorIS9_EEEE10hipError_tPvRmT1_T2_T3_mT4_P12ihipStream_tbEUlT_E1_NS1_11comp_targetILNS1_3genE3ELNS1_11target_archE908ELNS1_3gpuE7ELNS1_3repE0EEENS1_30default_config_static_selectorELNS0_4arch9wavefront6targetE1EEEvS19_, .Lfunc_end2100-_ZN7rocprim17ROCPRIM_400000_NS6detail17trampoline_kernelINS0_14default_configENS1_22reduce_config_selectorIN6thrust23THRUST_200600_302600_NS5tupleIblNS6_9null_typeES8_S8_S8_S8_S8_S8_S8_EEEEZNS1_11reduce_implILb1ES3_NS6_12zip_iteratorINS7_INS6_11hip_rocprim26transform_input_iterator_tIbPN3c108BFloat16ENS6_6detail10functional5actorINSJ_9compositeIJNSJ_27transparent_binary_operatorINS6_8equal_toIvEEEENSK_INSJ_8argumentILj0EEEEENSJ_5valueISG_EEEEEEEEENSD_19counting_iterator_tIlEES8_S8_S8_S8_S8_S8_S8_S8_EEEEPS9_S9_NSD_9__find_if7functorIS9_EEEE10hipError_tPvRmT1_T2_T3_mT4_P12ihipStream_tbEUlT_E1_NS1_11comp_targetILNS1_3genE3ELNS1_11target_archE908ELNS1_3gpuE7ELNS1_3repE0EEENS1_30default_config_static_selectorELNS0_4arch9wavefront6targetE1EEEvS19_
                                        ; -- End function
	.set _ZN7rocprim17ROCPRIM_400000_NS6detail17trampoline_kernelINS0_14default_configENS1_22reduce_config_selectorIN6thrust23THRUST_200600_302600_NS5tupleIblNS6_9null_typeES8_S8_S8_S8_S8_S8_S8_EEEEZNS1_11reduce_implILb1ES3_NS6_12zip_iteratorINS7_INS6_11hip_rocprim26transform_input_iterator_tIbPN3c108BFloat16ENS6_6detail10functional5actorINSJ_9compositeIJNSJ_27transparent_binary_operatorINS6_8equal_toIvEEEENSK_INSJ_8argumentILj0EEEEENSJ_5valueISG_EEEEEEEEENSD_19counting_iterator_tIlEES8_S8_S8_S8_S8_S8_S8_S8_EEEEPS9_S9_NSD_9__find_if7functorIS9_EEEE10hipError_tPvRmT1_T2_T3_mT4_P12ihipStream_tbEUlT_E1_NS1_11comp_targetILNS1_3genE3ELNS1_11target_archE908ELNS1_3gpuE7ELNS1_3repE0EEENS1_30default_config_static_selectorELNS0_4arch9wavefront6targetE1EEEvS19_.num_vgpr, 0
	.set _ZN7rocprim17ROCPRIM_400000_NS6detail17trampoline_kernelINS0_14default_configENS1_22reduce_config_selectorIN6thrust23THRUST_200600_302600_NS5tupleIblNS6_9null_typeES8_S8_S8_S8_S8_S8_S8_EEEEZNS1_11reduce_implILb1ES3_NS6_12zip_iteratorINS7_INS6_11hip_rocprim26transform_input_iterator_tIbPN3c108BFloat16ENS6_6detail10functional5actorINSJ_9compositeIJNSJ_27transparent_binary_operatorINS6_8equal_toIvEEEENSK_INSJ_8argumentILj0EEEEENSJ_5valueISG_EEEEEEEEENSD_19counting_iterator_tIlEES8_S8_S8_S8_S8_S8_S8_S8_EEEEPS9_S9_NSD_9__find_if7functorIS9_EEEE10hipError_tPvRmT1_T2_T3_mT4_P12ihipStream_tbEUlT_E1_NS1_11comp_targetILNS1_3genE3ELNS1_11target_archE908ELNS1_3gpuE7ELNS1_3repE0EEENS1_30default_config_static_selectorELNS0_4arch9wavefront6targetE1EEEvS19_.num_agpr, 0
	.set _ZN7rocprim17ROCPRIM_400000_NS6detail17trampoline_kernelINS0_14default_configENS1_22reduce_config_selectorIN6thrust23THRUST_200600_302600_NS5tupleIblNS6_9null_typeES8_S8_S8_S8_S8_S8_S8_EEEEZNS1_11reduce_implILb1ES3_NS6_12zip_iteratorINS7_INS6_11hip_rocprim26transform_input_iterator_tIbPN3c108BFloat16ENS6_6detail10functional5actorINSJ_9compositeIJNSJ_27transparent_binary_operatorINS6_8equal_toIvEEEENSK_INSJ_8argumentILj0EEEEENSJ_5valueISG_EEEEEEEEENSD_19counting_iterator_tIlEES8_S8_S8_S8_S8_S8_S8_S8_EEEEPS9_S9_NSD_9__find_if7functorIS9_EEEE10hipError_tPvRmT1_T2_T3_mT4_P12ihipStream_tbEUlT_E1_NS1_11comp_targetILNS1_3genE3ELNS1_11target_archE908ELNS1_3gpuE7ELNS1_3repE0EEENS1_30default_config_static_selectorELNS0_4arch9wavefront6targetE1EEEvS19_.numbered_sgpr, 0
	.set _ZN7rocprim17ROCPRIM_400000_NS6detail17trampoline_kernelINS0_14default_configENS1_22reduce_config_selectorIN6thrust23THRUST_200600_302600_NS5tupleIblNS6_9null_typeES8_S8_S8_S8_S8_S8_S8_EEEEZNS1_11reduce_implILb1ES3_NS6_12zip_iteratorINS7_INS6_11hip_rocprim26transform_input_iterator_tIbPN3c108BFloat16ENS6_6detail10functional5actorINSJ_9compositeIJNSJ_27transparent_binary_operatorINS6_8equal_toIvEEEENSK_INSJ_8argumentILj0EEEEENSJ_5valueISG_EEEEEEEEENSD_19counting_iterator_tIlEES8_S8_S8_S8_S8_S8_S8_S8_EEEEPS9_S9_NSD_9__find_if7functorIS9_EEEE10hipError_tPvRmT1_T2_T3_mT4_P12ihipStream_tbEUlT_E1_NS1_11comp_targetILNS1_3genE3ELNS1_11target_archE908ELNS1_3gpuE7ELNS1_3repE0EEENS1_30default_config_static_selectorELNS0_4arch9wavefront6targetE1EEEvS19_.num_named_barrier, 0
	.set _ZN7rocprim17ROCPRIM_400000_NS6detail17trampoline_kernelINS0_14default_configENS1_22reduce_config_selectorIN6thrust23THRUST_200600_302600_NS5tupleIblNS6_9null_typeES8_S8_S8_S8_S8_S8_S8_EEEEZNS1_11reduce_implILb1ES3_NS6_12zip_iteratorINS7_INS6_11hip_rocprim26transform_input_iterator_tIbPN3c108BFloat16ENS6_6detail10functional5actorINSJ_9compositeIJNSJ_27transparent_binary_operatorINS6_8equal_toIvEEEENSK_INSJ_8argumentILj0EEEEENSJ_5valueISG_EEEEEEEEENSD_19counting_iterator_tIlEES8_S8_S8_S8_S8_S8_S8_S8_EEEEPS9_S9_NSD_9__find_if7functorIS9_EEEE10hipError_tPvRmT1_T2_T3_mT4_P12ihipStream_tbEUlT_E1_NS1_11comp_targetILNS1_3genE3ELNS1_11target_archE908ELNS1_3gpuE7ELNS1_3repE0EEENS1_30default_config_static_selectorELNS0_4arch9wavefront6targetE1EEEvS19_.private_seg_size, 0
	.set _ZN7rocprim17ROCPRIM_400000_NS6detail17trampoline_kernelINS0_14default_configENS1_22reduce_config_selectorIN6thrust23THRUST_200600_302600_NS5tupleIblNS6_9null_typeES8_S8_S8_S8_S8_S8_S8_EEEEZNS1_11reduce_implILb1ES3_NS6_12zip_iteratorINS7_INS6_11hip_rocprim26transform_input_iterator_tIbPN3c108BFloat16ENS6_6detail10functional5actorINSJ_9compositeIJNSJ_27transparent_binary_operatorINS6_8equal_toIvEEEENSK_INSJ_8argumentILj0EEEEENSJ_5valueISG_EEEEEEEEENSD_19counting_iterator_tIlEES8_S8_S8_S8_S8_S8_S8_S8_EEEEPS9_S9_NSD_9__find_if7functorIS9_EEEE10hipError_tPvRmT1_T2_T3_mT4_P12ihipStream_tbEUlT_E1_NS1_11comp_targetILNS1_3genE3ELNS1_11target_archE908ELNS1_3gpuE7ELNS1_3repE0EEENS1_30default_config_static_selectorELNS0_4arch9wavefront6targetE1EEEvS19_.uses_vcc, 0
	.set _ZN7rocprim17ROCPRIM_400000_NS6detail17trampoline_kernelINS0_14default_configENS1_22reduce_config_selectorIN6thrust23THRUST_200600_302600_NS5tupleIblNS6_9null_typeES8_S8_S8_S8_S8_S8_S8_EEEEZNS1_11reduce_implILb1ES3_NS6_12zip_iteratorINS7_INS6_11hip_rocprim26transform_input_iterator_tIbPN3c108BFloat16ENS6_6detail10functional5actorINSJ_9compositeIJNSJ_27transparent_binary_operatorINS6_8equal_toIvEEEENSK_INSJ_8argumentILj0EEEEENSJ_5valueISG_EEEEEEEEENSD_19counting_iterator_tIlEES8_S8_S8_S8_S8_S8_S8_S8_EEEEPS9_S9_NSD_9__find_if7functorIS9_EEEE10hipError_tPvRmT1_T2_T3_mT4_P12ihipStream_tbEUlT_E1_NS1_11comp_targetILNS1_3genE3ELNS1_11target_archE908ELNS1_3gpuE7ELNS1_3repE0EEENS1_30default_config_static_selectorELNS0_4arch9wavefront6targetE1EEEvS19_.uses_flat_scratch, 0
	.set _ZN7rocprim17ROCPRIM_400000_NS6detail17trampoline_kernelINS0_14default_configENS1_22reduce_config_selectorIN6thrust23THRUST_200600_302600_NS5tupleIblNS6_9null_typeES8_S8_S8_S8_S8_S8_S8_EEEEZNS1_11reduce_implILb1ES3_NS6_12zip_iteratorINS7_INS6_11hip_rocprim26transform_input_iterator_tIbPN3c108BFloat16ENS6_6detail10functional5actorINSJ_9compositeIJNSJ_27transparent_binary_operatorINS6_8equal_toIvEEEENSK_INSJ_8argumentILj0EEEEENSJ_5valueISG_EEEEEEEEENSD_19counting_iterator_tIlEES8_S8_S8_S8_S8_S8_S8_S8_EEEEPS9_S9_NSD_9__find_if7functorIS9_EEEE10hipError_tPvRmT1_T2_T3_mT4_P12ihipStream_tbEUlT_E1_NS1_11comp_targetILNS1_3genE3ELNS1_11target_archE908ELNS1_3gpuE7ELNS1_3repE0EEENS1_30default_config_static_selectorELNS0_4arch9wavefront6targetE1EEEvS19_.has_dyn_sized_stack, 0
	.set _ZN7rocprim17ROCPRIM_400000_NS6detail17trampoline_kernelINS0_14default_configENS1_22reduce_config_selectorIN6thrust23THRUST_200600_302600_NS5tupleIblNS6_9null_typeES8_S8_S8_S8_S8_S8_S8_EEEEZNS1_11reduce_implILb1ES3_NS6_12zip_iteratorINS7_INS6_11hip_rocprim26transform_input_iterator_tIbPN3c108BFloat16ENS6_6detail10functional5actorINSJ_9compositeIJNSJ_27transparent_binary_operatorINS6_8equal_toIvEEEENSK_INSJ_8argumentILj0EEEEENSJ_5valueISG_EEEEEEEEENSD_19counting_iterator_tIlEES8_S8_S8_S8_S8_S8_S8_S8_EEEEPS9_S9_NSD_9__find_if7functorIS9_EEEE10hipError_tPvRmT1_T2_T3_mT4_P12ihipStream_tbEUlT_E1_NS1_11comp_targetILNS1_3genE3ELNS1_11target_archE908ELNS1_3gpuE7ELNS1_3repE0EEENS1_30default_config_static_selectorELNS0_4arch9wavefront6targetE1EEEvS19_.has_recursion, 0
	.set _ZN7rocprim17ROCPRIM_400000_NS6detail17trampoline_kernelINS0_14default_configENS1_22reduce_config_selectorIN6thrust23THRUST_200600_302600_NS5tupleIblNS6_9null_typeES8_S8_S8_S8_S8_S8_S8_EEEEZNS1_11reduce_implILb1ES3_NS6_12zip_iteratorINS7_INS6_11hip_rocprim26transform_input_iterator_tIbPN3c108BFloat16ENS6_6detail10functional5actorINSJ_9compositeIJNSJ_27transparent_binary_operatorINS6_8equal_toIvEEEENSK_INSJ_8argumentILj0EEEEENSJ_5valueISG_EEEEEEEEENSD_19counting_iterator_tIlEES8_S8_S8_S8_S8_S8_S8_S8_EEEEPS9_S9_NSD_9__find_if7functorIS9_EEEE10hipError_tPvRmT1_T2_T3_mT4_P12ihipStream_tbEUlT_E1_NS1_11comp_targetILNS1_3genE3ELNS1_11target_archE908ELNS1_3gpuE7ELNS1_3repE0EEENS1_30default_config_static_selectorELNS0_4arch9wavefront6targetE1EEEvS19_.has_indirect_call, 0
	.section	.AMDGPU.csdata,"",@progbits
; Kernel info:
; codeLenInByte = 0
; TotalNumSgprs: 4
; NumVgprs: 0
; ScratchSize: 0
; MemoryBound: 0
; FloatMode: 240
; IeeeMode: 1
; LDSByteSize: 0 bytes/workgroup (compile time only)
; SGPRBlocks: 0
; VGPRBlocks: 0
; NumSGPRsForWavesPerEU: 4
; NumVGPRsForWavesPerEU: 1
; Occupancy: 10
; WaveLimiterHint : 0
; COMPUTE_PGM_RSRC2:SCRATCH_EN: 0
; COMPUTE_PGM_RSRC2:USER_SGPR: 6
; COMPUTE_PGM_RSRC2:TRAP_HANDLER: 0
; COMPUTE_PGM_RSRC2:TGID_X_EN: 1
; COMPUTE_PGM_RSRC2:TGID_Y_EN: 0
; COMPUTE_PGM_RSRC2:TGID_Z_EN: 0
; COMPUTE_PGM_RSRC2:TIDIG_COMP_CNT: 0
	.section	.text._ZN7rocprim17ROCPRIM_400000_NS6detail17trampoline_kernelINS0_14default_configENS1_22reduce_config_selectorIN6thrust23THRUST_200600_302600_NS5tupleIblNS6_9null_typeES8_S8_S8_S8_S8_S8_S8_EEEEZNS1_11reduce_implILb1ES3_NS6_12zip_iteratorINS7_INS6_11hip_rocprim26transform_input_iterator_tIbPN3c108BFloat16ENS6_6detail10functional5actorINSJ_9compositeIJNSJ_27transparent_binary_operatorINS6_8equal_toIvEEEENSK_INSJ_8argumentILj0EEEEENSJ_5valueISG_EEEEEEEEENSD_19counting_iterator_tIlEES8_S8_S8_S8_S8_S8_S8_S8_EEEEPS9_S9_NSD_9__find_if7functorIS9_EEEE10hipError_tPvRmT1_T2_T3_mT4_P12ihipStream_tbEUlT_E1_NS1_11comp_targetILNS1_3genE2ELNS1_11target_archE906ELNS1_3gpuE6ELNS1_3repE0EEENS1_30default_config_static_selectorELNS0_4arch9wavefront6targetE1EEEvS19_,"axG",@progbits,_ZN7rocprim17ROCPRIM_400000_NS6detail17trampoline_kernelINS0_14default_configENS1_22reduce_config_selectorIN6thrust23THRUST_200600_302600_NS5tupleIblNS6_9null_typeES8_S8_S8_S8_S8_S8_S8_EEEEZNS1_11reduce_implILb1ES3_NS6_12zip_iteratorINS7_INS6_11hip_rocprim26transform_input_iterator_tIbPN3c108BFloat16ENS6_6detail10functional5actorINSJ_9compositeIJNSJ_27transparent_binary_operatorINS6_8equal_toIvEEEENSK_INSJ_8argumentILj0EEEEENSJ_5valueISG_EEEEEEEEENSD_19counting_iterator_tIlEES8_S8_S8_S8_S8_S8_S8_S8_EEEEPS9_S9_NSD_9__find_if7functorIS9_EEEE10hipError_tPvRmT1_T2_T3_mT4_P12ihipStream_tbEUlT_E1_NS1_11comp_targetILNS1_3genE2ELNS1_11target_archE906ELNS1_3gpuE6ELNS1_3repE0EEENS1_30default_config_static_selectorELNS0_4arch9wavefront6targetE1EEEvS19_,comdat
	.protected	_ZN7rocprim17ROCPRIM_400000_NS6detail17trampoline_kernelINS0_14default_configENS1_22reduce_config_selectorIN6thrust23THRUST_200600_302600_NS5tupleIblNS6_9null_typeES8_S8_S8_S8_S8_S8_S8_EEEEZNS1_11reduce_implILb1ES3_NS6_12zip_iteratorINS7_INS6_11hip_rocprim26transform_input_iterator_tIbPN3c108BFloat16ENS6_6detail10functional5actorINSJ_9compositeIJNSJ_27transparent_binary_operatorINS6_8equal_toIvEEEENSK_INSJ_8argumentILj0EEEEENSJ_5valueISG_EEEEEEEEENSD_19counting_iterator_tIlEES8_S8_S8_S8_S8_S8_S8_S8_EEEEPS9_S9_NSD_9__find_if7functorIS9_EEEE10hipError_tPvRmT1_T2_T3_mT4_P12ihipStream_tbEUlT_E1_NS1_11comp_targetILNS1_3genE2ELNS1_11target_archE906ELNS1_3gpuE6ELNS1_3repE0EEENS1_30default_config_static_selectorELNS0_4arch9wavefront6targetE1EEEvS19_ ; -- Begin function _ZN7rocprim17ROCPRIM_400000_NS6detail17trampoline_kernelINS0_14default_configENS1_22reduce_config_selectorIN6thrust23THRUST_200600_302600_NS5tupleIblNS6_9null_typeES8_S8_S8_S8_S8_S8_S8_EEEEZNS1_11reduce_implILb1ES3_NS6_12zip_iteratorINS7_INS6_11hip_rocprim26transform_input_iterator_tIbPN3c108BFloat16ENS6_6detail10functional5actorINSJ_9compositeIJNSJ_27transparent_binary_operatorINS6_8equal_toIvEEEENSK_INSJ_8argumentILj0EEEEENSJ_5valueISG_EEEEEEEEENSD_19counting_iterator_tIlEES8_S8_S8_S8_S8_S8_S8_S8_EEEEPS9_S9_NSD_9__find_if7functorIS9_EEEE10hipError_tPvRmT1_T2_T3_mT4_P12ihipStream_tbEUlT_E1_NS1_11comp_targetILNS1_3genE2ELNS1_11target_archE906ELNS1_3gpuE6ELNS1_3repE0EEENS1_30default_config_static_selectorELNS0_4arch9wavefront6targetE1EEEvS19_
	.globl	_ZN7rocprim17ROCPRIM_400000_NS6detail17trampoline_kernelINS0_14default_configENS1_22reduce_config_selectorIN6thrust23THRUST_200600_302600_NS5tupleIblNS6_9null_typeES8_S8_S8_S8_S8_S8_S8_EEEEZNS1_11reduce_implILb1ES3_NS6_12zip_iteratorINS7_INS6_11hip_rocprim26transform_input_iterator_tIbPN3c108BFloat16ENS6_6detail10functional5actorINSJ_9compositeIJNSJ_27transparent_binary_operatorINS6_8equal_toIvEEEENSK_INSJ_8argumentILj0EEEEENSJ_5valueISG_EEEEEEEEENSD_19counting_iterator_tIlEES8_S8_S8_S8_S8_S8_S8_S8_EEEEPS9_S9_NSD_9__find_if7functorIS9_EEEE10hipError_tPvRmT1_T2_T3_mT4_P12ihipStream_tbEUlT_E1_NS1_11comp_targetILNS1_3genE2ELNS1_11target_archE906ELNS1_3gpuE6ELNS1_3repE0EEENS1_30default_config_static_selectorELNS0_4arch9wavefront6targetE1EEEvS19_
	.p2align	8
	.type	_ZN7rocprim17ROCPRIM_400000_NS6detail17trampoline_kernelINS0_14default_configENS1_22reduce_config_selectorIN6thrust23THRUST_200600_302600_NS5tupleIblNS6_9null_typeES8_S8_S8_S8_S8_S8_S8_EEEEZNS1_11reduce_implILb1ES3_NS6_12zip_iteratorINS7_INS6_11hip_rocprim26transform_input_iterator_tIbPN3c108BFloat16ENS6_6detail10functional5actorINSJ_9compositeIJNSJ_27transparent_binary_operatorINS6_8equal_toIvEEEENSK_INSJ_8argumentILj0EEEEENSJ_5valueISG_EEEEEEEEENSD_19counting_iterator_tIlEES8_S8_S8_S8_S8_S8_S8_S8_EEEEPS9_S9_NSD_9__find_if7functorIS9_EEEE10hipError_tPvRmT1_T2_T3_mT4_P12ihipStream_tbEUlT_E1_NS1_11comp_targetILNS1_3genE2ELNS1_11target_archE906ELNS1_3gpuE6ELNS1_3repE0EEENS1_30default_config_static_selectorELNS0_4arch9wavefront6targetE1EEEvS19_,@function
_ZN7rocprim17ROCPRIM_400000_NS6detail17trampoline_kernelINS0_14default_configENS1_22reduce_config_selectorIN6thrust23THRUST_200600_302600_NS5tupleIblNS6_9null_typeES8_S8_S8_S8_S8_S8_S8_EEEEZNS1_11reduce_implILb1ES3_NS6_12zip_iteratorINS7_INS6_11hip_rocprim26transform_input_iterator_tIbPN3c108BFloat16ENS6_6detail10functional5actorINSJ_9compositeIJNSJ_27transparent_binary_operatorINS6_8equal_toIvEEEENSK_INSJ_8argumentILj0EEEEENSJ_5valueISG_EEEEEEEEENSD_19counting_iterator_tIlEES8_S8_S8_S8_S8_S8_S8_S8_EEEEPS9_S9_NSD_9__find_if7functorIS9_EEEE10hipError_tPvRmT1_T2_T3_mT4_P12ihipStream_tbEUlT_E1_NS1_11comp_targetILNS1_3genE2ELNS1_11target_archE906ELNS1_3gpuE6ELNS1_3repE0EEENS1_30default_config_static_selectorELNS0_4arch9wavefront6targetE1EEEvS19_: ; @_ZN7rocprim17ROCPRIM_400000_NS6detail17trampoline_kernelINS0_14default_configENS1_22reduce_config_selectorIN6thrust23THRUST_200600_302600_NS5tupleIblNS6_9null_typeES8_S8_S8_S8_S8_S8_S8_EEEEZNS1_11reduce_implILb1ES3_NS6_12zip_iteratorINS7_INS6_11hip_rocprim26transform_input_iterator_tIbPN3c108BFloat16ENS6_6detail10functional5actorINSJ_9compositeIJNSJ_27transparent_binary_operatorINS6_8equal_toIvEEEENSK_INSJ_8argumentILj0EEEEENSJ_5valueISG_EEEEEEEEENSD_19counting_iterator_tIlEES8_S8_S8_S8_S8_S8_S8_S8_EEEEPS9_S9_NSD_9__find_if7functorIS9_EEEE10hipError_tPvRmT1_T2_T3_mT4_P12ihipStream_tbEUlT_E1_NS1_11comp_targetILNS1_3genE2ELNS1_11target_archE906ELNS1_3gpuE6ELNS1_3repE0EEENS1_30default_config_static_selectorELNS0_4arch9wavefront6targetE1EEEvS19_
; %bb.0:
	s_load_dword s35, s[4:5], 0x4
	s_load_dwordx2 s[24:25], s[4:5], 0x8
	s_load_dword s0, s[4:5], 0x10
	s_load_dwordx4 s[20:23], s[4:5], 0x18
	s_load_dword s33, s[4:5], 0x30
	s_load_dwordx2 s[18:19], s[4:5], 0x38
	s_waitcnt lgkmcnt(0)
	s_lshr_b32 s34, s0, 16
	s_cmp_lt_i32 s35, 4
	s_cbranch_scc1 .LBB2101_13
; %bb.1:
	s_cmp_gt_i32 s35, 7
	s_cbranch_scc0 .LBB2101_14
; %bb.2:
	s_cmp_eq_u32 s35, 8
	s_mov_b64 s[26:27], 0
	s_cbranch_scc0 .LBB2101_15
; %bb.3:
	s_mov_b32 s7, 0
	s_lshl_b32 s30, s6, 10
	s_mov_b32 s31, s7
	s_lshr_b64 s[0:1], s[22:23], 10
	s_lshl_b64 s[2:3], s[30:31], 1
	s_add_u32 s28, s24, s2
	s_addc_u32 s29, s25, s3
	s_add_u32 s37, s20, s30
	s_addc_u32 s38, s21, 0
	s_cmp_lg_u64 s[0:1], s[6:7]
	s_cbranch_scc0 .LBB2101_28
; %bb.4:
	v_lshlrev_b32_e32 v1, 1, v0
	global_load_ushort v2, v1, s[28:29]
	global_load_ushort v4, v1, s[28:29] offset:256
	global_load_ushort v5, v1, s[28:29] offset:512
	;; [unrolled: 1-line block ×7, first 2 shown]
	v_mov_b32_e32 v1, s38
	v_add_co_u32_e32 v18, vcc, s37, v0
	s_lshl_b32 s16, s34, 16
	v_addc_co_u32_e32 v19, vcc, 0, v1, vcc
	v_mov_b32_e32 v11, 0x100
	v_mov_b32_e32 v12, 0x80
	;; [unrolled: 1-line block ×7, first 2 shown]
	v_mbcnt_lo_u32_b32 v3, -1, 0
	v_mbcnt_hi_u32_b32 v3, -1, v3
	s_waitcnt vmcnt(7)
	v_lshlrev_b32_e32 v1, 16, v2
	s_waitcnt vmcnt(6)
	v_lshlrev_b32_e32 v2, 16, v4
	;; [unrolled: 2-line block ×8, first 2 shown]
	v_cmp_eq_f32_e32 vcc, s16, v4
	v_cmp_eq_f32_e64 s[0:1], s16, v6
	v_cmp_eq_f32_e64 s[2:3], s16, v8
	;; [unrolled: 1-line block ×7, first 2 shown]
	v_cndmask_b32_e64 v2, v11, v12, s[10:11]
	s_or_b64 s[10:11], s[16:17], s[10:11]
	s_or_b64 vcc, s[10:11], vcc
	v_cndmask_b32_e64 v4, v13, v14, s[12:13]
	v_cndmask_b32_e64 v1, v2, 0, s[16:17]
	s_or_b64 s[10:11], vcc, s[12:13]
	v_cndmask_b32_e32 v1, v4, v1, vcc
	s_or_b64 vcc, s[10:11], s[0:1]
	v_cndmask_b32_e64 v5, v15, v16, s[14:15]
	s_or_b64 s[0:1], vcc, s[14:15]
	v_cndmask_b32_e32 v1, v5, v1, vcc
	s_or_b64 vcc, s[0:1], s[2:3]
	v_cndmask_b32_e32 v1, v17, v1, vcc
	v_add_co_u32_e64 v1, s[0:1], v18, v1
	v_addc_co_u32_e64 v2, s[0:1], 0, v19, s[0:1]
	s_or_b64 s[0:1], vcc, s[8:9]
	v_mov_b32_dpp v4, v1 quad_perm:[1,0,3,2] row_mask:0xf bank_mask:0xf bound_ctrl:1
	v_mov_b32_dpp v5, v2 quad_perm:[1,0,3,2] row_mask:0xf bank_mask:0xf bound_ctrl:1
	v_cndmask_b32_e64 v6, 0, 1, s[0:1]
	v_cmp_lt_i64_e32 vcc, v[1:2], v[4:5]
	s_and_b64 vcc, s[0:1], vcc
	v_mov_b32_dpp v7, v6 quad_perm:[1,0,3,2] row_mask:0xf bank_mask:0xf bound_ctrl:1
	v_and_b32_e32 v7, 1, v7
	v_cndmask_b32_e32 v4, v4, v1, vcc
	v_cndmask_b32_e32 v5, v5, v2, vcc
	v_cmp_eq_u32_e32 vcc, 1, v7
	v_cndmask_b32_e32 v2, v2, v5, vcc
	v_cndmask_b32_e32 v1, v1, v4, vcc
	v_cndmask_b32_e64 v6, v6, 1, vcc
	v_mov_b32_dpp v5, v2 quad_perm:[2,3,0,1] row_mask:0xf bank_mask:0xf bound_ctrl:1
	v_mov_b32_dpp v4, v1 quad_perm:[2,3,0,1] row_mask:0xf bank_mask:0xf bound_ctrl:1
	v_and_b32_e32 v8, 1, v6
	v_cmp_lt_i64_e64 s[0:1], v[1:2], v[4:5]
	v_mov_b32_dpp v7, v6 quad_perm:[2,3,0,1] row_mask:0xf bank_mask:0xf bound_ctrl:1
	v_cmp_eq_u32_e32 vcc, 1, v8
	v_and_b32_e32 v7, 1, v7
	s_and_b64 vcc, vcc, s[0:1]
	v_cmp_eq_u32_e64 s[2:3], 1, v7
	v_cndmask_b32_e32 v4, v4, v1, vcc
	v_cndmask_b32_e32 v5, v5, v2, vcc
	v_cndmask_b32_e64 v1, v1, v4, s[2:3]
	v_cndmask_b32_e64 v2, v2, v5, s[2:3]
	;; [unrolled: 1-line block ×3, first 2 shown]
	v_mov_b32_dpp v4, v1 row_ror:4 row_mask:0xf bank_mask:0xf bound_ctrl:1
	v_mov_b32_dpp v5, v2 row_ror:4 row_mask:0xf bank_mask:0xf bound_ctrl:1
	v_and_b32_e32 v8, 1, v6
	v_cmp_lt_i64_e64 s[2:3], v[1:2], v[4:5]
	v_mov_b32_dpp v7, v6 row_ror:4 row_mask:0xf bank_mask:0xf bound_ctrl:1
	v_cmp_eq_u32_e32 vcc, 1, v8
	v_and_b32_e32 v7, 1, v7
	s_and_b64 vcc, vcc, s[2:3]
	v_cmp_eq_u32_e64 s[0:1], 1, v7
	v_cndmask_b32_e32 v4, v4, v1, vcc
	v_cndmask_b32_e32 v5, v5, v2, vcc
	v_cndmask_b32_e64 v1, v1, v4, s[0:1]
	v_cndmask_b32_e64 v2, v2, v5, s[0:1]
	;; [unrolled: 1-line block ×3, first 2 shown]
	v_mov_b32_dpp v4, v1 row_ror:8 row_mask:0xf bank_mask:0xf bound_ctrl:1
	v_mov_b32_dpp v5, v2 row_ror:8 row_mask:0xf bank_mask:0xf bound_ctrl:1
	v_and_b32_e32 v8, 1, v6
	v_cmp_lt_i64_e32 vcc, v[1:2], v[4:5]
	v_mov_b32_dpp v7, v6 row_ror:8 row_mask:0xf bank_mask:0xf bound_ctrl:1
	v_cmp_eq_u32_e64 s[8:9], 1, v8
	v_and_b32_e32 v7, 1, v7
	s_and_b64 vcc, s[8:9], vcc
	v_cmp_eq_u32_e64 s[10:11], 1, v7
	v_cndmask_b32_e32 v4, v4, v1, vcc
	v_cndmask_b32_e32 v5, v5, v2, vcc
	v_cndmask_b32_e64 v1, v1, v4, s[10:11]
	v_cndmask_b32_e64 v2, v2, v5, s[10:11]
	;; [unrolled: 1-line block ×3, first 2 shown]
	v_mov_b32_dpp v4, v1 row_bcast:15 row_mask:0xf bank_mask:0xf bound_ctrl:1
	v_mov_b32_dpp v5, v2 row_bcast:15 row_mask:0xf bank_mask:0xf bound_ctrl:1
	v_and_b32_e32 v8, 1, v6
	v_cmp_lt_i64_e64 s[0:1], v[1:2], v[4:5]
	v_mov_b32_dpp v7, v6 row_bcast:15 row_mask:0xf bank_mask:0xf bound_ctrl:1
	v_cmp_eq_u32_e32 vcc, 1, v8
	v_and_b32_e32 v7, 1, v7
	s_and_b64 vcc, vcc, s[0:1]
	v_cmp_eq_u32_e64 s[2:3], 1, v7
	v_cndmask_b32_e32 v4, v4, v1, vcc
	v_cndmask_b32_e32 v5, v5, v2, vcc
	v_cndmask_b32_e64 v2, v2, v5, s[2:3]
	v_cndmask_b32_e64 v1, v1, v4, s[2:3]
	v_cndmask_b32_e64 v6, v6, 1, s[2:3]
	v_mov_b32_dpp v5, v2 row_bcast:31 row_mask:0xf bank_mask:0xf bound_ctrl:1
	v_mov_b32_dpp v4, v1 row_bcast:31 row_mask:0xf bank_mask:0xf bound_ctrl:1
	v_and_b32_e32 v8, 1, v6
	v_cmp_lt_i64_e64 s[0:1], v[1:2], v[4:5]
	v_mov_b32_dpp v7, v6 row_bcast:31 row_mask:0xf bank_mask:0xf bound_ctrl:1
	v_cmp_eq_u32_e32 vcc, 1, v8
	v_and_b32_e32 v7, 1, v7
	s_and_b64 vcc, vcc, s[0:1]
	v_cmp_eq_u32_e64 s[2:3], 1, v7
	v_cndmask_b32_e32 v5, v5, v2, vcc
	v_cndmask_b32_e32 v4, v4, v1, vcc
	v_cndmask_b32_e64 v2, v2, v5, s[2:3]
	v_lshlrev_b32_e32 v5, 2, v3
	v_cndmask_b32_e64 v6, v6, 1, s[2:3]
	v_cndmask_b32_e64 v1, v1, v4, s[2:3]
	v_or_b32_e32 v4, 0xfc, v5
	ds_bpermute_b32 v17, v4, v6
	ds_bpermute_b32 v1, v4, v1
	;; [unrolled: 1-line block ×3, first 2 shown]
	v_cmp_eq_u32_e32 vcc, 0, v3
	s_and_saveexec_b64 s[0:1], vcc
	s_cbranch_execz .LBB2101_6
; %bb.5:
	v_lshrrev_b32_e32 v4, 2, v0
	v_and_b32_e32 v4, 16, v4
	s_waitcnt lgkmcnt(2)
	ds_write_b8 v4, v17 offset:96
	s_waitcnt lgkmcnt(1)
	ds_write_b64 v4, v[1:2] offset:104
.LBB2101_6:
	s_or_b64 exec, exec, s[0:1]
	v_cmp_gt_u32_e32 vcc, 64, v0
	s_waitcnt lgkmcnt(0)
	s_barrier
	s_and_saveexec_b64 s[0:1], vcc
	s_cbranch_execz .LBB2101_12
; %bb.7:
	v_and_b32_e32 v1, 1, v3
	v_lshlrev_b32_e32 v1, 4, v1
	ds_read_u8 v7, v1 offset:96
	ds_read_b64 v[3:4], v1 offset:104
	v_or_b32_e32 v2, 4, v5
	s_waitcnt lgkmcnt(1)
	v_and_b32_e32 v1, 0xff, v7
	ds_bpermute_b32 v8, v2, v1
	s_waitcnt lgkmcnt(1)
	ds_bpermute_b32 v5, v2, v3
	ds_bpermute_b32 v6, v2, v4
	s_waitcnt lgkmcnt(2)
	v_and_b32_e32 v1, v7, v8
	v_and_b32_e32 v1, 1, v1
	v_cmp_eq_u32_e32 vcc, 1, v1
                                        ; implicit-def: $vgpr1_vgpr2
	s_and_saveexec_b64 s[2:3], vcc
	s_xor_b64 s[2:3], exec, s[2:3]
	s_cbranch_execz .LBB2101_9
; %bb.8:
	s_waitcnt lgkmcnt(0)
	v_cmp_lt_i64_e32 vcc, v[5:6], v[3:4]
                                        ; implicit-def: $vgpr7
                                        ; implicit-def: $vgpr8
	v_cndmask_b32_e32 v2, v4, v6, vcc
	v_cndmask_b32_e32 v1, v3, v5, vcc
                                        ; implicit-def: $vgpr5_vgpr6
                                        ; implicit-def: $vgpr3_vgpr4
.LBB2101_9:
	s_or_saveexec_b64 s[2:3], s[2:3]
	v_mov_b32_e32 v17, 1
	s_xor_b64 exec, exec, s[2:3]
	s_cbranch_execz .LBB2101_11
; %bb.10:
	v_and_b32_e32 v1, 1, v7
	v_cmp_eq_u32_e32 vcc, 1, v1
	s_waitcnt lgkmcnt(0)
	v_cndmask_b32_e32 v2, v6, v4, vcc
	v_cndmask_b32_e32 v1, v5, v3, vcc
	v_cndmask_b32_e64 v17, v8, 1, vcc
.LBB2101_11:
	s_or_b64 exec, exec, s[2:3]
.LBB2101_12:
	s_or_b64 exec, exec, s[0:1]
	s_branch .LBB2101_145
.LBB2101_13:
	s_mov_b64 s[14:15], 0
                                        ; implicit-def: $vgpr3_vgpr4
                                        ; implicit-def: $vgpr5
                                        ; implicit-def: $vgpr1_vgpr2
	s_cbranch_execnz .LBB2101_219
	s_branch .LBB2101_306
.LBB2101_14:
	s_mov_b64 s[26:27], -1
.LBB2101_15:
	s_mov_b64 s[14:15], 0
                                        ; implicit-def: $vgpr3_vgpr4
                                        ; implicit-def: $vgpr5
                                        ; implicit-def: $vgpr1_vgpr2
	s_and_b64 vcc, exec, s[26:27]
	s_cbranch_vccz .LBB2101_150
.LBB2101_16:
	s_cmp_eq_u32 s35, 4
	s_cbranch_scc0 .LBB2101_27
; %bb.17:
	s_mov_b32 s7, 0
	s_lshl_b32 s26, s6, 9
	s_mov_b32 s27, s7
	s_lshr_b64 s[0:1], s[22:23], 9
	s_lshl_b64 s[2:3], s[26:27], 1
	s_add_u32 s16, s24, s2
	s_addc_u32 s17, s25, s3
	s_add_u32 s27, s20, s26
	s_addc_u32 s28, s21, 0
	s_cmp_lg_u64 s[0:1], s[6:7]
	s_cbranch_scc0 .LBB2101_51
; %bb.18:
	v_lshlrev_b32_e32 v1, 1, v0
	global_load_ushort v2, v1, s[16:17]
	s_waitcnt lgkmcnt(0)
	global_load_ushort v4, v1, s[16:17] offset:256
	global_load_ushort v6, v1, s[16:17] offset:512
	;; [unrolled: 1-line block ×3, first 2 shown]
	v_mov_b32_e32 v1, s28
	v_add_co_u32_e32 v11, vcc, s27, v0
	s_lshl_b32 s8, s34, 16
	v_addc_co_u32_e32 v12, vcc, 0, v1, vcc
	v_mov_b32_e32 v8, 0x100
	v_mov_b32_e32 v9, 0x80
	;; [unrolled: 1-line block ×3, first 2 shown]
	v_mbcnt_lo_u32_b32 v3, -1, 0
	v_mbcnt_hi_u32_b32 v3, -1, v3
	v_lshlrev_b32_e32 v5, 2, v3
	v_or_b32_e32 v13, 0xfc, v5
	s_waitcnt vmcnt(3)
	v_lshlrev_b32_e32 v1, 16, v2
	s_waitcnt vmcnt(2)
	v_lshlrev_b32_e32 v2, 16, v4
	;; [unrolled: 2-line block ×4, first 2 shown]
	v_cmp_eq_f32_e32 vcc, s8, v4
	v_cmp_eq_f32_e64 s[0:1], s8, v6
	v_cmp_eq_f32_e64 s[2:3], s8, v2
	v_cmp_eq_f32_e64 s[8:9], s8, v1
	v_cndmask_b32_e64 v2, v8, v9, s[2:3]
	s_or_b64 s[2:3], s[8:9], s[2:3]
	v_cndmask_b32_e64 v1, v2, 0, s[8:9]
	s_or_b64 vcc, s[2:3], vcc
	v_cndmask_b32_e32 v1, v10, v1, vcc
	v_add_co_u32_e64 v1, s[2:3], v11, v1
	v_addc_co_u32_e64 v2, s[2:3], 0, v12, s[2:3]
	s_or_b64 s[0:1], vcc, s[0:1]
	v_mov_b32_dpp v6, v1 quad_perm:[1,0,3,2] row_mask:0xf bank_mask:0xf bound_ctrl:1
	v_mov_b32_dpp v7, v2 quad_perm:[1,0,3,2] row_mask:0xf bank_mask:0xf bound_ctrl:1
	v_cndmask_b32_e64 v4, 0, 1, s[0:1]
	v_cmp_lt_i64_e32 vcc, v[1:2], v[6:7]
	s_and_b64 vcc, s[0:1], vcc
	v_mov_b32_dpp v8, v4 quad_perm:[1,0,3,2] row_mask:0xf bank_mask:0xf bound_ctrl:1
	v_and_b32_e32 v8, 1, v8
	v_cndmask_b32_e32 v6, v6, v1, vcc
	v_cndmask_b32_e32 v7, v7, v2, vcc
	v_cmp_eq_u32_e32 vcc, 1, v8
	v_cndmask_b32_e32 v2, v2, v7, vcc
	v_cndmask_b32_e32 v1, v1, v6, vcc
	v_cndmask_b32_e64 v4, v4, 1, vcc
	v_mov_b32_dpp v7, v2 quad_perm:[2,3,0,1] row_mask:0xf bank_mask:0xf bound_ctrl:1
	v_mov_b32_dpp v6, v1 quad_perm:[2,3,0,1] row_mask:0xf bank_mask:0xf bound_ctrl:1
	v_and_b32_e32 v9, 1, v4
	v_cmp_lt_i64_e64 s[0:1], v[1:2], v[6:7]
	v_mov_b32_dpp v8, v4 quad_perm:[2,3,0,1] row_mask:0xf bank_mask:0xf bound_ctrl:1
	v_cmp_eq_u32_e32 vcc, 1, v9
	v_and_b32_e32 v8, 1, v8
	s_and_b64 vcc, vcc, s[0:1]
	v_cmp_eq_u32_e64 s[2:3], 1, v8
	v_cndmask_b32_e32 v6, v6, v1, vcc
	v_cndmask_b32_e32 v7, v7, v2, vcc
	v_cndmask_b32_e64 v1, v1, v6, s[2:3]
	v_cndmask_b32_e64 v2, v2, v7, s[2:3]
	;; [unrolled: 1-line block ×3, first 2 shown]
	v_mov_b32_dpp v6, v1 row_ror:4 row_mask:0xf bank_mask:0xf bound_ctrl:1
	v_mov_b32_dpp v7, v2 row_ror:4 row_mask:0xf bank_mask:0xf bound_ctrl:1
	v_and_b32_e32 v9, 1, v4
	v_cmp_lt_i64_e64 s[2:3], v[1:2], v[6:7]
	v_mov_b32_dpp v8, v4 row_ror:4 row_mask:0xf bank_mask:0xf bound_ctrl:1
	v_cmp_eq_u32_e32 vcc, 1, v9
	v_and_b32_e32 v8, 1, v8
	s_and_b64 vcc, vcc, s[2:3]
	v_cmp_eq_u32_e64 s[0:1], 1, v8
	v_cndmask_b32_e32 v6, v6, v1, vcc
	v_cndmask_b32_e32 v7, v7, v2, vcc
	v_cndmask_b32_e64 v1, v1, v6, s[0:1]
	v_cndmask_b32_e64 v2, v2, v7, s[0:1]
	;; [unrolled: 1-line block ×3, first 2 shown]
	v_mov_b32_dpp v6, v1 row_ror:8 row_mask:0xf bank_mask:0xf bound_ctrl:1
	v_mov_b32_dpp v7, v2 row_ror:8 row_mask:0xf bank_mask:0xf bound_ctrl:1
	v_and_b32_e32 v9, 1, v4
	v_cmp_lt_i64_e64 s[2:3], v[1:2], v[6:7]
	v_mov_b32_dpp v8, v4 row_ror:8 row_mask:0xf bank_mask:0xf bound_ctrl:1
	v_cmp_eq_u32_e64 s[8:9], 1, v9
	v_and_b32_e32 v8, 1, v8
	s_and_b64 s[2:3], s[8:9], s[2:3]
	v_cmp_eq_u32_e64 s[10:11], 1, v8
	v_cndmask_b32_e64 v6, v6, v1, s[2:3]
	v_cndmask_b32_e64 v7, v7, v2, s[2:3]
	;; [unrolled: 1-line block ×5, first 2 shown]
	v_mov_b32_dpp v6, v1 row_bcast:15 row_mask:0xf bank_mask:0xf bound_ctrl:1
	v_mov_b32_dpp v7, v2 row_bcast:15 row_mask:0xf bank_mask:0xf bound_ctrl:1
	v_and_b32_e32 v9, 1, v4
	v_cmp_lt_i64_e64 s[2:3], v[1:2], v[6:7]
	v_mov_b32_dpp v8, v4 row_bcast:15 row_mask:0xf bank_mask:0xf bound_ctrl:1
	v_cmp_eq_u32_e32 vcc, 1, v9
	v_and_b32_e32 v8, 1, v8
	s_and_b64 vcc, vcc, s[2:3]
	v_cmp_eq_u32_e64 s[0:1], 1, v8
	v_cndmask_b32_e32 v6, v6, v1, vcc
	v_cndmask_b32_e32 v7, v7, v2, vcc
	v_cndmask_b32_e64 v4, v4, 1, s[0:1]
	v_cndmask_b32_e64 v1, v1, v6, s[0:1]
	;; [unrolled: 1-line block ×3, first 2 shown]
	v_mov_b32_dpp v8, v4 row_bcast:31 row_mask:0xf bank_mask:0xf bound_ctrl:1
	v_mov_b32_dpp v6, v1 row_bcast:31 row_mask:0xf bank_mask:0xf bound_ctrl:1
	;; [unrolled: 1-line block ×3, first 2 shown]
	v_and_b32_e32 v9, 1, v4
	v_and_b32_e32 v8, 1, v8
	v_cmp_lt_i64_e32 vcc, v[1:2], v[6:7]
	v_cmp_eq_u32_e64 s[12:13], 1, v9
	v_cmp_eq_u32_e64 s[8:9], 1, v8
	v_cndmask_b32_e64 v4, v4, 1, s[8:9]
	s_and_b64 vcc, s[12:13], vcc
	ds_bpermute_b32 v9, v13, v4
	v_cndmask_b32_e32 v4, v6, v1, vcc
	v_cndmask_b32_e32 v6, v7, v2, vcc
	v_cndmask_b32_e64 v1, v1, v4, s[8:9]
	v_cndmask_b32_e64 v2, v2, v6, s[8:9]
	ds_bpermute_b32 v1, v13, v1
	ds_bpermute_b32 v2, v13, v2
	v_cmp_eq_u32_e32 vcc, 0, v3
	s_and_saveexec_b64 s[0:1], vcc
	s_cbranch_execz .LBB2101_20
; %bb.19:
	v_lshrrev_b32_e32 v4, 2, v0
	v_and_b32_e32 v4, 16, v4
	s_waitcnt lgkmcnt(2)
	ds_write_b8 v4, v9 offset:64
	s_waitcnt lgkmcnt(1)
	ds_write_b64 v4, v[1:2] offset:72
.LBB2101_20:
	s_or_b64 exec, exec, s[0:1]
	v_cmp_gt_u32_e32 vcc, 64, v0
	s_waitcnt lgkmcnt(0)
	s_barrier
	s_and_saveexec_b64 s[0:1], vcc
	s_cbranch_execz .LBB2101_26
; %bb.21:
	v_and_b32_e32 v1, 1, v3
	v_lshlrev_b32_e32 v1, 4, v1
	ds_read_u8 v7, v1 offset:64
	ds_read_b64 v[3:4], v1 offset:72
	v_or_b32_e32 v2, 4, v5
	s_waitcnt lgkmcnt(1)
	v_and_b32_e32 v1, 0xff, v7
	ds_bpermute_b32 v8, v2, v1
	s_waitcnt lgkmcnt(1)
	ds_bpermute_b32 v5, v2, v3
	ds_bpermute_b32 v6, v2, v4
	s_waitcnt lgkmcnt(2)
	v_and_b32_e32 v1, v7, v8
	v_and_b32_e32 v1, 1, v1
	v_cmp_eq_u32_e32 vcc, 1, v1
                                        ; implicit-def: $vgpr1_vgpr2
	s_and_saveexec_b64 s[2:3], vcc
	s_xor_b64 s[2:3], exec, s[2:3]
	s_cbranch_execz .LBB2101_23
; %bb.22:
	s_waitcnt lgkmcnt(0)
	v_cmp_lt_i64_e32 vcc, v[5:6], v[3:4]
                                        ; implicit-def: $vgpr7
                                        ; implicit-def: $vgpr8
	v_cndmask_b32_e32 v2, v4, v6, vcc
	v_cndmask_b32_e32 v1, v3, v5, vcc
                                        ; implicit-def: $vgpr5_vgpr6
                                        ; implicit-def: $vgpr3_vgpr4
.LBB2101_23:
	s_or_saveexec_b64 s[2:3], s[2:3]
	v_mov_b32_e32 v9, 1
	s_xor_b64 exec, exec, s[2:3]
	s_cbranch_execz .LBB2101_25
; %bb.24:
	v_and_b32_e32 v1, 1, v7
	v_cmp_eq_u32_e32 vcc, 1, v1
	s_waitcnt lgkmcnt(0)
	v_cndmask_b32_e32 v2, v6, v4, vcc
	v_cndmask_b32_e32 v1, v5, v3, vcc
	v_cndmask_b32_e64 v9, v8, 1, vcc
.LBB2101_25:
	s_or_b64 exec, exec, s[2:3]
.LBB2101_26:
	s_or_b64 exec, exec, s[0:1]
	s_branch .LBB2101_214
.LBB2101_27:
                                        ; implicit-def: $vgpr3_vgpr4
                                        ; implicit-def: $vgpr5
                                        ; implicit-def: $vgpr1_vgpr2
	s_branch .LBB2101_306
.LBB2101_28:
                                        ; implicit-def: $vgpr1_vgpr2
                                        ; implicit-def: $vgpr17
	s_cbranch_execz .LBB2101_145
; %bb.29:
	s_sub_i32 s36, s22, s30
	v_mov_b32_e32 v15, 0
	v_mov_b32_e32 v1, 0
	s_lshl_b32 s39, s34, 16
	v_cmp_gt_u32_e32 vcc, s36, v0
	v_mov_b32_e32 v24, 0
	v_mov_b32_e32 v16, 0
	;; [unrolled: 1-line block ×4, first 2 shown]
	s_and_saveexec_b64 s[0:1], vcc
	s_cbranch_execz .LBB2101_31
; %bb.30:
	v_lshlrev_b32_e32 v1, 1, v0
	global_load_ushort v3, v1, s[28:29]
	v_mov_b32_e32 v2, s38
	v_add_co_u32_e32 v1, vcc, s37, v0
	v_addc_co_u32_e32 v2, vcc, 0, v2, vcc
	s_waitcnt vmcnt(0)
	v_lshlrev_b32_e32 v3, 16, v3
	v_cmp_eq_f32_e32 vcc, s39, v3
	v_cndmask_b32_e64 v17, 0, 1, vcc
.LBB2101_31:
	s_or_b64 exec, exec, s[0:1]
	v_or_b32_e32 v3, 0x80, v0
	v_cmp_gt_u32_e64 s[14:15], s36, v3
	s_and_saveexec_b64 s[0:1], s[14:15]
	s_cbranch_execz .LBB2101_33
; %bb.32:
	v_lshlrev_b32_e32 v4, 1, v0
	global_load_ushort v4, v4, s[28:29] offset:256
	s_waitcnt lgkmcnt(1)
	v_mov_b32_e32 v5, s38
	v_add_co_u32_e32 v15, vcc, s37, v3
	v_addc_co_u32_e32 v16, vcc, 0, v5, vcc
	s_waitcnt vmcnt(0)
	v_lshlrev_b32_e32 v3, 16, v4
	v_cmp_eq_f32_e32 vcc, s39, v3
	v_cndmask_b32_e64 v24, 0, 1, vcc
.LBB2101_33:
	s_or_b64 exec, exec, s[0:1]
	v_or_b32_e32 v3, 0x100, v0
	v_mov_b32_e32 v11, 0
	v_mov_b32_e32 v13, 0
	v_cmp_gt_u32_e64 s[12:13], s36, v3
	v_mov_b32_e32 v22, 0
	v_mov_b32_e32 v12, 0
	;; [unrolled: 1-line block ×4, first 2 shown]
	s_and_saveexec_b64 s[0:1], s[12:13]
	s_cbranch_execz .LBB2101_35
; %bb.34:
	v_lshlrev_b32_e32 v4, 1, v0
	global_load_ushort v4, v4, s[28:29] offset:512
	s_waitcnt lgkmcnt(1)
	v_mov_b32_e32 v5, s38
	v_add_co_u32_e32 v13, vcc, s37, v3
	v_addc_co_u32_e32 v14, vcc, 0, v5, vcc
	s_waitcnt vmcnt(0)
	v_lshlrev_b32_e32 v3, 16, v4
	v_cmp_eq_f32_e32 vcc, s39, v3
	v_cndmask_b32_e64 v23, 0, 1, vcc
.LBB2101_35:
	s_or_b64 exec, exec, s[0:1]
	v_or_b32_e32 v3, 0x180, v0
	v_cmp_gt_u32_e64 s[10:11], s36, v3
	s_and_saveexec_b64 s[0:1], s[10:11]
	s_cbranch_execz .LBB2101_37
; %bb.36:
	v_lshlrev_b32_e32 v4, 1, v0
	global_load_ushort v4, v4, s[28:29] offset:768
	s_waitcnt lgkmcnt(1)
	v_mov_b32_e32 v5, s38
	v_add_co_u32_e32 v11, vcc, s37, v3
	v_addc_co_u32_e32 v12, vcc, 0, v5, vcc
	s_waitcnt vmcnt(0)
	v_lshlrev_b32_e32 v3, 16, v4
	v_cmp_eq_f32_e32 vcc, s39, v3
	v_cndmask_b32_e64 v22, 0, 1, vcc
.LBB2101_37:
	s_or_b64 exec, exec, s[0:1]
	v_or_b32_e32 v3, 0x200, v0
	v_mov_b32_e32 v7, 0
	v_mov_b32_e32 v9, 0
	v_cmp_gt_u32_e64 s[8:9], s36, v3
	v_mov_b32_e32 v20, 0
	v_mov_b32_e32 v8, 0
	;; [unrolled: 1-line block ×4, first 2 shown]
	s_and_saveexec_b64 s[0:1], s[8:9]
	s_cbranch_execz .LBB2101_39
; %bb.38:
	v_lshlrev_b32_e32 v4, 1, v0
	global_load_ushort v4, v4, s[28:29] offset:1024
	s_waitcnt lgkmcnt(1)
	v_mov_b32_e32 v5, s38
	v_add_co_u32_e32 v9, vcc, s37, v3
	v_addc_co_u32_e32 v10, vcc, 0, v5, vcc
	s_waitcnt vmcnt(0)
	v_lshlrev_b32_e32 v3, 16, v4
	v_cmp_eq_f32_e32 vcc, s39, v3
	v_cndmask_b32_e64 v21, 0, 1, vcc
.LBB2101_39:
	s_or_b64 exec, exec, s[0:1]
	v_or_b32_e32 v3, 0x280, v0
	v_cmp_gt_u32_e64 s[2:3], s36, v3
	s_and_saveexec_b64 s[0:1], s[2:3]
	s_cbranch_execz .LBB2101_41
; %bb.40:
	v_lshlrev_b32_e32 v4, 1, v0
	global_load_ushort v4, v4, s[28:29] offset:1280
	s_waitcnt lgkmcnt(1)
	v_mov_b32_e32 v5, s38
	v_add_co_u32_e32 v7, vcc, s37, v3
	v_addc_co_u32_e32 v8, vcc, 0, v5, vcc
	s_waitcnt vmcnt(0)
	v_lshlrev_b32_e32 v3, 16, v4
	v_cmp_eq_f32_e32 vcc, s39, v3
	v_cndmask_b32_e64 v20, 0, 1, vcc
.LBB2101_41:
	s_or_b64 exec, exec, s[0:1]
	v_or_b32_e32 v25, 0x300, v0
	v_mov_b32_e32 v3, 0
	s_waitcnt lgkmcnt(0)
	v_mov_b32_e32 v5, 0
	v_cmp_gt_u32_e64 s[0:1], s36, v25
	v_mov_b32_e32 v4, 0
	v_mov_b32_e32 v18, 0
	;; [unrolled: 1-line block ×4, first 2 shown]
	s_and_saveexec_b64 s[16:17], s[0:1]
	s_cbranch_execz .LBB2101_43
; %bb.42:
	v_lshlrev_b32_e32 v5, 1, v0
	global_load_ushort v19, v5, s[28:29] offset:1536
	v_mov_b32_e32 v6, s38
	v_add_co_u32_e32 v5, vcc, s37, v25
	v_addc_co_u32_e32 v6, vcc, 0, v6, vcc
	s_waitcnt vmcnt(0)
	v_lshlrev_b32_e32 v19, 16, v19
	v_cmp_eq_f32_e32 vcc, s39, v19
	v_cndmask_b32_e64 v19, 0, 1, vcc
.LBB2101_43:
	s_or_b64 exec, exec, s[16:17]
	v_or_b32_e32 v25, 0x380, v0
	v_cmp_gt_u32_e32 vcc, s36, v25
	s_and_saveexec_b64 s[30:31], vcc
	s_cbranch_execnz .LBB2101_62
; %bb.44:
	s_or_b64 exec, exec, s[30:31]
	s_and_saveexec_b64 s[28:29], s[14:15]
	s_cbranch_execnz .LBB2101_63
.LBB2101_45:
	s_or_b64 exec, exec, s[28:29]
	s_and_saveexec_b64 s[16:17], s[12:13]
	s_cbranch_execnz .LBB2101_68
.LBB2101_46:
	s_or_b64 exec, exec, s[16:17]
	s_and_saveexec_b64 s[14:15], s[10:11]
	s_cbranch_execnz .LBB2101_73
.LBB2101_47:
	s_or_b64 exec, exec, s[14:15]
	s_and_saveexec_b64 s[12:13], s[8:9]
	s_cbranch_execnz .LBB2101_78
.LBB2101_48:
	s_or_b64 exec, exec, s[12:13]
	s_and_saveexec_b64 s[10:11], s[2:3]
	s_cbranch_execnz .LBB2101_83
.LBB2101_49:
	s_or_b64 exec, exec, s[10:11]
	s_and_saveexec_b64 s[8:9], s[0:1]
	s_cbranch_execnz .LBB2101_88
.LBB2101_50:
	s_or_b64 exec, exec, s[8:9]
	s_and_saveexec_b64 s[2:3], vcc
	s_cbranch_execnz .LBB2101_93
	s_branch .LBB2101_98
.LBB2101_51:
                                        ; implicit-def: $vgpr1_vgpr2
                                        ; implicit-def: $vgpr9
	s_cbranch_execz .LBB2101_214
; %bb.52:
	s_sub_i32 s12, s22, s26
	s_waitcnt lgkmcnt(1)
	v_mov_b32_e32 v7, 0
	v_mov_b32_e32 v1, 0
	s_lshl_b32 s13, s34, 16
	v_cmp_gt_u32_e32 vcc, s12, v0
	v_mov_b32_e32 v12, 0
	v_mov_b32_e32 v8, 0
	;; [unrolled: 1-line block ×4, first 2 shown]
	s_and_saveexec_b64 s[0:1], vcc
	s_cbranch_execz .LBB2101_54
; %bb.53:
	v_lshlrev_b32_e32 v1, 1, v0
	global_load_ushort v3, v1, s[16:17]
	v_mov_b32_e32 v2, s28
	v_add_co_u32_e32 v1, vcc, s27, v0
	v_addc_co_u32_e32 v2, vcc, 0, v2, vcc
	s_waitcnt vmcnt(0)
	v_lshlrev_b32_e32 v3, 16, v3
	v_cmp_eq_f32_e32 vcc, s13, v3
	v_cndmask_b32_e64 v9, 0, 1, vcc
.LBB2101_54:
	s_or_b64 exec, exec, s[0:1]
	v_or_b32_e32 v3, 0x80, v0
	v_cmp_gt_u32_e64 s[2:3], s12, v3
	s_and_saveexec_b64 s[0:1], s[2:3]
	s_cbranch_execz .LBB2101_56
; %bb.55:
	s_waitcnt lgkmcnt(0)
	v_lshlrev_b32_e32 v4, 1, v0
	global_load_ushort v4, v4, s[16:17] offset:256
	v_mov_b32_e32 v5, s28
	v_add_co_u32_e32 v7, vcc, s27, v3
	v_addc_co_u32_e32 v8, vcc, 0, v5, vcc
	s_waitcnt vmcnt(0)
	v_lshlrev_b32_e32 v3, 16, v4
	v_cmp_eq_f32_e32 vcc, s13, v3
	v_cndmask_b32_e64 v12, 0, 1, vcc
.LBB2101_56:
	s_or_b64 exec, exec, s[0:1]
	v_or_b32_e32 v13, 0x100, v0
	s_waitcnt lgkmcnt(0)
	v_mov_b32_e32 v3, 0
	v_mov_b32_e32 v5, 0
	v_cmp_gt_u32_e64 s[0:1], s12, v13
	v_mov_b32_e32 v10, 0
	v_mov_b32_e32 v4, 0
	;; [unrolled: 1-line block ×4, first 2 shown]
	s_and_saveexec_b64 s[8:9], s[0:1]
	s_cbranch_execz .LBB2101_58
; %bb.57:
	v_lshlrev_b32_e32 v5, 1, v0
	global_load_ushort v11, v5, s[16:17] offset:512
	v_mov_b32_e32 v6, s28
	v_add_co_u32_e32 v5, vcc, s27, v13
	v_addc_co_u32_e32 v6, vcc, 0, v6, vcc
	s_waitcnt vmcnt(0)
	v_lshlrev_b32_e32 v11, 16, v11
	v_cmp_eq_f32_e32 vcc, s13, v11
	v_cndmask_b32_e64 v11, 0, 1, vcc
.LBB2101_58:
	s_or_b64 exec, exec, s[8:9]
	v_or_b32_e32 v13, 0x180, v0
	v_cmp_gt_u32_e32 vcc, s12, v13
	s_and_saveexec_b64 s[10:11], vcc
	s_cbranch_execnz .LBB2101_151
; %bb.59:
	s_or_b64 exec, exec, s[10:11]
	s_and_saveexec_b64 s[10:11], s[2:3]
	s_cbranch_execnz .LBB2101_152
.LBB2101_60:
	s_or_b64 exec, exec, s[10:11]
	s_and_saveexec_b64 s[8:9], s[0:1]
	s_cbranch_execnz .LBB2101_157
.LBB2101_61:
	s_or_b64 exec, exec, s[8:9]
	s_and_saveexec_b64 s[2:3], vcc
	s_cbranch_execnz .LBB2101_162
	s_branch .LBB2101_167
.LBB2101_62:
	v_lshlrev_b32_e32 v3, 1, v0
	global_load_ushort v18, v3, s[28:29] offset:1792
	v_mov_b32_e32 v4, s38
	v_add_co_u32_e64 v3, s[16:17], s37, v25
	v_addc_co_u32_e64 v4, s[16:17], 0, v4, s[16:17]
	s_waitcnt vmcnt(0)
	v_lshlrev_b32_e32 v18, 16, v18
	v_cmp_eq_f32_e64 s[16:17], s39, v18
	v_cndmask_b32_e64 v18, 0, 1, s[16:17]
	s_or_b64 exec, exec, s[30:31]
	s_and_saveexec_b64 s[28:29], s[14:15]
	s_cbranch_execz .LBB2101_45
.LBB2101_63:
	v_and_b32_e32 v17, 1, v17
	v_cmp_eq_u32_e64 s[14:15], 1, v17
	v_and_b32_e32 v17, 1, v24
	v_cmp_eq_u32_e64 s[16:17], 1, v17
	s_and_b64 s[16:17], s[14:15], s[16:17]
	s_xor_b64 s[16:17], s[16:17], -1
                                        ; implicit-def: $vgpr17
	s_and_saveexec_b64 s[30:31], s[16:17]
	s_xor_b64 s[16:17], exec, s[30:31]
; %bb.64:
	v_and_b32_e32 v17, 0xffff, v24
	v_cndmask_b32_e64 v17, v17, 1, s[14:15]
	v_cndmask_b32_e64 v2, v16, v2, s[14:15]
	;; [unrolled: 1-line block ×3, first 2 shown]
                                        ; implicit-def: $vgpr15_vgpr16
; %bb.65:
	s_andn2_saveexec_b64 s[16:17], s[16:17]
; %bb.66:
	v_cmp_lt_i64_e64 s[14:15], v[15:16], v[1:2]
	v_mov_b32_e32 v17, 1
	v_cndmask_b32_e64 v2, v2, v16, s[14:15]
	v_cndmask_b32_e64 v1, v1, v15, s[14:15]
; %bb.67:
	s_or_b64 exec, exec, s[16:17]
	s_or_b64 exec, exec, s[28:29]
	s_and_saveexec_b64 s[16:17], s[12:13]
	s_cbranch_execz .LBB2101_46
.LBB2101_68:
	v_and_b32_e32 v15, 1, v17
	v_cmp_eq_u32_e64 s[12:13], 1, v15
	v_and_b32_e32 v15, 1, v23
	v_cmp_eq_u32_e64 s[14:15], 1, v15
	s_and_b64 s[14:15], s[12:13], s[14:15]
	s_xor_b64 s[14:15], s[14:15], -1
                                        ; implicit-def: $vgpr17
	s_and_saveexec_b64 s[28:29], s[14:15]
	s_xor_b64 s[14:15], exec, s[28:29]
; %bb.69:
	v_and_b32_e32 v15, 0xffff, v23
	v_cndmask_b32_e64 v17, v15, 1, s[12:13]
	v_cndmask_b32_e64 v2, v14, v2, s[12:13]
	;; [unrolled: 1-line block ×3, first 2 shown]
                                        ; implicit-def: $vgpr13_vgpr14
; %bb.70:
	s_andn2_saveexec_b64 s[14:15], s[14:15]
; %bb.71:
	v_cmp_lt_i64_e64 s[12:13], v[13:14], v[1:2]
	v_mov_b32_e32 v17, 1
	v_cndmask_b32_e64 v2, v2, v14, s[12:13]
	v_cndmask_b32_e64 v1, v1, v13, s[12:13]
; %bb.72:
	s_or_b64 exec, exec, s[14:15]
	s_or_b64 exec, exec, s[16:17]
	s_and_saveexec_b64 s[14:15], s[10:11]
	s_cbranch_execz .LBB2101_47
.LBB2101_73:
	v_and_b32_e32 v13, 1, v17
	v_cmp_eq_u32_e64 s[10:11], 1, v13
	v_and_b32_e32 v13, 1, v22
	v_cmp_eq_u32_e64 s[12:13], 1, v13
	s_and_b64 s[12:13], s[10:11], s[12:13]
	s_xor_b64 s[12:13], s[12:13], -1
                                        ; implicit-def: $vgpr17
	s_and_saveexec_b64 s[16:17], s[12:13]
	s_xor_b64 s[12:13], exec, s[16:17]
; %bb.74:
	v_and_b32_e32 v13, 0xffff, v22
	v_cndmask_b32_e64 v17, v13, 1, s[10:11]
	v_cndmask_b32_e64 v2, v12, v2, s[10:11]
	;; [unrolled: 1-line block ×3, first 2 shown]
                                        ; implicit-def: $vgpr11_vgpr12
; %bb.75:
	s_andn2_saveexec_b64 s[12:13], s[12:13]
; %bb.76:
	v_cmp_lt_i64_e64 s[10:11], v[11:12], v[1:2]
	v_mov_b32_e32 v17, 1
	v_cndmask_b32_e64 v2, v2, v12, s[10:11]
	v_cndmask_b32_e64 v1, v1, v11, s[10:11]
; %bb.77:
	s_or_b64 exec, exec, s[12:13]
	s_or_b64 exec, exec, s[14:15]
	s_and_saveexec_b64 s[12:13], s[8:9]
	s_cbranch_execz .LBB2101_48
.LBB2101_78:
	v_and_b32_e32 v11, 1, v17
	v_cmp_eq_u32_e64 s[8:9], 1, v11
	v_and_b32_e32 v11, 1, v21
	v_cmp_eq_u32_e64 s[10:11], 1, v11
	s_and_b64 s[10:11], s[8:9], s[10:11]
	s_xor_b64 s[10:11], s[10:11], -1
                                        ; implicit-def: $vgpr17
	s_and_saveexec_b64 s[14:15], s[10:11]
	s_xor_b64 s[10:11], exec, s[14:15]
; %bb.79:
	v_and_b32_e32 v11, 0xffff, v21
	v_cndmask_b32_e64 v17, v11, 1, s[8:9]
	v_cndmask_b32_e64 v2, v10, v2, s[8:9]
	;; [unrolled: 1-line block ×3, first 2 shown]
                                        ; implicit-def: $vgpr9_vgpr10
; %bb.80:
	s_andn2_saveexec_b64 s[10:11], s[10:11]
; %bb.81:
	v_cmp_lt_i64_e64 s[8:9], v[9:10], v[1:2]
	v_mov_b32_e32 v17, 1
	v_cndmask_b32_e64 v2, v2, v10, s[8:9]
	v_cndmask_b32_e64 v1, v1, v9, s[8:9]
; %bb.82:
	s_or_b64 exec, exec, s[10:11]
	s_or_b64 exec, exec, s[12:13]
	s_and_saveexec_b64 s[10:11], s[2:3]
	s_cbranch_execz .LBB2101_49
.LBB2101_83:
	v_and_b32_e32 v9, 1, v17
	v_cmp_eq_u32_e64 s[2:3], 1, v9
	v_and_b32_e32 v9, 1, v20
	v_cmp_eq_u32_e64 s[8:9], 1, v9
	s_and_b64 s[8:9], s[2:3], s[8:9]
	s_xor_b64 s[8:9], s[8:9], -1
                                        ; implicit-def: $vgpr17
	s_and_saveexec_b64 s[12:13], s[8:9]
	s_xor_b64 s[8:9], exec, s[12:13]
; %bb.84:
	v_and_b32_e32 v9, 0xffff, v20
	v_cndmask_b32_e64 v17, v9, 1, s[2:3]
	v_cndmask_b32_e64 v2, v8, v2, s[2:3]
	;; [unrolled: 1-line block ×3, first 2 shown]
                                        ; implicit-def: $vgpr7_vgpr8
; %bb.85:
	s_andn2_saveexec_b64 s[8:9], s[8:9]
; %bb.86:
	v_cmp_lt_i64_e64 s[2:3], v[7:8], v[1:2]
	v_mov_b32_e32 v17, 1
	v_cndmask_b32_e64 v2, v2, v8, s[2:3]
	v_cndmask_b32_e64 v1, v1, v7, s[2:3]
; %bb.87:
	s_or_b64 exec, exec, s[8:9]
	s_or_b64 exec, exec, s[10:11]
	s_and_saveexec_b64 s[8:9], s[0:1]
	s_cbranch_execz .LBB2101_50
.LBB2101_88:
	v_and_b32_e32 v7, 1, v17
	v_cmp_eq_u32_e64 s[0:1], 1, v7
	v_and_b32_e32 v7, 1, v19
	v_cmp_eq_u32_e64 s[2:3], 1, v7
	s_and_b64 s[2:3], s[0:1], s[2:3]
	s_xor_b64 s[2:3], s[2:3], -1
                                        ; implicit-def: $vgpr17
	s_and_saveexec_b64 s[10:11], s[2:3]
	s_xor_b64 s[2:3], exec, s[10:11]
; %bb.89:
	v_and_b32_e32 v7, 0xffff, v19
	v_cndmask_b32_e64 v17, v7, 1, s[0:1]
	v_cndmask_b32_e64 v2, v6, v2, s[0:1]
	;; [unrolled: 1-line block ×3, first 2 shown]
                                        ; implicit-def: $vgpr5_vgpr6
; %bb.90:
	s_andn2_saveexec_b64 s[2:3], s[2:3]
; %bb.91:
	v_cmp_lt_i64_e64 s[0:1], v[5:6], v[1:2]
	v_mov_b32_e32 v17, 1
	v_cndmask_b32_e64 v2, v2, v6, s[0:1]
	v_cndmask_b32_e64 v1, v1, v5, s[0:1]
; %bb.92:
	s_or_b64 exec, exec, s[2:3]
	s_or_b64 exec, exec, s[8:9]
	s_and_saveexec_b64 s[2:3], vcc
	s_cbranch_execz .LBB2101_98
.LBB2101_93:
	v_and_b32_e32 v5, 1, v17
	v_cmp_eq_u32_e32 vcc, 1, v5
	v_and_b32_e32 v5, 1, v18
	v_cmp_eq_u32_e64 s[0:1], 1, v5
	s_and_b64 s[0:1], vcc, s[0:1]
	s_xor_b64 s[0:1], s[0:1], -1
                                        ; implicit-def: $vgpr17
	s_and_saveexec_b64 s[8:9], s[0:1]
	s_xor_b64 s[0:1], exec, s[8:9]
; %bb.94:
	v_and_b32_e32 v5, 0xffff, v18
	v_cndmask_b32_e64 v17, v5, 1, vcc
	v_cndmask_b32_e32 v2, v4, v2, vcc
	v_cndmask_b32_e32 v1, v3, v1, vcc
                                        ; implicit-def: $vgpr3_vgpr4
; %bb.95:
	s_andn2_saveexec_b64 s[0:1], s[0:1]
; %bb.96:
	v_cmp_lt_i64_e32 vcc, v[3:4], v[1:2]
	v_mov_b32_e32 v17, 1
	v_cndmask_b32_e32 v2, v2, v4, vcc
	v_cndmask_b32_e32 v1, v1, v3, vcc
; %bb.97:
	s_or_b64 exec, exec, s[0:1]
.LBB2101_98:
	s_or_b64 exec, exec, s[2:3]
	v_mbcnt_lo_u32_b32 v3, -1, 0
	v_mbcnt_hi_u32_b32 v5, -1, v3
	v_and_b32_e32 v6, 63, v5
	v_cmp_ne_u32_e32 vcc, 63, v6
	v_addc_co_u32_e32 v3, vcc, 0, v5, vcc
	v_lshlrev_b32_e32 v4, 2, v3
	ds_bpermute_b32 v8, v4, v17
	ds_bpermute_b32 v3, v4, v1
	;; [unrolled: 1-line block ×3, first 2 shown]
	s_min_u32 s8, s36, 0x80
	v_and_b32_e32 v7, 64, v0
	v_sub_u32_e64 v7, s8, v7 clamp
	v_add_u32_e32 v9, 1, v6
	v_cmp_lt_u32_e32 vcc, v9, v7
	s_and_saveexec_b64 s[0:1], vcc
	s_xor_b64 s[0:1], exec, s[0:1]
	s_cbranch_execz .LBB2101_104
; %bb.99:
	s_waitcnt lgkmcnt(2)
	v_and_b32_e32 v9, v8, v17
	v_cmp_ne_u32_e32 vcc, 0, v9
	s_and_saveexec_b64 s[2:3], vcc
	s_xor_b64 s[2:3], exec, s[2:3]
	s_cbranch_execz .LBB2101_101
; %bb.100:
	s_waitcnt lgkmcnt(0)
	v_cmp_lt_i64_e32 vcc, v[3:4], v[1:2]
                                        ; implicit-def: $vgpr17
                                        ; implicit-def: $vgpr8
	v_cndmask_b32_e32 v2, v2, v4, vcc
	v_cndmask_b32_e32 v1, v1, v3, vcc
                                        ; implicit-def: $vgpr3_vgpr4
.LBB2101_101:
	s_or_saveexec_b64 s[2:3], s[2:3]
	v_mov_b32_e32 v9, 1
	s_xor_b64 exec, exec, s[2:3]
	s_cbranch_execz .LBB2101_103
; %bb.102:
	v_and_b32_e32 v9, 1, v17
	v_cmp_eq_u32_e32 vcc, 1, v9
	s_waitcnt lgkmcnt(1)
	v_cndmask_b32_e32 v1, v3, v1, vcc
	v_and_b32_e32 v3, 0xff, v8
	s_waitcnt lgkmcnt(0)
	v_cndmask_b32_e32 v2, v4, v2, vcc
	v_cndmask_b32_e64 v9, v3, 1, vcc
.LBB2101_103:
	s_or_b64 exec, exec, s[2:3]
	v_mov_b32_e32 v17, v9
.LBB2101_104:
	s_or_b64 exec, exec, s[0:1]
	v_cmp_gt_u32_e32 vcc, 62, v6
	s_waitcnt lgkmcnt(1)
	v_cndmask_b32_e64 v3, 0, 2, vcc
	s_waitcnt lgkmcnt(0)
	v_add_lshl_u32 v4, v3, v5, 2
	ds_bpermute_b32 v8, v4, v17
	ds_bpermute_b32 v3, v4, v1
	ds_bpermute_b32 v4, v4, v2
	v_add_u32_e32 v9, 2, v6
	v_cmp_lt_u32_e32 vcc, v9, v7
	s_and_saveexec_b64 s[0:1], vcc
	s_cbranch_execz .LBB2101_110
; %bb.105:
	s_waitcnt lgkmcnt(2)
	v_and_b32_e32 v9, v17, v8
	v_and_b32_e32 v9, 1, v9
	v_cmp_eq_u32_e32 vcc, 1, v9
	s_and_saveexec_b64 s[2:3], vcc
	s_xor_b64 s[2:3], exec, s[2:3]
	s_cbranch_execz .LBB2101_107
; %bb.106:
	s_waitcnt lgkmcnt(0)
	v_cmp_lt_i64_e32 vcc, v[3:4], v[1:2]
                                        ; implicit-def: $vgpr17
                                        ; implicit-def: $vgpr8
	v_cndmask_b32_e32 v2, v2, v4, vcc
	v_cndmask_b32_e32 v1, v1, v3, vcc
                                        ; implicit-def: $vgpr3_vgpr4
.LBB2101_107:
	s_or_saveexec_b64 s[2:3], s[2:3]
	v_mov_b32_e32 v9, 1
	s_xor_b64 exec, exec, s[2:3]
	s_cbranch_execz .LBB2101_109
; %bb.108:
	v_and_b32_e32 v9, 1, v17
	v_cmp_eq_u32_e32 vcc, 1, v9
	s_waitcnt lgkmcnt(1)
	v_cndmask_b32_e32 v1, v3, v1, vcc
	v_and_b32_e32 v3, 0xff, v8
	s_waitcnt lgkmcnt(0)
	v_cndmask_b32_e32 v2, v4, v2, vcc
	v_cndmask_b32_e64 v9, v3, 1, vcc
.LBB2101_109:
	s_or_b64 exec, exec, s[2:3]
	v_mov_b32_e32 v17, v9
.LBB2101_110:
	s_or_b64 exec, exec, s[0:1]
	v_cmp_gt_u32_e32 vcc, 60, v6
	s_waitcnt lgkmcnt(1)
	v_cndmask_b32_e64 v3, 0, 4, vcc
	s_waitcnt lgkmcnt(0)
	v_add_lshl_u32 v4, v3, v5, 2
	ds_bpermute_b32 v8, v4, v17
	ds_bpermute_b32 v3, v4, v1
	ds_bpermute_b32 v4, v4, v2
	v_add_u32_e32 v9, 4, v6
	v_cmp_lt_u32_e32 vcc, v9, v7
	s_and_saveexec_b64 s[0:1], vcc
	s_cbranch_execz .LBB2101_116
; %bb.111:
	s_waitcnt lgkmcnt(2)
	v_and_b32_e32 v9, v17, v8
	v_and_b32_e32 v9, 1, v9
	v_cmp_eq_u32_e32 vcc, 1, v9
	s_and_saveexec_b64 s[2:3], vcc
	s_xor_b64 s[2:3], exec, s[2:3]
	s_cbranch_execz .LBB2101_113
; %bb.112:
	s_waitcnt lgkmcnt(0)
	v_cmp_lt_i64_e32 vcc, v[3:4], v[1:2]
                                        ; implicit-def: $vgpr17
                                        ; implicit-def: $vgpr8
	v_cndmask_b32_e32 v2, v2, v4, vcc
	v_cndmask_b32_e32 v1, v1, v3, vcc
                                        ; implicit-def: $vgpr3_vgpr4
.LBB2101_113:
	s_or_saveexec_b64 s[2:3], s[2:3]
	v_mov_b32_e32 v9, 1
	s_xor_b64 exec, exec, s[2:3]
	s_cbranch_execz .LBB2101_115
; %bb.114:
	v_and_b32_e32 v9, 1, v17
	v_cmp_eq_u32_e32 vcc, 1, v9
	s_waitcnt lgkmcnt(1)
	v_cndmask_b32_e32 v1, v3, v1, vcc
	v_and_b32_e32 v3, 0xff, v8
	s_waitcnt lgkmcnt(0)
	v_cndmask_b32_e32 v2, v4, v2, vcc
	v_cndmask_b32_e64 v9, v3, 1, vcc
.LBB2101_115:
	s_or_b64 exec, exec, s[2:3]
	v_mov_b32_e32 v17, v9
.LBB2101_116:
	;; [unrolled: 47-line block ×4, first 2 shown]
	s_or_b64 exec, exec, s[0:1]
	s_waitcnt lgkmcnt(2)
	v_lshlrev_b32_e32 v8, 2, v5
	s_waitcnt lgkmcnt(0)
	v_or_b32_e32 v4, 0x80, v8
	ds_bpermute_b32 v9, v4, v17
	ds_bpermute_b32 v3, v4, v1
	;; [unrolled: 1-line block ×3, first 2 shown]
	v_add_u32_e32 v6, 32, v6
	v_cmp_lt_u32_e32 vcc, v6, v7
	v_mov_b32_e32 v6, v17
	s_and_saveexec_b64 s[0:1], vcc
	s_cbranch_execz .LBB2101_134
; %bb.129:
	s_waitcnt lgkmcnt(2)
	v_and_b32_e32 v6, v17, v9
	v_and_b32_e32 v6, 1, v6
	v_cmp_eq_u32_e32 vcc, 1, v6
	s_and_saveexec_b64 s[2:3], vcc
	s_xor_b64 s[2:3], exec, s[2:3]
	s_cbranch_execz .LBB2101_131
; %bb.130:
	s_waitcnt lgkmcnt(0)
	v_cmp_lt_i64_e32 vcc, v[3:4], v[1:2]
                                        ; implicit-def: $vgpr17
                                        ; implicit-def: $vgpr9
	v_cndmask_b32_e32 v2, v2, v4, vcc
	v_cndmask_b32_e32 v1, v1, v3, vcc
                                        ; implicit-def: $vgpr3_vgpr4
.LBB2101_131:
	s_or_saveexec_b64 s[2:3], s[2:3]
	v_mov_b32_e32 v6, 1
	s_xor_b64 exec, exec, s[2:3]
	s_cbranch_execz .LBB2101_133
; %bb.132:
	v_and_b32_e32 v6, 1, v17
	v_cmp_eq_u32_e32 vcc, 1, v6
	v_cndmask_b32_e64 v6, v9, 1, vcc
	s_waitcnt lgkmcnt(0)
	v_cndmask_b32_e32 v2, v4, v2, vcc
	v_cndmask_b32_e32 v1, v3, v1, vcc
.LBB2101_133:
	s_or_b64 exec, exec, s[2:3]
	v_and_b32_e32 v17, 0xff, v6
.LBB2101_134:
	s_or_b64 exec, exec, s[0:1]
	v_cmp_eq_u32_e32 vcc, 0, v5
	s_and_saveexec_b64 s[0:1], vcc
	s_cbranch_execz .LBB2101_136
; %bb.135:
	s_waitcnt lgkmcnt(1)
	v_lshrrev_b32_e32 v3, 2, v0
	v_and_b32_e32 v3, 16, v3
	ds_write_b8 v3, v6 offset:128
	ds_write_b64 v3, v[1:2] offset:136
.LBB2101_136:
	s_or_b64 exec, exec, s[0:1]
	v_cmp_gt_u32_e32 vcc, 2, v0
	s_waitcnt lgkmcnt(0)
	s_barrier
	s_and_saveexec_b64 s[0:1], vcc
	s_cbranch_execz .LBB2101_144
; %bb.137:
	v_lshlrev_b32_e32 v1, 4, v5
	ds_read_u8 v6, v1 offset:128
	ds_read_b64 v[1:2], v1 offset:136
	v_or_b32_e32 v4, 4, v8
	s_add_i32 s8, s8, 63
	v_and_b32_e32 v5, 1, v5
	s_waitcnt lgkmcnt(1)
	v_and_b32_e32 v17, 0xff, v6
	s_waitcnt lgkmcnt(0)
	ds_bpermute_b32 v3, v4, v1
	ds_bpermute_b32 v7, v4, v17
	;; [unrolled: 1-line block ×3, first 2 shown]
	s_lshr_b32 s2, s8, 6
	v_add_u32_e32 v5, 1, v5
	v_cmp_gt_u32_e32 vcc, s2, v5
	s_and_saveexec_b64 s[2:3], vcc
	s_cbranch_execz .LBB2101_143
; %bb.138:
	s_waitcnt lgkmcnt(1)
	v_and_b32_e32 v5, v17, v7
	v_and_b32_e32 v5, 1, v5
	v_cmp_eq_u32_e32 vcc, 1, v5
	s_and_saveexec_b64 s[8:9], vcc
	s_xor_b64 s[8:9], exec, s[8:9]
	s_cbranch_execz .LBB2101_140
; %bb.139:
	s_waitcnt lgkmcnt(0)
	v_cmp_lt_i64_e32 vcc, v[3:4], v[1:2]
                                        ; implicit-def: $vgpr6
                                        ; implicit-def: $vgpr7
	v_cndmask_b32_e32 v2, v2, v4, vcc
	v_cndmask_b32_e32 v1, v1, v3, vcc
                                        ; implicit-def: $vgpr3_vgpr4
.LBB2101_140:
	s_or_saveexec_b64 s[8:9], s[8:9]
	v_mov_b32_e32 v17, 1
	s_xor_b64 exec, exec, s[8:9]
	s_cbranch_execz .LBB2101_142
; %bb.141:
	v_and_b32_e32 v5, 1, v6
	v_cmp_eq_u32_e32 vcc, 1, v5
	s_waitcnt lgkmcnt(0)
	v_cndmask_b32_e32 v2, v4, v2, vcc
	v_cndmask_b32_e32 v1, v3, v1, vcc
	v_cndmask_b32_e64 v17, v7, 1, vcc
.LBB2101_142:
	s_or_b64 exec, exec, s[8:9]
.LBB2101_143:
	s_or_b64 exec, exec, s[2:3]
.LBB2101_144:
	s_or_b64 exec, exec, s[0:1]
.LBB2101_145:
	v_cmp_eq_u32_e32 vcc, 0, v0
	s_mov_b64 s[14:15], 0
                                        ; implicit-def: $vgpr3_vgpr4
                                        ; implicit-def: $vgpr5
	s_and_saveexec_b64 s[0:1], vcc
	s_xor_b64 s[8:9], exec, s[0:1]
	s_cbranch_execz .LBB2101_149
; %bb.146:
	s_waitcnt lgkmcnt(0)
	v_mov_b32_e32 v3, s18
	s_cmp_eq_u64 s[22:23], 0
	v_mov_b32_e32 v4, s19
	v_mov_b32_e32 v5, s33
	s_cbranch_scc1 .LBB2101_148
; %bb.147:
	v_and_b32_e32 v3, 1, v17
	v_cmp_gt_i64_e64 s[0:1], s[18:19], v[1:2]
	s_bitcmp1_b32 s33, 0
	v_cmp_eq_u32_e32 vcc, 1, v3
	s_cselect_b64 s[2:3], -1, 0
	v_mov_b32_e32 v3, s18
	s_and_b64 vcc, vcc, s[0:1]
	v_mov_b32_e32 v4, s19
	v_cndmask_b32_e32 v3, v3, v1, vcc
	v_cndmask_b32_e32 v4, v4, v2, vcc
	v_cndmask_b32_e64 v5, v17, 1, s[2:3]
	v_cndmask_b32_e64 v4, v2, v4, s[2:3]
	;; [unrolled: 1-line block ×3, first 2 shown]
.LBB2101_148:
	s_mov_b64 s[14:15], exec
.LBB2101_149:
	s_or_b64 exec, exec, s[8:9]
	v_mov_b32_e32 v1, s6
	v_mov_b32_e32 v2, s7
	s_and_b64 vcc, exec, s[26:27]
	s_cbranch_vccnz .LBB2101_16
.LBB2101_150:
	s_branch .LBB2101_306
.LBB2101_151:
	v_lshlrev_b32_e32 v3, 1, v0
	global_load_ushort v10, v3, s[16:17] offset:768
	v_mov_b32_e32 v4, s28
	v_add_co_u32_e64 v3, s[8:9], s27, v13
	v_addc_co_u32_e64 v4, s[8:9], 0, v4, s[8:9]
	s_waitcnt vmcnt(0)
	v_lshlrev_b32_e32 v10, 16, v10
	v_cmp_eq_f32_e64 s[8:9], s13, v10
	v_cndmask_b32_e64 v10, 0, 1, s[8:9]
	s_or_b64 exec, exec, s[10:11]
	s_and_saveexec_b64 s[10:11], s[2:3]
	s_cbranch_execz .LBB2101_60
.LBB2101_152:
	v_and_b32_e32 v9, 1, v9
	v_cmp_eq_u32_e64 s[2:3], 1, v9
	v_and_b32_e32 v9, 1, v12
	v_cmp_eq_u32_e64 s[8:9], 1, v9
	s_and_b64 s[8:9], s[2:3], s[8:9]
	s_xor_b64 s[8:9], s[8:9], -1
                                        ; implicit-def: $vgpr9
	s_and_saveexec_b64 s[16:17], s[8:9]
	s_xor_b64 s[8:9], exec, s[16:17]
; %bb.153:
	v_and_b32_e32 v9, 0xffff, v12
	v_cndmask_b32_e64 v9, v9, 1, s[2:3]
	v_cndmask_b32_e64 v2, v8, v2, s[2:3]
	;; [unrolled: 1-line block ×3, first 2 shown]
                                        ; implicit-def: $vgpr7_vgpr8
; %bb.154:
	s_andn2_saveexec_b64 s[8:9], s[8:9]
; %bb.155:
	v_cmp_lt_i64_e64 s[2:3], v[7:8], v[1:2]
	v_mov_b32_e32 v9, 1
	v_cndmask_b32_e64 v2, v2, v8, s[2:3]
	v_cndmask_b32_e64 v1, v1, v7, s[2:3]
; %bb.156:
	s_or_b64 exec, exec, s[8:9]
	s_or_b64 exec, exec, s[10:11]
	s_and_saveexec_b64 s[8:9], s[0:1]
	s_cbranch_execz .LBB2101_61
.LBB2101_157:
	v_and_b32_e32 v7, 1, v9
	v_cmp_eq_u32_e64 s[0:1], 1, v7
	v_and_b32_e32 v7, 1, v11
	v_cmp_eq_u32_e64 s[2:3], 1, v7
	s_and_b64 s[2:3], s[0:1], s[2:3]
	s_xor_b64 s[2:3], s[2:3], -1
                                        ; implicit-def: $vgpr9
	s_and_saveexec_b64 s[10:11], s[2:3]
	s_xor_b64 s[2:3], exec, s[10:11]
; %bb.158:
	v_and_b32_e32 v7, 0xffff, v11
	v_cndmask_b32_e64 v9, v7, 1, s[0:1]
	v_cndmask_b32_e64 v2, v6, v2, s[0:1]
	;; [unrolled: 1-line block ×3, first 2 shown]
                                        ; implicit-def: $vgpr5_vgpr6
; %bb.159:
	s_andn2_saveexec_b64 s[2:3], s[2:3]
; %bb.160:
	v_cmp_lt_i64_e64 s[0:1], v[5:6], v[1:2]
	v_mov_b32_e32 v9, 1
	v_cndmask_b32_e64 v2, v2, v6, s[0:1]
	v_cndmask_b32_e64 v1, v1, v5, s[0:1]
; %bb.161:
	s_or_b64 exec, exec, s[2:3]
	s_or_b64 exec, exec, s[8:9]
	s_and_saveexec_b64 s[2:3], vcc
	s_cbranch_execz .LBB2101_167
.LBB2101_162:
	v_and_b32_e32 v5, 1, v9
	v_cmp_eq_u32_e32 vcc, 1, v5
	v_and_b32_e32 v5, 1, v10
	v_cmp_eq_u32_e64 s[0:1], 1, v5
	s_and_b64 s[0:1], vcc, s[0:1]
	s_xor_b64 s[0:1], s[0:1], -1
                                        ; implicit-def: $vgpr9
	s_and_saveexec_b64 s[8:9], s[0:1]
	s_xor_b64 s[0:1], exec, s[8:9]
; %bb.163:
	v_and_b32_e32 v5, 0xffff, v10
	v_cndmask_b32_e64 v9, v5, 1, vcc
	v_cndmask_b32_e32 v2, v4, v2, vcc
	v_cndmask_b32_e32 v1, v3, v1, vcc
                                        ; implicit-def: $vgpr3_vgpr4
; %bb.164:
	s_andn2_saveexec_b64 s[0:1], s[0:1]
; %bb.165:
	v_cmp_lt_i64_e32 vcc, v[3:4], v[1:2]
	v_mov_b32_e32 v9, 1
	v_cndmask_b32_e32 v2, v2, v4, vcc
	v_cndmask_b32_e32 v1, v1, v3, vcc
; %bb.166:
	s_or_b64 exec, exec, s[0:1]
.LBB2101_167:
	s_or_b64 exec, exec, s[2:3]
	v_mbcnt_lo_u32_b32 v3, -1, 0
	v_mbcnt_hi_u32_b32 v5, -1, v3
	v_and_b32_e32 v6, 63, v5
	v_cmp_ne_u32_e32 vcc, 63, v6
	v_addc_co_u32_e32 v3, vcc, 0, v5, vcc
	v_lshlrev_b32_e32 v4, 2, v3
	ds_bpermute_b32 v8, v4, v9
	ds_bpermute_b32 v3, v4, v1
	;; [unrolled: 1-line block ×3, first 2 shown]
	s_min_u32 s8, s12, 0x80
	v_and_b32_e32 v7, 64, v0
	v_sub_u32_e64 v7, s8, v7 clamp
	v_add_u32_e32 v10, 1, v6
	v_cmp_lt_u32_e32 vcc, v10, v7
	s_and_saveexec_b64 s[0:1], vcc
	s_xor_b64 s[0:1], exec, s[0:1]
	s_cbranch_execz .LBB2101_173
; %bb.168:
	s_waitcnt lgkmcnt(2)
	v_and_b32_e32 v10, v8, v9
	v_cmp_ne_u32_e32 vcc, 0, v10
	s_and_saveexec_b64 s[2:3], vcc
	s_xor_b64 s[2:3], exec, s[2:3]
	s_cbranch_execz .LBB2101_170
; %bb.169:
	s_waitcnt lgkmcnt(0)
	v_cmp_lt_i64_e32 vcc, v[3:4], v[1:2]
                                        ; implicit-def: $vgpr9
                                        ; implicit-def: $vgpr8
	v_cndmask_b32_e32 v2, v2, v4, vcc
	v_cndmask_b32_e32 v1, v1, v3, vcc
                                        ; implicit-def: $vgpr3_vgpr4
.LBB2101_170:
	s_or_saveexec_b64 s[2:3], s[2:3]
	v_mov_b32_e32 v10, 1
	s_xor_b64 exec, exec, s[2:3]
	s_cbranch_execz .LBB2101_172
; %bb.171:
	v_and_b32_e32 v9, 1, v9
	v_cmp_eq_u32_e32 vcc, 1, v9
	s_waitcnt lgkmcnt(1)
	v_cndmask_b32_e32 v1, v3, v1, vcc
	v_and_b32_e32 v3, 0xff, v8
	s_waitcnt lgkmcnt(0)
	v_cndmask_b32_e32 v2, v4, v2, vcc
	v_cndmask_b32_e64 v10, v3, 1, vcc
.LBB2101_172:
	s_or_b64 exec, exec, s[2:3]
	v_mov_b32_e32 v9, v10
.LBB2101_173:
	s_or_b64 exec, exec, s[0:1]
	v_cmp_gt_u32_e32 vcc, 62, v6
	s_waitcnt lgkmcnt(1)
	v_cndmask_b32_e64 v3, 0, 2, vcc
	s_waitcnt lgkmcnt(0)
	v_add_lshl_u32 v4, v3, v5, 2
	ds_bpermute_b32 v8, v4, v9
	ds_bpermute_b32 v3, v4, v1
	ds_bpermute_b32 v4, v4, v2
	v_add_u32_e32 v10, 2, v6
	v_cmp_lt_u32_e32 vcc, v10, v7
	s_and_saveexec_b64 s[0:1], vcc
	s_cbranch_execz .LBB2101_179
; %bb.174:
	s_waitcnt lgkmcnt(2)
	v_and_b32_e32 v10, v9, v8
	v_and_b32_e32 v10, 1, v10
	v_cmp_eq_u32_e32 vcc, 1, v10
	s_and_saveexec_b64 s[2:3], vcc
	s_xor_b64 s[2:3], exec, s[2:3]
	s_cbranch_execz .LBB2101_176
; %bb.175:
	s_waitcnt lgkmcnt(0)
	v_cmp_lt_i64_e32 vcc, v[3:4], v[1:2]
                                        ; implicit-def: $vgpr9
                                        ; implicit-def: $vgpr8
	v_cndmask_b32_e32 v2, v2, v4, vcc
	v_cndmask_b32_e32 v1, v1, v3, vcc
                                        ; implicit-def: $vgpr3_vgpr4
.LBB2101_176:
	s_or_saveexec_b64 s[2:3], s[2:3]
	v_mov_b32_e32 v10, 1
	s_xor_b64 exec, exec, s[2:3]
	s_cbranch_execz .LBB2101_178
; %bb.177:
	v_and_b32_e32 v9, 1, v9
	v_cmp_eq_u32_e32 vcc, 1, v9
	s_waitcnt lgkmcnt(1)
	v_cndmask_b32_e32 v1, v3, v1, vcc
	v_and_b32_e32 v3, 0xff, v8
	s_waitcnt lgkmcnt(0)
	v_cndmask_b32_e32 v2, v4, v2, vcc
	v_cndmask_b32_e64 v10, v3, 1, vcc
.LBB2101_178:
	s_or_b64 exec, exec, s[2:3]
	v_mov_b32_e32 v9, v10
.LBB2101_179:
	s_or_b64 exec, exec, s[0:1]
	v_cmp_gt_u32_e32 vcc, 60, v6
	s_waitcnt lgkmcnt(1)
	v_cndmask_b32_e64 v3, 0, 4, vcc
	s_waitcnt lgkmcnt(0)
	v_add_lshl_u32 v4, v3, v5, 2
	ds_bpermute_b32 v8, v4, v9
	ds_bpermute_b32 v3, v4, v1
	ds_bpermute_b32 v4, v4, v2
	v_add_u32_e32 v10, 4, v6
	v_cmp_lt_u32_e32 vcc, v10, v7
	s_and_saveexec_b64 s[0:1], vcc
	s_cbranch_execz .LBB2101_185
; %bb.180:
	s_waitcnt lgkmcnt(2)
	v_and_b32_e32 v10, v9, v8
	v_and_b32_e32 v10, 1, v10
	v_cmp_eq_u32_e32 vcc, 1, v10
	s_and_saveexec_b64 s[2:3], vcc
	s_xor_b64 s[2:3], exec, s[2:3]
	s_cbranch_execz .LBB2101_182
; %bb.181:
	s_waitcnt lgkmcnt(0)
	v_cmp_lt_i64_e32 vcc, v[3:4], v[1:2]
                                        ; implicit-def: $vgpr9
                                        ; implicit-def: $vgpr8
	v_cndmask_b32_e32 v2, v2, v4, vcc
	v_cndmask_b32_e32 v1, v1, v3, vcc
                                        ; implicit-def: $vgpr3_vgpr4
.LBB2101_182:
	s_or_saveexec_b64 s[2:3], s[2:3]
	v_mov_b32_e32 v10, 1
	s_xor_b64 exec, exec, s[2:3]
	s_cbranch_execz .LBB2101_184
; %bb.183:
	v_and_b32_e32 v9, 1, v9
	v_cmp_eq_u32_e32 vcc, 1, v9
	s_waitcnt lgkmcnt(1)
	v_cndmask_b32_e32 v1, v3, v1, vcc
	v_and_b32_e32 v3, 0xff, v8
	s_waitcnt lgkmcnt(0)
	v_cndmask_b32_e32 v2, v4, v2, vcc
	v_cndmask_b32_e64 v10, v3, 1, vcc
.LBB2101_184:
	s_or_b64 exec, exec, s[2:3]
	v_mov_b32_e32 v9, v10
.LBB2101_185:
	;; [unrolled: 47-line block ×4, first 2 shown]
	s_or_b64 exec, exec, s[0:1]
	s_waitcnt lgkmcnt(2)
	v_lshlrev_b32_e32 v8, 2, v5
	s_waitcnt lgkmcnt(0)
	v_or_b32_e32 v4, 0x80, v8
	ds_bpermute_b32 v10, v4, v9
	ds_bpermute_b32 v3, v4, v1
	;; [unrolled: 1-line block ×3, first 2 shown]
	v_add_u32_e32 v6, 32, v6
	v_cmp_lt_u32_e32 vcc, v6, v7
	v_mov_b32_e32 v6, v9
	s_and_saveexec_b64 s[0:1], vcc
	s_cbranch_execz .LBB2101_203
; %bb.198:
	s_waitcnt lgkmcnt(2)
	v_and_b32_e32 v6, v9, v10
	v_and_b32_e32 v6, 1, v6
	v_cmp_eq_u32_e32 vcc, 1, v6
	s_and_saveexec_b64 s[2:3], vcc
	s_xor_b64 s[2:3], exec, s[2:3]
	s_cbranch_execz .LBB2101_200
; %bb.199:
	s_waitcnt lgkmcnt(0)
	v_cmp_lt_i64_e32 vcc, v[3:4], v[1:2]
                                        ; implicit-def: $vgpr9
                                        ; implicit-def: $vgpr10
	v_cndmask_b32_e32 v2, v2, v4, vcc
	v_cndmask_b32_e32 v1, v1, v3, vcc
                                        ; implicit-def: $vgpr3_vgpr4
.LBB2101_200:
	s_or_saveexec_b64 s[2:3], s[2:3]
	v_mov_b32_e32 v6, 1
	s_xor_b64 exec, exec, s[2:3]
	s_cbranch_execz .LBB2101_202
; %bb.201:
	v_and_b32_e32 v6, 1, v9
	v_cmp_eq_u32_e32 vcc, 1, v6
	v_cndmask_b32_e64 v6, v10, 1, vcc
	s_waitcnt lgkmcnt(0)
	v_cndmask_b32_e32 v2, v4, v2, vcc
	v_cndmask_b32_e32 v1, v3, v1, vcc
.LBB2101_202:
	s_or_b64 exec, exec, s[2:3]
	v_and_b32_e32 v9, 0xff, v6
.LBB2101_203:
	s_or_b64 exec, exec, s[0:1]
	v_cmp_eq_u32_e32 vcc, 0, v5
	s_and_saveexec_b64 s[0:1], vcc
	s_cbranch_execz .LBB2101_205
; %bb.204:
	s_waitcnt lgkmcnt(1)
	v_lshrrev_b32_e32 v3, 2, v0
	v_and_b32_e32 v3, 16, v3
	ds_write_b8 v3, v6 offset:128
	ds_write_b64 v3, v[1:2] offset:136
.LBB2101_205:
	s_or_b64 exec, exec, s[0:1]
	v_cmp_gt_u32_e32 vcc, 2, v0
	s_waitcnt lgkmcnt(0)
	s_barrier
	s_and_saveexec_b64 s[0:1], vcc
	s_cbranch_execz .LBB2101_213
; %bb.206:
	v_lshlrev_b32_e32 v1, 4, v5
	ds_read_u8 v6, v1 offset:128
	ds_read_b64 v[1:2], v1 offset:136
	v_or_b32_e32 v4, 4, v8
	s_add_i32 s8, s8, 63
	v_and_b32_e32 v5, 1, v5
	s_waitcnt lgkmcnt(1)
	v_and_b32_e32 v9, 0xff, v6
	s_waitcnt lgkmcnt(0)
	ds_bpermute_b32 v3, v4, v1
	ds_bpermute_b32 v7, v4, v9
	;; [unrolled: 1-line block ×3, first 2 shown]
	s_lshr_b32 s2, s8, 6
	v_add_u32_e32 v5, 1, v5
	v_cmp_gt_u32_e32 vcc, s2, v5
	s_and_saveexec_b64 s[2:3], vcc
	s_cbranch_execz .LBB2101_212
; %bb.207:
	s_waitcnt lgkmcnt(1)
	v_and_b32_e32 v5, v9, v7
	v_and_b32_e32 v5, 1, v5
	v_cmp_eq_u32_e32 vcc, 1, v5
	s_and_saveexec_b64 s[8:9], vcc
	s_xor_b64 s[8:9], exec, s[8:9]
	s_cbranch_execz .LBB2101_209
; %bb.208:
	s_waitcnt lgkmcnt(0)
	v_cmp_lt_i64_e32 vcc, v[3:4], v[1:2]
                                        ; implicit-def: $vgpr6
                                        ; implicit-def: $vgpr7
	v_cndmask_b32_e32 v2, v2, v4, vcc
	v_cndmask_b32_e32 v1, v1, v3, vcc
                                        ; implicit-def: $vgpr3_vgpr4
.LBB2101_209:
	s_or_saveexec_b64 s[8:9], s[8:9]
	v_mov_b32_e32 v9, 1
	s_xor_b64 exec, exec, s[8:9]
	s_cbranch_execz .LBB2101_211
; %bb.210:
	v_and_b32_e32 v5, 1, v6
	v_cmp_eq_u32_e32 vcc, 1, v5
	s_waitcnt lgkmcnt(0)
	v_cndmask_b32_e32 v2, v4, v2, vcc
	v_cndmask_b32_e32 v1, v3, v1, vcc
	v_cndmask_b32_e64 v9, v7, 1, vcc
.LBB2101_211:
	s_or_b64 exec, exec, s[8:9]
.LBB2101_212:
	s_or_b64 exec, exec, s[2:3]
.LBB2101_213:
	s_or_b64 exec, exec, s[0:1]
.LBB2101_214:
	v_cmp_eq_u32_e32 vcc, 0, v0
                                        ; implicit-def: $vgpr3_vgpr4
                                        ; implicit-def: $vgpr5
	s_and_saveexec_b64 s[0:1], vcc
	s_xor_b64 s[8:9], exec, s[0:1]
	s_cbranch_execz .LBB2101_218
; %bb.215:
	s_waitcnt lgkmcnt(0)
	v_mov_b32_e32 v3, s18
	s_cmp_eq_u64 s[22:23], 0
	v_mov_b32_e32 v4, s19
	v_mov_b32_e32 v5, s33
	s_cbranch_scc1 .LBB2101_217
; %bb.216:
	v_and_b32_e32 v3, 1, v9
	v_cmp_gt_i64_e64 s[0:1], s[18:19], v[1:2]
	s_bitcmp1_b32 s33, 0
	v_cmp_eq_u32_e32 vcc, 1, v3
	s_cselect_b64 s[2:3], -1, 0
	v_mov_b32_e32 v3, s18
	s_and_b64 vcc, vcc, s[0:1]
	v_mov_b32_e32 v4, s19
	v_cndmask_b32_e32 v3, v3, v1, vcc
	v_cndmask_b32_e32 v4, v4, v2, vcc
	v_cndmask_b32_e64 v5, v9, 1, s[2:3]
	v_cndmask_b32_e64 v4, v2, v4, s[2:3]
	;; [unrolled: 1-line block ×3, first 2 shown]
.LBB2101_217:
	s_or_b64 s[14:15], s[14:15], exec
.LBB2101_218:
	s_or_b64 exec, exec, s[8:9]
	v_mov_b32_e32 v1, s6
	v_mov_b32_e32 v2, s7
	s_branch .LBB2101_306
.LBB2101_219:
	s_cmp_gt_i32 s35, 1
	s_cbranch_scc0 .LBB2101_231
; %bb.220:
	s_cmp_eq_u32 s35, 2
	s_cbranch_scc0 .LBB2101_232
; %bb.221:
	s_mov_b32 s7, 0
	s_lshl_b32 s26, s6, 8
	s_mov_b32 s27, s7
	s_lshr_b64 s[0:1], s[22:23], 8
	s_lshl_b64 s[2:3], s[26:27], 1
	s_add_u32 s16, s24, s2
	s_addc_u32 s17, s25, s3
	s_add_u32 s27, s20, s26
	s_addc_u32 s28, s21, 0
	s_cmp_lg_u64 s[0:1], s[6:7]
	s_cbranch_scc0 .LBB2101_233
; %bb.222:
	v_lshlrev_b32_e32 v1, 1, v0
	global_load_ushort v2, v1, s[16:17]
	s_waitcnt lgkmcnt(0)
	global_load_ushort v4, v1, s[16:17] offset:256
	v_mov_b32_e32 v1, s28
	v_add_co_u32_e32 v6, vcc, s27, v0
	v_addc_co_u32_e32 v1, vcc, 0, v1, vcc
	v_add_co_u32_e32 v7, vcc, 0x80, v6
	s_lshl_b32 s0, s34, 16
	v_addc_co_u32_e32 v8, vcc, 0, v1, vcc
	v_mbcnt_lo_u32_b32 v3, -1, 0
	v_mbcnt_hi_u32_b32 v3, -1, v3
	v_lshlrev_b32_e32 v5, 2, v3
	v_or_b32_e32 v10, 0xfc, v5
	s_waitcnt vmcnt(1)
	v_lshlrev_b32_e32 v2, 16, v2
	s_waitcnt vmcnt(0)
	v_lshlrev_b32_e32 v4, 16, v4
	v_cmp_eq_f32_e32 vcc, s0, v4
	v_cmp_eq_f32_e64 s[0:1], s0, v2
	v_cndmask_b32_e64 v2, v8, v1, s[0:1]
	v_cndmask_b32_e64 v1, v7, v6, s[0:1]
	s_or_b64 s[0:1], s[0:1], vcc
	v_mov_b32_dpp v7, v2 quad_perm:[1,0,3,2] row_mask:0xf bank_mask:0xf bound_ctrl:1
	v_mov_b32_dpp v6, v1 quad_perm:[1,0,3,2] row_mask:0xf bank_mask:0xf bound_ctrl:1
	v_cndmask_b32_e64 v4, 0, 1, s[0:1]
	v_cmp_lt_i64_e32 vcc, v[1:2], v[6:7]
	s_and_b64 vcc, s[0:1], vcc
	v_mov_b32_dpp v8, v4 quad_perm:[1,0,3,2] row_mask:0xf bank_mask:0xf bound_ctrl:1
	v_and_b32_e32 v8, 1, v8
	v_cndmask_b32_e32 v6, v6, v1, vcc
	v_cndmask_b32_e32 v7, v7, v2, vcc
	v_cmp_eq_u32_e32 vcc, 1, v8
	v_cndmask_b32_e32 v2, v2, v7, vcc
	v_cndmask_b32_e32 v1, v1, v6, vcc
	v_cndmask_b32_e64 v4, v4, 1, vcc
	v_mov_b32_dpp v7, v2 quad_perm:[2,3,0,1] row_mask:0xf bank_mask:0xf bound_ctrl:1
	v_mov_b32_dpp v6, v1 quad_perm:[2,3,0,1] row_mask:0xf bank_mask:0xf bound_ctrl:1
	v_and_b32_e32 v9, 1, v4
	v_cmp_lt_i64_e64 s[0:1], v[1:2], v[6:7]
	v_mov_b32_dpp v8, v4 quad_perm:[2,3,0,1] row_mask:0xf bank_mask:0xf bound_ctrl:1
	v_cmp_eq_u32_e32 vcc, 1, v9
	v_and_b32_e32 v8, 1, v8
	s_and_b64 vcc, vcc, s[0:1]
	v_cmp_eq_u32_e64 s[2:3], 1, v8
	v_cndmask_b32_e32 v6, v6, v1, vcc
	v_cndmask_b32_e32 v7, v7, v2, vcc
	v_cndmask_b32_e64 v1, v1, v6, s[2:3]
	v_cndmask_b32_e64 v2, v2, v7, s[2:3]
	;; [unrolled: 1-line block ×3, first 2 shown]
	v_mov_b32_dpp v6, v1 row_ror:4 row_mask:0xf bank_mask:0xf bound_ctrl:1
	v_mov_b32_dpp v7, v2 row_ror:4 row_mask:0xf bank_mask:0xf bound_ctrl:1
	v_and_b32_e32 v9, 1, v4
	v_cmp_lt_i64_e64 s[2:3], v[1:2], v[6:7]
	v_mov_b32_dpp v8, v4 row_ror:4 row_mask:0xf bank_mask:0xf bound_ctrl:1
	v_cmp_eq_u32_e32 vcc, 1, v9
	v_and_b32_e32 v8, 1, v8
	s_and_b64 vcc, vcc, s[2:3]
	v_cmp_eq_u32_e64 s[0:1], 1, v8
	v_cndmask_b32_e32 v6, v6, v1, vcc
	v_cndmask_b32_e32 v7, v7, v2, vcc
	v_cndmask_b32_e64 v1, v1, v6, s[0:1]
	v_cndmask_b32_e64 v2, v2, v7, s[0:1]
	;; [unrolled: 1-line block ×3, first 2 shown]
	v_mov_b32_dpp v6, v1 row_ror:8 row_mask:0xf bank_mask:0xf bound_ctrl:1
	v_mov_b32_dpp v7, v2 row_ror:8 row_mask:0xf bank_mask:0xf bound_ctrl:1
	v_and_b32_e32 v9, 1, v4
	v_cmp_lt_i64_e64 s[2:3], v[1:2], v[6:7]
	v_mov_b32_dpp v8, v4 row_ror:8 row_mask:0xf bank_mask:0xf bound_ctrl:1
	v_cmp_eq_u32_e64 s[8:9], 1, v9
	v_and_b32_e32 v8, 1, v8
	s_and_b64 s[2:3], s[8:9], s[2:3]
	v_cmp_eq_u32_e64 s[10:11], 1, v8
	v_cndmask_b32_e64 v6, v6, v1, s[2:3]
	v_cndmask_b32_e64 v7, v7, v2, s[2:3]
	;; [unrolled: 1-line block ×5, first 2 shown]
	v_mov_b32_dpp v8, v4 row_bcast:15 row_mask:0xf bank_mask:0xf bound_ctrl:1
	v_mov_b32_dpp v6, v1 row_bcast:15 row_mask:0xf bank_mask:0xf bound_ctrl:1
	;; [unrolled: 1-line block ×3, first 2 shown]
	v_and_b32_e32 v9, 1, v4
	v_and_b32_e32 v8, 1, v8
	v_cmp_lt_i64_e64 s[2:3], v[1:2], v[6:7]
	v_cmp_eq_u32_e32 vcc, 1, v9
	v_cmp_eq_u32_e64 s[0:1], 1, v8
	v_cndmask_b32_e64 v4, v4, 1, s[0:1]
	s_and_b64 vcc, vcc, s[2:3]
	v_cndmask_b32_e32 v6, v6, v1, vcc
	v_mov_b32_dpp v8, v4 row_bcast:31 row_mask:0xf bank_mask:0xf bound_ctrl:1
	v_cndmask_b32_e32 v7, v7, v2, vcc
	v_and_b32_e32 v9, 1, v4
	v_and_b32_e32 v8, 1, v8
	v_cndmask_b32_e64 v1, v1, v6, s[0:1]
	v_cndmask_b32_e64 v2, v2, v7, s[0:1]
	v_cmp_eq_u32_e64 s[12:13], 1, v9
	v_cmp_eq_u32_e64 s[8:9], 1, v8
	v_mov_b32_dpp v8, v1 row_bcast:31 row_mask:0xf bank_mask:0xf bound_ctrl:1
	v_mov_b32_dpp v9, v2 row_bcast:31 row_mask:0xf bank_mask:0xf bound_ctrl:1
	v_cmp_lt_i64_e32 vcc, v[1:2], v[8:9]
	v_cndmask_b32_e64 v4, v4, 1, s[8:9]
	s_and_b64 vcc, s[12:13], vcc
	ds_bpermute_b32 v7, v10, v4
	v_cndmask_b32_e32 v4, v8, v1, vcc
	v_cndmask_b32_e32 v6, v9, v2, vcc
	v_cndmask_b32_e64 v1, v1, v4, s[8:9]
	v_cndmask_b32_e64 v2, v2, v6, s[8:9]
	ds_bpermute_b32 v1, v10, v1
	ds_bpermute_b32 v2, v10, v2
	v_cmp_eq_u32_e32 vcc, 0, v3
	s_and_saveexec_b64 s[0:1], vcc
	s_cbranch_execz .LBB2101_224
; %bb.223:
	v_lshrrev_b32_e32 v4, 2, v0
	v_and_b32_e32 v4, 16, v4
	s_waitcnt lgkmcnt(2)
	ds_write_b8 v4, v7 offset:32
	s_waitcnt lgkmcnt(1)
	ds_write_b64 v4, v[1:2] offset:40
.LBB2101_224:
	s_or_b64 exec, exec, s[0:1]
	v_cmp_gt_u32_e32 vcc, 64, v0
	s_waitcnt lgkmcnt(0)
	s_barrier
	s_and_saveexec_b64 s[0:1], vcc
	s_cbranch_execz .LBB2101_230
; %bb.225:
	v_and_b32_e32 v1, 1, v3
	v_lshlrev_b32_e32 v1, 4, v1
	ds_read_u8 v8, v1 offset:32
	ds_read_b64 v[3:4], v1 offset:40
	v_or_b32_e32 v2, 4, v5
	s_waitcnt lgkmcnt(1)
	v_and_b32_e32 v1, 0xff, v8
	ds_bpermute_b32 v9, v2, v1
	s_waitcnt lgkmcnt(1)
	ds_bpermute_b32 v5, v2, v3
	ds_bpermute_b32 v6, v2, v4
	s_waitcnt lgkmcnt(2)
	v_and_b32_e32 v1, v8, v9
	v_and_b32_e32 v1, 1, v1
	v_cmp_eq_u32_e32 vcc, 1, v1
                                        ; implicit-def: $vgpr1_vgpr2
	s_and_saveexec_b64 s[2:3], vcc
	s_xor_b64 s[2:3], exec, s[2:3]
	s_cbranch_execz .LBB2101_227
; %bb.226:
	s_waitcnt lgkmcnt(0)
	v_cmp_lt_i64_e32 vcc, v[5:6], v[3:4]
                                        ; implicit-def: $vgpr8
                                        ; implicit-def: $vgpr9
	v_cndmask_b32_e32 v2, v4, v6, vcc
	v_cndmask_b32_e32 v1, v3, v5, vcc
                                        ; implicit-def: $vgpr5_vgpr6
                                        ; implicit-def: $vgpr3_vgpr4
.LBB2101_227:
	s_or_saveexec_b64 s[2:3], s[2:3]
	v_mov_b32_e32 v7, 1
	s_xor_b64 exec, exec, s[2:3]
	s_cbranch_execz .LBB2101_229
; %bb.228:
	v_and_b32_e32 v1, 1, v8
	v_cmp_eq_u32_e32 vcc, 1, v1
	s_waitcnt lgkmcnt(0)
	v_cndmask_b32_e32 v2, v6, v4, vcc
	v_cndmask_b32_e32 v1, v5, v3, vcc
	v_cndmask_b32_e64 v7, v9, 1, vcc
.LBB2101_229:
	s_or_b64 exec, exec, s[2:3]
.LBB2101_230:
	s_or_b64 exec, exec, s[0:1]
	s_branch .LBB2101_285
.LBB2101_231:
                                        ; implicit-def: $vgpr3_vgpr4
                                        ; implicit-def: $vgpr5
                                        ; implicit-def: $vgpr1_vgpr2
	s_cbranch_execnz .LBB2101_290
	s_branch .LBB2101_306
.LBB2101_232:
                                        ; implicit-def: $vgpr3_vgpr4
                                        ; implicit-def: $vgpr5
                                        ; implicit-def: $vgpr1_vgpr2
	s_branch .LBB2101_306
.LBB2101_233:
                                        ; implicit-def: $vgpr1_vgpr2
                                        ; implicit-def: $vgpr7
	s_cbranch_execz .LBB2101_285
; %bb.234:
	s_sub_i32 s10, s22, s26
	s_waitcnt lgkmcnt(0)
	v_mov_b32_e32 v3, 0
	v_mov_b32_e32 v1, 0
	s_lshl_b32 s8, s34, 16
	v_cmp_gt_u32_e32 vcc, s10, v0
	v_mov_b32_e32 v5, 0
	v_mov_b32_e32 v4, 0
	;; [unrolled: 1-line block ×4, first 2 shown]
	s_and_saveexec_b64 s[0:1], vcc
	s_cbranch_execz .LBB2101_236
; %bb.235:
	v_lshlrev_b32_e32 v1, 1, v0
	global_load_ushort v6, v1, s[16:17]
	v_mov_b32_e32 v2, s28
	v_add_co_u32_e32 v1, vcc, s27, v0
	v_addc_co_u32_e32 v2, vcc, 0, v2, vcc
	s_waitcnt vmcnt(0)
	v_lshlrev_b32_e32 v6, 16, v6
	v_cmp_eq_f32_e32 vcc, s8, v6
	v_cndmask_b32_e64 v6, 0, 1, vcc
.LBB2101_236:
	s_or_b64 exec, exec, s[0:1]
	v_or_b32_e32 v7, 0x80, v0
	v_cmp_gt_u32_e32 vcc, s10, v7
	s_and_saveexec_b64 s[2:3], vcc
	s_cbranch_execz .LBB2101_238
; %bb.237:
	v_lshlrev_b32_e32 v3, 1, v0
	global_load_ushort v5, v3, s[16:17] offset:256
	v_mov_b32_e32 v4, s28
	v_add_co_u32_e64 v3, s[0:1], s27, v7
	v_addc_co_u32_e64 v4, s[0:1], 0, v4, s[0:1]
	s_waitcnt vmcnt(0)
	v_lshlrev_b32_e32 v5, 16, v5
	v_cmp_eq_f32_e64 s[0:1], s8, v5
	v_cndmask_b32_e64 v5, 0, 1, s[0:1]
.LBB2101_238:
	s_or_b64 exec, exec, s[2:3]
	v_and_b32_e32 v8, 0xffff, v5
	v_and_b32_e32 v5, 1, v5
	v_cmp_lt_i64_e64 s[2:3], v[3:4], v[1:2]
	v_cmp_eq_u32_e64 s[0:1], 1, v5
	v_and_b32_e32 v5, 1, v6
	v_cmp_eq_u32_e64 s[8:9], 1, v5
	s_and_b64 s[0:1], s[0:1], s[2:3]
	v_cndmask_b32_e64 v5, v8, 1, s[8:9]
	v_cndmask_b32_e64 v8, v1, v3, s[0:1]
	;; [unrolled: 1-line block ×3, first 2 shown]
	v_and_b32_e32 v7, 0xffff, v6
	v_cndmask_b32_e32 v1, v1, v3, vcc
	v_mbcnt_lo_u32_b32 v3, -1, 0
	v_cndmask_b32_e64 v6, v2, v4, s[0:1]
	v_cndmask_b32_e32 v7, v7, v5, vcc
	v_mbcnt_hi_u32_b32 v5, -1, v3
	v_cndmask_b32_e64 v4, v4, v6, s[8:9]
	v_and_b32_e32 v6, 63, v5
	v_cndmask_b32_e32 v2, v2, v4, vcc
	v_cmp_ne_u32_e32 vcc, 63, v6
	v_addc_co_u32_e32 v3, vcc, 0, v5, vcc
	v_lshlrev_b32_e32 v4, 2, v3
	ds_bpermute_b32 v9, v4, v7
	ds_bpermute_b32 v3, v4, v1
	;; [unrolled: 1-line block ×3, first 2 shown]
	s_min_u32 s8, s10, 0x80
	v_and_b32_e32 v8, 64, v0
	v_sub_u32_e64 v8, s8, v8 clamp
	v_add_u32_e32 v10, 1, v6
	v_cmp_lt_u32_e32 vcc, v10, v8
	s_and_saveexec_b64 s[0:1], vcc
	s_cbranch_execz .LBB2101_244
; %bb.239:
	s_waitcnt lgkmcnt(2)
	v_and_b32_e32 v10, v9, v7
	v_cmp_ne_u32_e32 vcc, 0, v10
	s_and_saveexec_b64 s[2:3], vcc
	s_xor_b64 s[2:3], exec, s[2:3]
	s_cbranch_execz .LBB2101_241
; %bb.240:
	s_waitcnt lgkmcnt(0)
	v_cmp_lt_i64_e32 vcc, v[3:4], v[1:2]
                                        ; implicit-def: $vgpr7
                                        ; implicit-def: $vgpr9
	v_cndmask_b32_e32 v2, v2, v4, vcc
	v_cndmask_b32_e32 v1, v1, v3, vcc
                                        ; implicit-def: $vgpr3_vgpr4
.LBB2101_241:
	s_or_saveexec_b64 s[2:3], s[2:3]
	v_mov_b32_e32 v10, 1
	s_xor_b64 exec, exec, s[2:3]
	s_cbranch_execz .LBB2101_243
; %bb.242:
	v_and_b32_e32 v7, 1, v7
	v_cmp_eq_u32_e32 vcc, 1, v7
	s_waitcnt lgkmcnt(1)
	v_cndmask_b32_e32 v1, v3, v1, vcc
	v_and_b32_e32 v3, 0xff, v9
	s_waitcnt lgkmcnt(0)
	v_cndmask_b32_e32 v2, v4, v2, vcc
	v_cndmask_b32_e64 v10, v3, 1, vcc
.LBB2101_243:
	s_or_b64 exec, exec, s[2:3]
	v_mov_b32_e32 v7, v10
.LBB2101_244:
	s_or_b64 exec, exec, s[0:1]
	v_cmp_gt_u32_e32 vcc, 62, v6
	s_waitcnt lgkmcnt(1)
	v_cndmask_b32_e64 v3, 0, 2, vcc
	s_waitcnt lgkmcnt(0)
	v_add_lshl_u32 v4, v3, v5, 2
	ds_bpermute_b32 v9, v4, v7
	ds_bpermute_b32 v3, v4, v1
	ds_bpermute_b32 v4, v4, v2
	v_add_u32_e32 v10, 2, v6
	v_cmp_lt_u32_e32 vcc, v10, v8
	s_and_saveexec_b64 s[0:1], vcc
	s_cbranch_execz .LBB2101_250
; %bb.245:
	s_waitcnt lgkmcnt(2)
	v_and_b32_e32 v10, v7, v9
	v_and_b32_e32 v10, 1, v10
	v_cmp_eq_u32_e32 vcc, 1, v10
	s_and_saveexec_b64 s[2:3], vcc
	s_xor_b64 s[2:3], exec, s[2:3]
	s_cbranch_execz .LBB2101_247
; %bb.246:
	s_waitcnt lgkmcnt(0)
	v_cmp_lt_i64_e32 vcc, v[3:4], v[1:2]
                                        ; implicit-def: $vgpr7
                                        ; implicit-def: $vgpr9
	v_cndmask_b32_e32 v2, v2, v4, vcc
	v_cndmask_b32_e32 v1, v1, v3, vcc
                                        ; implicit-def: $vgpr3_vgpr4
.LBB2101_247:
	s_or_saveexec_b64 s[2:3], s[2:3]
	v_mov_b32_e32 v10, 1
	s_xor_b64 exec, exec, s[2:3]
	s_cbranch_execz .LBB2101_249
; %bb.248:
	v_and_b32_e32 v7, 1, v7
	v_cmp_eq_u32_e32 vcc, 1, v7
	s_waitcnt lgkmcnt(1)
	v_cndmask_b32_e32 v1, v3, v1, vcc
	v_and_b32_e32 v3, 0xff, v9
	s_waitcnt lgkmcnt(0)
	v_cndmask_b32_e32 v2, v4, v2, vcc
	v_cndmask_b32_e64 v10, v3, 1, vcc
.LBB2101_249:
	s_or_b64 exec, exec, s[2:3]
	v_mov_b32_e32 v7, v10
.LBB2101_250:
	s_or_b64 exec, exec, s[0:1]
	v_cmp_gt_u32_e32 vcc, 60, v6
	s_waitcnt lgkmcnt(1)
	v_cndmask_b32_e64 v3, 0, 4, vcc
	s_waitcnt lgkmcnt(0)
	v_add_lshl_u32 v4, v3, v5, 2
	ds_bpermute_b32 v9, v4, v7
	ds_bpermute_b32 v3, v4, v1
	ds_bpermute_b32 v4, v4, v2
	v_add_u32_e32 v10, 4, v6
	v_cmp_lt_u32_e32 vcc, v10, v8
	s_and_saveexec_b64 s[0:1], vcc
	s_cbranch_execz .LBB2101_256
; %bb.251:
	s_waitcnt lgkmcnt(2)
	v_and_b32_e32 v10, v7, v9
	v_and_b32_e32 v10, 1, v10
	v_cmp_eq_u32_e32 vcc, 1, v10
	s_and_saveexec_b64 s[2:3], vcc
	s_xor_b64 s[2:3], exec, s[2:3]
	s_cbranch_execz .LBB2101_253
; %bb.252:
	s_waitcnt lgkmcnt(0)
	v_cmp_lt_i64_e32 vcc, v[3:4], v[1:2]
                                        ; implicit-def: $vgpr7
                                        ; implicit-def: $vgpr9
	v_cndmask_b32_e32 v2, v2, v4, vcc
	v_cndmask_b32_e32 v1, v1, v3, vcc
                                        ; implicit-def: $vgpr3_vgpr4
.LBB2101_253:
	s_or_saveexec_b64 s[2:3], s[2:3]
	v_mov_b32_e32 v10, 1
	s_xor_b64 exec, exec, s[2:3]
	s_cbranch_execz .LBB2101_255
; %bb.254:
	v_and_b32_e32 v7, 1, v7
	v_cmp_eq_u32_e32 vcc, 1, v7
	s_waitcnt lgkmcnt(1)
	v_cndmask_b32_e32 v1, v3, v1, vcc
	v_and_b32_e32 v3, 0xff, v9
	s_waitcnt lgkmcnt(0)
	v_cndmask_b32_e32 v2, v4, v2, vcc
	v_cndmask_b32_e64 v10, v3, 1, vcc
.LBB2101_255:
	s_or_b64 exec, exec, s[2:3]
	v_mov_b32_e32 v7, v10
.LBB2101_256:
	;; [unrolled: 47-line block ×4, first 2 shown]
	s_or_b64 exec, exec, s[0:1]
	s_waitcnt lgkmcnt(2)
	v_lshlrev_b32_e32 v9, 2, v5
	s_waitcnt lgkmcnt(0)
	v_or_b32_e32 v4, 0x80, v9
	ds_bpermute_b32 v10, v4, v7
	ds_bpermute_b32 v3, v4, v1
	;; [unrolled: 1-line block ×3, first 2 shown]
	v_add_u32_e32 v6, 32, v6
	v_cmp_lt_u32_e32 vcc, v6, v8
	v_mov_b32_e32 v6, v7
	s_and_saveexec_b64 s[0:1], vcc
	s_cbranch_execz .LBB2101_274
; %bb.269:
	s_waitcnt lgkmcnt(2)
	v_and_b32_e32 v6, v7, v10
	v_and_b32_e32 v6, 1, v6
	v_cmp_eq_u32_e32 vcc, 1, v6
	s_and_saveexec_b64 s[2:3], vcc
	s_xor_b64 s[2:3], exec, s[2:3]
	s_cbranch_execz .LBB2101_271
; %bb.270:
	s_waitcnt lgkmcnt(0)
	v_cmp_lt_i64_e32 vcc, v[3:4], v[1:2]
                                        ; implicit-def: $vgpr7
                                        ; implicit-def: $vgpr10
	v_cndmask_b32_e32 v2, v2, v4, vcc
	v_cndmask_b32_e32 v1, v1, v3, vcc
                                        ; implicit-def: $vgpr3_vgpr4
.LBB2101_271:
	s_or_saveexec_b64 s[2:3], s[2:3]
	v_mov_b32_e32 v6, 1
	s_xor_b64 exec, exec, s[2:3]
	s_cbranch_execz .LBB2101_273
; %bb.272:
	v_and_b32_e32 v6, 1, v7
	v_cmp_eq_u32_e32 vcc, 1, v6
	v_cndmask_b32_e64 v6, v10, 1, vcc
	s_waitcnt lgkmcnt(0)
	v_cndmask_b32_e32 v2, v4, v2, vcc
	v_cndmask_b32_e32 v1, v3, v1, vcc
.LBB2101_273:
	s_or_b64 exec, exec, s[2:3]
	v_and_b32_e32 v7, 0xff, v6
.LBB2101_274:
	s_or_b64 exec, exec, s[0:1]
	v_cmp_eq_u32_e32 vcc, 0, v5
	s_and_saveexec_b64 s[0:1], vcc
	s_cbranch_execz .LBB2101_276
; %bb.275:
	s_waitcnt lgkmcnt(1)
	v_lshrrev_b32_e32 v3, 2, v0
	v_and_b32_e32 v3, 16, v3
	ds_write_b8 v3, v6 offset:128
	ds_write_b64 v3, v[1:2] offset:136
.LBB2101_276:
	s_or_b64 exec, exec, s[0:1]
	v_cmp_gt_u32_e32 vcc, 2, v0
	s_waitcnt lgkmcnt(0)
	s_barrier
	s_and_saveexec_b64 s[0:1], vcc
	s_cbranch_execz .LBB2101_284
; %bb.277:
	v_lshlrev_b32_e32 v1, 4, v5
	ds_read_u8 v6, v1 offset:128
	ds_read_b64 v[1:2], v1 offset:136
	v_or_b32_e32 v4, 4, v9
	s_add_i32 s8, s8, 63
	v_and_b32_e32 v5, 1, v5
	s_waitcnt lgkmcnt(1)
	v_and_b32_e32 v7, 0xff, v6
	s_waitcnt lgkmcnt(0)
	ds_bpermute_b32 v3, v4, v1
	ds_bpermute_b32 v8, v4, v7
	;; [unrolled: 1-line block ×3, first 2 shown]
	s_lshr_b32 s2, s8, 6
	v_add_u32_e32 v5, 1, v5
	v_cmp_gt_u32_e32 vcc, s2, v5
	s_and_saveexec_b64 s[2:3], vcc
	s_cbranch_execz .LBB2101_283
; %bb.278:
	s_waitcnt lgkmcnt(1)
	v_and_b32_e32 v5, v7, v8
	v_and_b32_e32 v5, 1, v5
	v_cmp_eq_u32_e32 vcc, 1, v5
	s_and_saveexec_b64 s[8:9], vcc
	s_xor_b64 s[8:9], exec, s[8:9]
	s_cbranch_execz .LBB2101_280
; %bb.279:
	s_waitcnt lgkmcnt(0)
	v_cmp_lt_i64_e32 vcc, v[3:4], v[1:2]
                                        ; implicit-def: $vgpr6
                                        ; implicit-def: $vgpr8
	v_cndmask_b32_e32 v2, v2, v4, vcc
	v_cndmask_b32_e32 v1, v1, v3, vcc
                                        ; implicit-def: $vgpr3_vgpr4
.LBB2101_280:
	s_or_saveexec_b64 s[8:9], s[8:9]
	v_mov_b32_e32 v7, 1
	s_xor_b64 exec, exec, s[8:9]
	s_cbranch_execz .LBB2101_282
; %bb.281:
	v_and_b32_e32 v5, 1, v6
	v_cmp_eq_u32_e32 vcc, 1, v5
	s_waitcnt lgkmcnt(0)
	v_cndmask_b32_e32 v2, v4, v2, vcc
	v_cndmask_b32_e32 v1, v3, v1, vcc
	v_cndmask_b32_e64 v7, v8, 1, vcc
.LBB2101_282:
	s_or_b64 exec, exec, s[8:9]
.LBB2101_283:
	s_or_b64 exec, exec, s[2:3]
.LBB2101_284:
	s_or_b64 exec, exec, s[0:1]
.LBB2101_285:
	v_cmp_eq_u32_e32 vcc, 0, v0
                                        ; implicit-def: $vgpr3_vgpr4
                                        ; implicit-def: $vgpr5
	s_and_saveexec_b64 s[0:1], vcc
	s_xor_b64 s[8:9], exec, s[0:1]
	s_cbranch_execz .LBB2101_289
; %bb.286:
	s_waitcnt lgkmcnt(0)
	v_mov_b32_e32 v3, s18
	s_cmp_eq_u64 s[22:23], 0
	v_mov_b32_e32 v4, s19
	v_mov_b32_e32 v5, s33
	s_cbranch_scc1 .LBB2101_288
; %bb.287:
	v_and_b32_e32 v3, 1, v7
	v_cmp_gt_i64_e64 s[0:1], s[18:19], v[1:2]
	s_bitcmp1_b32 s33, 0
	v_cmp_eq_u32_e32 vcc, 1, v3
	s_cselect_b64 s[2:3], -1, 0
	v_mov_b32_e32 v3, s18
	s_and_b64 vcc, vcc, s[0:1]
	v_mov_b32_e32 v4, s19
	v_cndmask_b32_e32 v3, v3, v1, vcc
	v_cndmask_b32_e32 v4, v4, v2, vcc
	v_cndmask_b32_e64 v5, v7, 1, s[2:3]
	v_cndmask_b32_e64 v4, v2, v4, s[2:3]
	;; [unrolled: 1-line block ×3, first 2 shown]
.LBB2101_288:
	s_or_b64 s[14:15], s[14:15], exec
.LBB2101_289:
	s_or_b64 exec, exec, s[8:9]
	v_mov_b32_e32 v1, s6
	v_mov_b32_e32 v2, s7
	s_branch .LBB2101_306
.LBB2101_290:
	s_cmp_eq_u32 s35, 1
	s_cbranch_scc0 .LBB2101_305
; %bb.291:
	s_mov_b32 s9, 0
	s_lshl_b32 s8, s6, 7
	s_mov_b32 s7, s9
	s_lshr_b64 s[0:1], s[22:23], 7
	s_cmp_lg_u64 s[0:1], s[6:7]
	s_cbranch_scc0 .LBB2101_309
; %bb.292:
	s_lshl_b64 s[0:1], s[8:9], 1
	s_add_u32 s0, s24, s0
	s_addc_u32 s1, s25, s1
	v_lshlrev_b32_e32 v1, 1, v0
	s_waitcnt lgkmcnt(1)
	global_load_ushort v5, v1, s[0:1]
	s_add_u32 s0, s20, s8
	s_addc_u32 s1, s21, 0
	v_mov_b32_e32 v2, s1
	v_add_co_u32_e32 v1, vcc, s0, v0
	s_lshl_b32 s2, s34, 16
	v_addc_co_u32_e32 v2, vcc, 0, v2, vcc
	v_mov_b32_dpp v3, v1 quad_perm:[1,0,3,2] row_mask:0xf bank_mask:0xf bound_ctrl:1
	s_waitcnt lgkmcnt(0)
	v_mov_b32_dpp v4, v2 quad_perm:[1,0,3,2] row_mask:0xf bank_mask:0xf bound_ctrl:1
	v_cmp_lt_i64_e32 vcc, v[1:2], v[3:4]
                                        ; implicit-def: $vgpr7
	s_waitcnt vmcnt(0)
	v_lshlrev_b32_e32 v5, 16, v5
	v_cmp_eq_f32_e64 s[0:1], s2, v5
	v_cndmask_b32_e64 v5, 0, 1, s[0:1]
	s_and_b64 vcc, s[0:1], vcc
	v_cndmask_b32_e32 v3, v3, v1, vcc
	v_mov_b32_dpp v5, v5 quad_perm:[1,0,3,2] row_mask:0xf bank_mask:0xf bound_ctrl:1
	v_and_b32_e32 v5, 1, v5
	v_cndmask_b32_e32 v4, v4, v2, vcc
	v_cmp_eq_u32_e32 vcc, 1, v5
	s_or_b64 s[0:1], vcc, s[0:1]
	v_cndmask_b32_e32 v3, v1, v3, vcc
	v_cndmask_b32_e64 v1, 0, 1, s[0:1]
	v_cndmask_b32_e32 v4, v2, v4, vcc
	v_mov_b32_dpp v5, v3 quad_perm:[2,3,0,1] row_mask:0xf bank_mask:0xf bound_ctrl:1
	v_mov_b32_dpp v1, v1 quad_perm:[2,3,0,1] row_mask:0xf bank_mask:0xf bound_ctrl:1
	v_and_b32_e32 v1, 1, v1
	v_cmp_eq_u32_e32 vcc, 1, v1
	s_and_b64 s[2:3], vcc, s[0:1]
	v_mov_b32_dpp v6, v4 quad_perm:[2,3,0,1] row_mask:0xf bank_mask:0xf bound_ctrl:1
	s_xor_b64 s[2:3], s[2:3], -1
                                        ; implicit-def: $vgpr1_vgpr2
	s_and_saveexec_b64 s[10:11], s[2:3]
	s_xor_b64 s[2:3], exec, s[10:11]
; %bb.293:
	s_or_b64 s[0:1], vcc, s[0:1]
	v_cndmask_b32_e32 v2, v4, v6, vcc
	v_cndmask_b32_e32 v1, v3, v5, vcc
	v_cndmask_b32_e64 v7, 0, 1, s[0:1]
                                        ; implicit-def: $vgpr3_vgpr4
                                        ; implicit-def: $vgpr5_vgpr6
; %bb.294:
	s_andn2_saveexec_b64 s[0:1], s[2:3]
; %bb.295:
	v_cmp_lt_i64_e32 vcc, v[3:4], v[5:6]
	v_mov_b32_e32 v7, 1
	v_cndmask_b32_e32 v2, v6, v4, vcc
	v_cndmask_b32_e32 v1, v5, v3, vcc
; %bb.296:
	s_or_b64 exec, exec, s[0:1]
	s_nop 0
	v_mov_b32_dpp v4, v1 row_ror:4 row_mask:0xf bank_mask:0xf bound_ctrl:1
	v_mov_b32_dpp v5, v2 row_ror:4 row_mask:0xf bank_mask:0xf bound_ctrl:1
	v_and_b32_e32 v8, 1, v7
	v_cmp_lt_i64_e64 s[0:1], v[1:2], v[4:5]
	v_mov_b32_dpp v6, v7 row_ror:4 row_mask:0xf bank_mask:0xf bound_ctrl:1
	v_cmp_eq_u32_e32 vcc, 1, v8
	v_and_b32_e32 v6, 1, v6
	s_and_b64 vcc, vcc, s[0:1]
	v_cmp_eq_u32_e64 s[2:3], 1, v6
	v_cndmask_b32_e32 v4, v4, v1, vcc
	v_cndmask_b32_e32 v5, v5, v2, vcc
	v_cndmask_b32_e64 v2, v2, v5, s[2:3]
	v_cndmask_b32_e64 v1, v1, v4, s[2:3]
	;; [unrolled: 1-line block ×3, first 2 shown]
	v_mov_b32_dpp v5, v2 row_ror:8 row_mask:0xf bank_mask:0xf bound_ctrl:1
	v_mov_b32_dpp v4, v1 row_ror:8 row_mask:0xf bank_mask:0xf bound_ctrl:1
	v_and_b32_e32 v8, 1, v6
	v_cmp_lt_i64_e64 s[0:1], v[1:2], v[4:5]
	v_mov_b32_dpp v7, v6 row_ror:8 row_mask:0xf bank_mask:0xf bound_ctrl:1
	v_cmp_eq_u32_e32 vcc, 1, v8
	v_and_b32_e32 v7, 1, v7
	s_and_b64 vcc, vcc, s[0:1]
	v_cmp_eq_u32_e64 s[2:3], 1, v7
	v_cndmask_b32_e32 v4, v4, v1, vcc
	v_cndmask_b32_e32 v5, v5, v2, vcc
	v_cndmask_b32_e64 v2, v2, v5, s[2:3]
	v_cndmask_b32_e64 v1, v1, v4, s[2:3]
	;; [unrolled: 1-line block ×3, first 2 shown]
	v_mov_b32_dpp v5, v2 row_bcast:15 row_mask:0xf bank_mask:0xf bound_ctrl:1
	v_mov_b32_dpp v4, v1 row_bcast:15 row_mask:0xf bank_mask:0xf bound_ctrl:1
	v_and_b32_e32 v8, 1, v6
	v_cmp_lt_i64_e64 s[0:1], v[1:2], v[4:5]
	v_mov_b32_dpp v7, v6 row_bcast:15 row_mask:0xf bank_mask:0xf bound_ctrl:1
	v_cmp_eq_u32_e32 vcc, 1, v8
	v_and_b32_e32 v7, 1, v7
	s_and_b64 vcc, vcc, s[0:1]
	v_cmp_eq_u32_e64 s[2:3], 1, v7
	v_cndmask_b32_e32 v4, v4, v1, vcc
	v_cndmask_b32_e32 v5, v5, v2, vcc
	v_cndmask_b32_e64 v2, v2, v5, s[2:3]
	v_cndmask_b32_e64 v1, v1, v4, s[2:3]
	;; [unrolled: 1-line block ×3, first 2 shown]
	v_mov_b32_dpp v5, v2 row_bcast:31 row_mask:0xf bank_mask:0xf bound_ctrl:1
	v_mov_b32_dpp v4, v1 row_bcast:31 row_mask:0xf bank_mask:0xf bound_ctrl:1
	v_and_b32_e32 v8, 1, v6
	v_cmp_lt_i64_e64 s[0:1], v[1:2], v[4:5]
	v_mov_b32_dpp v7, v6 row_bcast:31 row_mask:0xf bank_mask:0xf bound_ctrl:1
	v_cmp_eq_u32_e32 vcc, 1, v8
	v_mbcnt_lo_u32_b32 v3, -1, 0
	v_and_b32_e32 v7, 1, v7
	s_and_b64 vcc, vcc, s[0:1]
	v_mbcnt_hi_u32_b32 v3, -1, v3
	v_cmp_eq_u32_e64 s[2:3], 1, v7
	v_cndmask_b32_e32 v5, v5, v2, vcc
	v_cndmask_b32_e32 v4, v4, v1, vcc
	v_cndmask_b32_e64 v2, v2, v5, s[2:3]
	v_lshlrev_b32_e32 v5, 2, v3
	v_cndmask_b32_e64 v6, v6, 1, s[2:3]
	v_cndmask_b32_e64 v1, v1, v4, s[2:3]
	v_or_b32_e32 v4, 0xfc, v5
	ds_bpermute_b32 v7, v4, v6
	ds_bpermute_b32 v1, v4, v1
	ds_bpermute_b32 v2, v4, v2
	v_cmp_eq_u32_e32 vcc, 0, v3
	s_and_saveexec_b64 s[0:1], vcc
	s_cbranch_execz .LBB2101_298
; %bb.297:
	v_lshrrev_b32_e32 v4, 2, v0
	v_and_b32_e32 v4, 16, v4
	s_waitcnt lgkmcnt(2)
	ds_write_b8 v4, v7
	s_waitcnt lgkmcnt(1)
	ds_write_b64 v4, v[1:2] offset:8
.LBB2101_298:
	s_or_b64 exec, exec, s[0:1]
	v_cmp_gt_u32_e32 vcc, 64, v0
	s_waitcnt lgkmcnt(0)
	s_barrier
	s_and_saveexec_b64 s[0:1], vcc
	s_cbranch_execz .LBB2101_304
; %bb.299:
	v_and_b32_e32 v1, 1, v3
	v_lshlrev_b32_e32 v1, 4, v1
	ds_read_u8 v8, v1
	ds_read_b64 v[3:4], v1 offset:8
	v_or_b32_e32 v2, 4, v5
	s_waitcnt lgkmcnt(1)
	v_and_b32_e32 v1, 0xff, v8
	ds_bpermute_b32 v9, v2, v1
	s_waitcnt lgkmcnt(1)
	ds_bpermute_b32 v5, v2, v3
	ds_bpermute_b32 v6, v2, v4
	s_waitcnt lgkmcnt(2)
	v_and_b32_e32 v1, v8, v9
	v_and_b32_e32 v1, 1, v1
	v_cmp_eq_u32_e32 vcc, 1, v1
                                        ; implicit-def: $vgpr1_vgpr2
	s_and_saveexec_b64 s[2:3], vcc
	s_xor_b64 s[2:3], exec, s[2:3]
	s_cbranch_execz .LBB2101_301
; %bb.300:
	s_waitcnt lgkmcnt(0)
	v_cmp_lt_i64_e32 vcc, v[5:6], v[3:4]
                                        ; implicit-def: $vgpr8
                                        ; implicit-def: $vgpr9
	v_cndmask_b32_e32 v2, v4, v6, vcc
	v_cndmask_b32_e32 v1, v3, v5, vcc
                                        ; implicit-def: $vgpr5_vgpr6
                                        ; implicit-def: $vgpr3_vgpr4
.LBB2101_301:
	s_or_saveexec_b64 s[2:3], s[2:3]
	v_mov_b32_e32 v7, 1
	s_xor_b64 exec, exec, s[2:3]
	s_cbranch_execz .LBB2101_303
; %bb.302:
	v_and_b32_e32 v1, 1, v8
	v_cmp_eq_u32_e32 vcc, 1, v1
	s_waitcnt lgkmcnt(0)
	v_cndmask_b32_e32 v2, v6, v4, vcc
	v_cndmask_b32_e32 v1, v5, v3, vcc
	v_cndmask_b32_e64 v7, v9, 1, vcc
.LBB2101_303:
	s_or_b64 exec, exec, s[2:3]
.LBB2101_304:
	s_or_b64 exec, exec, s[0:1]
	s_branch .LBB2101_359
.LBB2101_305:
                                        ; implicit-def: $vgpr3_vgpr4
                                        ; implicit-def: $vgpr5
                                        ; implicit-def: $vgpr1_vgpr2
.LBB2101_306:
	s_and_saveexec_b64 s[0:1], s[14:15]
	s_cbranch_execz .LBB2101_308
.LBB2101_307:
	s_load_dwordx2 s[0:1], s[4:5], 0x28
	v_lshlrev_b64 v[0:1], 4, v[1:2]
	s_waitcnt lgkmcnt(0)
	v_mov_b32_e32 v2, s1
	v_add_co_u32_e32 v0, vcc, s0, v0
	v_addc_co_u32_e32 v1, vcc, v2, v1, vcc
	global_store_byte v[0:1], v5, off
	global_store_dwordx2 v[0:1], v[3:4], off offset:8
.LBB2101_308:
	s_endpgm
.LBB2101_309:
                                        ; implicit-def: $vgpr1_vgpr2
                                        ; implicit-def: $vgpr7
	s_cbranch_execz .LBB2101_359
; %bb.310:
	s_sub_i32 s2, s22, s8
	v_mov_b32_e32 v1, 0
	v_cmp_gt_u32_e32 vcc, s2, v0
	v_mov_b32_e32 v2, 0
	v_mov_b32_e32 v9, 0
	s_and_saveexec_b64 s[0:1], vcc
	s_cbranch_execz .LBB2101_312
; %bb.311:
	s_lshl_b64 s[10:11], s[8:9], 1
	s_add_u32 s10, s24, s10
	s_addc_u32 s11, s25, s11
	v_lshlrev_b32_e32 v1, 1, v0
	s_waitcnt lgkmcnt(2)
	global_load_ushort v3, v1, s[10:11]
	s_lshl_b32 s3, s34, 16
	s_add_u32 s8, s20, s8
	s_addc_u32 s9, s21, 0
	v_mov_b32_e32 v2, s9
	v_add_co_u32_e32 v1, vcc, s8, v0
	v_addc_co_u32_e32 v2, vcc, 0, v2, vcc
	s_waitcnt vmcnt(0)
	v_lshlrev_b32_e32 v3, 16, v3
	v_cmp_eq_f32_e32 vcc, s3, v3
	v_cndmask_b32_e64 v9, 0, 1, vcc
.LBB2101_312:
	s_or_b64 exec, exec, s[0:1]
	s_waitcnt lgkmcnt(2)
	v_mbcnt_lo_u32_b32 v3, -1, 0
	s_waitcnt lgkmcnt(1)
	v_mbcnt_hi_u32_b32 v5, -1, v3
	s_waitcnt lgkmcnt(0)
	v_and_b32_e32 v6, 63, v5
	v_cmp_ne_u32_e32 vcc, 63, v6
	v_addc_co_u32_e32 v3, vcc, 0, v5, vcc
	v_and_b32_e32 v7, 0xffff, v9
	v_lshlrev_b32_e32 v4, 2, v3
	ds_bpermute_b32 v10, v4, v7
	ds_bpermute_b32 v3, v4, v1
	;; [unrolled: 1-line block ×3, first 2 shown]
	s_min_u32 s8, s2, 0x80
	v_and_b32_e32 v8, 64, v0
	v_sub_u32_e64 v8, s8, v8 clamp
	v_add_u32_e32 v11, 1, v6
	v_cmp_lt_u32_e32 vcc, v11, v8
	s_and_saveexec_b64 s[0:1], vcc
	s_cbranch_execz .LBB2101_318
; %bb.313:
	s_waitcnt lgkmcnt(2)
	v_and_b32_e32 v7, v10, v7
	v_and_b32_e32 v7, 1, v7
	v_cmp_eq_u32_e32 vcc, 1, v7
	s_and_saveexec_b64 s[2:3], vcc
	s_xor_b64 s[2:3], exec, s[2:3]
	s_cbranch_execz .LBB2101_315
; %bb.314:
	s_waitcnt lgkmcnt(0)
	v_cmp_lt_i64_e32 vcc, v[3:4], v[1:2]
                                        ; implicit-def: $vgpr9
                                        ; implicit-def: $vgpr10
	v_cndmask_b32_e32 v2, v2, v4, vcc
	v_cndmask_b32_e32 v1, v1, v3, vcc
                                        ; implicit-def: $vgpr3_vgpr4
.LBB2101_315:
	s_or_saveexec_b64 s[2:3], s[2:3]
	v_mov_b32_e32 v7, 1
	s_xor_b64 exec, exec, s[2:3]
	s_cbranch_execz .LBB2101_317
; %bb.316:
	v_and_b32_e32 v7, 1, v9
	v_cmp_eq_u32_e32 vcc, 1, v7
	s_waitcnt lgkmcnt(1)
	v_cndmask_b32_e32 v1, v3, v1, vcc
	v_and_b32_e32 v3, 0xff, v10
	s_waitcnt lgkmcnt(0)
	v_cndmask_b32_e32 v2, v4, v2, vcc
	v_cndmask_b32_e64 v7, v3, 1, vcc
.LBB2101_317:
	s_or_b64 exec, exec, s[2:3]
.LBB2101_318:
	s_or_b64 exec, exec, s[0:1]
	v_cmp_gt_u32_e32 vcc, 62, v6
	s_waitcnt lgkmcnt(1)
	v_cndmask_b32_e64 v3, 0, 2, vcc
	s_waitcnt lgkmcnt(0)
	v_add_lshl_u32 v4, v3, v5, 2
	ds_bpermute_b32 v9, v4, v7
	ds_bpermute_b32 v3, v4, v1
	ds_bpermute_b32 v4, v4, v2
	v_add_u32_e32 v10, 2, v6
	v_cmp_lt_u32_e32 vcc, v10, v8
	s_and_saveexec_b64 s[0:1], vcc
	s_cbranch_execz .LBB2101_324
; %bb.319:
	s_waitcnt lgkmcnt(2)
	v_and_b32_e32 v10, v7, v9
	v_and_b32_e32 v10, 1, v10
	v_cmp_eq_u32_e32 vcc, 1, v10
	s_and_saveexec_b64 s[2:3], vcc
	s_xor_b64 s[2:3], exec, s[2:3]
	s_cbranch_execz .LBB2101_321
; %bb.320:
	s_waitcnt lgkmcnt(0)
	v_cmp_lt_i64_e32 vcc, v[3:4], v[1:2]
                                        ; implicit-def: $vgpr7
                                        ; implicit-def: $vgpr9
	v_cndmask_b32_e32 v2, v2, v4, vcc
	v_cndmask_b32_e32 v1, v1, v3, vcc
                                        ; implicit-def: $vgpr3_vgpr4
.LBB2101_321:
	s_or_saveexec_b64 s[2:3], s[2:3]
	v_mov_b32_e32 v10, 1
	s_xor_b64 exec, exec, s[2:3]
	s_cbranch_execz .LBB2101_323
; %bb.322:
	v_and_b32_e32 v7, 1, v7
	v_cmp_eq_u32_e32 vcc, 1, v7
	s_waitcnt lgkmcnt(1)
	v_cndmask_b32_e32 v1, v3, v1, vcc
	v_and_b32_e32 v3, 0xff, v9
	s_waitcnt lgkmcnt(0)
	v_cndmask_b32_e32 v2, v4, v2, vcc
	v_cndmask_b32_e64 v10, v3, 1, vcc
.LBB2101_323:
	s_or_b64 exec, exec, s[2:3]
	v_mov_b32_e32 v7, v10
.LBB2101_324:
	s_or_b64 exec, exec, s[0:1]
	v_cmp_gt_u32_e32 vcc, 60, v6
	s_waitcnt lgkmcnt(1)
	v_cndmask_b32_e64 v3, 0, 4, vcc
	s_waitcnt lgkmcnt(0)
	v_add_lshl_u32 v4, v3, v5, 2
	ds_bpermute_b32 v9, v4, v7
	ds_bpermute_b32 v3, v4, v1
	ds_bpermute_b32 v4, v4, v2
	v_add_u32_e32 v10, 4, v6
	v_cmp_lt_u32_e32 vcc, v10, v8
	s_and_saveexec_b64 s[0:1], vcc
	s_cbranch_execz .LBB2101_330
; %bb.325:
	s_waitcnt lgkmcnt(2)
	v_and_b32_e32 v10, v7, v9
	v_and_b32_e32 v10, 1, v10
	v_cmp_eq_u32_e32 vcc, 1, v10
	s_and_saveexec_b64 s[2:3], vcc
	s_xor_b64 s[2:3], exec, s[2:3]
	s_cbranch_execz .LBB2101_327
; %bb.326:
	s_waitcnt lgkmcnt(0)
	v_cmp_lt_i64_e32 vcc, v[3:4], v[1:2]
                                        ; implicit-def: $vgpr7
                                        ; implicit-def: $vgpr9
	v_cndmask_b32_e32 v2, v2, v4, vcc
	v_cndmask_b32_e32 v1, v1, v3, vcc
                                        ; implicit-def: $vgpr3_vgpr4
.LBB2101_327:
	s_or_saveexec_b64 s[2:3], s[2:3]
	v_mov_b32_e32 v10, 1
	s_xor_b64 exec, exec, s[2:3]
	s_cbranch_execz .LBB2101_329
; %bb.328:
	v_and_b32_e32 v7, 1, v7
	v_cmp_eq_u32_e32 vcc, 1, v7
	s_waitcnt lgkmcnt(1)
	v_cndmask_b32_e32 v1, v3, v1, vcc
	v_and_b32_e32 v3, 0xff, v9
	s_waitcnt lgkmcnt(0)
	v_cndmask_b32_e32 v2, v4, v2, vcc
	v_cndmask_b32_e64 v10, v3, 1, vcc
.LBB2101_329:
	s_or_b64 exec, exec, s[2:3]
	v_mov_b32_e32 v7, v10
.LBB2101_330:
	;; [unrolled: 47-line block ×4, first 2 shown]
	s_or_b64 exec, exec, s[0:1]
	s_waitcnt lgkmcnt(2)
	v_lshlrev_b32_e32 v9, 2, v5
	s_waitcnt lgkmcnt(0)
	v_or_b32_e32 v4, 0x80, v9
	ds_bpermute_b32 v10, v4, v7
	ds_bpermute_b32 v3, v4, v1
	;; [unrolled: 1-line block ×3, first 2 shown]
	v_add_u32_e32 v6, 32, v6
	v_cmp_lt_u32_e32 vcc, v6, v8
	v_mov_b32_e32 v6, v7
	s_and_saveexec_b64 s[0:1], vcc
	s_cbranch_execz .LBB2101_348
; %bb.343:
	s_waitcnt lgkmcnt(2)
	v_and_b32_e32 v6, v7, v10
	v_and_b32_e32 v6, 1, v6
	v_cmp_eq_u32_e32 vcc, 1, v6
	s_and_saveexec_b64 s[2:3], vcc
	s_xor_b64 s[2:3], exec, s[2:3]
	s_cbranch_execz .LBB2101_345
; %bb.344:
	s_waitcnt lgkmcnt(0)
	v_cmp_lt_i64_e32 vcc, v[3:4], v[1:2]
                                        ; implicit-def: $vgpr7
                                        ; implicit-def: $vgpr10
	v_cndmask_b32_e32 v2, v2, v4, vcc
	v_cndmask_b32_e32 v1, v1, v3, vcc
                                        ; implicit-def: $vgpr3_vgpr4
.LBB2101_345:
	s_or_saveexec_b64 s[2:3], s[2:3]
	v_mov_b32_e32 v6, 1
	s_xor_b64 exec, exec, s[2:3]
	s_cbranch_execz .LBB2101_347
; %bb.346:
	v_and_b32_e32 v6, 1, v7
	v_cmp_eq_u32_e32 vcc, 1, v6
	v_cndmask_b32_e64 v6, v10, 1, vcc
	s_waitcnt lgkmcnt(0)
	v_cndmask_b32_e32 v2, v4, v2, vcc
	v_cndmask_b32_e32 v1, v3, v1, vcc
.LBB2101_347:
	s_or_b64 exec, exec, s[2:3]
	v_and_b32_e32 v7, 0xff, v6
.LBB2101_348:
	s_or_b64 exec, exec, s[0:1]
	v_cmp_eq_u32_e32 vcc, 0, v5
	s_and_saveexec_b64 s[0:1], vcc
	s_cbranch_execz .LBB2101_350
; %bb.349:
	s_waitcnt lgkmcnt(1)
	v_lshrrev_b32_e32 v3, 2, v0
	v_and_b32_e32 v3, 16, v3
	ds_write_b8 v3, v6 offset:128
	ds_write_b64 v3, v[1:2] offset:136
.LBB2101_350:
	s_or_b64 exec, exec, s[0:1]
	v_cmp_gt_u32_e32 vcc, 2, v0
	s_waitcnt lgkmcnt(0)
	s_barrier
	s_and_saveexec_b64 s[0:1], vcc
	s_cbranch_execz .LBB2101_358
; %bb.351:
	v_lshlrev_b32_e32 v1, 4, v5
	ds_read_u8 v6, v1 offset:128
	ds_read_b64 v[1:2], v1 offset:136
	v_or_b32_e32 v4, 4, v9
	s_add_i32 s8, s8, 63
	v_and_b32_e32 v5, 1, v5
	s_waitcnt lgkmcnt(1)
	v_and_b32_e32 v7, 0xff, v6
	s_waitcnt lgkmcnt(0)
	ds_bpermute_b32 v3, v4, v1
	ds_bpermute_b32 v8, v4, v7
	;; [unrolled: 1-line block ×3, first 2 shown]
	s_lshr_b32 s2, s8, 6
	v_add_u32_e32 v5, 1, v5
	v_cmp_gt_u32_e32 vcc, s2, v5
	s_and_saveexec_b64 s[2:3], vcc
	s_cbranch_execz .LBB2101_357
; %bb.352:
	s_waitcnt lgkmcnt(1)
	v_and_b32_e32 v5, v7, v8
	v_and_b32_e32 v5, 1, v5
	v_cmp_eq_u32_e32 vcc, 1, v5
	s_and_saveexec_b64 s[8:9], vcc
	s_xor_b64 s[8:9], exec, s[8:9]
	s_cbranch_execz .LBB2101_354
; %bb.353:
	s_waitcnt lgkmcnt(0)
	v_cmp_lt_i64_e32 vcc, v[3:4], v[1:2]
                                        ; implicit-def: $vgpr6
                                        ; implicit-def: $vgpr8
	v_cndmask_b32_e32 v2, v2, v4, vcc
	v_cndmask_b32_e32 v1, v1, v3, vcc
                                        ; implicit-def: $vgpr3_vgpr4
.LBB2101_354:
	s_or_saveexec_b64 s[8:9], s[8:9]
	v_mov_b32_e32 v7, 1
	s_xor_b64 exec, exec, s[8:9]
	s_cbranch_execz .LBB2101_356
; %bb.355:
	v_and_b32_e32 v5, 1, v6
	v_cmp_eq_u32_e32 vcc, 1, v5
	s_waitcnt lgkmcnt(0)
	v_cndmask_b32_e32 v2, v4, v2, vcc
	v_cndmask_b32_e32 v1, v3, v1, vcc
	v_cndmask_b32_e64 v7, v8, 1, vcc
.LBB2101_356:
	s_or_b64 exec, exec, s[8:9]
.LBB2101_357:
	s_or_b64 exec, exec, s[2:3]
.LBB2101_358:
	s_or_b64 exec, exec, s[0:1]
.LBB2101_359:
	v_cmp_eq_u32_e32 vcc, 0, v0
                                        ; implicit-def: $vgpr3_vgpr4
                                        ; implicit-def: $vgpr5
	s_and_saveexec_b64 s[8:9], vcc
	s_cbranch_execz .LBB2101_363
; %bb.360:
	s_waitcnt lgkmcnt(0)
	v_mov_b32_e32 v3, s18
	s_cmp_eq_u64 s[22:23], 0
	v_mov_b32_e32 v4, s19
	v_mov_b32_e32 v5, s33
	s_cbranch_scc1 .LBB2101_362
; %bb.361:
	v_and_b32_e32 v0, 1, v7
	v_cmp_gt_i64_e64 s[0:1], s[18:19], v[1:2]
	s_bitcmp1_b32 s33, 0
	v_cmp_eq_u32_e32 vcc, 1, v0
	s_cselect_b64 s[2:3], -1, 0
	v_mov_b32_e32 v0, s18
	s_and_b64 vcc, vcc, s[0:1]
	v_mov_b32_e32 v3, s19
	v_cndmask_b32_e32 v0, v0, v1, vcc
	v_cndmask_b32_e32 v3, v3, v2, vcc
	v_cndmask_b32_e64 v5, v7, 1, s[2:3]
	v_cndmask_b32_e64 v4, v2, v3, s[2:3]
	;; [unrolled: 1-line block ×3, first 2 shown]
.LBB2101_362:
	s_or_b64 s[14:15], s[14:15], exec
.LBB2101_363:
	s_or_b64 exec, exec, s[8:9]
	v_mov_b32_e32 v1, s6
	v_mov_b32_e32 v2, s7
	s_and_saveexec_b64 s[0:1], s[14:15]
	s_cbranch_execnz .LBB2101_307
	s_branch .LBB2101_308
	.section	.rodata,"a",@progbits
	.p2align	6, 0x0
	.amdhsa_kernel _ZN7rocprim17ROCPRIM_400000_NS6detail17trampoline_kernelINS0_14default_configENS1_22reduce_config_selectorIN6thrust23THRUST_200600_302600_NS5tupleIblNS6_9null_typeES8_S8_S8_S8_S8_S8_S8_EEEEZNS1_11reduce_implILb1ES3_NS6_12zip_iteratorINS7_INS6_11hip_rocprim26transform_input_iterator_tIbPN3c108BFloat16ENS6_6detail10functional5actorINSJ_9compositeIJNSJ_27transparent_binary_operatorINS6_8equal_toIvEEEENSK_INSJ_8argumentILj0EEEEENSJ_5valueISG_EEEEEEEEENSD_19counting_iterator_tIlEES8_S8_S8_S8_S8_S8_S8_S8_EEEEPS9_S9_NSD_9__find_if7functorIS9_EEEE10hipError_tPvRmT1_T2_T3_mT4_P12ihipStream_tbEUlT_E1_NS1_11comp_targetILNS1_3genE2ELNS1_11target_archE906ELNS1_3gpuE6ELNS1_3repE0EEENS1_30default_config_static_selectorELNS0_4arch9wavefront6targetE1EEEvS19_
		.amdhsa_group_segment_fixed_size 160
		.amdhsa_private_segment_fixed_size 0
		.amdhsa_kernarg_size 72
		.amdhsa_user_sgpr_count 6
		.amdhsa_user_sgpr_private_segment_buffer 1
		.amdhsa_user_sgpr_dispatch_ptr 0
		.amdhsa_user_sgpr_queue_ptr 0
		.amdhsa_user_sgpr_kernarg_segment_ptr 1
		.amdhsa_user_sgpr_dispatch_id 0
		.amdhsa_user_sgpr_flat_scratch_init 0
		.amdhsa_user_sgpr_private_segment_size 0
		.amdhsa_uses_dynamic_stack 0
		.amdhsa_system_sgpr_private_segment_wavefront_offset 0
		.amdhsa_system_sgpr_workgroup_id_x 1
		.amdhsa_system_sgpr_workgroup_id_y 0
		.amdhsa_system_sgpr_workgroup_id_z 0
		.amdhsa_system_sgpr_workgroup_info 0
		.amdhsa_system_vgpr_workitem_id 0
		.amdhsa_next_free_vgpr 26
		.amdhsa_next_free_sgpr 40
		.amdhsa_reserve_vcc 1
		.amdhsa_reserve_flat_scratch 0
		.amdhsa_float_round_mode_32 0
		.amdhsa_float_round_mode_16_64 0
		.amdhsa_float_denorm_mode_32 3
		.amdhsa_float_denorm_mode_16_64 3
		.amdhsa_dx10_clamp 1
		.amdhsa_ieee_mode 1
		.amdhsa_fp16_overflow 0
		.amdhsa_exception_fp_ieee_invalid_op 0
		.amdhsa_exception_fp_denorm_src 0
		.amdhsa_exception_fp_ieee_div_zero 0
		.amdhsa_exception_fp_ieee_overflow 0
		.amdhsa_exception_fp_ieee_underflow 0
		.amdhsa_exception_fp_ieee_inexact 0
		.amdhsa_exception_int_div_zero 0
	.end_amdhsa_kernel
	.section	.text._ZN7rocprim17ROCPRIM_400000_NS6detail17trampoline_kernelINS0_14default_configENS1_22reduce_config_selectorIN6thrust23THRUST_200600_302600_NS5tupleIblNS6_9null_typeES8_S8_S8_S8_S8_S8_S8_EEEEZNS1_11reduce_implILb1ES3_NS6_12zip_iteratorINS7_INS6_11hip_rocprim26transform_input_iterator_tIbPN3c108BFloat16ENS6_6detail10functional5actorINSJ_9compositeIJNSJ_27transparent_binary_operatorINS6_8equal_toIvEEEENSK_INSJ_8argumentILj0EEEEENSJ_5valueISG_EEEEEEEEENSD_19counting_iterator_tIlEES8_S8_S8_S8_S8_S8_S8_S8_EEEEPS9_S9_NSD_9__find_if7functorIS9_EEEE10hipError_tPvRmT1_T2_T3_mT4_P12ihipStream_tbEUlT_E1_NS1_11comp_targetILNS1_3genE2ELNS1_11target_archE906ELNS1_3gpuE6ELNS1_3repE0EEENS1_30default_config_static_selectorELNS0_4arch9wavefront6targetE1EEEvS19_,"axG",@progbits,_ZN7rocprim17ROCPRIM_400000_NS6detail17trampoline_kernelINS0_14default_configENS1_22reduce_config_selectorIN6thrust23THRUST_200600_302600_NS5tupleIblNS6_9null_typeES8_S8_S8_S8_S8_S8_S8_EEEEZNS1_11reduce_implILb1ES3_NS6_12zip_iteratorINS7_INS6_11hip_rocprim26transform_input_iterator_tIbPN3c108BFloat16ENS6_6detail10functional5actorINSJ_9compositeIJNSJ_27transparent_binary_operatorINS6_8equal_toIvEEEENSK_INSJ_8argumentILj0EEEEENSJ_5valueISG_EEEEEEEEENSD_19counting_iterator_tIlEES8_S8_S8_S8_S8_S8_S8_S8_EEEEPS9_S9_NSD_9__find_if7functorIS9_EEEE10hipError_tPvRmT1_T2_T3_mT4_P12ihipStream_tbEUlT_E1_NS1_11comp_targetILNS1_3genE2ELNS1_11target_archE906ELNS1_3gpuE6ELNS1_3repE0EEENS1_30default_config_static_selectorELNS0_4arch9wavefront6targetE1EEEvS19_,comdat
.Lfunc_end2101:
	.size	_ZN7rocprim17ROCPRIM_400000_NS6detail17trampoline_kernelINS0_14default_configENS1_22reduce_config_selectorIN6thrust23THRUST_200600_302600_NS5tupleIblNS6_9null_typeES8_S8_S8_S8_S8_S8_S8_EEEEZNS1_11reduce_implILb1ES3_NS6_12zip_iteratorINS7_INS6_11hip_rocprim26transform_input_iterator_tIbPN3c108BFloat16ENS6_6detail10functional5actorINSJ_9compositeIJNSJ_27transparent_binary_operatorINS6_8equal_toIvEEEENSK_INSJ_8argumentILj0EEEEENSJ_5valueISG_EEEEEEEEENSD_19counting_iterator_tIlEES8_S8_S8_S8_S8_S8_S8_S8_EEEEPS9_S9_NSD_9__find_if7functorIS9_EEEE10hipError_tPvRmT1_T2_T3_mT4_P12ihipStream_tbEUlT_E1_NS1_11comp_targetILNS1_3genE2ELNS1_11target_archE906ELNS1_3gpuE6ELNS1_3repE0EEENS1_30default_config_static_selectorELNS0_4arch9wavefront6targetE1EEEvS19_, .Lfunc_end2101-_ZN7rocprim17ROCPRIM_400000_NS6detail17trampoline_kernelINS0_14default_configENS1_22reduce_config_selectorIN6thrust23THRUST_200600_302600_NS5tupleIblNS6_9null_typeES8_S8_S8_S8_S8_S8_S8_EEEEZNS1_11reduce_implILb1ES3_NS6_12zip_iteratorINS7_INS6_11hip_rocprim26transform_input_iterator_tIbPN3c108BFloat16ENS6_6detail10functional5actorINSJ_9compositeIJNSJ_27transparent_binary_operatorINS6_8equal_toIvEEEENSK_INSJ_8argumentILj0EEEEENSJ_5valueISG_EEEEEEEEENSD_19counting_iterator_tIlEES8_S8_S8_S8_S8_S8_S8_S8_EEEEPS9_S9_NSD_9__find_if7functorIS9_EEEE10hipError_tPvRmT1_T2_T3_mT4_P12ihipStream_tbEUlT_E1_NS1_11comp_targetILNS1_3genE2ELNS1_11target_archE906ELNS1_3gpuE6ELNS1_3repE0EEENS1_30default_config_static_selectorELNS0_4arch9wavefront6targetE1EEEvS19_
                                        ; -- End function
	.set _ZN7rocprim17ROCPRIM_400000_NS6detail17trampoline_kernelINS0_14default_configENS1_22reduce_config_selectorIN6thrust23THRUST_200600_302600_NS5tupleIblNS6_9null_typeES8_S8_S8_S8_S8_S8_S8_EEEEZNS1_11reduce_implILb1ES3_NS6_12zip_iteratorINS7_INS6_11hip_rocprim26transform_input_iterator_tIbPN3c108BFloat16ENS6_6detail10functional5actorINSJ_9compositeIJNSJ_27transparent_binary_operatorINS6_8equal_toIvEEEENSK_INSJ_8argumentILj0EEEEENSJ_5valueISG_EEEEEEEEENSD_19counting_iterator_tIlEES8_S8_S8_S8_S8_S8_S8_S8_EEEEPS9_S9_NSD_9__find_if7functorIS9_EEEE10hipError_tPvRmT1_T2_T3_mT4_P12ihipStream_tbEUlT_E1_NS1_11comp_targetILNS1_3genE2ELNS1_11target_archE906ELNS1_3gpuE6ELNS1_3repE0EEENS1_30default_config_static_selectorELNS0_4arch9wavefront6targetE1EEEvS19_.num_vgpr, 26
	.set _ZN7rocprim17ROCPRIM_400000_NS6detail17trampoline_kernelINS0_14default_configENS1_22reduce_config_selectorIN6thrust23THRUST_200600_302600_NS5tupleIblNS6_9null_typeES8_S8_S8_S8_S8_S8_S8_EEEEZNS1_11reduce_implILb1ES3_NS6_12zip_iteratorINS7_INS6_11hip_rocprim26transform_input_iterator_tIbPN3c108BFloat16ENS6_6detail10functional5actorINSJ_9compositeIJNSJ_27transparent_binary_operatorINS6_8equal_toIvEEEENSK_INSJ_8argumentILj0EEEEENSJ_5valueISG_EEEEEEEEENSD_19counting_iterator_tIlEES8_S8_S8_S8_S8_S8_S8_S8_EEEEPS9_S9_NSD_9__find_if7functorIS9_EEEE10hipError_tPvRmT1_T2_T3_mT4_P12ihipStream_tbEUlT_E1_NS1_11comp_targetILNS1_3genE2ELNS1_11target_archE906ELNS1_3gpuE6ELNS1_3repE0EEENS1_30default_config_static_selectorELNS0_4arch9wavefront6targetE1EEEvS19_.num_agpr, 0
	.set _ZN7rocprim17ROCPRIM_400000_NS6detail17trampoline_kernelINS0_14default_configENS1_22reduce_config_selectorIN6thrust23THRUST_200600_302600_NS5tupleIblNS6_9null_typeES8_S8_S8_S8_S8_S8_S8_EEEEZNS1_11reduce_implILb1ES3_NS6_12zip_iteratorINS7_INS6_11hip_rocprim26transform_input_iterator_tIbPN3c108BFloat16ENS6_6detail10functional5actorINSJ_9compositeIJNSJ_27transparent_binary_operatorINS6_8equal_toIvEEEENSK_INSJ_8argumentILj0EEEEENSJ_5valueISG_EEEEEEEEENSD_19counting_iterator_tIlEES8_S8_S8_S8_S8_S8_S8_S8_EEEEPS9_S9_NSD_9__find_if7functorIS9_EEEE10hipError_tPvRmT1_T2_T3_mT4_P12ihipStream_tbEUlT_E1_NS1_11comp_targetILNS1_3genE2ELNS1_11target_archE906ELNS1_3gpuE6ELNS1_3repE0EEENS1_30default_config_static_selectorELNS0_4arch9wavefront6targetE1EEEvS19_.numbered_sgpr, 40
	.set _ZN7rocprim17ROCPRIM_400000_NS6detail17trampoline_kernelINS0_14default_configENS1_22reduce_config_selectorIN6thrust23THRUST_200600_302600_NS5tupleIblNS6_9null_typeES8_S8_S8_S8_S8_S8_S8_EEEEZNS1_11reduce_implILb1ES3_NS6_12zip_iteratorINS7_INS6_11hip_rocprim26transform_input_iterator_tIbPN3c108BFloat16ENS6_6detail10functional5actorINSJ_9compositeIJNSJ_27transparent_binary_operatorINS6_8equal_toIvEEEENSK_INSJ_8argumentILj0EEEEENSJ_5valueISG_EEEEEEEEENSD_19counting_iterator_tIlEES8_S8_S8_S8_S8_S8_S8_S8_EEEEPS9_S9_NSD_9__find_if7functorIS9_EEEE10hipError_tPvRmT1_T2_T3_mT4_P12ihipStream_tbEUlT_E1_NS1_11comp_targetILNS1_3genE2ELNS1_11target_archE906ELNS1_3gpuE6ELNS1_3repE0EEENS1_30default_config_static_selectorELNS0_4arch9wavefront6targetE1EEEvS19_.num_named_barrier, 0
	.set _ZN7rocprim17ROCPRIM_400000_NS6detail17trampoline_kernelINS0_14default_configENS1_22reduce_config_selectorIN6thrust23THRUST_200600_302600_NS5tupleIblNS6_9null_typeES8_S8_S8_S8_S8_S8_S8_EEEEZNS1_11reduce_implILb1ES3_NS6_12zip_iteratorINS7_INS6_11hip_rocprim26transform_input_iterator_tIbPN3c108BFloat16ENS6_6detail10functional5actorINSJ_9compositeIJNSJ_27transparent_binary_operatorINS6_8equal_toIvEEEENSK_INSJ_8argumentILj0EEEEENSJ_5valueISG_EEEEEEEEENSD_19counting_iterator_tIlEES8_S8_S8_S8_S8_S8_S8_S8_EEEEPS9_S9_NSD_9__find_if7functorIS9_EEEE10hipError_tPvRmT1_T2_T3_mT4_P12ihipStream_tbEUlT_E1_NS1_11comp_targetILNS1_3genE2ELNS1_11target_archE906ELNS1_3gpuE6ELNS1_3repE0EEENS1_30default_config_static_selectorELNS0_4arch9wavefront6targetE1EEEvS19_.private_seg_size, 0
	.set _ZN7rocprim17ROCPRIM_400000_NS6detail17trampoline_kernelINS0_14default_configENS1_22reduce_config_selectorIN6thrust23THRUST_200600_302600_NS5tupleIblNS6_9null_typeES8_S8_S8_S8_S8_S8_S8_EEEEZNS1_11reduce_implILb1ES3_NS6_12zip_iteratorINS7_INS6_11hip_rocprim26transform_input_iterator_tIbPN3c108BFloat16ENS6_6detail10functional5actorINSJ_9compositeIJNSJ_27transparent_binary_operatorINS6_8equal_toIvEEEENSK_INSJ_8argumentILj0EEEEENSJ_5valueISG_EEEEEEEEENSD_19counting_iterator_tIlEES8_S8_S8_S8_S8_S8_S8_S8_EEEEPS9_S9_NSD_9__find_if7functorIS9_EEEE10hipError_tPvRmT1_T2_T3_mT4_P12ihipStream_tbEUlT_E1_NS1_11comp_targetILNS1_3genE2ELNS1_11target_archE906ELNS1_3gpuE6ELNS1_3repE0EEENS1_30default_config_static_selectorELNS0_4arch9wavefront6targetE1EEEvS19_.uses_vcc, 1
	.set _ZN7rocprim17ROCPRIM_400000_NS6detail17trampoline_kernelINS0_14default_configENS1_22reduce_config_selectorIN6thrust23THRUST_200600_302600_NS5tupleIblNS6_9null_typeES8_S8_S8_S8_S8_S8_S8_EEEEZNS1_11reduce_implILb1ES3_NS6_12zip_iteratorINS7_INS6_11hip_rocprim26transform_input_iterator_tIbPN3c108BFloat16ENS6_6detail10functional5actorINSJ_9compositeIJNSJ_27transparent_binary_operatorINS6_8equal_toIvEEEENSK_INSJ_8argumentILj0EEEEENSJ_5valueISG_EEEEEEEEENSD_19counting_iterator_tIlEES8_S8_S8_S8_S8_S8_S8_S8_EEEEPS9_S9_NSD_9__find_if7functorIS9_EEEE10hipError_tPvRmT1_T2_T3_mT4_P12ihipStream_tbEUlT_E1_NS1_11comp_targetILNS1_3genE2ELNS1_11target_archE906ELNS1_3gpuE6ELNS1_3repE0EEENS1_30default_config_static_selectorELNS0_4arch9wavefront6targetE1EEEvS19_.uses_flat_scratch, 0
	.set _ZN7rocprim17ROCPRIM_400000_NS6detail17trampoline_kernelINS0_14default_configENS1_22reduce_config_selectorIN6thrust23THRUST_200600_302600_NS5tupleIblNS6_9null_typeES8_S8_S8_S8_S8_S8_S8_EEEEZNS1_11reduce_implILb1ES3_NS6_12zip_iteratorINS7_INS6_11hip_rocprim26transform_input_iterator_tIbPN3c108BFloat16ENS6_6detail10functional5actorINSJ_9compositeIJNSJ_27transparent_binary_operatorINS6_8equal_toIvEEEENSK_INSJ_8argumentILj0EEEEENSJ_5valueISG_EEEEEEEEENSD_19counting_iterator_tIlEES8_S8_S8_S8_S8_S8_S8_S8_EEEEPS9_S9_NSD_9__find_if7functorIS9_EEEE10hipError_tPvRmT1_T2_T3_mT4_P12ihipStream_tbEUlT_E1_NS1_11comp_targetILNS1_3genE2ELNS1_11target_archE906ELNS1_3gpuE6ELNS1_3repE0EEENS1_30default_config_static_selectorELNS0_4arch9wavefront6targetE1EEEvS19_.has_dyn_sized_stack, 0
	.set _ZN7rocprim17ROCPRIM_400000_NS6detail17trampoline_kernelINS0_14default_configENS1_22reduce_config_selectorIN6thrust23THRUST_200600_302600_NS5tupleIblNS6_9null_typeES8_S8_S8_S8_S8_S8_S8_EEEEZNS1_11reduce_implILb1ES3_NS6_12zip_iteratorINS7_INS6_11hip_rocprim26transform_input_iterator_tIbPN3c108BFloat16ENS6_6detail10functional5actorINSJ_9compositeIJNSJ_27transparent_binary_operatorINS6_8equal_toIvEEEENSK_INSJ_8argumentILj0EEEEENSJ_5valueISG_EEEEEEEEENSD_19counting_iterator_tIlEES8_S8_S8_S8_S8_S8_S8_S8_EEEEPS9_S9_NSD_9__find_if7functorIS9_EEEE10hipError_tPvRmT1_T2_T3_mT4_P12ihipStream_tbEUlT_E1_NS1_11comp_targetILNS1_3genE2ELNS1_11target_archE906ELNS1_3gpuE6ELNS1_3repE0EEENS1_30default_config_static_selectorELNS0_4arch9wavefront6targetE1EEEvS19_.has_recursion, 0
	.set _ZN7rocprim17ROCPRIM_400000_NS6detail17trampoline_kernelINS0_14default_configENS1_22reduce_config_selectorIN6thrust23THRUST_200600_302600_NS5tupleIblNS6_9null_typeES8_S8_S8_S8_S8_S8_S8_EEEEZNS1_11reduce_implILb1ES3_NS6_12zip_iteratorINS7_INS6_11hip_rocprim26transform_input_iterator_tIbPN3c108BFloat16ENS6_6detail10functional5actorINSJ_9compositeIJNSJ_27transparent_binary_operatorINS6_8equal_toIvEEEENSK_INSJ_8argumentILj0EEEEENSJ_5valueISG_EEEEEEEEENSD_19counting_iterator_tIlEES8_S8_S8_S8_S8_S8_S8_S8_EEEEPS9_S9_NSD_9__find_if7functorIS9_EEEE10hipError_tPvRmT1_T2_T3_mT4_P12ihipStream_tbEUlT_E1_NS1_11comp_targetILNS1_3genE2ELNS1_11target_archE906ELNS1_3gpuE6ELNS1_3repE0EEENS1_30default_config_static_selectorELNS0_4arch9wavefront6targetE1EEEvS19_.has_indirect_call, 0
	.section	.AMDGPU.csdata,"",@progbits
; Kernel info:
; codeLenInByte = 12988
; TotalNumSgprs: 44
; NumVgprs: 26
; ScratchSize: 0
; MemoryBound: 0
; FloatMode: 240
; IeeeMode: 1
; LDSByteSize: 160 bytes/workgroup (compile time only)
; SGPRBlocks: 5
; VGPRBlocks: 6
; NumSGPRsForWavesPerEU: 44
; NumVGPRsForWavesPerEU: 26
; Occupancy: 9
; WaveLimiterHint : 1
; COMPUTE_PGM_RSRC2:SCRATCH_EN: 0
; COMPUTE_PGM_RSRC2:USER_SGPR: 6
; COMPUTE_PGM_RSRC2:TRAP_HANDLER: 0
; COMPUTE_PGM_RSRC2:TGID_X_EN: 1
; COMPUTE_PGM_RSRC2:TGID_Y_EN: 0
; COMPUTE_PGM_RSRC2:TGID_Z_EN: 0
; COMPUTE_PGM_RSRC2:TIDIG_COMP_CNT: 0
	.section	.text._ZN7rocprim17ROCPRIM_400000_NS6detail17trampoline_kernelINS0_14default_configENS1_22reduce_config_selectorIN6thrust23THRUST_200600_302600_NS5tupleIblNS6_9null_typeES8_S8_S8_S8_S8_S8_S8_EEEEZNS1_11reduce_implILb1ES3_NS6_12zip_iteratorINS7_INS6_11hip_rocprim26transform_input_iterator_tIbPN3c108BFloat16ENS6_6detail10functional5actorINSJ_9compositeIJNSJ_27transparent_binary_operatorINS6_8equal_toIvEEEENSK_INSJ_8argumentILj0EEEEENSJ_5valueISG_EEEEEEEEENSD_19counting_iterator_tIlEES8_S8_S8_S8_S8_S8_S8_S8_EEEEPS9_S9_NSD_9__find_if7functorIS9_EEEE10hipError_tPvRmT1_T2_T3_mT4_P12ihipStream_tbEUlT_E1_NS1_11comp_targetILNS1_3genE10ELNS1_11target_archE1201ELNS1_3gpuE5ELNS1_3repE0EEENS1_30default_config_static_selectorELNS0_4arch9wavefront6targetE1EEEvS19_,"axG",@progbits,_ZN7rocprim17ROCPRIM_400000_NS6detail17trampoline_kernelINS0_14default_configENS1_22reduce_config_selectorIN6thrust23THRUST_200600_302600_NS5tupleIblNS6_9null_typeES8_S8_S8_S8_S8_S8_S8_EEEEZNS1_11reduce_implILb1ES3_NS6_12zip_iteratorINS7_INS6_11hip_rocprim26transform_input_iterator_tIbPN3c108BFloat16ENS6_6detail10functional5actorINSJ_9compositeIJNSJ_27transparent_binary_operatorINS6_8equal_toIvEEEENSK_INSJ_8argumentILj0EEEEENSJ_5valueISG_EEEEEEEEENSD_19counting_iterator_tIlEES8_S8_S8_S8_S8_S8_S8_S8_EEEEPS9_S9_NSD_9__find_if7functorIS9_EEEE10hipError_tPvRmT1_T2_T3_mT4_P12ihipStream_tbEUlT_E1_NS1_11comp_targetILNS1_3genE10ELNS1_11target_archE1201ELNS1_3gpuE5ELNS1_3repE0EEENS1_30default_config_static_selectorELNS0_4arch9wavefront6targetE1EEEvS19_,comdat
	.protected	_ZN7rocprim17ROCPRIM_400000_NS6detail17trampoline_kernelINS0_14default_configENS1_22reduce_config_selectorIN6thrust23THRUST_200600_302600_NS5tupleIblNS6_9null_typeES8_S8_S8_S8_S8_S8_S8_EEEEZNS1_11reduce_implILb1ES3_NS6_12zip_iteratorINS7_INS6_11hip_rocprim26transform_input_iterator_tIbPN3c108BFloat16ENS6_6detail10functional5actorINSJ_9compositeIJNSJ_27transparent_binary_operatorINS6_8equal_toIvEEEENSK_INSJ_8argumentILj0EEEEENSJ_5valueISG_EEEEEEEEENSD_19counting_iterator_tIlEES8_S8_S8_S8_S8_S8_S8_S8_EEEEPS9_S9_NSD_9__find_if7functorIS9_EEEE10hipError_tPvRmT1_T2_T3_mT4_P12ihipStream_tbEUlT_E1_NS1_11comp_targetILNS1_3genE10ELNS1_11target_archE1201ELNS1_3gpuE5ELNS1_3repE0EEENS1_30default_config_static_selectorELNS0_4arch9wavefront6targetE1EEEvS19_ ; -- Begin function _ZN7rocprim17ROCPRIM_400000_NS6detail17trampoline_kernelINS0_14default_configENS1_22reduce_config_selectorIN6thrust23THRUST_200600_302600_NS5tupleIblNS6_9null_typeES8_S8_S8_S8_S8_S8_S8_EEEEZNS1_11reduce_implILb1ES3_NS6_12zip_iteratorINS7_INS6_11hip_rocprim26transform_input_iterator_tIbPN3c108BFloat16ENS6_6detail10functional5actorINSJ_9compositeIJNSJ_27transparent_binary_operatorINS6_8equal_toIvEEEENSK_INSJ_8argumentILj0EEEEENSJ_5valueISG_EEEEEEEEENSD_19counting_iterator_tIlEES8_S8_S8_S8_S8_S8_S8_S8_EEEEPS9_S9_NSD_9__find_if7functorIS9_EEEE10hipError_tPvRmT1_T2_T3_mT4_P12ihipStream_tbEUlT_E1_NS1_11comp_targetILNS1_3genE10ELNS1_11target_archE1201ELNS1_3gpuE5ELNS1_3repE0EEENS1_30default_config_static_selectorELNS0_4arch9wavefront6targetE1EEEvS19_
	.globl	_ZN7rocprim17ROCPRIM_400000_NS6detail17trampoline_kernelINS0_14default_configENS1_22reduce_config_selectorIN6thrust23THRUST_200600_302600_NS5tupleIblNS6_9null_typeES8_S8_S8_S8_S8_S8_S8_EEEEZNS1_11reduce_implILb1ES3_NS6_12zip_iteratorINS7_INS6_11hip_rocprim26transform_input_iterator_tIbPN3c108BFloat16ENS6_6detail10functional5actorINSJ_9compositeIJNSJ_27transparent_binary_operatorINS6_8equal_toIvEEEENSK_INSJ_8argumentILj0EEEEENSJ_5valueISG_EEEEEEEEENSD_19counting_iterator_tIlEES8_S8_S8_S8_S8_S8_S8_S8_EEEEPS9_S9_NSD_9__find_if7functorIS9_EEEE10hipError_tPvRmT1_T2_T3_mT4_P12ihipStream_tbEUlT_E1_NS1_11comp_targetILNS1_3genE10ELNS1_11target_archE1201ELNS1_3gpuE5ELNS1_3repE0EEENS1_30default_config_static_selectorELNS0_4arch9wavefront6targetE1EEEvS19_
	.p2align	8
	.type	_ZN7rocprim17ROCPRIM_400000_NS6detail17trampoline_kernelINS0_14default_configENS1_22reduce_config_selectorIN6thrust23THRUST_200600_302600_NS5tupleIblNS6_9null_typeES8_S8_S8_S8_S8_S8_S8_EEEEZNS1_11reduce_implILb1ES3_NS6_12zip_iteratorINS7_INS6_11hip_rocprim26transform_input_iterator_tIbPN3c108BFloat16ENS6_6detail10functional5actorINSJ_9compositeIJNSJ_27transparent_binary_operatorINS6_8equal_toIvEEEENSK_INSJ_8argumentILj0EEEEENSJ_5valueISG_EEEEEEEEENSD_19counting_iterator_tIlEES8_S8_S8_S8_S8_S8_S8_S8_EEEEPS9_S9_NSD_9__find_if7functorIS9_EEEE10hipError_tPvRmT1_T2_T3_mT4_P12ihipStream_tbEUlT_E1_NS1_11comp_targetILNS1_3genE10ELNS1_11target_archE1201ELNS1_3gpuE5ELNS1_3repE0EEENS1_30default_config_static_selectorELNS0_4arch9wavefront6targetE1EEEvS19_,@function
_ZN7rocprim17ROCPRIM_400000_NS6detail17trampoline_kernelINS0_14default_configENS1_22reduce_config_selectorIN6thrust23THRUST_200600_302600_NS5tupleIblNS6_9null_typeES8_S8_S8_S8_S8_S8_S8_EEEEZNS1_11reduce_implILb1ES3_NS6_12zip_iteratorINS7_INS6_11hip_rocprim26transform_input_iterator_tIbPN3c108BFloat16ENS6_6detail10functional5actorINSJ_9compositeIJNSJ_27transparent_binary_operatorINS6_8equal_toIvEEEENSK_INSJ_8argumentILj0EEEEENSJ_5valueISG_EEEEEEEEENSD_19counting_iterator_tIlEES8_S8_S8_S8_S8_S8_S8_S8_EEEEPS9_S9_NSD_9__find_if7functorIS9_EEEE10hipError_tPvRmT1_T2_T3_mT4_P12ihipStream_tbEUlT_E1_NS1_11comp_targetILNS1_3genE10ELNS1_11target_archE1201ELNS1_3gpuE5ELNS1_3repE0EEENS1_30default_config_static_selectorELNS0_4arch9wavefront6targetE1EEEvS19_: ; @_ZN7rocprim17ROCPRIM_400000_NS6detail17trampoline_kernelINS0_14default_configENS1_22reduce_config_selectorIN6thrust23THRUST_200600_302600_NS5tupleIblNS6_9null_typeES8_S8_S8_S8_S8_S8_S8_EEEEZNS1_11reduce_implILb1ES3_NS6_12zip_iteratorINS7_INS6_11hip_rocprim26transform_input_iterator_tIbPN3c108BFloat16ENS6_6detail10functional5actorINSJ_9compositeIJNSJ_27transparent_binary_operatorINS6_8equal_toIvEEEENSK_INSJ_8argumentILj0EEEEENSJ_5valueISG_EEEEEEEEENSD_19counting_iterator_tIlEES8_S8_S8_S8_S8_S8_S8_S8_EEEEPS9_S9_NSD_9__find_if7functorIS9_EEEE10hipError_tPvRmT1_T2_T3_mT4_P12ihipStream_tbEUlT_E1_NS1_11comp_targetILNS1_3genE10ELNS1_11target_archE1201ELNS1_3gpuE5ELNS1_3repE0EEENS1_30default_config_static_selectorELNS0_4arch9wavefront6targetE1EEEvS19_
; %bb.0:
	.section	.rodata,"a",@progbits
	.p2align	6, 0x0
	.amdhsa_kernel _ZN7rocprim17ROCPRIM_400000_NS6detail17trampoline_kernelINS0_14default_configENS1_22reduce_config_selectorIN6thrust23THRUST_200600_302600_NS5tupleIblNS6_9null_typeES8_S8_S8_S8_S8_S8_S8_EEEEZNS1_11reduce_implILb1ES3_NS6_12zip_iteratorINS7_INS6_11hip_rocprim26transform_input_iterator_tIbPN3c108BFloat16ENS6_6detail10functional5actorINSJ_9compositeIJNSJ_27transparent_binary_operatorINS6_8equal_toIvEEEENSK_INSJ_8argumentILj0EEEEENSJ_5valueISG_EEEEEEEEENSD_19counting_iterator_tIlEES8_S8_S8_S8_S8_S8_S8_S8_EEEEPS9_S9_NSD_9__find_if7functorIS9_EEEE10hipError_tPvRmT1_T2_T3_mT4_P12ihipStream_tbEUlT_E1_NS1_11comp_targetILNS1_3genE10ELNS1_11target_archE1201ELNS1_3gpuE5ELNS1_3repE0EEENS1_30default_config_static_selectorELNS0_4arch9wavefront6targetE1EEEvS19_
		.amdhsa_group_segment_fixed_size 0
		.amdhsa_private_segment_fixed_size 0
		.amdhsa_kernarg_size 72
		.amdhsa_user_sgpr_count 6
		.amdhsa_user_sgpr_private_segment_buffer 1
		.amdhsa_user_sgpr_dispatch_ptr 0
		.amdhsa_user_sgpr_queue_ptr 0
		.amdhsa_user_sgpr_kernarg_segment_ptr 1
		.amdhsa_user_sgpr_dispatch_id 0
		.amdhsa_user_sgpr_flat_scratch_init 0
		.amdhsa_user_sgpr_private_segment_size 0
		.amdhsa_uses_dynamic_stack 0
		.amdhsa_system_sgpr_private_segment_wavefront_offset 0
		.amdhsa_system_sgpr_workgroup_id_x 1
		.amdhsa_system_sgpr_workgroup_id_y 0
		.amdhsa_system_sgpr_workgroup_id_z 0
		.amdhsa_system_sgpr_workgroup_info 0
		.amdhsa_system_vgpr_workitem_id 0
		.amdhsa_next_free_vgpr 1
		.amdhsa_next_free_sgpr 0
		.amdhsa_reserve_vcc 0
		.amdhsa_reserve_flat_scratch 0
		.amdhsa_float_round_mode_32 0
		.amdhsa_float_round_mode_16_64 0
		.amdhsa_float_denorm_mode_32 3
		.amdhsa_float_denorm_mode_16_64 3
		.amdhsa_dx10_clamp 1
		.amdhsa_ieee_mode 1
		.amdhsa_fp16_overflow 0
		.amdhsa_exception_fp_ieee_invalid_op 0
		.amdhsa_exception_fp_denorm_src 0
		.amdhsa_exception_fp_ieee_div_zero 0
		.amdhsa_exception_fp_ieee_overflow 0
		.amdhsa_exception_fp_ieee_underflow 0
		.amdhsa_exception_fp_ieee_inexact 0
		.amdhsa_exception_int_div_zero 0
	.end_amdhsa_kernel
	.section	.text._ZN7rocprim17ROCPRIM_400000_NS6detail17trampoline_kernelINS0_14default_configENS1_22reduce_config_selectorIN6thrust23THRUST_200600_302600_NS5tupleIblNS6_9null_typeES8_S8_S8_S8_S8_S8_S8_EEEEZNS1_11reduce_implILb1ES3_NS6_12zip_iteratorINS7_INS6_11hip_rocprim26transform_input_iterator_tIbPN3c108BFloat16ENS6_6detail10functional5actorINSJ_9compositeIJNSJ_27transparent_binary_operatorINS6_8equal_toIvEEEENSK_INSJ_8argumentILj0EEEEENSJ_5valueISG_EEEEEEEEENSD_19counting_iterator_tIlEES8_S8_S8_S8_S8_S8_S8_S8_EEEEPS9_S9_NSD_9__find_if7functorIS9_EEEE10hipError_tPvRmT1_T2_T3_mT4_P12ihipStream_tbEUlT_E1_NS1_11comp_targetILNS1_3genE10ELNS1_11target_archE1201ELNS1_3gpuE5ELNS1_3repE0EEENS1_30default_config_static_selectorELNS0_4arch9wavefront6targetE1EEEvS19_,"axG",@progbits,_ZN7rocprim17ROCPRIM_400000_NS6detail17trampoline_kernelINS0_14default_configENS1_22reduce_config_selectorIN6thrust23THRUST_200600_302600_NS5tupleIblNS6_9null_typeES8_S8_S8_S8_S8_S8_S8_EEEEZNS1_11reduce_implILb1ES3_NS6_12zip_iteratorINS7_INS6_11hip_rocprim26transform_input_iterator_tIbPN3c108BFloat16ENS6_6detail10functional5actorINSJ_9compositeIJNSJ_27transparent_binary_operatorINS6_8equal_toIvEEEENSK_INSJ_8argumentILj0EEEEENSJ_5valueISG_EEEEEEEEENSD_19counting_iterator_tIlEES8_S8_S8_S8_S8_S8_S8_S8_EEEEPS9_S9_NSD_9__find_if7functorIS9_EEEE10hipError_tPvRmT1_T2_T3_mT4_P12ihipStream_tbEUlT_E1_NS1_11comp_targetILNS1_3genE10ELNS1_11target_archE1201ELNS1_3gpuE5ELNS1_3repE0EEENS1_30default_config_static_selectorELNS0_4arch9wavefront6targetE1EEEvS19_,comdat
.Lfunc_end2102:
	.size	_ZN7rocprim17ROCPRIM_400000_NS6detail17trampoline_kernelINS0_14default_configENS1_22reduce_config_selectorIN6thrust23THRUST_200600_302600_NS5tupleIblNS6_9null_typeES8_S8_S8_S8_S8_S8_S8_EEEEZNS1_11reduce_implILb1ES3_NS6_12zip_iteratorINS7_INS6_11hip_rocprim26transform_input_iterator_tIbPN3c108BFloat16ENS6_6detail10functional5actorINSJ_9compositeIJNSJ_27transparent_binary_operatorINS6_8equal_toIvEEEENSK_INSJ_8argumentILj0EEEEENSJ_5valueISG_EEEEEEEEENSD_19counting_iterator_tIlEES8_S8_S8_S8_S8_S8_S8_S8_EEEEPS9_S9_NSD_9__find_if7functorIS9_EEEE10hipError_tPvRmT1_T2_T3_mT4_P12ihipStream_tbEUlT_E1_NS1_11comp_targetILNS1_3genE10ELNS1_11target_archE1201ELNS1_3gpuE5ELNS1_3repE0EEENS1_30default_config_static_selectorELNS0_4arch9wavefront6targetE1EEEvS19_, .Lfunc_end2102-_ZN7rocprim17ROCPRIM_400000_NS6detail17trampoline_kernelINS0_14default_configENS1_22reduce_config_selectorIN6thrust23THRUST_200600_302600_NS5tupleIblNS6_9null_typeES8_S8_S8_S8_S8_S8_S8_EEEEZNS1_11reduce_implILb1ES3_NS6_12zip_iteratorINS7_INS6_11hip_rocprim26transform_input_iterator_tIbPN3c108BFloat16ENS6_6detail10functional5actorINSJ_9compositeIJNSJ_27transparent_binary_operatorINS6_8equal_toIvEEEENSK_INSJ_8argumentILj0EEEEENSJ_5valueISG_EEEEEEEEENSD_19counting_iterator_tIlEES8_S8_S8_S8_S8_S8_S8_S8_EEEEPS9_S9_NSD_9__find_if7functorIS9_EEEE10hipError_tPvRmT1_T2_T3_mT4_P12ihipStream_tbEUlT_E1_NS1_11comp_targetILNS1_3genE10ELNS1_11target_archE1201ELNS1_3gpuE5ELNS1_3repE0EEENS1_30default_config_static_selectorELNS0_4arch9wavefront6targetE1EEEvS19_
                                        ; -- End function
	.set _ZN7rocprim17ROCPRIM_400000_NS6detail17trampoline_kernelINS0_14default_configENS1_22reduce_config_selectorIN6thrust23THRUST_200600_302600_NS5tupleIblNS6_9null_typeES8_S8_S8_S8_S8_S8_S8_EEEEZNS1_11reduce_implILb1ES3_NS6_12zip_iteratorINS7_INS6_11hip_rocprim26transform_input_iterator_tIbPN3c108BFloat16ENS6_6detail10functional5actorINSJ_9compositeIJNSJ_27transparent_binary_operatorINS6_8equal_toIvEEEENSK_INSJ_8argumentILj0EEEEENSJ_5valueISG_EEEEEEEEENSD_19counting_iterator_tIlEES8_S8_S8_S8_S8_S8_S8_S8_EEEEPS9_S9_NSD_9__find_if7functorIS9_EEEE10hipError_tPvRmT1_T2_T3_mT4_P12ihipStream_tbEUlT_E1_NS1_11comp_targetILNS1_3genE10ELNS1_11target_archE1201ELNS1_3gpuE5ELNS1_3repE0EEENS1_30default_config_static_selectorELNS0_4arch9wavefront6targetE1EEEvS19_.num_vgpr, 0
	.set _ZN7rocprim17ROCPRIM_400000_NS6detail17trampoline_kernelINS0_14default_configENS1_22reduce_config_selectorIN6thrust23THRUST_200600_302600_NS5tupleIblNS6_9null_typeES8_S8_S8_S8_S8_S8_S8_EEEEZNS1_11reduce_implILb1ES3_NS6_12zip_iteratorINS7_INS6_11hip_rocprim26transform_input_iterator_tIbPN3c108BFloat16ENS6_6detail10functional5actorINSJ_9compositeIJNSJ_27transparent_binary_operatorINS6_8equal_toIvEEEENSK_INSJ_8argumentILj0EEEEENSJ_5valueISG_EEEEEEEEENSD_19counting_iterator_tIlEES8_S8_S8_S8_S8_S8_S8_S8_EEEEPS9_S9_NSD_9__find_if7functorIS9_EEEE10hipError_tPvRmT1_T2_T3_mT4_P12ihipStream_tbEUlT_E1_NS1_11comp_targetILNS1_3genE10ELNS1_11target_archE1201ELNS1_3gpuE5ELNS1_3repE0EEENS1_30default_config_static_selectorELNS0_4arch9wavefront6targetE1EEEvS19_.num_agpr, 0
	.set _ZN7rocprim17ROCPRIM_400000_NS6detail17trampoline_kernelINS0_14default_configENS1_22reduce_config_selectorIN6thrust23THRUST_200600_302600_NS5tupleIblNS6_9null_typeES8_S8_S8_S8_S8_S8_S8_EEEEZNS1_11reduce_implILb1ES3_NS6_12zip_iteratorINS7_INS6_11hip_rocprim26transform_input_iterator_tIbPN3c108BFloat16ENS6_6detail10functional5actorINSJ_9compositeIJNSJ_27transparent_binary_operatorINS6_8equal_toIvEEEENSK_INSJ_8argumentILj0EEEEENSJ_5valueISG_EEEEEEEEENSD_19counting_iterator_tIlEES8_S8_S8_S8_S8_S8_S8_S8_EEEEPS9_S9_NSD_9__find_if7functorIS9_EEEE10hipError_tPvRmT1_T2_T3_mT4_P12ihipStream_tbEUlT_E1_NS1_11comp_targetILNS1_3genE10ELNS1_11target_archE1201ELNS1_3gpuE5ELNS1_3repE0EEENS1_30default_config_static_selectorELNS0_4arch9wavefront6targetE1EEEvS19_.numbered_sgpr, 0
	.set _ZN7rocprim17ROCPRIM_400000_NS6detail17trampoline_kernelINS0_14default_configENS1_22reduce_config_selectorIN6thrust23THRUST_200600_302600_NS5tupleIblNS6_9null_typeES8_S8_S8_S8_S8_S8_S8_EEEEZNS1_11reduce_implILb1ES3_NS6_12zip_iteratorINS7_INS6_11hip_rocprim26transform_input_iterator_tIbPN3c108BFloat16ENS6_6detail10functional5actorINSJ_9compositeIJNSJ_27transparent_binary_operatorINS6_8equal_toIvEEEENSK_INSJ_8argumentILj0EEEEENSJ_5valueISG_EEEEEEEEENSD_19counting_iterator_tIlEES8_S8_S8_S8_S8_S8_S8_S8_EEEEPS9_S9_NSD_9__find_if7functorIS9_EEEE10hipError_tPvRmT1_T2_T3_mT4_P12ihipStream_tbEUlT_E1_NS1_11comp_targetILNS1_3genE10ELNS1_11target_archE1201ELNS1_3gpuE5ELNS1_3repE0EEENS1_30default_config_static_selectorELNS0_4arch9wavefront6targetE1EEEvS19_.num_named_barrier, 0
	.set _ZN7rocprim17ROCPRIM_400000_NS6detail17trampoline_kernelINS0_14default_configENS1_22reduce_config_selectorIN6thrust23THRUST_200600_302600_NS5tupleIblNS6_9null_typeES8_S8_S8_S8_S8_S8_S8_EEEEZNS1_11reduce_implILb1ES3_NS6_12zip_iteratorINS7_INS6_11hip_rocprim26transform_input_iterator_tIbPN3c108BFloat16ENS6_6detail10functional5actorINSJ_9compositeIJNSJ_27transparent_binary_operatorINS6_8equal_toIvEEEENSK_INSJ_8argumentILj0EEEEENSJ_5valueISG_EEEEEEEEENSD_19counting_iterator_tIlEES8_S8_S8_S8_S8_S8_S8_S8_EEEEPS9_S9_NSD_9__find_if7functorIS9_EEEE10hipError_tPvRmT1_T2_T3_mT4_P12ihipStream_tbEUlT_E1_NS1_11comp_targetILNS1_3genE10ELNS1_11target_archE1201ELNS1_3gpuE5ELNS1_3repE0EEENS1_30default_config_static_selectorELNS0_4arch9wavefront6targetE1EEEvS19_.private_seg_size, 0
	.set _ZN7rocprim17ROCPRIM_400000_NS6detail17trampoline_kernelINS0_14default_configENS1_22reduce_config_selectorIN6thrust23THRUST_200600_302600_NS5tupleIblNS6_9null_typeES8_S8_S8_S8_S8_S8_S8_EEEEZNS1_11reduce_implILb1ES3_NS6_12zip_iteratorINS7_INS6_11hip_rocprim26transform_input_iterator_tIbPN3c108BFloat16ENS6_6detail10functional5actorINSJ_9compositeIJNSJ_27transparent_binary_operatorINS6_8equal_toIvEEEENSK_INSJ_8argumentILj0EEEEENSJ_5valueISG_EEEEEEEEENSD_19counting_iterator_tIlEES8_S8_S8_S8_S8_S8_S8_S8_EEEEPS9_S9_NSD_9__find_if7functorIS9_EEEE10hipError_tPvRmT1_T2_T3_mT4_P12ihipStream_tbEUlT_E1_NS1_11comp_targetILNS1_3genE10ELNS1_11target_archE1201ELNS1_3gpuE5ELNS1_3repE0EEENS1_30default_config_static_selectorELNS0_4arch9wavefront6targetE1EEEvS19_.uses_vcc, 0
	.set _ZN7rocprim17ROCPRIM_400000_NS6detail17trampoline_kernelINS0_14default_configENS1_22reduce_config_selectorIN6thrust23THRUST_200600_302600_NS5tupleIblNS6_9null_typeES8_S8_S8_S8_S8_S8_S8_EEEEZNS1_11reduce_implILb1ES3_NS6_12zip_iteratorINS7_INS6_11hip_rocprim26transform_input_iterator_tIbPN3c108BFloat16ENS6_6detail10functional5actorINSJ_9compositeIJNSJ_27transparent_binary_operatorINS6_8equal_toIvEEEENSK_INSJ_8argumentILj0EEEEENSJ_5valueISG_EEEEEEEEENSD_19counting_iterator_tIlEES8_S8_S8_S8_S8_S8_S8_S8_EEEEPS9_S9_NSD_9__find_if7functorIS9_EEEE10hipError_tPvRmT1_T2_T3_mT4_P12ihipStream_tbEUlT_E1_NS1_11comp_targetILNS1_3genE10ELNS1_11target_archE1201ELNS1_3gpuE5ELNS1_3repE0EEENS1_30default_config_static_selectorELNS0_4arch9wavefront6targetE1EEEvS19_.uses_flat_scratch, 0
	.set _ZN7rocprim17ROCPRIM_400000_NS6detail17trampoline_kernelINS0_14default_configENS1_22reduce_config_selectorIN6thrust23THRUST_200600_302600_NS5tupleIblNS6_9null_typeES8_S8_S8_S8_S8_S8_S8_EEEEZNS1_11reduce_implILb1ES3_NS6_12zip_iteratorINS7_INS6_11hip_rocprim26transform_input_iterator_tIbPN3c108BFloat16ENS6_6detail10functional5actorINSJ_9compositeIJNSJ_27transparent_binary_operatorINS6_8equal_toIvEEEENSK_INSJ_8argumentILj0EEEEENSJ_5valueISG_EEEEEEEEENSD_19counting_iterator_tIlEES8_S8_S8_S8_S8_S8_S8_S8_EEEEPS9_S9_NSD_9__find_if7functorIS9_EEEE10hipError_tPvRmT1_T2_T3_mT4_P12ihipStream_tbEUlT_E1_NS1_11comp_targetILNS1_3genE10ELNS1_11target_archE1201ELNS1_3gpuE5ELNS1_3repE0EEENS1_30default_config_static_selectorELNS0_4arch9wavefront6targetE1EEEvS19_.has_dyn_sized_stack, 0
	.set _ZN7rocprim17ROCPRIM_400000_NS6detail17trampoline_kernelINS0_14default_configENS1_22reduce_config_selectorIN6thrust23THRUST_200600_302600_NS5tupleIblNS6_9null_typeES8_S8_S8_S8_S8_S8_S8_EEEEZNS1_11reduce_implILb1ES3_NS6_12zip_iteratorINS7_INS6_11hip_rocprim26transform_input_iterator_tIbPN3c108BFloat16ENS6_6detail10functional5actorINSJ_9compositeIJNSJ_27transparent_binary_operatorINS6_8equal_toIvEEEENSK_INSJ_8argumentILj0EEEEENSJ_5valueISG_EEEEEEEEENSD_19counting_iterator_tIlEES8_S8_S8_S8_S8_S8_S8_S8_EEEEPS9_S9_NSD_9__find_if7functorIS9_EEEE10hipError_tPvRmT1_T2_T3_mT4_P12ihipStream_tbEUlT_E1_NS1_11comp_targetILNS1_3genE10ELNS1_11target_archE1201ELNS1_3gpuE5ELNS1_3repE0EEENS1_30default_config_static_selectorELNS0_4arch9wavefront6targetE1EEEvS19_.has_recursion, 0
	.set _ZN7rocprim17ROCPRIM_400000_NS6detail17trampoline_kernelINS0_14default_configENS1_22reduce_config_selectorIN6thrust23THRUST_200600_302600_NS5tupleIblNS6_9null_typeES8_S8_S8_S8_S8_S8_S8_EEEEZNS1_11reduce_implILb1ES3_NS6_12zip_iteratorINS7_INS6_11hip_rocprim26transform_input_iterator_tIbPN3c108BFloat16ENS6_6detail10functional5actorINSJ_9compositeIJNSJ_27transparent_binary_operatorINS6_8equal_toIvEEEENSK_INSJ_8argumentILj0EEEEENSJ_5valueISG_EEEEEEEEENSD_19counting_iterator_tIlEES8_S8_S8_S8_S8_S8_S8_S8_EEEEPS9_S9_NSD_9__find_if7functorIS9_EEEE10hipError_tPvRmT1_T2_T3_mT4_P12ihipStream_tbEUlT_E1_NS1_11comp_targetILNS1_3genE10ELNS1_11target_archE1201ELNS1_3gpuE5ELNS1_3repE0EEENS1_30default_config_static_selectorELNS0_4arch9wavefront6targetE1EEEvS19_.has_indirect_call, 0
	.section	.AMDGPU.csdata,"",@progbits
; Kernel info:
; codeLenInByte = 0
; TotalNumSgprs: 4
; NumVgprs: 0
; ScratchSize: 0
; MemoryBound: 0
; FloatMode: 240
; IeeeMode: 1
; LDSByteSize: 0 bytes/workgroup (compile time only)
; SGPRBlocks: 0
; VGPRBlocks: 0
; NumSGPRsForWavesPerEU: 4
; NumVGPRsForWavesPerEU: 1
; Occupancy: 10
; WaveLimiterHint : 0
; COMPUTE_PGM_RSRC2:SCRATCH_EN: 0
; COMPUTE_PGM_RSRC2:USER_SGPR: 6
; COMPUTE_PGM_RSRC2:TRAP_HANDLER: 0
; COMPUTE_PGM_RSRC2:TGID_X_EN: 1
; COMPUTE_PGM_RSRC2:TGID_Y_EN: 0
; COMPUTE_PGM_RSRC2:TGID_Z_EN: 0
; COMPUTE_PGM_RSRC2:TIDIG_COMP_CNT: 0
	.section	.text._ZN7rocprim17ROCPRIM_400000_NS6detail17trampoline_kernelINS0_14default_configENS1_22reduce_config_selectorIN6thrust23THRUST_200600_302600_NS5tupleIblNS6_9null_typeES8_S8_S8_S8_S8_S8_S8_EEEEZNS1_11reduce_implILb1ES3_NS6_12zip_iteratorINS7_INS6_11hip_rocprim26transform_input_iterator_tIbPN3c108BFloat16ENS6_6detail10functional5actorINSJ_9compositeIJNSJ_27transparent_binary_operatorINS6_8equal_toIvEEEENSK_INSJ_8argumentILj0EEEEENSJ_5valueISG_EEEEEEEEENSD_19counting_iterator_tIlEES8_S8_S8_S8_S8_S8_S8_S8_EEEEPS9_S9_NSD_9__find_if7functorIS9_EEEE10hipError_tPvRmT1_T2_T3_mT4_P12ihipStream_tbEUlT_E1_NS1_11comp_targetILNS1_3genE10ELNS1_11target_archE1200ELNS1_3gpuE4ELNS1_3repE0EEENS1_30default_config_static_selectorELNS0_4arch9wavefront6targetE1EEEvS19_,"axG",@progbits,_ZN7rocprim17ROCPRIM_400000_NS6detail17trampoline_kernelINS0_14default_configENS1_22reduce_config_selectorIN6thrust23THRUST_200600_302600_NS5tupleIblNS6_9null_typeES8_S8_S8_S8_S8_S8_S8_EEEEZNS1_11reduce_implILb1ES3_NS6_12zip_iteratorINS7_INS6_11hip_rocprim26transform_input_iterator_tIbPN3c108BFloat16ENS6_6detail10functional5actorINSJ_9compositeIJNSJ_27transparent_binary_operatorINS6_8equal_toIvEEEENSK_INSJ_8argumentILj0EEEEENSJ_5valueISG_EEEEEEEEENSD_19counting_iterator_tIlEES8_S8_S8_S8_S8_S8_S8_S8_EEEEPS9_S9_NSD_9__find_if7functorIS9_EEEE10hipError_tPvRmT1_T2_T3_mT4_P12ihipStream_tbEUlT_E1_NS1_11comp_targetILNS1_3genE10ELNS1_11target_archE1200ELNS1_3gpuE4ELNS1_3repE0EEENS1_30default_config_static_selectorELNS0_4arch9wavefront6targetE1EEEvS19_,comdat
	.protected	_ZN7rocprim17ROCPRIM_400000_NS6detail17trampoline_kernelINS0_14default_configENS1_22reduce_config_selectorIN6thrust23THRUST_200600_302600_NS5tupleIblNS6_9null_typeES8_S8_S8_S8_S8_S8_S8_EEEEZNS1_11reduce_implILb1ES3_NS6_12zip_iteratorINS7_INS6_11hip_rocprim26transform_input_iterator_tIbPN3c108BFloat16ENS6_6detail10functional5actorINSJ_9compositeIJNSJ_27transparent_binary_operatorINS6_8equal_toIvEEEENSK_INSJ_8argumentILj0EEEEENSJ_5valueISG_EEEEEEEEENSD_19counting_iterator_tIlEES8_S8_S8_S8_S8_S8_S8_S8_EEEEPS9_S9_NSD_9__find_if7functorIS9_EEEE10hipError_tPvRmT1_T2_T3_mT4_P12ihipStream_tbEUlT_E1_NS1_11comp_targetILNS1_3genE10ELNS1_11target_archE1200ELNS1_3gpuE4ELNS1_3repE0EEENS1_30default_config_static_selectorELNS0_4arch9wavefront6targetE1EEEvS19_ ; -- Begin function _ZN7rocprim17ROCPRIM_400000_NS6detail17trampoline_kernelINS0_14default_configENS1_22reduce_config_selectorIN6thrust23THRUST_200600_302600_NS5tupleIblNS6_9null_typeES8_S8_S8_S8_S8_S8_S8_EEEEZNS1_11reduce_implILb1ES3_NS6_12zip_iteratorINS7_INS6_11hip_rocprim26transform_input_iterator_tIbPN3c108BFloat16ENS6_6detail10functional5actorINSJ_9compositeIJNSJ_27transparent_binary_operatorINS6_8equal_toIvEEEENSK_INSJ_8argumentILj0EEEEENSJ_5valueISG_EEEEEEEEENSD_19counting_iterator_tIlEES8_S8_S8_S8_S8_S8_S8_S8_EEEEPS9_S9_NSD_9__find_if7functorIS9_EEEE10hipError_tPvRmT1_T2_T3_mT4_P12ihipStream_tbEUlT_E1_NS1_11comp_targetILNS1_3genE10ELNS1_11target_archE1200ELNS1_3gpuE4ELNS1_3repE0EEENS1_30default_config_static_selectorELNS0_4arch9wavefront6targetE1EEEvS19_
	.globl	_ZN7rocprim17ROCPRIM_400000_NS6detail17trampoline_kernelINS0_14default_configENS1_22reduce_config_selectorIN6thrust23THRUST_200600_302600_NS5tupleIblNS6_9null_typeES8_S8_S8_S8_S8_S8_S8_EEEEZNS1_11reduce_implILb1ES3_NS6_12zip_iteratorINS7_INS6_11hip_rocprim26transform_input_iterator_tIbPN3c108BFloat16ENS6_6detail10functional5actorINSJ_9compositeIJNSJ_27transparent_binary_operatorINS6_8equal_toIvEEEENSK_INSJ_8argumentILj0EEEEENSJ_5valueISG_EEEEEEEEENSD_19counting_iterator_tIlEES8_S8_S8_S8_S8_S8_S8_S8_EEEEPS9_S9_NSD_9__find_if7functorIS9_EEEE10hipError_tPvRmT1_T2_T3_mT4_P12ihipStream_tbEUlT_E1_NS1_11comp_targetILNS1_3genE10ELNS1_11target_archE1200ELNS1_3gpuE4ELNS1_3repE0EEENS1_30default_config_static_selectorELNS0_4arch9wavefront6targetE1EEEvS19_
	.p2align	8
	.type	_ZN7rocprim17ROCPRIM_400000_NS6detail17trampoline_kernelINS0_14default_configENS1_22reduce_config_selectorIN6thrust23THRUST_200600_302600_NS5tupleIblNS6_9null_typeES8_S8_S8_S8_S8_S8_S8_EEEEZNS1_11reduce_implILb1ES3_NS6_12zip_iteratorINS7_INS6_11hip_rocprim26transform_input_iterator_tIbPN3c108BFloat16ENS6_6detail10functional5actorINSJ_9compositeIJNSJ_27transparent_binary_operatorINS6_8equal_toIvEEEENSK_INSJ_8argumentILj0EEEEENSJ_5valueISG_EEEEEEEEENSD_19counting_iterator_tIlEES8_S8_S8_S8_S8_S8_S8_S8_EEEEPS9_S9_NSD_9__find_if7functorIS9_EEEE10hipError_tPvRmT1_T2_T3_mT4_P12ihipStream_tbEUlT_E1_NS1_11comp_targetILNS1_3genE10ELNS1_11target_archE1200ELNS1_3gpuE4ELNS1_3repE0EEENS1_30default_config_static_selectorELNS0_4arch9wavefront6targetE1EEEvS19_,@function
_ZN7rocprim17ROCPRIM_400000_NS6detail17trampoline_kernelINS0_14default_configENS1_22reduce_config_selectorIN6thrust23THRUST_200600_302600_NS5tupleIblNS6_9null_typeES8_S8_S8_S8_S8_S8_S8_EEEEZNS1_11reduce_implILb1ES3_NS6_12zip_iteratorINS7_INS6_11hip_rocprim26transform_input_iterator_tIbPN3c108BFloat16ENS6_6detail10functional5actorINSJ_9compositeIJNSJ_27transparent_binary_operatorINS6_8equal_toIvEEEENSK_INSJ_8argumentILj0EEEEENSJ_5valueISG_EEEEEEEEENSD_19counting_iterator_tIlEES8_S8_S8_S8_S8_S8_S8_S8_EEEEPS9_S9_NSD_9__find_if7functorIS9_EEEE10hipError_tPvRmT1_T2_T3_mT4_P12ihipStream_tbEUlT_E1_NS1_11comp_targetILNS1_3genE10ELNS1_11target_archE1200ELNS1_3gpuE4ELNS1_3repE0EEENS1_30default_config_static_selectorELNS0_4arch9wavefront6targetE1EEEvS19_: ; @_ZN7rocprim17ROCPRIM_400000_NS6detail17trampoline_kernelINS0_14default_configENS1_22reduce_config_selectorIN6thrust23THRUST_200600_302600_NS5tupleIblNS6_9null_typeES8_S8_S8_S8_S8_S8_S8_EEEEZNS1_11reduce_implILb1ES3_NS6_12zip_iteratorINS7_INS6_11hip_rocprim26transform_input_iterator_tIbPN3c108BFloat16ENS6_6detail10functional5actorINSJ_9compositeIJNSJ_27transparent_binary_operatorINS6_8equal_toIvEEEENSK_INSJ_8argumentILj0EEEEENSJ_5valueISG_EEEEEEEEENSD_19counting_iterator_tIlEES8_S8_S8_S8_S8_S8_S8_S8_EEEEPS9_S9_NSD_9__find_if7functorIS9_EEEE10hipError_tPvRmT1_T2_T3_mT4_P12ihipStream_tbEUlT_E1_NS1_11comp_targetILNS1_3genE10ELNS1_11target_archE1200ELNS1_3gpuE4ELNS1_3repE0EEENS1_30default_config_static_selectorELNS0_4arch9wavefront6targetE1EEEvS19_
; %bb.0:
	.section	.rodata,"a",@progbits
	.p2align	6, 0x0
	.amdhsa_kernel _ZN7rocprim17ROCPRIM_400000_NS6detail17trampoline_kernelINS0_14default_configENS1_22reduce_config_selectorIN6thrust23THRUST_200600_302600_NS5tupleIblNS6_9null_typeES8_S8_S8_S8_S8_S8_S8_EEEEZNS1_11reduce_implILb1ES3_NS6_12zip_iteratorINS7_INS6_11hip_rocprim26transform_input_iterator_tIbPN3c108BFloat16ENS6_6detail10functional5actorINSJ_9compositeIJNSJ_27transparent_binary_operatorINS6_8equal_toIvEEEENSK_INSJ_8argumentILj0EEEEENSJ_5valueISG_EEEEEEEEENSD_19counting_iterator_tIlEES8_S8_S8_S8_S8_S8_S8_S8_EEEEPS9_S9_NSD_9__find_if7functorIS9_EEEE10hipError_tPvRmT1_T2_T3_mT4_P12ihipStream_tbEUlT_E1_NS1_11comp_targetILNS1_3genE10ELNS1_11target_archE1200ELNS1_3gpuE4ELNS1_3repE0EEENS1_30default_config_static_selectorELNS0_4arch9wavefront6targetE1EEEvS19_
		.amdhsa_group_segment_fixed_size 0
		.amdhsa_private_segment_fixed_size 0
		.amdhsa_kernarg_size 72
		.amdhsa_user_sgpr_count 6
		.amdhsa_user_sgpr_private_segment_buffer 1
		.amdhsa_user_sgpr_dispatch_ptr 0
		.amdhsa_user_sgpr_queue_ptr 0
		.amdhsa_user_sgpr_kernarg_segment_ptr 1
		.amdhsa_user_sgpr_dispatch_id 0
		.amdhsa_user_sgpr_flat_scratch_init 0
		.amdhsa_user_sgpr_private_segment_size 0
		.amdhsa_uses_dynamic_stack 0
		.amdhsa_system_sgpr_private_segment_wavefront_offset 0
		.amdhsa_system_sgpr_workgroup_id_x 1
		.amdhsa_system_sgpr_workgroup_id_y 0
		.amdhsa_system_sgpr_workgroup_id_z 0
		.amdhsa_system_sgpr_workgroup_info 0
		.amdhsa_system_vgpr_workitem_id 0
		.amdhsa_next_free_vgpr 1
		.amdhsa_next_free_sgpr 0
		.amdhsa_reserve_vcc 0
		.amdhsa_reserve_flat_scratch 0
		.amdhsa_float_round_mode_32 0
		.amdhsa_float_round_mode_16_64 0
		.amdhsa_float_denorm_mode_32 3
		.amdhsa_float_denorm_mode_16_64 3
		.amdhsa_dx10_clamp 1
		.amdhsa_ieee_mode 1
		.amdhsa_fp16_overflow 0
		.amdhsa_exception_fp_ieee_invalid_op 0
		.amdhsa_exception_fp_denorm_src 0
		.amdhsa_exception_fp_ieee_div_zero 0
		.amdhsa_exception_fp_ieee_overflow 0
		.amdhsa_exception_fp_ieee_underflow 0
		.amdhsa_exception_fp_ieee_inexact 0
		.amdhsa_exception_int_div_zero 0
	.end_amdhsa_kernel
	.section	.text._ZN7rocprim17ROCPRIM_400000_NS6detail17trampoline_kernelINS0_14default_configENS1_22reduce_config_selectorIN6thrust23THRUST_200600_302600_NS5tupleIblNS6_9null_typeES8_S8_S8_S8_S8_S8_S8_EEEEZNS1_11reduce_implILb1ES3_NS6_12zip_iteratorINS7_INS6_11hip_rocprim26transform_input_iterator_tIbPN3c108BFloat16ENS6_6detail10functional5actorINSJ_9compositeIJNSJ_27transparent_binary_operatorINS6_8equal_toIvEEEENSK_INSJ_8argumentILj0EEEEENSJ_5valueISG_EEEEEEEEENSD_19counting_iterator_tIlEES8_S8_S8_S8_S8_S8_S8_S8_EEEEPS9_S9_NSD_9__find_if7functorIS9_EEEE10hipError_tPvRmT1_T2_T3_mT4_P12ihipStream_tbEUlT_E1_NS1_11comp_targetILNS1_3genE10ELNS1_11target_archE1200ELNS1_3gpuE4ELNS1_3repE0EEENS1_30default_config_static_selectorELNS0_4arch9wavefront6targetE1EEEvS19_,"axG",@progbits,_ZN7rocprim17ROCPRIM_400000_NS6detail17trampoline_kernelINS0_14default_configENS1_22reduce_config_selectorIN6thrust23THRUST_200600_302600_NS5tupleIblNS6_9null_typeES8_S8_S8_S8_S8_S8_S8_EEEEZNS1_11reduce_implILb1ES3_NS6_12zip_iteratorINS7_INS6_11hip_rocprim26transform_input_iterator_tIbPN3c108BFloat16ENS6_6detail10functional5actorINSJ_9compositeIJNSJ_27transparent_binary_operatorINS6_8equal_toIvEEEENSK_INSJ_8argumentILj0EEEEENSJ_5valueISG_EEEEEEEEENSD_19counting_iterator_tIlEES8_S8_S8_S8_S8_S8_S8_S8_EEEEPS9_S9_NSD_9__find_if7functorIS9_EEEE10hipError_tPvRmT1_T2_T3_mT4_P12ihipStream_tbEUlT_E1_NS1_11comp_targetILNS1_3genE10ELNS1_11target_archE1200ELNS1_3gpuE4ELNS1_3repE0EEENS1_30default_config_static_selectorELNS0_4arch9wavefront6targetE1EEEvS19_,comdat
.Lfunc_end2103:
	.size	_ZN7rocprim17ROCPRIM_400000_NS6detail17trampoline_kernelINS0_14default_configENS1_22reduce_config_selectorIN6thrust23THRUST_200600_302600_NS5tupleIblNS6_9null_typeES8_S8_S8_S8_S8_S8_S8_EEEEZNS1_11reduce_implILb1ES3_NS6_12zip_iteratorINS7_INS6_11hip_rocprim26transform_input_iterator_tIbPN3c108BFloat16ENS6_6detail10functional5actorINSJ_9compositeIJNSJ_27transparent_binary_operatorINS6_8equal_toIvEEEENSK_INSJ_8argumentILj0EEEEENSJ_5valueISG_EEEEEEEEENSD_19counting_iterator_tIlEES8_S8_S8_S8_S8_S8_S8_S8_EEEEPS9_S9_NSD_9__find_if7functorIS9_EEEE10hipError_tPvRmT1_T2_T3_mT4_P12ihipStream_tbEUlT_E1_NS1_11comp_targetILNS1_3genE10ELNS1_11target_archE1200ELNS1_3gpuE4ELNS1_3repE0EEENS1_30default_config_static_selectorELNS0_4arch9wavefront6targetE1EEEvS19_, .Lfunc_end2103-_ZN7rocprim17ROCPRIM_400000_NS6detail17trampoline_kernelINS0_14default_configENS1_22reduce_config_selectorIN6thrust23THRUST_200600_302600_NS5tupleIblNS6_9null_typeES8_S8_S8_S8_S8_S8_S8_EEEEZNS1_11reduce_implILb1ES3_NS6_12zip_iteratorINS7_INS6_11hip_rocprim26transform_input_iterator_tIbPN3c108BFloat16ENS6_6detail10functional5actorINSJ_9compositeIJNSJ_27transparent_binary_operatorINS6_8equal_toIvEEEENSK_INSJ_8argumentILj0EEEEENSJ_5valueISG_EEEEEEEEENSD_19counting_iterator_tIlEES8_S8_S8_S8_S8_S8_S8_S8_EEEEPS9_S9_NSD_9__find_if7functorIS9_EEEE10hipError_tPvRmT1_T2_T3_mT4_P12ihipStream_tbEUlT_E1_NS1_11comp_targetILNS1_3genE10ELNS1_11target_archE1200ELNS1_3gpuE4ELNS1_3repE0EEENS1_30default_config_static_selectorELNS0_4arch9wavefront6targetE1EEEvS19_
                                        ; -- End function
	.set _ZN7rocprim17ROCPRIM_400000_NS6detail17trampoline_kernelINS0_14default_configENS1_22reduce_config_selectorIN6thrust23THRUST_200600_302600_NS5tupleIblNS6_9null_typeES8_S8_S8_S8_S8_S8_S8_EEEEZNS1_11reduce_implILb1ES3_NS6_12zip_iteratorINS7_INS6_11hip_rocprim26transform_input_iterator_tIbPN3c108BFloat16ENS6_6detail10functional5actorINSJ_9compositeIJNSJ_27transparent_binary_operatorINS6_8equal_toIvEEEENSK_INSJ_8argumentILj0EEEEENSJ_5valueISG_EEEEEEEEENSD_19counting_iterator_tIlEES8_S8_S8_S8_S8_S8_S8_S8_EEEEPS9_S9_NSD_9__find_if7functorIS9_EEEE10hipError_tPvRmT1_T2_T3_mT4_P12ihipStream_tbEUlT_E1_NS1_11comp_targetILNS1_3genE10ELNS1_11target_archE1200ELNS1_3gpuE4ELNS1_3repE0EEENS1_30default_config_static_selectorELNS0_4arch9wavefront6targetE1EEEvS19_.num_vgpr, 0
	.set _ZN7rocprim17ROCPRIM_400000_NS6detail17trampoline_kernelINS0_14default_configENS1_22reduce_config_selectorIN6thrust23THRUST_200600_302600_NS5tupleIblNS6_9null_typeES8_S8_S8_S8_S8_S8_S8_EEEEZNS1_11reduce_implILb1ES3_NS6_12zip_iteratorINS7_INS6_11hip_rocprim26transform_input_iterator_tIbPN3c108BFloat16ENS6_6detail10functional5actorINSJ_9compositeIJNSJ_27transparent_binary_operatorINS6_8equal_toIvEEEENSK_INSJ_8argumentILj0EEEEENSJ_5valueISG_EEEEEEEEENSD_19counting_iterator_tIlEES8_S8_S8_S8_S8_S8_S8_S8_EEEEPS9_S9_NSD_9__find_if7functorIS9_EEEE10hipError_tPvRmT1_T2_T3_mT4_P12ihipStream_tbEUlT_E1_NS1_11comp_targetILNS1_3genE10ELNS1_11target_archE1200ELNS1_3gpuE4ELNS1_3repE0EEENS1_30default_config_static_selectorELNS0_4arch9wavefront6targetE1EEEvS19_.num_agpr, 0
	.set _ZN7rocprim17ROCPRIM_400000_NS6detail17trampoline_kernelINS0_14default_configENS1_22reduce_config_selectorIN6thrust23THRUST_200600_302600_NS5tupleIblNS6_9null_typeES8_S8_S8_S8_S8_S8_S8_EEEEZNS1_11reduce_implILb1ES3_NS6_12zip_iteratorINS7_INS6_11hip_rocprim26transform_input_iterator_tIbPN3c108BFloat16ENS6_6detail10functional5actorINSJ_9compositeIJNSJ_27transparent_binary_operatorINS6_8equal_toIvEEEENSK_INSJ_8argumentILj0EEEEENSJ_5valueISG_EEEEEEEEENSD_19counting_iterator_tIlEES8_S8_S8_S8_S8_S8_S8_S8_EEEEPS9_S9_NSD_9__find_if7functorIS9_EEEE10hipError_tPvRmT1_T2_T3_mT4_P12ihipStream_tbEUlT_E1_NS1_11comp_targetILNS1_3genE10ELNS1_11target_archE1200ELNS1_3gpuE4ELNS1_3repE0EEENS1_30default_config_static_selectorELNS0_4arch9wavefront6targetE1EEEvS19_.numbered_sgpr, 0
	.set _ZN7rocprim17ROCPRIM_400000_NS6detail17trampoline_kernelINS0_14default_configENS1_22reduce_config_selectorIN6thrust23THRUST_200600_302600_NS5tupleIblNS6_9null_typeES8_S8_S8_S8_S8_S8_S8_EEEEZNS1_11reduce_implILb1ES3_NS6_12zip_iteratorINS7_INS6_11hip_rocprim26transform_input_iterator_tIbPN3c108BFloat16ENS6_6detail10functional5actorINSJ_9compositeIJNSJ_27transparent_binary_operatorINS6_8equal_toIvEEEENSK_INSJ_8argumentILj0EEEEENSJ_5valueISG_EEEEEEEEENSD_19counting_iterator_tIlEES8_S8_S8_S8_S8_S8_S8_S8_EEEEPS9_S9_NSD_9__find_if7functorIS9_EEEE10hipError_tPvRmT1_T2_T3_mT4_P12ihipStream_tbEUlT_E1_NS1_11comp_targetILNS1_3genE10ELNS1_11target_archE1200ELNS1_3gpuE4ELNS1_3repE0EEENS1_30default_config_static_selectorELNS0_4arch9wavefront6targetE1EEEvS19_.num_named_barrier, 0
	.set _ZN7rocprim17ROCPRIM_400000_NS6detail17trampoline_kernelINS0_14default_configENS1_22reduce_config_selectorIN6thrust23THRUST_200600_302600_NS5tupleIblNS6_9null_typeES8_S8_S8_S8_S8_S8_S8_EEEEZNS1_11reduce_implILb1ES3_NS6_12zip_iteratorINS7_INS6_11hip_rocprim26transform_input_iterator_tIbPN3c108BFloat16ENS6_6detail10functional5actorINSJ_9compositeIJNSJ_27transparent_binary_operatorINS6_8equal_toIvEEEENSK_INSJ_8argumentILj0EEEEENSJ_5valueISG_EEEEEEEEENSD_19counting_iterator_tIlEES8_S8_S8_S8_S8_S8_S8_S8_EEEEPS9_S9_NSD_9__find_if7functorIS9_EEEE10hipError_tPvRmT1_T2_T3_mT4_P12ihipStream_tbEUlT_E1_NS1_11comp_targetILNS1_3genE10ELNS1_11target_archE1200ELNS1_3gpuE4ELNS1_3repE0EEENS1_30default_config_static_selectorELNS0_4arch9wavefront6targetE1EEEvS19_.private_seg_size, 0
	.set _ZN7rocprim17ROCPRIM_400000_NS6detail17trampoline_kernelINS0_14default_configENS1_22reduce_config_selectorIN6thrust23THRUST_200600_302600_NS5tupleIblNS6_9null_typeES8_S8_S8_S8_S8_S8_S8_EEEEZNS1_11reduce_implILb1ES3_NS6_12zip_iteratorINS7_INS6_11hip_rocprim26transform_input_iterator_tIbPN3c108BFloat16ENS6_6detail10functional5actorINSJ_9compositeIJNSJ_27transparent_binary_operatorINS6_8equal_toIvEEEENSK_INSJ_8argumentILj0EEEEENSJ_5valueISG_EEEEEEEEENSD_19counting_iterator_tIlEES8_S8_S8_S8_S8_S8_S8_S8_EEEEPS9_S9_NSD_9__find_if7functorIS9_EEEE10hipError_tPvRmT1_T2_T3_mT4_P12ihipStream_tbEUlT_E1_NS1_11comp_targetILNS1_3genE10ELNS1_11target_archE1200ELNS1_3gpuE4ELNS1_3repE0EEENS1_30default_config_static_selectorELNS0_4arch9wavefront6targetE1EEEvS19_.uses_vcc, 0
	.set _ZN7rocprim17ROCPRIM_400000_NS6detail17trampoline_kernelINS0_14default_configENS1_22reduce_config_selectorIN6thrust23THRUST_200600_302600_NS5tupleIblNS6_9null_typeES8_S8_S8_S8_S8_S8_S8_EEEEZNS1_11reduce_implILb1ES3_NS6_12zip_iteratorINS7_INS6_11hip_rocprim26transform_input_iterator_tIbPN3c108BFloat16ENS6_6detail10functional5actorINSJ_9compositeIJNSJ_27transparent_binary_operatorINS6_8equal_toIvEEEENSK_INSJ_8argumentILj0EEEEENSJ_5valueISG_EEEEEEEEENSD_19counting_iterator_tIlEES8_S8_S8_S8_S8_S8_S8_S8_EEEEPS9_S9_NSD_9__find_if7functorIS9_EEEE10hipError_tPvRmT1_T2_T3_mT4_P12ihipStream_tbEUlT_E1_NS1_11comp_targetILNS1_3genE10ELNS1_11target_archE1200ELNS1_3gpuE4ELNS1_3repE0EEENS1_30default_config_static_selectorELNS0_4arch9wavefront6targetE1EEEvS19_.uses_flat_scratch, 0
	.set _ZN7rocprim17ROCPRIM_400000_NS6detail17trampoline_kernelINS0_14default_configENS1_22reduce_config_selectorIN6thrust23THRUST_200600_302600_NS5tupleIblNS6_9null_typeES8_S8_S8_S8_S8_S8_S8_EEEEZNS1_11reduce_implILb1ES3_NS6_12zip_iteratorINS7_INS6_11hip_rocprim26transform_input_iterator_tIbPN3c108BFloat16ENS6_6detail10functional5actorINSJ_9compositeIJNSJ_27transparent_binary_operatorINS6_8equal_toIvEEEENSK_INSJ_8argumentILj0EEEEENSJ_5valueISG_EEEEEEEEENSD_19counting_iterator_tIlEES8_S8_S8_S8_S8_S8_S8_S8_EEEEPS9_S9_NSD_9__find_if7functorIS9_EEEE10hipError_tPvRmT1_T2_T3_mT4_P12ihipStream_tbEUlT_E1_NS1_11comp_targetILNS1_3genE10ELNS1_11target_archE1200ELNS1_3gpuE4ELNS1_3repE0EEENS1_30default_config_static_selectorELNS0_4arch9wavefront6targetE1EEEvS19_.has_dyn_sized_stack, 0
	.set _ZN7rocprim17ROCPRIM_400000_NS6detail17trampoline_kernelINS0_14default_configENS1_22reduce_config_selectorIN6thrust23THRUST_200600_302600_NS5tupleIblNS6_9null_typeES8_S8_S8_S8_S8_S8_S8_EEEEZNS1_11reduce_implILb1ES3_NS6_12zip_iteratorINS7_INS6_11hip_rocprim26transform_input_iterator_tIbPN3c108BFloat16ENS6_6detail10functional5actorINSJ_9compositeIJNSJ_27transparent_binary_operatorINS6_8equal_toIvEEEENSK_INSJ_8argumentILj0EEEEENSJ_5valueISG_EEEEEEEEENSD_19counting_iterator_tIlEES8_S8_S8_S8_S8_S8_S8_S8_EEEEPS9_S9_NSD_9__find_if7functorIS9_EEEE10hipError_tPvRmT1_T2_T3_mT4_P12ihipStream_tbEUlT_E1_NS1_11comp_targetILNS1_3genE10ELNS1_11target_archE1200ELNS1_3gpuE4ELNS1_3repE0EEENS1_30default_config_static_selectorELNS0_4arch9wavefront6targetE1EEEvS19_.has_recursion, 0
	.set _ZN7rocprim17ROCPRIM_400000_NS6detail17trampoline_kernelINS0_14default_configENS1_22reduce_config_selectorIN6thrust23THRUST_200600_302600_NS5tupleIblNS6_9null_typeES8_S8_S8_S8_S8_S8_S8_EEEEZNS1_11reduce_implILb1ES3_NS6_12zip_iteratorINS7_INS6_11hip_rocprim26transform_input_iterator_tIbPN3c108BFloat16ENS6_6detail10functional5actorINSJ_9compositeIJNSJ_27transparent_binary_operatorINS6_8equal_toIvEEEENSK_INSJ_8argumentILj0EEEEENSJ_5valueISG_EEEEEEEEENSD_19counting_iterator_tIlEES8_S8_S8_S8_S8_S8_S8_S8_EEEEPS9_S9_NSD_9__find_if7functorIS9_EEEE10hipError_tPvRmT1_T2_T3_mT4_P12ihipStream_tbEUlT_E1_NS1_11comp_targetILNS1_3genE10ELNS1_11target_archE1200ELNS1_3gpuE4ELNS1_3repE0EEENS1_30default_config_static_selectorELNS0_4arch9wavefront6targetE1EEEvS19_.has_indirect_call, 0
	.section	.AMDGPU.csdata,"",@progbits
; Kernel info:
; codeLenInByte = 0
; TotalNumSgprs: 4
; NumVgprs: 0
; ScratchSize: 0
; MemoryBound: 0
; FloatMode: 240
; IeeeMode: 1
; LDSByteSize: 0 bytes/workgroup (compile time only)
; SGPRBlocks: 0
; VGPRBlocks: 0
; NumSGPRsForWavesPerEU: 4
; NumVGPRsForWavesPerEU: 1
; Occupancy: 10
; WaveLimiterHint : 0
; COMPUTE_PGM_RSRC2:SCRATCH_EN: 0
; COMPUTE_PGM_RSRC2:USER_SGPR: 6
; COMPUTE_PGM_RSRC2:TRAP_HANDLER: 0
; COMPUTE_PGM_RSRC2:TGID_X_EN: 1
; COMPUTE_PGM_RSRC2:TGID_Y_EN: 0
; COMPUTE_PGM_RSRC2:TGID_Z_EN: 0
; COMPUTE_PGM_RSRC2:TIDIG_COMP_CNT: 0
	.section	.text._ZN7rocprim17ROCPRIM_400000_NS6detail17trampoline_kernelINS0_14default_configENS1_22reduce_config_selectorIN6thrust23THRUST_200600_302600_NS5tupleIblNS6_9null_typeES8_S8_S8_S8_S8_S8_S8_EEEEZNS1_11reduce_implILb1ES3_NS6_12zip_iteratorINS7_INS6_11hip_rocprim26transform_input_iterator_tIbPN3c108BFloat16ENS6_6detail10functional5actorINSJ_9compositeIJNSJ_27transparent_binary_operatorINS6_8equal_toIvEEEENSK_INSJ_8argumentILj0EEEEENSJ_5valueISG_EEEEEEEEENSD_19counting_iterator_tIlEES8_S8_S8_S8_S8_S8_S8_S8_EEEEPS9_S9_NSD_9__find_if7functorIS9_EEEE10hipError_tPvRmT1_T2_T3_mT4_P12ihipStream_tbEUlT_E1_NS1_11comp_targetILNS1_3genE9ELNS1_11target_archE1100ELNS1_3gpuE3ELNS1_3repE0EEENS1_30default_config_static_selectorELNS0_4arch9wavefront6targetE1EEEvS19_,"axG",@progbits,_ZN7rocprim17ROCPRIM_400000_NS6detail17trampoline_kernelINS0_14default_configENS1_22reduce_config_selectorIN6thrust23THRUST_200600_302600_NS5tupleIblNS6_9null_typeES8_S8_S8_S8_S8_S8_S8_EEEEZNS1_11reduce_implILb1ES3_NS6_12zip_iteratorINS7_INS6_11hip_rocprim26transform_input_iterator_tIbPN3c108BFloat16ENS6_6detail10functional5actorINSJ_9compositeIJNSJ_27transparent_binary_operatorINS6_8equal_toIvEEEENSK_INSJ_8argumentILj0EEEEENSJ_5valueISG_EEEEEEEEENSD_19counting_iterator_tIlEES8_S8_S8_S8_S8_S8_S8_S8_EEEEPS9_S9_NSD_9__find_if7functorIS9_EEEE10hipError_tPvRmT1_T2_T3_mT4_P12ihipStream_tbEUlT_E1_NS1_11comp_targetILNS1_3genE9ELNS1_11target_archE1100ELNS1_3gpuE3ELNS1_3repE0EEENS1_30default_config_static_selectorELNS0_4arch9wavefront6targetE1EEEvS19_,comdat
	.protected	_ZN7rocprim17ROCPRIM_400000_NS6detail17trampoline_kernelINS0_14default_configENS1_22reduce_config_selectorIN6thrust23THRUST_200600_302600_NS5tupleIblNS6_9null_typeES8_S8_S8_S8_S8_S8_S8_EEEEZNS1_11reduce_implILb1ES3_NS6_12zip_iteratorINS7_INS6_11hip_rocprim26transform_input_iterator_tIbPN3c108BFloat16ENS6_6detail10functional5actorINSJ_9compositeIJNSJ_27transparent_binary_operatorINS6_8equal_toIvEEEENSK_INSJ_8argumentILj0EEEEENSJ_5valueISG_EEEEEEEEENSD_19counting_iterator_tIlEES8_S8_S8_S8_S8_S8_S8_S8_EEEEPS9_S9_NSD_9__find_if7functorIS9_EEEE10hipError_tPvRmT1_T2_T3_mT4_P12ihipStream_tbEUlT_E1_NS1_11comp_targetILNS1_3genE9ELNS1_11target_archE1100ELNS1_3gpuE3ELNS1_3repE0EEENS1_30default_config_static_selectorELNS0_4arch9wavefront6targetE1EEEvS19_ ; -- Begin function _ZN7rocprim17ROCPRIM_400000_NS6detail17trampoline_kernelINS0_14default_configENS1_22reduce_config_selectorIN6thrust23THRUST_200600_302600_NS5tupleIblNS6_9null_typeES8_S8_S8_S8_S8_S8_S8_EEEEZNS1_11reduce_implILb1ES3_NS6_12zip_iteratorINS7_INS6_11hip_rocprim26transform_input_iterator_tIbPN3c108BFloat16ENS6_6detail10functional5actorINSJ_9compositeIJNSJ_27transparent_binary_operatorINS6_8equal_toIvEEEENSK_INSJ_8argumentILj0EEEEENSJ_5valueISG_EEEEEEEEENSD_19counting_iterator_tIlEES8_S8_S8_S8_S8_S8_S8_S8_EEEEPS9_S9_NSD_9__find_if7functorIS9_EEEE10hipError_tPvRmT1_T2_T3_mT4_P12ihipStream_tbEUlT_E1_NS1_11comp_targetILNS1_3genE9ELNS1_11target_archE1100ELNS1_3gpuE3ELNS1_3repE0EEENS1_30default_config_static_selectorELNS0_4arch9wavefront6targetE1EEEvS19_
	.globl	_ZN7rocprim17ROCPRIM_400000_NS6detail17trampoline_kernelINS0_14default_configENS1_22reduce_config_selectorIN6thrust23THRUST_200600_302600_NS5tupleIblNS6_9null_typeES8_S8_S8_S8_S8_S8_S8_EEEEZNS1_11reduce_implILb1ES3_NS6_12zip_iteratorINS7_INS6_11hip_rocprim26transform_input_iterator_tIbPN3c108BFloat16ENS6_6detail10functional5actorINSJ_9compositeIJNSJ_27transparent_binary_operatorINS6_8equal_toIvEEEENSK_INSJ_8argumentILj0EEEEENSJ_5valueISG_EEEEEEEEENSD_19counting_iterator_tIlEES8_S8_S8_S8_S8_S8_S8_S8_EEEEPS9_S9_NSD_9__find_if7functorIS9_EEEE10hipError_tPvRmT1_T2_T3_mT4_P12ihipStream_tbEUlT_E1_NS1_11comp_targetILNS1_3genE9ELNS1_11target_archE1100ELNS1_3gpuE3ELNS1_3repE0EEENS1_30default_config_static_selectorELNS0_4arch9wavefront6targetE1EEEvS19_
	.p2align	8
	.type	_ZN7rocprim17ROCPRIM_400000_NS6detail17trampoline_kernelINS0_14default_configENS1_22reduce_config_selectorIN6thrust23THRUST_200600_302600_NS5tupleIblNS6_9null_typeES8_S8_S8_S8_S8_S8_S8_EEEEZNS1_11reduce_implILb1ES3_NS6_12zip_iteratorINS7_INS6_11hip_rocprim26transform_input_iterator_tIbPN3c108BFloat16ENS6_6detail10functional5actorINSJ_9compositeIJNSJ_27transparent_binary_operatorINS6_8equal_toIvEEEENSK_INSJ_8argumentILj0EEEEENSJ_5valueISG_EEEEEEEEENSD_19counting_iterator_tIlEES8_S8_S8_S8_S8_S8_S8_S8_EEEEPS9_S9_NSD_9__find_if7functorIS9_EEEE10hipError_tPvRmT1_T2_T3_mT4_P12ihipStream_tbEUlT_E1_NS1_11comp_targetILNS1_3genE9ELNS1_11target_archE1100ELNS1_3gpuE3ELNS1_3repE0EEENS1_30default_config_static_selectorELNS0_4arch9wavefront6targetE1EEEvS19_,@function
_ZN7rocprim17ROCPRIM_400000_NS6detail17trampoline_kernelINS0_14default_configENS1_22reduce_config_selectorIN6thrust23THRUST_200600_302600_NS5tupleIblNS6_9null_typeES8_S8_S8_S8_S8_S8_S8_EEEEZNS1_11reduce_implILb1ES3_NS6_12zip_iteratorINS7_INS6_11hip_rocprim26transform_input_iterator_tIbPN3c108BFloat16ENS6_6detail10functional5actorINSJ_9compositeIJNSJ_27transparent_binary_operatorINS6_8equal_toIvEEEENSK_INSJ_8argumentILj0EEEEENSJ_5valueISG_EEEEEEEEENSD_19counting_iterator_tIlEES8_S8_S8_S8_S8_S8_S8_S8_EEEEPS9_S9_NSD_9__find_if7functorIS9_EEEE10hipError_tPvRmT1_T2_T3_mT4_P12ihipStream_tbEUlT_E1_NS1_11comp_targetILNS1_3genE9ELNS1_11target_archE1100ELNS1_3gpuE3ELNS1_3repE0EEENS1_30default_config_static_selectorELNS0_4arch9wavefront6targetE1EEEvS19_: ; @_ZN7rocprim17ROCPRIM_400000_NS6detail17trampoline_kernelINS0_14default_configENS1_22reduce_config_selectorIN6thrust23THRUST_200600_302600_NS5tupleIblNS6_9null_typeES8_S8_S8_S8_S8_S8_S8_EEEEZNS1_11reduce_implILb1ES3_NS6_12zip_iteratorINS7_INS6_11hip_rocprim26transform_input_iterator_tIbPN3c108BFloat16ENS6_6detail10functional5actorINSJ_9compositeIJNSJ_27transparent_binary_operatorINS6_8equal_toIvEEEENSK_INSJ_8argumentILj0EEEEENSJ_5valueISG_EEEEEEEEENSD_19counting_iterator_tIlEES8_S8_S8_S8_S8_S8_S8_S8_EEEEPS9_S9_NSD_9__find_if7functorIS9_EEEE10hipError_tPvRmT1_T2_T3_mT4_P12ihipStream_tbEUlT_E1_NS1_11comp_targetILNS1_3genE9ELNS1_11target_archE1100ELNS1_3gpuE3ELNS1_3repE0EEENS1_30default_config_static_selectorELNS0_4arch9wavefront6targetE1EEEvS19_
; %bb.0:
	.section	.rodata,"a",@progbits
	.p2align	6, 0x0
	.amdhsa_kernel _ZN7rocprim17ROCPRIM_400000_NS6detail17trampoline_kernelINS0_14default_configENS1_22reduce_config_selectorIN6thrust23THRUST_200600_302600_NS5tupleIblNS6_9null_typeES8_S8_S8_S8_S8_S8_S8_EEEEZNS1_11reduce_implILb1ES3_NS6_12zip_iteratorINS7_INS6_11hip_rocprim26transform_input_iterator_tIbPN3c108BFloat16ENS6_6detail10functional5actorINSJ_9compositeIJNSJ_27transparent_binary_operatorINS6_8equal_toIvEEEENSK_INSJ_8argumentILj0EEEEENSJ_5valueISG_EEEEEEEEENSD_19counting_iterator_tIlEES8_S8_S8_S8_S8_S8_S8_S8_EEEEPS9_S9_NSD_9__find_if7functorIS9_EEEE10hipError_tPvRmT1_T2_T3_mT4_P12ihipStream_tbEUlT_E1_NS1_11comp_targetILNS1_3genE9ELNS1_11target_archE1100ELNS1_3gpuE3ELNS1_3repE0EEENS1_30default_config_static_selectorELNS0_4arch9wavefront6targetE1EEEvS19_
		.amdhsa_group_segment_fixed_size 0
		.amdhsa_private_segment_fixed_size 0
		.amdhsa_kernarg_size 72
		.amdhsa_user_sgpr_count 6
		.amdhsa_user_sgpr_private_segment_buffer 1
		.amdhsa_user_sgpr_dispatch_ptr 0
		.amdhsa_user_sgpr_queue_ptr 0
		.amdhsa_user_sgpr_kernarg_segment_ptr 1
		.amdhsa_user_sgpr_dispatch_id 0
		.amdhsa_user_sgpr_flat_scratch_init 0
		.amdhsa_user_sgpr_private_segment_size 0
		.amdhsa_uses_dynamic_stack 0
		.amdhsa_system_sgpr_private_segment_wavefront_offset 0
		.amdhsa_system_sgpr_workgroup_id_x 1
		.amdhsa_system_sgpr_workgroup_id_y 0
		.amdhsa_system_sgpr_workgroup_id_z 0
		.amdhsa_system_sgpr_workgroup_info 0
		.amdhsa_system_vgpr_workitem_id 0
		.amdhsa_next_free_vgpr 1
		.amdhsa_next_free_sgpr 0
		.amdhsa_reserve_vcc 0
		.amdhsa_reserve_flat_scratch 0
		.amdhsa_float_round_mode_32 0
		.amdhsa_float_round_mode_16_64 0
		.amdhsa_float_denorm_mode_32 3
		.amdhsa_float_denorm_mode_16_64 3
		.amdhsa_dx10_clamp 1
		.amdhsa_ieee_mode 1
		.amdhsa_fp16_overflow 0
		.amdhsa_exception_fp_ieee_invalid_op 0
		.amdhsa_exception_fp_denorm_src 0
		.amdhsa_exception_fp_ieee_div_zero 0
		.amdhsa_exception_fp_ieee_overflow 0
		.amdhsa_exception_fp_ieee_underflow 0
		.amdhsa_exception_fp_ieee_inexact 0
		.amdhsa_exception_int_div_zero 0
	.end_amdhsa_kernel
	.section	.text._ZN7rocprim17ROCPRIM_400000_NS6detail17trampoline_kernelINS0_14default_configENS1_22reduce_config_selectorIN6thrust23THRUST_200600_302600_NS5tupleIblNS6_9null_typeES8_S8_S8_S8_S8_S8_S8_EEEEZNS1_11reduce_implILb1ES3_NS6_12zip_iteratorINS7_INS6_11hip_rocprim26transform_input_iterator_tIbPN3c108BFloat16ENS6_6detail10functional5actorINSJ_9compositeIJNSJ_27transparent_binary_operatorINS6_8equal_toIvEEEENSK_INSJ_8argumentILj0EEEEENSJ_5valueISG_EEEEEEEEENSD_19counting_iterator_tIlEES8_S8_S8_S8_S8_S8_S8_S8_EEEEPS9_S9_NSD_9__find_if7functorIS9_EEEE10hipError_tPvRmT1_T2_T3_mT4_P12ihipStream_tbEUlT_E1_NS1_11comp_targetILNS1_3genE9ELNS1_11target_archE1100ELNS1_3gpuE3ELNS1_3repE0EEENS1_30default_config_static_selectorELNS0_4arch9wavefront6targetE1EEEvS19_,"axG",@progbits,_ZN7rocprim17ROCPRIM_400000_NS6detail17trampoline_kernelINS0_14default_configENS1_22reduce_config_selectorIN6thrust23THRUST_200600_302600_NS5tupleIblNS6_9null_typeES8_S8_S8_S8_S8_S8_S8_EEEEZNS1_11reduce_implILb1ES3_NS6_12zip_iteratorINS7_INS6_11hip_rocprim26transform_input_iterator_tIbPN3c108BFloat16ENS6_6detail10functional5actorINSJ_9compositeIJNSJ_27transparent_binary_operatorINS6_8equal_toIvEEEENSK_INSJ_8argumentILj0EEEEENSJ_5valueISG_EEEEEEEEENSD_19counting_iterator_tIlEES8_S8_S8_S8_S8_S8_S8_S8_EEEEPS9_S9_NSD_9__find_if7functorIS9_EEEE10hipError_tPvRmT1_T2_T3_mT4_P12ihipStream_tbEUlT_E1_NS1_11comp_targetILNS1_3genE9ELNS1_11target_archE1100ELNS1_3gpuE3ELNS1_3repE0EEENS1_30default_config_static_selectorELNS0_4arch9wavefront6targetE1EEEvS19_,comdat
.Lfunc_end2104:
	.size	_ZN7rocprim17ROCPRIM_400000_NS6detail17trampoline_kernelINS0_14default_configENS1_22reduce_config_selectorIN6thrust23THRUST_200600_302600_NS5tupleIblNS6_9null_typeES8_S8_S8_S8_S8_S8_S8_EEEEZNS1_11reduce_implILb1ES3_NS6_12zip_iteratorINS7_INS6_11hip_rocprim26transform_input_iterator_tIbPN3c108BFloat16ENS6_6detail10functional5actorINSJ_9compositeIJNSJ_27transparent_binary_operatorINS6_8equal_toIvEEEENSK_INSJ_8argumentILj0EEEEENSJ_5valueISG_EEEEEEEEENSD_19counting_iterator_tIlEES8_S8_S8_S8_S8_S8_S8_S8_EEEEPS9_S9_NSD_9__find_if7functorIS9_EEEE10hipError_tPvRmT1_T2_T3_mT4_P12ihipStream_tbEUlT_E1_NS1_11comp_targetILNS1_3genE9ELNS1_11target_archE1100ELNS1_3gpuE3ELNS1_3repE0EEENS1_30default_config_static_selectorELNS0_4arch9wavefront6targetE1EEEvS19_, .Lfunc_end2104-_ZN7rocprim17ROCPRIM_400000_NS6detail17trampoline_kernelINS0_14default_configENS1_22reduce_config_selectorIN6thrust23THRUST_200600_302600_NS5tupleIblNS6_9null_typeES8_S8_S8_S8_S8_S8_S8_EEEEZNS1_11reduce_implILb1ES3_NS6_12zip_iteratorINS7_INS6_11hip_rocprim26transform_input_iterator_tIbPN3c108BFloat16ENS6_6detail10functional5actorINSJ_9compositeIJNSJ_27transparent_binary_operatorINS6_8equal_toIvEEEENSK_INSJ_8argumentILj0EEEEENSJ_5valueISG_EEEEEEEEENSD_19counting_iterator_tIlEES8_S8_S8_S8_S8_S8_S8_S8_EEEEPS9_S9_NSD_9__find_if7functorIS9_EEEE10hipError_tPvRmT1_T2_T3_mT4_P12ihipStream_tbEUlT_E1_NS1_11comp_targetILNS1_3genE9ELNS1_11target_archE1100ELNS1_3gpuE3ELNS1_3repE0EEENS1_30default_config_static_selectorELNS0_4arch9wavefront6targetE1EEEvS19_
                                        ; -- End function
	.set _ZN7rocprim17ROCPRIM_400000_NS6detail17trampoline_kernelINS0_14default_configENS1_22reduce_config_selectorIN6thrust23THRUST_200600_302600_NS5tupleIblNS6_9null_typeES8_S8_S8_S8_S8_S8_S8_EEEEZNS1_11reduce_implILb1ES3_NS6_12zip_iteratorINS7_INS6_11hip_rocprim26transform_input_iterator_tIbPN3c108BFloat16ENS6_6detail10functional5actorINSJ_9compositeIJNSJ_27transparent_binary_operatorINS6_8equal_toIvEEEENSK_INSJ_8argumentILj0EEEEENSJ_5valueISG_EEEEEEEEENSD_19counting_iterator_tIlEES8_S8_S8_S8_S8_S8_S8_S8_EEEEPS9_S9_NSD_9__find_if7functorIS9_EEEE10hipError_tPvRmT1_T2_T3_mT4_P12ihipStream_tbEUlT_E1_NS1_11comp_targetILNS1_3genE9ELNS1_11target_archE1100ELNS1_3gpuE3ELNS1_3repE0EEENS1_30default_config_static_selectorELNS0_4arch9wavefront6targetE1EEEvS19_.num_vgpr, 0
	.set _ZN7rocprim17ROCPRIM_400000_NS6detail17trampoline_kernelINS0_14default_configENS1_22reduce_config_selectorIN6thrust23THRUST_200600_302600_NS5tupleIblNS6_9null_typeES8_S8_S8_S8_S8_S8_S8_EEEEZNS1_11reduce_implILb1ES3_NS6_12zip_iteratorINS7_INS6_11hip_rocprim26transform_input_iterator_tIbPN3c108BFloat16ENS6_6detail10functional5actorINSJ_9compositeIJNSJ_27transparent_binary_operatorINS6_8equal_toIvEEEENSK_INSJ_8argumentILj0EEEEENSJ_5valueISG_EEEEEEEEENSD_19counting_iterator_tIlEES8_S8_S8_S8_S8_S8_S8_S8_EEEEPS9_S9_NSD_9__find_if7functorIS9_EEEE10hipError_tPvRmT1_T2_T3_mT4_P12ihipStream_tbEUlT_E1_NS1_11comp_targetILNS1_3genE9ELNS1_11target_archE1100ELNS1_3gpuE3ELNS1_3repE0EEENS1_30default_config_static_selectorELNS0_4arch9wavefront6targetE1EEEvS19_.num_agpr, 0
	.set _ZN7rocprim17ROCPRIM_400000_NS6detail17trampoline_kernelINS0_14default_configENS1_22reduce_config_selectorIN6thrust23THRUST_200600_302600_NS5tupleIblNS6_9null_typeES8_S8_S8_S8_S8_S8_S8_EEEEZNS1_11reduce_implILb1ES3_NS6_12zip_iteratorINS7_INS6_11hip_rocprim26transform_input_iterator_tIbPN3c108BFloat16ENS6_6detail10functional5actorINSJ_9compositeIJNSJ_27transparent_binary_operatorINS6_8equal_toIvEEEENSK_INSJ_8argumentILj0EEEEENSJ_5valueISG_EEEEEEEEENSD_19counting_iterator_tIlEES8_S8_S8_S8_S8_S8_S8_S8_EEEEPS9_S9_NSD_9__find_if7functorIS9_EEEE10hipError_tPvRmT1_T2_T3_mT4_P12ihipStream_tbEUlT_E1_NS1_11comp_targetILNS1_3genE9ELNS1_11target_archE1100ELNS1_3gpuE3ELNS1_3repE0EEENS1_30default_config_static_selectorELNS0_4arch9wavefront6targetE1EEEvS19_.numbered_sgpr, 0
	.set _ZN7rocprim17ROCPRIM_400000_NS6detail17trampoline_kernelINS0_14default_configENS1_22reduce_config_selectorIN6thrust23THRUST_200600_302600_NS5tupleIblNS6_9null_typeES8_S8_S8_S8_S8_S8_S8_EEEEZNS1_11reduce_implILb1ES3_NS6_12zip_iteratorINS7_INS6_11hip_rocprim26transform_input_iterator_tIbPN3c108BFloat16ENS6_6detail10functional5actorINSJ_9compositeIJNSJ_27transparent_binary_operatorINS6_8equal_toIvEEEENSK_INSJ_8argumentILj0EEEEENSJ_5valueISG_EEEEEEEEENSD_19counting_iterator_tIlEES8_S8_S8_S8_S8_S8_S8_S8_EEEEPS9_S9_NSD_9__find_if7functorIS9_EEEE10hipError_tPvRmT1_T2_T3_mT4_P12ihipStream_tbEUlT_E1_NS1_11comp_targetILNS1_3genE9ELNS1_11target_archE1100ELNS1_3gpuE3ELNS1_3repE0EEENS1_30default_config_static_selectorELNS0_4arch9wavefront6targetE1EEEvS19_.num_named_barrier, 0
	.set _ZN7rocprim17ROCPRIM_400000_NS6detail17trampoline_kernelINS0_14default_configENS1_22reduce_config_selectorIN6thrust23THRUST_200600_302600_NS5tupleIblNS6_9null_typeES8_S8_S8_S8_S8_S8_S8_EEEEZNS1_11reduce_implILb1ES3_NS6_12zip_iteratorINS7_INS6_11hip_rocprim26transform_input_iterator_tIbPN3c108BFloat16ENS6_6detail10functional5actorINSJ_9compositeIJNSJ_27transparent_binary_operatorINS6_8equal_toIvEEEENSK_INSJ_8argumentILj0EEEEENSJ_5valueISG_EEEEEEEEENSD_19counting_iterator_tIlEES8_S8_S8_S8_S8_S8_S8_S8_EEEEPS9_S9_NSD_9__find_if7functorIS9_EEEE10hipError_tPvRmT1_T2_T3_mT4_P12ihipStream_tbEUlT_E1_NS1_11comp_targetILNS1_3genE9ELNS1_11target_archE1100ELNS1_3gpuE3ELNS1_3repE0EEENS1_30default_config_static_selectorELNS0_4arch9wavefront6targetE1EEEvS19_.private_seg_size, 0
	.set _ZN7rocprim17ROCPRIM_400000_NS6detail17trampoline_kernelINS0_14default_configENS1_22reduce_config_selectorIN6thrust23THRUST_200600_302600_NS5tupleIblNS6_9null_typeES8_S8_S8_S8_S8_S8_S8_EEEEZNS1_11reduce_implILb1ES3_NS6_12zip_iteratorINS7_INS6_11hip_rocprim26transform_input_iterator_tIbPN3c108BFloat16ENS6_6detail10functional5actorINSJ_9compositeIJNSJ_27transparent_binary_operatorINS6_8equal_toIvEEEENSK_INSJ_8argumentILj0EEEEENSJ_5valueISG_EEEEEEEEENSD_19counting_iterator_tIlEES8_S8_S8_S8_S8_S8_S8_S8_EEEEPS9_S9_NSD_9__find_if7functorIS9_EEEE10hipError_tPvRmT1_T2_T3_mT4_P12ihipStream_tbEUlT_E1_NS1_11comp_targetILNS1_3genE9ELNS1_11target_archE1100ELNS1_3gpuE3ELNS1_3repE0EEENS1_30default_config_static_selectorELNS0_4arch9wavefront6targetE1EEEvS19_.uses_vcc, 0
	.set _ZN7rocprim17ROCPRIM_400000_NS6detail17trampoline_kernelINS0_14default_configENS1_22reduce_config_selectorIN6thrust23THRUST_200600_302600_NS5tupleIblNS6_9null_typeES8_S8_S8_S8_S8_S8_S8_EEEEZNS1_11reduce_implILb1ES3_NS6_12zip_iteratorINS7_INS6_11hip_rocprim26transform_input_iterator_tIbPN3c108BFloat16ENS6_6detail10functional5actorINSJ_9compositeIJNSJ_27transparent_binary_operatorINS6_8equal_toIvEEEENSK_INSJ_8argumentILj0EEEEENSJ_5valueISG_EEEEEEEEENSD_19counting_iterator_tIlEES8_S8_S8_S8_S8_S8_S8_S8_EEEEPS9_S9_NSD_9__find_if7functorIS9_EEEE10hipError_tPvRmT1_T2_T3_mT4_P12ihipStream_tbEUlT_E1_NS1_11comp_targetILNS1_3genE9ELNS1_11target_archE1100ELNS1_3gpuE3ELNS1_3repE0EEENS1_30default_config_static_selectorELNS0_4arch9wavefront6targetE1EEEvS19_.uses_flat_scratch, 0
	.set _ZN7rocprim17ROCPRIM_400000_NS6detail17trampoline_kernelINS0_14default_configENS1_22reduce_config_selectorIN6thrust23THRUST_200600_302600_NS5tupleIblNS6_9null_typeES8_S8_S8_S8_S8_S8_S8_EEEEZNS1_11reduce_implILb1ES3_NS6_12zip_iteratorINS7_INS6_11hip_rocprim26transform_input_iterator_tIbPN3c108BFloat16ENS6_6detail10functional5actorINSJ_9compositeIJNSJ_27transparent_binary_operatorINS6_8equal_toIvEEEENSK_INSJ_8argumentILj0EEEEENSJ_5valueISG_EEEEEEEEENSD_19counting_iterator_tIlEES8_S8_S8_S8_S8_S8_S8_S8_EEEEPS9_S9_NSD_9__find_if7functorIS9_EEEE10hipError_tPvRmT1_T2_T3_mT4_P12ihipStream_tbEUlT_E1_NS1_11comp_targetILNS1_3genE9ELNS1_11target_archE1100ELNS1_3gpuE3ELNS1_3repE0EEENS1_30default_config_static_selectorELNS0_4arch9wavefront6targetE1EEEvS19_.has_dyn_sized_stack, 0
	.set _ZN7rocprim17ROCPRIM_400000_NS6detail17trampoline_kernelINS0_14default_configENS1_22reduce_config_selectorIN6thrust23THRUST_200600_302600_NS5tupleIblNS6_9null_typeES8_S8_S8_S8_S8_S8_S8_EEEEZNS1_11reduce_implILb1ES3_NS6_12zip_iteratorINS7_INS6_11hip_rocprim26transform_input_iterator_tIbPN3c108BFloat16ENS6_6detail10functional5actorINSJ_9compositeIJNSJ_27transparent_binary_operatorINS6_8equal_toIvEEEENSK_INSJ_8argumentILj0EEEEENSJ_5valueISG_EEEEEEEEENSD_19counting_iterator_tIlEES8_S8_S8_S8_S8_S8_S8_S8_EEEEPS9_S9_NSD_9__find_if7functorIS9_EEEE10hipError_tPvRmT1_T2_T3_mT4_P12ihipStream_tbEUlT_E1_NS1_11comp_targetILNS1_3genE9ELNS1_11target_archE1100ELNS1_3gpuE3ELNS1_3repE0EEENS1_30default_config_static_selectorELNS0_4arch9wavefront6targetE1EEEvS19_.has_recursion, 0
	.set _ZN7rocprim17ROCPRIM_400000_NS6detail17trampoline_kernelINS0_14default_configENS1_22reduce_config_selectorIN6thrust23THRUST_200600_302600_NS5tupleIblNS6_9null_typeES8_S8_S8_S8_S8_S8_S8_EEEEZNS1_11reduce_implILb1ES3_NS6_12zip_iteratorINS7_INS6_11hip_rocprim26transform_input_iterator_tIbPN3c108BFloat16ENS6_6detail10functional5actorINSJ_9compositeIJNSJ_27transparent_binary_operatorINS6_8equal_toIvEEEENSK_INSJ_8argumentILj0EEEEENSJ_5valueISG_EEEEEEEEENSD_19counting_iterator_tIlEES8_S8_S8_S8_S8_S8_S8_S8_EEEEPS9_S9_NSD_9__find_if7functorIS9_EEEE10hipError_tPvRmT1_T2_T3_mT4_P12ihipStream_tbEUlT_E1_NS1_11comp_targetILNS1_3genE9ELNS1_11target_archE1100ELNS1_3gpuE3ELNS1_3repE0EEENS1_30default_config_static_selectorELNS0_4arch9wavefront6targetE1EEEvS19_.has_indirect_call, 0
	.section	.AMDGPU.csdata,"",@progbits
; Kernel info:
; codeLenInByte = 0
; TotalNumSgprs: 4
; NumVgprs: 0
; ScratchSize: 0
; MemoryBound: 0
; FloatMode: 240
; IeeeMode: 1
; LDSByteSize: 0 bytes/workgroup (compile time only)
; SGPRBlocks: 0
; VGPRBlocks: 0
; NumSGPRsForWavesPerEU: 4
; NumVGPRsForWavesPerEU: 1
; Occupancy: 10
; WaveLimiterHint : 0
; COMPUTE_PGM_RSRC2:SCRATCH_EN: 0
; COMPUTE_PGM_RSRC2:USER_SGPR: 6
; COMPUTE_PGM_RSRC2:TRAP_HANDLER: 0
; COMPUTE_PGM_RSRC2:TGID_X_EN: 1
; COMPUTE_PGM_RSRC2:TGID_Y_EN: 0
; COMPUTE_PGM_RSRC2:TGID_Z_EN: 0
; COMPUTE_PGM_RSRC2:TIDIG_COMP_CNT: 0
	.section	.text._ZN7rocprim17ROCPRIM_400000_NS6detail17trampoline_kernelINS0_14default_configENS1_22reduce_config_selectorIN6thrust23THRUST_200600_302600_NS5tupleIblNS6_9null_typeES8_S8_S8_S8_S8_S8_S8_EEEEZNS1_11reduce_implILb1ES3_NS6_12zip_iteratorINS7_INS6_11hip_rocprim26transform_input_iterator_tIbPN3c108BFloat16ENS6_6detail10functional5actorINSJ_9compositeIJNSJ_27transparent_binary_operatorINS6_8equal_toIvEEEENSK_INSJ_8argumentILj0EEEEENSJ_5valueISG_EEEEEEEEENSD_19counting_iterator_tIlEES8_S8_S8_S8_S8_S8_S8_S8_EEEEPS9_S9_NSD_9__find_if7functorIS9_EEEE10hipError_tPvRmT1_T2_T3_mT4_P12ihipStream_tbEUlT_E1_NS1_11comp_targetILNS1_3genE8ELNS1_11target_archE1030ELNS1_3gpuE2ELNS1_3repE0EEENS1_30default_config_static_selectorELNS0_4arch9wavefront6targetE1EEEvS19_,"axG",@progbits,_ZN7rocprim17ROCPRIM_400000_NS6detail17trampoline_kernelINS0_14default_configENS1_22reduce_config_selectorIN6thrust23THRUST_200600_302600_NS5tupleIblNS6_9null_typeES8_S8_S8_S8_S8_S8_S8_EEEEZNS1_11reduce_implILb1ES3_NS6_12zip_iteratorINS7_INS6_11hip_rocprim26transform_input_iterator_tIbPN3c108BFloat16ENS6_6detail10functional5actorINSJ_9compositeIJNSJ_27transparent_binary_operatorINS6_8equal_toIvEEEENSK_INSJ_8argumentILj0EEEEENSJ_5valueISG_EEEEEEEEENSD_19counting_iterator_tIlEES8_S8_S8_S8_S8_S8_S8_S8_EEEEPS9_S9_NSD_9__find_if7functorIS9_EEEE10hipError_tPvRmT1_T2_T3_mT4_P12ihipStream_tbEUlT_E1_NS1_11comp_targetILNS1_3genE8ELNS1_11target_archE1030ELNS1_3gpuE2ELNS1_3repE0EEENS1_30default_config_static_selectorELNS0_4arch9wavefront6targetE1EEEvS19_,comdat
	.protected	_ZN7rocprim17ROCPRIM_400000_NS6detail17trampoline_kernelINS0_14default_configENS1_22reduce_config_selectorIN6thrust23THRUST_200600_302600_NS5tupleIblNS6_9null_typeES8_S8_S8_S8_S8_S8_S8_EEEEZNS1_11reduce_implILb1ES3_NS6_12zip_iteratorINS7_INS6_11hip_rocprim26transform_input_iterator_tIbPN3c108BFloat16ENS6_6detail10functional5actorINSJ_9compositeIJNSJ_27transparent_binary_operatorINS6_8equal_toIvEEEENSK_INSJ_8argumentILj0EEEEENSJ_5valueISG_EEEEEEEEENSD_19counting_iterator_tIlEES8_S8_S8_S8_S8_S8_S8_S8_EEEEPS9_S9_NSD_9__find_if7functorIS9_EEEE10hipError_tPvRmT1_T2_T3_mT4_P12ihipStream_tbEUlT_E1_NS1_11comp_targetILNS1_3genE8ELNS1_11target_archE1030ELNS1_3gpuE2ELNS1_3repE0EEENS1_30default_config_static_selectorELNS0_4arch9wavefront6targetE1EEEvS19_ ; -- Begin function _ZN7rocprim17ROCPRIM_400000_NS6detail17trampoline_kernelINS0_14default_configENS1_22reduce_config_selectorIN6thrust23THRUST_200600_302600_NS5tupleIblNS6_9null_typeES8_S8_S8_S8_S8_S8_S8_EEEEZNS1_11reduce_implILb1ES3_NS6_12zip_iteratorINS7_INS6_11hip_rocprim26transform_input_iterator_tIbPN3c108BFloat16ENS6_6detail10functional5actorINSJ_9compositeIJNSJ_27transparent_binary_operatorINS6_8equal_toIvEEEENSK_INSJ_8argumentILj0EEEEENSJ_5valueISG_EEEEEEEEENSD_19counting_iterator_tIlEES8_S8_S8_S8_S8_S8_S8_S8_EEEEPS9_S9_NSD_9__find_if7functorIS9_EEEE10hipError_tPvRmT1_T2_T3_mT4_P12ihipStream_tbEUlT_E1_NS1_11comp_targetILNS1_3genE8ELNS1_11target_archE1030ELNS1_3gpuE2ELNS1_3repE0EEENS1_30default_config_static_selectorELNS0_4arch9wavefront6targetE1EEEvS19_
	.globl	_ZN7rocprim17ROCPRIM_400000_NS6detail17trampoline_kernelINS0_14default_configENS1_22reduce_config_selectorIN6thrust23THRUST_200600_302600_NS5tupleIblNS6_9null_typeES8_S8_S8_S8_S8_S8_S8_EEEEZNS1_11reduce_implILb1ES3_NS6_12zip_iteratorINS7_INS6_11hip_rocprim26transform_input_iterator_tIbPN3c108BFloat16ENS6_6detail10functional5actorINSJ_9compositeIJNSJ_27transparent_binary_operatorINS6_8equal_toIvEEEENSK_INSJ_8argumentILj0EEEEENSJ_5valueISG_EEEEEEEEENSD_19counting_iterator_tIlEES8_S8_S8_S8_S8_S8_S8_S8_EEEEPS9_S9_NSD_9__find_if7functorIS9_EEEE10hipError_tPvRmT1_T2_T3_mT4_P12ihipStream_tbEUlT_E1_NS1_11comp_targetILNS1_3genE8ELNS1_11target_archE1030ELNS1_3gpuE2ELNS1_3repE0EEENS1_30default_config_static_selectorELNS0_4arch9wavefront6targetE1EEEvS19_
	.p2align	8
	.type	_ZN7rocprim17ROCPRIM_400000_NS6detail17trampoline_kernelINS0_14default_configENS1_22reduce_config_selectorIN6thrust23THRUST_200600_302600_NS5tupleIblNS6_9null_typeES8_S8_S8_S8_S8_S8_S8_EEEEZNS1_11reduce_implILb1ES3_NS6_12zip_iteratorINS7_INS6_11hip_rocprim26transform_input_iterator_tIbPN3c108BFloat16ENS6_6detail10functional5actorINSJ_9compositeIJNSJ_27transparent_binary_operatorINS6_8equal_toIvEEEENSK_INSJ_8argumentILj0EEEEENSJ_5valueISG_EEEEEEEEENSD_19counting_iterator_tIlEES8_S8_S8_S8_S8_S8_S8_S8_EEEEPS9_S9_NSD_9__find_if7functorIS9_EEEE10hipError_tPvRmT1_T2_T3_mT4_P12ihipStream_tbEUlT_E1_NS1_11comp_targetILNS1_3genE8ELNS1_11target_archE1030ELNS1_3gpuE2ELNS1_3repE0EEENS1_30default_config_static_selectorELNS0_4arch9wavefront6targetE1EEEvS19_,@function
_ZN7rocprim17ROCPRIM_400000_NS6detail17trampoline_kernelINS0_14default_configENS1_22reduce_config_selectorIN6thrust23THRUST_200600_302600_NS5tupleIblNS6_9null_typeES8_S8_S8_S8_S8_S8_S8_EEEEZNS1_11reduce_implILb1ES3_NS6_12zip_iteratorINS7_INS6_11hip_rocprim26transform_input_iterator_tIbPN3c108BFloat16ENS6_6detail10functional5actorINSJ_9compositeIJNSJ_27transparent_binary_operatorINS6_8equal_toIvEEEENSK_INSJ_8argumentILj0EEEEENSJ_5valueISG_EEEEEEEEENSD_19counting_iterator_tIlEES8_S8_S8_S8_S8_S8_S8_S8_EEEEPS9_S9_NSD_9__find_if7functorIS9_EEEE10hipError_tPvRmT1_T2_T3_mT4_P12ihipStream_tbEUlT_E1_NS1_11comp_targetILNS1_3genE8ELNS1_11target_archE1030ELNS1_3gpuE2ELNS1_3repE0EEENS1_30default_config_static_selectorELNS0_4arch9wavefront6targetE1EEEvS19_: ; @_ZN7rocprim17ROCPRIM_400000_NS6detail17trampoline_kernelINS0_14default_configENS1_22reduce_config_selectorIN6thrust23THRUST_200600_302600_NS5tupleIblNS6_9null_typeES8_S8_S8_S8_S8_S8_S8_EEEEZNS1_11reduce_implILb1ES3_NS6_12zip_iteratorINS7_INS6_11hip_rocprim26transform_input_iterator_tIbPN3c108BFloat16ENS6_6detail10functional5actorINSJ_9compositeIJNSJ_27transparent_binary_operatorINS6_8equal_toIvEEEENSK_INSJ_8argumentILj0EEEEENSJ_5valueISG_EEEEEEEEENSD_19counting_iterator_tIlEES8_S8_S8_S8_S8_S8_S8_S8_EEEEPS9_S9_NSD_9__find_if7functorIS9_EEEE10hipError_tPvRmT1_T2_T3_mT4_P12ihipStream_tbEUlT_E1_NS1_11comp_targetILNS1_3genE8ELNS1_11target_archE1030ELNS1_3gpuE2ELNS1_3repE0EEENS1_30default_config_static_selectorELNS0_4arch9wavefront6targetE1EEEvS19_
; %bb.0:
	.section	.rodata,"a",@progbits
	.p2align	6, 0x0
	.amdhsa_kernel _ZN7rocprim17ROCPRIM_400000_NS6detail17trampoline_kernelINS0_14default_configENS1_22reduce_config_selectorIN6thrust23THRUST_200600_302600_NS5tupleIblNS6_9null_typeES8_S8_S8_S8_S8_S8_S8_EEEEZNS1_11reduce_implILb1ES3_NS6_12zip_iteratorINS7_INS6_11hip_rocprim26transform_input_iterator_tIbPN3c108BFloat16ENS6_6detail10functional5actorINSJ_9compositeIJNSJ_27transparent_binary_operatorINS6_8equal_toIvEEEENSK_INSJ_8argumentILj0EEEEENSJ_5valueISG_EEEEEEEEENSD_19counting_iterator_tIlEES8_S8_S8_S8_S8_S8_S8_S8_EEEEPS9_S9_NSD_9__find_if7functorIS9_EEEE10hipError_tPvRmT1_T2_T3_mT4_P12ihipStream_tbEUlT_E1_NS1_11comp_targetILNS1_3genE8ELNS1_11target_archE1030ELNS1_3gpuE2ELNS1_3repE0EEENS1_30default_config_static_selectorELNS0_4arch9wavefront6targetE1EEEvS19_
		.amdhsa_group_segment_fixed_size 0
		.amdhsa_private_segment_fixed_size 0
		.amdhsa_kernarg_size 72
		.amdhsa_user_sgpr_count 6
		.amdhsa_user_sgpr_private_segment_buffer 1
		.amdhsa_user_sgpr_dispatch_ptr 0
		.amdhsa_user_sgpr_queue_ptr 0
		.amdhsa_user_sgpr_kernarg_segment_ptr 1
		.amdhsa_user_sgpr_dispatch_id 0
		.amdhsa_user_sgpr_flat_scratch_init 0
		.amdhsa_user_sgpr_private_segment_size 0
		.amdhsa_uses_dynamic_stack 0
		.amdhsa_system_sgpr_private_segment_wavefront_offset 0
		.amdhsa_system_sgpr_workgroup_id_x 1
		.amdhsa_system_sgpr_workgroup_id_y 0
		.amdhsa_system_sgpr_workgroup_id_z 0
		.amdhsa_system_sgpr_workgroup_info 0
		.amdhsa_system_vgpr_workitem_id 0
		.amdhsa_next_free_vgpr 1
		.amdhsa_next_free_sgpr 0
		.amdhsa_reserve_vcc 0
		.amdhsa_reserve_flat_scratch 0
		.amdhsa_float_round_mode_32 0
		.amdhsa_float_round_mode_16_64 0
		.amdhsa_float_denorm_mode_32 3
		.amdhsa_float_denorm_mode_16_64 3
		.amdhsa_dx10_clamp 1
		.amdhsa_ieee_mode 1
		.amdhsa_fp16_overflow 0
		.amdhsa_exception_fp_ieee_invalid_op 0
		.amdhsa_exception_fp_denorm_src 0
		.amdhsa_exception_fp_ieee_div_zero 0
		.amdhsa_exception_fp_ieee_overflow 0
		.amdhsa_exception_fp_ieee_underflow 0
		.amdhsa_exception_fp_ieee_inexact 0
		.amdhsa_exception_int_div_zero 0
	.end_amdhsa_kernel
	.section	.text._ZN7rocprim17ROCPRIM_400000_NS6detail17trampoline_kernelINS0_14default_configENS1_22reduce_config_selectorIN6thrust23THRUST_200600_302600_NS5tupleIblNS6_9null_typeES8_S8_S8_S8_S8_S8_S8_EEEEZNS1_11reduce_implILb1ES3_NS6_12zip_iteratorINS7_INS6_11hip_rocprim26transform_input_iterator_tIbPN3c108BFloat16ENS6_6detail10functional5actorINSJ_9compositeIJNSJ_27transparent_binary_operatorINS6_8equal_toIvEEEENSK_INSJ_8argumentILj0EEEEENSJ_5valueISG_EEEEEEEEENSD_19counting_iterator_tIlEES8_S8_S8_S8_S8_S8_S8_S8_EEEEPS9_S9_NSD_9__find_if7functorIS9_EEEE10hipError_tPvRmT1_T2_T3_mT4_P12ihipStream_tbEUlT_E1_NS1_11comp_targetILNS1_3genE8ELNS1_11target_archE1030ELNS1_3gpuE2ELNS1_3repE0EEENS1_30default_config_static_selectorELNS0_4arch9wavefront6targetE1EEEvS19_,"axG",@progbits,_ZN7rocprim17ROCPRIM_400000_NS6detail17trampoline_kernelINS0_14default_configENS1_22reduce_config_selectorIN6thrust23THRUST_200600_302600_NS5tupleIblNS6_9null_typeES8_S8_S8_S8_S8_S8_S8_EEEEZNS1_11reduce_implILb1ES3_NS6_12zip_iteratorINS7_INS6_11hip_rocprim26transform_input_iterator_tIbPN3c108BFloat16ENS6_6detail10functional5actorINSJ_9compositeIJNSJ_27transparent_binary_operatorINS6_8equal_toIvEEEENSK_INSJ_8argumentILj0EEEEENSJ_5valueISG_EEEEEEEEENSD_19counting_iterator_tIlEES8_S8_S8_S8_S8_S8_S8_S8_EEEEPS9_S9_NSD_9__find_if7functorIS9_EEEE10hipError_tPvRmT1_T2_T3_mT4_P12ihipStream_tbEUlT_E1_NS1_11comp_targetILNS1_3genE8ELNS1_11target_archE1030ELNS1_3gpuE2ELNS1_3repE0EEENS1_30default_config_static_selectorELNS0_4arch9wavefront6targetE1EEEvS19_,comdat
.Lfunc_end2105:
	.size	_ZN7rocprim17ROCPRIM_400000_NS6detail17trampoline_kernelINS0_14default_configENS1_22reduce_config_selectorIN6thrust23THRUST_200600_302600_NS5tupleIblNS6_9null_typeES8_S8_S8_S8_S8_S8_S8_EEEEZNS1_11reduce_implILb1ES3_NS6_12zip_iteratorINS7_INS6_11hip_rocprim26transform_input_iterator_tIbPN3c108BFloat16ENS6_6detail10functional5actorINSJ_9compositeIJNSJ_27transparent_binary_operatorINS6_8equal_toIvEEEENSK_INSJ_8argumentILj0EEEEENSJ_5valueISG_EEEEEEEEENSD_19counting_iterator_tIlEES8_S8_S8_S8_S8_S8_S8_S8_EEEEPS9_S9_NSD_9__find_if7functorIS9_EEEE10hipError_tPvRmT1_T2_T3_mT4_P12ihipStream_tbEUlT_E1_NS1_11comp_targetILNS1_3genE8ELNS1_11target_archE1030ELNS1_3gpuE2ELNS1_3repE0EEENS1_30default_config_static_selectorELNS0_4arch9wavefront6targetE1EEEvS19_, .Lfunc_end2105-_ZN7rocprim17ROCPRIM_400000_NS6detail17trampoline_kernelINS0_14default_configENS1_22reduce_config_selectorIN6thrust23THRUST_200600_302600_NS5tupleIblNS6_9null_typeES8_S8_S8_S8_S8_S8_S8_EEEEZNS1_11reduce_implILb1ES3_NS6_12zip_iteratorINS7_INS6_11hip_rocprim26transform_input_iterator_tIbPN3c108BFloat16ENS6_6detail10functional5actorINSJ_9compositeIJNSJ_27transparent_binary_operatorINS6_8equal_toIvEEEENSK_INSJ_8argumentILj0EEEEENSJ_5valueISG_EEEEEEEEENSD_19counting_iterator_tIlEES8_S8_S8_S8_S8_S8_S8_S8_EEEEPS9_S9_NSD_9__find_if7functorIS9_EEEE10hipError_tPvRmT1_T2_T3_mT4_P12ihipStream_tbEUlT_E1_NS1_11comp_targetILNS1_3genE8ELNS1_11target_archE1030ELNS1_3gpuE2ELNS1_3repE0EEENS1_30default_config_static_selectorELNS0_4arch9wavefront6targetE1EEEvS19_
                                        ; -- End function
	.set _ZN7rocprim17ROCPRIM_400000_NS6detail17trampoline_kernelINS0_14default_configENS1_22reduce_config_selectorIN6thrust23THRUST_200600_302600_NS5tupleIblNS6_9null_typeES8_S8_S8_S8_S8_S8_S8_EEEEZNS1_11reduce_implILb1ES3_NS6_12zip_iteratorINS7_INS6_11hip_rocprim26transform_input_iterator_tIbPN3c108BFloat16ENS6_6detail10functional5actorINSJ_9compositeIJNSJ_27transparent_binary_operatorINS6_8equal_toIvEEEENSK_INSJ_8argumentILj0EEEEENSJ_5valueISG_EEEEEEEEENSD_19counting_iterator_tIlEES8_S8_S8_S8_S8_S8_S8_S8_EEEEPS9_S9_NSD_9__find_if7functorIS9_EEEE10hipError_tPvRmT1_T2_T3_mT4_P12ihipStream_tbEUlT_E1_NS1_11comp_targetILNS1_3genE8ELNS1_11target_archE1030ELNS1_3gpuE2ELNS1_3repE0EEENS1_30default_config_static_selectorELNS0_4arch9wavefront6targetE1EEEvS19_.num_vgpr, 0
	.set _ZN7rocprim17ROCPRIM_400000_NS6detail17trampoline_kernelINS0_14default_configENS1_22reduce_config_selectorIN6thrust23THRUST_200600_302600_NS5tupleIblNS6_9null_typeES8_S8_S8_S8_S8_S8_S8_EEEEZNS1_11reduce_implILb1ES3_NS6_12zip_iteratorINS7_INS6_11hip_rocprim26transform_input_iterator_tIbPN3c108BFloat16ENS6_6detail10functional5actorINSJ_9compositeIJNSJ_27transparent_binary_operatorINS6_8equal_toIvEEEENSK_INSJ_8argumentILj0EEEEENSJ_5valueISG_EEEEEEEEENSD_19counting_iterator_tIlEES8_S8_S8_S8_S8_S8_S8_S8_EEEEPS9_S9_NSD_9__find_if7functorIS9_EEEE10hipError_tPvRmT1_T2_T3_mT4_P12ihipStream_tbEUlT_E1_NS1_11comp_targetILNS1_3genE8ELNS1_11target_archE1030ELNS1_3gpuE2ELNS1_3repE0EEENS1_30default_config_static_selectorELNS0_4arch9wavefront6targetE1EEEvS19_.num_agpr, 0
	.set _ZN7rocprim17ROCPRIM_400000_NS6detail17trampoline_kernelINS0_14default_configENS1_22reduce_config_selectorIN6thrust23THRUST_200600_302600_NS5tupleIblNS6_9null_typeES8_S8_S8_S8_S8_S8_S8_EEEEZNS1_11reduce_implILb1ES3_NS6_12zip_iteratorINS7_INS6_11hip_rocprim26transform_input_iterator_tIbPN3c108BFloat16ENS6_6detail10functional5actorINSJ_9compositeIJNSJ_27transparent_binary_operatorINS6_8equal_toIvEEEENSK_INSJ_8argumentILj0EEEEENSJ_5valueISG_EEEEEEEEENSD_19counting_iterator_tIlEES8_S8_S8_S8_S8_S8_S8_S8_EEEEPS9_S9_NSD_9__find_if7functorIS9_EEEE10hipError_tPvRmT1_T2_T3_mT4_P12ihipStream_tbEUlT_E1_NS1_11comp_targetILNS1_3genE8ELNS1_11target_archE1030ELNS1_3gpuE2ELNS1_3repE0EEENS1_30default_config_static_selectorELNS0_4arch9wavefront6targetE1EEEvS19_.numbered_sgpr, 0
	.set _ZN7rocprim17ROCPRIM_400000_NS6detail17trampoline_kernelINS0_14default_configENS1_22reduce_config_selectorIN6thrust23THRUST_200600_302600_NS5tupleIblNS6_9null_typeES8_S8_S8_S8_S8_S8_S8_EEEEZNS1_11reduce_implILb1ES3_NS6_12zip_iteratorINS7_INS6_11hip_rocprim26transform_input_iterator_tIbPN3c108BFloat16ENS6_6detail10functional5actorINSJ_9compositeIJNSJ_27transparent_binary_operatorINS6_8equal_toIvEEEENSK_INSJ_8argumentILj0EEEEENSJ_5valueISG_EEEEEEEEENSD_19counting_iterator_tIlEES8_S8_S8_S8_S8_S8_S8_S8_EEEEPS9_S9_NSD_9__find_if7functorIS9_EEEE10hipError_tPvRmT1_T2_T3_mT4_P12ihipStream_tbEUlT_E1_NS1_11comp_targetILNS1_3genE8ELNS1_11target_archE1030ELNS1_3gpuE2ELNS1_3repE0EEENS1_30default_config_static_selectorELNS0_4arch9wavefront6targetE1EEEvS19_.num_named_barrier, 0
	.set _ZN7rocprim17ROCPRIM_400000_NS6detail17trampoline_kernelINS0_14default_configENS1_22reduce_config_selectorIN6thrust23THRUST_200600_302600_NS5tupleIblNS6_9null_typeES8_S8_S8_S8_S8_S8_S8_EEEEZNS1_11reduce_implILb1ES3_NS6_12zip_iteratorINS7_INS6_11hip_rocprim26transform_input_iterator_tIbPN3c108BFloat16ENS6_6detail10functional5actorINSJ_9compositeIJNSJ_27transparent_binary_operatorINS6_8equal_toIvEEEENSK_INSJ_8argumentILj0EEEEENSJ_5valueISG_EEEEEEEEENSD_19counting_iterator_tIlEES8_S8_S8_S8_S8_S8_S8_S8_EEEEPS9_S9_NSD_9__find_if7functorIS9_EEEE10hipError_tPvRmT1_T2_T3_mT4_P12ihipStream_tbEUlT_E1_NS1_11comp_targetILNS1_3genE8ELNS1_11target_archE1030ELNS1_3gpuE2ELNS1_3repE0EEENS1_30default_config_static_selectorELNS0_4arch9wavefront6targetE1EEEvS19_.private_seg_size, 0
	.set _ZN7rocprim17ROCPRIM_400000_NS6detail17trampoline_kernelINS0_14default_configENS1_22reduce_config_selectorIN6thrust23THRUST_200600_302600_NS5tupleIblNS6_9null_typeES8_S8_S8_S8_S8_S8_S8_EEEEZNS1_11reduce_implILb1ES3_NS6_12zip_iteratorINS7_INS6_11hip_rocprim26transform_input_iterator_tIbPN3c108BFloat16ENS6_6detail10functional5actorINSJ_9compositeIJNSJ_27transparent_binary_operatorINS6_8equal_toIvEEEENSK_INSJ_8argumentILj0EEEEENSJ_5valueISG_EEEEEEEEENSD_19counting_iterator_tIlEES8_S8_S8_S8_S8_S8_S8_S8_EEEEPS9_S9_NSD_9__find_if7functorIS9_EEEE10hipError_tPvRmT1_T2_T3_mT4_P12ihipStream_tbEUlT_E1_NS1_11comp_targetILNS1_3genE8ELNS1_11target_archE1030ELNS1_3gpuE2ELNS1_3repE0EEENS1_30default_config_static_selectorELNS0_4arch9wavefront6targetE1EEEvS19_.uses_vcc, 0
	.set _ZN7rocprim17ROCPRIM_400000_NS6detail17trampoline_kernelINS0_14default_configENS1_22reduce_config_selectorIN6thrust23THRUST_200600_302600_NS5tupleIblNS6_9null_typeES8_S8_S8_S8_S8_S8_S8_EEEEZNS1_11reduce_implILb1ES3_NS6_12zip_iteratorINS7_INS6_11hip_rocprim26transform_input_iterator_tIbPN3c108BFloat16ENS6_6detail10functional5actorINSJ_9compositeIJNSJ_27transparent_binary_operatorINS6_8equal_toIvEEEENSK_INSJ_8argumentILj0EEEEENSJ_5valueISG_EEEEEEEEENSD_19counting_iterator_tIlEES8_S8_S8_S8_S8_S8_S8_S8_EEEEPS9_S9_NSD_9__find_if7functorIS9_EEEE10hipError_tPvRmT1_T2_T3_mT4_P12ihipStream_tbEUlT_E1_NS1_11comp_targetILNS1_3genE8ELNS1_11target_archE1030ELNS1_3gpuE2ELNS1_3repE0EEENS1_30default_config_static_selectorELNS0_4arch9wavefront6targetE1EEEvS19_.uses_flat_scratch, 0
	.set _ZN7rocprim17ROCPRIM_400000_NS6detail17trampoline_kernelINS0_14default_configENS1_22reduce_config_selectorIN6thrust23THRUST_200600_302600_NS5tupleIblNS6_9null_typeES8_S8_S8_S8_S8_S8_S8_EEEEZNS1_11reduce_implILb1ES3_NS6_12zip_iteratorINS7_INS6_11hip_rocprim26transform_input_iterator_tIbPN3c108BFloat16ENS6_6detail10functional5actorINSJ_9compositeIJNSJ_27transparent_binary_operatorINS6_8equal_toIvEEEENSK_INSJ_8argumentILj0EEEEENSJ_5valueISG_EEEEEEEEENSD_19counting_iterator_tIlEES8_S8_S8_S8_S8_S8_S8_S8_EEEEPS9_S9_NSD_9__find_if7functorIS9_EEEE10hipError_tPvRmT1_T2_T3_mT4_P12ihipStream_tbEUlT_E1_NS1_11comp_targetILNS1_3genE8ELNS1_11target_archE1030ELNS1_3gpuE2ELNS1_3repE0EEENS1_30default_config_static_selectorELNS0_4arch9wavefront6targetE1EEEvS19_.has_dyn_sized_stack, 0
	.set _ZN7rocprim17ROCPRIM_400000_NS6detail17trampoline_kernelINS0_14default_configENS1_22reduce_config_selectorIN6thrust23THRUST_200600_302600_NS5tupleIblNS6_9null_typeES8_S8_S8_S8_S8_S8_S8_EEEEZNS1_11reduce_implILb1ES3_NS6_12zip_iteratorINS7_INS6_11hip_rocprim26transform_input_iterator_tIbPN3c108BFloat16ENS6_6detail10functional5actorINSJ_9compositeIJNSJ_27transparent_binary_operatorINS6_8equal_toIvEEEENSK_INSJ_8argumentILj0EEEEENSJ_5valueISG_EEEEEEEEENSD_19counting_iterator_tIlEES8_S8_S8_S8_S8_S8_S8_S8_EEEEPS9_S9_NSD_9__find_if7functorIS9_EEEE10hipError_tPvRmT1_T2_T3_mT4_P12ihipStream_tbEUlT_E1_NS1_11comp_targetILNS1_3genE8ELNS1_11target_archE1030ELNS1_3gpuE2ELNS1_3repE0EEENS1_30default_config_static_selectorELNS0_4arch9wavefront6targetE1EEEvS19_.has_recursion, 0
	.set _ZN7rocprim17ROCPRIM_400000_NS6detail17trampoline_kernelINS0_14default_configENS1_22reduce_config_selectorIN6thrust23THRUST_200600_302600_NS5tupleIblNS6_9null_typeES8_S8_S8_S8_S8_S8_S8_EEEEZNS1_11reduce_implILb1ES3_NS6_12zip_iteratorINS7_INS6_11hip_rocprim26transform_input_iterator_tIbPN3c108BFloat16ENS6_6detail10functional5actorINSJ_9compositeIJNSJ_27transparent_binary_operatorINS6_8equal_toIvEEEENSK_INSJ_8argumentILj0EEEEENSJ_5valueISG_EEEEEEEEENSD_19counting_iterator_tIlEES8_S8_S8_S8_S8_S8_S8_S8_EEEEPS9_S9_NSD_9__find_if7functorIS9_EEEE10hipError_tPvRmT1_T2_T3_mT4_P12ihipStream_tbEUlT_E1_NS1_11comp_targetILNS1_3genE8ELNS1_11target_archE1030ELNS1_3gpuE2ELNS1_3repE0EEENS1_30default_config_static_selectorELNS0_4arch9wavefront6targetE1EEEvS19_.has_indirect_call, 0
	.section	.AMDGPU.csdata,"",@progbits
; Kernel info:
; codeLenInByte = 0
; TotalNumSgprs: 4
; NumVgprs: 0
; ScratchSize: 0
; MemoryBound: 0
; FloatMode: 240
; IeeeMode: 1
; LDSByteSize: 0 bytes/workgroup (compile time only)
; SGPRBlocks: 0
; VGPRBlocks: 0
; NumSGPRsForWavesPerEU: 4
; NumVGPRsForWavesPerEU: 1
; Occupancy: 10
; WaveLimiterHint : 0
; COMPUTE_PGM_RSRC2:SCRATCH_EN: 0
; COMPUTE_PGM_RSRC2:USER_SGPR: 6
; COMPUTE_PGM_RSRC2:TRAP_HANDLER: 0
; COMPUTE_PGM_RSRC2:TGID_X_EN: 1
; COMPUTE_PGM_RSRC2:TGID_Y_EN: 0
; COMPUTE_PGM_RSRC2:TGID_Z_EN: 0
; COMPUTE_PGM_RSRC2:TIDIG_COMP_CNT: 0
	.section	.text._ZN7rocprim17ROCPRIM_400000_NS6detail44device_merge_sort_compile_time_verifier_archINS1_11comp_targetILNS1_3genE0ELNS1_11target_archE4294967295ELNS1_3gpuE0ELNS1_3repE0EEES8_NS0_14default_configES9_NS1_37merge_sort_block_sort_config_selectorIN3c104HalfElEENS1_38merge_sort_block_merge_config_selectorISC_lEEEEvv,"axG",@progbits,_ZN7rocprim17ROCPRIM_400000_NS6detail44device_merge_sort_compile_time_verifier_archINS1_11comp_targetILNS1_3genE0ELNS1_11target_archE4294967295ELNS1_3gpuE0ELNS1_3repE0EEES8_NS0_14default_configES9_NS1_37merge_sort_block_sort_config_selectorIN3c104HalfElEENS1_38merge_sort_block_merge_config_selectorISC_lEEEEvv,comdat
	.protected	_ZN7rocprim17ROCPRIM_400000_NS6detail44device_merge_sort_compile_time_verifier_archINS1_11comp_targetILNS1_3genE0ELNS1_11target_archE4294967295ELNS1_3gpuE0ELNS1_3repE0EEES8_NS0_14default_configES9_NS1_37merge_sort_block_sort_config_selectorIN3c104HalfElEENS1_38merge_sort_block_merge_config_selectorISC_lEEEEvv ; -- Begin function _ZN7rocprim17ROCPRIM_400000_NS6detail44device_merge_sort_compile_time_verifier_archINS1_11comp_targetILNS1_3genE0ELNS1_11target_archE4294967295ELNS1_3gpuE0ELNS1_3repE0EEES8_NS0_14default_configES9_NS1_37merge_sort_block_sort_config_selectorIN3c104HalfElEENS1_38merge_sort_block_merge_config_selectorISC_lEEEEvv
	.globl	_ZN7rocprim17ROCPRIM_400000_NS6detail44device_merge_sort_compile_time_verifier_archINS1_11comp_targetILNS1_3genE0ELNS1_11target_archE4294967295ELNS1_3gpuE0ELNS1_3repE0EEES8_NS0_14default_configES9_NS1_37merge_sort_block_sort_config_selectorIN3c104HalfElEENS1_38merge_sort_block_merge_config_selectorISC_lEEEEvv
	.p2align	8
	.type	_ZN7rocprim17ROCPRIM_400000_NS6detail44device_merge_sort_compile_time_verifier_archINS1_11comp_targetILNS1_3genE0ELNS1_11target_archE4294967295ELNS1_3gpuE0ELNS1_3repE0EEES8_NS0_14default_configES9_NS1_37merge_sort_block_sort_config_selectorIN3c104HalfElEENS1_38merge_sort_block_merge_config_selectorISC_lEEEEvv,@function
_ZN7rocprim17ROCPRIM_400000_NS6detail44device_merge_sort_compile_time_verifier_archINS1_11comp_targetILNS1_3genE0ELNS1_11target_archE4294967295ELNS1_3gpuE0ELNS1_3repE0EEES8_NS0_14default_configES9_NS1_37merge_sort_block_sort_config_selectorIN3c104HalfElEENS1_38merge_sort_block_merge_config_selectorISC_lEEEEvv: ; @_ZN7rocprim17ROCPRIM_400000_NS6detail44device_merge_sort_compile_time_verifier_archINS1_11comp_targetILNS1_3genE0ELNS1_11target_archE4294967295ELNS1_3gpuE0ELNS1_3repE0EEES8_NS0_14default_configES9_NS1_37merge_sort_block_sort_config_selectorIN3c104HalfElEENS1_38merge_sort_block_merge_config_selectorISC_lEEEEvv
; %bb.0:
	s_endpgm
	.section	.rodata,"a",@progbits
	.p2align	6, 0x0
	.amdhsa_kernel _ZN7rocprim17ROCPRIM_400000_NS6detail44device_merge_sort_compile_time_verifier_archINS1_11comp_targetILNS1_3genE0ELNS1_11target_archE4294967295ELNS1_3gpuE0ELNS1_3repE0EEES8_NS0_14default_configES9_NS1_37merge_sort_block_sort_config_selectorIN3c104HalfElEENS1_38merge_sort_block_merge_config_selectorISC_lEEEEvv
		.amdhsa_group_segment_fixed_size 0
		.amdhsa_private_segment_fixed_size 0
		.amdhsa_kernarg_size 0
		.amdhsa_user_sgpr_count 4
		.amdhsa_user_sgpr_private_segment_buffer 1
		.amdhsa_user_sgpr_dispatch_ptr 0
		.amdhsa_user_sgpr_queue_ptr 0
		.amdhsa_user_sgpr_kernarg_segment_ptr 0
		.amdhsa_user_sgpr_dispatch_id 0
		.amdhsa_user_sgpr_flat_scratch_init 0
		.amdhsa_user_sgpr_private_segment_size 0
		.amdhsa_uses_dynamic_stack 0
		.amdhsa_system_sgpr_private_segment_wavefront_offset 0
		.amdhsa_system_sgpr_workgroup_id_x 1
		.amdhsa_system_sgpr_workgroup_id_y 0
		.amdhsa_system_sgpr_workgroup_id_z 0
		.amdhsa_system_sgpr_workgroup_info 0
		.amdhsa_system_vgpr_workitem_id 0
		.amdhsa_next_free_vgpr 1
		.amdhsa_next_free_sgpr 0
		.amdhsa_reserve_vcc 0
		.amdhsa_reserve_flat_scratch 0
		.amdhsa_float_round_mode_32 0
		.amdhsa_float_round_mode_16_64 0
		.amdhsa_float_denorm_mode_32 3
		.amdhsa_float_denorm_mode_16_64 3
		.amdhsa_dx10_clamp 1
		.amdhsa_ieee_mode 1
		.amdhsa_fp16_overflow 0
		.amdhsa_exception_fp_ieee_invalid_op 0
		.amdhsa_exception_fp_denorm_src 0
		.amdhsa_exception_fp_ieee_div_zero 0
		.amdhsa_exception_fp_ieee_overflow 0
		.amdhsa_exception_fp_ieee_underflow 0
		.amdhsa_exception_fp_ieee_inexact 0
		.amdhsa_exception_int_div_zero 0
	.end_amdhsa_kernel
	.section	.text._ZN7rocprim17ROCPRIM_400000_NS6detail44device_merge_sort_compile_time_verifier_archINS1_11comp_targetILNS1_3genE0ELNS1_11target_archE4294967295ELNS1_3gpuE0ELNS1_3repE0EEES8_NS0_14default_configES9_NS1_37merge_sort_block_sort_config_selectorIN3c104HalfElEENS1_38merge_sort_block_merge_config_selectorISC_lEEEEvv,"axG",@progbits,_ZN7rocprim17ROCPRIM_400000_NS6detail44device_merge_sort_compile_time_verifier_archINS1_11comp_targetILNS1_3genE0ELNS1_11target_archE4294967295ELNS1_3gpuE0ELNS1_3repE0EEES8_NS0_14default_configES9_NS1_37merge_sort_block_sort_config_selectorIN3c104HalfElEENS1_38merge_sort_block_merge_config_selectorISC_lEEEEvv,comdat
.Lfunc_end2106:
	.size	_ZN7rocprim17ROCPRIM_400000_NS6detail44device_merge_sort_compile_time_verifier_archINS1_11comp_targetILNS1_3genE0ELNS1_11target_archE4294967295ELNS1_3gpuE0ELNS1_3repE0EEES8_NS0_14default_configES9_NS1_37merge_sort_block_sort_config_selectorIN3c104HalfElEENS1_38merge_sort_block_merge_config_selectorISC_lEEEEvv, .Lfunc_end2106-_ZN7rocprim17ROCPRIM_400000_NS6detail44device_merge_sort_compile_time_verifier_archINS1_11comp_targetILNS1_3genE0ELNS1_11target_archE4294967295ELNS1_3gpuE0ELNS1_3repE0EEES8_NS0_14default_configES9_NS1_37merge_sort_block_sort_config_selectorIN3c104HalfElEENS1_38merge_sort_block_merge_config_selectorISC_lEEEEvv
                                        ; -- End function
	.set _ZN7rocprim17ROCPRIM_400000_NS6detail44device_merge_sort_compile_time_verifier_archINS1_11comp_targetILNS1_3genE0ELNS1_11target_archE4294967295ELNS1_3gpuE0ELNS1_3repE0EEES8_NS0_14default_configES9_NS1_37merge_sort_block_sort_config_selectorIN3c104HalfElEENS1_38merge_sort_block_merge_config_selectorISC_lEEEEvv.num_vgpr, 0
	.set _ZN7rocprim17ROCPRIM_400000_NS6detail44device_merge_sort_compile_time_verifier_archINS1_11comp_targetILNS1_3genE0ELNS1_11target_archE4294967295ELNS1_3gpuE0ELNS1_3repE0EEES8_NS0_14default_configES9_NS1_37merge_sort_block_sort_config_selectorIN3c104HalfElEENS1_38merge_sort_block_merge_config_selectorISC_lEEEEvv.num_agpr, 0
	.set _ZN7rocprim17ROCPRIM_400000_NS6detail44device_merge_sort_compile_time_verifier_archINS1_11comp_targetILNS1_3genE0ELNS1_11target_archE4294967295ELNS1_3gpuE0ELNS1_3repE0EEES8_NS0_14default_configES9_NS1_37merge_sort_block_sort_config_selectorIN3c104HalfElEENS1_38merge_sort_block_merge_config_selectorISC_lEEEEvv.numbered_sgpr, 0
	.set _ZN7rocprim17ROCPRIM_400000_NS6detail44device_merge_sort_compile_time_verifier_archINS1_11comp_targetILNS1_3genE0ELNS1_11target_archE4294967295ELNS1_3gpuE0ELNS1_3repE0EEES8_NS0_14default_configES9_NS1_37merge_sort_block_sort_config_selectorIN3c104HalfElEENS1_38merge_sort_block_merge_config_selectorISC_lEEEEvv.num_named_barrier, 0
	.set _ZN7rocprim17ROCPRIM_400000_NS6detail44device_merge_sort_compile_time_verifier_archINS1_11comp_targetILNS1_3genE0ELNS1_11target_archE4294967295ELNS1_3gpuE0ELNS1_3repE0EEES8_NS0_14default_configES9_NS1_37merge_sort_block_sort_config_selectorIN3c104HalfElEENS1_38merge_sort_block_merge_config_selectorISC_lEEEEvv.private_seg_size, 0
	.set _ZN7rocprim17ROCPRIM_400000_NS6detail44device_merge_sort_compile_time_verifier_archINS1_11comp_targetILNS1_3genE0ELNS1_11target_archE4294967295ELNS1_3gpuE0ELNS1_3repE0EEES8_NS0_14default_configES9_NS1_37merge_sort_block_sort_config_selectorIN3c104HalfElEENS1_38merge_sort_block_merge_config_selectorISC_lEEEEvv.uses_vcc, 0
	.set _ZN7rocprim17ROCPRIM_400000_NS6detail44device_merge_sort_compile_time_verifier_archINS1_11comp_targetILNS1_3genE0ELNS1_11target_archE4294967295ELNS1_3gpuE0ELNS1_3repE0EEES8_NS0_14default_configES9_NS1_37merge_sort_block_sort_config_selectorIN3c104HalfElEENS1_38merge_sort_block_merge_config_selectorISC_lEEEEvv.uses_flat_scratch, 0
	.set _ZN7rocprim17ROCPRIM_400000_NS6detail44device_merge_sort_compile_time_verifier_archINS1_11comp_targetILNS1_3genE0ELNS1_11target_archE4294967295ELNS1_3gpuE0ELNS1_3repE0EEES8_NS0_14default_configES9_NS1_37merge_sort_block_sort_config_selectorIN3c104HalfElEENS1_38merge_sort_block_merge_config_selectorISC_lEEEEvv.has_dyn_sized_stack, 0
	.set _ZN7rocprim17ROCPRIM_400000_NS6detail44device_merge_sort_compile_time_verifier_archINS1_11comp_targetILNS1_3genE0ELNS1_11target_archE4294967295ELNS1_3gpuE0ELNS1_3repE0EEES8_NS0_14default_configES9_NS1_37merge_sort_block_sort_config_selectorIN3c104HalfElEENS1_38merge_sort_block_merge_config_selectorISC_lEEEEvv.has_recursion, 0
	.set _ZN7rocprim17ROCPRIM_400000_NS6detail44device_merge_sort_compile_time_verifier_archINS1_11comp_targetILNS1_3genE0ELNS1_11target_archE4294967295ELNS1_3gpuE0ELNS1_3repE0EEES8_NS0_14default_configES9_NS1_37merge_sort_block_sort_config_selectorIN3c104HalfElEENS1_38merge_sort_block_merge_config_selectorISC_lEEEEvv.has_indirect_call, 0
	.section	.AMDGPU.csdata,"",@progbits
; Kernel info:
; codeLenInByte = 4
; TotalNumSgprs: 4
; NumVgprs: 0
; ScratchSize: 0
; MemoryBound: 0
; FloatMode: 240
; IeeeMode: 1
; LDSByteSize: 0 bytes/workgroup (compile time only)
; SGPRBlocks: 0
; VGPRBlocks: 0
; NumSGPRsForWavesPerEU: 4
; NumVGPRsForWavesPerEU: 1
; Occupancy: 10
; WaveLimiterHint : 0
; COMPUTE_PGM_RSRC2:SCRATCH_EN: 0
; COMPUTE_PGM_RSRC2:USER_SGPR: 4
; COMPUTE_PGM_RSRC2:TRAP_HANDLER: 0
; COMPUTE_PGM_RSRC2:TGID_X_EN: 1
; COMPUTE_PGM_RSRC2:TGID_Y_EN: 0
; COMPUTE_PGM_RSRC2:TGID_Z_EN: 0
; COMPUTE_PGM_RSRC2:TIDIG_COMP_CNT: 0
	.section	.text._ZN7rocprim17ROCPRIM_400000_NS6detail44device_merge_sort_compile_time_verifier_archINS1_11comp_targetILNS1_3genE5ELNS1_11target_archE942ELNS1_3gpuE9ELNS1_3repE0EEES8_NS0_14default_configES9_NS1_37merge_sort_block_sort_config_selectorIN3c104HalfElEENS1_38merge_sort_block_merge_config_selectorISC_lEEEEvv,"axG",@progbits,_ZN7rocprim17ROCPRIM_400000_NS6detail44device_merge_sort_compile_time_verifier_archINS1_11comp_targetILNS1_3genE5ELNS1_11target_archE942ELNS1_3gpuE9ELNS1_3repE0EEES8_NS0_14default_configES9_NS1_37merge_sort_block_sort_config_selectorIN3c104HalfElEENS1_38merge_sort_block_merge_config_selectorISC_lEEEEvv,comdat
	.protected	_ZN7rocprim17ROCPRIM_400000_NS6detail44device_merge_sort_compile_time_verifier_archINS1_11comp_targetILNS1_3genE5ELNS1_11target_archE942ELNS1_3gpuE9ELNS1_3repE0EEES8_NS0_14default_configES9_NS1_37merge_sort_block_sort_config_selectorIN3c104HalfElEENS1_38merge_sort_block_merge_config_selectorISC_lEEEEvv ; -- Begin function _ZN7rocprim17ROCPRIM_400000_NS6detail44device_merge_sort_compile_time_verifier_archINS1_11comp_targetILNS1_3genE5ELNS1_11target_archE942ELNS1_3gpuE9ELNS1_3repE0EEES8_NS0_14default_configES9_NS1_37merge_sort_block_sort_config_selectorIN3c104HalfElEENS1_38merge_sort_block_merge_config_selectorISC_lEEEEvv
	.globl	_ZN7rocprim17ROCPRIM_400000_NS6detail44device_merge_sort_compile_time_verifier_archINS1_11comp_targetILNS1_3genE5ELNS1_11target_archE942ELNS1_3gpuE9ELNS1_3repE0EEES8_NS0_14default_configES9_NS1_37merge_sort_block_sort_config_selectorIN3c104HalfElEENS1_38merge_sort_block_merge_config_selectorISC_lEEEEvv
	.p2align	8
	.type	_ZN7rocprim17ROCPRIM_400000_NS6detail44device_merge_sort_compile_time_verifier_archINS1_11comp_targetILNS1_3genE5ELNS1_11target_archE942ELNS1_3gpuE9ELNS1_3repE0EEES8_NS0_14default_configES9_NS1_37merge_sort_block_sort_config_selectorIN3c104HalfElEENS1_38merge_sort_block_merge_config_selectorISC_lEEEEvv,@function
_ZN7rocprim17ROCPRIM_400000_NS6detail44device_merge_sort_compile_time_verifier_archINS1_11comp_targetILNS1_3genE5ELNS1_11target_archE942ELNS1_3gpuE9ELNS1_3repE0EEES8_NS0_14default_configES9_NS1_37merge_sort_block_sort_config_selectorIN3c104HalfElEENS1_38merge_sort_block_merge_config_selectorISC_lEEEEvv: ; @_ZN7rocprim17ROCPRIM_400000_NS6detail44device_merge_sort_compile_time_verifier_archINS1_11comp_targetILNS1_3genE5ELNS1_11target_archE942ELNS1_3gpuE9ELNS1_3repE0EEES8_NS0_14default_configES9_NS1_37merge_sort_block_sort_config_selectorIN3c104HalfElEENS1_38merge_sort_block_merge_config_selectorISC_lEEEEvv
; %bb.0:
	s_endpgm
	.section	.rodata,"a",@progbits
	.p2align	6, 0x0
	.amdhsa_kernel _ZN7rocprim17ROCPRIM_400000_NS6detail44device_merge_sort_compile_time_verifier_archINS1_11comp_targetILNS1_3genE5ELNS1_11target_archE942ELNS1_3gpuE9ELNS1_3repE0EEES8_NS0_14default_configES9_NS1_37merge_sort_block_sort_config_selectorIN3c104HalfElEENS1_38merge_sort_block_merge_config_selectorISC_lEEEEvv
		.amdhsa_group_segment_fixed_size 0
		.amdhsa_private_segment_fixed_size 0
		.amdhsa_kernarg_size 0
		.amdhsa_user_sgpr_count 4
		.amdhsa_user_sgpr_private_segment_buffer 1
		.amdhsa_user_sgpr_dispatch_ptr 0
		.amdhsa_user_sgpr_queue_ptr 0
		.amdhsa_user_sgpr_kernarg_segment_ptr 0
		.amdhsa_user_sgpr_dispatch_id 0
		.amdhsa_user_sgpr_flat_scratch_init 0
		.amdhsa_user_sgpr_private_segment_size 0
		.amdhsa_uses_dynamic_stack 0
		.amdhsa_system_sgpr_private_segment_wavefront_offset 0
		.amdhsa_system_sgpr_workgroup_id_x 1
		.amdhsa_system_sgpr_workgroup_id_y 0
		.amdhsa_system_sgpr_workgroup_id_z 0
		.amdhsa_system_sgpr_workgroup_info 0
		.amdhsa_system_vgpr_workitem_id 0
		.amdhsa_next_free_vgpr 1
		.amdhsa_next_free_sgpr 0
		.amdhsa_reserve_vcc 0
		.amdhsa_reserve_flat_scratch 0
		.amdhsa_float_round_mode_32 0
		.amdhsa_float_round_mode_16_64 0
		.amdhsa_float_denorm_mode_32 3
		.amdhsa_float_denorm_mode_16_64 3
		.amdhsa_dx10_clamp 1
		.amdhsa_ieee_mode 1
		.amdhsa_fp16_overflow 0
		.amdhsa_exception_fp_ieee_invalid_op 0
		.amdhsa_exception_fp_denorm_src 0
		.amdhsa_exception_fp_ieee_div_zero 0
		.amdhsa_exception_fp_ieee_overflow 0
		.amdhsa_exception_fp_ieee_underflow 0
		.amdhsa_exception_fp_ieee_inexact 0
		.amdhsa_exception_int_div_zero 0
	.end_amdhsa_kernel
	.section	.text._ZN7rocprim17ROCPRIM_400000_NS6detail44device_merge_sort_compile_time_verifier_archINS1_11comp_targetILNS1_3genE5ELNS1_11target_archE942ELNS1_3gpuE9ELNS1_3repE0EEES8_NS0_14default_configES9_NS1_37merge_sort_block_sort_config_selectorIN3c104HalfElEENS1_38merge_sort_block_merge_config_selectorISC_lEEEEvv,"axG",@progbits,_ZN7rocprim17ROCPRIM_400000_NS6detail44device_merge_sort_compile_time_verifier_archINS1_11comp_targetILNS1_3genE5ELNS1_11target_archE942ELNS1_3gpuE9ELNS1_3repE0EEES8_NS0_14default_configES9_NS1_37merge_sort_block_sort_config_selectorIN3c104HalfElEENS1_38merge_sort_block_merge_config_selectorISC_lEEEEvv,comdat
.Lfunc_end2107:
	.size	_ZN7rocprim17ROCPRIM_400000_NS6detail44device_merge_sort_compile_time_verifier_archINS1_11comp_targetILNS1_3genE5ELNS1_11target_archE942ELNS1_3gpuE9ELNS1_3repE0EEES8_NS0_14default_configES9_NS1_37merge_sort_block_sort_config_selectorIN3c104HalfElEENS1_38merge_sort_block_merge_config_selectorISC_lEEEEvv, .Lfunc_end2107-_ZN7rocprim17ROCPRIM_400000_NS6detail44device_merge_sort_compile_time_verifier_archINS1_11comp_targetILNS1_3genE5ELNS1_11target_archE942ELNS1_3gpuE9ELNS1_3repE0EEES8_NS0_14default_configES9_NS1_37merge_sort_block_sort_config_selectorIN3c104HalfElEENS1_38merge_sort_block_merge_config_selectorISC_lEEEEvv
                                        ; -- End function
	.set _ZN7rocprim17ROCPRIM_400000_NS6detail44device_merge_sort_compile_time_verifier_archINS1_11comp_targetILNS1_3genE5ELNS1_11target_archE942ELNS1_3gpuE9ELNS1_3repE0EEES8_NS0_14default_configES9_NS1_37merge_sort_block_sort_config_selectorIN3c104HalfElEENS1_38merge_sort_block_merge_config_selectorISC_lEEEEvv.num_vgpr, 0
	.set _ZN7rocprim17ROCPRIM_400000_NS6detail44device_merge_sort_compile_time_verifier_archINS1_11comp_targetILNS1_3genE5ELNS1_11target_archE942ELNS1_3gpuE9ELNS1_3repE0EEES8_NS0_14default_configES9_NS1_37merge_sort_block_sort_config_selectorIN3c104HalfElEENS1_38merge_sort_block_merge_config_selectorISC_lEEEEvv.num_agpr, 0
	.set _ZN7rocprim17ROCPRIM_400000_NS6detail44device_merge_sort_compile_time_verifier_archINS1_11comp_targetILNS1_3genE5ELNS1_11target_archE942ELNS1_3gpuE9ELNS1_3repE0EEES8_NS0_14default_configES9_NS1_37merge_sort_block_sort_config_selectorIN3c104HalfElEENS1_38merge_sort_block_merge_config_selectorISC_lEEEEvv.numbered_sgpr, 0
	.set _ZN7rocprim17ROCPRIM_400000_NS6detail44device_merge_sort_compile_time_verifier_archINS1_11comp_targetILNS1_3genE5ELNS1_11target_archE942ELNS1_3gpuE9ELNS1_3repE0EEES8_NS0_14default_configES9_NS1_37merge_sort_block_sort_config_selectorIN3c104HalfElEENS1_38merge_sort_block_merge_config_selectorISC_lEEEEvv.num_named_barrier, 0
	.set _ZN7rocprim17ROCPRIM_400000_NS6detail44device_merge_sort_compile_time_verifier_archINS1_11comp_targetILNS1_3genE5ELNS1_11target_archE942ELNS1_3gpuE9ELNS1_3repE0EEES8_NS0_14default_configES9_NS1_37merge_sort_block_sort_config_selectorIN3c104HalfElEENS1_38merge_sort_block_merge_config_selectorISC_lEEEEvv.private_seg_size, 0
	.set _ZN7rocprim17ROCPRIM_400000_NS6detail44device_merge_sort_compile_time_verifier_archINS1_11comp_targetILNS1_3genE5ELNS1_11target_archE942ELNS1_3gpuE9ELNS1_3repE0EEES8_NS0_14default_configES9_NS1_37merge_sort_block_sort_config_selectorIN3c104HalfElEENS1_38merge_sort_block_merge_config_selectorISC_lEEEEvv.uses_vcc, 0
	.set _ZN7rocprim17ROCPRIM_400000_NS6detail44device_merge_sort_compile_time_verifier_archINS1_11comp_targetILNS1_3genE5ELNS1_11target_archE942ELNS1_3gpuE9ELNS1_3repE0EEES8_NS0_14default_configES9_NS1_37merge_sort_block_sort_config_selectorIN3c104HalfElEENS1_38merge_sort_block_merge_config_selectorISC_lEEEEvv.uses_flat_scratch, 0
	.set _ZN7rocprim17ROCPRIM_400000_NS6detail44device_merge_sort_compile_time_verifier_archINS1_11comp_targetILNS1_3genE5ELNS1_11target_archE942ELNS1_3gpuE9ELNS1_3repE0EEES8_NS0_14default_configES9_NS1_37merge_sort_block_sort_config_selectorIN3c104HalfElEENS1_38merge_sort_block_merge_config_selectorISC_lEEEEvv.has_dyn_sized_stack, 0
	.set _ZN7rocprim17ROCPRIM_400000_NS6detail44device_merge_sort_compile_time_verifier_archINS1_11comp_targetILNS1_3genE5ELNS1_11target_archE942ELNS1_3gpuE9ELNS1_3repE0EEES8_NS0_14default_configES9_NS1_37merge_sort_block_sort_config_selectorIN3c104HalfElEENS1_38merge_sort_block_merge_config_selectorISC_lEEEEvv.has_recursion, 0
	.set _ZN7rocprim17ROCPRIM_400000_NS6detail44device_merge_sort_compile_time_verifier_archINS1_11comp_targetILNS1_3genE5ELNS1_11target_archE942ELNS1_3gpuE9ELNS1_3repE0EEES8_NS0_14default_configES9_NS1_37merge_sort_block_sort_config_selectorIN3c104HalfElEENS1_38merge_sort_block_merge_config_selectorISC_lEEEEvv.has_indirect_call, 0
	.section	.AMDGPU.csdata,"",@progbits
; Kernel info:
; codeLenInByte = 4
; TotalNumSgprs: 4
; NumVgprs: 0
; ScratchSize: 0
; MemoryBound: 0
; FloatMode: 240
; IeeeMode: 1
; LDSByteSize: 0 bytes/workgroup (compile time only)
; SGPRBlocks: 0
; VGPRBlocks: 0
; NumSGPRsForWavesPerEU: 4
; NumVGPRsForWavesPerEU: 1
; Occupancy: 10
; WaveLimiterHint : 0
; COMPUTE_PGM_RSRC2:SCRATCH_EN: 0
; COMPUTE_PGM_RSRC2:USER_SGPR: 4
; COMPUTE_PGM_RSRC2:TRAP_HANDLER: 0
; COMPUTE_PGM_RSRC2:TGID_X_EN: 1
; COMPUTE_PGM_RSRC2:TGID_Y_EN: 0
; COMPUTE_PGM_RSRC2:TGID_Z_EN: 0
; COMPUTE_PGM_RSRC2:TIDIG_COMP_CNT: 0
	.section	.text._ZN7rocprim17ROCPRIM_400000_NS6detail44device_merge_sort_compile_time_verifier_archINS1_11comp_targetILNS1_3genE4ELNS1_11target_archE910ELNS1_3gpuE8ELNS1_3repE0EEES8_NS0_14default_configES9_NS1_37merge_sort_block_sort_config_selectorIN3c104HalfElEENS1_38merge_sort_block_merge_config_selectorISC_lEEEEvv,"axG",@progbits,_ZN7rocprim17ROCPRIM_400000_NS6detail44device_merge_sort_compile_time_verifier_archINS1_11comp_targetILNS1_3genE4ELNS1_11target_archE910ELNS1_3gpuE8ELNS1_3repE0EEES8_NS0_14default_configES9_NS1_37merge_sort_block_sort_config_selectorIN3c104HalfElEENS1_38merge_sort_block_merge_config_selectorISC_lEEEEvv,comdat
	.protected	_ZN7rocprim17ROCPRIM_400000_NS6detail44device_merge_sort_compile_time_verifier_archINS1_11comp_targetILNS1_3genE4ELNS1_11target_archE910ELNS1_3gpuE8ELNS1_3repE0EEES8_NS0_14default_configES9_NS1_37merge_sort_block_sort_config_selectorIN3c104HalfElEENS1_38merge_sort_block_merge_config_selectorISC_lEEEEvv ; -- Begin function _ZN7rocprim17ROCPRIM_400000_NS6detail44device_merge_sort_compile_time_verifier_archINS1_11comp_targetILNS1_3genE4ELNS1_11target_archE910ELNS1_3gpuE8ELNS1_3repE0EEES8_NS0_14default_configES9_NS1_37merge_sort_block_sort_config_selectorIN3c104HalfElEENS1_38merge_sort_block_merge_config_selectorISC_lEEEEvv
	.globl	_ZN7rocprim17ROCPRIM_400000_NS6detail44device_merge_sort_compile_time_verifier_archINS1_11comp_targetILNS1_3genE4ELNS1_11target_archE910ELNS1_3gpuE8ELNS1_3repE0EEES8_NS0_14default_configES9_NS1_37merge_sort_block_sort_config_selectorIN3c104HalfElEENS1_38merge_sort_block_merge_config_selectorISC_lEEEEvv
	.p2align	8
	.type	_ZN7rocprim17ROCPRIM_400000_NS6detail44device_merge_sort_compile_time_verifier_archINS1_11comp_targetILNS1_3genE4ELNS1_11target_archE910ELNS1_3gpuE8ELNS1_3repE0EEES8_NS0_14default_configES9_NS1_37merge_sort_block_sort_config_selectorIN3c104HalfElEENS1_38merge_sort_block_merge_config_selectorISC_lEEEEvv,@function
_ZN7rocprim17ROCPRIM_400000_NS6detail44device_merge_sort_compile_time_verifier_archINS1_11comp_targetILNS1_3genE4ELNS1_11target_archE910ELNS1_3gpuE8ELNS1_3repE0EEES8_NS0_14default_configES9_NS1_37merge_sort_block_sort_config_selectorIN3c104HalfElEENS1_38merge_sort_block_merge_config_selectorISC_lEEEEvv: ; @_ZN7rocprim17ROCPRIM_400000_NS6detail44device_merge_sort_compile_time_verifier_archINS1_11comp_targetILNS1_3genE4ELNS1_11target_archE910ELNS1_3gpuE8ELNS1_3repE0EEES8_NS0_14default_configES9_NS1_37merge_sort_block_sort_config_selectorIN3c104HalfElEENS1_38merge_sort_block_merge_config_selectorISC_lEEEEvv
; %bb.0:
	s_endpgm
	.section	.rodata,"a",@progbits
	.p2align	6, 0x0
	.amdhsa_kernel _ZN7rocprim17ROCPRIM_400000_NS6detail44device_merge_sort_compile_time_verifier_archINS1_11comp_targetILNS1_3genE4ELNS1_11target_archE910ELNS1_3gpuE8ELNS1_3repE0EEES8_NS0_14default_configES9_NS1_37merge_sort_block_sort_config_selectorIN3c104HalfElEENS1_38merge_sort_block_merge_config_selectorISC_lEEEEvv
		.amdhsa_group_segment_fixed_size 0
		.amdhsa_private_segment_fixed_size 0
		.amdhsa_kernarg_size 0
		.amdhsa_user_sgpr_count 4
		.amdhsa_user_sgpr_private_segment_buffer 1
		.amdhsa_user_sgpr_dispatch_ptr 0
		.amdhsa_user_sgpr_queue_ptr 0
		.amdhsa_user_sgpr_kernarg_segment_ptr 0
		.amdhsa_user_sgpr_dispatch_id 0
		.amdhsa_user_sgpr_flat_scratch_init 0
		.amdhsa_user_sgpr_private_segment_size 0
		.amdhsa_uses_dynamic_stack 0
		.amdhsa_system_sgpr_private_segment_wavefront_offset 0
		.amdhsa_system_sgpr_workgroup_id_x 1
		.amdhsa_system_sgpr_workgroup_id_y 0
		.amdhsa_system_sgpr_workgroup_id_z 0
		.amdhsa_system_sgpr_workgroup_info 0
		.amdhsa_system_vgpr_workitem_id 0
		.amdhsa_next_free_vgpr 1
		.amdhsa_next_free_sgpr 0
		.amdhsa_reserve_vcc 0
		.amdhsa_reserve_flat_scratch 0
		.amdhsa_float_round_mode_32 0
		.amdhsa_float_round_mode_16_64 0
		.amdhsa_float_denorm_mode_32 3
		.amdhsa_float_denorm_mode_16_64 3
		.amdhsa_dx10_clamp 1
		.amdhsa_ieee_mode 1
		.amdhsa_fp16_overflow 0
		.amdhsa_exception_fp_ieee_invalid_op 0
		.amdhsa_exception_fp_denorm_src 0
		.amdhsa_exception_fp_ieee_div_zero 0
		.amdhsa_exception_fp_ieee_overflow 0
		.amdhsa_exception_fp_ieee_underflow 0
		.amdhsa_exception_fp_ieee_inexact 0
		.amdhsa_exception_int_div_zero 0
	.end_amdhsa_kernel
	.section	.text._ZN7rocprim17ROCPRIM_400000_NS6detail44device_merge_sort_compile_time_verifier_archINS1_11comp_targetILNS1_3genE4ELNS1_11target_archE910ELNS1_3gpuE8ELNS1_3repE0EEES8_NS0_14default_configES9_NS1_37merge_sort_block_sort_config_selectorIN3c104HalfElEENS1_38merge_sort_block_merge_config_selectorISC_lEEEEvv,"axG",@progbits,_ZN7rocprim17ROCPRIM_400000_NS6detail44device_merge_sort_compile_time_verifier_archINS1_11comp_targetILNS1_3genE4ELNS1_11target_archE910ELNS1_3gpuE8ELNS1_3repE0EEES8_NS0_14default_configES9_NS1_37merge_sort_block_sort_config_selectorIN3c104HalfElEENS1_38merge_sort_block_merge_config_selectorISC_lEEEEvv,comdat
.Lfunc_end2108:
	.size	_ZN7rocprim17ROCPRIM_400000_NS6detail44device_merge_sort_compile_time_verifier_archINS1_11comp_targetILNS1_3genE4ELNS1_11target_archE910ELNS1_3gpuE8ELNS1_3repE0EEES8_NS0_14default_configES9_NS1_37merge_sort_block_sort_config_selectorIN3c104HalfElEENS1_38merge_sort_block_merge_config_selectorISC_lEEEEvv, .Lfunc_end2108-_ZN7rocprim17ROCPRIM_400000_NS6detail44device_merge_sort_compile_time_verifier_archINS1_11comp_targetILNS1_3genE4ELNS1_11target_archE910ELNS1_3gpuE8ELNS1_3repE0EEES8_NS0_14default_configES9_NS1_37merge_sort_block_sort_config_selectorIN3c104HalfElEENS1_38merge_sort_block_merge_config_selectorISC_lEEEEvv
                                        ; -- End function
	.set _ZN7rocprim17ROCPRIM_400000_NS6detail44device_merge_sort_compile_time_verifier_archINS1_11comp_targetILNS1_3genE4ELNS1_11target_archE910ELNS1_3gpuE8ELNS1_3repE0EEES8_NS0_14default_configES9_NS1_37merge_sort_block_sort_config_selectorIN3c104HalfElEENS1_38merge_sort_block_merge_config_selectorISC_lEEEEvv.num_vgpr, 0
	.set _ZN7rocprim17ROCPRIM_400000_NS6detail44device_merge_sort_compile_time_verifier_archINS1_11comp_targetILNS1_3genE4ELNS1_11target_archE910ELNS1_3gpuE8ELNS1_3repE0EEES8_NS0_14default_configES9_NS1_37merge_sort_block_sort_config_selectorIN3c104HalfElEENS1_38merge_sort_block_merge_config_selectorISC_lEEEEvv.num_agpr, 0
	.set _ZN7rocprim17ROCPRIM_400000_NS6detail44device_merge_sort_compile_time_verifier_archINS1_11comp_targetILNS1_3genE4ELNS1_11target_archE910ELNS1_3gpuE8ELNS1_3repE0EEES8_NS0_14default_configES9_NS1_37merge_sort_block_sort_config_selectorIN3c104HalfElEENS1_38merge_sort_block_merge_config_selectorISC_lEEEEvv.numbered_sgpr, 0
	.set _ZN7rocprim17ROCPRIM_400000_NS6detail44device_merge_sort_compile_time_verifier_archINS1_11comp_targetILNS1_3genE4ELNS1_11target_archE910ELNS1_3gpuE8ELNS1_3repE0EEES8_NS0_14default_configES9_NS1_37merge_sort_block_sort_config_selectorIN3c104HalfElEENS1_38merge_sort_block_merge_config_selectorISC_lEEEEvv.num_named_barrier, 0
	.set _ZN7rocprim17ROCPRIM_400000_NS6detail44device_merge_sort_compile_time_verifier_archINS1_11comp_targetILNS1_3genE4ELNS1_11target_archE910ELNS1_3gpuE8ELNS1_3repE0EEES8_NS0_14default_configES9_NS1_37merge_sort_block_sort_config_selectorIN3c104HalfElEENS1_38merge_sort_block_merge_config_selectorISC_lEEEEvv.private_seg_size, 0
	.set _ZN7rocprim17ROCPRIM_400000_NS6detail44device_merge_sort_compile_time_verifier_archINS1_11comp_targetILNS1_3genE4ELNS1_11target_archE910ELNS1_3gpuE8ELNS1_3repE0EEES8_NS0_14default_configES9_NS1_37merge_sort_block_sort_config_selectorIN3c104HalfElEENS1_38merge_sort_block_merge_config_selectorISC_lEEEEvv.uses_vcc, 0
	.set _ZN7rocprim17ROCPRIM_400000_NS6detail44device_merge_sort_compile_time_verifier_archINS1_11comp_targetILNS1_3genE4ELNS1_11target_archE910ELNS1_3gpuE8ELNS1_3repE0EEES8_NS0_14default_configES9_NS1_37merge_sort_block_sort_config_selectorIN3c104HalfElEENS1_38merge_sort_block_merge_config_selectorISC_lEEEEvv.uses_flat_scratch, 0
	.set _ZN7rocprim17ROCPRIM_400000_NS6detail44device_merge_sort_compile_time_verifier_archINS1_11comp_targetILNS1_3genE4ELNS1_11target_archE910ELNS1_3gpuE8ELNS1_3repE0EEES8_NS0_14default_configES9_NS1_37merge_sort_block_sort_config_selectorIN3c104HalfElEENS1_38merge_sort_block_merge_config_selectorISC_lEEEEvv.has_dyn_sized_stack, 0
	.set _ZN7rocprim17ROCPRIM_400000_NS6detail44device_merge_sort_compile_time_verifier_archINS1_11comp_targetILNS1_3genE4ELNS1_11target_archE910ELNS1_3gpuE8ELNS1_3repE0EEES8_NS0_14default_configES9_NS1_37merge_sort_block_sort_config_selectorIN3c104HalfElEENS1_38merge_sort_block_merge_config_selectorISC_lEEEEvv.has_recursion, 0
	.set _ZN7rocprim17ROCPRIM_400000_NS6detail44device_merge_sort_compile_time_verifier_archINS1_11comp_targetILNS1_3genE4ELNS1_11target_archE910ELNS1_3gpuE8ELNS1_3repE0EEES8_NS0_14default_configES9_NS1_37merge_sort_block_sort_config_selectorIN3c104HalfElEENS1_38merge_sort_block_merge_config_selectorISC_lEEEEvv.has_indirect_call, 0
	.section	.AMDGPU.csdata,"",@progbits
; Kernel info:
; codeLenInByte = 4
; TotalNumSgprs: 4
; NumVgprs: 0
; ScratchSize: 0
; MemoryBound: 0
; FloatMode: 240
; IeeeMode: 1
; LDSByteSize: 0 bytes/workgroup (compile time only)
; SGPRBlocks: 0
; VGPRBlocks: 0
; NumSGPRsForWavesPerEU: 4
; NumVGPRsForWavesPerEU: 1
; Occupancy: 10
; WaveLimiterHint : 0
; COMPUTE_PGM_RSRC2:SCRATCH_EN: 0
; COMPUTE_PGM_RSRC2:USER_SGPR: 4
; COMPUTE_PGM_RSRC2:TRAP_HANDLER: 0
; COMPUTE_PGM_RSRC2:TGID_X_EN: 1
; COMPUTE_PGM_RSRC2:TGID_Y_EN: 0
; COMPUTE_PGM_RSRC2:TGID_Z_EN: 0
; COMPUTE_PGM_RSRC2:TIDIG_COMP_CNT: 0
	.section	.text._ZN7rocprim17ROCPRIM_400000_NS6detail44device_merge_sort_compile_time_verifier_archINS1_11comp_targetILNS1_3genE3ELNS1_11target_archE908ELNS1_3gpuE7ELNS1_3repE0EEES8_NS0_14default_configES9_NS1_37merge_sort_block_sort_config_selectorIN3c104HalfElEENS1_38merge_sort_block_merge_config_selectorISC_lEEEEvv,"axG",@progbits,_ZN7rocprim17ROCPRIM_400000_NS6detail44device_merge_sort_compile_time_verifier_archINS1_11comp_targetILNS1_3genE3ELNS1_11target_archE908ELNS1_3gpuE7ELNS1_3repE0EEES8_NS0_14default_configES9_NS1_37merge_sort_block_sort_config_selectorIN3c104HalfElEENS1_38merge_sort_block_merge_config_selectorISC_lEEEEvv,comdat
	.protected	_ZN7rocprim17ROCPRIM_400000_NS6detail44device_merge_sort_compile_time_verifier_archINS1_11comp_targetILNS1_3genE3ELNS1_11target_archE908ELNS1_3gpuE7ELNS1_3repE0EEES8_NS0_14default_configES9_NS1_37merge_sort_block_sort_config_selectorIN3c104HalfElEENS1_38merge_sort_block_merge_config_selectorISC_lEEEEvv ; -- Begin function _ZN7rocprim17ROCPRIM_400000_NS6detail44device_merge_sort_compile_time_verifier_archINS1_11comp_targetILNS1_3genE3ELNS1_11target_archE908ELNS1_3gpuE7ELNS1_3repE0EEES8_NS0_14default_configES9_NS1_37merge_sort_block_sort_config_selectorIN3c104HalfElEENS1_38merge_sort_block_merge_config_selectorISC_lEEEEvv
	.globl	_ZN7rocprim17ROCPRIM_400000_NS6detail44device_merge_sort_compile_time_verifier_archINS1_11comp_targetILNS1_3genE3ELNS1_11target_archE908ELNS1_3gpuE7ELNS1_3repE0EEES8_NS0_14default_configES9_NS1_37merge_sort_block_sort_config_selectorIN3c104HalfElEENS1_38merge_sort_block_merge_config_selectorISC_lEEEEvv
	.p2align	8
	.type	_ZN7rocprim17ROCPRIM_400000_NS6detail44device_merge_sort_compile_time_verifier_archINS1_11comp_targetILNS1_3genE3ELNS1_11target_archE908ELNS1_3gpuE7ELNS1_3repE0EEES8_NS0_14default_configES9_NS1_37merge_sort_block_sort_config_selectorIN3c104HalfElEENS1_38merge_sort_block_merge_config_selectorISC_lEEEEvv,@function
_ZN7rocprim17ROCPRIM_400000_NS6detail44device_merge_sort_compile_time_verifier_archINS1_11comp_targetILNS1_3genE3ELNS1_11target_archE908ELNS1_3gpuE7ELNS1_3repE0EEES8_NS0_14default_configES9_NS1_37merge_sort_block_sort_config_selectorIN3c104HalfElEENS1_38merge_sort_block_merge_config_selectorISC_lEEEEvv: ; @_ZN7rocprim17ROCPRIM_400000_NS6detail44device_merge_sort_compile_time_verifier_archINS1_11comp_targetILNS1_3genE3ELNS1_11target_archE908ELNS1_3gpuE7ELNS1_3repE0EEES8_NS0_14default_configES9_NS1_37merge_sort_block_sort_config_selectorIN3c104HalfElEENS1_38merge_sort_block_merge_config_selectorISC_lEEEEvv
; %bb.0:
	s_endpgm
	.section	.rodata,"a",@progbits
	.p2align	6, 0x0
	.amdhsa_kernel _ZN7rocprim17ROCPRIM_400000_NS6detail44device_merge_sort_compile_time_verifier_archINS1_11comp_targetILNS1_3genE3ELNS1_11target_archE908ELNS1_3gpuE7ELNS1_3repE0EEES8_NS0_14default_configES9_NS1_37merge_sort_block_sort_config_selectorIN3c104HalfElEENS1_38merge_sort_block_merge_config_selectorISC_lEEEEvv
		.amdhsa_group_segment_fixed_size 0
		.amdhsa_private_segment_fixed_size 0
		.amdhsa_kernarg_size 0
		.amdhsa_user_sgpr_count 4
		.amdhsa_user_sgpr_private_segment_buffer 1
		.amdhsa_user_sgpr_dispatch_ptr 0
		.amdhsa_user_sgpr_queue_ptr 0
		.amdhsa_user_sgpr_kernarg_segment_ptr 0
		.amdhsa_user_sgpr_dispatch_id 0
		.amdhsa_user_sgpr_flat_scratch_init 0
		.amdhsa_user_sgpr_private_segment_size 0
		.amdhsa_uses_dynamic_stack 0
		.amdhsa_system_sgpr_private_segment_wavefront_offset 0
		.amdhsa_system_sgpr_workgroup_id_x 1
		.amdhsa_system_sgpr_workgroup_id_y 0
		.amdhsa_system_sgpr_workgroup_id_z 0
		.amdhsa_system_sgpr_workgroup_info 0
		.amdhsa_system_vgpr_workitem_id 0
		.amdhsa_next_free_vgpr 1
		.amdhsa_next_free_sgpr 0
		.amdhsa_reserve_vcc 0
		.amdhsa_reserve_flat_scratch 0
		.amdhsa_float_round_mode_32 0
		.amdhsa_float_round_mode_16_64 0
		.amdhsa_float_denorm_mode_32 3
		.amdhsa_float_denorm_mode_16_64 3
		.amdhsa_dx10_clamp 1
		.amdhsa_ieee_mode 1
		.amdhsa_fp16_overflow 0
		.amdhsa_exception_fp_ieee_invalid_op 0
		.amdhsa_exception_fp_denorm_src 0
		.amdhsa_exception_fp_ieee_div_zero 0
		.amdhsa_exception_fp_ieee_overflow 0
		.amdhsa_exception_fp_ieee_underflow 0
		.amdhsa_exception_fp_ieee_inexact 0
		.amdhsa_exception_int_div_zero 0
	.end_amdhsa_kernel
	.section	.text._ZN7rocprim17ROCPRIM_400000_NS6detail44device_merge_sort_compile_time_verifier_archINS1_11comp_targetILNS1_3genE3ELNS1_11target_archE908ELNS1_3gpuE7ELNS1_3repE0EEES8_NS0_14default_configES9_NS1_37merge_sort_block_sort_config_selectorIN3c104HalfElEENS1_38merge_sort_block_merge_config_selectorISC_lEEEEvv,"axG",@progbits,_ZN7rocprim17ROCPRIM_400000_NS6detail44device_merge_sort_compile_time_verifier_archINS1_11comp_targetILNS1_3genE3ELNS1_11target_archE908ELNS1_3gpuE7ELNS1_3repE0EEES8_NS0_14default_configES9_NS1_37merge_sort_block_sort_config_selectorIN3c104HalfElEENS1_38merge_sort_block_merge_config_selectorISC_lEEEEvv,comdat
.Lfunc_end2109:
	.size	_ZN7rocprim17ROCPRIM_400000_NS6detail44device_merge_sort_compile_time_verifier_archINS1_11comp_targetILNS1_3genE3ELNS1_11target_archE908ELNS1_3gpuE7ELNS1_3repE0EEES8_NS0_14default_configES9_NS1_37merge_sort_block_sort_config_selectorIN3c104HalfElEENS1_38merge_sort_block_merge_config_selectorISC_lEEEEvv, .Lfunc_end2109-_ZN7rocprim17ROCPRIM_400000_NS6detail44device_merge_sort_compile_time_verifier_archINS1_11comp_targetILNS1_3genE3ELNS1_11target_archE908ELNS1_3gpuE7ELNS1_3repE0EEES8_NS0_14default_configES9_NS1_37merge_sort_block_sort_config_selectorIN3c104HalfElEENS1_38merge_sort_block_merge_config_selectorISC_lEEEEvv
                                        ; -- End function
	.set _ZN7rocprim17ROCPRIM_400000_NS6detail44device_merge_sort_compile_time_verifier_archINS1_11comp_targetILNS1_3genE3ELNS1_11target_archE908ELNS1_3gpuE7ELNS1_3repE0EEES8_NS0_14default_configES9_NS1_37merge_sort_block_sort_config_selectorIN3c104HalfElEENS1_38merge_sort_block_merge_config_selectorISC_lEEEEvv.num_vgpr, 0
	.set _ZN7rocprim17ROCPRIM_400000_NS6detail44device_merge_sort_compile_time_verifier_archINS1_11comp_targetILNS1_3genE3ELNS1_11target_archE908ELNS1_3gpuE7ELNS1_3repE0EEES8_NS0_14default_configES9_NS1_37merge_sort_block_sort_config_selectorIN3c104HalfElEENS1_38merge_sort_block_merge_config_selectorISC_lEEEEvv.num_agpr, 0
	.set _ZN7rocprim17ROCPRIM_400000_NS6detail44device_merge_sort_compile_time_verifier_archINS1_11comp_targetILNS1_3genE3ELNS1_11target_archE908ELNS1_3gpuE7ELNS1_3repE0EEES8_NS0_14default_configES9_NS1_37merge_sort_block_sort_config_selectorIN3c104HalfElEENS1_38merge_sort_block_merge_config_selectorISC_lEEEEvv.numbered_sgpr, 0
	.set _ZN7rocprim17ROCPRIM_400000_NS6detail44device_merge_sort_compile_time_verifier_archINS1_11comp_targetILNS1_3genE3ELNS1_11target_archE908ELNS1_3gpuE7ELNS1_3repE0EEES8_NS0_14default_configES9_NS1_37merge_sort_block_sort_config_selectorIN3c104HalfElEENS1_38merge_sort_block_merge_config_selectorISC_lEEEEvv.num_named_barrier, 0
	.set _ZN7rocprim17ROCPRIM_400000_NS6detail44device_merge_sort_compile_time_verifier_archINS1_11comp_targetILNS1_3genE3ELNS1_11target_archE908ELNS1_3gpuE7ELNS1_3repE0EEES8_NS0_14default_configES9_NS1_37merge_sort_block_sort_config_selectorIN3c104HalfElEENS1_38merge_sort_block_merge_config_selectorISC_lEEEEvv.private_seg_size, 0
	.set _ZN7rocprim17ROCPRIM_400000_NS6detail44device_merge_sort_compile_time_verifier_archINS1_11comp_targetILNS1_3genE3ELNS1_11target_archE908ELNS1_3gpuE7ELNS1_3repE0EEES8_NS0_14default_configES9_NS1_37merge_sort_block_sort_config_selectorIN3c104HalfElEENS1_38merge_sort_block_merge_config_selectorISC_lEEEEvv.uses_vcc, 0
	.set _ZN7rocprim17ROCPRIM_400000_NS6detail44device_merge_sort_compile_time_verifier_archINS1_11comp_targetILNS1_3genE3ELNS1_11target_archE908ELNS1_3gpuE7ELNS1_3repE0EEES8_NS0_14default_configES9_NS1_37merge_sort_block_sort_config_selectorIN3c104HalfElEENS1_38merge_sort_block_merge_config_selectorISC_lEEEEvv.uses_flat_scratch, 0
	.set _ZN7rocprim17ROCPRIM_400000_NS6detail44device_merge_sort_compile_time_verifier_archINS1_11comp_targetILNS1_3genE3ELNS1_11target_archE908ELNS1_3gpuE7ELNS1_3repE0EEES8_NS0_14default_configES9_NS1_37merge_sort_block_sort_config_selectorIN3c104HalfElEENS1_38merge_sort_block_merge_config_selectorISC_lEEEEvv.has_dyn_sized_stack, 0
	.set _ZN7rocprim17ROCPRIM_400000_NS6detail44device_merge_sort_compile_time_verifier_archINS1_11comp_targetILNS1_3genE3ELNS1_11target_archE908ELNS1_3gpuE7ELNS1_3repE0EEES8_NS0_14default_configES9_NS1_37merge_sort_block_sort_config_selectorIN3c104HalfElEENS1_38merge_sort_block_merge_config_selectorISC_lEEEEvv.has_recursion, 0
	.set _ZN7rocprim17ROCPRIM_400000_NS6detail44device_merge_sort_compile_time_verifier_archINS1_11comp_targetILNS1_3genE3ELNS1_11target_archE908ELNS1_3gpuE7ELNS1_3repE0EEES8_NS0_14default_configES9_NS1_37merge_sort_block_sort_config_selectorIN3c104HalfElEENS1_38merge_sort_block_merge_config_selectorISC_lEEEEvv.has_indirect_call, 0
	.section	.AMDGPU.csdata,"",@progbits
; Kernel info:
; codeLenInByte = 4
; TotalNumSgprs: 4
; NumVgprs: 0
; ScratchSize: 0
; MemoryBound: 0
; FloatMode: 240
; IeeeMode: 1
; LDSByteSize: 0 bytes/workgroup (compile time only)
; SGPRBlocks: 0
; VGPRBlocks: 0
; NumSGPRsForWavesPerEU: 4
; NumVGPRsForWavesPerEU: 1
; Occupancy: 10
; WaveLimiterHint : 0
; COMPUTE_PGM_RSRC2:SCRATCH_EN: 0
; COMPUTE_PGM_RSRC2:USER_SGPR: 4
; COMPUTE_PGM_RSRC2:TRAP_HANDLER: 0
; COMPUTE_PGM_RSRC2:TGID_X_EN: 1
; COMPUTE_PGM_RSRC2:TGID_Y_EN: 0
; COMPUTE_PGM_RSRC2:TGID_Z_EN: 0
; COMPUTE_PGM_RSRC2:TIDIG_COMP_CNT: 0
	.section	.text._ZN7rocprim17ROCPRIM_400000_NS6detail44device_merge_sort_compile_time_verifier_archINS1_11comp_targetILNS1_3genE2ELNS1_11target_archE906ELNS1_3gpuE6ELNS1_3repE0EEES8_NS0_14default_configES9_NS1_37merge_sort_block_sort_config_selectorIN3c104HalfElEENS1_38merge_sort_block_merge_config_selectorISC_lEEEEvv,"axG",@progbits,_ZN7rocprim17ROCPRIM_400000_NS6detail44device_merge_sort_compile_time_verifier_archINS1_11comp_targetILNS1_3genE2ELNS1_11target_archE906ELNS1_3gpuE6ELNS1_3repE0EEES8_NS0_14default_configES9_NS1_37merge_sort_block_sort_config_selectorIN3c104HalfElEENS1_38merge_sort_block_merge_config_selectorISC_lEEEEvv,comdat
	.protected	_ZN7rocprim17ROCPRIM_400000_NS6detail44device_merge_sort_compile_time_verifier_archINS1_11comp_targetILNS1_3genE2ELNS1_11target_archE906ELNS1_3gpuE6ELNS1_3repE0EEES8_NS0_14default_configES9_NS1_37merge_sort_block_sort_config_selectorIN3c104HalfElEENS1_38merge_sort_block_merge_config_selectorISC_lEEEEvv ; -- Begin function _ZN7rocprim17ROCPRIM_400000_NS6detail44device_merge_sort_compile_time_verifier_archINS1_11comp_targetILNS1_3genE2ELNS1_11target_archE906ELNS1_3gpuE6ELNS1_3repE0EEES8_NS0_14default_configES9_NS1_37merge_sort_block_sort_config_selectorIN3c104HalfElEENS1_38merge_sort_block_merge_config_selectorISC_lEEEEvv
	.globl	_ZN7rocprim17ROCPRIM_400000_NS6detail44device_merge_sort_compile_time_verifier_archINS1_11comp_targetILNS1_3genE2ELNS1_11target_archE906ELNS1_3gpuE6ELNS1_3repE0EEES8_NS0_14default_configES9_NS1_37merge_sort_block_sort_config_selectorIN3c104HalfElEENS1_38merge_sort_block_merge_config_selectorISC_lEEEEvv
	.p2align	8
	.type	_ZN7rocprim17ROCPRIM_400000_NS6detail44device_merge_sort_compile_time_verifier_archINS1_11comp_targetILNS1_3genE2ELNS1_11target_archE906ELNS1_3gpuE6ELNS1_3repE0EEES8_NS0_14default_configES9_NS1_37merge_sort_block_sort_config_selectorIN3c104HalfElEENS1_38merge_sort_block_merge_config_selectorISC_lEEEEvv,@function
_ZN7rocprim17ROCPRIM_400000_NS6detail44device_merge_sort_compile_time_verifier_archINS1_11comp_targetILNS1_3genE2ELNS1_11target_archE906ELNS1_3gpuE6ELNS1_3repE0EEES8_NS0_14default_configES9_NS1_37merge_sort_block_sort_config_selectorIN3c104HalfElEENS1_38merge_sort_block_merge_config_selectorISC_lEEEEvv: ; @_ZN7rocprim17ROCPRIM_400000_NS6detail44device_merge_sort_compile_time_verifier_archINS1_11comp_targetILNS1_3genE2ELNS1_11target_archE906ELNS1_3gpuE6ELNS1_3repE0EEES8_NS0_14default_configES9_NS1_37merge_sort_block_sort_config_selectorIN3c104HalfElEENS1_38merge_sort_block_merge_config_selectorISC_lEEEEvv
; %bb.0:
	s_endpgm
	.section	.rodata,"a",@progbits
	.p2align	6, 0x0
	.amdhsa_kernel _ZN7rocprim17ROCPRIM_400000_NS6detail44device_merge_sort_compile_time_verifier_archINS1_11comp_targetILNS1_3genE2ELNS1_11target_archE906ELNS1_3gpuE6ELNS1_3repE0EEES8_NS0_14default_configES9_NS1_37merge_sort_block_sort_config_selectorIN3c104HalfElEENS1_38merge_sort_block_merge_config_selectorISC_lEEEEvv
		.amdhsa_group_segment_fixed_size 0
		.amdhsa_private_segment_fixed_size 0
		.amdhsa_kernarg_size 0
		.amdhsa_user_sgpr_count 4
		.amdhsa_user_sgpr_private_segment_buffer 1
		.amdhsa_user_sgpr_dispatch_ptr 0
		.amdhsa_user_sgpr_queue_ptr 0
		.amdhsa_user_sgpr_kernarg_segment_ptr 0
		.amdhsa_user_sgpr_dispatch_id 0
		.amdhsa_user_sgpr_flat_scratch_init 0
		.amdhsa_user_sgpr_private_segment_size 0
		.amdhsa_uses_dynamic_stack 0
		.amdhsa_system_sgpr_private_segment_wavefront_offset 0
		.amdhsa_system_sgpr_workgroup_id_x 1
		.amdhsa_system_sgpr_workgroup_id_y 0
		.amdhsa_system_sgpr_workgroup_id_z 0
		.amdhsa_system_sgpr_workgroup_info 0
		.amdhsa_system_vgpr_workitem_id 0
		.amdhsa_next_free_vgpr 1
		.amdhsa_next_free_sgpr 0
		.amdhsa_reserve_vcc 0
		.amdhsa_reserve_flat_scratch 0
		.amdhsa_float_round_mode_32 0
		.amdhsa_float_round_mode_16_64 0
		.amdhsa_float_denorm_mode_32 3
		.amdhsa_float_denorm_mode_16_64 3
		.amdhsa_dx10_clamp 1
		.amdhsa_ieee_mode 1
		.amdhsa_fp16_overflow 0
		.amdhsa_exception_fp_ieee_invalid_op 0
		.amdhsa_exception_fp_denorm_src 0
		.amdhsa_exception_fp_ieee_div_zero 0
		.amdhsa_exception_fp_ieee_overflow 0
		.amdhsa_exception_fp_ieee_underflow 0
		.amdhsa_exception_fp_ieee_inexact 0
		.amdhsa_exception_int_div_zero 0
	.end_amdhsa_kernel
	.section	.text._ZN7rocprim17ROCPRIM_400000_NS6detail44device_merge_sort_compile_time_verifier_archINS1_11comp_targetILNS1_3genE2ELNS1_11target_archE906ELNS1_3gpuE6ELNS1_3repE0EEES8_NS0_14default_configES9_NS1_37merge_sort_block_sort_config_selectorIN3c104HalfElEENS1_38merge_sort_block_merge_config_selectorISC_lEEEEvv,"axG",@progbits,_ZN7rocprim17ROCPRIM_400000_NS6detail44device_merge_sort_compile_time_verifier_archINS1_11comp_targetILNS1_3genE2ELNS1_11target_archE906ELNS1_3gpuE6ELNS1_3repE0EEES8_NS0_14default_configES9_NS1_37merge_sort_block_sort_config_selectorIN3c104HalfElEENS1_38merge_sort_block_merge_config_selectorISC_lEEEEvv,comdat
.Lfunc_end2110:
	.size	_ZN7rocprim17ROCPRIM_400000_NS6detail44device_merge_sort_compile_time_verifier_archINS1_11comp_targetILNS1_3genE2ELNS1_11target_archE906ELNS1_3gpuE6ELNS1_3repE0EEES8_NS0_14default_configES9_NS1_37merge_sort_block_sort_config_selectorIN3c104HalfElEENS1_38merge_sort_block_merge_config_selectorISC_lEEEEvv, .Lfunc_end2110-_ZN7rocprim17ROCPRIM_400000_NS6detail44device_merge_sort_compile_time_verifier_archINS1_11comp_targetILNS1_3genE2ELNS1_11target_archE906ELNS1_3gpuE6ELNS1_3repE0EEES8_NS0_14default_configES9_NS1_37merge_sort_block_sort_config_selectorIN3c104HalfElEENS1_38merge_sort_block_merge_config_selectorISC_lEEEEvv
                                        ; -- End function
	.set _ZN7rocprim17ROCPRIM_400000_NS6detail44device_merge_sort_compile_time_verifier_archINS1_11comp_targetILNS1_3genE2ELNS1_11target_archE906ELNS1_3gpuE6ELNS1_3repE0EEES8_NS0_14default_configES9_NS1_37merge_sort_block_sort_config_selectorIN3c104HalfElEENS1_38merge_sort_block_merge_config_selectorISC_lEEEEvv.num_vgpr, 0
	.set _ZN7rocprim17ROCPRIM_400000_NS6detail44device_merge_sort_compile_time_verifier_archINS1_11comp_targetILNS1_3genE2ELNS1_11target_archE906ELNS1_3gpuE6ELNS1_3repE0EEES8_NS0_14default_configES9_NS1_37merge_sort_block_sort_config_selectorIN3c104HalfElEENS1_38merge_sort_block_merge_config_selectorISC_lEEEEvv.num_agpr, 0
	.set _ZN7rocprim17ROCPRIM_400000_NS6detail44device_merge_sort_compile_time_verifier_archINS1_11comp_targetILNS1_3genE2ELNS1_11target_archE906ELNS1_3gpuE6ELNS1_3repE0EEES8_NS0_14default_configES9_NS1_37merge_sort_block_sort_config_selectorIN3c104HalfElEENS1_38merge_sort_block_merge_config_selectorISC_lEEEEvv.numbered_sgpr, 0
	.set _ZN7rocprim17ROCPRIM_400000_NS6detail44device_merge_sort_compile_time_verifier_archINS1_11comp_targetILNS1_3genE2ELNS1_11target_archE906ELNS1_3gpuE6ELNS1_3repE0EEES8_NS0_14default_configES9_NS1_37merge_sort_block_sort_config_selectorIN3c104HalfElEENS1_38merge_sort_block_merge_config_selectorISC_lEEEEvv.num_named_barrier, 0
	.set _ZN7rocprim17ROCPRIM_400000_NS6detail44device_merge_sort_compile_time_verifier_archINS1_11comp_targetILNS1_3genE2ELNS1_11target_archE906ELNS1_3gpuE6ELNS1_3repE0EEES8_NS0_14default_configES9_NS1_37merge_sort_block_sort_config_selectorIN3c104HalfElEENS1_38merge_sort_block_merge_config_selectorISC_lEEEEvv.private_seg_size, 0
	.set _ZN7rocprim17ROCPRIM_400000_NS6detail44device_merge_sort_compile_time_verifier_archINS1_11comp_targetILNS1_3genE2ELNS1_11target_archE906ELNS1_3gpuE6ELNS1_3repE0EEES8_NS0_14default_configES9_NS1_37merge_sort_block_sort_config_selectorIN3c104HalfElEENS1_38merge_sort_block_merge_config_selectorISC_lEEEEvv.uses_vcc, 0
	.set _ZN7rocprim17ROCPRIM_400000_NS6detail44device_merge_sort_compile_time_verifier_archINS1_11comp_targetILNS1_3genE2ELNS1_11target_archE906ELNS1_3gpuE6ELNS1_3repE0EEES8_NS0_14default_configES9_NS1_37merge_sort_block_sort_config_selectorIN3c104HalfElEENS1_38merge_sort_block_merge_config_selectorISC_lEEEEvv.uses_flat_scratch, 0
	.set _ZN7rocprim17ROCPRIM_400000_NS6detail44device_merge_sort_compile_time_verifier_archINS1_11comp_targetILNS1_3genE2ELNS1_11target_archE906ELNS1_3gpuE6ELNS1_3repE0EEES8_NS0_14default_configES9_NS1_37merge_sort_block_sort_config_selectorIN3c104HalfElEENS1_38merge_sort_block_merge_config_selectorISC_lEEEEvv.has_dyn_sized_stack, 0
	.set _ZN7rocprim17ROCPRIM_400000_NS6detail44device_merge_sort_compile_time_verifier_archINS1_11comp_targetILNS1_3genE2ELNS1_11target_archE906ELNS1_3gpuE6ELNS1_3repE0EEES8_NS0_14default_configES9_NS1_37merge_sort_block_sort_config_selectorIN3c104HalfElEENS1_38merge_sort_block_merge_config_selectorISC_lEEEEvv.has_recursion, 0
	.set _ZN7rocprim17ROCPRIM_400000_NS6detail44device_merge_sort_compile_time_verifier_archINS1_11comp_targetILNS1_3genE2ELNS1_11target_archE906ELNS1_3gpuE6ELNS1_3repE0EEES8_NS0_14default_configES9_NS1_37merge_sort_block_sort_config_selectorIN3c104HalfElEENS1_38merge_sort_block_merge_config_selectorISC_lEEEEvv.has_indirect_call, 0
	.section	.AMDGPU.csdata,"",@progbits
; Kernel info:
; codeLenInByte = 4
; TotalNumSgprs: 4
; NumVgprs: 0
; ScratchSize: 0
; MemoryBound: 0
; FloatMode: 240
; IeeeMode: 1
; LDSByteSize: 0 bytes/workgroup (compile time only)
; SGPRBlocks: 0
; VGPRBlocks: 0
; NumSGPRsForWavesPerEU: 4
; NumVGPRsForWavesPerEU: 1
; Occupancy: 10
; WaveLimiterHint : 0
; COMPUTE_PGM_RSRC2:SCRATCH_EN: 0
; COMPUTE_PGM_RSRC2:USER_SGPR: 4
; COMPUTE_PGM_RSRC2:TRAP_HANDLER: 0
; COMPUTE_PGM_RSRC2:TGID_X_EN: 1
; COMPUTE_PGM_RSRC2:TGID_Y_EN: 0
; COMPUTE_PGM_RSRC2:TGID_Z_EN: 0
; COMPUTE_PGM_RSRC2:TIDIG_COMP_CNT: 0
	.section	.text._ZN7rocprim17ROCPRIM_400000_NS6detail44device_merge_sort_compile_time_verifier_archINS1_11comp_targetILNS1_3genE10ELNS1_11target_archE1201ELNS1_3gpuE5ELNS1_3repE0EEES8_NS0_14default_configES9_NS1_37merge_sort_block_sort_config_selectorIN3c104HalfElEENS1_38merge_sort_block_merge_config_selectorISC_lEEEEvv,"axG",@progbits,_ZN7rocprim17ROCPRIM_400000_NS6detail44device_merge_sort_compile_time_verifier_archINS1_11comp_targetILNS1_3genE10ELNS1_11target_archE1201ELNS1_3gpuE5ELNS1_3repE0EEES8_NS0_14default_configES9_NS1_37merge_sort_block_sort_config_selectorIN3c104HalfElEENS1_38merge_sort_block_merge_config_selectorISC_lEEEEvv,comdat
	.protected	_ZN7rocprim17ROCPRIM_400000_NS6detail44device_merge_sort_compile_time_verifier_archINS1_11comp_targetILNS1_3genE10ELNS1_11target_archE1201ELNS1_3gpuE5ELNS1_3repE0EEES8_NS0_14default_configES9_NS1_37merge_sort_block_sort_config_selectorIN3c104HalfElEENS1_38merge_sort_block_merge_config_selectorISC_lEEEEvv ; -- Begin function _ZN7rocprim17ROCPRIM_400000_NS6detail44device_merge_sort_compile_time_verifier_archINS1_11comp_targetILNS1_3genE10ELNS1_11target_archE1201ELNS1_3gpuE5ELNS1_3repE0EEES8_NS0_14default_configES9_NS1_37merge_sort_block_sort_config_selectorIN3c104HalfElEENS1_38merge_sort_block_merge_config_selectorISC_lEEEEvv
	.globl	_ZN7rocprim17ROCPRIM_400000_NS6detail44device_merge_sort_compile_time_verifier_archINS1_11comp_targetILNS1_3genE10ELNS1_11target_archE1201ELNS1_3gpuE5ELNS1_3repE0EEES8_NS0_14default_configES9_NS1_37merge_sort_block_sort_config_selectorIN3c104HalfElEENS1_38merge_sort_block_merge_config_selectorISC_lEEEEvv
	.p2align	8
	.type	_ZN7rocprim17ROCPRIM_400000_NS6detail44device_merge_sort_compile_time_verifier_archINS1_11comp_targetILNS1_3genE10ELNS1_11target_archE1201ELNS1_3gpuE5ELNS1_3repE0EEES8_NS0_14default_configES9_NS1_37merge_sort_block_sort_config_selectorIN3c104HalfElEENS1_38merge_sort_block_merge_config_selectorISC_lEEEEvv,@function
_ZN7rocprim17ROCPRIM_400000_NS6detail44device_merge_sort_compile_time_verifier_archINS1_11comp_targetILNS1_3genE10ELNS1_11target_archE1201ELNS1_3gpuE5ELNS1_3repE0EEES8_NS0_14default_configES9_NS1_37merge_sort_block_sort_config_selectorIN3c104HalfElEENS1_38merge_sort_block_merge_config_selectorISC_lEEEEvv: ; @_ZN7rocprim17ROCPRIM_400000_NS6detail44device_merge_sort_compile_time_verifier_archINS1_11comp_targetILNS1_3genE10ELNS1_11target_archE1201ELNS1_3gpuE5ELNS1_3repE0EEES8_NS0_14default_configES9_NS1_37merge_sort_block_sort_config_selectorIN3c104HalfElEENS1_38merge_sort_block_merge_config_selectorISC_lEEEEvv
; %bb.0:
	s_endpgm
	.section	.rodata,"a",@progbits
	.p2align	6, 0x0
	.amdhsa_kernel _ZN7rocprim17ROCPRIM_400000_NS6detail44device_merge_sort_compile_time_verifier_archINS1_11comp_targetILNS1_3genE10ELNS1_11target_archE1201ELNS1_3gpuE5ELNS1_3repE0EEES8_NS0_14default_configES9_NS1_37merge_sort_block_sort_config_selectorIN3c104HalfElEENS1_38merge_sort_block_merge_config_selectorISC_lEEEEvv
		.amdhsa_group_segment_fixed_size 0
		.amdhsa_private_segment_fixed_size 0
		.amdhsa_kernarg_size 0
		.amdhsa_user_sgpr_count 4
		.amdhsa_user_sgpr_private_segment_buffer 1
		.amdhsa_user_sgpr_dispatch_ptr 0
		.amdhsa_user_sgpr_queue_ptr 0
		.amdhsa_user_sgpr_kernarg_segment_ptr 0
		.amdhsa_user_sgpr_dispatch_id 0
		.amdhsa_user_sgpr_flat_scratch_init 0
		.amdhsa_user_sgpr_private_segment_size 0
		.amdhsa_uses_dynamic_stack 0
		.amdhsa_system_sgpr_private_segment_wavefront_offset 0
		.amdhsa_system_sgpr_workgroup_id_x 1
		.amdhsa_system_sgpr_workgroup_id_y 0
		.amdhsa_system_sgpr_workgroup_id_z 0
		.amdhsa_system_sgpr_workgroup_info 0
		.amdhsa_system_vgpr_workitem_id 0
		.amdhsa_next_free_vgpr 1
		.amdhsa_next_free_sgpr 0
		.amdhsa_reserve_vcc 0
		.amdhsa_reserve_flat_scratch 0
		.amdhsa_float_round_mode_32 0
		.amdhsa_float_round_mode_16_64 0
		.amdhsa_float_denorm_mode_32 3
		.amdhsa_float_denorm_mode_16_64 3
		.amdhsa_dx10_clamp 1
		.amdhsa_ieee_mode 1
		.amdhsa_fp16_overflow 0
		.amdhsa_exception_fp_ieee_invalid_op 0
		.amdhsa_exception_fp_denorm_src 0
		.amdhsa_exception_fp_ieee_div_zero 0
		.amdhsa_exception_fp_ieee_overflow 0
		.amdhsa_exception_fp_ieee_underflow 0
		.amdhsa_exception_fp_ieee_inexact 0
		.amdhsa_exception_int_div_zero 0
	.end_amdhsa_kernel
	.section	.text._ZN7rocprim17ROCPRIM_400000_NS6detail44device_merge_sort_compile_time_verifier_archINS1_11comp_targetILNS1_3genE10ELNS1_11target_archE1201ELNS1_3gpuE5ELNS1_3repE0EEES8_NS0_14default_configES9_NS1_37merge_sort_block_sort_config_selectorIN3c104HalfElEENS1_38merge_sort_block_merge_config_selectorISC_lEEEEvv,"axG",@progbits,_ZN7rocprim17ROCPRIM_400000_NS6detail44device_merge_sort_compile_time_verifier_archINS1_11comp_targetILNS1_3genE10ELNS1_11target_archE1201ELNS1_3gpuE5ELNS1_3repE0EEES8_NS0_14default_configES9_NS1_37merge_sort_block_sort_config_selectorIN3c104HalfElEENS1_38merge_sort_block_merge_config_selectorISC_lEEEEvv,comdat
.Lfunc_end2111:
	.size	_ZN7rocprim17ROCPRIM_400000_NS6detail44device_merge_sort_compile_time_verifier_archINS1_11comp_targetILNS1_3genE10ELNS1_11target_archE1201ELNS1_3gpuE5ELNS1_3repE0EEES8_NS0_14default_configES9_NS1_37merge_sort_block_sort_config_selectorIN3c104HalfElEENS1_38merge_sort_block_merge_config_selectorISC_lEEEEvv, .Lfunc_end2111-_ZN7rocprim17ROCPRIM_400000_NS6detail44device_merge_sort_compile_time_verifier_archINS1_11comp_targetILNS1_3genE10ELNS1_11target_archE1201ELNS1_3gpuE5ELNS1_3repE0EEES8_NS0_14default_configES9_NS1_37merge_sort_block_sort_config_selectorIN3c104HalfElEENS1_38merge_sort_block_merge_config_selectorISC_lEEEEvv
                                        ; -- End function
	.set _ZN7rocprim17ROCPRIM_400000_NS6detail44device_merge_sort_compile_time_verifier_archINS1_11comp_targetILNS1_3genE10ELNS1_11target_archE1201ELNS1_3gpuE5ELNS1_3repE0EEES8_NS0_14default_configES9_NS1_37merge_sort_block_sort_config_selectorIN3c104HalfElEENS1_38merge_sort_block_merge_config_selectorISC_lEEEEvv.num_vgpr, 0
	.set _ZN7rocprim17ROCPRIM_400000_NS6detail44device_merge_sort_compile_time_verifier_archINS1_11comp_targetILNS1_3genE10ELNS1_11target_archE1201ELNS1_3gpuE5ELNS1_3repE0EEES8_NS0_14default_configES9_NS1_37merge_sort_block_sort_config_selectorIN3c104HalfElEENS1_38merge_sort_block_merge_config_selectorISC_lEEEEvv.num_agpr, 0
	.set _ZN7rocprim17ROCPRIM_400000_NS6detail44device_merge_sort_compile_time_verifier_archINS1_11comp_targetILNS1_3genE10ELNS1_11target_archE1201ELNS1_3gpuE5ELNS1_3repE0EEES8_NS0_14default_configES9_NS1_37merge_sort_block_sort_config_selectorIN3c104HalfElEENS1_38merge_sort_block_merge_config_selectorISC_lEEEEvv.numbered_sgpr, 0
	.set _ZN7rocprim17ROCPRIM_400000_NS6detail44device_merge_sort_compile_time_verifier_archINS1_11comp_targetILNS1_3genE10ELNS1_11target_archE1201ELNS1_3gpuE5ELNS1_3repE0EEES8_NS0_14default_configES9_NS1_37merge_sort_block_sort_config_selectorIN3c104HalfElEENS1_38merge_sort_block_merge_config_selectorISC_lEEEEvv.num_named_barrier, 0
	.set _ZN7rocprim17ROCPRIM_400000_NS6detail44device_merge_sort_compile_time_verifier_archINS1_11comp_targetILNS1_3genE10ELNS1_11target_archE1201ELNS1_3gpuE5ELNS1_3repE0EEES8_NS0_14default_configES9_NS1_37merge_sort_block_sort_config_selectorIN3c104HalfElEENS1_38merge_sort_block_merge_config_selectorISC_lEEEEvv.private_seg_size, 0
	.set _ZN7rocprim17ROCPRIM_400000_NS6detail44device_merge_sort_compile_time_verifier_archINS1_11comp_targetILNS1_3genE10ELNS1_11target_archE1201ELNS1_3gpuE5ELNS1_3repE0EEES8_NS0_14default_configES9_NS1_37merge_sort_block_sort_config_selectorIN3c104HalfElEENS1_38merge_sort_block_merge_config_selectorISC_lEEEEvv.uses_vcc, 0
	.set _ZN7rocprim17ROCPRIM_400000_NS6detail44device_merge_sort_compile_time_verifier_archINS1_11comp_targetILNS1_3genE10ELNS1_11target_archE1201ELNS1_3gpuE5ELNS1_3repE0EEES8_NS0_14default_configES9_NS1_37merge_sort_block_sort_config_selectorIN3c104HalfElEENS1_38merge_sort_block_merge_config_selectorISC_lEEEEvv.uses_flat_scratch, 0
	.set _ZN7rocprim17ROCPRIM_400000_NS6detail44device_merge_sort_compile_time_verifier_archINS1_11comp_targetILNS1_3genE10ELNS1_11target_archE1201ELNS1_3gpuE5ELNS1_3repE0EEES8_NS0_14default_configES9_NS1_37merge_sort_block_sort_config_selectorIN3c104HalfElEENS1_38merge_sort_block_merge_config_selectorISC_lEEEEvv.has_dyn_sized_stack, 0
	.set _ZN7rocprim17ROCPRIM_400000_NS6detail44device_merge_sort_compile_time_verifier_archINS1_11comp_targetILNS1_3genE10ELNS1_11target_archE1201ELNS1_3gpuE5ELNS1_3repE0EEES8_NS0_14default_configES9_NS1_37merge_sort_block_sort_config_selectorIN3c104HalfElEENS1_38merge_sort_block_merge_config_selectorISC_lEEEEvv.has_recursion, 0
	.set _ZN7rocprim17ROCPRIM_400000_NS6detail44device_merge_sort_compile_time_verifier_archINS1_11comp_targetILNS1_3genE10ELNS1_11target_archE1201ELNS1_3gpuE5ELNS1_3repE0EEES8_NS0_14default_configES9_NS1_37merge_sort_block_sort_config_selectorIN3c104HalfElEENS1_38merge_sort_block_merge_config_selectorISC_lEEEEvv.has_indirect_call, 0
	.section	.AMDGPU.csdata,"",@progbits
; Kernel info:
; codeLenInByte = 4
; TotalNumSgprs: 4
; NumVgprs: 0
; ScratchSize: 0
; MemoryBound: 0
; FloatMode: 240
; IeeeMode: 1
; LDSByteSize: 0 bytes/workgroup (compile time only)
; SGPRBlocks: 0
; VGPRBlocks: 0
; NumSGPRsForWavesPerEU: 4
; NumVGPRsForWavesPerEU: 1
; Occupancy: 10
; WaveLimiterHint : 0
; COMPUTE_PGM_RSRC2:SCRATCH_EN: 0
; COMPUTE_PGM_RSRC2:USER_SGPR: 4
; COMPUTE_PGM_RSRC2:TRAP_HANDLER: 0
; COMPUTE_PGM_RSRC2:TGID_X_EN: 1
; COMPUTE_PGM_RSRC2:TGID_Y_EN: 0
; COMPUTE_PGM_RSRC2:TGID_Z_EN: 0
; COMPUTE_PGM_RSRC2:TIDIG_COMP_CNT: 0
	.section	.text._ZN7rocprim17ROCPRIM_400000_NS6detail44device_merge_sort_compile_time_verifier_archINS1_11comp_targetILNS1_3genE10ELNS1_11target_archE1200ELNS1_3gpuE4ELNS1_3repE0EEENS3_ILS4_10ELS5_1201ELS6_5ELS7_0EEENS0_14default_configESA_NS1_37merge_sort_block_sort_config_selectorIN3c104HalfElEENS1_38merge_sort_block_merge_config_selectorISD_lEEEEvv,"axG",@progbits,_ZN7rocprim17ROCPRIM_400000_NS6detail44device_merge_sort_compile_time_verifier_archINS1_11comp_targetILNS1_3genE10ELNS1_11target_archE1200ELNS1_3gpuE4ELNS1_3repE0EEENS3_ILS4_10ELS5_1201ELS6_5ELS7_0EEENS0_14default_configESA_NS1_37merge_sort_block_sort_config_selectorIN3c104HalfElEENS1_38merge_sort_block_merge_config_selectorISD_lEEEEvv,comdat
	.protected	_ZN7rocprim17ROCPRIM_400000_NS6detail44device_merge_sort_compile_time_verifier_archINS1_11comp_targetILNS1_3genE10ELNS1_11target_archE1200ELNS1_3gpuE4ELNS1_3repE0EEENS3_ILS4_10ELS5_1201ELS6_5ELS7_0EEENS0_14default_configESA_NS1_37merge_sort_block_sort_config_selectorIN3c104HalfElEENS1_38merge_sort_block_merge_config_selectorISD_lEEEEvv ; -- Begin function _ZN7rocprim17ROCPRIM_400000_NS6detail44device_merge_sort_compile_time_verifier_archINS1_11comp_targetILNS1_3genE10ELNS1_11target_archE1200ELNS1_3gpuE4ELNS1_3repE0EEENS3_ILS4_10ELS5_1201ELS6_5ELS7_0EEENS0_14default_configESA_NS1_37merge_sort_block_sort_config_selectorIN3c104HalfElEENS1_38merge_sort_block_merge_config_selectorISD_lEEEEvv
	.globl	_ZN7rocprim17ROCPRIM_400000_NS6detail44device_merge_sort_compile_time_verifier_archINS1_11comp_targetILNS1_3genE10ELNS1_11target_archE1200ELNS1_3gpuE4ELNS1_3repE0EEENS3_ILS4_10ELS5_1201ELS6_5ELS7_0EEENS0_14default_configESA_NS1_37merge_sort_block_sort_config_selectorIN3c104HalfElEENS1_38merge_sort_block_merge_config_selectorISD_lEEEEvv
	.p2align	8
	.type	_ZN7rocprim17ROCPRIM_400000_NS6detail44device_merge_sort_compile_time_verifier_archINS1_11comp_targetILNS1_3genE10ELNS1_11target_archE1200ELNS1_3gpuE4ELNS1_3repE0EEENS3_ILS4_10ELS5_1201ELS6_5ELS7_0EEENS0_14default_configESA_NS1_37merge_sort_block_sort_config_selectorIN3c104HalfElEENS1_38merge_sort_block_merge_config_selectorISD_lEEEEvv,@function
_ZN7rocprim17ROCPRIM_400000_NS6detail44device_merge_sort_compile_time_verifier_archINS1_11comp_targetILNS1_3genE10ELNS1_11target_archE1200ELNS1_3gpuE4ELNS1_3repE0EEENS3_ILS4_10ELS5_1201ELS6_5ELS7_0EEENS0_14default_configESA_NS1_37merge_sort_block_sort_config_selectorIN3c104HalfElEENS1_38merge_sort_block_merge_config_selectorISD_lEEEEvv: ; @_ZN7rocprim17ROCPRIM_400000_NS6detail44device_merge_sort_compile_time_verifier_archINS1_11comp_targetILNS1_3genE10ELNS1_11target_archE1200ELNS1_3gpuE4ELNS1_3repE0EEENS3_ILS4_10ELS5_1201ELS6_5ELS7_0EEENS0_14default_configESA_NS1_37merge_sort_block_sort_config_selectorIN3c104HalfElEENS1_38merge_sort_block_merge_config_selectorISD_lEEEEvv
; %bb.0:
	s_endpgm
	.section	.rodata,"a",@progbits
	.p2align	6, 0x0
	.amdhsa_kernel _ZN7rocprim17ROCPRIM_400000_NS6detail44device_merge_sort_compile_time_verifier_archINS1_11comp_targetILNS1_3genE10ELNS1_11target_archE1200ELNS1_3gpuE4ELNS1_3repE0EEENS3_ILS4_10ELS5_1201ELS6_5ELS7_0EEENS0_14default_configESA_NS1_37merge_sort_block_sort_config_selectorIN3c104HalfElEENS1_38merge_sort_block_merge_config_selectorISD_lEEEEvv
		.amdhsa_group_segment_fixed_size 0
		.amdhsa_private_segment_fixed_size 0
		.amdhsa_kernarg_size 0
		.amdhsa_user_sgpr_count 4
		.amdhsa_user_sgpr_private_segment_buffer 1
		.amdhsa_user_sgpr_dispatch_ptr 0
		.amdhsa_user_sgpr_queue_ptr 0
		.amdhsa_user_sgpr_kernarg_segment_ptr 0
		.amdhsa_user_sgpr_dispatch_id 0
		.amdhsa_user_sgpr_flat_scratch_init 0
		.amdhsa_user_sgpr_private_segment_size 0
		.amdhsa_uses_dynamic_stack 0
		.amdhsa_system_sgpr_private_segment_wavefront_offset 0
		.amdhsa_system_sgpr_workgroup_id_x 1
		.amdhsa_system_sgpr_workgroup_id_y 0
		.amdhsa_system_sgpr_workgroup_id_z 0
		.amdhsa_system_sgpr_workgroup_info 0
		.amdhsa_system_vgpr_workitem_id 0
		.amdhsa_next_free_vgpr 1
		.amdhsa_next_free_sgpr 0
		.amdhsa_reserve_vcc 0
		.amdhsa_reserve_flat_scratch 0
		.amdhsa_float_round_mode_32 0
		.amdhsa_float_round_mode_16_64 0
		.amdhsa_float_denorm_mode_32 3
		.amdhsa_float_denorm_mode_16_64 3
		.amdhsa_dx10_clamp 1
		.amdhsa_ieee_mode 1
		.amdhsa_fp16_overflow 0
		.amdhsa_exception_fp_ieee_invalid_op 0
		.amdhsa_exception_fp_denorm_src 0
		.amdhsa_exception_fp_ieee_div_zero 0
		.amdhsa_exception_fp_ieee_overflow 0
		.amdhsa_exception_fp_ieee_underflow 0
		.amdhsa_exception_fp_ieee_inexact 0
		.amdhsa_exception_int_div_zero 0
	.end_amdhsa_kernel
	.section	.text._ZN7rocprim17ROCPRIM_400000_NS6detail44device_merge_sort_compile_time_verifier_archINS1_11comp_targetILNS1_3genE10ELNS1_11target_archE1200ELNS1_3gpuE4ELNS1_3repE0EEENS3_ILS4_10ELS5_1201ELS6_5ELS7_0EEENS0_14default_configESA_NS1_37merge_sort_block_sort_config_selectorIN3c104HalfElEENS1_38merge_sort_block_merge_config_selectorISD_lEEEEvv,"axG",@progbits,_ZN7rocprim17ROCPRIM_400000_NS6detail44device_merge_sort_compile_time_verifier_archINS1_11comp_targetILNS1_3genE10ELNS1_11target_archE1200ELNS1_3gpuE4ELNS1_3repE0EEENS3_ILS4_10ELS5_1201ELS6_5ELS7_0EEENS0_14default_configESA_NS1_37merge_sort_block_sort_config_selectorIN3c104HalfElEENS1_38merge_sort_block_merge_config_selectorISD_lEEEEvv,comdat
.Lfunc_end2112:
	.size	_ZN7rocprim17ROCPRIM_400000_NS6detail44device_merge_sort_compile_time_verifier_archINS1_11comp_targetILNS1_3genE10ELNS1_11target_archE1200ELNS1_3gpuE4ELNS1_3repE0EEENS3_ILS4_10ELS5_1201ELS6_5ELS7_0EEENS0_14default_configESA_NS1_37merge_sort_block_sort_config_selectorIN3c104HalfElEENS1_38merge_sort_block_merge_config_selectorISD_lEEEEvv, .Lfunc_end2112-_ZN7rocprim17ROCPRIM_400000_NS6detail44device_merge_sort_compile_time_verifier_archINS1_11comp_targetILNS1_3genE10ELNS1_11target_archE1200ELNS1_3gpuE4ELNS1_3repE0EEENS3_ILS4_10ELS5_1201ELS6_5ELS7_0EEENS0_14default_configESA_NS1_37merge_sort_block_sort_config_selectorIN3c104HalfElEENS1_38merge_sort_block_merge_config_selectorISD_lEEEEvv
                                        ; -- End function
	.set _ZN7rocprim17ROCPRIM_400000_NS6detail44device_merge_sort_compile_time_verifier_archINS1_11comp_targetILNS1_3genE10ELNS1_11target_archE1200ELNS1_3gpuE4ELNS1_3repE0EEENS3_ILS4_10ELS5_1201ELS6_5ELS7_0EEENS0_14default_configESA_NS1_37merge_sort_block_sort_config_selectorIN3c104HalfElEENS1_38merge_sort_block_merge_config_selectorISD_lEEEEvv.num_vgpr, 0
	.set _ZN7rocprim17ROCPRIM_400000_NS6detail44device_merge_sort_compile_time_verifier_archINS1_11comp_targetILNS1_3genE10ELNS1_11target_archE1200ELNS1_3gpuE4ELNS1_3repE0EEENS3_ILS4_10ELS5_1201ELS6_5ELS7_0EEENS0_14default_configESA_NS1_37merge_sort_block_sort_config_selectorIN3c104HalfElEENS1_38merge_sort_block_merge_config_selectorISD_lEEEEvv.num_agpr, 0
	.set _ZN7rocprim17ROCPRIM_400000_NS6detail44device_merge_sort_compile_time_verifier_archINS1_11comp_targetILNS1_3genE10ELNS1_11target_archE1200ELNS1_3gpuE4ELNS1_3repE0EEENS3_ILS4_10ELS5_1201ELS6_5ELS7_0EEENS0_14default_configESA_NS1_37merge_sort_block_sort_config_selectorIN3c104HalfElEENS1_38merge_sort_block_merge_config_selectorISD_lEEEEvv.numbered_sgpr, 0
	.set _ZN7rocprim17ROCPRIM_400000_NS6detail44device_merge_sort_compile_time_verifier_archINS1_11comp_targetILNS1_3genE10ELNS1_11target_archE1200ELNS1_3gpuE4ELNS1_3repE0EEENS3_ILS4_10ELS5_1201ELS6_5ELS7_0EEENS0_14default_configESA_NS1_37merge_sort_block_sort_config_selectorIN3c104HalfElEENS1_38merge_sort_block_merge_config_selectorISD_lEEEEvv.num_named_barrier, 0
	.set _ZN7rocprim17ROCPRIM_400000_NS6detail44device_merge_sort_compile_time_verifier_archINS1_11comp_targetILNS1_3genE10ELNS1_11target_archE1200ELNS1_3gpuE4ELNS1_3repE0EEENS3_ILS4_10ELS5_1201ELS6_5ELS7_0EEENS0_14default_configESA_NS1_37merge_sort_block_sort_config_selectorIN3c104HalfElEENS1_38merge_sort_block_merge_config_selectorISD_lEEEEvv.private_seg_size, 0
	.set _ZN7rocprim17ROCPRIM_400000_NS6detail44device_merge_sort_compile_time_verifier_archINS1_11comp_targetILNS1_3genE10ELNS1_11target_archE1200ELNS1_3gpuE4ELNS1_3repE0EEENS3_ILS4_10ELS5_1201ELS6_5ELS7_0EEENS0_14default_configESA_NS1_37merge_sort_block_sort_config_selectorIN3c104HalfElEENS1_38merge_sort_block_merge_config_selectorISD_lEEEEvv.uses_vcc, 0
	.set _ZN7rocprim17ROCPRIM_400000_NS6detail44device_merge_sort_compile_time_verifier_archINS1_11comp_targetILNS1_3genE10ELNS1_11target_archE1200ELNS1_3gpuE4ELNS1_3repE0EEENS3_ILS4_10ELS5_1201ELS6_5ELS7_0EEENS0_14default_configESA_NS1_37merge_sort_block_sort_config_selectorIN3c104HalfElEENS1_38merge_sort_block_merge_config_selectorISD_lEEEEvv.uses_flat_scratch, 0
	.set _ZN7rocprim17ROCPRIM_400000_NS6detail44device_merge_sort_compile_time_verifier_archINS1_11comp_targetILNS1_3genE10ELNS1_11target_archE1200ELNS1_3gpuE4ELNS1_3repE0EEENS3_ILS4_10ELS5_1201ELS6_5ELS7_0EEENS0_14default_configESA_NS1_37merge_sort_block_sort_config_selectorIN3c104HalfElEENS1_38merge_sort_block_merge_config_selectorISD_lEEEEvv.has_dyn_sized_stack, 0
	.set _ZN7rocprim17ROCPRIM_400000_NS6detail44device_merge_sort_compile_time_verifier_archINS1_11comp_targetILNS1_3genE10ELNS1_11target_archE1200ELNS1_3gpuE4ELNS1_3repE0EEENS3_ILS4_10ELS5_1201ELS6_5ELS7_0EEENS0_14default_configESA_NS1_37merge_sort_block_sort_config_selectorIN3c104HalfElEENS1_38merge_sort_block_merge_config_selectorISD_lEEEEvv.has_recursion, 0
	.set _ZN7rocprim17ROCPRIM_400000_NS6detail44device_merge_sort_compile_time_verifier_archINS1_11comp_targetILNS1_3genE10ELNS1_11target_archE1200ELNS1_3gpuE4ELNS1_3repE0EEENS3_ILS4_10ELS5_1201ELS6_5ELS7_0EEENS0_14default_configESA_NS1_37merge_sort_block_sort_config_selectorIN3c104HalfElEENS1_38merge_sort_block_merge_config_selectorISD_lEEEEvv.has_indirect_call, 0
	.section	.AMDGPU.csdata,"",@progbits
; Kernel info:
; codeLenInByte = 4
; TotalNumSgprs: 4
; NumVgprs: 0
; ScratchSize: 0
; MemoryBound: 0
; FloatMode: 240
; IeeeMode: 1
; LDSByteSize: 0 bytes/workgroup (compile time only)
; SGPRBlocks: 0
; VGPRBlocks: 0
; NumSGPRsForWavesPerEU: 4
; NumVGPRsForWavesPerEU: 1
; Occupancy: 10
; WaveLimiterHint : 0
; COMPUTE_PGM_RSRC2:SCRATCH_EN: 0
; COMPUTE_PGM_RSRC2:USER_SGPR: 4
; COMPUTE_PGM_RSRC2:TRAP_HANDLER: 0
; COMPUTE_PGM_RSRC2:TGID_X_EN: 1
; COMPUTE_PGM_RSRC2:TGID_Y_EN: 0
; COMPUTE_PGM_RSRC2:TGID_Z_EN: 0
; COMPUTE_PGM_RSRC2:TIDIG_COMP_CNT: 0
	.section	.text._ZN7rocprim17ROCPRIM_400000_NS6detail44device_merge_sort_compile_time_verifier_archINS1_11comp_targetILNS1_3genE9ELNS1_11target_archE1100ELNS1_3gpuE3ELNS1_3repE0EEES8_NS0_14default_configES9_NS1_37merge_sort_block_sort_config_selectorIN3c104HalfElEENS1_38merge_sort_block_merge_config_selectorISC_lEEEEvv,"axG",@progbits,_ZN7rocprim17ROCPRIM_400000_NS6detail44device_merge_sort_compile_time_verifier_archINS1_11comp_targetILNS1_3genE9ELNS1_11target_archE1100ELNS1_3gpuE3ELNS1_3repE0EEES8_NS0_14default_configES9_NS1_37merge_sort_block_sort_config_selectorIN3c104HalfElEENS1_38merge_sort_block_merge_config_selectorISC_lEEEEvv,comdat
	.protected	_ZN7rocprim17ROCPRIM_400000_NS6detail44device_merge_sort_compile_time_verifier_archINS1_11comp_targetILNS1_3genE9ELNS1_11target_archE1100ELNS1_3gpuE3ELNS1_3repE0EEES8_NS0_14default_configES9_NS1_37merge_sort_block_sort_config_selectorIN3c104HalfElEENS1_38merge_sort_block_merge_config_selectorISC_lEEEEvv ; -- Begin function _ZN7rocprim17ROCPRIM_400000_NS6detail44device_merge_sort_compile_time_verifier_archINS1_11comp_targetILNS1_3genE9ELNS1_11target_archE1100ELNS1_3gpuE3ELNS1_3repE0EEES8_NS0_14default_configES9_NS1_37merge_sort_block_sort_config_selectorIN3c104HalfElEENS1_38merge_sort_block_merge_config_selectorISC_lEEEEvv
	.globl	_ZN7rocprim17ROCPRIM_400000_NS6detail44device_merge_sort_compile_time_verifier_archINS1_11comp_targetILNS1_3genE9ELNS1_11target_archE1100ELNS1_3gpuE3ELNS1_3repE0EEES8_NS0_14default_configES9_NS1_37merge_sort_block_sort_config_selectorIN3c104HalfElEENS1_38merge_sort_block_merge_config_selectorISC_lEEEEvv
	.p2align	8
	.type	_ZN7rocprim17ROCPRIM_400000_NS6detail44device_merge_sort_compile_time_verifier_archINS1_11comp_targetILNS1_3genE9ELNS1_11target_archE1100ELNS1_3gpuE3ELNS1_3repE0EEES8_NS0_14default_configES9_NS1_37merge_sort_block_sort_config_selectorIN3c104HalfElEENS1_38merge_sort_block_merge_config_selectorISC_lEEEEvv,@function
_ZN7rocprim17ROCPRIM_400000_NS6detail44device_merge_sort_compile_time_verifier_archINS1_11comp_targetILNS1_3genE9ELNS1_11target_archE1100ELNS1_3gpuE3ELNS1_3repE0EEES8_NS0_14default_configES9_NS1_37merge_sort_block_sort_config_selectorIN3c104HalfElEENS1_38merge_sort_block_merge_config_selectorISC_lEEEEvv: ; @_ZN7rocprim17ROCPRIM_400000_NS6detail44device_merge_sort_compile_time_verifier_archINS1_11comp_targetILNS1_3genE9ELNS1_11target_archE1100ELNS1_3gpuE3ELNS1_3repE0EEES8_NS0_14default_configES9_NS1_37merge_sort_block_sort_config_selectorIN3c104HalfElEENS1_38merge_sort_block_merge_config_selectorISC_lEEEEvv
; %bb.0:
	s_endpgm
	.section	.rodata,"a",@progbits
	.p2align	6, 0x0
	.amdhsa_kernel _ZN7rocprim17ROCPRIM_400000_NS6detail44device_merge_sort_compile_time_verifier_archINS1_11comp_targetILNS1_3genE9ELNS1_11target_archE1100ELNS1_3gpuE3ELNS1_3repE0EEES8_NS0_14default_configES9_NS1_37merge_sort_block_sort_config_selectorIN3c104HalfElEENS1_38merge_sort_block_merge_config_selectorISC_lEEEEvv
		.amdhsa_group_segment_fixed_size 0
		.amdhsa_private_segment_fixed_size 0
		.amdhsa_kernarg_size 0
		.amdhsa_user_sgpr_count 4
		.amdhsa_user_sgpr_private_segment_buffer 1
		.amdhsa_user_sgpr_dispatch_ptr 0
		.amdhsa_user_sgpr_queue_ptr 0
		.amdhsa_user_sgpr_kernarg_segment_ptr 0
		.amdhsa_user_sgpr_dispatch_id 0
		.amdhsa_user_sgpr_flat_scratch_init 0
		.amdhsa_user_sgpr_private_segment_size 0
		.amdhsa_uses_dynamic_stack 0
		.amdhsa_system_sgpr_private_segment_wavefront_offset 0
		.amdhsa_system_sgpr_workgroup_id_x 1
		.amdhsa_system_sgpr_workgroup_id_y 0
		.amdhsa_system_sgpr_workgroup_id_z 0
		.amdhsa_system_sgpr_workgroup_info 0
		.amdhsa_system_vgpr_workitem_id 0
		.amdhsa_next_free_vgpr 1
		.amdhsa_next_free_sgpr 0
		.amdhsa_reserve_vcc 0
		.amdhsa_reserve_flat_scratch 0
		.amdhsa_float_round_mode_32 0
		.amdhsa_float_round_mode_16_64 0
		.amdhsa_float_denorm_mode_32 3
		.amdhsa_float_denorm_mode_16_64 3
		.amdhsa_dx10_clamp 1
		.amdhsa_ieee_mode 1
		.amdhsa_fp16_overflow 0
		.amdhsa_exception_fp_ieee_invalid_op 0
		.amdhsa_exception_fp_denorm_src 0
		.amdhsa_exception_fp_ieee_div_zero 0
		.amdhsa_exception_fp_ieee_overflow 0
		.amdhsa_exception_fp_ieee_underflow 0
		.amdhsa_exception_fp_ieee_inexact 0
		.amdhsa_exception_int_div_zero 0
	.end_amdhsa_kernel
	.section	.text._ZN7rocprim17ROCPRIM_400000_NS6detail44device_merge_sort_compile_time_verifier_archINS1_11comp_targetILNS1_3genE9ELNS1_11target_archE1100ELNS1_3gpuE3ELNS1_3repE0EEES8_NS0_14default_configES9_NS1_37merge_sort_block_sort_config_selectorIN3c104HalfElEENS1_38merge_sort_block_merge_config_selectorISC_lEEEEvv,"axG",@progbits,_ZN7rocprim17ROCPRIM_400000_NS6detail44device_merge_sort_compile_time_verifier_archINS1_11comp_targetILNS1_3genE9ELNS1_11target_archE1100ELNS1_3gpuE3ELNS1_3repE0EEES8_NS0_14default_configES9_NS1_37merge_sort_block_sort_config_selectorIN3c104HalfElEENS1_38merge_sort_block_merge_config_selectorISC_lEEEEvv,comdat
.Lfunc_end2113:
	.size	_ZN7rocprim17ROCPRIM_400000_NS6detail44device_merge_sort_compile_time_verifier_archINS1_11comp_targetILNS1_3genE9ELNS1_11target_archE1100ELNS1_3gpuE3ELNS1_3repE0EEES8_NS0_14default_configES9_NS1_37merge_sort_block_sort_config_selectorIN3c104HalfElEENS1_38merge_sort_block_merge_config_selectorISC_lEEEEvv, .Lfunc_end2113-_ZN7rocprim17ROCPRIM_400000_NS6detail44device_merge_sort_compile_time_verifier_archINS1_11comp_targetILNS1_3genE9ELNS1_11target_archE1100ELNS1_3gpuE3ELNS1_3repE0EEES8_NS0_14default_configES9_NS1_37merge_sort_block_sort_config_selectorIN3c104HalfElEENS1_38merge_sort_block_merge_config_selectorISC_lEEEEvv
                                        ; -- End function
	.set _ZN7rocprim17ROCPRIM_400000_NS6detail44device_merge_sort_compile_time_verifier_archINS1_11comp_targetILNS1_3genE9ELNS1_11target_archE1100ELNS1_3gpuE3ELNS1_3repE0EEES8_NS0_14default_configES9_NS1_37merge_sort_block_sort_config_selectorIN3c104HalfElEENS1_38merge_sort_block_merge_config_selectorISC_lEEEEvv.num_vgpr, 0
	.set _ZN7rocprim17ROCPRIM_400000_NS6detail44device_merge_sort_compile_time_verifier_archINS1_11comp_targetILNS1_3genE9ELNS1_11target_archE1100ELNS1_3gpuE3ELNS1_3repE0EEES8_NS0_14default_configES9_NS1_37merge_sort_block_sort_config_selectorIN3c104HalfElEENS1_38merge_sort_block_merge_config_selectorISC_lEEEEvv.num_agpr, 0
	.set _ZN7rocprim17ROCPRIM_400000_NS6detail44device_merge_sort_compile_time_verifier_archINS1_11comp_targetILNS1_3genE9ELNS1_11target_archE1100ELNS1_3gpuE3ELNS1_3repE0EEES8_NS0_14default_configES9_NS1_37merge_sort_block_sort_config_selectorIN3c104HalfElEENS1_38merge_sort_block_merge_config_selectorISC_lEEEEvv.numbered_sgpr, 0
	.set _ZN7rocprim17ROCPRIM_400000_NS6detail44device_merge_sort_compile_time_verifier_archINS1_11comp_targetILNS1_3genE9ELNS1_11target_archE1100ELNS1_3gpuE3ELNS1_3repE0EEES8_NS0_14default_configES9_NS1_37merge_sort_block_sort_config_selectorIN3c104HalfElEENS1_38merge_sort_block_merge_config_selectorISC_lEEEEvv.num_named_barrier, 0
	.set _ZN7rocprim17ROCPRIM_400000_NS6detail44device_merge_sort_compile_time_verifier_archINS1_11comp_targetILNS1_3genE9ELNS1_11target_archE1100ELNS1_3gpuE3ELNS1_3repE0EEES8_NS0_14default_configES9_NS1_37merge_sort_block_sort_config_selectorIN3c104HalfElEENS1_38merge_sort_block_merge_config_selectorISC_lEEEEvv.private_seg_size, 0
	.set _ZN7rocprim17ROCPRIM_400000_NS6detail44device_merge_sort_compile_time_verifier_archINS1_11comp_targetILNS1_3genE9ELNS1_11target_archE1100ELNS1_3gpuE3ELNS1_3repE0EEES8_NS0_14default_configES9_NS1_37merge_sort_block_sort_config_selectorIN3c104HalfElEENS1_38merge_sort_block_merge_config_selectorISC_lEEEEvv.uses_vcc, 0
	.set _ZN7rocprim17ROCPRIM_400000_NS6detail44device_merge_sort_compile_time_verifier_archINS1_11comp_targetILNS1_3genE9ELNS1_11target_archE1100ELNS1_3gpuE3ELNS1_3repE0EEES8_NS0_14default_configES9_NS1_37merge_sort_block_sort_config_selectorIN3c104HalfElEENS1_38merge_sort_block_merge_config_selectorISC_lEEEEvv.uses_flat_scratch, 0
	.set _ZN7rocprim17ROCPRIM_400000_NS6detail44device_merge_sort_compile_time_verifier_archINS1_11comp_targetILNS1_3genE9ELNS1_11target_archE1100ELNS1_3gpuE3ELNS1_3repE0EEES8_NS0_14default_configES9_NS1_37merge_sort_block_sort_config_selectorIN3c104HalfElEENS1_38merge_sort_block_merge_config_selectorISC_lEEEEvv.has_dyn_sized_stack, 0
	.set _ZN7rocprim17ROCPRIM_400000_NS6detail44device_merge_sort_compile_time_verifier_archINS1_11comp_targetILNS1_3genE9ELNS1_11target_archE1100ELNS1_3gpuE3ELNS1_3repE0EEES8_NS0_14default_configES9_NS1_37merge_sort_block_sort_config_selectorIN3c104HalfElEENS1_38merge_sort_block_merge_config_selectorISC_lEEEEvv.has_recursion, 0
	.set _ZN7rocprim17ROCPRIM_400000_NS6detail44device_merge_sort_compile_time_verifier_archINS1_11comp_targetILNS1_3genE9ELNS1_11target_archE1100ELNS1_3gpuE3ELNS1_3repE0EEES8_NS0_14default_configES9_NS1_37merge_sort_block_sort_config_selectorIN3c104HalfElEENS1_38merge_sort_block_merge_config_selectorISC_lEEEEvv.has_indirect_call, 0
	.section	.AMDGPU.csdata,"",@progbits
; Kernel info:
; codeLenInByte = 4
; TotalNumSgprs: 4
; NumVgprs: 0
; ScratchSize: 0
; MemoryBound: 0
; FloatMode: 240
; IeeeMode: 1
; LDSByteSize: 0 bytes/workgroup (compile time only)
; SGPRBlocks: 0
; VGPRBlocks: 0
; NumSGPRsForWavesPerEU: 4
; NumVGPRsForWavesPerEU: 1
; Occupancy: 10
; WaveLimiterHint : 0
; COMPUTE_PGM_RSRC2:SCRATCH_EN: 0
; COMPUTE_PGM_RSRC2:USER_SGPR: 4
; COMPUTE_PGM_RSRC2:TRAP_HANDLER: 0
; COMPUTE_PGM_RSRC2:TGID_X_EN: 1
; COMPUTE_PGM_RSRC2:TGID_Y_EN: 0
; COMPUTE_PGM_RSRC2:TGID_Z_EN: 0
; COMPUTE_PGM_RSRC2:TIDIG_COMP_CNT: 0
	.section	.text._ZN7rocprim17ROCPRIM_400000_NS6detail44device_merge_sort_compile_time_verifier_archINS1_11comp_targetILNS1_3genE8ELNS1_11target_archE1030ELNS1_3gpuE2ELNS1_3repE0EEES8_NS0_14default_configES9_NS1_37merge_sort_block_sort_config_selectorIN3c104HalfElEENS1_38merge_sort_block_merge_config_selectorISC_lEEEEvv,"axG",@progbits,_ZN7rocprim17ROCPRIM_400000_NS6detail44device_merge_sort_compile_time_verifier_archINS1_11comp_targetILNS1_3genE8ELNS1_11target_archE1030ELNS1_3gpuE2ELNS1_3repE0EEES8_NS0_14default_configES9_NS1_37merge_sort_block_sort_config_selectorIN3c104HalfElEENS1_38merge_sort_block_merge_config_selectorISC_lEEEEvv,comdat
	.protected	_ZN7rocprim17ROCPRIM_400000_NS6detail44device_merge_sort_compile_time_verifier_archINS1_11comp_targetILNS1_3genE8ELNS1_11target_archE1030ELNS1_3gpuE2ELNS1_3repE0EEES8_NS0_14default_configES9_NS1_37merge_sort_block_sort_config_selectorIN3c104HalfElEENS1_38merge_sort_block_merge_config_selectorISC_lEEEEvv ; -- Begin function _ZN7rocprim17ROCPRIM_400000_NS6detail44device_merge_sort_compile_time_verifier_archINS1_11comp_targetILNS1_3genE8ELNS1_11target_archE1030ELNS1_3gpuE2ELNS1_3repE0EEES8_NS0_14default_configES9_NS1_37merge_sort_block_sort_config_selectorIN3c104HalfElEENS1_38merge_sort_block_merge_config_selectorISC_lEEEEvv
	.globl	_ZN7rocprim17ROCPRIM_400000_NS6detail44device_merge_sort_compile_time_verifier_archINS1_11comp_targetILNS1_3genE8ELNS1_11target_archE1030ELNS1_3gpuE2ELNS1_3repE0EEES8_NS0_14default_configES9_NS1_37merge_sort_block_sort_config_selectorIN3c104HalfElEENS1_38merge_sort_block_merge_config_selectorISC_lEEEEvv
	.p2align	8
	.type	_ZN7rocprim17ROCPRIM_400000_NS6detail44device_merge_sort_compile_time_verifier_archINS1_11comp_targetILNS1_3genE8ELNS1_11target_archE1030ELNS1_3gpuE2ELNS1_3repE0EEES8_NS0_14default_configES9_NS1_37merge_sort_block_sort_config_selectorIN3c104HalfElEENS1_38merge_sort_block_merge_config_selectorISC_lEEEEvv,@function
_ZN7rocprim17ROCPRIM_400000_NS6detail44device_merge_sort_compile_time_verifier_archINS1_11comp_targetILNS1_3genE8ELNS1_11target_archE1030ELNS1_3gpuE2ELNS1_3repE0EEES8_NS0_14default_configES9_NS1_37merge_sort_block_sort_config_selectorIN3c104HalfElEENS1_38merge_sort_block_merge_config_selectorISC_lEEEEvv: ; @_ZN7rocprim17ROCPRIM_400000_NS6detail44device_merge_sort_compile_time_verifier_archINS1_11comp_targetILNS1_3genE8ELNS1_11target_archE1030ELNS1_3gpuE2ELNS1_3repE0EEES8_NS0_14default_configES9_NS1_37merge_sort_block_sort_config_selectorIN3c104HalfElEENS1_38merge_sort_block_merge_config_selectorISC_lEEEEvv
; %bb.0:
	s_endpgm
	.section	.rodata,"a",@progbits
	.p2align	6, 0x0
	.amdhsa_kernel _ZN7rocprim17ROCPRIM_400000_NS6detail44device_merge_sort_compile_time_verifier_archINS1_11comp_targetILNS1_3genE8ELNS1_11target_archE1030ELNS1_3gpuE2ELNS1_3repE0EEES8_NS0_14default_configES9_NS1_37merge_sort_block_sort_config_selectorIN3c104HalfElEENS1_38merge_sort_block_merge_config_selectorISC_lEEEEvv
		.amdhsa_group_segment_fixed_size 0
		.amdhsa_private_segment_fixed_size 0
		.amdhsa_kernarg_size 0
		.amdhsa_user_sgpr_count 4
		.amdhsa_user_sgpr_private_segment_buffer 1
		.amdhsa_user_sgpr_dispatch_ptr 0
		.amdhsa_user_sgpr_queue_ptr 0
		.amdhsa_user_sgpr_kernarg_segment_ptr 0
		.amdhsa_user_sgpr_dispatch_id 0
		.amdhsa_user_sgpr_flat_scratch_init 0
		.amdhsa_user_sgpr_private_segment_size 0
		.amdhsa_uses_dynamic_stack 0
		.amdhsa_system_sgpr_private_segment_wavefront_offset 0
		.amdhsa_system_sgpr_workgroup_id_x 1
		.amdhsa_system_sgpr_workgroup_id_y 0
		.amdhsa_system_sgpr_workgroup_id_z 0
		.amdhsa_system_sgpr_workgroup_info 0
		.amdhsa_system_vgpr_workitem_id 0
		.amdhsa_next_free_vgpr 1
		.amdhsa_next_free_sgpr 0
		.amdhsa_reserve_vcc 0
		.amdhsa_reserve_flat_scratch 0
		.amdhsa_float_round_mode_32 0
		.amdhsa_float_round_mode_16_64 0
		.amdhsa_float_denorm_mode_32 3
		.amdhsa_float_denorm_mode_16_64 3
		.amdhsa_dx10_clamp 1
		.amdhsa_ieee_mode 1
		.amdhsa_fp16_overflow 0
		.amdhsa_exception_fp_ieee_invalid_op 0
		.amdhsa_exception_fp_denorm_src 0
		.amdhsa_exception_fp_ieee_div_zero 0
		.amdhsa_exception_fp_ieee_overflow 0
		.amdhsa_exception_fp_ieee_underflow 0
		.amdhsa_exception_fp_ieee_inexact 0
		.amdhsa_exception_int_div_zero 0
	.end_amdhsa_kernel
	.section	.text._ZN7rocprim17ROCPRIM_400000_NS6detail44device_merge_sort_compile_time_verifier_archINS1_11comp_targetILNS1_3genE8ELNS1_11target_archE1030ELNS1_3gpuE2ELNS1_3repE0EEES8_NS0_14default_configES9_NS1_37merge_sort_block_sort_config_selectorIN3c104HalfElEENS1_38merge_sort_block_merge_config_selectorISC_lEEEEvv,"axG",@progbits,_ZN7rocprim17ROCPRIM_400000_NS6detail44device_merge_sort_compile_time_verifier_archINS1_11comp_targetILNS1_3genE8ELNS1_11target_archE1030ELNS1_3gpuE2ELNS1_3repE0EEES8_NS0_14default_configES9_NS1_37merge_sort_block_sort_config_selectorIN3c104HalfElEENS1_38merge_sort_block_merge_config_selectorISC_lEEEEvv,comdat
.Lfunc_end2114:
	.size	_ZN7rocprim17ROCPRIM_400000_NS6detail44device_merge_sort_compile_time_verifier_archINS1_11comp_targetILNS1_3genE8ELNS1_11target_archE1030ELNS1_3gpuE2ELNS1_3repE0EEES8_NS0_14default_configES9_NS1_37merge_sort_block_sort_config_selectorIN3c104HalfElEENS1_38merge_sort_block_merge_config_selectorISC_lEEEEvv, .Lfunc_end2114-_ZN7rocprim17ROCPRIM_400000_NS6detail44device_merge_sort_compile_time_verifier_archINS1_11comp_targetILNS1_3genE8ELNS1_11target_archE1030ELNS1_3gpuE2ELNS1_3repE0EEES8_NS0_14default_configES9_NS1_37merge_sort_block_sort_config_selectorIN3c104HalfElEENS1_38merge_sort_block_merge_config_selectorISC_lEEEEvv
                                        ; -- End function
	.set _ZN7rocprim17ROCPRIM_400000_NS6detail44device_merge_sort_compile_time_verifier_archINS1_11comp_targetILNS1_3genE8ELNS1_11target_archE1030ELNS1_3gpuE2ELNS1_3repE0EEES8_NS0_14default_configES9_NS1_37merge_sort_block_sort_config_selectorIN3c104HalfElEENS1_38merge_sort_block_merge_config_selectorISC_lEEEEvv.num_vgpr, 0
	.set _ZN7rocprim17ROCPRIM_400000_NS6detail44device_merge_sort_compile_time_verifier_archINS1_11comp_targetILNS1_3genE8ELNS1_11target_archE1030ELNS1_3gpuE2ELNS1_3repE0EEES8_NS0_14default_configES9_NS1_37merge_sort_block_sort_config_selectorIN3c104HalfElEENS1_38merge_sort_block_merge_config_selectorISC_lEEEEvv.num_agpr, 0
	.set _ZN7rocprim17ROCPRIM_400000_NS6detail44device_merge_sort_compile_time_verifier_archINS1_11comp_targetILNS1_3genE8ELNS1_11target_archE1030ELNS1_3gpuE2ELNS1_3repE0EEES8_NS0_14default_configES9_NS1_37merge_sort_block_sort_config_selectorIN3c104HalfElEENS1_38merge_sort_block_merge_config_selectorISC_lEEEEvv.numbered_sgpr, 0
	.set _ZN7rocprim17ROCPRIM_400000_NS6detail44device_merge_sort_compile_time_verifier_archINS1_11comp_targetILNS1_3genE8ELNS1_11target_archE1030ELNS1_3gpuE2ELNS1_3repE0EEES8_NS0_14default_configES9_NS1_37merge_sort_block_sort_config_selectorIN3c104HalfElEENS1_38merge_sort_block_merge_config_selectorISC_lEEEEvv.num_named_barrier, 0
	.set _ZN7rocprim17ROCPRIM_400000_NS6detail44device_merge_sort_compile_time_verifier_archINS1_11comp_targetILNS1_3genE8ELNS1_11target_archE1030ELNS1_3gpuE2ELNS1_3repE0EEES8_NS0_14default_configES9_NS1_37merge_sort_block_sort_config_selectorIN3c104HalfElEENS1_38merge_sort_block_merge_config_selectorISC_lEEEEvv.private_seg_size, 0
	.set _ZN7rocprim17ROCPRIM_400000_NS6detail44device_merge_sort_compile_time_verifier_archINS1_11comp_targetILNS1_3genE8ELNS1_11target_archE1030ELNS1_3gpuE2ELNS1_3repE0EEES8_NS0_14default_configES9_NS1_37merge_sort_block_sort_config_selectorIN3c104HalfElEENS1_38merge_sort_block_merge_config_selectorISC_lEEEEvv.uses_vcc, 0
	.set _ZN7rocprim17ROCPRIM_400000_NS6detail44device_merge_sort_compile_time_verifier_archINS1_11comp_targetILNS1_3genE8ELNS1_11target_archE1030ELNS1_3gpuE2ELNS1_3repE0EEES8_NS0_14default_configES9_NS1_37merge_sort_block_sort_config_selectorIN3c104HalfElEENS1_38merge_sort_block_merge_config_selectorISC_lEEEEvv.uses_flat_scratch, 0
	.set _ZN7rocprim17ROCPRIM_400000_NS6detail44device_merge_sort_compile_time_verifier_archINS1_11comp_targetILNS1_3genE8ELNS1_11target_archE1030ELNS1_3gpuE2ELNS1_3repE0EEES8_NS0_14default_configES9_NS1_37merge_sort_block_sort_config_selectorIN3c104HalfElEENS1_38merge_sort_block_merge_config_selectorISC_lEEEEvv.has_dyn_sized_stack, 0
	.set _ZN7rocprim17ROCPRIM_400000_NS6detail44device_merge_sort_compile_time_verifier_archINS1_11comp_targetILNS1_3genE8ELNS1_11target_archE1030ELNS1_3gpuE2ELNS1_3repE0EEES8_NS0_14default_configES9_NS1_37merge_sort_block_sort_config_selectorIN3c104HalfElEENS1_38merge_sort_block_merge_config_selectorISC_lEEEEvv.has_recursion, 0
	.set _ZN7rocprim17ROCPRIM_400000_NS6detail44device_merge_sort_compile_time_verifier_archINS1_11comp_targetILNS1_3genE8ELNS1_11target_archE1030ELNS1_3gpuE2ELNS1_3repE0EEES8_NS0_14default_configES9_NS1_37merge_sort_block_sort_config_selectorIN3c104HalfElEENS1_38merge_sort_block_merge_config_selectorISC_lEEEEvv.has_indirect_call, 0
	.section	.AMDGPU.csdata,"",@progbits
; Kernel info:
; codeLenInByte = 4
; TotalNumSgprs: 4
; NumVgprs: 0
; ScratchSize: 0
; MemoryBound: 0
; FloatMode: 240
; IeeeMode: 1
; LDSByteSize: 0 bytes/workgroup (compile time only)
; SGPRBlocks: 0
; VGPRBlocks: 0
; NumSGPRsForWavesPerEU: 4
; NumVGPRsForWavesPerEU: 1
; Occupancy: 10
; WaveLimiterHint : 0
; COMPUTE_PGM_RSRC2:SCRATCH_EN: 0
; COMPUTE_PGM_RSRC2:USER_SGPR: 4
; COMPUTE_PGM_RSRC2:TRAP_HANDLER: 0
; COMPUTE_PGM_RSRC2:TGID_X_EN: 1
; COMPUTE_PGM_RSRC2:TGID_Y_EN: 0
; COMPUTE_PGM_RSRC2:TGID_Z_EN: 0
; COMPUTE_PGM_RSRC2:TIDIG_COMP_CNT: 0
	.section	.text._ZN7rocprim17ROCPRIM_400000_NS6detail17trampoline_kernelINS0_14default_configENS1_37merge_sort_block_sort_config_selectorIN3c104HalfElEEZNS1_21merge_sort_block_sortIS3_PS6_S9_N6thrust23THRUST_200600_302600_NS10device_ptrIlEESD_NSB_4lessIS6_EEEE10hipError_tT0_T1_T2_T3_mRjT4_P12ihipStream_tbNS1_7vsmem_tEEUlT_E_NS1_11comp_targetILNS1_3genE0ELNS1_11target_archE4294967295ELNS1_3gpuE0ELNS1_3repE0EEENS1_30default_config_static_selectorELNS0_4arch9wavefront6targetE1EEEvSI_,"axG",@progbits,_ZN7rocprim17ROCPRIM_400000_NS6detail17trampoline_kernelINS0_14default_configENS1_37merge_sort_block_sort_config_selectorIN3c104HalfElEEZNS1_21merge_sort_block_sortIS3_PS6_S9_N6thrust23THRUST_200600_302600_NS10device_ptrIlEESD_NSB_4lessIS6_EEEE10hipError_tT0_T1_T2_T3_mRjT4_P12ihipStream_tbNS1_7vsmem_tEEUlT_E_NS1_11comp_targetILNS1_3genE0ELNS1_11target_archE4294967295ELNS1_3gpuE0ELNS1_3repE0EEENS1_30default_config_static_selectorELNS0_4arch9wavefront6targetE1EEEvSI_,comdat
	.protected	_ZN7rocprim17ROCPRIM_400000_NS6detail17trampoline_kernelINS0_14default_configENS1_37merge_sort_block_sort_config_selectorIN3c104HalfElEEZNS1_21merge_sort_block_sortIS3_PS6_S9_N6thrust23THRUST_200600_302600_NS10device_ptrIlEESD_NSB_4lessIS6_EEEE10hipError_tT0_T1_T2_T3_mRjT4_P12ihipStream_tbNS1_7vsmem_tEEUlT_E_NS1_11comp_targetILNS1_3genE0ELNS1_11target_archE4294967295ELNS1_3gpuE0ELNS1_3repE0EEENS1_30default_config_static_selectorELNS0_4arch9wavefront6targetE1EEEvSI_ ; -- Begin function _ZN7rocprim17ROCPRIM_400000_NS6detail17trampoline_kernelINS0_14default_configENS1_37merge_sort_block_sort_config_selectorIN3c104HalfElEEZNS1_21merge_sort_block_sortIS3_PS6_S9_N6thrust23THRUST_200600_302600_NS10device_ptrIlEESD_NSB_4lessIS6_EEEE10hipError_tT0_T1_T2_T3_mRjT4_P12ihipStream_tbNS1_7vsmem_tEEUlT_E_NS1_11comp_targetILNS1_3genE0ELNS1_11target_archE4294967295ELNS1_3gpuE0ELNS1_3repE0EEENS1_30default_config_static_selectorELNS0_4arch9wavefront6targetE1EEEvSI_
	.globl	_ZN7rocprim17ROCPRIM_400000_NS6detail17trampoline_kernelINS0_14default_configENS1_37merge_sort_block_sort_config_selectorIN3c104HalfElEEZNS1_21merge_sort_block_sortIS3_PS6_S9_N6thrust23THRUST_200600_302600_NS10device_ptrIlEESD_NSB_4lessIS6_EEEE10hipError_tT0_T1_T2_T3_mRjT4_P12ihipStream_tbNS1_7vsmem_tEEUlT_E_NS1_11comp_targetILNS1_3genE0ELNS1_11target_archE4294967295ELNS1_3gpuE0ELNS1_3repE0EEENS1_30default_config_static_selectorELNS0_4arch9wavefront6targetE1EEEvSI_
	.p2align	8
	.type	_ZN7rocprim17ROCPRIM_400000_NS6detail17trampoline_kernelINS0_14default_configENS1_37merge_sort_block_sort_config_selectorIN3c104HalfElEEZNS1_21merge_sort_block_sortIS3_PS6_S9_N6thrust23THRUST_200600_302600_NS10device_ptrIlEESD_NSB_4lessIS6_EEEE10hipError_tT0_T1_T2_T3_mRjT4_P12ihipStream_tbNS1_7vsmem_tEEUlT_E_NS1_11comp_targetILNS1_3genE0ELNS1_11target_archE4294967295ELNS1_3gpuE0ELNS1_3repE0EEENS1_30default_config_static_selectorELNS0_4arch9wavefront6targetE1EEEvSI_,@function
_ZN7rocprim17ROCPRIM_400000_NS6detail17trampoline_kernelINS0_14default_configENS1_37merge_sort_block_sort_config_selectorIN3c104HalfElEEZNS1_21merge_sort_block_sortIS3_PS6_S9_N6thrust23THRUST_200600_302600_NS10device_ptrIlEESD_NSB_4lessIS6_EEEE10hipError_tT0_T1_T2_T3_mRjT4_P12ihipStream_tbNS1_7vsmem_tEEUlT_E_NS1_11comp_targetILNS1_3genE0ELNS1_11target_archE4294967295ELNS1_3gpuE0ELNS1_3repE0EEENS1_30default_config_static_selectorELNS0_4arch9wavefront6targetE1EEEvSI_: ; @_ZN7rocprim17ROCPRIM_400000_NS6detail17trampoline_kernelINS0_14default_configENS1_37merge_sort_block_sort_config_selectorIN3c104HalfElEEZNS1_21merge_sort_block_sortIS3_PS6_S9_N6thrust23THRUST_200600_302600_NS10device_ptrIlEESD_NSB_4lessIS6_EEEE10hipError_tT0_T1_T2_T3_mRjT4_P12ihipStream_tbNS1_7vsmem_tEEUlT_E_NS1_11comp_targetILNS1_3genE0ELNS1_11target_archE4294967295ELNS1_3gpuE0ELNS1_3repE0EEENS1_30default_config_static_selectorELNS0_4arch9wavefront6targetE1EEEvSI_
; %bb.0:
	.section	.rodata,"a",@progbits
	.p2align	6, 0x0
	.amdhsa_kernel _ZN7rocprim17ROCPRIM_400000_NS6detail17trampoline_kernelINS0_14default_configENS1_37merge_sort_block_sort_config_selectorIN3c104HalfElEEZNS1_21merge_sort_block_sortIS3_PS6_S9_N6thrust23THRUST_200600_302600_NS10device_ptrIlEESD_NSB_4lessIS6_EEEE10hipError_tT0_T1_T2_T3_mRjT4_P12ihipStream_tbNS1_7vsmem_tEEUlT_E_NS1_11comp_targetILNS1_3genE0ELNS1_11target_archE4294967295ELNS1_3gpuE0ELNS1_3repE0EEENS1_30default_config_static_selectorELNS0_4arch9wavefront6targetE1EEEvSI_
		.amdhsa_group_segment_fixed_size 0
		.amdhsa_private_segment_fixed_size 0
		.amdhsa_kernarg_size 64
		.amdhsa_user_sgpr_count 6
		.amdhsa_user_sgpr_private_segment_buffer 1
		.amdhsa_user_sgpr_dispatch_ptr 0
		.amdhsa_user_sgpr_queue_ptr 0
		.amdhsa_user_sgpr_kernarg_segment_ptr 1
		.amdhsa_user_sgpr_dispatch_id 0
		.amdhsa_user_sgpr_flat_scratch_init 0
		.amdhsa_user_sgpr_private_segment_size 0
		.amdhsa_uses_dynamic_stack 0
		.amdhsa_system_sgpr_private_segment_wavefront_offset 0
		.amdhsa_system_sgpr_workgroup_id_x 1
		.amdhsa_system_sgpr_workgroup_id_y 0
		.amdhsa_system_sgpr_workgroup_id_z 0
		.amdhsa_system_sgpr_workgroup_info 0
		.amdhsa_system_vgpr_workitem_id 0
		.amdhsa_next_free_vgpr 1
		.amdhsa_next_free_sgpr 0
		.amdhsa_reserve_vcc 0
		.amdhsa_reserve_flat_scratch 0
		.amdhsa_float_round_mode_32 0
		.amdhsa_float_round_mode_16_64 0
		.amdhsa_float_denorm_mode_32 3
		.amdhsa_float_denorm_mode_16_64 3
		.amdhsa_dx10_clamp 1
		.amdhsa_ieee_mode 1
		.amdhsa_fp16_overflow 0
		.amdhsa_exception_fp_ieee_invalid_op 0
		.amdhsa_exception_fp_denorm_src 0
		.amdhsa_exception_fp_ieee_div_zero 0
		.amdhsa_exception_fp_ieee_overflow 0
		.amdhsa_exception_fp_ieee_underflow 0
		.amdhsa_exception_fp_ieee_inexact 0
		.amdhsa_exception_int_div_zero 0
	.end_amdhsa_kernel
	.section	.text._ZN7rocprim17ROCPRIM_400000_NS6detail17trampoline_kernelINS0_14default_configENS1_37merge_sort_block_sort_config_selectorIN3c104HalfElEEZNS1_21merge_sort_block_sortIS3_PS6_S9_N6thrust23THRUST_200600_302600_NS10device_ptrIlEESD_NSB_4lessIS6_EEEE10hipError_tT0_T1_T2_T3_mRjT4_P12ihipStream_tbNS1_7vsmem_tEEUlT_E_NS1_11comp_targetILNS1_3genE0ELNS1_11target_archE4294967295ELNS1_3gpuE0ELNS1_3repE0EEENS1_30default_config_static_selectorELNS0_4arch9wavefront6targetE1EEEvSI_,"axG",@progbits,_ZN7rocprim17ROCPRIM_400000_NS6detail17trampoline_kernelINS0_14default_configENS1_37merge_sort_block_sort_config_selectorIN3c104HalfElEEZNS1_21merge_sort_block_sortIS3_PS6_S9_N6thrust23THRUST_200600_302600_NS10device_ptrIlEESD_NSB_4lessIS6_EEEE10hipError_tT0_T1_T2_T3_mRjT4_P12ihipStream_tbNS1_7vsmem_tEEUlT_E_NS1_11comp_targetILNS1_3genE0ELNS1_11target_archE4294967295ELNS1_3gpuE0ELNS1_3repE0EEENS1_30default_config_static_selectorELNS0_4arch9wavefront6targetE1EEEvSI_,comdat
.Lfunc_end2115:
	.size	_ZN7rocprim17ROCPRIM_400000_NS6detail17trampoline_kernelINS0_14default_configENS1_37merge_sort_block_sort_config_selectorIN3c104HalfElEEZNS1_21merge_sort_block_sortIS3_PS6_S9_N6thrust23THRUST_200600_302600_NS10device_ptrIlEESD_NSB_4lessIS6_EEEE10hipError_tT0_T1_T2_T3_mRjT4_P12ihipStream_tbNS1_7vsmem_tEEUlT_E_NS1_11comp_targetILNS1_3genE0ELNS1_11target_archE4294967295ELNS1_3gpuE0ELNS1_3repE0EEENS1_30default_config_static_selectorELNS0_4arch9wavefront6targetE1EEEvSI_, .Lfunc_end2115-_ZN7rocprim17ROCPRIM_400000_NS6detail17trampoline_kernelINS0_14default_configENS1_37merge_sort_block_sort_config_selectorIN3c104HalfElEEZNS1_21merge_sort_block_sortIS3_PS6_S9_N6thrust23THRUST_200600_302600_NS10device_ptrIlEESD_NSB_4lessIS6_EEEE10hipError_tT0_T1_T2_T3_mRjT4_P12ihipStream_tbNS1_7vsmem_tEEUlT_E_NS1_11comp_targetILNS1_3genE0ELNS1_11target_archE4294967295ELNS1_3gpuE0ELNS1_3repE0EEENS1_30default_config_static_selectorELNS0_4arch9wavefront6targetE1EEEvSI_
                                        ; -- End function
	.set _ZN7rocprim17ROCPRIM_400000_NS6detail17trampoline_kernelINS0_14default_configENS1_37merge_sort_block_sort_config_selectorIN3c104HalfElEEZNS1_21merge_sort_block_sortIS3_PS6_S9_N6thrust23THRUST_200600_302600_NS10device_ptrIlEESD_NSB_4lessIS6_EEEE10hipError_tT0_T1_T2_T3_mRjT4_P12ihipStream_tbNS1_7vsmem_tEEUlT_E_NS1_11comp_targetILNS1_3genE0ELNS1_11target_archE4294967295ELNS1_3gpuE0ELNS1_3repE0EEENS1_30default_config_static_selectorELNS0_4arch9wavefront6targetE1EEEvSI_.num_vgpr, 0
	.set _ZN7rocprim17ROCPRIM_400000_NS6detail17trampoline_kernelINS0_14default_configENS1_37merge_sort_block_sort_config_selectorIN3c104HalfElEEZNS1_21merge_sort_block_sortIS3_PS6_S9_N6thrust23THRUST_200600_302600_NS10device_ptrIlEESD_NSB_4lessIS6_EEEE10hipError_tT0_T1_T2_T3_mRjT4_P12ihipStream_tbNS1_7vsmem_tEEUlT_E_NS1_11comp_targetILNS1_3genE0ELNS1_11target_archE4294967295ELNS1_3gpuE0ELNS1_3repE0EEENS1_30default_config_static_selectorELNS0_4arch9wavefront6targetE1EEEvSI_.num_agpr, 0
	.set _ZN7rocprim17ROCPRIM_400000_NS6detail17trampoline_kernelINS0_14default_configENS1_37merge_sort_block_sort_config_selectorIN3c104HalfElEEZNS1_21merge_sort_block_sortIS3_PS6_S9_N6thrust23THRUST_200600_302600_NS10device_ptrIlEESD_NSB_4lessIS6_EEEE10hipError_tT0_T1_T2_T3_mRjT4_P12ihipStream_tbNS1_7vsmem_tEEUlT_E_NS1_11comp_targetILNS1_3genE0ELNS1_11target_archE4294967295ELNS1_3gpuE0ELNS1_3repE0EEENS1_30default_config_static_selectorELNS0_4arch9wavefront6targetE1EEEvSI_.numbered_sgpr, 0
	.set _ZN7rocprim17ROCPRIM_400000_NS6detail17trampoline_kernelINS0_14default_configENS1_37merge_sort_block_sort_config_selectorIN3c104HalfElEEZNS1_21merge_sort_block_sortIS3_PS6_S9_N6thrust23THRUST_200600_302600_NS10device_ptrIlEESD_NSB_4lessIS6_EEEE10hipError_tT0_T1_T2_T3_mRjT4_P12ihipStream_tbNS1_7vsmem_tEEUlT_E_NS1_11comp_targetILNS1_3genE0ELNS1_11target_archE4294967295ELNS1_3gpuE0ELNS1_3repE0EEENS1_30default_config_static_selectorELNS0_4arch9wavefront6targetE1EEEvSI_.num_named_barrier, 0
	.set _ZN7rocprim17ROCPRIM_400000_NS6detail17trampoline_kernelINS0_14default_configENS1_37merge_sort_block_sort_config_selectorIN3c104HalfElEEZNS1_21merge_sort_block_sortIS3_PS6_S9_N6thrust23THRUST_200600_302600_NS10device_ptrIlEESD_NSB_4lessIS6_EEEE10hipError_tT0_T1_T2_T3_mRjT4_P12ihipStream_tbNS1_7vsmem_tEEUlT_E_NS1_11comp_targetILNS1_3genE0ELNS1_11target_archE4294967295ELNS1_3gpuE0ELNS1_3repE0EEENS1_30default_config_static_selectorELNS0_4arch9wavefront6targetE1EEEvSI_.private_seg_size, 0
	.set _ZN7rocprim17ROCPRIM_400000_NS6detail17trampoline_kernelINS0_14default_configENS1_37merge_sort_block_sort_config_selectorIN3c104HalfElEEZNS1_21merge_sort_block_sortIS3_PS6_S9_N6thrust23THRUST_200600_302600_NS10device_ptrIlEESD_NSB_4lessIS6_EEEE10hipError_tT0_T1_T2_T3_mRjT4_P12ihipStream_tbNS1_7vsmem_tEEUlT_E_NS1_11comp_targetILNS1_3genE0ELNS1_11target_archE4294967295ELNS1_3gpuE0ELNS1_3repE0EEENS1_30default_config_static_selectorELNS0_4arch9wavefront6targetE1EEEvSI_.uses_vcc, 0
	.set _ZN7rocprim17ROCPRIM_400000_NS6detail17trampoline_kernelINS0_14default_configENS1_37merge_sort_block_sort_config_selectorIN3c104HalfElEEZNS1_21merge_sort_block_sortIS3_PS6_S9_N6thrust23THRUST_200600_302600_NS10device_ptrIlEESD_NSB_4lessIS6_EEEE10hipError_tT0_T1_T2_T3_mRjT4_P12ihipStream_tbNS1_7vsmem_tEEUlT_E_NS1_11comp_targetILNS1_3genE0ELNS1_11target_archE4294967295ELNS1_3gpuE0ELNS1_3repE0EEENS1_30default_config_static_selectorELNS0_4arch9wavefront6targetE1EEEvSI_.uses_flat_scratch, 0
	.set _ZN7rocprim17ROCPRIM_400000_NS6detail17trampoline_kernelINS0_14default_configENS1_37merge_sort_block_sort_config_selectorIN3c104HalfElEEZNS1_21merge_sort_block_sortIS3_PS6_S9_N6thrust23THRUST_200600_302600_NS10device_ptrIlEESD_NSB_4lessIS6_EEEE10hipError_tT0_T1_T2_T3_mRjT4_P12ihipStream_tbNS1_7vsmem_tEEUlT_E_NS1_11comp_targetILNS1_3genE0ELNS1_11target_archE4294967295ELNS1_3gpuE0ELNS1_3repE0EEENS1_30default_config_static_selectorELNS0_4arch9wavefront6targetE1EEEvSI_.has_dyn_sized_stack, 0
	.set _ZN7rocprim17ROCPRIM_400000_NS6detail17trampoline_kernelINS0_14default_configENS1_37merge_sort_block_sort_config_selectorIN3c104HalfElEEZNS1_21merge_sort_block_sortIS3_PS6_S9_N6thrust23THRUST_200600_302600_NS10device_ptrIlEESD_NSB_4lessIS6_EEEE10hipError_tT0_T1_T2_T3_mRjT4_P12ihipStream_tbNS1_7vsmem_tEEUlT_E_NS1_11comp_targetILNS1_3genE0ELNS1_11target_archE4294967295ELNS1_3gpuE0ELNS1_3repE0EEENS1_30default_config_static_selectorELNS0_4arch9wavefront6targetE1EEEvSI_.has_recursion, 0
	.set _ZN7rocprim17ROCPRIM_400000_NS6detail17trampoline_kernelINS0_14default_configENS1_37merge_sort_block_sort_config_selectorIN3c104HalfElEEZNS1_21merge_sort_block_sortIS3_PS6_S9_N6thrust23THRUST_200600_302600_NS10device_ptrIlEESD_NSB_4lessIS6_EEEE10hipError_tT0_T1_T2_T3_mRjT4_P12ihipStream_tbNS1_7vsmem_tEEUlT_E_NS1_11comp_targetILNS1_3genE0ELNS1_11target_archE4294967295ELNS1_3gpuE0ELNS1_3repE0EEENS1_30default_config_static_selectorELNS0_4arch9wavefront6targetE1EEEvSI_.has_indirect_call, 0
	.section	.AMDGPU.csdata,"",@progbits
; Kernel info:
; codeLenInByte = 0
; TotalNumSgprs: 4
; NumVgprs: 0
; ScratchSize: 0
; MemoryBound: 0
; FloatMode: 240
; IeeeMode: 1
; LDSByteSize: 0 bytes/workgroup (compile time only)
; SGPRBlocks: 0
; VGPRBlocks: 0
; NumSGPRsForWavesPerEU: 4
; NumVGPRsForWavesPerEU: 1
; Occupancy: 10
; WaveLimiterHint : 0
; COMPUTE_PGM_RSRC2:SCRATCH_EN: 0
; COMPUTE_PGM_RSRC2:USER_SGPR: 6
; COMPUTE_PGM_RSRC2:TRAP_HANDLER: 0
; COMPUTE_PGM_RSRC2:TGID_X_EN: 1
; COMPUTE_PGM_RSRC2:TGID_Y_EN: 0
; COMPUTE_PGM_RSRC2:TGID_Z_EN: 0
; COMPUTE_PGM_RSRC2:TIDIG_COMP_CNT: 0
	.section	.text._ZN7rocprim17ROCPRIM_400000_NS6detail17trampoline_kernelINS0_14default_configENS1_37merge_sort_block_sort_config_selectorIN3c104HalfElEEZNS1_21merge_sort_block_sortIS3_PS6_S9_N6thrust23THRUST_200600_302600_NS10device_ptrIlEESD_NSB_4lessIS6_EEEE10hipError_tT0_T1_T2_T3_mRjT4_P12ihipStream_tbNS1_7vsmem_tEEUlT_E_NS1_11comp_targetILNS1_3genE5ELNS1_11target_archE942ELNS1_3gpuE9ELNS1_3repE0EEENS1_30default_config_static_selectorELNS0_4arch9wavefront6targetE1EEEvSI_,"axG",@progbits,_ZN7rocprim17ROCPRIM_400000_NS6detail17trampoline_kernelINS0_14default_configENS1_37merge_sort_block_sort_config_selectorIN3c104HalfElEEZNS1_21merge_sort_block_sortIS3_PS6_S9_N6thrust23THRUST_200600_302600_NS10device_ptrIlEESD_NSB_4lessIS6_EEEE10hipError_tT0_T1_T2_T3_mRjT4_P12ihipStream_tbNS1_7vsmem_tEEUlT_E_NS1_11comp_targetILNS1_3genE5ELNS1_11target_archE942ELNS1_3gpuE9ELNS1_3repE0EEENS1_30default_config_static_selectorELNS0_4arch9wavefront6targetE1EEEvSI_,comdat
	.protected	_ZN7rocprim17ROCPRIM_400000_NS6detail17trampoline_kernelINS0_14default_configENS1_37merge_sort_block_sort_config_selectorIN3c104HalfElEEZNS1_21merge_sort_block_sortIS3_PS6_S9_N6thrust23THRUST_200600_302600_NS10device_ptrIlEESD_NSB_4lessIS6_EEEE10hipError_tT0_T1_T2_T3_mRjT4_P12ihipStream_tbNS1_7vsmem_tEEUlT_E_NS1_11comp_targetILNS1_3genE5ELNS1_11target_archE942ELNS1_3gpuE9ELNS1_3repE0EEENS1_30default_config_static_selectorELNS0_4arch9wavefront6targetE1EEEvSI_ ; -- Begin function _ZN7rocprim17ROCPRIM_400000_NS6detail17trampoline_kernelINS0_14default_configENS1_37merge_sort_block_sort_config_selectorIN3c104HalfElEEZNS1_21merge_sort_block_sortIS3_PS6_S9_N6thrust23THRUST_200600_302600_NS10device_ptrIlEESD_NSB_4lessIS6_EEEE10hipError_tT0_T1_T2_T3_mRjT4_P12ihipStream_tbNS1_7vsmem_tEEUlT_E_NS1_11comp_targetILNS1_3genE5ELNS1_11target_archE942ELNS1_3gpuE9ELNS1_3repE0EEENS1_30default_config_static_selectorELNS0_4arch9wavefront6targetE1EEEvSI_
	.globl	_ZN7rocprim17ROCPRIM_400000_NS6detail17trampoline_kernelINS0_14default_configENS1_37merge_sort_block_sort_config_selectorIN3c104HalfElEEZNS1_21merge_sort_block_sortIS3_PS6_S9_N6thrust23THRUST_200600_302600_NS10device_ptrIlEESD_NSB_4lessIS6_EEEE10hipError_tT0_T1_T2_T3_mRjT4_P12ihipStream_tbNS1_7vsmem_tEEUlT_E_NS1_11comp_targetILNS1_3genE5ELNS1_11target_archE942ELNS1_3gpuE9ELNS1_3repE0EEENS1_30default_config_static_selectorELNS0_4arch9wavefront6targetE1EEEvSI_
	.p2align	8
	.type	_ZN7rocprim17ROCPRIM_400000_NS6detail17trampoline_kernelINS0_14default_configENS1_37merge_sort_block_sort_config_selectorIN3c104HalfElEEZNS1_21merge_sort_block_sortIS3_PS6_S9_N6thrust23THRUST_200600_302600_NS10device_ptrIlEESD_NSB_4lessIS6_EEEE10hipError_tT0_T1_T2_T3_mRjT4_P12ihipStream_tbNS1_7vsmem_tEEUlT_E_NS1_11comp_targetILNS1_3genE5ELNS1_11target_archE942ELNS1_3gpuE9ELNS1_3repE0EEENS1_30default_config_static_selectorELNS0_4arch9wavefront6targetE1EEEvSI_,@function
_ZN7rocprim17ROCPRIM_400000_NS6detail17trampoline_kernelINS0_14default_configENS1_37merge_sort_block_sort_config_selectorIN3c104HalfElEEZNS1_21merge_sort_block_sortIS3_PS6_S9_N6thrust23THRUST_200600_302600_NS10device_ptrIlEESD_NSB_4lessIS6_EEEE10hipError_tT0_T1_T2_T3_mRjT4_P12ihipStream_tbNS1_7vsmem_tEEUlT_E_NS1_11comp_targetILNS1_3genE5ELNS1_11target_archE942ELNS1_3gpuE9ELNS1_3repE0EEENS1_30default_config_static_selectorELNS0_4arch9wavefront6targetE1EEEvSI_: ; @_ZN7rocprim17ROCPRIM_400000_NS6detail17trampoline_kernelINS0_14default_configENS1_37merge_sort_block_sort_config_selectorIN3c104HalfElEEZNS1_21merge_sort_block_sortIS3_PS6_S9_N6thrust23THRUST_200600_302600_NS10device_ptrIlEESD_NSB_4lessIS6_EEEE10hipError_tT0_T1_T2_T3_mRjT4_P12ihipStream_tbNS1_7vsmem_tEEUlT_E_NS1_11comp_targetILNS1_3genE5ELNS1_11target_archE942ELNS1_3gpuE9ELNS1_3repE0EEENS1_30default_config_static_selectorELNS0_4arch9wavefront6targetE1EEEvSI_
; %bb.0:
	.section	.rodata,"a",@progbits
	.p2align	6, 0x0
	.amdhsa_kernel _ZN7rocprim17ROCPRIM_400000_NS6detail17trampoline_kernelINS0_14default_configENS1_37merge_sort_block_sort_config_selectorIN3c104HalfElEEZNS1_21merge_sort_block_sortIS3_PS6_S9_N6thrust23THRUST_200600_302600_NS10device_ptrIlEESD_NSB_4lessIS6_EEEE10hipError_tT0_T1_T2_T3_mRjT4_P12ihipStream_tbNS1_7vsmem_tEEUlT_E_NS1_11comp_targetILNS1_3genE5ELNS1_11target_archE942ELNS1_3gpuE9ELNS1_3repE0EEENS1_30default_config_static_selectorELNS0_4arch9wavefront6targetE1EEEvSI_
		.amdhsa_group_segment_fixed_size 0
		.amdhsa_private_segment_fixed_size 0
		.amdhsa_kernarg_size 64
		.amdhsa_user_sgpr_count 6
		.amdhsa_user_sgpr_private_segment_buffer 1
		.amdhsa_user_sgpr_dispatch_ptr 0
		.amdhsa_user_sgpr_queue_ptr 0
		.amdhsa_user_sgpr_kernarg_segment_ptr 1
		.amdhsa_user_sgpr_dispatch_id 0
		.amdhsa_user_sgpr_flat_scratch_init 0
		.amdhsa_user_sgpr_private_segment_size 0
		.amdhsa_uses_dynamic_stack 0
		.amdhsa_system_sgpr_private_segment_wavefront_offset 0
		.amdhsa_system_sgpr_workgroup_id_x 1
		.amdhsa_system_sgpr_workgroup_id_y 0
		.amdhsa_system_sgpr_workgroup_id_z 0
		.amdhsa_system_sgpr_workgroup_info 0
		.amdhsa_system_vgpr_workitem_id 0
		.amdhsa_next_free_vgpr 1
		.amdhsa_next_free_sgpr 0
		.amdhsa_reserve_vcc 0
		.amdhsa_reserve_flat_scratch 0
		.amdhsa_float_round_mode_32 0
		.amdhsa_float_round_mode_16_64 0
		.amdhsa_float_denorm_mode_32 3
		.amdhsa_float_denorm_mode_16_64 3
		.amdhsa_dx10_clamp 1
		.amdhsa_ieee_mode 1
		.amdhsa_fp16_overflow 0
		.amdhsa_exception_fp_ieee_invalid_op 0
		.amdhsa_exception_fp_denorm_src 0
		.amdhsa_exception_fp_ieee_div_zero 0
		.amdhsa_exception_fp_ieee_overflow 0
		.amdhsa_exception_fp_ieee_underflow 0
		.amdhsa_exception_fp_ieee_inexact 0
		.amdhsa_exception_int_div_zero 0
	.end_amdhsa_kernel
	.section	.text._ZN7rocprim17ROCPRIM_400000_NS6detail17trampoline_kernelINS0_14default_configENS1_37merge_sort_block_sort_config_selectorIN3c104HalfElEEZNS1_21merge_sort_block_sortIS3_PS6_S9_N6thrust23THRUST_200600_302600_NS10device_ptrIlEESD_NSB_4lessIS6_EEEE10hipError_tT0_T1_T2_T3_mRjT4_P12ihipStream_tbNS1_7vsmem_tEEUlT_E_NS1_11comp_targetILNS1_3genE5ELNS1_11target_archE942ELNS1_3gpuE9ELNS1_3repE0EEENS1_30default_config_static_selectorELNS0_4arch9wavefront6targetE1EEEvSI_,"axG",@progbits,_ZN7rocprim17ROCPRIM_400000_NS6detail17trampoline_kernelINS0_14default_configENS1_37merge_sort_block_sort_config_selectorIN3c104HalfElEEZNS1_21merge_sort_block_sortIS3_PS6_S9_N6thrust23THRUST_200600_302600_NS10device_ptrIlEESD_NSB_4lessIS6_EEEE10hipError_tT0_T1_T2_T3_mRjT4_P12ihipStream_tbNS1_7vsmem_tEEUlT_E_NS1_11comp_targetILNS1_3genE5ELNS1_11target_archE942ELNS1_3gpuE9ELNS1_3repE0EEENS1_30default_config_static_selectorELNS0_4arch9wavefront6targetE1EEEvSI_,comdat
.Lfunc_end2116:
	.size	_ZN7rocprim17ROCPRIM_400000_NS6detail17trampoline_kernelINS0_14default_configENS1_37merge_sort_block_sort_config_selectorIN3c104HalfElEEZNS1_21merge_sort_block_sortIS3_PS6_S9_N6thrust23THRUST_200600_302600_NS10device_ptrIlEESD_NSB_4lessIS6_EEEE10hipError_tT0_T1_T2_T3_mRjT4_P12ihipStream_tbNS1_7vsmem_tEEUlT_E_NS1_11comp_targetILNS1_3genE5ELNS1_11target_archE942ELNS1_3gpuE9ELNS1_3repE0EEENS1_30default_config_static_selectorELNS0_4arch9wavefront6targetE1EEEvSI_, .Lfunc_end2116-_ZN7rocprim17ROCPRIM_400000_NS6detail17trampoline_kernelINS0_14default_configENS1_37merge_sort_block_sort_config_selectorIN3c104HalfElEEZNS1_21merge_sort_block_sortIS3_PS6_S9_N6thrust23THRUST_200600_302600_NS10device_ptrIlEESD_NSB_4lessIS6_EEEE10hipError_tT0_T1_T2_T3_mRjT4_P12ihipStream_tbNS1_7vsmem_tEEUlT_E_NS1_11comp_targetILNS1_3genE5ELNS1_11target_archE942ELNS1_3gpuE9ELNS1_3repE0EEENS1_30default_config_static_selectorELNS0_4arch9wavefront6targetE1EEEvSI_
                                        ; -- End function
	.set _ZN7rocprim17ROCPRIM_400000_NS6detail17trampoline_kernelINS0_14default_configENS1_37merge_sort_block_sort_config_selectorIN3c104HalfElEEZNS1_21merge_sort_block_sortIS3_PS6_S9_N6thrust23THRUST_200600_302600_NS10device_ptrIlEESD_NSB_4lessIS6_EEEE10hipError_tT0_T1_T2_T3_mRjT4_P12ihipStream_tbNS1_7vsmem_tEEUlT_E_NS1_11comp_targetILNS1_3genE5ELNS1_11target_archE942ELNS1_3gpuE9ELNS1_3repE0EEENS1_30default_config_static_selectorELNS0_4arch9wavefront6targetE1EEEvSI_.num_vgpr, 0
	.set _ZN7rocprim17ROCPRIM_400000_NS6detail17trampoline_kernelINS0_14default_configENS1_37merge_sort_block_sort_config_selectorIN3c104HalfElEEZNS1_21merge_sort_block_sortIS3_PS6_S9_N6thrust23THRUST_200600_302600_NS10device_ptrIlEESD_NSB_4lessIS6_EEEE10hipError_tT0_T1_T2_T3_mRjT4_P12ihipStream_tbNS1_7vsmem_tEEUlT_E_NS1_11comp_targetILNS1_3genE5ELNS1_11target_archE942ELNS1_3gpuE9ELNS1_3repE0EEENS1_30default_config_static_selectorELNS0_4arch9wavefront6targetE1EEEvSI_.num_agpr, 0
	.set _ZN7rocprim17ROCPRIM_400000_NS6detail17trampoline_kernelINS0_14default_configENS1_37merge_sort_block_sort_config_selectorIN3c104HalfElEEZNS1_21merge_sort_block_sortIS3_PS6_S9_N6thrust23THRUST_200600_302600_NS10device_ptrIlEESD_NSB_4lessIS6_EEEE10hipError_tT0_T1_T2_T3_mRjT4_P12ihipStream_tbNS1_7vsmem_tEEUlT_E_NS1_11comp_targetILNS1_3genE5ELNS1_11target_archE942ELNS1_3gpuE9ELNS1_3repE0EEENS1_30default_config_static_selectorELNS0_4arch9wavefront6targetE1EEEvSI_.numbered_sgpr, 0
	.set _ZN7rocprim17ROCPRIM_400000_NS6detail17trampoline_kernelINS0_14default_configENS1_37merge_sort_block_sort_config_selectorIN3c104HalfElEEZNS1_21merge_sort_block_sortIS3_PS6_S9_N6thrust23THRUST_200600_302600_NS10device_ptrIlEESD_NSB_4lessIS6_EEEE10hipError_tT0_T1_T2_T3_mRjT4_P12ihipStream_tbNS1_7vsmem_tEEUlT_E_NS1_11comp_targetILNS1_3genE5ELNS1_11target_archE942ELNS1_3gpuE9ELNS1_3repE0EEENS1_30default_config_static_selectorELNS0_4arch9wavefront6targetE1EEEvSI_.num_named_barrier, 0
	.set _ZN7rocprim17ROCPRIM_400000_NS6detail17trampoline_kernelINS0_14default_configENS1_37merge_sort_block_sort_config_selectorIN3c104HalfElEEZNS1_21merge_sort_block_sortIS3_PS6_S9_N6thrust23THRUST_200600_302600_NS10device_ptrIlEESD_NSB_4lessIS6_EEEE10hipError_tT0_T1_T2_T3_mRjT4_P12ihipStream_tbNS1_7vsmem_tEEUlT_E_NS1_11comp_targetILNS1_3genE5ELNS1_11target_archE942ELNS1_3gpuE9ELNS1_3repE0EEENS1_30default_config_static_selectorELNS0_4arch9wavefront6targetE1EEEvSI_.private_seg_size, 0
	.set _ZN7rocprim17ROCPRIM_400000_NS6detail17trampoline_kernelINS0_14default_configENS1_37merge_sort_block_sort_config_selectorIN3c104HalfElEEZNS1_21merge_sort_block_sortIS3_PS6_S9_N6thrust23THRUST_200600_302600_NS10device_ptrIlEESD_NSB_4lessIS6_EEEE10hipError_tT0_T1_T2_T3_mRjT4_P12ihipStream_tbNS1_7vsmem_tEEUlT_E_NS1_11comp_targetILNS1_3genE5ELNS1_11target_archE942ELNS1_3gpuE9ELNS1_3repE0EEENS1_30default_config_static_selectorELNS0_4arch9wavefront6targetE1EEEvSI_.uses_vcc, 0
	.set _ZN7rocprim17ROCPRIM_400000_NS6detail17trampoline_kernelINS0_14default_configENS1_37merge_sort_block_sort_config_selectorIN3c104HalfElEEZNS1_21merge_sort_block_sortIS3_PS6_S9_N6thrust23THRUST_200600_302600_NS10device_ptrIlEESD_NSB_4lessIS6_EEEE10hipError_tT0_T1_T2_T3_mRjT4_P12ihipStream_tbNS1_7vsmem_tEEUlT_E_NS1_11comp_targetILNS1_3genE5ELNS1_11target_archE942ELNS1_3gpuE9ELNS1_3repE0EEENS1_30default_config_static_selectorELNS0_4arch9wavefront6targetE1EEEvSI_.uses_flat_scratch, 0
	.set _ZN7rocprim17ROCPRIM_400000_NS6detail17trampoline_kernelINS0_14default_configENS1_37merge_sort_block_sort_config_selectorIN3c104HalfElEEZNS1_21merge_sort_block_sortIS3_PS6_S9_N6thrust23THRUST_200600_302600_NS10device_ptrIlEESD_NSB_4lessIS6_EEEE10hipError_tT0_T1_T2_T3_mRjT4_P12ihipStream_tbNS1_7vsmem_tEEUlT_E_NS1_11comp_targetILNS1_3genE5ELNS1_11target_archE942ELNS1_3gpuE9ELNS1_3repE0EEENS1_30default_config_static_selectorELNS0_4arch9wavefront6targetE1EEEvSI_.has_dyn_sized_stack, 0
	.set _ZN7rocprim17ROCPRIM_400000_NS6detail17trampoline_kernelINS0_14default_configENS1_37merge_sort_block_sort_config_selectorIN3c104HalfElEEZNS1_21merge_sort_block_sortIS3_PS6_S9_N6thrust23THRUST_200600_302600_NS10device_ptrIlEESD_NSB_4lessIS6_EEEE10hipError_tT0_T1_T2_T3_mRjT4_P12ihipStream_tbNS1_7vsmem_tEEUlT_E_NS1_11comp_targetILNS1_3genE5ELNS1_11target_archE942ELNS1_3gpuE9ELNS1_3repE0EEENS1_30default_config_static_selectorELNS0_4arch9wavefront6targetE1EEEvSI_.has_recursion, 0
	.set _ZN7rocprim17ROCPRIM_400000_NS6detail17trampoline_kernelINS0_14default_configENS1_37merge_sort_block_sort_config_selectorIN3c104HalfElEEZNS1_21merge_sort_block_sortIS3_PS6_S9_N6thrust23THRUST_200600_302600_NS10device_ptrIlEESD_NSB_4lessIS6_EEEE10hipError_tT0_T1_T2_T3_mRjT4_P12ihipStream_tbNS1_7vsmem_tEEUlT_E_NS1_11comp_targetILNS1_3genE5ELNS1_11target_archE942ELNS1_3gpuE9ELNS1_3repE0EEENS1_30default_config_static_selectorELNS0_4arch9wavefront6targetE1EEEvSI_.has_indirect_call, 0
	.section	.AMDGPU.csdata,"",@progbits
; Kernel info:
; codeLenInByte = 0
; TotalNumSgprs: 4
; NumVgprs: 0
; ScratchSize: 0
; MemoryBound: 0
; FloatMode: 240
; IeeeMode: 1
; LDSByteSize: 0 bytes/workgroup (compile time only)
; SGPRBlocks: 0
; VGPRBlocks: 0
; NumSGPRsForWavesPerEU: 4
; NumVGPRsForWavesPerEU: 1
; Occupancy: 10
; WaveLimiterHint : 0
; COMPUTE_PGM_RSRC2:SCRATCH_EN: 0
; COMPUTE_PGM_RSRC2:USER_SGPR: 6
; COMPUTE_PGM_RSRC2:TRAP_HANDLER: 0
; COMPUTE_PGM_RSRC2:TGID_X_EN: 1
; COMPUTE_PGM_RSRC2:TGID_Y_EN: 0
; COMPUTE_PGM_RSRC2:TGID_Z_EN: 0
; COMPUTE_PGM_RSRC2:TIDIG_COMP_CNT: 0
	.section	.text._ZN7rocprim17ROCPRIM_400000_NS6detail17trampoline_kernelINS0_14default_configENS1_37merge_sort_block_sort_config_selectorIN3c104HalfElEEZNS1_21merge_sort_block_sortIS3_PS6_S9_N6thrust23THRUST_200600_302600_NS10device_ptrIlEESD_NSB_4lessIS6_EEEE10hipError_tT0_T1_T2_T3_mRjT4_P12ihipStream_tbNS1_7vsmem_tEEUlT_E_NS1_11comp_targetILNS1_3genE4ELNS1_11target_archE910ELNS1_3gpuE8ELNS1_3repE0EEENS1_30default_config_static_selectorELNS0_4arch9wavefront6targetE1EEEvSI_,"axG",@progbits,_ZN7rocprim17ROCPRIM_400000_NS6detail17trampoline_kernelINS0_14default_configENS1_37merge_sort_block_sort_config_selectorIN3c104HalfElEEZNS1_21merge_sort_block_sortIS3_PS6_S9_N6thrust23THRUST_200600_302600_NS10device_ptrIlEESD_NSB_4lessIS6_EEEE10hipError_tT0_T1_T2_T3_mRjT4_P12ihipStream_tbNS1_7vsmem_tEEUlT_E_NS1_11comp_targetILNS1_3genE4ELNS1_11target_archE910ELNS1_3gpuE8ELNS1_3repE0EEENS1_30default_config_static_selectorELNS0_4arch9wavefront6targetE1EEEvSI_,comdat
	.protected	_ZN7rocprim17ROCPRIM_400000_NS6detail17trampoline_kernelINS0_14default_configENS1_37merge_sort_block_sort_config_selectorIN3c104HalfElEEZNS1_21merge_sort_block_sortIS3_PS6_S9_N6thrust23THRUST_200600_302600_NS10device_ptrIlEESD_NSB_4lessIS6_EEEE10hipError_tT0_T1_T2_T3_mRjT4_P12ihipStream_tbNS1_7vsmem_tEEUlT_E_NS1_11comp_targetILNS1_3genE4ELNS1_11target_archE910ELNS1_3gpuE8ELNS1_3repE0EEENS1_30default_config_static_selectorELNS0_4arch9wavefront6targetE1EEEvSI_ ; -- Begin function _ZN7rocprim17ROCPRIM_400000_NS6detail17trampoline_kernelINS0_14default_configENS1_37merge_sort_block_sort_config_selectorIN3c104HalfElEEZNS1_21merge_sort_block_sortIS3_PS6_S9_N6thrust23THRUST_200600_302600_NS10device_ptrIlEESD_NSB_4lessIS6_EEEE10hipError_tT0_T1_T2_T3_mRjT4_P12ihipStream_tbNS1_7vsmem_tEEUlT_E_NS1_11comp_targetILNS1_3genE4ELNS1_11target_archE910ELNS1_3gpuE8ELNS1_3repE0EEENS1_30default_config_static_selectorELNS0_4arch9wavefront6targetE1EEEvSI_
	.globl	_ZN7rocprim17ROCPRIM_400000_NS6detail17trampoline_kernelINS0_14default_configENS1_37merge_sort_block_sort_config_selectorIN3c104HalfElEEZNS1_21merge_sort_block_sortIS3_PS6_S9_N6thrust23THRUST_200600_302600_NS10device_ptrIlEESD_NSB_4lessIS6_EEEE10hipError_tT0_T1_T2_T3_mRjT4_P12ihipStream_tbNS1_7vsmem_tEEUlT_E_NS1_11comp_targetILNS1_3genE4ELNS1_11target_archE910ELNS1_3gpuE8ELNS1_3repE0EEENS1_30default_config_static_selectorELNS0_4arch9wavefront6targetE1EEEvSI_
	.p2align	8
	.type	_ZN7rocprim17ROCPRIM_400000_NS6detail17trampoline_kernelINS0_14default_configENS1_37merge_sort_block_sort_config_selectorIN3c104HalfElEEZNS1_21merge_sort_block_sortIS3_PS6_S9_N6thrust23THRUST_200600_302600_NS10device_ptrIlEESD_NSB_4lessIS6_EEEE10hipError_tT0_T1_T2_T3_mRjT4_P12ihipStream_tbNS1_7vsmem_tEEUlT_E_NS1_11comp_targetILNS1_3genE4ELNS1_11target_archE910ELNS1_3gpuE8ELNS1_3repE0EEENS1_30default_config_static_selectorELNS0_4arch9wavefront6targetE1EEEvSI_,@function
_ZN7rocprim17ROCPRIM_400000_NS6detail17trampoline_kernelINS0_14default_configENS1_37merge_sort_block_sort_config_selectorIN3c104HalfElEEZNS1_21merge_sort_block_sortIS3_PS6_S9_N6thrust23THRUST_200600_302600_NS10device_ptrIlEESD_NSB_4lessIS6_EEEE10hipError_tT0_T1_T2_T3_mRjT4_P12ihipStream_tbNS1_7vsmem_tEEUlT_E_NS1_11comp_targetILNS1_3genE4ELNS1_11target_archE910ELNS1_3gpuE8ELNS1_3repE0EEENS1_30default_config_static_selectorELNS0_4arch9wavefront6targetE1EEEvSI_: ; @_ZN7rocprim17ROCPRIM_400000_NS6detail17trampoline_kernelINS0_14default_configENS1_37merge_sort_block_sort_config_selectorIN3c104HalfElEEZNS1_21merge_sort_block_sortIS3_PS6_S9_N6thrust23THRUST_200600_302600_NS10device_ptrIlEESD_NSB_4lessIS6_EEEE10hipError_tT0_T1_T2_T3_mRjT4_P12ihipStream_tbNS1_7vsmem_tEEUlT_E_NS1_11comp_targetILNS1_3genE4ELNS1_11target_archE910ELNS1_3gpuE8ELNS1_3repE0EEENS1_30default_config_static_selectorELNS0_4arch9wavefront6targetE1EEEvSI_
; %bb.0:
	.section	.rodata,"a",@progbits
	.p2align	6, 0x0
	.amdhsa_kernel _ZN7rocprim17ROCPRIM_400000_NS6detail17trampoline_kernelINS0_14default_configENS1_37merge_sort_block_sort_config_selectorIN3c104HalfElEEZNS1_21merge_sort_block_sortIS3_PS6_S9_N6thrust23THRUST_200600_302600_NS10device_ptrIlEESD_NSB_4lessIS6_EEEE10hipError_tT0_T1_T2_T3_mRjT4_P12ihipStream_tbNS1_7vsmem_tEEUlT_E_NS1_11comp_targetILNS1_3genE4ELNS1_11target_archE910ELNS1_3gpuE8ELNS1_3repE0EEENS1_30default_config_static_selectorELNS0_4arch9wavefront6targetE1EEEvSI_
		.amdhsa_group_segment_fixed_size 0
		.amdhsa_private_segment_fixed_size 0
		.amdhsa_kernarg_size 64
		.amdhsa_user_sgpr_count 6
		.amdhsa_user_sgpr_private_segment_buffer 1
		.amdhsa_user_sgpr_dispatch_ptr 0
		.amdhsa_user_sgpr_queue_ptr 0
		.amdhsa_user_sgpr_kernarg_segment_ptr 1
		.amdhsa_user_sgpr_dispatch_id 0
		.amdhsa_user_sgpr_flat_scratch_init 0
		.amdhsa_user_sgpr_private_segment_size 0
		.amdhsa_uses_dynamic_stack 0
		.amdhsa_system_sgpr_private_segment_wavefront_offset 0
		.amdhsa_system_sgpr_workgroup_id_x 1
		.amdhsa_system_sgpr_workgroup_id_y 0
		.amdhsa_system_sgpr_workgroup_id_z 0
		.amdhsa_system_sgpr_workgroup_info 0
		.amdhsa_system_vgpr_workitem_id 0
		.amdhsa_next_free_vgpr 1
		.amdhsa_next_free_sgpr 0
		.amdhsa_reserve_vcc 0
		.amdhsa_reserve_flat_scratch 0
		.amdhsa_float_round_mode_32 0
		.amdhsa_float_round_mode_16_64 0
		.amdhsa_float_denorm_mode_32 3
		.amdhsa_float_denorm_mode_16_64 3
		.amdhsa_dx10_clamp 1
		.amdhsa_ieee_mode 1
		.amdhsa_fp16_overflow 0
		.amdhsa_exception_fp_ieee_invalid_op 0
		.amdhsa_exception_fp_denorm_src 0
		.amdhsa_exception_fp_ieee_div_zero 0
		.amdhsa_exception_fp_ieee_overflow 0
		.amdhsa_exception_fp_ieee_underflow 0
		.amdhsa_exception_fp_ieee_inexact 0
		.amdhsa_exception_int_div_zero 0
	.end_amdhsa_kernel
	.section	.text._ZN7rocprim17ROCPRIM_400000_NS6detail17trampoline_kernelINS0_14default_configENS1_37merge_sort_block_sort_config_selectorIN3c104HalfElEEZNS1_21merge_sort_block_sortIS3_PS6_S9_N6thrust23THRUST_200600_302600_NS10device_ptrIlEESD_NSB_4lessIS6_EEEE10hipError_tT0_T1_T2_T3_mRjT4_P12ihipStream_tbNS1_7vsmem_tEEUlT_E_NS1_11comp_targetILNS1_3genE4ELNS1_11target_archE910ELNS1_3gpuE8ELNS1_3repE0EEENS1_30default_config_static_selectorELNS0_4arch9wavefront6targetE1EEEvSI_,"axG",@progbits,_ZN7rocprim17ROCPRIM_400000_NS6detail17trampoline_kernelINS0_14default_configENS1_37merge_sort_block_sort_config_selectorIN3c104HalfElEEZNS1_21merge_sort_block_sortIS3_PS6_S9_N6thrust23THRUST_200600_302600_NS10device_ptrIlEESD_NSB_4lessIS6_EEEE10hipError_tT0_T1_T2_T3_mRjT4_P12ihipStream_tbNS1_7vsmem_tEEUlT_E_NS1_11comp_targetILNS1_3genE4ELNS1_11target_archE910ELNS1_3gpuE8ELNS1_3repE0EEENS1_30default_config_static_selectorELNS0_4arch9wavefront6targetE1EEEvSI_,comdat
.Lfunc_end2117:
	.size	_ZN7rocprim17ROCPRIM_400000_NS6detail17trampoline_kernelINS0_14default_configENS1_37merge_sort_block_sort_config_selectorIN3c104HalfElEEZNS1_21merge_sort_block_sortIS3_PS6_S9_N6thrust23THRUST_200600_302600_NS10device_ptrIlEESD_NSB_4lessIS6_EEEE10hipError_tT0_T1_T2_T3_mRjT4_P12ihipStream_tbNS1_7vsmem_tEEUlT_E_NS1_11comp_targetILNS1_3genE4ELNS1_11target_archE910ELNS1_3gpuE8ELNS1_3repE0EEENS1_30default_config_static_selectorELNS0_4arch9wavefront6targetE1EEEvSI_, .Lfunc_end2117-_ZN7rocprim17ROCPRIM_400000_NS6detail17trampoline_kernelINS0_14default_configENS1_37merge_sort_block_sort_config_selectorIN3c104HalfElEEZNS1_21merge_sort_block_sortIS3_PS6_S9_N6thrust23THRUST_200600_302600_NS10device_ptrIlEESD_NSB_4lessIS6_EEEE10hipError_tT0_T1_T2_T3_mRjT4_P12ihipStream_tbNS1_7vsmem_tEEUlT_E_NS1_11comp_targetILNS1_3genE4ELNS1_11target_archE910ELNS1_3gpuE8ELNS1_3repE0EEENS1_30default_config_static_selectorELNS0_4arch9wavefront6targetE1EEEvSI_
                                        ; -- End function
	.set _ZN7rocprim17ROCPRIM_400000_NS6detail17trampoline_kernelINS0_14default_configENS1_37merge_sort_block_sort_config_selectorIN3c104HalfElEEZNS1_21merge_sort_block_sortIS3_PS6_S9_N6thrust23THRUST_200600_302600_NS10device_ptrIlEESD_NSB_4lessIS6_EEEE10hipError_tT0_T1_T2_T3_mRjT4_P12ihipStream_tbNS1_7vsmem_tEEUlT_E_NS1_11comp_targetILNS1_3genE4ELNS1_11target_archE910ELNS1_3gpuE8ELNS1_3repE0EEENS1_30default_config_static_selectorELNS0_4arch9wavefront6targetE1EEEvSI_.num_vgpr, 0
	.set _ZN7rocprim17ROCPRIM_400000_NS6detail17trampoline_kernelINS0_14default_configENS1_37merge_sort_block_sort_config_selectorIN3c104HalfElEEZNS1_21merge_sort_block_sortIS3_PS6_S9_N6thrust23THRUST_200600_302600_NS10device_ptrIlEESD_NSB_4lessIS6_EEEE10hipError_tT0_T1_T2_T3_mRjT4_P12ihipStream_tbNS1_7vsmem_tEEUlT_E_NS1_11comp_targetILNS1_3genE4ELNS1_11target_archE910ELNS1_3gpuE8ELNS1_3repE0EEENS1_30default_config_static_selectorELNS0_4arch9wavefront6targetE1EEEvSI_.num_agpr, 0
	.set _ZN7rocprim17ROCPRIM_400000_NS6detail17trampoline_kernelINS0_14default_configENS1_37merge_sort_block_sort_config_selectorIN3c104HalfElEEZNS1_21merge_sort_block_sortIS3_PS6_S9_N6thrust23THRUST_200600_302600_NS10device_ptrIlEESD_NSB_4lessIS6_EEEE10hipError_tT0_T1_T2_T3_mRjT4_P12ihipStream_tbNS1_7vsmem_tEEUlT_E_NS1_11comp_targetILNS1_3genE4ELNS1_11target_archE910ELNS1_3gpuE8ELNS1_3repE0EEENS1_30default_config_static_selectorELNS0_4arch9wavefront6targetE1EEEvSI_.numbered_sgpr, 0
	.set _ZN7rocprim17ROCPRIM_400000_NS6detail17trampoline_kernelINS0_14default_configENS1_37merge_sort_block_sort_config_selectorIN3c104HalfElEEZNS1_21merge_sort_block_sortIS3_PS6_S9_N6thrust23THRUST_200600_302600_NS10device_ptrIlEESD_NSB_4lessIS6_EEEE10hipError_tT0_T1_T2_T3_mRjT4_P12ihipStream_tbNS1_7vsmem_tEEUlT_E_NS1_11comp_targetILNS1_3genE4ELNS1_11target_archE910ELNS1_3gpuE8ELNS1_3repE0EEENS1_30default_config_static_selectorELNS0_4arch9wavefront6targetE1EEEvSI_.num_named_barrier, 0
	.set _ZN7rocprim17ROCPRIM_400000_NS6detail17trampoline_kernelINS0_14default_configENS1_37merge_sort_block_sort_config_selectorIN3c104HalfElEEZNS1_21merge_sort_block_sortIS3_PS6_S9_N6thrust23THRUST_200600_302600_NS10device_ptrIlEESD_NSB_4lessIS6_EEEE10hipError_tT0_T1_T2_T3_mRjT4_P12ihipStream_tbNS1_7vsmem_tEEUlT_E_NS1_11comp_targetILNS1_3genE4ELNS1_11target_archE910ELNS1_3gpuE8ELNS1_3repE0EEENS1_30default_config_static_selectorELNS0_4arch9wavefront6targetE1EEEvSI_.private_seg_size, 0
	.set _ZN7rocprim17ROCPRIM_400000_NS6detail17trampoline_kernelINS0_14default_configENS1_37merge_sort_block_sort_config_selectorIN3c104HalfElEEZNS1_21merge_sort_block_sortIS3_PS6_S9_N6thrust23THRUST_200600_302600_NS10device_ptrIlEESD_NSB_4lessIS6_EEEE10hipError_tT0_T1_T2_T3_mRjT4_P12ihipStream_tbNS1_7vsmem_tEEUlT_E_NS1_11comp_targetILNS1_3genE4ELNS1_11target_archE910ELNS1_3gpuE8ELNS1_3repE0EEENS1_30default_config_static_selectorELNS0_4arch9wavefront6targetE1EEEvSI_.uses_vcc, 0
	.set _ZN7rocprim17ROCPRIM_400000_NS6detail17trampoline_kernelINS0_14default_configENS1_37merge_sort_block_sort_config_selectorIN3c104HalfElEEZNS1_21merge_sort_block_sortIS3_PS6_S9_N6thrust23THRUST_200600_302600_NS10device_ptrIlEESD_NSB_4lessIS6_EEEE10hipError_tT0_T1_T2_T3_mRjT4_P12ihipStream_tbNS1_7vsmem_tEEUlT_E_NS1_11comp_targetILNS1_3genE4ELNS1_11target_archE910ELNS1_3gpuE8ELNS1_3repE0EEENS1_30default_config_static_selectorELNS0_4arch9wavefront6targetE1EEEvSI_.uses_flat_scratch, 0
	.set _ZN7rocprim17ROCPRIM_400000_NS6detail17trampoline_kernelINS0_14default_configENS1_37merge_sort_block_sort_config_selectorIN3c104HalfElEEZNS1_21merge_sort_block_sortIS3_PS6_S9_N6thrust23THRUST_200600_302600_NS10device_ptrIlEESD_NSB_4lessIS6_EEEE10hipError_tT0_T1_T2_T3_mRjT4_P12ihipStream_tbNS1_7vsmem_tEEUlT_E_NS1_11comp_targetILNS1_3genE4ELNS1_11target_archE910ELNS1_3gpuE8ELNS1_3repE0EEENS1_30default_config_static_selectorELNS0_4arch9wavefront6targetE1EEEvSI_.has_dyn_sized_stack, 0
	.set _ZN7rocprim17ROCPRIM_400000_NS6detail17trampoline_kernelINS0_14default_configENS1_37merge_sort_block_sort_config_selectorIN3c104HalfElEEZNS1_21merge_sort_block_sortIS3_PS6_S9_N6thrust23THRUST_200600_302600_NS10device_ptrIlEESD_NSB_4lessIS6_EEEE10hipError_tT0_T1_T2_T3_mRjT4_P12ihipStream_tbNS1_7vsmem_tEEUlT_E_NS1_11comp_targetILNS1_3genE4ELNS1_11target_archE910ELNS1_3gpuE8ELNS1_3repE0EEENS1_30default_config_static_selectorELNS0_4arch9wavefront6targetE1EEEvSI_.has_recursion, 0
	.set _ZN7rocprim17ROCPRIM_400000_NS6detail17trampoline_kernelINS0_14default_configENS1_37merge_sort_block_sort_config_selectorIN3c104HalfElEEZNS1_21merge_sort_block_sortIS3_PS6_S9_N6thrust23THRUST_200600_302600_NS10device_ptrIlEESD_NSB_4lessIS6_EEEE10hipError_tT0_T1_T2_T3_mRjT4_P12ihipStream_tbNS1_7vsmem_tEEUlT_E_NS1_11comp_targetILNS1_3genE4ELNS1_11target_archE910ELNS1_3gpuE8ELNS1_3repE0EEENS1_30default_config_static_selectorELNS0_4arch9wavefront6targetE1EEEvSI_.has_indirect_call, 0
	.section	.AMDGPU.csdata,"",@progbits
; Kernel info:
; codeLenInByte = 0
; TotalNumSgprs: 4
; NumVgprs: 0
; ScratchSize: 0
; MemoryBound: 0
; FloatMode: 240
; IeeeMode: 1
; LDSByteSize: 0 bytes/workgroup (compile time only)
; SGPRBlocks: 0
; VGPRBlocks: 0
; NumSGPRsForWavesPerEU: 4
; NumVGPRsForWavesPerEU: 1
; Occupancy: 10
; WaveLimiterHint : 0
; COMPUTE_PGM_RSRC2:SCRATCH_EN: 0
; COMPUTE_PGM_RSRC2:USER_SGPR: 6
; COMPUTE_PGM_RSRC2:TRAP_HANDLER: 0
; COMPUTE_PGM_RSRC2:TGID_X_EN: 1
; COMPUTE_PGM_RSRC2:TGID_Y_EN: 0
; COMPUTE_PGM_RSRC2:TGID_Z_EN: 0
; COMPUTE_PGM_RSRC2:TIDIG_COMP_CNT: 0
	.section	.text._ZN7rocprim17ROCPRIM_400000_NS6detail17trampoline_kernelINS0_14default_configENS1_37merge_sort_block_sort_config_selectorIN3c104HalfElEEZNS1_21merge_sort_block_sortIS3_PS6_S9_N6thrust23THRUST_200600_302600_NS10device_ptrIlEESD_NSB_4lessIS6_EEEE10hipError_tT0_T1_T2_T3_mRjT4_P12ihipStream_tbNS1_7vsmem_tEEUlT_E_NS1_11comp_targetILNS1_3genE3ELNS1_11target_archE908ELNS1_3gpuE7ELNS1_3repE0EEENS1_30default_config_static_selectorELNS0_4arch9wavefront6targetE1EEEvSI_,"axG",@progbits,_ZN7rocprim17ROCPRIM_400000_NS6detail17trampoline_kernelINS0_14default_configENS1_37merge_sort_block_sort_config_selectorIN3c104HalfElEEZNS1_21merge_sort_block_sortIS3_PS6_S9_N6thrust23THRUST_200600_302600_NS10device_ptrIlEESD_NSB_4lessIS6_EEEE10hipError_tT0_T1_T2_T3_mRjT4_P12ihipStream_tbNS1_7vsmem_tEEUlT_E_NS1_11comp_targetILNS1_3genE3ELNS1_11target_archE908ELNS1_3gpuE7ELNS1_3repE0EEENS1_30default_config_static_selectorELNS0_4arch9wavefront6targetE1EEEvSI_,comdat
	.protected	_ZN7rocprim17ROCPRIM_400000_NS6detail17trampoline_kernelINS0_14default_configENS1_37merge_sort_block_sort_config_selectorIN3c104HalfElEEZNS1_21merge_sort_block_sortIS3_PS6_S9_N6thrust23THRUST_200600_302600_NS10device_ptrIlEESD_NSB_4lessIS6_EEEE10hipError_tT0_T1_T2_T3_mRjT4_P12ihipStream_tbNS1_7vsmem_tEEUlT_E_NS1_11comp_targetILNS1_3genE3ELNS1_11target_archE908ELNS1_3gpuE7ELNS1_3repE0EEENS1_30default_config_static_selectorELNS0_4arch9wavefront6targetE1EEEvSI_ ; -- Begin function _ZN7rocprim17ROCPRIM_400000_NS6detail17trampoline_kernelINS0_14default_configENS1_37merge_sort_block_sort_config_selectorIN3c104HalfElEEZNS1_21merge_sort_block_sortIS3_PS6_S9_N6thrust23THRUST_200600_302600_NS10device_ptrIlEESD_NSB_4lessIS6_EEEE10hipError_tT0_T1_T2_T3_mRjT4_P12ihipStream_tbNS1_7vsmem_tEEUlT_E_NS1_11comp_targetILNS1_3genE3ELNS1_11target_archE908ELNS1_3gpuE7ELNS1_3repE0EEENS1_30default_config_static_selectorELNS0_4arch9wavefront6targetE1EEEvSI_
	.globl	_ZN7rocprim17ROCPRIM_400000_NS6detail17trampoline_kernelINS0_14default_configENS1_37merge_sort_block_sort_config_selectorIN3c104HalfElEEZNS1_21merge_sort_block_sortIS3_PS6_S9_N6thrust23THRUST_200600_302600_NS10device_ptrIlEESD_NSB_4lessIS6_EEEE10hipError_tT0_T1_T2_T3_mRjT4_P12ihipStream_tbNS1_7vsmem_tEEUlT_E_NS1_11comp_targetILNS1_3genE3ELNS1_11target_archE908ELNS1_3gpuE7ELNS1_3repE0EEENS1_30default_config_static_selectorELNS0_4arch9wavefront6targetE1EEEvSI_
	.p2align	8
	.type	_ZN7rocprim17ROCPRIM_400000_NS6detail17trampoline_kernelINS0_14default_configENS1_37merge_sort_block_sort_config_selectorIN3c104HalfElEEZNS1_21merge_sort_block_sortIS3_PS6_S9_N6thrust23THRUST_200600_302600_NS10device_ptrIlEESD_NSB_4lessIS6_EEEE10hipError_tT0_T1_T2_T3_mRjT4_P12ihipStream_tbNS1_7vsmem_tEEUlT_E_NS1_11comp_targetILNS1_3genE3ELNS1_11target_archE908ELNS1_3gpuE7ELNS1_3repE0EEENS1_30default_config_static_selectorELNS0_4arch9wavefront6targetE1EEEvSI_,@function
_ZN7rocprim17ROCPRIM_400000_NS6detail17trampoline_kernelINS0_14default_configENS1_37merge_sort_block_sort_config_selectorIN3c104HalfElEEZNS1_21merge_sort_block_sortIS3_PS6_S9_N6thrust23THRUST_200600_302600_NS10device_ptrIlEESD_NSB_4lessIS6_EEEE10hipError_tT0_T1_T2_T3_mRjT4_P12ihipStream_tbNS1_7vsmem_tEEUlT_E_NS1_11comp_targetILNS1_3genE3ELNS1_11target_archE908ELNS1_3gpuE7ELNS1_3repE0EEENS1_30default_config_static_selectorELNS0_4arch9wavefront6targetE1EEEvSI_: ; @_ZN7rocprim17ROCPRIM_400000_NS6detail17trampoline_kernelINS0_14default_configENS1_37merge_sort_block_sort_config_selectorIN3c104HalfElEEZNS1_21merge_sort_block_sortIS3_PS6_S9_N6thrust23THRUST_200600_302600_NS10device_ptrIlEESD_NSB_4lessIS6_EEEE10hipError_tT0_T1_T2_T3_mRjT4_P12ihipStream_tbNS1_7vsmem_tEEUlT_E_NS1_11comp_targetILNS1_3genE3ELNS1_11target_archE908ELNS1_3gpuE7ELNS1_3repE0EEENS1_30default_config_static_selectorELNS0_4arch9wavefront6targetE1EEEvSI_
; %bb.0:
	.section	.rodata,"a",@progbits
	.p2align	6, 0x0
	.amdhsa_kernel _ZN7rocprim17ROCPRIM_400000_NS6detail17trampoline_kernelINS0_14default_configENS1_37merge_sort_block_sort_config_selectorIN3c104HalfElEEZNS1_21merge_sort_block_sortIS3_PS6_S9_N6thrust23THRUST_200600_302600_NS10device_ptrIlEESD_NSB_4lessIS6_EEEE10hipError_tT0_T1_T2_T3_mRjT4_P12ihipStream_tbNS1_7vsmem_tEEUlT_E_NS1_11comp_targetILNS1_3genE3ELNS1_11target_archE908ELNS1_3gpuE7ELNS1_3repE0EEENS1_30default_config_static_selectorELNS0_4arch9wavefront6targetE1EEEvSI_
		.amdhsa_group_segment_fixed_size 0
		.amdhsa_private_segment_fixed_size 0
		.amdhsa_kernarg_size 64
		.amdhsa_user_sgpr_count 6
		.amdhsa_user_sgpr_private_segment_buffer 1
		.amdhsa_user_sgpr_dispatch_ptr 0
		.amdhsa_user_sgpr_queue_ptr 0
		.amdhsa_user_sgpr_kernarg_segment_ptr 1
		.amdhsa_user_sgpr_dispatch_id 0
		.amdhsa_user_sgpr_flat_scratch_init 0
		.amdhsa_user_sgpr_private_segment_size 0
		.amdhsa_uses_dynamic_stack 0
		.amdhsa_system_sgpr_private_segment_wavefront_offset 0
		.amdhsa_system_sgpr_workgroup_id_x 1
		.amdhsa_system_sgpr_workgroup_id_y 0
		.amdhsa_system_sgpr_workgroup_id_z 0
		.amdhsa_system_sgpr_workgroup_info 0
		.amdhsa_system_vgpr_workitem_id 0
		.amdhsa_next_free_vgpr 1
		.amdhsa_next_free_sgpr 0
		.amdhsa_reserve_vcc 0
		.amdhsa_reserve_flat_scratch 0
		.amdhsa_float_round_mode_32 0
		.amdhsa_float_round_mode_16_64 0
		.amdhsa_float_denorm_mode_32 3
		.amdhsa_float_denorm_mode_16_64 3
		.amdhsa_dx10_clamp 1
		.amdhsa_ieee_mode 1
		.amdhsa_fp16_overflow 0
		.amdhsa_exception_fp_ieee_invalid_op 0
		.amdhsa_exception_fp_denorm_src 0
		.amdhsa_exception_fp_ieee_div_zero 0
		.amdhsa_exception_fp_ieee_overflow 0
		.amdhsa_exception_fp_ieee_underflow 0
		.amdhsa_exception_fp_ieee_inexact 0
		.amdhsa_exception_int_div_zero 0
	.end_amdhsa_kernel
	.section	.text._ZN7rocprim17ROCPRIM_400000_NS6detail17trampoline_kernelINS0_14default_configENS1_37merge_sort_block_sort_config_selectorIN3c104HalfElEEZNS1_21merge_sort_block_sortIS3_PS6_S9_N6thrust23THRUST_200600_302600_NS10device_ptrIlEESD_NSB_4lessIS6_EEEE10hipError_tT0_T1_T2_T3_mRjT4_P12ihipStream_tbNS1_7vsmem_tEEUlT_E_NS1_11comp_targetILNS1_3genE3ELNS1_11target_archE908ELNS1_3gpuE7ELNS1_3repE0EEENS1_30default_config_static_selectorELNS0_4arch9wavefront6targetE1EEEvSI_,"axG",@progbits,_ZN7rocprim17ROCPRIM_400000_NS6detail17trampoline_kernelINS0_14default_configENS1_37merge_sort_block_sort_config_selectorIN3c104HalfElEEZNS1_21merge_sort_block_sortIS3_PS6_S9_N6thrust23THRUST_200600_302600_NS10device_ptrIlEESD_NSB_4lessIS6_EEEE10hipError_tT0_T1_T2_T3_mRjT4_P12ihipStream_tbNS1_7vsmem_tEEUlT_E_NS1_11comp_targetILNS1_3genE3ELNS1_11target_archE908ELNS1_3gpuE7ELNS1_3repE0EEENS1_30default_config_static_selectorELNS0_4arch9wavefront6targetE1EEEvSI_,comdat
.Lfunc_end2118:
	.size	_ZN7rocprim17ROCPRIM_400000_NS6detail17trampoline_kernelINS0_14default_configENS1_37merge_sort_block_sort_config_selectorIN3c104HalfElEEZNS1_21merge_sort_block_sortIS3_PS6_S9_N6thrust23THRUST_200600_302600_NS10device_ptrIlEESD_NSB_4lessIS6_EEEE10hipError_tT0_T1_T2_T3_mRjT4_P12ihipStream_tbNS1_7vsmem_tEEUlT_E_NS1_11comp_targetILNS1_3genE3ELNS1_11target_archE908ELNS1_3gpuE7ELNS1_3repE0EEENS1_30default_config_static_selectorELNS0_4arch9wavefront6targetE1EEEvSI_, .Lfunc_end2118-_ZN7rocprim17ROCPRIM_400000_NS6detail17trampoline_kernelINS0_14default_configENS1_37merge_sort_block_sort_config_selectorIN3c104HalfElEEZNS1_21merge_sort_block_sortIS3_PS6_S9_N6thrust23THRUST_200600_302600_NS10device_ptrIlEESD_NSB_4lessIS6_EEEE10hipError_tT0_T1_T2_T3_mRjT4_P12ihipStream_tbNS1_7vsmem_tEEUlT_E_NS1_11comp_targetILNS1_3genE3ELNS1_11target_archE908ELNS1_3gpuE7ELNS1_3repE0EEENS1_30default_config_static_selectorELNS0_4arch9wavefront6targetE1EEEvSI_
                                        ; -- End function
	.set _ZN7rocprim17ROCPRIM_400000_NS6detail17trampoline_kernelINS0_14default_configENS1_37merge_sort_block_sort_config_selectorIN3c104HalfElEEZNS1_21merge_sort_block_sortIS3_PS6_S9_N6thrust23THRUST_200600_302600_NS10device_ptrIlEESD_NSB_4lessIS6_EEEE10hipError_tT0_T1_T2_T3_mRjT4_P12ihipStream_tbNS1_7vsmem_tEEUlT_E_NS1_11comp_targetILNS1_3genE3ELNS1_11target_archE908ELNS1_3gpuE7ELNS1_3repE0EEENS1_30default_config_static_selectorELNS0_4arch9wavefront6targetE1EEEvSI_.num_vgpr, 0
	.set _ZN7rocprim17ROCPRIM_400000_NS6detail17trampoline_kernelINS0_14default_configENS1_37merge_sort_block_sort_config_selectorIN3c104HalfElEEZNS1_21merge_sort_block_sortIS3_PS6_S9_N6thrust23THRUST_200600_302600_NS10device_ptrIlEESD_NSB_4lessIS6_EEEE10hipError_tT0_T1_T2_T3_mRjT4_P12ihipStream_tbNS1_7vsmem_tEEUlT_E_NS1_11comp_targetILNS1_3genE3ELNS1_11target_archE908ELNS1_3gpuE7ELNS1_3repE0EEENS1_30default_config_static_selectorELNS0_4arch9wavefront6targetE1EEEvSI_.num_agpr, 0
	.set _ZN7rocprim17ROCPRIM_400000_NS6detail17trampoline_kernelINS0_14default_configENS1_37merge_sort_block_sort_config_selectorIN3c104HalfElEEZNS1_21merge_sort_block_sortIS3_PS6_S9_N6thrust23THRUST_200600_302600_NS10device_ptrIlEESD_NSB_4lessIS6_EEEE10hipError_tT0_T1_T2_T3_mRjT4_P12ihipStream_tbNS1_7vsmem_tEEUlT_E_NS1_11comp_targetILNS1_3genE3ELNS1_11target_archE908ELNS1_3gpuE7ELNS1_3repE0EEENS1_30default_config_static_selectorELNS0_4arch9wavefront6targetE1EEEvSI_.numbered_sgpr, 0
	.set _ZN7rocprim17ROCPRIM_400000_NS6detail17trampoline_kernelINS0_14default_configENS1_37merge_sort_block_sort_config_selectorIN3c104HalfElEEZNS1_21merge_sort_block_sortIS3_PS6_S9_N6thrust23THRUST_200600_302600_NS10device_ptrIlEESD_NSB_4lessIS6_EEEE10hipError_tT0_T1_T2_T3_mRjT4_P12ihipStream_tbNS1_7vsmem_tEEUlT_E_NS1_11comp_targetILNS1_3genE3ELNS1_11target_archE908ELNS1_3gpuE7ELNS1_3repE0EEENS1_30default_config_static_selectorELNS0_4arch9wavefront6targetE1EEEvSI_.num_named_barrier, 0
	.set _ZN7rocprim17ROCPRIM_400000_NS6detail17trampoline_kernelINS0_14default_configENS1_37merge_sort_block_sort_config_selectorIN3c104HalfElEEZNS1_21merge_sort_block_sortIS3_PS6_S9_N6thrust23THRUST_200600_302600_NS10device_ptrIlEESD_NSB_4lessIS6_EEEE10hipError_tT0_T1_T2_T3_mRjT4_P12ihipStream_tbNS1_7vsmem_tEEUlT_E_NS1_11comp_targetILNS1_3genE3ELNS1_11target_archE908ELNS1_3gpuE7ELNS1_3repE0EEENS1_30default_config_static_selectorELNS0_4arch9wavefront6targetE1EEEvSI_.private_seg_size, 0
	.set _ZN7rocprim17ROCPRIM_400000_NS6detail17trampoline_kernelINS0_14default_configENS1_37merge_sort_block_sort_config_selectorIN3c104HalfElEEZNS1_21merge_sort_block_sortIS3_PS6_S9_N6thrust23THRUST_200600_302600_NS10device_ptrIlEESD_NSB_4lessIS6_EEEE10hipError_tT0_T1_T2_T3_mRjT4_P12ihipStream_tbNS1_7vsmem_tEEUlT_E_NS1_11comp_targetILNS1_3genE3ELNS1_11target_archE908ELNS1_3gpuE7ELNS1_3repE0EEENS1_30default_config_static_selectorELNS0_4arch9wavefront6targetE1EEEvSI_.uses_vcc, 0
	.set _ZN7rocprim17ROCPRIM_400000_NS6detail17trampoline_kernelINS0_14default_configENS1_37merge_sort_block_sort_config_selectorIN3c104HalfElEEZNS1_21merge_sort_block_sortIS3_PS6_S9_N6thrust23THRUST_200600_302600_NS10device_ptrIlEESD_NSB_4lessIS6_EEEE10hipError_tT0_T1_T2_T3_mRjT4_P12ihipStream_tbNS1_7vsmem_tEEUlT_E_NS1_11comp_targetILNS1_3genE3ELNS1_11target_archE908ELNS1_3gpuE7ELNS1_3repE0EEENS1_30default_config_static_selectorELNS0_4arch9wavefront6targetE1EEEvSI_.uses_flat_scratch, 0
	.set _ZN7rocprim17ROCPRIM_400000_NS6detail17trampoline_kernelINS0_14default_configENS1_37merge_sort_block_sort_config_selectorIN3c104HalfElEEZNS1_21merge_sort_block_sortIS3_PS6_S9_N6thrust23THRUST_200600_302600_NS10device_ptrIlEESD_NSB_4lessIS6_EEEE10hipError_tT0_T1_T2_T3_mRjT4_P12ihipStream_tbNS1_7vsmem_tEEUlT_E_NS1_11comp_targetILNS1_3genE3ELNS1_11target_archE908ELNS1_3gpuE7ELNS1_3repE0EEENS1_30default_config_static_selectorELNS0_4arch9wavefront6targetE1EEEvSI_.has_dyn_sized_stack, 0
	.set _ZN7rocprim17ROCPRIM_400000_NS6detail17trampoline_kernelINS0_14default_configENS1_37merge_sort_block_sort_config_selectorIN3c104HalfElEEZNS1_21merge_sort_block_sortIS3_PS6_S9_N6thrust23THRUST_200600_302600_NS10device_ptrIlEESD_NSB_4lessIS6_EEEE10hipError_tT0_T1_T2_T3_mRjT4_P12ihipStream_tbNS1_7vsmem_tEEUlT_E_NS1_11comp_targetILNS1_3genE3ELNS1_11target_archE908ELNS1_3gpuE7ELNS1_3repE0EEENS1_30default_config_static_selectorELNS0_4arch9wavefront6targetE1EEEvSI_.has_recursion, 0
	.set _ZN7rocprim17ROCPRIM_400000_NS6detail17trampoline_kernelINS0_14default_configENS1_37merge_sort_block_sort_config_selectorIN3c104HalfElEEZNS1_21merge_sort_block_sortIS3_PS6_S9_N6thrust23THRUST_200600_302600_NS10device_ptrIlEESD_NSB_4lessIS6_EEEE10hipError_tT0_T1_T2_T3_mRjT4_P12ihipStream_tbNS1_7vsmem_tEEUlT_E_NS1_11comp_targetILNS1_3genE3ELNS1_11target_archE908ELNS1_3gpuE7ELNS1_3repE0EEENS1_30default_config_static_selectorELNS0_4arch9wavefront6targetE1EEEvSI_.has_indirect_call, 0
	.section	.AMDGPU.csdata,"",@progbits
; Kernel info:
; codeLenInByte = 0
; TotalNumSgprs: 4
; NumVgprs: 0
; ScratchSize: 0
; MemoryBound: 0
; FloatMode: 240
; IeeeMode: 1
; LDSByteSize: 0 bytes/workgroup (compile time only)
; SGPRBlocks: 0
; VGPRBlocks: 0
; NumSGPRsForWavesPerEU: 4
; NumVGPRsForWavesPerEU: 1
; Occupancy: 10
; WaveLimiterHint : 0
; COMPUTE_PGM_RSRC2:SCRATCH_EN: 0
; COMPUTE_PGM_RSRC2:USER_SGPR: 6
; COMPUTE_PGM_RSRC2:TRAP_HANDLER: 0
; COMPUTE_PGM_RSRC2:TGID_X_EN: 1
; COMPUTE_PGM_RSRC2:TGID_Y_EN: 0
; COMPUTE_PGM_RSRC2:TGID_Z_EN: 0
; COMPUTE_PGM_RSRC2:TIDIG_COMP_CNT: 0
	.section	.text._ZN7rocprim17ROCPRIM_400000_NS6detail17trampoline_kernelINS0_14default_configENS1_37merge_sort_block_sort_config_selectorIN3c104HalfElEEZNS1_21merge_sort_block_sortIS3_PS6_S9_N6thrust23THRUST_200600_302600_NS10device_ptrIlEESD_NSB_4lessIS6_EEEE10hipError_tT0_T1_T2_T3_mRjT4_P12ihipStream_tbNS1_7vsmem_tEEUlT_E_NS1_11comp_targetILNS1_3genE2ELNS1_11target_archE906ELNS1_3gpuE6ELNS1_3repE0EEENS1_30default_config_static_selectorELNS0_4arch9wavefront6targetE1EEEvSI_,"axG",@progbits,_ZN7rocprim17ROCPRIM_400000_NS6detail17trampoline_kernelINS0_14default_configENS1_37merge_sort_block_sort_config_selectorIN3c104HalfElEEZNS1_21merge_sort_block_sortIS3_PS6_S9_N6thrust23THRUST_200600_302600_NS10device_ptrIlEESD_NSB_4lessIS6_EEEE10hipError_tT0_T1_T2_T3_mRjT4_P12ihipStream_tbNS1_7vsmem_tEEUlT_E_NS1_11comp_targetILNS1_3genE2ELNS1_11target_archE906ELNS1_3gpuE6ELNS1_3repE0EEENS1_30default_config_static_selectorELNS0_4arch9wavefront6targetE1EEEvSI_,comdat
	.protected	_ZN7rocprim17ROCPRIM_400000_NS6detail17trampoline_kernelINS0_14default_configENS1_37merge_sort_block_sort_config_selectorIN3c104HalfElEEZNS1_21merge_sort_block_sortIS3_PS6_S9_N6thrust23THRUST_200600_302600_NS10device_ptrIlEESD_NSB_4lessIS6_EEEE10hipError_tT0_T1_T2_T3_mRjT4_P12ihipStream_tbNS1_7vsmem_tEEUlT_E_NS1_11comp_targetILNS1_3genE2ELNS1_11target_archE906ELNS1_3gpuE6ELNS1_3repE0EEENS1_30default_config_static_selectorELNS0_4arch9wavefront6targetE1EEEvSI_ ; -- Begin function _ZN7rocprim17ROCPRIM_400000_NS6detail17trampoline_kernelINS0_14default_configENS1_37merge_sort_block_sort_config_selectorIN3c104HalfElEEZNS1_21merge_sort_block_sortIS3_PS6_S9_N6thrust23THRUST_200600_302600_NS10device_ptrIlEESD_NSB_4lessIS6_EEEE10hipError_tT0_T1_T2_T3_mRjT4_P12ihipStream_tbNS1_7vsmem_tEEUlT_E_NS1_11comp_targetILNS1_3genE2ELNS1_11target_archE906ELNS1_3gpuE6ELNS1_3repE0EEENS1_30default_config_static_selectorELNS0_4arch9wavefront6targetE1EEEvSI_
	.globl	_ZN7rocprim17ROCPRIM_400000_NS6detail17trampoline_kernelINS0_14default_configENS1_37merge_sort_block_sort_config_selectorIN3c104HalfElEEZNS1_21merge_sort_block_sortIS3_PS6_S9_N6thrust23THRUST_200600_302600_NS10device_ptrIlEESD_NSB_4lessIS6_EEEE10hipError_tT0_T1_T2_T3_mRjT4_P12ihipStream_tbNS1_7vsmem_tEEUlT_E_NS1_11comp_targetILNS1_3genE2ELNS1_11target_archE906ELNS1_3gpuE6ELNS1_3repE0EEENS1_30default_config_static_selectorELNS0_4arch9wavefront6targetE1EEEvSI_
	.p2align	8
	.type	_ZN7rocprim17ROCPRIM_400000_NS6detail17trampoline_kernelINS0_14default_configENS1_37merge_sort_block_sort_config_selectorIN3c104HalfElEEZNS1_21merge_sort_block_sortIS3_PS6_S9_N6thrust23THRUST_200600_302600_NS10device_ptrIlEESD_NSB_4lessIS6_EEEE10hipError_tT0_T1_T2_T3_mRjT4_P12ihipStream_tbNS1_7vsmem_tEEUlT_E_NS1_11comp_targetILNS1_3genE2ELNS1_11target_archE906ELNS1_3gpuE6ELNS1_3repE0EEENS1_30default_config_static_selectorELNS0_4arch9wavefront6targetE1EEEvSI_,@function
_ZN7rocprim17ROCPRIM_400000_NS6detail17trampoline_kernelINS0_14default_configENS1_37merge_sort_block_sort_config_selectorIN3c104HalfElEEZNS1_21merge_sort_block_sortIS3_PS6_S9_N6thrust23THRUST_200600_302600_NS10device_ptrIlEESD_NSB_4lessIS6_EEEE10hipError_tT0_T1_T2_T3_mRjT4_P12ihipStream_tbNS1_7vsmem_tEEUlT_E_NS1_11comp_targetILNS1_3genE2ELNS1_11target_archE906ELNS1_3gpuE6ELNS1_3repE0EEENS1_30default_config_static_selectorELNS0_4arch9wavefront6targetE1EEEvSI_: ; @_ZN7rocprim17ROCPRIM_400000_NS6detail17trampoline_kernelINS0_14default_configENS1_37merge_sort_block_sort_config_selectorIN3c104HalfElEEZNS1_21merge_sort_block_sortIS3_PS6_S9_N6thrust23THRUST_200600_302600_NS10device_ptrIlEESD_NSB_4lessIS6_EEEE10hipError_tT0_T1_T2_T3_mRjT4_P12ihipStream_tbNS1_7vsmem_tEEUlT_E_NS1_11comp_targetILNS1_3genE2ELNS1_11target_archE906ELNS1_3gpuE6ELNS1_3repE0EEENS1_30default_config_static_selectorELNS0_4arch9wavefront6targetE1EEEvSI_
; %bb.0:
	s_load_dwordx2 s[14:15], s[4:5], 0x40
	s_load_dword s0, s[4:5], 0x0
	s_add_u32 s12, s4, 64
	s_addc_u32 s13, s5, 0
	s_waitcnt lgkmcnt(0)
	s_mul_i32 s1, s15, s8
	s_add_i32 s1, s1, s7
	s_mul_i32 s1, s1, s14
	s_add_i32 s20, s1, s6
	s_cmp_ge_u32 s20, s0
	s_cbranch_scc1 .LBB2119_188
; %bb.1:
	s_load_dwordx2 s[22:23], s[4:5], 0x8
	s_load_dwordx8 s[24:31], s[4:5], 0x18
	s_mov_b32 s21, 0
	s_lshl_b64 s[0:1], s[20:21], 11
	v_lshlrev_b32_e32 v15, 2, v0
	s_waitcnt lgkmcnt(0)
	s_lshr_b64 s[2:3], s[22:23], 10
	s_add_u32 s18, s24, s0
	s_addc_u32 s19, s25, s1
	s_add_u32 s16, s26, s0
	s_addc_u32 s17, s27, s1
	s_lshl_b64 s[0:1], s[20:21], 13
	s_add_u32 s27, s28, s0
	s_addc_u32 s28, s29, s1
	s_add_u32 s23, s30, s0
	s_addc_u32 s26, s31, s1
	v_mov_b32_e32 v3, v1
	s_cmp_lg_u64 s[2:3], s[20:21]
	v_or_b32_e32 v13, 1, v15
	v_or_b32_e32 v12, 2, v15
	;; [unrolled: 1-line block ×3, first 2 shown]
	v_lshlrev_b32_e32 v16, 1, v0
	v_lshrrev_b32_e32 v19, 4, v0
	v_lshrrev_b32_e32 v18, 2, v0
	v_lshlrev_b32_e32 v14, 3, v0
	s_cbranch_scc0 .LBB2119_93
; %bb.2:
	global_load_ushort v1, v16, s[18:19]
	global_load_ushort v4, v16, s[18:19] offset:512
	global_load_ushort v5, v16, s[18:19] offset:1024
	global_load_ushort v6, v16, s[18:19] offset:1536
	v_and_b32_e32 v7, 12, v19
	v_or_b32_e32 v25, 0x100, v0
	v_or_b32_e32 v26, 0x200, v0
	;; [unrolled: 1-line block ×3, first 2 shown]
	v_and_b32_e32 v24, 60, v18
	v_add_u32_e32 v20, v7, v16
	v_lshrrev_b32_e32 v7, 4, v25
	v_lshrrev_b32_e32 v8, 4, v26
	;; [unrolled: 1-line block ×3, first 2 shown]
	v_add_u32_e32 v10, v24, v14
	v_and_b32_e32 v7, 28, v7
	v_and_b32_e32 v8, 44, v8
	;; [unrolled: 1-line block ×3, first 2 shown]
	v_add_u32_e32 v21, v7, v16
	v_add_u32_e32 v22, v8, v16
	;; [unrolled: 1-line block ×3, first 2 shown]
	v_mov_b32_e32 v9, v17
	s_waitcnt vmcnt(3)
	ds_write_b16 v20, v1
	s_waitcnt vmcnt(2)
	ds_write_b16 v21, v4 offset:512
	s_waitcnt vmcnt(1)
	ds_write_b16 v22, v5 offset:1024
	;; [unrolled: 2-line block ×3, first 2 shown]
	s_waitcnt lgkmcnt(0)
	s_barrier
	ds_read2_b32 v[10:11], v10 offset1:1
	s_waitcnt lgkmcnt(0)
	s_barrier
	s_load_dword s0, s[12:13], 0xc
	v_mov_b32_e32 v1, 0
	v_mov_b32_e32 v6, v12
	v_lshrrev_b32_e32 v29, 16, v11
	v_lshrrev_b32_e32 v30, 16, v10
	s_waitcnt lgkmcnt(0)
	s_lshr_b32 s2, s0, 16
	s_cmp_lt_u32 s6, s14
	s_cselect_b32 s0, 12, 18
	s_add_u32 s0, s12, s0
	s_addc_u32 s1, s13, 0
	global_load_ushort v4, v1, s[0:1]
	v_mad_u32_u24 v5, v2, s2, v3
	s_movk_i32 s0, 0x400
	s_waitcnt vmcnt(0)
	v_mul_lo_u32 v4, v5, v4
	v_mov_b32_e32 v5, v13
	v_add_lshl_u32 v32, v4, v0, 2
	v_cmp_gt_u32_e32 vcc, s0, v32
	v_mov_b32_e32 v4, v15
	s_and_saveexec_b64 s[2:3], vcc
	s_cbranch_execz .LBB2119_12
; %bb.3:
	v_cmp_lt_f16_e32 vcc, v30, v10
	v_cndmask_b32_e32 v7, v13, v15, vcc
	v_cndmask_b32_e32 v6, v15, v13, vcc
	v_cmp_lt_f16_e64 s[0:1], v29, v11
	v_mov_b32_e32 v27, v11
	v_mov_b32_e32 v8, v12
	;; [unrolled: 1-line block ×3, first 2 shown]
	s_and_saveexec_b64 s[4:5], s[0:1]
; %bb.4:
	v_mov_b32_e32 v4, v29
	v_mov_b32_e32 v27, v29
	;; [unrolled: 1-line block ×6, first 2 shown]
; %bb.5:
	s_or_b64 exec, exec, s[4:5]
	v_cndmask_b32_e32 v4, v30, v10, vcc
	v_cmp_lt_f16_e64 s[0:1], v11, v4
	v_mov_b32_e32 v33, v11
	v_mov_b32_e32 v28, v4
	s_and_saveexec_b64 s[4:5], s[0:1]
	s_xor_b64 s[0:1], exec, s[4:5]
	s_cbranch_execz .LBB2119_7
; %bb.6:
	v_mov_b32_e32 v36, v9
	v_mov_b32_e32 v35, v8
	;; [unrolled: 1-line block ×15, first 2 shown]
.LBB2119_7:
	s_or_b64 exec, exec, s[0:1]
	v_cndmask_b32_e32 v10, v10, v30, vcc
	v_cmp_lt_f16_e32 vcc, v4, v10
	v_cndmask_b32_e32 v5, v7, v6, vcc
	v_cndmask_b32_e32 v4, v6, v7, vcc
	v_cmp_gt_f16_e64 s[0:1], v33, v29
	v_mov_b32_e32 v7, v27
	s_and_saveexec_b64 s[4:5], s[0:1]
; %bb.8:
	v_mov_b32_e32 v6, v8
	v_swap_b32 v8, v9
	v_mov_b32_e32 v33, v29
	v_mov_b32_e32 v7, v29
	;; [unrolled: 1-line block ×3, first 2 shown]
; %bb.9:
	s_or_b64 exec, exec, s[4:5]
	v_cndmask_b32_e32 v30, v28, v10, vcc
	v_cmp_lt_f16_e64 s[0:1], v33, v30
	v_mov_b32_e32 v6, v8
	v_mov_b32_e32 v11, v7
	s_and_saveexec_b64 s[4:5], s[0:1]
; %bb.10:
	v_mov_b32_e32 v6, v5
	v_mov_b32_e32 v5, v8
	;; [unrolled: 1-line block ×4, first 2 shown]
; %bb.11:
	s_or_b64 exec, exec, s[4:5]
	v_cndmask_b32_e32 v10, v10, v28, vcc
.LBB2119_12:
	s_or_b64 exec, exec, s[2:3]
	v_lshrrev_b32_e32 v27, 5, v25
	v_lshrrev_b32_e32 v25, 5, v31
	v_and_b32_e32 v31, 0xffffff00, v32
	v_mbcnt_lo_u32_b32 v7, -1, 0
	s_movk_i32 s0, 0x400
	v_lshlrev_b32_e32 v32, 1, v31
	v_mbcnt_hi_u32_b32 v7, -1, v7
	v_sub_u32_e64 v33, s0, v31 clamp
	v_add_u32_e32 v31, v32, v32
	v_lshlrev_b32_e32 v34, 2, v7
	v_lshl_add_u32 v36, v7, 3, v32
	v_lshl_add_u32 v35, v7, 4, v31
	v_mov_b32_e32 v7, v9
	s_mov_b32 s0, 0x5040100
	ds_write_b128 v35, v[4:7] offset:2048
	v_or_b32_e32 v7, 4, v34
	v_perm_b32 v38, v29, v11, s0
	v_perm_b32 v37, v30, v10, s0
	v_min_u32_e32 v7, v33, v7
	ds_write_b64 v36, v[37:38]
	v_add_u32_e32 v37, 4, v7
	v_and_b32_e32 v40, 0x1f8, v34
	v_min_u32_e32 v37, v33, v37
	v_and_b32_e32 v38, 4, v34
	v_min_u32_e32 v41, v33, v38
	v_sub_u32_e32 v42, v7, v40
	v_sub_u32_e32 v39, v37, v7
	v_sub_u32_e64 v39, v41, v39 clamp
	v_min_u32_e32 v42, v41, v42
	v_lshrrev_b32_e32 v28, 5, v0
	v_lshrrev_b32_e32 v26, 5, v26
	;; [unrolled: 1-line block ×3, first 2 shown]
	v_lshl_add_u32 v38, v40, 1, v32
	v_cmp_lt_u32_e32 vcc, v39, v42
	; wave barrier
	s_and_saveexec_b64 s[0:1], vcc
	s_cbranch_execz .LBB2119_16
; %bb.13:
	v_lshlrev_b32_e32 v43, 1, v7
	v_lshlrev_b32_e32 v44, 1, v41
	v_add3_u32 v43, v32, v43, v44
	s_mov_b64 s[2:3], 0
.LBB2119_14:                            ; =>This Inner Loop Header: Depth=1
	v_add_u32_e32 v44, v42, v39
	v_lshrrev_b32_e32 v45, 1, v44
	v_and_b32_e32 v44, -2, v44
	v_not_b32_e32 v46, v45
	v_add_u32_e32 v44, v38, v44
	v_lshl_add_u32 v46, v46, 1, v43
	ds_read_u16 v44, v44
	ds_read_u16 v46, v46
	v_add_u32_e32 v47, 1, v45
	s_waitcnt lgkmcnt(0)
	v_cmp_lt_f16_e32 vcc, v46, v44
	v_cndmask_b32_e32 v42, v42, v45, vcc
	v_cndmask_b32_e32 v39, v47, v39, vcc
	v_cmp_ge_u32_e32 vcc, v39, v42
	s_or_b64 s[2:3], vcc, s[2:3]
	s_andn2_b64 exec, exec, s[2:3]
	s_cbranch_execnz .LBB2119_14
; %bb.15:
	s_or_b64 exec, exec, s[2:3]
.LBB2119_16:
	s_or_b64 exec, exec, s[0:1]
	v_add_u32_e32 v41, v7, v41
	v_add_u32_e32 v40, v39, v40
	v_sub_u32_e32 v41, v41, v39
	v_cmp_le_u32_e32 vcc, v40, v7
	v_cmp_le_u32_e64 s[0:1], v41, v37
	s_or_b64 s[0:1], vcc, s[0:1]
	s_and_saveexec_b64 s[24:25], s[0:1]
	s_cbranch_execz .LBB2119_22
; %bb.17:
	v_cmp_lt_u32_e32 vcc, v40, v7
                                        ; implicit-def: $vgpr10
	s_and_saveexec_b64 s[0:1], vcc
; %bb.18:
	v_lshl_add_u32 v4, v39, 1, v38
	ds_read_u16 v10, v4
; %bb.19:
	s_or_b64 exec, exec, s[0:1]
	v_cmp_ge_u32_e64 s[0:1], v41, v37
	v_cmp_lt_u32_e64 s[2:3], v41, v37
                                        ; implicit-def: $vgpr11
	s_and_saveexec_b64 s[4:5], s[2:3]
; %bb.20:
	v_lshl_add_u32 v4, v41, 1, v32
	ds_read_u16 v11, v4
; %bb.21:
	s_or_b64 exec, exec, s[4:5]
	s_waitcnt lgkmcnt(0)
	v_cmp_nlt_f16_e64 s[2:3], v11, v10
	s_and_b64 s[2:3], vcc, s[2:3]
	s_or_b64 vcc, s[0:1], s[2:3]
	v_cndmask_b32_e32 v4, v41, v40, vcc
	v_cndmask_b32_e32 v5, v37, v7, vcc
	v_add_u32_e32 v6, 1, v4
	v_add_u32_e32 v5, -1, v5
	v_min_u32_e32 v5, v6, v5
	v_lshl_add_u32 v5, v5, 1, v32
	ds_read_u16 v5, v5
	v_lshl_add_u32 v4, v4, 2, v31
	ds_read_b32 v4, v4 offset:2048
	v_cndmask_b32_e32 v9, v6, v41, vcc
	v_cmp_ge_u32_e64 s[0:1], v9, v37
	s_waitcnt lgkmcnt(1)
	v_cndmask_b32_e32 v29, v5, v11, vcc
	v_cndmask_b32_e32 v30, v10, v5, vcc
	;; [unrolled: 1-line block ×3, first 2 shown]
	v_cmp_lt_u32_e64 s[2:3], v5, v7
	v_cmp_nlt_f16_e64 s[4:5], v29, v30
	s_and_b64 s[2:3], s[2:3], s[4:5]
	s_or_b64 s[0:1], s[0:1], s[2:3]
	v_cndmask_b32_e64 v6, v9, v5, s[0:1]
	v_cndmask_b32_e64 v38, v37, v7, s[0:1]
	v_add_u32_e32 v39, 1, v6
	v_add_u32_e32 v38, -1, v38
	v_min_u32_e32 v38, v39, v38
	v_lshl_add_u32 v38, v38, 1, v32
	ds_read_u16 v38, v38
	v_cndmask_b32_e64 v9, v39, v9, s[0:1]
	v_cndmask_b32_e64 v39, v5, v39, s[0:1]
	v_cmp_lt_u32_e64 s[4:5], v39, v7
	v_cmp_ge_u32_e64 s[2:3], v9, v37
	s_waitcnt lgkmcnt(0)
	v_cndmask_b32_e64 v40, v38, v29, s[0:1]
	v_cndmask_b32_e64 v38, v30, v38, s[0:1]
	v_cmp_nlt_f16_e64 s[8:9], v40, v38
	s_and_b64 s[4:5], s[4:5], s[8:9]
	s_or_b64 s[2:3], s[2:3], s[4:5]
	v_cndmask_b32_e64 v41, v9, v39, s[2:3]
	v_cndmask_b32_e64 v5, v37, v7, s[2:3]
	v_add_u32_e32 v42, 1, v41
	v_add_u32_e32 v5, -1, v5
	v_min_u32_e32 v5, v42, v5
	v_lshl_add_u32 v5, v5, 1, v32
	ds_read_u16 v43, v5
	v_lshl_add_u32 v5, v6, 2, v31
	v_lshl_add_u32 v6, v41, 2, v31
	v_cndmask_b32_e64 v39, v39, v42, s[2:3]
	v_cndmask_b32_e64 v9, v42, v9, s[2:3]
	s_waitcnt lgkmcnt(0)
	v_cndmask_b32_e64 v41, v43, v40, s[2:3]
	v_cndmask_b32_e64 v43, v38, v43, s[2:3]
	v_cmp_lt_u32_e64 s[8:9], v39, v7
	v_cmp_nlt_f16_e64 s[10:11], v41, v43
	v_cmp_ge_u32_e64 s[4:5], v9, v37
	s_and_b64 s[8:9], s[8:9], s[10:11]
	s_or_b64 s[4:5], s[4:5], s[8:9]
	v_cndmask_b32_e64 v7, v9, v39, s[4:5]
	v_lshl_add_u32 v7, v7, 2, v31
	ds_read_b32 v5, v5 offset:2048
	ds_read_b32 v6, v6 offset:2048
	;; [unrolled: 1-line block ×3, first 2 shown]
	v_cndmask_b32_e32 v10, v11, v10, vcc
	v_cndmask_b32_e64 v30, v29, v30, s[0:1]
	v_cndmask_b32_e64 v11, v40, v38, s[2:3]
	;; [unrolled: 1-line block ×3, first 2 shown]
.LBB2119_22:
	s_or_b64 exec, exec, s[24:25]
	s_waitcnt lgkmcnt(0)
	v_mov_b32_e32 v7, v9
	v_and_b32_e32 v40, 0x1f0, v34
	; wave barrier
	s_mov_b32 s0, 0x5040100
	ds_write_b128 v35, v[4:7] offset:2048
	v_or_b32_e32 v7, 8, v40
	v_perm_b32 v38, v29, v11, s0
	v_perm_b32 v37, v30, v10, s0
	v_min_u32_e32 v7, v33, v7
	ds_write_b64 v36, v[37:38]
	v_add_u32_e32 v37, 8, v7
	v_min_u32_e32 v37, v33, v37
	v_and_b32_e32 v38, 12, v34
	v_min_u32_e32 v41, v33, v38
	v_sub_u32_e32 v42, v7, v40
	v_sub_u32_e32 v39, v37, v7
	v_sub_u32_e64 v39, v41, v39 clamp
	v_min_u32_e32 v42, v41, v42
	v_lshl_add_u32 v38, v40, 1, v32
	v_cmp_lt_u32_e32 vcc, v39, v42
	; wave barrier
	s_and_saveexec_b64 s[0:1], vcc
	s_cbranch_execz .LBB2119_26
; %bb.23:
	v_lshlrev_b32_e32 v43, 1, v7
	v_lshlrev_b32_e32 v44, 1, v41
	v_add3_u32 v43, v32, v43, v44
	s_mov_b64 s[2:3], 0
.LBB2119_24:                            ; =>This Inner Loop Header: Depth=1
	v_add_u32_e32 v44, v42, v39
	v_lshrrev_b32_e32 v45, 1, v44
	v_and_b32_e32 v44, -2, v44
	v_not_b32_e32 v46, v45
	v_add_u32_e32 v44, v38, v44
	v_lshl_add_u32 v46, v46, 1, v43
	ds_read_u16 v44, v44
	ds_read_u16 v46, v46
	v_add_u32_e32 v47, 1, v45
	s_waitcnt lgkmcnt(0)
	v_cmp_lt_f16_e32 vcc, v46, v44
	v_cndmask_b32_e32 v42, v42, v45, vcc
	v_cndmask_b32_e32 v39, v47, v39, vcc
	v_cmp_ge_u32_e32 vcc, v39, v42
	s_or_b64 s[2:3], vcc, s[2:3]
	s_andn2_b64 exec, exec, s[2:3]
	s_cbranch_execnz .LBB2119_24
; %bb.25:
	s_or_b64 exec, exec, s[2:3]
.LBB2119_26:
	s_or_b64 exec, exec, s[0:1]
	v_add_u32_e32 v41, v7, v41
	v_add_u32_e32 v40, v39, v40
	v_sub_u32_e32 v41, v41, v39
	v_cmp_le_u32_e32 vcc, v40, v7
	v_cmp_le_u32_e64 s[0:1], v41, v37
	s_or_b64 s[0:1], vcc, s[0:1]
	s_and_saveexec_b64 s[24:25], s[0:1]
	s_cbranch_execz .LBB2119_32
; %bb.27:
	v_cmp_lt_u32_e32 vcc, v40, v7
                                        ; implicit-def: $vgpr10
	s_and_saveexec_b64 s[0:1], vcc
; %bb.28:
	v_lshl_add_u32 v4, v39, 1, v38
	ds_read_u16 v10, v4
; %bb.29:
	s_or_b64 exec, exec, s[0:1]
	v_cmp_ge_u32_e64 s[0:1], v41, v37
	v_cmp_lt_u32_e64 s[2:3], v41, v37
                                        ; implicit-def: $vgpr11
	s_and_saveexec_b64 s[4:5], s[2:3]
; %bb.30:
	v_lshl_add_u32 v4, v41, 1, v32
	ds_read_u16 v11, v4
; %bb.31:
	s_or_b64 exec, exec, s[4:5]
	s_waitcnt lgkmcnt(0)
	v_cmp_nlt_f16_e64 s[2:3], v11, v10
	s_and_b64 s[2:3], vcc, s[2:3]
	s_or_b64 vcc, s[0:1], s[2:3]
	v_cndmask_b32_e32 v4, v41, v40, vcc
	v_cndmask_b32_e32 v5, v37, v7, vcc
	v_add_u32_e32 v6, 1, v4
	v_add_u32_e32 v5, -1, v5
	v_min_u32_e32 v5, v6, v5
	v_lshl_add_u32 v5, v5, 1, v32
	ds_read_u16 v5, v5
	v_lshl_add_u32 v4, v4, 2, v31
	ds_read_b32 v4, v4 offset:2048
	v_cndmask_b32_e32 v9, v6, v41, vcc
	v_cmp_ge_u32_e64 s[0:1], v9, v37
	s_waitcnt lgkmcnt(1)
	v_cndmask_b32_e32 v29, v5, v11, vcc
	v_cndmask_b32_e32 v30, v10, v5, vcc
	;; [unrolled: 1-line block ×3, first 2 shown]
	v_cmp_lt_u32_e64 s[2:3], v5, v7
	v_cmp_nlt_f16_e64 s[4:5], v29, v30
	s_and_b64 s[2:3], s[2:3], s[4:5]
	s_or_b64 s[0:1], s[0:1], s[2:3]
	v_cndmask_b32_e64 v6, v9, v5, s[0:1]
	v_cndmask_b32_e64 v38, v37, v7, s[0:1]
	v_add_u32_e32 v39, 1, v6
	v_add_u32_e32 v38, -1, v38
	v_min_u32_e32 v38, v39, v38
	v_lshl_add_u32 v38, v38, 1, v32
	ds_read_u16 v38, v38
	v_cndmask_b32_e64 v9, v39, v9, s[0:1]
	v_cndmask_b32_e64 v39, v5, v39, s[0:1]
	v_cmp_lt_u32_e64 s[4:5], v39, v7
	v_cmp_ge_u32_e64 s[2:3], v9, v37
	s_waitcnt lgkmcnt(0)
	v_cndmask_b32_e64 v40, v38, v29, s[0:1]
	v_cndmask_b32_e64 v38, v30, v38, s[0:1]
	v_cmp_nlt_f16_e64 s[8:9], v40, v38
	s_and_b64 s[4:5], s[4:5], s[8:9]
	s_or_b64 s[2:3], s[2:3], s[4:5]
	v_cndmask_b32_e64 v41, v9, v39, s[2:3]
	v_cndmask_b32_e64 v5, v37, v7, s[2:3]
	v_add_u32_e32 v42, 1, v41
	v_add_u32_e32 v5, -1, v5
	v_min_u32_e32 v5, v42, v5
	v_lshl_add_u32 v5, v5, 1, v32
	ds_read_u16 v43, v5
	v_lshl_add_u32 v5, v6, 2, v31
	v_lshl_add_u32 v6, v41, 2, v31
	v_cndmask_b32_e64 v39, v39, v42, s[2:3]
	v_cndmask_b32_e64 v9, v42, v9, s[2:3]
	s_waitcnt lgkmcnt(0)
	v_cndmask_b32_e64 v41, v43, v40, s[2:3]
	v_cndmask_b32_e64 v43, v38, v43, s[2:3]
	v_cmp_lt_u32_e64 s[8:9], v39, v7
	v_cmp_nlt_f16_e64 s[10:11], v41, v43
	v_cmp_ge_u32_e64 s[4:5], v9, v37
	s_and_b64 s[8:9], s[8:9], s[10:11]
	s_or_b64 s[4:5], s[4:5], s[8:9]
	v_cndmask_b32_e64 v7, v9, v39, s[4:5]
	v_lshl_add_u32 v7, v7, 2, v31
	ds_read_b32 v5, v5 offset:2048
	ds_read_b32 v6, v6 offset:2048
	;; [unrolled: 1-line block ×3, first 2 shown]
	v_cndmask_b32_e32 v10, v11, v10, vcc
	v_cndmask_b32_e64 v30, v29, v30, s[0:1]
	v_cndmask_b32_e64 v11, v40, v38, s[2:3]
	;; [unrolled: 1-line block ×3, first 2 shown]
.LBB2119_32:
	s_or_b64 exec, exec, s[24:25]
	s_waitcnt lgkmcnt(0)
	v_mov_b32_e32 v7, v9
	v_and_b32_e32 v40, 0x1e0, v34
	; wave barrier
	s_mov_b32 s0, 0x5040100
	ds_write_b128 v35, v[4:7] offset:2048
	v_or_b32_e32 v7, 16, v40
	v_perm_b32 v38, v29, v11, s0
	v_perm_b32 v37, v30, v10, s0
	v_min_u32_e32 v7, v33, v7
	ds_write_b64 v36, v[37:38]
	v_add_u32_e32 v37, 16, v7
	v_min_u32_e32 v37, v33, v37
	v_and_b32_e32 v38, 28, v34
	v_min_u32_e32 v41, v33, v38
	v_sub_u32_e32 v42, v7, v40
	v_sub_u32_e32 v39, v37, v7
	v_sub_u32_e64 v39, v41, v39 clamp
	v_min_u32_e32 v42, v41, v42
	v_lshl_add_u32 v38, v40, 1, v32
	v_cmp_lt_u32_e32 vcc, v39, v42
	; wave barrier
	s_and_saveexec_b64 s[0:1], vcc
	s_cbranch_execz .LBB2119_36
; %bb.33:
	v_lshlrev_b32_e32 v43, 1, v7
	v_lshlrev_b32_e32 v44, 1, v41
	v_add3_u32 v43, v32, v43, v44
	s_mov_b64 s[2:3], 0
.LBB2119_34:                            ; =>This Inner Loop Header: Depth=1
	v_add_u32_e32 v44, v42, v39
	v_lshrrev_b32_e32 v45, 1, v44
	v_and_b32_e32 v44, -2, v44
	v_not_b32_e32 v46, v45
	v_add_u32_e32 v44, v38, v44
	v_lshl_add_u32 v46, v46, 1, v43
	ds_read_u16 v44, v44
	ds_read_u16 v46, v46
	v_add_u32_e32 v47, 1, v45
	s_waitcnt lgkmcnt(0)
	v_cmp_lt_f16_e32 vcc, v46, v44
	v_cndmask_b32_e32 v42, v42, v45, vcc
	v_cndmask_b32_e32 v39, v47, v39, vcc
	v_cmp_ge_u32_e32 vcc, v39, v42
	s_or_b64 s[2:3], vcc, s[2:3]
	s_andn2_b64 exec, exec, s[2:3]
	s_cbranch_execnz .LBB2119_34
; %bb.35:
	s_or_b64 exec, exec, s[2:3]
.LBB2119_36:
	s_or_b64 exec, exec, s[0:1]
	v_add_u32_e32 v41, v7, v41
	v_add_u32_e32 v40, v39, v40
	v_sub_u32_e32 v41, v41, v39
	v_cmp_le_u32_e32 vcc, v40, v7
	v_cmp_le_u32_e64 s[0:1], v41, v37
	s_or_b64 s[0:1], vcc, s[0:1]
	s_and_saveexec_b64 s[24:25], s[0:1]
	s_cbranch_execz .LBB2119_42
; %bb.37:
	v_cmp_lt_u32_e32 vcc, v40, v7
                                        ; implicit-def: $vgpr10
	s_and_saveexec_b64 s[0:1], vcc
; %bb.38:
	v_lshl_add_u32 v4, v39, 1, v38
	ds_read_u16 v10, v4
; %bb.39:
	s_or_b64 exec, exec, s[0:1]
	v_cmp_ge_u32_e64 s[0:1], v41, v37
	v_cmp_lt_u32_e64 s[2:3], v41, v37
                                        ; implicit-def: $vgpr11
	s_and_saveexec_b64 s[4:5], s[2:3]
; %bb.40:
	v_lshl_add_u32 v4, v41, 1, v32
	ds_read_u16 v11, v4
; %bb.41:
	s_or_b64 exec, exec, s[4:5]
	s_waitcnt lgkmcnt(0)
	v_cmp_nlt_f16_e64 s[2:3], v11, v10
	s_and_b64 s[2:3], vcc, s[2:3]
	s_or_b64 vcc, s[0:1], s[2:3]
	v_cndmask_b32_e32 v4, v41, v40, vcc
	v_cndmask_b32_e32 v5, v37, v7, vcc
	v_add_u32_e32 v6, 1, v4
	v_add_u32_e32 v5, -1, v5
	v_min_u32_e32 v5, v6, v5
	v_lshl_add_u32 v5, v5, 1, v32
	ds_read_u16 v5, v5
	v_lshl_add_u32 v4, v4, 2, v31
	ds_read_b32 v4, v4 offset:2048
	v_cndmask_b32_e32 v9, v6, v41, vcc
	v_cmp_ge_u32_e64 s[0:1], v9, v37
	s_waitcnt lgkmcnt(1)
	v_cndmask_b32_e32 v29, v5, v11, vcc
	v_cndmask_b32_e32 v30, v10, v5, vcc
	;; [unrolled: 1-line block ×3, first 2 shown]
	v_cmp_lt_u32_e64 s[2:3], v5, v7
	v_cmp_nlt_f16_e64 s[4:5], v29, v30
	s_and_b64 s[2:3], s[2:3], s[4:5]
	s_or_b64 s[0:1], s[0:1], s[2:3]
	v_cndmask_b32_e64 v6, v9, v5, s[0:1]
	v_cndmask_b32_e64 v38, v37, v7, s[0:1]
	v_add_u32_e32 v39, 1, v6
	v_add_u32_e32 v38, -1, v38
	v_min_u32_e32 v38, v39, v38
	v_lshl_add_u32 v38, v38, 1, v32
	ds_read_u16 v38, v38
	v_cndmask_b32_e64 v9, v39, v9, s[0:1]
	v_cndmask_b32_e64 v39, v5, v39, s[0:1]
	v_cmp_lt_u32_e64 s[4:5], v39, v7
	v_cmp_ge_u32_e64 s[2:3], v9, v37
	s_waitcnt lgkmcnt(0)
	v_cndmask_b32_e64 v40, v38, v29, s[0:1]
	v_cndmask_b32_e64 v38, v30, v38, s[0:1]
	v_cmp_nlt_f16_e64 s[8:9], v40, v38
	s_and_b64 s[4:5], s[4:5], s[8:9]
	s_or_b64 s[2:3], s[2:3], s[4:5]
	v_cndmask_b32_e64 v41, v9, v39, s[2:3]
	v_cndmask_b32_e64 v5, v37, v7, s[2:3]
	v_add_u32_e32 v42, 1, v41
	v_add_u32_e32 v5, -1, v5
	v_min_u32_e32 v5, v42, v5
	v_lshl_add_u32 v5, v5, 1, v32
	ds_read_u16 v43, v5
	v_lshl_add_u32 v5, v6, 2, v31
	v_lshl_add_u32 v6, v41, 2, v31
	v_cndmask_b32_e64 v39, v39, v42, s[2:3]
	v_cndmask_b32_e64 v9, v42, v9, s[2:3]
	s_waitcnt lgkmcnt(0)
	v_cndmask_b32_e64 v41, v43, v40, s[2:3]
	v_cndmask_b32_e64 v43, v38, v43, s[2:3]
	v_cmp_lt_u32_e64 s[8:9], v39, v7
	v_cmp_nlt_f16_e64 s[10:11], v41, v43
	v_cmp_ge_u32_e64 s[4:5], v9, v37
	s_and_b64 s[8:9], s[8:9], s[10:11]
	s_or_b64 s[4:5], s[4:5], s[8:9]
	v_cndmask_b32_e64 v7, v9, v39, s[4:5]
	v_lshl_add_u32 v7, v7, 2, v31
	ds_read_b32 v5, v5 offset:2048
	ds_read_b32 v6, v6 offset:2048
	ds_read_b32 v9, v7 offset:2048
	v_cndmask_b32_e32 v10, v11, v10, vcc
	v_cndmask_b32_e64 v30, v29, v30, s[0:1]
	v_cndmask_b32_e64 v11, v40, v38, s[2:3]
	v_cndmask_b32_e64 v29, v41, v43, s[4:5]
.LBB2119_42:
	s_or_b64 exec, exec, s[24:25]
	s_mov_b32 s0, 0x5040100
	v_perm_b32 v38, v29, v11, s0
	v_perm_b32 v37, v30, v10, s0
	; wave barrier
	ds_write_b64 v36, v[37:38]
	s_waitcnt lgkmcnt(1)
	v_mov_b32_e32 v7, v9
	v_and_b32_e32 v36, 0x1c0, v34
	ds_write_b128 v35, v[4:7] offset:2048
	v_or_b32_e32 v7, 32, v36
	v_min_u32_e32 v7, v33, v7
	v_add_u32_e32 v35, 32, v7
	v_min_u32_e32 v35, v33, v35
	v_and_b32_e32 v34, 60, v34
	v_min_u32_e32 v37, v33, v34
	v_sub_u32_e32 v38, v7, v36
	v_sub_u32_e32 v34, v35, v7
	v_sub_u32_e64 v34, v37, v34 clamp
	v_min_u32_e32 v38, v37, v38
	v_lshl_add_u32 v33, v36, 1, v32
	v_cmp_lt_u32_e32 vcc, v34, v38
	; wave barrier
	s_and_saveexec_b64 s[0:1], vcc
	s_cbranch_execz .LBB2119_46
; %bb.43:
	v_lshlrev_b32_e32 v39, 1, v7
	v_lshlrev_b32_e32 v40, 1, v37
	v_add3_u32 v39, v32, v39, v40
	s_mov_b64 s[2:3], 0
.LBB2119_44:                            ; =>This Inner Loop Header: Depth=1
	v_add_u32_e32 v40, v38, v34
	v_lshrrev_b32_e32 v41, 1, v40
	v_and_b32_e32 v40, -2, v40
	v_not_b32_e32 v42, v41
	v_add_u32_e32 v40, v33, v40
	v_lshl_add_u32 v42, v42, 1, v39
	ds_read_u16 v40, v40
	ds_read_u16 v42, v42
	v_add_u32_e32 v43, 1, v41
	s_waitcnt lgkmcnt(0)
	v_cmp_lt_f16_e32 vcc, v42, v40
	v_cndmask_b32_e32 v38, v38, v41, vcc
	v_cndmask_b32_e32 v34, v43, v34, vcc
	v_cmp_ge_u32_e32 vcc, v34, v38
	s_or_b64 s[2:3], vcc, s[2:3]
	s_andn2_b64 exec, exec, s[2:3]
	s_cbranch_execnz .LBB2119_44
; %bb.45:
	s_or_b64 exec, exec, s[2:3]
.LBB2119_46:
	s_or_b64 exec, exec, s[0:1]
	v_add_u32_e32 v37, v7, v37
	v_add_u32_e32 v36, v34, v36
	v_sub_u32_e32 v37, v37, v34
	v_cmp_le_u32_e32 vcc, v36, v7
	v_cmp_le_u32_e64 s[0:1], v37, v35
	s_or_b64 s[0:1], vcc, s[0:1]
	s_and_saveexec_b64 s[24:25], s[0:1]
	s_cbranch_execz .LBB2119_52
; %bb.47:
	v_cmp_lt_u32_e32 vcc, v36, v7
                                        ; implicit-def: $vgpr10
	s_and_saveexec_b64 s[0:1], vcc
; %bb.48:
	v_lshl_add_u32 v4, v34, 1, v33
	ds_read_u16 v10, v4
; %bb.49:
	s_or_b64 exec, exec, s[0:1]
	v_cmp_ge_u32_e64 s[0:1], v37, v35
	v_cmp_lt_u32_e64 s[2:3], v37, v35
                                        ; implicit-def: $vgpr11
	s_and_saveexec_b64 s[4:5], s[2:3]
; %bb.50:
	v_lshl_add_u32 v4, v37, 1, v32
	ds_read_u16 v11, v4
; %bb.51:
	s_or_b64 exec, exec, s[4:5]
	s_waitcnt lgkmcnt(0)
	v_cmp_nlt_f16_e64 s[2:3], v11, v10
	s_and_b64 s[2:3], vcc, s[2:3]
	s_or_b64 vcc, s[0:1], s[2:3]
	v_cndmask_b32_e32 v4, v37, v36, vcc
	v_cndmask_b32_e32 v5, v35, v7, vcc
	v_add_u32_e32 v6, 1, v4
	v_add_u32_e32 v5, -1, v5
	v_min_u32_e32 v5, v6, v5
	v_lshl_add_u32 v5, v5, 1, v32
	ds_read_u16 v5, v5
	v_lshl_add_u32 v4, v4, 2, v31
	ds_read_b32 v4, v4 offset:2048
	v_cndmask_b32_e32 v9, v6, v37, vcc
	v_cmp_ge_u32_e64 s[0:1], v9, v35
	s_waitcnt lgkmcnt(1)
	v_cndmask_b32_e32 v29, v5, v11, vcc
	v_cndmask_b32_e32 v30, v10, v5, vcc
	;; [unrolled: 1-line block ×3, first 2 shown]
	v_cmp_lt_u32_e64 s[2:3], v5, v7
	v_cmp_nlt_f16_e64 s[4:5], v29, v30
	s_and_b64 s[2:3], s[2:3], s[4:5]
	s_or_b64 s[0:1], s[0:1], s[2:3]
	v_cndmask_b32_e64 v6, v9, v5, s[0:1]
	v_cndmask_b32_e64 v33, v35, v7, s[0:1]
	v_add_u32_e32 v34, 1, v6
	v_add_u32_e32 v33, -1, v33
	v_min_u32_e32 v33, v34, v33
	v_lshl_add_u32 v33, v33, 1, v32
	ds_read_u16 v33, v33
	v_cndmask_b32_e64 v9, v34, v9, s[0:1]
	v_cndmask_b32_e64 v34, v5, v34, s[0:1]
	v_cmp_lt_u32_e64 s[4:5], v34, v7
	v_cmp_ge_u32_e64 s[2:3], v9, v35
	s_waitcnt lgkmcnt(0)
	v_cndmask_b32_e64 v36, v33, v29, s[0:1]
	v_cndmask_b32_e64 v33, v30, v33, s[0:1]
	v_cmp_nlt_f16_e64 s[8:9], v36, v33
	s_and_b64 s[4:5], s[4:5], s[8:9]
	s_or_b64 s[2:3], s[2:3], s[4:5]
	v_cndmask_b32_e64 v37, v9, v34, s[2:3]
	v_cndmask_b32_e64 v5, v35, v7, s[2:3]
	v_add_u32_e32 v38, 1, v37
	v_add_u32_e32 v5, -1, v5
	v_min_u32_e32 v5, v38, v5
	v_lshl_add_u32 v5, v5, 1, v32
	ds_read_u16 v32, v5
	v_lshl_add_u32 v5, v6, 2, v31
	v_lshl_add_u32 v6, v37, 2, v31
	v_cndmask_b32_e64 v34, v34, v38, s[2:3]
	v_cndmask_b32_e64 v9, v38, v9, s[2:3]
	s_waitcnt lgkmcnt(0)
	v_cndmask_b32_e64 v37, v32, v36, s[2:3]
	v_cndmask_b32_e64 v32, v33, v32, s[2:3]
	v_cmp_lt_u32_e64 s[8:9], v34, v7
	v_cmp_nlt_f16_e64 s[10:11], v37, v32
	v_cmp_ge_u32_e64 s[4:5], v9, v35
	s_and_b64 s[8:9], s[8:9], s[10:11]
	s_or_b64 s[4:5], s[4:5], s[8:9]
	v_cndmask_b32_e64 v7, v9, v34, s[4:5]
	v_lshl_add_u32 v7, v7, 2, v31
	ds_read_b32 v5, v5 offset:2048
	ds_read_b32 v6, v6 offset:2048
	ds_read_b32 v9, v7 offset:2048
	v_cndmask_b32_e32 v10, v11, v10, vcc
	v_cndmask_b32_e64 v30, v29, v30, s[0:1]
	v_cndmask_b32_e64 v11, v36, v33, s[2:3]
	;; [unrolled: 1-line block ×3, first 2 shown]
.LBB2119_52:
	s_or_b64 exec, exec, s[24:25]
	v_lshlrev_b32_e32 v32, 1, v15
	s_mov_b32 s0, 0x5040100
	v_add_u32_e32 v31, v32, v14
	v_perm_b32 v34, v29, v11, s0
	v_perm_b32 v33, v30, v10, s0
	s_waitcnt lgkmcnt(0)
	v_mov_b32_e32 v7, v9
	v_and_b32_e32 v36, 0x380, v15
	; wave barrier
	s_barrier
	ds_write_b64 v32, v[33:34]
	ds_write_b128 v31, v[4:7] offset:2048
	v_or_b32_e32 v7, 64, v36
	v_add_u32_e32 v33, 0x80, v36
	v_and_b32_e32 v37, 0x7c, v15
	v_sub_u32_e32 v38, v7, v36
	v_sub_u32_e32 v35, v33, v7
	v_sub_u32_e64 v35, v37, v35 clamp
	v_min_u32_e32 v38, v37, v38
	v_lshlrev_b32_e32 v34, 1, v36
	v_cmp_lt_u32_e32 vcc, v35, v38
	s_waitcnt lgkmcnt(0)
	s_barrier
	s_and_saveexec_b64 s[0:1], vcc
	s_cbranch_execz .LBB2119_56
; %bb.53:
	v_lshlrev_b32_e32 v39, 1, v37
	v_lshl_add_u32 v39, v7, 1, v39
	s_mov_b64 s[2:3], 0
.LBB2119_54:                            ; =>This Inner Loop Header: Depth=1
	v_add_u32_e32 v40, v38, v35
	v_lshrrev_b32_e32 v41, 1, v40
	v_and_b32_e32 v40, -2, v40
	v_not_b32_e32 v42, v41
	v_add_u32_e32 v40, v34, v40
	v_lshl_add_u32 v42, v42, 1, v39
	ds_read_u16 v40, v40
	ds_read_u16 v42, v42
	v_add_u32_e32 v43, 1, v41
	s_waitcnt lgkmcnt(0)
	v_cmp_lt_f16_e32 vcc, v42, v40
	v_cndmask_b32_e32 v38, v38, v41, vcc
	v_cndmask_b32_e32 v35, v43, v35, vcc
	v_cmp_ge_u32_e32 vcc, v35, v38
	s_or_b64 s[2:3], vcc, s[2:3]
	s_andn2_b64 exec, exec, s[2:3]
	s_cbranch_execnz .LBB2119_54
; %bb.55:
	s_or_b64 exec, exec, s[2:3]
.LBB2119_56:
	s_or_b64 exec, exec, s[0:1]
	v_sub_u32_e32 v37, v37, v35
	v_add_u32_e32 v36, v35, v36
	v_add_u32_e32 v37, v37, v7
	v_cmp_le_u32_e32 vcc, v36, v7
	v_cmp_le_u32_e64 s[0:1], v37, v33
	s_or_b64 s[0:1], vcc, s[0:1]
	s_and_saveexec_b64 s[24:25], s[0:1]
	s_cbranch_execz .LBB2119_62
; %bb.57:
	v_cmp_lt_u32_e32 vcc, v36, v7
                                        ; implicit-def: $vgpr10
	s_and_saveexec_b64 s[0:1], vcc
; %bb.58:
	v_lshl_add_u32 v4, v35, 1, v34
	ds_read_u16 v10, v4
; %bb.59:
	s_or_b64 exec, exec, s[0:1]
	v_cmp_ge_u32_e64 s[0:1], v37, v33
	v_cmp_lt_u32_e64 s[2:3], v37, v33
                                        ; implicit-def: $vgpr11
	s_and_saveexec_b64 s[4:5], s[2:3]
; %bb.60:
	v_lshlrev_b32_e32 v4, 1, v37
	ds_read_u16 v11, v4
; %bb.61:
	s_or_b64 exec, exec, s[4:5]
	s_waitcnt lgkmcnt(0)
	v_cmp_nlt_f16_e64 s[2:3], v11, v10
	s_and_b64 s[2:3], vcc, s[2:3]
	s_or_b64 vcc, s[0:1], s[2:3]
	v_cndmask_b32_e32 v4, v37, v36, vcc
	v_cndmask_b32_e32 v5, v33, v7, vcc
	v_add_u32_e32 v6, 1, v4
	v_add_u32_e32 v5, -1, v5
	v_min_u32_e32 v5, v6, v5
	v_lshlrev_b32_e32 v5, 1, v5
	ds_read_u16 v5, v5
	v_lshlrev_b32_e32 v4, 2, v4
	ds_read_b32 v4, v4 offset:2048
	v_cndmask_b32_e32 v9, v6, v37, vcc
	v_cmp_ge_u32_e64 s[0:1], v9, v33
	s_waitcnt lgkmcnt(1)
	v_cndmask_b32_e32 v29, v5, v11, vcc
	v_cndmask_b32_e32 v30, v10, v5, vcc
	;; [unrolled: 1-line block ×3, first 2 shown]
	v_cmp_lt_u32_e64 s[2:3], v5, v7
	v_cmp_nlt_f16_e64 s[4:5], v29, v30
	s_and_b64 s[2:3], s[2:3], s[4:5]
	s_or_b64 s[0:1], s[0:1], s[2:3]
	v_cndmask_b32_e64 v6, v9, v5, s[0:1]
	v_cndmask_b32_e64 v34, v33, v7, s[0:1]
	v_add_u32_e32 v35, 1, v6
	v_add_u32_e32 v34, -1, v34
	v_min_u32_e32 v34, v35, v34
	v_lshlrev_b32_e32 v34, 1, v34
	ds_read_u16 v34, v34
	v_cndmask_b32_e64 v9, v35, v9, s[0:1]
	v_cndmask_b32_e64 v35, v5, v35, s[0:1]
	v_cmp_lt_u32_e64 s[4:5], v35, v7
	v_cmp_ge_u32_e64 s[2:3], v9, v33
	s_waitcnt lgkmcnt(0)
	v_cndmask_b32_e64 v36, v34, v29, s[0:1]
	v_cndmask_b32_e64 v34, v30, v34, s[0:1]
	v_cmp_nlt_f16_e64 s[8:9], v36, v34
	s_and_b64 s[4:5], s[4:5], s[8:9]
	s_or_b64 s[2:3], s[2:3], s[4:5]
	v_cndmask_b32_e64 v37, v9, v35, s[2:3]
	v_cndmask_b32_e64 v5, v33, v7, s[2:3]
	v_add_u32_e32 v38, 1, v37
	v_add_u32_e32 v5, -1, v5
	v_min_u32_e32 v5, v38, v5
	v_lshlrev_b32_e32 v5, 1, v5
	ds_read_u16 v39, v5
	v_lshlrev_b32_e32 v5, 2, v6
	v_lshlrev_b32_e32 v6, 2, v37
	v_cndmask_b32_e64 v35, v35, v38, s[2:3]
	v_cndmask_b32_e64 v9, v38, v9, s[2:3]
	s_waitcnt lgkmcnt(0)
	v_cndmask_b32_e64 v37, v39, v36, s[2:3]
	v_cndmask_b32_e64 v39, v34, v39, s[2:3]
	v_cmp_lt_u32_e64 s[8:9], v35, v7
	v_cmp_nlt_f16_e64 s[10:11], v37, v39
	v_cmp_ge_u32_e64 s[4:5], v9, v33
	s_and_b64 s[8:9], s[8:9], s[10:11]
	s_or_b64 s[4:5], s[4:5], s[8:9]
	v_cndmask_b32_e64 v7, v9, v35, s[4:5]
	v_lshlrev_b32_e32 v7, 2, v7
	ds_read_b32 v5, v5 offset:2048
	ds_read_b32 v6, v6 offset:2048
	;; [unrolled: 1-line block ×3, first 2 shown]
	v_cndmask_b32_e32 v10, v11, v10, vcc
	v_cndmask_b32_e64 v30, v29, v30, s[0:1]
	v_cndmask_b32_e64 v11, v36, v34, s[2:3]
	;; [unrolled: 1-line block ×3, first 2 shown]
.LBB2119_62:
	s_or_b64 exec, exec, s[24:25]
	s_mov_b32 s0, 0x5040100
	v_perm_b32 v34, v29, v11, s0
	v_perm_b32 v33, v30, v10, s0
	s_waitcnt lgkmcnt(0)
	v_mov_b32_e32 v7, v9
	v_and_b32_e32 v36, 0x300, v15
	s_barrier
	ds_write_b64 v32, v[33:34]
	ds_write_b128 v31, v[4:7] offset:2048
	v_or_b32_e32 v7, 0x80, v36
	v_add_u32_e32 v33, 0x100, v36
	v_and_b32_e32 v37, 0xfc, v15
	v_sub_u32_e32 v38, v7, v36
	v_sub_u32_e32 v35, v33, v7
	v_sub_u32_e64 v35, v37, v35 clamp
	v_min_u32_e32 v38, v37, v38
	v_lshlrev_b32_e32 v34, 1, v36
	v_cmp_lt_u32_e32 vcc, v35, v38
	s_waitcnt lgkmcnt(0)
	s_barrier
	s_and_saveexec_b64 s[0:1], vcc
	s_cbranch_execz .LBB2119_66
; %bb.63:
	v_lshlrev_b32_e32 v39, 1, v37
	v_lshl_add_u32 v39, v7, 1, v39
	s_mov_b64 s[2:3], 0
.LBB2119_64:                            ; =>This Inner Loop Header: Depth=1
	v_add_u32_e32 v40, v38, v35
	v_lshrrev_b32_e32 v41, 1, v40
	v_and_b32_e32 v40, -2, v40
	v_not_b32_e32 v42, v41
	v_add_u32_e32 v40, v34, v40
	v_lshl_add_u32 v42, v42, 1, v39
	ds_read_u16 v40, v40
	ds_read_u16 v42, v42
	v_add_u32_e32 v43, 1, v41
	s_waitcnt lgkmcnt(0)
	v_cmp_lt_f16_e32 vcc, v42, v40
	v_cndmask_b32_e32 v38, v38, v41, vcc
	v_cndmask_b32_e32 v35, v43, v35, vcc
	v_cmp_ge_u32_e32 vcc, v35, v38
	s_or_b64 s[2:3], vcc, s[2:3]
	s_andn2_b64 exec, exec, s[2:3]
	s_cbranch_execnz .LBB2119_64
; %bb.65:
	s_or_b64 exec, exec, s[2:3]
.LBB2119_66:
	s_or_b64 exec, exec, s[0:1]
	v_sub_u32_e32 v37, v37, v35
	v_add_u32_e32 v36, v35, v36
	v_add_u32_e32 v37, v37, v7
	v_cmp_le_u32_e32 vcc, v36, v7
	v_cmp_le_u32_e64 s[0:1], v37, v33
	s_or_b64 s[0:1], vcc, s[0:1]
	s_and_saveexec_b64 s[24:25], s[0:1]
	s_cbranch_execz .LBB2119_72
; %bb.67:
	v_cmp_lt_u32_e32 vcc, v36, v7
                                        ; implicit-def: $vgpr10
	s_and_saveexec_b64 s[0:1], vcc
; %bb.68:
	v_lshl_add_u32 v4, v35, 1, v34
	ds_read_u16 v10, v4
; %bb.69:
	s_or_b64 exec, exec, s[0:1]
	v_cmp_ge_u32_e64 s[0:1], v37, v33
	v_cmp_lt_u32_e64 s[2:3], v37, v33
                                        ; implicit-def: $vgpr11
	s_and_saveexec_b64 s[4:5], s[2:3]
; %bb.70:
	v_lshlrev_b32_e32 v4, 1, v37
	ds_read_u16 v11, v4
; %bb.71:
	s_or_b64 exec, exec, s[4:5]
	s_waitcnt lgkmcnt(0)
	v_cmp_nlt_f16_e64 s[2:3], v11, v10
	s_and_b64 s[2:3], vcc, s[2:3]
	s_or_b64 vcc, s[0:1], s[2:3]
	v_cndmask_b32_e32 v4, v37, v36, vcc
	v_cndmask_b32_e32 v5, v33, v7, vcc
	v_add_u32_e32 v6, 1, v4
	v_add_u32_e32 v5, -1, v5
	v_min_u32_e32 v5, v6, v5
	v_lshlrev_b32_e32 v5, 1, v5
	ds_read_u16 v5, v5
	v_lshlrev_b32_e32 v4, 2, v4
	ds_read_b32 v4, v4 offset:2048
	v_cndmask_b32_e32 v9, v6, v37, vcc
	v_cmp_ge_u32_e64 s[0:1], v9, v33
	s_waitcnt lgkmcnt(1)
	v_cndmask_b32_e32 v29, v5, v11, vcc
	v_cndmask_b32_e32 v30, v10, v5, vcc
	;; [unrolled: 1-line block ×3, first 2 shown]
	v_cmp_lt_u32_e64 s[2:3], v5, v7
	v_cmp_nlt_f16_e64 s[4:5], v29, v30
	s_and_b64 s[2:3], s[2:3], s[4:5]
	s_or_b64 s[0:1], s[0:1], s[2:3]
	v_cndmask_b32_e64 v6, v9, v5, s[0:1]
	v_cndmask_b32_e64 v34, v33, v7, s[0:1]
	v_add_u32_e32 v35, 1, v6
	v_add_u32_e32 v34, -1, v34
	v_min_u32_e32 v34, v35, v34
	v_lshlrev_b32_e32 v34, 1, v34
	ds_read_u16 v34, v34
	v_cndmask_b32_e64 v9, v35, v9, s[0:1]
	v_cndmask_b32_e64 v35, v5, v35, s[0:1]
	v_cmp_lt_u32_e64 s[4:5], v35, v7
	v_cmp_ge_u32_e64 s[2:3], v9, v33
	s_waitcnt lgkmcnt(0)
	v_cndmask_b32_e64 v36, v34, v29, s[0:1]
	v_cndmask_b32_e64 v34, v30, v34, s[0:1]
	v_cmp_nlt_f16_e64 s[8:9], v36, v34
	s_and_b64 s[4:5], s[4:5], s[8:9]
	s_or_b64 s[2:3], s[2:3], s[4:5]
	v_cndmask_b32_e64 v37, v9, v35, s[2:3]
	v_cndmask_b32_e64 v5, v33, v7, s[2:3]
	v_add_u32_e32 v38, 1, v37
	v_add_u32_e32 v5, -1, v5
	v_min_u32_e32 v5, v38, v5
	v_lshlrev_b32_e32 v5, 1, v5
	ds_read_u16 v39, v5
	v_lshlrev_b32_e32 v5, 2, v6
	v_lshlrev_b32_e32 v6, 2, v37
	v_cndmask_b32_e64 v35, v35, v38, s[2:3]
	v_cndmask_b32_e64 v9, v38, v9, s[2:3]
	s_waitcnt lgkmcnt(0)
	v_cndmask_b32_e64 v37, v39, v36, s[2:3]
	v_cndmask_b32_e64 v39, v34, v39, s[2:3]
	v_cmp_lt_u32_e64 s[8:9], v35, v7
	v_cmp_nlt_f16_e64 s[10:11], v37, v39
	v_cmp_ge_u32_e64 s[4:5], v9, v33
	s_and_b64 s[8:9], s[8:9], s[10:11]
	s_or_b64 s[4:5], s[4:5], s[8:9]
	v_cndmask_b32_e64 v7, v9, v35, s[4:5]
	v_lshlrev_b32_e32 v7, 2, v7
	ds_read_b32 v5, v5 offset:2048
	ds_read_b32 v6, v6 offset:2048
	;; [unrolled: 1-line block ×3, first 2 shown]
	v_cndmask_b32_e32 v10, v11, v10, vcc
	v_cndmask_b32_e64 v30, v29, v30, s[0:1]
	v_cndmask_b32_e64 v11, v36, v34, s[2:3]
	;; [unrolled: 1-line block ×3, first 2 shown]
.LBB2119_72:
	s_or_b64 exec, exec, s[24:25]
	s_mov_b32 s0, 0x5040100
	v_perm_b32 v34, v29, v11, s0
	v_perm_b32 v33, v30, v10, s0
	s_waitcnt lgkmcnt(0)
	v_mov_b32_e32 v7, v9
	v_and_b32_e32 v36, 0x200, v15
	s_barrier
	ds_write_b64 v32, v[33:34]
	ds_write_b128 v31, v[4:7] offset:2048
	v_or_b32_e32 v7, 0x100, v36
	v_add_u32_e32 v33, 0x200, v36
	v_and_b32_e32 v37, 0x1fc, v15
	v_sub_u32_e32 v38, v7, v36
	v_sub_u32_e32 v35, v33, v7
	v_sub_u32_e64 v35, v37, v35 clamp
	v_min_u32_e32 v38, v37, v38
	v_lshlrev_b32_e32 v34, 1, v36
	v_cmp_lt_u32_e32 vcc, v35, v38
	s_waitcnt lgkmcnt(0)
	s_barrier
	s_and_saveexec_b64 s[0:1], vcc
	s_cbranch_execz .LBB2119_76
; %bb.73:
	v_lshlrev_b32_e32 v39, 1, v37
	v_lshl_add_u32 v39, v7, 1, v39
	s_mov_b64 s[2:3], 0
.LBB2119_74:                            ; =>This Inner Loop Header: Depth=1
	v_add_u32_e32 v40, v38, v35
	v_lshrrev_b32_e32 v41, 1, v40
	v_and_b32_e32 v40, -2, v40
	v_not_b32_e32 v42, v41
	v_add_u32_e32 v40, v34, v40
	v_lshl_add_u32 v42, v42, 1, v39
	ds_read_u16 v40, v40
	ds_read_u16 v42, v42
	v_add_u32_e32 v43, 1, v41
	s_waitcnt lgkmcnt(0)
	v_cmp_lt_f16_e32 vcc, v42, v40
	v_cndmask_b32_e32 v38, v38, v41, vcc
	v_cndmask_b32_e32 v35, v43, v35, vcc
	v_cmp_ge_u32_e32 vcc, v35, v38
	s_or_b64 s[2:3], vcc, s[2:3]
	s_andn2_b64 exec, exec, s[2:3]
	s_cbranch_execnz .LBB2119_74
; %bb.75:
	s_or_b64 exec, exec, s[2:3]
.LBB2119_76:
	s_or_b64 exec, exec, s[0:1]
	v_sub_u32_e32 v37, v37, v35
	v_add_u32_e32 v36, v35, v36
	v_add_u32_e32 v37, v37, v7
	v_cmp_le_u32_e32 vcc, v36, v7
	v_cmp_le_u32_e64 s[0:1], v37, v33
	s_or_b64 s[0:1], vcc, s[0:1]
	s_and_saveexec_b64 s[24:25], s[0:1]
	s_cbranch_execz .LBB2119_82
; %bb.77:
	v_cmp_lt_u32_e32 vcc, v36, v7
                                        ; implicit-def: $vgpr10
	s_and_saveexec_b64 s[0:1], vcc
; %bb.78:
	v_lshl_add_u32 v4, v35, 1, v34
	ds_read_u16 v10, v4
; %bb.79:
	s_or_b64 exec, exec, s[0:1]
	v_cmp_ge_u32_e64 s[0:1], v37, v33
	v_cmp_lt_u32_e64 s[2:3], v37, v33
                                        ; implicit-def: $vgpr11
	s_and_saveexec_b64 s[4:5], s[2:3]
; %bb.80:
	v_lshlrev_b32_e32 v4, 1, v37
	ds_read_u16 v11, v4
; %bb.81:
	s_or_b64 exec, exec, s[4:5]
	s_waitcnt lgkmcnt(0)
	v_cmp_nlt_f16_e64 s[2:3], v11, v10
	s_and_b64 s[2:3], vcc, s[2:3]
	s_or_b64 vcc, s[0:1], s[2:3]
	v_cndmask_b32_e32 v4, v37, v36, vcc
	v_cndmask_b32_e32 v5, v33, v7, vcc
	v_add_u32_e32 v6, 1, v4
	v_add_u32_e32 v5, -1, v5
	v_min_u32_e32 v5, v6, v5
	v_lshlrev_b32_e32 v5, 1, v5
	ds_read_u16 v5, v5
	v_lshlrev_b32_e32 v4, 2, v4
	ds_read_b32 v4, v4 offset:2048
	v_cndmask_b32_e32 v9, v6, v37, vcc
	v_cmp_ge_u32_e64 s[0:1], v9, v33
	s_waitcnt lgkmcnt(1)
	v_cndmask_b32_e32 v29, v5, v11, vcc
	v_cndmask_b32_e32 v30, v10, v5, vcc
	;; [unrolled: 1-line block ×3, first 2 shown]
	v_cmp_lt_u32_e64 s[2:3], v5, v7
	v_cmp_nlt_f16_e64 s[4:5], v29, v30
	s_and_b64 s[2:3], s[2:3], s[4:5]
	s_or_b64 s[0:1], s[0:1], s[2:3]
	v_cndmask_b32_e64 v6, v9, v5, s[0:1]
	v_cndmask_b32_e64 v34, v33, v7, s[0:1]
	v_add_u32_e32 v35, 1, v6
	v_add_u32_e32 v34, -1, v34
	v_min_u32_e32 v34, v35, v34
	v_lshlrev_b32_e32 v34, 1, v34
	ds_read_u16 v34, v34
	v_cndmask_b32_e64 v9, v35, v9, s[0:1]
	v_cndmask_b32_e64 v35, v5, v35, s[0:1]
	v_cmp_lt_u32_e64 s[4:5], v35, v7
	v_cmp_ge_u32_e64 s[2:3], v9, v33
	s_waitcnt lgkmcnt(0)
	v_cndmask_b32_e64 v36, v34, v29, s[0:1]
	v_cndmask_b32_e64 v34, v30, v34, s[0:1]
	v_cmp_nlt_f16_e64 s[8:9], v36, v34
	s_and_b64 s[4:5], s[4:5], s[8:9]
	s_or_b64 s[2:3], s[2:3], s[4:5]
	v_cndmask_b32_e64 v37, v9, v35, s[2:3]
	v_cndmask_b32_e64 v5, v33, v7, s[2:3]
	v_add_u32_e32 v38, 1, v37
	v_add_u32_e32 v5, -1, v5
	v_min_u32_e32 v5, v38, v5
	v_lshlrev_b32_e32 v5, 1, v5
	ds_read_u16 v39, v5
	v_lshlrev_b32_e32 v5, 2, v6
	v_lshlrev_b32_e32 v6, 2, v37
	v_cndmask_b32_e64 v35, v35, v38, s[2:3]
	v_cndmask_b32_e64 v9, v38, v9, s[2:3]
	s_waitcnt lgkmcnt(0)
	v_cndmask_b32_e64 v37, v39, v36, s[2:3]
	v_cndmask_b32_e64 v39, v34, v39, s[2:3]
	v_cmp_lt_u32_e64 s[8:9], v35, v7
	v_cmp_nlt_f16_e64 s[10:11], v37, v39
	v_cmp_ge_u32_e64 s[4:5], v9, v33
	s_and_b64 s[8:9], s[8:9], s[10:11]
	s_or_b64 s[4:5], s[4:5], s[8:9]
	v_cndmask_b32_e64 v7, v9, v35, s[4:5]
	v_lshlrev_b32_e32 v7, 2, v7
	ds_read_b32 v5, v5 offset:2048
	ds_read_b32 v6, v6 offset:2048
	;; [unrolled: 1-line block ×3, first 2 shown]
	v_cndmask_b32_e32 v10, v11, v10, vcc
	v_cndmask_b32_e64 v30, v29, v30, s[0:1]
	v_cndmask_b32_e64 v11, v36, v34, s[2:3]
	;; [unrolled: 1-line block ×3, first 2 shown]
.LBB2119_82:
	s_or_b64 exec, exec, s[24:25]
	s_mov_b32 s0, 0x5040100
	v_perm_b32 v34, v29, v11, s0
	v_perm_b32 v33, v30, v10, s0
	s_waitcnt lgkmcnt(0)
	v_mov_b32_e32 v7, v9
	s_barrier
	ds_write_b64 v32, v[33:34]
	ds_write_b128 v31, v[4:7] offset:2048
	v_mov_b32_e32 v7, 0x200
	v_and_b32_e32 v32, 0x3fc, v15
	v_sub_u32_e64 v31, v32, v7 clamp
	v_min_u32_e32 v33, 0x200, v32
	v_cmp_lt_u32_e32 vcc, v31, v33
	s_waitcnt lgkmcnt(0)
	s_barrier
	s_and_saveexec_b64 s[0:1], vcc
	s_cbranch_execz .LBB2119_86
; %bb.83:
	v_lshlrev_b32_e32 v34, 1, v32
	v_lshl_add_u32 v34, v7, 1, v34
	s_mov_b64 s[2:3], 0
.LBB2119_84:                            ; =>This Inner Loop Header: Depth=1
	v_add_u32_e32 v35, v33, v31
	v_lshrrev_b32_e32 v36, 1, v35
	v_not_b32_e32 v37, v36
	v_and_b32_e32 v35, -2, v35
	v_lshl_add_u32 v37, v37, 1, v34
	ds_read_u16 v35, v35
	ds_read_u16 v37, v37
	v_add_u32_e32 v38, 1, v36
	s_waitcnt lgkmcnt(0)
	v_cmp_lt_f16_e32 vcc, v37, v35
	v_cndmask_b32_e32 v33, v33, v36, vcc
	v_cndmask_b32_e32 v31, v38, v31, vcc
	v_cmp_ge_u32_e32 vcc, v31, v33
	s_or_b64 s[2:3], vcc, s[2:3]
	s_andn2_b64 exec, exec, s[2:3]
	s_cbranch_execnz .LBB2119_84
; %bb.85:
	s_or_b64 exec, exec, s[2:3]
.LBB2119_86:
	s_or_b64 exec, exec, s[0:1]
	v_sub_u32_e32 v32, v32, v31
	v_add_u32_e32 v32, 0x200, v32
	s_movk_i32 s0, 0x401
	v_cmp_le_u32_e32 vcc, v31, v7
	v_cmp_gt_u32_e64 s[0:1], s0, v32
	s_or_b64 s[0:1], vcc, s[0:1]
	s_and_saveexec_b64 s[24:25], s[0:1]
	s_cbranch_execz .LBB2119_92
; %bb.87:
	v_cmp_lt_u32_e32 vcc, v31, v7
                                        ; implicit-def: $vgpr10
	s_and_saveexec_b64 s[0:1], vcc
; %bb.88:
	v_lshlrev_b32_e32 v4, 1, v31
	ds_read_u16 v10, v4
; %bb.89:
	s_or_b64 exec, exec, s[0:1]
	s_movk_i32 s7, 0x3ff
	s_movk_i32 s2, 0x400
	v_cmp_lt_u32_e64 s[0:1], s7, v32
	v_cmp_gt_u32_e64 s[2:3], s2, v32
                                        ; implicit-def: $vgpr11
	s_and_saveexec_b64 s[4:5], s[2:3]
; %bb.90:
	v_lshlrev_b32_e32 v4, 1, v32
	ds_read_u16 v11, v4
; %bb.91:
	s_or_b64 exec, exec, s[4:5]
	s_waitcnt lgkmcnt(0)
	v_cmp_nlt_f16_e64 s[2:3], v11, v10
	s_and_b64 s[2:3], vcc, s[2:3]
	s_or_b64 vcc, s[0:1], s[2:3]
	v_cndmask_b32_e32 v4, v32, v31, vcc
	v_add_u32_e32 v6, -1, v7
	v_mov_b32_e32 v9, 0x3ff
	v_add_u32_e32 v5, 1, v4
	v_cndmask_b32_e32 v29, v9, v6, vcc
	v_min_u32_e32 v29, v5, v29
	v_lshlrev_b32_e32 v29, 1, v29
	ds_read_u16 v29, v29
	v_cndmask_b32_e32 v32, v5, v32, vcc
	v_cndmask_b32_e32 v5, v31, v5, vcc
	v_cmp_lt_u32_e64 s[2:3], v5, v7
	v_cmp_lt_u32_e64 s[0:1], s7, v32
	s_waitcnt lgkmcnt(0)
	v_cndmask_b32_e32 v30, v29, v11, vcc
	v_cndmask_b32_e32 v29, v10, v29, vcc
	v_cmp_nlt_f16_e64 s[4:5], v30, v29
	s_and_b64 s[2:3], s[2:3], s[4:5]
	s_or_b64 s[0:1], s[0:1], s[2:3]
	v_cndmask_b32_e64 v31, v32, v5, s[0:1]
	v_add_u32_e32 v33, 1, v31
	v_cndmask_b32_e64 v34, v9, v6, s[0:1]
	v_min_u32_e32 v34, v33, v34
	v_lshlrev_b32_e32 v34, 1, v34
	ds_read_u16 v34, v34
	v_cndmask_b32_e64 v32, v33, v32, s[0:1]
	v_cndmask_b32_e64 v33, v5, v33, s[0:1]
	v_cmp_lt_u32_e64 s[4:5], v33, v7
	v_cmp_lt_u32_e64 s[2:3], s7, v32
	s_waitcnt lgkmcnt(0)
	v_cndmask_b32_e64 v35, v34, v30, s[0:1]
	v_cndmask_b32_e64 v34, v29, v34, s[0:1]
	v_cmp_nlt_f16_e64 s[8:9], v35, v34
	s_and_b64 s[4:5], s[4:5], s[8:9]
	s_or_b64 s[2:3], s[2:3], s[4:5]
	v_cndmask_b32_e64 v36, v32, v33, s[2:3]
	v_add_u32_e32 v37, 1, v36
	v_cndmask_b32_e64 v5, v9, v6, s[2:3]
	v_min_u32_e32 v5, v37, v5
	v_lshlrev_b32_e32 v4, 2, v4
	v_lshlrev_b32_e32 v5, 1, v5
	ds_read_b32 v4, v4 offset:2048
	ds_read_u16 v9, v5
	v_lshlrev_b32_e32 v6, 2, v36
	ds_read_b32 v6, v6 offset:2048
	v_lshlrev_b32_e32 v5, 2, v31
	ds_read_b32 v5, v5 offset:2048
	s_waitcnt lgkmcnt(2)
	v_cndmask_b32_e64 v31, v9, v35, s[2:3]
	v_cndmask_b32_e64 v36, v34, v9, s[2:3]
	;; [unrolled: 1-line block ×4, first 2 shown]
	v_cmp_lt_u32_e64 s[8:9], v32, v7
	v_cmp_nlt_f16_e64 s[10:11], v31, v36
	v_cmp_lt_u32_e64 s[4:5], s7, v9
	s_and_b64 s[8:9], s[8:9], s[10:11]
	s_or_b64 s[4:5], s[4:5], s[8:9]
	v_cndmask_b32_e64 v7, v9, v32, s[4:5]
	v_lshlrev_b32_e32 v7, 2, v7
	ds_read_b32 v9, v7 offset:2048
	v_cndmask_b32_e32 v10, v11, v10, vcc
	v_cndmask_b32_e64 v30, v30, v29, s[0:1]
	v_cndmask_b32_e64 v11, v35, v34, s[2:3]
	v_cndmask_b32_e64 v29, v31, v36, s[4:5]
.LBB2119_92:
	s_or_b64 exec, exec, s[24:25]
	s_mov_b32 s0, 0x5040100
	v_lshl_add_u32 v7, v15, 1, v24
	v_perm_b32 v11, v29, v11, s0
	v_perm_b32 v10, v30, v10, s0
	s_waitcnt lgkmcnt(0)
	s_barrier
	s_barrier
	ds_write2_b32 v7, v10, v11 offset1:1
	s_waitcnt lgkmcnt(0)
	s_barrier
	ds_read_u16 v7, v20
	ds_read_u16 v10, v21 offset:512
	ds_read_u16 v11, v22 offset:1024
	;; [unrolled: 1-line block ×3, first 2 shown]
	s_waitcnt lgkmcnt(3)
	global_store_short v16, v7, s[16:17]
	s_waitcnt lgkmcnt(2)
	global_store_short v16, v10, s[16:17] offset:512
	s_waitcnt lgkmcnt(1)
	global_store_short v16, v11, s[16:17] offset:1024
	;; [unrolled: 2-line block ×3, first 2 shown]
	v_mov_b32_e32 v7, s28
	v_add_co_u32_e32 v10, vcc, s27, v14
	v_addc_co_u32_e32 v11, vcc, 0, v7, vcc
	s_movk_i32 s0, 0x1000
	v_add_co_u32_e32 v20, vcc, s0, v10
	s_waitcnt vmcnt(0)
	s_barrier
	v_addc_co_u32_e32 v21, vcc, 0, v11, vcc
	flat_load_dwordx2 v[22:23], v[10:11]
	flat_load_dwordx2 v[29:30], v[10:11] offset:2048
	flat_load_dwordx2 v[31:32], v[20:21]
	flat_load_dwordx2 v[33:34], v[20:21] offset:2048
	v_lshrrev_b32_e32 v7, 2, v4
	v_lshrrev_b32_e32 v10, 2, v5
	;; [unrolled: 1-line block ×4, first 2 shown]
	v_lshlrev_b32_e32 v24, 3, v15
	v_and_b32_e32 v35, 0x3ffffff8, v7
	v_and_b32_e32 v36, 0x3ffffff8, v10
	v_lshl_add_u32 v11, v28, 3, v14
	v_lshl_add_u32 v28, v25, 3, v14
	v_mov_b32_e32 v25, s26
	v_and_b32_e32 v20, 0x3ffffff8, v20
	v_and_b32_e32 v21, 0x3ffffff8, v21
	v_lshl_add_u32 v37, v8, 3, v24
	v_add_co_u32_e32 v7, vcc, s23, v14
	v_lshl_add_u32 v4, v4, 3, v35
	v_lshl_add_u32 v24, v5, 3, v36
	;; [unrolled: 1-line block ×4, first 2 shown]
	v_addc_co_u32_e32 v8, vcc, 0, v25, vcc
	v_lshl_add_u32 v6, v6, 3, v20
	v_lshl_add_u32 v9, v9, 3, v21
	v_add_co_u32_e32 v10, vcc, 0x1000, v7
	s_mov_b64 s[24:25], -1
	s_waitcnt vmcnt(0) lgkmcnt(0)
	ds_write_b64 v11, v[22:23]
	ds_write_b64 v27, v[29:30] offset:2048
	ds_write_b64 v26, v[31:32] offset:4096
	;; [unrolled: 1-line block ×3, first 2 shown]
	s_waitcnt lgkmcnt(0)
	s_barrier
	ds_read_b64 v[4:5], v4
	ds_read_b64 v[20:21], v24
	;; [unrolled: 1-line block ×4, first 2 shown]
	s_waitcnt lgkmcnt(0)
	s_barrier
	ds_write2_b64 v37, v[4:5], v[20:21] offset1:1
	ds_write2_b64 v37, v[22:23], v[24:25] offset0:2 offset1:3
	s_waitcnt lgkmcnt(0)
	s_barrier
	ds_read_b64 v[20:21], v11
	ds_read_b64 v[22:23], v27 offset:2048
	ds_read_b64 v[24:25], v26 offset:4096
	;; [unrolled: 1-line block ×3, first 2 shown]
	v_addc_co_u32_e32 v11, vcc, 0, v8, vcc
	s_waitcnt lgkmcnt(3)
	flat_store_dwordx2 v[7:8], v[20:21]
	s_waitcnt lgkmcnt(0)
	flat_store_dwordx2 v[7:8], v[22:23] offset:2048
	flat_store_dwordx2 v[10:11], v[24:25]
	s_branch .LBB2119_186
.LBB2119_93:
	s_mov_b64 s[24:25], 0
                                        ; implicit-def: $vgpr4_vgpr5
	s_cbranch_execz .LBB2119_186
; %bb.94:
	s_lshl_b64 s[0:1], s[20:21], 10
	s_sub_i32 s22, s22, s0
	v_cmp_gt_u32_e32 vcc, s22, v0
                                        ; implicit-def: $vgpr1
	s_and_saveexec_b64 s[0:1], vcc
	s_cbranch_execz .LBB2119_96
; %bb.95:
	global_load_ushort v1, v16, s[18:19]
.LBB2119_96:
	s_or_b64 exec, exec, s[0:1]
	v_or_b32_e32 v22, 0x100, v0
	v_cmp_gt_u32_e64 s[0:1], s22, v22
                                        ; implicit-def: $vgpr4
	s_and_saveexec_b64 s[2:3], s[0:1]
	s_cbranch_execz .LBB2119_98
; %bb.97:
	global_load_ushort v4, v16, s[18:19] offset:512
.LBB2119_98:
	s_or_b64 exec, exec, s[2:3]
	v_or_b32_e32 v21, 0x200, v0
	v_cmp_gt_u32_e64 s[2:3], s22, v21
                                        ; implicit-def: $vgpr5
	s_and_saveexec_b64 s[4:5], s[2:3]
	s_cbranch_execz .LBB2119_100
; %bb.99:
	global_load_ushort v5, v16, s[18:19] offset:1024
.LBB2119_100:
	s_or_b64 exec, exec, s[4:5]
	v_or_b32_e32 v20, 0x300, v0
	v_cmp_gt_u32_e64 s[24:25], s22, v20
                                        ; implicit-def: $vgpr9
	s_and_saveexec_b64 s[4:5], s[24:25]
	s_cbranch_execz .LBB2119_102
; %bb.101:
	global_load_ushort v9, v16, s[18:19] offset:1536
.LBB2119_102:
	s_or_b64 exec, exec, s[4:5]
	v_and_b32_e32 v6, 12, v19
	v_add_u32_e32 v6, v6, v16
	s_waitcnt vmcnt(0)
	ds_write_b16 v6, v1
	v_lshrrev_b32_e32 v1, 4, v22
	v_and_b32_e32 v1, 28, v1
	v_add_u32_e32 v1, v1, v16
	ds_write_b16 v1, v4 offset:512
	v_lshrrev_b32_e32 v4, 4, v21
	v_and_b32_e32 v4, 60, v4
	v_add_u32_e32 v7, v4, v16
	v_lshrrev_b32_e32 v4, 4, v20
	v_and_b32_e32 v4, 60, v4
	v_add_u32_e32 v8, v4, v16
	ds_write_b16 v8, v9 offset:1536
	v_and_b32_e32 v9, 60, v18
	v_add_u32_e32 v4, v9, v14
	ds_write_b16 v7, v5 offset:1024
	s_waitcnt lgkmcnt(0)
	s_barrier
	ds_read2_b32 v[4:5], v4 offset1:1
	s_waitcnt lgkmcnt(0)
	s_barrier
	s_load_dword s4, s[12:13], 0xc
	v_mov_b32_e32 v10, 0
	v_lshrrev_b32_e32 v23, 16, v4
	v_lshrrev_b32_e32 v19, 16, v5
	v_cmp_lt_f16_e64 s[8:9], v19, v5
	s_waitcnt lgkmcnt(0)
	s_lshr_b32 s7, s4, 16
	s_cmp_lt_u32 s6, s14
	s_cselect_b32 s4, 12, 18
	s_add_u32 s4, s12, s4
	s_addc_u32 s5, s13, 0
	global_load_ushort v10, v10, s[4:5]
	v_mad_u32_u24 v2, v2, s7, v3
	v_cmp_lt_f16_e64 s[4:5], v23, v4
	s_waitcnt vmcnt(0)
	v_mul_lo_u32 v2, v2, v10
	v_add_lshl_u32 v18, v2, v0, 2
	v_sub_u32_e64 v24, s22, v18 clamp
	v_cmp_lt_u32_e64 s[10:11], 1, v24
	v_cmp_lt_u32_e64 s[6:7], 3, v24
	s_and_b64 s[12:13], s[10:11], s[4:5]
	s_and_b64 s[8:9], s[6:7], s[8:9]
	v_cndmask_b32_e64 v2, v23, v4, s[12:13]
	v_cndmask_b32_e64 v3, v5, v19, s[8:9]
	;; [unrolled: 1-line block ×6, first 2 shown]
	v_cmp_lt_u32_e64 s[4:5], 2, v24
	s_and_saveexec_b64 s[18:19], s[4:5]
	s_cbranch_execnz .LBB2119_106
; %bb.103:
	s_or_b64 exec, exec, s[18:19]
	v_cndmask_b32_e64 v24, v4, v23, s[12:13]
	s_and_saveexec_b64 s[12:13], s[10:11]
	s_cbranch_execnz .LBB2119_109
.LBB2119_104:
	s_or_b64 exec, exec, s[12:13]
	v_cndmask_b32_e64 v25, v19, v5, s[8:9]
	s_and_saveexec_b64 s[8:9], s[6:7]
	s_cbranch_execnz .LBB2119_112
.LBB2119_105:
	s_or_b64 exec, exec, s[8:9]
	s_and_saveexec_b64 s[6:7], s[4:5]
	s_cbranch_execnz .LBB2119_115
	s_branch .LBB2119_118
.LBB2119_106:
	v_cmp_lt_f16_e64 s[14:15], v3, v2
	s_and_saveexec_b64 s[20:21], s[14:15]
; %bb.107:
	v_mov_b32_e32 v17, v12
	v_swap_b32 v12, v11
	v_mov_b32_e32 v17, v2
	v_swap_b32 v2, v3
; %bb.108:
	s_or_b64 exec, exec, s[20:21]
	s_or_b64 exec, exec, s[18:19]
	v_cndmask_b32_e64 v24, v4, v23, s[12:13]
	s_and_saveexec_b64 s[12:13], s[10:11]
	s_cbranch_execz .LBB2119_104
.LBB2119_109:
	v_cmp_lt_f16_e64 s[10:11], v2, v24
	v_mov_b32_e32 v4, v11
	s_and_saveexec_b64 s[14:15], s[10:11]
; %bb.110:
	v_mov_b32_e32 v4, v10
	v_mov_b32_e32 v10, v11
	;; [unrolled: 1-line block ×3, first 2 shown]
	v_swap_b32 v24, v2
; %bb.111:
	s_or_b64 exec, exec, s[14:15]
	v_mov_b32_e32 v11, v4
	s_or_b64 exec, exec, s[12:13]
	v_cndmask_b32_e64 v25, v19, v5, s[8:9]
	s_and_saveexec_b64 s[8:9], s[6:7]
	s_cbranch_execz .LBB2119_105
.LBB2119_112:
	v_cmp_lt_f16_e64 s[6:7], v25, v3
	v_mov_b32_e32 v4, v13
	s_and_saveexec_b64 s[10:11], s[6:7]
; %bb.113:
	v_mov_b32_e32 v5, v3
	v_swap_b32 v3, v25
	v_mov_b32_e32 v4, v12
	v_mov_b32_e32 v12, v13
; %bb.114:
	s_or_b64 exec, exec, s[10:11]
	v_mov_b32_e32 v13, v4
	s_or_b64 exec, exec, s[8:9]
	s_and_saveexec_b64 s[6:7], s[4:5]
	s_cbranch_execz .LBB2119_118
.LBB2119_115:
	v_cmp_lt_f16_e64 s[4:5], v3, v2
	v_mov_b32_e32 v4, v12
	s_and_saveexec_b64 s[8:9], s[4:5]
; %bb.116:
	v_mov_b32_e32 v5, v2
	v_swap_b32 v2, v3
	v_mov_b32_e32 v4, v11
	v_mov_b32_e32 v11, v12
; %bb.117:
	s_or_b64 exec, exec, s[8:9]
	v_mov_b32_e32 v12, v4
.LBB2119_118:
	s_or_b64 exec, exec, s[6:7]
	v_mbcnt_lo_u32_b32 v4, -1, 0
	v_mbcnt_hi_u32_b32 v17, -1, v4
	v_and_b32_e32 v4, 0xffffff00, v18
	v_lshlrev_b32_e32 v5, 1, v4
	v_sub_u32_e64 v26, s22, v4 clamp
	v_add_u32_e32 v4, v5, v5
	s_mov_b32 s4, 0x5040100
	v_lshlrev_b32_e32 v27, 2, v17
	v_lshl_add_u32 v29, v17, 3, v5
	v_lshl_add_u32 v28, v17, 4, v4
	v_perm_b32 v18, v25, v3, s4
	v_perm_b32 v17, v2, v24, s4
	ds_write_b64 v29, v[17:18]
	ds_write_b128 v28, v[10:13] offset:2048
	v_or_b32_e32 v17, 4, v27
	v_min_u32_e32 v30, v26, v17
	v_add_u32_e32 v17, 4, v30
	v_and_b32_e32 v34, 0x1f8, v27
	v_min_u32_e32 v31, v26, v17
	v_and_b32_e32 v17, 4, v27
	v_min_u32_e32 v35, v26, v17
	v_sub_u32_e32 v17, v30, v34
	v_sub_u32_e32 v18, v31, v30
	v_sub_u32_e64 v33, v35, v18 clamp
	v_min_u32_e32 v17, v35, v17
	v_lshl_add_u32 v32, v34, 1, v5
	v_cmp_lt_u32_e64 s[4:5], v33, v17
	; wave barrier
	s_and_saveexec_b64 s[6:7], s[4:5]
	s_cbranch_execz .LBB2119_122
; %bb.119:
	v_lshlrev_b32_e32 v18, 1, v30
	v_lshlrev_b32_e32 v19, 1, v35
	v_add3_u32 v18, v5, v18, v19
	s_mov_b64 s[8:9], 0
.LBB2119_120:                           ; =>This Inner Loop Header: Depth=1
	v_add_u32_e32 v19, v17, v33
	v_lshrrev_b32_e32 v23, 1, v19
	v_and_b32_e32 v19, -2, v19
	v_not_b32_e32 v36, v23
	v_add_u32_e32 v19, v32, v19
	v_lshl_add_u32 v36, v36, 1, v18
	ds_read_u16 v19, v19
	ds_read_u16 v36, v36
	v_add_u32_e32 v37, 1, v23
	s_waitcnt lgkmcnt(0)
	v_cmp_lt_f16_e64 s[4:5], v36, v19
	v_cndmask_b32_e64 v17, v17, v23, s[4:5]
	v_cndmask_b32_e64 v33, v37, v33, s[4:5]
	v_cmp_ge_u32_e64 s[4:5], v33, v17
	s_or_b64 s[8:9], s[4:5], s[8:9]
	s_andn2_b64 exec, exec, s[8:9]
	s_cbranch_execnz .LBB2119_120
; %bb.121:
	s_or_b64 exec, exec, s[8:9]
.LBB2119_122:
	s_or_b64 exec, exec, s[6:7]
	v_add_u32_e32 v35, v30, v35
	v_add_u32_e32 v34, v33, v34
	v_sub_u32_e32 v35, v35, v33
	v_cmp_le_u32_e64 s[4:5], v34, v30
	v_cmp_le_u32_e64 s[6:7], v35, v31
	v_lshrrev_b32_e32 v23, 5, v0
	v_lshrrev_b32_e32 v22, 5, v22
	;; [unrolled: 1-line block ×5, first 2 shown]
	s_or_b64 s[4:5], s[4:5], s[6:7]
	s_and_saveexec_b64 s[18:19], s[4:5]
	s_cbranch_execz .LBB2119_128
; %bb.123:
	v_cmp_lt_u32_e64 s[4:5], v34, v30
                                        ; implicit-def: $vgpr2
	s_and_saveexec_b64 s[6:7], s[4:5]
; %bb.124:
	v_lshl_add_u32 v2, v33, 1, v32
	ds_read_u16 v2, v2
; %bb.125:
	s_or_b64 exec, exec, s[6:7]
	v_cmp_ge_u32_e64 s[6:7], v35, v31
	v_cmp_lt_u32_e64 s[8:9], v35, v31
                                        ; implicit-def: $vgpr3
	s_and_saveexec_b64 s[10:11], s[8:9]
; %bb.126:
	v_lshl_add_u32 v3, v35, 1, v5
	ds_read_u16 v3, v3
; %bb.127:
	s_or_b64 exec, exec, s[10:11]
	s_waitcnt lgkmcnt(0)
	v_cmp_nlt_f16_e64 s[8:9], v3, v2
	s_and_b64 s[4:5], s[4:5], s[8:9]
	s_or_b64 s[4:5], s[6:7], s[4:5]
	v_cndmask_b32_e64 v10, v35, v34, s[4:5]
	v_cndmask_b32_e64 v11, v31, v30, s[4:5]
	v_add_u32_e32 v12, 1, v10
	v_add_u32_e32 v11, -1, v11
	v_min_u32_e32 v11, v12, v11
	v_lshl_add_u32 v11, v11, 1, v5
	ds_read_u16 v11, v11
	v_lshl_add_u32 v10, v10, 2, v4
	ds_read_b32 v10, v10 offset:2048
	v_cndmask_b32_e64 v13, v12, v35, s[4:5]
	v_cmp_ge_u32_e64 s[6:7], v13, v31
	s_waitcnt lgkmcnt(1)
	v_cndmask_b32_e64 v25, v11, v3, s[4:5]
	v_cndmask_b32_e64 v32, v2, v11, s[4:5]
	;; [unrolled: 1-line block ×3, first 2 shown]
	v_cmp_lt_u32_e64 s[8:9], v11, v30
	v_cmp_nlt_f16_e64 s[10:11], v25, v32
	s_and_b64 s[8:9], s[8:9], s[10:11]
	s_or_b64 s[6:7], s[6:7], s[8:9]
	v_cndmask_b32_e64 v12, v13, v11, s[6:7]
	v_cndmask_b32_e64 v24, v31, v30, s[6:7]
	v_add_u32_e32 v33, 1, v12
	v_add_u32_e32 v24, -1, v24
	v_min_u32_e32 v24, v33, v24
	v_lshl_add_u32 v24, v24, 1, v5
	ds_read_u16 v24, v24
	v_cndmask_b32_e64 v13, v33, v13, s[6:7]
	v_cmp_ge_u32_e64 s[8:9], v13, v31
	s_waitcnt lgkmcnt(0)
	v_cndmask_b32_e64 v34, v24, v25, s[6:7]
	v_cndmask_b32_e64 v35, v32, v24, s[6:7]
	;; [unrolled: 1-line block ×3, first 2 shown]
	v_cmp_lt_u32_e64 s[10:11], v24, v30
	v_cmp_nlt_f16_e64 s[12:13], v34, v35
	s_and_b64 s[10:11], s[10:11], s[12:13]
	s_or_b64 s[8:9], s[8:9], s[10:11]
	v_cndmask_b32_e64 v33, v13, v24, s[8:9]
	v_cndmask_b32_e64 v11, v31, v30, s[8:9]
	v_add_u32_e32 v36, 1, v33
	v_add_u32_e32 v11, -1, v11
	v_min_u32_e32 v11, v36, v11
	v_lshl_add_u32 v11, v11, 1, v5
	ds_read_u16 v37, v11
	v_lshl_add_u32 v11, v12, 2, v4
	v_lshl_add_u32 v12, v33, 2, v4
	v_cndmask_b32_e64 v24, v24, v36, s[8:9]
	v_cndmask_b32_e64 v13, v36, v13, s[8:9]
	s_waitcnt lgkmcnt(0)
	v_cndmask_b32_e64 v33, v37, v34, s[8:9]
	v_cndmask_b32_e64 v37, v35, v37, s[8:9]
	v_cmp_lt_u32_e64 s[12:13], v24, v30
	v_cmp_nlt_f16_e64 s[14:15], v33, v37
	v_cmp_ge_u32_e64 s[10:11], v13, v31
	s_and_b64 s[12:13], s[12:13], s[14:15]
	s_or_b64 s[10:11], s[10:11], s[12:13]
	v_cndmask_b32_e64 v13, v13, v24, s[10:11]
	v_lshl_add_u32 v13, v13, 2, v4
	ds_read_b32 v11, v11 offset:2048
	ds_read_b32 v12, v12 offset:2048
	;; [unrolled: 1-line block ×3, first 2 shown]
	v_cndmask_b32_e64 v24, v3, v2, s[4:5]
	v_cndmask_b32_e64 v2, v25, v32, s[6:7]
	;; [unrolled: 1-line block ×4, first 2 shown]
.LBB2119_128:
	s_or_b64 exec, exec, s[18:19]
	s_mov_b32 s4, 0x5040100
	v_perm_b32 v31, v25, v3, s4
	v_perm_b32 v30, v2, v24, s4
	v_and_b32_e32 v34, 0x1f0, v27
	; wave barrier
	ds_write_b64 v29, v[30:31]
	s_waitcnt lgkmcnt(1)
	ds_write_b128 v28, v[10:13] offset:2048
	v_or_b32_e32 v30, 8, v34
	v_min_u32_e32 v30, v26, v30
	v_add_u32_e32 v31, 8, v30
	v_min_u32_e32 v31, v26, v31
	v_and_b32_e32 v32, 12, v27
	v_min_u32_e32 v35, v26, v32
	v_sub_u32_e32 v36, v30, v34
	v_sub_u32_e32 v33, v31, v30
	v_sub_u32_e64 v33, v35, v33 clamp
	v_min_u32_e32 v36, v35, v36
	v_lshl_add_u32 v32, v34, 1, v5
	v_cmp_lt_u32_e64 s[4:5], v33, v36
	; wave barrier
	s_and_saveexec_b64 s[6:7], s[4:5]
	s_cbranch_execz .LBB2119_132
; %bb.129:
	v_lshlrev_b32_e32 v37, 1, v30
	v_lshlrev_b32_e32 v38, 1, v35
	v_add3_u32 v37, v5, v37, v38
	s_mov_b64 s[8:9], 0
.LBB2119_130:                           ; =>This Inner Loop Header: Depth=1
	v_add_u32_e32 v38, v36, v33
	v_lshrrev_b32_e32 v39, 1, v38
	v_and_b32_e32 v38, -2, v38
	v_not_b32_e32 v40, v39
	v_add_u32_e32 v38, v32, v38
	v_lshl_add_u32 v40, v40, 1, v37
	ds_read_u16 v38, v38
	ds_read_u16 v40, v40
	v_add_u32_e32 v41, 1, v39
	s_waitcnt lgkmcnt(0)
	v_cmp_lt_f16_e64 s[4:5], v40, v38
	v_cndmask_b32_e64 v36, v36, v39, s[4:5]
	v_cndmask_b32_e64 v33, v41, v33, s[4:5]
	v_cmp_ge_u32_e64 s[4:5], v33, v36
	s_or_b64 s[8:9], s[4:5], s[8:9]
	s_andn2_b64 exec, exec, s[8:9]
	s_cbranch_execnz .LBB2119_130
; %bb.131:
	s_or_b64 exec, exec, s[8:9]
.LBB2119_132:
	s_or_b64 exec, exec, s[6:7]
	v_add_u32_e32 v35, v30, v35
	v_add_u32_e32 v34, v33, v34
	v_sub_u32_e32 v35, v35, v33
	v_cmp_le_u32_e64 s[4:5], v34, v30
	v_cmp_le_u32_e64 s[6:7], v35, v31
	s_or_b64 s[4:5], s[4:5], s[6:7]
	s_and_saveexec_b64 s[18:19], s[4:5]
	s_cbranch_execz .LBB2119_138
; %bb.133:
	v_cmp_lt_u32_e64 s[4:5], v34, v30
                                        ; implicit-def: $vgpr2
	s_and_saveexec_b64 s[6:7], s[4:5]
; %bb.134:
	v_lshl_add_u32 v2, v33, 1, v32
	ds_read_u16 v2, v2
; %bb.135:
	s_or_b64 exec, exec, s[6:7]
	v_cmp_ge_u32_e64 s[6:7], v35, v31
	v_cmp_lt_u32_e64 s[8:9], v35, v31
                                        ; implicit-def: $vgpr3
	s_and_saveexec_b64 s[10:11], s[8:9]
; %bb.136:
	v_lshl_add_u32 v3, v35, 1, v5
	ds_read_u16 v3, v3
; %bb.137:
	s_or_b64 exec, exec, s[10:11]
	s_waitcnt lgkmcnt(0)
	v_cmp_nlt_f16_e64 s[8:9], v3, v2
	s_and_b64 s[4:5], s[4:5], s[8:9]
	s_or_b64 s[4:5], s[6:7], s[4:5]
	v_cndmask_b32_e64 v10, v35, v34, s[4:5]
	v_cndmask_b32_e64 v11, v31, v30, s[4:5]
	v_add_u32_e32 v12, 1, v10
	v_add_u32_e32 v11, -1, v11
	v_min_u32_e32 v11, v12, v11
	v_lshl_add_u32 v11, v11, 1, v5
	ds_read_u16 v11, v11
	v_lshl_add_u32 v10, v10, 2, v4
	ds_read_b32 v10, v10 offset:2048
	v_cndmask_b32_e64 v13, v12, v35, s[4:5]
	v_cmp_ge_u32_e64 s[6:7], v13, v31
	s_waitcnt lgkmcnt(1)
	v_cndmask_b32_e64 v25, v11, v3, s[4:5]
	v_cndmask_b32_e64 v32, v2, v11, s[4:5]
	;; [unrolled: 1-line block ×3, first 2 shown]
	v_cmp_lt_u32_e64 s[8:9], v11, v30
	v_cmp_nlt_f16_e64 s[10:11], v25, v32
	s_and_b64 s[8:9], s[8:9], s[10:11]
	s_or_b64 s[6:7], s[6:7], s[8:9]
	v_cndmask_b32_e64 v12, v13, v11, s[6:7]
	v_cndmask_b32_e64 v24, v31, v30, s[6:7]
	v_add_u32_e32 v33, 1, v12
	v_add_u32_e32 v24, -1, v24
	v_min_u32_e32 v24, v33, v24
	v_lshl_add_u32 v24, v24, 1, v5
	ds_read_u16 v24, v24
	v_cndmask_b32_e64 v13, v33, v13, s[6:7]
	v_cmp_ge_u32_e64 s[8:9], v13, v31
	s_waitcnt lgkmcnt(0)
	v_cndmask_b32_e64 v34, v24, v25, s[6:7]
	v_cndmask_b32_e64 v35, v32, v24, s[6:7]
	;; [unrolled: 1-line block ×3, first 2 shown]
	v_cmp_lt_u32_e64 s[10:11], v24, v30
	v_cmp_nlt_f16_e64 s[12:13], v34, v35
	s_and_b64 s[10:11], s[10:11], s[12:13]
	s_or_b64 s[8:9], s[8:9], s[10:11]
	v_cndmask_b32_e64 v33, v13, v24, s[8:9]
	v_cndmask_b32_e64 v11, v31, v30, s[8:9]
	v_add_u32_e32 v36, 1, v33
	v_add_u32_e32 v11, -1, v11
	v_min_u32_e32 v11, v36, v11
	v_lshl_add_u32 v11, v11, 1, v5
	ds_read_u16 v37, v11
	v_lshl_add_u32 v11, v12, 2, v4
	v_lshl_add_u32 v12, v33, 2, v4
	v_cndmask_b32_e64 v24, v24, v36, s[8:9]
	v_cndmask_b32_e64 v13, v36, v13, s[8:9]
	s_waitcnt lgkmcnt(0)
	v_cndmask_b32_e64 v33, v37, v34, s[8:9]
	v_cndmask_b32_e64 v37, v35, v37, s[8:9]
	v_cmp_lt_u32_e64 s[12:13], v24, v30
	v_cmp_nlt_f16_e64 s[14:15], v33, v37
	v_cmp_ge_u32_e64 s[10:11], v13, v31
	s_and_b64 s[12:13], s[12:13], s[14:15]
	s_or_b64 s[10:11], s[10:11], s[12:13]
	v_cndmask_b32_e64 v13, v13, v24, s[10:11]
	v_lshl_add_u32 v13, v13, 2, v4
	ds_read_b32 v11, v11 offset:2048
	ds_read_b32 v12, v12 offset:2048
	;; [unrolled: 1-line block ×3, first 2 shown]
	v_cndmask_b32_e64 v24, v3, v2, s[4:5]
	v_cndmask_b32_e64 v2, v25, v32, s[6:7]
	;; [unrolled: 1-line block ×4, first 2 shown]
.LBB2119_138:
	s_or_b64 exec, exec, s[18:19]
	s_mov_b32 s4, 0x5040100
	v_perm_b32 v31, v25, v3, s4
	v_perm_b32 v30, v2, v24, s4
	v_and_b32_e32 v34, 0x1e0, v27
	; wave barrier
	ds_write_b64 v29, v[30:31]
	s_waitcnt lgkmcnt(1)
	ds_write_b128 v28, v[10:13] offset:2048
	v_or_b32_e32 v30, 16, v34
	v_min_u32_e32 v30, v26, v30
	v_add_u32_e32 v31, 16, v30
	v_min_u32_e32 v31, v26, v31
	v_and_b32_e32 v32, 28, v27
	v_min_u32_e32 v35, v26, v32
	v_sub_u32_e32 v36, v30, v34
	v_sub_u32_e32 v33, v31, v30
	v_sub_u32_e64 v33, v35, v33 clamp
	v_min_u32_e32 v36, v35, v36
	v_lshl_add_u32 v32, v34, 1, v5
	v_cmp_lt_u32_e64 s[4:5], v33, v36
	; wave barrier
	s_and_saveexec_b64 s[6:7], s[4:5]
	s_cbranch_execz .LBB2119_142
; %bb.139:
	v_lshlrev_b32_e32 v37, 1, v30
	v_lshlrev_b32_e32 v38, 1, v35
	v_add3_u32 v37, v5, v37, v38
	s_mov_b64 s[8:9], 0
.LBB2119_140:                           ; =>This Inner Loop Header: Depth=1
	v_add_u32_e32 v38, v36, v33
	v_lshrrev_b32_e32 v39, 1, v38
	v_and_b32_e32 v38, -2, v38
	v_not_b32_e32 v40, v39
	v_add_u32_e32 v38, v32, v38
	v_lshl_add_u32 v40, v40, 1, v37
	ds_read_u16 v38, v38
	ds_read_u16 v40, v40
	v_add_u32_e32 v41, 1, v39
	s_waitcnt lgkmcnt(0)
	v_cmp_lt_f16_e64 s[4:5], v40, v38
	v_cndmask_b32_e64 v36, v36, v39, s[4:5]
	v_cndmask_b32_e64 v33, v41, v33, s[4:5]
	v_cmp_ge_u32_e64 s[4:5], v33, v36
	s_or_b64 s[8:9], s[4:5], s[8:9]
	s_andn2_b64 exec, exec, s[8:9]
	s_cbranch_execnz .LBB2119_140
; %bb.141:
	s_or_b64 exec, exec, s[8:9]
.LBB2119_142:
	s_or_b64 exec, exec, s[6:7]
	v_add_u32_e32 v35, v30, v35
	v_add_u32_e32 v34, v33, v34
	v_sub_u32_e32 v35, v35, v33
	v_cmp_le_u32_e64 s[4:5], v34, v30
	v_cmp_le_u32_e64 s[6:7], v35, v31
	s_or_b64 s[4:5], s[4:5], s[6:7]
	s_and_saveexec_b64 s[18:19], s[4:5]
	s_cbranch_execz .LBB2119_148
; %bb.143:
	v_cmp_lt_u32_e64 s[4:5], v34, v30
                                        ; implicit-def: $vgpr2
	s_and_saveexec_b64 s[6:7], s[4:5]
; %bb.144:
	v_lshl_add_u32 v2, v33, 1, v32
	ds_read_u16 v2, v2
; %bb.145:
	s_or_b64 exec, exec, s[6:7]
	v_cmp_ge_u32_e64 s[6:7], v35, v31
	v_cmp_lt_u32_e64 s[8:9], v35, v31
                                        ; implicit-def: $vgpr3
	s_and_saveexec_b64 s[10:11], s[8:9]
; %bb.146:
	v_lshl_add_u32 v3, v35, 1, v5
	ds_read_u16 v3, v3
; %bb.147:
	s_or_b64 exec, exec, s[10:11]
	s_waitcnt lgkmcnt(0)
	v_cmp_nlt_f16_e64 s[8:9], v3, v2
	s_and_b64 s[4:5], s[4:5], s[8:9]
	s_or_b64 s[4:5], s[6:7], s[4:5]
	v_cndmask_b32_e64 v10, v35, v34, s[4:5]
	v_cndmask_b32_e64 v11, v31, v30, s[4:5]
	v_add_u32_e32 v12, 1, v10
	v_add_u32_e32 v11, -1, v11
	v_min_u32_e32 v11, v12, v11
	v_lshl_add_u32 v11, v11, 1, v5
	ds_read_u16 v11, v11
	v_lshl_add_u32 v10, v10, 2, v4
	ds_read_b32 v10, v10 offset:2048
	v_cndmask_b32_e64 v13, v12, v35, s[4:5]
	v_cmp_ge_u32_e64 s[6:7], v13, v31
	s_waitcnt lgkmcnt(1)
	v_cndmask_b32_e64 v25, v11, v3, s[4:5]
	v_cndmask_b32_e64 v32, v2, v11, s[4:5]
	;; [unrolled: 1-line block ×3, first 2 shown]
	v_cmp_lt_u32_e64 s[8:9], v11, v30
	v_cmp_nlt_f16_e64 s[10:11], v25, v32
	s_and_b64 s[8:9], s[8:9], s[10:11]
	s_or_b64 s[6:7], s[6:7], s[8:9]
	v_cndmask_b32_e64 v12, v13, v11, s[6:7]
	v_cndmask_b32_e64 v24, v31, v30, s[6:7]
	v_add_u32_e32 v33, 1, v12
	v_add_u32_e32 v24, -1, v24
	v_min_u32_e32 v24, v33, v24
	v_lshl_add_u32 v24, v24, 1, v5
	ds_read_u16 v24, v24
	v_cndmask_b32_e64 v13, v33, v13, s[6:7]
	v_cmp_ge_u32_e64 s[8:9], v13, v31
	s_waitcnt lgkmcnt(0)
	v_cndmask_b32_e64 v34, v24, v25, s[6:7]
	v_cndmask_b32_e64 v35, v32, v24, s[6:7]
	;; [unrolled: 1-line block ×3, first 2 shown]
	v_cmp_lt_u32_e64 s[10:11], v24, v30
	v_cmp_nlt_f16_e64 s[12:13], v34, v35
	s_and_b64 s[10:11], s[10:11], s[12:13]
	s_or_b64 s[8:9], s[8:9], s[10:11]
	v_cndmask_b32_e64 v33, v13, v24, s[8:9]
	v_cndmask_b32_e64 v11, v31, v30, s[8:9]
	v_add_u32_e32 v36, 1, v33
	v_add_u32_e32 v11, -1, v11
	v_min_u32_e32 v11, v36, v11
	v_lshl_add_u32 v11, v11, 1, v5
	ds_read_u16 v37, v11
	v_lshl_add_u32 v11, v12, 2, v4
	v_lshl_add_u32 v12, v33, 2, v4
	v_cndmask_b32_e64 v24, v24, v36, s[8:9]
	v_cndmask_b32_e64 v13, v36, v13, s[8:9]
	s_waitcnt lgkmcnt(0)
	v_cndmask_b32_e64 v33, v37, v34, s[8:9]
	v_cndmask_b32_e64 v37, v35, v37, s[8:9]
	v_cmp_lt_u32_e64 s[12:13], v24, v30
	v_cmp_nlt_f16_e64 s[14:15], v33, v37
	v_cmp_ge_u32_e64 s[10:11], v13, v31
	s_and_b64 s[12:13], s[12:13], s[14:15]
	s_or_b64 s[10:11], s[10:11], s[12:13]
	v_cndmask_b32_e64 v13, v13, v24, s[10:11]
	v_lshl_add_u32 v13, v13, 2, v4
	ds_read_b32 v11, v11 offset:2048
	ds_read_b32 v12, v12 offset:2048
	;; [unrolled: 1-line block ×3, first 2 shown]
	v_cndmask_b32_e64 v24, v3, v2, s[4:5]
	v_cndmask_b32_e64 v2, v25, v32, s[6:7]
	;; [unrolled: 1-line block ×4, first 2 shown]
.LBB2119_148:
	s_or_b64 exec, exec, s[18:19]
	s_mov_b32 s4, 0x5040100
	v_perm_b32 v31, v25, v3, s4
	v_perm_b32 v30, v2, v24, s4
	; wave barrier
	ds_write_b64 v29, v[30:31]
	s_waitcnt lgkmcnt(1)
	ds_write_b128 v28, v[10:13] offset:2048
	v_and_b32_e32 v30, 0x1c0, v27
	v_or_b32_e32 v28, 32, v30
	v_min_u32_e32 v28, v26, v28
	v_add_u32_e32 v29, 32, v28
	v_min_u32_e32 v29, v26, v29
	v_and_b32_e32 v27, 60, v27
	v_min_u32_e32 v31, v26, v27
	v_sub_u32_e32 v32, v28, v30
	v_sub_u32_e32 v27, v29, v28
	v_sub_u32_e64 v27, v31, v27 clamp
	v_min_u32_e32 v32, v31, v32
	v_lshl_add_u32 v26, v30, 1, v5
	v_cmp_lt_u32_e64 s[4:5], v27, v32
	; wave barrier
	s_and_saveexec_b64 s[6:7], s[4:5]
	s_cbranch_execz .LBB2119_152
; %bb.149:
	v_lshlrev_b32_e32 v33, 1, v28
	v_lshlrev_b32_e32 v34, 1, v31
	v_add3_u32 v33, v5, v33, v34
	s_mov_b64 s[8:9], 0
.LBB2119_150:                           ; =>This Inner Loop Header: Depth=1
	v_add_u32_e32 v34, v32, v27
	v_lshrrev_b32_e32 v35, 1, v34
	v_and_b32_e32 v34, -2, v34
	v_not_b32_e32 v36, v35
	v_add_u32_e32 v34, v26, v34
	v_lshl_add_u32 v36, v36, 1, v33
	ds_read_u16 v34, v34
	ds_read_u16 v36, v36
	v_add_u32_e32 v37, 1, v35
	s_waitcnt lgkmcnt(0)
	v_cmp_lt_f16_e64 s[4:5], v36, v34
	v_cndmask_b32_e64 v32, v32, v35, s[4:5]
	v_cndmask_b32_e64 v27, v37, v27, s[4:5]
	v_cmp_ge_u32_e64 s[4:5], v27, v32
	s_or_b64 s[8:9], s[4:5], s[8:9]
	s_andn2_b64 exec, exec, s[8:9]
	s_cbranch_execnz .LBB2119_150
; %bb.151:
	s_or_b64 exec, exec, s[8:9]
.LBB2119_152:
	s_or_b64 exec, exec, s[6:7]
	v_add_u32_e32 v31, v28, v31
	v_add_u32_e32 v30, v27, v30
	v_sub_u32_e32 v31, v31, v27
	v_cmp_le_u32_e64 s[4:5], v30, v28
	v_cmp_le_u32_e64 s[6:7], v31, v29
	s_or_b64 s[4:5], s[4:5], s[6:7]
	s_and_saveexec_b64 s[18:19], s[4:5]
	s_cbranch_execz .LBB2119_158
; %bb.153:
	v_cmp_lt_u32_e64 s[4:5], v30, v28
                                        ; implicit-def: $vgpr2
	s_and_saveexec_b64 s[6:7], s[4:5]
; %bb.154:
	v_lshl_add_u32 v2, v27, 1, v26
	ds_read_u16 v2, v2
; %bb.155:
	s_or_b64 exec, exec, s[6:7]
	v_cmp_ge_u32_e64 s[6:7], v31, v29
	v_cmp_lt_u32_e64 s[8:9], v31, v29
                                        ; implicit-def: $vgpr3
	s_and_saveexec_b64 s[10:11], s[8:9]
; %bb.156:
	v_lshl_add_u32 v3, v31, 1, v5
	ds_read_u16 v3, v3
; %bb.157:
	s_or_b64 exec, exec, s[10:11]
	s_waitcnt lgkmcnt(0)
	v_cmp_nlt_f16_e64 s[8:9], v3, v2
	s_and_b64 s[4:5], s[4:5], s[8:9]
	s_or_b64 s[4:5], s[6:7], s[4:5]
	v_cndmask_b32_e64 v10, v31, v30, s[4:5]
	v_cndmask_b32_e64 v11, v29, v28, s[4:5]
	v_add_u32_e32 v12, 1, v10
	v_add_u32_e32 v11, -1, v11
	v_min_u32_e32 v11, v12, v11
	v_lshl_add_u32 v11, v11, 1, v5
	ds_read_u16 v11, v11
	v_lshl_add_u32 v10, v10, 2, v4
	ds_read_b32 v10, v10 offset:2048
	v_cndmask_b32_e64 v13, v12, v31, s[4:5]
	v_cmp_ge_u32_e64 s[6:7], v13, v29
	s_waitcnt lgkmcnt(1)
	v_cndmask_b32_e64 v25, v11, v3, s[4:5]
	v_cndmask_b32_e64 v26, v2, v11, s[4:5]
	;; [unrolled: 1-line block ×3, first 2 shown]
	v_cmp_lt_u32_e64 s[8:9], v11, v28
	v_cmp_nlt_f16_e64 s[10:11], v25, v26
	s_and_b64 s[8:9], s[8:9], s[10:11]
	s_or_b64 s[6:7], s[6:7], s[8:9]
	v_cndmask_b32_e64 v12, v13, v11, s[6:7]
	v_cndmask_b32_e64 v24, v29, v28, s[6:7]
	v_add_u32_e32 v27, 1, v12
	v_add_u32_e32 v24, -1, v24
	v_min_u32_e32 v24, v27, v24
	v_lshl_add_u32 v24, v24, 1, v5
	ds_read_u16 v24, v24
	v_cndmask_b32_e64 v13, v27, v13, s[6:7]
	v_cmp_ge_u32_e64 s[8:9], v13, v29
	s_waitcnt lgkmcnt(0)
	v_cndmask_b32_e64 v30, v24, v25, s[6:7]
	v_cndmask_b32_e64 v31, v26, v24, s[6:7]
	;; [unrolled: 1-line block ×3, first 2 shown]
	v_cmp_lt_u32_e64 s[10:11], v24, v28
	v_cmp_nlt_f16_e64 s[12:13], v30, v31
	s_and_b64 s[10:11], s[10:11], s[12:13]
	s_or_b64 s[8:9], s[8:9], s[10:11]
	v_cndmask_b32_e64 v27, v13, v24, s[8:9]
	v_cndmask_b32_e64 v11, v29, v28, s[8:9]
	v_add_u32_e32 v32, 1, v27
	v_add_u32_e32 v11, -1, v11
	v_min_u32_e32 v11, v32, v11
	v_lshl_add_u32 v5, v11, 1, v5
	ds_read_u16 v5, v5
	v_lshl_add_u32 v11, v12, 2, v4
	v_lshl_add_u32 v12, v27, 2, v4
	ds_read_b32 v11, v11 offset:2048
	ds_read_b32 v12, v12 offset:2048
	s_waitcnt lgkmcnt(2)
	v_cndmask_b32_e64 v27, v5, v30, s[8:9]
	v_cndmask_b32_e64 v5, v31, v5, s[8:9]
	;; [unrolled: 1-line block ×4, first 2 shown]
	v_cmp_lt_u32_e64 s[12:13], v24, v28
	v_cmp_nlt_f16_e64 s[14:15], v27, v5
	v_cmp_ge_u32_e64 s[10:11], v13, v29
	s_and_b64 s[12:13], s[12:13], s[14:15]
	s_or_b64 s[10:11], s[10:11], s[12:13]
	v_cndmask_b32_e64 v13, v13, v24, s[10:11]
	v_lshl_add_u32 v4, v13, 2, v4
	ds_read_b32 v13, v4 offset:2048
	v_cndmask_b32_e64 v24, v3, v2, s[4:5]
	v_cndmask_b32_e64 v2, v25, v26, s[6:7]
	;; [unrolled: 1-line block ×4, first 2 shown]
.LBB2119_158:
	s_or_b64 exec, exec, s[18:19]
	s_cmpk_lt_u32 s22, 0x41
	; wave barrier
	s_waitcnt lgkmcnt(0)
	s_barrier
	s_cbranch_scc1 .LBB2119_171
; %bb.159:
	v_lshlrev_b32_e32 v4, 1, v15
	s_mov_b32 s21, 64
	v_add_u32_e32 v5, v4, v14
	s_mov_b32 s20, 0x5040100
	s_branch .LBB2119_162
.LBB2119_160:                           ;   in Loop: Header=BB2119_162 Depth=1
	s_or_b64 exec, exec, s[10:11]
	s_waitcnt lgkmcnt(0)
	v_cmp_nlt_f16_e64 s[8:9], v3, v2
	s_and_b64 s[4:5], s[4:5], s[8:9]
	s_or_b64 s[4:5], s[6:7], s[4:5]
	v_cndmask_b32_e64 v10, v31, v30, s[4:5]
	v_cndmask_b32_e64 v11, v27, v26, s[4:5]
	v_add_u32_e32 v12, 1, v10
	v_add_u32_e32 v11, -1, v11
	v_min_u32_e32 v11, v12, v11
	v_lshlrev_b32_e32 v11, 1, v11
	ds_read_u16 v11, v11
	v_lshlrev_b32_e32 v10, 2, v10
	ds_read_b32 v10, v10 offset:2048
	v_cndmask_b32_e64 v13, v12, v31, s[4:5]
	v_cmp_ge_u32_e64 s[6:7], v13, v27
	s_waitcnt lgkmcnt(1)
	v_cndmask_b32_e64 v25, v11, v3, s[4:5]
	v_cndmask_b32_e64 v28, v2, v11, s[4:5]
	;; [unrolled: 1-line block ×3, first 2 shown]
	v_cmp_lt_u32_e64 s[8:9], v11, v26
	v_cmp_nlt_f16_e64 s[10:11], v25, v28
	s_and_b64 s[8:9], s[8:9], s[10:11]
	s_or_b64 s[6:7], s[6:7], s[8:9]
	v_cndmask_b32_e64 v12, v13, v11, s[6:7]
	v_cndmask_b32_e64 v24, v27, v26, s[6:7]
	v_add_u32_e32 v29, 1, v12
	v_add_u32_e32 v24, -1, v24
	v_min_u32_e32 v24, v29, v24
	v_lshlrev_b32_e32 v24, 1, v24
	ds_read_u16 v24, v24
	v_cndmask_b32_e64 v13, v29, v13, s[6:7]
	v_cmp_ge_u32_e64 s[8:9], v13, v27
	s_waitcnt lgkmcnt(0)
	v_cndmask_b32_e64 v30, v24, v25, s[6:7]
	v_cndmask_b32_e64 v31, v28, v24, s[6:7]
	;; [unrolled: 1-line block ×3, first 2 shown]
	v_cmp_lt_u32_e64 s[10:11], v24, v26
	v_cmp_nlt_f16_e64 s[12:13], v30, v31
	s_and_b64 s[10:11], s[10:11], s[12:13]
	s_or_b64 s[8:9], s[8:9], s[10:11]
	v_cndmask_b32_e64 v29, v13, v24, s[8:9]
	v_cndmask_b32_e64 v11, v27, v26, s[8:9]
	v_add_u32_e32 v32, 1, v29
	v_add_u32_e32 v11, -1, v11
	v_min_u32_e32 v11, v32, v11
	v_lshlrev_b32_e32 v11, 1, v11
	ds_read_u16 v33, v11
	v_lshlrev_b32_e32 v11, 2, v12
	v_lshlrev_b32_e32 v12, 2, v29
	v_cndmask_b32_e64 v24, v24, v32, s[8:9]
	v_cndmask_b32_e64 v13, v32, v13, s[8:9]
	s_waitcnt lgkmcnt(0)
	v_cndmask_b32_e64 v29, v33, v30, s[8:9]
	v_cndmask_b32_e64 v33, v31, v33, s[8:9]
	v_cmp_lt_u32_e64 s[12:13], v24, v26
	v_cmp_nlt_f16_e64 s[14:15], v29, v33
	v_cmp_ge_u32_e64 s[10:11], v13, v27
	s_and_b64 s[12:13], s[12:13], s[14:15]
	s_or_b64 s[10:11], s[10:11], s[12:13]
	v_cndmask_b32_e64 v13, v13, v24, s[10:11]
	v_lshlrev_b32_e32 v13, 2, v13
	ds_read_b32 v11, v11 offset:2048
	ds_read_b32 v12, v12 offset:2048
	ds_read_b32 v13, v13 offset:2048
	v_cndmask_b32_e64 v24, v3, v2, s[4:5]
	v_cndmask_b32_e64 v2, v25, v28, s[6:7]
	;; [unrolled: 1-line block ×4, first 2 shown]
.LBB2119_161:                           ;   in Loop: Header=BB2119_162 Depth=1
	s_or_b64 exec, exec, s[18:19]
	s_cmp_lt_u32 s21, s22
	s_waitcnt lgkmcnt(0)
	s_barrier
	s_cbranch_scc0 .LBB2119_171
.LBB2119_162:                           ; =>This Loop Header: Depth=1
                                        ;     Child Loop BB2119_164 Depth 2
	s_mov_b32 s4, s21
	s_lshl_b32 s21, s21, 1
	s_sub_i32 s6, 0, s21
	v_perm_b32 v27, v25, v3, s20
	v_perm_b32 v26, v2, v24, s20
	v_and_b32_e32 v30, s6, v15
	ds_write_b64 v4, v[26:27]
	ds_write_b128 v5, v[10:13] offset:2048
	v_add_u32_e32 v26, s4, v30
	v_min_u32_e32 v26, s22, v26
	s_add_i32 s5, s21, -1
	v_add_u32_e32 v27, s4, v26
	v_min_u32_e32 v27, s22, v27
	v_and_b32_e32 v28, s5, v15
	v_min_u32_e32 v31, s22, v28
	v_sub_u32_e32 v32, v26, v30
	v_sub_u32_e32 v29, v27, v26
	v_sub_u32_e64 v29, v31, v29 clamp
	v_min_u32_e32 v32, v31, v32
	v_lshlrev_b32_e32 v28, 1, v30
	v_cmp_lt_u32_e64 s[4:5], v29, v32
	s_waitcnt lgkmcnt(0)
	s_barrier
	s_and_saveexec_b64 s[6:7], s[4:5]
	s_cbranch_execz .LBB2119_166
; %bb.163:                              ;   in Loop: Header=BB2119_162 Depth=1
	v_lshlrev_b32_e32 v33, 1, v31
	v_lshl_add_u32 v33, v26, 1, v33
	s_mov_b64 s[8:9], 0
.LBB2119_164:                           ;   Parent Loop BB2119_162 Depth=1
                                        ; =>  This Inner Loop Header: Depth=2
	v_add_u32_e32 v34, v32, v29
	v_lshrrev_b32_e32 v35, 1, v34
	v_and_b32_e32 v34, -2, v34
	v_not_b32_e32 v36, v35
	v_add_u32_e32 v34, v28, v34
	v_lshl_add_u32 v36, v36, 1, v33
	ds_read_u16 v34, v34
	ds_read_u16 v36, v36
	v_add_u32_e32 v37, 1, v35
	s_waitcnt lgkmcnt(0)
	v_cmp_lt_f16_e64 s[4:5], v36, v34
	v_cndmask_b32_e64 v32, v32, v35, s[4:5]
	v_cndmask_b32_e64 v29, v37, v29, s[4:5]
	v_cmp_ge_u32_e64 s[4:5], v29, v32
	s_or_b64 s[8:9], s[4:5], s[8:9]
	s_andn2_b64 exec, exec, s[8:9]
	s_cbranch_execnz .LBB2119_164
; %bb.165:                              ;   in Loop: Header=BB2119_162 Depth=1
	s_or_b64 exec, exec, s[8:9]
.LBB2119_166:                           ;   in Loop: Header=BB2119_162 Depth=1
	s_or_b64 exec, exec, s[6:7]
	v_sub_u32_e32 v31, v31, v29
	v_add_u32_e32 v30, v29, v30
	v_add_u32_e32 v31, v31, v26
	v_cmp_le_u32_e64 s[4:5], v30, v26
	v_cmp_le_u32_e64 s[6:7], v31, v27
	s_or_b64 s[4:5], s[4:5], s[6:7]
	s_and_saveexec_b64 s[18:19], s[4:5]
	s_cbranch_execz .LBB2119_161
; %bb.167:                              ;   in Loop: Header=BB2119_162 Depth=1
	v_cmp_lt_u32_e64 s[4:5], v30, v26
                                        ; implicit-def: $vgpr2
	s_and_saveexec_b64 s[6:7], s[4:5]
; %bb.168:                              ;   in Loop: Header=BB2119_162 Depth=1
	v_lshl_add_u32 v2, v29, 1, v28
	ds_read_u16 v2, v2
; %bb.169:                              ;   in Loop: Header=BB2119_162 Depth=1
	s_or_b64 exec, exec, s[6:7]
	v_cmp_ge_u32_e64 s[6:7], v31, v27
	v_cmp_lt_u32_e64 s[8:9], v31, v27
                                        ; implicit-def: $vgpr3
	s_and_saveexec_b64 s[10:11], s[8:9]
	s_cbranch_execz .LBB2119_160
; %bb.170:                              ;   in Loop: Header=BB2119_162 Depth=1
	v_lshlrev_b32_e32 v3, 1, v31
	ds_read_u16 v3, v3
	s_branch .LBB2119_160
.LBB2119_171:
	s_mov_b32 s4, 0x5040100
	v_lshl_add_u32 v4, v15, 1, v9
	v_perm_b32 v3, v25, v3, s4
	v_perm_b32 v2, v2, v24, s4
	s_barrier
	ds_write2_b32 v4, v2, v3 offset1:1
	s_waitcnt lgkmcnt(0)
	s_barrier
	ds_read_u16 v9, v1 offset:512
	ds_read_u16 v5, v7 offset:1024
	;; [unrolled: 1-line block ×3, first 2 shown]
	v_mov_b32_e32 v3, s17
	v_add_co_u32_e64 v2, s[4:5], s16, v16
	v_mov_b32_e32 v1, 0
	v_addc_co_u32_e64 v3, s[4:5], 0, v3, s[4:5]
	s_and_saveexec_b64 s[4:5], vcc
	s_cbranch_execnz .LBB2119_189
; %bb.172:
	s_or_b64 exec, exec, s[4:5]
	s_and_saveexec_b64 s[4:5], s[0:1]
	s_cbranch_execnz .LBB2119_190
.LBB2119_173:
	s_or_b64 exec, exec, s[4:5]
	s_and_saveexec_b64 s[4:5], s[2:3]
	s_cbranch_execnz .LBB2119_191
.LBB2119_174:
	s_or_b64 exec, exec, s[4:5]
	s_and_saveexec_b64 s[4:5], s[24:25]
	s_cbranch_execz .LBB2119_176
.LBB2119_175:
	s_waitcnt lgkmcnt(0)
	global_store_short v[2:3], v4, off offset:1536
.LBB2119_176:
	s_or_b64 exec, exec, s[4:5]
	v_mov_b32_e32 v2, 0
	v_mov_b32_e32 v3, v2
	s_waitcnt lgkmcnt(0)
	v_mov_b32_e32 v4, v2
	v_mov_b32_e32 v5, v2
	;; [unrolled: 1-line block ×6, first 2 shown]
	s_waitcnt vmcnt(0)
	s_barrier
	s_and_saveexec_b64 s[6:7], vcc
	s_cbranch_execnz .LBB2119_192
; %bb.177:
	s_or_b64 exec, exec, s[6:7]
	s_and_saveexec_b64 s[6:7], s[0:1]
	s_cbranch_execnz .LBB2119_193
.LBB2119_178:
	s_or_b64 exec, exec, s[6:7]
	s_and_saveexec_b64 s[6:7], s[2:3]
	s_cbranch_execnz .LBB2119_194
.LBB2119_179:
	s_or_b64 exec, exec, s[6:7]
	s_and_saveexec_b64 s[6:7], s[24:25]
	s_cbranch_execz .LBB2119_181
.LBB2119_180:
	v_lshlrev_b32_e32 v8, 3, v20
	v_mov_b32_e32 v9, s28
	v_add_co_u32_e64 v8, s[4:5], s27, v8
	v_addc_co_u32_e64 v9, s[4:5], 0, v9, s[4:5]
	flat_load_dwordx2 v[8:9], v[8:9]
.LBB2119_181:
	s_or_b64 exec, exec, s[6:7]
	v_lshl_add_u32 v16, v23, 3, v14
	ds_write_b64 v16, v[2:3]
	v_lshrrev_b32_e32 v3, 2, v11
	v_lshl_add_u32 v20, v22, 3, v14
	v_and_b32_e32 v3, 0x3ffffff8, v3
	s_waitcnt vmcnt(0) lgkmcnt(0)
	ds_write_b64 v20, v[4:5] offset:2048
	v_lshl_add_u32 v4, v11, 3, v3
	v_lshrrev_b32_e32 v3, 2, v12
	v_lshl_add_u32 v19, v19, 3, v14
	v_and_b32_e32 v3, 0x3ffffff8, v3
	ds_write_b64 v19, v[6:7] offset:4096
	v_lshrrev_b32_e32 v2, 2, v10
	v_lshl_add_u32 v6, v12, 3, v3
	v_lshrrev_b32_e32 v3, 2, v13
	v_lshl_add_u32 v18, v18, 3, v14
	v_and_b32_e32 v2, 0x3ffffff8, v2
	v_and_b32_e32 v3, 0x3ffffff8, v3
	ds_write_b64 v18, v[8:9] offset:6144
	v_lshl_add_u32 v2, v10, 3, v2
	v_lshl_add_u32 v8, v13, 3, v3
	s_waitcnt lgkmcnt(0)
	s_barrier
	ds_read_b64 v[2:3], v2
	ds_read_b64 v[4:5], v4
	;; [unrolled: 1-line block ×4, first 2 shown]
	v_lshlrev_b32_e32 v10, 3, v15
	v_lshl_add_u32 v10, v17, 3, v10
	s_waitcnt lgkmcnt(0)
	s_barrier
	ds_write2_b64 v10, v[2:3], v[4:5] offset1:1
	ds_write2_b64 v10, v[6:7], v[8:9] offset0:2 offset1:3
	s_waitcnt lgkmcnt(0)
	s_barrier
	ds_read_b64 v[8:9], v20 offset:2048
	ds_read_b64 v[2:3], v19 offset:4096
	;; [unrolled: 1-line block ×3, first 2 shown]
	v_mov_b32_e32 v7, s26
	v_add_co_u32_e64 v6, s[4:5], s23, v14
	v_addc_co_u32_e64 v7, s[4:5], 0, v7, s[4:5]
	s_and_saveexec_b64 s[4:5], vcc
	s_cbranch_execnz .LBB2119_195
; %bb.182:
	s_or_b64 exec, exec, s[4:5]
	s_and_saveexec_b64 s[4:5], s[0:1]
	s_cbranch_execnz .LBB2119_196
.LBB2119_183:
	s_or_b64 exec, exec, s[4:5]
	s_and_saveexec_b64 s[0:1], s[2:3]
	s_cbranch_execz .LBB2119_185
.LBB2119_184:
	v_add_co_u32_e32 v6, vcc, 0x1000, v6
	v_addc_co_u32_e32 v7, vcc, 0, v7, vcc
	s_waitcnt lgkmcnt(0)
	flat_store_dwordx2 v[6:7], v[2:3]
.LBB2119_185:
	s_or_b64 exec, exec, s[0:1]
.LBB2119_186:
	s_and_saveexec_b64 s[0:1], s[24:25]
	s_cbranch_execz .LBB2119_188
; %bb.187:
	v_lshlrev_b64 v[0:1], 3, v[0:1]
	s_waitcnt lgkmcnt(0)
	v_mov_b32_e32 v2, s26
	v_add_co_u32_e32 v0, vcc, s23, v0
	v_addc_co_u32_e32 v1, vcc, v2, v1, vcc
	v_add_co_u32_e32 v0, vcc, 0x1000, v0
	v_addc_co_u32_e32 v1, vcc, 0, v1, vcc
	flat_store_dwordx2 v[0:1], v[4:5] offset:2048
.LBB2119_188:
	s_endpgm
.LBB2119_189:
	ds_read_u16 v6, v6
	s_waitcnt lgkmcnt(0)
	global_store_short v[2:3], v6, off
	s_or_b64 exec, exec, s[4:5]
	s_and_saveexec_b64 s[4:5], s[0:1]
	s_cbranch_execz .LBB2119_173
.LBB2119_190:
	s_waitcnt lgkmcnt(2)
	global_store_short v[2:3], v9, off offset:512
	s_or_b64 exec, exec, s[4:5]
	s_and_saveexec_b64 s[4:5], s[2:3]
	s_cbranch_execz .LBB2119_174
.LBB2119_191:
	s_waitcnt lgkmcnt(1)
	global_store_short v[2:3], v5, off offset:1024
	s_or_b64 exec, exec, s[4:5]
	s_and_saveexec_b64 s[4:5], s[24:25]
	s_cbranch_execnz .LBB2119_175
	s_branch .LBB2119_176
.LBB2119_192:
	v_mov_b32_e32 v4, s28
	v_add_co_u32_e64 v3, s[4:5], s27, v14
	v_addc_co_u32_e64 v4, s[4:5], 0, v4, s[4:5]
	flat_load_dwordx2 v[24:25], v[3:4]
	v_mov_b32_e32 v26, v2
	v_mov_b32_e32 v27, v2
	;; [unrolled: 1-line block ×6, first 2 shown]
	s_waitcnt vmcnt(0) lgkmcnt(0)
	v_mov_b32_e32 v2, v24
	v_mov_b32_e32 v3, v25
	;; [unrolled: 1-line block ×8, first 2 shown]
	s_or_b64 exec, exec, s[6:7]
	s_and_saveexec_b64 s[6:7], s[0:1]
	s_cbranch_execz .LBB2119_178
.LBB2119_193:
	v_mov_b32_e32 v5, s28
	v_add_co_u32_e64 v4, s[4:5], s27, v14
	v_addc_co_u32_e64 v5, s[4:5], 0, v5, s[4:5]
	flat_load_dwordx2 v[4:5], v[4:5] offset:2048
	s_or_b64 exec, exec, s[6:7]
	s_and_saveexec_b64 s[6:7], s[2:3]
	s_cbranch_execz .LBB2119_179
.LBB2119_194:
	v_lshlrev_b32_e32 v6, 3, v21
	v_mov_b32_e32 v7, s28
	v_add_co_u32_e64 v6, s[4:5], s27, v6
	v_addc_co_u32_e64 v7, s[4:5], 0, v7, s[4:5]
	flat_load_dwordx2 v[6:7], v[6:7]
	s_or_b64 exec, exec, s[6:7]
	s_and_saveexec_b64 s[6:7], s[24:25]
	s_cbranch_execnz .LBB2119_180
	s_branch .LBB2119_181
.LBB2119_195:
	ds_read_b64 v[10:11], v16
	s_waitcnt lgkmcnt(0)
	flat_store_dwordx2 v[6:7], v[10:11]
	s_or_b64 exec, exec, s[4:5]
	s_and_saveexec_b64 s[4:5], s[0:1]
	s_cbranch_execz .LBB2119_183
.LBB2119_196:
	s_waitcnt lgkmcnt(0)
	flat_store_dwordx2 v[6:7], v[8:9] offset:2048
	s_or_b64 exec, exec, s[4:5]
	s_and_saveexec_b64 s[0:1], s[2:3]
	s_cbranch_execnz .LBB2119_184
	s_branch .LBB2119_185
	.section	.rodata,"a",@progbits
	.p2align	6, 0x0
	.amdhsa_kernel _ZN7rocprim17ROCPRIM_400000_NS6detail17trampoline_kernelINS0_14default_configENS1_37merge_sort_block_sort_config_selectorIN3c104HalfElEEZNS1_21merge_sort_block_sortIS3_PS6_S9_N6thrust23THRUST_200600_302600_NS10device_ptrIlEESD_NSB_4lessIS6_EEEE10hipError_tT0_T1_T2_T3_mRjT4_P12ihipStream_tbNS1_7vsmem_tEEUlT_E_NS1_11comp_targetILNS1_3genE2ELNS1_11target_archE906ELNS1_3gpuE6ELNS1_3repE0EEENS1_30default_config_static_selectorELNS0_4arch9wavefront6targetE1EEEvSI_
		.amdhsa_group_segment_fixed_size 8448
		.amdhsa_private_segment_fixed_size 0
		.amdhsa_kernarg_size 320
		.amdhsa_user_sgpr_count 6
		.amdhsa_user_sgpr_private_segment_buffer 1
		.amdhsa_user_sgpr_dispatch_ptr 0
		.amdhsa_user_sgpr_queue_ptr 0
		.amdhsa_user_sgpr_kernarg_segment_ptr 1
		.amdhsa_user_sgpr_dispatch_id 0
		.amdhsa_user_sgpr_flat_scratch_init 0
		.amdhsa_user_sgpr_private_segment_size 0
		.amdhsa_uses_dynamic_stack 0
		.amdhsa_system_sgpr_private_segment_wavefront_offset 0
		.amdhsa_system_sgpr_workgroup_id_x 1
		.amdhsa_system_sgpr_workgroup_id_y 1
		.amdhsa_system_sgpr_workgroup_id_z 1
		.amdhsa_system_sgpr_workgroup_info 0
		.amdhsa_system_vgpr_workitem_id 2
		.amdhsa_next_free_vgpr 48
		.amdhsa_next_free_sgpr 77
		.amdhsa_reserve_vcc 1
		.amdhsa_reserve_flat_scratch 0
		.amdhsa_float_round_mode_32 0
		.amdhsa_float_round_mode_16_64 0
		.amdhsa_float_denorm_mode_32 3
		.amdhsa_float_denorm_mode_16_64 3
		.amdhsa_dx10_clamp 1
		.amdhsa_ieee_mode 1
		.amdhsa_fp16_overflow 0
		.amdhsa_exception_fp_ieee_invalid_op 0
		.amdhsa_exception_fp_denorm_src 0
		.amdhsa_exception_fp_ieee_div_zero 0
		.amdhsa_exception_fp_ieee_overflow 0
		.amdhsa_exception_fp_ieee_underflow 0
		.amdhsa_exception_fp_ieee_inexact 0
		.amdhsa_exception_int_div_zero 0
	.end_amdhsa_kernel
	.section	.text._ZN7rocprim17ROCPRIM_400000_NS6detail17trampoline_kernelINS0_14default_configENS1_37merge_sort_block_sort_config_selectorIN3c104HalfElEEZNS1_21merge_sort_block_sortIS3_PS6_S9_N6thrust23THRUST_200600_302600_NS10device_ptrIlEESD_NSB_4lessIS6_EEEE10hipError_tT0_T1_T2_T3_mRjT4_P12ihipStream_tbNS1_7vsmem_tEEUlT_E_NS1_11comp_targetILNS1_3genE2ELNS1_11target_archE906ELNS1_3gpuE6ELNS1_3repE0EEENS1_30default_config_static_selectorELNS0_4arch9wavefront6targetE1EEEvSI_,"axG",@progbits,_ZN7rocprim17ROCPRIM_400000_NS6detail17trampoline_kernelINS0_14default_configENS1_37merge_sort_block_sort_config_selectorIN3c104HalfElEEZNS1_21merge_sort_block_sortIS3_PS6_S9_N6thrust23THRUST_200600_302600_NS10device_ptrIlEESD_NSB_4lessIS6_EEEE10hipError_tT0_T1_T2_T3_mRjT4_P12ihipStream_tbNS1_7vsmem_tEEUlT_E_NS1_11comp_targetILNS1_3genE2ELNS1_11target_archE906ELNS1_3gpuE6ELNS1_3repE0EEENS1_30default_config_static_selectorELNS0_4arch9wavefront6targetE1EEEvSI_,comdat
.Lfunc_end2119:
	.size	_ZN7rocprim17ROCPRIM_400000_NS6detail17trampoline_kernelINS0_14default_configENS1_37merge_sort_block_sort_config_selectorIN3c104HalfElEEZNS1_21merge_sort_block_sortIS3_PS6_S9_N6thrust23THRUST_200600_302600_NS10device_ptrIlEESD_NSB_4lessIS6_EEEE10hipError_tT0_T1_T2_T3_mRjT4_P12ihipStream_tbNS1_7vsmem_tEEUlT_E_NS1_11comp_targetILNS1_3genE2ELNS1_11target_archE906ELNS1_3gpuE6ELNS1_3repE0EEENS1_30default_config_static_selectorELNS0_4arch9wavefront6targetE1EEEvSI_, .Lfunc_end2119-_ZN7rocprim17ROCPRIM_400000_NS6detail17trampoline_kernelINS0_14default_configENS1_37merge_sort_block_sort_config_selectorIN3c104HalfElEEZNS1_21merge_sort_block_sortIS3_PS6_S9_N6thrust23THRUST_200600_302600_NS10device_ptrIlEESD_NSB_4lessIS6_EEEE10hipError_tT0_T1_T2_T3_mRjT4_P12ihipStream_tbNS1_7vsmem_tEEUlT_E_NS1_11comp_targetILNS1_3genE2ELNS1_11target_archE906ELNS1_3gpuE6ELNS1_3repE0EEENS1_30default_config_static_selectorELNS0_4arch9wavefront6targetE1EEEvSI_
                                        ; -- End function
	.set _ZN7rocprim17ROCPRIM_400000_NS6detail17trampoline_kernelINS0_14default_configENS1_37merge_sort_block_sort_config_selectorIN3c104HalfElEEZNS1_21merge_sort_block_sortIS3_PS6_S9_N6thrust23THRUST_200600_302600_NS10device_ptrIlEESD_NSB_4lessIS6_EEEE10hipError_tT0_T1_T2_T3_mRjT4_P12ihipStream_tbNS1_7vsmem_tEEUlT_E_NS1_11comp_targetILNS1_3genE2ELNS1_11target_archE906ELNS1_3gpuE6ELNS1_3repE0EEENS1_30default_config_static_selectorELNS0_4arch9wavefront6targetE1EEEvSI_.num_vgpr, 48
	.set _ZN7rocprim17ROCPRIM_400000_NS6detail17trampoline_kernelINS0_14default_configENS1_37merge_sort_block_sort_config_selectorIN3c104HalfElEEZNS1_21merge_sort_block_sortIS3_PS6_S9_N6thrust23THRUST_200600_302600_NS10device_ptrIlEESD_NSB_4lessIS6_EEEE10hipError_tT0_T1_T2_T3_mRjT4_P12ihipStream_tbNS1_7vsmem_tEEUlT_E_NS1_11comp_targetILNS1_3genE2ELNS1_11target_archE906ELNS1_3gpuE6ELNS1_3repE0EEENS1_30default_config_static_selectorELNS0_4arch9wavefront6targetE1EEEvSI_.num_agpr, 0
	.set _ZN7rocprim17ROCPRIM_400000_NS6detail17trampoline_kernelINS0_14default_configENS1_37merge_sort_block_sort_config_selectorIN3c104HalfElEEZNS1_21merge_sort_block_sortIS3_PS6_S9_N6thrust23THRUST_200600_302600_NS10device_ptrIlEESD_NSB_4lessIS6_EEEE10hipError_tT0_T1_T2_T3_mRjT4_P12ihipStream_tbNS1_7vsmem_tEEUlT_E_NS1_11comp_targetILNS1_3genE2ELNS1_11target_archE906ELNS1_3gpuE6ELNS1_3repE0EEENS1_30default_config_static_selectorELNS0_4arch9wavefront6targetE1EEEvSI_.numbered_sgpr, 32
	.set _ZN7rocprim17ROCPRIM_400000_NS6detail17trampoline_kernelINS0_14default_configENS1_37merge_sort_block_sort_config_selectorIN3c104HalfElEEZNS1_21merge_sort_block_sortIS3_PS6_S9_N6thrust23THRUST_200600_302600_NS10device_ptrIlEESD_NSB_4lessIS6_EEEE10hipError_tT0_T1_T2_T3_mRjT4_P12ihipStream_tbNS1_7vsmem_tEEUlT_E_NS1_11comp_targetILNS1_3genE2ELNS1_11target_archE906ELNS1_3gpuE6ELNS1_3repE0EEENS1_30default_config_static_selectorELNS0_4arch9wavefront6targetE1EEEvSI_.num_named_barrier, 0
	.set _ZN7rocprim17ROCPRIM_400000_NS6detail17trampoline_kernelINS0_14default_configENS1_37merge_sort_block_sort_config_selectorIN3c104HalfElEEZNS1_21merge_sort_block_sortIS3_PS6_S9_N6thrust23THRUST_200600_302600_NS10device_ptrIlEESD_NSB_4lessIS6_EEEE10hipError_tT0_T1_T2_T3_mRjT4_P12ihipStream_tbNS1_7vsmem_tEEUlT_E_NS1_11comp_targetILNS1_3genE2ELNS1_11target_archE906ELNS1_3gpuE6ELNS1_3repE0EEENS1_30default_config_static_selectorELNS0_4arch9wavefront6targetE1EEEvSI_.private_seg_size, 0
	.set _ZN7rocprim17ROCPRIM_400000_NS6detail17trampoline_kernelINS0_14default_configENS1_37merge_sort_block_sort_config_selectorIN3c104HalfElEEZNS1_21merge_sort_block_sortIS3_PS6_S9_N6thrust23THRUST_200600_302600_NS10device_ptrIlEESD_NSB_4lessIS6_EEEE10hipError_tT0_T1_T2_T3_mRjT4_P12ihipStream_tbNS1_7vsmem_tEEUlT_E_NS1_11comp_targetILNS1_3genE2ELNS1_11target_archE906ELNS1_3gpuE6ELNS1_3repE0EEENS1_30default_config_static_selectorELNS0_4arch9wavefront6targetE1EEEvSI_.uses_vcc, 1
	.set _ZN7rocprim17ROCPRIM_400000_NS6detail17trampoline_kernelINS0_14default_configENS1_37merge_sort_block_sort_config_selectorIN3c104HalfElEEZNS1_21merge_sort_block_sortIS3_PS6_S9_N6thrust23THRUST_200600_302600_NS10device_ptrIlEESD_NSB_4lessIS6_EEEE10hipError_tT0_T1_T2_T3_mRjT4_P12ihipStream_tbNS1_7vsmem_tEEUlT_E_NS1_11comp_targetILNS1_3genE2ELNS1_11target_archE906ELNS1_3gpuE6ELNS1_3repE0EEENS1_30default_config_static_selectorELNS0_4arch9wavefront6targetE1EEEvSI_.uses_flat_scratch, 0
	.set _ZN7rocprim17ROCPRIM_400000_NS6detail17trampoline_kernelINS0_14default_configENS1_37merge_sort_block_sort_config_selectorIN3c104HalfElEEZNS1_21merge_sort_block_sortIS3_PS6_S9_N6thrust23THRUST_200600_302600_NS10device_ptrIlEESD_NSB_4lessIS6_EEEE10hipError_tT0_T1_T2_T3_mRjT4_P12ihipStream_tbNS1_7vsmem_tEEUlT_E_NS1_11comp_targetILNS1_3genE2ELNS1_11target_archE906ELNS1_3gpuE6ELNS1_3repE0EEENS1_30default_config_static_selectorELNS0_4arch9wavefront6targetE1EEEvSI_.has_dyn_sized_stack, 0
	.set _ZN7rocprim17ROCPRIM_400000_NS6detail17trampoline_kernelINS0_14default_configENS1_37merge_sort_block_sort_config_selectorIN3c104HalfElEEZNS1_21merge_sort_block_sortIS3_PS6_S9_N6thrust23THRUST_200600_302600_NS10device_ptrIlEESD_NSB_4lessIS6_EEEE10hipError_tT0_T1_T2_T3_mRjT4_P12ihipStream_tbNS1_7vsmem_tEEUlT_E_NS1_11comp_targetILNS1_3genE2ELNS1_11target_archE906ELNS1_3gpuE6ELNS1_3repE0EEENS1_30default_config_static_selectorELNS0_4arch9wavefront6targetE1EEEvSI_.has_recursion, 0
	.set _ZN7rocprim17ROCPRIM_400000_NS6detail17trampoline_kernelINS0_14default_configENS1_37merge_sort_block_sort_config_selectorIN3c104HalfElEEZNS1_21merge_sort_block_sortIS3_PS6_S9_N6thrust23THRUST_200600_302600_NS10device_ptrIlEESD_NSB_4lessIS6_EEEE10hipError_tT0_T1_T2_T3_mRjT4_P12ihipStream_tbNS1_7vsmem_tEEUlT_E_NS1_11comp_targetILNS1_3genE2ELNS1_11target_archE906ELNS1_3gpuE6ELNS1_3repE0EEENS1_30default_config_static_selectorELNS0_4arch9wavefront6targetE1EEEvSI_.has_indirect_call, 0
	.section	.AMDGPU.csdata,"",@progbits
; Kernel info:
; codeLenInByte = 13284
; TotalNumSgprs: 36
; NumVgprs: 48
; ScratchSize: 0
; MemoryBound: 0
; FloatMode: 240
; IeeeMode: 1
; LDSByteSize: 8448 bytes/workgroup (compile time only)
; SGPRBlocks: 10
; VGPRBlocks: 11
; NumSGPRsForWavesPerEU: 81
; NumVGPRsForWavesPerEU: 48
; Occupancy: 5
; WaveLimiterHint : 1
; COMPUTE_PGM_RSRC2:SCRATCH_EN: 0
; COMPUTE_PGM_RSRC2:USER_SGPR: 6
; COMPUTE_PGM_RSRC2:TRAP_HANDLER: 0
; COMPUTE_PGM_RSRC2:TGID_X_EN: 1
; COMPUTE_PGM_RSRC2:TGID_Y_EN: 1
; COMPUTE_PGM_RSRC2:TGID_Z_EN: 1
; COMPUTE_PGM_RSRC2:TIDIG_COMP_CNT: 2
	.section	.text._ZN7rocprim17ROCPRIM_400000_NS6detail17trampoline_kernelINS0_14default_configENS1_37merge_sort_block_sort_config_selectorIN3c104HalfElEEZNS1_21merge_sort_block_sortIS3_PS6_S9_N6thrust23THRUST_200600_302600_NS10device_ptrIlEESD_NSB_4lessIS6_EEEE10hipError_tT0_T1_T2_T3_mRjT4_P12ihipStream_tbNS1_7vsmem_tEEUlT_E_NS1_11comp_targetILNS1_3genE10ELNS1_11target_archE1201ELNS1_3gpuE5ELNS1_3repE0EEENS1_30default_config_static_selectorELNS0_4arch9wavefront6targetE1EEEvSI_,"axG",@progbits,_ZN7rocprim17ROCPRIM_400000_NS6detail17trampoline_kernelINS0_14default_configENS1_37merge_sort_block_sort_config_selectorIN3c104HalfElEEZNS1_21merge_sort_block_sortIS3_PS6_S9_N6thrust23THRUST_200600_302600_NS10device_ptrIlEESD_NSB_4lessIS6_EEEE10hipError_tT0_T1_T2_T3_mRjT4_P12ihipStream_tbNS1_7vsmem_tEEUlT_E_NS1_11comp_targetILNS1_3genE10ELNS1_11target_archE1201ELNS1_3gpuE5ELNS1_3repE0EEENS1_30default_config_static_selectorELNS0_4arch9wavefront6targetE1EEEvSI_,comdat
	.protected	_ZN7rocprim17ROCPRIM_400000_NS6detail17trampoline_kernelINS0_14default_configENS1_37merge_sort_block_sort_config_selectorIN3c104HalfElEEZNS1_21merge_sort_block_sortIS3_PS6_S9_N6thrust23THRUST_200600_302600_NS10device_ptrIlEESD_NSB_4lessIS6_EEEE10hipError_tT0_T1_T2_T3_mRjT4_P12ihipStream_tbNS1_7vsmem_tEEUlT_E_NS1_11comp_targetILNS1_3genE10ELNS1_11target_archE1201ELNS1_3gpuE5ELNS1_3repE0EEENS1_30default_config_static_selectorELNS0_4arch9wavefront6targetE1EEEvSI_ ; -- Begin function _ZN7rocprim17ROCPRIM_400000_NS6detail17trampoline_kernelINS0_14default_configENS1_37merge_sort_block_sort_config_selectorIN3c104HalfElEEZNS1_21merge_sort_block_sortIS3_PS6_S9_N6thrust23THRUST_200600_302600_NS10device_ptrIlEESD_NSB_4lessIS6_EEEE10hipError_tT0_T1_T2_T3_mRjT4_P12ihipStream_tbNS1_7vsmem_tEEUlT_E_NS1_11comp_targetILNS1_3genE10ELNS1_11target_archE1201ELNS1_3gpuE5ELNS1_3repE0EEENS1_30default_config_static_selectorELNS0_4arch9wavefront6targetE1EEEvSI_
	.globl	_ZN7rocprim17ROCPRIM_400000_NS6detail17trampoline_kernelINS0_14default_configENS1_37merge_sort_block_sort_config_selectorIN3c104HalfElEEZNS1_21merge_sort_block_sortIS3_PS6_S9_N6thrust23THRUST_200600_302600_NS10device_ptrIlEESD_NSB_4lessIS6_EEEE10hipError_tT0_T1_T2_T3_mRjT4_P12ihipStream_tbNS1_7vsmem_tEEUlT_E_NS1_11comp_targetILNS1_3genE10ELNS1_11target_archE1201ELNS1_3gpuE5ELNS1_3repE0EEENS1_30default_config_static_selectorELNS0_4arch9wavefront6targetE1EEEvSI_
	.p2align	8
	.type	_ZN7rocprim17ROCPRIM_400000_NS6detail17trampoline_kernelINS0_14default_configENS1_37merge_sort_block_sort_config_selectorIN3c104HalfElEEZNS1_21merge_sort_block_sortIS3_PS6_S9_N6thrust23THRUST_200600_302600_NS10device_ptrIlEESD_NSB_4lessIS6_EEEE10hipError_tT0_T1_T2_T3_mRjT4_P12ihipStream_tbNS1_7vsmem_tEEUlT_E_NS1_11comp_targetILNS1_3genE10ELNS1_11target_archE1201ELNS1_3gpuE5ELNS1_3repE0EEENS1_30default_config_static_selectorELNS0_4arch9wavefront6targetE1EEEvSI_,@function
_ZN7rocprim17ROCPRIM_400000_NS6detail17trampoline_kernelINS0_14default_configENS1_37merge_sort_block_sort_config_selectorIN3c104HalfElEEZNS1_21merge_sort_block_sortIS3_PS6_S9_N6thrust23THRUST_200600_302600_NS10device_ptrIlEESD_NSB_4lessIS6_EEEE10hipError_tT0_T1_T2_T3_mRjT4_P12ihipStream_tbNS1_7vsmem_tEEUlT_E_NS1_11comp_targetILNS1_3genE10ELNS1_11target_archE1201ELNS1_3gpuE5ELNS1_3repE0EEENS1_30default_config_static_selectorELNS0_4arch9wavefront6targetE1EEEvSI_: ; @_ZN7rocprim17ROCPRIM_400000_NS6detail17trampoline_kernelINS0_14default_configENS1_37merge_sort_block_sort_config_selectorIN3c104HalfElEEZNS1_21merge_sort_block_sortIS3_PS6_S9_N6thrust23THRUST_200600_302600_NS10device_ptrIlEESD_NSB_4lessIS6_EEEE10hipError_tT0_T1_T2_T3_mRjT4_P12ihipStream_tbNS1_7vsmem_tEEUlT_E_NS1_11comp_targetILNS1_3genE10ELNS1_11target_archE1201ELNS1_3gpuE5ELNS1_3repE0EEENS1_30default_config_static_selectorELNS0_4arch9wavefront6targetE1EEEvSI_
; %bb.0:
	.section	.rodata,"a",@progbits
	.p2align	6, 0x0
	.amdhsa_kernel _ZN7rocprim17ROCPRIM_400000_NS6detail17trampoline_kernelINS0_14default_configENS1_37merge_sort_block_sort_config_selectorIN3c104HalfElEEZNS1_21merge_sort_block_sortIS3_PS6_S9_N6thrust23THRUST_200600_302600_NS10device_ptrIlEESD_NSB_4lessIS6_EEEE10hipError_tT0_T1_T2_T3_mRjT4_P12ihipStream_tbNS1_7vsmem_tEEUlT_E_NS1_11comp_targetILNS1_3genE10ELNS1_11target_archE1201ELNS1_3gpuE5ELNS1_3repE0EEENS1_30default_config_static_selectorELNS0_4arch9wavefront6targetE1EEEvSI_
		.amdhsa_group_segment_fixed_size 0
		.amdhsa_private_segment_fixed_size 0
		.amdhsa_kernarg_size 64
		.amdhsa_user_sgpr_count 6
		.amdhsa_user_sgpr_private_segment_buffer 1
		.amdhsa_user_sgpr_dispatch_ptr 0
		.amdhsa_user_sgpr_queue_ptr 0
		.amdhsa_user_sgpr_kernarg_segment_ptr 1
		.amdhsa_user_sgpr_dispatch_id 0
		.amdhsa_user_sgpr_flat_scratch_init 0
		.amdhsa_user_sgpr_private_segment_size 0
		.amdhsa_uses_dynamic_stack 0
		.amdhsa_system_sgpr_private_segment_wavefront_offset 0
		.amdhsa_system_sgpr_workgroup_id_x 1
		.amdhsa_system_sgpr_workgroup_id_y 0
		.amdhsa_system_sgpr_workgroup_id_z 0
		.amdhsa_system_sgpr_workgroup_info 0
		.amdhsa_system_vgpr_workitem_id 0
		.amdhsa_next_free_vgpr 1
		.amdhsa_next_free_sgpr 0
		.amdhsa_reserve_vcc 0
		.amdhsa_reserve_flat_scratch 0
		.amdhsa_float_round_mode_32 0
		.amdhsa_float_round_mode_16_64 0
		.amdhsa_float_denorm_mode_32 3
		.amdhsa_float_denorm_mode_16_64 3
		.amdhsa_dx10_clamp 1
		.amdhsa_ieee_mode 1
		.amdhsa_fp16_overflow 0
		.amdhsa_exception_fp_ieee_invalid_op 0
		.amdhsa_exception_fp_denorm_src 0
		.amdhsa_exception_fp_ieee_div_zero 0
		.amdhsa_exception_fp_ieee_overflow 0
		.amdhsa_exception_fp_ieee_underflow 0
		.amdhsa_exception_fp_ieee_inexact 0
		.amdhsa_exception_int_div_zero 0
	.end_amdhsa_kernel
	.section	.text._ZN7rocprim17ROCPRIM_400000_NS6detail17trampoline_kernelINS0_14default_configENS1_37merge_sort_block_sort_config_selectorIN3c104HalfElEEZNS1_21merge_sort_block_sortIS3_PS6_S9_N6thrust23THRUST_200600_302600_NS10device_ptrIlEESD_NSB_4lessIS6_EEEE10hipError_tT0_T1_T2_T3_mRjT4_P12ihipStream_tbNS1_7vsmem_tEEUlT_E_NS1_11comp_targetILNS1_3genE10ELNS1_11target_archE1201ELNS1_3gpuE5ELNS1_3repE0EEENS1_30default_config_static_selectorELNS0_4arch9wavefront6targetE1EEEvSI_,"axG",@progbits,_ZN7rocprim17ROCPRIM_400000_NS6detail17trampoline_kernelINS0_14default_configENS1_37merge_sort_block_sort_config_selectorIN3c104HalfElEEZNS1_21merge_sort_block_sortIS3_PS6_S9_N6thrust23THRUST_200600_302600_NS10device_ptrIlEESD_NSB_4lessIS6_EEEE10hipError_tT0_T1_T2_T3_mRjT4_P12ihipStream_tbNS1_7vsmem_tEEUlT_E_NS1_11comp_targetILNS1_3genE10ELNS1_11target_archE1201ELNS1_3gpuE5ELNS1_3repE0EEENS1_30default_config_static_selectorELNS0_4arch9wavefront6targetE1EEEvSI_,comdat
.Lfunc_end2120:
	.size	_ZN7rocprim17ROCPRIM_400000_NS6detail17trampoline_kernelINS0_14default_configENS1_37merge_sort_block_sort_config_selectorIN3c104HalfElEEZNS1_21merge_sort_block_sortIS3_PS6_S9_N6thrust23THRUST_200600_302600_NS10device_ptrIlEESD_NSB_4lessIS6_EEEE10hipError_tT0_T1_T2_T3_mRjT4_P12ihipStream_tbNS1_7vsmem_tEEUlT_E_NS1_11comp_targetILNS1_3genE10ELNS1_11target_archE1201ELNS1_3gpuE5ELNS1_3repE0EEENS1_30default_config_static_selectorELNS0_4arch9wavefront6targetE1EEEvSI_, .Lfunc_end2120-_ZN7rocprim17ROCPRIM_400000_NS6detail17trampoline_kernelINS0_14default_configENS1_37merge_sort_block_sort_config_selectorIN3c104HalfElEEZNS1_21merge_sort_block_sortIS3_PS6_S9_N6thrust23THRUST_200600_302600_NS10device_ptrIlEESD_NSB_4lessIS6_EEEE10hipError_tT0_T1_T2_T3_mRjT4_P12ihipStream_tbNS1_7vsmem_tEEUlT_E_NS1_11comp_targetILNS1_3genE10ELNS1_11target_archE1201ELNS1_3gpuE5ELNS1_3repE0EEENS1_30default_config_static_selectorELNS0_4arch9wavefront6targetE1EEEvSI_
                                        ; -- End function
	.set _ZN7rocprim17ROCPRIM_400000_NS6detail17trampoline_kernelINS0_14default_configENS1_37merge_sort_block_sort_config_selectorIN3c104HalfElEEZNS1_21merge_sort_block_sortIS3_PS6_S9_N6thrust23THRUST_200600_302600_NS10device_ptrIlEESD_NSB_4lessIS6_EEEE10hipError_tT0_T1_T2_T3_mRjT4_P12ihipStream_tbNS1_7vsmem_tEEUlT_E_NS1_11comp_targetILNS1_3genE10ELNS1_11target_archE1201ELNS1_3gpuE5ELNS1_3repE0EEENS1_30default_config_static_selectorELNS0_4arch9wavefront6targetE1EEEvSI_.num_vgpr, 0
	.set _ZN7rocprim17ROCPRIM_400000_NS6detail17trampoline_kernelINS0_14default_configENS1_37merge_sort_block_sort_config_selectorIN3c104HalfElEEZNS1_21merge_sort_block_sortIS3_PS6_S9_N6thrust23THRUST_200600_302600_NS10device_ptrIlEESD_NSB_4lessIS6_EEEE10hipError_tT0_T1_T2_T3_mRjT4_P12ihipStream_tbNS1_7vsmem_tEEUlT_E_NS1_11comp_targetILNS1_3genE10ELNS1_11target_archE1201ELNS1_3gpuE5ELNS1_3repE0EEENS1_30default_config_static_selectorELNS0_4arch9wavefront6targetE1EEEvSI_.num_agpr, 0
	.set _ZN7rocprim17ROCPRIM_400000_NS6detail17trampoline_kernelINS0_14default_configENS1_37merge_sort_block_sort_config_selectorIN3c104HalfElEEZNS1_21merge_sort_block_sortIS3_PS6_S9_N6thrust23THRUST_200600_302600_NS10device_ptrIlEESD_NSB_4lessIS6_EEEE10hipError_tT0_T1_T2_T3_mRjT4_P12ihipStream_tbNS1_7vsmem_tEEUlT_E_NS1_11comp_targetILNS1_3genE10ELNS1_11target_archE1201ELNS1_3gpuE5ELNS1_3repE0EEENS1_30default_config_static_selectorELNS0_4arch9wavefront6targetE1EEEvSI_.numbered_sgpr, 0
	.set _ZN7rocprim17ROCPRIM_400000_NS6detail17trampoline_kernelINS0_14default_configENS1_37merge_sort_block_sort_config_selectorIN3c104HalfElEEZNS1_21merge_sort_block_sortIS3_PS6_S9_N6thrust23THRUST_200600_302600_NS10device_ptrIlEESD_NSB_4lessIS6_EEEE10hipError_tT0_T1_T2_T3_mRjT4_P12ihipStream_tbNS1_7vsmem_tEEUlT_E_NS1_11comp_targetILNS1_3genE10ELNS1_11target_archE1201ELNS1_3gpuE5ELNS1_3repE0EEENS1_30default_config_static_selectorELNS0_4arch9wavefront6targetE1EEEvSI_.num_named_barrier, 0
	.set _ZN7rocprim17ROCPRIM_400000_NS6detail17trampoline_kernelINS0_14default_configENS1_37merge_sort_block_sort_config_selectorIN3c104HalfElEEZNS1_21merge_sort_block_sortIS3_PS6_S9_N6thrust23THRUST_200600_302600_NS10device_ptrIlEESD_NSB_4lessIS6_EEEE10hipError_tT0_T1_T2_T3_mRjT4_P12ihipStream_tbNS1_7vsmem_tEEUlT_E_NS1_11comp_targetILNS1_3genE10ELNS1_11target_archE1201ELNS1_3gpuE5ELNS1_3repE0EEENS1_30default_config_static_selectorELNS0_4arch9wavefront6targetE1EEEvSI_.private_seg_size, 0
	.set _ZN7rocprim17ROCPRIM_400000_NS6detail17trampoline_kernelINS0_14default_configENS1_37merge_sort_block_sort_config_selectorIN3c104HalfElEEZNS1_21merge_sort_block_sortIS3_PS6_S9_N6thrust23THRUST_200600_302600_NS10device_ptrIlEESD_NSB_4lessIS6_EEEE10hipError_tT0_T1_T2_T3_mRjT4_P12ihipStream_tbNS1_7vsmem_tEEUlT_E_NS1_11comp_targetILNS1_3genE10ELNS1_11target_archE1201ELNS1_3gpuE5ELNS1_3repE0EEENS1_30default_config_static_selectorELNS0_4arch9wavefront6targetE1EEEvSI_.uses_vcc, 0
	.set _ZN7rocprim17ROCPRIM_400000_NS6detail17trampoline_kernelINS0_14default_configENS1_37merge_sort_block_sort_config_selectorIN3c104HalfElEEZNS1_21merge_sort_block_sortIS3_PS6_S9_N6thrust23THRUST_200600_302600_NS10device_ptrIlEESD_NSB_4lessIS6_EEEE10hipError_tT0_T1_T2_T3_mRjT4_P12ihipStream_tbNS1_7vsmem_tEEUlT_E_NS1_11comp_targetILNS1_3genE10ELNS1_11target_archE1201ELNS1_3gpuE5ELNS1_3repE0EEENS1_30default_config_static_selectorELNS0_4arch9wavefront6targetE1EEEvSI_.uses_flat_scratch, 0
	.set _ZN7rocprim17ROCPRIM_400000_NS6detail17trampoline_kernelINS0_14default_configENS1_37merge_sort_block_sort_config_selectorIN3c104HalfElEEZNS1_21merge_sort_block_sortIS3_PS6_S9_N6thrust23THRUST_200600_302600_NS10device_ptrIlEESD_NSB_4lessIS6_EEEE10hipError_tT0_T1_T2_T3_mRjT4_P12ihipStream_tbNS1_7vsmem_tEEUlT_E_NS1_11comp_targetILNS1_3genE10ELNS1_11target_archE1201ELNS1_3gpuE5ELNS1_3repE0EEENS1_30default_config_static_selectorELNS0_4arch9wavefront6targetE1EEEvSI_.has_dyn_sized_stack, 0
	.set _ZN7rocprim17ROCPRIM_400000_NS6detail17trampoline_kernelINS0_14default_configENS1_37merge_sort_block_sort_config_selectorIN3c104HalfElEEZNS1_21merge_sort_block_sortIS3_PS6_S9_N6thrust23THRUST_200600_302600_NS10device_ptrIlEESD_NSB_4lessIS6_EEEE10hipError_tT0_T1_T2_T3_mRjT4_P12ihipStream_tbNS1_7vsmem_tEEUlT_E_NS1_11comp_targetILNS1_3genE10ELNS1_11target_archE1201ELNS1_3gpuE5ELNS1_3repE0EEENS1_30default_config_static_selectorELNS0_4arch9wavefront6targetE1EEEvSI_.has_recursion, 0
	.set _ZN7rocprim17ROCPRIM_400000_NS6detail17trampoline_kernelINS0_14default_configENS1_37merge_sort_block_sort_config_selectorIN3c104HalfElEEZNS1_21merge_sort_block_sortIS3_PS6_S9_N6thrust23THRUST_200600_302600_NS10device_ptrIlEESD_NSB_4lessIS6_EEEE10hipError_tT0_T1_T2_T3_mRjT4_P12ihipStream_tbNS1_7vsmem_tEEUlT_E_NS1_11comp_targetILNS1_3genE10ELNS1_11target_archE1201ELNS1_3gpuE5ELNS1_3repE0EEENS1_30default_config_static_selectorELNS0_4arch9wavefront6targetE1EEEvSI_.has_indirect_call, 0
	.section	.AMDGPU.csdata,"",@progbits
; Kernel info:
; codeLenInByte = 0
; TotalNumSgprs: 4
; NumVgprs: 0
; ScratchSize: 0
; MemoryBound: 0
; FloatMode: 240
; IeeeMode: 1
; LDSByteSize: 0 bytes/workgroup (compile time only)
; SGPRBlocks: 0
; VGPRBlocks: 0
; NumSGPRsForWavesPerEU: 4
; NumVGPRsForWavesPerEU: 1
; Occupancy: 10
; WaveLimiterHint : 0
; COMPUTE_PGM_RSRC2:SCRATCH_EN: 0
; COMPUTE_PGM_RSRC2:USER_SGPR: 6
; COMPUTE_PGM_RSRC2:TRAP_HANDLER: 0
; COMPUTE_PGM_RSRC2:TGID_X_EN: 1
; COMPUTE_PGM_RSRC2:TGID_Y_EN: 0
; COMPUTE_PGM_RSRC2:TGID_Z_EN: 0
; COMPUTE_PGM_RSRC2:TIDIG_COMP_CNT: 0
	.section	.text._ZN7rocprim17ROCPRIM_400000_NS6detail17trampoline_kernelINS0_14default_configENS1_37merge_sort_block_sort_config_selectorIN3c104HalfElEEZNS1_21merge_sort_block_sortIS3_PS6_S9_N6thrust23THRUST_200600_302600_NS10device_ptrIlEESD_NSB_4lessIS6_EEEE10hipError_tT0_T1_T2_T3_mRjT4_P12ihipStream_tbNS1_7vsmem_tEEUlT_E_NS1_11comp_targetILNS1_3genE10ELNS1_11target_archE1200ELNS1_3gpuE4ELNS1_3repE0EEENS1_30default_config_static_selectorELNS0_4arch9wavefront6targetE1EEEvSI_,"axG",@progbits,_ZN7rocprim17ROCPRIM_400000_NS6detail17trampoline_kernelINS0_14default_configENS1_37merge_sort_block_sort_config_selectorIN3c104HalfElEEZNS1_21merge_sort_block_sortIS3_PS6_S9_N6thrust23THRUST_200600_302600_NS10device_ptrIlEESD_NSB_4lessIS6_EEEE10hipError_tT0_T1_T2_T3_mRjT4_P12ihipStream_tbNS1_7vsmem_tEEUlT_E_NS1_11comp_targetILNS1_3genE10ELNS1_11target_archE1200ELNS1_3gpuE4ELNS1_3repE0EEENS1_30default_config_static_selectorELNS0_4arch9wavefront6targetE1EEEvSI_,comdat
	.protected	_ZN7rocprim17ROCPRIM_400000_NS6detail17trampoline_kernelINS0_14default_configENS1_37merge_sort_block_sort_config_selectorIN3c104HalfElEEZNS1_21merge_sort_block_sortIS3_PS6_S9_N6thrust23THRUST_200600_302600_NS10device_ptrIlEESD_NSB_4lessIS6_EEEE10hipError_tT0_T1_T2_T3_mRjT4_P12ihipStream_tbNS1_7vsmem_tEEUlT_E_NS1_11comp_targetILNS1_3genE10ELNS1_11target_archE1200ELNS1_3gpuE4ELNS1_3repE0EEENS1_30default_config_static_selectorELNS0_4arch9wavefront6targetE1EEEvSI_ ; -- Begin function _ZN7rocprim17ROCPRIM_400000_NS6detail17trampoline_kernelINS0_14default_configENS1_37merge_sort_block_sort_config_selectorIN3c104HalfElEEZNS1_21merge_sort_block_sortIS3_PS6_S9_N6thrust23THRUST_200600_302600_NS10device_ptrIlEESD_NSB_4lessIS6_EEEE10hipError_tT0_T1_T2_T3_mRjT4_P12ihipStream_tbNS1_7vsmem_tEEUlT_E_NS1_11comp_targetILNS1_3genE10ELNS1_11target_archE1200ELNS1_3gpuE4ELNS1_3repE0EEENS1_30default_config_static_selectorELNS0_4arch9wavefront6targetE1EEEvSI_
	.globl	_ZN7rocprim17ROCPRIM_400000_NS6detail17trampoline_kernelINS0_14default_configENS1_37merge_sort_block_sort_config_selectorIN3c104HalfElEEZNS1_21merge_sort_block_sortIS3_PS6_S9_N6thrust23THRUST_200600_302600_NS10device_ptrIlEESD_NSB_4lessIS6_EEEE10hipError_tT0_T1_T2_T3_mRjT4_P12ihipStream_tbNS1_7vsmem_tEEUlT_E_NS1_11comp_targetILNS1_3genE10ELNS1_11target_archE1200ELNS1_3gpuE4ELNS1_3repE0EEENS1_30default_config_static_selectorELNS0_4arch9wavefront6targetE1EEEvSI_
	.p2align	8
	.type	_ZN7rocprim17ROCPRIM_400000_NS6detail17trampoline_kernelINS0_14default_configENS1_37merge_sort_block_sort_config_selectorIN3c104HalfElEEZNS1_21merge_sort_block_sortIS3_PS6_S9_N6thrust23THRUST_200600_302600_NS10device_ptrIlEESD_NSB_4lessIS6_EEEE10hipError_tT0_T1_T2_T3_mRjT4_P12ihipStream_tbNS1_7vsmem_tEEUlT_E_NS1_11comp_targetILNS1_3genE10ELNS1_11target_archE1200ELNS1_3gpuE4ELNS1_3repE0EEENS1_30default_config_static_selectorELNS0_4arch9wavefront6targetE1EEEvSI_,@function
_ZN7rocprim17ROCPRIM_400000_NS6detail17trampoline_kernelINS0_14default_configENS1_37merge_sort_block_sort_config_selectorIN3c104HalfElEEZNS1_21merge_sort_block_sortIS3_PS6_S9_N6thrust23THRUST_200600_302600_NS10device_ptrIlEESD_NSB_4lessIS6_EEEE10hipError_tT0_T1_T2_T3_mRjT4_P12ihipStream_tbNS1_7vsmem_tEEUlT_E_NS1_11comp_targetILNS1_3genE10ELNS1_11target_archE1200ELNS1_3gpuE4ELNS1_3repE0EEENS1_30default_config_static_selectorELNS0_4arch9wavefront6targetE1EEEvSI_: ; @_ZN7rocprim17ROCPRIM_400000_NS6detail17trampoline_kernelINS0_14default_configENS1_37merge_sort_block_sort_config_selectorIN3c104HalfElEEZNS1_21merge_sort_block_sortIS3_PS6_S9_N6thrust23THRUST_200600_302600_NS10device_ptrIlEESD_NSB_4lessIS6_EEEE10hipError_tT0_T1_T2_T3_mRjT4_P12ihipStream_tbNS1_7vsmem_tEEUlT_E_NS1_11comp_targetILNS1_3genE10ELNS1_11target_archE1200ELNS1_3gpuE4ELNS1_3repE0EEENS1_30default_config_static_selectorELNS0_4arch9wavefront6targetE1EEEvSI_
; %bb.0:
	.section	.rodata,"a",@progbits
	.p2align	6, 0x0
	.amdhsa_kernel _ZN7rocprim17ROCPRIM_400000_NS6detail17trampoline_kernelINS0_14default_configENS1_37merge_sort_block_sort_config_selectorIN3c104HalfElEEZNS1_21merge_sort_block_sortIS3_PS6_S9_N6thrust23THRUST_200600_302600_NS10device_ptrIlEESD_NSB_4lessIS6_EEEE10hipError_tT0_T1_T2_T3_mRjT4_P12ihipStream_tbNS1_7vsmem_tEEUlT_E_NS1_11comp_targetILNS1_3genE10ELNS1_11target_archE1200ELNS1_3gpuE4ELNS1_3repE0EEENS1_30default_config_static_selectorELNS0_4arch9wavefront6targetE1EEEvSI_
		.amdhsa_group_segment_fixed_size 0
		.amdhsa_private_segment_fixed_size 0
		.amdhsa_kernarg_size 64
		.amdhsa_user_sgpr_count 6
		.amdhsa_user_sgpr_private_segment_buffer 1
		.amdhsa_user_sgpr_dispatch_ptr 0
		.amdhsa_user_sgpr_queue_ptr 0
		.amdhsa_user_sgpr_kernarg_segment_ptr 1
		.amdhsa_user_sgpr_dispatch_id 0
		.amdhsa_user_sgpr_flat_scratch_init 0
		.amdhsa_user_sgpr_private_segment_size 0
		.amdhsa_uses_dynamic_stack 0
		.amdhsa_system_sgpr_private_segment_wavefront_offset 0
		.amdhsa_system_sgpr_workgroup_id_x 1
		.amdhsa_system_sgpr_workgroup_id_y 0
		.amdhsa_system_sgpr_workgroup_id_z 0
		.amdhsa_system_sgpr_workgroup_info 0
		.amdhsa_system_vgpr_workitem_id 0
		.amdhsa_next_free_vgpr 1
		.amdhsa_next_free_sgpr 0
		.amdhsa_reserve_vcc 0
		.amdhsa_reserve_flat_scratch 0
		.amdhsa_float_round_mode_32 0
		.amdhsa_float_round_mode_16_64 0
		.amdhsa_float_denorm_mode_32 3
		.amdhsa_float_denorm_mode_16_64 3
		.amdhsa_dx10_clamp 1
		.amdhsa_ieee_mode 1
		.amdhsa_fp16_overflow 0
		.amdhsa_exception_fp_ieee_invalid_op 0
		.amdhsa_exception_fp_denorm_src 0
		.amdhsa_exception_fp_ieee_div_zero 0
		.amdhsa_exception_fp_ieee_overflow 0
		.amdhsa_exception_fp_ieee_underflow 0
		.amdhsa_exception_fp_ieee_inexact 0
		.amdhsa_exception_int_div_zero 0
	.end_amdhsa_kernel
	.section	.text._ZN7rocprim17ROCPRIM_400000_NS6detail17trampoline_kernelINS0_14default_configENS1_37merge_sort_block_sort_config_selectorIN3c104HalfElEEZNS1_21merge_sort_block_sortIS3_PS6_S9_N6thrust23THRUST_200600_302600_NS10device_ptrIlEESD_NSB_4lessIS6_EEEE10hipError_tT0_T1_T2_T3_mRjT4_P12ihipStream_tbNS1_7vsmem_tEEUlT_E_NS1_11comp_targetILNS1_3genE10ELNS1_11target_archE1200ELNS1_3gpuE4ELNS1_3repE0EEENS1_30default_config_static_selectorELNS0_4arch9wavefront6targetE1EEEvSI_,"axG",@progbits,_ZN7rocprim17ROCPRIM_400000_NS6detail17trampoline_kernelINS0_14default_configENS1_37merge_sort_block_sort_config_selectorIN3c104HalfElEEZNS1_21merge_sort_block_sortIS3_PS6_S9_N6thrust23THRUST_200600_302600_NS10device_ptrIlEESD_NSB_4lessIS6_EEEE10hipError_tT0_T1_T2_T3_mRjT4_P12ihipStream_tbNS1_7vsmem_tEEUlT_E_NS1_11comp_targetILNS1_3genE10ELNS1_11target_archE1200ELNS1_3gpuE4ELNS1_3repE0EEENS1_30default_config_static_selectorELNS0_4arch9wavefront6targetE1EEEvSI_,comdat
.Lfunc_end2121:
	.size	_ZN7rocprim17ROCPRIM_400000_NS6detail17trampoline_kernelINS0_14default_configENS1_37merge_sort_block_sort_config_selectorIN3c104HalfElEEZNS1_21merge_sort_block_sortIS3_PS6_S9_N6thrust23THRUST_200600_302600_NS10device_ptrIlEESD_NSB_4lessIS6_EEEE10hipError_tT0_T1_T2_T3_mRjT4_P12ihipStream_tbNS1_7vsmem_tEEUlT_E_NS1_11comp_targetILNS1_3genE10ELNS1_11target_archE1200ELNS1_3gpuE4ELNS1_3repE0EEENS1_30default_config_static_selectorELNS0_4arch9wavefront6targetE1EEEvSI_, .Lfunc_end2121-_ZN7rocprim17ROCPRIM_400000_NS6detail17trampoline_kernelINS0_14default_configENS1_37merge_sort_block_sort_config_selectorIN3c104HalfElEEZNS1_21merge_sort_block_sortIS3_PS6_S9_N6thrust23THRUST_200600_302600_NS10device_ptrIlEESD_NSB_4lessIS6_EEEE10hipError_tT0_T1_T2_T3_mRjT4_P12ihipStream_tbNS1_7vsmem_tEEUlT_E_NS1_11comp_targetILNS1_3genE10ELNS1_11target_archE1200ELNS1_3gpuE4ELNS1_3repE0EEENS1_30default_config_static_selectorELNS0_4arch9wavefront6targetE1EEEvSI_
                                        ; -- End function
	.set _ZN7rocprim17ROCPRIM_400000_NS6detail17trampoline_kernelINS0_14default_configENS1_37merge_sort_block_sort_config_selectorIN3c104HalfElEEZNS1_21merge_sort_block_sortIS3_PS6_S9_N6thrust23THRUST_200600_302600_NS10device_ptrIlEESD_NSB_4lessIS6_EEEE10hipError_tT0_T1_T2_T3_mRjT4_P12ihipStream_tbNS1_7vsmem_tEEUlT_E_NS1_11comp_targetILNS1_3genE10ELNS1_11target_archE1200ELNS1_3gpuE4ELNS1_3repE0EEENS1_30default_config_static_selectorELNS0_4arch9wavefront6targetE1EEEvSI_.num_vgpr, 0
	.set _ZN7rocprim17ROCPRIM_400000_NS6detail17trampoline_kernelINS0_14default_configENS1_37merge_sort_block_sort_config_selectorIN3c104HalfElEEZNS1_21merge_sort_block_sortIS3_PS6_S9_N6thrust23THRUST_200600_302600_NS10device_ptrIlEESD_NSB_4lessIS6_EEEE10hipError_tT0_T1_T2_T3_mRjT4_P12ihipStream_tbNS1_7vsmem_tEEUlT_E_NS1_11comp_targetILNS1_3genE10ELNS1_11target_archE1200ELNS1_3gpuE4ELNS1_3repE0EEENS1_30default_config_static_selectorELNS0_4arch9wavefront6targetE1EEEvSI_.num_agpr, 0
	.set _ZN7rocprim17ROCPRIM_400000_NS6detail17trampoline_kernelINS0_14default_configENS1_37merge_sort_block_sort_config_selectorIN3c104HalfElEEZNS1_21merge_sort_block_sortIS3_PS6_S9_N6thrust23THRUST_200600_302600_NS10device_ptrIlEESD_NSB_4lessIS6_EEEE10hipError_tT0_T1_T2_T3_mRjT4_P12ihipStream_tbNS1_7vsmem_tEEUlT_E_NS1_11comp_targetILNS1_3genE10ELNS1_11target_archE1200ELNS1_3gpuE4ELNS1_3repE0EEENS1_30default_config_static_selectorELNS0_4arch9wavefront6targetE1EEEvSI_.numbered_sgpr, 0
	.set _ZN7rocprim17ROCPRIM_400000_NS6detail17trampoline_kernelINS0_14default_configENS1_37merge_sort_block_sort_config_selectorIN3c104HalfElEEZNS1_21merge_sort_block_sortIS3_PS6_S9_N6thrust23THRUST_200600_302600_NS10device_ptrIlEESD_NSB_4lessIS6_EEEE10hipError_tT0_T1_T2_T3_mRjT4_P12ihipStream_tbNS1_7vsmem_tEEUlT_E_NS1_11comp_targetILNS1_3genE10ELNS1_11target_archE1200ELNS1_3gpuE4ELNS1_3repE0EEENS1_30default_config_static_selectorELNS0_4arch9wavefront6targetE1EEEvSI_.num_named_barrier, 0
	.set _ZN7rocprim17ROCPRIM_400000_NS6detail17trampoline_kernelINS0_14default_configENS1_37merge_sort_block_sort_config_selectorIN3c104HalfElEEZNS1_21merge_sort_block_sortIS3_PS6_S9_N6thrust23THRUST_200600_302600_NS10device_ptrIlEESD_NSB_4lessIS6_EEEE10hipError_tT0_T1_T2_T3_mRjT4_P12ihipStream_tbNS1_7vsmem_tEEUlT_E_NS1_11comp_targetILNS1_3genE10ELNS1_11target_archE1200ELNS1_3gpuE4ELNS1_3repE0EEENS1_30default_config_static_selectorELNS0_4arch9wavefront6targetE1EEEvSI_.private_seg_size, 0
	.set _ZN7rocprim17ROCPRIM_400000_NS6detail17trampoline_kernelINS0_14default_configENS1_37merge_sort_block_sort_config_selectorIN3c104HalfElEEZNS1_21merge_sort_block_sortIS3_PS6_S9_N6thrust23THRUST_200600_302600_NS10device_ptrIlEESD_NSB_4lessIS6_EEEE10hipError_tT0_T1_T2_T3_mRjT4_P12ihipStream_tbNS1_7vsmem_tEEUlT_E_NS1_11comp_targetILNS1_3genE10ELNS1_11target_archE1200ELNS1_3gpuE4ELNS1_3repE0EEENS1_30default_config_static_selectorELNS0_4arch9wavefront6targetE1EEEvSI_.uses_vcc, 0
	.set _ZN7rocprim17ROCPRIM_400000_NS6detail17trampoline_kernelINS0_14default_configENS1_37merge_sort_block_sort_config_selectorIN3c104HalfElEEZNS1_21merge_sort_block_sortIS3_PS6_S9_N6thrust23THRUST_200600_302600_NS10device_ptrIlEESD_NSB_4lessIS6_EEEE10hipError_tT0_T1_T2_T3_mRjT4_P12ihipStream_tbNS1_7vsmem_tEEUlT_E_NS1_11comp_targetILNS1_3genE10ELNS1_11target_archE1200ELNS1_3gpuE4ELNS1_3repE0EEENS1_30default_config_static_selectorELNS0_4arch9wavefront6targetE1EEEvSI_.uses_flat_scratch, 0
	.set _ZN7rocprim17ROCPRIM_400000_NS6detail17trampoline_kernelINS0_14default_configENS1_37merge_sort_block_sort_config_selectorIN3c104HalfElEEZNS1_21merge_sort_block_sortIS3_PS6_S9_N6thrust23THRUST_200600_302600_NS10device_ptrIlEESD_NSB_4lessIS6_EEEE10hipError_tT0_T1_T2_T3_mRjT4_P12ihipStream_tbNS1_7vsmem_tEEUlT_E_NS1_11comp_targetILNS1_3genE10ELNS1_11target_archE1200ELNS1_3gpuE4ELNS1_3repE0EEENS1_30default_config_static_selectorELNS0_4arch9wavefront6targetE1EEEvSI_.has_dyn_sized_stack, 0
	.set _ZN7rocprim17ROCPRIM_400000_NS6detail17trampoline_kernelINS0_14default_configENS1_37merge_sort_block_sort_config_selectorIN3c104HalfElEEZNS1_21merge_sort_block_sortIS3_PS6_S9_N6thrust23THRUST_200600_302600_NS10device_ptrIlEESD_NSB_4lessIS6_EEEE10hipError_tT0_T1_T2_T3_mRjT4_P12ihipStream_tbNS1_7vsmem_tEEUlT_E_NS1_11comp_targetILNS1_3genE10ELNS1_11target_archE1200ELNS1_3gpuE4ELNS1_3repE0EEENS1_30default_config_static_selectorELNS0_4arch9wavefront6targetE1EEEvSI_.has_recursion, 0
	.set _ZN7rocprim17ROCPRIM_400000_NS6detail17trampoline_kernelINS0_14default_configENS1_37merge_sort_block_sort_config_selectorIN3c104HalfElEEZNS1_21merge_sort_block_sortIS3_PS6_S9_N6thrust23THRUST_200600_302600_NS10device_ptrIlEESD_NSB_4lessIS6_EEEE10hipError_tT0_T1_T2_T3_mRjT4_P12ihipStream_tbNS1_7vsmem_tEEUlT_E_NS1_11comp_targetILNS1_3genE10ELNS1_11target_archE1200ELNS1_3gpuE4ELNS1_3repE0EEENS1_30default_config_static_selectorELNS0_4arch9wavefront6targetE1EEEvSI_.has_indirect_call, 0
	.section	.AMDGPU.csdata,"",@progbits
; Kernel info:
; codeLenInByte = 0
; TotalNumSgprs: 4
; NumVgprs: 0
; ScratchSize: 0
; MemoryBound: 0
; FloatMode: 240
; IeeeMode: 1
; LDSByteSize: 0 bytes/workgroup (compile time only)
; SGPRBlocks: 0
; VGPRBlocks: 0
; NumSGPRsForWavesPerEU: 4
; NumVGPRsForWavesPerEU: 1
; Occupancy: 10
; WaveLimiterHint : 0
; COMPUTE_PGM_RSRC2:SCRATCH_EN: 0
; COMPUTE_PGM_RSRC2:USER_SGPR: 6
; COMPUTE_PGM_RSRC2:TRAP_HANDLER: 0
; COMPUTE_PGM_RSRC2:TGID_X_EN: 1
; COMPUTE_PGM_RSRC2:TGID_Y_EN: 0
; COMPUTE_PGM_RSRC2:TGID_Z_EN: 0
; COMPUTE_PGM_RSRC2:TIDIG_COMP_CNT: 0
	.section	.text._ZN7rocprim17ROCPRIM_400000_NS6detail17trampoline_kernelINS0_14default_configENS1_37merge_sort_block_sort_config_selectorIN3c104HalfElEEZNS1_21merge_sort_block_sortIS3_PS6_S9_N6thrust23THRUST_200600_302600_NS10device_ptrIlEESD_NSB_4lessIS6_EEEE10hipError_tT0_T1_T2_T3_mRjT4_P12ihipStream_tbNS1_7vsmem_tEEUlT_E_NS1_11comp_targetILNS1_3genE9ELNS1_11target_archE1100ELNS1_3gpuE3ELNS1_3repE0EEENS1_30default_config_static_selectorELNS0_4arch9wavefront6targetE1EEEvSI_,"axG",@progbits,_ZN7rocprim17ROCPRIM_400000_NS6detail17trampoline_kernelINS0_14default_configENS1_37merge_sort_block_sort_config_selectorIN3c104HalfElEEZNS1_21merge_sort_block_sortIS3_PS6_S9_N6thrust23THRUST_200600_302600_NS10device_ptrIlEESD_NSB_4lessIS6_EEEE10hipError_tT0_T1_T2_T3_mRjT4_P12ihipStream_tbNS1_7vsmem_tEEUlT_E_NS1_11comp_targetILNS1_3genE9ELNS1_11target_archE1100ELNS1_3gpuE3ELNS1_3repE0EEENS1_30default_config_static_selectorELNS0_4arch9wavefront6targetE1EEEvSI_,comdat
	.protected	_ZN7rocprim17ROCPRIM_400000_NS6detail17trampoline_kernelINS0_14default_configENS1_37merge_sort_block_sort_config_selectorIN3c104HalfElEEZNS1_21merge_sort_block_sortIS3_PS6_S9_N6thrust23THRUST_200600_302600_NS10device_ptrIlEESD_NSB_4lessIS6_EEEE10hipError_tT0_T1_T2_T3_mRjT4_P12ihipStream_tbNS1_7vsmem_tEEUlT_E_NS1_11comp_targetILNS1_3genE9ELNS1_11target_archE1100ELNS1_3gpuE3ELNS1_3repE0EEENS1_30default_config_static_selectorELNS0_4arch9wavefront6targetE1EEEvSI_ ; -- Begin function _ZN7rocprim17ROCPRIM_400000_NS6detail17trampoline_kernelINS0_14default_configENS1_37merge_sort_block_sort_config_selectorIN3c104HalfElEEZNS1_21merge_sort_block_sortIS3_PS6_S9_N6thrust23THRUST_200600_302600_NS10device_ptrIlEESD_NSB_4lessIS6_EEEE10hipError_tT0_T1_T2_T3_mRjT4_P12ihipStream_tbNS1_7vsmem_tEEUlT_E_NS1_11comp_targetILNS1_3genE9ELNS1_11target_archE1100ELNS1_3gpuE3ELNS1_3repE0EEENS1_30default_config_static_selectorELNS0_4arch9wavefront6targetE1EEEvSI_
	.globl	_ZN7rocprim17ROCPRIM_400000_NS6detail17trampoline_kernelINS0_14default_configENS1_37merge_sort_block_sort_config_selectorIN3c104HalfElEEZNS1_21merge_sort_block_sortIS3_PS6_S9_N6thrust23THRUST_200600_302600_NS10device_ptrIlEESD_NSB_4lessIS6_EEEE10hipError_tT0_T1_T2_T3_mRjT4_P12ihipStream_tbNS1_7vsmem_tEEUlT_E_NS1_11comp_targetILNS1_3genE9ELNS1_11target_archE1100ELNS1_3gpuE3ELNS1_3repE0EEENS1_30default_config_static_selectorELNS0_4arch9wavefront6targetE1EEEvSI_
	.p2align	8
	.type	_ZN7rocprim17ROCPRIM_400000_NS6detail17trampoline_kernelINS0_14default_configENS1_37merge_sort_block_sort_config_selectorIN3c104HalfElEEZNS1_21merge_sort_block_sortIS3_PS6_S9_N6thrust23THRUST_200600_302600_NS10device_ptrIlEESD_NSB_4lessIS6_EEEE10hipError_tT0_T1_T2_T3_mRjT4_P12ihipStream_tbNS1_7vsmem_tEEUlT_E_NS1_11comp_targetILNS1_3genE9ELNS1_11target_archE1100ELNS1_3gpuE3ELNS1_3repE0EEENS1_30default_config_static_selectorELNS0_4arch9wavefront6targetE1EEEvSI_,@function
_ZN7rocprim17ROCPRIM_400000_NS6detail17trampoline_kernelINS0_14default_configENS1_37merge_sort_block_sort_config_selectorIN3c104HalfElEEZNS1_21merge_sort_block_sortIS3_PS6_S9_N6thrust23THRUST_200600_302600_NS10device_ptrIlEESD_NSB_4lessIS6_EEEE10hipError_tT0_T1_T2_T3_mRjT4_P12ihipStream_tbNS1_7vsmem_tEEUlT_E_NS1_11comp_targetILNS1_3genE9ELNS1_11target_archE1100ELNS1_3gpuE3ELNS1_3repE0EEENS1_30default_config_static_selectorELNS0_4arch9wavefront6targetE1EEEvSI_: ; @_ZN7rocprim17ROCPRIM_400000_NS6detail17trampoline_kernelINS0_14default_configENS1_37merge_sort_block_sort_config_selectorIN3c104HalfElEEZNS1_21merge_sort_block_sortIS3_PS6_S9_N6thrust23THRUST_200600_302600_NS10device_ptrIlEESD_NSB_4lessIS6_EEEE10hipError_tT0_T1_T2_T3_mRjT4_P12ihipStream_tbNS1_7vsmem_tEEUlT_E_NS1_11comp_targetILNS1_3genE9ELNS1_11target_archE1100ELNS1_3gpuE3ELNS1_3repE0EEENS1_30default_config_static_selectorELNS0_4arch9wavefront6targetE1EEEvSI_
; %bb.0:
	.section	.rodata,"a",@progbits
	.p2align	6, 0x0
	.amdhsa_kernel _ZN7rocprim17ROCPRIM_400000_NS6detail17trampoline_kernelINS0_14default_configENS1_37merge_sort_block_sort_config_selectorIN3c104HalfElEEZNS1_21merge_sort_block_sortIS3_PS6_S9_N6thrust23THRUST_200600_302600_NS10device_ptrIlEESD_NSB_4lessIS6_EEEE10hipError_tT0_T1_T2_T3_mRjT4_P12ihipStream_tbNS1_7vsmem_tEEUlT_E_NS1_11comp_targetILNS1_3genE9ELNS1_11target_archE1100ELNS1_3gpuE3ELNS1_3repE0EEENS1_30default_config_static_selectorELNS0_4arch9wavefront6targetE1EEEvSI_
		.amdhsa_group_segment_fixed_size 0
		.amdhsa_private_segment_fixed_size 0
		.amdhsa_kernarg_size 64
		.amdhsa_user_sgpr_count 6
		.amdhsa_user_sgpr_private_segment_buffer 1
		.amdhsa_user_sgpr_dispatch_ptr 0
		.amdhsa_user_sgpr_queue_ptr 0
		.amdhsa_user_sgpr_kernarg_segment_ptr 1
		.amdhsa_user_sgpr_dispatch_id 0
		.amdhsa_user_sgpr_flat_scratch_init 0
		.amdhsa_user_sgpr_private_segment_size 0
		.amdhsa_uses_dynamic_stack 0
		.amdhsa_system_sgpr_private_segment_wavefront_offset 0
		.amdhsa_system_sgpr_workgroup_id_x 1
		.amdhsa_system_sgpr_workgroup_id_y 0
		.amdhsa_system_sgpr_workgroup_id_z 0
		.amdhsa_system_sgpr_workgroup_info 0
		.amdhsa_system_vgpr_workitem_id 0
		.amdhsa_next_free_vgpr 1
		.amdhsa_next_free_sgpr 0
		.amdhsa_reserve_vcc 0
		.amdhsa_reserve_flat_scratch 0
		.amdhsa_float_round_mode_32 0
		.amdhsa_float_round_mode_16_64 0
		.amdhsa_float_denorm_mode_32 3
		.amdhsa_float_denorm_mode_16_64 3
		.amdhsa_dx10_clamp 1
		.amdhsa_ieee_mode 1
		.amdhsa_fp16_overflow 0
		.amdhsa_exception_fp_ieee_invalid_op 0
		.amdhsa_exception_fp_denorm_src 0
		.amdhsa_exception_fp_ieee_div_zero 0
		.amdhsa_exception_fp_ieee_overflow 0
		.amdhsa_exception_fp_ieee_underflow 0
		.amdhsa_exception_fp_ieee_inexact 0
		.amdhsa_exception_int_div_zero 0
	.end_amdhsa_kernel
	.section	.text._ZN7rocprim17ROCPRIM_400000_NS6detail17trampoline_kernelINS0_14default_configENS1_37merge_sort_block_sort_config_selectorIN3c104HalfElEEZNS1_21merge_sort_block_sortIS3_PS6_S9_N6thrust23THRUST_200600_302600_NS10device_ptrIlEESD_NSB_4lessIS6_EEEE10hipError_tT0_T1_T2_T3_mRjT4_P12ihipStream_tbNS1_7vsmem_tEEUlT_E_NS1_11comp_targetILNS1_3genE9ELNS1_11target_archE1100ELNS1_3gpuE3ELNS1_3repE0EEENS1_30default_config_static_selectorELNS0_4arch9wavefront6targetE1EEEvSI_,"axG",@progbits,_ZN7rocprim17ROCPRIM_400000_NS6detail17trampoline_kernelINS0_14default_configENS1_37merge_sort_block_sort_config_selectorIN3c104HalfElEEZNS1_21merge_sort_block_sortIS3_PS6_S9_N6thrust23THRUST_200600_302600_NS10device_ptrIlEESD_NSB_4lessIS6_EEEE10hipError_tT0_T1_T2_T3_mRjT4_P12ihipStream_tbNS1_7vsmem_tEEUlT_E_NS1_11comp_targetILNS1_3genE9ELNS1_11target_archE1100ELNS1_3gpuE3ELNS1_3repE0EEENS1_30default_config_static_selectorELNS0_4arch9wavefront6targetE1EEEvSI_,comdat
.Lfunc_end2122:
	.size	_ZN7rocprim17ROCPRIM_400000_NS6detail17trampoline_kernelINS0_14default_configENS1_37merge_sort_block_sort_config_selectorIN3c104HalfElEEZNS1_21merge_sort_block_sortIS3_PS6_S9_N6thrust23THRUST_200600_302600_NS10device_ptrIlEESD_NSB_4lessIS6_EEEE10hipError_tT0_T1_T2_T3_mRjT4_P12ihipStream_tbNS1_7vsmem_tEEUlT_E_NS1_11comp_targetILNS1_3genE9ELNS1_11target_archE1100ELNS1_3gpuE3ELNS1_3repE0EEENS1_30default_config_static_selectorELNS0_4arch9wavefront6targetE1EEEvSI_, .Lfunc_end2122-_ZN7rocprim17ROCPRIM_400000_NS6detail17trampoline_kernelINS0_14default_configENS1_37merge_sort_block_sort_config_selectorIN3c104HalfElEEZNS1_21merge_sort_block_sortIS3_PS6_S9_N6thrust23THRUST_200600_302600_NS10device_ptrIlEESD_NSB_4lessIS6_EEEE10hipError_tT0_T1_T2_T3_mRjT4_P12ihipStream_tbNS1_7vsmem_tEEUlT_E_NS1_11comp_targetILNS1_3genE9ELNS1_11target_archE1100ELNS1_3gpuE3ELNS1_3repE0EEENS1_30default_config_static_selectorELNS0_4arch9wavefront6targetE1EEEvSI_
                                        ; -- End function
	.set _ZN7rocprim17ROCPRIM_400000_NS6detail17trampoline_kernelINS0_14default_configENS1_37merge_sort_block_sort_config_selectorIN3c104HalfElEEZNS1_21merge_sort_block_sortIS3_PS6_S9_N6thrust23THRUST_200600_302600_NS10device_ptrIlEESD_NSB_4lessIS6_EEEE10hipError_tT0_T1_T2_T3_mRjT4_P12ihipStream_tbNS1_7vsmem_tEEUlT_E_NS1_11comp_targetILNS1_3genE9ELNS1_11target_archE1100ELNS1_3gpuE3ELNS1_3repE0EEENS1_30default_config_static_selectorELNS0_4arch9wavefront6targetE1EEEvSI_.num_vgpr, 0
	.set _ZN7rocprim17ROCPRIM_400000_NS6detail17trampoline_kernelINS0_14default_configENS1_37merge_sort_block_sort_config_selectorIN3c104HalfElEEZNS1_21merge_sort_block_sortIS3_PS6_S9_N6thrust23THRUST_200600_302600_NS10device_ptrIlEESD_NSB_4lessIS6_EEEE10hipError_tT0_T1_T2_T3_mRjT4_P12ihipStream_tbNS1_7vsmem_tEEUlT_E_NS1_11comp_targetILNS1_3genE9ELNS1_11target_archE1100ELNS1_3gpuE3ELNS1_3repE0EEENS1_30default_config_static_selectorELNS0_4arch9wavefront6targetE1EEEvSI_.num_agpr, 0
	.set _ZN7rocprim17ROCPRIM_400000_NS6detail17trampoline_kernelINS0_14default_configENS1_37merge_sort_block_sort_config_selectorIN3c104HalfElEEZNS1_21merge_sort_block_sortIS3_PS6_S9_N6thrust23THRUST_200600_302600_NS10device_ptrIlEESD_NSB_4lessIS6_EEEE10hipError_tT0_T1_T2_T3_mRjT4_P12ihipStream_tbNS1_7vsmem_tEEUlT_E_NS1_11comp_targetILNS1_3genE9ELNS1_11target_archE1100ELNS1_3gpuE3ELNS1_3repE0EEENS1_30default_config_static_selectorELNS0_4arch9wavefront6targetE1EEEvSI_.numbered_sgpr, 0
	.set _ZN7rocprim17ROCPRIM_400000_NS6detail17trampoline_kernelINS0_14default_configENS1_37merge_sort_block_sort_config_selectorIN3c104HalfElEEZNS1_21merge_sort_block_sortIS3_PS6_S9_N6thrust23THRUST_200600_302600_NS10device_ptrIlEESD_NSB_4lessIS6_EEEE10hipError_tT0_T1_T2_T3_mRjT4_P12ihipStream_tbNS1_7vsmem_tEEUlT_E_NS1_11comp_targetILNS1_3genE9ELNS1_11target_archE1100ELNS1_3gpuE3ELNS1_3repE0EEENS1_30default_config_static_selectorELNS0_4arch9wavefront6targetE1EEEvSI_.num_named_barrier, 0
	.set _ZN7rocprim17ROCPRIM_400000_NS6detail17trampoline_kernelINS0_14default_configENS1_37merge_sort_block_sort_config_selectorIN3c104HalfElEEZNS1_21merge_sort_block_sortIS3_PS6_S9_N6thrust23THRUST_200600_302600_NS10device_ptrIlEESD_NSB_4lessIS6_EEEE10hipError_tT0_T1_T2_T3_mRjT4_P12ihipStream_tbNS1_7vsmem_tEEUlT_E_NS1_11comp_targetILNS1_3genE9ELNS1_11target_archE1100ELNS1_3gpuE3ELNS1_3repE0EEENS1_30default_config_static_selectorELNS0_4arch9wavefront6targetE1EEEvSI_.private_seg_size, 0
	.set _ZN7rocprim17ROCPRIM_400000_NS6detail17trampoline_kernelINS0_14default_configENS1_37merge_sort_block_sort_config_selectorIN3c104HalfElEEZNS1_21merge_sort_block_sortIS3_PS6_S9_N6thrust23THRUST_200600_302600_NS10device_ptrIlEESD_NSB_4lessIS6_EEEE10hipError_tT0_T1_T2_T3_mRjT4_P12ihipStream_tbNS1_7vsmem_tEEUlT_E_NS1_11comp_targetILNS1_3genE9ELNS1_11target_archE1100ELNS1_3gpuE3ELNS1_3repE0EEENS1_30default_config_static_selectorELNS0_4arch9wavefront6targetE1EEEvSI_.uses_vcc, 0
	.set _ZN7rocprim17ROCPRIM_400000_NS6detail17trampoline_kernelINS0_14default_configENS1_37merge_sort_block_sort_config_selectorIN3c104HalfElEEZNS1_21merge_sort_block_sortIS3_PS6_S9_N6thrust23THRUST_200600_302600_NS10device_ptrIlEESD_NSB_4lessIS6_EEEE10hipError_tT0_T1_T2_T3_mRjT4_P12ihipStream_tbNS1_7vsmem_tEEUlT_E_NS1_11comp_targetILNS1_3genE9ELNS1_11target_archE1100ELNS1_3gpuE3ELNS1_3repE0EEENS1_30default_config_static_selectorELNS0_4arch9wavefront6targetE1EEEvSI_.uses_flat_scratch, 0
	.set _ZN7rocprim17ROCPRIM_400000_NS6detail17trampoline_kernelINS0_14default_configENS1_37merge_sort_block_sort_config_selectorIN3c104HalfElEEZNS1_21merge_sort_block_sortIS3_PS6_S9_N6thrust23THRUST_200600_302600_NS10device_ptrIlEESD_NSB_4lessIS6_EEEE10hipError_tT0_T1_T2_T3_mRjT4_P12ihipStream_tbNS1_7vsmem_tEEUlT_E_NS1_11comp_targetILNS1_3genE9ELNS1_11target_archE1100ELNS1_3gpuE3ELNS1_3repE0EEENS1_30default_config_static_selectorELNS0_4arch9wavefront6targetE1EEEvSI_.has_dyn_sized_stack, 0
	.set _ZN7rocprim17ROCPRIM_400000_NS6detail17trampoline_kernelINS0_14default_configENS1_37merge_sort_block_sort_config_selectorIN3c104HalfElEEZNS1_21merge_sort_block_sortIS3_PS6_S9_N6thrust23THRUST_200600_302600_NS10device_ptrIlEESD_NSB_4lessIS6_EEEE10hipError_tT0_T1_T2_T3_mRjT4_P12ihipStream_tbNS1_7vsmem_tEEUlT_E_NS1_11comp_targetILNS1_3genE9ELNS1_11target_archE1100ELNS1_3gpuE3ELNS1_3repE0EEENS1_30default_config_static_selectorELNS0_4arch9wavefront6targetE1EEEvSI_.has_recursion, 0
	.set _ZN7rocprim17ROCPRIM_400000_NS6detail17trampoline_kernelINS0_14default_configENS1_37merge_sort_block_sort_config_selectorIN3c104HalfElEEZNS1_21merge_sort_block_sortIS3_PS6_S9_N6thrust23THRUST_200600_302600_NS10device_ptrIlEESD_NSB_4lessIS6_EEEE10hipError_tT0_T1_T2_T3_mRjT4_P12ihipStream_tbNS1_7vsmem_tEEUlT_E_NS1_11comp_targetILNS1_3genE9ELNS1_11target_archE1100ELNS1_3gpuE3ELNS1_3repE0EEENS1_30default_config_static_selectorELNS0_4arch9wavefront6targetE1EEEvSI_.has_indirect_call, 0
	.section	.AMDGPU.csdata,"",@progbits
; Kernel info:
; codeLenInByte = 0
; TotalNumSgprs: 4
; NumVgprs: 0
; ScratchSize: 0
; MemoryBound: 0
; FloatMode: 240
; IeeeMode: 1
; LDSByteSize: 0 bytes/workgroup (compile time only)
; SGPRBlocks: 0
; VGPRBlocks: 0
; NumSGPRsForWavesPerEU: 4
; NumVGPRsForWavesPerEU: 1
; Occupancy: 10
; WaveLimiterHint : 0
; COMPUTE_PGM_RSRC2:SCRATCH_EN: 0
; COMPUTE_PGM_RSRC2:USER_SGPR: 6
; COMPUTE_PGM_RSRC2:TRAP_HANDLER: 0
; COMPUTE_PGM_RSRC2:TGID_X_EN: 1
; COMPUTE_PGM_RSRC2:TGID_Y_EN: 0
; COMPUTE_PGM_RSRC2:TGID_Z_EN: 0
; COMPUTE_PGM_RSRC2:TIDIG_COMP_CNT: 0
	.section	.text._ZN7rocprim17ROCPRIM_400000_NS6detail17trampoline_kernelINS0_14default_configENS1_37merge_sort_block_sort_config_selectorIN3c104HalfElEEZNS1_21merge_sort_block_sortIS3_PS6_S9_N6thrust23THRUST_200600_302600_NS10device_ptrIlEESD_NSB_4lessIS6_EEEE10hipError_tT0_T1_T2_T3_mRjT4_P12ihipStream_tbNS1_7vsmem_tEEUlT_E_NS1_11comp_targetILNS1_3genE8ELNS1_11target_archE1030ELNS1_3gpuE2ELNS1_3repE0EEENS1_30default_config_static_selectorELNS0_4arch9wavefront6targetE1EEEvSI_,"axG",@progbits,_ZN7rocprim17ROCPRIM_400000_NS6detail17trampoline_kernelINS0_14default_configENS1_37merge_sort_block_sort_config_selectorIN3c104HalfElEEZNS1_21merge_sort_block_sortIS3_PS6_S9_N6thrust23THRUST_200600_302600_NS10device_ptrIlEESD_NSB_4lessIS6_EEEE10hipError_tT0_T1_T2_T3_mRjT4_P12ihipStream_tbNS1_7vsmem_tEEUlT_E_NS1_11comp_targetILNS1_3genE8ELNS1_11target_archE1030ELNS1_3gpuE2ELNS1_3repE0EEENS1_30default_config_static_selectorELNS0_4arch9wavefront6targetE1EEEvSI_,comdat
	.protected	_ZN7rocprim17ROCPRIM_400000_NS6detail17trampoline_kernelINS0_14default_configENS1_37merge_sort_block_sort_config_selectorIN3c104HalfElEEZNS1_21merge_sort_block_sortIS3_PS6_S9_N6thrust23THRUST_200600_302600_NS10device_ptrIlEESD_NSB_4lessIS6_EEEE10hipError_tT0_T1_T2_T3_mRjT4_P12ihipStream_tbNS1_7vsmem_tEEUlT_E_NS1_11comp_targetILNS1_3genE8ELNS1_11target_archE1030ELNS1_3gpuE2ELNS1_3repE0EEENS1_30default_config_static_selectorELNS0_4arch9wavefront6targetE1EEEvSI_ ; -- Begin function _ZN7rocprim17ROCPRIM_400000_NS6detail17trampoline_kernelINS0_14default_configENS1_37merge_sort_block_sort_config_selectorIN3c104HalfElEEZNS1_21merge_sort_block_sortIS3_PS6_S9_N6thrust23THRUST_200600_302600_NS10device_ptrIlEESD_NSB_4lessIS6_EEEE10hipError_tT0_T1_T2_T3_mRjT4_P12ihipStream_tbNS1_7vsmem_tEEUlT_E_NS1_11comp_targetILNS1_3genE8ELNS1_11target_archE1030ELNS1_3gpuE2ELNS1_3repE0EEENS1_30default_config_static_selectorELNS0_4arch9wavefront6targetE1EEEvSI_
	.globl	_ZN7rocprim17ROCPRIM_400000_NS6detail17trampoline_kernelINS0_14default_configENS1_37merge_sort_block_sort_config_selectorIN3c104HalfElEEZNS1_21merge_sort_block_sortIS3_PS6_S9_N6thrust23THRUST_200600_302600_NS10device_ptrIlEESD_NSB_4lessIS6_EEEE10hipError_tT0_T1_T2_T3_mRjT4_P12ihipStream_tbNS1_7vsmem_tEEUlT_E_NS1_11comp_targetILNS1_3genE8ELNS1_11target_archE1030ELNS1_3gpuE2ELNS1_3repE0EEENS1_30default_config_static_selectorELNS0_4arch9wavefront6targetE1EEEvSI_
	.p2align	8
	.type	_ZN7rocprim17ROCPRIM_400000_NS6detail17trampoline_kernelINS0_14default_configENS1_37merge_sort_block_sort_config_selectorIN3c104HalfElEEZNS1_21merge_sort_block_sortIS3_PS6_S9_N6thrust23THRUST_200600_302600_NS10device_ptrIlEESD_NSB_4lessIS6_EEEE10hipError_tT0_T1_T2_T3_mRjT4_P12ihipStream_tbNS1_7vsmem_tEEUlT_E_NS1_11comp_targetILNS1_3genE8ELNS1_11target_archE1030ELNS1_3gpuE2ELNS1_3repE0EEENS1_30default_config_static_selectorELNS0_4arch9wavefront6targetE1EEEvSI_,@function
_ZN7rocprim17ROCPRIM_400000_NS6detail17trampoline_kernelINS0_14default_configENS1_37merge_sort_block_sort_config_selectorIN3c104HalfElEEZNS1_21merge_sort_block_sortIS3_PS6_S9_N6thrust23THRUST_200600_302600_NS10device_ptrIlEESD_NSB_4lessIS6_EEEE10hipError_tT0_T1_T2_T3_mRjT4_P12ihipStream_tbNS1_7vsmem_tEEUlT_E_NS1_11comp_targetILNS1_3genE8ELNS1_11target_archE1030ELNS1_3gpuE2ELNS1_3repE0EEENS1_30default_config_static_selectorELNS0_4arch9wavefront6targetE1EEEvSI_: ; @_ZN7rocprim17ROCPRIM_400000_NS6detail17trampoline_kernelINS0_14default_configENS1_37merge_sort_block_sort_config_selectorIN3c104HalfElEEZNS1_21merge_sort_block_sortIS3_PS6_S9_N6thrust23THRUST_200600_302600_NS10device_ptrIlEESD_NSB_4lessIS6_EEEE10hipError_tT0_T1_T2_T3_mRjT4_P12ihipStream_tbNS1_7vsmem_tEEUlT_E_NS1_11comp_targetILNS1_3genE8ELNS1_11target_archE1030ELNS1_3gpuE2ELNS1_3repE0EEENS1_30default_config_static_selectorELNS0_4arch9wavefront6targetE1EEEvSI_
; %bb.0:
	.section	.rodata,"a",@progbits
	.p2align	6, 0x0
	.amdhsa_kernel _ZN7rocprim17ROCPRIM_400000_NS6detail17trampoline_kernelINS0_14default_configENS1_37merge_sort_block_sort_config_selectorIN3c104HalfElEEZNS1_21merge_sort_block_sortIS3_PS6_S9_N6thrust23THRUST_200600_302600_NS10device_ptrIlEESD_NSB_4lessIS6_EEEE10hipError_tT0_T1_T2_T3_mRjT4_P12ihipStream_tbNS1_7vsmem_tEEUlT_E_NS1_11comp_targetILNS1_3genE8ELNS1_11target_archE1030ELNS1_3gpuE2ELNS1_3repE0EEENS1_30default_config_static_selectorELNS0_4arch9wavefront6targetE1EEEvSI_
		.amdhsa_group_segment_fixed_size 0
		.amdhsa_private_segment_fixed_size 0
		.amdhsa_kernarg_size 64
		.amdhsa_user_sgpr_count 6
		.amdhsa_user_sgpr_private_segment_buffer 1
		.amdhsa_user_sgpr_dispatch_ptr 0
		.amdhsa_user_sgpr_queue_ptr 0
		.amdhsa_user_sgpr_kernarg_segment_ptr 1
		.amdhsa_user_sgpr_dispatch_id 0
		.amdhsa_user_sgpr_flat_scratch_init 0
		.amdhsa_user_sgpr_private_segment_size 0
		.amdhsa_uses_dynamic_stack 0
		.amdhsa_system_sgpr_private_segment_wavefront_offset 0
		.amdhsa_system_sgpr_workgroup_id_x 1
		.amdhsa_system_sgpr_workgroup_id_y 0
		.amdhsa_system_sgpr_workgroup_id_z 0
		.amdhsa_system_sgpr_workgroup_info 0
		.amdhsa_system_vgpr_workitem_id 0
		.amdhsa_next_free_vgpr 1
		.amdhsa_next_free_sgpr 0
		.amdhsa_reserve_vcc 0
		.amdhsa_reserve_flat_scratch 0
		.amdhsa_float_round_mode_32 0
		.amdhsa_float_round_mode_16_64 0
		.amdhsa_float_denorm_mode_32 3
		.amdhsa_float_denorm_mode_16_64 3
		.amdhsa_dx10_clamp 1
		.amdhsa_ieee_mode 1
		.amdhsa_fp16_overflow 0
		.amdhsa_exception_fp_ieee_invalid_op 0
		.amdhsa_exception_fp_denorm_src 0
		.amdhsa_exception_fp_ieee_div_zero 0
		.amdhsa_exception_fp_ieee_overflow 0
		.amdhsa_exception_fp_ieee_underflow 0
		.amdhsa_exception_fp_ieee_inexact 0
		.amdhsa_exception_int_div_zero 0
	.end_amdhsa_kernel
	.section	.text._ZN7rocprim17ROCPRIM_400000_NS6detail17trampoline_kernelINS0_14default_configENS1_37merge_sort_block_sort_config_selectorIN3c104HalfElEEZNS1_21merge_sort_block_sortIS3_PS6_S9_N6thrust23THRUST_200600_302600_NS10device_ptrIlEESD_NSB_4lessIS6_EEEE10hipError_tT0_T1_T2_T3_mRjT4_P12ihipStream_tbNS1_7vsmem_tEEUlT_E_NS1_11comp_targetILNS1_3genE8ELNS1_11target_archE1030ELNS1_3gpuE2ELNS1_3repE0EEENS1_30default_config_static_selectorELNS0_4arch9wavefront6targetE1EEEvSI_,"axG",@progbits,_ZN7rocprim17ROCPRIM_400000_NS6detail17trampoline_kernelINS0_14default_configENS1_37merge_sort_block_sort_config_selectorIN3c104HalfElEEZNS1_21merge_sort_block_sortIS3_PS6_S9_N6thrust23THRUST_200600_302600_NS10device_ptrIlEESD_NSB_4lessIS6_EEEE10hipError_tT0_T1_T2_T3_mRjT4_P12ihipStream_tbNS1_7vsmem_tEEUlT_E_NS1_11comp_targetILNS1_3genE8ELNS1_11target_archE1030ELNS1_3gpuE2ELNS1_3repE0EEENS1_30default_config_static_selectorELNS0_4arch9wavefront6targetE1EEEvSI_,comdat
.Lfunc_end2123:
	.size	_ZN7rocprim17ROCPRIM_400000_NS6detail17trampoline_kernelINS0_14default_configENS1_37merge_sort_block_sort_config_selectorIN3c104HalfElEEZNS1_21merge_sort_block_sortIS3_PS6_S9_N6thrust23THRUST_200600_302600_NS10device_ptrIlEESD_NSB_4lessIS6_EEEE10hipError_tT0_T1_T2_T3_mRjT4_P12ihipStream_tbNS1_7vsmem_tEEUlT_E_NS1_11comp_targetILNS1_3genE8ELNS1_11target_archE1030ELNS1_3gpuE2ELNS1_3repE0EEENS1_30default_config_static_selectorELNS0_4arch9wavefront6targetE1EEEvSI_, .Lfunc_end2123-_ZN7rocprim17ROCPRIM_400000_NS6detail17trampoline_kernelINS0_14default_configENS1_37merge_sort_block_sort_config_selectorIN3c104HalfElEEZNS1_21merge_sort_block_sortIS3_PS6_S9_N6thrust23THRUST_200600_302600_NS10device_ptrIlEESD_NSB_4lessIS6_EEEE10hipError_tT0_T1_T2_T3_mRjT4_P12ihipStream_tbNS1_7vsmem_tEEUlT_E_NS1_11comp_targetILNS1_3genE8ELNS1_11target_archE1030ELNS1_3gpuE2ELNS1_3repE0EEENS1_30default_config_static_selectorELNS0_4arch9wavefront6targetE1EEEvSI_
                                        ; -- End function
	.set _ZN7rocprim17ROCPRIM_400000_NS6detail17trampoline_kernelINS0_14default_configENS1_37merge_sort_block_sort_config_selectorIN3c104HalfElEEZNS1_21merge_sort_block_sortIS3_PS6_S9_N6thrust23THRUST_200600_302600_NS10device_ptrIlEESD_NSB_4lessIS6_EEEE10hipError_tT0_T1_T2_T3_mRjT4_P12ihipStream_tbNS1_7vsmem_tEEUlT_E_NS1_11comp_targetILNS1_3genE8ELNS1_11target_archE1030ELNS1_3gpuE2ELNS1_3repE0EEENS1_30default_config_static_selectorELNS0_4arch9wavefront6targetE1EEEvSI_.num_vgpr, 0
	.set _ZN7rocprim17ROCPRIM_400000_NS6detail17trampoline_kernelINS0_14default_configENS1_37merge_sort_block_sort_config_selectorIN3c104HalfElEEZNS1_21merge_sort_block_sortIS3_PS6_S9_N6thrust23THRUST_200600_302600_NS10device_ptrIlEESD_NSB_4lessIS6_EEEE10hipError_tT0_T1_T2_T3_mRjT4_P12ihipStream_tbNS1_7vsmem_tEEUlT_E_NS1_11comp_targetILNS1_3genE8ELNS1_11target_archE1030ELNS1_3gpuE2ELNS1_3repE0EEENS1_30default_config_static_selectorELNS0_4arch9wavefront6targetE1EEEvSI_.num_agpr, 0
	.set _ZN7rocprim17ROCPRIM_400000_NS6detail17trampoline_kernelINS0_14default_configENS1_37merge_sort_block_sort_config_selectorIN3c104HalfElEEZNS1_21merge_sort_block_sortIS3_PS6_S9_N6thrust23THRUST_200600_302600_NS10device_ptrIlEESD_NSB_4lessIS6_EEEE10hipError_tT0_T1_T2_T3_mRjT4_P12ihipStream_tbNS1_7vsmem_tEEUlT_E_NS1_11comp_targetILNS1_3genE8ELNS1_11target_archE1030ELNS1_3gpuE2ELNS1_3repE0EEENS1_30default_config_static_selectorELNS0_4arch9wavefront6targetE1EEEvSI_.numbered_sgpr, 0
	.set _ZN7rocprim17ROCPRIM_400000_NS6detail17trampoline_kernelINS0_14default_configENS1_37merge_sort_block_sort_config_selectorIN3c104HalfElEEZNS1_21merge_sort_block_sortIS3_PS6_S9_N6thrust23THRUST_200600_302600_NS10device_ptrIlEESD_NSB_4lessIS6_EEEE10hipError_tT0_T1_T2_T3_mRjT4_P12ihipStream_tbNS1_7vsmem_tEEUlT_E_NS1_11comp_targetILNS1_3genE8ELNS1_11target_archE1030ELNS1_3gpuE2ELNS1_3repE0EEENS1_30default_config_static_selectorELNS0_4arch9wavefront6targetE1EEEvSI_.num_named_barrier, 0
	.set _ZN7rocprim17ROCPRIM_400000_NS6detail17trampoline_kernelINS0_14default_configENS1_37merge_sort_block_sort_config_selectorIN3c104HalfElEEZNS1_21merge_sort_block_sortIS3_PS6_S9_N6thrust23THRUST_200600_302600_NS10device_ptrIlEESD_NSB_4lessIS6_EEEE10hipError_tT0_T1_T2_T3_mRjT4_P12ihipStream_tbNS1_7vsmem_tEEUlT_E_NS1_11comp_targetILNS1_3genE8ELNS1_11target_archE1030ELNS1_3gpuE2ELNS1_3repE0EEENS1_30default_config_static_selectorELNS0_4arch9wavefront6targetE1EEEvSI_.private_seg_size, 0
	.set _ZN7rocprim17ROCPRIM_400000_NS6detail17trampoline_kernelINS0_14default_configENS1_37merge_sort_block_sort_config_selectorIN3c104HalfElEEZNS1_21merge_sort_block_sortIS3_PS6_S9_N6thrust23THRUST_200600_302600_NS10device_ptrIlEESD_NSB_4lessIS6_EEEE10hipError_tT0_T1_T2_T3_mRjT4_P12ihipStream_tbNS1_7vsmem_tEEUlT_E_NS1_11comp_targetILNS1_3genE8ELNS1_11target_archE1030ELNS1_3gpuE2ELNS1_3repE0EEENS1_30default_config_static_selectorELNS0_4arch9wavefront6targetE1EEEvSI_.uses_vcc, 0
	.set _ZN7rocprim17ROCPRIM_400000_NS6detail17trampoline_kernelINS0_14default_configENS1_37merge_sort_block_sort_config_selectorIN3c104HalfElEEZNS1_21merge_sort_block_sortIS3_PS6_S9_N6thrust23THRUST_200600_302600_NS10device_ptrIlEESD_NSB_4lessIS6_EEEE10hipError_tT0_T1_T2_T3_mRjT4_P12ihipStream_tbNS1_7vsmem_tEEUlT_E_NS1_11comp_targetILNS1_3genE8ELNS1_11target_archE1030ELNS1_3gpuE2ELNS1_3repE0EEENS1_30default_config_static_selectorELNS0_4arch9wavefront6targetE1EEEvSI_.uses_flat_scratch, 0
	.set _ZN7rocprim17ROCPRIM_400000_NS6detail17trampoline_kernelINS0_14default_configENS1_37merge_sort_block_sort_config_selectorIN3c104HalfElEEZNS1_21merge_sort_block_sortIS3_PS6_S9_N6thrust23THRUST_200600_302600_NS10device_ptrIlEESD_NSB_4lessIS6_EEEE10hipError_tT0_T1_T2_T3_mRjT4_P12ihipStream_tbNS1_7vsmem_tEEUlT_E_NS1_11comp_targetILNS1_3genE8ELNS1_11target_archE1030ELNS1_3gpuE2ELNS1_3repE0EEENS1_30default_config_static_selectorELNS0_4arch9wavefront6targetE1EEEvSI_.has_dyn_sized_stack, 0
	.set _ZN7rocprim17ROCPRIM_400000_NS6detail17trampoline_kernelINS0_14default_configENS1_37merge_sort_block_sort_config_selectorIN3c104HalfElEEZNS1_21merge_sort_block_sortIS3_PS6_S9_N6thrust23THRUST_200600_302600_NS10device_ptrIlEESD_NSB_4lessIS6_EEEE10hipError_tT0_T1_T2_T3_mRjT4_P12ihipStream_tbNS1_7vsmem_tEEUlT_E_NS1_11comp_targetILNS1_3genE8ELNS1_11target_archE1030ELNS1_3gpuE2ELNS1_3repE0EEENS1_30default_config_static_selectorELNS0_4arch9wavefront6targetE1EEEvSI_.has_recursion, 0
	.set _ZN7rocprim17ROCPRIM_400000_NS6detail17trampoline_kernelINS0_14default_configENS1_37merge_sort_block_sort_config_selectorIN3c104HalfElEEZNS1_21merge_sort_block_sortIS3_PS6_S9_N6thrust23THRUST_200600_302600_NS10device_ptrIlEESD_NSB_4lessIS6_EEEE10hipError_tT0_T1_T2_T3_mRjT4_P12ihipStream_tbNS1_7vsmem_tEEUlT_E_NS1_11comp_targetILNS1_3genE8ELNS1_11target_archE1030ELNS1_3gpuE2ELNS1_3repE0EEENS1_30default_config_static_selectorELNS0_4arch9wavefront6targetE1EEEvSI_.has_indirect_call, 0
	.section	.AMDGPU.csdata,"",@progbits
; Kernel info:
; codeLenInByte = 0
; TotalNumSgprs: 4
; NumVgprs: 0
; ScratchSize: 0
; MemoryBound: 0
; FloatMode: 240
; IeeeMode: 1
; LDSByteSize: 0 bytes/workgroup (compile time only)
; SGPRBlocks: 0
; VGPRBlocks: 0
; NumSGPRsForWavesPerEU: 4
; NumVGPRsForWavesPerEU: 1
; Occupancy: 10
; WaveLimiterHint : 0
; COMPUTE_PGM_RSRC2:SCRATCH_EN: 0
; COMPUTE_PGM_RSRC2:USER_SGPR: 6
; COMPUTE_PGM_RSRC2:TRAP_HANDLER: 0
; COMPUTE_PGM_RSRC2:TGID_X_EN: 1
; COMPUTE_PGM_RSRC2:TGID_Y_EN: 0
; COMPUTE_PGM_RSRC2:TGID_Z_EN: 0
; COMPUTE_PGM_RSRC2:TIDIG_COMP_CNT: 0
	.section	.text._ZN7rocprim17ROCPRIM_400000_NS6detail17trampoline_kernelINS0_14default_configENS1_38merge_sort_block_merge_config_selectorIN3c104HalfElEEZZNS1_27merge_sort_block_merge_implIS3_PS6_N6thrust23THRUST_200600_302600_NS10device_ptrIlEEmNSB_4lessIS6_EEEE10hipError_tT0_T1_T2_jT3_P12ihipStream_tbPNSt15iterator_traitsISH_E10value_typeEPNSN_ISI_E10value_typeEPSJ_NS1_7vsmem_tEENKUlT_SH_SI_SJ_E_clIS9_S9_PlSD_EESG_SW_SH_SI_SJ_EUlSW_E_NS1_11comp_targetILNS1_3genE0ELNS1_11target_archE4294967295ELNS1_3gpuE0ELNS1_3repE0EEENS1_48merge_mergepath_partition_config_static_selectorELNS0_4arch9wavefront6targetE1EEEvSI_,"axG",@progbits,_ZN7rocprim17ROCPRIM_400000_NS6detail17trampoline_kernelINS0_14default_configENS1_38merge_sort_block_merge_config_selectorIN3c104HalfElEEZZNS1_27merge_sort_block_merge_implIS3_PS6_N6thrust23THRUST_200600_302600_NS10device_ptrIlEEmNSB_4lessIS6_EEEE10hipError_tT0_T1_T2_jT3_P12ihipStream_tbPNSt15iterator_traitsISH_E10value_typeEPNSN_ISI_E10value_typeEPSJ_NS1_7vsmem_tEENKUlT_SH_SI_SJ_E_clIS9_S9_PlSD_EESG_SW_SH_SI_SJ_EUlSW_E_NS1_11comp_targetILNS1_3genE0ELNS1_11target_archE4294967295ELNS1_3gpuE0ELNS1_3repE0EEENS1_48merge_mergepath_partition_config_static_selectorELNS0_4arch9wavefront6targetE1EEEvSI_,comdat
	.protected	_ZN7rocprim17ROCPRIM_400000_NS6detail17trampoline_kernelINS0_14default_configENS1_38merge_sort_block_merge_config_selectorIN3c104HalfElEEZZNS1_27merge_sort_block_merge_implIS3_PS6_N6thrust23THRUST_200600_302600_NS10device_ptrIlEEmNSB_4lessIS6_EEEE10hipError_tT0_T1_T2_jT3_P12ihipStream_tbPNSt15iterator_traitsISH_E10value_typeEPNSN_ISI_E10value_typeEPSJ_NS1_7vsmem_tEENKUlT_SH_SI_SJ_E_clIS9_S9_PlSD_EESG_SW_SH_SI_SJ_EUlSW_E_NS1_11comp_targetILNS1_3genE0ELNS1_11target_archE4294967295ELNS1_3gpuE0ELNS1_3repE0EEENS1_48merge_mergepath_partition_config_static_selectorELNS0_4arch9wavefront6targetE1EEEvSI_ ; -- Begin function _ZN7rocprim17ROCPRIM_400000_NS6detail17trampoline_kernelINS0_14default_configENS1_38merge_sort_block_merge_config_selectorIN3c104HalfElEEZZNS1_27merge_sort_block_merge_implIS3_PS6_N6thrust23THRUST_200600_302600_NS10device_ptrIlEEmNSB_4lessIS6_EEEE10hipError_tT0_T1_T2_jT3_P12ihipStream_tbPNSt15iterator_traitsISH_E10value_typeEPNSN_ISI_E10value_typeEPSJ_NS1_7vsmem_tEENKUlT_SH_SI_SJ_E_clIS9_S9_PlSD_EESG_SW_SH_SI_SJ_EUlSW_E_NS1_11comp_targetILNS1_3genE0ELNS1_11target_archE4294967295ELNS1_3gpuE0ELNS1_3repE0EEENS1_48merge_mergepath_partition_config_static_selectorELNS0_4arch9wavefront6targetE1EEEvSI_
	.globl	_ZN7rocprim17ROCPRIM_400000_NS6detail17trampoline_kernelINS0_14default_configENS1_38merge_sort_block_merge_config_selectorIN3c104HalfElEEZZNS1_27merge_sort_block_merge_implIS3_PS6_N6thrust23THRUST_200600_302600_NS10device_ptrIlEEmNSB_4lessIS6_EEEE10hipError_tT0_T1_T2_jT3_P12ihipStream_tbPNSt15iterator_traitsISH_E10value_typeEPNSN_ISI_E10value_typeEPSJ_NS1_7vsmem_tEENKUlT_SH_SI_SJ_E_clIS9_S9_PlSD_EESG_SW_SH_SI_SJ_EUlSW_E_NS1_11comp_targetILNS1_3genE0ELNS1_11target_archE4294967295ELNS1_3gpuE0ELNS1_3repE0EEENS1_48merge_mergepath_partition_config_static_selectorELNS0_4arch9wavefront6targetE1EEEvSI_
	.p2align	8
	.type	_ZN7rocprim17ROCPRIM_400000_NS6detail17trampoline_kernelINS0_14default_configENS1_38merge_sort_block_merge_config_selectorIN3c104HalfElEEZZNS1_27merge_sort_block_merge_implIS3_PS6_N6thrust23THRUST_200600_302600_NS10device_ptrIlEEmNSB_4lessIS6_EEEE10hipError_tT0_T1_T2_jT3_P12ihipStream_tbPNSt15iterator_traitsISH_E10value_typeEPNSN_ISI_E10value_typeEPSJ_NS1_7vsmem_tEENKUlT_SH_SI_SJ_E_clIS9_S9_PlSD_EESG_SW_SH_SI_SJ_EUlSW_E_NS1_11comp_targetILNS1_3genE0ELNS1_11target_archE4294967295ELNS1_3gpuE0ELNS1_3repE0EEENS1_48merge_mergepath_partition_config_static_selectorELNS0_4arch9wavefront6targetE1EEEvSI_,@function
_ZN7rocprim17ROCPRIM_400000_NS6detail17trampoline_kernelINS0_14default_configENS1_38merge_sort_block_merge_config_selectorIN3c104HalfElEEZZNS1_27merge_sort_block_merge_implIS3_PS6_N6thrust23THRUST_200600_302600_NS10device_ptrIlEEmNSB_4lessIS6_EEEE10hipError_tT0_T1_T2_jT3_P12ihipStream_tbPNSt15iterator_traitsISH_E10value_typeEPNSN_ISI_E10value_typeEPSJ_NS1_7vsmem_tEENKUlT_SH_SI_SJ_E_clIS9_S9_PlSD_EESG_SW_SH_SI_SJ_EUlSW_E_NS1_11comp_targetILNS1_3genE0ELNS1_11target_archE4294967295ELNS1_3gpuE0ELNS1_3repE0EEENS1_48merge_mergepath_partition_config_static_selectorELNS0_4arch9wavefront6targetE1EEEvSI_: ; @_ZN7rocprim17ROCPRIM_400000_NS6detail17trampoline_kernelINS0_14default_configENS1_38merge_sort_block_merge_config_selectorIN3c104HalfElEEZZNS1_27merge_sort_block_merge_implIS3_PS6_N6thrust23THRUST_200600_302600_NS10device_ptrIlEEmNSB_4lessIS6_EEEE10hipError_tT0_T1_T2_jT3_P12ihipStream_tbPNSt15iterator_traitsISH_E10value_typeEPNSN_ISI_E10value_typeEPSJ_NS1_7vsmem_tEENKUlT_SH_SI_SJ_E_clIS9_S9_PlSD_EESG_SW_SH_SI_SJ_EUlSW_E_NS1_11comp_targetILNS1_3genE0ELNS1_11target_archE4294967295ELNS1_3gpuE0ELNS1_3repE0EEENS1_48merge_mergepath_partition_config_static_selectorELNS0_4arch9wavefront6targetE1EEEvSI_
; %bb.0:
	.section	.rodata,"a",@progbits
	.p2align	6, 0x0
	.amdhsa_kernel _ZN7rocprim17ROCPRIM_400000_NS6detail17trampoline_kernelINS0_14default_configENS1_38merge_sort_block_merge_config_selectorIN3c104HalfElEEZZNS1_27merge_sort_block_merge_implIS3_PS6_N6thrust23THRUST_200600_302600_NS10device_ptrIlEEmNSB_4lessIS6_EEEE10hipError_tT0_T1_T2_jT3_P12ihipStream_tbPNSt15iterator_traitsISH_E10value_typeEPNSN_ISI_E10value_typeEPSJ_NS1_7vsmem_tEENKUlT_SH_SI_SJ_E_clIS9_S9_PlSD_EESG_SW_SH_SI_SJ_EUlSW_E_NS1_11comp_targetILNS1_3genE0ELNS1_11target_archE4294967295ELNS1_3gpuE0ELNS1_3repE0EEENS1_48merge_mergepath_partition_config_static_selectorELNS0_4arch9wavefront6targetE1EEEvSI_
		.amdhsa_group_segment_fixed_size 0
		.amdhsa_private_segment_fixed_size 0
		.amdhsa_kernarg_size 48
		.amdhsa_user_sgpr_count 6
		.amdhsa_user_sgpr_private_segment_buffer 1
		.amdhsa_user_sgpr_dispatch_ptr 0
		.amdhsa_user_sgpr_queue_ptr 0
		.amdhsa_user_sgpr_kernarg_segment_ptr 1
		.amdhsa_user_sgpr_dispatch_id 0
		.amdhsa_user_sgpr_flat_scratch_init 0
		.amdhsa_user_sgpr_private_segment_size 0
		.amdhsa_uses_dynamic_stack 0
		.amdhsa_system_sgpr_private_segment_wavefront_offset 0
		.amdhsa_system_sgpr_workgroup_id_x 1
		.amdhsa_system_sgpr_workgroup_id_y 0
		.amdhsa_system_sgpr_workgroup_id_z 0
		.amdhsa_system_sgpr_workgroup_info 0
		.amdhsa_system_vgpr_workitem_id 0
		.amdhsa_next_free_vgpr 1
		.amdhsa_next_free_sgpr 0
		.amdhsa_reserve_vcc 0
		.amdhsa_reserve_flat_scratch 0
		.amdhsa_float_round_mode_32 0
		.amdhsa_float_round_mode_16_64 0
		.amdhsa_float_denorm_mode_32 3
		.amdhsa_float_denorm_mode_16_64 3
		.amdhsa_dx10_clamp 1
		.amdhsa_ieee_mode 1
		.amdhsa_fp16_overflow 0
		.amdhsa_exception_fp_ieee_invalid_op 0
		.amdhsa_exception_fp_denorm_src 0
		.amdhsa_exception_fp_ieee_div_zero 0
		.amdhsa_exception_fp_ieee_overflow 0
		.amdhsa_exception_fp_ieee_underflow 0
		.amdhsa_exception_fp_ieee_inexact 0
		.amdhsa_exception_int_div_zero 0
	.end_amdhsa_kernel
	.section	.text._ZN7rocprim17ROCPRIM_400000_NS6detail17trampoline_kernelINS0_14default_configENS1_38merge_sort_block_merge_config_selectorIN3c104HalfElEEZZNS1_27merge_sort_block_merge_implIS3_PS6_N6thrust23THRUST_200600_302600_NS10device_ptrIlEEmNSB_4lessIS6_EEEE10hipError_tT0_T1_T2_jT3_P12ihipStream_tbPNSt15iterator_traitsISH_E10value_typeEPNSN_ISI_E10value_typeEPSJ_NS1_7vsmem_tEENKUlT_SH_SI_SJ_E_clIS9_S9_PlSD_EESG_SW_SH_SI_SJ_EUlSW_E_NS1_11comp_targetILNS1_3genE0ELNS1_11target_archE4294967295ELNS1_3gpuE0ELNS1_3repE0EEENS1_48merge_mergepath_partition_config_static_selectorELNS0_4arch9wavefront6targetE1EEEvSI_,"axG",@progbits,_ZN7rocprim17ROCPRIM_400000_NS6detail17trampoline_kernelINS0_14default_configENS1_38merge_sort_block_merge_config_selectorIN3c104HalfElEEZZNS1_27merge_sort_block_merge_implIS3_PS6_N6thrust23THRUST_200600_302600_NS10device_ptrIlEEmNSB_4lessIS6_EEEE10hipError_tT0_T1_T2_jT3_P12ihipStream_tbPNSt15iterator_traitsISH_E10value_typeEPNSN_ISI_E10value_typeEPSJ_NS1_7vsmem_tEENKUlT_SH_SI_SJ_E_clIS9_S9_PlSD_EESG_SW_SH_SI_SJ_EUlSW_E_NS1_11comp_targetILNS1_3genE0ELNS1_11target_archE4294967295ELNS1_3gpuE0ELNS1_3repE0EEENS1_48merge_mergepath_partition_config_static_selectorELNS0_4arch9wavefront6targetE1EEEvSI_,comdat
.Lfunc_end2124:
	.size	_ZN7rocprim17ROCPRIM_400000_NS6detail17trampoline_kernelINS0_14default_configENS1_38merge_sort_block_merge_config_selectorIN3c104HalfElEEZZNS1_27merge_sort_block_merge_implIS3_PS6_N6thrust23THRUST_200600_302600_NS10device_ptrIlEEmNSB_4lessIS6_EEEE10hipError_tT0_T1_T2_jT3_P12ihipStream_tbPNSt15iterator_traitsISH_E10value_typeEPNSN_ISI_E10value_typeEPSJ_NS1_7vsmem_tEENKUlT_SH_SI_SJ_E_clIS9_S9_PlSD_EESG_SW_SH_SI_SJ_EUlSW_E_NS1_11comp_targetILNS1_3genE0ELNS1_11target_archE4294967295ELNS1_3gpuE0ELNS1_3repE0EEENS1_48merge_mergepath_partition_config_static_selectorELNS0_4arch9wavefront6targetE1EEEvSI_, .Lfunc_end2124-_ZN7rocprim17ROCPRIM_400000_NS6detail17trampoline_kernelINS0_14default_configENS1_38merge_sort_block_merge_config_selectorIN3c104HalfElEEZZNS1_27merge_sort_block_merge_implIS3_PS6_N6thrust23THRUST_200600_302600_NS10device_ptrIlEEmNSB_4lessIS6_EEEE10hipError_tT0_T1_T2_jT3_P12ihipStream_tbPNSt15iterator_traitsISH_E10value_typeEPNSN_ISI_E10value_typeEPSJ_NS1_7vsmem_tEENKUlT_SH_SI_SJ_E_clIS9_S9_PlSD_EESG_SW_SH_SI_SJ_EUlSW_E_NS1_11comp_targetILNS1_3genE0ELNS1_11target_archE4294967295ELNS1_3gpuE0ELNS1_3repE0EEENS1_48merge_mergepath_partition_config_static_selectorELNS0_4arch9wavefront6targetE1EEEvSI_
                                        ; -- End function
	.set _ZN7rocprim17ROCPRIM_400000_NS6detail17trampoline_kernelINS0_14default_configENS1_38merge_sort_block_merge_config_selectorIN3c104HalfElEEZZNS1_27merge_sort_block_merge_implIS3_PS6_N6thrust23THRUST_200600_302600_NS10device_ptrIlEEmNSB_4lessIS6_EEEE10hipError_tT0_T1_T2_jT3_P12ihipStream_tbPNSt15iterator_traitsISH_E10value_typeEPNSN_ISI_E10value_typeEPSJ_NS1_7vsmem_tEENKUlT_SH_SI_SJ_E_clIS9_S9_PlSD_EESG_SW_SH_SI_SJ_EUlSW_E_NS1_11comp_targetILNS1_3genE0ELNS1_11target_archE4294967295ELNS1_3gpuE0ELNS1_3repE0EEENS1_48merge_mergepath_partition_config_static_selectorELNS0_4arch9wavefront6targetE1EEEvSI_.num_vgpr, 0
	.set _ZN7rocprim17ROCPRIM_400000_NS6detail17trampoline_kernelINS0_14default_configENS1_38merge_sort_block_merge_config_selectorIN3c104HalfElEEZZNS1_27merge_sort_block_merge_implIS3_PS6_N6thrust23THRUST_200600_302600_NS10device_ptrIlEEmNSB_4lessIS6_EEEE10hipError_tT0_T1_T2_jT3_P12ihipStream_tbPNSt15iterator_traitsISH_E10value_typeEPNSN_ISI_E10value_typeEPSJ_NS1_7vsmem_tEENKUlT_SH_SI_SJ_E_clIS9_S9_PlSD_EESG_SW_SH_SI_SJ_EUlSW_E_NS1_11comp_targetILNS1_3genE0ELNS1_11target_archE4294967295ELNS1_3gpuE0ELNS1_3repE0EEENS1_48merge_mergepath_partition_config_static_selectorELNS0_4arch9wavefront6targetE1EEEvSI_.num_agpr, 0
	.set _ZN7rocprim17ROCPRIM_400000_NS6detail17trampoline_kernelINS0_14default_configENS1_38merge_sort_block_merge_config_selectorIN3c104HalfElEEZZNS1_27merge_sort_block_merge_implIS3_PS6_N6thrust23THRUST_200600_302600_NS10device_ptrIlEEmNSB_4lessIS6_EEEE10hipError_tT0_T1_T2_jT3_P12ihipStream_tbPNSt15iterator_traitsISH_E10value_typeEPNSN_ISI_E10value_typeEPSJ_NS1_7vsmem_tEENKUlT_SH_SI_SJ_E_clIS9_S9_PlSD_EESG_SW_SH_SI_SJ_EUlSW_E_NS1_11comp_targetILNS1_3genE0ELNS1_11target_archE4294967295ELNS1_3gpuE0ELNS1_3repE0EEENS1_48merge_mergepath_partition_config_static_selectorELNS0_4arch9wavefront6targetE1EEEvSI_.numbered_sgpr, 0
	.set _ZN7rocprim17ROCPRIM_400000_NS6detail17trampoline_kernelINS0_14default_configENS1_38merge_sort_block_merge_config_selectorIN3c104HalfElEEZZNS1_27merge_sort_block_merge_implIS3_PS6_N6thrust23THRUST_200600_302600_NS10device_ptrIlEEmNSB_4lessIS6_EEEE10hipError_tT0_T1_T2_jT3_P12ihipStream_tbPNSt15iterator_traitsISH_E10value_typeEPNSN_ISI_E10value_typeEPSJ_NS1_7vsmem_tEENKUlT_SH_SI_SJ_E_clIS9_S9_PlSD_EESG_SW_SH_SI_SJ_EUlSW_E_NS1_11comp_targetILNS1_3genE0ELNS1_11target_archE4294967295ELNS1_3gpuE0ELNS1_3repE0EEENS1_48merge_mergepath_partition_config_static_selectorELNS0_4arch9wavefront6targetE1EEEvSI_.num_named_barrier, 0
	.set _ZN7rocprim17ROCPRIM_400000_NS6detail17trampoline_kernelINS0_14default_configENS1_38merge_sort_block_merge_config_selectorIN3c104HalfElEEZZNS1_27merge_sort_block_merge_implIS3_PS6_N6thrust23THRUST_200600_302600_NS10device_ptrIlEEmNSB_4lessIS6_EEEE10hipError_tT0_T1_T2_jT3_P12ihipStream_tbPNSt15iterator_traitsISH_E10value_typeEPNSN_ISI_E10value_typeEPSJ_NS1_7vsmem_tEENKUlT_SH_SI_SJ_E_clIS9_S9_PlSD_EESG_SW_SH_SI_SJ_EUlSW_E_NS1_11comp_targetILNS1_3genE0ELNS1_11target_archE4294967295ELNS1_3gpuE0ELNS1_3repE0EEENS1_48merge_mergepath_partition_config_static_selectorELNS0_4arch9wavefront6targetE1EEEvSI_.private_seg_size, 0
	.set _ZN7rocprim17ROCPRIM_400000_NS6detail17trampoline_kernelINS0_14default_configENS1_38merge_sort_block_merge_config_selectorIN3c104HalfElEEZZNS1_27merge_sort_block_merge_implIS3_PS6_N6thrust23THRUST_200600_302600_NS10device_ptrIlEEmNSB_4lessIS6_EEEE10hipError_tT0_T1_T2_jT3_P12ihipStream_tbPNSt15iterator_traitsISH_E10value_typeEPNSN_ISI_E10value_typeEPSJ_NS1_7vsmem_tEENKUlT_SH_SI_SJ_E_clIS9_S9_PlSD_EESG_SW_SH_SI_SJ_EUlSW_E_NS1_11comp_targetILNS1_3genE0ELNS1_11target_archE4294967295ELNS1_3gpuE0ELNS1_3repE0EEENS1_48merge_mergepath_partition_config_static_selectorELNS0_4arch9wavefront6targetE1EEEvSI_.uses_vcc, 0
	.set _ZN7rocprim17ROCPRIM_400000_NS6detail17trampoline_kernelINS0_14default_configENS1_38merge_sort_block_merge_config_selectorIN3c104HalfElEEZZNS1_27merge_sort_block_merge_implIS3_PS6_N6thrust23THRUST_200600_302600_NS10device_ptrIlEEmNSB_4lessIS6_EEEE10hipError_tT0_T1_T2_jT3_P12ihipStream_tbPNSt15iterator_traitsISH_E10value_typeEPNSN_ISI_E10value_typeEPSJ_NS1_7vsmem_tEENKUlT_SH_SI_SJ_E_clIS9_S9_PlSD_EESG_SW_SH_SI_SJ_EUlSW_E_NS1_11comp_targetILNS1_3genE0ELNS1_11target_archE4294967295ELNS1_3gpuE0ELNS1_3repE0EEENS1_48merge_mergepath_partition_config_static_selectorELNS0_4arch9wavefront6targetE1EEEvSI_.uses_flat_scratch, 0
	.set _ZN7rocprim17ROCPRIM_400000_NS6detail17trampoline_kernelINS0_14default_configENS1_38merge_sort_block_merge_config_selectorIN3c104HalfElEEZZNS1_27merge_sort_block_merge_implIS3_PS6_N6thrust23THRUST_200600_302600_NS10device_ptrIlEEmNSB_4lessIS6_EEEE10hipError_tT0_T1_T2_jT3_P12ihipStream_tbPNSt15iterator_traitsISH_E10value_typeEPNSN_ISI_E10value_typeEPSJ_NS1_7vsmem_tEENKUlT_SH_SI_SJ_E_clIS9_S9_PlSD_EESG_SW_SH_SI_SJ_EUlSW_E_NS1_11comp_targetILNS1_3genE0ELNS1_11target_archE4294967295ELNS1_3gpuE0ELNS1_3repE0EEENS1_48merge_mergepath_partition_config_static_selectorELNS0_4arch9wavefront6targetE1EEEvSI_.has_dyn_sized_stack, 0
	.set _ZN7rocprim17ROCPRIM_400000_NS6detail17trampoline_kernelINS0_14default_configENS1_38merge_sort_block_merge_config_selectorIN3c104HalfElEEZZNS1_27merge_sort_block_merge_implIS3_PS6_N6thrust23THRUST_200600_302600_NS10device_ptrIlEEmNSB_4lessIS6_EEEE10hipError_tT0_T1_T2_jT3_P12ihipStream_tbPNSt15iterator_traitsISH_E10value_typeEPNSN_ISI_E10value_typeEPSJ_NS1_7vsmem_tEENKUlT_SH_SI_SJ_E_clIS9_S9_PlSD_EESG_SW_SH_SI_SJ_EUlSW_E_NS1_11comp_targetILNS1_3genE0ELNS1_11target_archE4294967295ELNS1_3gpuE0ELNS1_3repE0EEENS1_48merge_mergepath_partition_config_static_selectorELNS0_4arch9wavefront6targetE1EEEvSI_.has_recursion, 0
	.set _ZN7rocprim17ROCPRIM_400000_NS6detail17trampoline_kernelINS0_14default_configENS1_38merge_sort_block_merge_config_selectorIN3c104HalfElEEZZNS1_27merge_sort_block_merge_implIS3_PS6_N6thrust23THRUST_200600_302600_NS10device_ptrIlEEmNSB_4lessIS6_EEEE10hipError_tT0_T1_T2_jT3_P12ihipStream_tbPNSt15iterator_traitsISH_E10value_typeEPNSN_ISI_E10value_typeEPSJ_NS1_7vsmem_tEENKUlT_SH_SI_SJ_E_clIS9_S9_PlSD_EESG_SW_SH_SI_SJ_EUlSW_E_NS1_11comp_targetILNS1_3genE0ELNS1_11target_archE4294967295ELNS1_3gpuE0ELNS1_3repE0EEENS1_48merge_mergepath_partition_config_static_selectorELNS0_4arch9wavefront6targetE1EEEvSI_.has_indirect_call, 0
	.section	.AMDGPU.csdata,"",@progbits
; Kernel info:
; codeLenInByte = 0
; TotalNumSgprs: 4
; NumVgprs: 0
; ScratchSize: 0
; MemoryBound: 0
; FloatMode: 240
; IeeeMode: 1
; LDSByteSize: 0 bytes/workgroup (compile time only)
; SGPRBlocks: 0
; VGPRBlocks: 0
; NumSGPRsForWavesPerEU: 4
; NumVGPRsForWavesPerEU: 1
; Occupancy: 10
; WaveLimiterHint : 0
; COMPUTE_PGM_RSRC2:SCRATCH_EN: 0
; COMPUTE_PGM_RSRC2:USER_SGPR: 6
; COMPUTE_PGM_RSRC2:TRAP_HANDLER: 0
; COMPUTE_PGM_RSRC2:TGID_X_EN: 1
; COMPUTE_PGM_RSRC2:TGID_Y_EN: 0
; COMPUTE_PGM_RSRC2:TGID_Z_EN: 0
; COMPUTE_PGM_RSRC2:TIDIG_COMP_CNT: 0
	.section	.text._ZN7rocprim17ROCPRIM_400000_NS6detail17trampoline_kernelINS0_14default_configENS1_38merge_sort_block_merge_config_selectorIN3c104HalfElEEZZNS1_27merge_sort_block_merge_implIS3_PS6_N6thrust23THRUST_200600_302600_NS10device_ptrIlEEmNSB_4lessIS6_EEEE10hipError_tT0_T1_T2_jT3_P12ihipStream_tbPNSt15iterator_traitsISH_E10value_typeEPNSN_ISI_E10value_typeEPSJ_NS1_7vsmem_tEENKUlT_SH_SI_SJ_E_clIS9_S9_PlSD_EESG_SW_SH_SI_SJ_EUlSW_E_NS1_11comp_targetILNS1_3genE10ELNS1_11target_archE1201ELNS1_3gpuE5ELNS1_3repE0EEENS1_48merge_mergepath_partition_config_static_selectorELNS0_4arch9wavefront6targetE1EEEvSI_,"axG",@progbits,_ZN7rocprim17ROCPRIM_400000_NS6detail17trampoline_kernelINS0_14default_configENS1_38merge_sort_block_merge_config_selectorIN3c104HalfElEEZZNS1_27merge_sort_block_merge_implIS3_PS6_N6thrust23THRUST_200600_302600_NS10device_ptrIlEEmNSB_4lessIS6_EEEE10hipError_tT0_T1_T2_jT3_P12ihipStream_tbPNSt15iterator_traitsISH_E10value_typeEPNSN_ISI_E10value_typeEPSJ_NS1_7vsmem_tEENKUlT_SH_SI_SJ_E_clIS9_S9_PlSD_EESG_SW_SH_SI_SJ_EUlSW_E_NS1_11comp_targetILNS1_3genE10ELNS1_11target_archE1201ELNS1_3gpuE5ELNS1_3repE0EEENS1_48merge_mergepath_partition_config_static_selectorELNS0_4arch9wavefront6targetE1EEEvSI_,comdat
	.protected	_ZN7rocprim17ROCPRIM_400000_NS6detail17trampoline_kernelINS0_14default_configENS1_38merge_sort_block_merge_config_selectorIN3c104HalfElEEZZNS1_27merge_sort_block_merge_implIS3_PS6_N6thrust23THRUST_200600_302600_NS10device_ptrIlEEmNSB_4lessIS6_EEEE10hipError_tT0_T1_T2_jT3_P12ihipStream_tbPNSt15iterator_traitsISH_E10value_typeEPNSN_ISI_E10value_typeEPSJ_NS1_7vsmem_tEENKUlT_SH_SI_SJ_E_clIS9_S9_PlSD_EESG_SW_SH_SI_SJ_EUlSW_E_NS1_11comp_targetILNS1_3genE10ELNS1_11target_archE1201ELNS1_3gpuE5ELNS1_3repE0EEENS1_48merge_mergepath_partition_config_static_selectorELNS0_4arch9wavefront6targetE1EEEvSI_ ; -- Begin function _ZN7rocprim17ROCPRIM_400000_NS6detail17trampoline_kernelINS0_14default_configENS1_38merge_sort_block_merge_config_selectorIN3c104HalfElEEZZNS1_27merge_sort_block_merge_implIS3_PS6_N6thrust23THRUST_200600_302600_NS10device_ptrIlEEmNSB_4lessIS6_EEEE10hipError_tT0_T1_T2_jT3_P12ihipStream_tbPNSt15iterator_traitsISH_E10value_typeEPNSN_ISI_E10value_typeEPSJ_NS1_7vsmem_tEENKUlT_SH_SI_SJ_E_clIS9_S9_PlSD_EESG_SW_SH_SI_SJ_EUlSW_E_NS1_11comp_targetILNS1_3genE10ELNS1_11target_archE1201ELNS1_3gpuE5ELNS1_3repE0EEENS1_48merge_mergepath_partition_config_static_selectorELNS0_4arch9wavefront6targetE1EEEvSI_
	.globl	_ZN7rocprim17ROCPRIM_400000_NS6detail17trampoline_kernelINS0_14default_configENS1_38merge_sort_block_merge_config_selectorIN3c104HalfElEEZZNS1_27merge_sort_block_merge_implIS3_PS6_N6thrust23THRUST_200600_302600_NS10device_ptrIlEEmNSB_4lessIS6_EEEE10hipError_tT0_T1_T2_jT3_P12ihipStream_tbPNSt15iterator_traitsISH_E10value_typeEPNSN_ISI_E10value_typeEPSJ_NS1_7vsmem_tEENKUlT_SH_SI_SJ_E_clIS9_S9_PlSD_EESG_SW_SH_SI_SJ_EUlSW_E_NS1_11comp_targetILNS1_3genE10ELNS1_11target_archE1201ELNS1_3gpuE5ELNS1_3repE0EEENS1_48merge_mergepath_partition_config_static_selectorELNS0_4arch9wavefront6targetE1EEEvSI_
	.p2align	8
	.type	_ZN7rocprim17ROCPRIM_400000_NS6detail17trampoline_kernelINS0_14default_configENS1_38merge_sort_block_merge_config_selectorIN3c104HalfElEEZZNS1_27merge_sort_block_merge_implIS3_PS6_N6thrust23THRUST_200600_302600_NS10device_ptrIlEEmNSB_4lessIS6_EEEE10hipError_tT0_T1_T2_jT3_P12ihipStream_tbPNSt15iterator_traitsISH_E10value_typeEPNSN_ISI_E10value_typeEPSJ_NS1_7vsmem_tEENKUlT_SH_SI_SJ_E_clIS9_S9_PlSD_EESG_SW_SH_SI_SJ_EUlSW_E_NS1_11comp_targetILNS1_3genE10ELNS1_11target_archE1201ELNS1_3gpuE5ELNS1_3repE0EEENS1_48merge_mergepath_partition_config_static_selectorELNS0_4arch9wavefront6targetE1EEEvSI_,@function
_ZN7rocprim17ROCPRIM_400000_NS6detail17trampoline_kernelINS0_14default_configENS1_38merge_sort_block_merge_config_selectorIN3c104HalfElEEZZNS1_27merge_sort_block_merge_implIS3_PS6_N6thrust23THRUST_200600_302600_NS10device_ptrIlEEmNSB_4lessIS6_EEEE10hipError_tT0_T1_T2_jT3_P12ihipStream_tbPNSt15iterator_traitsISH_E10value_typeEPNSN_ISI_E10value_typeEPSJ_NS1_7vsmem_tEENKUlT_SH_SI_SJ_E_clIS9_S9_PlSD_EESG_SW_SH_SI_SJ_EUlSW_E_NS1_11comp_targetILNS1_3genE10ELNS1_11target_archE1201ELNS1_3gpuE5ELNS1_3repE0EEENS1_48merge_mergepath_partition_config_static_selectorELNS0_4arch9wavefront6targetE1EEEvSI_: ; @_ZN7rocprim17ROCPRIM_400000_NS6detail17trampoline_kernelINS0_14default_configENS1_38merge_sort_block_merge_config_selectorIN3c104HalfElEEZZNS1_27merge_sort_block_merge_implIS3_PS6_N6thrust23THRUST_200600_302600_NS10device_ptrIlEEmNSB_4lessIS6_EEEE10hipError_tT0_T1_T2_jT3_P12ihipStream_tbPNSt15iterator_traitsISH_E10value_typeEPNSN_ISI_E10value_typeEPSJ_NS1_7vsmem_tEENKUlT_SH_SI_SJ_E_clIS9_S9_PlSD_EESG_SW_SH_SI_SJ_EUlSW_E_NS1_11comp_targetILNS1_3genE10ELNS1_11target_archE1201ELNS1_3gpuE5ELNS1_3repE0EEENS1_48merge_mergepath_partition_config_static_selectorELNS0_4arch9wavefront6targetE1EEEvSI_
; %bb.0:
	.section	.rodata,"a",@progbits
	.p2align	6, 0x0
	.amdhsa_kernel _ZN7rocprim17ROCPRIM_400000_NS6detail17trampoline_kernelINS0_14default_configENS1_38merge_sort_block_merge_config_selectorIN3c104HalfElEEZZNS1_27merge_sort_block_merge_implIS3_PS6_N6thrust23THRUST_200600_302600_NS10device_ptrIlEEmNSB_4lessIS6_EEEE10hipError_tT0_T1_T2_jT3_P12ihipStream_tbPNSt15iterator_traitsISH_E10value_typeEPNSN_ISI_E10value_typeEPSJ_NS1_7vsmem_tEENKUlT_SH_SI_SJ_E_clIS9_S9_PlSD_EESG_SW_SH_SI_SJ_EUlSW_E_NS1_11comp_targetILNS1_3genE10ELNS1_11target_archE1201ELNS1_3gpuE5ELNS1_3repE0EEENS1_48merge_mergepath_partition_config_static_selectorELNS0_4arch9wavefront6targetE1EEEvSI_
		.amdhsa_group_segment_fixed_size 0
		.amdhsa_private_segment_fixed_size 0
		.amdhsa_kernarg_size 48
		.amdhsa_user_sgpr_count 6
		.amdhsa_user_sgpr_private_segment_buffer 1
		.amdhsa_user_sgpr_dispatch_ptr 0
		.amdhsa_user_sgpr_queue_ptr 0
		.amdhsa_user_sgpr_kernarg_segment_ptr 1
		.amdhsa_user_sgpr_dispatch_id 0
		.amdhsa_user_sgpr_flat_scratch_init 0
		.amdhsa_user_sgpr_private_segment_size 0
		.amdhsa_uses_dynamic_stack 0
		.amdhsa_system_sgpr_private_segment_wavefront_offset 0
		.amdhsa_system_sgpr_workgroup_id_x 1
		.amdhsa_system_sgpr_workgroup_id_y 0
		.amdhsa_system_sgpr_workgroup_id_z 0
		.amdhsa_system_sgpr_workgroup_info 0
		.amdhsa_system_vgpr_workitem_id 0
		.amdhsa_next_free_vgpr 1
		.amdhsa_next_free_sgpr 0
		.amdhsa_reserve_vcc 0
		.amdhsa_reserve_flat_scratch 0
		.amdhsa_float_round_mode_32 0
		.amdhsa_float_round_mode_16_64 0
		.amdhsa_float_denorm_mode_32 3
		.amdhsa_float_denorm_mode_16_64 3
		.amdhsa_dx10_clamp 1
		.amdhsa_ieee_mode 1
		.amdhsa_fp16_overflow 0
		.amdhsa_exception_fp_ieee_invalid_op 0
		.amdhsa_exception_fp_denorm_src 0
		.amdhsa_exception_fp_ieee_div_zero 0
		.amdhsa_exception_fp_ieee_overflow 0
		.amdhsa_exception_fp_ieee_underflow 0
		.amdhsa_exception_fp_ieee_inexact 0
		.amdhsa_exception_int_div_zero 0
	.end_amdhsa_kernel
	.section	.text._ZN7rocprim17ROCPRIM_400000_NS6detail17trampoline_kernelINS0_14default_configENS1_38merge_sort_block_merge_config_selectorIN3c104HalfElEEZZNS1_27merge_sort_block_merge_implIS3_PS6_N6thrust23THRUST_200600_302600_NS10device_ptrIlEEmNSB_4lessIS6_EEEE10hipError_tT0_T1_T2_jT3_P12ihipStream_tbPNSt15iterator_traitsISH_E10value_typeEPNSN_ISI_E10value_typeEPSJ_NS1_7vsmem_tEENKUlT_SH_SI_SJ_E_clIS9_S9_PlSD_EESG_SW_SH_SI_SJ_EUlSW_E_NS1_11comp_targetILNS1_3genE10ELNS1_11target_archE1201ELNS1_3gpuE5ELNS1_3repE0EEENS1_48merge_mergepath_partition_config_static_selectorELNS0_4arch9wavefront6targetE1EEEvSI_,"axG",@progbits,_ZN7rocprim17ROCPRIM_400000_NS6detail17trampoline_kernelINS0_14default_configENS1_38merge_sort_block_merge_config_selectorIN3c104HalfElEEZZNS1_27merge_sort_block_merge_implIS3_PS6_N6thrust23THRUST_200600_302600_NS10device_ptrIlEEmNSB_4lessIS6_EEEE10hipError_tT0_T1_T2_jT3_P12ihipStream_tbPNSt15iterator_traitsISH_E10value_typeEPNSN_ISI_E10value_typeEPSJ_NS1_7vsmem_tEENKUlT_SH_SI_SJ_E_clIS9_S9_PlSD_EESG_SW_SH_SI_SJ_EUlSW_E_NS1_11comp_targetILNS1_3genE10ELNS1_11target_archE1201ELNS1_3gpuE5ELNS1_3repE0EEENS1_48merge_mergepath_partition_config_static_selectorELNS0_4arch9wavefront6targetE1EEEvSI_,comdat
.Lfunc_end2125:
	.size	_ZN7rocprim17ROCPRIM_400000_NS6detail17trampoline_kernelINS0_14default_configENS1_38merge_sort_block_merge_config_selectorIN3c104HalfElEEZZNS1_27merge_sort_block_merge_implIS3_PS6_N6thrust23THRUST_200600_302600_NS10device_ptrIlEEmNSB_4lessIS6_EEEE10hipError_tT0_T1_T2_jT3_P12ihipStream_tbPNSt15iterator_traitsISH_E10value_typeEPNSN_ISI_E10value_typeEPSJ_NS1_7vsmem_tEENKUlT_SH_SI_SJ_E_clIS9_S9_PlSD_EESG_SW_SH_SI_SJ_EUlSW_E_NS1_11comp_targetILNS1_3genE10ELNS1_11target_archE1201ELNS1_3gpuE5ELNS1_3repE0EEENS1_48merge_mergepath_partition_config_static_selectorELNS0_4arch9wavefront6targetE1EEEvSI_, .Lfunc_end2125-_ZN7rocprim17ROCPRIM_400000_NS6detail17trampoline_kernelINS0_14default_configENS1_38merge_sort_block_merge_config_selectorIN3c104HalfElEEZZNS1_27merge_sort_block_merge_implIS3_PS6_N6thrust23THRUST_200600_302600_NS10device_ptrIlEEmNSB_4lessIS6_EEEE10hipError_tT0_T1_T2_jT3_P12ihipStream_tbPNSt15iterator_traitsISH_E10value_typeEPNSN_ISI_E10value_typeEPSJ_NS1_7vsmem_tEENKUlT_SH_SI_SJ_E_clIS9_S9_PlSD_EESG_SW_SH_SI_SJ_EUlSW_E_NS1_11comp_targetILNS1_3genE10ELNS1_11target_archE1201ELNS1_3gpuE5ELNS1_3repE0EEENS1_48merge_mergepath_partition_config_static_selectorELNS0_4arch9wavefront6targetE1EEEvSI_
                                        ; -- End function
	.set _ZN7rocprim17ROCPRIM_400000_NS6detail17trampoline_kernelINS0_14default_configENS1_38merge_sort_block_merge_config_selectorIN3c104HalfElEEZZNS1_27merge_sort_block_merge_implIS3_PS6_N6thrust23THRUST_200600_302600_NS10device_ptrIlEEmNSB_4lessIS6_EEEE10hipError_tT0_T1_T2_jT3_P12ihipStream_tbPNSt15iterator_traitsISH_E10value_typeEPNSN_ISI_E10value_typeEPSJ_NS1_7vsmem_tEENKUlT_SH_SI_SJ_E_clIS9_S9_PlSD_EESG_SW_SH_SI_SJ_EUlSW_E_NS1_11comp_targetILNS1_3genE10ELNS1_11target_archE1201ELNS1_3gpuE5ELNS1_3repE0EEENS1_48merge_mergepath_partition_config_static_selectorELNS0_4arch9wavefront6targetE1EEEvSI_.num_vgpr, 0
	.set _ZN7rocprim17ROCPRIM_400000_NS6detail17trampoline_kernelINS0_14default_configENS1_38merge_sort_block_merge_config_selectorIN3c104HalfElEEZZNS1_27merge_sort_block_merge_implIS3_PS6_N6thrust23THRUST_200600_302600_NS10device_ptrIlEEmNSB_4lessIS6_EEEE10hipError_tT0_T1_T2_jT3_P12ihipStream_tbPNSt15iterator_traitsISH_E10value_typeEPNSN_ISI_E10value_typeEPSJ_NS1_7vsmem_tEENKUlT_SH_SI_SJ_E_clIS9_S9_PlSD_EESG_SW_SH_SI_SJ_EUlSW_E_NS1_11comp_targetILNS1_3genE10ELNS1_11target_archE1201ELNS1_3gpuE5ELNS1_3repE0EEENS1_48merge_mergepath_partition_config_static_selectorELNS0_4arch9wavefront6targetE1EEEvSI_.num_agpr, 0
	.set _ZN7rocprim17ROCPRIM_400000_NS6detail17trampoline_kernelINS0_14default_configENS1_38merge_sort_block_merge_config_selectorIN3c104HalfElEEZZNS1_27merge_sort_block_merge_implIS3_PS6_N6thrust23THRUST_200600_302600_NS10device_ptrIlEEmNSB_4lessIS6_EEEE10hipError_tT0_T1_T2_jT3_P12ihipStream_tbPNSt15iterator_traitsISH_E10value_typeEPNSN_ISI_E10value_typeEPSJ_NS1_7vsmem_tEENKUlT_SH_SI_SJ_E_clIS9_S9_PlSD_EESG_SW_SH_SI_SJ_EUlSW_E_NS1_11comp_targetILNS1_3genE10ELNS1_11target_archE1201ELNS1_3gpuE5ELNS1_3repE0EEENS1_48merge_mergepath_partition_config_static_selectorELNS0_4arch9wavefront6targetE1EEEvSI_.numbered_sgpr, 0
	.set _ZN7rocprim17ROCPRIM_400000_NS6detail17trampoline_kernelINS0_14default_configENS1_38merge_sort_block_merge_config_selectorIN3c104HalfElEEZZNS1_27merge_sort_block_merge_implIS3_PS6_N6thrust23THRUST_200600_302600_NS10device_ptrIlEEmNSB_4lessIS6_EEEE10hipError_tT0_T1_T2_jT3_P12ihipStream_tbPNSt15iterator_traitsISH_E10value_typeEPNSN_ISI_E10value_typeEPSJ_NS1_7vsmem_tEENKUlT_SH_SI_SJ_E_clIS9_S9_PlSD_EESG_SW_SH_SI_SJ_EUlSW_E_NS1_11comp_targetILNS1_3genE10ELNS1_11target_archE1201ELNS1_3gpuE5ELNS1_3repE0EEENS1_48merge_mergepath_partition_config_static_selectorELNS0_4arch9wavefront6targetE1EEEvSI_.num_named_barrier, 0
	.set _ZN7rocprim17ROCPRIM_400000_NS6detail17trampoline_kernelINS0_14default_configENS1_38merge_sort_block_merge_config_selectorIN3c104HalfElEEZZNS1_27merge_sort_block_merge_implIS3_PS6_N6thrust23THRUST_200600_302600_NS10device_ptrIlEEmNSB_4lessIS6_EEEE10hipError_tT0_T1_T2_jT3_P12ihipStream_tbPNSt15iterator_traitsISH_E10value_typeEPNSN_ISI_E10value_typeEPSJ_NS1_7vsmem_tEENKUlT_SH_SI_SJ_E_clIS9_S9_PlSD_EESG_SW_SH_SI_SJ_EUlSW_E_NS1_11comp_targetILNS1_3genE10ELNS1_11target_archE1201ELNS1_3gpuE5ELNS1_3repE0EEENS1_48merge_mergepath_partition_config_static_selectorELNS0_4arch9wavefront6targetE1EEEvSI_.private_seg_size, 0
	.set _ZN7rocprim17ROCPRIM_400000_NS6detail17trampoline_kernelINS0_14default_configENS1_38merge_sort_block_merge_config_selectorIN3c104HalfElEEZZNS1_27merge_sort_block_merge_implIS3_PS6_N6thrust23THRUST_200600_302600_NS10device_ptrIlEEmNSB_4lessIS6_EEEE10hipError_tT0_T1_T2_jT3_P12ihipStream_tbPNSt15iterator_traitsISH_E10value_typeEPNSN_ISI_E10value_typeEPSJ_NS1_7vsmem_tEENKUlT_SH_SI_SJ_E_clIS9_S9_PlSD_EESG_SW_SH_SI_SJ_EUlSW_E_NS1_11comp_targetILNS1_3genE10ELNS1_11target_archE1201ELNS1_3gpuE5ELNS1_3repE0EEENS1_48merge_mergepath_partition_config_static_selectorELNS0_4arch9wavefront6targetE1EEEvSI_.uses_vcc, 0
	.set _ZN7rocprim17ROCPRIM_400000_NS6detail17trampoline_kernelINS0_14default_configENS1_38merge_sort_block_merge_config_selectorIN3c104HalfElEEZZNS1_27merge_sort_block_merge_implIS3_PS6_N6thrust23THRUST_200600_302600_NS10device_ptrIlEEmNSB_4lessIS6_EEEE10hipError_tT0_T1_T2_jT3_P12ihipStream_tbPNSt15iterator_traitsISH_E10value_typeEPNSN_ISI_E10value_typeEPSJ_NS1_7vsmem_tEENKUlT_SH_SI_SJ_E_clIS9_S9_PlSD_EESG_SW_SH_SI_SJ_EUlSW_E_NS1_11comp_targetILNS1_3genE10ELNS1_11target_archE1201ELNS1_3gpuE5ELNS1_3repE0EEENS1_48merge_mergepath_partition_config_static_selectorELNS0_4arch9wavefront6targetE1EEEvSI_.uses_flat_scratch, 0
	.set _ZN7rocprim17ROCPRIM_400000_NS6detail17trampoline_kernelINS0_14default_configENS1_38merge_sort_block_merge_config_selectorIN3c104HalfElEEZZNS1_27merge_sort_block_merge_implIS3_PS6_N6thrust23THRUST_200600_302600_NS10device_ptrIlEEmNSB_4lessIS6_EEEE10hipError_tT0_T1_T2_jT3_P12ihipStream_tbPNSt15iterator_traitsISH_E10value_typeEPNSN_ISI_E10value_typeEPSJ_NS1_7vsmem_tEENKUlT_SH_SI_SJ_E_clIS9_S9_PlSD_EESG_SW_SH_SI_SJ_EUlSW_E_NS1_11comp_targetILNS1_3genE10ELNS1_11target_archE1201ELNS1_3gpuE5ELNS1_3repE0EEENS1_48merge_mergepath_partition_config_static_selectorELNS0_4arch9wavefront6targetE1EEEvSI_.has_dyn_sized_stack, 0
	.set _ZN7rocprim17ROCPRIM_400000_NS6detail17trampoline_kernelINS0_14default_configENS1_38merge_sort_block_merge_config_selectorIN3c104HalfElEEZZNS1_27merge_sort_block_merge_implIS3_PS6_N6thrust23THRUST_200600_302600_NS10device_ptrIlEEmNSB_4lessIS6_EEEE10hipError_tT0_T1_T2_jT3_P12ihipStream_tbPNSt15iterator_traitsISH_E10value_typeEPNSN_ISI_E10value_typeEPSJ_NS1_7vsmem_tEENKUlT_SH_SI_SJ_E_clIS9_S9_PlSD_EESG_SW_SH_SI_SJ_EUlSW_E_NS1_11comp_targetILNS1_3genE10ELNS1_11target_archE1201ELNS1_3gpuE5ELNS1_3repE0EEENS1_48merge_mergepath_partition_config_static_selectorELNS0_4arch9wavefront6targetE1EEEvSI_.has_recursion, 0
	.set _ZN7rocprim17ROCPRIM_400000_NS6detail17trampoline_kernelINS0_14default_configENS1_38merge_sort_block_merge_config_selectorIN3c104HalfElEEZZNS1_27merge_sort_block_merge_implIS3_PS6_N6thrust23THRUST_200600_302600_NS10device_ptrIlEEmNSB_4lessIS6_EEEE10hipError_tT0_T1_T2_jT3_P12ihipStream_tbPNSt15iterator_traitsISH_E10value_typeEPNSN_ISI_E10value_typeEPSJ_NS1_7vsmem_tEENKUlT_SH_SI_SJ_E_clIS9_S9_PlSD_EESG_SW_SH_SI_SJ_EUlSW_E_NS1_11comp_targetILNS1_3genE10ELNS1_11target_archE1201ELNS1_3gpuE5ELNS1_3repE0EEENS1_48merge_mergepath_partition_config_static_selectorELNS0_4arch9wavefront6targetE1EEEvSI_.has_indirect_call, 0
	.section	.AMDGPU.csdata,"",@progbits
; Kernel info:
; codeLenInByte = 0
; TotalNumSgprs: 4
; NumVgprs: 0
; ScratchSize: 0
; MemoryBound: 0
; FloatMode: 240
; IeeeMode: 1
; LDSByteSize: 0 bytes/workgroup (compile time only)
; SGPRBlocks: 0
; VGPRBlocks: 0
; NumSGPRsForWavesPerEU: 4
; NumVGPRsForWavesPerEU: 1
; Occupancy: 10
; WaveLimiterHint : 0
; COMPUTE_PGM_RSRC2:SCRATCH_EN: 0
; COMPUTE_PGM_RSRC2:USER_SGPR: 6
; COMPUTE_PGM_RSRC2:TRAP_HANDLER: 0
; COMPUTE_PGM_RSRC2:TGID_X_EN: 1
; COMPUTE_PGM_RSRC2:TGID_Y_EN: 0
; COMPUTE_PGM_RSRC2:TGID_Z_EN: 0
; COMPUTE_PGM_RSRC2:TIDIG_COMP_CNT: 0
	.section	.text._ZN7rocprim17ROCPRIM_400000_NS6detail17trampoline_kernelINS0_14default_configENS1_38merge_sort_block_merge_config_selectorIN3c104HalfElEEZZNS1_27merge_sort_block_merge_implIS3_PS6_N6thrust23THRUST_200600_302600_NS10device_ptrIlEEmNSB_4lessIS6_EEEE10hipError_tT0_T1_T2_jT3_P12ihipStream_tbPNSt15iterator_traitsISH_E10value_typeEPNSN_ISI_E10value_typeEPSJ_NS1_7vsmem_tEENKUlT_SH_SI_SJ_E_clIS9_S9_PlSD_EESG_SW_SH_SI_SJ_EUlSW_E_NS1_11comp_targetILNS1_3genE5ELNS1_11target_archE942ELNS1_3gpuE9ELNS1_3repE0EEENS1_48merge_mergepath_partition_config_static_selectorELNS0_4arch9wavefront6targetE1EEEvSI_,"axG",@progbits,_ZN7rocprim17ROCPRIM_400000_NS6detail17trampoline_kernelINS0_14default_configENS1_38merge_sort_block_merge_config_selectorIN3c104HalfElEEZZNS1_27merge_sort_block_merge_implIS3_PS6_N6thrust23THRUST_200600_302600_NS10device_ptrIlEEmNSB_4lessIS6_EEEE10hipError_tT0_T1_T2_jT3_P12ihipStream_tbPNSt15iterator_traitsISH_E10value_typeEPNSN_ISI_E10value_typeEPSJ_NS1_7vsmem_tEENKUlT_SH_SI_SJ_E_clIS9_S9_PlSD_EESG_SW_SH_SI_SJ_EUlSW_E_NS1_11comp_targetILNS1_3genE5ELNS1_11target_archE942ELNS1_3gpuE9ELNS1_3repE0EEENS1_48merge_mergepath_partition_config_static_selectorELNS0_4arch9wavefront6targetE1EEEvSI_,comdat
	.protected	_ZN7rocprim17ROCPRIM_400000_NS6detail17trampoline_kernelINS0_14default_configENS1_38merge_sort_block_merge_config_selectorIN3c104HalfElEEZZNS1_27merge_sort_block_merge_implIS3_PS6_N6thrust23THRUST_200600_302600_NS10device_ptrIlEEmNSB_4lessIS6_EEEE10hipError_tT0_T1_T2_jT3_P12ihipStream_tbPNSt15iterator_traitsISH_E10value_typeEPNSN_ISI_E10value_typeEPSJ_NS1_7vsmem_tEENKUlT_SH_SI_SJ_E_clIS9_S9_PlSD_EESG_SW_SH_SI_SJ_EUlSW_E_NS1_11comp_targetILNS1_3genE5ELNS1_11target_archE942ELNS1_3gpuE9ELNS1_3repE0EEENS1_48merge_mergepath_partition_config_static_selectorELNS0_4arch9wavefront6targetE1EEEvSI_ ; -- Begin function _ZN7rocprim17ROCPRIM_400000_NS6detail17trampoline_kernelINS0_14default_configENS1_38merge_sort_block_merge_config_selectorIN3c104HalfElEEZZNS1_27merge_sort_block_merge_implIS3_PS6_N6thrust23THRUST_200600_302600_NS10device_ptrIlEEmNSB_4lessIS6_EEEE10hipError_tT0_T1_T2_jT3_P12ihipStream_tbPNSt15iterator_traitsISH_E10value_typeEPNSN_ISI_E10value_typeEPSJ_NS1_7vsmem_tEENKUlT_SH_SI_SJ_E_clIS9_S9_PlSD_EESG_SW_SH_SI_SJ_EUlSW_E_NS1_11comp_targetILNS1_3genE5ELNS1_11target_archE942ELNS1_3gpuE9ELNS1_3repE0EEENS1_48merge_mergepath_partition_config_static_selectorELNS0_4arch9wavefront6targetE1EEEvSI_
	.globl	_ZN7rocprim17ROCPRIM_400000_NS6detail17trampoline_kernelINS0_14default_configENS1_38merge_sort_block_merge_config_selectorIN3c104HalfElEEZZNS1_27merge_sort_block_merge_implIS3_PS6_N6thrust23THRUST_200600_302600_NS10device_ptrIlEEmNSB_4lessIS6_EEEE10hipError_tT0_T1_T2_jT3_P12ihipStream_tbPNSt15iterator_traitsISH_E10value_typeEPNSN_ISI_E10value_typeEPSJ_NS1_7vsmem_tEENKUlT_SH_SI_SJ_E_clIS9_S9_PlSD_EESG_SW_SH_SI_SJ_EUlSW_E_NS1_11comp_targetILNS1_3genE5ELNS1_11target_archE942ELNS1_3gpuE9ELNS1_3repE0EEENS1_48merge_mergepath_partition_config_static_selectorELNS0_4arch9wavefront6targetE1EEEvSI_
	.p2align	8
	.type	_ZN7rocprim17ROCPRIM_400000_NS6detail17trampoline_kernelINS0_14default_configENS1_38merge_sort_block_merge_config_selectorIN3c104HalfElEEZZNS1_27merge_sort_block_merge_implIS3_PS6_N6thrust23THRUST_200600_302600_NS10device_ptrIlEEmNSB_4lessIS6_EEEE10hipError_tT0_T1_T2_jT3_P12ihipStream_tbPNSt15iterator_traitsISH_E10value_typeEPNSN_ISI_E10value_typeEPSJ_NS1_7vsmem_tEENKUlT_SH_SI_SJ_E_clIS9_S9_PlSD_EESG_SW_SH_SI_SJ_EUlSW_E_NS1_11comp_targetILNS1_3genE5ELNS1_11target_archE942ELNS1_3gpuE9ELNS1_3repE0EEENS1_48merge_mergepath_partition_config_static_selectorELNS0_4arch9wavefront6targetE1EEEvSI_,@function
_ZN7rocprim17ROCPRIM_400000_NS6detail17trampoline_kernelINS0_14default_configENS1_38merge_sort_block_merge_config_selectorIN3c104HalfElEEZZNS1_27merge_sort_block_merge_implIS3_PS6_N6thrust23THRUST_200600_302600_NS10device_ptrIlEEmNSB_4lessIS6_EEEE10hipError_tT0_T1_T2_jT3_P12ihipStream_tbPNSt15iterator_traitsISH_E10value_typeEPNSN_ISI_E10value_typeEPSJ_NS1_7vsmem_tEENKUlT_SH_SI_SJ_E_clIS9_S9_PlSD_EESG_SW_SH_SI_SJ_EUlSW_E_NS1_11comp_targetILNS1_3genE5ELNS1_11target_archE942ELNS1_3gpuE9ELNS1_3repE0EEENS1_48merge_mergepath_partition_config_static_selectorELNS0_4arch9wavefront6targetE1EEEvSI_: ; @_ZN7rocprim17ROCPRIM_400000_NS6detail17trampoline_kernelINS0_14default_configENS1_38merge_sort_block_merge_config_selectorIN3c104HalfElEEZZNS1_27merge_sort_block_merge_implIS3_PS6_N6thrust23THRUST_200600_302600_NS10device_ptrIlEEmNSB_4lessIS6_EEEE10hipError_tT0_T1_T2_jT3_P12ihipStream_tbPNSt15iterator_traitsISH_E10value_typeEPNSN_ISI_E10value_typeEPSJ_NS1_7vsmem_tEENKUlT_SH_SI_SJ_E_clIS9_S9_PlSD_EESG_SW_SH_SI_SJ_EUlSW_E_NS1_11comp_targetILNS1_3genE5ELNS1_11target_archE942ELNS1_3gpuE9ELNS1_3repE0EEENS1_48merge_mergepath_partition_config_static_selectorELNS0_4arch9wavefront6targetE1EEEvSI_
; %bb.0:
	.section	.rodata,"a",@progbits
	.p2align	6, 0x0
	.amdhsa_kernel _ZN7rocprim17ROCPRIM_400000_NS6detail17trampoline_kernelINS0_14default_configENS1_38merge_sort_block_merge_config_selectorIN3c104HalfElEEZZNS1_27merge_sort_block_merge_implIS3_PS6_N6thrust23THRUST_200600_302600_NS10device_ptrIlEEmNSB_4lessIS6_EEEE10hipError_tT0_T1_T2_jT3_P12ihipStream_tbPNSt15iterator_traitsISH_E10value_typeEPNSN_ISI_E10value_typeEPSJ_NS1_7vsmem_tEENKUlT_SH_SI_SJ_E_clIS9_S9_PlSD_EESG_SW_SH_SI_SJ_EUlSW_E_NS1_11comp_targetILNS1_3genE5ELNS1_11target_archE942ELNS1_3gpuE9ELNS1_3repE0EEENS1_48merge_mergepath_partition_config_static_selectorELNS0_4arch9wavefront6targetE1EEEvSI_
		.amdhsa_group_segment_fixed_size 0
		.amdhsa_private_segment_fixed_size 0
		.amdhsa_kernarg_size 48
		.amdhsa_user_sgpr_count 6
		.amdhsa_user_sgpr_private_segment_buffer 1
		.amdhsa_user_sgpr_dispatch_ptr 0
		.amdhsa_user_sgpr_queue_ptr 0
		.amdhsa_user_sgpr_kernarg_segment_ptr 1
		.amdhsa_user_sgpr_dispatch_id 0
		.amdhsa_user_sgpr_flat_scratch_init 0
		.amdhsa_user_sgpr_private_segment_size 0
		.amdhsa_uses_dynamic_stack 0
		.amdhsa_system_sgpr_private_segment_wavefront_offset 0
		.amdhsa_system_sgpr_workgroup_id_x 1
		.amdhsa_system_sgpr_workgroup_id_y 0
		.amdhsa_system_sgpr_workgroup_id_z 0
		.amdhsa_system_sgpr_workgroup_info 0
		.amdhsa_system_vgpr_workitem_id 0
		.amdhsa_next_free_vgpr 1
		.amdhsa_next_free_sgpr 0
		.amdhsa_reserve_vcc 0
		.amdhsa_reserve_flat_scratch 0
		.amdhsa_float_round_mode_32 0
		.amdhsa_float_round_mode_16_64 0
		.amdhsa_float_denorm_mode_32 3
		.amdhsa_float_denorm_mode_16_64 3
		.amdhsa_dx10_clamp 1
		.amdhsa_ieee_mode 1
		.amdhsa_fp16_overflow 0
		.amdhsa_exception_fp_ieee_invalid_op 0
		.amdhsa_exception_fp_denorm_src 0
		.amdhsa_exception_fp_ieee_div_zero 0
		.amdhsa_exception_fp_ieee_overflow 0
		.amdhsa_exception_fp_ieee_underflow 0
		.amdhsa_exception_fp_ieee_inexact 0
		.amdhsa_exception_int_div_zero 0
	.end_amdhsa_kernel
	.section	.text._ZN7rocprim17ROCPRIM_400000_NS6detail17trampoline_kernelINS0_14default_configENS1_38merge_sort_block_merge_config_selectorIN3c104HalfElEEZZNS1_27merge_sort_block_merge_implIS3_PS6_N6thrust23THRUST_200600_302600_NS10device_ptrIlEEmNSB_4lessIS6_EEEE10hipError_tT0_T1_T2_jT3_P12ihipStream_tbPNSt15iterator_traitsISH_E10value_typeEPNSN_ISI_E10value_typeEPSJ_NS1_7vsmem_tEENKUlT_SH_SI_SJ_E_clIS9_S9_PlSD_EESG_SW_SH_SI_SJ_EUlSW_E_NS1_11comp_targetILNS1_3genE5ELNS1_11target_archE942ELNS1_3gpuE9ELNS1_3repE0EEENS1_48merge_mergepath_partition_config_static_selectorELNS0_4arch9wavefront6targetE1EEEvSI_,"axG",@progbits,_ZN7rocprim17ROCPRIM_400000_NS6detail17trampoline_kernelINS0_14default_configENS1_38merge_sort_block_merge_config_selectorIN3c104HalfElEEZZNS1_27merge_sort_block_merge_implIS3_PS6_N6thrust23THRUST_200600_302600_NS10device_ptrIlEEmNSB_4lessIS6_EEEE10hipError_tT0_T1_T2_jT3_P12ihipStream_tbPNSt15iterator_traitsISH_E10value_typeEPNSN_ISI_E10value_typeEPSJ_NS1_7vsmem_tEENKUlT_SH_SI_SJ_E_clIS9_S9_PlSD_EESG_SW_SH_SI_SJ_EUlSW_E_NS1_11comp_targetILNS1_3genE5ELNS1_11target_archE942ELNS1_3gpuE9ELNS1_3repE0EEENS1_48merge_mergepath_partition_config_static_selectorELNS0_4arch9wavefront6targetE1EEEvSI_,comdat
.Lfunc_end2126:
	.size	_ZN7rocprim17ROCPRIM_400000_NS6detail17trampoline_kernelINS0_14default_configENS1_38merge_sort_block_merge_config_selectorIN3c104HalfElEEZZNS1_27merge_sort_block_merge_implIS3_PS6_N6thrust23THRUST_200600_302600_NS10device_ptrIlEEmNSB_4lessIS6_EEEE10hipError_tT0_T1_T2_jT3_P12ihipStream_tbPNSt15iterator_traitsISH_E10value_typeEPNSN_ISI_E10value_typeEPSJ_NS1_7vsmem_tEENKUlT_SH_SI_SJ_E_clIS9_S9_PlSD_EESG_SW_SH_SI_SJ_EUlSW_E_NS1_11comp_targetILNS1_3genE5ELNS1_11target_archE942ELNS1_3gpuE9ELNS1_3repE0EEENS1_48merge_mergepath_partition_config_static_selectorELNS0_4arch9wavefront6targetE1EEEvSI_, .Lfunc_end2126-_ZN7rocprim17ROCPRIM_400000_NS6detail17trampoline_kernelINS0_14default_configENS1_38merge_sort_block_merge_config_selectorIN3c104HalfElEEZZNS1_27merge_sort_block_merge_implIS3_PS6_N6thrust23THRUST_200600_302600_NS10device_ptrIlEEmNSB_4lessIS6_EEEE10hipError_tT0_T1_T2_jT3_P12ihipStream_tbPNSt15iterator_traitsISH_E10value_typeEPNSN_ISI_E10value_typeEPSJ_NS1_7vsmem_tEENKUlT_SH_SI_SJ_E_clIS9_S9_PlSD_EESG_SW_SH_SI_SJ_EUlSW_E_NS1_11comp_targetILNS1_3genE5ELNS1_11target_archE942ELNS1_3gpuE9ELNS1_3repE0EEENS1_48merge_mergepath_partition_config_static_selectorELNS0_4arch9wavefront6targetE1EEEvSI_
                                        ; -- End function
	.set _ZN7rocprim17ROCPRIM_400000_NS6detail17trampoline_kernelINS0_14default_configENS1_38merge_sort_block_merge_config_selectorIN3c104HalfElEEZZNS1_27merge_sort_block_merge_implIS3_PS6_N6thrust23THRUST_200600_302600_NS10device_ptrIlEEmNSB_4lessIS6_EEEE10hipError_tT0_T1_T2_jT3_P12ihipStream_tbPNSt15iterator_traitsISH_E10value_typeEPNSN_ISI_E10value_typeEPSJ_NS1_7vsmem_tEENKUlT_SH_SI_SJ_E_clIS9_S9_PlSD_EESG_SW_SH_SI_SJ_EUlSW_E_NS1_11comp_targetILNS1_3genE5ELNS1_11target_archE942ELNS1_3gpuE9ELNS1_3repE0EEENS1_48merge_mergepath_partition_config_static_selectorELNS0_4arch9wavefront6targetE1EEEvSI_.num_vgpr, 0
	.set _ZN7rocprim17ROCPRIM_400000_NS6detail17trampoline_kernelINS0_14default_configENS1_38merge_sort_block_merge_config_selectorIN3c104HalfElEEZZNS1_27merge_sort_block_merge_implIS3_PS6_N6thrust23THRUST_200600_302600_NS10device_ptrIlEEmNSB_4lessIS6_EEEE10hipError_tT0_T1_T2_jT3_P12ihipStream_tbPNSt15iterator_traitsISH_E10value_typeEPNSN_ISI_E10value_typeEPSJ_NS1_7vsmem_tEENKUlT_SH_SI_SJ_E_clIS9_S9_PlSD_EESG_SW_SH_SI_SJ_EUlSW_E_NS1_11comp_targetILNS1_3genE5ELNS1_11target_archE942ELNS1_3gpuE9ELNS1_3repE0EEENS1_48merge_mergepath_partition_config_static_selectorELNS0_4arch9wavefront6targetE1EEEvSI_.num_agpr, 0
	.set _ZN7rocprim17ROCPRIM_400000_NS6detail17trampoline_kernelINS0_14default_configENS1_38merge_sort_block_merge_config_selectorIN3c104HalfElEEZZNS1_27merge_sort_block_merge_implIS3_PS6_N6thrust23THRUST_200600_302600_NS10device_ptrIlEEmNSB_4lessIS6_EEEE10hipError_tT0_T1_T2_jT3_P12ihipStream_tbPNSt15iterator_traitsISH_E10value_typeEPNSN_ISI_E10value_typeEPSJ_NS1_7vsmem_tEENKUlT_SH_SI_SJ_E_clIS9_S9_PlSD_EESG_SW_SH_SI_SJ_EUlSW_E_NS1_11comp_targetILNS1_3genE5ELNS1_11target_archE942ELNS1_3gpuE9ELNS1_3repE0EEENS1_48merge_mergepath_partition_config_static_selectorELNS0_4arch9wavefront6targetE1EEEvSI_.numbered_sgpr, 0
	.set _ZN7rocprim17ROCPRIM_400000_NS6detail17trampoline_kernelINS0_14default_configENS1_38merge_sort_block_merge_config_selectorIN3c104HalfElEEZZNS1_27merge_sort_block_merge_implIS3_PS6_N6thrust23THRUST_200600_302600_NS10device_ptrIlEEmNSB_4lessIS6_EEEE10hipError_tT0_T1_T2_jT3_P12ihipStream_tbPNSt15iterator_traitsISH_E10value_typeEPNSN_ISI_E10value_typeEPSJ_NS1_7vsmem_tEENKUlT_SH_SI_SJ_E_clIS9_S9_PlSD_EESG_SW_SH_SI_SJ_EUlSW_E_NS1_11comp_targetILNS1_3genE5ELNS1_11target_archE942ELNS1_3gpuE9ELNS1_3repE0EEENS1_48merge_mergepath_partition_config_static_selectorELNS0_4arch9wavefront6targetE1EEEvSI_.num_named_barrier, 0
	.set _ZN7rocprim17ROCPRIM_400000_NS6detail17trampoline_kernelINS0_14default_configENS1_38merge_sort_block_merge_config_selectorIN3c104HalfElEEZZNS1_27merge_sort_block_merge_implIS3_PS6_N6thrust23THRUST_200600_302600_NS10device_ptrIlEEmNSB_4lessIS6_EEEE10hipError_tT0_T1_T2_jT3_P12ihipStream_tbPNSt15iterator_traitsISH_E10value_typeEPNSN_ISI_E10value_typeEPSJ_NS1_7vsmem_tEENKUlT_SH_SI_SJ_E_clIS9_S9_PlSD_EESG_SW_SH_SI_SJ_EUlSW_E_NS1_11comp_targetILNS1_3genE5ELNS1_11target_archE942ELNS1_3gpuE9ELNS1_3repE0EEENS1_48merge_mergepath_partition_config_static_selectorELNS0_4arch9wavefront6targetE1EEEvSI_.private_seg_size, 0
	.set _ZN7rocprim17ROCPRIM_400000_NS6detail17trampoline_kernelINS0_14default_configENS1_38merge_sort_block_merge_config_selectorIN3c104HalfElEEZZNS1_27merge_sort_block_merge_implIS3_PS6_N6thrust23THRUST_200600_302600_NS10device_ptrIlEEmNSB_4lessIS6_EEEE10hipError_tT0_T1_T2_jT3_P12ihipStream_tbPNSt15iterator_traitsISH_E10value_typeEPNSN_ISI_E10value_typeEPSJ_NS1_7vsmem_tEENKUlT_SH_SI_SJ_E_clIS9_S9_PlSD_EESG_SW_SH_SI_SJ_EUlSW_E_NS1_11comp_targetILNS1_3genE5ELNS1_11target_archE942ELNS1_3gpuE9ELNS1_3repE0EEENS1_48merge_mergepath_partition_config_static_selectorELNS0_4arch9wavefront6targetE1EEEvSI_.uses_vcc, 0
	.set _ZN7rocprim17ROCPRIM_400000_NS6detail17trampoline_kernelINS0_14default_configENS1_38merge_sort_block_merge_config_selectorIN3c104HalfElEEZZNS1_27merge_sort_block_merge_implIS3_PS6_N6thrust23THRUST_200600_302600_NS10device_ptrIlEEmNSB_4lessIS6_EEEE10hipError_tT0_T1_T2_jT3_P12ihipStream_tbPNSt15iterator_traitsISH_E10value_typeEPNSN_ISI_E10value_typeEPSJ_NS1_7vsmem_tEENKUlT_SH_SI_SJ_E_clIS9_S9_PlSD_EESG_SW_SH_SI_SJ_EUlSW_E_NS1_11comp_targetILNS1_3genE5ELNS1_11target_archE942ELNS1_3gpuE9ELNS1_3repE0EEENS1_48merge_mergepath_partition_config_static_selectorELNS0_4arch9wavefront6targetE1EEEvSI_.uses_flat_scratch, 0
	.set _ZN7rocprim17ROCPRIM_400000_NS6detail17trampoline_kernelINS0_14default_configENS1_38merge_sort_block_merge_config_selectorIN3c104HalfElEEZZNS1_27merge_sort_block_merge_implIS3_PS6_N6thrust23THRUST_200600_302600_NS10device_ptrIlEEmNSB_4lessIS6_EEEE10hipError_tT0_T1_T2_jT3_P12ihipStream_tbPNSt15iterator_traitsISH_E10value_typeEPNSN_ISI_E10value_typeEPSJ_NS1_7vsmem_tEENKUlT_SH_SI_SJ_E_clIS9_S9_PlSD_EESG_SW_SH_SI_SJ_EUlSW_E_NS1_11comp_targetILNS1_3genE5ELNS1_11target_archE942ELNS1_3gpuE9ELNS1_3repE0EEENS1_48merge_mergepath_partition_config_static_selectorELNS0_4arch9wavefront6targetE1EEEvSI_.has_dyn_sized_stack, 0
	.set _ZN7rocprim17ROCPRIM_400000_NS6detail17trampoline_kernelINS0_14default_configENS1_38merge_sort_block_merge_config_selectorIN3c104HalfElEEZZNS1_27merge_sort_block_merge_implIS3_PS6_N6thrust23THRUST_200600_302600_NS10device_ptrIlEEmNSB_4lessIS6_EEEE10hipError_tT0_T1_T2_jT3_P12ihipStream_tbPNSt15iterator_traitsISH_E10value_typeEPNSN_ISI_E10value_typeEPSJ_NS1_7vsmem_tEENKUlT_SH_SI_SJ_E_clIS9_S9_PlSD_EESG_SW_SH_SI_SJ_EUlSW_E_NS1_11comp_targetILNS1_3genE5ELNS1_11target_archE942ELNS1_3gpuE9ELNS1_3repE0EEENS1_48merge_mergepath_partition_config_static_selectorELNS0_4arch9wavefront6targetE1EEEvSI_.has_recursion, 0
	.set _ZN7rocprim17ROCPRIM_400000_NS6detail17trampoline_kernelINS0_14default_configENS1_38merge_sort_block_merge_config_selectorIN3c104HalfElEEZZNS1_27merge_sort_block_merge_implIS3_PS6_N6thrust23THRUST_200600_302600_NS10device_ptrIlEEmNSB_4lessIS6_EEEE10hipError_tT0_T1_T2_jT3_P12ihipStream_tbPNSt15iterator_traitsISH_E10value_typeEPNSN_ISI_E10value_typeEPSJ_NS1_7vsmem_tEENKUlT_SH_SI_SJ_E_clIS9_S9_PlSD_EESG_SW_SH_SI_SJ_EUlSW_E_NS1_11comp_targetILNS1_3genE5ELNS1_11target_archE942ELNS1_3gpuE9ELNS1_3repE0EEENS1_48merge_mergepath_partition_config_static_selectorELNS0_4arch9wavefront6targetE1EEEvSI_.has_indirect_call, 0
	.section	.AMDGPU.csdata,"",@progbits
; Kernel info:
; codeLenInByte = 0
; TotalNumSgprs: 4
; NumVgprs: 0
; ScratchSize: 0
; MemoryBound: 0
; FloatMode: 240
; IeeeMode: 1
; LDSByteSize: 0 bytes/workgroup (compile time only)
; SGPRBlocks: 0
; VGPRBlocks: 0
; NumSGPRsForWavesPerEU: 4
; NumVGPRsForWavesPerEU: 1
; Occupancy: 10
; WaveLimiterHint : 0
; COMPUTE_PGM_RSRC2:SCRATCH_EN: 0
; COMPUTE_PGM_RSRC2:USER_SGPR: 6
; COMPUTE_PGM_RSRC2:TRAP_HANDLER: 0
; COMPUTE_PGM_RSRC2:TGID_X_EN: 1
; COMPUTE_PGM_RSRC2:TGID_Y_EN: 0
; COMPUTE_PGM_RSRC2:TGID_Z_EN: 0
; COMPUTE_PGM_RSRC2:TIDIG_COMP_CNT: 0
	.section	.text._ZN7rocprim17ROCPRIM_400000_NS6detail17trampoline_kernelINS0_14default_configENS1_38merge_sort_block_merge_config_selectorIN3c104HalfElEEZZNS1_27merge_sort_block_merge_implIS3_PS6_N6thrust23THRUST_200600_302600_NS10device_ptrIlEEmNSB_4lessIS6_EEEE10hipError_tT0_T1_T2_jT3_P12ihipStream_tbPNSt15iterator_traitsISH_E10value_typeEPNSN_ISI_E10value_typeEPSJ_NS1_7vsmem_tEENKUlT_SH_SI_SJ_E_clIS9_S9_PlSD_EESG_SW_SH_SI_SJ_EUlSW_E_NS1_11comp_targetILNS1_3genE4ELNS1_11target_archE910ELNS1_3gpuE8ELNS1_3repE0EEENS1_48merge_mergepath_partition_config_static_selectorELNS0_4arch9wavefront6targetE1EEEvSI_,"axG",@progbits,_ZN7rocprim17ROCPRIM_400000_NS6detail17trampoline_kernelINS0_14default_configENS1_38merge_sort_block_merge_config_selectorIN3c104HalfElEEZZNS1_27merge_sort_block_merge_implIS3_PS6_N6thrust23THRUST_200600_302600_NS10device_ptrIlEEmNSB_4lessIS6_EEEE10hipError_tT0_T1_T2_jT3_P12ihipStream_tbPNSt15iterator_traitsISH_E10value_typeEPNSN_ISI_E10value_typeEPSJ_NS1_7vsmem_tEENKUlT_SH_SI_SJ_E_clIS9_S9_PlSD_EESG_SW_SH_SI_SJ_EUlSW_E_NS1_11comp_targetILNS1_3genE4ELNS1_11target_archE910ELNS1_3gpuE8ELNS1_3repE0EEENS1_48merge_mergepath_partition_config_static_selectorELNS0_4arch9wavefront6targetE1EEEvSI_,comdat
	.protected	_ZN7rocprim17ROCPRIM_400000_NS6detail17trampoline_kernelINS0_14default_configENS1_38merge_sort_block_merge_config_selectorIN3c104HalfElEEZZNS1_27merge_sort_block_merge_implIS3_PS6_N6thrust23THRUST_200600_302600_NS10device_ptrIlEEmNSB_4lessIS6_EEEE10hipError_tT0_T1_T2_jT3_P12ihipStream_tbPNSt15iterator_traitsISH_E10value_typeEPNSN_ISI_E10value_typeEPSJ_NS1_7vsmem_tEENKUlT_SH_SI_SJ_E_clIS9_S9_PlSD_EESG_SW_SH_SI_SJ_EUlSW_E_NS1_11comp_targetILNS1_3genE4ELNS1_11target_archE910ELNS1_3gpuE8ELNS1_3repE0EEENS1_48merge_mergepath_partition_config_static_selectorELNS0_4arch9wavefront6targetE1EEEvSI_ ; -- Begin function _ZN7rocprim17ROCPRIM_400000_NS6detail17trampoline_kernelINS0_14default_configENS1_38merge_sort_block_merge_config_selectorIN3c104HalfElEEZZNS1_27merge_sort_block_merge_implIS3_PS6_N6thrust23THRUST_200600_302600_NS10device_ptrIlEEmNSB_4lessIS6_EEEE10hipError_tT0_T1_T2_jT3_P12ihipStream_tbPNSt15iterator_traitsISH_E10value_typeEPNSN_ISI_E10value_typeEPSJ_NS1_7vsmem_tEENKUlT_SH_SI_SJ_E_clIS9_S9_PlSD_EESG_SW_SH_SI_SJ_EUlSW_E_NS1_11comp_targetILNS1_3genE4ELNS1_11target_archE910ELNS1_3gpuE8ELNS1_3repE0EEENS1_48merge_mergepath_partition_config_static_selectorELNS0_4arch9wavefront6targetE1EEEvSI_
	.globl	_ZN7rocprim17ROCPRIM_400000_NS6detail17trampoline_kernelINS0_14default_configENS1_38merge_sort_block_merge_config_selectorIN3c104HalfElEEZZNS1_27merge_sort_block_merge_implIS3_PS6_N6thrust23THRUST_200600_302600_NS10device_ptrIlEEmNSB_4lessIS6_EEEE10hipError_tT0_T1_T2_jT3_P12ihipStream_tbPNSt15iterator_traitsISH_E10value_typeEPNSN_ISI_E10value_typeEPSJ_NS1_7vsmem_tEENKUlT_SH_SI_SJ_E_clIS9_S9_PlSD_EESG_SW_SH_SI_SJ_EUlSW_E_NS1_11comp_targetILNS1_3genE4ELNS1_11target_archE910ELNS1_3gpuE8ELNS1_3repE0EEENS1_48merge_mergepath_partition_config_static_selectorELNS0_4arch9wavefront6targetE1EEEvSI_
	.p2align	8
	.type	_ZN7rocprim17ROCPRIM_400000_NS6detail17trampoline_kernelINS0_14default_configENS1_38merge_sort_block_merge_config_selectorIN3c104HalfElEEZZNS1_27merge_sort_block_merge_implIS3_PS6_N6thrust23THRUST_200600_302600_NS10device_ptrIlEEmNSB_4lessIS6_EEEE10hipError_tT0_T1_T2_jT3_P12ihipStream_tbPNSt15iterator_traitsISH_E10value_typeEPNSN_ISI_E10value_typeEPSJ_NS1_7vsmem_tEENKUlT_SH_SI_SJ_E_clIS9_S9_PlSD_EESG_SW_SH_SI_SJ_EUlSW_E_NS1_11comp_targetILNS1_3genE4ELNS1_11target_archE910ELNS1_3gpuE8ELNS1_3repE0EEENS1_48merge_mergepath_partition_config_static_selectorELNS0_4arch9wavefront6targetE1EEEvSI_,@function
_ZN7rocprim17ROCPRIM_400000_NS6detail17trampoline_kernelINS0_14default_configENS1_38merge_sort_block_merge_config_selectorIN3c104HalfElEEZZNS1_27merge_sort_block_merge_implIS3_PS6_N6thrust23THRUST_200600_302600_NS10device_ptrIlEEmNSB_4lessIS6_EEEE10hipError_tT0_T1_T2_jT3_P12ihipStream_tbPNSt15iterator_traitsISH_E10value_typeEPNSN_ISI_E10value_typeEPSJ_NS1_7vsmem_tEENKUlT_SH_SI_SJ_E_clIS9_S9_PlSD_EESG_SW_SH_SI_SJ_EUlSW_E_NS1_11comp_targetILNS1_3genE4ELNS1_11target_archE910ELNS1_3gpuE8ELNS1_3repE0EEENS1_48merge_mergepath_partition_config_static_selectorELNS0_4arch9wavefront6targetE1EEEvSI_: ; @_ZN7rocprim17ROCPRIM_400000_NS6detail17trampoline_kernelINS0_14default_configENS1_38merge_sort_block_merge_config_selectorIN3c104HalfElEEZZNS1_27merge_sort_block_merge_implIS3_PS6_N6thrust23THRUST_200600_302600_NS10device_ptrIlEEmNSB_4lessIS6_EEEE10hipError_tT0_T1_T2_jT3_P12ihipStream_tbPNSt15iterator_traitsISH_E10value_typeEPNSN_ISI_E10value_typeEPSJ_NS1_7vsmem_tEENKUlT_SH_SI_SJ_E_clIS9_S9_PlSD_EESG_SW_SH_SI_SJ_EUlSW_E_NS1_11comp_targetILNS1_3genE4ELNS1_11target_archE910ELNS1_3gpuE8ELNS1_3repE0EEENS1_48merge_mergepath_partition_config_static_selectorELNS0_4arch9wavefront6targetE1EEEvSI_
; %bb.0:
	.section	.rodata,"a",@progbits
	.p2align	6, 0x0
	.amdhsa_kernel _ZN7rocprim17ROCPRIM_400000_NS6detail17trampoline_kernelINS0_14default_configENS1_38merge_sort_block_merge_config_selectorIN3c104HalfElEEZZNS1_27merge_sort_block_merge_implIS3_PS6_N6thrust23THRUST_200600_302600_NS10device_ptrIlEEmNSB_4lessIS6_EEEE10hipError_tT0_T1_T2_jT3_P12ihipStream_tbPNSt15iterator_traitsISH_E10value_typeEPNSN_ISI_E10value_typeEPSJ_NS1_7vsmem_tEENKUlT_SH_SI_SJ_E_clIS9_S9_PlSD_EESG_SW_SH_SI_SJ_EUlSW_E_NS1_11comp_targetILNS1_3genE4ELNS1_11target_archE910ELNS1_3gpuE8ELNS1_3repE0EEENS1_48merge_mergepath_partition_config_static_selectorELNS0_4arch9wavefront6targetE1EEEvSI_
		.amdhsa_group_segment_fixed_size 0
		.amdhsa_private_segment_fixed_size 0
		.amdhsa_kernarg_size 48
		.amdhsa_user_sgpr_count 6
		.amdhsa_user_sgpr_private_segment_buffer 1
		.amdhsa_user_sgpr_dispatch_ptr 0
		.amdhsa_user_sgpr_queue_ptr 0
		.amdhsa_user_sgpr_kernarg_segment_ptr 1
		.amdhsa_user_sgpr_dispatch_id 0
		.amdhsa_user_sgpr_flat_scratch_init 0
		.amdhsa_user_sgpr_private_segment_size 0
		.amdhsa_uses_dynamic_stack 0
		.amdhsa_system_sgpr_private_segment_wavefront_offset 0
		.amdhsa_system_sgpr_workgroup_id_x 1
		.amdhsa_system_sgpr_workgroup_id_y 0
		.amdhsa_system_sgpr_workgroup_id_z 0
		.amdhsa_system_sgpr_workgroup_info 0
		.amdhsa_system_vgpr_workitem_id 0
		.amdhsa_next_free_vgpr 1
		.amdhsa_next_free_sgpr 0
		.amdhsa_reserve_vcc 0
		.amdhsa_reserve_flat_scratch 0
		.amdhsa_float_round_mode_32 0
		.amdhsa_float_round_mode_16_64 0
		.amdhsa_float_denorm_mode_32 3
		.amdhsa_float_denorm_mode_16_64 3
		.amdhsa_dx10_clamp 1
		.amdhsa_ieee_mode 1
		.amdhsa_fp16_overflow 0
		.amdhsa_exception_fp_ieee_invalid_op 0
		.amdhsa_exception_fp_denorm_src 0
		.amdhsa_exception_fp_ieee_div_zero 0
		.amdhsa_exception_fp_ieee_overflow 0
		.amdhsa_exception_fp_ieee_underflow 0
		.amdhsa_exception_fp_ieee_inexact 0
		.amdhsa_exception_int_div_zero 0
	.end_amdhsa_kernel
	.section	.text._ZN7rocprim17ROCPRIM_400000_NS6detail17trampoline_kernelINS0_14default_configENS1_38merge_sort_block_merge_config_selectorIN3c104HalfElEEZZNS1_27merge_sort_block_merge_implIS3_PS6_N6thrust23THRUST_200600_302600_NS10device_ptrIlEEmNSB_4lessIS6_EEEE10hipError_tT0_T1_T2_jT3_P12ihipStream_tbPNSt15iterator_traitsISH_E10value_typeEPNSN_ISI_E10value_typeEPSJ_NS1_7vsmem_tEENKUlT_SH_SI_SJ_E_clIS9_S9_PlSD_EESG_SW_SH_SI_SJ_EUlSW_E_NS1_11comp_targetILNS1_3genE4ELNS1_11target_archE910ELNS1_3gpuE8ELNS1_3repE0EEENS1_48merge_mergepath_partition_config_static_selectorELNS0_4arch9wavefront6targetE1EEEvSI_,"axG",@progbits,_ZN7rocprim17ROCPRIM_400000_NS6detail17trampoline_kernelINS0_14default_configENS1_38merge_sort_block_merge_config_selectorIN3c104HalfElEEZZNS1_27merge_sort_block_merge_implIS3_PS6_N6thrust23THRUST_200600_302600_NS10device_ptrIlEEmNSB_4lessIS6_EEEE10hipError_tT0_T1_T2_jT3_P12ihipStream_tbPNSt15iterator_traitsISH_E10value_typeEPNSN_ISI_E10value_typeEPSJ_NS1_7vsmem_tEENKUlT_SH_SI_SJ_E_clIS9_S9_PlSD_EESG_SW_SH_SI_SJ_EUlSW_E_NS1_11comp_targetILNS1_3genE4ELNS1_11target_archE910ELNS1_3gpuE8ELNS1_3repE0EEENS1_48merge_mergepath_partition_config_static_selectorELNS0_4arch9wavefront6targetE1EEEvSI_,comdat
.Lfunc_end2127:
	.size	_ZN7rocprim17ROCPRIM_400000_NS6detail17trampoline_kernelINS0_14default_configENS1_38merge_sort_block_merge_config_selectorIN3c104HalfElEEZZNS1_27merge_sort_block_merge_implIS3_PS6_N6thrust23THRUST_200600_302600_NS10device_ptrIlEEmNSB_4lessIS6_EEEE10hipError_tT0_T1_T2_jT3_P12ihipStream_tbPNSt15iterator_traitsISH_E10value_typeEPNSN_ISI_E10value_typeEPSJ_NS1_7vsmem_tEENKUlT_SH_SI_SJ_E_clIS9_S9_PlSD_EESG_SW_SH_SI_SJ_EUlSW_E_NS1_11comp_targetILNS1_3genE4ELNS1_11target_archE910ELNS1_3gpuE8ELNS1_3repE0EEENS1_48merge_mergepath_partition_config_static_selectorELNS0_4arch9wavefront6targetE1EEEvSI_, .Lfunc_end2127-_ZN7rocprim17ROCPRIM_400000_NS6detail17trampoline_kernelINS0_14default_configENS1_38merge_sort_block_merge_config_selectorIN3c104HalfElEEZZNS1_27merge_sort_block_merge_implIS3_PS6_N6thrust23THRUST_200600_302600_NS10device_ptrIlEEmNSB_4lessIS6_EEEE10hipError_tT0_T1_T2_jT3_P12ihipStream_tbPNSt15iterator_traitsISH_E10value_typeEPNSN_ISI_E10value_typeEPSJ_NS1_7vsmem_tEENKUlT_SH_SI_SJ_E_clIS9_S9_PlSD_EESG_SW_SH_SI_SJ_EUlSW_E_NS1_11comp_targetILNS1_3genE4ELNS1_11target_archE910ELNS1_3gpuE8ELNS1_3repE0EEENS1_48merge_mergepath_partition_config_static_selectorELNS0_4arch9wavefront6targetE1EEEvSI_
                                        ; -- End function
	.set _ZN7rocprim17ROCPRIM_400000_NS6detail17trampoline_kernelINS0_14default_configENS1_38merge_sort_block_merge_config_selectorIN3c104HalfElEEZZNS1_27merge_sort_block_merge_implIS3_PS6_N6thrust23THRUST_200600_302600_NS10device_ptrIlEEmNSB_4lessIS6_EEEE10hipError_tT0_T1_T2_jT3_P12ihipStream_tbPNSt15iterator_traitsISH_E10value_typeEPNSN_ISI_E10value_typeEPSJ_NS1_7vsmem_tEENKUlT_SH_SI_SJ_E_clIS9_S9_PlSD_EESG_SW_SH_SI_SJ_EUlSW_E_NS1_11comp_targetILNS1_3genE4ELNS1_11target_archE910ELNS1_3gpuE8ELNS1_3repE0EEENS1_48merge_mergepath_partition_config_static_selectorELNS0_4arch9wavefront6targetE1EEEvSI_.num_vgpr, 0
	.set _ZN7rocprim17ROCPRIM_400000_NS6detail17trampoline_kernelINS0_14default_configENS1_38merge_sort_block_merge_config_selectorIN3c104HalfElEEZZNS1_27merge_sort_block_merge_implIS3_PS6_N6thrust23THRUST_200600_302600_NS10device_ptrIlEEmNSB_4lessIS6_EEEE10hipError_tT0_T1_T2_jT3_P12ihipStream_tbPNSt15iterator_traitsISH_E10value_typeEPNSN_ISI_E10value_typeEPSJ_NS1_7vsmem_tEENKUlT_SH_SI_SJ_E_clIS9_S9_PlSD_EESG_SW_SH_SI_SJ_EUlSW_E_NS1_11comp_targetILNS1_3genE4ELNS1_11target_archE910ELNS1_3gpuE8ELNS1_3repE0EEENS1_48merge_mergepath_partition_config_static_selectorELNS0_4arch9wavefront6targetE1EEEvSI_.num_agpr, 0
	.set _ZN7rocprim17ROCPRIM_400000_NS6detail17trampoline_kernelINS0_14default_configENS1_38merge_sort_block_merge_config_selectorIN3c104HalfElEEZZNS1_27merge_sort_block_merge_implIS3_PS6_N6thrust23THRUST_200600_302600_NS10device_ptrIlEEmNSB_4lessIS6_EEEE10hipError_tT0_T1_T2_jT3_P12ihipStream_tbPNSt15iterator_traitsISH_E10value_typeEPNSN_ISI_E10value_typeEPSJ_NS1_7vsmem_tEENKUlT_SH_SI_SJ_E_clIS9_S9_PlSD_EESG_SW_SH_SI_SJ_EUlSW_E_NS1_11comp_targetILNS1_3genE4ELNS1_11target_archE910ELNS1_3gpuE8ELNS1_3repE0EEENS1_48merge_mergepath_partition_config_static_selectorELNS0_4arch9wavefront6targetE1EEEvSI_.numbered_sgpr, 0
	.set _ZN7rocprim17ROCPRIM_400000_NS6detail17trampoline_kernelINS0_14default_configENS1_38merge_sort_block_merge_config_selectorIN3c104HalfElEEZZNS1_27merge_sort_block_merge_implIS3_PS6_N6thrust23THRUST_200600_302600_NS10device_ptrIlEEmNSB_4lessIS6_EEEE10hipError_tT0_T1_T2_jT3_P12ihipStream_tbPNSt15iterator_traitsISH_E10value_typeEPNSN_ISI_E10value_typeEPSJ_NS1_7vsmem_tEENKUlT_SH_SI_SJ_E_clIS9_S9_PlSD_EESG_SW_SH_SI_SJ_EUlSW_E_NS1_11comp_targetILNS1_3genE4ELNS1_11target_archE910ELNS1_3gpuE8ELNS1_3repE0EEENS1_48merge_mergepath_partition_config_static_selectorELNS0_4arch9wavefront6targetE1EEEvSI_.num_named_barrier, 0
	.set _ZN7rocprim17ROCPRIM_400000_NS6detail17trampoline_kernelINS0_14default_configENS1_38merge_sort_block_merge_config_selectorIN3c104HalfElEEZZNS1_27merge_sort_block_merge_implIS3_PS6_N6thrust23THRUST_200600_302600_NS10device_ptrIlEEmNSB_4lessIS6_EEEE10hipError_tT0_T1_T2_jT3_P12ihipStream_tbPNSt15iterator_traitsISH_E10value_typeEPNSN_ISI_E10value_typeEPSJ_NS1_7vsmem_tEENKUlT_SH_SI_SJ_E_clIS9_S9_PlSD_EESG_SW_SH_SI_SJ_EUlSW_E_NS1_11comp_targetILNS1_3genE4ELNS1_11target_archE910ELNS1_3gpuE8ELNS1_3repE0EEENS1_48merge_mergepath_partition_config_static_selectorELNS0_4arch9wavefront6targetE1EEEvSI_.private_seg_size, 0
	.set _ZN7rocprim17ROCPRIM_400000_NS6detail17trampoline_kernelINS0_14default_configENS1_38merge_sort_block_merge_config_selectorIN3c104HalfElEEZZNS1_27merge_sort_block_merge_implIS3_PS6_N6thrust23THRUST_200600_302600_NS10device_ptrIlEEmNSB_4lessIS6_EEEE10hipError_tT0_T1_T2_jT3_P12ihipStream_tbPNSt15iterator_traitsISH_E10value_typeEPNSN_ISI_E10value_typeEPSJ_NS1_7vsmem_tEENKUlT_SH_SI_SJ_E_clIS9_S9_PlSD_EESG_SW_SH_SI_SJ_EUlSW_E_NS1_11comp_targetILNS1_3genE4ELNS1_11target_archE910ELNS1_3gpuE8ELNS1_3repE0EEENS1_48merge_mergepath_partition_config_static_selectorELNS0_4arch9wavefront6targetE1EEEvSI_.uses_vcc, 0
	.set _ZN7rocprim17ROCPRIM_400000_NS6detail17trampoline_kernelINS0_14default_configENS1_38merge_sort_block_merge_config_selectorIN3c104HalfElEEZZNS1_27merge_sort_block_merge_implIS3_PS6_N6thrust23THRUST_200600_302600_NS10device_ptrIlEEmNSB_4lessIS6_EEEE10hipError_tT0_T1_T2_jT3_P12ihipStream_tbPNSt15iterator_traitsISH_E10value_typeEPNSN_ISI_E10value_typeEPSJ_NS1_7vsmem_tEENKUlT_SH_SI_SJ_E_clIS9_S9_PlSD_EESG_SW_SH_SI_SJ_EUlSW_E_NS1_11comp_targetILNS1_3genE4ELNS1_11target_archE910ELNS1_3gpuE8ELNS1_3repE0EEENS1_48merge_mergepath_partition_config_static_selectorELNS0_4arch9wavefront6targetE1EEEvSI_.uses_flat_scratch, 0
	.set _ZN7rocprim17ROCPRIM_400000_NS6detail17trampoline_kernelINS0_14default_configENS1_38merge_sort_block_merge_config_selectorIN3c104HalfElEEZZNS1_27merge_sort_block_merge_implIS3_PS6_N6thrust23THRUST_200600_302600_NS10device_ptrIlEEmNSB_4lessIS6_EEEE10hipError_tT0_T1_T2_jT3_P12ihipStream_tbPNSt15iterator_traitsISH_E10value_typeEPNSN_ISI_E10value_typeEPSJ_NS1_7vsmem_tEENKUlT_SH_SI_SJ_E_clIS9_S9_PlSD_EESG_SW_SH_SI_SJ_EUlSW_E_NS1_11comp_targetILNS1_3genE4ELNS1_11target_archE910ELNS1_3gpuE8ELNS1_3repE0EEENS1_48merge_mergepath_partition_config_static_selectorELNS0_4arch9wavefront6targetE1EEEvSI_.has_dyn_sized_stack, 0
	.set _ZN7rocprim17ROCPRIM_400000_NS6detail17trampoline_kernelINS0_14default_configENS1_38merge_sort_block_merge_config_selectorIN3c104HalfElEEZZNS1_27merge_sort_block_merge_implIS3_PS6_N6thrust23THRUST_200600_302600_NS10device_ptrIlEEmNSB_4lessIS6_EEEE10hipError_tT0_T1_T2_jT3_P12ihipStream_tbPNSt15iterator_traitsISH_E10value_typeEPNSN_ISI_E10value_typeEPSJ_NS1_7vsmem_tEENKUlT_SH_SI_SJ_E_clIS9_S9_PlSD_EESG_SW_SH_SI_SJ_EUlSW_E_NS1_11comp_targetILNS1_3genE4ELNS1_11target_archE910ELNS1_3gpuE8ELNS1_3repE0EEENS1_48merge_mergepath_partition_config_static_selectorELNS0_4arch9wavefront6targetE1EEEvSI_.has_recursion, 0
	.set _ZN7rocprim17ROCPRIM_400000_NS6detail17trampoline_kernelINS0_14default_configENS1_38merge_sort_block_merge_config_selectorIN3c104HalfElEEZZNS1_27merge_sort_block_merge_implIS3_PS6_N6thrust23THRUST_200600_302600_NS10device_ptrIlEEmNSB_4lessIS6_EEEE10hipError_tT0_T1_T2_jT3_P12ihipStream_tbPNSt15iterator_traitsISH_E10value_typeEPNSN_ISI_E10value_typeEPSJ_NS1_7vsmem_tEENKUlT_SH_SI_SJ_E_clIS9_S9_PlSD_EESG_SW_SH_SI_SJ_EUlSW_E_NS1_11comp_targetILNS1_3genE4ELNS1_11target_archE910ELNS1_3gpuE8ELNS1_3repE0EEENS1_48merge_mergepath_partition_config_static_selectorELNS0_4arch9wavefront6targetE1EEEvSI_.has_indirect_call, 0
	.section	.AMDGPU.csdata,"",@progbits
; Kernel info:
; codeLenInByte = 0
; TotalNumSgprs: 4
; NumVgprs: 0
; ScratchSize: 0
; MemoryBound: 0
; FloatMode: 240
; IeeeMode: 1
; LDSByteSize: 0 bytes/workgroup (compile time only)
; SGPRBlocks: 0
; VGPRBlocks: 0
; NumSGPRsForWavesPerEU: 4
; NumVGPRsForWavesPerEU: 1
; Occupancy: 10
; WaveLimiterHint : 0
; COMPUTE_PGM_RSRC2:SCRATCH_EN: 0
; COMPUTE_PGM_RSRC2:USER_SGPR: 6
; COMPUTE_PGM_RSRC2:TRAP_HANDLER: 0
; COMPUTE_PGM_RSRC2:TGID_X_EN: 1
; COMPUTE_PGM_RSRC2:TGID_Y_EN: 0
; COMPUTE_PGM_RSRC2:TGID_Z_EN: 0
; COMPUTE_PGM_RSRC2:TIDIG_COMP_CNT: 0
	.section	.text._ZN7rocprim17ROCPRIM_400000_NS6detail17trampoline_kernelINS0_14default_configENS1_38merge_sort_block_merge_config_selectorIN3c104HalfElEEZZNS1_27merge_sort_block_merge_implIS3_PS6_N6thrust23THRUST_200600_302600_NS10device_ptrIlEEmNSB_4lessIS6_EEEE10hipError_tT0_T1_T2_jT3_P12ihipStream_tbPNSt15iterator_traitsISH_E10value_typeEPNSN_ISI_E10value_typeEPSJ_NS1_7vsmem_tEENKUlT_SH_SI_SJ_E_clIS9_S9_PlSD_EESG_SW_SH_SI_SJ_EUlSW_E_NS1_11comp_targetILNS1_3genE3ELNS1_11target_archE908ELNS1_3gpuE7ELNS1_3repE0EEENS1_48merge_mergepath_partition_config_static_selectorELNS0_4arch9wavefront6targetE1EEEvSI_,"axG",@progbits,_ZN7rocprim17ROCPRIM_400000_NS6detail17trampoline_kernelINS0_14default_configENS1_38merge_sort_block_merge_config_selectorIN3c104HalfElEEZZNS1_27merge_sort_block_merge_implIS3_PS6_N6thrust23THRUST_200600_302600_NS10device_ptrIlEEmNSB_4lessIS6_EEEE10hipError_tT0_T1_T2_jT3_P12ihipStream_tbPNSt15iterator_traitsISH_E10value_typeEPNSN_ISI_E10value_typeEPSJ_NS1_7vsmem_tEENKUlT_SH_SI_SJ_E_clIS9_S9_PlSD_EESG_SW_SH_SI_SJ_EUlSW_E_NS1_11comp_targetILNS1_3genE3ELNS1_11target_archE908ELNS1_3gpuE7ELNS1_3repE0EEENS1_48merge_mergepath_partition_config_static_selectorELNS0_4arch9wavefront6targetE1EEEvSI_,comdat
	.protected	_ZN7rocprim17ROCPRIM_400000_NS6detail17trampoline_kernelINS0_14default_configENS1_38merge_sort_block_merge_config_selectorIN3c104HalfElEEZZNS1_27merge_sort_block_merge_implIS3_PS6_N6thrust23THRUST_200600_302600_NS10device_ptrIlEEmNSB_4lessIS6_EEEE10hipError_tT0_T1_T2_jT3_P12ihipStream_tbPNSt15iterator_traitsISH_E10value_typeEPNSN_ISI_E10value_typeEPSJ_NS1_7vsmem_tEENKUlT_SH_SI_SJ_E_clIS9_S9_PlSD_EESG_SW_SH_SI_SJ_EUlSW_E_NS1_11comp_targetILNS1_3genE3ELNS1_11target_archE908ELNS1_3gpuE7ELNS1_3repE0EEENS1_48merge_mergepath_partition_config_static_selectorELNS0_4arch9wavefront6targetE1EEEvSI_ ; -- Begin function _ZN7rocprim17ROCPRIM_400000_NS6detail17trampoline_kernelINS0_14default_configENS1_38merge_sort_block_merge_config_selectorIN3c104HalfElEEZZNS1_27merge_sort_block_merge_implIS3_PS6_N6thrust23THRUST_200600_302600_NS10device_ptrIlEEmNSB_4lessIS6_EEEE10hipError_tT0_T1_T2_jT3_P12ihipStream_tbPNSt15iterator_traitsISH_E10value_typeEPNSN_ISI_E10value_typeEPSJ_NS1_7vsmem_tEENKUlT_SH_SI_SJ_E_clIS9_S9_PlSD_EESG_SW_SH_SI_SJ_EUlSW_E_NS1_11comp_targetILNS1_3genE3ELNS1_11target_archE908ELNS1_3gpuE7ELNS1_3repE0EEENS1_48merge_mergepath_partition_config_static_selectorELNS0_4arch9wavefront6targetE1EEEvSI_
	.globl	_ZN7rocprim17ROCPRIM_400000_NS6detail17trampoline_kernelINS0_14default_configENS1_38merge_sort_block_merge_config_selectorIN3c104HalfElEEZZNS1_27merge_sort_block_merge_implIS3_PS6_N6thrust23THRUST_200600_302600_NS10device_ptrIlEEmNSB_4lessIS6_EEEE10hipError_tT0_T1_T2_jT3_P12ihipStream_tbPNSt15iterator_traitsISH_E10value_typeEPNSN_ISI_E10value_typeEPSJ_NS1_7vsmem_tEENKUlT_SH_SI_SJ_E_clIS9_S9_PlSD_EESG_SW_SH_SI_SJ_EUlSW_E_NS1_11comp_targetILNS1_3genE3ELNS1_11target_archE908ELNS1_3gpuE7ELNS1_3repE0EEENS1_48merge_mergepath_partition_config_static_selectorELNS0_4arch9wavefront6targetE1EEEvSI_
	.p2align	8
	.type	_ZN7rocprim17ROCPRIM_400000_NS6detail17trampoline_kernelINS0_14default_configENS1_38merge_sort_block_merge_config_selectorIN3c104HalfElEEZZNS1_27merge_sort_block_merge_implIS3_PS6_N6thrust23THRUST_200600_302600_NS10device_ptrIlEEmNSB_4lessIS6_EEEE10hipError_tT0_T1_T2_jT3_P12ihipStream_tbPNSt15iterator_traitsISH_E10value_typeEPNSN_ISI_E10value_typeEPSJ_NS1_7vsmem_tEENKUlT_SH_SI_SJ_E_clIS9_S9_PlSD_EESG_SW_SH_SI_SJ_EUlSW_E_NS1_11comp_targetILNS1_3genE3ELNS1_11target_archE908ELNS1_3gpuE7ELNS1_3repE0EEENS1_48merge_mergepath_partition_config_static_selectorELNS0_4arch9wavefront6targetE1EEEvSI_,@function
_ZN7rocprim17ROCPRIM_400000_NS6detail17trampoline_kernelINS0_14default_configENS1_38merge_sort_block_merge_config_selectorIN3c104HalfElEEZZNS1_27merge_sort_block_merge_implIS3_PS6_N6thrust23THRUST_200600_302600_NS10device_ptrIlEEmNSB_4lessIS6_EEEE10hipError_tT0_T1_T2_jT3_P12ihipStream_tbPNSt15iterator_traitsISH_E10value_typeEPNSN_ISI_E10value_typeEPSJ_NS1_7vsmem_tEENKUlT_SH_SI_SJ_E_clIS9_S9_PlSD_EESG_SW_SH_SI_SJ_EUlSW_E_NS1_11comp_targetILNS1_3genE3ELNS1_11target_archE908ELNS1_3gpuE7ELNS1_3repE0EEENS1_48merge_mergepath_partition_config_static_selectorELNS0_4arch9wavefront6targetE1EEEvSI_: ; @_ZN7rocprim17ROCPRIM_400000_NS6detail17trampoline_kernelINS0_14default_configENS1_38merge_sort_block_merge_config_selectorIN3c104HalfElEEZZNS1_27merge_sort_block_merge_implIS3_PS6_N6thrust23THRUST_200600_302600_NS10device_ptrIlEEmNSB_4lessIS6_EEEE10hipError_tT0_T1_T2_jT3_P12ihipStream_tbPNSt15iterator_traitsISH_E10value_typeEPNSN_ISI_E10value_typeEPSJ_NS1_7vsmem_tEENKUlT_SH_SI_SJ_E_clIS9_S9_PlSD_EESG_SW_SH_SI_SJ_EUlSW_E_NS1_11comp_targetILNS1_3genE3ELNS1_11target_archE908ELNS1_3gpuE7ELNS1_3repE0EEENS1_48merge_mergepath_partition_config_static_selectorELNS0_4arch9wavefront6targetE1EEEvSI_
; %bb.0:
	.section	.rodata,"a",@progbits
	.p2align	6, 0x0
	.amdhsa_kernel _ZN7rocprim17ROCPRIM_400000_NS6detail17trampoline_kernelINS0_14default_configENS1_38merge_sort_block_merge_config_selectorIN3c104HalfElEEZZNS1_27merge_sort_block_merge_implIS3_PS6_N6thrust23THRUST_200600_302600_NS10device_ptrIlEEmNSB_4lessIS6_EEEE10hipError_tT0_T1_T2_jT3_P12ihipStream_tbPNSt15iterator_traitsISH_E10value_typeEPNSN_ISI_E10value_typeEPSJ_NS1_7vsmem_tEENKUlT_SH_SI_SJ_E_clIS9_S9_PlSD_EESG_SW_SH_SI_SJ_EUlSW_E_NS1_11comp_targetILNS1_3genE3ELNS1_11target_archE908ELNS1_3gpuE7ELNS1_3repE0EEENS1_48merge_mergepath_partition_config_static_selectorELNS0_4arch9wavefront6targetE1EEEvSI_
		.amdhsa_group_segment_fixed_size 0
		.amdhsa_private_segment_fixed_size 0
		.amdhsa_kernarg_size 48
		.amdhsa_user_sgpr_count 6
		.amdhsa_user_sgpr_private_segment_buffer 1
		.amdhsa_user_sgpr_dispatch_ptr 0
		.amdhsa_user_sgpr_queue_ptr 0
		.amdhsa_user_sgpr_kernarg_segment_ptr 1
		.amdhsa_user_sgpr_dispatch_id 0
		.amdhsa_user_sgpr_flat_scratch_init 0
		.amdhsa_user_sgpr_private_segment_size 0
		.amdhsa_uses_dynamic_stack 0
		.amdhsa_system_sgpr_private_segment_wavefront_offset 0
		.amdhsa_system_sgpr_workgroup_id_x 1
		.amdhsa_system_sgpr_workgroup_id_y 0
		.amdhsa_system_sgpr_workgroup_id_z 0
		.amdhsa_system_sgpr_workgroup_info 0
		.amdhsa_system_vgpr_workitem_id 0
		.amdhsa_next_free_vgpr 1
		.amdhsa_next_free_sgpr 0
		.amdhsa_reserve_vcc 0
		.amdhsa_reserve_flat_scratch 0
		.amdhsa_float_round_mode_32 0
		.amdhsa_float_round_mode_16_64 0
		.amdhsa_float_denorm_mode_32 3
		.amdhsa_float_denorm_mode_16_64 3
		.amdhsa_dx10_clamp 1
		.amdhsa_ieee_mode 1
		.amdhsa_fp16_overflow 0
		.amdhsa_exception_fp_ieee_invalid_op 0
		.amdhsa_exception_fp_denorm_src 0
		.amdhsa_exception_fp_ieee_div_zero 0
		.amdhsa_exception_fp_ieee_overflow 0
		.amdhsa_exception_fp_ieee_underflow 0
		.amdhsa_exception_fp_ieee_inexact 0
		.amdhsa_exception_int_div_zero 0
	.end_amdhsa_kernel
	.section	.text._ZN7rocprim17ROCPRIM_400000_NS6detail17trampoline_kernelINS0_14default_configENS1_38merge_sort_block_merge_config_selectorIN3c104HalfElEEZZNS1_27merge_sort_block_merge_implIS3_PS6_N6thrust23THRUST_200600_302600_NS10device_ptrIlEEmNSB_4lessIS6_EEEE10hipError_tT0_T1_T2_jT3_P12ihipStream_tbPNSt15iterator_traitsISH_E10value_typeEPNSN_ISI_E10value_typeEPSJ_NS1_7vsmem_tEENKUlT_SH_SI_SJ_E_clIS9_S9_PlSD_EESG_SW_SH_SI_SJ_EUlSW_E_NS1_11comp_targetILNS1_3genE3ELNS1_11target_archE908ELNS1_3gpuE7ELNS1_3repE0EEENS1_48merge_mergepath_partition_config_static_selectorELNS0_4arch9wavefront6targetE1EEEvSI_,"axG",@progbits,_ZN7rocprim17ROCPRIM_400000_NS6detail17trampoline_kernelINS0_14default_configENS1_38merge_sort_block_merge_config_selectorIN3c104HalfElEEZZNS1_27merge_sort_block_merge_implIS3_PS6_N6thrust23THRUST_200600_302600_NS10device_ptrIlEEmNSB_4lessIS6_EEEE10hipError_tT0_T1_T2_jT3_P12ihipStream_tbPNSt15iterator_traitsISH_E10value_typeEPNSN_ISI_E10value_typeEPSJ_NS1_7vsmem_tEENKUlT_SH_SI_SJ_E_clIS9_S9_PlSD_EESG_SW_SH_SI_SJ_EUlSW_E_NS1_11comp_targetILNS1_3genE3ELNS1_11target_archE908ELNS1_3gpuE7ELNS1_3repE0EEENS1_48merge_mergepath_partition_config_static_selectorELNS0_4arch9wavefront6targetE1EEEvSI_,comdat
.Lfunc_end2128:
	.size	_ZN7rocprim17ROCPRIM_400000_NS6detail17trampoline_kernelINS0_14default_configENS1_38merge_sort_block_merge_config_selectorIN3c104HalfElEEZZNS1_27merge_sort_block_merge_implIS3_PS6_N6thrust23THRUST_200600_302600_NS10device_ptrIlEEmNSB_4lessIS6_EEEE10hipError_tT0_T1_T2_jT3_P12ihipStream_tbPNSt15iterator_traitsISH_E10value_typeEPNSN_ISI_E10value_typeEPSJ_NS1_7vsmem_tEENKUlT_SH_SI_SJ_E_clIS9_S9_PlSD_EESG_SW_SH_SI_SJ_EUlSW_E_NS1_11comp_targetILNS1_3genE3ELNS1_11target_archE908ELNS1_3gpuE7ELNS1_3repE0EEENS1_48merge_mergepath_partition_config_static_selectorELNS0_4arch9wavefront6targetE1EEEvSI_, .Lfunc_end2128-_ZN7rocprim17ROCPRIM_400000_NS6detail17trampoline_kernelINS0_14default_configENS1_38merge_sort_block_merge_config_selectorIN3c104HalfElEEZZNS1_27merge_sort_block_merge_implIS3_PS6_N6thrust23THRUST_200600_302600_NS10device_ptrIlEEmNSB_4lessIS6_EEEE10hipError_tT0_T1_T2_jT3_P12ihipStream_tbPNSt15iterator_traitsISH_E10value_typeEPNSN_ISI_E10value_typeEPSJ_NS1_7vsmem_tEENKUlT_SH_SI_SJ_E_clIS9_S9_PlSD_EESG_SW_SH_SI_SJ_EUlSW_E_NS1_11comp_targetILNS1_3genE3ELNS1_11target_archE908ELNS1_3gpuE7ELNS1_3repE0EEENS1_48merge_mergepath_partition_config_static_selectorELNS0_4arch9wavefront6targetE1EEEvSI_
                                        ; -- End function
	.set _ZN7rocprim17ROCPRIM_400000_NS6detail17trampoline_kernelINS0_14default_configENS1_38merge_sort_block_merge_config_selectorIN3c104HalfElEEZZNS1_27merge_sort_block_merge_implIS3_PS6_N6thrust23THRUST_200600_302600_NS10device_ptrIlEEmNSB_4lessIS6_EEEE10hipError_tT0_T1_T2_jT3_P12ihipStream_tbPNSt15iterator_traitsISH_E10value_typeEPNSN_ISI_E10value_typeEPSJ_NS1_7vsmem_tEENKUlT_SH_SI_SJ_E_clIS9_S9_PlSD_EESG_SW_SH_SI_SJ_EUlSW_E_NS1_11comp_targetILNS1_3genE3ELNS1_11target_archE908ELNS1_3gpuE7ELNS1_3repE0EEENS1_48merge_mergepath_partition_config_static_selectorELNS0_4arch9wavefront6targetE1EEEvSI_.num_vgpr, 0
	.set _ZN7rocprim17ROCPRIM_400000_NS6detail17trampoline_kernelINS0_14default_configENS1_38merge_sort_block_merge_config_selectorIN3c104HalfElEEZZNS1_27merge_sort_block_merge_implIS3_PS6_N6thrust23THRUST_200600_302600_NS10device_ptrIlEEmNSB_4lessIS6_EEEE10hipError_tT0_T1_T2_jT3_P12ihipStream_tbPNSt15iterator_traitsISH_E10value_typeEPNSN_ISI_E10value_typeEPSJ_NS1_7vsmem_tEENKUlT_SH_SI_SJ_E_clIS9_S9_PlSD_EESG_SW_SH_SI_SJ_EUlSW_E_NS1_11comp_targetILNS1_3genE3ELNS1_11target_archE908ELNS1_3gpuE7ELNS1_3repE0EEENS1_48merge_mergepath_partition_config_static_selectorELNS0_4arch9wavefront6targetE1EEEvSI_.num_agpr, 0
	.set _ZN7rocprim17ROCPRIM_400000_NS6detail17trampoline_kernelINS0_14default_configENS1_38merge_sort_block_merge_config_selectorIN3c104HalfElEEZZNS1_27merge_sort_block_merge_implIS3_PS6_N6thrust23THRUST_200600_302600_NS10device_ptrIlEEmNSB_4lessIS6_EEEE10hipError_tT0_T1_T2_jT3_P12ihipStream_tbPNSt15iterator_traitsISH_E10value_typeEPNSN_ISI_E10value_typeEPSJ_NS1_7vsmem_tEENKUlT_SH_SI_SJ_E_clIS9_S9_PlSD_EESG_SW_SH_SI_SJ_EUlSW_E_NS1_11comp_targetILNS1_3genE3ELNS1_11target_archE908ELNS1_3gpuE7ELNS1_3repE0EEENS1_48merge_mergepath_partition_config_static_selectorELNS0_4arch9wavefront6targetE1EEEvSI_.numbered_sgpr, 0
	.set _ZN7rocprim17ROCPRIM_400000_NS6detail17trampoline_kernelINS0_14default_configENS1_38merge_sort_block_merge_config_selectorIN3c104HalfElEEZZNS1_27merge_sort_block_merge_implIS3_PS6_N6thrust23THRUST_200600_302600_NS10device_ptrIlEEmNSB_4lessIS6_EEEE10hipError_tT0_T1_T2_jT3_P12ihipStream_tbPNSt15iterator_traitsISH_E10value_typeEPNSN_ISI_E10value_typeEPSJ_NS1_7vsmem_tEENKUlT_SH_SI_SJ_E_clIS9_S9_PlSD_EESG_SW_SH_SI_SJ_EUlSW_E_NS1_11comp_targetILNS1_3genE3ELNS1_11target_archE908ELNS1_3gpuE7ELNS1_3repE0EEENS1_48merge_mergepath_partition_config_static_selectorELNS0_4arch9wavefront6targetE1EEEvSI_.num_named_barrier, 0
	.set _ZN7rocprim17ROCPRIM_400000_NS6detail17trampoline_kernelINS0_14default_configENS1_38merge_sort_block_merge_config_selectorIN3c104HalfElEEZZNS1_27merge_sort_block_merge_implIS3_PS6_N6thrust23THRUST_200600_302600_NS10device_ptrIlEEmNSB_4lessIS6_EEEE10hipError_tT0_T1_T2_jT3_P12ihipStream_tbPNSt15iterator_traitsISH_E10value_typeEPNSN_ISI_E10value_typeEPSJ_NS1_7vsmem_tEENKUlT_SH_SI_SJ_E_clIS9_S9_PlSD_EESG_SW_SH_SI_SJ_EUlSW_E_NS1_11comp_targetILNS1_3genE3ELNS1_11target_archE908ELNS1_3gpuE7ELNS1_3repE0EEENS1_48merge_mergepath_partition_config_static_selectorELNS0_4arch9wavefront6targetE1EEEvSI_.private_seg_size, 0
	.set _ZN7rocprim17ROCPRIM_400000_NS6detail17trampoline_kernelINS0_14default_configENS1_38merge_sort_block_merge_config_selectorIN3c104HalfElEEZZNS1_27merge_sort_block_merge_implIS3_PS6_N6thrust23THRUST_200600_302600_NS10device_ptrIlEEmNSB_4lessIS6_EEEE10hipError_tT0_T1_T2_jT3_P12ihipStream_tbPNSt15iterator_traitsISH_E10value_typeEPNSN_ISI_E10value_typeEPSJ_NS1_7vsmem_tEENKUlT_SH_SI_SJ_E_clIS9_S9_PlSD_EESG_SW_SH_SI_SJ_EUlSW_E_NS1_11comp_targetILNS1_3genE3ELNS1_11target_archE908ELNS1_3gpuE7ELNS1_3repE0EEENS1_48merge_mergepath_partition_config_static_selectorELNS0_4arch9wavefront6targetE1EEEvSI_.uses_vcc, 0
	.set _ZN7rocprim17ROCPRIM_400000_NS6detail17trampoline_kernelINS0_14default_configENS1_38merge_sort_block_merge_config_selectorIN3c104HalfElEEZZNS1_27merge_sort_block_merge_implIS3_PS6_N6thrust23THRUST_200600_302600_NS10device_ptrIlEEmNSB_4lessIS6_EEEE10hipError_tT0_T1_T2_jT3_P12ihipStream_tbPNSt15iterator_traitsISH_E10value_typeEPNSN_ISI_E10value_typeEPSJ_NS1_7vsmem_tEENKUlT_SH_SI_SJ_E_clIS9_S9_PlSD_EESG_SW_SH_SI_SJ_EUlSW_E_NS1_11comp_targetILNS1_3genE3ELNS1_11target_archE908ELNS1_3gpuE7ELNS1_3repE0EEENS1_48merge_mergepath_partition_config_static_selectorELNS0_4arch9wavefront6targetE1EEEvSI_.uses_flat_scratch, 0
	.set _ZN7rocprim17ROCPRIM_400000_NS6detail17trampoline_kernelINS0_14default_configENS1_38merge_sort_block_merge_config_selectorIN3c104HalfElEEZZNS1_27merge_sort_block_merge_implIS3_PS6_N6thrust23THRUST_200600_302600_NS10device_ptrIlEEmNSB_4lessIS6_EEEE10hipError_tT0_T1_T2_jT3_P12ihipStream_tbPNSt15iterator_traitsISH_E10value_typeEPNSN_ISI_E10value_typeEPSJ_NS1_7vsmem_tEENKUlT_SH_SI_SJ_E_clIS9_S9_PlSD_EESG_SW_SH_SI_SJ_EUlSW_E_NS1_11comp_targetILNS1_3genE3ELNS1_11target_archE908ELNS1_3gpuE7ELNS1_3repE0EEENS1_48merge_mergepath_partition_config_static_selectorELNS0_4arch9wavefront6targetE1EEEvSI_.has_dyn_sized_stack, 0
	.set _ZN7rocprim17ROCPRIM_400000_NS6detail17trampoline_kernelINS0_14default_configENS1_38merge_sort_block_merge_config_selectorIN3c104HalfElEEZZNS1_27merge_sort_block_merge_implIS3_PS6_N6thrust23THRUST_200600_302600_NS10device_ptrIlEEmNSB_4lessIS6_EEEE10hipError_tT0_T1_T2_jT3_P12ihipStream_tbPNSt15iterator_traitsISH_E10value_typeEPNSN_ISI_E10value_typeEPSJ_NS1_7vsmem_tEENKUlT_SH_SI_SJ_E_clIS9_S9_PlSD_EESG_SW_SH_SI_SJ_EUlSW_E_NS1_11comp_targetILNS1_3genE3ELNS1_11target_archE908ELNS1_3gpuE7ELNS1_3repE0EEENS1_48merge_mergepath_partition_config_static_selectorELNS0_4arch9wavefront6targetE1EEEvSI_.has_recursion, 0
	.set _ZN7rocprim17ROCPRIM_400000_NS6detail17trampoline_kernelINS0_14default_configENS1_38merge_sort_block_merge_config_selectorIN3c104HalfElEEZZNS1_27merge_sort_block_merge_implIS3_PS6_N6thrust23THRUST_200600_302600_NS10device_ptrIlEEmNSB_4lessIS6_EEEE10hipError_tT0_T1_T2_jT3_P12ihipStream_tbPNSt15iterator_traitsISH_E10value_typeEPNSN_ISI_E10value_typeEPSJ_NS1_7vsmem_tEENKUlT_SH_SI_SJ_E_clIS9_S9_PlSD_EESG_SW_SH_SI_SJ_EUlSW_E_NS1_11comp_targetILNS1_3genE3ELNS1_11target_archE908ELNS1_3gpuE7ELNS1_3repE0EEENS1_48merge_mergepath_partition_config_static_selectorELNS0_4arch9wavefront6targetE1EEEvSI_.has_indirect_call, 0
	.section	.AMDGPU.csdata,"",@progbits
; Kernel info:
; codeLenInByte = 0
; TotalNumSgprs: 4
; NumVgprs: 0
; ScratchSize: 0
; MemoryBound: 0
; FloatMode: 240
; IeeeMode: 1
; LDSByteSize: 0 bytes/workgroup (compile time only)
; SGPRBlocks: 0
; VGPRBlocks: 0
; NumSGPRsForWavesPerEU: 4
; NumVGPRsForWavesPerEU: 1
; Occupancy: 10
; WaveLimiterHint : 0
; COMPUTE_PGM_RSRC2:SCRATCH_EN: 0
; COMPUTE_PGM_RSRC2:USER_SGPR: 6
; COMPUTE_PGM_RSRC2:TRAP_HANDLER: 0
; COMPUTE_PGM_RSRC2:TGID_X_EN: 1
; COMPUTE_PGM_RSRC2:TGID_Y_EN: 0
; COMPUTE_PGM_RSRC2:TGID_Z_EN: 0
; COMPUTE_PGM_RSRC2:TIDIG_COMP_CNT: 0
	.section	.text._ZN7rocprim17ROCPRIM_400000_NS6detail17trampoline_kernelINS0_14default_configENS1_38merge_sort_block_merge_config_selectorIN3c104HalfElEEZZNS1_27merge_sort_block_merge_implIS3_PS6_N6thrust23THRUST_200600_302600_NS10device_ptrIlEEmNSB_4lessIS6_EEEE10hipError_tT0_T1_T2_jT3_P12ihipStream_tbPNSt15iterator_traitsISH_E10value_typeEPNSN_ISI_E10value_typeEPSJ_NS1_7vsmem_tEENKUlT_SH_SI_SJ_E_clIS9_S9_PlSD_EESG_SW_SH_SI_SJ_EUlSW_E_NS1_11comp_targetILNS1_3genE2ELNS1_11target_archE906ELNS1_3gpuE6ELNS1_3repE0EEENS1_48merge_mergepath_partition_config_static_selectorELNS0_4arch9wavefront6targetE1EEEvSI_,"axG",@progbits,_ZN7rocprim17ROCPRIM_400000_NS6detail17trampoline_kernelINS0_14default_configENS1_38merge_sort_block_merge_config_selectorIN3c104HalfElEEZZNS1_27merge_sort_block_merge_implIS3_PS6_N6thrust23THRUST_200600_302600_NS10device_ptrIlEEmNSB_4lessIS6_EEEE10hipError_tT0_T1_T2_jT3_P12ihipStream_tbPNSt15iterator_traitsISH_E10value_typeEPNSN_ISI_E10value_typeEPSJ_NS1_7vsmem_tEENKUlT_SH_SI_SJ_E_clIS9_S9_PlSD_EESG_SW_SH_SI_SJ_EUlSW_E_NS1_11comp_targetILNS1_3genE2ELNS1_11target_archE906ELNS1_3gpuE6ELNS1_3repE0EEENS1_48merge_mergepath_partition_config_static_selectorELNS0_4arch9wavefront6targetE1EEEvSI_,comdat
	.protected	_ZN7rocprim17ROCPRIM_400000_NS6detail17trampoline_kernelINS0_14default_configENS1_38merge_sort_block_merge_config_selectorIN3c104HalfElEEZZNS1_27merge_sort_block_merge_implIS3_PS6_N6thrust23THRUST_200600_302600_NS10device_ptrIlEEmNSB_4lessIS6_EEEE10hipError_tT0_T1_T2_jT3_P12ihipStream_tbPNSt15iterator_traitsISH_E10value_typeEPNSN_ISI_E10value_typeEPSJ_NS1_7vsmem_tEENKUlT_SH_SI_SJ_E_clIS9_S9_PlSD_EESG_SW_SH_SI_SJ_EUlSW_E_NS1_11comp_targetILNS1_3genE2ELNS1_11target_archE906ELNS1_3gpuE6ELNS1_3repE0EEENS1_48merge_mergepath_partition_config_static_selectorELNS0_4arch9wavefront6targetE1EEEvSI_ ; -- Begin function _ZN7rocprim17ROCPRIM_400000_NS6detail17trampoline_kernelINS0_14default_configENS1_38merge_sort_block_merge_config_selectorIN3c104HalfElEEZZNS1_27merge_sort_block_merge_implIS3_PS6_N6thrust23THRUST_200600_302600_NS10device_ptrIlEEmNSB_4lessIS6_EEEE10hipError_tT0_T1_T2_jT3_P12ihipStream_tbPNSt15iterator_traitsISH_E10value_typeEPNSN_ISI_E10value_typeEPSJ_NS1_7vsmem_tEENKUlT_SH_SI_SJ_E_clIS9_S9_PlSD_EESG_SW_SH_SI_SJ_EUlSW_E_NS1_11comp_targetILNS1_3genE2ELNS1_11target_archE906ELNS1_3gpuE6ELNS1_3repE0EEENS1_48merge_mergepath_partition_config_static_selectorELNS0_4arch9wavefront6targetE1EEEvSI_
	.globl	_ZN7rocprim17ROCPRIM_400000_NS6detail17trampoline_kernelINS0_14default_configENS1_38merge_sort_block_merge_config_selectorIN3c104HalfElEEZZNS1_27merge_sort_block_merge_implIS3_PS6_N6thrust23THRUST_200600_302600_NS10device_ptrIlEEmNSB_4lessIS6_EEEE10hipError_tT0_T1_T2_jT3_P12ihipStream_tbPNSt15iterator_traitsISH_E10value_typeEPNSN_ISI_E10value_typeEPSJ_NS1_7vsmem_tEENKUlT_SH_SI_SJ_E_clIS9_S9_PlSD_EESG_SW_SH_SI_SJ_EUlSW_E_NS1_11comp_targetILNS1_3genE2ELNS1_11target_archE906ELNS1_3gpuE6ELNS1_3repE0EEENS1_48merge_mergepath_partition_config_static_selectorELNS0_4arch9wavefront6targetE1EEEvSI_
	.p2align	8
	.type	_ZN7rocprim17ROCPRIM_400000_NS6detail17trampoline_kernelINS0_14default_configENS1_38merge_sort_block_merge_config_selectorIN3c104HalfElEEZZNS1_27merge_sort_block_merge_implIS3_PS6_N6thrust23THRUST_200600_302600_NS10device_ptrIlEEmNSB_4lessIS6_EEEE10hipError_tT0_T1_T2_jT3_P12ihipStream_tbPNSt15iterator_traitsISH_E10value_typeEPNSN_ISI_E10value_typeEPSJ_NS1_7vsmem_tEENKUlT_SH_SI_SJ_E_clIS9_S9_PlSD_EESG_SW_SH_SI_SJ_EUlSW_E_NS1_11comp_targetILNS1_3genE2ELNS1_11target_archE906ELNS1_3gpuE6ELNS1_3repE0EEENS1_48merge_mergepath_partition_config_static_selectorELNS0_4arch9wavefront6targetE1EEEvSI_,@function
_ZN7rocprim17ROCPRIM_400000_NS6detail17trampoline_kernelINS0_14default_configENS1_38merge_sort_block_merge_config_selectorIN3c104HalfElEEZZNS1_27merge_sort_block_merge_implIS3_PS6_N6thrust23THRUST_200600_302600_NS10device_ptrIlEEmNSB_4lessIS6_EEEE10hipError_tT0_T1_T2_jT3_P12ihipStream_tbPNSt15iterator_traitsISH_E10value_typeEPNSN_ISI_E10value_typeEPSJ_NS1_7vsmem_tEENKUlT_SH_SI_SJ_E_clIS9_S9_PlSD_EESG_SW_SH_SI_SJ_EUlSW_E_NS1_11comp_targetILNS1_3genE2ELNS1_11target_archE906ELNS1_3gpuE6ELNS1_3repE0EEENS1_48merge_mergepath_partition_config_static_selectorELNS0_4arch9wavefront6targetE1EEEvSI_: ; @_ZN7rocprim17ROCPRIM_400000_NS6detail17trampoline_kernelINS0_14default_configENS1_38merge_sort_block_merge_config_selectorIN3c104HalfElEEZZNS1_27merge_sort_block_merge_implIS3_PS6_N6thrust23THRUST_200600_302600_NS10device_ptrIlEEmNSB_4lessIS6_EEEE10hipError_tT0_T1_T2_jT3_P12ihipStream_tbPNSt15iterator_traitsISH_E10value_typeEPNSN_ISI_E10value_typeEPSJ_NS1_7vsmem_tEENKUlT_SH_SI_SJ_E_clIS9_S9_PlSD_EESG_SW_SH_SI_SJ_EUlSW_E_NS1_11comp_targetILNS1_3genE2ELNS1_11target_archE906ELNS1_3gpuE6ELNS1_3repE0EEENS1_48merge_mergepath_partition_config_static_selectorELNS0_4arch9wavefront6targetE1EEEvSI_
; %bb.0:
	s_load_dword s0, s[4:5], 0x0
	v_lshl_or_b32 v0, s6, 7, v0
	s_waitcnt lgkmcnt(0)
	v_cmp_gt_u32_e32 vcc, s0, v0
	s_and_saveexec_b64 s[0:1], vcc
	s_cbranch_execz .LBB2129_6
; %bb.1:
	s_load_dwordx4 s[0:3], s[4:5], 0x8
	s_load_dwordx2 s[6:7], s[4:5], 0x28
	v_mov_b32_e32 v3, 0
	s_waitcnt lgkmcnt(0)
	s_lshr_b64 s[8:9], s[0:1], 9
	s_and_b32 s8, s8, -2
	s_add_i32 s9, s8, -1
	s_sub_i32 s8, 0, s8
	v_and_b32_e32 v2, s8, v0
	v_lshlrev_b64 v[4:5], 10, v[2:3]
	v_mov_b32_e32 v6, s3
	v_cmp_lt_u64_e32 vcc, s[2:3], v[4:5]
	v_mov_b32_e32 v10, s2
	v_cndmask_b32_e32 v2, v5, v6, vcc
	v_cndmask_b32_e32 v1, v4, v10, vcc
	v_mov_b32_e32 v7, s1
	v_add_co_u32_e32 v4, vcc, s0, v4
	v_addc_co_u32_e32 v5, vcc, v5, v7, vcc
	v_cmp_lt_u64_e32 vcc, s[2:3], v[4:5]
	v_and_b32_e32 v9, s9, v0
	v_cndmask_b32_e32 v7, v4, v10, vcc
	v_cndmask_b32_e32 v8, v5, v6, vcc
	v_mov_b32_e32 v5, s1
	v_add_co_u32_e32 v4, vcc, s0, v7
	v_addc_co_u32_e32 v5, vcc, v8, v5, vcc
	v_cmp_lt_u64_e32 vcc, s[2:3], v[4:5]
	v_cndmask_b32_e32 v12, v4, v10, vcc
	v_mov_b32_e32 v10, v3
	v_cndmask_b32_e32 v11, v5, v6, vcc
	v_lshlrev_b64 v[3:4], 10, v[9:10]
	v_sub_co_u32_e32 v5, vcc, v12, v1
	v_subb_co_u32_e32 v6, vcc, v11, v2, vcc
	v_cmp_lt_u64_e32 vcc, v[5:6], v[3:4]
	v_cndmask_b32_e32 v10, v4, v6, vcc
	v_cndmask_b32_e32 v9, v3, v5, vcc
	v_sub_co_u32_e32 v5, vcc, v7, v1
	v_subb_co_u32_e32 v6, vcc, v8, v2, vcc
	v_sub_co_u32_e32 v3, vcc, v7, v12
	v_subb_co_u32_e32 v4, vcc, v8, v11, vcc
	v_add_co_u32_e32 v3, vcc, v9, v3
	v_addc_co_u32_e32 v4, vcc, v10, v4, vcc
	v_cmp_gt_u64_e32 vcc, v[3:4], v[9:10]
	v_cndmask_b32_e64 v4, v4, 0, vcc
	v_cndmask_b32_e64 v3, v3, 0, vcc
	v_cmp_lt_u64_e32 vcc, v[9:10], v[5:6]
	v_cndmask_b32_e32 v6, v6, v10, vcc
	v_cndmask_b32_e32 v5, v5, v9, vcc
	v_cmp_lt_u64_e32 vcc, v[3:4], v[5:6]
	s_and_saveexec_b64 s[0:1], vcc
	s_cbranch_execz .LBB2129_5
; %bb.2:
	s_load_dwordx2 s[2:3], s[4:5], 0x18
	v_lshlrev_b64 v[11:12], 1, v[1:2]
	v_lshlrev_b64 v[7:8], 1, v[7:8]
	s_waitcnt lgkmcnt(0)
	v_mov_b32_e32 v13, s3
	v_add_co_u32_e32 v11, vcc, s2, v11
	v_addc_co_u32_e32 v12, vcc, v13, v12, vcc
	v_add_co_u32_e32 v14, vcc, s2, v7
	v_addc_co_u32_e32 v13, vcc, v13, v8, vcc
	v_lshlrev_b64 v[7:8], 1, v[9:10]
	s_mov_b64 s[2:3], 0
	v_add_co_u32_e32 v7, vcc, v14, v7
	v_addc_co_u32_e32 v8, vcc, v13, v8, vcc
.LBB2129_3:                             ; =>This Inner Loop Header: Depth=1
	v_add_co_u32_e32 v9, vcc, v5, v3
	v_addc_co_u32_e32 v10, vcc, v6, v4, vcc
	v_and_b32_e32 v15, -2, v9
	v_add_co_u32_e32 v13, vcc, v11, v15
	v_addc_co_u32_e32 v14, vcc, v12, v10, vcc
	v_xor_b32_e32 v15, -2, v15
	v_xor_b32_e32 v16, -1, v10
	v_add_co_u32_e32 v15, vcc, v7, v15
	v_addc_co_u32_e32 v16, vcc, v8, v16, vcc
	global_load_ushort v17, v[13:14], off
	global_load_ushort v18, v[15:16], off
	v_lshrrev_b64 v[9:10], 1, v[9:10]
	v_add_co_u32_e32 v13, vcc, 1, v9
	v_addc_co_u32_e32 v14, vcc, 0, v10, vcc
	s_waitcnt vmcnt(0)
	v_cmp_lt_f16_e32 vcc, v18, v17
	v_cndmask_b32_e32 v6, v6, v10, vcc
	v_cndmask_b32_e32 v5, v5, v9, vcc
	;; [unrolled: 1-line block ×4, first 2 shown]
	v_cmp_ge_u64_e32 vcc, v[3:4], v[5:6]
	s_or_b64 s[2:3], vcc, s[2:3]
	s_andn2_b64 exec, exec, s[2:3]
	s_cbranch_execnz .LBB2129_3
; %bb.4:
	s_or_b64 exec, exec, s[2:3]
.LBB2129_5:
	s_or_b64 exec, exec, s[0:1]
	v_add_co_u32_e32 v3, vcc, v3, v1
	v_mov_b32_e32 v1, 0
	v_lshlrev_b64 v[0:1], 3, v[0:1]
	v_addc_co_u32_e32 v4, vcc, v4, v2, vcc
	v_mov_b32_e32 v2, s7
	v_add_co_u32_e32 v0, vcc, s6, v0
	v_addc_co_u32_e32 v1, vcc, v2, v1, vcc
	global_store_dwordx2 v[0:1], v[3:4], off
.LBB2129_6:
	s_endpgm
	.section	.rodata,"a",@progbits
	.p2align	6, 0x0
	.amdhsa_kernel _ZN7rocprim17ROCPRIM_400000_NS6detail17trampoline_kernelINS0_14default_configENS1_38merge_sort_block_merge_config_selectorIN3c104HalfElEEZZNS1_27merge_sort_block_merge_implIS3_PS6_N6thrust23THRUST_200600_302600_NS10device_ptrIlEEmNSB_4lessIS6_EEEE10hipError_tT0_T1_T2_jT3_P12ihipStream_tbPNSt15iterator_traitsISH_E10value_typeEPNSN_ISI_E10value_typeEPSJ_NS1_7vsmem_tEENKUlT_SH_SI_SJ_E_clIS9_S9_PlSD_EESG_SW_SH_SI_SJ_EUlSW_E_NS1_11comp_targetILNS1_3genE2ELNS1_11target_archE906ELNS1_3gpuE6ELNS1_3repE0EEENS1_48merge_mergepath_partition_config_static_selectorELNS0_4arch9wavefront6targetE1EEEvSI_
		.amdhsa_group_segment_fixed_size 0
		.amdhsa_private_segment_fixed_size 0
		.amdhsa_kernarg_size 48
		.amdhsa_user_sgpr_count 6
		.amdhsa_user_sgpr_private_segment_buffer 1
		.amdhsa_user_sgpr_dispatch_ptr 0
		.amdhsa_user_sgpr_queue_ptr 0
		.amdhsa_user_sgpr_kernarg_segment_ptr 1
		.amdhsa_user_sgpr_dispatch_id 0
		.amdhsa_user_sgpr_flat_scratch_init 0
		.amdhsa_user_sgpr_private_segment_size 0
		.amdhsa_uses_dynamic_stack 0
		.amdhsa_system_sgpr_private_segment_wavefront_offset 0
		.amdhsa_system_sgpr_workgroup_id_x 1
		.amdhsa_system_sgpr_workgroup_id_y 0
		.amdhsa_system_sgpr_workgroup_id_z 0
		.amdhsa_system_sgpr_workgroup_info 0
		.amdhsa_system_vgpr_workitem_id 0
		.amdhsa_next_free_vgpr 19
		.amdhsa_next_free_sgpr 10
		.amdhsa_reserve_vcc 1
		.amdhsa_reserve_flat_scratch 0
		.amdhsa_float_round_mode_32 0
		.amdhsa_float_round_mode_16_64 0
		.amdhsa_float_denorm_mode_32 3
		.amdhsa_float_denorm_mode_16_64 3
		.amdhsa_dx10_clamp 1
		.amdhsa_ieee_mode 1
		.amdhsa_fp16_overflow 0
		.amdhsa_exception_fp_ieee_invalid_op 0
		.amdhsa_exception_fp_denorm_src 0
		.amdhsa_exception_fp_ieee_div_zero 0
		.amdhsa_exception_fp_ieee_overflow 0
		.amdhsa_exception_fp_ieee_underflow 0
		.amdhsa_exception_fp_ieee_inexact 0
		.amdhsa_exception_int_div_zero 0
	.end_amdhsa_kernel
	.section	.text._ZN7rocprim17ROCPRIM_400000_NS6detail17trampoline_kernelINS0_14default_configENS1_38merge_sort_block_merge_config_selectorIN3c104HalfElEEZZNS1_27merge_sort_block_merge_implIS3_PS6_N6thrust23THRUST_200600_302600_NS10device_ptrIlEEmNSB_4lessIS6_EEEE10hipError_tT0_T1_T2_jT3_P12ihipStream_tbPNSt15iterator_traitsISH_E10value_typeEPNSN_ISI_E10value_typeEPSJ_NS1_7vsmem_tEENKUlT_SH_SI_SJ_E_clIS9_S9_PlSD_EESG_SW_SH_SI_SJ_EUlSW_E_NS1_11comp_targetILNS1_3genE2ELNS1_11target_archE906ELNS1_3gpuE6ELNS1_3repE0EEENS1_48merge_mergepath_partition_config_static_selectorELNS0_4arch9wavefront6targetE1EEEvSI_,"axG",@progbits,_ZN7rocprim17ROCPRIM_400000_NS6detail17trampoline_kernelINS0_14default_configENS1_38merge_sort_block_merge_config_selectorIN3c104HalfElEEZZNS1_27merge_sort_block_merge_implIS3_PS6_N6thrust23THRUST_200600_302600_NS10device_ptrIlEEmNSB_4lessIS6_EEEE10hipError_tT0_T1_T2_jT3_P12ihipStream_tbPNSt15iterator_traitsISH_E10value_typeEPNSN_ISI_E10value_typeEPSJ_NS1_7vsmem_tEENKUlT_SH_SI_SJ_E_clIS9_S9_PlSD_EESG_SW_SH_SI_SJ_EUlSW_E_NS1_11comp_targetILNS1_3genE2ELNS1_11target_archE906ELNS1_3gpuE6ELNS1_3repE0EEENS1_48merge_mergepath_partition_config_static_selectorELNS0_4arch9wavefront6targetE1EEEvSI_,comdat
.Lfunc_end2129:
	.size	_ZN7rocprim17ROCPRIM_400000_NS6detail17trampoline_kernelINS0_14default_configENS1_38merge_sort_block_merge_config_selectorIN3c104HalfElEEZZNS1_27merge_sort_block_merge_implIS3_PS6_N6thrust23THRUST_200600_302600_NS10device_ptrIlEEmNSB_4lessIS6_EEEE10hipError_tT0_T1_T2_jT3_P12ihipStream_tbPNSt15iterator_traitsISH_E10value_typeEPNSN_ISI_E10value_typeEPSJ_NS1_7vsmem_tEENKUlT_SH_SI_SJ_E_clIS9_S9_PlSD_EESG_SW_SH_SI_SJ_EUlSW_E_NS1_11comp_targetILNS1_3genE2ELNS1_11target_archE906ELNS1_3gpuE6ELNS1_3repE0EEENS1_48merge_mergepath_partition_config_static_selectorELNS0_4arch9wavefront6targetE1EEEvSI_, .Lfunc_end2129-_ZN7rocprim17ROCPRIM_400000_NS6detail17trampoline_kernelINS0_14default_configENS1_38merge_sort_block_merge_config_selectorIN3c104HalfElEEZZNS1_27merge_sort_block_merge_implIS3_PS6_N6thrust23THRUST_200600_302600_NS10device_ptrIlEEmNSB_4lessIS6_EEEE10hipError_tT0_T1_T2_jT3_P12ihipStream_tbPNSt15iterator_traitsISH_E10value_typeEPNSN_ISI_E10value_typeEPSJ_NS1_7vsmem_tEENKUlT_SH_SI_SJ_E_clIS9_S9_PlSD_EESG_SW_SH_SI_SJ_EUlSW_E_NS1_11comp_targetILNS1_3genE2ELNS1_11target_archE906ELNS1_3gpuE6ELNS1_3repE0EEENS1_48merge_mergepath_partition_config_static_selectorELNS0_4arch9wavefront6targetE1EEEvSI_
                                        ; -- End function
	.set _ZN7rocprim17ROCPRIM_400000_NS6detail17trampoline_kernelINS0_14default_configENS1_38merge_sort_block_merge_config_selectorIN3c104HalfElEEZZNS1_27merge_sort_block_merge_implIS3_PS6_N6thrust23THRUST_200600_302600_NS10device_ptrIlEEmNSB_4lessIS6_EEEE10hipError_tT0_T1_T2_jT3_P12ihipStream_tbPNSt15iterator_traitsISH_E10value_typeEPNSN_ISI_E10value_typeEPSJ_NS1_7vsmem_tEENKUlT_SH_SI_SJ_E_clIS9_S9_PlSD_EESG_SW_SH_SI_SJ_EUlSW_E_NS1_11comp_targetILNS1_3genE2ELNS1_11target_archE906ELNS1_3gpuE6ELNS1_3repE0EEENS1_48merge_mergepath_partition_config_static_selectorELNS0_4arch9wavefront6targetE1EEEvSI_.num_vgpr, 19
	.set _ZN7rocprim17ROCPRIM_400000_NS6detail17trampoline_kernelINS0_14default_configENS1_38merge_sort_block_merge_config_selectorIN3c104HalfElEEZZNS1_27merge_sort_block_merge_implIS3_PS6_N6thrust23THRUST_200600_302600_NS10device_ptrIlEEmNSB_4lessIS6_EEEE10hipError_tT0_T1_T2_jT3_P12ihipStream_tbPNSt15iterator_traitsISH_E10value_typeEPNSN_ISI_E10value_typeEPSJ_NS1_7vsmem_tEENKUlT_SH_SI_SJ_E_clIS9_S9_PlSD_EESG_SW_SH_SI_SJ_EUlSW_E_NS1_11comp_targetILNS1_3genE2ELNS1_11target_archE906ELNS1_3gpuE6ELNS1_3repE0EEENS1_48merge_mergepath_partition_config_static_selectorELNS0_4arch9wavefront6targetE1EEEvSI_.num_agpr, 0
	.set _ZN7rocprim17ROCPRIM_400000_NS6detail17trampoline_kernelINS0_14default_configENS1_38merge_sort_block_merge_config_selectorIN3c104HalfElEEZZNS1_27merge_sort_block_merge_implIS3_PS6_N6thrust23THRUST_200600_302600_NS10device_ptrIlEEmNSB_4lessIS6_EEEE10hipError_tT0_T1_T2_jT3_P12ihipStream_tbPNSt15iterator_traitsISH_E10value_typeEPNSN_ISI_E10value_typeEPSJ_NS1_7vsmem_tEENKUlT_SH_SI_SJ_E_clIS9_S9_PlSD_EESG_SW_SH_SI_SJ_EUlSW_E_NS1_11comp_targetILNS1_3genE2ELNS1_11target_archE906ELNS1_3gpuE6ELNS1_3repE0EEENS1_48merge_mergepath_partition_config_static_selectorELNS0_4arch9wavefront6targetE1EEEvSI_.numbered_sgpr, 10
	.set _ZN7rocprim17ROCPRIM_400000_NS6detail17trampoline_kernelINS0_14default_configENS1_38merge_sort_block_merge_config_selectorIN3c104HalfElEEZZNS1_27merge_sort_block_merge_implIS3_PS6_N6thrust23THRUST_200600_302600_NS10device_ptrIlEEmNSB_4lessIS6_EEEE10hipError_tT0_T1_T2_jT3_P12ihipStream_tbPNSt15iterator_traitsISH_E10value_typeEPNSN_ISI_E10value_typeEPSJ_NS1_7vsmem_tEENKUlT_SH_SI_SJ_E_clIS9_S9_PlSD_EESG_SW_SH_SI_SJ_EUlSW_E_NS1_11comp_targetILNS1_3genE2ELNS1_11target_archE906ELNS1_3gpuE6ELNS1_3repE0EEENS1_48merge_mergepath_partition_config_static_selectorELNS0_4arch9wavefront6targetE1EEEvSI_.num_named_barrier, 0
	.set _ZN7rocprim17ROCPRIM_400000_NS6detail17trampoline_kernelINS0_14default_configENS1_38merge_sort_block_merge_config_selectorIN3c104HalfElEEZZNS1_27merge_sort_block_merge_implIS3_PS6_N6thrust23THRUST_200600_302600_NS10device_ptrIlEEmNSB_4lessIS6_EEEE10hipError_tT0_T1_T2_jT3_P12ihipStream_tbPNSt15iterator_traitsISH_E10value_typeEPNSN_ISI_E10value_typeEPSJ_NS1_7vsmem_tEENKUlT_SH_SI_SJ_E_clIS9_S9_PlSD_EESG_SW_SH_SI_SJ_EUlSW_E_NS1_11comp_targetILNS1_3genE2ELNS1_11target_archE906ELNS1_3gpuE6ELNS1_3repE0EEENS1_48merge_mergepath_partition_config_static_selectorELNS0_4arch9wavefront6targetE1EEEvSI_.private_seg_size, 0
	.set _ZN7rocprim17ROCPRIM_400000_NS6detail17trampoline_kernelINS0_14default_configENS1_38merge_sort_block_merge_config_selectorIN3c104HalfElEEZZNS1_27merge_sort_block_merge_implIS3_PS6_N6thrust23THRUST_200600_302600_NS10device_ptrIlEEmNSB_4lessIS6_EEEE10hipError_tT0_T1_T2_jT3_P12ihipStream_tbPNSt15iterator_traitsISH_E10value_typeEPNSN_ISI_E10value_typeEPSJ_NS1_7vsmem_tEENKUlT_SH_SI_SJ_E_clIS9_S9_PlSD_EESG_SW_SH_SI_SJ_EUlSW_E_NS1_11comp_targetILNS1_3genE2ELNS1_11target_archE906ELNS1_3gpuE6ELNS1_3repE0EEENS1_48merge_mergepath_partition_config_static_selectorELNS0_4arch9wavefront6targetE1EEEvSI_.uses_vcc, 1
	.set _ZN7rocprim17ROCPRIM_400000_NS6detail17trampoline_kernelINS0_14default_configENS1_38merge_sort_block_merge_config_selectorIN3c104HalfElEEZZNS1_27merge_sort_block_merge_implIS3_PS6_N6thrust23THRUST_200600_302600_NS10device_ptrIlEEmNSB_4lessIS6_EEEE10hipError_tT0_T1_T2_jT3_P12ihipStream_tbPNSt15iterator_traitsISH_E10value_typeEPNSN_ISI_E10value_typeEPSJ_NS1_7vsmem_tEENKUlT_SH_SI_SJ_E_clIS9_S9_PlSD_EESG_SW_SH_SI_SJ_EUlSW_E_NS1_11comp_targetILNS1_3genE2ELNS1_11target_archE906ELNS1_3gpuE6ELNS1_3repE0EEENS1_48merge_mergepath_partition_config_static_selectorELNS0_4arch9wavefront6targetE1EEEvSI_.uses_flat_scratch, 0
	.set _ZN7rocprim17ROCPRIM_400000_NS6detail17trampoline_kernelINS0_14default_configENS1_38merge_sort_block_merge_config_selectorIN3c104HalfElEEZZNS1_27merge_sort_block_merge_implIS3_PS6_N6thrust23THRUST_200600_302600_NS10device_ptrIlEEmNSB_4lessIS6_EEEE10hipError_tT0_T1_T2_jT3_P12ihipStream_tbPNSt15iterator_traitsISH_E10value_typeEPNSN_ISI_E10value_typeEPSJ_NS1_7vsmem_tEENKUlT_SH_SI_SJ_E_clIS9_S9_PlSD_EESG_SW_SH_SI_SJ_EUlSW_E_NS1_11comp_targetILNS1_3genE2ELNS1_11target_archE906ELNS1_3gpuE6ELNS1_3repE0EEENS1_48merge_mergepath_partition_config_static_selectorELNS0_4arch9wavefront6targetE1EEEvSI_.has_dyn_sized_stack, 0
	.set _ZN7rocprim17ROCPRIM_400000_NS6detail17trampoline_kernelINS0_14default_configENS1_38merge_sort_block_merge_config_selectorIN3c104HalfElEEZZNS1_27merge_sort_block_merge_implIS3_PS6_N6thrust23THRUST_200600_302600_NS10device_ptrIlEEmNSB_4lessIS6_EEEE10hipError_tT0_T1_T2_jT3_P12ihipStream_tbPNSt15iterator_traitsISH_E10value_typeEPNSN_ISI_E10value_typeEPSJ_NS1_7vsmem_tEENKUlT_SH_SI_SJ_E_clIS9_S9_PlSD_EESG_SW_SH_SI_SJ_EUlSW_E_NS1_11comp_targetILNS1_3genE2ELNS1_11target_archE906ELNS1_3gpuE6ELNS1_3repE0EEENS1_48merge_mergepath_partition_config_static_selectorELNS0_4arch9wavefront6targetE1EEEvSI_.has_recursion, 0
	.set _ZN7rocprim17ROCPRIM_400000_NS6detail17trampoline_kernelINS0_14default_configENS1_38merge_sort_block_merge_config_selectorIN3c104HalfElEEZZNS1_27merge_sort_block_merge_implIS3_PS6_N6thrust23THRUST_200600_302600_NS10device_ptrIlEEmNSB_4lessIS6_EEEE10hipError_tT0_T1_T2_jT3_P12ihipStream_tbPNSt15iterator_traitsISH_E10value_typeEPNSN_ISI_E10value_typeEPSJ_NS1_7vsmem_tEENKUlT_SH_SI_SJ_E_clIS9_S9_PlSD_EESG_SW_SH_SI_SJ_EUlSW_E_NS1_11comp_targetILNS1_3genE2ELNS1_11target_archE906ELNS1_3gpuE6ELNS1_3repE0EEENS1_48merge_mergepath_partition_config_static_selectorELNS0_4arch9wavefront6targetE1EEEvSI_.has_indirect_call, 0
	.section	.AMDGPU.csdata,"",@progbits
; Kernel info:
; codeLenInByte = 484
; TotalNumSgprs: 14
; NumVgprs: 19
; ScratchSize: 0
; MemoryBound: 0
; FloatMode: 240
; IeeeMode: 1
; LDSByteSize: 0 bytes/workgroup (compile time only)
; SGPRBlocks: 1
; VGPRBlocks: 4
; NumSGPRsForWavesPerEU: 14
; NumVGPRsForWavesPerEU: 19
; Occupancy: 10
; WaveLimiterHint : 0
; COMPUTE_PGM_RSRC2:SCRATCH_EN: 0
; COMPUTE_PGM_RSRC2:USER_SGPR: 6
; COMPUTE_PGM_RSRC2:TRAP_HANDLER: 0
; COMPUTE_PGM_RSRC2:TGID_X_EN: 1
; COMPUTE_PGM_RSRC2:TGID_Y_EN: 0
; COMPUTE_PGM_RSRC2:TGID_Z_EN: 0
; COMPUTE_PGM_RSRC2:TIDIG_COMP_CNT: 0
	.section	.text._ZN7rocprim17ROCPRIM_400000_NS6detail17trampoline_kernelINS0_14default_configENS1_38merge_sort_block_merge_config_selectorIN3c104HalfElEEZZNS1_27merge_sort_block_merge_implIS3_PS6_N6thrust23THRUST_200600_302600_NS10device_ptrIlEEmNSB_4lessIS6_EEEE10hipError_tT0_T1_T2_jT3_P12ihipStream_tbPNSt15iterator_traitsISH_E10value_typeEPNSN_ISI_E10value_typeEPSJ_NS1_7vsmem_tEENKUlT_SH_SI_SJ_E_clIS9_S9_PlSD_EESG_SW_SH_SI_SJ_EUlSW_E_NS1_11comp_targetILNS1_3genE9ELNS1_11target_archE1100ELNS1_3gpuE3ELNS1_3repE0EEENS1_48merge_mergepath_partition_config_static_selectorELNS0_4arch9wavefront6targetE1EEEvSI_,"axG",@progbits,_ZN7rocprim17ROCPRIM_400000_NS6detail17trampoline_kernelINS0_14default_configENS1_38merge_sort_block_merge_config_selectorIN3c104HalfElEEZZNS1_27merge_sort_block_merge_implIS3_PS6_N6thrust23THRUST_200600_302600_NS10device_ptrIlEEmNSB_4lessIS6_EEEE10hipError_tT0_T1_T2_jT3_P12ihipStream_tbPNSt15iterator_traitsISH_E10value_typeEPNSN_ISI_E10value_typeEPSJ_NS1_7vsmem_tEENKUlT_SH_SI_SJ_E_clIS9_S9_PlSD_EESG_SW_SH_SI_SJ_EUlSW_E_NS1_11comp_targetILNS1_3genE9ELNS1_11target_archE1100ELNS1_3gpuE3ELNS1_3repE0EEENS1_48merge_mergepath_partition_config_static_selectorELNS0_4arch9wavefront6targetE1EEEvSI_,comdat
	.protected	_ZN7rocprim17ROCPRIM_400000_NS6detail17trampoline_kernelINS0_14default_configENS1_38merge_sort_block_merge_config_selectorIN3c104HalfElEEZZNS1_27merge_sort_block_merge_implIS3_PS6_N6thrust23THRUST_200600_302600_NS10device_ptrIlEEmNSB_4lessIS6_EEEE10hipError_tT0_T1_T2_jT3_P12ihipStream_tbPNSt15iterator_traitsISH_E10value_typeEPNSN_ISI_E10value_typeEPSJ_NS1_7vsmem_tEENKUlT_SH_SI_SJ_E_clIS9_S9_PlSD_EESG_SW_SH_SI_SJ_EUlSW_E_NS1_11comp_targetILNS1_3genE9ELNS1_11target_archE1100ELNS1_3gpuE3ELNS1_3repE0EEENS1_48merge_mergepath_partition_config_static_selectorELNS0_4arch9wavefront6targetE1EEEvSI_ ; -- Begin function _ZN7rocprim17ROCPRIM_400000_NS6detail17trampoline_kernelINS0_14default_configENS1_38merge_sort_block_merge_config_selectorIN3c104HalfElEEZZNS1_27merge_sort_block_merge_implIS3_PS6_N6thrust23THRUST_200600_302600_NS10device_ptrIlEEmNSB_4lessIS6_EEEE10hipError_tT0_T1_T2_jT3_P12ihipStream_tbPNSt15iterator_traitsISH_E10value_typeEPNSN_ISI_E10value_typeEPSJ_NS1_7vsmem_tEENKUlT_SH_SI_SJ_E_clIS9_S9_PlSD_EESG_SW_SH_SI_SJ_EUlSW_E_NS1_11comp_targetILNS1_3genE9ELNS1_11target_archE1100ELNS1_3gpuE3ELNS1_3repE0EEENS1_48merge_mergepath_partition_config_static_selectorELNS0_4arch9wavefront6targetE1EEEvSI_
	.globl	_ZN7rocprim17ROCPRIM_400000_NS6detail17trampoline_kernelINS0_14default_configENS1_38merge_sort_block_merge_config_selectorIN3c104HalfElEEZZNS1_27merge_sort_block_merge_implIS3_PS6_N6thrust23THRUST_200600_302600_NS10device_ptrIlEEmNSB_4lessIS6_EEEE10hipError_tT0_T1_T2_jT3_P12ihipStream_tbPNSt15iterator_traitsISH_E10value_typeEPNSN_ISI_E10value_typeEPSJ_NS1_7vsmem_tEENKUlT_SH_SI_SJ_E_clIS9_S9_PlSD_EESG_SW_SH_SI_SJ_EUlSW_E_NS1_11comp_targetILNS1_3genE9ELNS1_11target_archE1100ELNS1_3gpuE3ELNS1_3repE0EEENS1_48merge_mergepath_partition_config_static_selectorELNS0_4arch9wavefront6targetE1EEEvSI_
	.p2align	8
	.type	_ZN7rocprim17ROCPRIM_400000_NS6detail17trampoline_kernelINS0_14default_configENS1_38merge_sort_block_merge_config_selectorIN3c104HalfElEEZZNS1_27merge_sort_block_merge_implIS3_PS6_N6thrust23THRUST_200600_302600_NS10device_ptrIlEEmNSB_4lessIS6_EEEE10hipError_tT0_T1_T2_jT3_P12ihipStream_tbPNSt15iterator_traitsISH_E10value_typeEPNSN_ISI_E10value_typeEPSJ_NS1_7vsmem_tEENKUlT_SH_SI_SJ_E_clIS9_S9_PlSD_EESG_SW_SH_SI_SJ_EUlSW_E_NS1_11comp_targetILNS1_3genE9ELNS1_11target_archE1100ELNS1_3gpuE3ELNS1_3repE0EEENS1_48merge_mergepath_partition_config_static_selectorELNS0_4arch9wavefront6targetE1EEEvSI_,@function
_ZN7rocprim17ROCPRIM_400000_NS6detail17trampoline_kernelINS0_14default_configENS1_38merge_sort_block_merge_config_selectorIN3c104HalfElEEZZNS1_27merge_sort_block_merge_implIS3_PS6_N6thrust23THRUST_200600_302600_NS10device_ptrIlEEmNSB_4lessIS6_EEEE10hipError_tT0_T1_T2_jT3_P12ihipStream_tbPNSt15iterator_traitsISH_E10value_typeEPNSN_ISI_E10value_typeEPSJ_NS1_7vsmem_tEENKUlT_SH_SI_SJ_E_clIS9_S9_PlSD_EESG_SW_SH_SI_SJ_EUlSW_E_NS1_11comp_targetILNS1_3genE9ELNS1_11target_archE1100ELNS1_3gpuE3ELNS1_3repE0EEENS1_48merge_mergepath_partition_config_static_selectorELNS0_4arch9wavefront6targetE1EEEvSI_: ; @_ZN7rocprim17ROCPRIM_400000_NS6detail17trampoline_kernelINS0_14default_configENS1_38merge_sort_block_merge_config_selectorIN3c104HalfElEEZZNS1_27merge_sort_block_merge_implIS3_PS6_N6thrust23THRUST_200600_302600_NS10device_ptrIlEEmNSB_4lessIS6_EEEE10hipError_tT0_T1_T2_jT3_P12ihipStream_tbPNSt15iterator_traitsISH_E10value_typeEPNSN_ISI_E10value_typeEPSJ_NS1_7vsmem_tEENKUlT_SH_SI_SJ_E_clIS9_S9_PlSD_EESG_SW_SH_SI_SJ_EUlSW_E_NS1_11comp_targetILNS1_3genE9ELNS1_11target_archE1100ELNS1_3gpuE3ELNS1_3repE0EEENS1_48merge_mergepath_partition_config_static_selectorELNS0_4arch9wavefront6targetE1EEEvSI_
; %bb.0:
	.section	.rodata,"a",@progbits
	.p2align	6, 0x0
	.amdhsa_kernel _ZN7rocprim17ROCPRIM_400000_NS6detail17trampoline_kernelINS0_14default_configENS1_38merge_sort_block_merge_config_selectorIN3c104HalfElEEZZNS1_27merge_sort_block_merge_implIS3_PS6_N6thrust23THRUST_200600_302600_NS10device_ptrIlEEmNSB_4lessIS6_EEEE10hipError_tT0_T1_T2_jT3_P12ihipStream_tbPNSt15iterator_traitsISH_E10value_typeEPNSN_ISI_E10value_typeEPSJ_NS1_7vsmem_tEENKUlT_SH_SI_SJ_E_clIS9_S9_PlSD_EESG_SW_SH_SI_SJ_EUlSW_E_NS1_11comp_targetILNS1_3genE9ELNS1_11target_archE1100ELNS1_3gpuE3ELNS1_3repE0EEENS1_48merge_mergepath_partition_config_static_selectorELNS0_4arch9wavefront6targetE1EEEvSI_
		.amdhsa_group_segment_fixed_size 0
		.amdhsa_private_segment_fixed_size 0
		.amdhsa_kernarg_size 48
		.amdhsa_user_sgpr_count 6
		.amdhsa_user_sgpr_private_segment_buffer 1
		.amdhsa_user_sgpr_dispatch_ptr 0
		.amdhsa_user_sgpr_queue_ptr 0
		.amdhsa_user_sgpr_kernarg_segment_ptr 1
		.amdhsa_user_sgpr_dispatch_id 0
		.amdhsa_user_sgpr_flat_scratch_init 0
		.amdhsa_user_sgpr_private_segment_size 0
		.amdhsa_uses_dynamic_stack 0
		.amdhsa_system_sgpr_private_segment_wavefront_offset 0
		.amdhsa_system_sgpr_workgroup_id_x 1
		.amdhsa_system_sgpr_workgroup_id_y 0
		.amdhsa_system_sgpr_workgroup_id_z 0
		.amdhsa_system_sgpr_workgroup_info 0
		.amdhsa_system_vgpr_workitem_id 0
		.amdhsa_next_free_vgpr 1
		.amdhsa_next_free_sgpr 0
		.amdhsa_reserve_vcc 0
		.amdhsa_reserve_flat_scratch 0
		.amdhsa_float_round_mode_32 0
		.amdhsa_float_round_mode_16_64 0
		.amdhsa_float_denorm_mode_32 3
		.amdhsa_float_denorm_mode_16_64 3
		.amdhsa_dx10_clamp 1
		.amdhsa_ieee_mode 1
		.amdhsa_fp16_overflow 0
		.amdhsa_exception_fp_ieee_invalid_op 0
		.amdhsa_exception_fp_denorm_src 0
		.amdhsa_exception_fp_ieee_div_zero 0
		.amdhsa_exception_fp_ieee_overflow 0
		.amdhsa_exception_fp_ieee_underflow 0
		.amdhsa_exception_fp_ieee_inexact 0
		.amdhsa_exception_int_div_zero 0
	.end_amdhsa_kernel
	.section	.text._ZN7rocprim17ROCPRIM_400000_NS6detail17trampoline_kernelINS0_14default_configENS1_38merge_sort_block_merge_config_selectorIN3c104HalfElEEZZNS1_27merge_sort_block_merge_implIS3_PS6_N6thrust23THRUST_200600_302600_NS10device_ptrIlEEmNSB_4lessIS6_EEEE10hipError_tT0_T1_T2_jT3_P12ihipStream_tbPNSt15iterator_traitsISH_E10value_typeEPNSN_ISI_E10value_typeEPSJ_NS1_7vsmem_tEENKUlT_SH_SI_SJ_E_clIS9_S9_PlSD_EESG_SW_SH_SI_SJ_EUlSW_E_NS1_11comp_targetILNS1_3genE9ELNS1_11target_archE1100ELNS1_3gpuE3ELNS1_3repE0EEENS1_48merge_mergepath_partition_config_static_selectorELNS0_4arch9wavefront6targetE1EEEvSI_,"axG",@progbits,_ZN7rocprim17ROCPRIM_400000_NS6detail17trampoline_kernelINS0_14default_configENS1_38merge_sort_block_merge_config_selectorIN3c104HalfElEEZZNS1_27merge_sort_block_merge_implIS3_PS6_N6thrust23THRUST_200600_302600_NS10device_ptrIlEEmNSB_4lessIS6_EEEE10hipError_tT0_T1_T2_jT3_P12ihipStream_tbPNSt15iterator_traitsISH_E10value_typeEPNSN_ISI_E10value_typeEPSJ_NS1_7vsmem_tEENKUlT_SH_SI_SJ_E_clIS9_S9_PlSD_EESG_SW_SH_SI_SJ_EUlSW_E_NS1_11comp_targetILNS1_3genE9ELNS1_11target_archE1100ELNS1_3gpuE3ELNS1_3repE0EEENS1_48merge_mergepath_partition_config_static_selectorELNS0_4arch9wavefront6targetE1EEEvSI_,comdat
.Lfunc_end2130:
	.size	_ZN7rocprim17ROCPRIM_400000_NS6detail17trampoline_kernelINS0_14default_configENS1_38merge_sort_block_merge_config_selectorIN3c104HalfElEEZZNS1_27merge_sort_block_merge_implIS3_PS6_N6thrust23THRUST_200600_302600_NS10device_ptrIlEEmNSB_4lessIS6_EEEE10hipError_tT0_T1_T2_jT3_P12ihipStream_tbPNSt15iterator_traitsISH_E10value_typeEPNSN_ISI_E10value_typeEPSJ_NS1_7vsmem_tEENKUlT_SH_SI_SJ_E_clIS9_S9_PlSD_EESG_SW_SH_SI_SJ_EUlSW_E_NS1_11comp_targetILNS1_3genE9ELNS1_11target_archE1100ELNS1_3gpuE3ELNS1_3repE0EEENS1_48merge_mergepath_partition_config_static_selectorELNS0_4arch9wavefront6targetE1EEEvSI_, .Lfunc_end2130-_ZN7rocprim17ROCPRIM_400000_NS6detail17trampoline_kernelINS0_14default_configENS1_38merge_sort_block_merge_config_selectorIN3c104HalfElEEZZNS1_27merge_sort_block_merge_implIS3_PS6_N6thrust23THRUST_200600_302600_NS10device_ptrIlEEmNSB_4lessIS6_EEEE10hipError_tT0_T1_T2_jT3_P12ihipStream_tbPNSt15iterator_traitsISH_E10value_typeEPNSN_ISI_E10value_typeEPSJ_NS1_7vsmem_tEENKUlT_SH_SI_SJ_E_clIS9_S9_PlSD_EESG_SW_SH_SI_SJ_EUlSW_E_NS1_11comp_targetILNS1_3genE9ELNS1_11target_archE1100ELNS1_3gpuE3ELNS1_3repE0EEENS1_48merge_mergepath_partition_config_static_selectorELNS0_4arch9wavefront6targetE1EEEvSI_
                                        ; -- End function
	.set _ZN7rocprim17ROCPRIM_400000_NS6detail17trampoline_kernelINS0_14default_configENS1_38merge_sort_block_merge_config_selectorIN3c104HalfElEEZZNS1_27merge_sort_block_merge_implIS3_PS6_N6thrust23THRUST_200600_302600_NS10device_ptrIlEEmNSB_4lessIS6_EEEE10hipError_tT0_T1_T2_jT3_P12ihipStream_tbPNSt15iterator_traitsISH_E10value_typeEPNSN_ISI_E10value_typeEPSJ_NS1_7vsmem_tEENKUlT_SH_SI_SJ_E_clIS9_S9_PlSD_EESG_SW_SH_SI_SJ_EUlSW_E_NS1_11comp_targetILNS1_3genE9ELNS1_11target_archE1100ELNS1_3gpuE3ELNS1_3repE0EEENS1_48merge_mergepath_partition_config_static_selectorELNS0_4arch9wavefront6targetE1EEEvSI_.num_vgpr, 0
	.set _ZN7rocprim17ROCPRIM_400000_NS6detail17trampoline_kernelINS0_14default_configENS1_38merge_sort_block_merge_config_selectorIN3c104HalfElEEZZNS1_27merge_sort_block_merge_implIS3_PS6_N6thrust23THRUST_200600_302600_NS10device_ptrIlEEmNSB_4lessIS6_EEEE10hipError_tT0_T1_T2_jT3_P12ihipStream_tbPNSt15iterator_traitsISH_E10value_typeEPNSN_ISI_E10value_typeEPSJ_NS1_7vsmem_tEENKUlT_SH_SI_SJ_E_clIS9_S9_PlSD_EESG_SW_SH_SI_SJ_EUlSW_E_NS1_11comp_targetILNS1_3genE9ELNS1_11target_archE1100ELNS1_3gpuE3ELNS1_3repE0EEENS1_48merge_mergepath_partition_config_static_selectorELNS0_4arch9wavefront6targetE1EEEvSI_.num_agpr, 0
	.set _ZN7rocprim17ROCPRIM_400000_NS6detail17trampoline_kernelINS0_14default_configENS1_38merge_sort_block_merge_config_selectorIN3c104HalfElEEZZNS1_27merge_sort_block_merge_implIS3_PS6_N6thrust23THRUST_200600_302600_NS10device_ptrIlEEmNSB_4lessIS6_EEEE10hipError_tT0_T1_T2_jT3_P12ihipStream_tbPNSt15iterator_traitsISH_E10value_typeEPNSN_ISI_E10value_typeEPSJ_NS1_7vsmem_tEENKUlT_SH_SI_SJ_E_clIS9_S9_PlSD_EESG_SW_SH_SI_SJ_EUlSW_E_NS1_11comp_targetILNS1_3genE9ELNS1_11target_archE1100ELNS1_3gpuE3ELNS1_3repE0EEENS1_48merge_mergepath_partition_config_static_selectorELNS0_4arch9wavefront6targetE1EEEvSI_.numbered_sgpr, 0
	.set _ZN7rocprim17ROCPRIM_400000_NS6detail17trampoline_kernelINS0_14default_configENS1_38merge_sort_block_merge_config_selectorIN3c104HalfElEEZZNS1_27merge_sort_block_merge_implIS3_PS6_N6thrust23THRUST_200600_302600_NS10device_ptrIlEEmNSB_4lessIS6_EEEE10hipError_tT0_T1_T2_jT3_P12ihipStream_tbPNSt15iterator_traitsISH_E10value_typeEPNSN_ISI_E10value_typeEPSJ_NS1_7vsmem_tEENKUlT_SH_SI_SJ_E_clIS9_S9_PlSD_EESG_SW_SH_SI_SJ_EUlSW_E_NS1_11comp_targetILNS1_3genE9ELNS1_11target_archE1100ELNS1_3gpuE3ELNS1_3repE0EEENS1_48merge_mergepath_partition_config_static_selectorELNS0_4arch9wavefront6targetE1EEEvSI_.num_named_barrier, 0
	.set _ZN7rocprim17ROCPRIM_400000_NS6detail17trampoline_kernelINS0_14default_configENS1_38merge_sort_block_merge_config_selectorIN3c104HalfElEEZZNS1_27merge_sort_block_merge_implIS3_PS6_N6thrust23THRUST_200600_302600_NS10device_ptrIlEEmNSB_4lessIS6_EEEE10hipError_tT0_T1_T2_jT3_P12ihipStream_tbPNSt15iterator_traitsISH_E10value_typeEPNSN_ISI_E10value_typeEPSJ_NS1_7vsmem_tEENKUlT_SH_SI_SJ_E_clIS9_S9_PlSD_EESG_SW_SH_SI_SJ_EUlSW_E_NS1_11comp_targetILNS1_3genE9ELNS1_11target_archE1100ELNS1_3gpuE3ELNS1_3repE0EEENS1_48merge_mergepath_partition_config_static_selectorELNS0_4arch9wavefront6targetE1EEEvSI_.private_seg_size, 0
	.set _ZN7rocprim17ROCPRIM_400000_NS6detail17trampoline_kernelINS0_14default_configENS1_38merge_sort_block_merge_config_selectorIN3c104HalfElEEZZNS1_27merge_sort_block_merge_implIS3_PS6_N6thrust23THRUST_200600_302600_NS10device_ptrIlEEmNSB_4lessIS6_EEEE10hipError_tT0_T1_T2_jT3_P12ihipStream_tbPNSt15iterator_traitsISH_E10value_typeEPNSN_ISI_E10value_typeEPSJ_NS1_7vsmem_tEENKUlT_SH_SI_SJ_E_clIS9_S9_PlSD_EESG_SW_SH_SI_SJ_EUlSW_E_NS1_11comp_targetILNS1_3genE9ELNS1_11target_archE1100ELNS1_3gpuE3ELNS1_3repE0EEENS1_48merge_mergepath_partition_config_static_selectorELNS0_4arch9wavefront6targetE1EEEvSI_.uses_vcc, 0
	.set _ZN7rocprim17ROCPRIM_400000_NS6detail17trampoline_kernelINS0_14default_configENS1_38merge_sort_block_merge_config_selectorIN3c104HalfElEEZZNS1_27merge_sort_block_merge_implIS3_PS6_N6thrust23THRUST_200600_302600_NS10device_ptrIlEEmNSB_4lessIS6_EEEE10hipError_tT0_T1_T2_jT3_P12ihipStream_tbPNSt15iterator_traitsISH_E10value_typeEPNSN_ISI_E10value_typeEPSJ_NS1_7vsmem_tEENKUlT_SH_SI_SJ_E_clIS9_S9_PlSD_EESG_SW_SH_SI_SJ_EUlSW_E_NS1_11comp_targetILNS1_3genE9ELNS1_11target_archE1100ELNS1_3gpuE3ELNS1_3repE0EEENS1_48merge_mergepath_partition_config_static_selectorELNS0_4arch9wavefront6targetE1EEEvSI_.uses_flat_scratch, 0
	.set _ZN7rocprim17ROCPRIM_400000_NS6detail17trampoline_kernelINS0_14default_configENS1_38merge_sort_block_merge_config_selectorIN3c104HalfElEEZZNS1_27merge_sort_block_merge_implIS3_PS6_N6thrust23THRUST_200600_302600_NS10device_ptrIlEEmNSB_4lessIS6_EEEE10hipError_tT0_T1_T2_jT3_P12ihipStream_tbPNSt15iterator_traitsISH_E10value_typeEPNSN_ISI_E10value_typeEPSJ_NS1_7vsmem_tEENKUlT_SH_SI_SJ_E_clIS9_S9_PlSD_EESG_SW_SH_SI_SJ_EUlSW_E_NS1_11comp_targetILNS1_3genE9ELNS1_11target_archE1100ELNS1_3gpuE3ELNS1_3repE0EEENS1_48merge_mergepath_partition_config_static_selectorELNS0_4arch9wavefront6targetE1EEEvSI_.has_dyn_sized_stack, 0
	.set _ZN7rocprim17ROCPRIM_400000_NS6detail17trampoline_kernelINS0_14default_configENS1_38merge_sort_block_merge_config_selectorIN3c104HalfElEEZZNS1_27merge_sort_block_merge_implIS3_PS6_N6thrust23THRUST_200600_302600_NS10device_ptrIlEEmNSB_4lessIS6_EEEE10hipError_tT0_T1_T2_jT3_P12ihipStream_tbPNSt15iterator_traitsISH_E10value_typeEPNSN_ISI_E10value_typeEPSJ_NS1_7vsmem_tEENKUlT_SH_SI_SJ_E_clIS9_S9_PlSD_EESG_SW_SH_SI_SJ_EUlSW_E_NS1_11comp_targetILNS1_3genE9ELNS1_11target_archE1100ELNS1_3gpuE3ELNS1_3repE0EEENS1_48merge_mergepath_partition_config_static_selectorELNS0_4arch9wavefront6targetE1EEEvSI_.has_recursion, 0
	.set _ZN7rocprim17ROCPRIM_400000_NS6detail17trampoline_kernelINS0_14default_configENS1_38merge_sort_block_merge_config_selectorIN3c104HalfElEEZZNS1_27merge_sort_block_merge_implIS3_PS6_N6thrust23THRUST_200600_302600_NS10device_ptrIlEEmNSB_4lessIS6_EEEE10hipError_tT0_T1_T2_jT3_P12ihipStream_tbPNSt15iterator_traitsISH_E10value_typeEPNSN_ISI_E10value_typeEPSJ_NS1_7vsmem_tEENKUlT_SH_SI_SJ_E_clIS9_S9_PlSD_EESG_SW_SH_SI_SJ_EUlSW_E_NS1_11comp_targetILNS1_3genE9ELNS1_11target_archE1100ELNS1_3gpuE3ELNS1_3repE0EEENS1_48merge_mergepath_partition_config_static_selectorELNS0_4arch9wavefront6targetE1EEEvSI_.has_indirect_call, 0
	.section	.AMDGPU.csdata,"",@progbits
; Kernel info:
; codeLenInByte = 0
; TotalNumSgprs: 4
; NumVgprs: 0
; ScratchSize: 0
; MemoryBound: 0
; FloatMode: 240
; IeeeMode: 1
; LDSByteSize: 0 bytes/workgroup (compile time only)
; SGPRBlocks: 0
; VGPRBlocks: 0
; NumSGPRsForWavesPerEU: 4
; NumVGPRsForWavesPerEU: 1
; Occupancy: 10
; WaveLimiterHint : 0
; COMPUTE_PGM_RSRC2:SCRATCH_EN: 0
; COMPUTE_PGM_RSRC2:USER_SGPR: 6
; COMPUTE_PGM_RSRC2:TRAP_HANDLER: 0
; COMPUTE_PGM_RSRC2:TGID_X_EN: 1
; COMPUTE_PGM_RSRC2:TGID_Y_EN: 0
; COMPUTE_PGM_RSRC2:TGID_Z_EN: 0
; COMPUTE_PGM_RSRC2:TIDIG_COMP_CNT: 0
	.section	.text._ZN7rocprim17ROCPRIM_400000_NS6detail17trampoline_kernelINS0_14default_configENS1_38merge_sort_block_merge_config_selectorIN3c104HalfElEEZZNS1_27merge_sort_block_merge_implIS3_PS6_N6thrust23THRUST_200600_302600_NS10device_ptrIlEEmNSB_4lessIS6_EEEE10hipError_tT0_T1_T2_jT3_P12ihipStream_tbPNSt15iterator_traitsISH_E10value_typeEPNSN_ISI_E10value_typeEPSJ_NS1_7vsmem_tEENKUlT_SH_SI_SJ_E_clIS9_S9_PlSD_EESG_SW_SH_SI_SJ_EUlSW_E_NS1_11comp_targetILNS1_3genE8ELNS1_11target_archE1030ELNS1_3gpuE2ELNS1_3repE0EEENS1_48merge_mergepath_partition_config_static_selectorELNS0_4arch9wavefront6targetE1EEEvSI_,"axG",@progbits,_ZN7rocprim17ROCPRIM_400000_NS6detail17trampoline_kernelINS0_14default_configENS1_38merge_sort_block_merge_config_selectorIN3c104HalfElEEZZNS1_27merge_sort_block_merge_implIS3_PS6_N6thrust23THRUST_200600_302600_NS10device_ptrIlEEmNSB_4lessIS6_EEEE10hipError_tT0_T1_T2_jT3_P12ihipStream_tbPNSt15iterator_traitsISH_E10value_typeEPNSN_ISI_E10value_typeEPSJ_NS1_7vsmem_tEENKUlT_SH_SI_SJ_E_clIS9_S9_PlSD_EESG_SW_SH_SI_SJ_EUlSW_E_NS1_11comp_targetILNS1_3genE8ELNS1_11target_archE1030ELNS1_3gpuE2ELNS1_3repE0EEENS1_48merge_mergepath_partition_config_static_selectorELNS0_4arch9wavefront6targetE1EEEvSI_,comdat
	.protected	_ZN7rocprim17ROCPRIM_400000_NS6detail17trampoline_kernelINS0_14default_configENS1_38merge_sort_block_merge_config_selectorIN3c104HalfElEEZZNS1_27merge_sort_block_merge_implIS3_PS6_N6thrust23THRUST_200600_302600_NS10device_ptrIlEEmNSB_4lessIS6_EEEE10hipError_tT0_T1_T2_jT3_P12ihipStream_tbPNSt15iterator_traitsISH_E10value_typeEPNSN_ISI_E10value_typeEPSJ_NS1_7vsmem_tEENKUlT_SH_SI_SJ_E_clIS9_S9_PlSD_EESG_SW_SH_SI_SJ_EUlSW_E_NS1_11comp_targetILNS1_3genE8ELNS1_11target_archE1030ELNS1_3gpuE2ELNS1_3repE0EEENS1_48merge_mergepath_partition_config_static_selectorELNS0_4arch9wavefront6targetE1EEEvSI_ ; -- Begin function _ZN7rocprim17ROCPRIM_400000_NS6detail17trampoline_kernelINS0_14default_configENS1_38merge_sort_block_merge_config_selectorIN3c104HalfElEEZZNS1_27merge_sort_block_merge_implIS3_PS6_N6thrust23THRUST_200600_302600_NS10device_ptrIlEEmNSB_4lessIS6_EEEE10hipError_tT0_T1_T2_jT3_P12ihipStream_tbPNSt15iterator_traitsISH_E10value_typeEPNSN_ISI_E10value_typeEPSJ_NS1_7vsmem_tEENKUlT_SH_SI_SJ_E_clIS9_S9_PlSD_EESG_SW_SH_SI_SJ_EUlSW_E_NS1_11comp_targetILNS1_3genE8ELNS1_11target_archE1030ELNS1_3gpuE2ELNS1_3repE0EEENS1_48merge_mergepath_partition_config_static_selectorELNS0_4arch9wavefront6targetE1EEEvSI_
	.globl	_ZN7rocprim17ROCPRIM_400000_NS6detail17trampoline_kernelINS0_14default_configENS1_38merge_sort_block_merge_config_selectorIN3c104HalfElEEZZNS1_27merge_sort_block_merge_implIS3_PS6_N6thrust23THRUST_200600_302600_NS10device_ptrIlEEmNSB_4lessIS6_EEEE10hipError_tT0_T1_T2_jT3_P12ihipStream_tbPNSt15iterator_traitsISH_E10value_typeEPNSN_ISI_E10value_typeEPSJ_NS1_7vsmem_tEENKUlT_SH_SI_SJ_E_clIS9_S9_PlSD_EESG_SW_SH_SI_SJ_EUlSW_E_NS1_11comp_targetILNS1_3genE8ELNS1_11target_archE1030ELNS1_3gpuE2ELNS1_3repE0EEENS1_48merge_mergepath_partition_config_static_selectorELNS0_4arch9wavefront6targetE1EEEvSI_
	.p2align	8
	.type	_ZN7rocprim17ROCPRIM_400000_NS6detail17trampoline_kernelINS0_14default_configENS1_38merge_sort_block_merge_config_selectorIN3c104HalfElEEZZNS1_27merge_sort_block_merge_implIS3_PS6_N6thrust23THRUST_200600_302600_NS10device_ptrIlEEmNSB_4lessIS6_EEEE10hipError_tT0_T1_T2_jT3_P12ihipStream_tbPNSt15iterator_traitsISH_E10value_typeEPNSN_ISI_E10value_typeEPSJ_NS1_7vsmem_tEENKUlT_SH_SI_SJ_E_clIS9_S9_PlSD_EESG_SW_SH_SI_SJ_EUlSW_E_NS1_11comp_targetILNS1_3genE8ELNS1_11target_archE1030ELNS1_3gpuE2ELNS1_3repE0EEENS1_48merge_mergepath_partition_config_static_selectorELNS0_4arch9wavefront6targetE1EEEvSI_,@function
_ZN7rocprim17ROCPRIM_400000_NS6detail17trampoline_kernelINS0_14default_configENS1_38merge_sort_block_merge_config_selectorIN3c104HalfElEEZZNS1_27merge_sort_block_merge_implIS3_PS6_N6thrust23THRUST_200600_302600_NS10device_ptrIlEEmNSB_4lessIS6_EEEE10hipError_tT0_T1_T2_jT3_P12ihipStream_tbPNSt15iterator_traitsISH_E10value_typeEPNSN_ISI_E10value_typeEPSJ_NS1_7vsmem_tEENKUlT_SH_SI_SJ_E_clIS9_S9_PlSD_EESG_SW_SH_SI_SJ_EUlSW_E_NS1_11comp_targetILNS1_3genE8ELNS1_11target_archE1030ELNS1_3gpuE2ELNS1_3repE0EEENS1_48merge_mergepath_partition_config_static_selectorELNS0_4arch9wavefront6targetE1EEEvSI_: ; @_ZN7rocprim17ROCPRIM_400000_NS6detail17trampoline_kernelINS0_14default_configENS1_38merge_sort_block_merge_config_selectorIN3c104HalfElEEZZNS1_27merge_sort_block_merge_implIS3_PS6_N6thrust23THRUST_200600_302600_NS10device_ptrIlEEmNSB_4lessIS6_EEEE10hipError_tT0_T1_T2_jT3_P12ihipStream_tbPNSt15iterator_traitsISH_E10value_typeEPNSN_ISI_E10value_typeEPSJ_NS1_7vsmem_tEENKUlT_SH_SI_SJ_E_clIS9_S9_PlSD_EESG_SW_SH_SI_SJ_EUlSW_E_NS1_11comp_targetILNS1_3genE8ELNS1_11target_archE1030ELNS1_3gpuE2ELNS1_3repE0EEENS1_48merge_mergepath_partition_config_static_selectorELNS0_4arch9wavefront6targetE1EEEvSI_
; %bb.0:
	.section	.rodata,"a",@progbits
	.p2align	6, 0x0
	.amdhsa_kernel _ZN7rocprim17ROCPRIM_400000_NS6detail17trampoline_kernelINS0_14default_configENS1_38merge_sort_block_merge_config_selectorIN3c104HalfElEEZZNS1_27merge_sort_block_merge_implIS3_PS6_N6thrust23THRUST_200600_302600_NS10device_ptrIlEEmNSB_4lessIS6_EEEE10hipError_tT0_T1_T2_jT3_P12ihipStream_tbPNSt15iterator_traitsISH_E10value_typeEPNSN_ISI_E10value_typeEPSJ_NS1_7vsmem_tEENKUlT_SH_SI_SJ_E_clIS9_S9_PlSD_EESG_SW_SH_SI_SJ_EUlSW_E_NS1_11comp_targetILNS1_3genE8ELNS1_11target_archE1030ELNS1_3gpuE2ELNS1_3repE0EEENS1_48merge_mergepath_partition_config_static_selectorELNS0_4arch9wavefront6targetE1EEEvSI_
		.amdhsa_group_segment_fixed_size 0
		.amdhsa_private_segment_fixed_size 0
		.amdhsa_kernarg_size 48
		.amdhsa_user_sgpr_count 6
		.amdhsa_user_sgpr_private_segment_buffer 1
		.amdhsa_user_sgpr_dispatch_ptr 0
		.amdhsa_user_sgpr_queue_ptr 0
		.amdhsa_user_sgpr_kernarg_segment_ptr 1
		.amdhsa_user_sgpr_dispatch_id 0
		.amdhsa_user_sgpr_flat_scratch_init 0
		.amdhsa_user_sgpr_private_segment_size 0
		.amdhsa_uses_dynamic_stack 0
		.amdhsa_system_sgpr_private_segment_wavefront_offset 0
		.amdhsa_system_sgpr_workgroup_id_x 1
		.amdhsa_system_sgpr_workgroup_id_y 0
		.amdhsa_system_sgpr_workgroup_id_z 0
		.amdhsa_system_sgpr_workgroup_info 0
		.amdhsa_system_vgpr_workitem_id 0
		.amdhsa_next_free_vgpr 1
		.amdhsa_next_free_sgpr 0
		.amdhsa_reserve_vcc 0
		.amdhsa_reserve_flat_scratch 0
		.amdhsa_float_round_mode_32 0
		.amdhsa_float_round_mode_16_64 0
		.amdhsa_float_denorm_mode_32 3
		.amdhsa_float_denorm_mode_16_64 3
		.amdhsa_dx10_clamp 1
		.amdhsa_ieee_mode 1
		.amdhsa_fp16_overflow 0
		.amdhsa_exception_fp_ieee_invalid_op 0
		.amdhsa_exception_fp_denorm_src 0
		.amdhsa_exception_fp_ieee_div_zero 0
		.amdhsa_exception_fp_ieee_overflow 0
		.amdhsa_exception_fp_ieee_underflow 0
		.amdhsa_exception_fp_ieee_inexact 0
		.amdhsa_exception_int_div_zero 0
	.end_amdhsa_kernel
	.section	.text._ZN7rocprim17ROCPRIM_400000_NS6detail17trampoline_kernelINS0_14default_configENS1_38merge_sort_block_merge_config_selectorIN3c104HalfElEEZZNS1_27merge_sort_block_merge_implIS3_PS6_N6thrust23THRUST_200600_302600_NS10device_ptrIlEEmNSB_4lessIS6_EEEE10hipError_tT0_T1_T2_jT3_P12ihipStream_tbPNSt15iterator_traitsISH_E10value_typeEPNSN_ISI_E10value_typeEPSJ_NS1_7vsmem_tEENKUlT_SH_SI_SJ_E_clIS9_S9_PlSD_EESG_SW_SH_SI_SJ_EUlSW_E_NS1_11comp_targetILNS1_3genE8ELNS1_11target_archE1030ELNS1_3gpuE2ELNS1_3repE0EEENS1_48merge_mergepath_partition_config_static_selectorELNS0_4arch9wavefront6targetE1EEEvSI_,"axG",@progbits,_ZN7rocprim17ROCPRIM_400000_NS6detail17trampoline_kernelINS0_14default_configENS1_38merge_sort_block_merge_config_selectorIN3c104HalfElEEZZNS1_27merge_sort_block_merge_implIS3_PS6_N6thrust23THRUST_200600_302600_NS10device_ptrIlEEmNSB_4lessIS6_EEEE10hipError_tT0_T1_T2_jT3_P12ihipStream_tbPNSt15iterator_traitsISH_E10value_typeEPNSN_ISI_E10value_typeEPSJ_NS1_7vsmem_tEENKUlT_SH_SI_SJ_E_clIS9_S9_PlSD_EESG_SW_SH_SI_SJ_EUlSW_E_NS1_11comp_targetILNS1_3genE8ELNS1_11target_archE1030ELNS1_3gpuE2ELNS1_3repE0EEENS1_48merge_mergepath_partition_config_static_selectorELNS0_4arch9wavefront6targetE1EEEvSI_,comdat
.Lfunc_end2131:
	.size	_ZN7rocprim17ROCPRIM_400000_NS6detail17trampoline_kernelINS0_14default_configENS1_38merge_sort_block_merge_config_selectorIN3c104HalfElEEZZNS1_27merge_sort_block_merge_implIS3_PS6_N6thrust23THRUST_200600_302600_NS10device_ptrIlEEmNSB_4lessIS6_EEEE10hipError_tT0_T1_T2_jT3_P12ihipStream_tbPNSt15iterator_traitsISH_E10value_typeEPNSN_ISI_E10value_typeEPSJ_NS1_7vsmem_tEENKUlT_SH_SI_SJ_E_clIS9_S9_PlSD_EESG_SW_SH_SI_SJ_EUlSW_E_NS1_11comp_targetILNS1_3genE8ELNS1_11target_archE1030ELNS1_3gpuE2ELNS1_3repE0EEENS1_48merge_mergepath_partition_config_static_selectorELNS0_4arch9wavefront6targetE1EEEvSI_, .Lfunc_end2131-_ZN7rocprim17ROCPRIM_400000_NS6detail17trampoline_kernelINS0_14default_configENS1_38merge_sort_block_merge_config_selectorIN3c104HalfElEEZZNS1_27merge_sort_block_merge_implIS3_PS6_N6thrust23THRUST_200600_302600_NS10device_ptrIlEEmNSB_4lessIS6_EEEE10hipError_tT0_T1_T2_jT3_P12ihipStream_tbPNSt15iterator_traitsISH_E10value_typeEPNSN_ISI_E10value_typeEPSJ_NS1_7vsmem_tEENKUlT_SH_SI_SJ_E_clIS9_S9_PlSD_EESG_SW_SH_SI_SJ_EUlSW_E_NS1_11comp_targetILNS1_3genE8ELNS1_11target_archE1030ELNS1_3gpuE2ELNS1_3repE0EEENS1_48merge_mergepath_partition_config_static_selectorELNS0_4arch9wavefront6targetE1EEEvSI_
                                        ; -- End function
	.set _ZN7rocprim17ROCPRIM_400000_NS6detail17trampoline_kernelINS0_14default_configENS1_38merge_sort_block_merge_config_selectorIN3c104HalfElEEZZNS1_27merge_sort_block_merge_implIS3_PS6_N6thrust23THRUST_200600_302600_NS10device_ptrIlEEmNSB_4lessIS6_EEEE10hipError_tT0_T1_T2_jT3_P12ihipStream_tbPNSt15iterator_traitsISH_E10value_typeEPNSN_ISI_E10value_typeEPSJ_NS1_7vsmem_tEENKUlT_SH_SI_SJ_E_clIS9_S9_PlSD_EESG_SW_SH_SI_SJ_EUlSW_E_NS1_11comp_targetILNS1_3genE8ELNS1_11target_archE1030ELNS1_3gpuE2ELNS1_3repE0EEENS1_48merge_mergepath_partition_config_static_selectorELNS0_4arch9wavefront6targetE1EEEvSI_.num_vgpr, 0
	.set _ZN7rocprim17ROCPRIM_400000_NS6detail17trampoline_kernelINS0_14default_configENS1_38merge_sort_block_merge_config_selectorIN3c104HalfElEEZZNS1_27merge_sort_block_merge_implIS3_PS6_N6thrust23THRUST_200600_302600_NS10device_ptrIlEEmNSB_4lessIS6_EEEE10hipError_tT0_T1_T2_jT3_P12ihipStream_tbPNSt15iterator_traitsISH_E10value_typeEPNSN_ISI_E10value_typeEPSJ_NS1_7vsmem_tEENKUlT_SH_SI_SJ_E_clIS9_S9_PlSD_EESG_SW_SH_SI_SJ_EUlSW_E_NS1_11comp_targetILNS1_3genE8ELNS1_11target_archE1030ELNS1_3gpuE2ELNS1_3repE0EEENS1_48merge_mergepath_partition_config_static_selectorELNS0_4arch9wavefront6targetE1EEEvSI_.num_agpr, 0
	.set _ZN7rocprim17ROCPRIM_400000_NS6detail17trampoline_kernelINS0_14default_configENS1_38merge_sort_block_merge_config_selectorIN3c104HalfElEEZZNS1_27merge_sort_block_merge_implIS3_PS6_N6thrust23THRUST_200600_302600_NS10device_ptrIlEEmNSB_4lessIS6_EEEE10hipError_tT0_T1_T2_jT3_P12ihipStream_tbPNSt15iterator_traitsISH_E10value_typeEPNSN_ISI_E10value_typeEPSJ_NS1_7vsmem_tEENKUlT_SH_SI_SJ_E_clIS9_S9_PlSD_EESG_SW_SH_SI_SJ_EUlSW_E_NS1_11comp_targetILNS1_3genE8ELNS1_11target_archE1030ELNS1_3gpuE2ELNS1_3repE0EEENS1_48merge_mergepath_partition_config_static_selectorELNS0_4arch9wavefront6targetE1EEEvSI_.numbered_sgpr, 0
	.set _ZN7rocprim17ROCPRIM_400000_NS6detail17trampoline_kernelINS0_14default_configENS1_38merge_sort_block_merge_config_selectorIN3c104HalfElEEZZNS1_27merge_sort_block_merge_implIS3_PS6_N6thrust23THRUST_200600_302600_NS10device_ptrIlEEmNSB_4lessIS6_EEEE10hipError_tT0_T1_T2_jT3_P12ihipStream_tbPNSt15iterator_traitsISH_E10value_typeEPNSN_ISI_E10value_typeEPSJ_NS1_7vsmem_tEENKUlT_SH_SI_SJ_E_clIS9_S9_PlSD_EESG_SW_SH_SI_SJ_EUlSW_E_NS1_11comp_targetILNS1_3genE8ELNS1_11target_archE1030ELNS1_3gpuE2ELNS1_3repE0EEENS1_48merge_mergepath_partition_config_static_selectorELNS0_4arch9wavefront6targetE1EEEvSI_.num_named_barrier, 0
	.set _ZN7rocprim17ROCPRIM_400000_NS6detail17trampoline_kernelINS0_14default_configENS1_38merge_sort_block_merge_config_selectorIN3c104HalfElEEZZNS1_27merge_sort_block_merge_implIS3_PS6_N6thrust23THRUST_200600_302600_NS10device_ptrIlEEmNSB_4lessIS6_EEEE10hipError_tT0_T1_T2_jT3_P12ihipStream_tbPNSt15iterator_traitsISH_E10value_typeEPNSN_ISI_E10value_typeEPSJ_NS1_7vsmem_tEENKUlT_SH_SI_SJ_E_clIS9_S9_PlSD_EESG_SW_SH_SI_SJ_EUlSW_E_NS1_11comp_targetILNS1_3genE8ELNS1_11target_archE1030ELNS1_3gpuE2ELNS1_3repE0EEENS1_48merge_mergepath_partition_config_static_selectorELNS0_4arch9wavefront6targetE1EEEvSI_.private_seg_size, 0
	.set _ZN7rocprim17ROCPRIM_400000_NS6detail17trampoline_kernelINS0_14default_configENS1_38merge_sort_block_merge_config_selectorIN3c104HalfElEEZZNS1_27merge_sort_block_merge_implIS3_PS6_N6thrust23THRUST_200600_302600_NS10device_ptrIlEEmNSB_4lessIS6_EEEE10hipError_tT0_T1_T2_jT3_P12ihipStream_tbPNSt15iterator_traitsISH_E10value_typeEPNSN_ISI_E10value_typeEPSJ_NS1_7vsmem_tEENKUlT_SH_SI_SJ_E_clIS9_S9_PlSD_EESG_SW_SH_SI_SJ_EUlSW_E_NS1_11comp_targetILNS1_3genE8ELNS1_11target_archE1030ELNS1_3gpuE2ELNS1_3repE0EEENS1_48merge_mergepath_partition_config_static_selectorELNS0_4arch9wavefront6targetE1EEEvSI_.uses_vcc, 0
	.set _ZN7rocprim17ROCPRIM_400000_NS6detail17trampoline_kernelINS0_14default_configENS1_38merge_sort_block_merge_config_selectorIN3c104HalfElEEZZNS1_27merge_sort_block_merge_implIS3_PS6_N6thrust23THRUST_200600_302600_NS10device_ptrIlEEmNSB_4lessIS6_EEEE10hipError_tT0_T1_T2_jT3_P12ihipStream_tbPNSt15iterator_traitsISH_E10value_typeEPNSN_ISI_E10value_typeEPSJ_NS1_7vsmem_tEENKUlT_SH_SI_SJ_E_clIS9_S9_PlSD_EESG_SW_SH_SI_SJ_EUlSW_E_NS1_11comp_targetILNS1_3genE8ELNS1_11target_archE1030ELNS1_3gpuE2ELNS1_3repE0EEENS1_48merge_mergepath_partition_config_static_selectorELNS0_4arch9wavefront6targetE1EEEvSI_.uses_flat_scratch, 0
	.set _ZN7rocprim17ROCPRIM_400000_NS6detail17trampoline_kernelINS0_14default_configENS1_38merge_sort_block_merge_config_selectorIN3c104HalfElEEZZNS1_27merge_sort_block_merge_implIS3_PS6_N6thrust23THRUST_200600_302600_NS10device_ptrIlEEmNSB_4lessIS6_EEEE10hipError_tT0_T1_T2_jT3_P12ihipStream_tbPNSt15iterator_traitsISH_E10value_typeEPNSN_ISI_E10value_typeEPSJ_NS1_7vsmem_tEENKUlT_SH_SI_SJ_E_clIS9_S9_PlSD_EESG_SW_SH_SI_SJ_EUlSW_E_NS1_11comp_targetILNS1_3genE8ELNS1_11target_archE1030ELNS1_3gpuE2ELNS1_3repE0EEENS1_48merge_mergepath_partition_config_static_selectorELNS0_4arch9wavefront6targetE1EEEvSI_.has_dyn_sized_stack, 0
	.set _ZN7rocprim17ROCPRIM_400000_NS6detail17trampoline_kernelINS0_14default_configENS1_38merge_sort_block_merge_config_selectorIN3c104HalfElEEZZNS1_27merge_sort_block_merge_implIS3_PS6_N6thrust23THRUST_200600_302600_NS10device_ptrIlEEmNSB_4lessIS6_EEEE10hipError_tT0_T1_T2_jT3_P12ihipStream_tbPNSt15iterator_traitsISH_E10value_typeEPNSN_ISI_E10value_typeEPSJ_NS1_7vsmem_tEENKUlT_SH_SI_SJ_E_clIS9_S9_PlSD_EESG_SW_SH_SI_SJ_EUlSW_E_NS1_11comp_targetILNS1_3genE8ELNS1_11target_archE1030ELNS1_3gpuE2ELNS1_3repE0EEENS1_48merge_mergepath_partition_config_static_selectorELNS0_4arch9wavefront6targetE1EEEvSI_.has_recursion, 0
	.set _ZN7rocprim17ROCPRIM_400000_NS6detail17trampoline_kernelINS0_14default_configENS1_38merge_sort_block_merge_config_selectorIN3c104HalfElEEZZNS1_27merge_sort_block_merge_implIS3_PS6_N6thrust23THRUST_200600_302600_NS10device_ptrIlEEmNSB_4lessIS6_EEEE10hipError_tT0_T1_T2_jT3_P12ihipStream_tbPNSt15iterator_traitsISH_E10value_typeEPNSN_ISI_E10value_typeEPSJ_NS1_7vsmem_tEENKUlT_SH_SI_SJ_E_clIS9_S9_PlSD_EESG_SW_SH_SI_SJ_EUlSW_E_NS1_11comp_targetILNS1_3genE8ELNS1_11target_archE1030ELNS1_3gpuE2ELNS1_3repE0EEENS1_48merge_mergepath_partition_config_static_selectorELNS0_4arch9wavefront6targetE1EEEvSI_.has_indirect_call, 0
	.section	.AMDGPU.csdata,"",@progbits
; Kernel info:
; codeLenInByte = 0
; TotalNumSgprs: 4
; NumVgprs: 0
; ScratchSize: 0
; MemoryBound: 0
; FloatMode: 240
; IeeeMode: 1
; LDSByteSize: 0 bytes/workgroup (compile time only)
; SGPRBlocks: 0
; VGPRBlocks: 0
; NumSGPRsForWavesPerEU: 4
; NumVGPRsForWavesPerEU: 1
; Occupancy: 10
; WaveLimiterHint : 0
; COMPUTE_PGM_RSRC2:SCRATCH_EN: 0
; COMPUTE_PGM_RSRC2:USER_SGPR: 6
; COMPUTE_PGM_RSRC2:TRAP_HANDLER: 0
; COMPUTE_PGM_RSRC2:TGID_X_EN: 1
; COMPUTE_PGM_RSRC2:TGID_Y_EN: 0
; COMPUTE_PGM_RSRC2:TGID_Z_EN: 0
; COMPUTE_PGM_RSRC2:TIDIG_COMP_CNT: 0
	.section	.text._ZN7rocprim17ROCPRIM_400000_NS6detail17trampoline_kernelINS0_14default_configENS1_38merge_sort_block_merge_config_selectorIN3c104HalfElEEZZNS1_27merge_sort_block_merge_implIS3_PS6_N6thrust23THRUST_200600_302600_NS10device_ptrIlEEmNSB_4lessIS6_EEEE10hipError_tT0_T1_T2_jT3_P12ihipStream_tbPNSt15iterator_traitsISH_E10value_typeEPNSN_ISI_E10value_typeEPSJ_NS1_7vsmem_tEENKUlT_SH_SI_SJ_E_clIS9_S9_PlSD_EESG_SW_SH_SI_SJ_EUlSW_E0_NS1_11comp_targetILNS1_3genE0ELNS1_11target_archE4294967295ELNS1_3gpuE0ELNS1_3repE0EEENS1_38merge_mergepath_config_static_selectorELNS0_4arch9wavefront6targetE1EEEvSI_,"axG",@progbits,_ZN7rocprim17ROCPRIM_400000_NS6detail17trampoline_kernelINS0_14default_configENS1_38merge_sort_block_merge_config_selectorIN3c104HalfElEEZZNS1_27merge_sort_block_merge_implIS3_PS6_N6thrust23THRUST_200600_302600_NS10device_ptrIlEEmNSB_4lessIS6_EEEE10hipError_tT0_T1_T2_jT3_P12ihipStream_tbPNSt15iterator_traitsISH_E10value_typeEPNSN_ISI_E10value_typeEPSJ_NS1_7vsmem_tEENKUlT_SH_SI_SJ_E_clIS9_S9_PlSD_EESG_SW_SH_SI_SJ_EUlSW_E0_NS1_11comp_targetILNS1_3genE0ELNS1_11target_archE4294967295ELNS1_3gpuE0ELNS1_3repE0EEENS1_38merge_mergepath_config_static_selectorELNS0_4arch9wavefront6targetE1EEEvSI_,comdat
	.protected	_ZN7rocprim17ROCPRIM_400000_NS6detail17trampoline_kernelINS0_14default_configENS1_38merge_sort_block_merge_config_selectorIN3c104HalfElEEZZNS1_27merge_sort_block_merge_implIS3_PS6_N6thrust23THRUST_200600_302600_NS10device_ptrIlEEmNSB_4lessIS6_EEEE10hipError_tT0_T1_T2_jT3_P12ihipStream_tbPNSt15iterator_traitsISH_E10value_typeEPNSN_ISI_E10value_typeEPSJ_NS1_7vsmem_tEENKUlT_SH_SI_SJ_E_clIS9_S9_PlSD_EESG_SW_SH_SI_SJ_EUlSW_E0_NS1_11comp_targetILNS1_3genE0ELNS1_11target_archE4294967295ELNS1_3gpuE0ELNS1_3repE0EEENS1_38merge_mergepath_config_static_selectorELNS0_4arch9wavefront6targetE1EEEvSI_ ; -- Begin function _ZN7rocprim17ROCPRIM_400000_NS6detail17trampoline_kernelINS0_14default_configENS1_38merge_sort_block_merge_config_selectorIN3c104HalfElEEZZNS1_27merge_sort_block_merge_implIS3_PS6_N6thrust23THRUST_200600_302600_NS10device_ptrIlEEmNSB_4lessIS6_EEEE10hipError_tT0_T1_T2_jT3_P12ihipStream_tbPNSt15iterator_traitsISH_E10value_typeEPNSN_ISI_E10value_typeEPSJ_NS1_7vsmem_tEENKUlT_SH_SI_SJ_E_clIS9_S9_PlSD_EESG_SW_SH_SI_SJ_EUlSW_E0_NS1_11comp_targetILNS1_3genE0ELNS1_11target_archE4294967295ELNS1_3gpuE0ELNS1_3repE0EEENS1_38merge_mergepath_config_static_selectorELNS0_4arch9wavefront6targetE1EEEvSI_
	.globl	_ZN7rocprim17ROCPRIM_400000_NS6detail17trampoline_kernelINS0_14default_configENS1_38merge_sort_block_merge_config_selectorIN3c104HalfElEEZZNS1_27merge_sort_block_merge_implIS3_PS6_N6thrust23THRUST_200600_302600_NS10device_ptrIlEEmNSB_4lessIS6_EEEE10hipError_tT0_T1_T2_jT3_P12ihipStream_tbPNSt15iterator_traitsISH_E10value_typeEPNSN_ISI_E10value_typeEPSJ_NS1_7vsmem_tEENKUlT_SH_SI_SJ_E_clIS9_S9_PlSD_EESG_SW_SH_SI_SJ_EUlSW_E0_NS1_11comp_targetILNS1_3genE0ELNS1_11target_archE4294967295ELNS1_3gpuE0ELNS1_3repE0EEENS1_38merge_mergepath_config_static_selectorELNS0_4arch9wavefront6targetE1EEEvSI_
	.p2align	8
	.type	_ZN7rocprim17ROCPRIM_400000_NS6detail17trampoline_kernelINS0_14default_configENS1_38merge_sort_block_merge_config_selectorIN3c104HalfElEEZZNS1_27merge_sort_block_merge_implIS3_PS6_N6thrust23THRUST_200600_302600_NS10device_ptrIlEEmNSB_4lessIS6_EEEE10hipError_tT0_T1_T2_jT3_P12ihipStream_tbPNSt15iterator_traitsISH_E10value_typeEPNSN_ISI_E10value_typeEPSJ_NS1_7vsmem_tEENKUlT_SH_SI_SJ_E_clIS9_S9_PlSD_EESG_SW_SH_SI_SJ_EUlSW_E0_NS1_11comp_targetILNS1_3genE0ELNS1_11target_archE4294967295ELNS1_3gpuE0ELNS1_3repE0EEENS1_38merge_mergepath_config_static_selectorELNS0_4arch9wavefront6targetE1EEEvSI_,@function
_ZN7rocprim17ROCPRIM_400000_NS6detail17trampoline_kernelINS0_14default_configENS1_38merge_sort_block_merge_config_selectorIN3c104HalfElEEZZNS1_27merge_sort_block_merge_implIS3_PS6_N6thrust23THRUST_200600_302600_NS10device_ptrIlEEmNSB_4lessIS6_EEEE10hipError_tT0_T1_T2_jT3_P12ihipStream_tbPNSt15iterator_traitsISH_E10value_typeEPNSN_ISI_E10value_typeEPSJ_NS1_7vsmem_tEENKUlT_SH_SI_SJ_E_clIS9_S9_PlSD_EESG_SW_SH_SI_SJ_EUlSW_E0_NS1_11comp_targetILNS1_3genE0ELNS1_11target_archE4294967295ELNS1_3gpuE0ELNS1_3repE0EEENS1_38merge_mergepath_config_static_selectorELNS0_4arch9wavefront6targetE1EEEvSI_: ; @_ZN7rocprim17ROCPRIM_400000_NS6detail17trampoline_kernelINS0_14default_configENS1_38merge_sort_block_merge_config_selectorIN3c104HalfElEEZZNS1_27merge_sort_block_merge_implIS3_PS6_N6thrust23THRUST_200600_302600_NS10device_ptrIlEEmNSB_4lessIS6_EEEE10hipError_tT0_T1_T2_jT3_P12ihipStream_tbPNSt15iterator_traitsISH_E10value_typeEPNSN_ISI_E10value_typeEPSJ_NS1_7vsmem_tEENKUlT_SH_SI_SJ_E_clIS9_S9_PlSD_EESG_SW_SH_SI_SJ_EUlSW_E0_NS1_11comp_targetILNS1_3genE0ELNS1_11target_archE4294967295ELNS1_3gpuE0ELNS1_3repE0EEENS1_38merge_mergepath_config_static_selectorELNS0_4arch9wavefront6targetE1EEEvSI_
; %bb.0:
	.section	.rodata,"a",@progbits
	.p2align	6, 0x0
	.amdhsa_kernel _ZN7rocprim17ROCPRIM_400000_NS6detail17trampoline_kernelINS0_14default_configENS1_38merge_sort_block_merge_config_selectorIN3c104HalfElEEZZNS1_27merge_sort_block_merge_implIS3_PS6_N6thrust23THRUST_200600_302600_NS10device_ptrIlEEmNSB_4lessIS6_EEEE10hipError_tT0_T1_T2_jT3_P12ihipStream_tbPNSt15iterator_traitsISH_E10value_typeEPNSN_ISI_E10value_typeEPSJ_NS1_7vsmem_tEENKUlT_SH_SI_SJ_E_clIS9_S9_PlSD_EESG_SW_SH_SI_SJ_EUlSW_E0_NS1_11comp_targetILNS1_3genE0ELNS1_11target_archE4294967295ELNS1_3gpuE0ELNS1_3repE0EEENS1_38merge_mergepath_config_static_selectorELNS0_4arch9wavefront6targetE1EEEvSI_
		.amdhsa_group_segment_fixed_size 0
		.amdhsa_private_segment_fixed_size 0
		.amdhsa_kernarg_size 72
		.amdhsa_user_sgpr_count 6
		.amdhsa_user_sgpr_private_segment_buffer 1
		.amdhsa_user_sgpr_dispatch_ptr 0
		.amdhsa_user_sgpr_queue_ptr 0
		.amdhsa_user_sgpr_kernarg_segment_ptr 1
		.amdhsa_user_sgpr_dispatch_id 0
		.amdhsa_user_sgpr_flat_scratch_init 0
		.amdhsa_user_sgpr_private_segment_size 0
		.amdhsa_uses_dynamic_stack 0
		.amdhsa_system_sgpr_private_segment_wavefront_offset 0
		.amdhsa_system_sgpr_workgroup_id_x 1
		.amdhsa_system_sgpr_workgroup_id_y 0
		.amdhsa_system_sgpr_workgroup_id_z 0
		.amdhsa_system_sgpr_workgroup_info 0
		.amdhsa_system_vgpr_workitem_id 0
		.amdhsa_next_free_vgpr 1
		.amdhsa_next_free_sgpr 0
		.amdhsa_reserve_vcc 0
		.amdhsa_reserve_flat_scratch 0
		.amdhsa_float_round_mode_32 0
		.amdhsa_float_round_mode_16_64 0
		.amdhsa_float_denorm_mode_32 3
		.amdhsa_float_denorm_mode_16_64 3
		.amdhsa_dx10_clamp 1
		.amdhsa_ieee_mode 1
		.amdhsa_fp16_overflow 0
		.amdhsa_exception_fp_ieee_invalid_op 0
		.amdhsa_exception_fp_denorm_src 0
		.amdhsa_exception_fp_ieee_div_zero 0
		.amdhsa_exception_fp_ieee_overflow 0
		.amdhsa_exception_fp_ieee_underflow 0
		.amdhsa_exception_fp_ieee_inexact 0
		.amdhsa_exception_int_div_zero 0
	.end_amdhsa_kernel
	.section	.text._ZN7rocprim17ROCPRIM_400000_NS6detail17trampoline_kernelINS0_14default_configENS1_38merge_sort_block_merge_config_selectorIN3c104HalfElEEZZNS1_27merge_sort_block_merge_implIS3_PS6_N6thrust23THRUST_200600_302600_NS10device_ptrIlEEmNSB_4lessIS6_EEEE10hipError_tT0_T1_T2_jT3_P12ihipStream_tbPNSt15iterator_traitsISH_E10value_typeEPNSN_ISI_E10value_typeEPSJ_NS1_7vsmem_tEENKUlT_SH_SI_SJ_E_clIS9_S9_PlSD_EESG_SW_SH_SI_SJ_EUlSW_E0_NS1_11comp_targetILNS1_3genE0ELNS1_11target_archE4294967295ELNS1_3gpuE0ELNS1_3repE0EEENS1_38merge_mergepath_config_static_selectorELNS0_4arch9wavefront6targetE1EEEvSI_,"axG",@progbits,_ZN7rocprim17ROCPRIM_400000_NS6detail17trampoline_kernelINS0_14default_configENS1_38merge_sort_block_merge_config_selectorIN3c104HalfElEEZZNS1_27merge_sort_block_merge_implIS3_PS6_N6thrust23THRUST_200600_302600_NS10device_ptrIlEEmNSB_4lessIS6_EEEE10hipError_tT0_T1_T2_jT3_P12ihipStream_tbPNSt15iterator_traitsISH_E10value_typeEPNSN_ISI_E10value_typeEPSJ_NS1_7vsmem_tEENKUlT_SH_SI_SJ_E_clIS9_S9_PlSD_EESG_SW_SH_SI_SJ_EUlSW_E0_NS1_11comp_targetILNS1_3genE0ELNS1_11target_archE4294967295ELNS1_3gpuE0ELNS1_3repE0EEENS1_38merge_mergepath_config_static_selectorELNS0_4arch9wavefront6targetE1EEEvSI_,comdat
.Lfunc_end2132:
	.size	_ZN7rocprim17ROCPRIM_400000_NS6detail17trampoline_kernelINS0_14default_configENS1_38merge_sort_block_merge_config_selectorIN3c104HalfElEEZZNS1_27merge_sort_block_merge_implIS3_PS6_N6thrust23THRUST_200600_302600_NS10device_ptrIlEEmNSB_4lessIS6_EEEE10hipError_tT0_T1_T2_jT3_P12ihipStream_tbPNSt15iterator_traitsISH_E10value_typeEPNSN_ISI_E10value_typeEPSJ_NS1_7vsmem_tEENKUlT_SH_SI_SJ_E_clIS9_S9_PlSD_EESG_SW_SH_SI_SJ_EUlSW_E0_NS1_11comp_targetILNS1_3genE0ELNS1_11target_archE4294967295ELNS1_3gpuE0ELNS1_3repE0EEENS1_38merge_mergepath_config_static_selectorELNS0_4arch9wavefront6targetE1EEEvSI_, .Lfunc_end2132-_ZN7rocprim17ROCPRIM_400000_NS6detail17trampoline_kernelINS0_14default_configENS1_38merge_sort_block_merge_config_selectorIN3c104HalfElEEZZNS1_27merge_sort_block_merge_implIS3_PS6_N6thrust23THRUST_200600_302600_NS10device_ptrIlEEmNSB_4lessIS6_EEEE10hipError_tT0_T1_T2_jT3_P12ihipStream_tbPNSt15iterator_traitsISH_E10value_typeEPNSN_ISI_E10value_typeEPSJ_NS1_7vsmem_tEENKUlT_SH_SI_SJ_E_clIS9_S9_PlSD_EESG_SW_SH_SI_SJ_EUlSW_E0_NS1_11comp_targetILNS1_3genE0ELNS1_11target_archE4294967295ELNS1_3gpuE0ELNS1_3repE0EEENS1_38merge_mergepath_config_static_selectorELNS0_4arch9wavefront6targetE1EEEvSI_
                                        ; -- End function
	.set _ZN7rocprim17ROCPRIM_400000_NS6detail17trampoline_kernelINS0_14default_configENS1_38merge_sort_block_merge_config_selectorIN3c104HalfElEEZZNS1_27merge_sort_block_merge_implIS3_PS6_N6thrust23THRUST_200600_302600_NS10device_ptrIlEEmNSB_4lessIS6_EEEE10hipError_tT0_T1_T2_jT3_P12ihipStream_tbPNSt15iterator_traitsISH_E10value_typeEPNSN_ISI_E10value_typeEPSJ_NS1_7vsmem_tEENKUlT_SH_SI_SJ_E_clIS9_S9_PlSD_EESG_SW_SH_SI_SJ_EUlSW_E0_NS1_11comp_targetILNS1_3genE0ELNS1_11target_archE4294967295ELNS1_3gpuE0ELNS1_3repE0EEENS1_38merge_mergepath_config_static_selectorELNS0_4arch9wavefront6targetE1EEEvSI_.num_vgpr, 0
	.set _ZN7rocprim17ROCPRIM_400000_NS6detail17trampoline_kernelINS0_14default_configENS1_38merge_sort_block_merge_config_selectorIN3c104HalfElEEZZNS1_27merge_sort_block_merge_implIS3_PS6_N6thrust23THRUST_200600_302600_NS10device_ptrIlEEmNSB_4lessIS6_EEEE10hipError_tT0_T1_T2_jT3_P12ihipStream_tbPNSt15iterator_traitsISH_E10value_typeEPNSN_ISI_E10value_typeEPSJ_NS1_7vsmem_tEENKUlT_SH_SI_SJ_E_clIS9_S9_PlSD_EESG_SW_SH_SI_SJ_EUlSW_E0_NS1_11comp_targetILNS1_3genE0ELNS1_11target_archE4294967295ELNS1_3gpuE0ELNS1_3repE0EEENS1_38merge_mergepath_config_static_selectorELNS0_4arch9wavefront6targetE1EEEvSI_.num_agpr, 0
	.set _ZN7rocprim17ROCPRIM_400000_NS6detail17trampoline_kernelINS0_14default_configENS1_38merge_sort_block_merge_config_selectorIN3c104HalfElEEZZNS1_27merge_sort_block_merge_implIS3_PS6_N6thrust23THRUST_200600_302600_NS10device_ptrIlEEmNSB_4lessIS6_EEEE10hipError_tT0_T1_T2_jT3_P12ihipStream_tbPNSt15iterator_traitsISH_E10value_typeEPNSN_ISI_E10value_typeEPSJ_NS1_7vsmem_tEENKUlT_SH_SI_SJ_E_clIS9_S9_PlSD_EESG_SW_SH_SI_SJ_EUlSW_E0_NS1_11comp_targetILNS1_3genE0ELNS1_11target_archE4294967295ELNS1_3gpuE0ELNS1_3repE0EEENS1_38merge_mergepath_config_static_selectorELNS0_4arch9wavefront6targetE1EEEvSI_.numbered_sgpr, 0
	.set _ZN7rocprim17ROCPRIM_400000_NS6detail17trampoline_kernelINS0_14default_configENS1_38merge_sort_block_merge_config_selectorIN3c104HalfElEEZZNS1_27merge_sort_block_merge_implIS3_PS6_N6thrust23THRUST_200600_302600_NS10device_ptrIlEEmNSB_4lessIS6_EEEE10hipError_tT0_T1_T2_jT3_P12ihipStream_tbPNSt15iterator_traitsISH_E10value_typeEPNSN_ISI_E10value_typeEPSJ_NS1_7vsmem_tEENKUlT_SH_SI_SJ_E_clIS9_S9_PlSD_EESG_SW_SH_SI_SJ_EUlSW_E0_NS1_11comp_targetILNS1_3genE0ELNS1_11target_archE4294967295ELNS1_3gpuE0ELNS1_3repE0EEENS1_38merge_mergepath_config_static_selectorELNS0_4arch9wavefront6targetE1EEEvSI_.num_named_barrier, 0
	.set _ZN7rocprim17ROCPRIM_400000_NS6detail17trampoline_kernelINS0_14default_configENS1_38merge_sort_block_merge_config_selectorIN3c104HalfElEEZZNS1_27merge_sort_block_merge_implIS3_PS6_N6thrust23THRUST_200600_302600_NS10device_ptrIlEEmNSB_4lessIS6_EEEE10hipError_tT0_T1_T2_jT3_P12ihipStream_tbPNSt15iterator_traitsISH_E10value_typeEPNSN_ISI_E10value_typeEPSJ_NS1_7vsmem_tEENKUlT_SH_SI_SJ_E_clIS9_S9_PlSD_EESG_SW_SH_SI_SJ_EUlSW_E0_NS1_11comp_targetILNS1_3genE0ELNS1_11target_archE4294967295ELNS1_3gpuE0ELNS1_3repE0EEENS1_38merge_mergepath_config_static_selectorELNS0_4arch9wavefront6targetE1EEEvSI_.private_seg_size, 0
	.set _ZN7rocprim17ROCPRIM_400000_NS6detail17trampoline_kernelINS0_14default_configENS1_38merge_sort_block_merge_config_selectorIN3c104HalfElEEZZNS1_27merge_sort_block_merge_implIS3_PS6_N6thrust23THRUST_200600_302600_NS10device_ptrIlEEmNSB_4lessIS6_EEEE10hipError_tT0_T1_T2_jT3_P12ihipStream_tbPNSt15iterator_traitsISH_E10value_typeEPNSN_ISI_E10value_typeEPSJ_NS1_7vsmem_tEENKUlT_SH_SI_SJ_E_clIS9_S9_PlSD_EESG_SW_SH_SI_SJ_EUlSW_E0_NS1_11comp_targetILNS1_3genE0ELNS1_11target_archE4294967295ELNS1_3gpuE0ELNS1_3repE0EEENS1_38merge_mergepath_config_static_selectorELNS0_4arch9wavefront6targetE1EEEvSI_.uses_vcc, 0
	.set _ZN7rocprim17ROCPRIM_400000_NS6detail17trampoline_kernelINS0_14default_configENS1_38merge_sort_block_merge_config_selectorIN3c104HalfElEEZZNS1_27merge_sort_block_merge_implIS3_PS6_N6thrust23THRUST_200600_302600_NS10device_ptrIlEEmNSB_4lessIS6_EEEE10hipError_tT0_T1_T2_jT3_P12ihipStream_tbPNSt15iterator_traitsISH_E10value_typeEPNSN_ISI_E10value_typeEPSJ_NS1_7vsmem_tEENKUlT_SH_SI_SJ_E_clIS9_S9_PlSD_EESG_SW_SH_SI_SJ_EUlSW_E0_NS1_11comp_targetILNS1_3genE0ELNS1_11target_archE4294967295ELNS1_3gpuE0ELNS1_3repE0EEENS1_38merge_mergepath_config_static_selectorELNS0_4arch9wavefront6targetE1EEEvSI_.uses_flat_scratch, 0
	.set _ZN7rocprim17ROCPRIM_400000_NS6detail17trampoline_kernelINS0_14default_configENS1_38merge_sort_block_merge_config_selectorIN3c104HalfElEEZZNS1_27merge_sort_block_merge_implIS3_PS6_N6thrust23THRUST_200600_302600_NS10device_ptrIlEEmNSB_4lessIS6_EEEE10hipError_tT0_T1_T2_jT3_P12ihipStream_tbPNSt15iterator_traitsISH_E10value_typeEPNSN_ISI_E10value_typeEPSJ_NS1_7vsmem_tEENKUlT_SH_SI_SJ_E_clIS9_S9_PlSD_EESG_SW_SH_SI_SJ_EUlSW_E0_NS1_11comp_targetILNS1_3genE0ELNS1_11target_archE4294967295ELNS1_3gpuE0ELNS1_3repE0EEENS1_38merge_mergepath_config_static_selectorELNS0_4arch9wavefront6targetE1EEEvSI_.has_dyn_sized_stack, 0
	.set _ZN7rocprim17ROCPRIM_400000_NS6detail17trampoline_kernelINS0_14default_configENS1_38merge_sort_block_merge_config_selectorIN3c104HalfElEEZZNS1_27merge_sort_block_merge_implIS3_PS6_N6thrust23THRUST_200600_302600_NS10device_ptrIlEEmNSB_4lessIS6_EEEE10hipError_tT0_T1_T2_jT3_P12ihipStream_tbPNSt15iterator_traitsISH_E10value_typeEPNSN_ISI_E10value_typeEPSJ_NS1_7vsmem_tEENKUlT_SH_SI_SJ_E_clIS9_S9_PlSD_EESG_SW_SH_SI_SJ_EUlSW_E0_NS1_11comp_targetILNS1_3genE0ELNS1_11target_archE4294967295ELNS1_3gpuE0ELNS1_3repE0EEENS1_38merge_mergepath_config_static_selectorELNS0_4arch9wavefront6targetE1EEEvSI_.has_recursion, 0
	.set _ZN7rocprim17ROCPRIM_400000_NS6detail17trampoline_kernelINS0_14default_configENS1_38merge_sort_block_merge_config_selectorIN3c104HalfElEEZZNS1_27merge_sort_block_merge_implIS3_PS6_N6thrust23THRUST_200600_302600_NS10device_ptrIlEEmNSB_4lessIS6_EEEE10hipError_tT0_T1_T2_jT3_P12ihipStream_tbPNSt15iterator_traitsISH_E10value_typeEPNSN_ISI_E10value_typeEPSJ_NS1_7vsmem_tEENKUlT_SH_SI_SJ_E_clIS9_S9_PlSD_EESG_SW_SH_SI_SJ_EUlSW_E0_NS1_11comp_targetILNS1_3genE0ELNS1_11target_archE4294967295ELNS1_3gpuE0ELNS1_3repE0EEENS1_38merge_mergepath_config_static_selectorELNS0_4arch9wavefront6targetE1EEEvSI_.has_indirect_call, 0
	.section	.AMDGPU.csdata,"",@progbits
; Kernel info:
; codeLenInByte = 0
; TotalNumSgprs: 4
; NumVgprs: 0
; ScratchSize: 0
; MemoryBound: 0
; FloatMode: 240
; IeeeMode: 1
; LDSByteSize: 0 bytes/workgroup (compile time only)
; SGPRBlocks: 0
; VGPRBlocks: 0
; NumSGPRsForWavesPerEU: 4
; NumVGPRsForWavesPerEU: 1
; Occupancy: 10
; WaveLimiterHint : 0
; COMPUTE_PGM_RSRC2:SCRATCH_EN: 0
; COMPUTE_PGM_RSRC2:USER_SGPR: 6
; COMPUTE_PGM_RSRC2:TRAP_HANDLER: 0
; COMPUTE_PGM_RSRC2:TGID_X_EN: 1
; COMPUTE_PGM_RSRC2:TGID_Y_EN: 0
; COMPUTE_PGM_RSRC2:TGID_Z_EN: 0
; COMPUTE_PGM_RSRC2:TIDIG_COMP_CNT: 0
	.section	.text._ZN7rocprim17ROCPRIM_400000_NS6detail17trampoline_kernelINS0_14default_configENS1_38merge_sort_block_merge_config_selectorIN3c104HalfElEEZZNS1_27merge_sort_block_merge_implIS3_PS6_N6thrust23THRUST_200600_302600_NS10device_ptrIlEEmNSB_4lessIS6_EEEE10hipError_tT0_T1_T2_jT3_P12ihipStream_tbPNSt15iterator_traitsISH_E10value_typeEPNSN_ISI_E10value_typeEPSJ_NS1_7vsmem_tEENKUlT_SH_SI_SJ_E_clIS9_S9_PlSD_EESG_SW_SH_SI_SJ_EUlSW_E0_NS1_11comp_targetILNS1_3genE10ELNS1_11target_archE1201ELNS1_3gpuE5ELNS1_3repE0EEENS1_38merge_mergepath_config_static_selectorELNS0_4arch9wavefront6targetE1EEEvSI_,"axG",@progbits,_ZN7rocprim17ROCPRIM_400000_NS6detail17trampoline_kernelINS0_14default_configENS1_38merge_sort_block_merge_config_selectorIN3c104HalfElEEZZNS1_27merge_sort_block_merge_implIS3_PS6_N6thrust23THRUST_200600_302600_NS10device_ptrIlEEmNSB_4lessIS6_EEEE10hipError_tT0_T1_T2_jT3_P12ihipStream_tbPNSt15iterator_traitsISH_E10value_typeEPNSN_ISI_E10value_typeEPSJ_NS1_7vsmem_tEENKUlT_SH_SI_SJ_E_clIS9_S9_PlSD_EESG_SW_SH_SI_SJ_EUlSW_E0_NS1_11comp_targetILNS1_3genE10ELNS1_11target_archE1201ELNS1_3gpuE5ELNS1_3repE0EEENS1_38merge_mergepath_config_static_selectorELNS0_4arch9wavefront6targetE1EEEvSI_,comdat
	.protected	_ZN7rocprim17ROCPRIM_400000_NS6detail17trampoline_kernelINS0_14default_configENS1_38merge_sort_block_merge_config_selectorIN3c104HalfElEEZZNS1_27merge_sort_block_merge_implIS3_PS6_N6thrust23THRUST_200600_302600_NS10device_ptrIlEEmNSB_4lessIS6_EEEE10hipError_tT0_T1_T2_jT3_P12ihipStream_tbPNSt15iterator_traitsISH_E10value_typeEPNSN_ISI_E10value_typeEPSJ_NS1_7vsmem_tEENKUlT_SH_SI_SJ_E_clIS9_S9_PlSD_EESG_SW_SH_SI_SJ_EUlSW_E0_NS1_11comp_targetILNS1_3genE10ELNS1_11target_archE1201ELNS1_3gpuE5ELNS1_3repE0EEENS1_38merge_mergepath_config_static_selectorELNS0_4arch9wavefront6targetE1EEEvSI_ ; -- Begin function _ZN7rocprim17ROCPRIM_400000_NS6detail17trampoline_kernelINS0_14default_configENS1_38merge_sort_block_merge_config_selectorIN3c104HalfElEEZZNS1_27merge_sort_block_merge_implIS3_PS6_N6thrust23THRUST_200600_302600_NS10device_ptrIlEEmNSB_4lessIS6_EEEE10hipError_tT0_T1_T2_jT3_P12ihipStream_tbPNSt15iterator_traitsISH_E10value_typeEPNSN_ISI_E10value_typeEPSJ_NS1_7vsmem_tEENKUlT_SH_SI_SJ_E_clIS9_S9_PlSD_EESG_SW_SH_SI_SJ_EUlSW_E0_NS1_11comp_targetILNS1_3genE10ELNS1_11target_archE1201ELNS1_3gpuE5ELNS1_3repE0EEENS1_38merge_mergepath_config_static_selectorELNS0_4arch9wavefront6targetE1EEEvSI_
	.globl	_ZN7rocprim17ROCPRIM_400000_NS6detail17trampoline_kernelINS0_14default_configENS1_38merge_sort_block_merge_config_selectorIN3c104HalfElEEZZNS1_27merge_sort_block_merge_implIS3_PS6_N6thrust23THRUST_200600_302600_NS10device_ptrIlEEmNSB_4lessIS6_EEEE10hipError_tT0_T1_T2_jT3_P12ihipStream_tbPNSt15iterator_traitsISH_E10value_typeEPNSN_ISI_E10value_typeEPSJ_NS1_7vsmem_tEENKUlT_SH_SI_SJ_E_clIS9_S9_PlSD_EESG_SW_SH_SI_SJ_EUlSW_E0_NS1_11comp_targetILNS1_3genE10ELNS1_11target_archE1201ELNS1_3gpuE5ELNS1_3repE0EEENS1_38merge_mergepath_config_static_selectorELNS0_4arch9wavefront6targetE1EEEvSI_
	.p2align	8
	.type	_ZN7rocprim17ROCPRIM_400000_NS6detail17trampoline_kernelINS0_14default_configENS1_38merge_sort_block_merge_config_selectorIN3c104HalfElEEZZNS1_27merge_sort_block_merge_implIS3_PS6_N6thrust23THRUST_200600_302600_NS10device_ptrIlEEmNSB_4lessIS6_EEEE10hipError_tT0_T1_T2_jT3_P12ihipStream_tbPNSt15iterator_traitsISH_E10value_typeEPNSN_ISI_E10value_typeEPSJ_NS1_7vsmem_tEENKUlT_SH_SI_SJ_E_clIS9_S9_PlSD_EESG_SW_SH_SI_SJ_EUlSW_E0_NS1_11comp_targetILNS1_3genE10ELNS1_11target_archE1201ELNS1_3gpuE5ELNS1_3repE0EEENS1_38merge_mergepath_config_static_selectorELNS0_4arch9wavefront6targetE1EEEvSI_,@function
_ZN7rocprim17ROCPRIM_400000_NS6detail17trampoline_kernelINS0_14default_configENS1_38merge_sort_block_merge_config_selectorIN3c104HalfElEEZZNS1_27merge_sort_block_merge_implIS3_PS6_N6thrust23THRUST_200600_302600_NS10device_ptrIlEEmNSB_4lessIS6_EEEE10hipError_tT0_T1_T2_jT3_P12ihipStream_tbPNSt15iterator_traitsISH_E10value_typeEPNSN_ISI_E10value_typeEPSJ_NS1_7vsmem_tEENKUlT_SH_SI_SJ_E_clIS9_S9_PlSD_EESG_SW_SH_SI_SJ_EUlSW_E0_NS1_11comp_targetILNS1_3genE10ELNS1_11target_archE1201ELNS1_3gpuE5ELNS1_3repE0EEENS1_38merge_mergepath_config_static_selectorELNS0_4arch9wavefront6targetE1EEEvSI_: ; @_ZN7rocprim17ROCPRIM_400000_NS6detail17trampoline_kernelINS0_14default_configENS1_38merge_sort_block_merge_config_selectorIN3c104HalfElEEZZNS1_27merge_sort_block_merge_implIS3_PS6_N6thrust23THRUST_200600_302600_NS10device_ptrIlEEmNSB_4lessIS6_EEEE10hipError_tT0_T1_T2_jT3_P12ihipStream_tbPNSt15iterator_traitsISH_E10value_typeEPNSN_ISI_E10value_typeEPSJ_NS1_7vsmem_tEENKUlT_SH_SI_SJ_E_clIS9_S9_PlSD_EESG_SW_SH_SI_SJ_EUlSW_E0_NS1_11comp_targetILNS1_3genE10ELNS1_11target_archE1201ELNS1_3gpuE5ELNS1_3repE0EEENS1_38merge_mergepath_config_static_selectorELNS0_4arch9wavefront6targetE1EEEvSI_
; %bb.0:
	.section	.rodata,"a",@progbits
	.p2align	6, 0x0
	.amdhsa_kernel _ZN7rocprim17ROCPRIM_400000_NS6detail17trampoline_kernelINS0_14default_configENS1_38merge_sort_block_merge_config_selectorIN3c104HalfElEEZZNS1_27merge_sort_block_merge_implIS3_PS6_N6thrust23THRUST_200600_302600_NS10device_ptrIlEEmNSB_4lessIS6_EEEE10hipError_tT0_T1_T2_jT3_P12ihipStream_tbPNSt15iterator_traitsISH_E10value_typeEPNSN_ISI_E10value_typeEPSJ_NS1_7vsmem_tEENKUlT_SH_SI_SJ_E_clIS9_S9_PlSD_EESG_SW_SH_SI_SJ_EUlSW_E0_NS1_11comp_targetILNS1_3genE10ELNS1_11target_archE1201ELNS1_3gpuE5ELNS1_3repE0EEENS1_38merge_mergepath_config_static_selectorELNS0_4arch9wavefront6targetE1EEEvSI_
		.amdhsa_group_segment_fixed_size 0
		.amdhsa_private_segment_fixed_size 0
		.amdhsa_kernarg_size 72
		.amdhsa_user_sgpr_count 6
		.amdhsa_user_sgpr_private_segment_buffer 1
		.amdhsa_user_sgpr_dispatch_ptr 0
		.amdhsa_user_sgpr_queue_ptr 0
		.amdhsa_user_sgpr_kernarg_segment_ptr 1
		.amdhsa_user_sgpr_dispatch_id 0
		.amdhsa_user_sgpr_flat_scratch_init 0
		.amdhsa_user_sgpr_private_segment_size 0
		.amdhsa_uses_dynamic_stack 0
		.amdhsa_system_sgpr_private_segment_wavefront_offset 0
		.amdhsa_system_sgpr_workgroup_id_x 1
		.amdhsa_system_sgpr_workgroup_id_y 0
		.amdhsa_system_sgpr_workgroup_id_z 0
		.amdhsa_system_sgpr_workgroup_info 0
		.amdhsa_system_vgpr_workitem_id 0
		.amdhsa_next_free_vgpr 1
		.amdhsa_next_free_sgpr 0
		.amdhsa_reserve_vcc 0
		.amdhsa_reserve_flat_scratch 0
		.amdhsa_float_round_mode_32 0
		.amdhsa_float_round_mode_16_64 0
		.amdhsa_float_denorm_mode_32 3
		.amdhsa_float_denorm_mode_16_64 3
		.amdhsa_dx10_clamp 1
		.amdhsa_ieee_mode 1
		.amdhsa_fp16_overflow 0
		.amdhsa_exception_fp_ieee_invalid_op 0
		.amdhsa_exception_fp_denorm_src 0
		.amdhsa_exception_fp_ieee_div_zero 0
		.amdhsa_exception_fp_ieee_overflow 0
		.amdhsa_exception_fp_ieee_underflow 0
		.amdhsa_exception_fp_ieee_inexact 0
		.amdhsa_exception_int_div_zero 0
	.end_amdhsa_kernel
	.section	.text._ZN7rocprim17ROCPRIM_400000_NS6detail17trampoline_kernelINS0_14default_configENS1_38merge_sort_block_merge_config_selectorIN3c104HalfElEEZZNS1_27merge_sort_block_merge_implIS3_PS6_N6thrust23THRUST_200600_302600_NS10device_ptrIlEEmNSB_4lessIS6_EEEE10hipError_tT0_T1_T2_jT3_P12ihipStream_tbPNSt15iterator_traitsISH_E10value_typeEPNSN_ISI_E10value_typeEPSJ_NS1_7vsmem_tEENKUlT_SH_SI_SJ_E_clIS9_S9_PlSD_EESG_SW_SH_SI_SJ_EUlSW_E0_NS1_11comp_targetILNS1_3genE10ELNS1_11target_archE1201ELNS1_3gpuE5ELNS1_3repE0EEENS1_38merge_mergepath_config_static_selectorELNS0_4arch9wavefront6targetE1EEEvSI_,"axG",@progbits,_ZN7rocprim17ROCPRIM_400000_NS6detail17trampoline_kernelINS0_14default_configENS1_38merge_sort_block_merge_config_selectorIN3c104HalfElEEZZNS1_27merge_sort_block_merge_implIS3_PS6_N6thrust23THRUST_200600_302600_NS10device_ptrIlEEmNSB_4lessIS6_EEEE10hipError_tT0_T1_T2_jT3_P12ihipStream_tbPNSt15iterator_traitsISH_E10value_typeEPNSN_ISI_E10value_typeEPSJ_NS1_7vsmem_tEENKUlT_SH_SI_SJ_E_clIS9_S9_PlSD_EESG_SW_SH_SI_SJ_EUlSW_E0_NS1_11comp_targetILNS1_3genE10ELNS1_11target_archE1201ELNS1_3gpuE5ELNS1_3repE0EEENS1_38merge_mergepath_config_static_selectorELNS0_4arch9wavefront6targetE1EEEvSI_,comdat
.Lfunc_end2133:
	.size	_ZN7rocprim17ROCPRIM_400000_NS6detail17trampoline_kernelINS0_14default_configENS1_38merge_sort_block_merge_config_selectorIN3c104HalfElEEZZNS1_27merge_sort_block_merge_implIS3_PS6_N6thrust23THRUST_200600_302600_NS10device_ptrIlEEmNSB_4lessIS6_EEEE10hipError_tT0_T1_T2_jT3_P12ihipStream_tbPNSt15iterator_traitsISH_E10value_typeEPNSN_ISI_E10value_typeEPSJ_NS1_7vsmem_tEENKUlT_SH_SI_SJ_E_clIS9_S9_PlSD_EESG_SW_SH_SI_SJ_EUlSW_E0_NS1_11comp_targetILNS1_3genE10ELNS1_11target_archE1201ELNS1_3gpuE5ELNS1_3repE0EEENS1_38merge_mergepath_config_static_selectorELNS0_4arch9wavefront6targetE1EEEvSI_, .Lfunc_end2133-_ZN7rocprim17ROCPRIM_400000_NS6detail17trampoline_kernelINS0_14default_configENS1_38merge_sort_block_merge_config_selectorIN3c104HalfElEEZZNS1_27merge_sort_block_merge_implIS3_PS6_N6thrust23THRUST_200600_302600_NS10device_ptrIlEEmNSB_4lessIS6_EEEE10hipError_tT0_T1_T2_jT3_P12ihipStream_tbPNSt15iterator_traitsISH_E10value_typeEPNSN_ISI_E10value_typeEPSJ_NS1_7vsmem_tEENKUlT_SH_SI_SJ_E_clIS9_S9_PlSD_EESG_SW_SH_SI_SJ_EUlSW_E0_NS1_11comp_targetILNS1_3genE10ELNS1_11target_archE1201ELNS1_3gpuE5ELNS1_3repE0EEENS1_38merge_mergepath_config_static_selectorELNS0_4arch9wavefront6targetE1EEEvSI_
                                        ; -- End function
	.set _ZN7rocprim17ROCPRIM_400000_NS6detail17trampoline_kernelINS0_14default_configENS1_38merge_sort_block_merge_config_selectorIN3c104HalfElEEZZNS1_27merge_sort_block_merge_implIS3_PS6_N6thrust23THRUST_200600_302600_NS10device_ptrIlEEmNSB_4lessIS6_EEEE10hipError_tT0_T1_T2_jT3_P12ihipStream_tbPNSt15iterator_traitsISH_E10value_typeEPNSN_ISI_E10value_typeEPSJ_NS1_7vsmem_tEENKUlT_SH_SI_SJ_E_clIS9_S9_PlSD_EESG_SW_SH_SI_SJ_EUlSW_E0_NS1_11comp_targetILNS1_3genE10ELNS1_11target_archE1201ELNS1_3gpuE5ELNS1_3repE0EEENS1_38merge_mergepath_config_static_selectorELNS0_4arch9wavefront6targetE1EEEvSI_.num_vgpr, 0
	.set _ZN7rocprim17ROCPRIM_400000_NS6detail17trampoline_kernelINS0_14default_configENS1_38merge_sort_block_merge_config_selectorIN3c104HalfElEEZZNS1_27merge_sort_block_merge_implIS3_PS6_N6thrust23THRUST_200600_302600_NS10device_ptrIlEEmNSB_4lessIS6_EEEE10hipError_tT0_T1_T2_jT3_P12ihipStream_tbPNSt15iterator_traitsISH_E10value_typeEPNSN_ISI_E10value_typeEPSJ_NS1_7vsmem_tEENKUlT_SH_SI_SJ_E_clIS9_S9_PlSD_EESG_SW_SH_SI_SJ_EUlSW_E0_NS1_11comp_targetILNS1_3genE10ELNS1_11target_archE1201ELNS1_3gpuE5ELNS1_3repE0EEENS1_38merge_mergepath_config_static_selectorELNS0_4arch9wavefront6targetE1EEEvSI_.num_agpr, 0
	.set _ZN7rocprim17ROCPRIM_400000_NS6detail17trampoline_kernelINS0_14default_configENS1_38merge_sort_block_merge_config_selectorIN3c104HalfElEEZZNS1_27merge_sort_block_merge_implIS3_PS6_N6thrust23THRUST_200600_302600_NS10device_ptrIlEEmNSB_4lessIS6_EEEE10hipError_tT0_T1_T2_jT3_P12ihipStream_tbPNSt15iterator_traitsISH_E10value_typeEPNSN_ISI_E10value_typeEPSJ_NS1_7vsmem_tEENKUlT_SH_SI_SJ_E_clIS9_S9_PlSD_EESG_SW_SH_SI_SJ_EUlSW_E0_NS1_11comp_targetILNS1_3genE10ELNS1_11target_archE1201ELNS1_3gpuE5ELNS1_3repE0EEENS1_38merge_mergepath_config_static_selectorELNS0_4arch9wavefront6targetE1EEEvSI_.numbered_sgpr, 0
	.set _ZN7rocprim17ROCPRIM_400000_NS6detail17trampoline_kernelINS0_14default_configENS1_38merge_sort_block_merge_config_selectorIN3c104HalfElEEZZNS1_27merge_sort_block_merge_implIS3_PS6_N6thrust23THRUST_200600_302600_NS10device_ptrIlEEmNSB_4lessIS6_EEEE10hipError_tT0_T1_T2_jT3_P12ihipStream_tbPNSt15iterator_traitsISH_E10value_typeEPNSN_ISI_E10value_typeEPSJ_NS1_7vsmem_tEENKUlT_SH_SI_SJ_E_clIS9_S9_PlSD_EESG_SW_SH_SI_SJ_EUlSW_E0_NS1_11comp_targetILNS1_3genE10ELNS1_11target_archE1201ELNS1_3gpuE5ELNS1_3repE0EEENS1_38merge_mergepath_config_static_selectorELNS0_4arch9wavefront6targetE1EEEvSI_.num_named_barrier, 0
	.set _ZN7rocprim17ROCPRIM_400000_NS6detail17trampoline_kernelINS0_14default_configENS1_38merge_sort_block_merge_config_selectorIN3c104HalfElEEZZNS1_27merge_sort_block_merge_implIS3_PS6_N6thrust23THRUST_200600_302600_NS10device_ptrIlEEmNSB_4lessIS6_EEEE10hipError_tT0_T1_T2_jT3_P12ihipStream_tbPNSt15iterator_traitsISH_E10value_typeEPNSN_ISI_E10value_typeEPSJ_NS1_7vsmem_tEENKUlT_SH_SI_SJ_E_clIS9_S9_PlSD_EESG_SW_SH_SI_SJ_EUlSW_E0_NS1_11comp_targetILNS1_3genE10ELNS1_11target_archE1201ELNS1_3gpuE5ELNS1_3repE0EEENS1_38merge_mergepath_config_static_selectorELNS0_4arch9wavefront6targetE1EEEvSI_.private_seg_size, 0
	.set _ZN7rocprim17ROCPRIM_400000_NS6detail17trampoline_kernelINS0_14default_configENS1_38merge_sort_block_merge_config_selectorIN3c104HalfElEEZZNS1_27merge_sort_block_merge_implIS3_PS6_N6thrust23THRUST_200600_302600_NS10device_ptrIlEEmNSB_4lessIS6_EEEE10hipError_tT0_T1_T2_jT3_P12ihipStream_tbPNSt15iterator_traitsISH_E10value_typeEPNSN_ISI_E10value_typeEPSJ_NS1_7vsmem_tEENKUlT_SH_SI_SJ_E_clIS9_S9_PlSD_EESG_SW_SH_SI_SJ_EUlSW_E0_NS1_11comp_targetILNS1_3genE10ELNS1_11target_archE1201ELNS1_3gpuE5ELNS1_3repE0EEENS1_38merge_mergepath_config_static_selectorELNS0_4arch9wavefront6targetE1EEEvSI_.uses_vcc, 0
	.set _ZN7rocprim17ROCPRIM_400000_NS6detail17trampoline_kernelINS0_14default_configENS1_38merge_sort_block_merge_config_selectorIN3c104HalfElEEZZNS1_27merge_sort_block_merge_implIS3_PS6_N6thrust23THRUST_200600_302600_NS10device_ptrIlEEmNSB_4lessIS6_EEEE10hipError_tT0_T1_T2_jT3_P12ihipStream_tbPNSt15iterator_traitsISH_E10value_typeEPNSN_ISI_E10value_typeEPSJ_NS1_7vsmem_tEENKUlT_SH_SI_SJ_E_clIS9_S9_PlSD_EESG_SW_SH_SI_SJ_EUlSW_E0_NS1_11comp_targetILNS1_3genE10ELNS1_11target_archE1201ELNS1_3gpuE5ELNS1_3repE0EEENS1_38merge_mergepath_config_static_selectorELNS0_4arch9wavefront6targetE1EEEvSI_.uses_flat_scratch, 0
	.set _ZN7rocprim17ROCPRIM_400000_NS6detail17trampoline_kernelINS0_14default_configENS1_38merge_sort_block_merge_config_selectorIN3c104HalfElEEZZNS1_27merge_sort_block_merge_implIS3_PS6_N6thrust23THRUST_200600_302600_NS10device_ptrIlEEmNSB_4lessIS6_EEEE10hipError_tT0_T1_T2_jT3_P12ihipStream_tbPNSt15iterator_traitsISH_E10value_typeEPNSN_ISI_E10value_typeEPSJ_NS1_7vsmem_tEENKUlT_SH_SI_SJ_E_clIS9_S9_PlSD_EESG_SW_SH_SI_SJ_EUlSW_E0_NS1_11comp_targetILNS1_3genE10ELNS1_11target_archE1201ELNS1_3gpuE5ELNS1_3repE0EEENS1_38merge_mergepath_config_static_selectorELNS0_4arch9wavefront6targetE1EEEvSI_.has_dyn_sized_stack, 0
	.set _ZN7rocprim17ROCPRIM_400000_NS6detail17trampoline_kernelINS0_14default_configENS1_38merge_sort_block_merge_config_selectorIN3c104HalfElEEZZNS1_27merge_sort_block_merge_implIS3_PS6_N6thrust23THRUST_200600_302600_NS10device_ptrIlEEmNSB_4lessIS6_EEEE10hipError_tT0_T1_T2_jT3_P12ihipStream_tbPNSt15iterator_traitsISH_E10value_typeEPNSN_ISI_E10value_typeEPSJ_NS1_7vsmem_tEENKUlT_SH_SI_SJ_E_clIS9_S9_PlSD_EESG_SW_SH_SI_SJ_EUlSW_E0_NS1_11comp_targetILNS1_3genE10ELNS1_11target_archE1201ELNS1_3gpuE5ELNS1_3repE0EEENS1_38merge_mergepath_config_static_selectorELNS0_4arch9wavefront6targetE1EEEvSI_.has_recursion, 0
	.set _ZN7rocprim17ROCPRIM_400000_NS6detail17trampoline_kernelINS0_14default_configENS1_38merge_sort_block_merge_config_selectorIN3c104HalfElEEZZNS1_27merge_sort_block_merge_implIS3_PS6_N6thrust23THRUST_200600_302600_NS10device_ptrIlEEmNSB_4lessIS6_EEEE10hipError_tT0_T1_T2_jT3_P12ihipStream_tbPNSt15iterator_traitsISH_E10value_typeEPNSN_ISI_E10value_typeEPSJ_NS1_7vsmem_tEENKUlT_SH_SI_SJ_E_clIS9_S9_PlSD_EESG_SW_SH_SI_SJ_EUlSW_E0_NS1_11comp_targetILNS1_3genE10ELNS1_11target_archE1201ELNS1_3gpuE5ELNS1_3repE0EEENS1_38merge_mergepath_config_static_selectorELNS0_4arch9wavefront6targetE1EEEvSI_.has_indirect_call, 0
	.section	.AMDGPU.csdata,"",@progbits
; Kernel info:
; codeLenInByte = 0
; TotalNumSgprs: 4
; NumVgprs: 0
; ScratchSize: 0
; MemoryBound: 0
; FloatMode: 240
; IeeeMode: 1
; LDSByteSize: 0 bytes/workgroup (compile time only)
; SGPRBlocks: 0
; VGPRBlocks: 0
; NumSGPRsForWavesPerEU: 4
; NumVGPRsForWavesPerEU: 1
; Occupancy: 10
; WaveLimiterHint : 0
; COMPUTE_PGM_RSRC2:SCRATCH_EN: 0
; COMPUTE_PGM_RSRC2:USER_SGPR: 6
; COMPUTE_PGM_RSRC2:TRAP_HANDLER: 0
; COMPUTE_PGM_RSRC2:TGID_X_EN: 1
; COMPUTE_PGM_RSRC2:TGID_Y_EN: 0
; COMPUTE_PGM_RSRC2:TGID_Z_EN: 0
; COMPUTE_PGM_RSRC2:TIDIG_COMP_CNT: 0
	.section	.text._ZN7rocprim17ROCPRIM_400000_NS6detail17trampoline_kernelINS0_14default_configENS1_38merge_sort_block_merge_config_selectorIN3c104HalfElEEZZNS1_27merge_sort_block_merge_implIS3_PS6_N6thrust23THRUST_200600_302600_NS10device_ptrIlEEmNSB_4lessIS6_EEEE10hipError_tT0_T1_T2_jT3_P12ihipStream_tbPNSt15iterator_traitsISH_E10value_typeEPNSN_ISI_E10value_typeEPSJ_NS1_7vsmem_tEENKUlT_SH_SI_SJ_E_clIS9_S9_PlSD_EESG_SW_SH_SI_SJ_EUlSW_E0_NS1_11comp_targetILNS1_3genE5ELNS1_11target_archE942ELNS1_3gpuE9ELNS1_3repE0EEENS1_38merge_mergepath_config_static_selectorELNS0_4arch9wavefront6targetE1EEEvSI_,"axG",@progbits,_ZN7rocprim17ROCPRIM_400000_NS6detail17trampoline_kernelINS0_14default_configENS1_38merge_sort_block_merge_config_selectorIN3c104HalfElEEZZNS1_27merge_sort_block_merge_implIS3_PS6_N6thrust23THRUST_200600_302600_NS10device_ptrIlEEmNSB_4lessIS6_EEEE10hipError_tT0_T1_T2_jT3_P12ihipStream_tbPNSt15iterator_traitsISH_E10value_typeEPNSN_ISI_E10value_typeEPSJ_NS1_7vsmem_tEENKUlT_SH_SI_SJ_E_clIS9_S9_PlSD_EESG_SW_SH_SI_SJ_EUlSW_E0_NS1_11comp_targetILNS1_3genE5ELNS1_11target_archE942ELNS1_3gpuE9ELNS1_3repE0EEENS1_38merge_mergepath_config_static_selectorELNS0_4arch9wavefront6targetE1EEEvSI_,comdat
	.protected	_ZN7rocprim17ROCPRIM_400000_NS6detail17trampoline_kernelINS0_14default_configENS1_38merge_sort_block_merge_config_selectorIN3c104HalfElEEZZNS1_27merge_sort_block_merge_implIS3_PS6_N6thrust23THRUST_200600_302600_NS10device_ptrIlEEmNSB_4lessIS6_EEEE10hipError_tT0_T1_T2_jT3_P12ihipStream_tbPNSt15iterator_traitsISH_E10value_typeEPNSN_ISI_E10value_typeEPSJ_NS1_7vsmem_tEENKUlT_SH_SI_SJ_E_clIS9_S9_PlSD_EESG_SW_SH_SI_SJ_EUlSW_E0_NS1_11comp_targetILNS1_3genE5ELNS1_11target_archE942ELNS1_3gpuE9ELNS1_3repE0EEENS1_38merge_mergepath_config_static_selectorELNS0_4arch9wavefront6targetE1EEEvSI_ ; -- Begin function _ZN7rocprim17ROCPRIM_400000_NS6detail17trampoline_kernelINS0_14default_configENS1_38merge_sort_block_merge_config_selectorIN3c104HalfElEEZZNS1_27merge_sort_block_merge_implIS3_PS6_N6thrust23THRUST_200600_302600_NS10device_ptrIlEEmNSB_4lessIS6_EEEE10hipError_tT0_T1_T2_jT3_P12ihipStream_tbPNSt15iterator_traitsISH_E10value_typeEPNSN_ISI_E10value_typeEPSJ_NS1_7vsmem_tEENKUlT_SH_SI_SJ_E_clIS9_S9_PlSD_EESG_SW_SH_SI_SJ_EUlSW_E0_NS1_11comp_targetILNS1_3genE5ELNS1_11target_archE942ELNS1_3gpuE9ELNS1_3repE0EEENS1_38merge_mergepath_config_static_selectorELNS0_4arch9wavefront6targetE1EEEvSI_
	.globl	_ZN7rocprim17ROCPRIM_400000_NS6detail17trampoline_kernelINS0_14default_configENS1_38merge_sort_block_merge_config_selectorIN3c104HalfElEEZZNS1_27merge_sort_block_merge_implIS3_PS6_N6thrust23THRUST_200600_302600_NS10device_ptrIlEEmNSB_4lessIS6_EEEE10hipError_tT0_T1_T2_jT3_P12ihipStream_tbPNSt15iterator_traitsISH_E10value_typeEPNSN_ISI_E10value_typeEPSJ_NS1_7vsmem_tEENKUlT_SH_SI_SJ_E_clIS9_S9_PlSD_EESG_SW_SH_SI_SJ_EUlSW_E0_NS1_11comp_targetILNS1_3genE5ELNS1_11target_archE942ELNS1_3gpuE9ELNS1_3repE0EEENS1_38merge_mergepath_config_static_selectorELNS0_4arch9wavefront6targetE1EEEvSI_
	.p2align	8
	.type	_ZN7rocprim17ROCPRIM_400000_NS6detail17trampoline_kernelINS0_14default_configENS1_38merge_sort_block_merge_config_selectorIN3c104HalfElEEZZNS1_27merge_sort_block_merge_implIS3_PS6_N6thrust23THRUST_200600_302600_NS10device_ptrIlEEmNSB_4lessIS6_EEEE10hipError_tT0_T1_T2_jT3_P12ihipStream_tbPNSt15iterator_traitsISH_E10value_typeEPNSN_ISI_E10value_typeEPSJ_NS1_7vsmem_tEENKUlT_SH_SI_SJ_E_clIS9_S9_PlSD_EESG_SW_SH_SI_SJ_EUlSW_E0_NS1_11comp_targetILNS1_3genE5ELNS1_11target_archE942ELNS1_3gpuE9ELNS1_3repE0EEENS1_38merge_mergepath_config_static_selectorELNS0_4arch9wavefront6targetE1EEEvSI_,@function
_ZN7rocprim17ROCPRIM_400000_NS6detail17trampoline_kernelINS0_14default_configENS1_38merge_sort_block_merge_config_selectorIN3c104HalfElEEZZNS1_27merge_sort_block_merge_implIS3_PS6_N6thrust23THRUST_200600_302600_NS10device_ptrIlEEmNSB_4lessIS6_EEEE10hipError_tT0_T1_T2_jT3_P12ihipStream_tbPNSt15iterator_traitsISH_E10value_typeEPNSN_ISI_E10value_typeEPSJ_NS1_7vsmem_tEENKUlT_SH_SI_SJ_E_clIS9_S9_PlSD_EESG_SW_SH_SI_SJ_EUlSW_E0_NS1_11comp_targetILNS1_3genE5ELNS1_11target_archE942ELNS1_3gpuE9ELNS1_3repE0EEENS1_38merge_mergepath_config_static_selectorELNS0_4arch9wavefront6targetE1EEEvSI_: ; @_ZN7rocprim17ROCPRIM_400000_NS6detail17trampoline_kernelINS0_14default_configENS1_38merge_sort_block_merge_config_selectorIN3c104HalfElEEZZNS1_27merge_sort_block_merge_implIS3_PS6_N6thrust23THRUST_200600_302600_NS10device_ptrIlEEmNSB_4lessIS6_EEEE10hipError_tT0_T1_T2_jT3_P12ihipStream_tbPNSt15iterator_traitsISH_E10value_typeEPNSN_ISI_E10value_typeEPSJ_NS1_7vsmem_tEENKUlT_SH_SI_SJ_E_clIS9_S9_PlSD_EESG_SW_SH_SI_SJ_EUlSW_E0_NS1_11comp_targetILNS1_3genE5ELNS1_11target_archE942ELNS1_3gpuE9ELNS1_3repE0EEENS1_38merge_mergepath_config_static_selectorELNS0_4arch9wavefront6targetE1EEEvSI_
; %bb.0:
	.section	.rodata,"a",@progbits
	.p2align	6, 0x0
	.amdhsa_kernel _ZN7rocprim17ROCPRIM_400000_NS6detail17trampoline_kernelINS0_14default_configENS1_38merge_sort_block_merge_config_selectorIN3c104HalfElEEZZNS1_27merge_sort_block_merge_implIS3_PS6_N6thrust23THRUST_200600_302600_NS10device_ptrIlEEmNSB_4lessIS6_EEEE10hipError_tT0_T1_T2_jT3_P12ihipStream_tbPNSt15iterator_traitsISH_E10value_typeEPNSN_ISI_E10value_typeEPSJ_NS1_7vsmem_tEENKUlT_SH_SI_SJ_E_clIS9_S9_PlSD_EESG_SW_SH_SI_SJ_EUlSW_E0_NS1_11comp_targetILNS1_3genE5ELNS1_11target_archE942ELNS1_3gpuE9ELNS1_3repE0EEENS1_38merge_mergepath_config_static_selectorELNS0_4arch9wavefront6targetE1EEEvSI_
		.amdhsa_group_segment_fixed_size 0
		.amdhsa_private_segment_fixed_size 0
		.amdhsa_kernarg_size 72
		.amdhsa_user_sgpr_count 6
		.amdhsa_user_sgpr_private_segment_buffer 1
		.amdhsa_user_sgpr_dispatch_ptr 0
		.amdhsa_user_sgpr_queue_ptr 0
		.amdhsa_user_sgpr_kernarg_segment_ptr 1
		.amdhsa_user_sgpr_dispatch_id 0
		.amdhsa_user_sgpr_flat_scratch_init 0
		.amdhsa_user_sgpr_private_segment_size 0
		.amdhsa_uses_dynamic_stack 0
		.amdhsa_system_sgpr_private_segment_wavefront_offset 0
		.amdhsa_system_sgpr_workgroup_id_x 1
		.amdhsa_system_sgpr_workgroup_id_y 0
		.amdhsa_system_sgpr_workgroup_id_z 0
		.amdhsa_system_sgpr_workgroup_info 0
		.amdhsa_system_vgpr_workitem_id 0
		.amdhsa_next_free_vgpr 1
		.amdhsa_next_free_sgpr 0
		.amdhsa_reserve_vcc 0
		.amdhsa_reserve_flat_scratch 0
		.amdhsa_float_round_mode_32 0
		.amdhsa_float_round_mode_16_64 0
		.amdhsa_float_denorm_mode_32 3
		.amdhsa_float_denorm_mode_16_64 3
		.amdhsa_dx10_clamp 1
		.amdhsa_ieee_mode 1
		.amdhsa_fp16_overflow 0
		.amdhsa_exception_fp_ieee_invalid_op 0
		.amdhsa_exception_fp_denorm_src 0
		.amdhsa_exception_fp_ieee_div_zero 0
		.amdhsa_exception_fp_ieee_overflow 0
		.amdhsa_exception_fp_ieee_underflow 0
		.amdhsa_exception_fp_ieee_inexact 0
		.amdhsa_exception_int_div_zero 0
	.end_amdhsa_kernel
	.section	.text._ZN7rocprim17ROCPRIM_400000_NS6detail17trampoline_kernelINS0_14default_configENS1_38merge_sort_block_merge_config_selectorIN3c104HalfElEEZZNS1_27merge_sort_block_merge_implIS3_PS6_N6thrust23THRUST_200600_302600_NS10device_ptrIlEEmNSB_4lessIS6_EEEE10hipError_tT0_T1_T2_jT3_P12ihipStream_tbPNSt15iterator_traitsISH_E10value_typeEPNSN_ISI_E10value_typeEPSJ_NS1_7vsmem_tEENKUlT_SH_SI_SJ_E_clIS9_S9_PlSD_EESG_SW_SH_SI_SJ_EUlSW_E0_NS1_11comp_targetILNS1_3genE5ELNS1_11target_archE942ELNS1_3gpuE9ELNS1_3repE0EEENS1_38merge_mergepath_config_static_selectorELNS0_4arch9wavefront6targetE1EEEvSI_,"axG",@progbits,_ZN7rocprim17ROCPRIM_400000_NS6detail17trampoline_kernelINS0_14default_configENS1_38merge_sort_block_merge_config_selectorIN3c104HalfElEEZZNS1_27merge_sort_block_merge_implIS3_PS6_N6thrust23THRUST_200600_302600_NS10device_ptrIlEEmNSB_4lessIS6_EEEE10hipError_tT0_T1_T2_jT3_P12ihipStream_tbPNSt15iterator_traitsISH_E10value_typeEPNSN_ISI_E10value_typeEPSJ_NS1_7vsmem_tEENKUlT_SH_SI_SJ_E_clIS9_S9_PlSD_EESG_SW_SH_SI_SJ_EUlSW_E0_NS1_11comp_targetILNS1_3genE5ELNS1_11target_archE942ELNS1_3gpuE9ELNS1_3repE0EEENS1_38merge_mergepath_config_static_selectorELNS0_4arch9wavefront6targetE1EEEvSI_,comdat
.Lfunc_end2134:
	.size	_ZN7rocprim17ROCPRIM_400000_NS6detail17trampoline_kernelINS0_14default_configENS1_38merge_sort_block_merge_config_selectorIN3c104HalfElEEZZNS1_27merge_sort_block_merge_implIS3_PS6_N6thrust23THRUST_200600_302600_NS10device_ptrIlEEmNSB_4lessIS6_EEEE10hipError_tT0_T1_T2_jT3_P12ihipStream_tbPNSt15iterator_traitsISH_E10value_typeEPNSN_ISI_E10value_typeEPSJ_NS1_7vsmem_tEENKUlT_SH_SI_SJ_E_clIS9_S9_PlSD_EESG_SW_SH_SI_SJ_EUlSW_E0_NS1_11comp_targetILNS1_3genE5ELNS1_11target_archE942ELNS1_3gpuE9ELNS1_3repE0EEENS1_38merge_mergepath_config_static_selectorELNS0_4arch9wavefront6targetE1EEEvSI_, .Lfunc_end2134-_ZN7rocprim17ROCPRIM_400000_NS6detail17trampoline_kernelINS0_14default_configENS1_38merge_sort_block_merge_config_selectorIN3c104HalfElEEZZNS1_27merge_sort_block_merge_implIS3_PS6_N6thrust23THRUST_200600_302600_NS10device_ptrIlEEmNSB_4lessIS6_EEEE10hipError_tT0_T1_T2_jT3_P12ihipStream_tbPNSt15iterator_traitsISH_E10value_typeEPNSN_ISI_E10value_typeEPSJ_NS1_7vsmem_tEENKUlT_SH_SI_SJ_E_clIS9_S9_PlSD_EESG_SW_SH_SI_SJ_EUlSW_E0_NS1_11comp_targetILNS1_3genE5ELNS1_11target_archE942ELNS1_3gpuE9ELNS1_3repE0EEENS1_38merge_mergepath_config_static_selectorELNS0_4arch9wavefront6targetE1EEEvSI_
                                        ; -- End function
	.set _ZN7rocprim17ROCPRIM_400000_NS6detail17trampoline_kernelINS0_14default_configENS1_38merge_sort_block_merge_config_selectorIN3c104HalfElEEZZNS1_27merge_sort_block_merge_implIS3_PS6_N6thrust23THRUST_200600_302600_NS10device_ptrIlEEmNSB_4lessIS6_EEEE10hipError_tT0_T1_T2_jT3_P12ihipStream_tbPNSt15iterator_traitsISH_E10value_typeEPNSN_ISI_E10value_typeEPSJ_NS1_7vsmem_tEENKUlT_SH_SI_SJ_E_clIS9_S9_PlSD_EESG_SW_SH_SI_SJ_EUlSW_E0_NS1_11comp_targetILNS1_3genE5ELNS1_11target_archE942ELNS1_3gpuE9ELNS1_3repE0EEENS1_38merge_mergepath_config_static_selectorELNS0_4arch9wavefront6targetE1EEEvSI_.num_vgpr, 0
	.set _ZN7rocprim17ROCPRIM_400000_NS6detail17trampoline_kernelINS0_14default_configENS1_38merge_sort_block_merge_config_selectorIN3c104HalfElEEZZNS1_27merge_sort_block_merge_implIS3_PS6_N6thrust23THRUST_200600_302600_NS10device_ptrIlEEmNSB_4lessIS6_EEEE10hipError_tT0_T1_T2_jT3_P12ihipStream_tbPNSt15iterator_traitsISH_E10value_typeEPNSN_ISI_E10value_typeEPSJ_NS1_7vsmem_tEENKUlT_SH_SI_SJ_E_clIS9_S9_PlSD_EESG_SW_SH_SI_SJ_EUlSW_E0_NS1_11comp_targetILNS1_3genE5ELNS1_11target_archE942ELNS1_3gpuE9ELNS1_3repE0EEENS1_38merge_mergepath_config_static_selectorELNS0_4arch9wavefront6targetE1EEEvSI_.num_agpr, 0
	.set _ZN7rocprim17ROCPRIM_400000_NS6detail17trampoline_kernelINS0_14default_configENS1_38merge_sort_block_merge_config_selectorIN3c104HalfElEEZZNS1_27merge_sort_block_merge_implIS3_PS6_N6thrust23THRUST_200600_302600_NS10device_ptrIlEEmNSB_4lessIS6_EEEE10hipError_tT0_T1_T2_jT3_P12ihipStream_tbPNSt15iterator_traitsISH_E10value_typeEPNSN_ISI_E10value_typeEPSJ_NS1_7vsmem_tEENKUlT_SH_SI_SJ_E_clIS9_S9_PlSD_EESG_SW_SH_SI_SJ_EUlSW_E0_NS1_11comp_targetILNS1_3genE5ELNS1_11target_archE942ELNS1_3gpuE9ELNS1_3repE0EEENS1_38merge_mergepath_config_static_selectorELNS0_4arch9wavefront6targetE1EEEvSI_.numbered_sgpr, 0
	.set _ZN7rocprim17ROCPRIM_400000_NS6detail17trampoline_kernelINS0_14default_configENS1_38merge_sort_block_merge_config_selectorIN3c104HalfElEEZZNS1_27merge_sort_block_merge_implIS3_PS6_N6thrust23THRUST_200600_302600_NS10device_ptrIlEEmNSB_4lessIS6_EEEE10hipError_tT0_T1_T2_jT3_P12ihipStream_tbPNSt15iterator_traitsISH_E10value_typeEPNSN_ISI_E10value_typeEPSJ_NS1_7vsmem_tEENKUlT_SH_SI_SJ_E_clIS9_S9_PlSD_EESG_SW_SH_SI_SJ_EUlSW_E0_NS1_11comp_targetILNS1_3genE5ELNS1_11target_archE942ELNS1_3gpuE9ELNS1_3repE0EEENS1_38merge_mergepath_config_static_selectorELNS0_4arch9wavefront6targetE1EEEvSI_.num_named_barrier, 0
	.set _ZN7rocprim17ROCPRIM_400000_NS6detail17trampoline_kernelINS0_14default_configENS1_38merge_sort_block_merge_config_selectorIN3c104HalfElEEZZNS1_27merge_sort_block_merge_implIS3_PS6_N6thrust23THRUST_200600_302600_NS10device_ptrIlEEmNSB_4lessIS6_EEEE10hipError_tT0_T1_T2_jT3_P12ihipStream_tbPNSt15iterator_traitsISH_E10value_typeEPNSN_ISI_E10value_typeEPSJ_NS1_7vsmem_tEENKUlT_SH_SI_SJ_E_clIS9_S9_PlSD_EESG_SW_SH_SI_SJ_EUlSW_E0_NS1_11comp_targetILNS1_3genE5ELNS1_11target_archE942ELNS1_3gpuE9ELNS1_3repE0EEENS1_38merge_mergepath_config_static_selectorELNS0_4arch9wavefront6targetE1EEEvSI_.private_seg_size, 0
	.set _ZN7rocprim17ROCPRIM_400000_NS6detail17trampoline_kernelINS0_14default_configENS1_38merge_sort_block_merge_config_selectorIN3c104HalfElEEZZNS1_27merge_sort_block_merge_implIS3_PS6_N6thrust23THRUST_200600_302600_NS10device_ptrIlEEmNSB_4lessIS6_EEEE10hipError_tT0_T1_T2_jT3_P12ihipStream_tbPNSt15iterator_traitsISH_E10value_typeEPNSN_ISI_E10value_typeEPSJ_NS1_7vsmem_tEENKUlT_SH_SI_SJ_E_clIS9_S9_PlSD_EESG_SW_SH_SI_SJ_EUlSW_E0_NS1_11comp_targetILNS1_3genE5ELNS1_11target_archE942ELNS1_3gpuE9ELNS1_3repE0EEENS1_38merge_mergepath_config_static_selectorELNS0_4arch9wavefront6targetE1EEEvSI_.uses_vcc, 0
	.set _ZN7rocprim17ROCPRIM_400000_NS6detail17trampoline_kernelINS0_14default_configENS1_38merge_sort_block_merge_config_selectorIN3c104HalfElEEZZNS1_27merge_sort_block_merge_implIS3_PS6_N6thrust23THRUST_200600_302600_NS10device_ptrIlEEmNSB_4lessIS6_EEEE10hipError_tT0_T1_T2_jT3_P12ihipStream_tbPNSt15iterator_traitsISH_E10value_typeEPNSN_ISI_E10value_typeEPSJ_NS1_7vsmem_tEENKUlT_SH_SI_SJ_E_clIS9_S9_PlSD_EESG_SW_SH_SI_SJ_EUlSW_E0_NS1_11comp_targetILNS1_3genE5ELNS1_11target_archE942ELNS1_3gpuE9ELNS1_3repE0EEENS1_38merge_mergepath_config_static_selectorELNS0_4arch9wavefront6targetE1EEEvSI_.uses_flat_scratch, 0
	.set _ZN7rocprim17ROCPRIM_400000_NS6detail17trampoline_kernelINS0_14default_configENS1_38merge_sort_block_merge_config_selectorIN3c104HalfElEEZZNS1_27merge_sort_block_merge_implIS3_PS6_N6thrust23THRUST_200600_302600_NS10device_ptrIlEEmNSB_4lessIS6_EEEE10hipError_tT0_T1_T2_jT3_P12ihipStream_tbPNSt15iterator_traitsISH_E10value_typeEPNSN_ISI_E10value_typeEPSJ_NS1_7vsmem_tEENKUlT_SH_SI_SJ_E_clIS9_S9_PlSD_EESG_SW_SH_SI_SJ_EUlSW_E0_NS1_11comp_targetILNS1_3genE5ELNS1_11target_archE942ELNS1_3gpuE9ELNS1_3repE0EEENS1_38merge_mergepath_config_static_selectorELNS0_4arch9wavefront6targetE1EEEvSI_.has_dyn_sized_stack, 0
	.set _ZN7rocprim17ROCPRIM_400000_NS6detail17trampoline_kernelINS0_14default_configENS1_38merge_sort_block_merge_config_selectorIN3c104HalfElEEZZNS1_27merge_sort_block_merge_implIS3_PS6_N6thrust23THRUST_200600_302600_NS10device_ptrIlEEmNSB_4lessIS6_EEEE10hipError_tT0_T1_T2_jT3_P12ihipStream_tbPNSt15iterator_traitsISH_E10value_typeEPNSN_ISI_E10value_typeEPSJ_NS1_7vsmem_tEENKUlT_SH_SI_SJ_E_clIS9_S9_PlSD_EESG_SW_SH_SI_SJ_EUlSW_E0_NS1_11comp_targetILNS1_3genE5ELNS1_11target_archE942ELNS1_3gpuE9ELNS1_3repE0EEENS1_38merge_mergepath_config_static_selectorELNS0_4arch9wavefront6targetE1EEEvSI_.has_recursion, 0
	.set _ZN7rocprim17ROCPRIM_400000_NS6detail17trampoline_kernelINS0_14default_configENS1_38merge_sort_block_merge_config_selectorIN3c104HalfElEEZZNS1_27merge_sort_block_merge_implIS3_PS6_N6thrust23THRUST_200600_302600_NS10device_ptrIlEEmNSB_4lessIS6_EEEE10hipError_tT0_T1_T2_jT3_P12ihipStream_tbPNSt15iterator_traitsISH_E10value_typeEPNSN_ISI_E10value_typeEPSJ_NS1_7vsmem_tEENKUlT_SH_SI_SJ_E_clIS9_S9_PlSD_EESG_SW_SH_SI_SJ_EUlSW_E0_NS1_11comp_targetILNS1_3genE5ELNS1_11target_archE942ELNS1_3gpuE9ELNS1_3repE0EEENS1_38merge_mergepath_config_static_selectorELNS0_4arch9wavefront6targetE1EEEvSI_.has_indirect_call, 0
	.section	.AMDGPU.csdata,"",@progbits
; Kernel info:
; codeLenInByte = 0
; TotalNumSgprs: 4
; NumVgprs: 0
; ScratchSize: 0
; MemoryBound: 0
; FloatMode: 240
; IeeeMode: 1
; LDSByteSize: 0 bytes/workgroup (compile time only)
; SGPRBlocks: 0
; VGPRBlocks: 0
; NumSGPRsForWavesPerEU: 4
; NumVGPRsForWavesPerEU: 1
; Occupancy: 10
; WaveLimiterHint : 0
; COMPUTE_PGM_RSRC2:SCRATCH_EN: 0
; COMPUTE_PGM_RSRC2:USER_SGPR: 6
; COMPUTE_PGM_RSRC2:TRAP_HANDLER: 0
; COMPUTE_PGM_RSRC2:TGID_X_EN: 1
; COMPUTE_PGM_RSRC2:TGID_Y_EN: 0
; COMPUTE_PGM_RSRC2:TGID_Z_EN: 0
; COMPUTE_PGM_RSRC2:TIDIG_COMP_CNT: 0
	.section	.text._ZN7rocprim17ROCPRIM_400000_NS6detail17trampoline_kernelINS0_14default_configENS1_38merge_sort_block_merge_config_selectorIN3c104HalfElEEZZNS1_27merge_sort_block_merge_implIS3_PS6_N6thrust23THRUST_200600_302600_NS10device_ptrIlEEmNSB_4lessIS6_EEEE10hipError_tT0_T1_T2_jT3_P12ihipStream_tbPNSt15iterator_traitsISH_E10value_typeEPNSN_ISI_E10value_typeEPSJ_NS1_7vsmem_tEENKUlT_SH_SI_SJ_E_clIS9_S9_PlSD_EESG_SW_SH_SI_SJ_EUlSW_E0_NS1_11comp_targetILNS1_3genE4ELNS1_11target_archE910ELNS1_3gpuE8ELNS1_3repE0EEENS1_38merge_mergepath_config_static_selectorELNS0_4arch9wavefront6targetE1EEEvSI_,"axG",@progbits,_ZN7rocprim17ROCPRIM_400000_NS6detail17trampoline_kernelINS0_14default_configENS1_38merge_sort_block_merge_config_selectorIN3c104HalfElEEZZNS1_27merge_sort_block_merge_implIS3_PS6_N6thrust23THRUST_200600_302600_NS10device_ptrIlEEmNSB_4lessIS6_EEEE10hipError_tT0_T1_T2_jT3_P12ihipStream_tbPNSt15iterator_traitsISH_E10value_typeEPNSN_ISI_E10value_typeEPSJ_NS1_7vsmem_tEENKUlT_SH_SI_SJ_E_clIS9_S9_PlSD_EESG_SW_SH_SI_SJ_EUlSW_E0_NS1_11comp_targetILNS1_3genE4ELNS1_11target_archE910ELNS1_3gpuE8ELNS1_3repE0EEENS1_38merge_mergepath_config_static_selectorELNS0_4arch9wavefront6targetE1EEEvSI_,comdat
	.protected	_ZN7rocprim17ROCPRIM_400000_NS6detail17trampoline_kernelINS0_14default_configENS1_38merge_sort_block_merge_config_selectorIN3c104HalfElEEZZNS1_27merge_sort_block_merge_implIS3_PS6_N6thrust23THRUST_200600_302600_NS10device_ptrIlEEmNSB_4lessIS6_EEEE10hipError_tT0_T1_T2_jT3_P12ihipStream_tbPNSt15iterator_traitsISH_E10value_typeEPNSN_ISI_E10value_typeEPSJ_NS1_7vsmem_tEENKUlT_SH_SI_SJ_E_clIS9_S9_PlSD_EESG_SW_SH_SI_SJ_EUlSW_E0_NS1_11comp_targetILNS1_3genE4ELNS1_11target_archE910ELNS1_3gpuE8ELNS1_3repE0EEENS1_38merge_mergepath_config_static_selectorELNS0_4arch9wavefront6targetE1EEEvSI_ ; -- Begin function _ZN7rocprim17ROCPRIM_400000_NS6detail17trampoline_kernelINS0_14default_configENS1_38merge_sort_block_merge_config_selectorIN3c104HalfElEEZZNS1_27merge_sort_block_merge_implIS3_PS6_N6thrust23THRUST_200600_302600_NS10device_ptrIlEEmNSB_4lessIS6_EEEE10hipError_tT0_T1_T2_jT3_P12ihipStream_tbPNSt15iterator_traitsISH_E10value_typeEPNSN_ISI_E10value_typeEPSJ_NS1_7vsmem_tEENKUlT_SH_SI_SJ_E_clIS9_S9_PlSD_EESG_SW_SH_SI_SJ_EUlSW_E0_NS1_11comp_targetILNS1_3genE4ELNS1_11target_archE910ELNS1_3gpuE8ELNS1_3repE0EEENS1_38merge_mergepath_config_static_selectorELNS0_4arch9wavefront6targetE1EEEvSI_
	.globl	_ZN7rocprim17ROCPRIM_400000_NS6detail17trampoline_kernelINS0_14default_configENS1_38merge_sort_block_merge_config_selectorIN3c104HalfElEEZZNS1_27merge_sort_block_merge_implIS3_PS6_N6thrust23THRUST_200600_302600_NS10device_ptrIlEEmNSB_4lessIS6_EEEE10hipError_tT0_T1_T2_jT3_P12ihipStream_tbPNSt15iterator_traitsISH_E10value_typeEPNSN_ISI_E10value_typeEPSJ_NS1_7vsmem_tEENKUlT_SH_SI_SJ_E_clIS9_S9_PlSD_EESG_SW_SH_SI_SJ_EUlSW_E0_NS1_11comp_targetILNS1_3genE4ELNS1_11target_archE910ELNS1_3gpuE8ELNS1_3repE0EEENS1_38merge_mergepath_config_static_selectorELNS0_4arch9wavefront6targetE1EEEvSI_
	.p2align	8
	.type	_ZN7rocprim17ROCPRIM_400000_NS6detail17trampoline_kernelINS0_14default_configENS1_38merge_sort_block_merge_config_selectorIN3c104HalfElEEZZNS1_27merge_sort_block_merge_implIS3_PS6_N6thrust23THRUST_200600_302600_NS10device_ptrIlEEmNSB_4lessIS6_EEEE10hipError_tT0_T1_T2_jT3_P12ihipStream_tbPNSt15iterator_traitsISH_E10value_typeEPNSN_ISI_E10value_typeEPSJ_NS1_7vsmem_tEENKUlT_SH_SI_SJ_E_clIS9_S9_PlSD_EESG_SW_SH_SI_SJ_EUlSW_E0_NS1_11comp_targetILNS1_3genE4ELNS1_11target_archE910ELNS1_3gpuE8ELNS1_3repE0EEENS1_38merge_mergepath_config_static_selectorELNS0_4arch9wavefront6targetE1EEEvSI_,@function
_ZN7rocprim17ROCPRIM_400000_NS6detail17trampoline_kernelINS0_14default_configENS1_38merge_sort_block_merge_config_selectorIN3c104HalfElEEZZNS1_27merge_sort_block_merge_implIS3_PS6_N6thrust23THRUST_200600_302600_NS10device_ptrIlEEmNSB_4lessIS6_EEEE10hipError_tT0_T1_T2_jT3_P12ihipStream_tbPNSt15iterator_traitsISH_E10value_typeEPNSN_ISI_E10value_typeEPSJ_NS1_7vsmem_tEENKUlT_SH_SI_SJ_E_clIS9_S9_PlSD_EESG_SW_SH_SI_SJ_EUlSW_E0_NS1_11comp_targetILNS1_3genE4ELNS1_11target_archE910ELNS1_3gpuE8ELNS1_3repE0EEENS1_38merge_mergepath_config_static_selectorELNS0_4arch9wavefront6targetE1EEEvSI_: ; @_ZN7rocprim17ROCPRIM_400000_NS6detail17trampoline_kernelINS0_14default_configENS1_38merge_sort_block_merge_config_selectorIN3c104HalfElEEZZNS1_27merge_sort_block_merge_implIS3_PS6_N6thrust23THRUST_200600_302600_NS10device_ptrIlEEmNSB_4lessIS6_EEEE10hipError_tT0_T1_T2_jT3_P12ihipStream_tbPNSt15iterator_traitsISH_E10value_typeEPNSN_ISI_E10value_typeEPSJ_NS1_7vsmem_tEENKUlT_SH_SI_SJ_E_clIS9_S9_PlSD_EESG_SW_SH_SI_SJ_EUlSW_E0_NS1_11comp_targetILNS1_3genE4ELNS1_11target_archE910ELNS1_3gpuE8ELNS1_3repE0EEENS1_38merge_mergepath_config_static_selectorELNS0_4arch9wavefront6targetE1EEEvSI_
; %bb.0:
	.section	.rodata,"a",@progbits
	.p2align	6, 0x0
	.amdhsa_kernel _ZN7rocprim17ROCPRIM_400000_NS6detail17trampoline_kernelINS0_14default_configENS1_38merge_sort_block_merge_config_selectorIN3c104HalfElEEZZNS1_27merge_sort_block_merge_implIS3_PS6_N6thrust23THRUST_200600_302600_NS10device_ptrIlEEmNSB_4lessIS6_EEEE10hipError_tT0_T1_T2_jT3_P12ihipStream_tbPNSt15iterator_traitsISH_E10value_typeEPNSN_ISI_E10value_typeEPSJ_NS1_7vsmem_tEENKUlT_SH_SI_SJ_E_clIS9_S9_PlSD_EESG_SW_SH_SI_SJ_EUlSW_E0_NS1_11comp_targetILNS1_3genE4ELNS1_11target_archE910ELNS1_3gpuE8ELNS1_3repE0EEENS1_38merge_mergepath_config_static_selectorELNS0_4arch9wavefront6targetE1EEEvSI_
		.amdhsa_group_segment_fixed_size 0
		.amdhsa_private_segment_fixed_size 0
		.amdhsa_kernarg_size 72
		.amdhsa_user_sgpr_count 6
		.amdhsa_user_sgpr_private_segment_buffer 1
		.amdhsa_user_sgpr_dispatch_ptr 0
		.amdhsa_user_sgpr_queue_ptr 0
		.amdhsa_user_sgpr_kernarg_segment_ptr 1
		.amdhsa_user_sgpr_dispatch_id 0
		.amdhsa_user_sgpr_flat_scratch_init 0
		.amdhsa_user_sgpr_private_segment_size 0
		.amdhsa_uses_dynamic_stack 0
		.amdhsa_system_sgpr_private_segment_wavefront_offset 0
		.amdhsa_system_sgpr_workgroup_id_x 1
		.amdhsa_system_sgpr_workgroup_id_y 0
		.amdhsa_system_sgpr_workgroup_id_z 0
		.amdhsa_system_sgpr_workgroup_info 0
		.amdhsa_system_vgpr_workitem_id 0
		.amdhsa_next_free_vgpr 1
		.amdhsa_next_free_sgpr 0
		.amdhsa_reserve_vcc 0
		.amdhsa_reserve_flat_scratch 0
		.amdhsa_float_round_mode_32 0
		.amdhsa_float_round_mode_16_64 0
		.amdhsa_float_denorm_mode_32 3
		.amdhsa_float_denorm_mode_16_64 3
		.amdhsa_dx10_clamp 1
		.amdhsa_ieee_mode 1
		.amdhsa_fp16_overflow 0
		.amdhsa_exception_fp_ieee_invalid_op 0
		.amdhsa_exception_fp_denorm_src 0
		.amdhsa_exception_fp_ieee_div_zero 0
		.amdhsa_exception_fp_ieee_overflow 0
		.amdhsa_exception_fp_ieee_underflow 0
		.amdhsa_exception_fp_ieee_inexact 0
		.amdhsa_exception_int_div_zero 0
	.end_amdhsa_kernel
	.section	.text._ZN7rocprim17ROCPRIM_400000_NS6detail17trampoline_kernelINS0_14default_configENS1_38merge_sort_block_merge_config_selectorIN3c104HalfElEEZZNS1_27merge_sort_block_merge_implIS3_PS6_N6thrust23THRUST_200600_302600_NS10device_ptrIlEEmNSB_4lessIS6_EEEE10hipError_tT0_T1_T2_jT3_P12ihipStream_tbPNSt15iterator_traitsISH_E10value_typeEPNSN_ISI_E10value_typeEPSJ_NS1_7vsmem_tEENKUlT_SH_SI_SJ_E_clIS9_S9_PlSD_EESG_SW_SH_SI_SJ_EUlSW_E0_NS1_11comp_targetILNS1_3genE4ELNS1_11target_archE910ELNS1_3gpuE8ELNS1_3repE0EEENS1_38merge_mergepath_config_static_selectorELNS0_4arch9wavefront6targetE1EEEvSI_,"axG",@progbits,_ZN7rocprim17ROCPRIM_400000_NS6detail17trampoline_kernelINS0_14default_configENS1_38merge_sort_block_merge_config_selectorIN3c104HalfElEEZZNS1_27merge_sort_block_merge_implIS3_PS6_N6thrust23THRUST_200600_302600_NS10device_ptrIlEEmNSB_4lessIS6_EEEE10hipError_tT0_T1_T2_jT3_P12ihipStream_tbPNSt15iterator_traitsISH_E10value_typeEPNSN_ISI_E10value_typeEPSJ_NS1_7vsmem_tEENKUlT_SH_SI_SJ_E_clIS9_S9_PlSD_EESG_SW_SH_SI_SJ_EUlSW_E0_NS1_11comp_targetILNS1_3genE4ELNS1_11target_archE910ELNS1_3gpuE8ELNS1_3repE0EEENS1_38merge_mergepath_config_static_selectorELNS0_4arch9wavefront6targetE1EEEvSI_,comdat
.Lfunc_end2135:
	.size	_ZN7rocprim17ROCPRIM_400000_NS6detail17trampoline_kernelINS0_14default_configENS1_38merge_sort_block_merge_config_selectorIN3c104HalfElEEZZNS1_27merge_sort_block_merge_implIS3_PS6_N6thrust23THRUST_200600_302600_NS10device_ptrIlEEmNSB_4lessIS6_EEEE10hipError_tT0_T1_T2_jT3_P12ihipStream_tbPNSt15iterator_traitsISH_E10value_typeEPNSN_ISI_E10value_typeEPSJ_NS1_7vsmem_tEENKUlT_SH_SI_SJ_E_clIS9_S9_PlSD_EESG_SW_SH_SI_SJ_EUlSW_E0_NS1_11comp_targetILNS1_3genE4ELNS1_11target_archE910ELNS1_3gpuE8ELNS1_3repE0EEENS1_38merge_mergepath_config_static_selectorELNS0_4arch9wavefront6targetE1EEEvSI_, .Lfunc_end2135-_ZN7rocprim17ROCPRIM_400000_NS6detail17trampoline_kernelINS0_14default_configENS1_38merge_sort_block_merge_config_selectorIN3c104HalfElEEZZNS1_27merge_sort_block_merge_implIS3_PS6_N6thrust23THRUST_200600_302600_NS10device_ptrIlEEmNSB_4lessIS6_EEEE10hipError_tT0_T1_T2_jT3_P12ihipStream_tbPNSt15iterator_traitsISH_E10value_typeEPNSN_ISI_E10value_typeEPSJ_NS1_7vsmem_tEENKUlT_SH_SI_SJ_E_clIS9_S9_PlSD_EESG_SW_SH_SI_SJ_EUlSW_E0_NS1_11comp_targetILNS1_3genE4ELNS1_11target_archE910ELNS1_3gpuE8ELNS1_3repE0EEENS1_38merge_mergepath_config_static_selectorELNS0_4arch9wavefront6targetE1EEEvSI_
                                        ; -- End function
	.set _ZN7rocprim17ROCPRIM_400000_NS6detail17trampoline_kernelINS0_14default_configENS1_38merge_sort_block_merge_config_selectorIN3c104HalfElEEZZNS1_27merge_sort_block_merge_implIS3_PS6_N6thrust23THRUST_200600_302600_NS10device_ptrIlEEmNSB_4lessIS6_EEEE10hipError_tT0_T1_T2_jT3_P12ihipStream_tbPNSt15iterator_traitsISH_E10value_typeEPNSN_ISI_E10value_typeEPSJ_NS1_7vsmem_tEENKUlT_SH_SI_SJ_E_clIS9_S9_PlSD_EESG_SW_SH_SI_SJ_EUlSW_E0_NS1_11comp_targetILNS1_3genE4ELNS1_11target_archE910ELNS1_3gpuE8ELNS1_3repE0EEENS1_38merge_mergepath_config_static_selectorELNS0_4arch9wavefront6targetE1EEEvSI_.num_vgpr, 0
	.set _ZN7rocprim17ROCPRIM_400000_NS6detail17trampoline_kernelINS0_14default_configENS1_38merge_sort_block_merge_config_selectorIN3c104HalfElEEZZNS1_27merge_sort_block_merge_implIS3_PS6_N6thrust23THRUST_200600_302600_NS10device_ptrIlEEmNSB_4lessIS6_EEEE10hipError_tT0_T1_T2_jT3_P12ihipStream_tbPNSt15iterator_traitsISH_E10value_typeEPNSN_ISI_E10value_typeEPSJ_NS1_7vsmem_tEENKUlT_SH_SI_SJ_E_clIS9_S9_PlSD_EESG_SW_SH_SI_SJ_EUlSW_E0_NS1_11comp_targetILNS1_3genE4ELNS1_11target_archE910ELNS1_3gpuE8ELNS1_3repE0EEENS1_38merge_mergepath_config_static_selectorELNS0_4arch9wavefront6targetE1EEEvSI_.num_agpr, 0
	.set _ZN7rocprim17ROCPRIM_400000_NS6detail17trampoline_kernelINS0_14default_configENS1_38merge_sort_block_merge_config_selectorIN3c104HalfElEEZZNS1_27merge_sort_block_merge_implIS3_PS6_N6thrust23THRUST_200600_302600_NS10device_ptrIlEEmNSB_4lessIS6_EEEE10hipError_tT0_T1_T2_jT3_P12ihipStream_tbPNSt15iterator_traitsISH_E10value_typeEPNSN_ISI_E10value_typeEPSJ_NS1_7vsmem_tEENKUlT_SH_SI_SJ_E_clIS9_S9_PlSD_EESG_SW_SH_SI_SJ_EUlSW_E0_NS1_11comp_targetILNS1_3genE4ELNS1_11target_archE910ELNS1_3gpuE8ELNS1_3repE0EEENS1_38merge_mergepath_config_static_selectorELNS0_4arch9wavefront6targetE1EEEvSI_.numbered_sgpr, 0
	.set _ZN7rocprim17ROCPRIM_400000_NS6detail17trampoline_kernelINS0_14default_configENS1_38merge_sort_block_merge_config_selectorIN3c104HalfElEEZZNS1_27merge_sort_block_merge_implIS3_PS6_N6thrust23THRUST_200600_302600_NS10device_ptrIlEEmNSB_4lessIS6_EEEE10hipError_tT0_T1_T2_jT3_P12ihipStream_tbPNSt15iterator_traitsISH_E10value_typeEPNSN_ISI_E10value_typeEPSJ_NS1_7vsmem_tEENKUlT_SH_SI_SJ_E_clIS9_S9_PlSD_EESG_SW_SH_SI_SJ_EUlSW_E0_NS1_11comp_targetILNS1_3genE4ELNS1_11target_archE910ELNS1_3gpuE8ELNS1_3repE0EEENS1_38merge_mergepath_config_static_selectorELNS0_4arch9wavefront6targetE1EEEvSI_.num_named_barrier, 0
	.set _ZN7rocprim17ROCPRIM_400000_NS6detail17trampoline_kernelINS0_14default_configENS1_38merge_sort_block_merge_config_selectorIN3c104HalfElEEZZNS1_27merge_sort_block_merge_implIS3_PS6_N6thrust23THRUST_200600_302600_NS10device_ptrIlEEmNSB_4lessIS6_EEEE10hipError_tT0_T1_T2_jT3_P12ihipStream_tbPNSt15iterator_traitsISH_E10value_typeEPNSN_ISI_E10value_typeEPSJ_NS1_7vsmem_tEENKUlT_SH_SI_SJ_E_clIS9_S9_PlSD_EESG_SW_SH_SI_SJ_EUlSW_E0_NS1_11comp_targetILNS1_3genE4ELNS1_11target_archE910ELNS1_3gpuE8ELNS1_3repE0EEENS1_38merge_mergepath_config_static_selectorELNS0_4arch9wavefront6targetE1EEEvSI_.private_seg_size, 0
	.set _ZN7rocprim17ROCPRIM_400000_NS6detail17trampoline_kernelINS0_14default_configENS1_38merge_sort_block_merge_config_selectorIN3c104HalfElEEZZNS1_27merge_sort_block_merge_implIS3_PS6_N6thrust23THRUST_200600_302600_NS10device_ptrIlEEmNSB_4lessIS6_EEEE10hipError_tT0_T1_T2_jT3_P12ihipStream_tbPNSt15iterator_traitsISH_E10value_typeEPNSN_ISI_E10value_typeEPSJ_NS1_7vsmem_tEENKUlT_SH_SI_SJ_E_clIS9_S9_PlSD_EESG_SW_SH_SI_SJ_EUlSW_E0_NS1_11comp_targetILNS1_3genE4ELNS1_11target_archE910ELNS1_3gpuE8ELNS1_3repE0EEENS1_38merge_mergepath_config_static_selectorELNS0_4arch9wavefront6targetE1EEEvSI_.uses_vcc, 0
	.set _ZN7rocprim17ROCPRIM_400000_NS6detail17trampoline_kernelINS0_14default_configENS1_38merge_sort_block_merge_config_selectorIN3c104HalfElEEZZNS1_27merge_sort_block_merge_implIS3_PS6_N6thrust23THRUST_200600_302600_NS10device_ptrIlEEmNSB_4lessIS6_EEEE10hipError_tT0_T1_T2_jT3_P12ihipStream_tbPNSt15iterator_traitsISH_E10value_typeEPNSN_ISI_E10value_typeEPSJ_NS1_7vsmem_tEENKUlT_SH_SI_SJ_E_clIS9_S9_PlSD_EESG_SW_SH_SI_SJ_EUlSW_E0_NS1_11comp_targetILNS1_3genE4ELNS1_11target_archE910ELNS1_3gpuE8ELNS1_3repE0EEENS1_38merge_mergepath_config_static_selectorELNS0_4arch9wavefront6targetE1EEEvSI_.uses_flat_scratch, 0
	.set _ZN7rocprim17ROCPRIM_400000_NS6detail17trampoline_kernelINS0_14default_configENS1_38merge_sort_block_merge_config_selectorIN3c104HalfElEEZZNS1_27merge_sort_block_merge_implIS3_PS6_N6thrust23THRUST_200600_302600_NS10device_ptrIlEEmNSB_4lessIS6_EEEE10hipError_tT0_T1_T2_jT3_P12ihipStream_tbPNSt15iterator_traitsISH_E10value_typeEPNSN_ISI_E10value_typeEPSJ_NS1_7vsmem_tEENKUlT_SH_SI_SJ_E_clIS9_S9_PlSD_EESG_SW_SH_SI_SJ_EUlSW_E0_NS1_11comp_targetILNS1_3genE4ELNS1_11target_archE910ELNS1_3gpuE8ELNS1_3repE0EEENS1_38merge_mergepath_config_static_selectorELNS0_4arch9wavefront6targetE1EEEvSI_.has_dyn_sized_stack, 0
	.set _ZN7rocprim17ROCPRIM_400000_NS6detail17trampoline_kernelINS0_14default_configENS1_38merge_sort_block_merge_config_selectorIN3c104HalfElEEZZNS1_27merge_sort_block_merge_implIS3_PS6_N6thrust23THRUST_200600_302600_NS10device_ptrIlEEmNSB_4lessIS6_EEEE10hipError_tT0_T1_T2_jT3_P12ihipStream_tbPNSt15iterator_traitsISH_E10value_typeEPNSN_ISI_E10value_typeEPSJ_NS1_7vsmem_tEENKUlT_SH_SI_SJ_E_clIS9_S9_PlSD_EESG_SW_SH_SI_SJ_EUlSW_E0_NS1_11comp_targetILNS1_3genE4ELNS1_11target_archE910ELNS1_3gpuE8ELNS1_3repE0EEENS1_38merge_mergepath_config_static_selectorELNS0_4arch9wavefront6targetE1EEEvSI_.has_recursion, 0
	.set _ZN7rocprim17ROCPRIM_400000_NS6detail17trampoline_kernelINS0_14default_configENS1_38merge_sort_block_merge_config_selectorIN3c104HalfElEEZZNS1_27merge_sort_block_merge_implIS3_PS6_N6thrust23THRUST_200600_302600_NS10device_ptrIlEEmNSB_4lessIS6_EEEE10hipError_tT0_T1_T2_jT3_P12ihipStream_tbPNSt15iterator_traitsISH_E10value_typeEPNSN_ISI_E10value_typeEPSJ_NS1_7vsmem_tEENKUlT_SH_SI_SJ_E_clIS9_S9_PlSD_EESG_SW_SH_SI_SJ_EUlSW_E0_NS1_11comp_targetILNS1_3genE4ELNS1_11target_archE910ELNS1_3gpuE8ELNS1_3repE0EEENS1_38merge_mergepath_config_static_selectorELNS0_4arch9wavefront6targetE1EEEvSI_.has_indirect_call, 0
	.section	.AMDGPU.csdata,"",@progbits
; Kernel info:
; codeLenInByte = 0
; TotalNumSgprs: 4
; NumVgprs: 0
; ScratchSize: 0
; MemoryBound: 0
; FloatMode: 240
; IeeeMode: 1
; LDSByteSize: 0 bytes/workgroup (compile time only)
; SGPRBlocks: 0
; VGPRBlocks: 0
; NumSGPRsForWavesPerEU: 4
; NumVGPRsForWavesPerEU: 1
; Occupancy: 10
; WaveLimiterHint : 0
; COMPUTE_PGM_RSRC2:SCRATCH_EN: 0
; COMPUTE_PGM_RSRC2:USER_SGPR: 6
; COMPUTE_PGM_RSRC2:TRAP_HANDLER: 0
; COMPUTE_PGM_RSRC2:TGID_X_EN: 1
; COMPUTE_PGM_RSRC2:TGID_Y_EN: 0
; COMPUTE_PGM_RSRC2:TGID_Z_EN: 0
; COMPUTE_PGM_RSRC2:TIDIG_COMP_CNT: 0
	.section	.text._ZN7rocprim17ROCPRIM_400000_NS6detail17trampoline_kernelINS0_14default_configENS1_38merge_sort_block_merge_config_selectorIN3c104HalfElEEZZNS1_27merge_sort_block_merge_implIS3_PS6_N6thrust23THRUST_200600_302600_NS10device_ptrIlEEmNSB_4lessIS6_EEEE10hipError_tT0_T1_T2_jT3_P12ihipStream_tbPNSt15iterator_traitsISH_E10value_typeEPNSN_ISI_E10value_typeEPSJ_NS1_7vsmem_tEENKUlT_SH_SI_SJ_E_clIS9_S9_PlSD_EESG_SW_SH_SI_SJ_EUlSW_E0_NS1_11comp_targetILNS1_3genE3ELNS1_11target_archE908ELNS1_3gpuE7ELNS1_3repE0EEENS1_38merge_mergepath_config_static_selectorELNS0_4arch9wavefront6targetE1EEEvSI_,"axG",@progbits,_ZN7rocprim17ROCPRIM_400000_NS6detail17trampoline_kernelINS0_14default_configENS1_38merge_sort_block_merge_config_selectorIN3c104HalfElEEZZNS1_27merge_sort_block_merge_implIS3_PS6_N6thrust23THRUST_200600_302600_NS10device_ptrIlEEmNSB_4lessIS6_EEEE10hipError_tT0_T1_T2_jT3_P12ihipStream_tbPNSt15iterator_traitsISH_E10value_typeEPNSN_ISI_E10value_typeEPSJ_NS1_7vsmem_tEENKUlT_SH_SI_SJ_E_clIS9_S9_PlSD_EESG_SW_SH_SI_SJ_EUlSW_E0_NS1_11comp_targetILNS1_3genE3ELNS1_11target_archE908ELNS1_3gpuE7ELNS1_3repE0EEENS1_38merge_mergepath_config_static_selectorELNS0_4arch9wavefront6targetE1EEEvSI_,comdat
	.protected	_ZN7rocprim17ROCPRIM_400000_NS6detail17trampoline_kernelINS0_14default_configENS1_38merge_sort_block_merge_config_selectorIN3c104HalfElEEZZNS1_27merge_sort_block_merge_implIS3_PS6_N6thrust23THRUST_200600_302600_NS10device_ptrIlEEmNSB_4lessIS6_EEEE10hipError_tT0_T1_T2_jT3_P12ihipStream_tbPNSt15iterator_traitsISH_E10value_typeEPNSN_ISI_E10value_typeEPSJ_NS1_7vsmem_tEENKUlT_SH_SI_SJ_E_clIS9_S9_PlSD_EESG_SW_SH_SI_SJ_EUlSW_E0_NS1_11comp_targetILNS1_3genE3ELNS1_11target_archE908ELNS1_3gpuE7ELNS1_3repE0EEENS1_38merge_mergepath_config_static_selectorELNS0_4arch9wavefront6targetE1EEEvSI_ ; -- Begin function _ZN7rocprim17ROCPRIM_400000_NS6detail17trampoline_kernelINS0_14default_configENS1_38merge_sort_block_merge_config_selectorIN3c104HalfElEEZZNS1_27merge_sort_block_merge_implIS3_PS6_N6thrust23THRUST_200600_302600_NS10device_ptrIlEEmNSB_4lessIS6_EEEE10hipError_tT0_T1_T2_jT3_P12ihipStream_tbPNSt15iterator_traitsISH_E10value_typeEPNSN_ISI_E10value_typeEPSJ_NS1_7vsmem_tEENKUlT_SH_SI_SJ_E_clIS9_S9_PlSD_EESG_SW_SH_SI_SJ_EUlSW_E0_NS1_11comp_targetILNS1_3genE3ELNS1_11target_archE908ELNS1_3gpuE7ELNS1_3repE0EEENS1_38merge_mergepath_config_static_selectorELNS0_4arch9wavefront6targetE1EEEvSI_
	.globl	_ZN7rocprim17ROCPRIM_400000_NS6detail17trampoline_kernelINS0_14default_configENS1_38merge_sort_block_merge_config_selectorIN3c104HalfElEEZZNS1_27merge_sort_block_merge_implIS3_PS6_N6thrust23THRUST_200600_302600_NS10device_ptrIlEEmNSB_4lessIS6_EEEE10hipError_tT0_T1_T2_jT3_P12ihipStream_tbPNSt15iterator_traitsISH_E10value_typeEPNSN_ISI_E10value_typeEPSJ_NS1_7vsmem_tEENKUlT_SH_SI_SJ_E_clIS9_S9_PlSD_EESG_SW_SH_SI_SJ_EUlSW_E0_NS1_11comp_targetILNS1_3genE3ELNS1_11target_archE908ELNS1_3gpuE7ELNS1_3repE0EEENS1_38merge_mergepath_config_static_selectorELNS0_4arch9wavefront6targetE1EEEvSI_
	.p2align	8
	.type	_ZN7rocprim17ROCPRIM_400000_NS6detail17trampoline_kernelINS0_14default_configENS1_38merge_sort_block_merge_config_selectorIN3c104HalfElEEZZNS1_27merge_sort_block_merge_implIS3_PS6_N6thrust23THRUST_200600_302600_NS10device_ptrIlEEmNSB_4lessIS6_EEEE10hipError_tT0_T1_T2_jT3_P12ihipStream_tbPNSt15iterator_traitsISH_E10value_typeEPNSN_ISI_E10value_typeEPSJ_NS1_7vsmem_tEENKUlT_SH_SI_SJ_E_clIS9_S9_PlSD_EESG_SW_SH_SI_SJ_EUlSW_E0_NS1_11comp_targetILNS1_3genE3ELNS1_11target_archE908ELNS1_3gpuE7ELNS1_3repE0EEENS1_38merge_mergepath_config_static_selectorELNS0_4arch9wavefront6targetE1EEEvSI_,@function
_ZN7rocprim17ROCPRIM_400000_NS6detail17trampoline_kernelINS0_14default_configENS1_38merge_sort_block_merge_config_selectorIN3c104HalfElEEZZNS1_27merge_sort_block_merge_implIS3_PS6_N6thrust23THRUST_200600_302600_NS10device_ptrIlEEmNSB_4lessIS6_EEEE10hipError_tT0_T1_T2_jT3_P12ihipStream_tbPNSt15iterator_traitsISH_E10value_typeEPNSN_ISI_E10value_typeEPSJ_NS1_7vsmem_tEENKUlT_SH_SI_SJ_E_clIS9_S9_PlSD_EESG_SW_SH_SI_SJ_EUlSW_E0_NS1_11comp_targetILNS1_3genE3ELNS1_11target_archE908ELNS1_3gpuE7ELNS1_3repE0EEENS1_38merge_mergepath_config_static_selectorELNS0_4arch9wavefront6targetE1EEEvSI_: ; @_ZN7rocprim17ROCPRIM_400000_NS6detail17trampoline_kernelINS0_14default_configENS1_38merge_sort_block_merge_config_selectorIN3c104HalfElEEZZNS1_27merge_sort_block_merge_implIS3_PS6_N6thrust23THRUST_200600_302600_NS10device_ptrIlEEmNSB_4lessIS6_EEEE10hipError_tT0_T1_T2_jT3_P12ihipStream_tbPNSt15iterator_traitsISH_E10value_typeEPNSN_ISI_E10value_typeEPSJ_NS1_7vsmem_tEENKUlT_SH_SI_SJ_E_clIS9_S9_PlSD_EESG_SW_SH_SI_SJ_EUlSW_E0_NS1_11comp_targetILNS1_3genE3ELNS1_11target_archE908ELNS1_3gpuE7ELNS1_3repE0EEENS1_38merge_mergepath_config_static_selectorELNS0_4arch9wavefront6targetE1EEEvSI_
; %bb.0:
	.section	.rodata,"a",@progbits
	.p2align	6, 0x0
	.amdhsa_kernel _ZN7rocprim17ROCPRIM_400000_NS6detail17trampoline_kernelINS0_14default_configENS1_38merge_sort_block_merge_config_selectorIN3c104HalfElEEZZNS1_27merge_sort_block_merge_implIS3_PS6_N6thrust23THRUST_200600_302600_NS10device_ptrIlEEmNSB_4lessIS6_EEEE10hipError_tT0_T1_T2_jT3_P12ihipStream_tbPNSt15iterator_traitsISH_E10value_typeEPNSN_ISI_E10value_typeEPSJ_NS1_7vsmem_tEENKUlT_SH_SI_SJ_E_clIS9_S9_PlSD_EESG_SW_SH_SI_SJ_EUlSW_E0_NS1_11comp_targetILNS1_3genE3ELNS1_11target_archE908ELNS1_3gpuE7ELNS1_3repE0EEENS1_38merge_mergepath_config_static_selectorELNS0_4arch9wavefront6targetE1EEEvSI_
		.amdhsa_group_segment_fixed_size 0
		.amdhsa_private_segment_fixed_size 0
		.amdhsa_kernarg_size 72
		.amdhsa_user_sgpr_count 6
		.amdhsa_user_sgpr_private_segment_buffer 1
		.amdhsa_user_sgpr_dispatch_ptr 0
		.amdhsa_user_sgpr_queue_ptr 0
		.amdhsa_user_sgpr_kernarg_segment_ptr 1
		.amdhsa_user_sgpr_dispatch_id 0
		.amdhsa_user_sgpr_flat_scratch_init 0
		.amdhsa_user_sgpr_private_segment_size 0
		.amdhsa_uses_dynamic_stack 0
		.amdhsa_system_sgpr_private_segment_wavefront_offset 0
		.amdhsa_system_sgpr_workgroup_id_x 1
		.amdhsa_system_sgpr_workgroup_id_y 0
		.amdhsa_system_sgpr_workgroup_id_z 0
		.amdhsa_system_sgpr_workgroup_info 0
		.amdhsa_system_vgpr_workitem_id 0
		.amdhsa_next_free_vgpr 1
		.amdhsa_next_free_sgpr 0
		.amdhsa_reserve_vcc 0
		.amdhsa_reserve_flat_scratch 0
		.amdhsa_float_round_mode_32 0
		.amdhsa_float_round_mode_16_64 0
		.amdhsa_float_denorm_mode_32 3
		.amdhsa_float_denorm_mode_16_64 3
		.amdhsa_dx10_clamp 1
		.amdhsa_ieee_mode 1
		.amdhsa_fp16_overflow 0
		.amdhsa_exception_fp_ieee_invalid_op 0
		.amdhsa_exception_fp_denorm_src 0
		.amdhsa_exception_fp_ieee_div_zero 0
		.amdhsa_exception_fp_ieee_overflow 0
		.amdhsa_exception_fp_ieee_underflow 0
		.amdhsa_exception_fp_ieee_inexact 0
		.amdhsa_exception_int_div_zero 0
	.end_amdhsa_kernel
	.section	.text._ZN7rocprim17ROCPRIM_400000_NS6detail17trampoline_kernelINS0_14default_configENS1_38merge_sort_block_merge_config_selectorIN3c104HalfElEEZZNS1_27merge_sort_block_merge_implIS3_PS6_N6thrust23THRUST_200600_302600_NS10device_ptrIlEEmNSB_4lessIS6_EEEE10hipError_tT0_T1_T2_jT3_P12ihipStream_tbPNSt15iterator_traitsISH_E10value_typeEPNSN_ISI_E10value_typeEPSJ_NS1_7vsmem_tEENKUlT_SH_SI_SJ_E_clIS9_S9_PlSD_EESG_SW_SH_SI_SJ_EUlSW_E0_NS1_11comp_targetILNS1_3genE3ELNS1_11target_archE908ELNS1_3gpuE7ELNS1_3repE0EEENS1_38merge_mergepath_config_static_selectorELNS0_4arch9wavefront6targetE1EEEvSI_,"axG",@progbits,_ZN7rocprim17ROCPRIM_400000_NS6detail17trampoline_kernelINS0_14default_configENS1_38merge_sort_block_merge_config_selectorIN3c104HalfElEEZZNS1_27merge_sort_block_merge_implIS3_PS6_N6thrust23THRUST_200600_302600_NS10device_ptrIlEEmNSB_4lessIS6_EEEE10hipError_tT0_T1_T2_jT3_P12ihipStream_tbPNSt15iterator_traitsISH_E10value_typeEPNSN_ISI_E10value_typeEPSJ_NS1_7vsmem_tEENKUlT_SH_SI_SJ_E_clIS9_S9_PlSD_EESG_SW_SH_SI_SJ_EUlSW_E0_NS1_11comp_targetILNS1_3genE3ELNS1_11target_archE908ELNS1_3gpuE7ELNS1_3repE0EEENS1_38merge_mergepath_config_static_selectorELNS0_4arch9wavefront6targetE1EEEvSI_,comdat
.Lfunc_end2136:
	.size	_ZN7rocprim17ROCPRIM_400000_NS6detail17trampoline_kernelINS0_14default_configENS1_38merge_sort_block_merge_config_selectorIN3c104HalfElEEZZNS1_27merge_sort_block_merge_implIS3_PS6_N6thrust23THRUST_200600_302600_NS10device_ptrIlEEmNSB_4lessIS6_EEEE10hipError_tT0_T1_T2_jT3_P12ihipStream_tbPNSt15iterator_traitsISH_E10value_typeEPNSN_ISI_E10value_typeEPSJ_NS1_7vsmem_tEENKUlT_SH_SI_SJ_E_clIS9_S9_PlSD_EESG_SW_SH_SI_SJ_EUlSW_E0_NS1_11comp_targetILNS1_3genE3ELNS1_11target_archE908ELNS1_3gpuE7ELNS1_3repE0EEENS1_38merge_mergepath_config_static_selectorELNS0_4arch9wavefront6targetE1EEEvSI_, .Lfunc_end2136-_ZN7rocprim17ROCPRIM_400000_NS6detail17trampoline_kernelINS0_14default_configENS1_38merge_sort_block_merge_config_selectorIN3c104HalfElEEZZNS1_27merge_sort_block_merge_implIS3_PS6_N6thrust23THRUST_200600_302600_NS10device_ptrIlEEmNSB_4lessIS6_EEEE10hipError_tT0_T1_T2_jT3_P12ihipStream_tbPNSt15iterator_traitsISH_E10value_typeEPNSN_ISI_E10value_typeEPSJ_NS1_7vsmem_tEENKUlT_SH_SI_SJ_E_clIS9_S9_PlSD_EESG_SW_SH_SI_SJ_EUlSW_E0_NS1_11comp_targetILNS1_3genE3ELNS1_11target_archE908ELNS1_3gpuE7ELNS1_3repE0EEENS1_38merge_mergepath_config_static_selectorELNS0_4arch9wavefront6targetE1EEEvSI_
                                        ; -- End function
	.set _ZN7rocprim17ROCPRIM_400000_NS6detail17trampoline_kernelINS0_14default_configENS1_38merge_sort_block_merge_config_selectorIN3c104HalfElEEZZNS1_27merge_sort_block_merge_implIS3_PS6_N6thrust23THRUST_200600_302600_NS10device_ptrIlEEmNSB_4lessIS6_EEEE10hipError_tT0_T1_T2_jT3_P12ihipStream_tbPNSt15iterator_traitsISH_E10value_typeEPNSN_ISI_E10value_typeEPSJ_NS1_7vsmem_tEENKUlT_SH_SI_SJ_E_clIS9_S9_PlSD_EESG_SW_SH_SI_SJ_EUlSW_E0_NS1_11comp_targetILNS1_3genE3ELNS1_11target_archE908ELNS1_3gpuE7ELNS1_3repE0EEENS1_38merge_mergepath_config_static_selectorELNS0_4arch9wavefront6targetE1EEEvSI_.num_vgpr, 0
	.set _ZN7rocprim17ROCPRIM_400000_NS6detail17trampoline_kernelINS0_14default_configENS1_38merge_sort_block_merge_config_selectorIN3c104HalfElEEZZNS1_27merge_sort_block_merge_implIS3_PS6_N6thrust23THRUST_200600_302600_NS10device_ptrIlEEmNSB_4lessIS6_EEEE10hipError_tT0_T1_T2_jT3_P12ihipStream_tbPNSt15iterator_traitsISH_E10value_typeEPNSN_ISI_E10value_typeEPSJ_NS1_7vsmem_tEENKUlT_SH_SI_SJ_E_clIS9_S9_PlSD_EESG_SW_SH_SI_SJ_EUlSW_E0_NS1_11comp_targetILNS1_3genE3ELNS1_11target_archE908ELNS1_3gpuE7ELNS1_3repE0EEENS1_38merge_mergepath_config_static_selectorELNS0_4arch9wavefront6targetE1EEEvSI_.num_agpr, 0
	.set _ZN7rocprim17ROCPRIM_400000_NS6detail17trampoline_kernelINS0_14default_configENS1_38merge_sort_block_merge_config_selectorIN3c104HalfElEEZZNS1_27merge_sort_block_merge_implIS3_PS6_N6thrust23THRUST_200600_302600_NS10device_ptrIlEEmNSB_4lessIS6_EEEE10hipError_tT0_T1_T2_jT3_P12ihipStream_tbPNSt15iterator_traitsISH_E10value_typeEPNSN_ISI_E10value_typeEPSJ_NS1_7vsmem_tEENKUlT_SH_SI_SJ_E_clIS9_S9_PlSD_EESG_SW_SH_SI_SJ_EUlSW_E0_NS1_11comp_targetILNS1_3genE3ELNS1_11target_archE908ELNS1_3gpuE7ELNS1_3repE0EEENS1_38merge_mergepath_config_static_selectorELNS0_4arch9wavefront6targetE1EEEvSI_.numbered_sgpr, 0
	.set _ZN7rocprim17ROCPRIM_400000_NS6detail17trampoline_kernelINS0_14default_configENS1_38merge_sort_block_merge_config_selectorIN3c104HalfElEEZZNS1_27merge_sort_block_merge_implIS3_PS6_N6thrust23THRUST_200600_302600_NS10device_ptrIlEEmNSB_4lessIS6_EEEE10hipError_tT0_T1_T2_jT3_P12ihipStream_tbPNSt15iterator_traitsISH_E10value_typeEPNSN_ISI_E10value_typeEPSJ_NS1_7vsmem_tEENKUlT_SH_SI_SJ_E_clIS9_S9_PlSD_EESG_SW_SH_SI_SJ_EUlSW_E0_NS1_11comp_targetILNS1_3genE3ELNS1_11target_archE908ELNS1_3gpuE7ELNS1_3repE0EEENS1_38merge_mergepath_config_static_selectorELNS0_4arch9wavefront6targetE1EEEvSI_.num_named_barrier, 0
	.set _ZN7rocprim17ROCPRIM_400000_NS6detail17trampoline_kernelINS0_14default_configENS1_38merge_sort_block_merge_config_selectorIN3c104HalfElEEZZNS1_27merge_sort_block_merge_implIS3_PS6_N6thrust23THRUST_200600_302600_NS10device_ptrIlEEmNSB_4lessIS6_EEEE10hipError_tT0_T1_T2_jT3_P12ihipStream_tbPNSt15iterator_traitsISH_E10value_typeEPNSN_ISI_E10value_typeEPSJ_NS1_7vsmem_tEENKUlT_SH_SI_SJ_E_clIS9_S9_PlSD_EESG_SW_SH_SI_SJ_EUlSW_E0_NS1_11comp_targetILNS1_3genE3ELNS1_11target_archE908ELNS1_3gpuE7ELNS1_3repE0EEENS1_38merge_mergepath_config_static_selectorELNS0_4arch9wavefront6targetE1EEEvSI_.private_seg_size, 0
	.set _ZN7rocprim17ROCPRIM_400000_NS6detail17trampoline_kernelINS0_14default_configENS1_38merge_sort_block_merge_config_selectorIN3c104HalfElEEZZNS1_27merge_sort_block_merge_implIS3_PS6_N6thrust23THRUST_200600_302600_NS10device_ptrIlEEmNSB_4lessIS6_EEEE10hipError_tT0_T1_T2_jT3_P12ihipStream_tbPNSt15iterator_traitsISH_E10value_typeEPNSN_ISI_E10value_typeEPSJ_NS1_7vsmem_tEENKUlT_SH_SI_SJ_E_clIS9_S9_PlSD_EESG_SW_SH_SI_SJ_EUlSW_E0_NS1_11comp_targetILNS1_3genE3ELNS1_11target_archE908ELNS1_3gpuE7ELNS1_3repE0EEENS1_38merge_mergepath_config_static_selectorELNS0_4arch9wavefront6targetE1EEEvSI_.uses_vcc, 0
	.set _ZN7rocprim17ROCPRIM_400000_NS6detail17trampoline_kernelINS0_14default_configENS1_38merge_sort_block_merge_config_selectorIN3c104HalfElEEZZNS1_27merge_sort_block_merge_implIS3_PS6_N6thrust23THRUST_200600_302600_NS10device_ptrIlEEmNSB_4lessIS6_EEEE10hipError_tT0_T1_T2_jT3_P12ihipStream_tbPNSt15iterator_traitsISH_E10value_typeEPNSN_ISI_E10value_typeEPSJ_NS1_7vsmem_tEENKUlT_SH_SI_SJ_E_clIS9_S9_PlSD_EESG_SW_SH_SI_SJ_EUlSW_E0_NS1_11comp_targetILNS1_3genE3ELNS1_11target_archE908ELNS1_3gpuE7ELNS1_3repE0EEENS1_38merge_mergepath_config_static_selectorELNS0_4arch9wavefront6targetE1EEEvSI_.uses_flat_scratch, 0
	.set _ZN7rocprim17ROCPRIM_400000_NS6detail17trampoline_kernelINS0_14default_configENS1_38merge_sort_block_merge_config_selectorIN3c104HalfElEEZZNS1_27merge_sort_block_merge_implIS3_PS6_N6thrust23THRUST_200600_302600_NS10device_ptrIlEEmNSB_4lessIS6_EEEE10hipError_tT0_T1_T2_jT3_P12ihipStream_tbPNSt15iterator_traitsISH_E10value_typeEPNSN_ISI_E10value_typeEPSJ_NS1_7vsmem_tEENKUlT_SH_SI_SJ_E_clIS9_S9_PlSD_EESG_SW_SH_SI_SJ_EUlSW_E0_NS1_11comp_targetILNS1_3genE3ELNS1_11target_archE908ELNS1_3gpuE7ELNS1_3repE0EEENS1_38merge_mergepath_config_static_selectorELNS0_4arch9wavefront6targetE1EEEvSI_.has_dyn_sized_stack, 0
	.set _ZN7rocprim17ROCPRIM_400000_NS6detail17trampoline_kernelINS0_14default_configENS1_38merge_sort_block_merge_config_selectorIN3c104HalfElEEZZNS1_27merge_sort_block_merge_implIS3_PS6_N6thrust23THRUST_200600_302600_NS10device_ptrIlEEmNSB_4lessIS6_EEEE10hipError_tT0_T1_T2_jT3_P12ihipStream_tbPNSt15iterator_traitsISH_E10value_typeEPNSN_ISI_E10value_typeEPSJ_NS1_7vsmem_tEENKUlT_SH_SI_SJ_E_clIS9_S9_PlSD_EESG_SW_SH_SI_SJ_EUlSW_E0_NS1_11comp_targetILNS1_3genE3ELNS1_11target_archE908ELNS1_3gpuE7ELNS1_3repE0EEENS1_38merge_mergepath_config_static_selectorELNS0_4arch9wavefront6targetE1EEEvSI_.has_recursion, 0
	.set _ZN7rocprim17ROCPRIM_400000_NS6detail17trampoline_kernelINS0_14default_configENS1_38merge_sort_block_merge_config_selectorIN3c104HalfElEEZZNS1_27merge_sort_block_merge_implIS3_PS6_N6thrust23THRUST_200600_302600_NS10device_ptrIlEEmNSB_4lessIS6_EEEE10hipError_tT0_T1_T2_jT3_P12ihipStream_tbPNSt15iterator_traitsISH_E10value_typeEPNSN_ISI_E10value_typeEPSJ_NS1_7vsmem_tEENKUlT_SH_SI_SJ_E_clIS9_S9_PlSD_EESG_SW_SH_SI_SJ_EUlSW_E0_NS1_11comp_targetILNS1_3genE3ELNS1_11target_archE908ELNS1_3gpuE7ELNS1_3repE0EEENS1_38merge_mergepath_config_static_selectorELNS0_4arch9wavefront6targetE1EEEvSI_.has_indirect_call, 0
	.section	.AMDGPU.csdata,"",@progbits
; Kernel info:
; codeLenInByte = 0
; TotalNumSgprs: 4
; NumVgprs: 0
; ScratchSize: 0
; MemoryBound: 0
; FloatMode: 240
; IeeeMode: 1
; LDSByteSize: 0 bytes/workgroup (compile time only)
; SGPRBlocks: 0
; VGPRBlocks: 0
; NumSGPRsForWavesPerEU: 4
; NumVGPRsForWavesPerEU: 1
; Occupancy: 10
; WaveLimiterHint : 0
; COMPUTE_PGM_RSRC2:SCRATCH_EN: 0
; COMPUTE_PGM_RSRC2:USER_SGPR: 6
; COMPUTE_PGM_RSRC2:TRAP_HANDLER: 0
; COMPUTE_PGM_RSRC2:TGID_X_EN: 1
; COMPUTE_PGM_RSRC2:TGID_Y_EN: 0
; COMPUTE_PGM_RSRC2:TGID_Z_EN: 0
; COMPUTE_PGM_RSRC2:TIDIG_COMP_CNT: 0
	.section	.text._ZN7rocprim17ROCPRIM_400000_NS6detail17trampoline_kernelINS0_14default_configENS1_38merge_sort_block_merge_config_selectorIN3c104HalfElEEZZNS1_27merge_sort_block_merge_implIS3_PS6_N6thrust23THRUST_200600_302600_NS10device_ptrIlEEmNSB_4lessIS6_EEEE10hipError_tT0_T1_T2_jT3_P12ihipStream_tbPNSt15iterator_traitsISH_E10value_typeEPNSN_ISI_E10value_typeEPSJ_NS1_7vsmem_tEENKUlT_SH_SI_SJ_E_clIS9_S9_PlSD_EESG_SW_SH_SI_SJ_EUlSW_E0_NS1_11comp_targetILNS1_3genE2ELNS1_11target_archE906ELNS1_3gpuE6ELNS1_3repE0EEENS1_38merge_mergepath_config_static_selectorELNS0_4arch9wavefront6targetE1EEEvSI_,"axG",@progbits,_ZN7rocprim17ROCPRIM_400000_NS6detail17trampoline_kernelINS0_14default_configENS1_38merge_sort_block_merge_config_selectorIN3c104HalfElEEZZNS1_27merge_sort_block_merge_implIS3_PS6_N6thrust23THRUST_200600_302600_NS10device_ptrIlEEmNSB_4lessIS6_EEEE10hipError_tT0_T1_T2_jT3_P12ihipStream_tbPNSt15iterator_traitsISH_E10value_typeEPNSN_ISI_E10value_typeEPSJ_NS1_7vsmem_tEENKUlT_SH_SI_SJ_E_clIS9_S9_PlSD_EESG_SW_SH_SI_SJ_EUlSW_E0_NS1_11comp_targetILNS1_3genE2ELNS1_11target_archE906ELNS1_3gpuE6ELNS1_3repE0EEENS1_38merge_mergepath_config_static_selectorELNS0_4arch9wavefront6targetE1EEEvSI_,comdat
	.protected	_ZN7rocprim17ROCPRIM_400000_NS6detail17trampoline_kernelINS0_14default_configENS1_38merge_sort_block_merge_config_selectorIN3c104HalfElEEZZNS1_27merge_sort_block_merge_implIS3_PS6_N6thrust23THRUST_200600_302600_NS10device_ptrIlEEmNSB_4lessIS6_EEEE10hipError_tT0_T1_T2_jT3_P12ihipStream_tbPNSt15iterator_traitsISH_E10value_typeEPNSN_ISI_E10value_typeEPSJ_NS1_7vsmem_tEENKUlT_SH_SI_SJ_E_clIS9_S9_PlSD_EESG_SW_SH_SI_SJ_EUlSW_E0_NS1_11comp_targetILNS1_3genE2ELNS1_11target_archE906ELNS1_3gpuE6ELNS1_3repE0EEENS1_38merge_mergepath_config_static_selectorELNS0_4arch9wavefront6targetE1EEEvSI_ ; -- Begin function _ZN7rocprim17ROCPRIM_400000_NS6detail17trampoline_kernelINS0_14default_configENS1_38merge_sort_block_merge_config_selectorIN3c104HalfElEEZZNS1_27merge_sort_block_merge_implIS3_PS6_N6thrust23THRUST_200600_302600_NS10device_ptrIlEEmNSB_4lessIS6_EEEE10hipError_tT0_T1_T2_jT3_P12ihipStream_tbPNSt15iterator_traitsISH_E10value_typeEPNSN_ISI_E10value_typeEPSJ_NS1_7vsmem_tEENKUlT_SH_SI_SJ_E_clIS9_S9_PlSD_EESG_SW_SH_SI_SJ_EUlSW_E0_NS1_11comp_targetILNS1_3genE2ELNS1_11target_archE906ELNS1_3gpuE6ELNS1_3repE0EEENS1_38merge_mergepath_config_static_selectorELNS0_4arch9wavefront6targetE1EEEvSI_
	.globl	_ZN7rocprim17ROCPRIM_400000_NS6detail17trampoline_kernelINS0_14default_configENS1_38merge_sort_block_merge_config_selectorIN3c104HalfElEEZZNS1_27merge_sort_block_merge_implIS3_PS6_N6thrust23THRUST_200600_302600_NS10device_ptrIlEEmNSB_4lessIS6_EEEE10hipError_tT0_T1_T2_jT3_P12ihipStream_tbPNSt15iterator_traitsISH_E10value_typeEPNSN_ISI_E10value_typeEPSJ_NS1_7vsmem_tEENKUlT_SH_SI_SJ_E_clIS9_S9_PlSD_EESG_SW_SH_SI_SJ_EUlSW_E0_NS1_11comp_targetILNS1_3genE2ELNS1_11target_archE906ELNS1_3gpuE6ELNS1_3repE0EEENS1_38merge_mergepath_config_static_selectorELNS0_4arch9wavefront6targetE1EEEvSI_
	.p2align	8
	.type	_ZN7rocprim17ROCPRIM_400000_NS6detail17trampoline_kernelINS0_14default_configENS1_38merge_sort_block_merge_config_selectorIN3c104HalfElEEZZNS1_27merge_sort_block_merge_implIS3_PS6_N6thrust23THRUST_200600_302600_NS10device_ptrIlEEmNSB_4lessIS6_EEEE10hipError_tT0_T1_T2_jT3_P12ihipStream_tbPNSt15iterator_traitsISH_E10value_typeEPNSN_ISI_E10value_typeEPSJ_NS1_7vsmem_tEENKUlT_SH_SI_SJ_E_clIS9_S9_PlSD_EESG_SW_SH_SI_SJ_EUlSW_E0_NS1_11comp_targetILNS1_3genE2ELNS1_11target_archE906ELNS1_3gpuE6ELNS1_3repE0EEENS1_38merge_mergepath_config_static_selectorELNS0_4arch9wavefront6targetE1EEEvSI_,@function
_ZN7rocprim17ROCPRIM_400000_NS6detail17trampoline_kernelINS0_14default_configENS1_38merge_sort_block_merge_config_selectorIN3c104HalfElEEZZNS1_27merge_sort_block_merge_implIS3_PS6_N6thrust23THRUST_200600_302600_NS10device_ptrIlEEmNSB_4lessIS6_EEEE10hipError_tT0_T1_T2_jT3_P12ihipStream_tbPNSt15iterator_traitsISH_E10value_typeEPNSN_ISI_E10value_typeEPSJ_NS1_7vsmem_tEENKUlT_SH_SI_SJ_E_clIS9_S9_PlSD_EESG_SW_SH_SI_SJ_EUlSW_E0_NS1_11comp_targetILNS1_3genE2ELNS1_11target_archE906ELNS1_3gpuE6ELNS1_3repE0EEENS1_38merge_mergepath_config_static_selectorELNS0_4arch9wavefront6targetE1EEEvSI_: ; @_ZN7rocprim17ROCPRIM_400000_NS6detail17trampoline_kernelINS0_14default_configENS1_38merge_sort_block_merge_config_selectorIN3c104HalfElEEZZNS1_27merge_sort_block_merge_implIS3_PS6_N6thrust23THRUST_200600_302600_NS10device_ptrIlEEmNSB_4lessIS6_EEEE10hipError_tT0_T1_T2_jT3_P12ihipStream_tbPNSt15iterator_traitsISH_E10value_typeEPNSN_ISI_E10value_typeEPSJ_NS1_7vsmem_tEENKUlT_SH_SI_SJ_E_clIS9_S9_PlSD_EESG_SW_SH_SI_SJ_EUlSW_E0_NS1_11comp_targetILNS1_3genE2ELNS1_11target_archE906ELNS1_3gpuE6ELNS1_3repE0EEENS1_38merge_mergepath_config_static_selectorELNS0_4arch9wavefront6targetE1EEEvSI_
; %bb.0:
	s_load_dwordx2 s[28:29], s[4:5], 0x48
	s_load_dword s1, s[4:5], 0x38
	s_add_u32 s26, s4, 0x48
	s_addc_u32 s27, s5, 0
	s_waitcnt lgkmcnt(0)
	s_mul_i32 s0, s29, s8
	s_add_i32 s0, s0, s7
	s_mul_i32 s0, s0, s28
	s_add_i32 s0, s0, s6
	s_cmp_ge_u32 s0, s1
	s_cbranch_scc1 .LBB2137_55
; %bb.1:
	s_load_dwordx2 s[2:3], s[4:5], 0x40
	s_load_dwordx4 s[16:19], s[4:5], 0x28
	s_mov_b32 s1, 0
	s_lshl_b64 s[8:9], s[0:1], 3
	s_waitcnt lgkmcnt(0)
	s_add_u32 s2, s2, s8
	s_addc_u32 s3, s3, s9
	s_lshr_b64 s[8:9], s[18:19], 9
	s_load_dwordx4 s[20:23], s[2:3], 0x0
	s_and_b32 s2, s8, -2
	s_sub_i32 s36, 0, s2
	s_and_b32 s8, s0, s36
	s_mov_b32 s9, s1
	s_lshl_b64 s[2:3], s[8:9], 10
	s_lshl_b64 s[24:25], s[0:1], 10
	s_sub_u32 s7, s24, s2
	s_subb_u32 s10, s25, s3
	s_lshl_b64 s[8:9], s[8:9], 11
	s_add_u32 s31, s8, s18
	s_addc_u32 s33, s9, s19
	s_add_u32 s7, s31, s7
	s_addc_u32 s30, s33, s10
	s_waitcnt lgkmcnt(0)
	s_sub_u32 s8, s7, s22
	s_subb_u32 s9, s30, s23
	s_add_u32 s34, s8, 0x400
	s_addc_u32 s35, s9, 0
	v_mov_b32_e32 v1, s34
	v_mov_b32_e32 v2, s35
	v_cmp_lt_u64_e32 vcc, s[16:17], v[1:2]
	s_load_dwordx8 s[8:15], s[4:5], 0x8
	s_and_b64 s[4:5], vcc, exec
	s_cselect_b32 s29, s16, s34
	s_or_b32 s4, s0, s36
	s_cmp_lg_u32 s4, -1
	s_cbranch_scc1 .LBB2137_3
; %bb.2:
	s_sub_u32 s2, s31, s2
	s_subb_u32 s3, s33, s3
	v_mov_b32_e32 v1, s2
	v_mov_b32_e32 v2, s3
	v_cmp_lt_u64_e32 vcc, s[16:17], v[1:2]
	s_and_b64 s[4:5], vcc, exec
	s_cselect_b32 s22, s16, s2
	s_add_u32 s2, s2, s18
	s_addc_u32 s3, s3, s19
	v_mov_b32_e32 v1, s2
	v_mov_b32_e32 v2, s3
	v_cmp_lt_u64_e32 vcc, s[16:17], v[1:2]
	s_and_b64 s[4:5], vcc, exec
	s_cselect_b32 s29, s16, s2
.LBB2137_3:
	s_lshr_b64 s[4:5], s[16:17], 10
	s_cmp_lg_u64 s[4:5], s[0:1]
	s_cselect_b64 s[18:19], -1, 0
	s_sub_u32 s2, s7, s20
	s_subb_u32 s3, s30, s21
	v_mov_b32_e32 v1, s2
	v_mov_b32_e32 v2, s3
	v_cmp_lt_u64_e32 vcc, s[16:17], v[1:2]
	v_mov_b32_e32 v2, 0
	s_and_b64 s[30:31], vcc, exec
	s_cselect_b32 s3, s17, s3
	s_cselect_b32 s2, s16, s2
	s_sub_i32 s17, s22, s20
	s_lshl_b64 s[22:23], s[20:21], 1
	s_waitcnt lgkmcnt(0)
	s_add_u32 s22, s8, s22
	s_addc_u32 s23, s9, s23
	s_lshl_b64 s[30:31], s[2:3], 1
	s_add_u32 s7, s8, s30
	global_load_dword v1, v2, s[26:27] offset:14
	s_addc_u32 s8, s9, s31
	s_cmp_lt_u32 s6, s28
	s_cselect_b32 s6, 12, 18
	s_add_u32 s26, s26, s6
	s_addc_u32 s27, s27, 0
	global_load_ushort v3, v2, s[26:27]
	s_cmp_eq_u64 s[4:5], s[0:1]
	v_lshlrev_b32_e32 v13, 1, v0
	s_waitcnt vmcnt(1)
	v_lshrrev_b32_e32 v4, 16, v1
	v_and_b32_e32 v1, 0xffff, v1
	v_mul_lo_u32 v1, v1, v4
	s_waitcnt vmcnt(0)
	v_mul_lo_u32 v18, v1, v3
	v_add_u32_e32 v11, v18, v0
	v_add_u32_e32 v9, v11, v18
	s_cbranch_scc1 .LBB2137_5
; %bb.4:
	v_mov_b32_e32 v1, s23
	v_add_co_u32_e32 v5, vcc, s22, v13
	v_addc_co_u32_e32 v6, vcc, 0, v1, vcc
	v_subrev_co_u32_e32 v1, vcc, s17, v0
	v_lshlrev_b64 v[3:4], 1, v[1:2]
	v_mov_b32_e32 v1, s8
	v_add_co_u32_e64 v3, s[0:1], s7, v3
	v_addc_co_u32_e64 v1, s[0:1], v1, v4, s[0:1]
	v_cndmask_b32_e32 v4, v1, v6, vcc
	v_cndmask_b32_e32 v3, v3, v5, vcc
	v_mov_b32_e32 v12, v2
	global_load_ushort v15, v[3:4], off
	v_lshlrev_b64 v[3:4], 1, v[11:12]
	v_mov_b32_e32 v1, s23
	v_add_co_u32_e32 v5, vcc, s22, v3
	v_addc_co_u32_e32 v6, vcc, v1, v4, vcc
	v_subrev_co_u32_e32 v1, vcc, s17, v11
	v_lshlrev_b64 v[3:4], 1, v[1:2]
	v_mov_b32_e32 v1, s8
	v_add_co_u32_e64 v3, s[0:1], s7, v3
	v_addc_co_u32_e64 v1, s[0:1], v1, v4, s[0:1]
	v_cndmask_b32_e32 v4, v1, v6, vcc
	v_cndmask_b32_e32 v3, v3, v5, vcc
	v_mov_b32_e32 v10, v2
	global_load_ushort v16, v[3:4], off
	v_lshlrev_b64 v[3:4], 1, v[9:10]
	v_mov_b32_e32 v1, s23
	v_add_co_u32_e32 v3, vcc, s22, v3
	v_addc_co_u32_e32 v4, vcc, v1, v4, vcc
	v_subrev_co_u32_e32 v1, vcc, s17, v9
	v_lshlrev_b64 v[1:2], 1, v[1:2]
	v_mov_b32_e32 v5, s8
	v_add_co_u32_e64 v1, s[0:1], s7, v1
	v_addc_co_u32_e64 v2, s[0:1], v5, v2, s[0:1]
	v_cndmask_b32_e32 v2, v2, v4, vcc
	v_cndmask_b32_e32 v1, v1, v3, vcc
	global_load_ushort v17, v[1:2], off
	v_add_u32_e32 v1, v9, v18
	s_mov_b64 s[0:1], -1
	s_sub_i32 s6, s29, s2
	s_cbranch_execz .LBB2137_6
	s_branch .LBB2137_13
.LBB2137_5:
	s_mov_b64 s[0:1], 0
                                        ; implicit-def: $vgpr1
                                        ; implicit-def: $vgpr17
                                        ; implicit-def: $vgpr16
                                        ; implicit-def: $vgpr15
	s_sub_i32 s6, s29, s2
.LBB2137_6:
	s_add_i32 s9, s17, s6
	v_cmp_gt_u32_e32 vcc, s9, v0
                                        ; implicit-def: $vgpr15
	s_and_saveexec_b64 s[4:5], vcc
	s_cbranch_execz .LBB2137_8
; %bb.7:
	v_mov_b32_e32 v1, s23
	v_add_co_u32_e32 v3, vcc, s22, v13
	v_addc_co_u32_e32 v4, vcc, 0, v1, vcc
	v_subrev_co_u32_e32 v1, vcc, s17, v0
	v_mov_b32_e32 v2, 0
	v_lshlrev_b64 v[1:2], 1, v[1:2]
	v_mov_b32_e32 v5, s8
	v_add_co_u32_e64 v1, s[0:1], s7, v1
	v_addc_co_u32_e64 v2, s[0:1], v5, v2, s[0:1]
	v_cndmask_b32_e32 v2, v2, v4, vcc
	v_cndmask_b32_e32 v1, v1, v3, vcc
	global_load_ushort v15, v[1:2], off
.LBB2137_8:
	s_or_b64 exec, exec, s[4:5]
	v_cmp_gt_u32_e32 vcc, s9, v11
                                        ; implicit-def: $vgpr16
	s_and_saveexec_b64 s[4:5], vcc
	s_cbranch_execz .LBB2137_10
; %bb.9:
	v_mov_b32_e32 v12, 0
	v_lshlrev_b64 v[1:2], 1, v[11:12]
	v_mov_b32_e32 v3, s23
	v_add_co_u32_e32 v4, vcc, s22, v1
	v_addc_co_u32_e32 v3, vcc, v3, v2, vcc
	v_subrev_co_u32_e32 v1, vcc, s17, v11
	v_mov_b32_e32 v2, v12
	v_lshlrev_b64 v[1:2], 1, v[1:2]
	v_mov_b32_e32 v5, s8
	v_add_co_u32_e64 v1, s[0:1], s7, v1
	v_addc_co_u32_e64 v2, s[0:1], v5, v2, s[0:1]
	v_cndmask_b32_e32 v2, v2, v3, vcc
	v_cndmask_b32_e32 v1, v1, v4, vcc
	global_load_ushort v16, v[1:2], off
.LBB2137_10:
	s_or_b64 exec, exec, s[4:5]
	v_cmp_gt_u32_e32 vcc, s9, v9
                                        ; implicit-def: $vgpr17
	s_and_saveexec_b64 s[4:5], vcc
	s_cbranch_execz .LBB2137_12
; %bb.11:
	v_mov_b32_e32 v10, 0
	v_lshlrev_b64 v[1:2], 1, v[9:10]
	v_mov_b32_e32 v3, s23
	v_add_co_u32_e32 v4, vcc, s22, v1
	v_addc_co_u32_e32 v3, vcc, v3, v2, vcc
	v_subrev_co_u32_e32 v1, vcc, s17, v9
	v_mov_b32_e32 v2, v10
	v_lshlrev_b64 v[1:2], 1, v[1:2]
	v_mov_b32_e32 v5, s8
	v_add_co_u32_e64 v1, s[0:1], s7, v1
	v_addc_co_u32_e64 v2, s[0:1], v5, v2, s[0:1]
	v_cndmask_b32_e32 v2, v2, v3, vcc
	v_cndmask_b32_e32 v1, v1, v4, vcc
	global_load_ushort v17, v[1:2], off
.LBB2137_12:
	s_or_b64 exec, exec, s[4:5]
	v_add_u32_e32 v1, v9, v18
	v_cmp_gt_u32_e64 s[0:1], s9, v1
.LBB2137_13:
                                        ; implicit-def: $vgpr19
	s_and_saveexec_b64 s[4:5], s[0:1]
	s_cbranch_execz .LBB2137_15
; %bb.14:
	v_mov_b32_e32 v2, 0
	v_lshlrev_b64 v[3:4], 1, v[1:2]
	v_mov_b32_e32 v5, s23
	v_add_co_u32_e32 v3, vcc, s22, v3
	v_addc_co_u32_e32 v4, vcc, v5, v4, vcc
	v_subrev_co_u32_e32 v1, vcc, s17, v1
	v_lshlrev_b64 v[1:2], 1, v[1:2]
	v_mov_b32_e32 v5, s8
	v_add_co_u32_e64 v1, s[0:1], s7, v1
	v_addc_co_u32_e64 v2, s[0:1], v5, v2, s[0:1]
	v_cndmask_b32_e32 v2, v2, v4, vcc
	v_cndmask_b32_e32 v1, v1, v3, vcc
	global_load_ushort v19, v[1:2], off
.LBB2137_15:
	s_or_b64 exec, exec, s[4:5]
	s_lshl_b64 s[0:1], s[20:21], 3
	s_add_u32 s7, s12, s0
	s_addc_u32 s8, s13, s1
	s_lshl_b64 s[0:1], s[2:3], 3
	s_add_u32 s4, s12, s0
	v_mov_b32_e32 v8, 0
	s_addc_u32 s5, s13, s1
	s_andn2_b64 vcc, exec, s[18:19]
	v_lshlrev_b32_e32 v14, 3, v0
	s_waitcnt vmcnt(0)
	ds_write_b16 v13, v15
	ds_write_b16 v13, v16 offset:512
	ds_write_b16 v13, v17 offset:1024
	ds_write_b16 v13, v19 offset:1536
	s_cbranch_vccnz .LBB2137_17
; %bb.16:
	v_mov_b32_e32 v1, s8
	v_add_co_u32_e32 v3, vcc, s7, v14
	v_addc_co_u32_e32 v4, vcc, 0, v1, vcc
	v_subrev_co_u32_e32 v7, vcc, s17, v0
	v_lshlrev_b64 v[1:2], 3, v[7:8]
	v_mov_b32_e32 v5, s5
	v_add_co_u32_e64 v1, s[0:1], s4, v1
	v_addc_co_u32_e64 v2, s[0:1], v5, v2, s[0:1]
	v_mov_b32_e32 v12, v8
	v_cndmask_b32_e32 v2, v2, v4, vcc
	v_cndmask_b32_e32 v1, v1, v3, vcc
	v_lshlrev_b64 v[3:4], 3, v[11:12]
	v_mov_b32_e32 v5, s8
	v_add_co_u32_e32 v6, vcc, s7, v3
	v_addc_co_u32_e32 v5, vcc, v5, v4, vcc
	v_subrev_co_u32_e32 v7, vcc, s17, v11
	v_lshlrev_b64 v[3:4], 3, v[7:8]
	v_mov_b32_e32 v7, s5
	v_add_co_u32_e64 v3, s[0:1], s4, v3
	v_addc_co_u32_e64 v4, s[0:1], v7, v4, s[0:1]
	v_mov_b32_e32 v10, v8
	v_cndmask_b32_e32 v4, v4, v5, vcc
	v_cndmask_b32_e32 v3, v3, v6, vcc
	v_lshlrev_b64 v[5:6], 3, v[9:10]
	v_mov_b32_e32 v7, s8
	v_add_co_u32_e32 v10, vcc, s7, v5
	v_addc_co_u32_e32 v12, vcc, v7, v6, vcc
	v_subrev_co_u32_e32 v7, vcc, s17, v9
	v_lshlrev_b64 v[5:6], 3, v[7:8]
	v_mov_b32_e32 v7, s5
	v_add_co_u32_e64 v5, s[0:1], s4, v5
	v_addc_co_u32_e64 v6, s[0:1], v7, v6, s[0:1]
	v_add_u32_e32 v7, v9, v18
	v_lshlrev_b64 v[20:21], 3, v[7:8]
	v_cndmask_b32_e32 v6, v6, v12, vcc
	v_cndmask_b32_e32 v5, v5, v10, vcc
	v_mov_b32_e32 v10, s8
	v_add_co_u32_e32 v12, vcc, s7, v20
	v_addc_co_u32_e32 v10, vcc, v10, v21, vcc
	v_subrev_co_u32_e32 v7, vcc, s17, v7
	v_lshlrev_b64 v[7:8], 3, v[7:8]
	v_mov_b32_e32 v20, s5
	v_add_co_u32_e64 v7, s[0:1], s4, v7
	v_addc_co_u32_e64 v8, s[0:1], v20, v8, s[0:1]
	v_cndmask_b32_e32 v8, v8, v10, vcc
	v_cndmask_b32_e32 v7, v7, v12, vcc
	global_load_dwordx2 v[1:2], v[1:2], off
	s_add_i32 s12, s17, s6
	global_load_dwordx2 v[3:4], v[3:4], off
	s_nop 0
	global_load_dwordx2 v[5:6], v[5:6], off
	s_nop 0
	global_load_dwordx2 v[7:8], v[7:8], off
	s_cbranch_execz .LBB2137_18
	s_branch .LBB2137_25
.LBB2137_17:
                                        ; implicit-def: $vgpr1_vgpr2_vgpr3_vgpr4_vgpr5_vgpr6_vgpr7_vgpr8
                                        ; implicit-def: $sgpr12
.LBB2137_18:
	s_add_i32 s12, s17, s6
	s_waitcnt vmcnt(3)
	v_mov_b32_e32 v1, 0
	v_cmp_gt_u32_e32 vcc, s12, v0
	v_mov_b32_e32 v2, v1
	s_waitcnt vmcnt(2)
	v_mov_b32_e32 v3, v1
	v_mov_b32_e32 v4, v1
	s_waitcnt vmcnt(1)
	v_mov_b32_e32 v5, v1
	;; [unrolled: 3-line block ×3, first 2 shown]
	v_mov_b32_e32 v8, v1
	s_and_saveexec_b64 s[2:3], vcc
	s_cbranch_execz .LBB2137_37
; %bb.19:
	v_mov_b32_e32 v2, s8
	v_add_co_u32_e32 v4, vcc, s7, v14
	v_addc_co_u32_e32 v5, vcc, 0, v2, vcc
	v_subrev_co_u32_e32 v2, vcc, s17, v0
	v_mov_b32_e32 v3, v1
	v_lshlrev_b64 v[2:3], 3, v[2:3]
	v_mov_b32_e32 v6, s5
	v_add_co_u32_e64 v2, s[0:1], s4, v2
	v_addc_co_u32_e64 v3, s[0:1], v6, v3, s[0:1]
	v_cndmask_b32_e32 v3, v3, v5, vcc
	v_cndmask_b32_e32 v2, v2, v4, vcc
	global_load_dwordx2 v[20:21], v[2:3], off
	v_mov_b32_e32 v22, v1
	v_mov_b32_e32 v23, v1
	;; [unrolled: 1-line block ×6, first 2 shown]
	s_waitcnt vmcnt(0)
	v_mov_b32_e32 v1, v20
	v_mov_b32_e32 v2, v21
	;; [unrolled: 1-line block ×8, first 2 shown]
	s_or_b64 exec, exec, s[2:3]
	v_cmp_gt_u32_e32 vcc, s12, v11
	s_and_saveexec_b64 s[2:3], vcc
	s_cbranch_execnz .LBB2137_38
.LBB2137_20:
	s_or_b64 exec, exec, s[2:3]
	v_cmp_gt_u32_e32 vcc, s12, v9
	s_and_saveexec_b64 s[2:3], vcc
	s_cbranch_execz .LBB2137_22
.LBB2137_21:
	v_mov_b32_e32 v10, 0
	v_lshlrev_b64 v[5:6], 3, v[9:10]
	v_mov_b32_e32 v11, s8
	v_add_co_u32_e32 v12, vcc, s7, v5
	v_addc_co_u32_e32 v11, vcc, v11, v6, vcc
	v_subrev_co_u32_e32 v5, vcc, s17, v9
	v_mov_b32_e32 v6, v10
	v_lshlrev_b64 v[5:6], 3, v[5:6]
	v_mov_b32_e32 v10, s5
	v_add_co_u32_e64 v5, s[0:1], s4, v5
	v_addc_co_u32_e64 v6, s[0:1], v10, v6, s[0:1]
	v_cndmask_b32_e32 v6, v6, v11, vcc
	v_cndmask_b32_e32 v5, v5, v12, vcc
	global_load_dwordx2 v[5:6], v[5:6], off
.LBB2137_22:
	s_or_b64 exec, exec, s[2:3]
	v_add_u32_e32 v9, v9, v18
	v_cmp_gt_u32_e32 vcc, s12, v9
	s_and_saveexec_b64 s[2:3], vcc
	s_cbranch_execz .LBB2137_24
; %bb.23:
	v_mov_b32_e32 v10, 0
	v_lshlrev_b64 v[7:8], 3, v[9:10]
	v_mov_b32_e32 v11, s8
	v_add_co_u32_e32 v12, vcc, s7, v7
	v_addc_co_u32_e32 v11, vcc, v11, v8, vcc
	v_subrev_co_u32_e32 v9, vcc, s17, v9
	v_lshlrev_b64 v[7:8], 3, v[9:10]
	v_mov_b32_e32 v9, s5
	v_add_co_u32_e64 v7, s[0:1], s4, v7
	v_addc_co_u32_e64 v8, s[0:1], v9, v8, s[0:1]
	v_cndmask_b32_e32 v8, v8, v11, vcc
	v_cndmask_b32_e32 v7, v7, v12, vcc
	global_load_dwordx2 v[7:8], v[7:8], off
.LBB2137_24:
	s_or_b64 exec, exec, s[2:3]
.LBB2137_25:
	v_lshlrev_b32_e32 v11, 2, v0
	v_min_u32_e32 v10, s12, v11
	v_sub_u32_e64 v9, v10, s6 clamp
	v_min_u32_e32 v12, s17, v10
	v_cmp_lt_u32_e32 vcc, v9, v12
	s_waitcnt vmcnt(0) lgkmcnt(0)
	s_barrier
	s_and_saveexec_b64 s[0:1], vcc
	s_cbranch_execz .LBB2137_29
; %bb.26:
	v_lshlrev_b32_e32 v18, 1, v10
	v_lshl_add_u32 v18, s17, 1, v18
	s_mov_b64 s[2:3], 0
.LBB2137_27:                            ; =>This Inner Loop Header: Depth=1
	v_add_u32_e32 v20, v12, v9
	v_lshrrev_b32_e32 v21, 1, v20
	v_not_b32_e32 v22, v21
	v_and_b32_e32 v20, -2, v20
	v_lshl_add_u32 v22, v22, 1, v18
	ds_read_u16 v20, v20
	ds_read_u16 v22, v22
	v_add_u32_e32 v23, 1, v21
	s_waitcnt lgkmcnt(0)
	v_cmp_lt_f16_e32 vcc, v22, v20
	v_cndmask_b32_e32 v12, v12, v21, vcc
	v_cndmask_b32_e32 v9, v23, v9, vcc
	v_cmp_ge_u32_e32 vcc, v9, v12
	s_or_b64 s[2:3], vcc, s[2:3]
	s_andn2_b64 exec, exec, s[2:3]
	s_cbranch_execnz .LBB2137_27
; %bb.28:
	s_or_b64 exec, exec, s[2:3]
.LBB2137_29:
	s_or_b64 exec, exec, s[0:1]
	v_sub_u32_e32 v10, v10, v9
	v_add_u32_e32 v20, s17, v10
	v_cmp_ge_u32_e32 vcc, s17, v9
	v_cmp_ge_u32_e64 s[0:1], s12, v20
	s_or_b64 s[0:1], vcc, s[0:1]
	v_mov_b32_e32 v21, 0
	v_mov_b32_e32 v18, 0
	;; [unrolled: 1-line block ×4, first 2 shown]
	s_and_saveexec_b64 s[8:9], s[0:1]
	s_cbranch_execz .LBB2137_35
; %bb.30:
	v_cmp_gt_u32_e32 vcc, s17, v9
                                        ; implicit-def: $vgpr15
	s_and_saveexec_b64 s[0:1], vcc
; %bb.31:
	v_lshlrev_b32_e32 v10, 1, v9
	ds_read_u16 v15, v10
; %bb.32:
	s_or_b64 exec, exec, s[0:1]
	v_cmp_le_u32_e64 s[0:1], s12, v20
	v_cmp_gt_u32_e64 s[2:3], s12, v20
                                        ; implicit-def: $vgpr16
	s_and_saveexec_b64 s[4:5], s[2:3]
; %bb.33:
	v_lshlrev_b32_e32 v10, 1, v20
	ds_read_u16 v16, v10
; %bb.34:
	s_or_b64 exec, exec, s[4:5]
	s_waitcnt lgkmcnt(0)
	v_cmp_nlt_f16_e64 s[2:3], v16, v15
	s_and_b64 s[2:3], vcc, s[2:3]
	s_or_b64 vcc, s[0:1], s[2:3]
	v_mov_b32_e32 v17, s12
	v_mov_b32_e32 v19, s17
	v_cndmask_b32_e32 v10, v20, v9, vcc
	v_cndmask_b32_e32 v12, v17, v19, vcc
	v_add_u32_e32 v18, 1, v10
	v_add_u32_e32 v12, -1, v12
	v_min_u32_e32 v12, v18, v12
	v_lshlrev_b32_e32 v12, 1, v12
	ds_read_u16 v12, v12
	v_cndmask_b32_e32 v9, v9, v18, vcc
	v_cndmask_b32_e32 v20, v18, v20, vcc
	v_cmp_gt_u32_e64 s[2:3], s17, v9
	v_cmp_le_u32_e64 s[0:1], s12, v20
	s_waitcnt lgkmcnt(0)
	v_cndmask_b32_e32 v21, v12, v16, vcc
	v_cndmask_b32_e32 v22, v15, v12, vcc
	v_cmp_nlt_f16_e64 s[4:5], v21, v22
	s_and_b64 s[2:3], s[2:3], s[4:5]
	s_or_b64 s[0:1], s[0:1], s[2:3]
	v_cndmask_b32_e64 v12, v20, v9, s[0:1]
	v_cndmask_b32_e64 v18, v17, v19, s[0:1]
	v_add_u32_e32 v23, 1, v12
	v_add_u32_e32 v18, -1, v18
	v_min_u32_e32 v18, v23, v18
	v_lshlrev_b32_e32 v18, 1, v18
	ds_read_u16 v18, v18
	v_cndmask_b32_e64 v9, v9, v23, s[0:1]
	v_cndmask_b32_e64 v20, v23, v20, s[0:1]
	v_cmp_gt_u32_e64 s[4:5], s17, v9
	v_cmp_le_u32_e64 s[2:3], s12, v20
	s_waitcnt lgkmcnt(0)
	v_cndmask_b32_e64 v24, v18, v21, s[0:1]
	v_cndmask_b32_e64 v25, v22, v18, s[0:1]
	v_cmp_nlt_f16_e64 s[6:7], v24, v25
	s_and_b64 s[4:5], s[4:5], s[6:7]
	s_or_b64 s[2:3], s[2:3], s[4:5]
	v_cndmask_b32_e64 v18, v20, v9, s[2:3]
	v_cndmask_b32_e64 v17, v17, v19, s[2:3]
	v_add_u32_e32 v19, 1, v18
	v_add_u32_e32 v17, -1, v17
	v_min_u32_e32 v17, v19, v17
	v_lshlrev_b32_e32 v17, 1, v17
	ds_read_u16 v23, v17
	v_cndmask_b32_e32 v15, v16, v15, vcc
	v_cndmask_b32_e64 v16, v21, v22, s[0:1]
	v_cndmask_b32_e64 v9, v9, v19, s[2:3]
	;; [unrolled: 1-line block ×3, first 2 shown]
	s_waitcnt lgkmcnt(0)
	v_cndmask_b32_e64 v22, v23, v24, s[2:3]
	v_cndmask_b32_e64 v23, v25, v23, s[2:3]
	;; [unrolled: 1-line block ×3, first 2 shown]
	v_cmp_gt_u32_e64 s[0:1], s17, v9
	v_cmp_nlt_f16_e64 s[2:3], v22, v23
	v_cmp_le_u32_e32 vcc, s12, v20
	s_and_b64 s[0:1], s[0:1], s[2:3]
	s_or_b64 vcc, vcc, s[0:1]
	v_cndmask_b32_e32 v21, v20, v9, vcc
	v_cndmask_b32_e32 v19, v22, v23, vcc
.LBB2137_35:
	s_or_b64 exec, exec, s[8:9]
	v_mad_u32_u24 v9, v0, 6, v13
	s_barrier
	ds_write2st64_b64 v9, v[1:2], v[3:4] offset1:4
	ds_write2st64_b64 v9, v[5:6], v[7:8] offset0:8 offset1:12
	v_lshrrev_b32_e32 v9, 2, v0
	v_and_b32_e32 v9, 60, v9
	s_mov_b32 s2, 0x5040100
	v_lshlrev_b32_e32 v1, 3, v10
	v_lshlrev_b32_e32 v2, 3, v12
	;; [unrolled: 1-line block ×4, first 2 shown]
	v_lshl_add_u32 v9, v11, 1, v9
	v_perm_b32 v10, v19, v17, s2
	v_perm_b32 v12, v16, v15, s2
	s_waitcnt lgkmcnt(0)
	s_barrier
	ds_read_b64 v[5:6], v1
	ds_read_b64 v[7:8], v2
	;; [unrolled: 1-line block ×4, first 2 shown]
	s_waitcnt lgkmcnt(0)
	s_barrier
	s_barrier
	ds_write2_b32 v9, v12, v10 offset1:1
	v_lshrrev_b32_e32 v9, 4, v0
	v_and_b32_e32 v9, 12, v9
	v_or_b32_e32 v22, 0x100, v0
	v_add_u32_e32 v23, v9, v13
	v_lshrrev_b32_e32 v9, 4, v22
	v_and_b32_e32 v9, 28, v9
	v_or_b32_e32 v21, 0x200, v0
	v_add_u32_e32 v24, v9, v13
	v_lshrrev_b32_e32 v9, 4, v21
	s_lshl_b64 s[0:1], s[24:25], 1
	v_and_b32_e32 v9, 44, v9
	v_or_b32_e32 v20, 0x300, v0
	s_add_u32 s0, s10, s0
	v_add_u32_e32 v25, v9, v13
	v_lshrrev_b32_e32 v9, 4, v20
	s_addc_u32 s1, s11, s1
	v_and_b32_e32 v9, 60, v9
	v_add_u32_e32 v26, v9, v13
	v_mov_b32_e32 v10, s1
	v_add_co_u32_e32 v9, vcc, s0, v13
	v_addc_co_u32_e32 v10, vcc, 0, v10, vcc
	v_lshrrev_b32_e32 v18, 3, v0
	v_lshrrev_b32_e32 v15, 5, v0
	;; [unrolled: 1-line block ×5, first 2 shown]
	s_and_b64 vcc, exec, s[18:19]
	v_lshlrev_b32_e32 v13, 3, v11
	s_waitcnt lgkmcnt(0)
	s_cbranch_vccz .LBB2137_39
; %bb.36:
	s_barrier
	ds_read_u16 v11, v23
	ds_read_u16 v12, v24 offset:512
	ds_read_u16 v27, v25 offset:1024
	;; [unrolled: 1-line block ×3, first 2 shown]
	s_lshl_b64 s[0:1], s[24:25], 3
	s_add_u32 s0, s14, s0
	s_waitcnt lgkmcnt(3)
	global_store_short v[9:10], v11, off
	s_waitcnt lgkmcnt(2)
	global_store_short v[9:10], v12, off offset:512
	s_waitcnt lgkmcnt(1)
	global_store_short v[9:10], v27, off offset:1024
	;; [unrolled: 2-line block ×3, first 2 shown]
	v_lshl_add_u32 v11, v18, 3, v13
	s_waitcnt vmcnt(0)
	s_barrier
	ds_write2_b64 v11, v[5:6], v[7:8] offset1:1
	ds_write2_b64 v11, v[1:2], v[3:4] offset0:2 offset1:3
	v_lshl_add_u32 v11, v15, 3, v14
	v_lshl_add_u32 v12, v16, 3, v14
	;; [unrolled: 1-line block ×3, first 2 shown]
	s_addc_u32 s1, s15, s1
	s_waitcnt lgkmcnt(0)
	s_barrier
	v_lshl_add_u32 v33, v19, 3, v14
	ds_read_b64 v[27:28], v11
	ds_read_b64 v[29:30], v12 offset:2048
	ds_read_b64 v[31:32], v31 offset:4096
	;; [unrolled: 1-line block ×3, first 2 shown]
	v_mov_b32_e32 v33, s1
	v_add_co_u32_e32 v34, vcc, s0, v14
	v_addc_co_u32_e32 v33, vcc, 0, v33, vcc
	s_waitcnt lgkmcnt(3)
	global_store_dwordx2 v14, v[27:28], s[0:1]
	s_waitcnt lgkmcnt(2)
	global_store_dwordx2 v14, v[29:30], s[0:1] offset:2048
	v_add_co_u32_e32 v27, vcc, 0x1000, v34
	v_addc_co_u32_e32 v28, vcc, 0, v33, vcc
	s_waitcnt lgkmcnt(1)
	global_store_dwordx2 v[27:28], v[31:32], off
	s_mov_b64 s[6:7], -1
	s_cbranch_execz .LBB2137_40
	s_branch .LBB2137_53
.LBB2137_37:
	s_or_b64 exec, exec, s[2:3]
	v_cmp_gt_u32_e32 vcc, s12, v11
	s_and_saveexec_b64 s[2:3], vcc
	s_cbranch_execz .LBB2137_20
.LBB2137_38:
	v_mov_b32_e32 v12, 0
	v_lshlrev_b64 v[3:4], 3, v[11:12]
	v_mov_b32_e32 v10, s8
	v_add_co_u32_e32 v20, vcc, s7, v3
	v_addc_co_u32_e32 v10, vcc, v10, v4, vcc
	v_subrev_co_u32_e32 v11, vcc, s17, v11
	v_lshlrev_b64 v[3:4], 3, v[11:12]
	v_mov_b32_e32 v11, s5
	v_add_co_u32_e64 v3, s[0:1], s4, v3
	v_addc_co_u32_e64 v4, s[0:1], v11, v4, s[0:1]
	v_cndmask_b32_e32 v4, v4, v10, vcc
	v_cndmask_b32_e32 v3, v3, v20, vcc
	global_load_dwordx2 v[3:4], v[3:4], off
	s_or_b64 exec, exec, s[2:3]
	v_cmp_gt_u32_e32 vcc, s12, v9
	s_and_saveexec_b64 s[2:3], vcc
	s_cbranch_execnz .LBB2137_21
	s_branch .LBB2137_22
.LBB2137_39:
	s_mov_b64 s[6:7], 0
                                        ; implicit-def: $vgpr11_vgpr12
.LBB2137_40:
	s_waitcnt vmcnt(0) lgkmcnt(0)
	s_barrier
	ds_read_u16 v24, v24 offset:512
	ds_read_u16 v12, v25 offset:1024
	;; [unrolled: 1-line block ×3, first 2 shown]
	s_sub_i32 s6, s16, s24
	v_cmp_gt_u32_e32 vcc, s6, v0
	s_and_saveexec_b64 s[0:1], vcc
	s_cbranch_execz .LBB2137_44
; %bb.41:
	ds_read_u16 v0, v23
	s_waitcnt lgkmcnt(0)
	global_store_short v[9:10], v0, off
	s_or_b64 exec, exec, s[0:1]
	v_cmp_gt_u32_e64 s[0:1], s6, v22
	s_and_saveexec_b64 s[2:3], s[0:1]
	s_cbranch_execnz .LBB2137_45
.LBB2137_42:
	s_or_b64 exec, exec, s[2:3]
	v_cmp_gt_u32_e64 s[2:3], s6, v21
	s_and_saveexec_b64 s[4:5], s[2:3]
	s_cbranch_execz .LBB2137_46
.LBB2137_43:
	s_waitcnt lgkmcnt(1)
	global_store_short v[9:10], v12, off offset:1024
	s_or_b64 exec, exec, s[4:5]
	v_cmp_gt_u32_e64 s[6:7], s6, v20
	s_and_saveexec_b64 s[4:5], s[6:7]
	s_cbranch_execnz .LBB2137_47
	s_branch .LBB2137_48
.LBB2137_44:
	s_or_b64 exec, exec, s[0:1]
	v_cmp_gt_u32_e64 s[0:1], s6, v22
	s_and_saveexec_b64 s[2:3], s[0:1]
	s_cbranch_execz .LBB2137_42
.LBB2137_45:
	s_waitcnt lgkmcnt(2)
	global_store_short v[9:10], v24, off offset:512
	s_or_b64 exec, exec, s[2:3]
	v_cmp_gt_u32_e64 s[2:3], s6, v21
	s_and_saveexec_b64 s[4:5], s[2:3]
	s_cbranch_execnz .LBB2137_43
.LBB2137_46:
	s_or_b64 exec, exec, s[4:5]
	v_cmp_gt_u32_e64 s[6:7], s6, v20
	s_and_saveexec_b64 s[4:5], s[6:7]
	s_cbranch_execz .LBB2137_48
.LBB2137_47:
	s_waitcnt lgkmcnt(0)
	global_store_short v[9:10], v11, off offset:1536
.LBB2137_48:
	s_or_b64 exec, exec, s[4:5]
	v_lshl_add_u32 v0, v18, 3, v13
	s_waitcnt vmcnt(0) lgkmcnt(0)
	s_barrier
	ds_write2_b64 v0, v[5:6], v[7:8] offset1:1
	ds_write2_b64 v0, v[1:2], v[3:4] offset0:2 offset1:3
	v_lshl_add_u32 v0, v16, 3, v14
	v_lshl_add_u32 v1, v17, 3, v14
	s_waitcnt lgkmcnt(0)
	s_barrier
	v_lshl_add_u32 v2, v19, 3, v14
	ds_read_b64 v[4:5], v0 offset:2048
	ds_read_b64 v[0:1], v1 offset:4096
	;; [unrolled: 1-line block ×3, first 2 shown]
	s_lshl_b64 s[4:5], s[24:25], 3
	s_add_u32 s4, s14, s4
	s_addc_u32 s5, s15, s5
	v_mov_b32_e32 v3, s5
	v_add_co_u32_e64 v2, s[4:5], s4, v14
	v_addc_co_u32_e64 v3, s[4:5], 0, v3, s[4:5]
	s_and_saveexec_b64 s[4:5], vcc
	s_cbranch_execz .LBB2137_56
; %bb.49:
	v_lshl_add_u32 v6, v15, 3, v14
	ds_read_b64 v[6:7], v6
	s_waitcnt lgkmcnt(0)
	global_store_dwordx2 v[2:3], v[6:7], off
	s_or_b64 exec, exec, s[4:5]
	s_and_saveexec_b64 s[4:5], s[0:1]
	s_cbranch_execnz .LBB2137_57
.LBB2137_50:
	s_or_b64 exec, exec, s[4:5]
	s_and_saveexec_b64 s[0:1], s[2:3]
	s_cbranch_execz .LBB2137_52
.LBB2137_51:
	v_add_co_u32_e32 v2, vcc, 0x1000, v2
	v_addc_co_u32_e32 v3, vcc, 0, v3, vcc
	s_waitcnt lgkmcnt(1)
	global_store_dwordx2 v[2:3], v[0:1], off
.LBB2137_52:
	s_or_b64 exec, exec, s[0:1]
.LBB2137_53:
	s_and_saveexec_b64 s[0:1], s[6:7]
	s_cbranch_execz .LBB2137_55
; %bb.54:
	s_lshl_b64 s[0:1], s[24:25], 3
	s_add_u32 s0, s14, s0
	s_addc_u32 s1, s15, s1
	s_waitcnt lgkmcnt(1)
	v_mov_b32_e32 v0, s1
	v_add_co_u32_e32 v1, vcc, s0, v14
	v_addc_co_u32_e32 v2, vcc, 0, v0, vcc
	v_add_co_u32_e32 v0, vcc, 0x1000, v1
	v_addc_co_u32_e32 v1, vcc, 0, v2, vcc
	s_waitcnt lgkmcnt(0)
	global_store_dwordx2 v[0:1], v[11:12], off offset:2048
.LBB2137_55:
	s_endpgm
.LBB2137_56:
	s_or_b64 exec, exec, s[4:5]
	s_and_saveexec_b64 s[4:5], s[0:1]
	s_cbranch_execz .LBB2137_50
.LBB2137_57:
	s_waitcnt lgkmcnt(2)
	global_store_dwordx2 v[2:3], v[4:5], off offset:2048
	s_or_b64 exec, exec, s[4:5]
	s_and_saveexec_b64 s[0:1], s[2:3]
	s_cbranch_execnz .LBB2137_51
	s_branch .LBB2137_52
	.section	.rodata,"a",@progbits
	.p2align	6, 0x0
	.amdhsa_kernel _ZN7rocprim17ROCPRIM_400000_NS6detail17trampoline_kernelINS0_14default_configENS1_38merge_sort_block_merge_config_selectorIN3c104HalfElEEZZNS1_27merge_sort_block_merge_implIS3_PS6_N6thrust23THRUST_200600_302600_NS10device_ptrIlEEmNSB_4lessIS6_EEEE10hipError_tT0_T1_T2_jT3_P12ihipStream_tbPNSt15iterator_traitsISH_E10value_typeEPNSN_ISI_E10value_typeEPSJ_NS1_7vsmem_tEENKUlT_SH_SI_SJ_E_clIS9_S9_PlSD_EESG_SW_SH_SI_SJ_EUlSW_E0_NS1_11comp_targetILNS1_3genE2ELNS1_11target_archE906ELNS1_3gpuE6ELNS1_3repE0EEENS1_38merge_mergepath_config_static_selectorELNS0_4arch9wavefront6targetE1EEEvSI_
		.amdhsa_group_segment_fixed_size 8448
		.amdhsa_private_segment_fixed_size 0
		.amdhsa_kernarg_size 328
		.amdhsa_user_sgpr_count 6
		.amdhsa_user_sgpr_private_segment_buffer 1
		.amdhsa_user_sgpr_dispatch_ptr 0
		.amdhsa_user_sgpr_queue_ptr 0
		.amdhsa_user_sgpr_kernarg_segment_ptr 1
		.amdhsa_user_sgpr_dispatch_id 0
		.amdhsa_user_sgpr_flat_scratch_init 0
		.amdhsa_user_sgpr_private_segment_size 0
		.amdhsa_uses_dynamic_stack 0
		.amdhsa_system_sgpr_private_segment_wavefront_offset 0
		.amdhsa_system_sgpr_workgroup_id_x 1
		.amdhsa_system_sgpr_workgroup_id_y 1
		.amdhsa_system_sgpr_workgroup_id_z 1
		.amdhsa_system_sgpr_workgroup_info 0
		.amdhsa_system_vgpr_workitem_id 0
		.amdhsa_next_free_vgpr 35
		.amdhsa_next_free_sgpr 77
		.amdhsa_reserve_vcc 1
		.amdhsa_reserve_flat_scratch 0
		.amdhsa_float_round_mode_32 0
		.amdhsa_float_round_mode_16_64 0
		.amdhsa_float_denorm_mode_32 3
		.amdhsa_float_denorm_mode_16_64 3
		.amdhsa_dx10_clamp 1
		.amdhsa_ieee_mode 1
		.amdhsa_fp16_overflow 0
		.amdhsa_exception_fp_ieee_invalid_op 0
		.amdhsa_exception_fp_denorm_src 0
		.amdhsa_exception_fp_ieee_div_zero 0
		.amdhsa_exception_fp_ieee_overflow 0
		.amdhsa_exception_fp_ieee_underflow 0
		.amdhsa_exception_fp_ieee_inexact 0
		.amdhsa_exception_int_div_zero 0
	.end_amdhsa_kernel
	.section	.text._ZN7rocprim17ROCPRIM_400000_NS6detail17trampoline_kernelINS0_14default_configENS1_38merge_sort_block_merge_config_selectorIN3c104HalfElEEZZNS1_27merge_sort_block_merge_implIS3_PS6_N6thrust23THRUST_200600_302600_NS10device_ptrIlEEmNSB_4lessIS6_EEEE10hipError_tT0_T1_T2_jT3_P12ihipStream_tbPNSt15iterator_traitsISH_E10value_typeEPNSN_ISI_E10value_typeEPSJ_NS1_7vsmem_tEENKUlT_SH_SI_SJ_E_clIS9_S9_PlSD_EESG_SW_SH_SI_SJ_EUlSW_E0_NS1_11comp_targetILNS1_3genE2ELNS1_11target_archE906ELNS1_3gpuE6ELNS1_3repE0EEENS1_38merge_mergepath_config_static_selectorELNS0_4arch9wavefront6targetE1EEEvSI_,"axG",@progbits,_ZN7rocprim17ROCPRIM_400000_NS6detail17trampoline_kernelINS0_14default_configENS1_38merge_sort_block_merge_config_selectorIN3c104HalfElEEZZNS1_27merge_sort_block_merge_implIS3_PS6_N6thrust23THRUST_200600_302600_NS10device_ptrIlEEmNSB_4lessIS6_EEEE10hipError_tT0_T1_T2_jT3_P12ihipStream_tbPNSt15iterator_traitsISH_E10value_typeEPNSN_ISI_E10value_typeEPSJ_NS1_7vsmem_tEENKUlT_SH_SI_SJ_E_clIS9_S9_PlSD_EESG_SW_SH_SI_SJ_EUlSW_E0_NS1_11comp_targetILNS1_3genE2ELNS1_11target_archE906ELNS1_3gpuE6ELNS1_3repE0EEENS1_38merge_mergepath_config_static_selectorELNS0_4arch9wavefront6targetE1EEEvSI_,comdat
.Lfunc_end2137:
	.size	_ZN7rocprim17ROCPRIM_400000_NS6detail17trampoline_kernelINS0_14default_configENS1_38merge_sort_block_merge_config_selectorIN3c104HalfElEEZZNS1_27merge_sort_block_merge_implIS3_PS6_N6thrust23THRUST_200600_302600_NS10device_ptrIlEEmNSB_4lessIS6_EEEE10hipError_tT0_T1_T2_jT3_P12ihipStream_tbPNSt15iterator_traitsISH_E10value_typeEPNSN_ISI_E10value_typeEPSJ_NS1_7vsmem_tEENKUlT_SH_SI_SJ_E_clIS9_S9_PlSD_EESG_SW_SH_SI_SJ_EUlSW_E0_NS1_11comp_targetILNS1_3genE2ELNS1_11target_archE906ELNS1_3gpuE6ELNS1_3repE0EEENS1_38merge_mergepath_config_static_selectorELNS0_4arch9wavefront6targetE1EEEvSI_, .Lfunc_end2137-_ZN7rocprim17ROCPRIM_400000_NS6detail17trampoline_kernelINS0_14default_configENS1_38merge_sort_block_merge_config_selectorIN3c104HalfElEEZZNS1_27merge_sort_block_merge_implIS3_PS6_N6thrust23THRUST_200600_302600_NS10device_ptrIlEEmNSB_4lessIS6_EEEE10hipError_tT0_T1_T2_jT3_P12ihipStream_tbPNSt15iterator_traitsISH_E10value_typeEPNSN_ISI_E10value_typeEPSJ_NS1_7vsmem_tEENKUlT_SH_SI_SJ_E_clIS9_S9_PlSD_EESG_SW_SH_SI_SJ_EUlSW_E0_NS1_11comp_targetILNS1_3genE2ELNS1_11target_archE906ELNS1_3gpuE6ELNS1_3repE0EEENS1_38merge_mergepath_config_static_selectorELNS0_4arch9wavefront6targetE1EEEvSI_
                                        ; -- End function
	.set _ZN7rocprim17ROCPRIM_400000_NS6detail17trampoline_kernelINS0_14default_configENS1_38merge_sort_block_merge_config_selectorIN3c104HalfElEEZZNS1_27merge_sort_block_merge_implIS3_PS6_N6thrust23THRUST_200600_302600_NS10device_ptrIlEEmNSB_4lessIS6_EEEE10hipError_tT0_T1_T2_jT3_P12ihipStream_tbPNSt15iterator_traitsISH_E10value_typeEPNSN_ISI_E10value_typeEPSJ_NS1_7vsmem_tEENKUlT_SH_SI_SJ_E_clIS9_S9_PlSD_EESG_SW_SH_SI_SJ_EUlSW_E0_NS1_11comp_targetILNS1_3genE2ELNS1_11target_archE906ELNS1_3gpuE6ELNS1_3repE0EEENS1_38merge_mergepath_config_static_selectorELNS0_4arch9wavefront6targetE1EEEvSI_.num_vgpr, 35
	.set _ZN7rocprim17ROCPRIM_400000_NS6detail17trampoline_kernelINS0_14default_configENS1_38merge_sort_block_merge_config_selectorIN3c104HalfElEEZZNS1_27merge_sort_block_merge_implIS3_PS6_N6thrust23THRUST_200600_302600_NS10device_ptrIlEEmNSB_4lessIS6_EEEE10hipError_tT0_T1_T2_jT3_P12ihipStream_tbPNSt15iterator_traitsISH_E10value_typeEPNSN_ISI_E10value_typeEPSJ_NS1_7vsmem_tEENKUlT_SH_SI_SJ_E_clIS9_S9_PlSD_EESG_SW_SH_SI_SJ_EUlSW_E0_NS1_11comp_targetILNS1_3genE2ELNS1_11target_archE906ELNS1_3gpuE6ELNS1_3repE0EEENS1_38merge_mergepath_config_static_selectorELNS0_4arch9wavefront6targetE1EEEvSI_.num_agpr, 0
	.set _ZN7rocprim17ROCPRIM_400000_NS6detail17trampoline_kernelINS0_14default_configENS1_38merge_sort_block_merge_config_selectorIN3c104HalfElEEZZNS1_27merge_sort_block_merge_implIS3_PS6_N6thrust23THRUST_200600_302600_NS10device_ptrIlEEmNSB_4lessIS6_EEEE10hipError_tT0_T1_T2_jT3_P12ihipStream_tbPNSt15iterator_traitsISH_E10value_typeEPNSN_ISI_E10value_typeEPSJ_NS1_7vsmem_tEENKUlT_SH_SI_SJ_E_clIS9_S9_PlSD_EESG_SW_SH_SI_SJ_EUlSW_E0_NS1_11comp_targetILNS1_3genE2ELNS1_11target_archE906ELNS1_3gpuE6ELNS1_3repE0EEENS1_38merge_mergepath_config_static_selectorELNS0_4arch9wavefront6targetE1EEEvSI_.numbered_sgpr, 37
	.set _ZN7rocprim17ROCPRIM_400000_NS6detail17trampoline_kernelINS0_14default_configENS1_38merge_sort_block_merge_config_selectorIN3c104HalfElEEZZNS1_27merge_sort_block_merge_implIS3_PS6_N6thrust23THRUST_200600_302600_NS10device_ptrIlEEmNSB_4lessIS6_EEEE10hipError_tT0_T1_T2_jT3_P12ihipStream_tbPNSt15iterator_traitsISH_E10value_typeEPNSN_ISI_E10value_typeEPSJ_NS1_7vsmem_tEENKUlT_SH_SI_SJ_E_clIS9_S9_PlSD_EESG_SW_SH_SI_SJ_EUlSW_E0_NS1_11comp_targetILNS1_3genE2ELNS1_11target_archE906ELNS1_3gpuE6ELNS1_3repE0EEENS1_38merge_mergepath_config_static_selectorELNS0_4arch9wavefront6targetE1EEEvSI_.num_named_barrier, 0
	.set _ZN7rocprim17ROCPRIM_400000_NS6detail17trampoline_kernelINS0_14default_configENS1_38merge_sort_block_merge_config_selectorIN3c104HalfElEEZZNS1_27merge_sort_block_merge_implIS3_PS6_N6thrust23THRUST_200600_302600_NS10device_ptrIlEEmNSB_4lessIS6_EEEE10hipError_tT0_T1_T2_jT3_P12ihipStream_tbPNSt15iterator_traitsISH_E10value_typeEPNSN_ISI_E10value_typeEPSJ_NS1_7vsmem_tEENKUlT_SH_SI_SJ_E_clIS9_S9_PlSD_EESG_SW_SH_SI_SJ_EUlSW_E0_NS1_11comp_targetILNS1_3genE2ELNS1_11target_archE906ELNS1_3gpuE6ELNS1_3repE0EEENS1_38merge_mergepath_config_static_selectorELNS0_4arch9wavefront6targetE1EEEvSI_.private_seg_size, 0
	.set _ZN7rocprim17ROCPRIM_400000_NS6detail17trampoline_kernelINS0_14default_configENS1_38merge_sort_block_merge_config_selectorIN3c104HalfElEEZZNS1_27merge_sort_block_merge_implIS3_PS6_N6thrust23THRUST_200600_302600_NS10device_ptrIlEEmNSB_4lessIS6_EEEE10hipError_tT0_T1_T2_jT3_P12ihipStream_tbPNSt15iterator_traitsISH_E10value_typeEPNSN_ISI_E10value_typeEPSJ_NS1_7vsmem_tEENKUlT_SH_SI_SJ_E_clIS9_S9_PlSD_EESG_SW_SH_SI_SJ_EUlSW_E0_NS1_11comp_targetILNS1_3genE2ELNS1_11target_archE906ELNS1_3gpuE6ELNS1_3repE0EEENS1_38merge_mergepath_config_static_selectorELNS0_4arch9wavefront6targetE1EEEvSI_.uses_vcc, 1
	.set _ZN7rocprim17ROCPRIM_400000_NS6detail17trampoline_kernelINS0_14default_configENS1_38merge_sort_block_merge_config_selectorIN3c104HalfElEEZZNS1_27merge_sort_block_merge_implIS3_PS6_N6thrust23THRUST_200600_302600_NS10device_ptrIlEEmNSB_4lessIS6_EEEE10hipError_tT0_T1_T2_jT3_P12ihipStream_tbPNSt15iterator_traitsISH_E10value_typeEPNSN_ISI_E10value_typeEPSJ_NS1_7vsmem_tEENKUlT_SH_SI_SJ_E_clIS9_S9_PlSD_EESG_SW_SH_SI_SJ_EUlSW_E0_NS1_11comp_targetILNS1_3genE2ELNS1_11target_archE906ELNS1_3gpuE6ELNS1_3repE0EEENS1_38merge_mergepath_config_static_selectorELNS0_4arch9wavefront6targetE1EEEvSI_.uses_flat_scratch, 0
	.set _ZN7rocprim17ROCPRIM_400000_NS6detail17trampoline_kernelINS0_14default_configENS1_38merge_sort_block_merge_config_selectorIN3c104HalfElEEZZNS1_27merge_sort_block_merge_implIS3_PS6_N6thrust23THRUST_200600_302600_NS10device_ptrIlEEmNSB_4lessIS6_EEEE10hipError_tT0_T1_T2_jT3_P12ihipStream_tbPNSt15iterator_traitsISH_E10value_typeEPNSN_ISI_E10value_typeEPSJ_NS1_7vsmem_tEENKUlT_SH_SI_SJ_E_clIS9_S9_PlSD_EESG_SW_SH_SI_SJ_EUlSW_E0_NS1_11comp_targetILNS1_3genE2ELNS1_11target_archE906ELNS1_3gpuE6ELNS1_3repE0EEENS1_38merge_mergepath_config_static_selectorELNS0_4arch9wavefront6targetE1EEEvSI_.has_dyn_sized_stack, 0
	.set _ZN7rocprim17ROCPRIM_400000_NS6detail17trampoline_kernelINS0_14default_configENS1_38merge_sort_block_merge_config_selectorIN3c104HalfElEEZZNS1_27merge_sort_block_merge_implIS3_PS6_N6thrust23THRUST_200600_302600_NS10device_ptrIlEEmNSB_4lessIS6_EEEE10hipError_tT0_T1_T2_jT3_P12ihipStream_tbPNSt15iterator_traitsISH_E10value_typeEPNSN_ISI_E10value_typeEPSJ_NS1_7vsmem_tEENKUlT_SH_SI_SJ_E_clIS9_S9_PlSD_EESG_SW_SH_SI_SJ_EUlSW_E0_NS1_11comp_targetILNS1_3genE2ELNS1_11target_archE906ELNS1_3gpuE6ELNS1_3repE0EEENS1_38merge_mergepath_config_static_selectorELNS0_4arch9wavefront6targetE1EEEvSI_.has_recursion, 0
	.set _ZN7rocprim17ROCPRIM_400000_NS6detail17trampoline_kernelINS0_14default_configENS1_38merge_sort_block_merge_config_selectorIN3c104HalfElEEZZNS1_27merge_sort_block_merge_implIS3_PS6_N6thrust23THRUST_200600_302600_NS10device_ptrIlEEmNSB_4lessIS6_EEEE10hipError_tT0_T1_T2_jT3_P12ihipStream_tbPNSt15iterator_traitsISH_E10value_typeEPNSN_ISI_E10value_typeEPSJ_NS1_7vsmem_tEENKUlT_SH_SI_SJ_E_clIS9_S9_PlSD_EESG_SW_SH_SI_SJ_EUlSW_E0_NS1_11comp_targetILNS1_3genE2ELNS1_11target_archE906ELNS1_3gpuE6ELNS1_3repE0EEENS1_38merge_mergepath_config_static_selectorELNS0_4arch9wavefront6targetE1EEEvSI_.has_indirect_call, 0
	.section	.AMDGPU.csdata,"",@progbits
; Kernel info:
; codeLenInByte = 3612
; TotalNumSgprs: 41
; NumVgprs: 35
; ScratchSize: 0
; MemoryBound: 0
; FloatMode: 240
; IeeeMode: 1
; LDSByteSize: 8448 bytes/workgroup (compile time only)
; SGPRBlocks: 10
; VGPRBlocks: 8
; NumSGPRsForWavesPerEU: 81
; NumVGPRsForWavesPerEU: 35
; Occupancy: 7
; WaveLimiterHint : 1
; COMPUTE_PGM_RSRC2:SCRATCH_EN: 0
; COMPUTE_PGM_RSRC2:USER_SGPR: 6
; COMPUTE_PGM_RSRC2:TRAP_HANDLER: 0
; COMPUTE_PGM_RSRC2:TGID_X_EN: 1
; COMPUTE_PGM_RSRC2:TGID_Y_EN: 1
; COMPUTE_PGM_RSRC2:TGID_Z_EN: 1
; COMPUTE_PGM_RSRC2:TIDIG_COMP_CNT: 0
	.section	.text._ZN7rocprim17ROCPRIM_400000_NS6detail17trampoline_kernelINS0_14default_configENS1_38merge_sort_block_merge_config_selectorIN3c104HalfElEEZZNS1_27merge_sort_block_merge_implIS3_PS6_N6thrust23THRUST_200600_302600_NS10device_ptrIlEEmNSB_4lessIS6_EEEE10hipError_tT0_T1_T2_jT3_P12ihipStream_tbPNSt15iterator_traitsISH_E10value_typeEPNSN_ISI_E10value_typeEPSJ_NS1_7vsmem_tEENKUlT_SH_SI_SJ_E_clIS9_S9_PlSD_EESG_SW_SH_SI_SJ_EUlSW_E0_NS1_11comp_targetILNS1_3genE9ELNS1_11target_archE1100ELNS1_3gpuE3ELNS1_3repE0EEENS1_38merge_mergepath_config_static_selectorELNS0_4arch9wavefront6targetE1EEEvSI_,"axG",@progbits,_ZN7rocprim17ROCPRIM_400000_NS6detail17trampoline_kernelINS0_14default_configENS1_38merge_sort_block_merge_config_selectorIN3c104HalfElEEZZNS1_27merge_sort_block_merge_implIS3_PS6_N6thrust23THRUST_200600_302600_NS10device_ptrIlEEmNSB_4lessIS6_EEEE10hipError_tT0_T1_T2_jT3_P12ihipStream_tbPNSt15iterator_traitsISH_E10value_typeEPNSN_ISI_E10value_typeEPSJ_NS1_7vsmem_tEENKUlT_SH_SI_SJ_E_clIS9_S9_PlSD_EESG_SW_SH_SI_SJ_EUlSW_E0_NS1_11comp_targetILNS1_3genE9ELNS1_11target_archE1100ELNS1_3gpuE3ELNS1_3repE0EEENS1_38merge_mergepath_config_static_selectorELNS0_4arch9wavefront6targetE1EEEvSI_,comdat
	.protected	_ZN7rocprim17ROCPRIM_400000_NS6detail17trampoline_kernelINS0_14default_configENS1_38merge_sort_block_merge_config_selectorIN3c104HalfElEEZZNS1_27merge_sort_block_merge_implIS3_PS6_N6thrust23THRUST_200600_302600_NS10device_ptrIlEEmNSB_4lessIS6_EEEE10hipError_tT0_T1_T2_jT3_P12ihipStream_tbPNSt15iterator_traitsISH_E10value_typeEPNSN_ISI_E10value_typeEPSJ_NS1_7vsmem_tEENKUlT_SH_SI_SJ_E_clIS9_S9_PlSD_EESG_SW_SH_SI_SJ_EUlSW_E0_NS1_11comp_targetILNS1_3genE9ELNS1_11target_archE1100ELNS1_3gpuE3ELNS1_3repE0EEENS1_38merge_mergepath_config_static_selectorELNS0_4arch9wavefront6targetE1EEEvSI_ ; -- Begin function _ZN7rocprim17ROCPRIM_400000_NS6detail17trampoline_kernelINS0_14default_configENS1_38merge_sort_block_merge_config_selectorIN3c104HalfElEEZZNS1_27merge_sort_block_merge_implIS3_PS6_N6thrust23THRUST_200600_302600_NS10device_ptrIlEEmNSB_4lessIS6_EEEE10hipError_tT0_T1_T2_jT3_P12ihipStream_tbPNSt15iterator_traitsISH_E10value_typeEPNSN_ISI_E10value_typeEPSJ_NS1_7vsmem_tEENKUlT_SH_SI_SJ_E_clIS9_S9_PlSD_EESG_SW_SH_SI_SJ_EUlSW_E0_NS1_11comp_targetILNS1_3genE9ELNS1_11target_archE1100ELNS1_3gpuE3ELNS1_3repE0EEENS1_38merge_mergepath_config_static_selectorELNS0_4arch9wavefront6targetE1EEEvSI_
	.globl	_ZN7rocprim17ROCPRIM_400000_NS6detail17trampoline_kernelINS0_14default_configENS1_38merge_sort_block_merge_config_selectorIN3c104HalfElEEZZNS1_27merge_sort_block_merge_implIS3_PS6_N6thrust23THRUST_200600_302600_NS10device_ptrIlEEmNSB_4lessIS6_EEEE10hipError_tT0_T1_T2_jT3_P12ihipStream_tbPNSt15iterator_traitsISH_E10value_typeEPNSN_ISI_E10value_typeEPSJ_NS1_7vsmem_tEENKUlT_SH_SI_SJ_E_clIS9_S9_PlSD_EESG_SW_SH_SI_SJ_EUlSW_E0_NS1_11comp_targetILNS1_3genE9ELNS1_11target_archE1100ELNS1_3gpuE3ELNS1_3repE0EEENS1_38merge_mergepath_config_static_selectorELNS0_4arch9wavefront6targetE1EEEvSI_
	.p2align	8
	.type	_ZN7rocprim17ROCPRIM_400000_NS6detail17trampoline_kernelINS0_14default_configENS1_38merge_sort_block_merge_config_selectorIN3c104HalfElEEZZNS1_27merge_sort_block_merge_implIS3_PS6_N6thrust23THRUST_200600_302600_NS10device_ptrIlEEmNSB_4lessIS6_EEEE10hipError_tT0_T1_T2_jT3_P12ihipStream_tbPNSt15iterator_traitsISH_E10value_typeEPNSN_ISI_E10value_typeEPSJ_NS1_7vsmem_tEENKUlT_SH_SI_SJ_E_clIS9_S9_PlSD_EESG_SW_SH_SI_SJ_EUlSW_E0_NS1_11comp_targetILNS1_3genE9ELNS1_11target_archE1100ELNS1_3gpuE3ELNS1_3repE0EEENS1_38merge_mergepath_config_static_selectorELNS0_4arch9wavefront6targetE1EEEvSI_,@function
_ZN7rocprim17ROCPRIM_400000_NS6detail17trampoline_kernelINS0_14default_configENS1_38merge_sort_block_merge_config_selectorIN3c104HalfElEEZZNS1_27merge_sort_block_merge_implIS3_PS6_N6thrust23THRUST_200600_302600_NS10device_ptrIlEEmNSB_4lessIS6_EEEE10hipError_tT0_T1_T2_jT3_P12ihipStream_tbPNSt15iterator_traitsISH_E10value_typeEPNSN_ISI_E10value_typeEPSJ_NS1_7vsmem_tEENKUlT_SH_SI_SJ_E_clIS9_S9_PlSD_EESG_SW_SH_SI_SJ_EUlSW_E0_NS1_11comp_targetILNS1_3genE9ELNS1_11target_archE1100ELNS1_3gpuE3ELNS1_3repE0EEENS1_38merge_mergepath_config_static_selectorELNS0_4arch9wavefront6targetE1EEEvSI_: ; @_ZN7rocprim17ROCPRIM_400000_NS6detail17trampoline_kernelINS0_14default_configENS1_38merge_sort_block_merge_config_selectorIN3c104HalfElEEZZNS1_27merge_sort_block_merge_implIS3_PS6_N6thrust23THRUST_200600_302600_NS10device_ptrIlEEmNSB_4lessIS6_EEEE10hipError_tT0_T1_T2_jT3_P12ihipStream_tbPNSt15iterator_traitsISH_E10value_typeEPNSN_ISI_E10value_typeEPSJ_NS1_7vsmem_tEENKUlT_SH_SI_SJ_E_clIS9_S9_PlSD_EESG_SW_SH_SI_SJ_EUlSW_E0_NS1_11comp_targetILNS1_3genE9ELNS1_11target_archE1100ELNS1_3gpuE3ELNS1_3repE0EEENS1_38merge_mergepath_config_static_selectorELNS0_4arch9wavefront6targetE1EEEvSI_
; %bb.0:
	.section	.rodata,"a",@progbits
	.p2align	6, 0x0
	.amdhsa_kernel _ZN7rocprim17ROCPRIM_400000_NS6detail17trampoline_kernelINS0_14default_configENS1_38merge_sort_block_merge_config_selectorIN3c104HalfElEEZZNS1_27merge_sort_block_merge_implIS3_PS6_N6thrust23THRUST_200600_302600_NS10device_ptrIlEEmNSB_4lessIS6_EEEE10hipError_tT0_T1_T2_jT3_P12ihipStream_tbPNSt15iterator_traitsISH_E10value_typeEPNSN_ISI_E10value_typeEPSJ_NS1_7vsmem_tEENKUlT_SH_SI_SJ_E_clIS9_S9_PlSD_EESG_SW_SH_SI_SJ_EUlSW_E0_NS1_11comp_targetILNS1_3genE9ELNS1_11target_archE1100ELNS1_3gpuE3ELNS1_3repE0EEENS1_38merge_mergepath_config_static_selectorELNS0_4arch9wavefront6targetE1EEEvSI_
		.amdhsa_group_segment_fixed_size 0
		.amdhsa_private_segment_fixed_size 0
		.amdhsa_kernarg_size 72
		.amdhsa_user_sgpr_count 6
		.amdhsa_user_sgpr_private_segment_buffer 1
		.amdhsa_user_sgpr_dispatch_ptr 0
		.amdhsa_user_sgpr_queue_ptr 0
		.amdhsa_user_sgpr_kernarg_segment_ptr 1
		.amdhsa_user_sgpr_dispatch_id 0
		.amdhsa_user_sgpr_flat_scratch_init 0
		.amdhsa_user_sgpr_private_segment_size 0
		.amdhsa_uses_dynamic_stack 0
		.amdhsa_system_sgpr_private_segment_wavefront_offset 0
		.amdhsa_system_sgpr_workgroup_id_x 1
		.amdhsa_system_sgpr_workgroup_id_y 0
		.amdhsa_system_sgpr_workgroup_id_z 0
		.amdhsa_system_sgpr_workgroup_info 0
		.amdhsa_system_vgpr_workitem_id 0
		.amdhsa_next_free_vgpr 1
		.amdhsa_next_free_sgpr 0
		.amdhsa_reserve_vcc 0
		.amdhsa_reserve_flat_scratch 0
		.amdhsa_float_round_mode_32 0
		.amdhsa_float_round_mode_16_64 0
		.amdhsa_float_denorm_mode_32 3
		.amdhsa_float_denorm_mode_16_64 3
		.amdhsa_dx10_clamp 1
		.amdhsa_ieee_mode 1
		.amdhsa_fp16_overflow 0
		.amdhsa_exception_fp_ieee_invalid_op 0
		.amdhsa_exception_fp_denorm_src 0
		.amdhsa_exception_fp_ieee_div_zero 0
		.amdhsa_exception_fp_ieee_overflow 0
		.amdhsa_exception_fp_ieee_underflow 0
		.amdhsa_exception_fp_ieee_inexact 0
		.amdhsa_exception_int_div_zero 0
	.end_amdhsa_kernel
	.section	.text._ZN7rocprim17ROCPRIM_400000_NS6detail17trampoline_kernelINS0_14default_configENS1_38merge_sort_block_merge_config_selectorIN3c104HalfElEEZZNS1_27merge_sort_block_merge_implIS3_PS6_N6thrust23THRUST_200600_302600_NS10device_ptrIlEEmNSB_4lessIS6_EEEE10hipError_tT0_T1_T2_jT3_P12ihipStream_tbPNSt15iterator_traitsISH_E10value_typeEPNSN_ISI_E10value_typeEPSJ_NS1_7vsmem_tEENKUlT_SH_SI_SJ_E_clIS9_S9_PlSD_EESG_SW_SH_SI_SJ_EUlSW_E0_NS1_11comp_targetILNS1_3genE9ELNS1_11target_archE1100ELNS1_3gpuE3ELNS1_3repE0EEENS1_38merge_mergepath_config_static_selectorELNS0_4arch9wavefront6targetE1EEEvSI_,"axG",@progbits,_ZN7rocprim17ROCPRIM_400000_NS6detail17trampoline_kernelINS0_14default_configENS1_38merge_sort_block_merge_config_selectorIN3c104HalfElEEZZNS1_27merge_sort_block_merge_implIS3_PS6_N6thrust23THRUST_200600_302600_NS10device_ptrIlEEmNSB_4lessIS6_EEEE10hipError_tT0_T1_T2_jT3_P12ihipStream_tbPNSt15iterator_traitsISH_E10value_typeEPNSN_ISI_E10value_typeEPSJ_NS1_7vsmem_tEENKUlT_SH_SI_SJ_E_clIS9_S9_PlSD_EESG_SW_SH_SI_SJ_EUlSW_E0_NS1_11comp_targetILNS1_3genE9ELNS1_11target_archE1100ELNS1_3gpuE3ELNS1_3repE0EEENS1_38merge_mergepath_config_static_selectorELNS0_4arch9wavefront6targetE1EEEvSI_,comdat
.Lfunc_end2138:
	.size	_ZN7rocprim17ROCPRIM_400000_NS6detail17trampoline_kernelINS0_14default_configENS1_38merge_sort_block_merge_config_selectorIN3c104HalfElEEZZNS1_27merge_sort_block_merge_implIS3_PS6_N6thrust23THRUST_200600_302600_NS10device_ptrIlEEmNSB_4lessIS6_EEEE10hipError_tT0_T1_T2_jT3_P12ihipStream_tbPNSt15iterator_traitsISH_E10value_typeEPNSN_ISI_E10value_typeEPSJ_NS1_7vsmem_tEENKUlT_SH_SI_SJ_E_clIS9_S9_PlSD_EESG_SW_SH_SI_SJ_EUlSW_E0_NS1_11comp_targetILNS1_3genE9ELNS1_11target_archE1100ELNS1_3gpuE3ELNS1_3repE0EEENS1_38merge_mergepath_config_static_selectorELNS0_4arch9wavefront6targetE1EEEvSI_, .Lfunc_end2138-_ZN7rocprim17ROCPRIM_400000_NS6detail17trampoline_kernelINS0_14default_configENS1_38merge_sort_block_merge_config_selectorIN3c104HalfElEEZZNS1_27merge_sort_block_merge_implIS3_PS6_N6thrust23THRUST_200600_302600_NS10device_ptrIlEEmNSB_4lessIS6_EEEE10hipError_tT0_T1_T2_jT3_P12ihipStream_tbPNSt15iterator_traitsISH_E10value_typeEPNSN_ISI_E10value_typeEPSJ_NS1_7vsmem_tEENKUlT_SH_SI_SJ_E_clIS9_S9_PlSD_EESG_SW_SH_SI_SJ_EUlSW_E0_NS1_11comp_targetILNS1_3genE9ELNS1_11target_archE1100ELNS1_3gpuE3ELNS1_3repE0EEENS1_38merge_mergepath_config_static_selectorELNS0_4arch9wavefront6targetE1EEEvSI_
                                        ; -- End function
	.set _ZN7rocprim17ROCPRIM_400000_NS6detail17trampoline_kernelINS0_14default_configENS1_38merge_sort_block_merge_config_selectorIN3c104HalfElEEZZNS1_27merge_sort_block_merge_implIS3_PS6_N6thrust23THRUST_200600_302600_NS10device_ptrIlEEmNSB_4lessIS6_EEEE10hipError_tT0_T1_T2_jT3_P12ihipStream_tbPNSt15iterator_traitsISH_E10value_typeEPNSN_ISI_E10value_typeEPSJ_NS1_7vsmem_tEENKUlT_SH_SI_SJ_E_clIS9_S9_PlSD_EESG_SW_SH_SI_SJ_EUlSW_E0_NS1_11comp_targetILNS1_3genE9ELNS1_11target_archE1100ELNS1_3gpuE3ELNS1_3repE0EEENS1_38merge_mergepath_config_static_selectorELNS0_4arch9wavefront6targetE1EEEvSI_.num_vgpr, 0
	.set _ZN7rocprim17ROCPRIM_400000_NS6detail17trampoline_kernelINS0_14default_configENS1_38merge_sort_block_merge_config_selectorIN3c104HalfElEEZZNS1_27merge_sort_block_merge_implIS3_PS6_N6thrust23THRUST_200600_302600_NS10device_ptrIlEEmNSB_4lessIS6_EEEE10hipError_tT0_T1_T2_jT3_P12ihipStream_tbPNSt15iterator_traitsISH_E10value_typeEPNSN_ISI_E10value_typeEPSJ_NS1_7vsmem_tEENKUlT_SH_SI_SJ_E_clIS9_S9_PlSD_EESG_SW_SH_SI_SJ_EUlSW_E0_NS1_11comp_targetILNS1_3genE9ELNS1_11target_archE1100ELNS1_3gpuE3ELNS1_3repE0EEENS1_38merge_mergepath_config_static_selectorELNS0_4arch9wavefront6targetE1EEEvSI_.num_agpr, 0
	.set _ZN7rocprim17ROCPRIM_400000_NS6detail17trampoline_kernelINS0_14default_configENS1_38merge_sort_block_merge_config_selectorIN3c104HalfElEEZZNS1_27merge_sort_block_merge_implIS3_PS6_N6thrust23THRUST_200600_302600_NS10device_ptrIlEEmNSB_4lessIS6_EEEE10hipError_tT0_T1_T2_jT3_P12ihipStream_tbPNSt15iterator_traitsISH_E10value_typeEPNSN_ISI_E10value_typeEPSJ_NS1_7vsmem_tEENKUlT_SH_SI_SJ_E_clIS9_S9_PlSD_EESG_SW_SH_SI_SJ_EUlSW_E0_NS1_11comp_targetILNS1_3genE9ELNS1_11target_archE1100ELNS1_3gpuE3ELNS1_3repE0EEENS1_38merge_mergepath_config_static_selectorELNS0_4arch9wavefront6targetE1EEEvSI_.numbered_sgpr, 0
	.set _ZN7rocprim17ROCPRIM_400000_NS6detail17trampoline_kernelINS0_14default_configENS1_38merge_sort_block_merge_config_selectorIN3c104HalfElEEZZNS1_27merge_sort_block_merge_implIS3_PS6_N6thrust23THRUST_200600_302600_NS10device_ptrIlEEmNSB_4lessIS6_EEEE10hipError_tT0_T1_T2_jT3_P12ihipStream_tbPNSt15iterator_traitsISH_E10value_typeEPNSN_ISI_E10value_typeEPSJ_NS1_7vsmem_tEENKUlT_SH_SI_SJ_E_clIS9_S9_PlSD_EESG_SW_SH_SI_SJ_EUlSW_E0_NS1_11comp_targetILNS1_3genE9ELNS1_11target_archE1100ELNS1_3gpuE3ELNS1_3repE0EEENS1_38merge_mergepath_config_static_selectorELNS0_4arch9wavefront6targetE1EEEvSI_.num_named_barrier, 0
	.set _ZN7rocprim17ROCPRIM_400000_NS6detail17trampoline_kernelINS0_14default_configENS1_38merge_sort_block_merge_config_selectorIN3c104HalfElEEZZNS1_27merge_sort_block_merge_implIS3_PS6_N6thrust23THRUST_200600_302600_NS10device_ptrIlEEmNSB_4lessIS6_EEEE10hipError_tT0_T1_T2_jT3_P12ihipStream_tbPNSt15iterator_traitsISH_E10value_typeEPNSN_ISI_E10value_typeEPSJ_NS1_7vsmem_tEENKUlT_SH_SI_SJ_E_clIS9_S9_PlSD_EESG_SW_SH_SI_SJ_EUlSW_E0_NS1_11comp_targetILNS1_3genE9ELNS1_11target_archE1100ELNS1_3gpuE3ELNS1_3repE0EEENS1_38merge_mergepath_config_static_selectorELNS0_4arch9wavefront6targetE1EEEvSI_.private_seg_size, 0
	.set _ZN7rocprim17ROCPRIM_400000_NS6detail17trampoline_kernelINS0_14default_configENS1_38merge_sort_block_merge_config_selectorIN3c104HalfElEEZZNS1_27merge_sort_block_merge_implIS3_PS6_N6thrust23THRUST_200600_302600_NS10device_ptrIlEEmNSB_4lessIS6_EEEE10hipError_tT0_T1_T2_jT3_P12ihipStream_tbPNSt15iterator_traitsISH_E10value_typeEPNSN_ISI_E10value_typeEPSJ_NS1_7vsmem_tEENKUlT_SH_SI_SJ_E_clIS9_S9_PlSD_EESG_SW_SH_SI_SJ_EUlSW_E0_NS1_11comp_targetILNS1_3genE9ELNS1_11target_archE1100ELNS1_3gpuE3ELNS1_3repE0EEENS1_38merge_mergepath_config_static_selectorELNS0_4arch9wavefront6targetE1EEEvSI_.uses_vcc, 0
	.set _ZN7rocprim17ROCPRIM_400000_NS6detail17trampoline_kernelINS0_14default_configENS1_38merge_sort_block_merge_config_selectorIN3c104HalfElEEZZNS1_27merge_sort_block_merge_implIS3_PS6_N6thrust23THRUST_200600_302600_NS10device_ptrIlEEmNSB_4lessIS6_EEEE10hipError_tT0_T1_T2_jT3_P12ihipStream_tbPNSt15iterator_traitsISH_E10value_typeEPNSN_ISI_E10value_typeEPSJ_NS1_7vsmem_tEENKUlT_SH_SI_SJ_E_clIS9_S9_PlSD_EESG_SW_SH_SI_SJ_EUlSW_E0_NS1_11comp_targetILNS1_3genE9ELNS1_11target_archE1100ELNS1_3gpuE3ELNS1_3repE0EEENS1_38merge_mergepath_config_static_selectorELNS0_4arch9wavefront6targetE1EEEvSI_.uses_flat_scratch, 0
	.set _ZN7rocprim17ROCPRIM_400000_NS6detail17trampoline_kernelINS0_14default_configENS1_38merge_sort_block_merge_config_selectorIN3c104HalfElEEZZNS1_27merge_sort_block_merge_implIS3_PS6_N6thrust23THRUST_200600_302600_NS10device_ptrIlEEmNSB_4lessIS6_EEEE10hipError_tT0_T1_T2_jT3_P12ihipStream_tbPNSt15iterator_traitsISH_E10value_typeEPNSN_ISI_E10value_typeEPSJ_NS1_7vsmem_tEENKUlT_SH_SI_SJ_E_clIS9_S9_PlSD_EESG_SW_SH_SI_SJ_EUlSW_E0_NS1_11comp_targetILNS1_3genE9ELNS1_11target_archE1100ELNS1_3gpuE3ELNS1_3repE0EEENS1_38merge_mergepath_config_static_selectorELNS0_4arch9wavefront6targetE1EEEvSI_.has_dyn_sized_stack, 0
	.set _ZN7rocprim17ROCPRIM_400000_NS6detail17trampoline_kernelINS0_14default_configENS1_38merge_sort_block_merge_config_selectorIN3c104HalfElEEZZNS1_27merge_sort_block_merge_implIS3_PS6_N6thrust23THRUST_200600_302600_NS10device_ptrIlEEmNSB_4lessIS6_EEEE10hipError_tT0_T1_T2_jT3_P12ihipStream_tbPNSt15iterator_traitsISH_E10value_typeEPNSN_ISI_E10value_typeEPSJ_NS1_7vsmem_tEENKUlT_SH_SI_SJ_E_clIS9_S9_PlSD_EESG_SW_SH_SI_SJ_EUlSW_E0_NS1_11comp_targetILNS1_3genE9ELNS1_11target_archE1100ELNS1_3gpuE3ELNS1_3repE0EEENS1_38merge_mergepath_config_static_selectorELNS0_4arch9wavefront6targetE1EEEvSI_.has_recursion, 0
	.set _ZN7rocprim17ROCPRIM_400000_NS6detail17trampoline_kernelINS0_14default_configENS1_38merge_sort_block_merge_config_selectorIN3c104HalfElEEZZNS1_27merge_sort_block_merge_implIS3_PS6_N6thrust23THRUST_200600_302600_NS10device_ptrIlEEmNSB_4lessIS6_EEEE10hipError_tT0_T1_T2_jT3_P12ihipStream_tbPNSt15iterator_traitsISH_E10value_typeEPNSN_ISI_E10value_typeEPSJ_NS1_7vsmem_tEENKUlT_SH_SI_SJ_E_clIS9_S9_PlSD_EESG_SW_SH_SI_SJ_EUlSW_E0_NS1_11comp_targetILNS1_3genE9ELNS1_11target_archE1100ELNS1_3gpuE3ELNS1_3repE0EEENS1_38merge_mergepath_config_static_selectorELNS0_4arch9wavefront6targetE1EEEvSI_.has_indirect_call, 0
	.section	.AMDGPU.csdata,"",@progbits
; Kernel info:
; codeLenInByte = 0
; TotalNumSgprs: 4
; NumVgprs: 0
; ScratchSize: 0
; MemoryBound: 0
; FloatMode: 240
; IeeeMode: 1
; LDSByteSize: 0 bytes/workgroup (compile time only)
; SGPRBlocks: 0
; VGPRBlocks: 0
; NumSGPRsForWavesPerEU: 4
; NumVGPRsForWavesPerEU: 1
; Occupancy: 10
; WaveLimiterHint : 0
; COMPUTE_PGM_RSRC2:SCRATCH_EN: 0
; COMPUTE_PGM_RSRC2:USER_SGPR: 6
; COMPUTE_PGM_RSRC2:TRAP_HANDLER: 0
; COMPUTE_PGM_RSRC2:TGID_X_EN: 1
; COMPUTE_PGM_RSRC2:TGID_Y_EN: 0
; COMPUTE_PGM_RSRC2:TGID_Z_EN: 0
; COMPUTE_PGM_RSRC2:TIDIG_COMP_CNT: 0
	.section	.text._ZN7rocprim17ROCPRIM_400000_NS6detail17trampoline_kernelINS0_14default_configENS1_38merge_sort_block_merge_config_selectorIN3c104HalfElEEZZNS1_27merge_sort_block_merge_implIS3_PS6_N6thrust23THRUST_200600_302600_NS10device_ptrIlEEmNSB_4lessIS6_EEEE10hipError_tT0_T1_T2_jT3_P12ihipStream_tbPNSt15iterator_traitsISH_E10value_typeEPNSN_ISI_E10value_typeEPSJ_NS1_7vsmem_tEENKUlT_SH_SI_SJ_E_clIS9_S9_PlSD_EESG_SW_SH_SI_SJ_EUlSW_E0_NS1_11comp_targetILNS1_3genE8ELNS1_11target_archE1030ELNS1_3gpuE2ELNS1_3repE0EEENS1_38merge_mergepath_config_static_selectorELNS0_4arch9wavefront6targetE1EEEvSI_,"axG",@progbits,_ZN7rocprim17ROCPRIM_400000_NS6detail17trampoline_kernelINS0_14default_configENS1_38merge_sort_block_merge_config_selectorIN3c104HalfElEEZZNS1_27merge_sort_block_merge_implIS3_PS6_N6thrust23THRUST_200600_302600_NS10device_ptrIlEEmNSB_4lessIS6_EEEE10hipError_tT0_T1_T2_jT3_P12ihipStream_tbPNSt15iterator_traitsISH_E10value_typeEPNSN_ISI_E10value_typeEPSJ_NS1_7vsmem_tEENKUlT_SH_SI_SJ_E_clIS9_S9_PlSD_EESG_SW_SH_SI_SJ_EUlSW_E0_NS1_11comp_targetILNS1_3genE8ELNS1_11target_archE1030ELNS1_3gpuE2ELNS1_3repE0EEENS1_38merge_mergepath_config_static_selectorELNS0_4arch9wavefront6targetE1EEEvSI_,comdat
	.protected	_ZN7rocprim17ROCPRIM_400000_NS6detail17trampoline_kernelINS0_14default_configENS1_38merge_sort_block_merge_config_selectorIN3c104HalfElEEZZNS1_27merge_sort_block_merge_implIS3_PS6_N6thrust23THRUST_200600_302600_NS10device_ptrIlEEmNSB_4lessIS6_EEEE10hipError_tT0_T1_T2_jT3_P12ihipStream_tbPNSt15iterator_traitsISH_E10value_typeEPNSN_ISI_E10value_typeEPSJ_NS1_7vsmem_tEENKUlT_SH_SI_SJ_E_clIS9_S9_PlSD_EESG_SW_SH_SI_SJ_EUlSW_E0_NS1_11comp_targetILNS1_3genE8ELNS1_11target_archE1030ELNS1_3gpuE2ELNS1_3repE0EEENS1_38merge_mergepath_config_static_selectorELNS0_4arch9wavefront6targetE1EEEvSI_ ; -- Begin function _ZN7rocprim17ROCPRIM_400000_NS6detail17trampoline_kernelINS0_14default_configENS1_38merge_sort_block_merge_config_selectorIN3c104HalfElEEZZNS1_27merge_sort_block_merge_implIS3_PS6_N6thrust23THRUST_200600_302600_NS10device_ptrIlEEmNSB_4lessIS6_EEEE10hipError_tT0_T1_T2_jT3_P12ihipStream_tbPNSt15iterator_traitsISH_E10value_typeEPNSN_ISI_E10value_typeEPSJ_NS1_7vsmem_tEENKUlT_SH_SI_SJ_E_clIS9_S9_PlSD_EESG_SW_SH_SI_SJ_EUlSW_E0_NS1_11comp_targetILNS1_3genE8ELNS1_11target_archE1030ELNS1_3gpuE2ELNS1_3repE0EEENS1_38merge_mergepath_config_static_selectorELNS0_4arch9wavefront6targetE1EEEvSI_
	.globl	_ZN7rocprim17ROCPRIM_400000_NS6detail17trampoline_kernelINS0_14default_configENS1_38merge_sort_block_merge_config_selectorIN3c104HalfElEEZZNS1_27merge_sort_block_merge_implIS3_PS6_N6thrust23THRUST_200600_302600_NS10device_ptrIlEEmNSB_4lessIS6_EEEE10hipError_tT0_T1_T2_jT3_P12ihipStream_tbPNSt15iterator_traitsISH_E10value_typeEPNSN_ISI_E10value_typeEPSJ_NS1_7vsmem_tEENKUlT_SH_SI_SJ_E_clIS9_S9_PlSD_EESG_SW_SH_SI_SJ_EUlSW_E0_NS1_11comp_targetILNS1_3genE8ELNS1_11target_archE1030ELNS1_3gpuE2ELNS1_3repE0EEENS1_38merge_mergepath_config_static_selectorELNS0_4arch9wavefront6targetE1EEEvSI_
	.p2align	8
	.type	_ZN7rocprim17ROCPRIM_400000_NS6detail17trampoline_kernelINS0_14default_configENS1_38merge_sort_block_merge_config_selectorIN3c104HalfElEEZZNS1_27merge_sort_block_merge_implIS3_PS6_N6thrust23THRUST_200600_302600_NS10device_ptrIlEEmNSB_4lessIS6_EEEE10hipError_tT0_T1_T2_jT3_P12ihipStream_tbPNSt15iterator_traitsISH_E10value_typeEPNSN_ISI_E10value_typeEPSJ_NS1_7vsmem_tEENKUlT_SH_SI_SJ_E_clIS9_S9_PlSD_EESG_SW_SH_SI_SJ_EUlSW_E0_NS1_11comp_targetILNS1_3genE8ELNS1_11target_archE1030ELNS1_3gpuE2ELNS1_3repE0EEENS1_38merge_mergepath_config_static_selectorELNS0_4arch9wavefront6targetE1EEEvSI_,@function
_ZN7rocprim17ROCPRIM_400000_NS6detail17trampoline_kernelINS0_14default_configENS1_38merge_sort_block_merge_config_selectorIN3c104HalfElEEZZNS1_27merge_sort_block_merge_implIS3_PS6_N6thrust23THRUST_200600_302600_NS10device_ptrIlEEmNSB_4lessIS6_EEEE10hipError_tT0_T1_T2_jT3_P12ihipStream_tbPNSt15iterator_traitsISH_E10value_typeEPNSN_ISI_E10value_typeEPSJ_NS1_7vsmem_tEENKUlT_SH_SI_SJ_E_clIS9_S9_PlSD_EESG_SW_SH_SI_SJ_EUlSW_E0_NS1_11comp_targetILNS1_3genE8ELNS1_11target_archE1030ELNS1_3gpuE2ELNS1_3repE0EEENS1_38merge_mergepath_config_static_selectorELNS0_4arch9wavefront6targetE1EEEvSI_: ; @_ZN7rocprim17ROCPRIM_400000_NS6detail17trampoline_kernelINS0_14default_configENS1_38merge_sort_block_merge_config_selectorIN3c104HalfElEEZZNS1_27merge_sort_block_merge_implIS3_PS6_N6thrust23THRUST_200600_302600_NS10device_ptrIlEEmNSB_4lessIS6_EEEE10hipError_tT0_T1_T2_jT3_P12ihipStream_tbPNSt15iterator_traitsISH_E10value_typeEPNSN_ISI_E10value_typeEPSJ_NS1_7vsmem_tEENKUlT_SH_SI_SJ_E_clIS9_S9_PlSD_EESG_SW_SH_SI_SJ_EUlSW_E0_NS1_11comp_targetILNS1_3genE8ELNS1_11target_archE1030ELNS1_3gpuE2ELNS1_3repE0EEENS1_38merge_mergepath_config_static_selectorELNS0_4arch9wavefront6targetE1EEEvSI_
; %bb.0:
	.section	.rodata,"a",@progbits
	.p2align	6, 0x0
	.amdhsa_kernel _ZN7rocprim17ROCPRIM_400000_NS6detail17trampoline_kernelINS0_14default_configENS1_38merge_sort_block_merge_config_selectorIN3c104HalfElEEZZNS1_27merge_sort_block_merge_implIS3_PS6_N6thrust23THRUST_200600_302600_NS10device_ptrIlEEmNSB_4lessIS6_EEEE10hipError_tT0_T1_T2_jT3_P12ihipStream_tbPNSt15iterator_traitsISH_E10value_typeEPNSN_ISI_E10value_typeEPSJ_NS1_7vsmem_tEENKUlT_SH_SI_SJ_E_clIS9_S9_PlSD_EESG_SW_SH_SI_SJ_EUlSW_E0_NS1_11comp_targetILNS1_3genE8ELNS1_11target_archE1030ELNS1_3gpuE2ELNS1_3repE0EEENS1_38merge_mergepath_config_static_selectorELNS0_4arch9wavefront6targetE1EEEvSI_
		.amdhsa_group_segment_fixed_size 0
		.amdhsa_private_segment_fixed_size 0
		.amdhsa_kernarg_size 72
		.amdhsa_user_sgpr_count 6
		.amdhsa_user_sgpr_private_segment_buffer 1
		.amdhsa_user_sgpr_dispatch_ptr 0
		.amdhsa_user_sgpr_queue_ptr 0
		.amdhsa_user_sgpr_kernarg_segment_ptr 1
		.amdhsa_user_sgpr_dispatch_id 0
		.amdhsa_user_sgpr_flat_scratch_init 0
		.amdhsa_user_sgpr_private_segment_size 0
		.amdhsa_uses_dynamic_stack 0
		.amdhsa_system_sgpr_private_segment_wavefront_offset 0
		.amdhsa_system_sgpr_workgroup_id_x 1
		.amdhsa_system_sgpr_workgroup_id_y 0
		.amdhsa_system_sgpr_workgroup_id_z 0
		.amdhsa_system_sgpr_workgroup_info 0
		.amdhsa_system_vgpr_workitem_id 0
		.amdhsa_next_free_vgpr 1
		.amdhsa_next_free_sgpr 0
		.amdhsa_reserve_vcc 0
		.amdhsa_reserve_flat_scratch 0
		.amdhsa_float_round_mode_32 0
		.amdhsa_float_round_mode_16_64 0
		.amdhsa_float_denorm_mode_32 3
		.amdhsa_float_denorm_mode_16_64 3
		.amdhsa_dx10_clamp 1
		.amdhsa_ieee_mode 1
		.amdhsa_fp16_overflow 0
		.amdhsa_exception_fp_ieee_invalid_op 0
		.amdhsa_exception_fp_denorm_src 0
		.amdhsa_exception_fp_ieee_div_zero 0
		.amdhsa_exception_fp_ieee_overflow 0
		.amdhsa_exception_fp_ieee_underflow 0
		.amdhsa_exception_fp_ieee_inexact 0
		.amdhsa_exception_int_div_zero 0
	.end_amdhsa_kernel
	.section	.text._ZN7rocprim17ROCPRIM_400000_NS6detail17trampoline_kernelINS0_14default_configENS1_38merge_sort_block_merge_config_selectorIN3c104HalfElEEZZNS1_27merge_sort_block_merge_implIS3_PS6_N6thrust23THRUST_200600_302600_NS10device_ptrIlEEmNSB_4lessIS6_EEEE10hipError_tT0_T1_T2_jT3_P12ihipStream_tbPNSt15iterator_traitsISH_E10value_typeEPNSN_ISI_E10value_typeEPSJ_NS1_7vsmem_tEENKUlT_SH_SI_SJ_E_clIS9_S9_PlSD_EESG_SW_SH_SI_SJ_EUlSW_E0_NS1_11comp_targetILNS1_3genE8ELNS1_11target_archE1030ELNS1_3gpuE2ELNS1_3repE0EEENS1_38merge_mergepath_config_static_selectorELNS0_4arch9wavefront6targetE1EEEvSI_,"axG",@progbits,_ZN7rocprim17ROCPRIM_400000_NS6detail17trampoline_kernelINS0_14default_configENS1_38merge_sort_block_merge_config_selectorIN3c104HalfElEEZZNS1_27merge_sort_block_merge_implIS3_PS6_N6thrust23THRUST_200600_302600_NS10device_ptrIlEEmNSB_4lessIS6_EEEE10hipError_tT0_T1_T2_jT3_P12ihipStream_tbPNSt15iterator_traitsISH_E10value_typeEPNSN_ISI_E10value_typeEPSJ_NS1_7vsmem_tEENKUlT_SH_SI_SJ_E_clIS9_S9_PlSD_EESG_SW_SH_SI_SJ_EUlSW_E0_NS1_11comp_targetILNS1_3genE8ELNS1_11target_archE1030ELNS1_3gpuE2ELNS1_3repE0EEENS1_38merge_mergepath_config_static_selectorELNS0_4arch9wavefront6targetE1EEEvSI_,comdat
.Lfunc_end2139:
	.size	_ZN7rocprim17ROCPRIM_400000_NS6detail17trampoline_kernelINS0_14default_configENS1_38merge_sort_block_merge_config_selectorIN3c104HalfElEEZZNS1_27merge_sort_block_merge_implIS3_PS6_N6thrust23THRUST_200600_302600_NS10device_ptrIlEEmNSB_4lessIS6_EEEE10hipError_tT0_T1_T2_jT3_P12ihipStream_tbPNSt15iterator_traitsISH_E10value_typeEPNSN_ISI_E10value_typeEPSJ_NS1_7vsmem_tEENKUlT_SH_SI_SJ_E_clIS9_S9_PlSD_EESG_SW_SH_SI_SJ_EUlSW_E0_NS1_11comp_targetILNS1_3genE8ELNS1_11target_archE1030ELNS1_3gpuE2ELNS1_3repE0EEENS1_38merge_mergepath_config_static_selectorELNS0_4arch9wavefront6targetE1EEEvSI_, .Lfunc_end2139-_ZN7rocprim17ROCPRIM_400000_NS6detail17trampoline_kernelINS0_14default_configENS1_38merge_sort_block_merge_config_selectorIN3c104HalfElEEZZNS1_27merge_sort_block_merge_implIS3_PS6_N6thrust23THRUST_200600_302600_NS10device_ptrIlEEmNSB_4lessIS6_EEEE10hipError_tT0_T1_T2_jT3_P12ihipStream_tbPNSt15iterator_traitsISH_E10value_typeEPNSN_ISI_E10value_typeEPSJ_NS1_7vsmem_tEENKUlT_SH_SI_SJ_E_clIS9_S9_PlSD_EESG_SW_SH_SI_SJ_EUlSW_E0_NS1_11comp_targetILNS1_3genE8ELNS1_11target_archE1030ELNS1_3gpuE2ELNS1_3repE0EEENS1_38merge_mergepath_config_static_selectorELNS0_4arch9wavefront6targetE1EEEvSI_
                                        ; -- End function
	.set _ZN7rocprim17ROCPRIM_400000_NS6detail17trampoline_kernelINS0_14default_configENS1_38merge_sort_block_merge_config_selectorIN3c104HalfElEEZZNS1_27merge_sort_block_merge_implIS3_PS6_N6thrust23THRUST_200600_302600_NS10device_ptrIlEEmNSB_4lessIS6_EEEE10hipError_tT0_T1_T2_jT3_P12ihipStream_tbPNSt15iterator_traitsISH_E10value_typeEPNSN_ISI_E10value_typeEPSJ_NS1_7vsmem_tEENKUlT_SH_SI_SJ_E_clIS9_S9_PlSD_EESG_SW_SH_SI_SJ_EUlSW_E0_NS1_11comp_targetILNS1_3genE8ELNS1_11target_archE1030ELNS1_3gpuE2ELNS1_3repE0EEENS1_38merge_mergepath_config_static_selectorELNS0_4arch9wavefront6targetE1EEEvSI_.num_vgpr, 0
	.set _ZN7rocprim17ROCPRIM_400000_NS6detail17trampoline_kernelINS0_14default_configENS1_38merge_sort_block_merge_config_selectorIN3c104HalfElEEZZNS1_27merge_sort_block_merge_implIS3_PS6_N6thrust23THRUST_200600_302600_NS10device_ptrIlEEmNSB_4lessIS6_EEEE10hipError_tT0_T1_T2_jT3_P12ihipStream_tbPNSt15iterator_traitsISH_E10value_typeEPNSN_ISI_E10value_typeEPSJ_NS1_7vsmem_tEENKUlT_SH_SI_SJ_E_clIS9_S9_PlSD_EESG_SW_SH_SI_SJ_EUlSW_E0_NS1_11comp_targetILNS1_3genE8ELNS1_11target_archE1030ELNS1_3gpuE2ELNS1_3repE0EEENS1_38merge_mergepath_config_static_selectorELNS0_4arch9wavefront6targetE1EEEvSI_.num_agpr, 0
	.set _ZN7rocprim17ROCPRIM_400000_NS6detail17trampoline_kernelINS0_14default_configENS1_38merge_sort_block_merge_config_selectorIN3c104HalfElEEZZNS1_27merge_sort_block_merge_implIS3_PS6_N6thrust23THRUST_200600_302600_NS10device_ptrIlEEmNSB_4lessIS6_EEEE10hipError_tT0_T1_T2_jT3_P12ihipStream_tbPNSt15iterator_traitsISH_E10value_typeEPNSN_ISI_E10value_typeEPSJ_NS1_7vsmem_tEENKUlT_SH_SI_SJ_E_clIS9_S9_PlSD_EESG_SW_SH_SI_SJ_EUlSW_E0_NS1_11comp_targetILNS1_3genE8ELNS1_11target_archE1030ELNS1_3gpuE2ELNS1_3repE0EEENS1_38merge_mergepath_config_static_selectorELNS0_4arch9wavefront6targetE1EEEvSI_.numbered_sgpr, 0
	.set _ZN7rocprim17ROCPRIM_400000_NS6detail17trampoline_kernelINS0_14default_configENS1_38merge_sort_block_merge_config_selectorIN3c104HalfElEEZZNS1_27merge_sort_block_merge_implIS3_PS6_N6thrust23THRUST_200600_302600_NS10device_ptrIlEEmNSB_4lessIS6_EEEE10hipError_tT0_T1_T2_jT3_P12ihipStream_tbPNSt15iterator_traitsISH_E10value_typeEPNSN_ISI_E10value_typeEPSJ_NS1_7vsmem_tEENKUlT_SH_SI_SJ_E_clIS9_S9_PlSD_EESG_SW_SH_SI_SJ_EUlSW_E0_NS1_11comp_targetILNS1_3genE8ELNS1_11target_archE1030ELNS1_3gpuE2ELNS1_3repE0EEENS1_38merge_mergepath_config_static_selectorELNS0_4arch9wavefront6targetE1EEEvSI_.num_named_barrier, 0
	.set _ZN7rocprim17ROCPRIM_400000_NS6detail17trampoline_kernelINS0_14default_configENS1_38merge_sort_block_merge_config_selectorIN3c104HalfElEEZZNS1_27merge_sort_block_merge_implIS3_PS6_N6thrust23THRUST_200600_302600_NS10device_ptrIlEEmNSB_4lessIS6_EEEE10hipError_tT0_T1_T2_jT3_P12ihipStream_tbPNSt15iterator_traitsISH_E10value_typeEPNSN_ISI_E10value_typeEPSJ_NS1_7vsmem_tEENKUlT_SH_SI_SJ_E_clIS9_S9_PlSD_EESG_SW_SH_SI_SJ_EUlSW_E0_NS1_11comp_targetILNS1_3genE8ELNS1_11target_archE1030ELNS1_3gpuE2ELNS1_3repE0EEENS1_38merge_mergepath_config_static_selectorELNS0_4arch9wavefront6targetE1EEEvSI_.private_seg_size, 0
	.set _ZN7rocprim17ROCPRIM_400000_NS6detail17trampoline_kernelINS0_14default_configENS1_38merge_sort_block_merge_config_selectorIN3c104HalfElEEZZNS1_27merge_sort_block_merge_implIS3_PS6_N6thrust23THRUST_200600_302600_NS10device_ptrIlEEmNSB_4lessIS6_EEEE10hipError_tT0_T1_T2_jT3_P12ihipStream_tbPNSt15iterator_traitsISH_E10value_typeEPNSN_ISI_E10value_typeEPSJ_NS1_7vsmem_tEENKUlT_SH_SI_SJ_E_clIS9_S9_PlSD_EESG_SW_SH_SI_SJ_EUlSW_E0_NS1_11comp_targetILNS1_3genE8ELNS1_11target_archE1030ELNS1_3gpuE2ELNS1_3repE0EEENS1_38merge_mergepath_config_static_selectorELNS0_4arch9wavefront6targetE1EEEvSI_.uses_vcc, 0
	.set _ZN7rocprim17ROCPRIM_400000_NS6detail17trampoline_kernelINS0_14default_configENS1_38merge_sort_block_merge_config_selectorIN3c104HalfElEEZZNS1_27merge_sort_block_merge_implIS3_PS6_N6thrust23THRUST_200600_302600_NS10device_ptrIlEEmNSB_4lessIS6_EEEE10hipError_tT0_T1_T2_jT3_P12ihipStream_tbPNSt15iterator_traitsISH_E10value_typeEPNSN_ISI_E10value_typeEPSJ_NS1_7vsmem_tEENKUlT_SH_SI_SJ_E_clIS9_S9_PlSD_EESG_SW_SH_SI_SJ_EUlSW_E0_NS1_11comp_targetILNS1_3genE8ELNS1_11target_archE1030ELNS1_3gpuE2ELNS1_3repE0EEENS1_38merge_mergepath_config_static_selectorELNS0_4arch9wavefront6targetE1EEEvSI_.uses_flat_scratch, 0
	.set _ZN7rocprim17ROCPRIM_400000_NS6detail17trampoline_kernelINS0_14default_configENS1_38merge_sort_block_merge_config_selectorIN3c104HalfElEEZZNS1_27merge_sort_block_merge_implIS3_PS6_N6thrust23THRUST_200600_302600_NS10device_ptrIlEEmNSB_4lessIS6_EEEE10hipError_tT0_T1_T2_jT3_P12ihipStream_tbPNSt15iterator_traitsISH_E10value_typeEPNSN_ISI_E10value_typeEPSJ_NS1_7vsmem_tEENKUlT_SH_SI_SJ_E_clIS9_S9_PlSD_EESG_SW_SH_SI_SJ_EUlSW_E0_NS1_11comp_targetILNS1_3genE8ELNS1_11target_archE1030ELNS1_3gpuE2ELNS1_3repE0EEENS1_38merge_mergepath_config_static_selectorELNS0_4arch9wavefront6targetE1EEEvSI_.has_dyn_sized_stack, 0
	.set _ZN7rocprim17ROCPRIM_400000_NS6detail17trampoline_kernelINS0_14default_configENS1_38merge_sort_block_merge_config_selectorIN3c104HalfElEEZZNS1_27merge_sort_block_merge_implIS3_PS6_N6thrust23THRUST_200600_302600_NS10device_ptrIlEEmNSB_4lessIS6_EEEE10hipError_tT0_T1_T2_jT3_P12ihipStream_tbPNSt15iterator_traitsISH_E10value_typeEPNSN_ISI_E10value_typeEPSJ_NS1_7vsmem_tEENKUlT_SH_SI_SJ_E_clIS9_S9_PlSD_EESG_SW_SH_SI_SJ_EUlSW_E0_NS1_11comp_targetILNS1_3genE8ELNS1_11target_archE1030ELNS1_3gpuE2ELNS1_3repE0EEENS1_38merge_mergepath_config_static_selectorELNS0_4arch9wavefront6targetE1EEEvSI_.has_recursion, 0
	.set _ZN7rocprim17ROCPRIM_400000_NS6detail17trampoline_kernelINS0_14default_configENS1_38merge_sort_block_merge_config_selectorIN3c104HalfElEEZZNS1_27merge_sort_block_merge_implIS3_PS6_N6thrust23THRUST_200600_302600_NS10device_ptrIlEEmNSB_4lessIS6_EEEE10hipError_tT0_T1_T2_jT3_P12ihipStream_tbPNSt15iterator_traitsISH_E10value_typeEPNSN_ISI_E10value_typeEPSJ_NS1_7vsmem_tEENKUlT_SH_SI_SJ_E_clIS9_S9_PlSD_EESG_SW_SH_SI_SJ_EUlSW_E0_NS1_11comp_targetILNS1_3genE8ELNS1_11target_archE1030ELNS1_3gpuE2ELNS1_3repE0EEENS1_38merge_mergepath_config_static_selectorELNS0_4arch9wavefront6targetE1EEEvSI_.has_indirect_call, 0
	.section	.AMDGPU.csdata,"",@progbits
; Kernel info:
; codeLenInByte = 0
; TotalNumSgprs: 4
; NumVgprs: 0
; ScratchSize: 0
; MemoryBound: 0
; FloatMode: 240
; IeeeMode: 1
; LDSByteSize: 0 bytes/workgroup (compile time only)
; SGPRBlocks: 0
; VGPRBlocks: 0
; NumSGPRsForWavesPerEU: 4
; NumVGPRsForWavesPerEU: 1
; Occupancy: 10
; WaveLimiterHint : 0
; COMPUTE_PGM_RSRC2:SCRATCH_EN: 0
; COMPUTE_PGM_RSRC2:USER_SGPR: 6
; COMPUTE_PGM_RSRC2:TRAP_HANDLER: 0
; COMPUTE_PGM_RSRC2:TGID_X_EN: 1
; COMPUTE_PGM_RSRC2:TGID_Y_EN: 0
; COMPUTE_PGM_RSRC2:TGID_Z_EN: 0
; COMPUTE_PGM_RSRC2:TIDIG_COMP_CNT: 0
	.section	.text._ZN7rocprim17ROCPRIM_400000_NS6detail17trampoline_kernelINS0_14default_configENS1_38merge_sort_block_merge_config_selectorIN3c104HalfElEEZZNS1_27merge_sort_block_merge_implIS3_PS6_N6thrust23THRUST_200600_302600_NS10device_ptrIlEEmNSB_4lessIS6_EEEE10hipError_tT0_T1_T2_jT3_P12ihipStream_tbPNSt15iterator_traitsISH_E10value_typeEPNSN_ISI_E10value_typeEPSJ_NS1_7vsmem_tEENKUlT_SH_SI_SJ_E_clIS9_S9_PlSD_EESG_SW_SH_SI_SJ_EUlSW_E1_NS1_11comp_targetILNS1_3genE0ELNS1_11target_archE4294967295ELNS1_3gpuE0ELNS1_3repE0EEENS1_36merge_oddeven_config_static_selectorELNS0_4arch9wavefront6targetE1EEEvSI_,"axG",@progbits,_ZN7rocprim17ROCPRIM_400000_NS6detail17trampoline_kernelINS0_14default_configENS1_38merge_sort_block_merge_config_selectorIN3c104HalfElEEZZNS1_27merge_sort_block_merge_implIS3_PS6_N6thrust23THRUST_200600_302600_NS10device_ptrIlEEmNSB_4lessIS6_EEEE10hipError_tT0_T1_T2_jT3_P12ihipStream_tbPNSt15iterator_traitsISH_E10value_typeEPNSN_ISI_E10value_typeEPSJ_NS1_7vsmem_tEENKUlT_SH_SI_SJ_E_clIS9_S9_PlSD_EESG_SW_SH_SI_SJ_EUlSW_E1_NS1_11comp_targetILNS1_3genE0ELNS1_11target_archE4294967295ELNS1_3gpuE0ELNS1_3repE0EEENS1_36merge_oddeven_config_static_selectorELNS0_4arch9wavefront6targetE1EEEvSI_,comdat
	.protected	_ZN7rocprim17ROCPRIM_400000_NS6detail17trampoline_kernelINS0_14default_configENS1_38merge_sort_block_merge_config_selectorIN3c104HalfElEEZZNS1_27merge_sort_block_merge_implIS3_PS6_N6thrust23THRUST_200600_302600_NS10device_ptrIlEEmNSB_4lessIS6_EEEE10hipError_tT0_T1_T2_jT3_P12ihipStream_tbPNSt15iterator_traitsISH_E10value_typeEPNSN_ISI_E10value_typeEPSJ_NS1_7vsmem_tEENKUlT_SH_SI_SJ_E_clIS9_S9_PlSD_EESG_SW_SH_SI_SJ_EUlSW_E1_NS1_11comp_targetILNS1_3genE0ELNS1_11target_archE4294967295ELNS1_3gpuE0ELNS1_3repE0EEENS1_36merge_oddeven_config_static_selectorELNS0_4arch9wavefront6targetE1EEEvSI_ ; -- Begin function _ZN7rocprim17ROCPRIM_400000_NS6detail17trampoline_kernelINS0_14default_configENS1_38merge_sort_block_merge_config_selectorIN3c104HalfElEEZZNS1_27merge_sort_block_merge_implIS3_PS6_N6thrust23THRUST_200600_302600_NS10device_ptrIlEEmNSB_4lessIS6_EEEE10hipError_tT0_T1_T2_jT3_P12ihipStream_tbPNSt15iterator_traitsISH_E10value_typeEPNSN_ISI_E10value_typeEPSJ_NS1_7vsmem_tEENKUlT_SH_SI_SJ_E_clIS9_S9_PlSD_EESG_SW_SH_SI_SJ_EUlSW_E1_NS1_11comp_targetILNS1_3genE0ELNS1_11target_archE4294967295ELNS1_3gpuE0ELNS1_3repE0EEENS1_36merge_oddeven_config_static_selectorELNS0_4arch9wavefront6targetE1EEEvSI_
	.globl	_ZN7rocprim17ROCPRIM_400000_NS6detail17trampoline_kernelINS0_14default_configENS1_38merge_sort_block_merge_config_selectorIN3c104HalfElEEZZNS1_27merge_sort_block_merge_implIS3_PS6_N6thrust23THRUST_200600_302600_NS10device_ptrIlEEmNSB_4lessIS6_EEEE10hipError_tT0_T1_T2_jT3_P12ihipStream_tbPNSt15iterator_traitsISH_E10value_typeEPNSN_ISI_E10value_typeEPSJ_NS1_7vsmem_tEENKUlT_SH_SI_SJ_E_clIS9_S9_PlSD_EESG_SW_SH_SI_SJ_EUlSW_E1_NS1_11comp_targetILNS1_3genE0ELNS1_11target_archE4294967295ELNS1_3gpuE0ELNS1_3repE0EEENS1_36merge_oddeven_config_static_selectorELNS0_4arch9wavefront6targetE1EEEvSI_
	.p2align	8
	.type	_ZN7rocprim17ROCPRIM_400000_NS6detail17trampoline_kernelINS0_14default_configENS1_38merge_sort_block_merge_config_selectorIN3c104HalfElEEZZNS1_27merge_sort_block_merge_implIS3_PS6_N6thrust23THRUST_200600_302600_NS10device_ptrIlEEmNSB_4lessIS6_EEEE10hipError_tT0_T1_T2_jT3_P12ihipStream_tbPNSt15iterator_traitsISH_E10value_typeEPNSN_ISI_E10value_typeEPSJ_NS1_7vsmem_tEENKUlT_SH_SI_SJ_E_clIS9_S9_PlSD_EESG_SW_SH_SI_SJ_EUlSW_E1_NS1_11comp_targetILNS1_3genE0ELNS1_11target_archE4294967295ELNS1_3gpuE0ELNS1_3repE0EEENS1_36merge_oddeven_config_static_selectorELNS0_4arch9wavefront6targetE1EEEvSI_,@function
_ZN7rocprim17ROCPRIM_400000_NS6detail17trampoline_kernelINS0_14default_configENS1_38merge_sort_block_merge_config_selectorIN3c104HalfElEEZZNS1_27merge_sort_block_merge_implIS3_PS6_N6thrust23THRUST_200600_302600_NS10device_ptrIlEEmNSB_4lessIS6_EEEE10hipError_tT0_T1_T2_jT3_P12ihipStream_tbPNSt15iterator_traitsISH_E10value_typeEPNSN_ISI_E10value_typeEPSJ_NS1_7vsmem_tEENKUlT_SH_SI_SJ_E_clIS9_S9_PlSD_EESG_SW_SH_SI_SJ_EUlSW_E1_NS1_11comp_targetILNS1_3genE0ELNS1_11target_archE4294967295ELNS1_3gpuE0ELNS1_3repE0EEENS1_36merge_oddeven_config_static_selectorELNS0_4arch9wavefront6targetE1EEEvSI_: ; @_ZN7rocprim17ROCPRIM_400000_NS6detail17trampoline_kernelINS0_14default_configENS1_38merge_sort_block_merge_config_selectorIN3c104HalfElEEZZNS1_27merge_sort_block_merge_implIS3_PS6_N6thrust23THRUST_200600_302600_NS10device_ptrIlEEmNSB_4lessIS6_EEEE10hipError_tT0_T1_T2_jT3_P12ihipStream_tbPNSt15iterator_traitsISH_E10value_typeEPNSN_ISI_E10value_typeEPSJ_NS1_7vsmem_tEENKUlT_SH_SI_SJ_E_clIS9_S9_PlSD_EESG_SW_SH_SI_SJ_EUlSW_E1_NS1_11comp_targetILNS1_3genE0ELNS1_11target_archE4294967295ELNS1_3gpuE0ELNS1_3repE0EEENS1_36merge_oddeven_config_static_selectorELNS0_4arch9wavefront6targetE1EEEvSI_
; %bb.0:
	.section	.rodata,"a",@progbits
	.p2align	6, 0x0
	.amdhsa_kernel _ZN7rocprim17ROCPRIM_400000_NS6detail17trampoline_kernelINS0_14default_configENS1_38merge_sort_block_merge_config_selectorIN3c104HalfElEEZZNS1_27merge_sort_block_merge_implIS3_PS6_N6thrust23THRUST_200600_302600_NS10device_ptrIlEEmNSB_4lessIS6_EEEE10hipError_tT0_T1_T2_jT3_P12ihipStream_tbPNSt15iterator_traitsISH_E10value_typeEPNSN_ISI_E10value_typeEPSJ_NS1_7vsmem_tEENKUlT_SH_SI_SJ_E_clIS9_S9_PlSD_EESG_SW_SH_SI_SJ_EUlSW_E1_NS1_11comp_targetILNS1_3genE0ELNS1_11target_archE4294967295ELNS1_3gpuE0ELNS1_3repE0EEENS1_36merge_oddeven_config_static_selectorELNS0_4arch9wavefront6targetE1EEEvSI_
		.amdhsa_group_segment_fixed_size 0
		.amdhsa_private_segment_fixed_size 0
		.amdhsa_kernarg_size 56
		.amdhsa_user_sgpr_count 6
		.amdhsa_user_sgpr_private_segment_buffer 1
		.amdhsa_user_sgpr_dispatch_ptr 0
		.amdhsa_user_sgpr_queue_ptr 0
		.amdhsa_user_sgpr_kernarg_segment_ptr 1
		.amdhsa_user_sgpr_dispatch_id 0
		.amdhsa_user_sgpr_flat_scratch_init 0
		.amdhsa_user_sgpr_private_segment_size 0
		.amdhsa_uses_dynamic_stack 0
		.amdhsa_system_sgpr_private_segment_wavefront_offset 0
		.amdhsa_system_sgpr_workgroup_id_x 1
		.amdhsa_system_sgpr_workgroup_id_y 0
		.amdhsa_system_sgpr_workgroup_id_z 0
		.amdhsa_system_sgpr_workgroup_info 0
		.amdhsa_system_vgpr_workitem_id 0
		.amdhsa_next_free_vgpr 1
		.amdhsa_next_free_sgpr 0
		.amdhsa_reserve_vcc 0
		.amdhsa_reserve_flat_scratch 0
		.amdhsa_float_round_mode_32 0
		.amdhsa_float_round_mode_16_64 0
		.amdhsa_float_denorm_mode_32 3
		.amdhsa_float_denorm_mode_16_64 3
		.amdhsa_dx10_clamp 1
		.amdhsa_ieee_mode 1
		.amdhsa_fp16_overflow 0
		.amdhsa_exception_fp_ieee_invalid_op 0
		.amdhsa_exception_fp_denorm_src 0
		.amdhsa_exception_fp_ieee_div_zero 0
		.amdhsa_exception_fp_ieee_overflow 0
		.amdhsa_exception_fp_ieee_underflow 0
		.amdhsa_exception_fp_ieee_inexact 0
		.amdhsa_exception_int_div_zero 0
	.end_amdhsa_kernel
	.section	.text._ZN7rocprim17ROCPRIM_400000_NS6detail17trampoline_kernelINS0_14default_configENS1_38merge_sort_block_merge_config_selectorIN3c104HalfElEEZZNS1_27merge_sort_block_merge_implIS3_PS6_N6thrust23THRUST_200600_302600_NS10device_ptrIlEEmNSB_4lessIS6_EEEE10hipError_tT0_T1_T2_jT3_P12ihipStream_tbPNSt15iterator_traitsISH_E10value_typeEPNSN_ISI_E10value_typeEPSJ_NS1_7vsmem_tEENKUlT_SH_SI_SJ_E_clIS9_S9_PlSD_EESG_SW_SH_SI_SJ_EUlSW_E1_NS1_11comp_targetILNS1_3genE0ELNS1_11target_archE4294967295ELNS1_3gpuE0ELNS1_3repE0EEENS1_36merge_oddeven_config_static_selectorELNS0_4arch9wavefront6targetE1EEEvSI_,"axG",@progbits,_ZN7rocprim17ROCPRIM_400000_NS6detail17trampoline_kernelINS0_14default_configENS1_38merge_sort_block_merge_config_selectorIN3c104HalfElEEZZNS1_27merge_sort_block_merge_implIS3_PS6_N6thrust23THRUST_200600_302600_NS10device_ptrIlEEmNSB_4lessIS6_EEEE10hipError_tT0_T1_T2_jT3_P12ihipStream_tbPNSt15iterator_traitsISH_E10value_typeEPNSN_ISI_E10value_typeEPSJ_NS1_7vsmem_tEENKUlT_SH_SI_SJ_E_clIS9_S9_PlSD_EESG_SW_SH_SI_SJ_EUlSW_E1_NS1_11comp_targetILNS1_3genE0ELNS1_11target_archE4294967295ELNS1_3gpuE0ELNS1_3repE0EEENS1_36merge_oddeven_config_static_selectorELNS0_4arch9wavefront6targetE1EEEvSI_,comdat
.Lfunc_end2140:
	.size	_ZN7rocprim17ROCPRIM_400000_NS6detail17trampoline_kernelINS0_14default_configENS1_38merge_sort_block_merge_config_selectorIN3c104HalfElEEZZNS1_27merge_sort_block_merge_implIS3_PS6_N6thrust23THRUST_200600_302600_NS10device_ptrIlEEmNSB_4lessIS6_EEEE10hipError_tT0_T1_T2_jT3_P12ihipStream_tbPNSt15iterator_traitsISH_E10value_typeEPNSN_ISI_E10value_typeEPSJ_NS1_7vsmem_tEENKUlT_SH_SI_SJ_E_clIS9_S9_PlSD_EESG_SW_SH_SI_SJ_EUlSW_E1_NS1_11comp_targetILNS1_3genE0ELNS1_11target_archE4294967295ELNS1_3gpuE0ELNS1_3repE0EEENS1_36merge_oddeven_config_static_selectorELNS0_4arch9wavefront6targetE1EEEvSI_, .Lfunc_end2140-_ZN7rocprim17ROCPRIM_400000_NS6detail17trampoline_kernelINS0_14default_configENS1_38merge_sort_block_merge_config_selectorIN3c104HalfElEEZZNS1_27merge_sort_block_merge_implIS3_PS6_N6thrust23THRUST_200600_302600_NS10device_ptrIlEEmNSB_4lessIS6_EEEE10hipError_tT0_T1_T2_jT3_P12ihipStream_tbPNSt15iterator_traitsISH_E10value_typeEPNSN_ISI_E10value_typeEPSJ_NS1_7vsmem_tEENKUlT_SH_SI_SJ_E_clIS9_S9_PlSD_EESG_SW_SH_SI_SJ_EUlSW_E1_NS1_11comp_targetILNS1_3genE0ELNS1_11target_archE4294967295ELNS1_3gpuE0ELNS1_3repE0EEENS1_36merge_oddeven_config_static_selectorELNS0_4arch9wavefront6targetE1EEEvSI_
                                        ; -- End function
	.set _ZN7rocprim17ROCPRIM_400000_NS6detail17trampoline_kernelINS0_14default_configENS1_38merge_sort_block_merge_config_selectorIN3c104HalfElEEZZNS1_27merge_sort_block_merge_implIS3_PS6_N6thrust23THRUST_200600_302600_NS10device_ptrIlEEmNSB_4lessIS6_EEEE10hipError_tT0_T1_T2_jT3_P12ihipStream_tbPNSt15iterator_traitsISH_E10value_typeEPNSN_ISI_E10value_typeEPSJ_NS1_7vsmem_tEENKUlT_SH_SI_SJ_E_clIS9_S9_PlSD_EESG_SW_SH_SI_SJ_EUlSW_E1_NS1_11comp_targetILNS1_3genE0ELNS1_11target_archE4294967295ELNS1_3gpuE0ELNS1_3repE0EEENS1_36merge_oddeven_config_static_selectorELNS0_4arch9wavefront6targetE1EEEvSI_.num_vgpr, 0
	.set _ZN7rocprim17ROCPRIM_400000_NS6detail17trampoline_kernelINS0_14default_configENS1_38merge_sort_block_merge_config_selectorIN3c104HalfElEEZZNS1_27merge_sort_block_merge_implIS3_PS6_N6thrust23THRUST_200600_302600_NS10device_ptrIlEEmNSB_4lessIS6_EEEE10hipError_tT0_T1_T2_jT3_P12ihipStream_tbPNSt15iterator_traitsISH_E10value_typeEPNSN_ISI_E10value_typeEPSJ_NS1_7vsmem_tEENKUlT_SH_SI_SJ_E_clIS9_S9_PlSD_EESG_SW_SH_SI_SJ_EUlSW_E1_NS1_11comp_targetILNS1_3genE0ELNS1_11target_archE4294967295ELNS1_3gpuE0ELNS1_3repE0EEENS1_36merge_oddeven_config_static_selectorELNS0_4arch9wavefront6targetE1EEEvSI_.num_agpr, 0
	.set _ZN7rocprim17ROCPRIM_400000_NS6detail17trampoline_kernelINS0_14default_configENS1_38merge_sort_block_merge_config_selectorIN3c104HalfElEEZZNS1_27merge_sort_block_merge_implIS3_PS6_N6thrust23THRUST_200600_302600_NS10device_ptrIlEEmNSB_4lessIS6_EEEE10hipError_tT0_T1_T2_jT3_P12ihipStream_tbPNSt15iterator_traitsISH_E10value_typeEPNSN_ISI_E10value_typeEPSJ_NS1_7vsmem_tEENKUlT_SH_SI_SJ_E_clIS9_S9_PlSD_EESG_SW_SH_SI_SJ_EUlSW_E1_NS1_11comp_targetILNS1_3genE0ELNS1_11target_archE4294967295ELNS1_3gpuE0ELNS1_3repE0EEENS1_36merge_oddeven_config_static_selectorELNS0_4arch9wavefront6targetE1EEEvSI_.numbered_sgpr, 0
	.set _ZN7rocprim17ROCPRIM_400000_NS6detail17trampoline_kernelINS0_14default_configENS1_38merge_sort_block_merge_config_selectorIN3c104HalfElEEZZNS1_27merge_sort_block_merge_implIS3_PS6_N6thrust23THRUST_200600_302600_NS10device_ptrIlEEmNSB_4lessIS6_EEEE10hipError_tT0_T1_T2_jT3_P12ihipStream_tbPNSt15iterator_traitsISH_E10value_typeEPNSN_ISI_E10value_typeEPSJ_NS1_7vsmem_tEENKUlT_SH_SI_SJ_E_clIS9_S9_PlSD_EESG_SW_SH_SI_SJ_EUlSW_E1_NS1_11comp_targetILNS1_3genE0ELNS1_11target_archE4294967295ELNS1_3gpuE0ELNS1_3repE0EEENS1_36merge_oddeven_config_static_selectorELNS0_4arch9wavefront6targetE1EEEvSI_.num_named_barrier, 0
	.set _ZN7rocprim17ROCPRIM_400000_NS6detail17trampoline_kernelINS0_14default_configENS1_38merge_sort_block_merge_config_selectorIN3c104HalfElEEZZNS1_27merge_sort_block_merge_implIS3_PS6_N6thrust23THRUST_200600_302600_NS10device_ptrIlEEmNSB_4lessIS6_EEEE10hipError_tT0_T1_T2_jT3_P12ihipStream_tbPNSt15iterator_traitsISH_E10value_typeEPNSN_ISI_E10value_typeEPSJ_NS1_7vsmem_tEENKUlT_SH_SI_SJ_E_clIS9_S9_PlSD_EESG_SW_SH_SI_SJ_EUlSW_E1_NS1_11comp_targetILNS1_3genE0ELNS1_11target_archE4294967295ELNS1_3gpuE0ELNS1_3repE0EEENS1_36merge_oddeven_config_static_selectorELNS0_4arch9wavefront6targetE1EEEvSI_.private_seg_size, 0
	.set _ZN7rocprim17ROCPRIM_400000_NS6detail17trampoline_kernelINS0_14default_configENS1_38merge_sort_block_merge_config_selectorIN3c104HalfElEEZZNS1_27merge_sort_block_merge_implIS3_PS6_N6thrust23THRUST_200600_302600_NS10device_ptrIlEEmNSB_4lessIS6_EEEE10hipError_tT0_T1_T2_jT3_P12ihipStream_tbPNSt15iterator_traitsISH_E10value_typeEPNSN_ISI_E10value_typeEPSJ_NS1_7vsmem_tEENKUlT_SH_SI_SJ_E_clIS9_S9_PlSD_EESG_SW_SH_SI_SJ_EUlSW_E1_NS1_11comp_targetILNS1_3genE0ELNS1_11target_archE4294967295ELNS1_3gpuE0ELNS1_3repE0EEENS1_36merge_oddeven_config_static_selectorELNS0_4arch9wavefront6targetE1EEEvSI_.uses_vcc, 0
	.set _ZN7rocprim17ROCPRIM_400000_NS6detail17trampoline_kernelINS0_14default_configENS1_38merge_sort_block_merge_config_selectorIN3c104HalfElEEZZNS1_27merge_sort_block_merge_implIS3_PS6_N6thrust23THRUST_200600_302600_NS10device_ptrIlEEmNSB_4lessIS6_EEEE10hipError_tT0_T1_T2_jT3_P12ihipStream_tbPNSt15iterator_traitsISH_E10value_typeEPNSN_ISI_E10value_typeEPSJ_NS1_7vsmem_tEENKUlT_SH_SI_SJ_E_clIS9_S9_PlSD_EESG_SW_SH_SI_SJ_EUlSW_E1_NS1_11comp_targetILNS1_3genE0ELNS1_11target_archE4294967295ELNS1_3gpuE0ELNS1_3repE0EEENS1_36merge_oddeven_config_static_selectorELNS0_4arch9wavefront6targetE1EEEvSI_.uses_flat_scratch, 0
	.set _ZN7rocprim17ROCPRIM_400000_NS6detail17trampoline_kernelINS0_14default_configENS1_38merge_sort_block_merge_config_selectorIN3c104HalfElEEZZNS1_27merge_sort_block_merge_implIS3_PS6_N6thrust23THRUST_200600_302600_NS10device_ptrIlEEmNSB_4lessIS6_EEEE10hipError_tT0_T1_T2_jT3_P12ihipStream_tbPNSt15iterator_traitsISH_E10value_typeEPNSN_ISI_E10value_typeEPSJ_NS1_7vsmem_tEENKUlT_SH_SI_SJ_E_clIS9_S9_PlSD_EESG_SW_SH_SI_SJ_EUlSW_E1_NS1_11comp_targetILNS1_3genE0ELNS1_11target_archE4294967295ELNS1_3gpuE0ELNS1_3repE0EEENS1_36merge_oddeven_config_static_selectorELNS0_4arch9wavefront6targetE1EEEvSI_.has_dyn_sized_stack, 0
	.set _ZN7rocprim17ROCPRIM_400000_NS6detail17trampoline_kernelINS0_14default_configENS1_38merge_sort_block_merge_config_selectorIN3c104HalfElEEZZNS1_27merge_sort_block_merge_implIS3_PS6_N6thrust23THRUST_200600_302600_NS10device_ptrIlEEmNSB_4lessIS6_EEEE10hipError_tT0_T1_T2_jT3_P12ihipStream_tbPNSt15iterator_traitsISH_E10value_typeEPNSN_ISI_E10value_typeEPSJ_NS1_7vsmem_tEENKUlT_SH_SI_SJ_E_clIS9_S9_PlSD_EESG_SW_SH_SI_SJ_EUlSW_E1_NS1_11comp_targetILNS1_3genE0ELNS1_11target_archE4294967295ELNS1_3gpuE0ELNS1_3repE0EEENS1_36merge_oddeven_config_static_selectorELNS0_4arch9wavefront6targetE1EEEvSI_.has_recursion, 0
	.set _ZN7rocprim17ROCPRIM_400000_NS6detail17trampoline_kernelINS0_14default_configENS1_38merge_sort_block_merge_config_selectorIN3c104HalfElEEZZNS1_27merge_sort_block_merge_implIS3_PS6_N6thrust23THRUST_200600_302600_NS10device_ptrIlEEmNSB_4lessIS6_EEEE10hipError_tT0_T1_T2_jT3_P12ihipStream_tbPNSt15iterator_traitsISH_E10value_typeEPNSN_ISI_E10value_typeEPSJ_NS1_7vsmem_tEENKUlT_SH_SI_SJ_E_clIS9_S9_PlSD_EESG_SW_SH_SI_SJ_EUlSW_E1_NS1_11comp_targetILNS1_3genE0ELNS1_11target_archE4294967295ELNS1_3gpuE0ELNS1_3repE0EEENS1_36merge_oddeven_config_static_selectorELNS0_4arch9wavefront6targetE1EEEvSI_.has_indirect_call, 0
	.section	.AMDGPU.csdata,"",@progbits
; Kernel info:
; codeLenInByte = 0
; TotalNumSgprs: 4
; NumVgprs: 0
; ScratchSize: 0
; MemoryBound: 0
; FloatMode: 240
; IeeeMode: 1
; LDSByteSize: 0 bytes/workgroup (compile time only)
; SGPRBlocks: 0
; VGPRBlocks: 0
; NumSGPRsForWavesPerEU: 4
; NumVGPRsForWavesPerEU: 1
; Occupancy: 10
; WaveLimiterHint : 0
; COMPUTE_PGM_RSRC2:SCRATCH_EN: 0
; COMPUTE_PGM_RSRC2:USER_SGPR: 6
; COMPUTE_PGM_RSRC2:TRAP_HANDLER: 0
; COMPUTE_PGM_RSRC2:TGID_X_EN: 1
; COMPUTE_PGM_RSRC2:TGID_Y_EN: 0
; COMPUTE_PGM_RSRC2:TGID_Z_EN: 0
; COMPUTE_PGM_RSRC2:TIDIG_COMP_CNT: 0
	.section	.text._ZN7rocprim17ROCPRIM_400000_NS6detail17trampoline_kernelINS0_14default_configENS1_38merge_sort_block_merge_config_selectorIN3c104HalfElEEZZNS1_27merge_sort_block_merge_implIS3_PS6_N6thrust23THRUST_200600_302600_NS10device_ptrIlEEmNSB_4lessIS6_EEEE10hipError_tT0_T1_T2_jT3_P12ihipStream_tbPNSt15iterator_traitsISH_E10value_typeEPNSN_ISI_E10value_typeEPSJ_NS1_7vsmem_tEENKUlT_SH_SI_SJ_E_clIS9_S9_PlSD_EESG_SW_SH_SI_SJ_EUlSW_E1_NS1_11comp_targetILNS1_3genE10ELNS1_11target_archE1201ELNS1_3gpuE5ELNS1_3repE0EEENS1_36merge_oddeven_config_static_selectorELNS0_4arch9wavefront6targetE1EEEvSI_,"axG",@progbits,_ZN7rocprim17ROCPRIM_400000_NS6detail17trampoline_kernelINS0_14default_configENS1_38merge_sort_block_merge_config_selectorIN3c104HalfElEEZZNS1_27merge_sort_block_merge_implIS3_PS6_N6thrust23THRUST_200600_302600_NS10device_ptrIlEEmNSB_4lessIS6_EEEE10hipError_tT0_T1_T2_jT3_P12ihipStream_tbPNSt15iterator_traitsISH_E10value_typeEPNSN_ISI_E10value_typeEPSJ_NS1_7vsmem_tEENKUlT_SH_SI_SJ_E_clIS9_S9_PlSD_EESG_SW_SH_SI_SJ_EUlSW_E1_NS1_11comp_targetILNS1_3genE10ELNS1_11target_archE1201ELNS1_3gpuE5ELNS1_3repE0EEENS1_36merge_oddeven_config_static_selectorELNS0_4arch9wavefront6targetE1EEEvSI_,comdat
	.protected	_ZN7rocprim17ROCPRIM_400000_NS6detail17trampoline_kernelINS0_14default_configENS1_38merge_sort_block_merge_config_selectorIN3c104HalfElEEZZNS1_27merge_sort_block_merge_implIS3_PS6_N6thrust23THRUST_200600_302600_NS10device_ptrIlEEmNSB_4lessIS6_EEEE10hipError_tT0_T1_T2_jT3_P12ihipStream_tbPNSt15iterator_traitsISH_E10value_typeEPNSN_ISI_E10value_typeEPSJ_NS1_7vsmem_tEENKUlT_SH_SI_SJ_E_clIS9_S9_PlSD_EESG_SW_SH_SI_SJ_EUlSW_E1_NS1_11comp_targetILNS1_3genE10ELNS1_11target_archE1201ELNS1_3gpuE5ELNS1_3repE0EEENS1_36merge_oddeven_config_static_selectorELNS0_4arch9wavefront6targetE1EEEvSI_ ; -- Begin function _ZN7rocprim17ROCPRIM_400000_NS6detail17trampoline_kernelINS0_14default_configENS1_38merge_sort_block_merge_config_selectorIN3c104HalfElEEZZNS1_27merge_sort_block_merge_implIS3_PS6_N6thrust23THRUST_200600_302600_NS10device_ptrIlEEmNSB_4lessIS6_EEEE10hipError_tT0_T1_T2_jT3_P12ihipStream_tbPNSt15iterator_traitsISH_E10value_typeEPNSN_ISI_E10value_typeEPSJ_NS1_7vsmem_tEENKUlT_SH_SI_SJ_E_clIS9_S9_PlSD_EESG_SW_SH_SI_SJ_EUlSW_E1_NS1_11comp_targetILNS1_3genE10ELNS1_11target_archE1201ELNS1_3gpuE5ELNS1_3repE0EEENS1_36merge_oddeven_config_static_selectorELNS0_4arch9wavefront6targetE1EEEvSI_
	.globl	_ZN7rocprim17ROCPRIM_400000_NS6detail17trampoline_kernelINS0_14default_configENS1_38merge_sort_block_merge_config_selectorIN3c104HalfElEEZZNS1_27merge_sort_block_merge_implIS3_PS6_N6thrust23THRUST_200600_302600_NS10device_ptrIlEEmNSB_4lessIS6_EEEE10hipError_tT0_T1_T2_jT3_P12ihipStream_tbPNSt15iterator_traitsISH_E10value_typeEPNSN_ISI_E10value_typeEPSJ_NS1_7vsmem_tEENKUlT_SH_SI_SJ_E_clIS9_S9_PlSD_EESG_SW_SH_SI_SJ_EUlSW_E1_NS1_11comp_targetILNS1_3genE10ELNS1_11target_archE1201ELNS1_3gpuE5ELNS1_3repE0EEENS1_36merge_oddeven_config_static_selectorELNS0_4arch9wavefront6targetE1EEEvSI_
	.p2align	8
	.type	_ZN7rocprim17ROCPRIM_400000_NS6detail17trampoline_kernelINS0_14default_configENS1_38merge_sort_block_merge_config_selectorIN3c104HalfElEEZZNS1_27merge_sort_block_merge_implIS3_PS6_N6thrust23THRUST_200600_302600_NS10device_ptrIlEEmNSB_4lessIS6_EEEE10hipError_tT0_T1_T2_jT3_P12ihipStream_tbPNSt15iterator_traitsISH_E10value_typeEPNSN_ISI_E10value_typeEPSJ_NS1_7vsmem_tEENKUlT_SH_SI_SJ_E_clIS9_S9_PlSD_EESG_SW_SH_SI_SJ_EUlSW_E1_NS1_11comp_targetILNS1_3genE10ELNS1_11target_archE1201ELNS1_3gpuE5ELNS1_3repE0EEENS1_36merge_oddeven_config_static_selectorELNS0_4arch9wavefront6targetE1EEEvSI_,@function
_ZN7rocprim17ROCPRIM_400000_NS6detail17trampoline_kernelINS0_14default_configENS1_38merge_sort_block_merge_config_selectorIN3c104HalfElEEZZNS1_27merge_sort_block_merge_implIS3_PS6_N6thrust23THRUST_200600_302600_NS10device_ptrIlEEmNSB_4lessIS6_EEEE10hipError_tT0_T1_T2_jT3_P12ihipStream_tbPNSt15iterator_traitsISH_E10value_typeEPNSN_ISI_E10value_typeEPSJ_NS1_7vsmem_tEENKUlT_SH_SI_SJ_E_clIS9_S9_PlSD_EESG_SW_SH_SI_SJ_EUlSW_E1_NS1_11comp_targetILNS1_3genE10ELNS1_11target_archE1201ELNS1_3gpuE5ELNS1_3repE0EEENS1_36merge_oddeven_config_static_selectorELNS0_4arch9wavefront6targetE1EEEvSI_: ; @_ZN7rocprim17ROCPRIM_400000_NS6detail17trampoline_kernelINS0_14default_configENS1_38merge_sort_block_merge_config_selectorIN3c104HalfElEEZZNS1_27merge_sort_block_merge_implIS3_PS6_N6thrust23THRUST_200600_302600_NS10device_ptrIlEEmNSB_4lessIS6_EEEE10hipError_tT0_T1_T2_jT3_P12ihipStream_tbPNSt15iterator_traitsISH_E10value_typeEPNSN_ISI_E10value_typeEPSJ_NS1_7vsmem_tEENKUlT_SH_SI_SJ_E_clIS9_S9_PlSD_EESG_SW_SH_SI_SJ_EUlSW_E1_NS1_11comp_targetILNS1_3genE10ELNS1_11target_archE1201ELNS1_3gpuE5ELNS1_3repE0EEENS1_36merge_oddeven_config_static_selectorELNS0_4arch9wavefront6targetE1EEEvSI_
; %bb.0:
	.section	.rodata,"a",@progbits
	.p2align	6, 0x0
	.amdhsa_kernel _ZN7rocprim17ROCPRIM_400000_NS6detail17trampoline_kernelINS0_14default_configENS1_38merge_sort_block_merge_config_selectorIN3c104HalfElEEZZNS1_27merge_sort_block_merge_implIS3_PS6_N6thrust23THRUST_200600_302600_NS10device_ptrIlEEmNSB_4lessIS6_EEEE10hipError_tT0_T1_T2_jT3_P12ihipStream_tbPNSt15iterator_traitsISH_E10value_typeEPNSN_ISI_E10value_typeEPSJ_NS1_7vsmem_tEENKUlT_SH_SI_SJ_E_clIS9_S9_PlSD_EESG_SW_SH_SI_SJ_EUlSW_E1_NS1_11comp_targetILNS1_3genE10ELNS1_11target_archE1201ELNS1_3gpuE5ELNS1_3repE0EEENS1_36merge_oddeven_config_static_selectorELNS0_4arch9wavefront6targetE1EEEvSI_
		.amdhsa_group_segment_fixed_size 0
		.amdhsa_private_segment_fixed_size 0
		.amdhsa_kernarg_size 56
		.amdhsa_user_sgpr_count 6
		.amdhsa_user_sgpr_private_segment_buffer 1
		.amdhsa_user_sgpr_dispatch_ptr 0
		.amdhsa_user_sgpr_queue_ptr 0
		.amdhsa_user_sgpr_kernarg_segment_ptr 1
		.amdhsa_user_sgpr_dispatch_id 0
		.amdhsa_user_sgpr_flat_scratch_init 0
		.amdhsa_user_sgpr_private_segment_size 0
		.amdhsa_uses_dynamic_stack 0
		.amdhsa_system_sgpr_private_segment_wavefront_offset 0
		.amdhsa_system_sgpr_workgroup_id_x 1
		.amdhsa_system_sgpr_workgroup_id_y 0
		.amdhsa_system_sgpr_workgroup_id_z 0
		.amdhsa_system_sgpr_workgroup_info 0
		.amdhsa_system_vgpr_workitem_id 0
		.amdhsa_next_free_vgpr 1
		.amdhsa_next_free_sgpr 0
		.amdhsa_reserve_vcc 0
		.amdhsa_reserve_flat_scratch 0
		.amdhsa_float_round_mode_32 0
		.amdhsa_float_round_mode_16_64 0
		.amdhsa_float_denorm_mode_32 3
		.amdhsa_float_denorm_mode_16_64 3
		.amdhsa_dx10_clamp 1
		.amdhsa_ieee_mode 1
		.amdhsa_fp16_overflow 0
		.amdhsa_exception_fp_ieee_invalid_op 0
		.amdhsa_exception_fp_denorm_src 0
		.amdhsa_exception_fp_ieee_div_zero 0
		.amdhsa_exception_fp_ieee_overflow 0
		.amdhsa_exception_fp_ieee_underflow 0
		.amdhsa_exception_fp_ieee_inexact 0
		.amdhsa_exception_int_div_zero 0
	.end_amdhsa_kernel
	.section	.text._ZN7rocprim17ROCPRIM_400000_NS6detail17trampoline_kernelINS0_14default_configENS1_38merge_sort_block_merge_config_selectorIN3c104HalfElEEZZNS1_27merge_sort_block_merge_implIS3_PS6_N6thrust23THRUST_200600_302600_NS10device_ptrIlEEmNSB_4lessIS6_EEEE10hipError_tT0_T1_T2_jT3_P12ihipStream_tbPNSt15iterator_traitsISH_E10value_typeEPNSN_ISI_E10value_typeEPSJ_NS1_7vsmem_tEENKUlT_SH_SI_SJ_E_clIS9_S9_PlSD_EESG_SW_SH_SI_SJ_EUlSW_E1_NS1_11comp_targetILNS1_3genE10ELNS1_11target_archE1201ELNS1_3gpuE5ELNS1_3repE0EEENS1_36merge_oddeven_config_static_selectorELNS0_4arch9wavefront6targetE1EEEvSI_,"axG",@progbits,_ZN7rocprim17ROCPRIM_400000_NS6detail17trampoline_kernelINS0_14default_configENS1_38merge_sort_block_merge_config_selectorIN3c104HalfElEEZZNS1_27merge_sort_block_merge_implIS3_PS6_N6thrust23THRUST_200600_302600_NS10device_ptrIlEEmNSB_4lessIS6_EEEE10hipError_tT0_T1_T2_jT3_P12ihipStream_tbPNSt15iterator_traitsISH_E10value_typeEPNSN_ISI_E10value_typeEPSJ_NS1_7vsmem_tEENKUlT_SH_SI_SJ_E_clIS9_S9_PlSD_EESG_SW_SH_SI_SJ_EUlSW_E1_NS1_11comp_targetILNS1_3genE10ELNS1_11target_archE1201ELNS1_3gpuE5ELNS1_3repE0EEENS1_36merge_oddeven_config_static_selectorELNS0_4arch9wavefront6targetE1EEEvSI_,comdat
.Lfunc_end2141:
	.size	_ZN7rocprim17ROCPRIM_400000_NS6detail17trampoline_kernelINS0_14default_configENS1_38merge_sort_block_merge_config_selectorIN3c104HalfElEEZZNS1_27merge_sort_block_merge_implIS3_PS6_N6thrust23THRUST_200600_302600_NS10device_ptrIlEEmNSB_4lessIS6_EEEE10hipError_tT0_T1_T2_jT3_P12ihipStream_tbPNSt15iterator_traitsISH_E10value_typeEPNSN_ISI_E10value_typeEPSJ_NS1_7vsmem_tEENKUlT_SH_SI_SJ_E_clIS9_S9_PlSD_EESG_SW_SH_SI_SJ_EUlSW_E1_NS1_11comp_targetILNS1_3genE10ELNS1_11target_archE1201ELNS1_3gpuE5ELNS1_3repE0EEENS1_36merge_oddeven_config_static_selectorELNS0_4arch9wavefront6targetE1EEEvSI_, .Lfunc_end2141-_ZN7rocprim17ROCPRIM_400000_NS6detail17trampoline_kernelINS0_14default_configENS1_38merge_sort_block_merge_config_selectorIN3c104HalfElEEZZNS1_27merge_sort_block_merge_implIS3_PS6_N6thrust23THRUST_200600_302600_NS10device_ptrIlEEmNSB_4lessIS6_EEEE10hipError_tT0_T1_T2_jT3_P12ihipStream_tbPNSt15iterator_traitsISH_E10value_typeEPNSN_ISI_E10value_typeEPSJ_NS1_7vsmem_tEENKUlT_SH_SI_SJ_E_clIS9_S9_PlSD_EESG_SW_SH_SI_SJ_EUlSW_E1_NS1_11comp_targetILNS1_3genE10ELNS1_11target_archE1201ELNS1_3gpuE5ELNS1_3repE0EEENS1_36merge_oddeven_config_static_selectorELNS0_4arch9wavefront6targetE1EEEvSI_
                                        ; -- End function
	.set _ZN7rocprim17ROCPRIM_400000_NS6detail17trampoline_kernelINS0_14default_configENS1_38merge_sort_block_merge_config_selectorIN3c104HalfElEEZZNS1_27merge_sort_block_merge_implIS3_PS6_N6thrust23THRUST_200600_302600_NS10device_ptrIlEEmNSB_4lessIS6_EEEE10hipError_tT0_T1_T2_jT3_P12ihipStream_tbPNSt15iterator_traitsISH_E10value_typeEPNSN_ISI_E10value_typeEPSJ_NS1_7vsmem_tEENKUlT_SH_SI_SJ_E_clIS9_S9_PlSD_EESG_SW_SH_SI_SJ_EUlSW_E1_NS1_11comp_targetILNS1_3genE10ELNS1_11target_archE1201ELNS1_3gpuE5ELNS1_3repE0EEENS1_36merge_oddeven_config_static_selectorELNS0_4arch9wavefront6targetE1EEEvSI_.num_vgpr, 0
	.set _ZN7rocprim17ROCPRIM_400000_NS6detail17trampoline_kernelINS0_14default_configENS1_38merge_sort_block_merge_config_selectorIN3c104HalfElEEZZNS1_27merge_sort_block_merge_implIS3_PS6_N6thrust23THRUST_200600_302600_NS10device_ptrIlEEmNSB_4lessIS6_EEEE10hipError_tT0_T1_T2_jT3_P12ihipStream_tbPNSt15iterator_traitsISH_E10value_typeEPNSN_ISI_E10value_typeEPSJ_NS1_7vsmem_tEENKUlT_SH_SI_SJ_E_clIS9_S9_PlSD_EESG_SW_SH_SI_SJ_EUlSW_E1_NS1_11comp_targetILNS1_3genE10ELNS1_11target_archE1201ELNS1_3gpuE5ELNS1_3repE0EEENS1_36merge_oddeven_config_static_selectorELNS0_4arch9wavefront6targetE1EEEvSI_.num_agpr, 0
	.set _ZN7rocprim17ROCPRIM_400000_NS6detail17trampoline_kernelINS0_14default_configENS1_38merge_sort_block_merge_config_selectorIN3c104HalfElEEZZNS1_27merge_sort_block_merge_implIS3_PS6_N6thrust23THRUST_200600_302600_NS10device_ptrIlEEmNSB_4lessIS6_EEEE10hipError_tT0_T1_T2_jT3_P12ihipStream_tbPNSt15iterator_traitsISH_E10value_typeEPNSN_ISI_E10value_typeEPSJ_NS1_7vsmem_tEENKUlT_SH_SI_SJ_E_clIS9_S9_PlSD_EESG_SW_SH_SI_SJ_EUlSW_E1_NS1_11comp_targetILNS1_3genE10ELNS1_11target_archE1201ELNS1_3gpuE5ELNS1_3repE0EEENS1_36merge_oddeven_config_static_selectorELNS0_4arch9wavefront6targetE1EEEvSI_.numbered_sgpr, 0
	.set _ZN7rocprim17ROCPRIM_400000_NS6detail17trampoline_kernelINS0_14default_configENS1_38merge_sort_block_merge_config_selectorIN3c104HalfElEEZZNS1_27merge_sort_block_merge_implIS3_PS6_N6thrust23THRUST_200600_302600_NS10device_ptrIlEEmNSB_4lessIS6_EEEE10hipError_tT0_T1_T2_jT3_P12ihipStream_tbPNSt15iterator_traitsISH_E10value_typeEPNSN_ISI_E10value_typeEPSJ_NS1_7vsmem_tEENKUlT_SH_SI_SJ_E_clIS9_S9_PlSD_EESG_SW_SH_SI_SJ_EUlSW_E1_NS1_11comp_targetILNS1_3genE10ELNS1_11target_archE1201ELNS1_3gpuE5ELNS1_3repE0EEENS1_36merge_oddeven_config_static_selectorELNS0_4arch9wavefront6targetE1EEEvSI_.num_named_barrier, 0
	.set _ZN7rocprim17ROCPRIM_400000_NS6detail17trampoline_kernelINS0_14default_configENS1_38merge_sort_block_merge_config_selectorIN3c104HalfElEEZZNS1_27merge_sort_block_merge_implIS3_PS6_N6thrust23THRUST_200600_302600_NS10device_ptrIlEEmNSB_4lessIS6_EEEE10hipError_tT0_T1_T2_jT3_P12ihipStream_tbPNSt15iterator_traitsISH_E10value_typeEPNSN_ISI_E10value_typeEPSJ_NS1_7vsmem_tEENKUlT_SH_SI_SJ_E_clIS9_S9_PlSD_EESG_SW_SH_SI_SJ_EUlSW_E1_NS1_11comp_targetILNS1_3genE10ELNS1_11target_archE1201ELNS1_3gpuE5ELNS1_3repE0EEENS1_36merge_oddeven_config_static_selectorELNS0_4arch9wavefront6targetE1EEEvSI_.private_seg_size, 0
	.set _ZN7rocprim17ROCPRIM_400000_NS6detail17trampoline_kernelINS0_14default_configENS1_38merge_sort_block_merge_config_selectorIN3c104HalfElEEZZNS1_27merge_sort_block_merge_implIS3_PS6_N6thrust23THRUST_200600_302600_NS10device_ptrIlEEmNSB_4lessIS6_EEEE10hipError_tT0_T1_T2_jT3_P12ihipStream_tbPNSt15iterator_traitsISH_E10value_typeEPNSN_ISI_E10value_typeEPSJ_NS1_7vsmem_tEENKUlT_SH_SI_SJ_E_clIS9_S9_PlSD_EESG_SW_SH_SI_SJ_EUlSW_E1_NS1_11comp_targetILNS1_3genE10ELNS1_11target_archE1201ELNS1_3gpuE5ELNS1_3repE0EEENS1_36merge_oddeven_config_static_selectorELNS0_4arch9wavefront6targetE1EEEvSI_.uses_vcc, 0
	.set _ZN7rocprim17ROCPRIM_400000_NS6detail17trampoline_kernelINS0_14default_configENS1_38merge_sort_block_merge_config_selectorIN3c104HalfElEEZZNS1_27merge_sort_block_merge_implIS3_PS6_N6thrust23THRUST_200600_302600_NS10device_ptrIlEEmNSB_4lessIS6_EEEE10hipError_tT0_T1_T2_jT3_P12ihipStream_tbPNSt15iterator_traitsISH_E10value_typeEPNSN_ISI_E10value_typeEPSJ_NS1_7vsmem_tEENKUlT_SH_SI_SJ_E_clIS9_S9_PlSD_EESG_SW_SH_SI_SJ_EUlSW_E1_NS1_11comp_targetILNS1_3genE10ELNS1_11target_archE1201ELNS1_3gpuE5ELNS1_3repE0EEENS1_36merge_oddeven_config_static_selectorELNS0_4arch9wavefront6targetE1EEEvSI_.uses_flat_scratch, 0
	.set _ZN7rocprim17ROCPRIM_400000_NS6detail17trampoline_kernelINS0_14default_configENS1_38merge_sort_block_merge_config_selectorIN3c104HalfElEEZZNS1_27merge_sort_block_merge_implIS3_PS6_N6thrust23THRUST_200600_302600_NS10device_ptrIlEEmNSB_4lessIS6_EEEE10hipError_tT0_T1_T2_jT3_P12ihipStream_tbPNSt15iterator_traitsISH_E10value_typeEPNSN_ISI_E10value_typeEPSJ_NS1_7vsmem_tEENKUlT_SH_SI_SJ_E_clIS9_S9_PlSD_EESG_SW_SH_SI_SJ_EUlSW_E1_NS1_11comp_targetILNS1_3genE10ELNS1_11target_archE1201ELNS1_3gpuE5ELNS1_3repE0EEENS1_36merge_oddeven_config_static_selectorELNS0_4arch9wavefront6targetE1EEEvSI_.has_dyn_sized_stack, 0
	.set _ZN7rocprim17ROCPRIM_400000_NS6detail17trampoline_kernelINS0_14default_configENS1_38merge_sort_block_merge_config_selectorIN3c104HalfElEEZZNS1_27merge_sort_block_merge_implIS3_PS6_N6thrust23THRUST_200600_302600_NS10device_ptrIlEEmNSB_4lessIS6_EEEE10hipError_tT0_T1_T2_jT3_P12ihipStream_tbPNSt15iterator_traitsISH_E10value_typeEPNSN_ISI_E10value_typeEPSJ_NS1_7vsmem_tEENKUlT_SH_SI_SJ_E_clIS9_S9_PlSD_EESG_SW_SH_SI_SJ_EUlSW_E1_NS1_11comp_targetILNS1_3genE10ELNS1_11target_archE1201ELNS1_3gpuE5ELNS1_3repE0EEENS1_36merge_oddeven_config_static_selectorELNS0_4arch9wavefront6targetE1EEEvSI_.has_recursion, 0
	.set _ZN7rocprim17ROCPRIM_400000_NS6detail17trampoline_kernelINS0_14default_configENS1_38merge_sort_block_merge_config_selectorIN3c104HalfElEEZZNS1_27merge_sort_block_merge_implIS3_PS6_N6thrust23THRUST_200600_302600_NS10device_ptrIlEEmNSB_4lessIS6_EEEE10hipError_tT0_T1_T2_jT3_P12ihipStream_tbPNSt15iterator_traitsISH_E10value_typeEPNSN_ISI_E10value_typeEPSJ_NS1_7vsmem_tEENKUlT_SH_SI_SJ_E_clIS9_S9_PlSD_EESG_SW_SH_SI_SJ_EUlSW_E1_NS1_11comp_targetILNS1_3genE10ELNS1_11target_archE1201ELNS1_3gpuE5ELNS1_3repE0EEENS1_36merge_oddeven_config_static_selectorELNS0_4arch9wavefront6targetE1EEEvSI_.has_indirect_call, 0
	.section	.AMDGPU.csdata,"",@progbits
; Kernel info:
; codeLenInByte = 0
; TotalNumSgprs: 4
; NumVgprs: 0
; ScratchSize: 0
; MemoryBound: 0
; FloatMode: 240
; IeeeMode: 1
; LDSByteSize: 0 bytes/workgroup (compile time only)
; SGPRBlocks: 0
; VGPRBlocks: 0
; NumSGPRsForWavesPerEU: 4
; NumVGPRsForWavesPerEU: 1
; Occupancy: 10
; WaveLimiterHint : 0
; COMPUTE_PGM_RSRC2:SCRATCH_EN: 0
; COMPUTE_PGM_RSRC2:USER_SGPR: 6
; COMPUTE_PGM_RSRC2:TRAP_HANDLER: 0
; COMPUTE_PGM_RSRC2:TGID_X_EN: 1
; COMPUTE_PGM_RSRC2:TGID_Y_EN: 0
; COMPUTE_PGM_RSRC2:TGID_Z_EN: 0
; COMPUTE_PGM_RSRC2:TIDIG_COMP_CNT: 0
	.section	.text._ZN7rocprim17ROCPRIM_400000_NS6detail17trampoline_kernelINS0_14default_configENS1_38merge_sort_block_merge_config_selectorIN3c104HalfElEEZZNS1_27merge_sort_block_merge_implIS3_PS6_N6thrust23THRUST_200600_302600_NS10device_ptrIlEEmNSB_4lessIS6_EEEE10hipError_tT0_T1_T2_jT3_P12ihipStream_tbPNSt15iterator_traitsISH_E10value_typeEPNSN_ISI_E10value_typeEPSJ_NS1_7vsmem_tEENKUlT_SH_SI_SJ_E_clIS9_S9_PlSD_EESG_SW_SH_SI_SJ_EUlSW_E1_NS1_11comp_targetILNS1_3genE5ELNS1_11target_archE942ELNS1_3gpuE9ELNS1_3repE0EEENS1_36merge_oddeven_config_static_selectorELNS0_4arch9wavefront6targetE1EEEvSI_,"axG",@progbits,_ZN7rocprim17ROCPRIM_400000_NS6detail17trampoline_kernelINS0_14default_configENS1_38merge_sort_block_merge_config_selectorIN3c104HalfElEEZZNS1_27merge_sort_block_merge_implIS3_PS6_N6thrust23THRUST_200600_302600_NS10device_ptrIlEEmNSB_4lessIS6_EEEE10hipError_tT0_T1_T2_jT3_P12ihipStream_tbPNSt15iterator_traitsISH_E10value_typeEPNSN_ISI_E10value_typeEPSJ_NS1_7vsmem_tEENKUlT_SH_SI_SJ_E_clIS9_S9_PlSD_EESG_SW_SH_SI_SJ_EUlSW_E1_NS1_11comp_targetILNS1_3genE5ELNS1_11target_archE942ELNS1_3gpuE9ELNS1_3repE0EEENS1_36merge_oddeven_config_static_selectorELNS0_4arch9wavefront6targetE1EEEvSI_,comdat
	.protected	_ZN7rocprim17ROCPRIM_400000_NS6detail17trampoline_kernelINS0_14default_configENS1_38merge_sort_block_merge_config_selectorIN3c104HalfElEEZZNS1_27merge_sort_block_merge_implIS3_PS6_N6thrust23THRUST_200600_302600_NS10device_ptrIlEEmNSB_4lessIS6_EEEE10hipError_tT0_T1_T2_jT3_P12ihipStream_tbPNSt15iterator_traitsISH_E10value_typeEPNSN_ISI_E10value_typeEPSJ_NS1_7vsmem_tEENKUlT_SH_SI_SJ_E_clIS9_S9_PlSD_EESG_SW_SH_SI_SJ_EUlSW_E1_NS1_11comp_targetILNS1_3genE5ELNS1_11target_archE942ELNS1_3gpuE9ELNS1_3repE0EEENS1_36merge_oddeven_config_static_selectorELNS0_4arch9wavefront6targetE1EEEvSI_ ; -- Begin function _ZN7rocprim17ROCPRIM_400000_NS6detail17trampoline_kernelINS0_14default_configENS1_38merge_sort_block_merge_config_selectorIN3c104HalfElEEZZNS1_27merge_sort_block_merge_implIS3_PS6_N6thrust23THRUST_200600_302600_NS10device_ptrIlEEmNSB_4lessIS6_EEEE10hipError_tT0_T1_T2_jT3_P12ihipStream_tbPNSt15iterator_traitsISH_E10value_typeEPNSN_ISI_E10value_typeEPSJ_NS1_7vsmem_tEENKUlT_SH_SI_SJ_E_clIS9_S9_PlSD_EESG_SW_SH_SI_SJ_EUlSW_E1_NS1_11comp_targetILNS1_3genE5ELNS1_11target_archE942ELNS1_3gpuE9ELNS1_3repE0EEENS1_36merge_oddeven_config_static_selectorELNS0_4arch9wavefront6targetE1EEEvSI_
	.globl	_ZN7rocprim17ROCPRIM_400000_NS6detail17trampoline_kernelINS0_14default_configENS1_38merge_sort_block_merge_config_selectorIN3c104HalfElEEZZNS1_27merge_sort_block_merge_implIS3_PS6_N6thrust23THRUST_200600_302600_NS10device_ptrIlEEmNSB_4lessIS6_EEEE10hipError_tT0_T1_T2_jT3_P12ihipStream_tbPNSt15iterator_traitsISH_E10value_typeEPNSN_ISI_E10value_typeEPSJ_NS1_7vsmem_tEENKUlT_SH_SI_SJ_E_clIS9_S9_PlSD_EESG_SW_SH_SI_SJ_EUlSW_E1_NS1_11comp_targetILNS1_3genE5ELNS1_11target_archE942ELNS1_3gpuE9ELNS1_3repE0EEENS1_36merge_oddeven_config_static_selectorELNS0_4arch9wavefront6targetE1EEEvSI_
	.p2align	8
	.type	_ZN7rocprim17ROCPRIM_400000_NS6detail17trampoline_kernelINS0_14default_configENS1_38merge_sort_block_merge_config_selectorIN3c104HalfElEEZZNS1_27merge_sort_block_merge_implIS3_PS6_N6thrust23THRUST_200600_302600_NS10device_ptrIlEEmNSB_4lessIS6_EEEE10hipError_tT0_T1_T2_jT3_P12ihipStream_tbPNSt15iterator_traitsISH_E10value_typeEPNSN_ISI_E10value_typeEPSJ_NS1_7vsmem_tEENKUlT_SH_SI_SJ_E_clIS9_S9_PlSD_EESG_SW_SH_SI_SJ_EUlSW_E1_NS1_11comp_targetILNS1_3genE5ELNS1_11target_archE942ELNS1_3gpuE9ELNS1_3repE0EEENS1_36merge_oddeven_config_static_selectorELNS0_4arch9wavefront6targetE1EEEvSI_,@function
_ZN7rocprim17ROCPRIM_400000_NS6detail17trampoline_kernelINS0_14default_configENS1_38merge_sort_block_merge_config_selectorIN3c104HalfElEEZZNS1_27merge_sort_block_merge_implIS3_PS6_N6thrust23THRUST_200600_302600_NS10device_ptrIlEEmNSB_4lessIS6_EEEE10hipError_tT0_T1_T2_jT3_P12ihipStream_tbPNSt15iterator_traitsISH_E10value_typeEPNSN_ISI_E10value_typeEPSJ_NS1_7vsmem_tEENKUlT_SH_SI_SJ_E_clIS9_S9_PlSD_EESG_SW_SH_SI_SJ_EUlSW_E1_NS1_11comp_targetILNS1_3genE5ELNS1_11target_archE942ELNS1_3gpuE9ELNS1_3repE0EEENS1_36merge_oddeven_config_static_selectorELNS0_4arch9wavefront6targetE1EEEvSI_: ; @_ZN7rocprim17ROCPRIM_400000_NS6detail17trampoline_kernelINS0_14default_configENS1_38merge_sort_block_merge_config_selectorIN3c104HalfElEEZZNS1_27merge_sort_block_merge_implIS3_PS6_N6thrust23THRUST_200600_302600_NS10device_ptrIlEEmNSB_4lessIS6_EEEE10hipError_tT0_T1_T2_jT3_P12ihipStream_tbPNSt15iterator_traitsISH_E10value_typeEPNSN_ISI_E10value_typeEPSJ_NS1_7vsmem_tEENKUlT_SH_SI_SJ_E_clIS9_S9_PlSD_EESG_SW_SH_SI_SJ_EUlSW_E1_NS1_11comp_targetILNS1_3genE5ELNS1_11target_archE942ELNS1_3gpuE9ELNS1_3repE0EEENS1_36merge_oddeven_config_static_selectorELNS0_4arch9wavefront6targetE1EEEvSI_
; %bb.0:
	.section	.rodata,"a",@progbits
	.p2align	6, 0x0
	.amdhsa_kernel _ZN7rocprim17ROCPRIM_400000_NS6detail17trampoline_kernelINS0_14default_configENS1_38merge_sort_block_merge_config_selectorIN3c104HalfElEEZZNS1_27merge_sort_block_merge_implIS3_PS6_N6thrust23THRUST_200600_302600_NS10device_ptrIlEEmNSB_4lessIS6_EEEE10hipError_tT0_T1_T2_jT3_P12ihipStream_tbPNSt15iterator_traitsISH_E10value_typeEPNSN_ISI_E10value_typeEPSJ_NS1_7vsmem_tEENKUlT_SH_SI_SJ_E_clIS9_S9_PlSD_EESG_SW_SH_SI_SJ_EUlSW_E1_NS1_11comp_targetILNS1_3genE5ELNS1_11target_archE942ELNS1_3gpuE9ELNS1_3repE0EEENS1_36merge_oddeven_config_static_selectorELNS0_4arch9wavefront6targetE1EEEvSI_
		.amdhsa_group_segment_fixed_size 0
		.amdhsa_private_segment_fixed_size 0
		.amdhsa_kernarg_size 56
		.amdhsa_user_sgpr_count 6
		.amdhsa_user_sgpr_private_segment_buffer 1
		.amdhsa_user_sgpr_dispatch_ptr 0
		.amdhsa_user_sgpr_queue_ptr 0
		.amdhsa_user_sgpr_kernarg_segment_ptr 1
		.amdhsa_user_sgpr_dispatch_id 0
		.amdhsa_user_sgpr_flat_scratch_init 0
		.amdhsa_user_sgpr_private_segment_size 0
		.amdhsa_uses_dynamic_stack 0
		.amdhsa_system_sgpr_private_segment_wavefront_offset 0
		.amdhsa_system_sgpr_workgroup_id_x 1
		.amdhsa_system_sgpr_workgroup_id_y 0
		.amdhsa_system_sgpr_workgroup_id_z 0
		.amdhsa_system_sgpr_workgroup_info 0
		.amdhsa_system_vgpr_workitem_id 0
		.amdhsa_next_free_vgpr 1
		.amdhsa_next_free_sgpr 0
		.amdhsa_reserve_vcc 0
		.amdhsa_reserve_flat_scratch 0
		.amdhsa_float_round_mode_32 0
		.amdhsa_float_round_mode_16_64 0
		.amdhsa_float_denorm_mode_32 3
		.amdhsa_float_denorm_mode_16_64 3
		.amdhsa_dx10_clamp 1
		.amdhsa_ieee_mode 1
		.amdhsa_fp16_overflow 0
		.amdhsa_exception_fp_ieee_invalid_op 0
		.amdhsa_exception_fp_denorm_src 0
		.amdhsa_exception_fp_ieee_div_zero 0
		.amdhsa_exception_fp_ieee_overflow 0
		.amdhsa_exception_fp_ieee_underflow 0
		.amdhsa_exception_fp_ieee_inexact 0
		.amdhsa_exception_int_div_zero 0
	.end_amdhsa_kernel
	.section	.text._ZN7rocprim17ROCPRIM_400000_NS6detail17trampoline_kernelINS0_14default_configENS1_38merge_sort_block_merge_config_selectorIN3c104HalfElEEZZNS1_27merge_sort_block_merge_implIS3_PS6_N6thrust23THRUST_200600_302600_NS10device_ptrIlEEmNSB_4lessIS6_EEEE10hipError_tT0_T1_T2_jT3_P12ihipStream_tbPNSt15iterator_traitsISH_E10value_typeEPNSN_ISI_E10value_typeEPSJ_NS1_7vsmem_tEENKUlT_SH_SI_SJ_E_clIS9_S9_PlSD_EESG_SW_SH_SI_SJ_EUlSW_E1_NS1_11comp_targetILNS1_3genE5ELNS1_11target_archE942ELNS1_3gpuE9ELNS1_3repE0EEENS1_36merge_oddeven_config_static_selectorELNS0_4arch9wavefront6targetE1EEEvSI_,"axG",@progbits,_ZN7rocprim17ROCPRIM_400000_NS6detail17trampoline_kernelINS0_14default_configENS1_38merge_sort_block_merge_config_selectorIN3c104HalfElEEZZNS1_27merge_sort_block_merge_implIS3_PS6_N6thrust23THRUST_200600_302600_NS10device_ptrIlEEmNSB_4lessIS6_EEEE10hipError_tT0_T1_T2_jT3_P12ihipStream_tbPNSt15iterator_traitsISH_E10value_typeEPNSN_ISI_E10value_typeEPSJ_NS1_7vsmem_tEENKUlT_SH_SI_SJ_E_clIS9_S9_PlSD_EESG_SW_SH_SI_SJ_EUlSW_E1_NS1_11comp_targetILNS1_3genE5ELNS1_11target_archE942ELNS1_3gpuE9ELNS1_3repE0EEENS1_36merge_oddeven_config_static_selectorELNS0_4arch9wavefront6targetE1EEEvSI_,comdat
.Lfunc_end2142:
	.size	_ZN7rocprim17ROCPRIM_400000_NS6detail17trampoline_kernelINS0_14default_configENS1_38merge_sort_block_merge_config_selectorIN3c104HalfElEEZZNS1_27merge_sort_block_merge_implIS3_PS6_N6thrust23THRUST_200600_302600_NS10device_ptrIlEEmNSB_4lessIS6_EEEE10hipError_tT0_T1_T2_jT3_P12ihipStream_tbPNSt15iterator_traitsISH_E10value_typeEPNSN_ISI_E10value_typeEPSJ_NS1_7vsmem_tEENKUlT_SH_SI_SJ_E_clIS9_S9_PlSD_EESG_SW_SH_SI_SJ_EUlSW_E1_NS1_11comp_targetILNS1_3genE5ELNS1_11target_archE942ELNS1_3gpuE9ELNS1_3repE0EEENS1_36merge_oddeven_config_static_selectorELNS0_4arch9wavefront6targetE1EEEvSI_, .Lfunc_end2142-_ZN7rocprim17ROCPRIM_400000_NS6detail17trampoline_kernelINS0_14default_configENS1_38merge_sort_block_merge_config_selectorIN3c104HalfElEEZZNS1_27merge_sort_block_merge_implIS3_PS6_N6thrust23THRUST_200600_302600_NS10device_ptrIlEEmNSB_4lessIS6_EEEE10hipError_tT0_T1_T2_jT3_P12ihipStream_tbPNSt15iterator_traitsISH_E10value_typeEPNSN_ISI_E10value_typeEPSJ_NS1_7vsmem_tEENKUlT_SH_SI_SJ_E_clIS9_S9_PlSD_EESG_SW_SH_SI_SJ_EUlSW_E1_NS1_11comp_targetILNS1_3genE5ELNS1_11target_archE942ELNS1_3gpuE9ELNS1_3repE0EEENS1_36merge_oddeven_config_static_selectorELNS0_4arch9wavefront6targetE1EEEvSI_
                                        ; -- End function
	.set _ZN7rocprim17ROCPRIM_400000_NS6detail17trampoline_kernelINS0_14default_configENS1_38merge_sort_block_merge_config_selectorIN3c104HalfElEEZZNS1_27merge_sort_block_merge_implIS3_PS6_N6thrust23THRUST_200600_302600_NS10device_ptrIlEEmNSB_4lessIS6_EEEE10hipError_tT0_T1_T2_jT3_P12ihipStream_tbPNSt15iterator_traitsISH_E10value_typeEPNSN_ISI_E10value_typeEPSJ_NS1_7vsmem_tEENKUlT_SH_SI_SJ_E_clIS9_S9_PlSD_EESG_SW_SH_SI_SJ_EUlSW_E1_NS1_11comp_targetILNS1_3genE5ELNS1_11target_archE942ELNS1_3gpuE9ELNS1_3repE0EEENS1_36merge_oddeven_config_static_selectorELNS0_4arch9wavefront6targetE1EEEvSI_.num_vgpr, 0
	.set _ZN7rocprim17ROCPRIM_400000_NS6detail17trampoline_kernelINS0_14default_configENS1_38merge_sort_block_merge_config_selectorIN3c104HalfElEEZZNS1_27merge_sort_block_merge_implIS3_PS6_N6thrust23THRUST_200600_302600_NS10device_ptrIlEEmNSB_4lessIS6_EEEE10hipError_tT0_T1_T2_jT3_P12ihipStream_tbPNSt15iterator_traitsISH_E10value_typeEPNSN_ISI_E10value_typeEPSJ_NS1_7vsmem_tEENKUlT_SH_SI_SJ_E_clIS9_S9_PlSD_EESG_SW_SH_SI_SJ_EUlSW_E1_NS1_11comp_targetILNS1_3genE5ELNS1_11target_archE942ELNS1_3gpuE9ELNS1_3repE0EEENS1_36merge_oddeven_config_static_selectorELNS0_4arch9wavefront6targetE1EEEvSI_.num_agpr, 0
	.set _ZN7rocprim17ROCPRIM_400000_NS6detail17trampoline_kernelINS0_14default_configENS1_38merge_sort_block_merge_config_selectorIN3c104HalfElEEZZNS1_27merge_sort_block_merge_implIS3_PS6_N6thrust23THRUST_200600_302600_NS10device_ptrIlEEmNSB_4lessIS6_EEEE10hipError_tT0_T1_T2_jT3_P12ihipStream_tbPNSt15iterator_traitsISH_E10value_typeEPNSN_ISI_E10value_typeEPSJ_NS1_7vsmem_tEENKUlT_SH_SI_SJ_E_clIS9_S9_PlSD_EESG_SW_SH_SI_SJ_EUlSW_E1_NS1_11comp_targetILNS1_3genE5ELNS1_11target_archE942ELNS1_3gpuE9ELNS1_3repE0EEENS1_36merge_oddeven_config_static_selectorELNS0_4arch9wavefront6targetE1EEEvSI_.numbered_sgpr, 0
	.set _ZN7rocprim17ROCPRIM_400000_NS6detail17trampoline_kernelINS0_14default_configENS1_38merge_sort_block_merge_config_selectorIN3c104HalfElEEZZNS1_27merge_sort_block_merge_implIS3_PS6_N6thrust23THRUST_200600_302600_NS10device_ptrIlEEmNSB_4lessIS6_EEEE10hipError_tT0_T1_T2_jT3_P12ihipStream_tbPNSt15iterator_traitsISH_E10value_typeEPNSN_ISI_E10value_typeEPSJ_NS1_7vsmem_tEENKUlT_SH_SI_SJ_E_clIS9_S9_PlSD_EESG_SW_SH_SI_SJ_EUlSW_E1_NS1_11comp_targetILNS1_3genE5ELNS1_11target_archE942ELNS1_3gpuE9ELNS1_3repE0EEENS1_36merge_oddeven_config_static_selectorELNS0_4arch9wavefront6targetE1EEEvSI_.num_named_barrier, 0
	.set _ZN7rocprim17ROCPRIM_400000_NS6detail17trampoline_kernelINS0_14default_configENS1_38merge_sort_block_merge_config_selectorIN3c104HalfElEEZZNS1_27merge_sort_block_merge_implIS3_PS6_N6thrust23THRUST_200600_302600_NS10device_ptrIlEEmNSB_4lessIS6_EEEE10hipError_tT0_T1_T2_jT3_P12ihipStream_tbPNSt15iterator_traitsISH_E10value_typeEPNSN_ISI_E10value_typeEPSJ_NS1_7vsmem_tEENKUlT_SH_SI_SJ_E_clIS9_S9_PlSD_EESG_SW_SH_SI_SJ_EUlSW_E1_NS1_11comp_targetILNS1_3genE5ELNS1_11target_archE942ELNS1_3gpuE9ELNS1_3repE0EEENS1_36merge_oddeven_config_static_selectorELNS0_4arch9wavefront6targetE1EEEvSI_.private_seg_size, 0
	.set _ZN7rocprim17ROCPRIM_400000_NS6detail17trampoline_kernelINS0_14default_configENS1_38merge_sort_block_merge_config_selectorIN3c104HalfElEEZZNS1_27merge_sort_block_merge_implIS3_PS6_N6thrust23THRUST_200600_302600_NS10device_ptrIlEEmNSB_4lessIS6_EEEE10hipError_tT0_T1_T2_jT3_P12ihipStream_tbPNSt15iterator_traitsISH_E10value_typeEPNSN_ISI_E10value_typeEPSJ_NS1_7vsmem_tEENKUlT_SH_SI_SJ_E_clIS9_S9_PlSD_EESG_SW_SH_SI_SJ_EUlSW_E1_NS1_11comp_targetILNS1_3genE5ELNS1_11target_archE942ELNS1_3gpuE9ELNS1_3repE0EEENS1_36merge_oddeven_config_static_selectorELNS0_4arch9wavefront6targetE1EEEvSI_.uses_vcc, 0
	.set _ZN7rocprim17ROCPRIM_400000_NS6detail17trampoline_kernelINS0_14default_configENS1_38merge_sort_block_merge_config_selectorIN3c104HalfElEEZZNS1_27merge_sort_block_merge_implIS3_PS6_N6thrust23THRUST_200600_302600_NS10device_ptrIlEEmNSB_4lessIS6_EEEE10hipError_tT0_T1_T2_jT3_P12ihipStream_tbPNSt15iterator_traitsISH_E10value_typeEPNSN_ISI_E10value_typeEPSJ_NS1_7vsmem_tEENKUlT_SH_SI_SJ_E_clIS9_S9_PlSD_EESG_SW_SH_SI_SJ_EUlSW_E1_NS1_11comp_targetILNS1_3genE5ELNS1_11target_archE942ELNS1_3gpuE9ELNS1_3repE0EEENS1_36merge_oddeven_config_static_selectorELNS0_4arch9wavefront6targetE1EEEvSI_.uses_flat_scratch, 0
	.set _ZN7rocprim17ROCPRIM_400000_NS6detail17trampoline_kernelINS0_14default_configENS1_38merge_sort_block_merge_config_selectorIN3c104HalfElEEZZNS1_27merge_sort_block_merge_implIS3_PS6_N6thrust23THRUST_200600_302600_NS10device_ptrIlEEmNSB_4lessIS6_EEEE10hipError_tT0_T1_T2_jT3_P12ihipStream_tbPNSt15iterator_traitsISH_E10value_typeEPNSN_ISI_E10value_typeEPSJ_NS1_7vsmem_tEENKUlT_SH_SI_SJ_E_clIS9_S9_PlSD_EESG_SW_SH_SI_SJ_EUlSW_E1_NS1_11comp_targetILNS1_3genE5ELNS1_11target_archE942ELNS1_3gpuE9ELNS1_3repE0EEENS1_36merge_oddeven_config_static_selectorELNS0_4arch9wavefront6targetE1EEEvSI_.has_dyn_sized_stack, 0
	.set _ZN7rocprim17ROCPRIM_400000_NS6detail17trampoline_kernelINS0_14default_configENS1_38merge_sort_block_merge_config_selectorIN3c104HalfElEEZZNS1_27merge_sort_block_merge_implIS3_PS6_N6thrust23THRUST_200600_302600_NS10device_ptrIlEEmNSB_4lessIS6_EEEE10hipError_tT0_T1_T2_jT3_P12ihipStream_tbPNSt15iterator_traitsISH_E10value_typeEPNSN_ISI_E10value_typeEPSJ_NS1_7vsmem_tEENKUlT_SH_SI_SJ_E_clIS9_S9_PlSD_EESG_SW_SH_SI_SJ_EUlSW_E1_NS1_11comp_targetILNS1_3genE5ELNS1_11target_archE942ELNS1_3gpuE9ELNS1_3repE0EEENS1_36merge_oddeven_config_static_selectorELNS0_4arch9wavefront6targetE1EEEvSI_.has_recursion, 0
	.set _ZN7rocprim17ROCPRIM_400000_NS6detail17trampoline_kernelINS0_14default_configENS1_38merge_sort_block_merge_config_selectorIN3c104HalfElEEZZNS1_27merge_sort_block_merge_implIS3_PS6_N6thrust23THRUST_200600_302600_NS10device_ptrIlEEmNSB_4lessIS6_EEEE10hipError_tT0_T1_T2_jT3_P12ihipStream_tbPNSt15iterator_traitsISH_E10value_typeEPNSN_ISI_E10value_typeEPSJ_NS1_7vsmem_tEENKUlT_SH_SI_SJ_E_clIS9_S9_PlSD_EESG_SW_SH_SI_SJ_EUlSW_E1_NS1_11comp_targetILNS1_3genE5ELNS1_11target_archE942ELNS1_3gpuE9ELNS1_3repE0EEENS1_36merge_oddeven_config_static_selectorELNS0_4arch9wavefront6targetE1EEEvSI_.has_indirect_call, 0
	.section	.AMDGPU.csdata,"",@progbits
; Kernel info:
; codeLenInByte = 0
; TotalNumSgprs: 4
; NumVgprs: 0
; ScratchSize: 0
; MemoryBound: 0
; FloatMode: 240
; IeeeMode: 1
; LDSByteSize: 0 bytes/workgroup (compile time only)
; SGPRBlocks: 0
; VGPRBlocks: 0
; NumSGPRsForWavesPerEU: 4
; NumVGPRsForWavesPerEU: 1
; Occupancy: 10
; WaveLimiterHint : 0
; COMPUTE_PGM_RSRC2:SCRATCH_EN: 0
; COMPUTE_PGM_RSRC2:USER_SGPR: 6
; COMPUTE_PGM_RSRC2:TRAP_HANDLER: 0
; COMPUTE_PGM_RSRC2:TGID_X_EN: 1
; COMPUTE_PGM_RSRC2:TGID_Y_EN: 0
; COMPUTE_PGM_RSRC2:TGID_Z_EN: 0
; COMPUTE_PGM_RSRC2:TIDIG_COMP_CNT: 0
	.section	.text._ZN7rocprim17ROCPRIM_400000_NS6detail17trampoline_kernelINS0_14default_configENS1_38merge_sort_block_merge_config_selectorIN3c104HalfElEEZZNS1_27merge_sort_block_merge_implIS3_PS6_N6thrust23THRUST_200600_302600_NS10device_ptrIlEEmNSB_4lessIS6_EEEE10hipError_tT0_T1_T2_jT3_P12ihipStream_tbPNSt15iterator_traitsISH_E10value_typeEPNSN_ISI_E10value_typeEPSJ_NS1_7vsmem_tEENKUlT_SH_SI_SJ_E_clIS9_S9_PlSD_EESG_SW_SH_SI_SJ_EUlSW_E1_NS1_11comp_targetILNS1_3genE4ELNS1_11target_archE910ELNS1_3gpuE8ELNS1_3repE0EEENS1_36merge_oddeven_config_static_selectorELNS0_4arch9wavefront6targetE1EEEvSI_,"axG",@progbits,_ZN7rocprim17ROCPRIM_400000_NS6detail17trampoline_kernelINS0_14default_configENS1_38merge_sort_block_merge_config_selectorIN3c104HalfElEEZZNS1_27merge_sort_block_merge_implIS3_PS6_N6thrust23THRUST_200600_302600_NS10device_ptrIlEEmNSB_4lessIS6_EEEE10hipError_tT0_T1_T2_jT3_P12ihipStream_tbPNSt15iterator_traitsISH_E10value_typeEPNSN_ISI_E10value_typeEPSJ_NS1_7vsmem_tEENKUlT_SH_SI_SJ_E_clIS9_S9_PlSD_EESG_SW_SH_SI_SJ_EUlSW_E1_NS1_11comp_targetILNS1_3genE4ELNS1_11target_archE910ELNS1_3gpuE8ELNS1_3repE0EEENS1_36merge_oddeven_config_static_selectorELNS0_4arch9wavefront6targetE1EEEvSI_,comdat
	.protected	_ZN7rocprim17ROCPRIM_400000_NS6detail17trampoline_kernelINS0_14default_configENS1_38merge_sort_block_merge_config_selectorIN3c104HalfElEEZZNS1_27merge_sort_block_merge_implIS3_PS6_N6thrust23THRUST_200600_302600_NS10device_ptrIlEEmNSB_4lessIS6_EEEE10hipError_tT0_T1_T2_jT3_P12ihipStream_tbPNSt15iterator_traitsISH_E10value_typeEPNSN_ISI_E10value_typeEPSJ_NS1_7vsmem_tEENKUlT_SH_SI_SJ_E_clIS9_S9_PlSD_EESG_SW_SH_SI_SJ_EUlSW_E1_NS1_11comp_targetILNS1_3genE4ELNS1_11target_archE910ELNS1_3gpuE8ELNS1_3repE0EEENS1_36merge_oddeven_config_static_selectorELNS0_4arch9wavefront6targetE1EEEvSI_ ; -- Begin function _ZN7rocprim17ROCPRIM_400000_NS6detail17trampoline_kernelINS0_14default_configENS1_38merge_sort_block_merge_config_selectorIN3c104HalfElEEZZNS1_27merge_sort_block_merge_implIS3_PS6_N6thrust23THRUST_200600_302600_NS10device_ptrIlEEmNSB_4lessIS6_EEEE10hipError_tT0_T1_T2_jT3_P12ihipStream_tbPNSt15iterator_traitsISH_E10value_typeEPNSN_ISI_E10value_typeEPSJ_NS1_7vsmem_tEENKUlT_SH_SI_SJ_E_clIS9_S9_PlSD_EESG_SW_SH_SI_SJ_EUlSW_E1_NS1_11comp_targetILNS1_3genE4ELNS1_11target_archE910ELNS1_3gpuE8ELNS1_3repE0EEENS1_36merge_oddeven_config_static_selectorELNS0_4arch9wavefront6targetE1EEEvSI_
	.globl	_ZN7rocprim17ROCPRIM_400000_NS6detail17trampoline_kernelINS0_14default_configENS1_38merge_sort_block_merge_config_selectorIN3c104HalfElEEZZNS1_27merge_sort_block_merge_implIS3_PS6_N6thrust23THRUST_200600_302600_NS10device_ptrIlEEmNSB_4lessIS6_EEEE10hipError_tT0_T1_T2_jT3_P12ihipStream_tbPNSt15iterator_traitsISH_E10value_typeEPNSN_ISI_E10value_typeEPSJ_NS1_7vsmem_tEENKUlT_SH_SI_SJ_E_clIS9_S9_PlSD_EESG_SW_SH_SI_SJ_EUlSW_E1_NS1_11comp_targetILNS1_3genE4ELNS1_11target_archE910ELNS1_3gpuE8ELNS1_3repE0EEENS1_36merge_oddeven_config_static_selectorELNS0_4arch9wavefront6targetE1EEEvSI_
	.p2align	8
	.type	_ZN7rocprim17ROCPRIM_400000_NS6detail17trampoline_kernelINS0_14default_configENS1_38merge_sort_block_merge_config_selectorIN3c104HalfElEEZZNS1_27merge_sort_block_merge_implIS3_PS6_N6thrust23THRUST_200600_302600_NS10device_ptrIlEEmNSB_4lessIS6_EEEE10hipError_tT0_T1_T2_jT3_P12ihipStream_tbPNSt15iterator_traitsISH_E10value_typeEPNSN_ISI_E10value_typeEPSJ_NS1_7vsmem_tEENKUlT_SH_SI_SJ_E_clIS9_S9_PlSD_EESG_SW_SH_SI_SJ_EUlSW_E1_NS1_11comp_targetILNS1_3genE4ELNS1_11target_archE910ELNS1_3gpuE8ELNS1_3repE0EEENS1_36merge_oddeven_config_static_selectorELNS0_4arch9wavefront6targetE1EEEvSI_,@function
_ZN7rocprim17ROCPRIM_400000_NS6detail17trampoline_kernelINS0_14default_configENS1_38merge_sort_block_merge_config_selectorIN3c104HalfElEEZZNS1_27merge_sort_block_merge_implIS3_PS6_N6thrust23THRUST_200600_302600_NS10device_ptrIlEEmNSB_4lessIS6_EEEE10hipError_tT0_T1_T2_jT3_P12ihipStream_tbPNSt15iterator_traitsISH_E10value_typeEPNSN_ISI_E10value_typeEPSJ_NS1_7vsmem_tEENKUlT_SH_SI_SJ_E_clIS9_S9_PlSD_EESG_SW_SH_SI_SJ_EUlSW_E1_NS1_11comp_targetILNS1_3genE4ELNS1_11target_archE910ELNS1_3gpuE8ELNS1_3repE0EEENS1_36merge_oddeven_config_static_selectorELNS0_4arch9wavefront6targetE1EEEvSI_: ; @_ZN7rocprim17ROCPRIM_400000_NS6detail17trampoline_kernelINS0_14default_configENS1_38merge_sort_block_merge_config_selectorIN3c104HalfElEEZZNS1_27merge_sort_block_merge_implIS3_PS6_N6thrust23THRUST_200600_302600_NS10device_ptrIlEEmNSB_4lessIS6_EEEE10hipError_tT0_T1_T2_jT3_P12ihipStream_tbPNSt15iterator_traitsISH_E10value_typeEPNSN_ISI_E10value_typeEPSJ_NS1_7vsmem_tEENKUlT_SH_SI_SJ_E_clIS9_S9_PlSD_EESG_SW_SH_SI_SJ_EUlSW_E1_NS1_11comp_targetILNS1_3genE4ELNS1_11target_archE910ELNS1_3gpuE8ELNS1_3repE0EEENS1_36merge_oddeven_config_static_selectorELNS0_4arch9wavefront6targetE1EEEvSI_
; %bb.0:
	.section	.rodata,"a",@progbits
	.p2align	6, 0x0
	.amdhsa_kernel _ZN7rocprim17ROCPRIM_400000_NS6detail17trampoline_kernelINS0_14default_configENS1_38merge_sort_block_merge_config_selectorIN3c104HalfElEEZZNS1_27merge_sort_block_merge_implIS3_PS6_N6thrust23THRUST_200600_302600_NS10device_ptrIlEEmNSB_4lessIS6_EEEE10hipError_tT0_T1_T2_jT3_P12ihipStream_tbPNSt15iterator_traitsISH_E10value_typeEPNSN_ISI_E10value_typeEPSJ_NS1_7vsmem_tEENKUlT_SH_SI_SJ_E_clIS9_S9_PlSD_EESG_SW_SH_SI_SJ_EUlSW_E1_NS1_11comp_targetILNS1_3genE4ELNS1_11target_archE910ELNS1_3gpuE8ELNS1_3repE0EEENS1_36merge_oddeven_config_static_selectorELNS0_4arch9wavefront6targetE1EEEvSI_
		.amdhsa_group_segment_fixed_size 0
		.amdhsa_private_segment_fixed_size 0
		.amdhsa_kernarg_size 56
		.amdhsa_user_sgpr_count 6
		.amdhsa_user_sgpr_private_segment_buffer 1
		.amdhsa_user_sgpr_dispatch_ptr 0
		.amdhsa_user_sgpr_queue_ptr 0
		.amdhsa_user_sgpr_kernarg_segment_ptr 1
		.amdhsa_user_sgpr_dispatch_id 0
		.amdhsa_user_sgpr_flat_scratch_init 0
		.amdhsa_user_sgpr_private_segment_size 0
		.amdhsa_uses_dynamic_stack 0
		.amdhsa_system_sgpr_private_segment_wavefront_offset 0
		.amdhsa_system_sgpr_workgroup_id_x 1
		.amdhsa_system_sgpr_workgroup_id_y 0
		.amdhsa_system_sgpr_workgroup_id_z 0
		.amdhsa_system_sgpr_workgroup_info 0
		.amdhsa_system_vgpr_workitem_id 0
		.amdhsa_next_free_vgpr 1
		.amdhsa_next_free_sgpr 0
		.amdhsa_reserve_vcc 0
		.amdhsa_reserve_flat_scratch 0
		.amdhsa_float_round_mode_32 0
		.amdhsa_float_round_mode_16_64 0
		.amdhsa_float_denorm_mode_32 3
		.amdhsa_float_denorm_mode_16_64 3
		.amdhsa_dx10_clamp 1
		.amdhsa_ieee_mode 1
		.amdhsa_fp16_overflow 0
		.amdhsa_exception_fp_ieee_invalid_op 0
		.amdhsa_exception_fp_denorm_src 0
		.amdhsa_exception_fp_ieee_div_zero 0
		.amdhsa_exception_fp_ieee_overflow 0
		.amdhsa_exception_fp_ieee_underflow 0
		.amdhsa_exception_fp_ieee_inexact 0
		.amdhsa_exception_int_div_zero 0
	.end_amdhsa_kernel
	.section	.text._ZN7rocprim17ROCPRIM_400000_NS6detail17trampoline_kernelINS0_14default_configENS1_38merge_sort_block_merge_config_selectorIN3c104HalfElEEZZNS1_27merge_sort_block_merge_implIS3_PS6_N6thrust23THRUST_200600_302600_NS10device_ptrIlEEmNSB_4lessIS6_EEEE10hipError_tT0_T1_T2_jT3_P12ihipStream_tbPNSt15iterator_traitsISH_E10value_typeEPNSN_ISI_E10value_typeEPSJ_NS1_7vsmem_tEENKUlT_SH_SI_SJ_E_clIS9_S9_PlSD_EESG_SW_SH_SI_SJ_EUlSW_E1_NS1_11comp_targetILNS1_3genE4ELNS1_11target_archE910ELNS1_3gpuE8ELNS1_3repE0EEENS1_36merge_oddeven_config_static_selectorELNS0_4arch9wavefront6targetE1EEEvSI_,"axG",@progbits,_ZN7rocprim17ROCPRIM_400000_NS6detail17trampoline_kernelINS0_14default_configENS1_38merge_sort_block_merge_config_selectorIN3c104HalfElEEZZNS1_27merge_sort_block_merge_implIS3_PS6_N6thrust23THRUST_200600_302600_NS10device_ptrIlEEmNSB_4lessIS6_EEEE10hipError_tT0_T1_T2_jT3_P12ihipStream_tbPNSt15iterator_traitsISH_E10value_typeEPNSN_ISI_E10value_typeEPSJ_NS1_7vsmem_tEENKUlT_SH_SI_SJ_E_clIS9_S9_PlSD_EESG_SW_SH_SI_SJ_EUlSW_E1_NS1_11comp_targetILNS1_3genE4ELNS1_11target_archE910ELNS1_3gpuE8ELNS1_3repE0EEENS1_36merge_oddeven_config_static_selectorELNS0_4arch9wavefront6targetE1EEEvSI_,comdat
.Lfunc_end2143:
	.size	_ZN7rocprim17ROCPRIM_400000_NS6detail17trampoline_kernelINS0_14default_configENS1_38merge_sort_block_merge_config_selectorIN3c104HalfElEEZZNS1_27merge_sort_block_merge_implIS3_PS6_N6thrust23THRUST_200600_302600_NS10device_ptrIlEEmNSB_4lessIS6_EEEE10hipError_tT0_T1_T2_jT3_P12ihipStream_tbPNSt15iterator_traitsISH_E10value_typeEPNSN_ISI_E10value_typeEPSJ_NS1_7vsmem_tEENKUlT_SH_SI_SJ_E_clIS9_S9_PlSD_EESG_SW_SH_SI_SJ_EUlSW_E1_NS1_11comp_targetILNS1_3genE4ELNS1_11target_archE910ELNS1_3gpuE8ELNS1_3repE0EEENS1_36merge_oddeven_config_static_selectorELNS0_4arch9wavefront6targetE1EEEvSI_, .Lfunc_end2143-_ZN7rocprim17ROCPRIM_400000_NS6detail17trampoline_kernelINS0_14default_configENS1_38merge_sort_block_merge_config_selectorIN3c104HalfElEEZZNS1_27merge_sort_block_merge_implIS3_PS6_N6thrust23THRUST_200600_302600_NS10device_ptrIlEEmNSB_4lessIS6_EEEE10hipError_tT0_T1_T2_jT3_P12ihipStream_tbPNSt15iterator_traitsISH_E10value_typeEPNSN_ISI_E10value_typeEPSJ_NS1_7vsmem_tEENKUlT_SH_SI_SJ_E_clIS9_S9_PlSD_EESG_SW_SH_SI_SJ_EUlSW_E1_NS1_11comp_targetILNS1_3genE4ELNS1_11target_archE910ELNS1_3gpuE8ELNS1_3repE0EEENS1_36merge_oddeven_config_static_selectorELNS0_4arch9wavefront6targetE1EEEvSI_
                                        ; -- End function
	.set _ZN7rocprim17ROCPRIM_400000_NS6detail17trampoline_kernelINS0_14default_configENS1_38merge_sort_block_merge_config_selectorIN3c104HalfElEEZZNS1_27merge_sort_block_merge_implIS3_PS6_N6thrust23THRUST_200600_302600_NS10device_ptrIlEEmNSB_4lessIS6_EEEE10hipError_tT0_T1_T2_jT3_P12ihipStream_tbPNSt15iterator_traitsISH_E10value_typeEPNSN_ISI_E10value_typeEPSJ_NS1_7vsmem_tEENKUlT_SH_SI_SJ_E_clIS9_S9_PlSD_EESG_SW_SH_SI_SJ_EUlSW_E1_NS1_11comp_targetILNS1_3genE4ELNS1_11target_archE910ELNS1_3gpuE8ELNS1_3repE0EEENS1_36merge_oddeven_config_static_selectorELNS0_4arch9wavefront6targetE1EEEvSI_.num_vgpr, 0
	.set _ZN7rocprim17ROCPRIM_400000_NS6detail17trampoline_kernelINS0_14default_configENS1_38merge_sort_block_merge_config_selectorIN3c104HalfElEEZZNS1_27merge_sort_block_merge_implIS3_PS6_N6thrust23THRUST_200600_302600_NS10device_ptrIlEEmNSB_4lessIS6_EEEE10hipError_tT0_T1_T2_jT3_P12ihipStream_tbPNSt15iterator_traitsISH_E10value_typeEPNSN_ISI_E10value_typeEPSJ_NS1_7vsmem_tEENKUlT_SH_SI_SJ_E_clIS9_S9_PlSD_EESG_SW_SH_SI_SJ_EUlSW_E1_NS1_11comp_targetILNS1_3genE4ELNS1_11target_archE910ELNS1_3gpuE8ELNS1_3repE0EEENS1_36merge_oddeven_config_static_selectorELNS0_4arch9wavefront6targetE1EEEvSI_.num_agpr, 0
	.set _ZN7rocprim17ROCPRIM_400000_NS6detail17trampoline_kernelINS0_14default_configENS1_38merge_sort_block_merge_config_selectorIN3c104HalfElEEZZNS1_27merge_sort_block_merge_implIS3_PS6_N6thrust23THRUST_200600_302600_NS10device_ptrIlEEmNSB_4lessIS6_EEEE10hipError_tT0_T1_T2_jT3_P12ihipStream_tbPNSt15iterator_traitsISH_E10value_typeEPNSN_ISI_E10value_typeEPSJ_NS1_7vsmem_tEENKUlT_SH_SI_SJ_E_clIS9_S9_PlSD_EESG_SW_SH_SI_SJ_EUlSW_E1_NS1_11comp_targetILNS1_3genE4ELNS1_11target_archE910ELNS1_3gpuE8ELNS1_3repE0EEENS1_36merge_oddeven_config_static_selectorELNS0_4arch9wavefront6targetE1EEEvSI_.numbered_sgpr, 0
	.set _ZN7rocprim17ROCPRIM_400000_NS6detail17trampoline_kernelINS0_14default_configENS1_38merge_sort_block_merge_config_selectorIN3c104HalfElEEZZNS1_27merge_sort_block_merge_implIS3_PS6_N6thrust23THRUST_200600_302600_NS10device_ptrIlEEmNSB_4lessIS6_EEEE10hipError_tT0_T1_T2_jT3_P12ihipStream_tbPNSt15iterator_traitsISH_E10value_typeEPNSN_ISI_E10value_typeEPSJ_NS1_7vsmem_tEENKUlT_SH_SI_SJ_E_clIS9_S9_PlSD_EESG_SW_SH_SI_SJ_EUlSW_E1_NS1_11comp_targetILNS1_3genE4ELNS1_11target_archE910ELNS1_3gpuE8ELNS1_3repE0EEENS1_36merge_oddeven_config_static_selectorELNS0_4arch9wavefront6targetE1EEEvSI_.num_named_barrier, 0
	.set _ZN7rocprim17ROCPRIM_400000_NS6detail17trampoline_kernelINS0_14default_configENS1_38merge_sort_block_merge_config_selectorIN3c104HalfElEEZZNS1_27merge_sort_block_merge_implIS3_PS6_N6thrust23THRUST_200600_302600_NS10device_ptrIlEEmNSB_4lessIS6_EEEE10hipError_tT0_T1_T2_jT3_P12ihipStream_tbPNSt15iterator_traitsISH_E10value_typeEPNSN_ISI_E10value_typeEPSJ_NS1_7vsmem_tEENKUlT_SH_SI_SJ_E_clIS9_S9_PlSD_EESG_SW_SH_SI_SJ_EUlSW_E1_NS1_11comp_targetILNS1_3genE4ELNS1_11target_archE910ELNS1_3gpuE8ELNS1_3repE0EEENS1_36merge_oddeven_config_static_selectorELNS0_4arch9wavefront6targetE1EEEvSI_.private_seg_size, 0
	.set _ZN7rocprim17ROCPRIM_400000_NS6detail17trampoline_kernelINS0_14default_configENS1_38merge_sort_block_merge_config_selectorIN3c104HalfElEEZZNS1_27merge_sort_block_merge_implIS3_PS6_N6thrust23THRUST_200600_302600_NS10device_ptrIlEEmNSB_4lessIS6_EEEE10hipError_tT0_T1_T2_jT3_P12ihipStream_tbPNSt15iterator_traitsISH_E10value_typeEPNSN_ISI_E10value_typeEPSJ_NS1_7vsmem_tEENKUlT_SH_SI_SJ_E_clIS9_S9_PlSD_EESG_SW_SH_SI_SJ_EUlSW_E1_NS1_11comp_targetILNS1_3genE4ELNS1_11target_archE910ELNS1_3gpuE8ELNS1_3repE0EEENS1_36merge_oddeven_config_static_selectorELNS0_4arch9wavefront6targetE1EEEvSI_.uses_vcc, 0
	.set _ZN7rocprim17ROCPRIM_400000_NS6detail17trampoline_kernelINS0_14default_configENS1_38merge_sort_block_merge_config_selectorIN3c104HalfElEEZZNS1_27merge_sort_block_merge_implIS3_PS6_N6thrust23THRUST_200600_302600_NS10device_ptrIlEEmNSB_4lessIS6_EEEE10hipError_tT0_T1_T2_jT3_P12ihipStream_tbPNSt15iterator_traitsISH_E10value_typeEPNSN_ISI_E10value_typeEPSJ_NS1_7vsmem_tEENKUlT_SH_SI_SJ_E_clIS9_S9_PlSD_EESG_SW_SH_SI_SJ_EUlSW_E1_NS1_11comp_targetILNS1_3genE4ELNS1_11target_archE910ELNS1_3gpuE8ELNS1_3repE0EEENS1_36merge_oddeven_config_static_selectorELNS0_4arch9wavefront6targetE1EEEvSI_.uses_flat_scratch, 0
	.set _ZN7rocprim17ROCPRIM_400000_NS6detail17trampoline_kernelINS0_14default_configENS1_38merge_sort_block_merge_config_selectorIN3c104HalfElEEZZNS1_27merge_sort_block_merge_implIS3_PS6_N6thrust23THRUST_200600_302600_NS10device_ptrIlEEmNSB_4lessIS6_EEEE10hipError_tT0_T1_T2_jT3_P12ihipStream_tbPNSt15iterator_traitsISH_E10value_typeEPNSN_ISI_E10value_typeEPSJ_NS1_7vsmem_tEENKUlT_SH_SI_SJ_E_clIS9_S9_PlSD_EESG_SW_SH_SI_SJ_EUlSW_E1_NS1_11comp_targetILNS1_3genE4ELNS1_11target_archE910ELNS1_3gpuE8ELNS1_3repE0EEENS1_36merge_oddeven_config_static_selectorELNS0_4arch9wavefront6targetE1EEEvSI_.has_dyn_sized_stack, 0
	.set _ZN7rocprim17ROCPRIM_400000_NS6detail17trampoline_kernelINS0_14default_configENS1_38merge_sort_block_merge_config_selectorIN3c104HalfElEEZZNS1_27merge_sort_block_merge_implIS3_PS6_N6thrust23THRUST_200600_302600_NS10device_ptrIlEEmNSB_4lessIS6_EEEE10hipError_tT0_T1_T2_jT3_P12ihipStream_tbPNSt15iterator_traitsISH_E10value_typeEPNSN_ISI_E10value_typeEPSJ_NS1_7vsmem_tEENKUlT_SH_SI_SJ_E_clIS9_S9_PlSD_EESG_SW_SH_SI_SJ_EUlSW_E1_NS1_11comp_targetILNS1_3genE4ELNS1_11target_archE910ELNS1_3gpuE8ELNS1_3repE0EEENS1_36merge_oddeven_config_static_selectorELNS0_4arch9wavefront6targetE1EEEvSI_.has_recursion, 0
	.set _ZN7rocprim17ROCPRIM_400000_NS6detail17trampoline_kernelINS0_14default_configENS1_38merge_sort_block_merge_config_selectorIN3c104HalfElEEZZNS1_27merge_sort_block_merge_implIS3_PS6_N6thrust23THRUST_200600_302600_NS10device_ptrIlEEmNSB_4lessIS6_EEEE10hipError_tT0_T1_T2_jT3_P12ihipStream_tbPNSt15iterator_traitsISH_E10value_typeEPNSN_ISI_E10value_typeEPSJ_NS1_7vsmem_tEENKUlT_SH_SI_SJ_E_clIS9_S9_PlSD_EESG_SW_SH_SI_SJ_EUlSW_E1_NS1_11comp_targetILNS1_3genE4ELNS1_11target_archE910ELNS1_3gpuE8ELNS1_3repE0EEENS1_36merge_oddeven_config_static_selectorELNS0_4arch9wavefront6targetE1EEEvSI_.has_indirect_call, 0
	.section	.AMDGPU.csdata,"",@progbits
; Kernel info:
; codeLenInByte = 0
; TotalNumSgprs: 4
; NumVgprs: 0
; ScratchSize: 0
; MemoryBound: 0
; FloatMode: 240
; IeeeMode: 1
; LDSByteSize: 0 bytes/workgroup (compile time only)
; SGPRBlocks: 0
; VGPRBlocks: 0
; NumSGPRsForWavesPerEU: 4
; NumVGPRsForWavesPerEU: 1
; Occupancy: 10
; WaveLimiterHint : 0
; COMPUTE_PGM_RSRC2:SCRATCH_EN: 0
; COMPUTE_PGM_RSRC2:USER_SGPR: 6
; COMPUTE_PGM_RSRC2:TRAP_HANDLER: 0
; COMPUTE_PGM_RSRC2:TGID_X_EN: 1
; COMPUTE_PGM_RSRC2:TGID_Y_EN: 0
; COMPUTE_PGM_RSRC2:TGID_Z_EN: 0
; COMPUTE_PGM_RSRC2:TIDIG_COMP_CNT: 0
	.section	.text._ZN7rocprim17ROCPRIM_400000_NS6detail17trampoline_kernelINS0_14default_configENS1_38merge_sort_block_merge_config_selectorIN3c104HalfElEEZZNS1_27merge_sort_block_merge_implIS3_PS6_N6thrust23THRUST_200600_302600_NS10device_ptrIlEEmNSB_4lessIS6_EEEE10hipError_tT0_T1_T2_jT3_P12ihipStream_tbPNSt15iterator_traitsISH_E10value_typeEPNSN_ISI_E10value_typeEPSJ_NS1_7vsmem_tEENKUlT_SH_SI_SJ_E_clIS9_S9_PlSD_EESG_SW_SH_SI_SJ_EUlSW_E1_NS1_11comp_targetILNS1_3genE3ELNS1_11target_archE908ELNS1_3gpuE7ELNS1_3repE0EEENS1_36merge_oddeven_config_static_selectorELNS0_4arch9wavefront6targetE1EEEvSI_,"axG",@progbits,_ZN7rocprim17ROCPRIM_400000_NS6detail17trampoline_kernelINS0_14default_configENS1_38merge_sort_block_merge_config_selectorIN3c104HalfElEEZZNS1_27merge_sort_block_merge_implIS3_PS6_N6thrust23THRUST_200600_302600_NS10device_ptrIlEEmNSB_4lessIS6_EEEE10hipError_tT0_T1_T2_jT3_P12ihipStream_tbPNSt15iterator_traitsISH_E10value_typeEPNSN_ISI_E10value_typeEPSJ_NS1_7vsmem_tEENKUlT_SH_SI_SJ_E_clIS9_S9_PlSD_EESG_SW_SH_SI_SJ_EUlSW_E1_NS1_11comp_targetILNS1_3genE3ELNS1_11target_archE908ELNS1_3gpuE7ELNS1_3repE0EEENS1_36merge_oddeven_config_static_selectorELNS0_4arch9wavefront6targetE1EEEvSI_,comdat
	.protected	_ZN7rocprim17ROCPRIM_400000_NS6detail17trampoline_kernelINS0_14default_configENS1_38merge_sort_block_merge_config_selectorIN3c104HalfElEEZZNS1_27merge_sort_block_merge_implIS3_PS6_N6thrust23THRUST_200600_302600_NS10device_ptrIlEEmNSB_4lessIS6_EEEE10hipError_tT0_T1_T2_jT3_P12ihipStream_tbPNSt15iterator_traitsISH_E10value_typeEPNSN_ISI_E10value_typeEPSJ_NS1_7vsmem_tEENKUlT_SH_SI_SJ_E_clIS9_S9_PlSD_EESG_SW_SH_SI_SJ_EUlSW_E1_NS1_11comp_targetILNS1_3genE3ELNS1_11target_archE908ELNS1_3gpuE7ELNS1_3repE0EEENS1_36merge_oddeven_config_static_selectorELNS0_4arch9wavefront6targetE1EEEvSI_ ; -- Begin function _ZN7rocprim17ROCPRIM_400000_NS6detail17trampoline_kernelINS0_14default_configENS1_38merge_sort_block_merge_config_selectorIN3c104HalfElEEZZNS1_27merge_sort_block_merge_implIS3_PS6_N6thrust23THRUST_200600_302600_NS10device_ptrIlEEmNSB_4lessIS6_EEEE10hipError_tT0_T1_T2_jT3_P12ihipStream_tbPNSt15iterator_traitsISH_E10value_typeEPNSN_ISI_E10value_typeEPSJ_NS1_7vsmem_tEENKUlT_SH_SI_SJ_E_clIS9_S9_PlSD_EESG_SW_SH_SI_SJ_EUlSW_E1_NS1_11comp_targetILNS1_3genE3ELNS1_11target_archE908ELNS1_3gpuE7ELNS1_3repE0EEENS1_36merge_oddeven_config_static_selectorELNS0_4arch9wavefront6targetE1EEEvSI_
	.globl	_ZN7rocprim17ROCPRIM_400000_NS6detail17trampoline_kernelINS0_14default_configENS1_38merge_sort_block_merge_config_selectorIN3c104HalfElEEZZNS1_27merge_sort_block_merge_implIS3_PS6_N6thrust23THRUST_200600_302600_NS10device_ptrIlEEmNSB_4lessIS6_EEEE10hipError_tT0_T1_T2_jT3_P12ihipStream_tbPNSt15iterator_traitsISH_E10value_typeEPNSN_ISI_E10value_typeEPSJ_NS1_7vsmem_tEENKUlT_SH_SI_SJ_E_clIS9_S9_PlSD_EESG_SW_SH_SI_SJ_EUlSW_E1_NS1_11comp_targetILNS1_3genE3ELNS1_11target_archE908ELNS1_3gpuE7ELNS1_3repE0EEENS1_36merge_oddeven_config_static_selectorELNS0_4arch9wavefront6targetE1EEEvSI_
	.p2align	8
	.type	_ZN7rocprim17ROCPRIM_400000_NS6detail17trampoline_kernelINS0_14default_configENS1_38merge_sort_block_merge_config_selectorIN3c104HalfElEEZZNS1_27merge_sort_block_merge_implIS3_PS6_N6thrust23THRUST_200600_302600_NS10device_ptrIlEEmNSB_4lessIS6_EEEE10hipError_tT0_T1_T2_jT3_P12ihipStream_tbPNSt15iterator_traitsISH_E10value_typeEPNSN_ISI_E10value_typeEPSJ_NS1_7vsmem_tEENKUlT_SH_SI_SJ_E_clIS9_S9_PlSD_EESG_SW_SH_SI_SJ_EUlSW_E1_NS1_11comp_targetILNS1_3genE3ELNS1_11target_archE908ELNS1_3gpuE7ELNS1_3repE0EEENS1_36merge_oddeven_config_static_selectorELNS0_4arch9wavefront6targetE1EEEvSI_,@function
_ZN7rocprim17ROCPRIM_400000_NS6detail17trampoline_kernelINS0_14default_configENS1_38merge_sort_block_merge_config_selectorIN3c104HalfElEEZZNS1_27merge_sort_block_merge_implIS3_PS6_N6thrust23THRUST_200600_302600_NS10device_ptrIlEEmNSB_4lessIS6_EEEE10hipError_tT0_T1_T2_jT3_P12ihipStream_tbPNSt15iterator_traitsISH_E10value_typeEPNSN_ISI_E10value_typeEPSJ_NS1_7vsmem_tEENKUlT_SH_SI_SJ_E_clIS9_S9_PlSD_EESG_SW_SH_SI_SJ_EUlSW_E1_NS1_11comp_targetILNS1_3genE3ELNS1_11target_archE908ELNS1_3gpuE7ELNS1_3repE0EEENS1_36merge_oddeven_config_static_selectorELNS0_4arch9wavefront6targetE1EEEvSI_: ; @_ZN7rocprim17ROCPRIM_400000_NS6detail17trampoline_kernelINS0_14default_configENS1_38merge_sort_block_merge_config_selectorIN3c104HalfElEEZZNS1_27merge_sort_block_merge_implIS3_PS6_N6thrust23THRUST_200600_302600_NS10device_ptrIlEEmNSB_4lessIS6_EEEE10hipError_tT0_T1_T2_jT3_P12ihipStream_tbPNSt15iterator_traitsISH_E10value_typeEPNSN_ISI_E10value_typeEPSJ_NS1_7vsmem_tEENKUlT_SH_SI_SJ_E_clIS9_S9_PlSD_EESG_SW_SH_SI_SJ_EUlSW_E1_NS1_11comp_targetILNS1_3genE3ELNS1_11target_archE908ELNS1_3gpuE7ELNS1_3repE0EEENS1_36merge_oddeven_config_static_selectorELNS0_4arch9wavefront6targetE1EEEvSI_
; %bb.0:
	.section	.rodata,"a",@progbits
	.p2align	6, 0x0
	.amdhsa_kernel _ZN7rocprim17ROCPRIM_400000_NS6detail17trampoline_kernelINS0_14default_configENS1_38merge_sort_block_merge_config_selectorIN3c104HalfElEEZZNS1_27merge_sort_block_merge_implIS3_PS6_N6thrust23THRUST_200600_302600_NS10device_ptrIlEEmNSB_4lessIS6_EEEE10hipError_tT0_T1_T2_jT3_P12ihipStream_tbPNSt15iterator_traitsISH_E10value_typeEPNSN_ISI_E10value_typeEPSJ_NS1_7vsmem_tEENKUlT_SH_SI_SJ_E_clIS9_S9_PlSD_EESG_SW_SH_SI_SJ_EUlSW_E1_NS1_11comp_targetILNS1_3genE3ELNS1_11target_archE908ELNS1_3gpuE7ELNS1_3repE0EEENS1_36merge_oddeven_config_static_selectorELNS0_4arch9wavefront6targetE1EEEvSI_
		.amdhsa_group_segment_fixed_size 0
		.amdhsa_private_segment_fixed_size 0
		.amdhsa_kernarg_size 56
		.amdhsa_user_sgpr_count 6
		.amdhsa_user_sgpr_private_segment_buffer 1
		.amdhsa_user_sgpr_dispatch_ptr 0
		.amdhsa_user_sgpr_queue_ptr 0
		.amdhsa_user_sgpr_kernarg_segment_ptr 1
		.amdhsa_user_sgpr_dispatch_id 0
		.amdhsa_user_sgpr_flat_scratch_init 0
		.amdhsa_user_sgpr_private_segment_size 0
		.amdhsa_uses_dynamic_stack 0
		.amdhsa_system_sgpr_private_segment_wavefront_offset 0
		.amdhsa_system_sgpr_workgroup_id_x 1
		.amdhsa_system_sgpr_workgroup_id_y 0
		.amdhsa_system_sgpr_workgroup_id_z 0
		.amdhsa_system_sgpr_workgroup_info 0
		.amdhsa_system_vgpr_workitem_id 0
		.amdhsa_next_free_vgpr 1
		.amdhsa_next_free_sgpr 0
		.amdhsa_reserve_vcc 0
		.amdhsa_reserve_flat_scratch 0
		.amdhsa_float_round_mode_32 0
		.amdhsa_float_round_mode_16_64 0
		.amdhsa_float_denorm_mode_32 3
		.amdhsa_float_denorm_mode_16_64 3
		.amdhsa_dx10_clamp 1
		.amdhsa_ieee_mode 1
		.amdhsa_fp16_overflow 0
		.amdhsa_exception_fp_ieee_invalid_op 0
		.amdhsa_exception_fp_denorm_src 0
		.amdhsa_exception_fp_ieee_div_zero 0
		.amdhsa_exception_fp_ieee_overflow 0
		.amdhsa_exception_fp_ieee_underflow 0
		.amdhsa_exception_fp_ieee_inexact 0
		.amdhsa_exception_int_div_zero 0
	.end_amdhsa_kernel
	.section	.text._ZN7rocprim17ROCPRIM_400000_NS6detail17trampoline_kernelINS0_14default_configENS1_38merge_sort_block_merge_config_selectorIN3c104HalfElEEZZNS1_27merge_sort_block_merge_implIS3_PS6_N6thrust23THRUST_200600_302600_NS10device_ptrIlEEmNSB_4lessIS6_EEEE10hipError_tT0_T1_T2_jT3_P12ihipStream_tbPNSt15iterator_traitsISH_E10value_typeEPNSN_ISI_E10value_typeEPSJ_NS1_7vsmem_tEENKUlT_SH_SI_SJ_E_clIS9_S9_PlSD_EESG_SW_SH_SI_SJ_EUlSW_E1_NS1_11comp_targetILNS1_3genE3ELNS1_11target_archE908ELNS1_3gpuE7ELNS1_3repE0EEENS1_36merge_oddeven_config_static_selectorELNS0_4arch9wavefront6targetE1EEEvSI_,"axG",@progbits,_ZN7rocprim17ROCPRIM_400000_NS6detail17trampoline_kernelINS0_14default_configENS1_38merge_sort_block_merge_config_selectorIN3c104HalfElEEZZNS1_27merge_sort_block_merge_implIS3_PS6_N6thrust23THRUST_200600_302600_NS10device_ptrIlEEmNSB_4lessIS6_EEEE10hipError_tT0_T1_T2_jT3_P12ihipStream_tbPNSt15iterator_traitsISH_E10value_typeEPNSN_ISI_E10value_typeEPSJ_NS1_7vsmem_tEENKUlT_SH_SI_SJ_E_clIS9_S9_PlSD_EESG_SW_SH_SI_SJ_EUlSW_E1_NS1_11comp_targetILNS1_3genE3ELNS1_11target_archE908ELNS1_3gpuE7ELNS1_3repE0EEENS1_36merge_oddeven_config_static_selectorELNS0_4arch9wavefront6targetE1EEEvSI_,comdat
.Lfunc_end2144:
	.size	_ZN7rocprim17ROCPRIM_400000_NS6detail17trampoline_kernelINS0_14default_configENS1_38merge_sort_block_merge_config_selectorIN3c104HalfElEEZZNS1_27merge_sort_block_merge_implIS3_PS6_N6thrust23THRUST_200600_302600_NS10device_ptrIlEEmNSB_4lessIS6_EEEE10hipError_tT0_T1_T2_jT3_P12ihipStream_tbPNSt15iterator_traitsISH_E10value_typeEPNSN_ISI_E10value_typeEPSJ_NS1_7vsmem_tEENKUlT_SH_SI_SJ_E_clIS9_S9_PlSD_EESG_SW_SH_SI_SJ_EUlSW_E1_NS1_11comp_targetILNS1_3genE3ELNS1_11target_archE908ELNS1_3gpuE7ELNS1_3repE0EEENS1_36merge_oddeven_config_static_selectorELNS0_4arch9wavefront6targetE1EEEvSI_, .Lfunc_end2144-_ZN7rocprim17ROCPRIM_400000_NS6detail17trampoline_kernelINS0_14default_configENS1_38merge_sort_block_merge_config_selectorIN3c104HalfElEEZZNS1_27merge_sort_block_merge_implIS3_PS6_N6thrust23THRUST_200600_302600_NS10device_ptrIlEEmNSB_4lessIS6_EEEE10hipError_tT0_T1_T2_jT3_P12ihipStream_tbPNSt15iterator_traitsISH_E10value_typeEPNSN_ISI_E10value_typeEPSJ_NS1_7vsmem_tEENKUlT_SH_SI_SJ_E_clIS9_S9_PlSD_EESG_SW_SH_SI_SJ_EUlSW_E1_NS1_11comp_targetILNS1_3genE3ELNS1_11target_archE908ELNS1_3gpuE7ELNS1_3repE0EEENS1_36merge_oddeven_config_static_selectorELNS0_4arch9wavefront6targetE1EEEvSI_
                                        ; -- End function
	.set _ZN7rocprim17ROCPRIM_400000_NS6detail17trampoline_kernelINS0_14default_configENS1_38merge_sort_block_merge_config_selectorIN3c104HalfElEEZZNS1_27merge_sort_block_merge_implIS3_PS6_N6thrust23THRUST_200600_302600_NS10device_ptrIlEEmNSB_4lessIS6_EEEE10hipError_tT0_T1_T2_jT3_P12ihipStream_tbPNSt15iterator_traitsISH_E10value_typeEPNSN_ISI_E10value_typeEPSJ_NS1_7vsmem_tEENKUlT_SH_SI_SJ_E_clIS9_S9_PlSD_EESG_SW_SH_SI_SJ_EUlSW_E1_NS1_11comp_targetILNS1_3genE3ELNS1_11target_archE908ELNS1_3gpuE7ELNS1_3repE0EEENS1_36merge_oddeven_config_static_selectorELNS0_4arch9wavefront6targetE1EEEvSI_.num_vgpr, 0
	.set _ZN7rocprim17ROCPRIM_400000_NS6detail17trampoline_kernelINS0_14default_configENS1_38merge_sort_block_merge_config_selectorIN3c104HalfElEEZZNS1_27merge_sort_block_merge_implIS3_PS6_N6thrust23THRUST_200600_302600_NS10device_ptrIlEEmNSB_4lessIS6_EEEE10hipError_tT0_T1_T2_jT3_P12ihipStream_tbPNSt15iterator_traitsISH_E10value_typeEPNSN_ISI_E10value_typeEPSJ_NS1_7vsmem_tEENKUlT_SH_SI_SJ_E_clIS9_S9_PlSD_EESG_SW_SH_SI_SJ_EUlSW_E1_NS1_11comp_targetILNS1_3genE3ELNS1_11target_archE908ELNS1_3gpuE7ELNS1_3repE0EEENS1_36merge_oddeven_config_static_selectorELNS0_4arch9wavefront6targetE1EEEvSI_.num_agpr, 0
	.set _ZN7rocprim17ROCPRIM_400000_NS6detail17trampoline_kernelINS0_14default_configENS1_38merge_sort_block_merge_config_selectorIN3c104HalfElEEZZNS1_27merge_sort_block_merge_implIS3_PS6_N6thrust23THRUST_200600_302600_NS10device_ptrIlEEmNSB_4lessIS6_EEEE10hipError_tT0_T1_T2_jT3_P12ihipStream_tbPNSt15iterator_traitsISH_E10value_typeEPNSN_ISI_E10value_typeEPSJ_NS1_7vsmem_tEENKUlT_SH_SI_SJ_E_clIS9_S9_PlSD_EESG_SW_SH_SI_SJ_EUlSW_E1_NS1_11comp_targetILNS1_3genE3ELNS1_11target_archE908ELNS1_3gpuE7ELNS1_3repE0EEENS1_36merge_oddeven_config_static_selectorELNS0_4arch9wavefront6targetE1EEEvSI_.numbered_sgpr, 0
	.set _ZN7rocprim17ROCPRIM_400000_NS6detail17trampoline_kernelINS0_14default_configENS1_38merge_sort_block_merge_config_selectorIN3c104HalfElEEZZNS1_27merge_sort_block_merge_implIS3_PS6_N6thrust23THRUST_200600_302600_NS10device_ptrIlEEmNSB_4lessIS6_EEEE10hipError_tT0_T1_T2_jT3_P12ihipStream_tbPNSt15iterator_traitsISH_E10value_typeEPNSN_ISI_E10value_typeEPSJ_NS1_7vsmem_tEENKUlT_SH_SI_SJ_E_clIS9_S9_PlSD_EESG_SW_SH_SI_SJ_EUlSW_E1_NS1_11comp_targetILNS1_3genE3ELNS1_11target_archE908ELNS1_3gpuE7ELNS1_3repE0EEENS1_36merge_oddeven_config_static_selectorELNS0_4arch9wavefront6targetE1EEEvSI_.num_named_barrier, 0
	.set _ZN7rocprim17ROCPRIM_400000_NS6detail17trampoline_kernelINS0_14default_configENS1_38merge_sort_block_merge_config_selectorIN3c104HalfElEEZZNS1_27merge_sort_block_merge_implIS3_PS6_N6thrust23THRUST_200600_302600_NS10device_ptrIlEEmNSB_4lessIS6_EEEE10hipError_tT0_T1_T2_jT3_P12ihipStream_tbPNSt15iterator_traitsISH_E10value_typeEPNSN_ISI_E10value_typeEPSJ_NS1_7vsmem_tEENKUlT_SH_SI_SJ_E_clIS9_S9_PlSD_EESG_SW_SH_SI_SJ_EUlSW_E1_NS1_11comp_targetILNS1_3genE3ELNS1_11target_archE908ELNS1_3gpuE7ELNS1_3repE0EEENS1_36merge_oddeven_config_static_selectorELNS0_4arch9wavefront6targetE1EEEvSI_.private_seg_size, 0
	.set _ZN7rocprim17ROCPRIM_400000_NS6detail17trampoline_kernelINS0_14default_configENS1_38merge_sort_block_merge_config_selectorIN3c104HalfElEEZZNS1_27merge_sort_block_merge_implIS3_PS6_N6thrust23THRUST_200600_302600_NS10device_ptrIlEEmNSB_4lessIS6_EEEE10hipError_tT0_T1_T2_jT3_P12ihipStream_tbPNSt15iterator_traitsISH_E10value_typeEPNSN_ISI_E10value_typeEPSJ_NS1_7vsmem_tEENKUlT_SH_SI_SJ_E_clIS9_S9_PlSD_EESG_SW_SH_SI_SJ_EUlSW_E1_NS1_11comp_targetILNS1_3genE3ELNS1_11target_archE908ELNS1_3gpuE7ELNS1_3repE0EEENS1_36merge_oddeven_config_static_selectorELNS0_4arch9wavefront6targetE1EEEvSI_.uses_vcc, 0
	.set _ZN7rocprim17ROCPRIM_400000_NS6detail17trampoline_kernelINS0_14default_configENS1_38merge_sort_block_merge_config_selectorIN3c104HalfElEEZZNS1_27merge_sort_block_merge_implIS3_PS6_N6thrust23THRUST_200600_302600_NS10device_ptrIlEEmNSB_4lessIS6_EEEE10hipError_tT0_T1_T2_jT3_P12ihipStream_tbPNSt15iterator_traitsISH_E10value_typeEPNSN_ISI_E10value_typeEPSJ_NS1_7vsmem_tEENKUlT_SH_SI_SJ_E_clIS9_S9_PlSD_EESG_SW_SH_SI_SJ_EUlSW_E1_NS1_11comp_targetILNS1_3genE3ELNS1_11target_archE908ELNS1_3gpuE7ELNS1_3repE0EEENS1_36merge_oddeven_config_static_selectorELNS0_4arch9wavefront6targetE1EEEvSI_.uses_flat_scratch, 0
	.set _ZN7rocprim17ROCPRIM_400000_NS6detail17trampoline_kernelINS0_14default_configENS1_38merge_sort_block_merge_config_selectorIN3c104HalfElEEZZNS1_27merge_sort_block_merge_implIS3_PS6_N6thrust23THRUST_200600_302600_NS10device_ptrIlEEmNSB_4lessIS6_EEEE10hipError_tT0_T1_T2_jT3_P12ihipStream_tbPNSt15iterator_traitsISH_E10value_typeEPNSN_ISI_E10value_typeEPSJ_NS1_7vsmem_tEENKUlT_SH_SI_SJ_E_clIS9_S9_PlSD_EESG_SW_SH_SI_SJ_EUlSW_E1_NS1_11comp_targetILNS1_3genE3ELNS1_11target_archE908ELNS1_3gpuE7ELNS1_3repE0EEENS1_36merge_oddeven_config_static_selectorELNS0_4arch9wavefront6targetE1EEEvSI_.has_dyn_sized_stack, 0
	.set _ZN7rocprim17ROCPRIM_400000_NS6detail17trampoline_kernelINS0_14default_configENS1_38merge_sort_block_merge_config_selectorIN3c104HalfElEEZZNS1_27merge_sort_block_merge_implIS3_PS6_N6thrust23THRUST_200600_302600_NS10device_ptrIlEEmNSB_4lessIS6_EEEE10hipError_tT0_T1_T2_jT3_P12ihipStream_tbPNSt15iterator_traitsISH_E10value_typeEPNSN_ISI_E10value_typeEPSJ_NS1_7vsmem_tEENKUlT_SH_SI_SJ_E_clIS9_S9_PlSD_EESG_SW_SH_SI_SJ_EUlSW_E1_NS1_11comp_targetILNS1_3genE3ELNS1_11target_archE908ELNS1_3gpuE7ELNS1_3repE0EEENS1_36merge_oddeven_config_static_selectorELNS0_4arch9wavefront6targetE1EEEvSI_.has_recursion, 0
	.set _ZN7rocprim17ROCPRIM_400000_NS6detail17trampoline_kernelINS0_14default_configENS1_38merge_sort_block_merge_config_selectorIN3c104HalfElEEZZNS1_27merge_sort_block_merge_implIS3_PS6_N6thrust23THRUST_200600_302600_NS10device_ptrIlEEmNSB_4lessIS6_EEEE10hipError_tT0_T1_T2_jT3_P12ihipStream_tbPNSt15iterator_traitsISH_E10value_typeEPNSN_ISI_E10value_typeEPSJ_NS1_7vsmem_tEENKUlT_SH_SI_SJ_E_clIS9_S9_PlSD_EESG_SW_SH_SI_SJ_EUlSW_E1_NS1_11comp_targetILNS1_3genE3ELNS1_11target_archE908ELNS1_3gpuE7ELNS1_3repE0EEENS1_36merge_oddeven_config_static_selectorELNS0_4arch9wavefront6targetE1EEEvSI_.has_indirect_call, 0
	.section	.AMDGPU.csdata,"",@progbits
; Kernel info:
; codeLenInByte = 0
; TotalNumSgprs: 4
; NumVgprs: 0
; ScratchSize: 0
; MemoryBound: 0
; FloatMode: 240
; IeeeMode: 1
; LDSByteSize: 0 bytes/workgroup (compile time only)
; SGPRBlocks: 0
; VGPRBlocks: 0
; NumSGPRsForWavesPerEU: 4
; NumVGPRsForWavesPerEU: 1
; Occupancy: 10
; WaveLimiterHint : 0
; COMPUTE_PGM_RSRC2:SCRATCH_EN: 0
; COMPUTE_PGM_RSRC2:USER_SGPR: 6
; COMPUTE_PGM_RSRC2:TRAP_HANDLER: 0
; COMPUTE_PGM_RSRC2:TGID_X_EN: 1
; COMPUTE_PGM_RSRC2:TGID_Y_EN: 0
; COMPUTE_PGM_RSRC2:TGID_Z_EN: 0
; COMPUTE_PGM_RSRC2:TIDIG_COMP_CNT: 0
	.section	.text._ZN7rocprim17ROCPRIM_400000_NS6detail17trampoline_kernelINS0_14default_configENS1_38merge_sort_block_merge_config_selectorIN3c104HalfElEEZZNS1_27merge_sort_block_merge_implIS3_PS6_N6thrust23THRUST_200600_302600_NS10device_ptrIlEEmNSB_4lessIS6_EEEE10hipError_tT0_T1_T2_jT3_P12ihipStream_tbPNSt15iterator_traitsISH_E10value_typeEPNSN_ISI_E10value_typeEPSJ_NS1_7vsmem_tEENKUlT_SH_SI_SJ_E_clIS9_S9_PlSD_EESG_SW_SH_SI_SJ_EUlSW_E1_NS1_11comp_targetILNS1_3genE2ELNS1_11target_archE906ELNS1_3gpuE6ELNS1_3repE0EEENS1_36merge_oddeven_config_static_selectorELNS0_4arch9wavefront6targetE1EEEvSI_,"axG",@progbits,_ZN7rocprim17ROCPRIM_400000_NS6detail17trampoline_kernelINS0_14default_configENS1_38merge_sort_block_merge_config_selectorIN3c104HalfElEEZZNS1_27merge_sort_block_merge_implIS3_PS6_N6thrust23THRUST_200600_302600_NS10device_ptrIlEEmNSB_4lessIS6_EEEE10hipError_tT0_T1_T2_jT3_P12ihipStream_tbPNSt15iterator_traitsISH_E10value_typeEPNSN_ISI_E10value_typeEPSJ_NS1_7vsmem_tEENKUlT_SH_SI_SJ_E_clIS9_S9_PlSD_EESG_SW_SH_SI_SJ_EUlSW_E1_NS1_11comp_targetILNS1_3genE2ELNS1_11target_archE906ELNS1_3gpuE6ELNS1_3repE0EEENS1_36merge_oddeven_config_static_selectorELNS0_4arch9wavefront6targetE1EEEvSI_,comdat
	.protected	_ZN7rocprim17ROCPRIM_400000_NS6detail17trampoline_kernelINS0_14default_configENS1_38merge_sort_block_merge_config_selectorIN3c104HalfElEEZZNS1_27merge_sort_block_merge_implIS3_PS6_N6thrust23THRUST_200600_302600_NS10device_ptrIlEEmNSB_4lessIS6_EEEE10hipError_tT0_T1_T2_jT3_P12ihipStream_tbPNSt15iterator_traitsISH_E10value_typeEPNSN_ISI_E10value_typeEPSJ_NS1_7vsmem_tEENKUlT_SH_SI_SJ_E_clIS9_S9_PlSD_EESG_SW_SH_SI_SJ_EUlSW_E1_NS1_11comp_targetILNS1_3genE2ELNS1_11target_archE906ELNS1_3gpuE6ELNS1_3repE0EEENS1_36merge_oddeven_config_static_selectorELNS0_4arch9wavefront6targetE1EEEvSI_ ; -- Begin function _ZN7rocprim17ROCPRIM_400000_NS6detail17trampoline_kernelINS0_14default_configENS1_38merge_sort_block_merge_config_selectorIN3c104HalfElEEZZNS1_27merge_sort_block_merge_implIS3_PS6_N6thrust23THRUST_200600_302600_NS10device_ptrIlEEmNSB_4lessIS6_EEEE10hipError_tT0_T1_T2_jT3_P12ihipStream_tbPNSt15iterator_traitsISH_E10value_typeEPNSN_ISI_E10value_typeEPSJ_NS1_7vsmem_tEENKUlT_SH_SI_SJ_E_clIS9_S9_PlSD_EESG_SW_SH_SI_SJ_EUlSW_E1_NS1_11comp_targetILNS1_3genE2ELNS1_11target_archE906ELNS1_3gpuE6ELNS1_3repE0EEENS1_36merge_oddeven_config_static_selectorELNS0_4arch9wavefront6targetE1EEEvSI_
	.globl	_ZN7rocprim17ROCPRIM_400000_NS6detail17trampoline_kernelINS0_14default_configENS1_38merge_sort_block_merge_config_selectorIN3c104HalfElEEZZNS1_27merge_sort_block_merge_implIS3_PS6_N6thrust23THRUST_200600_302600_NS10device_ptrIlEEmNSB_4lessIS6_EEEE10hipError_tT0_T1_T2_jT3_P12ihipStream_tbPNSt15iterator_traitsISH_E10value_typeEPNSN_ISI_E10value_typeEPSJ_NS1_7vsmem_tEENKUlT_SH_SI_SJ_E_clIS9_S9_PlSD_EESG_SW_SH_SI_SJ_EUlSW_E1_NS1_11comp_targetILNS1_3genE2ELNS1_11target_archE906ELNS1_3gpuE6ELNS1_3repE0EEENS1_36merge_oddeven_config_static_selectorELNS0_4arch9wavefront6targetE1EEEvSI_
	.p2align	8
	.type	_ZN7rocprim17ROCPRIM_400000_NS6detail17trampoline_kernelINS0_14default_configENS1_38merge_sort_block_merge_config_selectorIN3c104HalfElEEZZNS1_27merge_sort_block_merge_implIS3_PS6_N6thrust23THRUST_200600_302600_NS10device_ptrIlEEmNSB_4lessIS6_EEEE10hipError_tT0_T1_T2_jT3_P12ihipStream_tbPNSt15iterator_traitsISH_E10value_typeEPNSN_ISI_E10value_typeEPSJ_NS1_7vsmem_tEENKUlT_SH_SI_SJ_E_clIS9_S9_PlSD_EESG_SW_SH_SI_SJ_EUlSW_E1_NS1_11comp_targetILNS1_3genE2ELNS1_11target_archE906ELNS1_3gpuE6ELNS1_3repE0EEENS1_36merge_oddeven_config_static_selectorELNS0_4arch9wavefront6targetE1EEEvSI_,@function
_ZN7rocprim17ROCPRIM_400000_NS6detail17trampoline_kernelINS0_14default_configENS1_38merge_sort_block_merge_config_selectorIN3c104HalfElEEZZNS1_27merge_sort_block_merge_implIS3_PS6_N6thrust23THRUST_200600_302600_NS10device_ptrIlEEmNSB_4lessIS6_EEEE10hipError_tT0_T1_T2_jT3_P12ihipStream_tbPNSt15iterator_traitsISH_E10value_typeEPNSN_ISI_E10value_typeEPSJ_NS1_7vsmem_tEENKUlT_SH_SI_SJ_E_clIS9_S9_PlSD_EESG_SW_SH_SI_SJ_EUlSW_E1_NS1_11comp_targetILNS1_3genE2ELNS1_11target_archE906ELNS1_3gpuE6ELNS1_3repE0EEENS1_36merge_oddeven_config_static_selectorELNS0_4arch9wavefront6targetE1EEEvSI_: ; @_ZN7rocprim17ROCPRIM_400000_NS6detail17trampoline_kernelINS0_14default_configENS1_38merge_sort_block_merge_config_selectorIN3c104HalfElEEZZNS1_27merge_sort_block_merge_implIS3_PS6_N6thrust23THRUST_200600_302600_NS10device_ptrIlEEmNSB_4lessIS6_EEEE10hipError_tT0_T1_T2_jT3_P12ihipStream_tbPNSt15iterator_traitsISH_E10value_typeEPNSN_ISI_E10value_typeEPSJ_NS1_7vsmem_tEENKUlT_SH_SI_SJ_E_clIS9_S9_PlSD_EESG_SW_SH_SI_SJ_EUlSW_E1_NS1_11comp_targetILNS1_3genE2ELNS1_11target_archE906ELNS1_3gpuE6ELNS1_3repE0EEENS1_36merge_oddeven_config_static_selectorELNS0_4arch9wavefront6targetE1EEEvSI_
; %bb.0:
	s_load_dwordx4 s[8:11], s[4:5], 0x18
	s_waitcnt lgkmcnt(0)
	s_lshr_b32 s0, s10, 8
	s_cmp_eq_u32 s6, s0
	s_cselect_b64 s[16:17], -1, 0
	s_cmp_lg_u32 s6, s0
	s_cselect_b64 s[0:1], -1, 0
	s_lshl_b32 s18, s6, 8
	s_sub_i32 s2, s10, s18
	v_cmp_gt_u32_e64 s[2:3], s2, v0
	s_or_b64 s[0:1], s[0:1], s[2:3]
	s_and_saveexec_b64 s[12:13], s[0:1]
	s_cbranch_execz .LBB2145_24
; %bb.1:
	s_load_dwordx4 s[12:15], s[4:5], 0x0
	s_load_dwordx2 s[0:1], s[4:5], 0x10
	s_mov_b32 s19, 0
	s_lshl_b64 s[20:21], s[18:19], 1
	v_lshlrev_b32_e32 v4, 3, v0
	s_waitcnt lgkmcnt(0)
	s_add_u32 s20, s12, s20
	s_addc_u32 s21, s13, s21
	s_lshl_b64 s[22:23], s[18:19], 3
	s_add_u32 s0, s0, s22
	s_addc_u32 s1, s1, s23
	v_lshlrev_b32_e32 v3, 1, v0
	global_load_dwordx2 v[1:2], v4, s[0:1]
	global_load_ushort v5, v3, s[20:21]
	s_load_dword s11, s[4:5], 0x28
	v_add_u32_e32 v3, s18, v0
	s_waitcnt lgkmcnt(0)
	s_lshr_b32 s0, s11, 8
	s_sub_i32 s1, 0, s0
	s_and_b32 s1, s6, s1
	s_and_b32 s0, s1, s0
	s_lshl_b32 s19, s1, 8
	s_sub_i32 s6, 0, s11
	s_cmp_eq_u32 s0, 0
	s_cselect_b64 s[0:1], -1, 0
	s_and_b64 s[4:5], s[0:1], exec
	s_cselect_b32 s6, s11, s6
	s_add_i32 s6, s6, s19
	s_mov_b64 s[4:5], -1
	s_cmp_lt_u32 s6, s10
	s_cbranch_scc1 .LBB2145_9
; %bb.2:
	s_and_b64 vcc, exec, s[16:17]
	s_cbranch_vccz .LBB2145_6
; %bb.3:
	v_cmp_gt_u32_e32 vcc, s10, v3
	s_and_saveexec_b64 s[4:5], vcc
	s_cbranch_execz .LBB2145_5
; %bb.4:
	v_mov_b32_e32 v4, 0
	v_lshlrev_b64 v[6:7], 1, v[3:4]
	v_mov_b32_e32 v0, s15
	v_add_co_u32_e32 v6, vcc, s14, v6
	v_lshlrev_b64 v[8:9], 3, v[3:4]
	v_addc_co_u32_e32 v7, vcc, v0, v7, vcc
	v_mov_b32_e32 v0, s9
	v_add_co_u32_e32 v8, vcc, s8, v8
	v_addc_co_u32_e32 v9, vcc, v0, v9, vcc
	s_waitcnt vmcnt(0)
	global_store_short v[6:7], v5, off
	global_store_dwordx2 v[8:9], v[1:2], off
.LBB2145_5:
	s_or_b64 exec, exec, s[4:5]
	s_mov_b64 s[4:5], 0
.LBB2145_6:
	s_andn2_b64 vcc, exec, s[4:5]
	s_cbranch_vccnz .LBB2145_8
; %bb.7:
	v_mov_b32_e32 v4, 0
	v_lshlrev_b64 v[6:7], 1, v[3:4]
	v_mov_b32_e32 v0, s15
	v_add_co_u32_e32 v6, vcc, s14, v6
	v_lshlrev_b64 v[8:9], 3, v[3:4]
	v_addc_co_u32_e32 v7, vcc, v0, v7, vcc
	v_mov_b32_e32 v0, s9
	v_add_co_u32_e32 v8, vcc, s8, v8
	v_addc_co_u32_e32 v9, vcc, v0, v9, vcc
	s_waitcnt vmcnt(0)
	global_store_short v[6:7], v5, off
	global_store_dwordx2 v[8:9], v[1:2], off
.LBB2145_8:
	s_mov_b64 s[4:5], 0
.LBB2145_9:
	s_andn2_b64 vcc, exec, s[4:5]
	s_cbranch_vccnz .LBB2145_24
; %bb.10:
	s_min_u32 s7, s6, s10
	s_add_i32 s4, s7, s11
	s_min_u32 s10, s4, s10
	s_min_u32 s4, s19, s7
	s_add_i32 s19, s19, s7
	v_subrev_u32_e32 v0, s19, v3
	v_add_u32_e32 v0, s4, v0
	s_mov_b64 s[4:5], -1
	s_and_b64 vcc, exec, s[16:17]
	s_cbranch_vccz .LBB2145_18
; %bb.11:
	s_and_saveexec_b64 s[4:5], s[2:3]
	s_cbranch_execz .LBB2145_17
; %bb.12:
	s_cmp_ge_u32 s6, s10
	v_mov_b32_e32 v3, s7
	s_cbranch_scc1 .LBB2145_16
; %bb.13:
	s_mov_b64 s[2:3], 0
	v_mov_b32_e32 v4, s10
	v_mov_b32_e32 v3, s7
.LBB2145_14:                            ; =>This Inner Loop Header: Depth=1
	v_add_u32_e32 v6, v3, v4
	v_and_b32_e32 v7, -2, v6
	global_load_ushort v7, v7, s[12:13]
	v_lshrrev_b32_e32 v6, 1, v6
	v_add_u32_e32 v8, 1, v6
	s_waitcnt vmcnt(0)
	v_cmp_lt_f16_e32 vcc, v7, v5
	v_cndmask_b32_e64 v9, 0, 1, vcc
	v_cmp_ngt_f16_e32 vcc, v7, v5
	v_cndmask_b32_e64 v7, 0, 1, vcc
	v_cndmask_b32_e64 v7, v7, v9, s[0:1]
	v_and_b32_e32 v7, 1, v7
	v_cmp_eq_u32_e32 vcc, 1, v7
	v_cndmask_b32_e32 v4, v6, v4, vcc
	v_cndmask_b32_e32 v3, v3, v8, vcc
	v_cmp_ge_u32_e32 vcc, v3, v4
	s_or_b64 s[2:3], vcc, s[2:3]
	s_andn2_b64 exec, exec, s[2:3]
	s_cbranch_execnz .LBB2145_14
; %bb.15:
	s_or_b64 exec, exec, s[2:3]
.LBB2145_16:
	v_add_u32_e32 v3, v3, v0
	v_mov_b32_e32 v4, 0
	v_lshlrev_b64 v[6:7], 1, v[3:4]
	v_mov_b32_e32 v8, s15
	v_add_co_u32_e32 v6, vcc, s14, v6
	v_lshlrev_b64 v[3:4], 3, v[3:4]
	v_addc_co_u32_e32 v7, vcc, v8, v7, vcc
	s_waitcnt vmcnt(0)
	global_store_short v[6:7], v5, off
	v_mov_b32_e32 v6, s9
	v_add_co_u32_e32 v3, vcc, s8, v3
	v_addc_co_u32_e32 v4, vcc, v6, v4, vcc
	global_store_dwordx2 v[3:4], v[1:2], off
.LBB2145_17:
	s_or_b64 exec, exec, s[4:5]
	s_mov_b64 s[4:5], 0
.LBB2145_18:
	s_andn2_b64 vcc, exec, s[4:5]
	s_cbranch_vccnz .LBB2145_24
; %bb.19:
	s_cmp_ge_u32 s6, s10
	v_mov_b32_e32 v3, s7
	s_cbranch_scc1 .LBB2145_23
; %bb.20:
	s_mov_b64 s[2:3], 0
	v_mov_b32_e32 v4, s10
	v_mov_b32_e32 v3, s7
.LBB2145_21:                            ; =>This Inner Loop Header: Depth=1
	v_add_u32_e32 v6, v3, v4
	v_and_b32_e32 v7, -2, v6
	global_load_ushort v7, v7, s[12:13]
	v_lshrrev_b32_e32 v6, 1, v6
	v_add_u32_e32 v8, 1, v6
	s_waitcnt vmcnt(0)
	v_cmp_lt_f16_e32 vcc, v7, v5
	v_cndmask_b32_e64 v9, 0, 1, vcc
	v_cmp_ngt_f16_e32 vcc, v7, v5
	v_cndmask_b32_e64 v7, 0, 1, vcc
	v_cndmask_b32_e64 v7, v7, v9, s[0:1]
	v_and_b32_e32 v7, 1, v7
	v_cmp_eq_u32_e32 vcc, 1, v7
	v_cndmask_b32_e32 v4, v6, v4, vcc
	v_cndmask_b32_e32 v3, v3, v8, vcc
	v_cmp_ge_u32_e32 vcc, v3, v4
	s_or_b64 s[2:3], vcc, s[2:3]
	s_andn2_b64 exec, exec, s[2:3]
	s_cbranch_execnz .LBB2145_21
; %bb.22:
	s_or_b64 exec, exec, s[2:3]
.LBB2145_23:
	v_add_u32_e32 v3, v3, v0
	v_mov_b32_e32 v4, 0
	v_lshlrev_b64 v[6:7], 1, v[3:4]
	v_mov_b32_e32 v0, s15
	v_add_co_u32_e32 v6, vcc, s14, v6
	v_lshlrev_b64 v[3:4], 3, v[3:4]
	v_addc_co_u32_e32 v7, vcc, v0, v7, vcc
	v_mov_b32_e32 v0, s9
	v_add_co_u32_e32 v3, vcc, s8, v3
	v_addc_co_u32_e32 v4, vcc, v0, v4, vcc
	s_waitcnt vmcnt(0)
	global_store_short v[6:7], v5, off
	global_store_dwordx2 v[3:4], v[1:2], off
.LBB2145_24:
	s_endpgm
	.section	.rodata,"a",@progbits
	.p2align	6, 0x0
	.amdhsa_kernel _ZN7rocprim17ROCPRIM_400000_NS6detail17trampoline_kernelINS0_14default_configENS1_38merge_sort_block_merge_config_selectorIN3c104HalfElEEZZNS1_27merge_sort_block_merge_implIS3_PS6_N6thrust23THRUST_200600_302600_NS10device_ptrIlEEmNSB_4lessIS6_EEEE10hipError_tT0_T1_T2_jT3_P12ihipStream_tbPNSt15iterator_traitsISH_E10value_typeEPNSN_ISI_E10value_typeEPSJ_NS1_7vsmem_tEENKUlT_SH_SI_SJ_E_clIS9_S9_PlSD_EESG_SW_SH_SI_SJ_EUlSW_E1_NS1_11comp_targetILNS1_3genE2ELNS1_11target_archE906ELNS1_3gpuE6ELNS1_3repE0EEENS1_36merge_oddeven_config_static_selectorELNS0_4arch9wavefront6targetE1EEEvSI_
		.amdhsa_group_segment_fixed_size 0
		.amdhsa_private_segment_fixed_size 0
		.amdhsa_kernarg_size 56
		.amdhsa_user_sgpr_count 6
		.amdhsa_user_sgpr_private_segment_buffer 1
		.amdhsa_user_sgpr_dispatch_ptr 0
		.amdhsa_user_sgpr_queue_ptr 0
		.amdhsa_user_sgpr_kernarg_segment_ptr 1
		.amdhsa_user_sgpr_dispatch_id 0
		.amdhsa_user_sgpr_flat_scratch_init 0
		.amdhsa_user_sgpr_private_segment_size 0
		.amdhsa_uses_dynamic_stack 0
		.amdhsa_system_sgpr_private_segment_wavefront_offset 0
		.amdhsa_system_sgpr_workgroup_id_x 1
		.amdhsa_system_sgpr_workgroup_id_y 0
		.amdhsa_system_sgpr_workgroup_id_z 0
		.amdhsa_system_sgpr_workgroup_info 0
		.amdhsa_system_vgpr_workitem_id 0
		.amdhsa_next_free_vgpr 10
		.amdhsa_next_free_sgpr 24
		.amdhsa_reserve_vcc 1
		.amdhsa_reserve_flat_scratch 0
		.amdhsa_float_round_mode_32 0
		.amdhsa_float_round_mode_16_64 0
		.amdhsa_float_denorm_mode_32 3
		.amdhsa_float_denorm_mode_16_64 3
		.amdhsa_dx10_clamp 1
		.amdhsa_ieee_mode 1
		.amdhsa_fp16_overflow 0
		.amdhsa_exception_fp_ieee_invalid_op 0
		.amdhsa_exception_fp_denorm_src 0
		.amdhsa_exception_fp_ieee_div_zero 0
		.amdhsa_exception_fp_ieee_overflow 0
		.amdhsa_exception_fp_ieee_underflow 0
		.amdhsa_exception_fp_ieee_inexact 0
		.amdhsa_exception_int_div_zero 0
	.end_amdhsa_kernel
	.section	.text._ZN7rocprim17ROCPRIM_400000_NS6detail17trampoline_kernelINS0_14default_configENS1_38merge_sort_block_merge_config_selectorIN3c104HalfElEEZZNS1_27merge_sort_block_merge_implIS3_PS6_N6thrust23THRUST_200600_302600_NS10device_ptrIlEEmNSB_4lessIS6_EEEE10hipError_tT0_T1_T2_jT3_P12ihipStream_tbPNSt15iterator_traitsISH_E10value_typeEPNSN_ISI_E10value_typeEPSJ_NS1_7vsmem_tEENKUlT_SH_SI_SJ_E_clIS9_S9_PlSD_EESG_SW_SH_SI_SJ_EUlSW_E1_NS1_11comp_targetILNS1_3genE2ELNS1_11target_archE906ELNS1_3gpuE6ELNS1_3repE0EEENS1_36merge_oddeven_config_static_selectorELNS0_4arch9wavefront6targetE1EEEvSI_,"axG",@progbits,_ZN7rocprim17ROCPRIM_400000_NS6detail17trampoline_kernelINS0_14default_configENS1_38merge_sort_block_merge_config_selectorIN3c104HalfElEEZZNS1_27merge_sort_block_merge_implIS3_PS6_N6thrust23THRUST_200600_302600_NS10device_ptrIlEEmNSB_4lessIS6_EEEE10hipError_tT0_T1_T2_jT3_P12ihipStream_tbPNSt15iterator_traitsISH_E10value_typeEPNSN_ISI_E10value_typeEPSJ_NS1_7vsmem_tEENKUlT_SH_SI_SJ_E_clIS9_S9_PlSD_EESG_SW_SH_SI_SJ_EUlSW_E1_NS1_11comp_targetILNS1_3genE2ELNS1_11target_archE906ELNS1_3gpuE6ELNS1_3repE0EEENS1_36merge_oddeven_config_static_selectorELNS0_4arch9wavefront6targetE1EEEvSI_,comdat
.Lfunc_end2145:
	.size	_ZN7rocprim17ROCPRIM_400000_NS6detail17trampoline_kernelINS0_14default_configENS1_38merge_sort_block_merge_config_selectorIN3c104HalfElEEZZNS1_27merge_sort_block_merge_implIS3_PS6_N6thrust23THRUST_200600_302600_NS10device_ptrIlEEmNSB_4lessIS6_EEEE10hipError_tT0_T1_T2_jT3_P12ihipStream_tbPNSt15iterator_traitsISH_E10value_typeEPNSN_ISI_E10value_typeEPSJ_NS1_7vsmem_tEENKUlT_SH_SI_SJ_E_clIS9_S9_PlSD_EESG_SW_SH_SI_SJ_EUlSW_E1_NS1_11comp_targetILNS1_3genE2ELNS1_11target_archE906ELNS1_3gpuE6ELNS1_3repE0EEENS1_36merge_oddeven_config_static_selectorELNS0_4arch9wavefront6targetE1EEEvSI_, .Lfunc_end2145-_ZN7rocprim17ROCPRIM_400000_NS6detail17trampoline_kernelINS0_14default_configENS1_38merge_sort_block_merge_config_selectorIN3c104HalfElEEZZNS1_27merge_sort_block_merge_implIS3_PS6_N6thrust23THRUST_200600_302600_NS10device_ptrIlEEmNSB_4lessIS6_EEEE10hipError_tT0_T1_T2_jT3_P12ihipStream_tbPNSt15iterator_traitsISH_E10value_typeEPNSN_ISI_E10value_typeEPSJ_NS1_7vsmem_tEENKUlT_SH_SI_SJ_E_clIS9_S9_PlSD_EESG_SW_SH_SI_SJ_EUlSW_E1_NS1_11comp_targetILNS1_3genE2ELNS1_11target_archE906ELNS1_3gpuE6ELNS1_3repE0EEENS1_36merge_oddeven_config_static_selectorELNS0_4arch9wavefront6targetE1EEEvSI_
                                        ; -- End function
	.set _ZN7rocprim17ROCPRIM_400000_NS6detail17trampoline_kernelINS0_14default_configENS1_38merge_sort_block_merge_config_selectorIN3c104HalfElEEZZNS1_27merge_sort_block_merge_implIS3_PS6_N6thrust23THRUST_200600_302600_NS10device_ptrIlEEmNSB_4lessIS6_EEEE10hipError_tT0_T1_T2_jT3_P12ihipStream_tbPNSt15iterator_traitsISH_E10value_typeEPNSN_ISI_E10value_typeEPSJ_NS1_7vsmem_tEENKUlT_SH_SI_SJ_E_clIS9_S9_PlSD_EESG_SW_SH_SI_SJ_EUlSW_E1_NS1_11comp_targetILNS1_3genE2ELNS1_11target_archE906ELNS1_3gpuE6ELNS1_3repE0EEENS1_36merge_oddeven_config_static_selectorELNS0_4arch9wavefront6targetE1EEEvSI_.num_vgpr, 10
	.set _ZN7rocprim17ROCPRIM_400000_NS6detail17trampoline_kernelINS0_14default_configENS1_38merge_sort_block_merge_config_selectorIN3c104HalfElEEZZNS1_27merge_sort_block_merge_implIS3_PS6_N6thrust23THRUST_200600_302600_NS10device_ptrIlEEmNSB_4lessIS6_EEEE10hipError_tT0_T1_T2_jT3_P12ihipStream_tbPNSt15iterator_traitsISH_E10value_typeEPNSN_ISI_E10value_typeEPSJ_NS1_7vsmem_tEENKUlT_SH_SI_SJ_E_clIS9_S9_PlSD_EESG_SW_SH_SI_SJ_EUlSW_E1_NS1_11comp_targetILNS1_3genE2ELNS1_11target_archE906ELNS1_3gpuE6ELNS1_3repE0EEENS1_36merge_oddeven_config_static_selectorELNS0_4arch9wavefront6targetE1EEEvSI_.num_agpr, 0
	.set _ZN7rocprim17ROCPRIM_400000_NS6detail17trampoline_kernelINS0_14default_configENS1_38merge_sort_block_merge_config_selectorIN3c104HalfElEEZZNS1_27merge_sort_block_merge_implIS3_PS6_N6thrust23THRUST_200600_302600_NS10device_ptrIlEEmNSB_4lessIS6_EEEE10hipError_tT0_T1_T2_jT3_P12ihipStream_tbPNSt15iterator_traitsISH_E10value_typeEPNSN_ISI_E10value_typeEPSJ_NS1_7vsmem_tEENKUlT_SH_SI_SJ_E_clIS9_S9_PlSD_EESG_SW_SH_SI_SJ_EUlSW_E1_NS1_11comp_targetILNS1_3genE2ELNS1_11target_archE906ELNS1_3gpuE6ELNS1_3repE0EEENS1_36merge_oddeven_config_static_selectorELNS0_4arch9wavefront6targetE1EEEvSI_.numbered_sgpr, 24
	.set _ZN7rocprim17ROCPRIM_400000_NS6detail17trampoline_kernelINS0_14default_configENS1_38merge_sort_block_merge_config_selectorIN3c104HalfElEEZZNS1_27merge_sort_block_merge_implIS3_PS6_N6thrust23THRUST_200600_302600_NS10device_ptrIlEEmNSB_4lessIS6_EEEE10hipError_tT0_T1_T2_jT3_P12ihipStream_tbPNSt15iterator_traitsISH_E10value_typeEPNSN_ISI_E10value_typeEPSJ_NS1_7vsmem_tEENKUlT_SH_SI_SJ_E_clIS9_S9_PlSD_EESG_SW_SH_SI_SJ_EUlSW_E1_NS1_11comp_targetILNS1_3genE2ELNS1_11target_archE906ELNS1_3gpuE6ELNS1_3repE0EEENS1_36merge_oddeven_config_static_selectorELNS0_4arch9wavefront6targetE1EEEvSI_.num_named_barrier, 0
	.set _ZN7rocprim17ROCPRIM_400000_NS6detail17trampoline_kernelINS0_14default_configENS1_38merge_sort_block_merge_config_selectorIN3c104HalfElEEZZNS1_27merge_sort_block_merge_implIS3_PS6_N6thrust23THRUST_200600_302600_NS10device_ptrIlEEmNSB_4lessIS6_EEEE10hipError_tT0_T1_T2_jT3_P12ihipStream_tbPNSt15iterator_traitsISH_E10value_typeEPNSN_ISI_E10value_typeEPSJ_NS1_7vsmem_tEENKUlT_SH_SI_SJ_E_clIS9_S9_PlSD_EESG_SW_SH_SI_SJ_EUlSW_E1_NS1_11comp_targetILNS1_3genE2ELNS1_11target_archE906ELNS1_3gpuE6ELNS1_3repE0EEENS1_36merge_oddeven_config_static_selectorELNS0_4arch9wavefront6targetE1EEEvSI_.private_seg_size, 0
	.set _ZN7rocprim17ROCPRIM_400000_NS6detail17trampoline_kernelINS0_14default_configENS1_38merge_sort_block_merge_config_selectorIN3c104HalfElEEZZNS1_27merge_sort_block_merge_implIS3_PS6_N6thrust23THRUST_200600_302600_NS10device_ptrIlEEmNSB_4lessIS6_EEEE10hipError_tT0_T1_T2_jT3_P12ihipStream_tbPNSt15iterator_traitsISH_E10value_typeEPNSN_ISI_E10value_typeEPSJ_NS1_7vsmem_tEENKUlT_SH_SI_SJ_E_clIS9_S9_PlSD_EESG_SW_SH_SI_SJ_EUlSW_E1_NS1_11comp_targetILNS1_3genE2ELNS1_11target_archE906ELNS1_3gpuE6ELNS1_3repE0EEENS1_36merge_oddeven_config_static_selectorELNS0_4arch9wavefront6targetE1EEEvSI_.uses_vcc, 1
	.set _ZN7rocprim17ROCPRIM_400000_NS6detail17trampoline_kernelINS0_14default_configENS1_38merge_sort_block_merge_config_selectorIN3c104HalfElEEZZNS1_27merge_sort_block_merge_implIS3_PS6_N6thrust23THRUST_200600_302600_NS10device_ptrIlEEmNSB_4lessIS6_EEEE10hipError_tT0_T1_T2_jT3_P12ihipStream_tbPNSt15iterator_traitsISH_E10value_typeEPNSN_ISI_E10value_typeEPSJ_NS1_7vsmem_tEENKUlT_SH_SI_SJ_E_clIS9_S9_PlSD_EESG_SW_SH_SI_SJ_EUlSW_E1_NS1_11comp_targetILNS1_3genE2ELNS1_11target_archE906ELNS1_3gpuE6ELNS1_3repE0EEENS1_36merge_oddeven_config_static_selectorELNS0_4arch9wavefront6targetE1EEEvSI_.uses_flat_scratch, 0
	.set _ZN7rocprim17ROCPRIM_400000_NS6detail17trampoline_kernelINS0_14default_configENS1_38merge_sort_block_merge_config_selectorIN3c104HalfElEEZZNS1_27merge_sort_block_merge_implIS3_PS6_N6thrust23THRUST_200600_302600_NS10device_ptrIlEEmNSB_4lessIS6_EEEE10hipError_tT0_T1_T2_jT3_P12ihipStream_tbPNSt15iterator_traitsISH_E10value_typeEPNSN_ISI_E10value_typeEPSJ_NS1_7vsmem_tEENKUlT_SH_SI_SJ_E_clIS9_S9_PlSD_EESG_SW_SH_SI_SJ_EUlSW_E1_NS1_11comp_targetILNS1_3genE2ELNS1_11target_archE906ELNS1_3gpuE6ELNS1_3repE0EEENS1_36merge_oddeven_config_static_selectorELNS0_4arch9wavefront6targetE1EEEvSI_.has_dyn_sized_stack, 0
	.set _ZN7rocprim17ROCPRIM_400000_NS6detail17trampoline_kernelINS0_14default_configENS1_38merge_sort_block_merge_config_selectorIN3c104HalfElEEZZNS1_27merge_sort_block_merge_implIS3_PS6_N6thrust23THRUST_200600_302600_NS10device_ptrIlEEmNSB_4lessIS6_EEEE10hipError_tT0_T1_T2_jT3_P12ihipStream_tbPNSt15iterator_traitsISH_E10value_typeEPNSN_ISI_E10value_typeEPSJ_NS1_7vsmem_tEENKUlT_SH_SI_SJ_E_clIS9_S9_PlSD_EESG_SW_SH_SI_SJ_EUlSW_E1_NS1_11comp_targetILNS1_3genE2ELNS1_11target_archE906ELNS1_3gpuE6ELNS1_3repE0EEENS1_36merge_oddeven_config_static_selectorELNS0_4arch9wavefront6targetE1EEEvSI_.has_recursion, 0
	.set _ZN7rocprim17ROCPRIM_400000_NS6detail17trampoline_kernelINS0_14default_configENS1_38merge_sort_block_merge_config_selectorIN3c104HalfElEEZZNS1_27merge_sort_block_merge_implIS3_PS6_N6thrust23THRUST_200600_302600_NS10device_ptrIlEEmNSB_4lessIS6_EEEE10hipError_tT0_T1_T2_jT3_P12ihipStream_tbPNSt15iterator_traitsISH_E10value_typeEPNSN_ISI_E10value_typeEPSJ_NS1_7vsmem_tEENKUlT_SH_SI_SJ_E_clIS9_S9_PlSD_EESG_SW_SH_SI_SJ_EUlSW_E1_NS1_11comp_targetILNS1_3genE2ELNS1_11target_archE906ELNS1_3gpuE6ELNS1_3repE0EEENS1_36merge_oddeven_config_static_selectorELNS0_4arch9wavefront6targetE1EEEvSI_.has_indirect_call, 0
	.section	.AMDGPU.csdata,"",@progbits
; Kernel info:
; codeLenInByte = 824
; TotalNumSgprs: 28
; NumVgprs: 10
; ScratchSize: 0
; MemoryBound: 0
; FloatMode: 240
; IeeeMode: 1
; LDSByteSize: 0 bytes/workgroup (compile time only)
; SGPRBlocks: 3
; VGPRBlocks: 2
; NumSGPRsForWavesPerEU: 28
; NumVGPRsForWavesPerEU: 10
; Occupancy: 10
; WaveLimiterHint : 0
; COMPUTE_PGM_RSRC2:SCRATCH_EN: 0
; COMPUTE_PGM_RSRC2:USER_SGPR: 6
; COMPUTE_PGM_RSRC2:TRAP_HANDLER: 0
; COMPUTE_PGM_RSRC2:TGID_X_EN: 1
; COMPUTE_PGM_RSRC2:TGID_Y_EN: 0
; COMPUTE_PGM_RSRC2:TGID_Z_EN: 0
; COMPUTE_PGM_RSRC2:TIDIG_COMP_CNT: 0
	.section	.text._ZN7rocprim17ROCPRIM_400000_NS6detail17trampoline_kernelINS0_14default_configENS1_38merge_sort_block_merge_config_selectorIN3c104HalfElEEZZNS1_27merge_sort_block_merge_implIS3_PS6_N6thrust23THRUST_200600_302600_NS10device_ptrIlEEmNSB_4lessIS6_EEEE10hipError_tT0_T1_T2_jT3_P12ihipStream_tbPNSt15iterator_traitsISH_E10value_typeEPNSN_ISI_E10value_typeEPSJ_NS1_7vsmem_tEENKUlT_SH_SI_SJ_E_clIS9_S9_PlSD_EESG_SW_SH_SI_SJ_EUlSW_E1_NS1_11comp_targetILNS1_3genE9ELNS1_11target_archE1100ELNS1_3gpuE3ELNS1_3repE0EEENS1_36merge_oddeven_config_static_selectorELNS0_4arch9wavefront6targetE1EEEvSI_,"axG",@progbits,_ZN7rocprim17ROCPRIM_400000_NS6detail17trampoline_kernelINS0_14default_configENS1_38merge_sort_block_merge_config_selectorIN3c104HalfElEEZZNS1_27merge_sort_block_merge_implIS3_PS6_N6thrust23THRUST_200600_302600_NS10device_ptrIlEEmNSB_4lessIS6_EEEE10hipError_tT0_T1_T2_jT3_P12ihipStream_tbPNSt15iterator_traitsISH_E10value_typeEPNSN_ISI_E10value_typeEPSJ_NS1_7vsmem_tEENKUlT_SH_SI_SJ_E_clIS9_S9_PlSD_EESG_SW_SH_SI_SJ_EUlSW_E1_NS1_11comp_targetILNS1_3genE9ELNS1_11target_archE1100ELNS1_3gpuE3ELNS1_3repE0EEENS1_36merge_oddeven_config_static_selectorELNS0_4arch9wavefront6targetE1EEEvSI_,comdat
	.protected	_ZN7rocprim17ROCPRIM_400000_NS6detail17trampoline_kernelINS0_14default_configENS1_38merge_sort_block_merge_config_selectorIN3c104HalfElEEZZNS1_27merge_sort_block_merge_implIS3_PS6_N6thrust23THRUST_200600_302600_NS10device_ptrIlEEmNSB_4lessIS6_EEEE10hipError_tT0_T1_T2_jT3_P12ihipStream_tbPNSt15iterator_traitsISH_E10value_typeEPNSN_ISI_E10value_typeEPSJ_NS1_7vsmem_tEENKUlT_SH_SI_SJ_E_clIS9_S9_PlSD_EESG_SW_SH_SI_SJ_EUlSW_E1_NS1_11comp_targetILNS1_3genE9ELNS1_11target_archE1100ELNS1_3gpuE3ELNS1_3repE0EEENS1_36merge_oddeven_config_static_selectorELNS0_4arch9wavefront6targetE1EEEvSI_ ; -- Begin function _ZN7rocprim17ROCPRIM_400000_NS6detail17trampoline_kernelINS0_14default_configENS1_38merge_sort_block_merge_config_selectorIN3c104HalfElEEZZNS1_27merge_sort_block_merge_implIS3_PS6_N6thrust23THRUST_200600_302600_NS10device_ptrIlEEmNSB_4lessIS6_EEEE10hipError_tT0_T1_T2_jT3_P12ihipStream_tbPNSt15iterator_traitsISH_E10value_typeEPNSN_ISI_E10value_typeEPSJ_NS1_7vsmem_tEENKUlT_SH_SI_SJ_E_clIS9_S9_PlSD_EESG_SW_SH_SI_SJ_EUlSW_E1_NS1_11comp_targetILNS1_3genE9ELNS1_11target_archE1100ELNS1_3gpuE3ELNS1_3repE0EEENS1_36merge_oddeven_config_static_selectorELNS0_4arch9wavefront6targetE1EEEvSI_
	.globl	_ZN7rocprim17ROCPRIM_400000_NS6detail17trampoline_kernelINS0_14default_configENS1_38merge_sort_block_merge_config_selectorIN3c104HalfElEEZZNS1_27merge_sort_block_merge_implIS3_PS6_N6thrust23THRUST_200600_302600_NS10device_ptrIlEEmNSB_4lessIS6_EEEE10hipError_tT0_T1_T2_jT3_P12ihipStream_tbPNSt15iterator_traitsISH_E10value_typeEPNSN_ISI_E10value_typeEPSJ_NS1_7vsmem_tEENKUlT_SH_SI_SJ_E_clIS9_S9_PlSD_EESG_SW_SH_SI_SJ_EUlSW_E1_NS1_11comp_targetILNS1_3genE9ELNS1_11target_archE1100ELNS1_3gpuE3ELNS1_3repE0EEENS1_36merge_oddeven_config_static_selectorELNS0_4arch9wavefront6targetE1EEEvSI_
	.p2align	8
	.type	_ZN7rocprim17ROCPRIM_400000_NS6detail17trampoline_kernelINS0_14default_configENS1_38merge_sort_block_merge_config_selectorIN3c104HalfElEEZZNS1_27merge_sort_block_merge_implIS3_PS6_N6thrust23THRUST_200600_302600_NS10device_ptrIlEEmNSB_4lessIS6_EEEE10hipError_tT0_T1_T2_jT3_P12ihipStream_tbPNSt15iterator_traitsISH_E10value_typeEPNSN_ISI_E10value_typeEPSJ_NS1_7vsmem_tEENKUlT_SH_SI_SJ_E_clIS9_S9_PlSD_EESG_SW_SH_SI_SJ_EUlSW_E1_NS1_11comp_targetILNS1_3genE9ELNS1_11target_archE1100ELNS1_3gpuE3ELNS1_3repE0EEENS1_36merge_oddeven_config_static_selectorELNS0_4arch9wavefront6targetE1EEEvSI_,@function
_ZN7rocprim17ROCPRIM_400000_NS6detail17trampoline_kernelINS0_14default_configENS1_38merge_sort_block_merge_config_selectorIN3c104HalfElEEZZNS1_27merge_sort_block_merge_implIS3_PS6_N6thrust23THRUST_200600_302600_NS10device_ptrIlEEmNSB_4lessIS6_EEEE10hipError_tT0_T1_T2_jT3_P12ihipStream_tbPNSt15iterator_traitsISH_E10value_typeEPNSN_ISI_E10value_typeEPSJ_NS1_7vsmem_tEENKUlT_SH_SI_SJ_E_clIS9_S9_PlSD_EESG_SW_SH_SI_SJ_EUlSW_E1_NS1_11comp_targetILNS1_3genE9ELNS1_11target_archE1100ELNS1_3gpuE3ELNS1_3repE0EEENS1_36merge_oddeven_config_static_selectorELNS0_4arch9wavefront6targetE1EEEvSI_: ; @_ZN7rocprim17ROCPRIM_400000_NS6detail17trampoline_kernelINS0_14default_configENS1_38merge_sort_block_merge_config_selectorIN3c104HalfElEEZZNS1_27merge_sort_block_merge_implIS3_PS6_N6thrust23THRUST_200600_302600_NS10device_ptrIlEEmNSB_4lessIS6_EEEE10hipError_tT0_T1_T2_jT3_P12ihipStream_tbPNSt15iterator_traitsISH_E10value_typeEPNSN_ISI_E10value_typeEPSJ_NS1_7vsmem_tEENKUlT_SH_SI_SJ_E_clIS9_S9_PlSD_EESG_SW_SH_SI_SJ_EUlSW_E1_NS1_11comp_targetILNS1_3genE9ELNS1_11target_archE1100ELNS1_3gpuE3ELNS1_3repE0EEENS1_36merge_oddeven_config_static_selectorELNS0_4arch9wavefront6targetE1EEEvSI_
; %bb.0:
	.section	.rodata,"a",@progbits
	.p2align	6, 0x0
	.amdhsa_kernel _ZN7rocprim17ROCPRIM_400000_NS6detail17trampoline_kernelINS0_14default_configENS1_38merge_sort_block_merge_config_selectorIN3c104HalfElEEZZNS1_27merge_sort_block_merge_implIS3_PS6_N6thrust23THRUST_200600_302600_NS10device_ptrIlEEmNSB_4lessIS6_EEEE10hipError_tT0_T1_T2_jT3_P12ihipStream_tbPNSt15iterator_traitsISH_E10value_typeEPNSN_ISI_E10value_typeEPSJ_NS1_7vsmem_tEENKUlT_SH_SI_SJ_E_clIS9_S9_PlSD_EESG_SW_SH_SI_SJ_EUlSW_E1_NS1_11comp_targetILNS1_3genE9ELNS1_11target_archE1100ELNS1_3gpuE3ELNS1_3repE0EEENS1_36merge_oddeven_config_static_selectorELNS0_4arch9wavefront6targetE1EEEvSI_
		.amdhsa_group_segment_fixed_size 0
		.amdhsa_private_segment_fixed_size 0
		.amdhsa_kernarg_size 56
		.amdhsa_user_sgpr_count 6
		.amdhsa_user_sgpr_private_segment_buffer 1
		.amdhsa_user_sgpr_dispatch_ptr 0
		.amdhsa_user_sgpr_queue_ptr 0
		.amdhsa_user_sgpr_kernarg_segment_ptr 1
		.amdhsa_user_sgpr_dispatch_id 0
		.amdhsa_user_sgpr_flat_scratch_init 0
		.amdhsa_user_sgpr_private_segment_size 0
		.amdhsa_uses_dynamic_stack 0
		.amdhsa_system_sgpr_private_segment_wavefront_offset 0
		.amdhsa_system_sgpr_workgroup_id_x 1
		.amdhsa_system_sgpr_workgroup_id_y 0
		.amdhsa_system_sgpr_workgroup_id_z 0
		.amdhsa_system_sgpr_workgroup_info 0
		.amdhsa_system_vgpr_workitem_id 0
		.amdhsa_next_free_vgpr 1
		.amdhsa_next_free_sgpr 0
		.amdhsa_reserve_vcc 0
		.amdhsa_reserve_flat_scratch 0
		.amdhsa_float_round_mode_32 0
		.amdhsa_float_round_mode_16_64 0
		.amdhsa_float_denorm_mode_32 3
		.amdhsa_float_denorm_mode_16_64 3
		.amdhsa_dx10_clamp 1
		.amdhsa_ieee_mode 1
		.amdhsa_fp16_overflow 0
		.amdhsa_exception_fp_ieee_invalid_op 0
		.amdhsa_exception_fp_denorm_src 0
		.amdhsa_exception_fp_ieee_div_zero 0
		.amdhsa_exception_fp_ieee_overflow 0
		.amdhsa_exception_fp_ieee_underflow 0
		.amdhsa_exception_fp_ieee_inexact 0
		.amdhsa_exception_int_div_zero 0
	.end_amdhsa_kernel
	.section	.text._ZN7rocprim17ROCPRIM_400000_NS6detail17trampoline_kernelINS0_14default_configENS1_38merge_sort_block_merge_config_selectorIN3c104HalfElEEZZNS1_27merge_sort_block_merge_implIS3_PS6_N6thrust23THRUST_200600_302600_NS10device_ptrIlEEmNSB_4lessIS6_EEEE10hipError_tT0_T1_T2_jT3_P12ihipStream_tbPNSt15iterator_traitsISH_E10value_typeEPNSN_ISI_E10value_typeEPSJ_NS1_7vsmem_tEENKUlT_SH_SI_SJ_E_clIS9_S9_PlSD_EESG_SW_SH_SI_SJ_EUlSW_E1_NS1_11comp_targetILNS1_3genE9ELNS1_11target_archE1100ELNS1_3gpuE3ELNS1_3repE0EEENS1_36merge_oddeven_config_static_selectorELNS0_4arch9wavefront6targetE1EEEvSI_,"axG",@progbits,_ZN7rocprim17ROCPRIM_400000_NS6detail17trampoline_kernelINS0_14default_configENS1_38merge_sort_block_merge_config_selectorIN3c104HalfElEEZZNS1_27merge_sort_block_merge_implIS3_PS6_N6thrust23THRUST_200600_302600_NS10device_ptrIlEEmNSB_4lessIS6_EEEE10hipError_tT0_T1_T2_jT3_P12ihipStream_tbPNSt15iterator_traitsISH_E10value_typeEPNSN_ISI_E10value_typeEPSJ_NS1_7vsmem_tEENKUlT_SH_SI_SJ_E_clIS9_S9_PlSD_EESG_SW_SH_SI_SJ_EUlSW_E1_NS1_11comp_targetILNS1_3genE9ELNS1_11target_archE1100ELNS1_3gpuE3ELNS1_3repE0EEENS1_36merge_oddeven_config_static_selectorELNS0_4arch9wavefront6targetE1EEEvSI_,comdat
.Lfunc_end2146:
	.size	_ZN7rocprim17ROCPRIM_400000_NS6detail17trampoline_kernelINS0_14default_configENS1_38merge_sort_block_merge_config_selectorIN3c104HalfElEEZZNS1_27merge_sort_block_merge_implIS3_PS6_N6thrust23THRUST_200600_302600_NS10device_ptrIlEEmNSB_4lessIS6_EEEE10hipError_tT0_T1_T2_jT3_P12ihipStream_tbPNSt15iterator_traitsISH_E10value_typeEPNSN_ISI_E10value_typeEPSJ_NS1_7vsmem_tEENKUlT_SH_SI_SJ_E_clIS9_S9_PlSD_EESG_SW_SH_SI_SJ_EUlSW_E1_NS1_11comp_targetILNS1_3genE9ELNS1_11target_archE1100ELNS1_3gpuE3ELNS1_3repE0EEENS1_36merge_oddeven_config_static_selectorELNS0_4arch9wavefront6targetE1EEEvSI_, .Lfunc_end2146-_ZN7rocprim17ROCPRIM_400000_NS6detail17trampoline_kernelINS0_14default_configENS1_38merge_sort_block_merge_config_selectorIN3c104HalfElEEZZNS1_27merge_sort_block_merge_implIS3_PS6_N6thrust23THRUST_200600_302600_NS10device_ptrIlEEmNSB_4lessIS6_EEEE10hipError_tT0_T1_T2_jT3_P12ihipStream_tbPNSt15iterator_traitsISH_E10value_typeEPNSN_ISI_E10value_typeEPSJ_NS1_7vsmem_tEENKUlT_SH_SI_SJ_E_clIS9_S9_PlSD_EESG_SW_SH_SI_SJ_EUlSW_E1_NS1_11comp_targetILNS1_3genE9ELNS1_11target_archE1100ELNS1_3gpuE3ELNS1_3repE0EEENS1_36merge_oddeven_config_static_selectorELNS0_4arch9wavefront6targetE1EEEvSI_
                                        ; -- End function
	.set _ZN7rocprim17ROCPRIM_400000_NS6detail17trampoline_kernelINS0_14default_configENS1_38merge_sort_block_merge_config_selectorIN3c104HalfElEEZZNS1_27merge_sort_block_merge_implIS3_PS6_N6thrust23THRUST_200600_302600_NS10device_ptrIlEEmNSB_4lessIS6_EEEE10hipError_tT0_T1_T2_jT3_P12ihipStream_tbPNSt15iterator_traitsISH_E10value_typeEPNSN_ISI_E10value_typeEPSJ_NS1_7vsmem_tEENKUlT_SH_SI_SJ_E_clIS9_S9_PlSD_EESG_SW_SH_SI_SJ_EUlSW_E1_NS1_11comp_targetILNS1_3genE9ELNS1_11target_archE1100ELNS1_3gpuE3ELNS1_3repE0EEENS1_36merge_oddeven_config_static_selectorELNS0_4arch9wavefront6targetE1EEEvSI_.num_vgpr, 0
	.set _ZN7rocprim17ROCPRIM_400000_NS6detail17trampoline_kernelINS0_14default_configENS1_38merge_sort_block_merge_config_selectorIN3c104HalfElEEZZNS1_27merge_sort_block_merge_implIS3_PS6_N6thrust23THRUST_200600_302600_NS10device_ptrIlEEmNSB_4lessIS6_EEEE10hipError_tT0_T1_T2_jT3_P12ihipStream_tbPNSt15iterator_traitsISH_E10value_typeEPNSN_ISI_E10value_typeEPSJ_NS1_7vsmem_tEENKUlT_SH_SI_SJ_E_clIS9_S9_PlSD_EESG_SW_SH_SI_SJ_EUlSW_E1_NS1_11comp_targetILNS1_3genE9ELNS1_11target_archE1100ELNS1_3gpuE3ELNS1_3repE0EEENS1_36merge_oddeven_config_static_selectorELNS0_4arch9wavefront6targetE1EEEvSI_.num_agpr, 0
	.set _ZN7rocprim17ROCPRIM_400000_NS6detail17trampoline_kernelINS0_14default_configENS1_38merge_sort_block_merge_config_selectorIN3c104HalfElEEZZNS1_27merge_sort_block_merge_implIS3_PS6_N6thrust23THRUST_200600_302600_NS10device_ptrIlEEmNSB_4lessIS6_EEEE10hipError_tT0_T1_T2_jT3_P12ihipStream_tbPNSt15iterator_traitsISH_E10value_typeEPNSN_ISI_E10value_typeEPSJ_NS1_7vsmem_tEENKUlT_SH_SI_SJ_E_clIS9_S9_PlSD_EESG_SW_SH_SI_SJ_EUlSW_E1_NS1_11comp_targetILNS1_3genE9ELNS1_11target_archE1100ELNS1_3gpuE3ELNS1_3repE0EEENS1_36merge_oddeven_config_static_selectorELNS0_4arch9wavefront6targetE1EEEvSI_.numbered_sgpr, 0
	.set _ZN7rocprim17ROCPRIM_400000_NS6detail17trampoline_kernelINS0_14default_configENS1_38merge_sort_block_merge_config_selectorIN3c104HalfElEEZZNS1_27merge_sort_block_merge_implIS3_PS6_N6thrust23THRUST_200600_302600_NS10device_ptrIlEEmNSB_4lessIS6_EEEE10hipError_tT0_T1_T2_jT3_P12ihipStream_tbPNSt15iterator_traitsISH_E10value_typeEPNSN_ISI_E10value_typeEPSJ_NS1_7vsmem_tEENKUlT_SH_SI_SJ_E_clIS9_S9_PlSD_EESG_SW_SH_SI_SJ_EUlSW_E1_NS1_11comp_targetILNS1_3genE9ELNS1_11target_archE1100ELNS1_3gpuE3ELNS1_3repE0EEENS1_36merge_oddeven_config_static_selectorELNS0_4arch9wavefront6targetE1EEEvSI_.num_named_barrier, 0
	.set _ZN7rocprim17ROCPRIM_400000_NS6detail17trampoline_kernelINS0_14default_configENS1_38merge_sort_block_merge_config_selectorIN3c104HalfElEEZZNS1_27merge_sort_block_merge_implIS3_PS6_N6thrust23THRUST_200600_302600_NS10device_ptrIlEEmNSB_4lessIS6_EEEE10hipError_tT0_T1_T2_jT3_P12ihipStream_tbPNSt15iterator_traitsISH_E10value_typeEPNSN_ISI_E10value_typeEPSJ_NS1_7vsmem_tEENKUlT_SH_SI_SJ_E_clIS9_S9_PlSD_EESG_SW_SH_SI_SJ_EUlSW_E1_NS1_11comp_targetILNS1_3genE9ELNS1_11target_archE1100ELNS1_3gpuE3ELNS1_3repE0EEENS1_36merge_oddeven_config_static_selectorELNS0_4arch9wavefront6targetE1EEEvSI_.private_seg_size, 0
	.set _ZN7rocprim17ROCPRIM_400000_NS6detail17trampoline_kernelINS0_14default_configENS1_38merge_sort_block_merge_config_selectorIN3c104HalfElEEZZNS1_27merge_sort_block_merge_implIS3_PS6_N6thrust23THRUST_200600_302600_NS10device_ptrIlEEmNSB_4lessIS6_EEEE10hipError_tT0_T1_T2_jT3_P12ihipStream_tbPNSt15iterator_traitsISH_E10value_typeEPNSN_ISI_E10value_typeEPSJ_NS1_7vsmem_tEENKUlT_SH_SI_SJ_E_clIS9_S9_PlSD_EESG_SW_SH_SI_SJ_EUlSW_E1_NS1_11comp_targetILNS1_3genE9ELNS1_11target_archE1100ELNS1_3gpuE3ELNS1_3repE0EEENS1_36merge_oddeven_config_static_selectorELNS0_4arch9wavefront6targetE1EEEvSI_.uses_vcc, 0
	.set _ZN7rocprim17ROCPRIM_400000_NS6detail17trampoline_kernelINS0_14default_configENS1_38merge_sort_block_merge_config_selectorIN3c104HalfElEEZZNS1_27merge_sort_block_merge_implIS3_PS6_N6thrust23THRUST_200600_302600_NS10device_ptrIlEEmNSB_4lessIS6_EEEE10hipError_tT0_T1_T2_jT3_P12ihipStream_tbPNSt15iterator_traitsISH_E10value_typeEPNSN_ISI_E10value_typeEPSJ_NS1_7vsmem_tEENKUlT_SH_SI_SJ_E_clIS9_S9_PlSD_EESG_SW_SH_SI_SJ_EUlSW_E1_NS1_11comp_targetILNS1_3genE9ELNS1_11target_archE1100ELNS1_3gpuE3ELNS1_3repE0EEENS1_36merge_oddeven_config_static_selectorELNS0_4arch9wavefront6targetE1EEEvSI_.uses_flat_scratch, 0
	.set _ZN7rocprim17ROCPRIM_400000_NS6detail17trampoline_kernelINS0_14default_configENS1_38merge_sort_block_merge_config_selectorIN3c104HalfElEEZZNS1_27merge_sort_block_merge_implIS3_PS6_N6thrust23THRUST_200600_302600_NS10device_ptrIlEEmNSB_4lessIS6_EEEE10hipError_tT0_T1_T2_jT3_P12ihipStream_tbPNSt15iterator_traitsISH_E10value_typeEPNSN_ISI_E10value_typeEPSJ_NS1_7vsmem_tEENKUlT_SH_SI_SJ_E_clIS9_S9_PlSD_EESG_SW_SH_SI_SJ_EUlSW_E1_NS1_11comp_targetILNS1_3genE9ELNS1_11target_archE1100ELNS1_3gpuE3ELNS1_3repE0EEENS1_36merge_oddeven_config_static_selectorELNS0_4arch9wavefront6targetE1EEEvSI_.has_dyn_sized_stack, 0
	.set _ZN7rocprim17ROCPRIM_400000_NS6detail17trampoline_kernelINS0_14default_configENS1_38merge_sort_block_merge_config_selectorIN3c104HalfElEEZZNS1_27merge_sort_block_merge_implIS3_PS6_N6thrust23THRUST_200600_302600_NS10device_ptrIlEEmNSB_4lessIS6_EEEE10hipError_tT0_T1_T2_jT3_P12ihipStream_tbPNSt15iterator_traitsISH_E10value_typeEPNSN_ISI_E10value_typeEPSJ_NS1_7vsmem_tEENKUlT_SH_SI_SJ_E_clIS9_S9_PlSD_EESG_SW_SH_SI_SJ_EUlSW_E1_NS1_11comp_targetILNS1_3genE9ELNS1_11target_archE1100ELNS1_3gpuE3ELNS1_3repE0EEENS1_36merge_oddeven_config_static_selectorELNS0_4arch9wavefront6targetE1EEEvSI_.has_recursion, 0
	.set _ZN7rocprim17ROCPRIM_400000_NS6detail17trampoline_kernelINS0_14default_configENS1_38merge_sort_block_merge_config_selectorIN3c104HalfElEEZZNS1_27merge_sort_block_merge_implIS3_PS6_N6thrust23THRUST_200600_302600_NS10device_ptrIlEEmNSB_4lessIS6_EEEE10hipError_tT0_T1_T2_jT3_P12ihipStream_tbPNSt15iterator_traitsISH_E10value_typeEPNSN_ISI_E10value_typeEPSJ_NS1_7vsmem_tEENKUlT_SH_SI_SJ_E_clIS9_S9_PlSD_EESG_SW_SH_SI_SJ_EUlSW_E1_NS1_11comp_targetILNS1_3genE9ELNS1_11target_archE1100ELNS1_3gpuE3ELNS1_3repE0EEENS1_36merge_oddeven_config_static_selectorELNS0_4arch9wavefront6targetE1EEEvSI_.has_indirect_call, 0
	.section	.AMDGPU.csdata,"",@progbits
; Kernel info:
; codeLenInByte = 0
; TotalNumSgprs: 4
; NumVgprs: 0
; ScratchSize: 0
; MemoryBound: 0
; FloatMode: 240
; IeeeMode: 1
; LDSByteSize: 0 bytes/workgroup (compile time only)
; SGPRBlocks: 0
; VGPRBlocks: 0
; NumSGPRsForWavesPerEU: 4
; NumVGPRsForWavesPerEU: 1
; Occupancy: 10
; WaveLimiterHint : 0
; COMPUTE_PGM_RSRC2:SCRATCH_EN: 0
; COMPUTE_PGM_RSRC2:USER_SGPR: 6
; COMPUTE_PGM_RSRC2:TRAP_HANDLER: 0
; COMPUTE_PGM_RSRC2:TGID_X_EN: 1
; COMPUTE_PGM_RSRC2:TGID_Y_EN: 0
; COMPUTE_PGM_RSRC2:TGID_Z_EN: 0
; COMPUTE_PGM_RSRC2:TIDIG_COMP_CNT: 0
	.section	.text._ZN7rocprim17ROCPRIM_400000_NS6detail17trampoline_kernelINS0_14default_configENS1_38merge_sort_block_merge_config_selectorIN3c104HalfElEEZZNS1_27merge_sort_block_merge_implIS3_PS6_N6thrust23THRUST_200600_302600_NS10device_ptrIlEEmNSB_4lessIS6_EEEE10hipError_tT0_T1_T2_jT3_P12ihipStream_tbPNSt15iterator_traitsISH_E10value_typeEPNSN_ISI_E10value_typeEPSJ_NS1_7vsmem_tEENKUlT_SH_SI_SJ_E_clIS9_S9_PlSD_EESG_SW_SH_SI_SJ_EUlSW_E1_NS1_11comp_targetILNS1_3genE8ELNS1_11target_archE1030ELNS1_3gpuE2ELNS1_3repE0EEENS1_36merge_oddeven_config_static_selectorELNS0_4arch9wavefront6targetE1EEEvSI_,"axG",@progbits,_ZN7rocprim17ROCPRIM_400000_NS6detail17trampoline_kernelINS0_14default_configENS1_38merge_sort_block_merge_config_selectorIN3c104HalfElEEZZNS1_27merge_sort_block_merge_implIS3_PS6_N6thrust23THRUST_200600_302600_NS10device_ptrIlEEmNSB_4lessIS6_EEEE10hipError_tT0_T1_T2_jT3_P12ihipStream_tbPNSt15iterator_traitsISH_E10value_typeEPNSN_ISI_E10value_typeEPSJ_NS1_7vsmem_tEENKUlT_SH_SI_SJ_E_clIS9_S9_PlSD_EESG_SW_SH_SI_SJ_EUlSW_E1_NS1_11comp_targetILNS1_3genE8ELNS1_11target_archE1030ELNS1_3gpuE2ELNS1_3repE0EEENS1_36merge_oddeven_config_static_selectorELNS0_4arch9wavefront6targetE1EEEvSI_,comdat
	.protected	_ZN7rocprim17ROCPRIM_400000_NS6detail17trampoline_kernelINS0_14default_configENS1_38merge_sort_block_merge_config_selectorIN3c104HalfElEEZZNS1_27merge_sort_block_merge_implIS3_PS6_N6thrust23THRUST_200600_302600_NS10device_ptrIlEEmNSB_4lessIS6_EEEE10hipError_tT0_T1_T2_jT3_P12ihipStream_tbPNSt15iterator_traitsISH_E10value_typeEPNSN_ISI_E10value_typeEPSJ_NS1_7vsmem_tEENKUlT_SH_SI_SJ_E_clIS9_S9_PlSD_EESG_SW_SH_SI_SJ_EUlSW_E1_NS1_11comp_targetILNS1_3genE8ELNS1_11target_archE1030ELNS1_3gpuE2ELNS1_3repE0EEENS1_36merge_oddeven_config_static_selectorELNS0_4arch9wavefront6targetE1EEEvSI_ ; -- Begin function _ZN7rocprim17ROCPRIM_400000_NS6detail17trampoline_kernelINS0_14default_configENS1_38merge_sort_block_merge_config_selectorIN3c104HalfElEEZZNS1_27merge_sort_block_merge_implIS3_PS6_N6thrust23THRUST_200600_302600_NS10device_ptrIlEEmNSB_4lessIS6_EEEE10hipError_tT0_T1_T2_jT3_P12ihipStream_tbPNSt15iterator_traitsISH_E10value_typeEPNSN_ISI_E10value_typeEPSJ_NS1_7vsmem_tEENKUlT_SH_SI_SJ_E_clIS9_S9_PlSD_EESG_SW_SH_SI_SJ_EUlSW_E1_NS1_11comp_targetILNS1_3genE8ELNS1_11target_archE1030ELNS1_3gpuE2ELNS1_3repE0EEENS1_36merge_oddeven_config_static_selectorELNS0_4arch9wavefront6targetE1EEEvSI_
	.globl	_ZN7rocprim17ROCPRIM_400000_NS6detail17trampoline_kernelINS0_14default_configENS1_38merge_sort_block_merge_config_selectorIN3c104HalfElEEZZNS1_27merge_sort_block_merge_implIS3_PS6_N6thrust23THRUST_200600_302600_NS10device_ptrIlEEmNSB_4lessIS6_EEEE10hipError_tT0_T1_T2_jT3_P12ihipStream_tbPNSt15iterator_traitsISH_E10value_typeEPNSN_ISI_E10value_typeEPSJ_NS1_7vsmem_tEENKUlT_SH_SI_SJ_E_clIS9_S9_PlSD_EESG_SW_SH_SI_SJ_EUlSW_E1_NS1_11comp_targetILNS1_3genE8ELNS1_11target_archE1030ELNS1_3gpuE2ELNS1_3repE0EEENS1_36merge_oddeven_config_static_selectorELNS0_4arch9wavefront6targetE1EEEvSI_
	.p2align	8
	.type	_ZN7rocprim17ROCPRIM_400000_NS6detail17trampoline_kernelINS0_14default_configENS1_38merge_sort_block_merge_config_selectorIN3c104HalfElEEZZNS1_27merge_sort_block_merge_implIS3_PS6_N6thrust23THRUST_200600_302600_NS10device_ptrIlEEmNSB_4lessIS6_EEEE10hipError_tT0_T1_T2_jT3_P12ihipStream_tbPNSt15iterator_traitsISH_E10value_typeEPNSN_ISI_E10value_typeEPSJ_NS1_7vsmem_tEENKUlT_SH_SI_SJ_E_clIS9_S9_PlSD_EESG_SW_SH_SI_SJ_EUlSW_E1_NS1_11comp_targetILNS1_3genE8ELNS1_11target_archE1030ELNS1_3gpuE2ELNS1_3repE0EEENS1_36merge_oddeven_config_static_selectorELNS0_4arch9wavefront6targetE1EEEvSI_,@function
_ZN7rocprim17ROCPRIM_400000_NS6detail17trampoline_kernelINS0_14default_configENS1_38merge_sort_block_merge_config_selectorIN3c104HalfElEEZZNS1_27merge_sort_block_merge_implIS3_PS6_N6thrust23THRUST_200600_302600_NS10device_ptrIlEEmNSB_4lessIS6_EEEE10hipError_tT0_T1_T2_jT3_P12ihipStream_tbPNSt15iterator_traitsISH_E10value_typeEPNSN_ISI_E10value_typeEPSJ_NS1_7vsmem_tEENKUlT_SH_SI_SJ_E_clIS9_S9_PlSD_EESG_SW_SH_SI_SJ_EUlSW_E1_NS1_11comp_targetILNS1_3genE8ELNS1_11target_archE1030ELNS1_3gpuE2ELNS1_3repE0EEENS1_36merge_oddeven_config_static_selectorELNS0_4arch9wavefront6targetE1EEEvSI_: ; @_ZN7rocprim17ROCPRIM_400000_NS6detail17trampoline_kernelINS0_14default_configENS1_38merge_sort_block_merge_config_selectorIN3c104HalfElEEZZNS1_27merge_sort_block_merge_implIS3_PS6_N6thrust23THRUST_200600_302600_NS10device_ptrIlEEmNSB_4lessIS6_EEEE10hipError_tT0_T1_T2_jT3_P12ihipStream_tbPNSt15iterator_traitsISH_E10value_typeEPNSN_ISI_E10value_typeEPSJ_NS1_7vsmem_tEENKUlT_SH_SI_SJ_E_clIS9_S9_PlSD_EESG_SW_SH_SI_SJ_EUlSW_E1_NS1_11comp_targetILNS1_3genE8ELNS1_11target_archE1030ELNS1_3gpuE2ELNS1_3repE0EEENS1_36merge_oddeven_config_static_selectorELNS0_4arch9wavefront6targetE1EEEvSI_
; %bb.0:
	.section	.rodata,"a",@progbits
	.p2align	6, 0x0
	.amdhsa_kernel _ZN7rocprim17ROCPRIM_400000_NS6detail17trampoline_kernelINS0_14default_configENS1_38merge_sort_block_merge_config_selectorIN3c104HalfElEEZZNS1_27merge_sort_block_merge_implIS3_PS6_N6thrust23THRUST_200600_302600_NS10device_ptrIlEEmNSB_4lessIS6_EEEE10hipError_tT0_T1_T2_jT3_P12ihipStream_tbPNSt15iterator_traitsISH_E10value_typeEPNSN_ISI_E10value_typeEPSJ_NS1_7vsmem_tEENKUlT_SH_SI_SJ_E_clIS9_S9_PlSD_EESG_SW_SH_SI_SJ_EUlSW_E1_NS1_11comp_targetILNS1_3genE8ELNS1_11target_archE1030ELNS1_3gpuE2ELNS1_3repE0EEENS1_36merge_oddeven_config_static_selectorELNS0_4arch9wavefront6targetE1EEEvSI_
		.amdhsa_group_segment_fixed_size 0
		.amdhsa_private_segment_fixed_size 0
		.amdhsa_kernarg_size 56
		.amdhsa_user_sgpr_count 6
		.amdhsa_user_sgpr_private_segment_buffer 1
		.amdhsa_user_sgpr_dispatch_ptr 0
		.amdhsa_user_sgpr_queue_ptr 0
		.amdhsa_user_sgpr_kernarg_segment_ptr 1
		.amdhsa_user_sgpr_dispatch_id 0
		.amdhsa_user_sgpr_flat_scratch_init 0
		.amdhsa_user_sgpr_private_segment_size 0
		.amdhsa_uses_dynamic_stack 0
		.amdhsa_system_sgpr_private_segment_wavefront_offset 0
		.amdhsa_system_sgpr_workgroup_id_x 1
		.amdhsa_system_sgpr_workgroup_id_y 0
		.amdhsa_system_sgpr_workgroup_id_z 0
		.amdhsa_system_sgpr_workgroup_info 0
		.amdhsa_system_vgpr_workitem_id 0
		.amdhsa_next_free_vgpr 1
		.amdhsa_next_free_sgpr 0
		.amdhsa_reserve_vcc 0
		.amdhsa_reserve_flat_scratch 0
		.amdhsa_float_round_mode_32 0
		.amdhsa_float_round_mode_16_64 0
		.amdhsa_float_denorm_mode_32 3
		.amdhsa_float_denorm_mode_16_64 3
		.amdhsa_dx10_clamp 1
		.amdhsa_ieee_mode 1
		.amdhsa_fp16_overflow 0
		.amdhsa_exception_fp_ieee_invalid_op 0
		.amdhsa_exception_fp_denorm_src 0
		.amdhsa_exception_fp_ieee_div_zero 0
		.amdhsa_exception_fp_ieee_overflow 0
		.amdhsa_exception_fp_ieee_underflow 0
		.amdhsa_exception_fp_ieee_inexact 0
		.amdhsa_exception_int_div_zero 0
	.end_amdhsa_kernel
	.section	.text._ZN7rocprim17ROCPRIM_400000_NS6detail17trampoline_kernelINS0_14default_configENS1_38merge_sort_block_merge_config_selectorIN3c104HalfElEEZZNS1_27merge_sort_block_merge_implIS3_PS6_N6thrust23THRUST_200600_302600_NS10device_ptrIlEEmNSB_4lessIS6_EEEE10hipError_tT0_T1_T2_jT3_P12ihipStream_tbPNSt15iterator_traitsISH_E10value_typeEPNSN_ISI_E10value_typeEPSJ_NS1_7vsmem_tEENKUlT_SH_SI_SJ_E_clIS9_S9_PlSD_EESG_SW_SH_SI_SJ_EUlSW_E1_NS1_11comp_targetILNS1_3genE8ELNS1_11target_archE1030ELNS1_3gpuE2ELNS1_3repE0EEENS1_36merge_oddeven_config_static_selectorELNS0_4arch9wavefront6targetE1EEEvSI_,"axG",@progbits,_ZN7rocprim17ROCPRIM_400000_NS6detail17trampoline_kernelINS0_14default_configENS1_38merge_sort_block_merge_config_selectorIN3c104HalfElEEZZNS1_27merge_sort_block_merge_implIS3_PS6_N6thrust23THRUST_200600_302600_NS10device_ptrIlEEmNSB_4lessIS6_EEEE10hipError_tT0_T1_T2_jT3_P12ihipStream_tbPNSt15iterator_traitsISH_E10value_typeEPNSN_ISI_E10value_typeEPSJ_NS1_7vsmem_tEENKUlT_SH_SI_SJ_E_clIS9_S9_PlSD_EESG_SW_SH_SI_SJ_EUlSW_E1_NS1_11comp_targetILNS1_3genE8ELNS1_11target_archE1030ELNS1_3gpuE2ELNS1_3repE0EEENS1_36merge_oddeven_config_static_selectorELNS0_4arch9wavefront6targetE1EEEvSI_,comdat
.Lfunc_end2147:
	.size	_ZN7rocprim17ROCPRIM_400000_NS6detail17trampoline_kernelINS0_14default_configENS1_38merge_sort_block_merge_config_selectorIN3c104HalfElEEZZNS1_27merge_sort_block_merge_implIS3_PS6_N6thrust23THRUST_200600_302600_NS10device_ptrIlEEmNSB_4lessIS6_EEEE10hipError_tT0_T1_T2_jT3_P12ihipStream_tbPNSt15iterator_traitsISH_E10value_typeEPNSN_ISI_E10value_typeEPSJ_NS1_7vsmem_tEENKUlT_SH_SI_SJ_E_clIS9_S9_PlSD_EESG_SW_SH_SI_SJ_EUlSW_E1_NS1_11comp_targetILNS1_3genE8ELNS1_11target_archE1030ELNS1_3gpuE2ELNS1_3repE0EEENS1_36merge_oddeven_config_static_selectorELNS0_4arch9wavefront6targetE1EEEvSI_, .Lfunc_end2147-_ZN7rocprim17ROCPRIM_400000_NS6detail17trampoline_kernelINS0_14default_configENS1_38merge_sort_block_merge_config_selectorIN3c104HalfElEEZZNS1_27merge_sort_block_merge_implIS3_PS6_N6thrust23THRUST_200600_302600_NS10device_ptrIlEEmNSB_4lessIS6_EEEE10hipError_tT0_T1_T2_jT3_P12ihipStream_tbPNSt15iterator_traitsISH_E10value_typeEPNSN_ISI_E10value_typeEPSJ_NS1_7vsmem_tEENKUlT_SH_SI_SJ_E_clIS9_S9_PlSD_EESG_SW_SH_SI_SJ_EUlSW_E1_NS1_11comp_targetILNS1_3genE8ELNS1_11target_archE1030ELNS1_3gpuE2ELNS1_3repE0EEENS1_36merge_oddeven_config_static_selectorELNS0_4arch9wavefront6targetE1EEEvSI_
                                        ; -- End function
	.set _ZN7rocprim17ROCPRIM_400000_NS6detail17trampoline_kernelINS0_14default_configENS1_38merge_sort_block_merge_config_selectorIN3c104HalfElEEZZNS1_27merge_sort_block_merge_implIS3_PS6_N6thrust23THRUST_200600_302600_NS10device_ptrIlEEmNSB_4lessIS6_EEEE10hipError_tT0_T1_T2_jT3_P12ihipStream_tbPNSt15iterator_traitsISH_E10value_typeEPNSN_ISI_E10value_typeEPSJ_NS1_7vsmem_tEENKUlT_SH_SI_SJ_E_clIS9_S9_PlSD_EESG_SW_SH_SI_SJ_EUlSW_E1_NS1_11comp_targetILNS1_3genE8ELNS1_11target_archE1030ELNS1_3gpuE2ELNS1_3repE0EEENS1_36merge_oddeven_config_static_selectorELNS0_4arch9wavefront6targetE1EEEvSI_.num_vgpr, 0
	.set _ZN7rocprim17ROCPRIM_400000_NS6detail17trampoline_kernelINS0_14default_configENS1_38merge_sort_block_merge_config_selectorIN3c104HalfElEEZZNS1_27merge_sort_block_merge_implIS3_PS6_N6thrust23THRUST_200600_302600_NS10device_ptrIlEEmNSB_4lessIS6_EEEE10hipError_tT0_T1_T2_jT3_P12ihipStream_tbPNSt15iterator_traitsISH_E10value_typeEPNSN_ISI_E10value_typeEPSJ_NS1_7vsmem_tEENKUlT_SH_SI_SJ_E_clIS9_S9_PlSD_EESG_SW_SH_SI_SJ_EUlSW_E1_NS1_11comp_targetILNS1_3genE8ELNS1_11target_archE1030ELNS1_3gpuE2ELNS1_3repE0EEENS1_36merge_oddeven_config_static_selectorELNS0_4arch9wavefront6targetE1EEEvSI_.num_agpr, 0
	.set _ZN7rocprim17ROCPRIM_400000_NS6detail17trampoline_kernelINS0_14default_configENS1_38merge_sort_block_merge_config_selectorIN3c104HalfElEEZZNS1_27merge_sort_block_merge_implIS3_PS6_N6thrust23THRUST_200600_302600_NS10device_ptrIlEEmNSB_4lessIS6_EEEE10hipError_tT0_T1_T2_jT3_P12ihipStream_tbPNSt15iterator_traitsISH_E10value_typeEPNSN_ISI_E10value_typeEPSJ_NS1_7vsmem_tEENKUlT_SH_SI_SJ_E_clIS9_S9_PlSD_EESG_SW_SH_SI_SJ_EUlSW_E1_NS1_11comp_targetILNS1_3genE8ELNS1_11target_archE1030ELNS1_3gpuE2ELNS1_3repE0EEENS1_36merge_oddeven_config_static_selectorELNS0_4arch9wavefront6targetE1EEEvSI_.numbered_sgpr, 0
	.set _ZN7rocprim17ROCPRIM_400000_NS6detail17trampoline_kernelINS0_14default_configENS1_38merge_sort_block_merge_config_selectorIN3c104HalfElEEZZNS1_27merge_sort_block_merge_implIS3_PS6_N6thrust23THRUST_200600_302600_NS10device_ptrIlEEmNSB_4lessIS6_EEEE10hipError_tT0_T1_T2_jT3_P12ihipStream_tbPNSt15iterator_traitsISH_E10value_typeEPNSN_ISI_E10value_typeEPSJ_NS1_7vsmem_tEENKUlT_SH_SI_SJ_E_clIS9_S9_PlSD_EESG_SW_SH_SI_SJ_EUlSW_E1_NS1_11comp_targetILNS1_3genE8ELNS1_11target_archE1030ELNS1_3gpuE2ELNS1_3repE0EEENS1_36merge_oddeven_config_static_selectorELNS0_4arch9wavefront6targetE1EEEvSI_.num_named_barrier, 0
	.set _ZN7rocprim17ROCPRIM_400000_NS6detail17trampoline_kernelINS0_14default_configENS1_38merge_sort_block_merge_config_selectorIN3c104HalfElEEZZNS1_27merge_sort_block_merge_implIS3_PS6_N6thrust23THRUST_200600_302600_NS10device_ptrIlEEmNSB_4lessIS6_EEEE10hipError_tT0_T1_T2_jT3_P12ihipStream_tbPNSt15iterator_traitsISH_E10value_typeEPNSN_ISI_E10value_typeEPSJ_NS1_7vsmem_tEENKUlT_SH_SI_SJ_E_clIS9_S9_PlSD_EESG_SW_SH_SI_SJ_EUlSW_E1_NS1_11comp_targetILNS1_3genE8ELNS1_11target_archE1030ELNS1_3gpuE2ELNS1_3repE0EEENS1_36merge_oddeven_config_static_selectorELNS0_4arch9wavefront6targetE1EEEvSI_.private_seg_size, 0
	.set _ZN7rocprim17ROCPRIM_400000_NS6detail17trampoline_kernelINS0_14default_configENS1_38merge_sort_block_merge_config_selectorIN3c104HalfElEEZZNS1_27merge_sort_block_merge_implIS3_PS6_N6thrust23THRUST_200600_302600_NS10device_ptrIlEEmNSB_4lessIS6_EEEE10hipError_tT0_T1_T2_jT3_P12ihipStream_tbPNSt15iterator_traitsISH_E10value_typeEPNSN_ISI_E10value_typeEPSJ_NS1_7vsmem_tEENKUlT_SH_SI_SJ_E_clIS9_S9_PlSD_EESG_SW_SH_SI_SJ_EUlSW_E1_NS1_11comp_targetILNS1_3genE8ELNS1_11target_archE1030ELNS1_3gpuE2ELNS1_3repE0EEENS1_36merge_oddeven_config_static_selectorELNS0_4arch9wavefront6targetE1EEEvSI_.uses_vcc, 0
	.set _ZN7rocprim17ROCPRIM_400000_NS6detail17trampoline_kernelINS0_14default_configENS1_38merge_sort_block_merge_config_selectorIN3c104HalfElEEZZNS1_27merge_sort_block_merge_implIS3_PS6_N6thrust23THRUST_200600_302600_NS10device_ptrIlEEmNSB_4lessIS6_EEEE10hipError_tT0_T1_T2_jT3_P12ihipStream_tbPNSt15iterator_traitsISH_E10value_typeEPNSN_ISI_E10value_typeEPSJ_NS1_7vsmem_tEENKUlT_SH_SI_SJ_E_clIS9_S9_PlSD_EESG_SW_SH_SI_SJ_EUlSW_E1_NS1_11comp_targetILNS1_3genE8ELNS1_11target_archE1030ELNS1_3gpuE2ELNS1_3repE0EEENS1_36merge_oddeven_config_static_selectorELNS0_4arch9wavefront6targetE1EEEvSI_.uses_flat_scratch, 0
	.set _ZN7rocprim17ROCPRIM_400000_NS6detail17trampoline_kernelINS0_14default_configENS1_38merge_sort_block_merge_config_selectorIN3c104HalfElEEZZNS1_27merge_sort_block_merge_implIS3_PS6_N6thrust23THRUST_200600_302600_NS10device_ptrIlEEmNSB_4lessIS6_EEEE10hipError_tT0_T1_T2_jT3_P12ihipStream_tbPNSt15iterator_traitsISH_E10value_typeEPNSN_ISI_E10value_typeEPSJ_NS1_7vsmem_tEENKUlT_SH_SI_SJ_E_clIS9_S9_PlSD_EESG_SW_SH_SI_SJ_EUlSW_E1_NS1_11comp_targetILNS1_3genE8ELNS1_11target_archE1030ELNS1_3gpuE2ELNS1_3repE0EEENS1_36merge_oddeven_config_static_selectorELNS0_4arch9wavefront6targetE1EEEvSI_.has_dyn_sized_stack, 0
	.set _ZN7rocprim17ROCPRIM_400000_NS6detail17trampoline_kernelINS0_14default_configENS1_38merge_sort_block_merge_config_selectorIN3c104HalfElEEZZNS1_27merge_sort_block_merge_implIS3_PS6_N6thrust23THRUST_200600_302600_NS10device_ptrIlEEmNSB_4lessIS6_EEEE10hipError_tT0_T1_T2_jT3_P12ihipStream_tbPNSt15iterator_traitsISH_E10value_typeEPNSN_ISI_E10value_typeEPSJ_NS1_7vsmem_tEENKUlT_SH_SI_SJ_E_clIS9_S9_PlSD_EESG_SW_SH_SI_SJ_EUlSW_E1_NS1_11comp_targetILNS1_3genE8ELNS1_11target_archE1030ELNS1_3gpuE2ELNS1_3repE0EEENS1_36merge_oddeven_config_static_selectorELNS0_4arch9wavefront6targetE1EEEvSI_.has_recursion, 0
	.set _ZN7rocprim17ROCPRIM_400000_NS6detail17trampoline_kernelINS0_14default_configENS1_38merge_sort_block_merge_config_selectorIN3c104HalfElEEZZNS1_27merge_sort_block_merge_implIS3_PS6_N6thrust23THRUST_200600_302600_NS10device_ptrIlEEmNSB_4lessIS6_EEEE10hipError_tT0_T1_T2_jT3_P12ihipStream_tbPNSt15iterator_traitsISH_E10value_typeEPNSN_ISI_E10value_typeEPSJ_NS1_7vsmem_tEENKUlT_SH_SI_SJ_E_clIS9_S9_PlSD_EESG_SW_SH_SI_SJ_EUlSW_E1_NS1_11comp_targetILNS1_3genE8ELNS1_11target_archE1030ELNS1_3gpuE2ELNS1_3repE0EEENS1_36merge_oddeven_config_static_selectorELNS0_4arch9wavefront6targetE1EEEvSI_.has_indirect_call, 0
	.section	.AMDGPU.csdata,"",@progbits
; Kernel info:
; codeLenInByte = 0
; TotalNumSgprs: 4
; NumVgprs: 0
; ScratchSize: 0
; MemoryBound: 0
; FloatMode: 240
; IeeeMode: 1
; LDSByteSize: 0 bytes/workgroup (compile time only)
; SGPRBlocks: 0
; VGPRBlocks: 0
; NumSGPRsForWavesPerEU: 4
; NumVGPRsForWavesPerEU: 1
; Occupancy: 10
; WaveLimiterHint : 0
; COMPUTE_PGM_RSRC2:SCRATCH_EN: 0
; COMPUTE_PGM_RSRC2:USER_SGPR: 6
; COMPUTE_PGM_RSRC2:TRAP_HANDLER: 0
; COMPUTE_PGM_RSRC2:TGID_X_EN: 1
; COMPUTE_PGM_RSRC2:TGID_Y_EN: 0
; COMPUTE_PGM_RSRC2:TGID_Z_EN: 0
; COMPUTE_PGM_RSRC2:TIDIG_COMP_CNT: 0
	.section	.text._ZN7rocprim17ROCPRIM_400000_NS6detail17trampoline_kernelINS0_14default_configENS1_38merge_sort_block_merge_config_selectorIN3c104HalfElEEZZNS1_27merge_sort_block_merge_implIS3_PS6_N6thrust23THRUST_200600_302600_NS10device_ptrIlEEmNSB_4lessIS6_EEEE10hipError_tT0_T1_T2_jT3_P12ihipStream_tbPNSt15iterator_traitsISH_E10value_typeEPNSN_ISI_E10value_typeEPSJ_NS1_7vsmem_tEENKUlT_SH_SI_SJ_E_clIS9_S9_SD_PlEESG_SW_SH_SI_SJ_EUlSW_E_NS1_11comp_targetILNS1_3genE0ELNS1_11target_archE4294967295ELNS1_3gpuE0ELNS1_3repE0EEENS1_48merge_mergepath_partition_config_static_selectorELNS0_4arch9wavefront6targetE1EEEvSI_,"axG",@progbits,_ZN7rocprim17ROCPRIM_400000_NS6detail17trampoline_kernelINS0_14default_configENS1_38merge_sort_block_merge_config_selectorIN3c104HalfElEEZZNS1_27merge_sort_block_merge_implIS3_PS6_N6thrust23THRUST_200600_302600_NS10device_ptrIlEEmNSB_4lessIS6_EEEE10hipError_tT0_T1_T2_jT3_P12ihipStream_tbPNSt15iterator_traitsISH_E10value_typeEPNSN_ISI_E10value_typeEPSJ_NS1_7vsmem_tEENKUlT_SH_SI_SJ_E_clIS9_S9_SD_PlEESG_SW_SH_SI_SJ_EUlSW_E_NS1_11comp_targetILNS1_3genE0ELNS1_11target_archE4294967295ELNS1_3gpuE0ELNS1_3repE0EEENS1_48merge_mergepath_partition_config_static_selectorELNS0_4arch9wavefront6targetE1EEEvSI_,comdat
	.protected	_ZN7rocprim17ROCPRIM_400000_NS6detail17trampoline_kernelINS0_14default_configENS1_38merge_sort_block_merge_config_selectorIN3c104HalfElEEZZNS1_27merge_sort_block_merge_implIS3_PS6_N6thrust23THRUST_200600_302600_NS10device_ptrIlEEmNSB_4lessIS6_EEEE10hipError_tT0_T1_T2_jT3_P12ihipStream_tbPNSt15iterator_traitsISH_E10value_typeEPNSN_ISI_E10value_typeEPSJ_NS1_7vsmem_tEENKUlT_SH_SI_SJ_E_clIS9_S9_SD_PlEESG_SW_SH_SI_SJ_EUlSW_E_NS1_11comp_targetILNS1_3genE0ELNS1_11target_archE4294967295ELNS1_3gpuE0ELNS1_3repE0EEENS1_48merge_mergepath_partition_config_static_selectorELNS0_4arch9wavefront6targetE1EEEvSI_ ; -- Begin function _ZN7rocprim17ROCPRIM_400000_NS6detail17trampoline_kernelINS0_14default_configENS1_38merge_sort_block_merge_config_selectorIN3c104HalfElEEZZNS1_27merge_sort_block_merge_implIS3_PS6_N6thrust23THRUST_200600_302600_NS10device_ptrIlEEmNSB_4lessIS6_EEEE10hipError_tT0_T1_T2_jT3_P12ihipStream_tbPNSt15iterator_traitsISH_E10value_typeEPNSN_ISI_E10value_typeEPSJ_NS1_7vsmem_tEENKUlT_SH_SI_SJ_E_clIS9_S9_SD_PlEESG_SW_SH_SI_SJ_EUlSW_E_NS1_11comp_targetILNS1_3genE0ELNS1_11target_archE4294967295ELNS1_3gpuE0ELNS1_3repE0EEENS1_48merge_mergepath_partition_config_static_selectorELNS0_4arch9wavefront6targetE1EEEvSI_
	.globl	_ZN7rocprim17ROCPRIM_400000_NS6detail17trampoline_kernelINS0_14default_configENS1_38merge_sort_block_merge_config_selectorIN3c104HalfElEEZZNS1_27merge_sort_block_merge_implIS3_PS6_N6thrust23THRUST_200600_302600_NS10device_ptrIlEEmNSB_4lessIS6_EEEE10hipError_tT0_T1_T2_jT3_P12ihipStream_tbPNSt15iterator_traitsISH_E10value_typeEPNSN_ISI_E10value_typeEPSJ_NS1_7vsmem_tEENKUlT_SH_SI_SJ_E_clIS9_S9_SD_PlEESG_SW_SH_SI_SJ_EUlSW_E_NS1_11comp_targetILNS1_3genE0ELNS1_11target_archE4294967295ELNS1_3gpuE0ELNS1_3repE0EEENS1_48merge_mergepath_partition_config_static_selectorELNS0_4arch9wavefront6targetE1EEEvSI_
	.p2align	8
	.type	_ZN7rocprim17ROCPRIM_400000_NS6detail17trampoline_kernelINS0_14default_configENS1_38merge_sort_block_merge_config_selectorIN3c104HalfElEEZZNS1_27merge_sort_block_merge_implIS3_PS6_N6thrust23THRUST_200600_302600_NS10device_ptrIlEEmNSB_4lessIS6_EEEE10hipError_tT0_T1_T2_jT3_P12ihipStream_tbPNSt15iterator_traitsISH_E10value_typeEPNSN_ISI_E10value_typeEPSJ_NS1_7vsmem_tEENKUlT_SH_SI_SJ_E_clIS9_S9_SD_PlEESG_SW_SH_SI_SJ_EUlSW_E_NS1_11comp_targetILNS1_3genE0ELNS1_11target_archE4294967295ELNS1_3gpuE0ELNS1_3repE0EEENS1_48merge_mergepath_partition_config_static_selectorELNS0_4arch9wavefront6targetE1EEEvSI_,@function
_ZN7rocprim17ROCPRIM_400000_NS6detail17trampoline_kernelINS0_14default_configENS1_38merge_sort_block_merge_config_selectorIN3c104HalfElEEZZNS1_27merge_sort_block_merge_implIS3_PS6_N6thrust23THRUST_200600_302600_NS10device_ptrIlEEmNSB_4lessIS6_EEEE10hipError_tT0_T1_T2_jT3_P12ihipStream_tbPNSt15iterator_traitsISH_E10value_typeEPNSN_ISI_E10value_typeEPSJ_NS1_7vsmem_tEENKUlT_SH_SI_SJ_E_clIS9_S9_SD_PlEESG_SW_SH_SI_SJ_EUlSW_E_NS1_11comp_targetILNS1_3genE0ELNS1_11target_archE4294967295ELNS1_3gpuE0ELNS1_3repE0EEENS1_48merge_mergepath_partition_config_static_selectorELNS0_4arch9wavefront6targetE1EEEvSI_: ; @_ZN7rocprim17ROCPRIM_400000_NS6detail17trampoline_kernelINS0_14default_configENS1_38merge_sort_block_merge_config_selectorIN3c104HalfElEEZZNS1_27merge_sort_block_merge_implIS3_PS6_N6thrust23THRUST_200600_302600_NS10device_ptrIlEEmNSB_4lessIS6_EEEE10hipError_tT0_T1_T2_jT3_P12ihipStream_tbPNSt15iterator_traitsISH_E10value_typeEPNSN_ISI_E10value_typeEPSJ_NS1_7vsmem_tEENKUlT_SH_SI_SJ_E_clIS9_S9_SD_PlEESG_SW_SH_SI_SJ_EUlSW_E_NS1_11comp_targetILNS1_3genE0ELNS1_11target_archE4294967295ELNS1_3gpuE0ELNS1_3repE0EEENS1_48merge_mergepath_partition_config_static_selectorELNS0_4arch9wavefront6targetE1EEEvSI_
; %bb.0:
	.section	.rodata,"a",@progbits
	.p2align	6, 0x0
	.amdhsa_kernel _ZN7rocprim17ROCPRIM_400000_NS6detail17trampoline_kernelINS0_14default_configENS1_38merge_sort_block_merge_config_selectorIN3c104HalfElEEZZNS1_27merge_sort_block_merge_implIS3_PS6_N6thrust23THRUST_200600_302600_NS10device_ptrIlEEmNSB_4lessIS6_EEEE10hipError_tT0_T1_T2_jT3_P12ihipStream_tbPNSt15iterator_traitsISH_E10value_typeEPNSN_ISI_E10value_typeEPSJ_NS1_7vsmem_tEENKUlT_SH_SI_SJ_E_clIS9_S9_SD_PlEESG_SW_SH_SI_SJ_EUlSW_E_NS1_11comp_targetILNS1_3genE0ELNS1_11target_archE4294967295ELNS1_3gpuE0ELNS1_3repE0EEENS1_48merge_mergepath_partition_config_static_selectorELNS0_4arch9wavefront6targetE1EEEvSI_
		.amdhsa_group_segment_fixed_size 0
		.amdhsa_private_segment_fixed_size 0
		.amdhsa_kernarg_size 48
		.amdhsa_user_sgpr_count 6
		.amdhsa_user_sgpr_private_segment_buffer 1
		.amdhsa_user_sgpr_dispatch_ptr 0
		.amdhsa_user_sgpr_queue_ptr 0
		.amdhsa_user_sgpr_kernarg_segment_ptr 1
		.amdhsa_user_sgpr_dispatch_id 0
		.amdhsa_user_sgpr_flat_scratch_init 0
		.amdhsa_user_sgpr_private_segment_size 0
		.amdhsa_uses_dynamic_stack 0
		.amdhsa_system_sgpr_private_segment_wavefront_offset 0
		.amdhsa_system_sgpr_workgroup_id_x 1
		.amdhsa_system_sgpr_workgroup_id_y 0
		.amdhsa_system_sgpr_workgroup_id_z 0
		.amdhsa_system_sgpr_workgroup_info 0
		.amdhsa_system_vgpr_workitem_id 0
		.amdhsa_next_free_vgpr 1
		.amdhsa_next_free_sgpr 0
		.amdhsa_reserve_vcc 0
		.amdhsa_reserve_flat_scratch 0
		.amdhsa_float_round_mode_32 0
		.amdhsa_float_round_mode_16_64 0
		.amdhsa_float_denorm_mode_32 3
		.amdhsa_float_denorm_mode_16_64 3
		.amdhsa_dx10_clamp 1
		.amdhsa_ieee_mode 1
		.amdhsa_fp16_overflow 0
		.amdhsa_exception_fp_ieee_invalid_op 0
		.amdhsa_exception_fp_denorm_src 0
		.amdhsa_exception_fp_ieee_div_zero 0
		.amdhsa_exception_fp_ieee_overflow 0
		.amdhsa_exception_fp_ieee_underflow 0
		.amdhsa_exception_fp_ieee_inexact 0
		.amdhsa_exception_int_div_zero 0
	.end_amdhsa_kernel
	.section	.text._ZN7rocprim17ROCPRIM_400000_NS6detail17trampoline_kernelINS0_14default_configENS1_38merge_sort_block_merge_config_selectorIN3c104HalfElEEZZNS1_27merge_sort_block_merge_implIS3_PS6_N6thrust23THRUST_200600_302600_NS10device_ptrIlEEmNSB_4lessIS6_EEEE10hipError_tT0_T1_T2_jT3_P12ihipStream_tbPNSt15iterator_traitsISH_E10value_typeEPNSN_ISI_E10value_typeEPSJ_NS1_7vsmem_tEENKUlT_SH_SI_SJ_E_clIS9_S9_SD_PlEESG_SW_SH_SI_SJ_EUlSW_E_NS1_11comp_targetILNS1_3genE0ELNS1_11target_archE4294967295ELNS1_3gpuE0ELNS1_3repE0EEENS1_48merge_mergepath_partition_config_static_selectorELNS0_4arch9wavefront6targetE1EEEvSI_,"axG",@progbits,_ZN7rocprim17ROCPRIM_400000_NS6detail17trampoline_kernelINS0_14default_configENS1_38merge_sort_block_merge_config_selectorIN3c104HalfElEEZZNS1_27merge_sort_block_merge_implIS3_PS6_N6thrust23THRUST_200600_302600_NS10device_ptrIlEEmNSB_4lessIS6_EEEE10hipError_tT0_T1_T2_jT3_P12ihipStream_tbPNSt15iterator_traitsISH_E10value_typeEPNSN_ISI_E10value_typeEPSJ_NS1_7vsmem_tEENKUlT_SH_SI_SJ_E_clIS9_S9_SD_PlEESG_SW_SH_SI_SJ_EUlSW_E_NS1_11comp_targetILNS1_3genE0ELNS1_11target_archE4294967295ELNS1_3gpuE0ELNS1_3repE0EEENS1_48merge_mergepath_partition_config_static_selectorELNS0_4arch9wavefront6targetE1EEEvSI_,comdat
.Lfunc_end2148:
	.size	_ZN7rocprim17ROCPRIM_400000_NS6detail17trampoline_kernelINS0_14default_configENS1_38merge_sort_block_merge_config_selectorIN3c104HalfElEEZZNS1_27merge_sort_block_merge_implIS3_PS6_N6thrust23THRUST_200600_302600_NS10device_ptrIlEEmNSB_4lessIS6_EEEE10hipError_tT0_T1_T2_jT3_P12ihipStream_tbPNSt15iterator_traitsISH_E10value_typeEPNSN_ISI_E10value_typeEPSJ_NS1_7vsmem_tEENKUlT_SH_SI_SJ_E_clIS9_S9_SD_PlEESG_SW_SH_SI_SJ_EUlSW_E_NS1_11comp_targetILNS1_3genE0ELNS1_11target_archE4294967295ELNS1_3gpuE0ELNS1_3repE0EEENS1_48merge_mergepath_partition_config_static_selectorELNS0_4arch9wavefront6targetE1EEEvSI_, .Lfunc_end2148-_ZN7rocprim17ROCPRIM_400000_NS6detail17trampoline_kernelINS0_14default_configENS1_38merge_sort_block_merge_config_selectorIN3c104HalfElEEZZNS1_27merge_sort_block_merge_implIS3_PS6_N6thrust23THRUST_200600_302600_NS10device_ptrIlEEmNSB_4lessIS6_EEEE10hipError_tT0_T1_T2_jT3_P12ihipStream_tbPNSt15iterator_traitsISH_E10value_typeEPNSN_ISI_E10value_typeEPSJ_NS1_7vsmem_tEENKUlT_SH_SI_SJ_E_clIS9_S9_SD_PlEESG_SW_SH_SI_SJ_EUlSW_E_NS1_11comp_targetILNS1_3genE0ELNS1_11target_archE4294967295ELNS1_3gpuE0ELNS1_3repE0EEENS1_48merge_mergepath_partition_config_static_selectorELNS0_4arch9wavefront6targetE1EEEvSI_
                                        ; -- End function
	.set _ZN7rocprim17ROCPRIM_400000_NS6detail17trampoline_kernelINS0_14default_configENS1_38merge_sort_block_merge_config_selectorIN3c104HalfElEEZZNS1_27merge_sort_block_merge_implIS3_PS6_N6thrust23THRUST_200600_302600_NS10device_ptrIlEEmNSB_4lessIS6_EEEE10hipError_tT0_T1_T2_jT3_P12ihipStream_tbPNSt15iterator_traitsISH_E10value_typeEPNSN_ISI_E10value_typeEPSJ_NS1_7vsmem_tEENKUlT_SH_SI_SJ_E_clIS9_S9_SD_PlEESG_SW_SH_SI_SJ_EUlSW_E_NS1_11comp_targetILNS1_3genE0ELNS1_11target_archE4294967295ELNS1_3gpuE0ELNS1_3repE0EEENS1_48merge_mergepath_partition_config_static_selectorELNS0_4arch9wavefront6targetE1EEEvSI_.num_vgpr, 0
	.set _ZN7rocprim17ROCPRIM_400000_NS6detail17trampoline_kernelINS0_14default_configENS1_38merge_sort_block_merge_config_selectorIN3c104HalfElEEZZNS1_27merge_sort_block_merge_implIS3_PS6_N6thrust23THRUST_200600_302600_NS10device_ptrIlEEmNSB_4lessIS6_EEEE10hipError_tT0_T1_T2_jT3_P12ihipStream_tbPNSt15iterator_traitsISH_E10value_typeEPNSN_ISI_E10value_typeEPSJ_NS1_7vsmem_tEENKUlT_SH_SI_SJ_E_clIS9_S9_SD_PlEESG_SW_SH_SI_SJ_EUlSW_E_NS1_11comp_targetILNS1_3genE0ELNS1_11target_archE4294967295ELNS1_3gpuE0ELNS1_3repE0EEENS1_48merge_mergepath_partition_config_static_selectorELNS0_4arch9wavefront6targetE1EEEvSI_.num_agpr, 0
	.set _ZN7rocprim17ROCPRIM_400000_NS6detail17trampoline_kernelINS0_14default_configENS1_38merge_sort_block_merge_config_selectorIN3c104HalfElEEZZNS1_27merge_sort_block_merge_implIS3_PS6_N6thrust23THRUST_200600_302600_NS10device_ptrIlEEmNSB_4lessIS6_EEEE10hipError_tT0_T1_T2_jT3_P12ihipStream_tbPNSt15iterator_traitsISH_E10value_typeEPNSN_ISI_E10value_typeEPSJ_NS1_7vsmem_tEENKUlT_SH_SI_SJ_E_clIS9_S9_SD_PlEESG_SW_SH_SI_SJ_EUlSW_E_NS1_11comp_targetILNS1_3genE0ELNS1_11target_archE4294967295ELNS1_3gpuE0ELNS1_3repE0EEENS1_48merge_mergepath_partition_config_static_selectorELNS0_4arch9wavefront6targetE1EEEvSI_.numbered_sgpr, 0
	.set _ZN7rocprim17ROCPRIM_400000_NS6detail17trampoline_kernelINS0_14default_configENS1_38merge_sort_block_merge_config_selectorIN3c104HalfElEEZZNS1_27merge_sort_block_merge_implIS3_PS6_N6thrust23THRUST_200600_302600_NS10device_ptrIlEEmNSB_4lessIS6_EEEE10hipError_tT0_T1_T2_jT3_P12ihipStream_tbPNSt15iterator_traitsISH_E10value_typeEPNSN_ISI_E10value_typeEPSJ_NS1_7vsmem_tEENKUlT_SH_SI_SJ_E_clIS9_S9_SD_PlEESG_SW_SH_SI_SJ_EUlSW_E_NS1_11comp_targetILNS1_3genE0ELNS1_11target_archE4294967295ELNS1_3gpuE0ELNS1_3repE0EEENS1_48merge_mergepath_partition_config_static_selectorELNS0_4arch9wavefront6targetE1EEEvSI_.num_named_barrier, 0
	.set _ZN7rocprim17ROCPRIM_400000_NS6detail17trampoline_kernelINS0_14default_configENS1_38merge_sort_block_merge_config_selectorIN3c104HalfElEEZZNS1_27merge_sort_block_merge_implIS3_PS6_N6thrust23THRUST_200600_302600_NS10device_ptrIlEEmNSB_4lessIS6_EEEE10hipError_tT0_T1_T2_jT3_P12ihipStream_tbPNSt15iterator_traitsISH_E10value_typeEPNSN_ISI_E10value_typeEPSJ_NS1_7vsmem_tEENKUlT_SH_SI_SJ_E_clIS9_S9_SD_PlEESG_SW_SH_SI_SJ_EUlSW_E_NS1_11comp_targetILNS1_3genE0ELNS1_11target_archE4294967295ELNS1_3gpuE0ELNS1_3repE0EEENS1_48merge_mergepath_partition_config_static_selectorELNS0_4arch9wavefront6targetE1EEEvSI_.private_seg_size, 0
	.set _ZN7rocprim17ROCPRIM_400000_NS6detail17trampoline_kernelINS0_14default_configENS1_38merge_sort_block_merge_config_selectorIN3c104HalfElEEZZNS1_27merge_sort_block_merge_implIS3_PS6_N6thrust23THRUST_200600_302600_NS10device_ptrIlEEmNSB_4lessIS6_EEEE10hipError_tT0_T1_T2_jT3_P12ihipStream_tbPNSt15iterator_traitsISH_E10value_typeEPNSN_ISI_E10value_typeEPSJ_NS1_7vsmem_tEENKUlT_SH_SI_SJ_E_clIS9_S9_SD_PlEESG_SW_SH_SI_SJ_EUlSW_E_NS1_11comp_targetILNS1_3genE0ELNS1_11target_archE4294967295ELNS1_3gpuE0ELNS1_3repE0EEENS1_48merge_mergepath_partition_config_static_selectorELNS0_4arch9wavefront6targetE1EEEvSI_.uses_vcc, 0
	.set _ZN7rocprim17ROCPRIM_400000_NS6detail17trampoline_kernelINS0_14default_configENS1_38merge_sort_block_merge_config_selectorIN3c104HalfElEEZZNS1_27merge_sort_block_merge_implIS3_PS6_N6thrust23THRUST_200600_302600_NS10device_ptrIlEEmNSB_4lessIS6_EEEE10hipError_tT0_T1_T2_jT3_P12ihipStream_tbPNSt15iterator_traitsISH_E10value_typeEPNSN_ISI_E10value_typeEPSJ_NS1_7vsmem_tEENKUlT_SH_SI_SJ_E_clIS9_S9_SD_PlEESG_SW_SH_SI_SJ_EUlSW_E_NS1_11comp_targetILNS1_3genE0ELNS1_11target_archE4294967295ELNS1_3gpuE0ELNS1_3repE0EEENS1_48merge_mergepath_partition_config_static_selectorELNS0_4arch9wavefront6targetE1EEEvSI_.uses_flat_scratch, 0
	.set _ZN7rocprim17ROCPRIM_400000_NS6detail17trampoline_kernelINS0_14default_configENS1_38merge_sort_block_merge_config_selectorIN3c104HalfElEEZZNS1_27merge_sort_block_merge_implIS3_PS6_N6thrust23THRUST_200600_302600_NS10device_ptrIlEEmNSB_4lessIS6_EEEE10hipError_tT0_T1_T2_jT3_P12ihipStream_tbPNSt15iterator_traitsISH_E10value_typeEPNSN_ISI_E10value_typeEPSJ_NS1_7vsmem_tEENKUlT_SH_SI_SJ_E_clIS9_S9_SD_PlEESG_SW_SH_SI_SJ_EUlSW_E_NS1_11comp_targetILNS1_3genE0ELNS1_11target_archE4294967295ELNS1_3gpuE0ELNS1_3repE0EEENS1_48merge_mergepath_partition_config_static_selectorELNS0_4arch9wavefront6targetE1EEEvSI_.has_dyn_sized_stack, 0
	.set _ZN7rocprim17ROCPRIM_400000_NS6detail17trampoline_kernelINS0_14default_configENS1_38merge_sort_block_merge_config_selectorIN3c104HalfElEEZZNS1_27merge_sort_block_merge_implIS3_PS6_N6thrust23THRUST_200600_302600_NS10device_ptrIlEEmNSB_4lessIS6_EEEE10hipError_tT0_T1_T2_jT3_P12ihipStream_tbPNSt15iterator_traitsISH_E10value_typeEPNSN_ISI_E10value_typeEPSJ_NS1_7vsmem_tEENKUlT_SH_SI_SJ_E_clIS9_S9_SD_PlEESG_SW_SH_SI_SJ_EUlSW_E_NS1_11comp_targetILNS1_3genE0ELNS1_11target_archE4294967295ELNS1_3gpuE0ELNS1_3repE0EEENS1_48merge_mergepath_partition_config_static_selectorELNS0_4arch9wavefront6targetE1EEEvSI_.has_recursion, 0
	.set _ZN7rocprim17ROCPRIM_400000_NS6detail17trampoline_kernelINS0_14default_configENS1_38merge_sort_block_merge_config_selectorIN3c104HalfElEEZZNS1_27merge_sort_block_merge_implIS3_PS6_N6thrust23THRUST_200600_302600_NS10device_ptrIlEEmNSB_4lessIS6_EEEE10hipError_tT0_T1_T2_jT3_P12ihipStream_tbPNSt15iterator_traitsISH_E10value_typeEPNSN_ISI_E10value_typeEPSJ_NS1_7vsmem_tEENKUlT_SH_SI_SJ_E_clIS9_S9_SD_PlEESG_SW_SH_SI_SJ_EUlSW_E_NS1_11comp_targetILNS1_3genE0ELNS1_11target_archE4294967295ELNS1_3gpuE0ELNS1_3repE0EEENS1_48merge_mergepath_partition_config_static_selectorELNS0_4arch9wavefront6targetE1EEEvSI_.has_indirect_call, 0
	.section	.AMDGPU.csdata,"",@progbits
; Kernel info:
; codeLenInByte = 0
; TotalNumSgprs: 4
; NumVgprs: 0
; ScratchSize: 0
; MemoryBound: 0
; FloatMode: 240
; IeeeMode: 1
; LDSByteSize: 0 bytes/workgroup (compile time only)
; SGPRBlocks: 0
; VGPRBlocks: 0
; NumSGPRsForWavesPerEU: 4
; NumVGPRsForWavesPerEU: 1
; Occupancy: 10
; WaveLimiterHint : 0
; COMPUTE_PGM_RSRC2:SCRATCH_EN: 0
; COMPUTE_PGM_RSRC2:USER_SGPR: 6
; COMPUTE_PGM_RSRC2:TRAP_HANDLER: 0
; COMPUTE_PGM_RSRC2:TGID_X_EN: 1
; COMPUTE_PGM_RSRC2:TGID_Y_EN: 0
; COMPUTE_PGM_RSRC2:TGID_Z_EN: 0
; COMPUTE_PGM_RSRC2:TIDIG_COMP_CNT: 0
	.section	.text._ZN7rocprim17ROCPRIM_400000_NS6detail17trampoline_kernelINS0_14default_configENS1_38merge_sort_block_merge_config_selectorIN3c104HalfElEEZZNS1_27merge_sort_block_merge_implIS3_PS6_N6thrust23THRUST_200600_302600_NS10device_ptrIlEEmNSB_4lessIS6_EEEE10hipError_tT0_T1_T2_jT3_P12ihipStream_tbPNSt15iterator_traitsISH_E10value_typeEPNSN_ISI_E10value_typeEPSJ_NS1_7vsmem_tEENKUlT_SH_SI_SJ_E_clIS9_S9_SD_PlEESG_SW_SH_SI_SJ_EUlSW_E_NS1_11comp_targetILNS1_3genE10ELNS1_11target_archE1201ELNS1_3gpuE5ELNS1_3repE0EEENS1_48merge_mergepath_partition_config_static_selectorELNS0_4arch9wavefront6targetE1EEEvSI_,"axG",@progbits,_ZN7rocprim17ROCPRIM_400000_NS6detail17trampoline_kernelINS0_14default_configENS1_38merge_sort_block_merge_config_selectorIN3c104HalfElEEZZNS1_27merge_sort_block_merge_implIS3_PS6_N6thrust23THRUST_200600_302600_NS10device_ptrIlEEmNSB_4lessIS6_EEEE10hipError_tT0_T1_T2_jT3_P12ihipStream_tbPNSt15iterator_traitsISH_E10value_typeEPNSN_ISI_E10value_typeEPSJ_NS1_7vsmem_tEENKUlT_SH_SI_SJ_E_clIS9_S9_SD_PlEESG_SW_SH_SI_SJ_EUlSW_E_NS1_11comp_targetILNS1_3genE10ELNS1_11target_archE1201ELNS1_3gpuE5ELNS1_3repE0EEENS1_48merge_mergepath_partition_config_static_selectorELNS0_4arch9wavefront6targetE1EEEvSI_,comdat
	.protected	_ZN7rocprim17ROCPRIM_400000_NS6detail17trampoline_kernelINS0_14default_configENS1_38merge_sort_block_merge_config_selectorIN3c104HalfElEEZZNS1_27merge_sort_block_merge_implIS3_PS6_N6thrust23THRUST_200600_302600_NS10device_ptrIlEEmNSB_4lessIS6_EEEE10hipError_tT0_T1_T2_jT3_P12ihipStream_tbPNSt15iterator_traitsISH_E10value_typeEPNSN_ISI_E10value_typeEPSJ_NS1_7vsmem_tEENKUlT_SH_SI_SJ_E_clIS9_S9_SD_PlEESG_SW_SH_SI_SJ_EUlSW_E_NS1_11comp_targetILNS1_3genE10ELNS1_11target_archE1201ELNS1_3gpuE5ELNS1_3repE0EEENS1_48merge_mergepath_partition_config_static_selectorELNS0_4arch9wavefront6targetE1EEEvSI_ ; -- Begin function _ZN7rocprim17ROCPRIM_400000_NS6detail17trampoline_kernelINS0_14default_configENS1_38merge_sort_block_merge_config_selectorIN3c104HalfElEEZZNS1_27merge_sort_block_merge_implIS3_PS6_N6thrust23THRUST_200600_302600_NS10device_ptrIlEEmNSB_4lessIS6_EEEE10hipError_tT0_T1_T2_jT3_P12ihipStream_tbPNSt15iterator_traitsISH_E10value_typeEPNSN_ISI_E10value_typeEPSJ_NS1_7vsmem_tEENKUlT_SH_SI_SJ_E_clIS9_S9_SD_PlEESG_SW_SH_SI_SJ_EUlSW_E_NS1_11comp_targetILNS1_3genE10ELNS1_11target_archE1201ELNS1_3gpuE5ELNS1_3repE0EEENS1_48merge_mergepath_partition_config_static_selectorELNS0_4arch9wavefront6targetE1EEEvSI_
	.globl	_ZN7rocprim17ROCPRIM_400000_NS6detail17trampoline_kernelINS0_14default_configENS1_38merge_sort_block_merge_config_selectorIN3c104HalfElEEZZNS1_27merge_sort_block_merge_implIS3_PS6_N6thrust23THRUST_200600_302600_NS10device_ptrIlEEmNSB_4lessIS6_EEEE10hipError_tT0_T1_T2_jT3_P12ihipStream_tbPNSt15iterator_traitsISH_E10value_typeEPNSN_ISI_E10value_typeEPSJ_NS1_7vsmem_tEENKUlT_SH_SI_SJ_E_clIS9_S9_SD_PlEESG_SW_SH_SI_SJ_EUlSW_E_NS1_11comp_targetILNS1_3genE10ELNS1_11target_archE1201ELNS1_3gpuE5ELNS1_3repE0EEENS1_48merge_mergepath_partition_config_static_selectorELNS0_4arch9wavefront6targetE1EEEvSI_
	.p2align	8
	.type	_ZN7rocprim17ROCPRIM_400000_NS6detail17trampoline_kernelINS0_14default_configENS1_38merge_sort_block_merge_config_selectorIN3c104HalfElEEZZNS1_27merge_sort_block_merge_implIS3_PS6_N6thrust23THRUST_200600_302600_NS10device_ptrIlEEmNSB_4lessIS6_EEEE10hipError_tT0_T1_T2_jT3_P12ihipStream_tbPNSt15iterator_traitsISH_E10value_typeEPNSN_ISI_E10value_typeEPSJ_NS1_7vsmem_tEENKUlT_SH_SI_SJ_E_clIS9_S9_SD_PlEESG_SW_SH_SI_SJ_EUlSW_E_NS1_11comp_targetILNS1_3genE10ELNS1_11target_archE1201ELNS1_3gpuE5ELNS1_3repE0EEENS1_48merge_mergepath_partition_config_static_selectorELNS0_4arch9wavefront6targetE1EEEvSI_,@function
_ZN7rocprim17ROCPRIM_400000_NS6detail17trampoline_kernelINS0_14default_configENS1_38merge_sort_block_merge_config_selectorIN3c104HalfElEEZZNS1_27merge_sort_block_merge_implIS3_PS6_N6thrust23THRUST_200600_302600_NS10device_ptrIlEEmNSB_4lessIS6_EEEE10hipError_tT0_T1_T2_jT3_P12ihipStream_tbPNSt15iterator_traitsISH_E10value_typeEPNSN_ISI_E10value_typeEPSJ_NS1_7vsmem_tEENKUlT_SH_SI_SJ_E_clIS9_S9_SD_PlEESG_SW_SH_SI_SJ_EUlSW_E_NS1_11comp_targetILNS1_3genE10ELNS1_11target_archE1201ELNS1_3gpuE5ELNS1_3repE0EEENS1_48merge_mergepath_partition_config_static_selectorELNS0_4arch9wavefront6targetE1EEEvSI_: ; @_ZN7rocprim17ROCPRIM_400000_NS6detail17trampoline_kernelINS0_14default_configENS1_38merge_sort_block_merge_config_selectorIN3c104HalfElEEZZNS1_27merge_sort_block_merge_implIS3_PS6_N6thrust23THRUST_200600_302600_NS10device_ptrIlEEmNSB_4lessIS6_EEEE10hipError_tT0_T1_T2_jT3_P12ihipStream_tbPNSt15iterator_traitsISH_E10value_typeEPNSN_ISI_E10value_typeEPSJ_NS1_7vsmem_tEENKUlT_SH_SI_SJ_E_clIS9_S9_SD_PlEESG_SW_SH_SI_SJ_EUlSW_E_NS1_11comp_targetILNS1_3genE10ELNS1_11target_archE1201ELNS1_3gpuE5ELNS1_3repE0EEENS1_48merge_mergepath_partition_config_static_selectorELNS0_4arch9wavefront6targetE1EEEvSI_
; %bb.0:
	.section	.rodata,"a",@progbits
	.p2align	6, 0x0
	.amdhsa_kernel _ZN7rocprim17ROCPRIM_400000_NS6detail17trampoline_kernelINS0_14default_configENS1_38merge_sort_block_merge_config_selectorIN3c104HalfElEEZZNS1_27merge_sort_block_merge_implIS3_PS6_N6thrust23THRUST_200600_302600_NS10device_ptrIlEEmNSB_4lessIS6_EEEE10hipError_tT0_T1_T2_jT3_P12ihipStream_tbPNSt15iterator_traitsISH_E10value_typeEPNSN_ISI_E10value_typeEPSJ_NS1_7vsmem_tEENKUlT_SH_SI_SJ_E_clIS9_S9_SD_PlEESG_SW_SH_SI_SJ_EUlSW_E_NS1_11comp_targetILNS1_3genE10ELNS1_11target_archE1201ELNS1_3gpuE5ELNS1_3repE0EEENS1_48merge_mergepath_partition_config_static_selectorELNS0_4arch9wavefront6targetE1EEEvSI_
		.amdhsa_group_segment_fixed_size 0
		.amdhsa_private_segment_fixed_size 0
		.amdhsa_kernarg_size 48
		.amdhsa_user_sgpr_count 6
		.amdhsa_user_sgpr_private_segment_buffer 1
		.amdhsa_user_sgpr_dispatch_ptr 0
		.amdhsa_user_sgpr_queue_ptr 0
		.amdhsa_user_sgpr_kernarg_segment_ptr 1
		.amdhsa_user_sgpr_dispatch_id 0
		.amdhsa_user_sgpr_flat_scratch_init 0
		.amdhsa_user_sgpr_private_segment_size 0
		.amdhsa_uses_dynamic_stack 0
		.amdhsa_system_sgpr_private_segment_wavefront_offset 0
		.amdhsa_system_sgpr_workgroup_id_x 1
		.amdhsa_system_sgpr_workgroup_id_y 0
		.amdhsa_system_sgpr_workgroup_id_z 0
		.amdhsa_system_sgpr_workgroup_info 0
		.amdhsa_system_vgpr_workitem_id 0
		.amdhsa_next_free_vgpr 1
		.amdhsa_next_free_sgpr 0
		.amdhsa_reserve_vcc 0
		.amdhsa_reserve_flat_scratch 0
		.amdhsa_float_round_mode_32 0
		.amdhsa_float_round_mode_16_64 0
		.amdhsa_float_denorm_mode_32 3
		.amdhsa_float_denorm_mode_16_64 3
		.amdhsa_dx10_clamp 1
		.amdhsa_ieee_mode 1
		.amdhsa_fp16_overflow 0
		.amdhsa_exception_fp_ieee_invalid_op 0
		.amdhsa_exception_fp_denorm_src 0
		.amdhsa_exception_fp_ieee_div_zero 0
		.amdhsa_exception_fp_ieee_overflow 0
		.amdhsa_exception_fp_ieee_underflow 0
		.amdhsa_exception_fp_ieee_inexact 0
		.amdhsa_exception_int_div_zero 0
	.end_amdhsa_kernel
	.section	.text._ZN7rocprim17ROCPRIM_400000_NS6detail17trampoline_kernelINS0_14default_configENS1_38merge_sort_block_merge_config_selectorIN3c104HalfElEEZZNS1_27merge_sort_block_merge_implIS3_PS6_N6thrust23THRUST_200600_302600_NS10device_ptrIlEEmNSB_4lessIS6_EEEE10hipError_tT0_T1_T2_jT3_P12ihipStream_tbPNSt15iterator_traitsISH_E10value_typeEPNSN_ISI_E10value_typeEPSJ_NS1_7vsmem_tEENKUlT_SH_SI_SJ_E_clIS9_S9_SD_PlEESG_SW_SH_SI_SJ_EUlSW_E_NS1_11comp_targetILNS1_3genE10ELNS1_11target_archE1201ELNS1_3gpuE5ELNS1_3repE0EEENS1_48merge_mergepath_partition_config_static_selectorELNS0_4arch9wavefront6targetE1EEEvSI_,"axG",@progbits,_ZN7rocprim17ROCPRIM_400000_NS6detail17trampoline_kernelINS0_14default_configENS1_38merge_sort_block_merge_config_selectorIN3c104HalfElEEZZNS1_27merge_sort_block_merge_implIS3_PS6_N6thrust23THRUST_200600_302600_NS10device_ptrIlEEmNSB_4lessIS6_EEEE10hipError_tT0_T1_T2_jT3_P12ihipStream_tbPNSt15iterator_traitsISH_E10value_typeEPNSN_ISI_E10value_typeEPSJ_NS1_7vsmem_tEENKUlT_SH_SI_SJ_E_clIS9_S9_SD_PlEESG_SW_SH_SI_SJ_EUlSW_E_NS1_11comp_targetILNS1_3genE10ELNS1_11target_archE1201ELNS1_3gpuE5ELNS1_3repE0EEENS1_48merge_mergepath_partition_config_static_selectorELNS0_4arch9wavefront6targetE1EEEvSI_,comdat
.Lfunc_end2149:
	.size	_ZN7rocprim17ROCPRIM_400000_NS6detail17trampoline_kernelINS0_14default_configENS1_38merge_sort_block_merge_config_selectorIN3c104HalfElEEZZNS1_27merge_sort_block_merge_implIS3_PS6_N6thrust23THRUST_200600_302600_NS10device_ptrIlEEmNSB_4lessIS6_EEEE10hipError_tT0_T1_T2_jT3_P12ihipStream_tbPNSt15iterator_traitsISH_E10value_typeEPNSN_ISI_E10value_typeEPSJ_NS1_7vsmem_tEENKUlT_SH_SI_SJ_E_clIS9_S9_SD_PlEESG_SW_SH_SI_SJ_EUlSW_E_NS1_11comp_targetILNS1_3genE10ELNS1_11target_archE1201ELNS1_3gpuE5ELNS1_3repE0EEENS1_48merge_mergepath_partition_config_static_selectorELNS0_4arch9wavefront6targetE1EEEvSI_, .Lfunc_end2149-_ZN7rocprim17ROCPRIM_400000_NS6detail17trampoline_kernelINS0_14default_configENS1_38merge_sort_block_merge_config_selectorIN3c104HalfElEEZZNS1_27merge_sort_block_merge_implIS3_PS6_N6thrust23THRUST_200600_302600_NS10device_ptrIlEEmNSB_4lessIS6_EEEE10hipError_tT0_T1_T2_jT3_P12ihipStream_tbPNSt15iterator_traitsISH_E10value_typeEPNSN_ISI_E10value_typeEPSJ_NS1_7vsmem_tEENKUlT_SH_SI_SJ_E_clIS9_S9_SD_PlEESG_SW_SH_SI_SJ_EUlSW_E_NS1_11comp_targetILNS1_3genE10ELNS1_11target_archE1201ELNS1_3gpuE5ELNS1_3repE0EEENS1_48merge_mergepath_partition_config_static_selectorELNS0_4arch9wavefront6targetE1EEEvSI_
                                        ; -- End function
	.set _ZN7rocprim17ROCPRIM_400000_NS6detail17trampoline_kernelINS0_14default_configENS1_38merge_sort_block_merge_config_selectorIN3c104HalfElEEZZNS1_27merge_sort_block_merge_implIS3_PS6_N6thrust23THRUST_200600_302600_NS10device_ptrIlEEmNSB_4lessIS6_EEEE10hipError_tT0_T1_T2_jT3_P12ihipStream_tbPNSt15iterator_traitsISH_E10value_typeEPNSN_ISI_E10value_typeEPSJ_NS1_7vsmem_tEENKUlT_SH_SI_SJ_E_clIS9_S9_SD_PlEESG_SW_SH_SI_SJ_EUlSW_E_NS1_11comp_targetILNS1_3genE10ELNS1_11target_archE1201ELNS1_3gpuE5ELNS1_3repE0EEENS1_48merge_mergepath_partition_config_static_selectorELNS0_4arch9wavefront6targetE1EEEvSI_.num_vgpr, 0
	.set _ZN7rocprim17ROCPRIM_400000_NS6detail17trampoline_kernelINS0_14default_configENS1_38merge_sort_block_merge_config_selectorIN3c104HalfElEEZZNS1_27merge_sort_block_merge_implIS3_PS6_N6thrust23THRUST_200600_302600_NS10device_ptrIlEEmNSB_4lessIS6_EEEE10hipError_tT0_T1_T2_jT3_P12ihipStream_tbPNSt15iterator_traitsISH_E10value_typeEPNSN_ISI_E10value_typeEPSJ_NS1_7vsmem_tEENKUlT_SH_SI_SJ_E_clIS9_S9_SD_PlEESG_SW_SH_SI_SJ_EUlSW_E_NS1_11comp_targetILNS1_3genE10ELNS1_11target_archE1201ELNS1_3gpuE5ELNS1_3repE0EEENS1_48merge_mergepath_partition_config_static_selectorELNS0_4arch9wavefront6targetE1EEEvSI_.num_agpr, 0
	.set _ZN7rocprim17ROCPRIM_400000_NS6detail17trampoline_kernelINS0_14default_configENS1_38merge_sort_block_merge_config_selectorIN3c104HalfElEEZZNS1_27merge_sort_block_merge_implIS3_PS6_N6thrust23THRUST_200600_302600_NS10device_ptrIlEEmNSB_4lessIS6_EEEE10hipError_tT0_T1_T2_jT3_P12ihipStream_tbPNSt15iterator_traitsISH_E10value_typeEPNSN_ISI_E10value_typeEPSJ_NS1_7vsmem_tEENKUlT_SH_SI_SJ_E_clIS9_S9_SD_PlEESG_SW_SH_SI_SJ_EUlSW_E_NS1_11comp_targetILNS1_3genE10ELNS1_11target_archE1201ELNS1_3gpuE5ELNS1_3repE0EEENS1_48merge_mergepath_partition_config_static_selectorELNS0_4arch9wavefront6targetE1EEEvSI_.numbered_sgpr, 0
	.set _ZN7rocprim17ROCPRIM_400000_NS6detail17trampoline_kernelINS0_14default_configENS1_38merge_sort_block_merge_config_selectorIN3c104HalfElEEZZNS1_27merge_sort_block_merge_implIS3_PS6_N6thrust23THRUST_200600_302600_NS10device_ptrIlEEmNSB_4lessIS6_EEEE10hipError_tT0_T1_T2_jT3_P12ihipStream_tbPNSt15iterator_traitsISH_E10value_typeEPNSN_ISI_E10value_typeEPSJ_NS1_7vsmem_tEENKUlT_SH_SI_SJ_E_clIS9_S9_SD_PlEESG_SW_SH_SI_SJ_EUlSW_E_NS1_11comp_targetILNS1_3genE10ELNS1_11target_archE1201ELNS1_3gpuE5ELNS1_3repE0EEENS1_48merge_mergepath_partition_config_static_selectorELNS0_4arch9wavefront6targetE1EEEvSI_.num_named_barrier, 0
	.set _ZN7rocprim17ROCPRIM_400000_NS6detail17trampoline_kernelINS0_14default_configENS1_38merge_sort_block_merge_config_selectorIN3c104HalfElEEZZNS1_27merge_sort_block_merge_implIS3_PS6_N6thrust23THRUST_200600_302600_NS10device_ptrIlEEmNSB_4lessIS6_EEEE10hipError_tT0_T1_T2_jT3_P12ihipStream_tbPNSt15iterator_traitsISH_E10value_typeEPNSN_ISI_E10value_typeEPSJ_NS1_7vsmem_tEENKUlT_SH_SI_SJ_E_clIS9_S9_SD_PlEESG_SW_SH_SI_SJ_EUlSW_E_NS1_11comp_targetILNS1_3genE10ELNS1_11target_archE1201ELNS1_3gpuE5ELNS1_3repE0EEENS1_48merge_mergepath_partition_config_static_selectorELNS0_4arch9wavefront6targetE1EEEvSI_.private_seg_size, 0
	.set _ZN7rocprim17ROCPRIM_400000_NS6detail17trampoline_kernelINS0_14default_configENS1_38merge_sort_block_merge_config_selectorIN3c104HalfElEEZZNS1_27merge_sort_block_merge_implIS3_PS6_N6thrust23THRUST_200600_302600_NS10device_ptrIlEEmNSB_4lessIS6_EEEE10hipError_tT0_T1_T2_jT3_P12ihipStream_tbPNSt15iterator_traitsISH_E10value_typeEPNSN_ISI_E10value_typeEPSJ_NS1_7vsmem_tEENKUlT_SH_SI_SJ_E_clIS9_S9_SD_PlEESG_SW_SH_SI_SJ_EUlSW_E_NS1_11comp_targetILNS1_3genE10ELNS1_11target_archE1201ELNS1_3gpuE5ELNS1_3repE0EEENS1_48merge_mergepath_partition_config_static_selectorELNS0_4arch9wavefront6targetE1EEEvSI_.uses_vcc, 0
	.set _ZN7rocprim17ROCPRIM_400000_NS6detail17trampoline_kernelINS0_14default_configENS1_38merge_sort_block_merge_config_selectorIN3c104HalfElEEZZNS1_27merge_sort_block_merge_implIS3_PS6_N6thrust23THRUST_200600_302600_NS10device_ptrIlEEmNSB_4lessIS6_EEEE10hipError_tT0_T1_T2_jT3_P12ihipStream_tbPNSt15iterator_traitsISH_E10value_typeEPNSN_ISI_E10value_typeEPSJ_NS1_7vsmem_tEENKUlT_SH_SI_SJ_E_clIS9_S9_SD_PlEESG_SW_SH_SI_SJ_EUlSW_E_NS1_11comp_targetILNS1_3genE10ELNS1_11target_archE1201ELNS1_3gpuE5ELNS1_3repE0EEENS1_48merge_mergepath_partition_config_static_selectorELNS0_4arch9wavefront6targetE1EEEvSI_.uses_flat_scratch, 0
	.set _ZN7rocprim17ROCPRIM_400000_NS6detail17trampoline_kernelINS0_14default_configENS1_38merge_sort_block_merge_config_selectorIN3c104HalfElEEZZNS1_27merge_sort_block_merge_implIS3_PS6_N6thrust23THRUST_200600_302600_NS10device_ptrIlEEmNSB_4lessIS6_EEEE10hipError_tT0_T1_T2_jT3_P12ihipStream_tbPNSt15iterator_traitsISH_E10value_typeEPNSN_ISI_E10value_typeEPSJ_NS1_7vsmem_tEENKUlT_SH_SI_SJ_E_clIS9_S9_SD_PlEESG_SW_SH_SI_SJ_EUlSW_E_NS1_11comp_targetILNS1_3genE10ELNS1_11target_archE1201ELNS1_3gpuE5ELNS1_3repE0EEENS1_48merge_mergepath_partition_config_static_selectorELNS0_4arch9wavefront6targetE1EEEvSI_.has_dyn_sized_stack, 0
	.set _ZN7rocprim17ROCPRIM_400000_NS6detail17trampoline_kernelINS0_14default_configENS1_38merge_sort_block_merge_config_selectorIN3c104HalfElEEZZNS1_27merge_sort_block_merge_implIS3_PS6_N6thrust23THRUST_200600_302600_NS10device_ptrIlEEmNSB_4lessIS6_EEEE10hipError_tT0_T1_T2_jT3_P12ihipStream_tbPNSt15iterator_traitsISH_E10value_typeEPNSN_ISI_E10value_typeEPSJ_NS1_7vsmem_tEENKUlT_SH_SI_SJ_E_clIS9_S9_SD_PlEESG_SW_SH_SI_SJ_EUlSW_E_NS1_11comp_targetILNS1_3genE10ELNS1_11target_archE1201ELNS1_3gpuE5ELNS1_3repE0EEENS1_48merge_mergepath_partition_config_static_selectorELNS0_4arch9wavefront6targetE1EEEvSI_.has_recursion, 0
	.set _ZN7rocprim17ROCPRIM_400000_NS6detail17trampoline_kernelINS0_14default_configENS1_38merge_sort_block_merge_config_selectorIN3c104HalfElEEZZNS1_27merge_sort_block_merge_implIS3_PS6_N6thrust23THRUST_200600_302600_NS10device_ptrIlEEmNSB_4lessIS6_EEEE10hipError_tT0_T1_T2_jT3_P12ihipStream_tbPNSt15iterator_traitsISH_E10value_typeEPNSN_ISI_E10value_typeEPSJ_NS1_7vsmem_tEENKUlT_SH_SI_SJ_E_clIS9_S9_SD_PlEESG_SW_SH_SI_SJ_EUlSW_E_NS1_11comp_targetILNS1_3genE10ELNS1_11target_archE1201ELNS1_3gpuE5ELNS1_3repE0EEENS1_48merge_mergepath_partition_config_static_selectorELNS0_4arch9wavefront6targetE1EEEvSI_.has_indirect_call, 0
	.section	.AMDGPU.csdata,"",@progbits
; Kernel info:
; codeLenInByte = 0
; TotalNumSgprs: 4
; NumVgprs: 0
; ScratchSize: 0
; MemoryBound: 0
; FloatMode: 240
; IeeeMode: 1
; LDSByteSize: 0 bytes/workgroup (compile time only)
; SGPRBlocks: 0
; VGPRBlocks: 0
; NumSGPRsForWavesPerEU: 4
; NumVGPRsForWavesPerEU: 1
; Occupancy: 10
; WaveLimiterHint : 0
; COMPUTE_PGM_RSRC2:SCRATCH_EN: 0
; COMPUTE_PGM_RSRC2:USER_SGPR: 6
; COMPUTE_PGM_RSRC2:TRAP_HANDLER: 0
; COMPUTE_PGM_RSRC2:TGID_X_EN: 1
; COMPUTE_PGM_RSRC2:TGID_Y_EN: 0
; COMPUTE_PGM_RSRC2:TGID_Z_EN: 0
; COMPUTE_PGM_RSRC2:TIDIG_COMP_CNT: 0
	.section	.text._ZN7rocprim17ROCPRIM_400000_NS6detail17trampoline_kernelINS0_14default_configENS1_38merge_sort_block_merge_config_selectorIN3c104HalfElEEZZNS1_27merge_sort_block_merge_implIS3_PS6_N6thrust23THRUST_200600_302600_NS10device_ptrIlEEmNSB_4lessIS6_EEEE10hipError_tT0_T1_T2_jT3_P12ihipStream_tbPNSt15iterator_traitsISH_E10value_typeEPNSN_ISI_E10value_typeEPSJ_NS1_7vsmem_tEENKUlT_SH_SI_SJ_E_clIS9_S9_SD_PlEESG_SW_SH_SI_SJ_EUlSW_E_NS1_11comp_targetILNS1_3genE5ELNS1_11target_archE942ELNS1_3gpuE9ELNS1_3repE0EEENS1_48merge_mergepath_partition_config_static_selectorELNS0_4arch9wavefront6targetE1EEEvSI_,"axG",@progbits,_ZN7rocprim17ROCPRIM_400000_NS6detail17trampoline_kernelINS0_14default_configENS1_38merge_sort_block_merge_config_selectorIN3c104HalfElEEZZNS1_27merge_sort_block_merge_implIS3_PS6_N6thrust23THRUST_200600_302600_NS10device_ptrIlEEmNSB_4lessIS6_EEEE10hipError_tT0_T1_T2_jT3_P12ihipStream_tbPNSt15iterator_traitsISH_E10value_typeEPNSN_ISI_E10value_typeEPSJ_NS1_7vsmem_tEENKUlT_SH_SI_SJ_E_clIS9_S9_SD_PlEESG_SW_SH_SI_SJ_EUlSW_E_NS1_11comp_targetILNS1_3genE5ELNS1_11target_archE942ELNS1_3gpuE9ELNS1_3repE0EEENS1_48merge_mergepath_partition_config_static_selectorELNS0_4arch9wavefront6targetE1EEEvSI_,comdat
	.protected	_ZN7rocprim17ROCPRIM_400000_NS6detail17trampoline_kernelINS0_14default_configENS1_38merge_sort_block_merge_config_selectorIN3c104HalfElEEZZNS1_27merge_sort_block_merge_implIS3_PS6_N6thrust23THRUST_200600_302600_NS10device_ptrIlEEmNSB_4lessIS6_EEEE10hipError_tT0_T1_T2_jT3_P12ihipStream_tbPNSt15iterator_traitsISH_E10value_typeEPNSN_ISI_E10value_typeEPSJ_NS1_7vsmem_tEENKUlT_SH_SI_SJ_E_clIS9_S9_SD_PlEESG_SW_SH_SI_SJ_EUlSW_E_NS1_11comp_targetILNS1_3genE5ELNS1_11target_archE942ELNS1_3gpuE9ELNS1_3repE0EEENS1_48merge_mergepath_partition_config_static_selectorELNS0_4arch9wavefront6targetE1EEEvSI_ ; -- Begin function _ZN7rocprim17ROCPRIM_400000_NS6detail17trampoline_kernelINS0_14default_configENS1_38merge_sort_block_merge_config_selectorIN3c104HalfElEEZZNS1_27merge_sort_block_merge_implIS3_PS6_N6thrust23THRUST_200600_302600_NS10device_ptrIlEEmNSB_4lessIS6_EEEE10hipError_tT0_T1_T2_jT3_P12ihipStream_tbPNSt15iterator_traitsISH_E10value_typeEPNSN_ISI_E10value_typeEPSJ_NS1_7vsmem_tEENKUlT_SH_SI_SJ_E_clIS9_S9_SD_PlEESG_SW_SH_SI_SJ_EUlSW_E_NS1_11comp_targetILNS1_3genE5ELNS1_11target_archE942ELNS1_3gpuE9ELNS1_3repE0EEENS1_48merge_mergepath_partition_config_static_selectorELNS0_4arch9wavefront6targetE1EEEvSI_
	.globl	_ZN7rocprim17ROCPRIM_400000_NS6detail17trampoline_kernelINS0_14default_configENS1_38merge_sort_block_merge_config_selectorIN3c104HalfElEEZZNS1_27merge_sort_block_merge_implIS3_PS6_N6thrust23THRUST_200600_302600_NS10device_ptrIlEEmNSB_4lessIS6_EEEE10hipError_tT0_T1_T2_jT3_P12ihipStream_tbPNSt15iterator_traitsISH_E10value_typeEPNSN_ISI_E10value_typeEPSJ_NS1_7vsmem_tEENKUlT_SH_SI_SJ_E_clIS9_S9_SD_PlEESG_SW_SH_SI_SJ_EUlSW_E_NS1_11comp_targetILNS1_3genE5ELNS1_11target_archE942ELNS1_3gpuE9ELNS1_3repE0EEENS1_48merge_mergepath_partition_config_static_selectorELNS0_4arch9wavefront6targetE1EEEvSI_
	.p2align	8
	.type	_ZN7rocprim17ROCPRIM_400000_NS6detail17trampoline_kernelINS0_14default_configENS1_38merge_sort_block_merge_config_selectorIN3c104HalfElEEZZNS1_27merge_sort_block_merge_implIS3_PS6_N6thrust23THRUST_200600_302600_NS10device_ptrIlEEmNSB_4lessIS6_EEEE10hipError_tT0_T1_T2_jT3_P12ihipStream_tbPNSt15iterator_traitsISH_E10value_typeEPNSN_ISI_E10value_typeEPSJ_NS1_7vsmem_tEENKUlT_SH_SI_SJ_E_clIS9_S9_SD_PlEESG_SW_SH_SI_SJ_EUlSW_E_NS1_11comp_targetILNS1_3genE5ELNS1_11target_archE942ELNS1_3gpuE9ELNS1_3repE0EEENS1_48merge_mergepath_partition_config_static_selectorELNS0_4arch9wavefront6targetE1EEEvSI_,@function
_ZN7rocprim17ROCPRIM_400000_NS6detail17trampoline_kernelINS0_14default_configENS1_38merge_sort_block_merge_config_selectorIN3c104HalfElEEZZNS1_27merge_sort_block_merge_implIS3_PS6_N6thrust23THRUST_200600_302600_NS10device_ptrIlEEmNSB_4lessIS6_EEEE10hipError_tT0_T1_T2_jT3_P12ihipStream_tbPNSt15iterator_traitsISH_E10value_typeEPNSN_ISI_E10value_typeEPSJ_NS1_7vsmem_tEENKUlT_SH_SI_SJ_E_clIS9_S9_SD_PlEESG_SW_SH_SI_SJ_EUlSW_E_NS1_11comp_targetILNS1_3genE5ELNS1_11target_archE942ELNS1_3gpuE9ELNS1_3repE0EEENS1_48merge_mergepath_partition_config_static_selectorELNS0_4arch9wavefront6targetE1EEEvSI_: ; @_ZN7rocprim17ROCPRIM_400000_NS6detail17trampoline_kernelINS0_14default_configENS1_38merge_sort_block_merge_config_selectorIN3c104HalfElEEZZNS1_27merge_sort_block_merge_implIS3_PS6_N6thrust23THRUST_200600_302600_NS10device_ptrIlEEmNSB_4lessIS6_EEEE10hipError_tT0_T1_T2_jT3_P12ihipStream_tbPNSt15iterator_traitsISH_E10value_typeEPNSN_ISI_E10value_typeEPSJ_NS1_7vsmem_tEENKUlT_SH_SI_SJ_E_clIS9_S9_SD_PlEESG_SW_SH_SI_SJ_EUlSW_E_NS1_11comp_targetILNS1_3genE5ELNS1_11target_archE942ELNS1_3gpuE9ELNS1_3repE0EEENS1_48merge_mergepath_partition_config_static_selectorELNS0_4arch9wavefront6targetE1EEEvSI_
; %bb.0:
	.section	.rodata,"a",@progbits
	.p2align	6, 0x0
	.amdhsa_kernel _ZN7rocprim17ROCPRIM_400000_NS6detail17trampoline_kernelINS0_14default_configENS1_38merge_sort_block_merge_config_selectorIN3c104HalfElEEZZNS1_27merge_sort_block_merge_implIS3_PS6_N6thrust23THRUST_200600_302600_NS10device_ptrIlEEmNSB_4lessIS6_EEEE10hipError_tT0_T1_T2_jT3_P12ihipStream_tbPNSt15iterator_traitsISH_E10value_typeEPNSN_ISI_E10value_typeEPSJ_NS1_7vsmem_tEENKUlT_SH_SI_SJ_E_clIS9_S9_SD_PlEESG_SW_SH_SI_SJ_EUlSW_E_NS1_11comp_targetILNS1_3genE5ELNS1_11target_archE942ELNS1_3gpuE9ELNS1_3repE0EEENS1_48merge_mergepath_partition_config_static_selectorELNS0_4arch9wavefront6targetE1EEEvSI_
		.amdhsa_group_segment_fixed_size 0
		.amdhsa_private_segment_fixed_size 0
		.amdhsa_kernarg_size 48
		.amdhsa_user_sgpr_count 6
		.amdhsa_user_sgpr_private_segment_buffer 1
		.amdhsa_user_sgpr_dispatch_ptr 0
		.amdhsa_user_sgpr_queue_ptr 0
		.amdhsa_user_sgpr_kernarg_segment_ptr 1
		.amdhsa_user_sgpr_dispatch_id 0
		.amdhsa_user_sgpr_flat_scratch_init 0
		.amdhsa_user_sgpr_private_segment_size 0
		.amdhsa_uses_dynamic_stack 0
		.amdhsa_system_sgpr_private_segment_wavefront_offset 0
		.amdhsa_system_sgpr_workgroup_id_x 1
		.amdhsa_system_sgpr_workgroup_id_y 0
		.amdhsa_system_sgpr_workgroup_id_z 0
		.amdhsa_system_sgpr_workgroup_info 0
		.amdhsa_system_vgpr_workitem_id 0
		.amdhsa_next_free_vgpr 1
		.amdhsa_next_free_sgpr 0
		.amdhsa_reserve_vcc 0
		.amdhsa_reserve_flat_scratch 0
		.amdhsa_float_round_mode_32 0
		.amdhsa_float_round_mode_16_64 0
		.amdhsa_float_denorm_mode_32 3
		.amdhsa_float_denorm_mode_16_64 3
		.amdhsa_dx10_clamp 1
		.amdhsa_ieee_mode 1
		.amdhsa_fp16_overflow 0
		.amdhsa_exception_fp_ieee_invalid_op 0
		.amdhsa_exception_fp_denorm_src 0
		.amdhsa_exception_fp_ieee_div_zero 0
		.amdhsa_exception_fp_ieee_overflow 0
		.amdhsa_exception_fp_ieee_underflow 0
		.amdhsa_exception_fp_ieee_inexact 0
		.amdhsa_exception_int_div_zero 0
	.end_amdhsa_kernel
	.section	.text._ZN7rocprim17ROCPRIM_400000_NS6detail17trampoline_kernelINS0_14default_configENS1_38merge_sort_block_merge_config_selectorIN3c104HalfElEEZZNS1_27merge_sort_block_merge_implIS3_PS6_N6thrust23THRUST_200600_302600_NS10device_ptrIlEEmNSB_4lessIS6_EEEE10hipError_tT0_T1_T2_jT3_P12ihipStream_tbPNSt15iterator_traitsISH_E10value_typeEPNSN_ISI_E10value_typeEPSJ_NS1_7vsmem_tEENKUlT_SH_SI_SJ_E_clIS9_S9_SD_PlEESG_SW_SH_SI_SJ_EUlSW_E_NS1_11comp_targetILNS1_3genE5ELNS1_11target_archE942ELNS1_3gpuE9ELNS1_3repE0EEENS1_48merge_mergepath_partition_config_static_selectorELNS0_4arch9wavefront6targetE1EEEvSI_,"axG",@progbits,_ZN7rocprim17ROCPRIM_400000_NS6detail17trampoline_kernelINS0_14default_configENS1_38merge_sort_block_merge_config_selectorIN3c104HalfElEEZZNS1_27merge_sort_block_merge_implIS3_PS6_N6thrust23THRUST_200600_302600_NS10device_ptrIlEEmNSB_4lessIS6_EEEE10hipError_tT0_T1_T2_jT3_P12ihipStream_tbPNSt15iterator_traitsISH_E10value_typeEPNSN_ISI_E10value_typeEPSJ_NS1_7vsmem_tEENKUlT_SH_SI_SJ_E_clIS9_S9_SD_PlEESG_SW_SH_SI_SJ_EUlSW_E_NS1_11comp_targetILNS1_3genE5ELNS1_11target_archE942ELNS1_3gpuE9ELNS1_3repE0EEENS1_48merge_mergepath_partition_config_static_selectorELNS0_4arch9wavefront6targetE1EEEvSI_,comdat
.Lfunc_end2150:
	.size	_ZN7rocprim17ROCPRIM_400000_NS6detail17trampoline_kernelINS0_14default_configENS1_38merge_sort_block_merge_config_selectorIN3c104HalfElEEZZNS1_27merge_sort_block_merge_implIS3_PS6_N6thrust23THRUST_200600_302600_NS10device_ptrIlEEmNSB_4lessIS6_EEEE10hipError_tT0_T1_T2_jT3_P12ihipStream_tbPNSt15iterator_traitsISH_E10value_typeEPNSN_ISI_E10value_typeEPSJ_NS1_7vsmem_tEENKUlT_SH_SI_SJ_E_clIS9_S9_SD_PlEESG_SW_SH_SI_SJ_EUlSW_E_NS1_11comp_targetILNS1_3genE5ELNS1_11target_archE942ELNS1_3gpuE9ELNS1_3repE0EEENS1_48merge_mergepath_partition_config_static_selectorELNS0_4arch9wavefront6targetE1EEEvSI_, .Lfunc_end2150-_ZN7rocprim17ROCPRIM_400000_NS6detail17trampoline_kernelINS0_14default_configENS1_38merge_sort_block_merge_config_selectorIN3c104HalfElEEZZNS1_27merge_sort_block_merge_implIS3_PS6_N6thrust23THRUST_200600_302600_NS10device_ptrIlEEmNSB_4lessIS6_EEEE10hipError_tT0_T1_T2_jT3_P12ihipStream_tbPNSt15iterator_traitsISH_E10value_typeEPNSN_ISI_E10value_typeEPSJ_NS1_7vsmem_tEENKUlT_SH_SI_SJ_E_clIS9_S9_SD_PlEESG_SW_SH_SI_SJ_EUlSW_E_NS1_11comp_targetILNS1_3genE5ELNS1_11target_archE942ELNS1_3gpuE9ELNS1_3repE0EEENS1_48merge_mergepath_partition_config_static_selectorELNS0_4arch9wavefront6targetE1EEEvSI_
                                        ; -- End function
	.set _ZN7rocprim17ROCPRIM_400000_NS6detail17trampoline_kernelINS0_14default_configENS1_38merge_sort_block_merge_config_selectorIN3c104HalfElEEZZNS1_27merge_sort_block_merge_implIS3_PS6_N6thrust23THRUST_200600_302600_NS10device_ptrIlEEmNSB_4lessIS6_EEEE10hipError_tT0_T1_T2_jT3_P12ihipStream_tbPNSt15iterator_traitsISH_E10value_typeEPNSN_ISI_E10value_typeEPSJ_NS1_7vsmem_tEENKUlT_SH_SI_SJ_E_clIS9_S9_SD_PlEESG_SW_SH_SI_SJ_EUlSW_E_NS1_11comp_targetILNS1_3genE5ELNS1_11target_archE942ELNS1_3gpuE9ELNS1_3repE0EEENS1_48merge_mergepath_partition_config_static_selectorELNS0_4arch9wavefront6targetE1EEEvSI_.num_vgpr, 0
	.set _ZN7rocprim17ROCPRIM_400000_NS6detail17trampoline_kernelINS0_14default_configENS1_38merge_sort_block_merge_config_selectorIN3c104HalfElEEZZNS1_27merge_sort_block_merge_implIS3_PS6_N6thrust23THRUST_200600_302600_NS10device_ptrIlEEmNSB_4lessIS6_EEEE10hipError_tT0_T1_T2_jT3_P12ihipStream_tbPNSt15iterator_traitsISH_E10value_typeEPNSN_ISI_E10value_typeEPSJ_NS1_7vsmem_tEENKUlT_SH_SI_SJ_E_clIS9_S9_SD_PlEESG_SW_SH_SI_SJ_EUlSW_E_NS1_11comp_targetILNS1_3genE5ELNS1_11target_archE942ELNS1_3gpuE9ELNS1_3repE0EEENS1_48merge_mergepath_partition_config_static_selectorELNS0_4arch9wavefront6targetE1EEEvSI_.num_agpr, 0
	.set _ZN7rocprim17ROCPRIM_400000_NS6detail17trampoline_kernelINS0_14default_configENS1_38merge_sort_block_merge_config_selectorIN3c104HalfElEEZZNS1_27merge_sort_block_merge_implIS3_PS6_N6thrust23THRUST_200600_302600_NS10device_ptrIlEEmNSB_4lessIS6_EEEE10hipError_tT0_T1_T2_jT3_P12ihipStream_tbPNSt15iterator_traitsISH_E10value_typeEPNSN_ISI_E10value_typeEPSJ_NS1_7vsmem_tEENKUlT_SH_SI_SJ_E_clIS9_S9_SD_PlEESG_SW_SH_SI_SJ_EUlSW_E_NS1_11comp_targetILNS1_3genE5ELNS1_11target_archE942ELNS1_3gpuE9ELNS1_3repE0EEENS1_48merge_mergepath_partition_config_static_selectorELNS0_4arch9wavefront6targetE1EEEvSI_.numbered_sgpr, 0
	.set _ZN7rocprim17ROCPRIM_400000_NS6detail17trampoline_kernelINS0_14default_configENS1_38merge_sort_block_merge_config_selectorIN3c104HalfElEEZZNS1_27merge_sort_block_merge_implIS3_PS6_N6thrust23THRUST_200600_302600_NS10device_ptrIlEEmNSB_4lessIS6_EEEE10hipError_tT0_T1_T2_jT3_P12ihipStream_tbPNSt15iterator_traitsISH_E10value_typeEPNSN_ISI_E10value_typeEPSJ_NS1_7vsmem_tEENKUlT_SH_SI_SJ_E_clIS9_S9_SD_PlEESG_SW_SH_SI_SJ_EUlSW_E_NS1_11comp_targetILNS1_3genE5ELNS1_11target_archE942ELNS1_3gpuE9ELNS1_3repE0EEENS1_48merge_mergepath_partition_config_static_selectorELNS0_4arch9wavefront6targetE1EEEvSI_.num_named_barrier, 0
	.set _ZN7rocprim17ROCPRIM_400000_NS6detail17trampoline_kernelINS0_14default_configENS1_38merge_sort_block_merge_config_selectorIN3c104HalfElEEZZNS1_27merge_sort_block_merge_implIS3_PS6_N6thrust23THRUST_200600_302600_NS10device_ptrIlEEmNSB_4lessIS6_EEEE10hipError_tT0_T1_T2_jT3_P12ihipStream_tbPNSt15iterator_traitsISH_E10value_typeEPNSN_ISI_E10value_typeEPSJ_NS1_7vsmem_tEENKUlT_SH_SI_SJ_E_clIS9_S9_SD_PlEESG_SW_SH_SI_SJ_EUlSW_E_NS1_11comp_targetILNS1_3genE5ELNS1_11target_archE942ELNS1_3gpuE9ELNS1_3repE0EEENS1_48merge_mergepath_partition_config_static_selectorELNS0_4arch9wavefront6targetE1EEEvSI_.private_seg_size, 0
	.set _ZN7rocprim17ROCPRIM_400000_NS6detail17trampoline_kernelINS0_14default_configENS1_38merge_sort_block_merge_config_selectorIN3c104HalfElEEZZNS1_27merge_sort_block_merge_implIS3_PS6_N6thrust23THRUST_200600_302600_NS10device_ptrIlEEmNSB_4lessIS6_EEEE10hipError_tT0_T1_T2_jT3_P12ihipStream_tbPNSt15iterator_traitsISH_E10value_typeEPNSN_ISI_E10value_typeEPSJ_NS1_7vsmem_tEENKUlT_SH_SI_SJ_E_clIS9_S9_SD_PlEESG_SW_SH_SI_SJ_EUlSW_E_NS1_11comp_targetILNS1_3genE5ELNS1_11target_archE942ELNS1_3gpuE9ELNS1_3repE0EEENS1_48merge_mergepath_partition_config_static_selectorELNS0_4arch9wavefront6targetE1EEEvSI_.uses_vcc, 0
	.set _ZN7rocprim17ROCPRIM_400000_NS6detail17trampoline_kernelINS0_14default_configENS1_38merge_sort_block_merge_config_selectorIN3c104HalfElEEZZNS1_27merge_sort_block_merge_implIS3_PS6_N6thrust23THRUST_200600_302600_NS10device_ptrIlEEmNSB_4lessIS6_EEEE10hipError_tT0_T1_T2_jT3_P12ihipStream_tbPNSt15iterator_traitsISH_E10value_typeEPNSN_ISI_E10value_typeEPSJ_NS1_7vsmem_tEENKUlT_SH_SI_SJ_E_clIS9_S9_SD_PlEESG_SW_SH_SI_SJ_EUlSW_E_NS1_11comp_targetILNS1_3genE5ELNS1_11target_archE942ELNS1_3gpuE9ELNS1_3repE0EEENS1_48merge_mergepath_partition_config_static_selectorELNS0_4arch9wavefront6targetE1EEEvSI_.uses_flat_scratch, 0
	.set _ZN7rocprim17ROCPRIM_400000_NS6detail17trampoline_kernelINS0_14default_configENS1_38merge_sort_block_merge_config_selectorIN3c104HalfElEEZZNS1_27merge_sort_block_merge_implIS3_PS6_N6thrust23THRUST_200600_302600_NS10device_ptrIlEEmNSB_4lessIS6_EEEE10hipError_tT0_T1_T2_jT3_P12ihipStream_tbPNSt15iterator_traitsISH_E10value_typeEPNSN_ISI_E10value_typeEPSJ_NS1_7vsmem_tEENKUlT_SH_SI_SJ_E_clIS9_S9_SD_PlEESG_SW_SH_SI_SJ_EUlSW_E_NS1_11comp_targetILNS1_3genE5ELNS1_11target_archE942ELNS1_3gpuE9ELNS1_3repE0EEENS1_48merge_mergepath_partition_config_static_selectorELNS0_4arch9wavefront6targetE1EEEvSI_.has_dyn_sized_stack, 0
	.set _ZN7rocprim17ROCPRIM_400000_NS6detail17trampoline_kernelINS0_14default_configENS1_38merge_sort_block_merge_config_selectorIN3c104HalfElEEZZNS1_27merge_sort_block_merge_implIS3_PS6_N6thrust23THRUST_200600_302600_NS10device_ptrIlEEmNSB_4lessIS6_EEEE10hipError_tT0_T1_T2_jT3_P12ihipStream_tbPNSt15iterator_traitsISH_E10value_typeEPNSN_ISI_E10value_typeEPSJ_NS1_7vsmem_tEENKUlT_SH_SI_SJ_E_clIS9_S9_SD_PlEESG_SW_SH_SI_SJ_EUlSW_E_NS1_11comp_targetILNS1_3genE5ELNS1_11target_archE942ELNS1_3gpuE9ELNS1_3repE0EEENS1_48merge_mergepath_partition_config_static_selectorELNS0_4arch9wavefront6targetE1EEEvSI_.has_recursion, 0
	.set _ZN7rocprim17ROCPRIM_400000_NS6detail17trampoline_kernelINS0_14default_configENS1_38merge_sort_block_merge_config_selectorIN3c104HalfElEEZZNS1_27merge_sort_block_merge_implIS3_PS6_N6thrust23THRUST_200600_302600_NS10device_ptrIlEEmNSB_4lessIS6_EEEE10hipError_tT0_T1_T2_jT3_P12ihipStream_tbPNSt15iterator_traitsISH_E10value_typeEPNSN_ISI_E10value_typeEPSJ_NS1_7vsmem_tEENKUlT_SH_SI_SJ_E_clIS9_S9_SD_PlEESG_SW_SH_SI_SJ_EUlSW_E_NS1_11comp_targetILNS1_3genE5ELNS1_11target_archE942ELNS1_3gpuE9ELNS1_3repE0EEENS1_48merge_mergepath_partition_config_static_selectorELNS0_4arch9wavefront6targetE1EEEvSI_.has_indirect_call, 0
	.section	.AMDGPU.csdata,"",@progbits
; Kernel info:
; codeLenInByte = 0
; TotalNumSgprs: 4
; NumVgprs: 0
; ScratchSize: 0
; MemoryBound: 0
; FloatMode: 240
; IeeeMode: 1
; LDSByteSize: 0 bytes/workgroup (compile time only)
; SGPRBlocks: 0
; VGPRBlocks: 0
; NumSGPRsForWavesPerEU: 4
; NumVGPRsForWavesPerEU: 1
; Occupancy: 10
; WaveLimiterHint : 0
; COMPUTE_PGM_RSRC2:SCRATCH_EN: 0
; COMPUTE_PGM_RSRC2:USER_SGPR: 6
; COMPUTE_PGM_RSRC2:TRAP_HANDLER: 0
; COMPUTE_PGM_RSRC2:TGID_X_EN: 1
; COMPUTE_PGM_RSRC2:TGID_Y_EN: 0
; COMPUTE_PGM_RSRC2:TGID_Z_EN: 0
; COMPUTE_PGM_RSRC2:TIDIG_COMP_CNT: 0
	.section	.text._ZN7rocprim17ROCPRIM_400000_NS6detail17trampoline_kernelINS0_14default_configENS1_38merge_sort_block_merge_config_selectorIN3c104HalfElEEZZNS1_27merge_sort_block_merge_implIS3_PS6_N6thrust23THRUST_200600_302600_NS10device_ptrIlEEmNSB_4lessIS6_EEEE10hipError_tT0_T1_T2_jT3_P12ihipStream_tbPNSt15iterator_traitsISH_E10value_typeEPNSN_ISI_E10value_typeEPSJ_NS1_7vsmem_tEENKUlT_SH_SI_SJ_E_clIS9_S9_SD_PlEESG_SW_SH_SI_SJ_EUlSW_E_NS1_11comp_targetILNS1_3genE4ELNS1_11target_archE910ELNS1_3gpuE8ELNS1_3repE0EEENS1_48merge_mergepath_partition_config_static_selectorELNS0_4arch9wavefront6targetE1EEEvSI_,"axG",@progbits,_ZN7rocprim17ROCPRIM_400000_NS6detail17trampoline_kernelINS0_14default_configENS1_38merge_sort_block_merge_config_selectorIN3c104HalfElEEZZNS1_27merge_sort_block_merge_implIS3_PS6_N6thrust23THRUST_200600_302600_NS10device_ptrIlEEmNSB_4lessIS6_EEEE10hipError_tT0_T1_T2_jT3_P12ihipStream_tbPNSt15iterator_traitsISH_E10value_typeEPNSN_ISI_E10value_typeEPSJ_NS1_7vsmem_tEENKUlT_SH_SI_SJ_E_clIS9_S9_SD_PlEESG_SW_SH_SI_SJ_EUlSW_E_NS1_11comp_targetILNS1_3genE4ELNS1_11target_archE910ELNS1_3gpuE8ELNS1_3repE0EEENS1_48merge_mergepath_partition_config_static_selectorELNS0_4arch9wavefront6targetE1EEEvSI_,comdat
	.protected	_ZN7rocprim17ROCPRIM_400000_NS6detail17trampoline_kernelINS0_14default_configENS1_38merge_sort_block_merge_config_selectorIN3c104HalfElEEZZNS1_27merge_sort_block_merge_implIS3_PS6_N6thrust23THRUST_200600_302600_NS10device_ptrIlEEmNSB_4lessIS6_EEEE10hipError_tT0_T1_T2_jT3_P12ihipStream_tbPNSt15iterator_traitsISH_E10value_typeEPNSN_ISI_E10value_typeEPSJ_NS1_7vsmem_tEENKUlT_SH_SI_SJ_E_clIS9_S9_SD_PlEESG_SW_SH_SI_SJ_EUlSW_E_NS1_11comp_targetILNS1_3genE4ELNS1_11target_archE910ELNS1_3gpuE8ELNS1_3repE0EEENS1_48merge_mergepath_partition_config_static_selectorELNS0_4arch9wavefront6targetE1EEEvSI_ ; -- Begin function _ZN7rocprim17ROCPRIM_400000_NS6detail17trampoline_kernelINS0_14default_configENS1_38merge_sort_block_merge_config_selectorIN3c104HalfElEEZZNS1_27merge_sort_block_merge_implIS3_PS6_N6thrust23THRUST_200600_302600_NS10device_ptrIlEEmNSB_4lessIS6_EEEE10hipError_tT0_T1_T2_jT3_P12ihipStream_tbPNSt15iterator_traitsISH_E10value_typeEPNSN_ISI_E10value_typeEPSJ_NS1_7vsmem_tEENKUlT_SH_SI_SJ_E_clIS9_S9_SD_PlEESG_SW_SH_SI_SJ_EUlSW_E_NS1_11comp_targetILNS1_3genE4ELNS1_11target_archE910ELNS1_3gpuE8ELNS1_3repE0EEENS1_48merge_mergepath_partition_config_static_selectorELNS0_4arch9wavefront6targetE1EEEvSI_
	.globl	_ZN7rocprim17ROCPRIM_400000_NS6detail17trampoline_kernelINS0_14default_configENS1_38merge_sort_block_merge_config_selectorIN3c104HalfElEEZZNS1_27merge_sort_block_merge_implIS3_PS6_N6thrust23THRUST_200600_302600_NS10device_ptrIlEEmNSB_4lessIS6_EEEE10hipError_tT0_T1_T2_jT3_P12ihipStream_tbPNSt15iterator_traitsISH_E10value_typeEPNSN_ISI_E10value_typeEPSJ_NS1_7vsmem_tEENKUlT_SH_SI_SJ_E_clIS9_S9_SD_PlEESG_SW_SH_SI_SJ_EUlSW_E_NS1_11comp_targetILNS1_3genE4ELNS1_11target_archE910ELNS1_3gpuE8ELNS1_3repE0EEENS1_48merge_mergepath_partition_config_static_selectorELNS0_4arch9wavefront6targetE1EEEvSI_
	.p2align	8
	.type	_ZN7rocprim17ROCPRIM_400000_NS6detail17trampoline_kernelINS0_14default_configENS1_38merge_sort_block_merge_config_selectorIN3c104HalfElEEZZNS1_27merge_sort_block_merge_implIS3_PS6_N6thrust23THRUST_200600_302600_NS10device_ptrIlEEmNSB_4lessIS6_EEEE10hipError_tT0_T1_T2_jT3_P12ihipStream_tbPNSt15iterator_traitsISH_E10value_typeEPNSN_ISI_E10value_typeEPSJ_NS1_7vsmem_tEENKUlT_SH_SI_SJ_E_clIS9_S9_SD_PlEESG_SW_SH_SI_SJ_EUlSW_E_NS1_11comp_targetILNS1_3genE4ELNS1_11target_archE910ELNS1_3gpuE8ELNS1_3repE0EEENS1_48merge_mergepath_partition_config_static_selectorELNS0_4arch9wavefront6targetE1EEEvSI_,@function
_ZN7rocprim17ROCPRIM_400000_NS6detail17trampoline_kernelINS0_14default_configENS1_38merge_sort_block_merge_config_selectorIN3c104HalfElEEZZNS1_27merge_sort_block_merge_implIS3_PS6_N6thrust23THRUST_200600_302600_NS10device_ptrIlEEmNSB_4lessIS6_EEEE10hipError_tT0_T1_T2_jT3_P12ihipStream_tbPNSt15iterator_traitsISH_E10value_typeEPNSN_ISI_E10value_typeEPSJ_NS1_7vsmem_tEENKUlT_SH_SI_SJ_E_clIS9_S9_SD_PlEESG_SW_SH_SI_SJ_EUlSW_E_NS1_11comp_targetILNS1_3genE4ELNS1_11target_archE910ELNS1_3gpuE8ELNS1_3repE0EEENS1_48merge_mergepath_partition_config_static_selectorELNS0_4arch9wavefront6targetE1EEEvSI_: ; @_ZN7rocprim17ROCPRIM_400000_NS6detail17trampoline_kernelINS0_14default_configENS1_38merge_sort_block_merge_config_selectorIN3c104HalfElEEZZNS1_27merge_sort_block_merge_implIS3_PS6_N6thrust23THRUST_200600_302600_NS10device_ptrIlEEmNSB_4lessIS6_EEEE10hipError_tT0_T1_T2_jT3_P12ihipStream_tbPNSt15iterator_traitsISH_E10value_typeEPNSN_ISI_E10value_typeEPSJ_NS1_7vsmem_tEENKUlT_SH_SI_SJ_E_clIS9_S9_SD_PlEESG_SW_SH_SI_SJ_EUlSW_E_NS1_11comp_targetILNS1_3genE4ELNS1_11target_archE910ELNS1_3gpuE8ELNS1_3repE0EEENS1_48merge_mergepath_partition_config_static_selectorELNS0_4arch9wavefront6targetE1EEEvSI_
; %bb.0:
	.section	.rodata,"a",@progbits
	.p2align	6, 0x0
	.amdhsa_kernel _ZN7rocprim17ROCPRIM_400000_NS6detail17trampoline_kernelINS0_14default_configENS1_38merge_sort_block_merge_config_selectorIN3c104HalfElEEZZNS1_27merge_sort_block_merge_implIS3_PS6_N6thrust23THRUST_200600_302600_NS10device_ptrIlEEmNSB_4lessIS6_EEEE10hipError_tT0_T1_T2_jT3_P12ihipStream_tbPNSt15iterator_traitsISH_E10value_typeEPNSN_ISI_E10value_typeEPSJ_NS1_7vsmem_tEENKUlT_SH_SI_SJ_E_clIS9_S9_SD_PlEESG_SW_SH_SI_SJ_EUlSW_E_NS1_11comp_targetILNS1_3genE4ELNS1_11target_archE910ELNS1_3gpuE8ELNS1_3repE0EEENS1_48merge_mergepath_partition_config_static_selectorELNS0_4arch9wavefront6targetE1EEEvSI_
		.amdhsa_group_segment_fixed_size 0
		.amdhsa_private_segment_fixed_size 0
		.amdhsa_kernarg_size 48
		.amdhsa_user_sgpr_count 6
		.amdhsa_user_sgpr_private_segment_buffer 1
		.amdhsa_user_sgpr_dispatch_ptr 0
		.amdhsa_user_sgpr_queue_ptr 0
		.amdhsa_user_sgpr_kernarg_segment_ptr 1
		.amdhsa_user_sgpr_dispatch_id 0
		.amdhsa_user_sgpr_flat_scratch_init 0
		.amdhsa_user_sgpr_private_segment_size 0
		.amdhsa_uses_dynamic_stack 0
		.amdhsa_system_sgpr_private_segment_wavefront_offset 0
		.amdhsa_system_sgpr_workgroup_id_x 1
		.amdhsa_system_sgpr_workgroup_id_y 0
		.amdhsa_system_sgpr_workgroup_id_z 0
		.amdhsa_system_sgpr_workgroup_info 0
		.amdhsa_system_vgpr_workitem_id 0
		.amdhsa_next_free_vgpr 1
		.amdhsa_next_free_sgpr 0
		.amdhsa_reserve_vcc 0
		.amdhsa_reserve_flat_scratch 0
		.amdhsa_float_round_mode_32 0
		.amdhsa_float_round_mode_16_64 0
		.amdhsa_float_denorm_mode_32 3
		.amdhsa_float_denorm_mode_16_64 3
		.amdhsa_dx10_clamp 1
		.amdhsa_ieee_mode 1
		.amdhsa_fp16_overflow 0
		.amdhsa_exception_fp_ieee_invalid_op 0
		.amdhsa_exception_fp_denorm_src 0
		.amdhsa_exception_fp_ieee_div_zero 0
		.amdhsa_exception_fp_ieee_overflow 0
		.amdhsa_exception_fp_ieee_underflow 0
		.amdhsa_exception_fp_ieee_inexact 0
		.amdhsa_exception_int_div_zero 0
	.end_amdhsa_kernel
	.section	.text._ZN7rocprim17ROCPRIM_400000_NS6detail17trampoline_kernelINS0_14default_configENS1_38merge_sort_block_merge_config_selectorIN3c104HalfElEEZZNS1_27merge_sort_block_merge_implIS3_PS6_N6thrust23THRUST_200600_302600_NS10device_ptrIlEEmNSB_4lessIS6_EEEE10hipError_tT0_T1_T2_jT3_P12ihipStream_tbPNSt15iterator_traitsISH_E10value_typeEPNSN_ISI_E10value_typeEPSJ_NS1_7vsmem_tEENKUlT_SH_SI_SJ_E_clIS9_S9_SD_PlEESG_SW_SH_SI_SJ_EUlSW_E_NS1_11comp_targetILNS1_3genE4ELNS1_11target_archE910ELNS1_3gpuE8ELNS1_3repE0EEENS1_48merge_mergepath_partition_config_static_selectorELNS0_4arch9wavefront6targetE1EEEvSI_,"axG",@progbits,_ZN7rocprim17ROCPRIM_400000_NS6detail17trampoline_kernelINS0_14default_configENS1_38merge_sort_block_merge_config_selectorIN3c104HalfElEEZZNS1_27merge_sort_block_merge_implIS3_PS6_N6thrust23THRUST_200600_302600_NS10device_ptrIlEEmNSB_4lessIS6_EEEE10hipError_tT0_T1_T2_jT3_P12ihipStream_tbPNSt15iterator_traitsISH_E10value_typeEPNSN_ISI_E10value_typeEPSJ_NS1_7vsmem_tEENKUlT_SH_SI_SJ_E_clIS9_S9_SD_PlEESG_SW_SH_SI_SJ_EUlSW_E_NS1_11comp_targetILNS1_3genE4ELNS1_11target_archE910ELNS1_3gpuE8ELNS1_3repE0EEENS1_48merge_mergepath_partition_config_static_selectorELNS0_4arch9wavefront6targetE1EEEvSI_,comdat
.Lfunc_end2151:
	.size	_ZN7rocprim17ROCPRIM_400000_NS6detail17trampoline_kernelINS0_14default_configENS1_38merge_sort_block_merge_config_selectorIN3c104HalfElEEZZNS1_27merge_sort_block_merge_implIS3_PS6_N6thrust23THRUST_200600_302600_NS10device_ptrIlEEmNSB_4lessIS6_EEEE10hipError_tT0_T1_T2_jT3_P12ihipStream_tbPNSt15iterator_traitsISH_E10value_typeEPNSN_ISI_E10value_typeEPSJ_NS1_7vsmem_tEENKUlT_SH_SI_SJ_E_clIS9_S9_SD_PlEESG_SW_SH_SI_SJ_EUlSW_E_NS1_11comp_targetILNS1_3genE4ELNS1_11target_archE910ELNS1_3gpuE8ELNS1_3repE0EEENS1_48merge_mergepath_partition_config_static_selectorELNS0_4arch9wavefront6targetE1EEEvSI_, .Lfunc_end2151-_ZN7rocprim17ROCPRIM_400000_NS6detail17trampoline_kernelINS0_14default_configENS1_38merge_sort_block_merge_config_selectorIN3c104HalfElEEZZNS1_27merge_sort_block_merge_implIS3_PS6_N6thrust23THRUST_200600_302600_NS10device_ptrIlEEmNSB_4lessIS6_EEEE10hipError_tT0_T1_T2_jT3_P12ihipStream_tbPNSt15iterator_traitsISH_E10value_typeEPNSN_ISI_E10value_typeEPSJ_NS1_7vsmem_tEENKUlT_SH_SI_SJ_E_clIS9_S9_SD_PlEESG_SW_SH_SI_SJ_EUlSW_E_NS1_11comp_targetILNS1_3genE4ELNS1_11target_archE910ELNS1_3gpuE8ELNS1_3repE0EEENS1_48merge_mergepath_partition_config_static_selectorELNS0_4arch9wavefront6targetE1EEEvSI_
                                        ; -- End function
	.set _ZN7rocprim17ROCPRIM_400000_NS6detail17trampoline_kernelINS0_14default_configENS1_38merge_sort_block_merge_config_selectorIN3c104HalfElEEZZNS1_27merge_sort_block_merge_implIS3_PS6_N6thrust23THRUST_200600_302600_NS10device_ptrIlEEmNSB_4lessIS6_EEEE10hipError_tT0_T1_T2_jT3_P12ihipStream_tbPNSt15iterator_traitsISH_E10value_typeEPNSN_ISI_E10value_typeEPSJ_NS1_7vsmem_tEENKUlT_SH_SI_SJ_E_clIS9_S9_SD_PlEESG_SW_SH_SI_SJ_EUlSW_E_NS1_11comp_targetILNS1_3genE4ELNS1_11target_archE910ELNS1_3gpuE8ELNS1_3repE0EEENS1_48merge_mergepath_partition_config_static_selectorELNS0_4arch9wavefront6targetE1EEEvSI_.num_vgpr, 0
	.set _ZN7rocprim17ROCPRIM_400000_NS6detail17trampoline_kernelINS0_14default_configENS1_38merge_sort_block_merge_config_selectorIN3c104HalfElEEZZNS1_27merge_sort_block_merge_implIS3_PS6_N6thrust23THRUST_200600_302600_NS10device_ptrIlEEmNSB_4lessIS6_EEEE10hipError_tT0_T1_T2_jT3_P12ihipStream_tbPNSt15iterator_traitsISH_E10value_typeEPNSN_ISI_E10value_typeEPSJ_NS1_7vsmem_tEENKUlT_SH_SI_SJ_E_clIS9_S9_SD_PlEESG_SW_SH_SI_SJ_EUlSW_E_NS1_11comp_targetILNS1_3genE4ELNS1_11target_archE910ELNS1_3gpuE8ELNS1_3repE0EEENS1_48merge_mergepath_partition_config_static_selectorELNS0_4arch9wavefront6targetE1EEEvSI_.num_agpr, 0
	.set _ZN7rocprim17ROCPRIM_400000_NS6detail17trampoline_kernelINS0_14default_configENS1_38merge_sort_block_merge_config_selectorIN3c104HalfElEEZZNS1_27merge_sort_block_merge_implIS3_PS6_N6thrust23THRUST_200600_302600_NS10device_ptrIlEEmNSB_4lessIS6_EEEE10hipError_tT0_T1_T2_jT3_P12ihipStream_tbPNSt15iterator_traitsISH_E10value_typeEPNSN_ISI_E10value_typeEPSJ_NS1_7vsmem_tEENKUlT_SH_SI_SJ_E_clIS9_S9_SD_PlEESG_SW_SH_SI_SJ_EUlSW_E_NS1_11comp_targetILNS1_3genE4ELNS1_11target_archE910ELNS1_3gpuE8ELNS1_3repE0EEENS1_48merge_mergepath_partition_config_static_selectorELNS0_4arch9wavefront6targetE1EEEvSI_.numbered_sgpr, 0
	.set _ZN7rocprim17ROCPRIM_400000_NS6detail17trampoline_kernelINS0_14default_configENS1_38merge_sort_block_merge_config_selectorIN3c104HalfElEEZZNS1_27merge_sort_block_merge_implIS3_PS6_N6thrust23THRUST_200600_302600_NS10device_ptrIlEEmNSB_4lessIS6_EEEE10hipError_tT0_T1_T2_jT3_P12ihipStream_tbPNSt15iterator_traitsISH_E10value_typeEPNSN_ISI_E10value_typeEPSJ_NS1_7vsmem_tEENKUlT_SH_SI_SJ_E_clIS9_S9_SD_PlEESG_SW_SH_SI_SJ_EUlSW_E_NS1_11comp_targetILNS1_3genE4ELNS1_11target_archE910ELNS1_3gpuE8ELNS1_3repE0EEENS1_48merge_mergepath_partition_config_static_selectorELNS0_4arch9wavefront6targetE1EEEvSI_.num_named_barrier, 0
	.set _ZN7rocprim17ROCPRIM_400000_NS6detail17trampoline_kernelINS0_14default_configENS1_38merge_sort_block_merge_config_selectorIN3c104HalfElEEZZNS1_27merge_sort_block_merge_implIS3_PS6_N6thrust23THRUST_200600_302600_NS10device_ptrIlEEmNSB_4lessIS6_EEEE10hipError_tT0_T1_T2_jT3_P12ihipStream_tbPNSt15iterator_traitsISH_E10value_typeEPNSN_ISI_E10value_typeEPSJ_NS1_7vsmem_tEENKUlT_SH_SI_SJ_E_clIS9_S9_SD_PlEESG_SW_SH_SI_SJ_EUlSW_E_NS1_11comp_targetILNS1_3genE4ELNS1_11target_archE910ELNS1_3gpuE8ELNS1_3repE0EEENS1_48merge_mergepath_partition_config_static_selectorELNS0_4arch9wavefront6targetE1EEEvSI_.private_seg_size, 0
	.set _ZN7rocprim17ROCPRIM_400000_NS6detail17trampoline_kernelINS0_14default_configENS1_38merge_sort_block_merge_config_selectorIN3c104HalfElEEZZNS1_27merge_sort_block_merge_implIS3_PS6_N6thrust23THRUST_200600_302600_NS10device_ptrIlEEmNSB_4lessIS6_EEEE10hipError_tT0_T1_T2_jT3_P12ihipStream_tbPNSt15iterator_traitsISH_E10value_typeEPNSN_ISI_E10value_typeEPSJ_NS1_7vsmem_tEENKUlT_SH_SI_SJ_E_clIS9_S9_SD_PlEESG_SW_SH_SI_SJ_EUlSW_E_NS1_11comp_targetILNS1_3genE4ELNS1_11target_archE910ELNS1_3gpuE8ELNS1_3repE0EEENS1_48merge_mergepath_partition_config_static_selectorELNS0_4arch9wavefront6targetE1EEEvSI_.uses_vcc, 0
	.set _ZN7rocprim17ROCPRIM_400000_NS6detail17trampoline_kernelINS0_14default_configENS1_38merge_sort_block_merge_config_selectorIN3c104HalfElEEZZNS1_27merge_sort_block_merge_implIS3_PS6_N6thrust23THRUST_200600_302600_NS10device_ptrIlEEmNSB_4lessIS6_EEEE10hipError_tT0_T1_T2_jT3_P12ihipStream_tbPNSt15iterator_traitsISH_E10value_typeEPNSN_ISI_E10value_typeEPSJ_NS1_7vsmem_tEENKUlT_SH_SI_SJ_E_clIS9_S9_SD_PlEESG_SW_SH_SI_SJ_EUlSW_E_NS1_11comp_targetILNS1_3genE4ELNS1_11target_archE910ELNS1_3gpuE8ELNS1_3repE0EEENS1_48merge_mergepath_partition_config_static_selectorELNS0_4arch9wavefront6targetE1EEEvSI_.uses_flat_scratch, 0
	.set _ZN7rocprim17ROCPRIM_400000_NS6detail17trampoline_kernelINS0_14default_configENS1_38merge_sort_block_merge_config_selectorIN3c104HalfElEEZZNS1_27merge_sort_block_merge_implIS3_PS6_N6thrust23THRUST_200600_302600_NS10device_ptrIlEEmNSB_4lessIS6_EEEE10hipError_tT0_T1_T2_jT3_P12ihipStream_tbPNSt15iterator_traitsISH_E10value_typeEPNSN_ISI_E10value_typeEPSJ_NS1_7vsmem_tEENKUlT_SH_SI_SJ_E_clIS9_S9_SD_PlEESG_SW_SH_SI_SJ_EUlSW_E_NS1_11comp_targetILNS1_3genE4ELNS1_11target_archE910ELNS1_3gpuE8ELNS1_3repE0EEENS1_48merge_mergepath_partition_config_static_selectorELNS0_4arch9wavefront6targetE1EEEvSI_.has_dyn_sized_stack, 0
	.set _ZN7rocprim17ROCPRIM_400000_NS6detail17trampoline_kernelINS0_14default_configENS1_38merge_sort_block_merge_config_selectorIN3c104HalfElEEZZNS1_27merge_sort_block_merge_implIS3_PS6_N6thrust23THRUST_200600_302600_NS10device_ptrIlEEmNSB_4lessIS6_EEEE10hipError_tT0_T1_T2_jT3_P12ihipStream_tbPNSt15iterator_traitsISH_E10value_typeEPNSN_ISI_E10value_typeEPSJ_NS1_7vsmem_tEENKUlT_SH_SI_SJ_E_clIS9_S9_SD_PlEESG_SW_SH_SI_SJ_EUlSW_E_NS1_11comp_targetILNS1_3genE4ELNS1_11target_archE910ELNS1_3gpuE8ELNS1_3repE0EEENS1_48merge_mergepath_partition_config_static_selectorELNS0_4arch9wavefront6targetE1EEEvSI_.has_recursion, 0
	.set _ZN7rocprim17ROCPRIM_400000_NS6detail17trampoline_kernelINS0_14default_configENS1_38merge_sort_block_merge_config_selectorIN3c104HalfElEEZZNS1_27merge_sort_block_merge_implIS3_PS6_N6thrust23THRUST_200600_302600_NS10device_ptrIlEEmNSB_4lessIS6_EEEE10hipError_tT0_T1_T2_jT3_P12ihipStream_tbPNSt15iterator_traitsISH_E10value_typeEPNSN_ISI_E10value_typeEPSJ_NS1_7vsmem_tEENKUlT_SH_SI_SJ_E_clIS9_S9_SD_PlEESG_SW_SH_SI_SJ_EUlSW_E_NS1_11comp_targetILNS1_3genE4ELNS1_11target_archE910ELNS1_3gpuE8ELNS1_3repE0EEENS1_48merge_mergepath_partition_config_static_selectorELNS0_4arch9wavefront6targetE1EEEvSI_.has_indirect_call, 0
	.section	.AMDGPU.csdata,"",@progbits
; Kernel info:
; codeLenInByte = 0
; TotalNumSgprs: 4
; NumVgprs: 0
; ScratchSize: 0
; MemoryBound: 0
; FloatMode: 240
; IeeeMode: 1
; LDSByteSize: 0 bytes/workgroup (compile time only)
; SGPRBlocks: 0
; VGPRBlocks: 0
; NumSGPRsForWavesPerEU: 4
; NumVGPRsForWavesPerEU: 1
; Occupancy: 10
; WaveLimiterHint : 0
; COMPUTE_PGM_RSRC2:SCRATCH_EN: 0
; COMPUTE_PGM_RSRC2:USER_SGPR: 6
; COMPUTE_PGM_RSRC2:TRAP_HANDLER: 0
; COMPUTE_PGM_RSRC2:TGID_X_EN: 1
; COMPUTE_PGM_RSRC2:TGID_Y_EN: 0
; COMPUTE_PGM_RSRC2:TGID_Z_EN: 0
; COMPUTE_PGM_RSRC2:TIDIG_COMP_CNT: 0
	.section	.text._ZN7rocprim17ROCPRIM_400000_NS6detail17trampoline_kernelINS0_14default_configENS1_38merge_sort_block_merge_config_selectorIN3c104HalfElEEZZNS1_27merge_sort_block_merge_implIS3_PS6_N6thrust23THRUST_200600_302600_NS10device_ptrIlEEmNSB_4lessIS6_EEEE10hipError_tT0_T1_T2_jT3_P12ihipStream_tbPNSt15iterator_traitsISH_E10value_typeEPNSN_ISI_E10value_typeEPSJ_NS1_7vsmem_tEENKUlT_SH_SI_SJ_E_clIS9_S9_SD_PlEESG_SW_SH_SI_SJ_EUlSW_E_NS1_11comp_targetILNS1_3genE3ELNS1_11target_archE908ELNS1_3gpuE7ELNS1_3repE0EEENS1_48merge_mergepath_partition_config_static_selectorELNS0_4arch9wavefront6targetE1EEEvSI_,"axG",@progbits,_ZN7rocprim17ROCPRIM_400000_NS6detail17trampoline_kernelINS0_14default_configENS1_38merge_sort_block_merge_config_selectorIN3c104HalfElEEZZNS1_27merge_sort_block_merge_implIS3_PS6_N6thrust23THRUST_200600_302600_NS10device_ptrIlEEmNSB_4lessIS6_EEEE10hipError_tT0_T1_T2_jT3_P12ihipStream_tbPNSt15iterator_traitsISH_E10value_typeEPNSN_ISI_E10value_typeEPSJ_NS1_7vsmem_tEENKUlT_SH_SI_SJ_E_clIS9_S9_SD_PlEESG_SW_SH_SI_SJ_EUlSW_E_NS1_11comp_targetILNS1_3genE3ELNS1_11target_archE908ELNS1_3gpuE7ELNS1_3repE0EEENS1_48merge_mergepath_partition_config_static_selectorELNS0_4arch9wavefront6targetE1EEEvSI_,comdat
	.protected	_ZN7rocprim17ROCPRIM_400000_NS6detail17trampoline_kernelINS0_14default_configENS1_38merge_sort_block_merge_config_selectorIN3c104HalfElEEZZNS1_27merge_sort_block_merge_implIS3_PS6_N6thrust23THRUST_200600_302600_NS10device_ptrIlEEmNSB_4lessIS6_EEEE10hipError_tT0_T1_T2_jT3_P12ihipStream_tbPNSt15iterator_traitsISH_E10value_typeEPNSN_ISI_E10value_typeEPSJ_NS1_7vsmem_tEENKUlT_SH_SI_SJ_E_clIS9_S9_SD_PlEESG_SW_SH_SI_SJ_EUlSW_E_NS1_11comp_targetILNS1_3genE3ELNS1_11target_archE908ELNS1_3gpuE7ELNS1_3repE0EEENS1_48merge_mergepath_partition_config_static_selectorELNS0_4arch9wavefront6targetE1EEEvSI_ ; -- Begin function _ZN7rocprim17ROCPRIM_400000_NS6detail17trampoline_kernelINS0_14default_configENS1_38merge_sort_block_merge_config_selectorIN3c104HalfElEEZZNS1_27merge_sort_block_merge_implIS3_PS6_N6thrust23THRUST_200600_302600_NS10device_ptrIlEEmNSB_4lessIS6_EEEE10hipError_tT0_T1_T2_jT3_P12ihipStream_tbPNSt15iterator_traitsISH_E10value_typeEPNSN_ISI_E10value_typeEPSJ_NS1_7vsmem_tEENKUlT_SH_SI_SJ_E_clIS9_S9_SD_PlEESG_SW_SH_SI_SJ_EUlSW_E_NS1_11comp_targetILNS1_3genE3ELNS1_11target_archE908ELNS1_3gpuE7ELNS1_3repE0EEENS1_48merge_mergepath_partition_config_static_selectorELNS0_4arch9wavefront6targetE1EEEvSI_
	.globl	_ZN7rocprim17ROCPRIM_400000_NS6detail17trampoline_kernelINS0_14default_configENS1_38merge_sort_block_merge_config_selectorIN3c104HalfElEEZZNS1_27merge_sort_block_merge_implIS3_PS6_N6thrust23THRUST_200600_302600_NS10device_ptrIlEEmNSB_4lessIS6_EEEE10hipError_tT0_T1_T2_jT3_P12ihipStream_tbPNSt15iterator_traitsISH_E10value_typeEPNSN_ISI_E10value_typeEPSJ_NS1_7vsmem_tEENKUlT_SH_SI_SJ_E_clIS9_S9_SD_PlEESG_SW_SH_SI_SJ_EUlSW_E_NS1_11comp_targetILNS1_3genE3ELNS1_11target_archE908ELNS1_3gpuE7ELNS1_3repE0EEENS1_48merge_mergepath_partition_config_static_selectorELNS0_4arch9wavefront6targetE1EEEvSI_
	.p2align	8
	.type	_ZN7rocprim17ROCPRIM_400000_NS6detail17trampoline_kernelINS0_14default_configENS1_38merge_sort_block_merge_config_selectorIN3c104HalfElEEZZNS1_27merge_sort_block_merge_implIS3_PS6_N6thrust23THRUST_200600_302600_NS10device_ptrIlEEmNSB_4lessIS6_EEEE10hipError_tT0_T1_T2_jT3_P12ihipStream_tbPNSt15iterator_traitsISH_E10value_typeEPNSN_ISI_E10value_typeEPSJ_NS1_7vsmem_tEENKUlT_SH_SI_SJ_E_clIS9_S9_SD_PlEESG_SW_SH_SI_SJ_EUlSW_E_NS1_11comp_targetILNS1_3genE3ELNS1_11target_archE908ELNS1_3gpuE7ELNS1_3repE0EEENS1_48merge_mergepath_partition_config_static_selectorELNS0_4arch9wavefront6targetE1EEEvSI_,@function
_ZN7rocprim17ROCPRIM_400000_NS6detail17trampoline_kernelINS0_14default_configENS1_38merge_sort_block_merge_config_selectorIN3c104HalfElEEZZNS1_27merge_sort_block_merge_implIS3_PS6_N6thrust23THRUST_200600_302600_NS10device_ptrIlEEmNSB_4lessIS6_EEEE10hipError_tT0_T1_T2_jT3_P12ihipStream_tbPNSt15iterator_traitsISH_E10value_typeEPNSN_ISI_E10value_typeEPSJ_NS1_7vsmem_tEENKUlT_SH_SI_SJ_E_clIS9_S9_SD_PlEESG_SW_SH_SI_SJ_EUlSW_E_NS1_11comp_targetILNS1_3genE3ELNS1_11target_archE908ELNS1_3gpuE7ELNS1_3repE0EEENS1_48merge_mergepath_partition_config_static_selectorELNS0_4arch9wavefront6targetE1EEEvSI_: ; @_ZN7rocprim17ROCPRIM_400000_NS6detail17trampoline_kernelINS0_14default_configENS1_38merge_sort_block_merge_config_selectorIN3c104HalfElEEZZNS1_27merge_sort_block_merge_implIS3_PS6_N6thrust23THRUST_200600_302600_NS10device_ptrIlEEmNSB_4lessIS6_EEEE10hipError_tT0_T1_T2_jT3_P12ihipStream_tbPNSt15iterator_traitsISH_E10value_typeEPNSN_ISI_E10value_typeEPSJ_NS1_7vsmem_tEENKUlT_SH_SI_SJ_E_clIS9_S9_SD_PlEESG_SW_SH_SI_SJ_EUlSW_E_NS1_11comp_targetILNS1_3genE3ELNS1_11target_archE908ELNS1_3gpuE7ELNS1_3repE0EEENS1_48merge_mergepath_partition_config_static_selectorELNS0_4arch9wavefront6targetE1EEEvSI_
; %bb.0:
	.section	.rodata,"a",@progbits
	.p2align	6, 0x0
	.amdhsa_kernel _ZN7rocprim17ROCPRIM_400000_NS6detail17trampoline_kernelINS0_14default_configENS1_38merge_sort_block_merge_config_selectorIN3c104HalfElEEZZNS1_27merge_sort_block_merge_implIS3_PS6_N6thrust23THRUST_200600_302600_NS10device_ptrIlEEmNSB_4lessIS6_EEEE10hipError_tT0_T1_T2_jT3_P12ihipStream_tbPNSt15iterator_traitsISH_E10value_typeEPNSN_ISI_E10value_typeEPSJ_NS1_7vsmem_tEENKUlT_SH_SI_SJ_E_clIS9_S9_SD_PlEESG_SW_SH_SI_SJ_EUlSW_E_NS1_11comp_targetILNS1_3genE3ELNS1_11target_archE908ELNS1_3gpuE7ELNS1_3repE0EEENS1_48merge_mergepath_partition_config_static_selectorELNS0_4arch9wavefront6targetE1EEEvSI_
		.amdhsa_group_segment_fixed_size 0
		.amdhsa_private_segment_fixed_size 0
		.amdhsa_kernarg_size 48
		.amdhsa_user_sgpr_count 6
		.amdhsa_user_sgpr_private_segment_buffer 1
		.amdhsa_user_sgpr_dispatch_ptr 0
		.amdhsa_user_sgpr_queue_ptr 0
		.amdhsa_user_sgpr_kernarg_segment_ptr 1
		.amdhsa_user_sgpr_dispatch_id 0
		.amdhsa_user_sgpr_flat_scratch_init 0
		.amdhsa_user_sgpr_private_segment_size 0
		.amdhsa_uses_dynamic_stack 0
		.amdhsa_system_sgpr_private_segment_wavefront_offset 0
		.amdhsa_system_sgpr_workgroup_id_x 1
		.amdhsa_system_sgpr_workgroup_id_y 0
		.amdhsa_system_sgpr_workgroup_id_z 0
		.amdhsa_system_sgpr_workgroup_info 0
		.amdhsa_system_vgpr_workitem_id 0
		.amdhsa_next_free_vgpr 1
		.amdhsa_next_free_sgpr 0
		.amdhsa_reserve_vcc 0
		.amdhsa_reserve_flat_scratch 0
		.amdhsa_float_round_mode_32 0
		.amdhsa_float_round_mode_16_64 0
		.amdhsa_float_denorm_mode_32 3
		.amdhsa_float_denorm_mode_16_64 3
		.amdhsa_dx10_clamp 1
		.amdhsa_ieee_mode 1
		.amdhsa_fp16_overflow 0
		.amdhsa_exception_fp_ieee_invalid_op 0
		.amdhsa_exception_fp_denorm_src 0
		.amdhsa_exception_fp_ieee_div_zero 0
		.amdhsa_exception_fp_ieee_overflow 0
		.amdhsa_exception_fp_ieee_underflow 0
		.amdhsa_exception_fp_ieee_inexact 0
		.amdhsa_exception_int_div_zero 0
	.end_amdhsa_kernel
	.section	.text._ZN7rocprim17ROCPRIM_400000_NS6detail17trampoline_kernelINS0_14default_configENS1_38merge_sort_block_merge_config_selectorIN3c104HalfElEEZZNS1_27merge_sort_block_merge_implIS3_PS6_N6thrust23THRUST_200600_302600_NS10device_ptrIlEEmNSB_4lessIS6_EEEE10hipError_tT0_T1_T2_jT3_P12ihipStream_tbPNSt15iterator_traitsISH_E10value_typeEPNSN_ISI_E10value_typeEPSJ_NS1_7vsmem_tEENKUlT_SH_SI_SJ_E_clIS9_S9_SD_PlEESG_SW_SH_SI_SJ_EUlSW_E_NS1_11comp_targetILNS1_3genE3ELNS1_11target_archE908ELNS1_3gpuE7ELNS1_3repE0EEENS1_48merge_mergepath_partition_config_static_selectorELNS0_4arch9wavefront6targetE1EEEvSI_,"axG",@progbits,_ZN7rocprim17ROCPRIM_400000_NS6detail17trampoline_kernelINS0_14default_configENS1_38merge_sort_block_merge_config_selectorIN3c104HalfElEEZZNS1_27merge_sort_block_merge_implIS3_PS6_N6thrust23THRUST_200600_302600_NS10device_ptrIlEEmNSB_4lessIS6_EEEE10hipError_tT0_T1_T2_jT3_P12ihipStream_tbPNSt15iterator_traitsISH_E10value_typeEPNSN_ISI_E10value_typeEPSJ_NS1_7vsmem_tEENKUlT_SH_SI_SJ_E_clIS9_S9_SD_PlEESG_SW_SH_SI_SJ_EUlSW_E_NS1_11comp_targetILNS1_3genE3ELNS1_11target_archE908ELNS1_3gpuE7ELNS1_3repE0EEENS1_48merge_mergepath_partition_config_static_selectorELNS0_4arch9wavefront6targetE1EEEvSI_,comdat
.Lfunc_end2152:
	.size	_ZN7rocprim17ROCPRIM_400000_NS6detail17trampoline_kernelINS0_14default_configENS1_38merge_sort_block_merge_config_selectorIN3c104HalfElEEZZNS1_27merge_sort_block_merge_implIS3_PS6_N6thrust23THRUST_200600_302600_NS10device_ptrIlEEmNSB_4lessIS6_EEEE10hipError_tT0_T1_T2_jT3_P12ihipStream_tbPNSt15iterator_traitsISH_E10value_typeEPNSN_ISI_E10value_typeEPSJ_NS1_7vsmem_tEENKUlT_SH_SI_SJ_E_clIS9_S9_SD_PlEESG_SW_SH_SI_SJ_EUlSW_E_NS1_11comp_targetILNS1_3genE3ELNS1_11target_archE908ELNS1_3gpuE7ELNS1_3repE0EEENS1_48merge_mergepath_partition_config_static_selectorELNS0_4arch9wavefront6targetE1EEEvSI_, .Lfunc_end2152-_ZN7rocprim17ROCPRIM_400000_NS6detail17trampoline_kernelINS0_14default_configENS1_38merge_sort_block_merge_config_selectorIN3c104HalfElEEZZNS1_27merge_sort_block_merge_implIS3_PS6_N6thrust23THRUST_200600_302600_NS10device_ptrIlEEmNSB_4lessIS6_EEEE10hipError_tT0_T1_T2_jT3_P12ihipStream_tbPNSt15iterator_traitsISH_E10value_typeEPNSN_ISI_E10value_typeEPSJ_NS1_7vsmem_tEENKUlT_SH_SI_SJ_E_clIS9_S9_SD_PlEESG_SW_SH_SI_SJ_EUlSW_E_NS1_11comp_targetILNS1_3genE3ELNS1_11target_archE908ELNS1_3gpuE7ELNS1_3repE0EEENS1_48merge_mergepath_partition_config_static_selectorELNS0_4arch9wavefront6targetE1EEEvSI_
                                        ; -- End function
	.set _ZN7rocprim17ROCPRIM_400000_NS6detail17trampoline_kernelINS0_14default_configENS1_38merge_sort_block_merge_config_selectorIN3c104HalfElEEZZNS1_27merge_sort_block_merge_implIS3_PS6_N6thrust23THRUST_200600_302600_NS10device_ptrIlEEmNSB_4lessIS6_EEEE10hipError_tT0_T1_T2_jT3_P12ihipStream_tbPNSt15iterator_traitsISH_E10value_typeEPNSN_ISI_E10value_typeEPSJ_NS1_7vsmem_tEENKUlT_SH_SI_SJ_E_clIS9_S9_SD_PlEESG_SW_SH_SI_SJ_EUlSW_E_NS1_11comp_targetILNS1_3genE3ELNS1_11target_archE908ELNS1_3gpuE7ELNS1_3repE0EEENS1_48merge_mergepath_partition_config_static_selectorELNS0_4arch9wavefront6targetE1EEEvSI_.num_vgpr, 0
	.set _ZN7rocprim17ROCPRIM_400000_NS6detail17trampoline_kernelINS0_14default_configENS1_38merge_sort_block_merge_config_selectorIN3c104HalfElEEZZNS1_27merge_sort_block_merge_implIS3_PS6_N6thrust23THRUST_200600_302600_NS10device_ptrIlEEmNSB_4lessIS6_EEEE10hipError_tT0_T1_T2_jT3_P12ihipStream_tbPNSt15iterator_traitsISH_E10value_typeEPNSN_ISI_E10value_typeEPSJ_NS1_7vsmem_tEENKUlT_SH_SI_SJ_E_clIS9_S9_SD_PlEESG_SW_SH_SI_SJ_EUlSW_E_NS1_11comp_targetILNS1_3genE3ELNS1_11target_archE908ELNS1_3gpuE7ELNS1_3repE0EEENS1_48merge_mergepath_partition_config_static_selectorELNS0_4arch9wavefront6targetE1EEEvSI_.num_agpr, 0
	.set _ZN7rocprim17ROCPRIM_400000_NS6detail17trampoline_kernelINS0_14default_configENS1_38merge_sort_block_merge_config_selectorIN3c104HalfElEEZZNS1_27merge_sort_block_merge_implIS3_PS6_N6thrust23THRUST_200600_302600_NS10device_ptrIlEEmNSB_4lessIS6_EEEE10hipError_tT0_T1_T2_jT3_P12ihipStream_tbPNSt15iterator_traitsISH_E10value_typeEPNSN_ISI_E10value_typeEPSJ_NS1_7vsmem_tEENKUlT_SH_SI_SJ_E_clIS9_S9_SD_PlEESG_SW_SH_SI_SJ_EUlSW_E_NS1_11comp_targetILNS1_3genE3ELNS1_11target_archE908ELNS1_3gpuE7ELNS1_3repE0EEENS1_48merge_mergepath_partition_config_static_selectorELNS0_4arch9wavefront6targetE1EEEvSI_.numbered_sgpr, 0
	.set _ZN7rocprim17ROCPRIM_400000_NS6detail17trampoline_kernelINS0_14default_configENS1_38merge_sort_block_merge_config_selectorIN3c104HalfElEEZZNS1_27merge_sort_block_merge_implIS3_PS6_N6thrust23THRUST_200600_302600_NS10device_ptrIlEEmNSB_4lessIS6_EEEE10hipError_tT0_T1_T2_jT3_P12ihipStream_tbPNSt15iterator_traitsISH_E10value_typeEPNSN_ISI_E10value_typeEPSJ_NS1_7vsmem_tEENKUlT_SH_SI_SJ_E_clIS9_S9_SD_PlEESG_SW_SH_SI_SJ_EUlSW_E_NS1_11comp_targetILNS1_3genE3ELNS1_11target_archE908ELNS1_3gpuE7ELNS1_3repE0EEENS1_48merge_mergepath_partition_config_static_selectorELNS0_4arch9wavefront6targetE1EEEvSI_.num_named_barrier, 0
	.set _ZN7rocprim17ROCPRIM_400000_NS6detail17trampoline_kernelINS0_14default_configENS1_38merge_sort_block_merge_config_selectorIN3c104HalfElEEZZNS1_27merge_sort_block_merge_implIS3_PS6_N6thrust23THRUST_200600_302600_NS10device_ptrIlEEmNSB_4lessIS6_EEEE10hipError_tT0_T1_T2_jT3_P12ihipStream_tbPNSt15iterator_traitsISH_E10value_typeEPNSN_ISI_E10value_typeEPSJ_NS1_7vsmem_tEENKUlT_SH_SI_SJ_E_clIS9_S9_SD_PlEESG_SW_SH_SI_SJ_EUlSW_E_NS1_11comp_targetILNS1_3genE3ELNS1_11target_archE908ELNS1_3gpuE7ELNS1_3repE0EEENS1_48merge_mergepath_partition_config_static_selectorELNS0_4arch9wavefront6targetE1EEEvSI_.private_seg_size, 0
	.set _ZN7rocprim17ROCPRIM_400000_NS6detail17trampoline_kernelINS0_14default_configENS1_38merge_sort_block_merge_config_selectorIN3c104HalfElEEZZNS1_27merge_sort_block_merge_implIS3_PS6_N6thrust23THRUST_200600_302600_NS10device_ptrIlEEmNSB_4lessIS6_EEEE10hipError_tT0_T1_T2_jT3_P12ihipStream_tbPNSt15iterator_traitsISH_E10value_typeEPNSN_ISI_E10value_typeEPSJ_NS1_7vsmem_tEENKUlT_SH_SI_SJ_E_clIS9_S9_SD_PlEESG_SW_SH_SI_SJ_EUlSW_E_NS1_11comp_targetILNS1_3genE3ELNS1_11target_archE908ELNS1_3gpuE7ELNS1_3repE0EEENS1_48merge_mergepath_partition_config_static_selectorELNS0_4arch9wavefront6targetE1EEEvSI_.uses_vcc, 0
	.set _ZN7rocprim17ROCPRIM_400000_NS6detail17trampoline_kernelINS0_14default_configENS1_38merge_sort_block_merge_config_selectorIN3c104HalfElEEZZNS1_27merge_sort_block_merge_implIS3_PS6_N6thrust23THRUST_200600_302600_NS10device_ptrIlEEmNSB_4lessIS6_EEEE10hipError_tT0_T1_T2_jT3_P12ihipStream_tbPNSt15iterator_traitsISH_E10value_typeEPNSN_ISI_E10value_typeEPSJ_NS1_7vsmem_tEENKUlT_SH_SI_SJ_E_clIS9_S9_SD_PlEESG_SW_SH_SI_SJ_EUlSW_E_NS1_11comp_targetILNS1_3genE3ELNS1_11target_archE908ELNS1_3gpuE7ELNS1_3repE0EEENS1_48merge_mergepath_partition_config_static_selectorELNS0_4arch9wavefront6targetE1EEEvSI_.uses_flat_scratch, 0
	.set _ZN7rocprim17ROCPRIM_400000_NS6detail17trampoline_kernelINS0_14default_configENS1_38merge_sort_block_merge_config_selectorIN3c104HalfElEEZZNS1_27merge_sort_block_merge_implIS3_PS6_N6thrust23THRUST_200600_302600_NS10device_ptrIlEEmNSB_4lessIS6_EEEE10hipError_tT0_T1_T2_jT3_P12ihipStream_tbPNSt15iterator_traitsISH_E10value_typeEPNSN_ISI_E10value_typeEPSJ_NS1_7vsmem_tEENKUlT_SH_SI_SJ_E_clIS9_S9_SD_PlEESG_SW_SH_SI_SJ_EUlSW_E_NS1_11comp_targetILNS1_3genE3ELNS1_11target_archE908ELNS1_3gpuE7ELNS1_3repE0EEENS1_48merge_mergepath_partition_config_static_selectorELNS0_4arch9wavefront6targetE1EEEvSI_.has_dyn_sized_stack, 0
	.set _ZN7rocprim17ROCPRIM_400000_NS6detail17trampoline_kernelINS0_14default_configENS1_38merge_sort_block_merge_config_selectorIN3c104HalfElEEZZNS1_27merge_sort_block_merge_implIS3_PS6_N6thrust23THRUST_200600_302600_NS10device_ptrIlEEmNSB_4lessIS6_EEEE10hipError_tT0_T1_T2_jT3_P12ihipStream_tbPNSt15iterator_traitsISH_E10value_typeEPNSN_ISI_E10value_typeEPSJ_NS1_7vsmem_tEENKUlT_SH_SI_SJ_E_clIS9_S9_SD_PlEESG_SW_SH_SI_SJ_EUlSW_E_NS1_11comp_targetILNS1_3genE3ELNS1_11target_archE908ELNS1_3gpuE7ELNS1_3repE0EEENS1_48merge_mergepath_partition_config_static_selectorELNS0_4arch9wavefront6targetE1EEEvSI_.has_recursion, 0
	.set _ZN7rocprim17ROCPRIM_400000_NS6detail17trampoline_kernelINS0_14default_configENS1_38merge_sort_block_merge_config_selectorIN3c104HalfElEEZZNS1_27merge_sort_block_merge_implIS3_PS6_N6thrust23THRUST_200600_302600_NS10device_ptrIlEEmNSB_4lessIS6_EEEE10hipError_tT0_T1_T2_jT3_P12ihipStream_tbPNSt15iterator_traitsISH_E10value_typeEPNSN_ISI_E10value_typeEPSJ_NS1_7vsmem_tEENKUlT_SH_SI_SJ_E_clIS9_S9_SD_PlEESG_SW_SH_SI_SJ_EUlSW_E_NS1_11comp_targetILNS1_3genE3ELNS1_11target_archE908ELNS1_3gpuE7ELNS1_3repE0EEENS1_48merge_mergepath_partition_config_static_selectorELNS0_4arch9wavefront6targetE1EEEvSI_.has_indirect_call, 0
	.section	.AMDGPU.csdata,"",@progbits
; Kernel info:
; codeLenInByte = 0
; TotalNumSgprs: 4
; NumVgprs: 0
; ScratchSize: 0
; MemoryBound: 0
; FloatMode: 240
; IeeeMode: 1
; LDSByteSize: 0 bytes/workgroup (compile time only)
; SGPRBlocks: 0
; VGPRBlocks: 0
; NumSGPRsForWavesPerEU: 4
; NumVGPRsForWavesPerEU: 1
; Occupancy: 10
; WaveLimiterHint : 0
; COMPUTE_PGM_RSRC2:SCRATCH_EN: 0
; COMPUTE_PGM_RSRC2:USER_SGPR: 6
; COMPUTE_PGM_RSRC2:TRAP_HANDLER: 0
; COMPUTE_PGM_RSRC2:TGID_X_EN: 1
; COMPUTE_PGM_RSRC2:TGID_Y_EN: 0
; COMPUTE_PGM_RSRC2:TGID_Z_EN: 0
; COMPUTE_PGM_RSRC2:TIDIG_COMP_CNT: 0
	.section	.text._ZN7rocprim17ROCPRIM_400000_NS6detail17trampoline_kernelINS0_14default_configENS1_38merge_sort_block_merge_config_selectorIN3c104HalfElEEZZNS1_27merge_sort_block_merge_implIS3_PS6_N6thrust23THRUST_200600_302600_NS10device_ptrIlEEmNSB_4lessIS6_EEEE10hipError_tT0_T1_T2_jT3_P12ihipStream_tbPNSt15iterator_traitsISH_E10value_typeEPNSN_ISI_E10value_typeEPSJ_NS1_7vsmem_tEENKUlT_SH_SI_SJ_E_clIS9_S9_SD_PlEESG_SW_SH_SI_SJ_EUlSW_E_NS1_11comp_targetILNS1_3genE2ELNS1_11target_archE906ELNS1_3gpuE6ELNS1_3repE0EEENS1_48merge_mergepath_partition_config_static_selectorELNS0_4arch9wavefront6targetE1EEEvSI_,"axG",@progbits,_ZN7rocprim17ROCPRIM_400000_NS6detail17trampoline_kernelINS0_14default_configENS1_38merge_sort_block_merge_config_selectorIN3c104HalfElEEZZNS1_27merge_sort_block_merge_implIS3_PS6_N6thrust23THRUST_200600_302600_NS10device_ptrIlEEmNSB_4lessIS6_EEEE10hipError_tT0_T1_T2_jT3_P12ihipStream_tbPNSt15iterator_traitsISH_E10value_typeEPNSN_ISI_E10value_typeEPSJ_NS1_7vsmem_tEENKUlT_SH_SI_SJ_E_clIS9_S9_SD_PlEESG_SW_SH_SI_SJ_EUlSW_E_NS1_11comp_targetILNS1_3genE2ELNS1_11target_archE906ELNS1_3gpuE6ELNS1_3repE0EEENS1_48merge_mergepath_partition_config_static_selectorELNS0_4arch9wavefront6targetE1EEEvSI_,comdat
	.protected	_ZN7rocprim17ROCPRIM_400000_NS6detail17trampoline_kernelINS0_14default_configENS1_38merge_sort_block_merge_config_selectorIN3c104HalfElEEZZNS1_27merge_sort_block_merge_implIS3_PS6_N6thrust23THRUST_200600_302600_NS10device_ptrIlEEmNSB_4lessIS6_EEEE10hipError_tT0_T1_T2_jT3_P12ihipStream_tbPNSt15iterator_traitsISH_E10value_typeEPNSN_ISI_E10value_typeEPSJ_NS1_7vsmem_tEENKUlT_SH_SI_SJ_E_clIS9_S9_SD_PlEESG_SW_SH_SI_SJ_EUlSW_E_NS1_11comp_targetILNS1_3genE2ELNS1_11target_archE906ELNS1_3gpuE6ELNS1_3repE0EEENS1_48merge_mergepath_partition_config_static_selectorELNS0_4arch9wavefront6targetE1EEEvSI_ ; -- Begin function _ZN7rocprim17ROCPRIM_400000_NS6detail17trampoline_kernelINS0_14default_configENS1_38merge_sort_block_merge_config_selectorIN3c104HalfElEEZZNS1_27merge_sort_block_merge_implIS3_PS6_N6thrust23THRUST_200600_302600_NS10device_ptrIlEEmNSB_4lessIS6_EEEE10hipError_tT0_T1_T2_jT3_P12ihipStream_tbPNSt15iterator_traitsISH_E10value_typeEPNSN_ISI_E10value_typeEPSJ_NS1_7vsmem_tEENKUlT_SH_SI_SJ_E_clIS9_S9_SD_PlEESG_SW_SH_SI_SJ_EUlSW_E_NS1_11comp_targetILNS1_3genE2ELNS1_11target_archE906ELNS1_3gpuE6ELNS1_3repE0EEENS1_48merge_mergepath_partition_config_static_selectorELNS0_4arch9wavefront6targetE1EEEvSI_
	.globl	_ZN7rocprim17ROCPRIM_400000_NS6detail17trampoline_kernelINS0_14default_configENS1_38merge_sort_block_merge_config_selectorIN3c104HalfElEEZZNS1_27merge_sort_block_merge_implIS3_PS6_N6thrust23THRUST_200600_302600_NS10device_ptrIlEEmNSB_4lessIS6_EEEE10hipError_tT0_T1_T2_jT3_P12ihipStream_tbPNSt15iterator_traitsISH_E10value_typeEPNSN_ISI_E10value_typeEPSJ_NS1_7vsmem_tEENKUlT_SH_SI_SJ_E_clIS9_S9_SD_PlEESG_SW_SH_SI_SJ_EUlSW_E_NS1_11comp_targetILNS1_3genE2ELNS1_11target_archE906ELNS1_3gpuE6ELNS1_3repE0EEENS1_48merge_mergepath_partition_config_static_selectorELNS0_4arch9wavefront6targetE1EEEvSI_
	.p2align	8
	.type	_ZN7rocprim17ROCPRIM_400000_NS6detail17trampoline_kernelINS0_14default_configENS1_38merge_sort_block_merge_config_selectorIN3c104HalfElEEZZNS1_27merge_sort_block_merge_implIS3_PS6_N6thrust23THRUST_200600_302600_NS10device_ptrIlEEmNSB_4lessIS6_EEEE10hipError_tT0_T1_T2_jT3_P12ihipStream_tbPNSt15iterator_traitsISH_E10value_typeEPNSN_ISI_E10value_typeEPSJ_NS1_7vsmem_tEENKUlT_SH_SI_SJ_E_clIS9_S9_SD_PlEESG_SW_SH_SI_SJ_EUlSW_E_NS1_11comp_targetILNS1_3genE2ELNS1_11target_archE906ELNS1_3gpuE6ELNS1_3repE0EEENS1_48merge_mergepath_partition_config_static_selectorELNS0_4arch9wavefront6targetE1EEEvSI_,@function
_ZN7rocprim17ROCPRIM_400000_NS6detail17trampoline_kernelINS0_14default_configENS1_38merge_sort_block_merge_config_selectorIN3c104HalfElEEZZNS1_27merge_sort_block_merge_implIS3_PS6_N6thrust23THRUST_200600_302600_NS10device_ptrIlEEmNSB_4lessIS6_EEEE10hipError_tT0_T1_T2_jT3_P12ihipStream_tbPNSt15iterator_traitsISH_E10value_typeEPNSN_ISI_E10value_typeEPSJ_NS1_7vsmem_tEENKUlT_SH_SI_SJ_E_clIS9_S9_SD_PlEESG_SW_SH_SI_SJ_EUlSW_E_NS1_11comp_targetILNS1_3genE2ELNS1_11target_archE906ELNS1_3gpuE6ELNS1_3repE0EEENS1_48merge_mergepath_partition_config_static_selectorELNS0_4arch9wavefront6targetE1EEEvSI_: ; @_ZN7rocprim17ROCPRIM_400000_NS6detail17trampoline_kernelINS0_14default_configENS1_38merge_sort_block_merge_config_selectorIN3c104HalfElEEZZNS1_27merge_sort_block_merge_implIS3_PS6_N6thrust23THRUST_200600_302600_NS10device_ptrIlEEmNSB_4lessIS6_EEEE10hipError_tT0_T1_T2_jT3_P12ihipStream_tbPNSt15iterator_traitsISH_E10value_typeEPNSN_ISI_E10value_typeEPSJ_NS1_7vsmem_tEENKUlT_SH_SI_SJ_E_clIS9_S9_SD_PlEESG_SW_SH_SI_SJ_EUlSW_E_NS1_11comp_targetILNS1_3genE2ELNS1_11target_archE906ELNS1_3gpuE6ELNS1_3repE0EEENS1_48merge_mergepath_partition_config_static_selectorELNS0_4arch9wavefront6targetE1EEEvSI_
; %bb.0:
	s_load_dword s0, s[4:5], 0x0
	v_lshl_or_b32 v0, s6, 7, v0
	s_waitcnt lgkmcnt(0)
	v_cmp_gt_u32_e32 vcc, s0, v0
	s_and_saveexec_b64 s[0:1], vcc
	s_cbranch_execz .LBB2153_6
; %bb.1:
	s_load_dwordx4 s[0:3], s[4:5], 0x8
	s_load_dwordx2 s[6:7], s[4:5], 0x28
	v_mov_b32_e32 v3, 0
	s_waitcnt lgkmcnt(0)
	s_lshr_b64 s[8:9], s[0:1], 9
	s_and_b32 s8, s8, -2
	s_add_i32 s9, s8, -1
	s_sub_i32 s8, 0, s8
	v_and_b32_e32 v2, s8, v0
	v_lshlrev_b64 v[4:5], 10, v[2:3]
	v_mov_b32_e32 v6, s3
	v_cmp_lt_u64_e32 vcc, s[2:3], v[4:5]
	v_mov_b32_e32 v10, s2
	v_cndmask_b32_e32 v2, v5, v6, vcc
	v_cndmask_b32_e32 v1, v4, v10, vcc
	v_mov_b32_e32 v7, s1
	v_add_co_u32_e32 v4, vcc, s0, v4
	v_addc_co_u32_e32 v5, vcc, v5, v7, vcc
	v_cmp_lt_u64_e32 vcc, s[2:3], v[4:5]
	v_and_b32_e32 v9, s9, v0
	v_cndmask_b32_e32 v7, v4, v10, vcc
	v_cndmask_b32_e32 v8, v5, v6, vcc
	v_mov_b32_e32 v5, s1
	v_add_co_u32_e32 v4, vcc, s0, v7
	v_addc_co_u32_e32 v5, vcc, v8, v5, vcc
	v_cmp_lt_u64_e32 vcc, s[2:3], v[4:5]
	v_cndmask_b32_e32 v12, v4, v10, vcc
	v_mov_b32_e32 v10, v3
	v_cndmask_b32_e32 v11, v5, v6, vcc
	v_lshlrev_b64 v[3:4], 10, v[9:10]
	v_sub_co_u32_e32 v5, vcc, v12, v1
	v_subb_co_u32_e32 v6, vcc, v11, v2, vcc
	v_cmp_lt_u64_e32 vcc, v[5:6], v[3:4]
	v_cndmask_b32_e32 v10, v4, v6, vcc
	v_cndmask_b32_e32 v9, v3, v5, vcc
	v_sub_co_u32_e32 v5, vcc, v7, v1
	v_subb_co_u32_e32 v6, vcc, v8, v2, vcc
	v_sub_co_u32_e32 v3, vcc, v7, v12
	v_subb_co_u32_e32 v4, vcc, v8, v11, vcc
	v_add_co_u32_e32 v3, vcc, v9, v3
	v_addc_co_u32_e32 v4, vcc, v10, v4, vcc
	v_cmp_gt_u64_e32 vcc, v[3:4], v[9:10]
	v_cndmask_b32_e64 v4, v4, 0, vcc
	v_cndmask_b32_e64 v3, v3, 0, vcc
	v_cmp_lt_u64_e32 vcc, v[9:10], v[5:6]
	v_cndmask_b32_e32 v6, v6, v10, vcc
	v_cndmask_b32_e32 v5, v5, v9, vcc
	v_cmp_lt_u64_e32 vcc, v[3:4], v[5:6]
	s_and_saveexec_b64 s[0:1], vcc
	s_cbranch_execz .LBB2153_5
; %bb.2:
	s_load_dwordx2 s[2:3], s[4:5], 0x18
	v_lshlrev_b64 v[11:12], 1, v[1:2]
	v_lshlrev_b64 v[7:8], 1, v[7:8]
	s_waitcnt lgkmcnt(0)
	v_mov_b32_e32 v13, s3
	v_add_co_u32_e32 v11, vcc, s2, v11
	v_addc_co_u32_e32 v12, vcc, v13, v12, vcc
	v_add_co_u32_e32 v14, vcc, s2, v7
	v_addc_co_u32_e32 v13, vcc, v13, v8, vcc
	v_lshlrev_b64 v[7:8], 1, v[9:10]
	s_mov_b64 s[2:3], 0
	v_add_co_u32_e32 v7, vcc, v14, v7
	v_addc_co_u32_e32 v8, vcc, v13, v8, vcc
.LBB2153_3:                             ; =>This Inner Loop Header: Depth=1
	v_add_co_u32_e32 v9, vcc, v5, v3
	v_addc_co_u32_e32 v10, vcc, v6, v4, vcc
	v_and_b32_e32 v15, -2, v9
	v_add_co_u32_e32 v13, vcc, v11, v15
	v_addc_co_u32_e32 v14, vcc, v12, v10, vcc
	v_xor_b32_e32 v15, -2, v15
	v_xor_b32_e32 v16, -1, v10
	v_add_co_u32_e32 v15, vcc, v7, v15
	v_addc_co_u32_e32 v16, vcc, v8, v16, vcc
	global_load_ushort v17, v[13:14], off
	global_load_ushort v18, v[15:16], off
	v_lshrrev_b64 v[9:10], 1, v[9:10]
	v_add_co_u32_e32 v13, vcc, 1, v9
	v_addc_co_u32_e32 v14, vcc, 0, v10, vcc
	s_waitcnt vmcnt(0)
	v_cmp_lt_f16_e32 vcc, v18, v17
	v_cndmask_b32_e32 v6, v6, v10, vcc
	v_cndmask_b32_e32 v5, v5, v9, vcc
	;; [unrolled: 1-line block ×4, first 2 shown]
	v_cmp_ge_u64_e32 vcc, v[3:4], v[5:6]
	s_or_b64 s[2:3], vcc, s[2:3]
	s_andn2_b64 exec, exec, s[2:3]
	s_cbranch_execnz .LBB2153_3
; %bb.4:
	s_or_b64 exec, exec, s[2:3]
.LBB2153_5:
	s_or_b64 exec, exec, s[0:1]
	v_add_co_u32_e32 v3, vcc, v3, v1
	v_mov_b32_e32 v1, 0
	v_lshlrev_b64 v[0:1], 3, v[0:1]
	v_addc_co_u32_e32 v4, vcc, v4, v2, vcc
	v_mov_b32_e32 v2, s7
	v_add_co_u32_e32 v0, vcc, s6, v0
	v_addc_co_u32_e32 v1, vcc, v2, v1, vcc
	global_store_dwordx2 v[0:1], v[3:4], off
.LBB2153_6:
	s_endpgm
	.section	.rodata,"a",@progbits
	.p2align	6, 0x0
	.amdhsa_kernel _ZN7rocprim17ROCPRIM_400000_NS6detail17trampoline_kernelINS0_14default_configENS1_38merge_sort_block_merge_config_selectorIN3c104HalfElEEZZNS1_27merge_sort_block_merge_implIS3_PS6_N6thrust23THRUST_200600_302600_NS10device_ptrIlEEmNSB_4lessIS6_EEEE10hipError_tT0_T1_T2_jT3_P12ihipStream_tbPNSt15iterator_traitsISH_E10value_typeEPNSN_ISI_E10value_typeEPSJ_NS1_7vsmem_tEENKUlT_SH_SI_SJ_E_clIS9_S9_SD_PlEESG_SW_SH_SI_SJ_EUlSW_E_NS1_11comp_targetILNS1_3genE2ELNS1_11target_archE906ELNS1_3gpuE6ELNS1_3repE0EEENS1_48merge_mergepath_partition_config_static_selectorELNS0_4arch9wavefront6targetE1EEEvSI_
		.amdhsa_group_segment_fixed_size 0
		.amdhsa_private_segment_fixed_size 0
		.amdhsa_kernarg_size 48
		.amdhsa_user_sgpr_count 6
		.amdhsa_user_sgpr_private_segment_buffer 1
		.amdhsa_user_sgpr_dispatch_ptr 0
		.amdhsa_user_sgpr_queue_ptr 0
		.amdhsa_user_sgpr_kernarg_segment_ptr 1
		.amdhsa_user_sgpr_dispatch_id 0
		.amdhsa_user_sgpr_flat_scratch_init 0
		.amdhsa_user_sgpr_private_segment_size 0
		.amdhsa_uses_dynamic_stack 0
		.amdhsa_system_sgpr_private_segment_wavefront_offset 0
		.amdhsa_system_sgpr_workgroup_id_x 1
		.amdhsa_system_sgpr_workgroup_id_y 0
		.amdhsa_system_sgpr_workgroup_id_z 0
		.amdhsa_system_sgpr_workgroup_info 0
		.amdhsa_system_vgpr_workitem_id 0
		.amdhsa_next_free_vgpr 19
		.amdhsa_next_free_sgpr 10
		.amdhsa_reserve_vcc 1
		.amdhsa_reserve_flat_scratch 0
		.amdhsa_float_round_mode_32 0
		.amdhsa_float_round_mode_16_64 0
		.amdhsa_float_denorm_mode_32 3
		.amdhsa_float_denorm_mode_16_64 3
		.amdhsa_dx10_clamp 1
		.amdhsa_ieee_mode 1
		.amdhsa_fp16_overflow 0
		.amdhsa_exception_fp_ieee_invalid_op 0
		.amdhsa_exception_fp_denorm_src 0
		.amdhsa_exception_fp_ieee_div_zero 0
		.amdhsa_exception_fp_ieee_overflow 0
		.amdhsa_exception_fp_ieee_underflow 0
		.amdhsa_exception_fp_ieee_inexact 0
		.amdhsa_exception_int_div_zero 0
	.end_amdhsa_kernel
	.section	.text._ZN7rocprim17ROCPRIM_400000_NS6detail17trampoline_kernelINS0_14default_configENS1_38merge_sort_block_merge_config_selectorIN3c104HalfElEEZZNS1_27merge_sort_block_merge_implIS3_PS6_N6thrust23THRUST_200600_302600_NS10device_ptrIlEEmNSB_4lessIS6_EEEE10hipError_tT0_T1_T2_jT3_P12ihipStream_tbPNSt15iterator_traitsISH_E10value_typeEPNSN_ISI_E10value_typeEPSJ_NS1_7vsmem_tEENKUlT_SH_SI_SJ_E_clIS9_S9_SD_PlEESG_SW_SH_SI_SJ_EUlSW_E_NS1_11comp_targetILNS1_3genE2ELNS1_11target_archE906ELNS1_3gpuE6ELNS1_3repE0EEENS1_48merge_mergepath_partition_config_static_selectorELNS0_4arch9wavefront6targetE1EEEvSI_,"axG",@progbits,_ZN7rocprim17ROCPRIM_400000_NS6detail17trampoline_kernelINS0_14default_configENS1_38merge_sort_block_merge_config_selectorIN3c104HalfElEEZZNS1_27merge_sort_block_merge_implIS3_PS6_N6thrust23THRUST_200600_302600_NS10device_ptrIlEEmNSB_4lessIS6_EEEE10hipError_tT0_T1_T2_jT3_P12ihipStream_tbPNSt15iterator_traitsISH_E10value_typeEPNSN_ISI_E10value_typeEPSJ_NS1_7vsmem_tEENKUlT_SH_SI_SJ_E_clIS9_S9_SD_PlEESG_SW_SH_SI_SJ_EUlSW_E_NS1_11comp_targetILNS1_3genE2ELNS1_11target_archE906ELNS1_3gpuE6ELNS1_3repE0EEENS1_48merge_mergepath_partition_config_static_selectorELNS0_4arch9wavefront6targetE1EEEvSI_,comdat
.Lfunc_end2153:
	.size	_ZN7rocprim17ROCPRIM_400000_NS6detail17trampoline_kernelINS0_14default_configENS1_38merge_sort_block_merge_config_selectorIN3c104HalfElEEZZNS1_27merge_sort_block_merge_implIS3_PS6_N6thrust23THRUST_200600_302600_NS10device_ptrIlEEmNSB_4lessIS6_EEEE10hipError_tT0_T1_T2_jT3_P12ihipStream_tbPNSt15iterator_traitsISH_E10value_typeEPNSN_ISI_E10value_typeEPSJ_NS1_7vsmem_tEENKUlT_SH_SI_SJ_E_clIS9_S9_SD_PlEESG_SW_SH_SI_SJ_EUlSW_E_NS1_11comp_targetILNS1_3genE2ELNS1_11target_archE906ELNS1_3gpuE6ELNS1_3repE0EEENS1_48merge_mergepath_partition_config_static_selectorELNS0_4arch9wavefront6targetE1EEEvSI_, .Lfunc_end2153-_ZN7rocprim17ROCPRIM_400000_NS6detail17trampoline_kernelINS0_14default_configENS1_38merge_sort_block_merge_config_selectorIN3c104HalfElEEZZNS1_27merge_sort_block_merge_implIS3_PS6_N6thrust23THRUST_200600_302600_NS10device_ptrIlEEmNSB_4lessIS6_EEEE10hipError_tT0_T1_T2_jT3_P12ihipStream_tbPNSt15iterator_traitsISH_E10value_typeEPNSN_ISI_E10value_typeEPSJ_NS1_7vsmem_tEENKUlT_SH_SI_SJ_E_clIS9_S9_SD_PlEESG_SW_SH_SI_SJ_EUlSW_E_NS1_11comp_targetILNS1_3genE2ELNS1_11target_archE906ELNS1_3gpuE6ELNS1_3repE0EEENS1_48merge_mergepath_partition_config_static_selectorELNS0_4arch9wavefront6targetE1EEEvSI_
                                        ; -- End function
	.set _ZN7rocprim17ROCPRIM_400000_NS6detail17trampoline_kernelINS0_14default_configENS1_38merge_sort_block_merge_config_selectorIN3c104HalfElEEZZNS1_27merge_sort_block_merge_implIS3_PS6_N6thrust23THRUST_200600_302600_NS10device_ptrIlEEmNSB_4lessIS6_EEEE10hipError_tT0_T1_T2_jT3_P12ihipStream_tbPNSt15iterator_traitsISH_E10value_typeEPNSN_ISI_E10value_typeEPSJ_NS1_7vsmem_tEENKUlT_SH_SI_SJ_E_clIS9_S9_SD_PlEESG_SW_SH_SI_SJ_EUlSW_E_NS1_11comp_targetILNS1_3genE2ELNS1_11target_archE906ELNS1_3gpuE6ELNS1_3repE0EEENS1_48merge_mergepath_partition_config_static_selectorELNS0_4arch9wavefront6targetE1EEEvSI_.num_vgpr, 19
	.set _ZN7rocprim17ROCPRIM_400000_NS6detail17trampoline_kernelINS0_14default_configENS1_38merge_sort_block_merge_config_selectorIN3c104HalfElEEZZNS1_27merge_sort_block_merge_implIS3_PS6_N6thrust23THRUST_200600_302600_NS10device_ptrIlEEmNSB_4lessIS6_EEEE10hipError_tT0_T1_T2_jT3_P12ihipStream_tbPNSt15iterator_traitsISH_E10value_typeEPNSN_ISI_E10value_typeEPSJ_NS1_7vsmem_tEENKUlT_SH_SI_SJ_E_clIS9_S9_SD_PlEESG_SW_SH_SI_SJ_EUlSW_E_NS1_11comp_targetILNS1_3genE2ELNS1_11target_archE906ELNS1_3gpuE6ELNS1_3repE0EEENS1_48merge_mergepath_partition_config_static_selectorELNS0_4arch9wavefront6targetE1EEEvSI_.num_agpr, 0
	.set _ZN7rocprim17ROCPRIM_400000_NS6detail17trampoline_kernelINS0_14default_configENS1_38merge_sort_block_merge_config_selectorIN3c104HalfElEEZZNS1_27merge_sort_block_merge_implIS3_PS6_N6thrust23THRUST_200600_302600_NS10device_ptrIlEEmNSB_4lessIS6_EEEE10hipError_tT0_T1_T2_jT3_P12ihipStream_tbPNSt15iterator_traitsISH_E10value_typeEPNSN_ISI_E10value_typeEPSJ_NS1_7vsmem_tEENKUlT_SH_SI_SJ_E_clIS9_S9_SD_PlEESG_SW_SH_SI_SJ_EUlSW_E_NS1_11comp_targetILNS1_3genE2ELNS1_11target_archE906ELNS1_3gpuE6ELNS1_3repE0EEENS1_48merge_mergepath_partition_config_static_selectorELNS0_4arch9wavefront6targetE1EEEvSI_.numbered_sgpr, 10
	.set _ZN7rocprim17ROCPRIM_400000_NS6detail17trampoline_kernelINS0_14default_configENS1_38merge_sort_block_merge_config_selectorIN3c104HalfElEEZZNS1_27merge_sort_block_merge_implIS3_PS6_N6thrust23THRUST_200600_302600_NS10device_ptrIlEEmNSB_4lessIS6_EEEE10hipError_tT0_T1_T2_jT3_P12ihipStream_tbPNSt15iterator_traitsISH_E10value_typeEPNSN_ISI_E10value_typeEPSJ_NS1_7vsmem_tEENKUlT_SH_SI_SJ_E_clIS9_S9_SD_PlEESG_SW_SH_SI_SJ_EUlSW_E_NS1_11comp_targetILNS1_3genE2ELNS1_11target_archE906ELNS1_3gpuE6ELNS1_3repE0EEENS1_48merge_mergepath_partition_config_static_selectorELNS0_4arch9wavefront6targetE1EEEvSI_.num_named_barrier, 0
	.set _ZN7rocprim17ROCPRIM_400000_NS6detail17trampoline_kernelINS0_14default_configENS1_38merge_sort_block_merge_config_selectorIN3c104HalfElEEZZNS1_27merge_sort_block_merge_implIS3_PS6_N6thrust23THRUST_200600_302600_NS10device_ptrIlEEmNSB_4lessIS6_EEEE10hipError_tT0_T1_T2_jT3_P12ihipStream_tbPNSt15iterator_traitsISH_E10value_typeEPNSN_ISI_E10value_typeEPSJ_NS1_7vsmem_tEENKUlT_SH_SI_SJ_E_clIS9_S9_SD_PlEESG_SW_SH_SI_SJ_EUlSW_E_NS1_11comp_targetILNS1_3genE2ELNS1_11target_archE906ELNS1_3gpuE6ELNS1_3repE0EEENS1_48merge_mergepath_partition_config_static_selectorELNS0_4arch9wavefront6targetE1EEEvSI_.private_seg_size, 0
	.set _ZN7rocprim17ROCPRIM_400000_NS6detail17trampoline_kernelINS0_14default_configENS1_38merge_sort_block_merge_config_selectorIN3c104HalfElEEZZNS1_27merge_sort_block_merge_implIS3_PS6_N6thrust23THRUST_200600_302600_NS10device_ptrIlEEmNSB_4lessIS6_EEEE10hipError_tT0_T1_T2_jT3_P12ihipStream_tbPNSt15iterator_traitsISH_E10value_typeEPNSN_ISI_E10value_typeEPSJ_NS1_7vsmem_tEENKUlT_SH_SI_SJ_E_clIS9_S9_SD_PlEESG_SW_SH_SI_SJ_EUlSW_E_NS1_11comp_targetILNS1_3genE2ELNS1_11target_archE906ELNS1_3gpuE6ELNS1_3repE0EEENS1_48merge_mergepath_partition_config_static_selectorELNS0_4arch9wavefront6targetE1EEEvSI_.uses_vcc, 1
	.set _ZN7rocprim17ROCPRIM_400000_NS6detail17trampoline_kernelINS0_14default_configENS1_38merge_sort_block_merge_config_selectorIN3c104HalfElEEZZNS1_27merge_sort_block_merge_implIS3_PS6_N6thrust23THRUST_200600_302600_NS10device_ptrIlEEmNSB_4lessIS6_EEEE10hipError_tT0_T1_T2_jT3_P12ihipStream_tbPNSt15iterator_traitsISH_E10value_typeEPNSN_ISI_E10value_typeEPSJ_NS1_7vsmem_tEENKUlT_SH_SI_SJ_E_clIS9_S9_SD_PlEESG_SW_SH_SI_SJ_EUlSW_E_NS1_11comp_targetILNS1_3genE2ELNS1_11target_archE906ELNS1_3gpuE6ELNS1_3repE0EEENS1_48merge_mergepath_partition_config_static_selectorELNS0_4arch9wavefront6targetE1EEEvSI_.uses_flat_scratch, 0
	.set _ZN7rocprim17ROCPRIM_400000_NS6detail17trampoline_kernelINS0_14default_configENS1_38merge_sort_block_merge_config_selectorIN3c104HalfElEEZZNS1_27merge_sort_block_merge_implIS3_PS6_N6thrust23THRUST_200600_302600_NS10device_ptrIlEEmNSB_4lessIS6_EEEE10hipError_tT0_T1_T2_jT3_P12ihipStream_tbPNSt15iterator_traitsISH_E10value_typeEPNSN_ISI_E10value_typeEPSJ_NS1_7vsmem_tEENKUlT_SH_SI_SJ_E_clIS9_S9_SD_PlEESG_SW_SH_SI_SJ_EUlSW_E_NS1_11comp_targetILNS1_3genE2ELNS1_11target_archE906ELNS1_3gpuE6ELNS1_3repE0EEENS1_48merge_mergepath_partition_config_static_selectorELNS0_4arch9wavefront6targetE1EEEvSI_.has_dyn_sized_stack, 0
	.set _ZN7rocprim17ROCPRIM_400000_NS6detail17trampoline_kernelINS0_14default_configENS1_38merge_sort_block_merge_config_selectorIN3c104HalfElEEZZNS1_27merge_sort_block_merge_implIS3_PS6_N6thrust23THRUST_200600_302600_NS10device_ptrIlEEmNSB_4lessIS6_EEEE10hipError_tT0_T1_T2_jT3_P12ihipStream_tbPNSt15iterator_traitsISH_E10value_typeEPNSN_ISI_E10value_typeEPSJ_NS1_7vsmem_tEENKUlT_SH_SI_SJ_E_clIS9_S9_SD_PlEESG_SW_SH_SI_SJ_EUlSW_E_NS1_11comp_targetILNS1_3genE2ELNS1_11target_archE906ELNS1_3gpuE6ELNS1_3repE0EEENS1_48merge_mergepath_partition_config_static_selectorELNS0_4arch9wavefront6targetE1EEEvSI_.has_recursion, 0
	.set _ZN7rocprim17ROCPRIM_400000_NS6detail17trampoline_kernelINS0_14default_configENS1_38merge_sort_block_merge_config_selectorIN3c104HalfElEEZZNS1_27merge_sort_block_merge_implIS3_PS6_N6thrust23THRUST_200600_302600_NS10device_ptrIlEEmNSB_4lessIS6_EEEE10hipError_tT0_T1_T2_jT3_P12ihipStream_tbPNSt15iterator_traitsISH_E10value_typeEPNSN_ISI_E10value_typeEPSJ_NS1_7vsmem_tEENKUlT_SH_SI_SJ_E_clIS9_S9_SD_PlEESG_SW_SH_SI_SJ_EUlSW_E_NS1_11comp_targetILNS1_3genE2ELNS1_11target_archE906ELNS1_3gpuE6ELNS1_3repE0EEENS1_48merge_mergepath_partition_config_static_selectorELNS0_4arch9wavefront6targetE1EEEvSI_.has_indirect_call, 0
	.section	.AMDGPU.csdata,"",@progbits
; Kernel info:
; codeLenInByte = 484
; TotalNumSgprs: 14
; NumVgprs: 19
; ScratchSize: 0
; MemoryBound: 0
; FloatMode: 240
; IeeeMode: 1
; LDSByteSize: 0 bytes/workgroup (compile time only)
; SGPRBlocks: 1
; VGPRBlocks: 4
; NumSGPRsForWavesPerEU: 14
; NumVGPRsForWavesPerEU: 19
; Occupancy: 10
; WaveLimiterHint : 0
; COMPUTE_PGM_RSRC2:SCRATCH_EN: 0
; COMPUTE_PGM_RSRC2:USER_SGPR: 6
; COMPUTE_PGM_RSRC2:TRAP_HANDLER: 0
; COMPUTE_PGM_RSRC2:TGID_X_EN: 1
; COMPUTE_PGM_RSRC2:TGID_Y_EN: 0
; COMPUTE_PGM_RSRC2:TGID_Z_EN: 0
; COMPUTE_PGM_RSRC2:TIDIG_COMP_CNT: 0
	.section	.text._ZN7rocprim17ROCPRIM_400000_NS6detail17trampoline_kernelINS0_14default_configENS1_38merge_sort_block_merge_config_selectorIN3c104HalfElEEZZNS1_27merge_sort_block_merge_implIS3_PS6_N6thrust23THRUST_200600_302600_NS10device_ptrIlEEmNSB_4lessIS6_EEEE10hipError_tT0_T1_T2_jT3_P12ihipStream_tbPNSt15iterator_traitsISH_E10value_typeEPNSN_ISI_E10value_typeEPSJ_NS1_7vsmem_tEENKUlT_SH_SI_SJ_E_clIS9_S9_SD_PlEESG_SW_SH_SI_SJ_EUlSW_E_NS1_11comp_targetILNS1_3genE9ELNS1_11target_archE1100ELNS1_3gpuE3ELNS1_3repE0EEENS1_48merge_mergepath_partition_config_static_selectorELNS0_4arch9wavefront6targetE1EEEvSI_,"axG",@progbits,_ZN7rocprim17ROCPRIM_400000_NS6detail17trampoline_kernelINS0_14default_configENS1_38merge_sort_block_merge_config_selectorIN3c104HalfElEEZZNS1_27merge_sort_block_merge_implIS3_PS6_N6thrust23THRUST_200600_302600_NS10device_ptrIlEEmNSB_4lessIS6_EEEE10hipError_tT0_T1_T2_jT3_P12ihipStream_tbPNSt15iterator_traitsISH_E10value_typeEPNSN_ISI_E10value_typeEPSJ_NS1_7vsmem_tEENKUlT_SH_SI_SJ_E_clIS9_S9_SD_PlEESG_SW_SH_SI_SJ_EUlSW_E_NS1_11comp_targetILNS1_3genE9ELNS1_11target_archE1100ELNS1_3gpuE3ELNS1_3repE0EEENS1_48merge_mergepath_partition_config_static_selectorELNS0_4arch9wavefront6targetE1EEEvSI_,comdat
	.protected	_ZN7rocprim17ROCPRIM_400000_NS6detail17trampoline_kernelINS0_14default_configENS1_38merge_sort_block_merge_config_selectorIN3c104HalfElEEZZNS1_27merge_sort_block_merge_implIS3_PS6_N6thrust23THRUST_200600_302600_NS10device_ptrIlEEmNSB_4lessIS6_EEEE10hipError_tT0_T1_T2_jT3_P12ihipStream_tbPNSt15iterator_traitsISH_E10value_typeEPNSN_ISI_E10value_typeEPSJ_NS1_7vsmem_tEENKUlT_SH_SI_SJ_E_clIS9_S9_SD_PlEESG_SW_SH_SI_SJ_EUlSW_E_NS1_11comp_targetILNS1_3genE9ELNS1_11target_archE1100ELNS1_3gpuE3ELNS1_3repE0EEENS1_48merge_mergepath_partition_config_static_selectorELNS0_4arch9wavefront6targetE1EEEvSI_ ; -- Begin function _ZN7rocprim17ROCPRIM_400000_NS6detail17trampoline_kernelINS0_14default_configENS1_38merge_sort_block_merge_config_selectorIN3c104HalfElEEZZNS1_27merge_sort_block_merge_implIS3_PS6_N6thrust23THRUST_200600_302600_NS10device_ptrIlEEmNSB_4lessIS6_EEEE10hipError_tT0_T1_T2_jT3_P12ihipStream_tbPNSt15iterator_traitsISH_E10value_typeEPNSN_ISI_E10value_typeEPSJ_NS1_7vsmem_tEENKUlT_SH_SI_SJ_E_clIS9_S9_SD_PlEESG_SW_SH_SI_SJ_EUlSW_E_NS1_11comp_targetILNS1_3genE9ELNS1_11target_archE1100ELNS1_3gpuE3ELNS1_3repE0EEENS1_48merge_mergepath_partition_config_static_selectorELNS0_4arch9wavefront6targetE1EEEvSI_
	.globl	_ZN7rocprim17ROCPRIM_400000_NS6detail17trampoline_kernelINS0_14default_configENS1_38merge_sort_block_merge_config_selectorIN3c104HalfElEEZZNS1_27merge_sort_block_merge_implIS3_PS6_N6thrust23THRUST_200600_302600_NS10device_ptrIlEEmNSB_4lessIS6_EEEE10hipError_tT0_T1_T2_jT3_P12ihipStream_tbPNSt15iterator_traitsISH_E10value_typeEPNSN_ISI_E10value_typeEPSJ_NS1_7vsmem_tEENKUlT_SH_SI_SJ_E_clIS9_S9_SD_PlEESG_SW_SH_SI_SJ_EUlSW_E_NS1_11comp_targetILNS1_3genE9ELNS1_11target_archE1100ELNS1_3gpuE3ELNS1_3repE0EEENS1_48merge_mergepath_partition_config_static_selectorELNS0_4arch9wavefront6targetE1EEEvSI_
	.p2align	8
	.type	_ZN7rocprim17ROCPRIM_400000_NS6detail17trampoline_kernelINS0_14default_configENS1_38merge_sort_block_merge_config_selectorIN3c104HalfElEEZZNS1_27merge_sort_block_merge_implIS3_PS6_N6thrust23THRUST_200600_302600_NS10device_ptrIlEEmNSB_4lessIS6_EEEE10hipError_tT0_T1_T2_jT3_P12ihipStream_tbPNSt15iterator_traitsISH_E10value_typeEPNSN_ISI_E10value_typeEPSJ_NS1_7vsmem_tEENKUlT_SH_SI_SJ_E_clIS9_S9_SD_PlEESG_SW_SH_SI_SJ_EUlSW_E_NS1_11comp_targetILNS1_3genE9ELNS1_11target_archE1100ELNS1_3gpuE3ELNS1_3repE0EEENS1_48merge_mergepath_partition_config_static_selectorELNS0_4arch9wavefront6targetE1EEEvSI_,@function
_ZN7rocprim17ROCPRIM_400000_NS6detail17trampoline_kernelINS0_14default_configENS1_38merge_sort_block_merge_config_selectorIN3c104HalfElEEZZNS1_27merge_sort_block_merge_implIS3_PS6_N6thrust23THRUST_200600_302600_NS10device_ptrIlEEmNSB_4lessIS6_EEEE10hipError_tT0_T1_T2_jT3_P12ihipStream_tbPNSt15iterator_traitsISH_E10value_typeEPNSN_ISI_E10value_typeEPSJ_NS1_7vsmem_tEENKUlT_SH_SI_SJ_E_clIS9_S9_SD_PlEESG_SW_SH_SI_SJ_EUlSW_E_NS1_11comp_targetILNS1_3genE9ELNS1_11target_archE1100ELNS1_3gpuE3ELNS1_3repE0EEENS1_48merge_mergepath_partition_config_static_selectorELNS0_4arch9wavefront6targetE1EEEvSI_: ; @_ZN7rocprim17ROCPRIM_400000_NS6detail17trampoline_kernelINS0_14default_configENS1_38merge_sort_block_merge_config_selectorIN3c104HalfElEEZZNS1_27merge_sort_block_merge_implIS3_PS6_N6thrust23THRUST_200600_302600_NS10device_ptrIlEEmNSB_4lessIS6_EEEE10hipError_tT0_T1_T2_jT3_P12ihipStream_tbPNSt15iterator_traitsISH_E10value_typeEPNSN_ISI_E10value_typeEPSJ_NS1_7vsmem_tEENKUlT_SH_SI_SJ_E_clIS9_S9_SD_PlEESG_SW_SH_SI_SJ_EUlSW_E_NS1_11comp_targetILNS1_3genE9ELNS1_11target_archE1100ELNS1_3gpuE3ELNS1_3repE0EEENS1_48merge_mergepath_partition_config_static_selectorELNS0_4arch9wavefront6targetE1EEEvSI_
; %bb.0:
	.section	.rodata,"a",@progbits
	.p2align	6, 0x0
	.amdhsa_kernel _ZN7rocprim17ROCPRIM_400000_NS6detail17trampoline_kernelINS0_14default_configENS1_38merge_sort_block_merge_config_selectorIN3c104HalfElEEZZNS1_27merge_sort_block_merge_implIS3_PS6_N6thrust23THRUST_200600_302600_NS10device_ptrIlEEmNSB_4lessIS6_EEEE10hipError_tT0_T1_T2_jT3_P12ihipStream_tbPNSt15iterator_traitsISH_E10value_typeEPNSN_ISI_E10value_typeEPSJ_NS1_7vsmem_tEENKUlT_SH_SI_SJ_E_clIS9_S9_SD_PlEESG_SW_SH_SI_SJ_EUlSW_E_NS1_11comp_targetILNS1_3genE9ELNS1_11target_archE1100ELNS1_3gpuE3ELNS1_3repE0EEENS1_48merge_mergepath_partition_config_static_selectorELNS0_4arch9wavefront6targetE1EEEvSI_
		.amdhsa_group_segment_fixed_size 0
		.amdhsa_private_segment_fixed_size 0
		.amdhsa_kernarg_size 48
		.amdhsa_user_sgpr_count 6
		.amdhsa_user_sgpr_private_segment_buffer 1
		.amdhsa_user_sgpr_dispatch_ptr 0
		.amdhsa_user_sgpr_queue_ptr 0
		.amdhsa_user_sgpr_kernarg_segment_ptr 1
		.amdhsa_user_sgpr_dispatch_id 0
		.amdhsa_user_sgpr_flat_scratch_init 0
		.amdhsa_user_sgpr_private_segment_size 0
		.amdhsa_uses_dynamic_stack 0
		.amdhsa_system_sgpr_private_segment_wavefront_offset 0
		.amdhsa_system_sgpr_workgroup_id_x 1
		.amdhsa_system_sgpr_workgroup_id_y 0
		.amdhsa_system_sgpr_workgroup_id_z 0
		.amdhsa_system_sgpr_workgroup_info 0
		.amdhsa_system_vgpr_workitem_id 0
		.amdhsa_next_free_vgpr 1
		.amdhsa_next_free_sgpr 0
		.amdhsa_reserve_vcc 0
		.amdhsa_reserve_flat_scratch 0
		.amdhsa_float_round_mode_32 0
		.amdhsa_float_round_mode_16_64 0
		.amdhsa_float_denorm_mode_32 3
		.amdhsa_float_denorm_mode_16_64 3
		.amdhsa_dx10_clamp 1
		.amdhsa_ieee_mode 1
		.amdhsa_fp16_overflow 0
		.amdhsa_exception_fp_ieee_invalid_op 0
		.amdhsa_exception_fp_denorm_src 0
		.amdhsa_exception_fp_ieee_div_zero 0
		.amdhsa_exception_fp_ieee_overflow 0
		.amdhsa_exception_fp_ieee_underflow 0
		.amdhsa_exception_fp_ieee_inexact 0
		.amdhsa_exception_int_div_zero 0
	.end_amdhsa_kernel
	.section	.text._ZN7rocprim17ROCPRIM_400000_NS6detail17trampoline_kernelINS0_14default_configENS1_38merge_sort_block_merge_config_selectorIN3c104HalfElEEZZNS1_27merge_sort_block_merge_implIS3_PS6_N6thrust23THRUST_200600_302600_NS10device_ptrIlEEmNSB_4lessIS6_EEEE10hipError_tT0_T1_T2_jT3_P12ihipStream_tbPNSt15iterator_traitsISH_E10value_typeEPNSN_ISI_E10value_typeEPSJ_NS1_7vsmem_tEENKUlT_SH_SI_SJ_E_clIS9_S9_SD_PlEESG_SW_SH_SI_SJ_EUlSW_E_NS1_11comp_targetILNS1_3genE9ELNS1_11target_archE1100ELNS1_3gpuE3ELNS1_3repE0EEENS1_48merge_mergepath_partition_config_static_selectorELNS0_4arch9wavefront6targetE1EEEvSI_,"axG",@progbits,_ZN7rocprim17ROCPRIM_400000_NS6detail17trampoline_kernelINS0_14default_configENS1_38merge_sort_block_merge_config_selectorIN3c104HalfElEEZZNS1_27merge_sort_block_merge_implIS3_PS6_N6thrust23THRUST_200600_302600_NS10device_ptrIlEEmNSB_4lessIS6_EEEE10hipError_tT0_T1_T2_jT3_P12ihipStream_tbPNSt15iterator_traitsISH_E10value_typeEPNSN_ISI_E10value_typeEPSJ_NS1_7vsmem_tEENKUlT_SH_SI_SJ_E_clIS9_S9_SD_PlEESG_SW_SH_SI_SJ_EUlSW_E_NS1_11comp_targetILNS1_3genE9ELNS1_11target_archE1100ELNS1_3gpuE3ELNS1_3repE0EEENS1_48merge_mergepath_partition_config_static_selectorELNS0_4arch9wavefront6targetE1EEEvSI_,comdat
.Lfunc_end2154:
	.size	_ZN7rocprim17ROCPRIM_400000_NS6detail17trampoline_kernelINS0_14default_configENS1_38merge_sort_block_merge_config_selectorIN3c104HalfElEEZZNS1_27merge_sort_block_merge_implIS3_PS6_N6thrust23THRUST_200600_302600_NS10device_ptrIlEEmNSB_4lessIS6_EEEE10hipError_tT0_T1_T2_jT3_P12ihipStream_tbPNSt15iterator_traitsISH_E10value_typeEPNSN_ISI_E10value_typeEPSJ_NS1_7vsmem_tEENKUlT_SH_SI_SJ_E_clIS9_S9_SD_PlEESG_SW_SH_SI_SJ_EUlSW_E_NS1_11comp_targetILNS1_3genE9ELNS1_11target_archE1100ELNS1_3gpuE3ELNS1_3repE0EEENS1_48merge_mergepath_partition_config_static_selectorELNS0_4arch9wavefront6targetE1EEEvSI_, .Lfunc_end2154-_ZN7rocprim17ROCPRIM_400000_NS6detail17trampoline_kernelINS0_14default_configENS1_38merge_sort_block_merge_config_selectorIN3c104HalfElEEZZNS1_27merge_sort_block_merge_implIS3_PS6_N6thrust23THRUST_200600_302600_NS10device_ptrIlEEmNSB_4lessIS6_EEEE10hipError_tT0_T1_T2_jT3_P12ihipStream_tbPNSt15iterator_traitsISH_E10value_typeEPNSN_ISI_E10value_typeEPSJ_NS1_7vsmem_tEENKUlT_SH_SI_SJ_E_clIS9_S9_SD_PlEESG_SW_SH_SI_SJ_EUlSW_E_NS1_11comp_targetILNS1_3genE9ELNS1_11target_archE1100ELNS1_3gpuE3ELNS1_3repE0EEENS1_48merge_mergepath_partition_config_static_selectorELNS0_4arch9wavefront6targetE1EEEvSI_
                                        ; -- End function
	.set _ZN7rocprim17ROCPRIM_400000_NS6detail17trampoline_kernelINS0_14default_configENS1_38merge_sort_block_merge_config_selectorIN3c104HalfElEEZZNS1_27merge_sort_block_merge_implIS3_PS6_N6thrust23THRUST_200600_302600_NS10device_ptrIlEEmNSB_4lessIS6_EEEE10hipError_tT0_T1_T2_jT3_P12ihipStream_tbPNSt15iterator_traitsISH_E10value_typeEPNSN_ISI_E10value_typeEPSJ_NS1_7vsmem_tEENKUlT_SH_SI_SJ_E_clIS9_S9_SD_PlEESG_SW_SH_SI_SJ_EUlSW_E_NS1_11comp_targetILNS1_3genE9ELNS1_11target_archE1100ELNS1_3gpuE3ELNS1_3repE0EEENS1_48merge_mergepath_partition_config_static_selectorELNS0_4arch9wavefront6targetE1EEEvSI_.num_vgpr, 0
	.set _ZN7rocprim17ROCPRIM_400000_NS6detail17trampoline_kernelINS0_14default_configENS1_38merge_sort_block_merge_config_selectorIN3c104HalfElEEZZNS1_27merge_sort_block_merge_implIS3_PS6_N6thrust23THRUST_200600_302600_NS10device_ptrIlEEmNSB_4lessIS6_EEEE10hipError_tT0_T1_T2_jT3_P12ihipStream_tbPNSt15iterator_traitsISH_E10value_typeEPNSN_ISI_E10value_typeEPSJ_NS1_7vsmem_tEENKUlT_SH_SI_SJ_E_clIS9_S9_SD_PlEESG_SW_SH_SI_SJ_EUlSW_E_NS1_11comp_targetILNS1_3genE9ELNS1_11target_archE1100ELNS1_3gpuE3ELNS1_3repE0EEENS1_48merge_mergepath_partition_config_static_selectorELNS0_4arch9wavefront6targetE1EEEvSI_.num_agpr, 0
	.set _ZN7rocprim17ROCPRIM_400000_NS6detail17trampoline_kernelINS0_14default_configENS1_38merge_sort_block_merge_config_selectorIN3c104HalfElEEZZNS1_27merge_sort_block_merge_implIS3_PS6_N6thrust23THRUST_200600_302600_NS10device_ptrIlEEmNSB_4lessIS6_EEEE10hipError_tT0_T1_T2_jT3_P12ihipStream_tbPNSt15iterator_traitsISH_E10value_typeEPNSN_ISI_E10value_typeEPSJ_NS1_7vsmem_tEENKUlT_SH_SI_SJ_E_clIS9_S9_SD_PlEESG_SW_SH_SI_SJ_EUlSW_E_NS1_11comp_targetILNS1_3genE9ELNS1_11target_archE1100ELNS1_3gpuE3ELNS1_3repE0EEENS1_48merge_mergepath_partition_config_static_selectorELNS0_4arch9wavefront6targetE1EEEvSI_.numbered_sgpr, 0
	.set _ZN7rocprim17ROCPRIM_400000_NS6detail17trampoline_kernelINS0_14default_configENS1_38merge_sort_block_merge_config_selectorIN3c104HalfElEEZZNS1_27merge_sort_block_merge_implIS3_PS6_N6thrust23THRUST_200600_302600_NS10device_ptrIlEEmNSB_4lessIS6_EEEE10hipError_tT0_T1_T2_jT3_P12ihipStream_tbPNSt15iterator_traitsISH_E10value_typeEPNSN_ISI_E10value_typeEPSJ_NS1_7vsmem_tEENKUlT_SH_SI_SJ_E_clIS9_S9_SD_PlEESG_SW_SH_SI_SJ_EUlSW_E_NS1_11comp_targetILNS1_3genE9ELNS1_11target_archE1100ELNS1_3gpuE3ELNS1_3repE0EEENS1_48merge_mergepath_partition_config_static_selectorELNS0_4arch9wavefront6targetE1EEEvSI_.num_named_barrier, 0
	.set _ZN7rocprim17ROCPRIM_400000_NS6detail17trampoline_kernelINS0_14default_configENS1_38merge_sort_block_merge_config_selectorIN3c104HalfElEEZZNS1_27merge_sort_block_merge_implIS3_PS6_N6thrust23THRUST_200600_302600_NS10device_ptrIlEEmNSB_4lessIS6_EEEE10hipError_tT0_T1_T2_jT3_P12ihipStream_tbPNSt15iterator_traitsISH_E10value_typeEPNSN_ISI_E10value_typeEPSJ_NS1_7vsmem_tEENKUlT_SH_SI_SJ_E_clIS9_S9_SD_PlEESG_SW_SH_SI_SJ_EUlSW_E_NS1_11comp_targetILNS1_3genE9ELNS1_11target_archE1100ELNS1_3gpuE3ELNS1_3repE0EEENS1_48merge_mergepath_partition_config_static_selectorELNS0_4arch9wavefront6targetE1EEEvSI_.private_seg_size, 0
	.set _ZN7rocprim17ROCPRIM_400000_NS6detail17trampoline_kernelINS0_14default_configENS1_38merge_sort_block_merge_config_selectorIN3c104HalfElEEZZNS1_27merge_sort_block_merge_implIS3_PS6_N6thrust23THRUST_200600_302600_NS10device_ptrIlEEmNSB_4lessIS6_EEEE10hipError_tT0_T1_T2_jT3_P12ihipStream_tbPNSt15iterator_traitsISH_E10value_typeEPNSN_ISI_E10value_typeEPSJ_NS1_7vsmem_tEENKUlT_SH_SI_SJ_E_clIS9_S9_SD_PlEESG_SW_SH_SI_SJ_EUlSW_E_NS1_11comp_targetILNS1_3genE9ELNS1_11target_archE1100ELNS1_3gpuE3ELNS1_3repE0EEENS1_48merge_mergepath_partition_config_static_selectorELNS0_4arch9wavefront6targetE1EEEvSI_.uses_vcc, 0
	.set _ZN7rocprim17ROCPRIM_400000_NS6detail17trampoline_kernelINS0_14default_configENS1_38merge_sort_block_merge_config_selectorIN3c104HalfElEEZZNS1_27merge_sort_block_merge_implIS3_PS6_N6thrust23THRUST_200600_302600_NS10device_ptrIlEEmNSB_4lessIS6_EEEE10hipError_tT0_T1_T2_jT3_P12ihipStream_tbPNSt15iterator_traitsISH_E10value_typeEPNSN_ISI_E10value_typeEPSJ_NS1_7vsmem_tEENKUlT_SH_SI_SJ_E_clIS9_S9_SD_PlEESG_SW_SH_SI_SJ_EUlSW_E_NS1_11comp_targetILNS1_3genE9ELNS1_11target_archE1100ELNS1_3gpuE3ELNS1_3repE0EEENS1_48merge_mergepath_partition_config_static_selectorELNS0_4arch9wavefront6targetE1EEEvSI_.uses_flat_scratch, 0
	.set _ZN7rocprim17ROCPRIM_400000_NS6detail17trampoline_kernelINS0_14default_configENS1_38merge_sort_block_merge_config_selectorIN3c104HalfElEEZZNS1_27merge_sort_block_merge_implIS3_PS6_N6thrust23THRUST_200600_302600_NS10device_ptrIlEEmNSB_4lessIS6_EEEE10hipError_tT0_T1_T2_jT3_P12ihipStream_tbPNSt15iterator_traitsISH_E10value_typeEPNSN_ISI_E10value_typeEPSJ_NS1_7vsmem_tEENKUlT_SH_SI_SJ_E_clIS9_S9_SD_PlEESG_SW_SH_SI_SJ_EUlSW_E_NS1_11comp_targetILNS1_3genE9ELNS1_11target_archE1100ELNS1_3gpuE3ELNS1_3repE0EEENS1_48merge_mergepath_partition_config_static_selectorELNS0_4arch9wavefront6targetE1EEEvSI_.has_dyn_sized_stack, 0
	.set _ZN7rocprim17ROCPRIM_400000_NS6detail17trampoline_kernelINS0_14default_configENS1_38merge_sort_block_merge_config_selectorIN3c104HalfElEEZZNS1_27merge_sort_block_merge_implIS3_PS6_N6thrust23THRUST_200600_302600_NS10device_ptrIlEEmNSB_4lessIS6_EEEE10hipError_tT0_T1_T2_jT3_P12ihipStream_tbPNSt15iterator_traitsISH_E10value_typeEPNSN_ISI_E10value_typeEPSJ_NS1_7vsmem_tEENKUlT_SH_SI_SJ_E_clIS9_S9_SD_PlEESG_SW_SH_SI_SJ_EUlSW_E_NS1_11comp_targetILNS1_3genE9ELNS1_11target_archE1100ELNS1_3gpuE3ELNS1_3repE0EEENS1_48merge_mergepath_partition_config_static_selectorELNS0_4arch9wavefront6targetE1EEEvSI_.has_recursion, 0
	.set _ZN7rocprim17ROCPRIM_400000_NS6detail17trampoline_kernelINS0_14default_configENS1_38merge_sort_block_merge_config_selectorIN3c104HalfElEEZZNS1_27merge_sort_block_merge_implIS3_PS6_N6thrust23THRUST_200600_302600_NS10device_ptrIlEEmNSB_4lessIS6_EEEE10hipError_tT0_T1_T2_jT3_P12ihipStream_tbPNSt15iterator_traitsISH_E10value_typeEPNSN_ISI_E10value_typeEPSJ_NS1_7vsmem_tEENKUlT_SH_SI_SJ_E_clIS9_S9_SD_PlEESG_SW_SH_SI_SJ_EUlSW_E_NS1_11comp_targetILNS1_3genE9ELNS1_11target_archE1100ELNS1_3gpuE3ELNS1_3repE0EEENS1_48merge_mergepath_partition_config_static_selectorELNS0_4arch9wavefront6targetE1EEEvSI_.has_indirect_call, 0
	.section	.AMDGPU.csdata,"",@progbits
; Kernel info:
; codeLenInByte = 0
; TotalNumSgprs: 4
; NumVgprs: 0
; ScratchSize: 0
; MemoryBound: 0
; FloatMode: 240
; IeeeMode: 1
; LDSByteSize: 0 bytes/workgroup (compile time only)
; SGPRBlocks: 0
; VGPRBlocks: 0
; NumSGPRsForWavesPerEU: 4
; NumVGPRsForWavesPerEU: 1
; Occupancy: 10
; WaveLimiterHint : 0
; COMPUTE_PGM_RSRC2:SCRATCH_EN: 0
; COMPUTE_PGM_RSRC2:USER_SGPR: 6
; COMPUTE_PGM_RSRC2:TRAP_HANDLER: 0
; COMPUTE_PGM_RSRC2:TGID_X_EN: 1
; COMPUTE_PGM_RSRC2:TGID_Y_EN: 0
; COMPUTE_PGM_RSRC2:TGID_Z_EN: 0
; COMPUTE_PGM_RSRC2:TIDIG_COMP_CNT: 0
	.section	.text._ZN7rocprim17ROCPRIM_400000_NS6detail17trampoline_kernelINS0_14default_configENS1_38merge_sort_block_merge_config_selectorIN3c104HalfElEEZZNS1_27merge_sort_block_merge_implIS3_PS6_N6thrust23THRUST_200600_302600_NS10device_ptrIlEEmNSB_4lessIS6_EEEE10hipError_tT0_T1_T2_jT3_P12ihipStream_tbPNSt15iterator_traitsISH_E10value_typeEPNSN_ISI_E10value_typeEPSJ_NS1_7vsmem_tEENKUlT_SH_SI_SJ_E_clIS9_S9_SD_PlEESG_SW_SH_SI_SJ_EUlSW_E_NS1_11comp_targetILNS1_3genE8ELNS1_11target_archE1030ELNS1_3gpuE2ELNS1_3repE0EEENS1_48merge_mergepath_partition_config_static_selectorELNS0_4arch9wavefront6targetE1EEEvSI_,"axG",@progbits,_ZN7rocprim17ROCPRIM_400000_NS6detail17trampoline_kernelINS0_14default_configENS1_38merge_sort_block_merge_config_selectorIN3c104HalfElEEZZNS1_27merge_sort_block_merge_implIS3_PS6_N6thrust23THRUST_200600_302600_NS10device_ptrIlEEmNSB_4lessIS6_EEEE10hipError_tT0_T1_T2_jT3_P12ihipStream_tbPNSt15iterator_traitsISH_E10value_typeEPNSN_ISI_E10value_typeEPSJ_NS1_7vsmem_tEENKUlT_SH_SI_SJ_E_clIS9_S9_SD_PlEESG_SW_SH_SI_SJ_EUlSW_E_NS1_11comp_targetILNS1_3genE8ELNS1_11target_archE1030ELNS1_3gpuE2ELNS1_3repE0EEENS1_48merge_mergepath_partition_config_static_selectorELNS0_4arch9wavefront6targetE1EEEvSI_,comdat
	.protected	_ZN7rocprim17ROCPRIM_400000_NS6detail17trampoline_kernelINS0_14default_configENS1_38merge_sort_block_merge_config_selectorIN3c104HalfElEEZZNS1_27merge_sort_block_merge_implIS3_PS6_N6thrust23THRUST_200600_302600_NS10device_ptrIlEEmNSB_4lessIS6_EEEE10hipError_tT0_T1_T2_jT3_P12ihipStream_tbPNSt15iterator_traitsISH_E10value_typeEPNSN_ISI_E10value_typeEPSJ_NS1_7vsmem_tEENKUlT_SH_SI_SJ_E_clIS9_S9_SD_PlEESG_SW_SH_SI_SJ_EUlSW_E_NS1_11comp_targetILNS1_3genE8ELNS1_11target_archE1030ELNS1_3gpuE2ELNS1_3repE0EEENS1_48merge_mergepath_partition_config_static_selectorELNS0_4arch9wavefront6targetE1EEEvSI_ ; -- Begin function _ZN7rocprim17ROCPRIM_400000_NS6detail17trampoline_kernelINS0_14default_configENS1_38merge_sort_block_merge_config_selectorIN3c104HalfElEEZZNS1_27merge_sort_block_merge_implIS3_PS6_N6thrust23THRUST_200600_302600_NS10device_ptrIlEEmNSB_4lessIS6_EEEE10hipError_tT0_T1_T2_jT3_P12ihipStream_tbPNSt15iterator_traitsISH_E10value_typeEPNSN_ISI_E10value_typeEPSJ_NS1_7vsmem_tEENKUlT_SH_SI_SJ_E_clIS9_S9_SD_PlEESG_SW_SH_SI_SJ_EUlSW_E_NS1_11comp_targetILNS1_3genE8ELNS1_11target_archE1030ELNS1_3gpuE2ELNS1_3repE0EEENS1_48merge_mergepath_partition_config_static_selectorELNS0_4arch9wavefront6targetE1EEEvSI_
	.globl	_ZN7rocprim17ROCPRIM_400000_NS6detail17trampoline_kernelINS0_14default_configENS1_38merge_sort_block_merge_config_selectorIN3c104HalfElEEZZNS1_27merge_sort_block_merge_implIS3_PS6_N6thrust23THRUST_200600_302600_NS10device_ptrIlEEmNSB_4lessIS6_EEEE10hipError_tT0_T1_T2_jT3_P12ihipStream_tbPNSt15iterator_traitsISH_E10value_typeEPNSN_ISI_E10value_typeEPSJ_NS1_7vsmem_tEENKUlT_SH_SI_SJ_E_clIS9_S9_SD_PlEESG_SW_SH_SI_SJ_EUlSW_E_NS1_11comp_targetILNS1_3genE8ELNS1_11target_archE1030ELNS1_3gpuE2ELNS1_3repE0EEENS1_48merge_mergepath_partition_config_static_selectorELNS0_4arch9wavefront6targetE1EEEvSI_
	.p2align	8
	.type	_ZN7rocprim17ROCPRIM_400000_NS6detail17trampoline_kernelINS0_14default_configENS1_38merge_sort_block_merge_config_selectorIN3c104HalfElEEZZNS1_27merge_sort_block_merge_implIS3_PS6_N6thrust23THRUST_200600_302600_NS10device_ptrIlEEmNSB_4lessIS6_EEEE10hipError_tT0_T1_T2_jT3_P12ihipStream_tbPNSt15iterator_traitsISH_E10value_typeEPNSN_ISI_E10value_typeEPSJ_NS1_7vsmem_tEENKUlT_SH_SI_SJ_E_clIS9_S9_SD_PlEESG_SW_SH_SI_SJ_EUlSW_E_NS1_11comp_targetILNS1_3genE8ELNS1_11target_archE1030ELNS1_3gpuE2ELNS1_3repE0EEENS1_48merge_mergepath_partition_config_static_selectorELNS0_4arch9wavefront6targetE1EEEvSI_,@function
_ZN7rocprim17ROCPRIM_400000_NS6detail17trampoline_kernelINS0_14default_configENS1_38merge_sort_block_merge_config_selectorIN3c104HalfElEEZZNS1_27merge_sort_block_merge_implIS3_PS6_N6thrust23THRUST_200600_302600_NS10device_ptrIlEEmNSB_4lessIS6_EEEE10hipError_tT0_T1_T2_jT3_P12ihipStream_tbPNSt15iterator_traitsISH_E10value_typeEPNSN_ISI_E10value_typeEPSJ_NS1_7vsmem_tEENKUlT_SH_SI_SJ_E_clIS9_S9_SD_PlEESG_SW_SH_SI_SJ_EUlSW_E_NS1_11comp_targetILNS1_3genE8ELNS1_11target_archE1030ELNS1_3gpuE2ELNS1_3repE0EEENS1_48merge_mergepath_partition_config_static_selectorELNS0_4arch9wavefront6targetE1EEEvSI_: ; @_ZN7rocprim17ROCPRIM_400000_NS6detail17trampoline_kernelINS0_14default_configENS1_38merge_sort_block_merge_config_selectorIN3c104HalfElEEZZNS1_27merge_sort_block_merge_implIS3_PS6_N6thrust23THRUST_200600_302600_NS10device_ptrIlEEmNSB_4lessIS6_EEEE10hipError_tT0_T1_T2_jT3_P12ihipStream_tbPNSt15iterator_traitsISH_E10value_typeEPNSN_ISI_E10value_typeEPSJ_NS1_7vsmem_tEENKUlT_SH_SI_SJ_E_clIS9_S9_SD_PlEESG_SW_SH_SI_SJ_EUlSW_E_NS1_11comp_targetILNS1_3genE8ELNS1_11target_archE1030ELNS1_3gpuE2ELNS1_3repE0EEENS1_48merge_mergepath_partition_config_static_selectorELNS0_4arch9wavefront6targetE1EEEvSI_
; %bb.0:
	.section	.rodata,"a",@progbits
	.p2align	6, 0x0
	.amdhsa_kernel _ZN7rocprim17ROCPRIM_400000_NS6detail17trampoline_kernelINS0_14default_configENS1_38merge_sort_block_merge_config_selectorIN3c104HalfElEEZZNS1_27merge_sort_block_merge_implIS3_PS6_N6thrust23THRUST_200600_302600_NS10device_ptrIlEEmNSB_4lessIS6_EEEE10hipError_tT0_T1_T2_jT3_P12ihipStream_tbPNSt15iterator_traitsISH_E10value_typeEPNSN_ISI_E10value_typeEPSJ_NS1_7vsmem_tEENKUlT_SH_SI_SJ_E_clIS9_S9_SD_PlEESG_SW_SH_SI_SJ_EUlSW_E_NS1_11comp_targetILNS1_3genE8ELNS1_11target_archE1030ELNS1_3gpuE2ELNS1_3repE0EEENS1_48merge_mergepath_partition_config_static_selectorELNS0_4arch9wavefront6targetE1EEEvSI_
		.amdhsa_group_segment_fixed_size 0
		.amdhsa_private_segment_fixed_size 0
		.amdhsa_kernarg_size 48
		.amdhsa_user_sgpr_count 6
		.amdhsa_user_sgpr_private_segment_buffer 1
		.amdhsa_user_sgpr_dispatch_ptr 0
		.amdhsa_user_sgpr_queue_ptr 0
		.amdhsa_user_sgpr_kernarg_segment_ptr 1
		.amdhsa_user_sgpr_dispatch_id 0
		.amdhsa_user_sgpr_flat_scratch_init 0
		.amdhsa_user_sgpr_private_segment_size 0
		.amdhsa_uses_dynamic_stack 0
		.amdhsa_system_sgpr_private_segment_wavefront_offset 0
		.amdhsa_system_sgpr_workgroup_id_x 1
		.amdhsa_system_sgpr_workgroup_id_y 0
		.amdhsa_system_sgpr_workgroup_id_z 0
		.amdhsa_system_sgpr_workgroup_info 0
		.amdhsa_system_vgpr_workitem_id 0
		.amdhsa_next_free_vgpr 1
		.amdhsa_next_free_sgpr 0
		.amdhsa_reserve_vcc 0
		.amdhsa_reserve_flat_scratch 0
		.amdhsa_float_round_mode_32 0
		.amdhsa_float_round_mode_16_64 0
		.amdhsa_float_denorm_mode_32 3
		.amdhsa_float_denorm_mode_16_64 3
		.amdhsa_dx10_clamp 1
		.amdhsa_ieee_mode 1
		.amdhsa_fp16_overflow 0
		.amdhsa_exception_fp_ieee_invalid_op 0
		.amdhsa_exception_fp_denorm_src 0
		.amdhsa_exception_fp_ieee_div_zero 0
		.amdhsa_exception_fp_ieee_overflow 0
		.amdhsa_exception_fp_ieee_underflow 0
		.amdhsa_exception_fp_ieee_inexact 0
		.amdhsa_exception_int_div_zero 0
	.end_amdhsa_kernel
	.section	.text._ZN7rocprim17ROCPRIM_400000_NS6detail17trampoline_kernelINS0_14default_configENS1_38merge_sort_block_merge_config_selectorIN3c104HalfElEEZZNS1_27merge_sort_block_merge_implIS3_PS6_N6thrust23THRUST_200600_302600_NS10device_ptrIlEEmNSB_4lessIS6_EEEE10hipError_tT0_T1_T2_jT3_P12ihipStream_tbPNSt15iterator_traitsISH_E10value_typeEPNSN_ISI_E10value_typeEPSJ_NS1_7vsmem_tEENKUlT_SH_SI_SJ_E_clIS9_S9_SD_PlEESG_SW_SH_SI_SJ_EUlSW_E_NS1_11comp_targetILNS1_3genE8ELNS1_11target_archE1030ELNS1_3gpuE2ELNS1_3repE0EEENS1_48merge_mergepath_partition_config_static_selectorELNS0_4arch9wavefront6targetE1EEEvSI_,"axG",@progbits,_ZN7rocprim17ROCPRIM_400000_NS6detail17trampoline_kernelINS0_14default_configENS1_38merge_sort_block_merge_config_selectorIN3c104HalfElEEZZNS1_27merge_sort_block_merge_implIS3_PS6_N6thrust23THRUST_200600_302600_NS10device_ptrIlEEmNSB_4lessIS6_EEEE10hipError_tT0_T1_T2_jT3_P12ihipStream_tbPNSt15iterator_traitsISH_E10value_typeEPNSN_ISI_E10value_typeEPSJ_NS1_7vsmem_tEENKUlT_SH_SI_SJ_E_clIS9_S9_SD_PlEESG_SW_SH_SI_SJ_EUlSW_E_NS1_11comp_targetILNS1_3genE8ELNS1_11target_archE1030ELNS1_3gpuE2ELNS1_3repE0EEENS1_48merge_mergepath_partition_config_static_selectorELNS0_4arch9wavefront6targetE1EEEvSI_,comdat
.Lfunc_end2155:
	.size	_ZN7rocprim17ROCPRIM_400000_NS6detail17trampoline_kernelINS0_14default_configENS1_38merge_sort_block_merge_config_selectorIN3c104HalfElEEZZNS1_27merge_sort_block_merge_implIS3_PS6_N6thrust23THRUST_200600_302600_NS10device_ptrIlEEmNSB_4lessIS6_EEEE10hipError_tT0_T1_T2_jT3_P12ihipStream_tbPNSt15iterator_traitsISH_E10value_typeEPNSN_ISI_E10value_typeEPSJ_NS1_7vsmem_tEENKUlT_SH_SI_SJ_E_clIS9_S9_SD_PlEESG_SW_SH_SI_SJ_EUlSW_E_NS1_11comp_targetILNS1_3genE8ELNS1_11target_archE1030ELNS1_3gpuE2ELNS1_3repE0EEENS1_48merge_mergepath_partition_config_static_selectorELNS0_4arch9wavefront6targetE1EEEvSI_, .Lfunc_end2155-_ZN7rocprim17ROCPRIM_400000_NS6detail17trampoline_kernelINS0_14default_configENS1_38merge_sort_block_merge_config_selectorIN3c104HalfElEEZZNS1_27merge_sort_block_merge_implIS3_PS6_N6thrust23THRUST_200600_302600_NS10device_ptrIlEEmNSB_4lessIS6_EEEE10hipError_tT0_T1_T2_jT3_P12ihipStream_tbPNSt15iterator_traitsISH_E10value_typeEPNSN_ISI_E10value_typeEPSJ_NS1_7vsmem_tEENKUlT_SH_SI_SJ_E_clIS9_S9_SD_PlEESG_SW_SH_SI_SJ_EUlSW_E_NS1_11comp_targetILNS1_3genE8ELNS1_11target_archE1030ELNS1_3gpuE2ELNS1_3repE0EEENS1_48merge_mergepath_partition_config_static_selectorELNS0_4arch9wavefront6targetE1EEEvSI_
                                        ; -- End function
	.set _ZN7rocprim17ROCPRIM_400000_NS6detail17trampoline_kernelINS0_14default_configENS1_38merge_sort_block_merge_config_selectorIN3c104HalfElEEZZNS1_27merge_sort_block_merge_implIS3_PS6_N6thrust23THRUST_200600_302600_NS10device_ptrIlEEmNSB_4lessIS6_EEEE10hipError_tT0_T1_T2_jT3_P12ihipStream_tbPNSt15iterator_traitsISH_E10value_typeEPNSN_ISI_E10value_typeEPSJ_NS1_7vsmem_tEENKUlT_SH_SI_SJ_E_clIS9_S9_SD_PlEESG_SW_SH_SI_SJ_EUlSW_E_NS1_11comp_targetILNS1_3genE8ELNS1_11target_archE1030ELNS1_3gpuE2ELNS1_3repE0EEENS1_48merge_mergepath_partition_config_static_selectorELNS0_4arch9wavefront6targetE1EEEvSI_.num_vgpr, 0
	.set _ZN7rocprim17ROCPRIM_400000_NS6detail17trampoline_kernelINS0_14default_configENS1_38merge_sort_block_merge_config_selectorIN3c104HalfElEEZZNS1_27merge_sort_block_merge_implIS3_PS6_N6thrust23THRUST_200600_302600_NS10device_ptrIlEEmNSB_4lessIS6_EEEE10hipError_tT0_T1_T2_jT3_P12ihipStream_tbPNSt15iterator_traitsISH_E10value_typeEPNSN_ISI_E10value_typeEPSJ_NS1_7vsmem_tEENKUlT_SH_SI_SJ_E_clIS9_S9_SD_PlEESG_SW_SH_SI_SJ_EUlSW_E_NS1_11comp_targetILNS1_3genE8ELNS1_11target_archE1030ELNS1_3gpuE2ELNS1_3repE0EEENS1_48merge_mergepath_partition_config_static_selectorELNS0_4arch9wavefront6targetE1EEEvSI_.num_agpr, 0
	.set _ZN7rocprim17ROCPRIM_400000_NS6detail17trampoline_kernelINS0_14default_configENS1_38merge_sort_block_merge_config_selectorIN3c104HalfElEEZZNS1_27merge_sort_block_merge_implIS3_PS6_N6thrust23THRUST_200600_302600_NS10device_ptrIlEEmNSB_4lessIS6_EEEE10hipError_tT0_T1_T2_jT3_P12ihipStream_tbPNSt15iterator_traitsISH_E10value_typeEPNSN_ISI_E10value_typeEPSJ_NS1_7vsmem_tEENKUlT_SH_SI_SJ_E_clIS9_S9_SD_PlEESG_SW_SH_SI_SJ_EUlSW_E_NS1_11comp_targetILNS1_3genE8ELNS1_11target_archE1030ELNS1_3gpuE2ELNS1_3repE0EEENS1_48merge_mergepath_partition_config_static_selectorELNS0_4arch9wavefront6targetE1EEEvSI_.numbered_sgpr, 0
	.set _ZN7rocprim17ROCPRIM_400000_NS6detail17trampoline_kernelINS0_14default_configENS1_38merge_sort_block_merge_config_selectorIN3c104HalfElEEZZNS1_27merge_sort_block_merge_implIS3_PS6_N6thrust23THRUST_200600_302600_NS10device_ptrIlEEmNSB_4lessIS6_EEEE10hipError_tT0_T1_T2_jT3_P12ihipStream_tbPNSt15iterator_traitsISH_E10value_typeEPNSN_ISI_E10value_typeEPSJ_NS1_7vsmem_tEENKUlT_SH_SI_SJ_E_clIS9_S9_SD_PlEESG_SW_SH_SI_SJ_EUlSW_E_NS1_11comp_targetILNS1_3genE8ELNS1_11target_archE1030ELNS1_3gpuE2ELNS1_3repE0EEENS1_48merge_mergepath_partition_config_static_selectorELNS0_4arch9wavefront6targetE1EEEvSI_.num_named_barrier, 0
	.set _ZN7rocprim17ROCPRIM_400000_NS6detail17trampoline_kernelINS0_14default_configENS1_38merge_sort_block_merge_config_selectorIN3c104HalfElEEZZNS1_27merge_sort_block_merge_implIS3_PS6_N6thrust23THRUST_200600_302600_NS10device_ptrIlEEmNSB_4lessIS6_EEEE10hipError_tT0_T1_T2_jT3_P12ihipStream_tbPNSt15iterator_traitsISH_E10value_typeEPNSN_ISI_E10value_typeEPSJ_NS1_7vsmem_tEENKUlT_SH_SI_SJ_E_clIS9_S9_SD_PlEESG_SW_SH_SI_SJ_EUlSW_E_NS1_11comp_targetILNS1_3genE8ELNS1_11target_archE1030ELNS1_3gpuE2ELNS1_3repE0EEENS1_48merge_mergepath_partition_config_static_selectorELNS0_4arch9wavefront6targetE1EEEvSI_.private_seg_size, 0
	.set _ZN7rocprim17ROCPRIM_400000_NS6detail17trampoline_kernelINS0_14default_configENS1_38merge_sort_block_merge_config_selectorIN3c104HalfElEEZZNS1_27merge_sort_block_merge_implIS3_PS6_N6thrust23THRUST_200600_302600_NS10device_ptrIlEEmNSB_4lessIS6_EEEE10hipError_tT0_T1_T2_jT3_P12ihipStream_tbPNSt15iterator_traitsISH_E10value_typeEPNSN_ISI_E10value_typeEPSJ_NS1_7vsmem_tEENKUlT_SH_SI_SJ_E_clIS9_S9_SD_PlEESG_SW_SH_SI_SJ_EUlSW_E_NS1_11comp_targetILNS1_3genE8ELNS1_11target_archE1030ELNS1_3gpuE2ELNS1_3repE0EEENS1_48merge_mergepath_partition_config_static_selectorELNS0_4arch9wavefront6targetE1EEEvSI_.uses_vcc, 0
	.set _ZN7rocprim17ROCPRIM_400000_NS6detail17trampoline_kernelINS0_14default_configENS1_38merge_sort_block_merge_config_selectorIN3c104HalfElEEZZNS1_27merge_sort_block_merge_implIS3_PS6_N6thrust23THRUST_200600_302600_NS10device_ptrIlEEmNSB_4lessIS6_EEEE10hipError_tT0_T1_T2_jT3_P12ihipStream_tbPNSt15iterator_traitsISH_E10value_typeEPNSN_ISI_E10value_typeEPSJ_NS1_7vsmem_tEENKUlT_SH_SI_SJ_E_clIS9_S9_SD_PlEESG_SW_SH_SI_SJ_EUlSW_E_NS1_11comp_targetILNS1_3genE8ELNS1_11target_archE1030ELNS1_3gpuE2ELNS1_3repE0EEENS1_48merge_mergepath_partition_config_static_selectorELNS0_4arch9wavefront6targetE1EEEvSI_.uses_flat_scratch, 0
	.set _ZN7rocprim17ROCPRIM_400000_NS6detail17trampoline_kernelINS0_14default_configENS1_38merge_sort_block_merge_config_selectorIN3c104HalfElEEZZNS1_27merge_sort_block_merge_implIS3_PS6_N6thrust23THRUST_200600_302600_NS10device_ptrIlEEmNSB_4lessIS6_EEEE10hipError_tT0_T1_T2_jT3_P12ihipStream_tbPNSt15iterator_traitsISH_E10value_typeEPNSN_ISI_E10value_typeEPSJ_NS1_7vsmem_tEENKUlT_SH_SI_SJ_E_clIS9_S9_SD_PlEESG_SW_SH_SI_SJ_EUlSW_E_NS1_11comp_targetILNS1_3genE8ELNS1_11target_archE1030ELNS1_3gpuE2ELNS1_3repE0EEENS1_48merge_mergepath_partition_config_static_selectorELNS0_4arch9wavefront6targetE1EEEvSI_.has_dyn_sized_stack, 0
	.set _ZN7rocprim17ROCPRIM_400000_NS6detail17trampoline_kernelINS0_14default_configENS1_38merge_sort_block_merge_config_selectorIN3c104HalfElEEZZNS1_27merge_sort_block_merge_implIS3_PS6_N6thrust23THRUST_200600_302600_NS10device_ptrIlEEmNSB_4lessIS6_EEEE10hipError_tT0_T1_T2_jT3_P12ihipStream_tbPNSt15iterator_traitsISH_E10value_typeEPNSN_ISI_E10value_typeEPSJ_NS1_7vsmem_tEENKUlT_SH_SI_SJ_E_clIS9_S9_SD_PlEESG_SW_SH_SI_SJ_EUlSW_E_NS1_11comp_targetILNS1_3genE8ELNS1_11target_archE1030ELNS1_3gpuE2ELNS1_3repE0EEENS1_48merge_mergepath_partition_config_static_selectorELNS0_4arch9wavefront6targetE1EEEvSI_.has_recursion, 0
	.set _ZN7rocprim17ROCPRIM_400000_NS6detail17trampoline_kernelINS0_14default_configENS1_38merge_sort_block_merge_config_selectorIN3c104HalfElEEZZNS1_27merge_sort_block_merge_implIS3_PS6_N6thrust23THRUST_200600_302600_NS10device_ptrIlEEmNSB_4lessIS6_EEEE10hipError_tT0_T1_T2_jT3_P12ihipStream_tbPNSt15iterator_traitsISH_E10value_typeEPNSN_ISI_E10value_typeEPSJ_NS1_7vsmem_tEENKUlT_SH_SI_SJ_E_clIS9_S9_SD_PlEESG_SW_SH_SI_SJ_EUlSW_E_NS1_11comp_targetILNS1_3genE8ELNS1_11target_archE1030ELNS1_3gpuE2ELNS1_3repE0EEENS1_48merge_mergepath_partition_config_static_selectorELNS0_4arch9wavefront6targetE1EEEvSI_.has_indirect_call, 0
	.section	.AMDGPU.csdata,"",@progbits
; Kernel info:
; codeLenInByte = 0
; TotalNumSgprs: 4
; NumVgprs: 0
; ScratchSize: 0
; MemoryBound: 0
; FloatMode: 240
; IeeeMode: 1
; LDSByteSize: 0 bytes/workgroup (compile time only)
; SGPRBlocks: 0
; VGPRBlocks: 0
; NumSGPRsForWavesPerEU: 4
; NumVGPRsForWavesPerEU: 1
; Occupancy: 10
; WaveLimiterHint : 0
; COMPUTE_PGM_RSRC2:SCRATCH_EN: 0
; COMPUTE_PGM_RSRC2:USER_SGPR: 6
; COMPUTE_PGM_RSRC2:TRAP_HANDLER: 0
; COMPUTE_PGM_RSRC2:TGID_X_EN: 1
; COMPUTE_PGM_RSRC2:TGID_Y_EN: 0
; COMPUTE_PGM_RSRC2:TGID_Z_EN: 0
; COMPUTE_PGM_RSRC2:TIDIG_COMP_CNT: 0
	.section	.text._ZN7rocprim17ROCPRIM_400000_NS6detail17trampoline_kernelINS0_14default_configENS1_38merge_sort_block_merge_config_selectorIN3c104HalfElEEZZNS1_27merge_sort_block_merge_implIS3_PS6_N6thrust23THRUST_200600_302600_NS10device_ptrIlEEmNSB_4lessIS6_EEEE10hipError_tT0_T1_T2_jT3_P12ihipStream_tbPNSt15iterator_traitsISH_E10value_typeEPNSN_ISI_E10value_typeEPSJ_NS1_7vsmem_tEENKUlT_SH_SI_SJ_E_clIS9_S9_SD_PlEESG_SW_SH_SI_SJ_EUlSW_E0_NS1_11comp_targetILNS1_3genE0ELNS1_11target_archE4294967295ELNS1_3gpuE0ELNS1_3repE0EEENS1_38merge_mergepath_config_static_selectorELNS0_4arch9wavefront6targetE1EEEvSI_,"axG",@progbits,_ZN7rocprim17ROCPRIM_400000_NS6detail17trampoline_kernelINS0_14default_configENS1_38merge_sort_block_merge_config_selectorIN3c104HalfElEEZZNS1_27merge_sort_block_merge_implIS3_PS6_N6thrust23THRUST_200600_302600_NS10device_ptrIlEEmNSB_4lessIS6_EEEE10hipError_tT0_T1_T2_jT3_P12ihipStream_tbPNSt15iterator_traitsISH_E10value_typeEPNSN_ISI_E10value_typeEPSJ_NS1_7vsmem_tEENKUlT_SH_SI_SJ_E_clIS9_S9_SD_PlEESG_SW_SH_SI_SJ_EUlSW_E0_NS1_11comp_targetILNS1_3genE0ELNS1_11target_archE4294967295ELNS1_3gpuE0ELNS1_3repE0EEENS1_38merge_mergepath_config_static_selectorELNS0_4arch9wavefront6targetE1EEEvSI_,comdat
	.protected	_ZN7rocprim17ROCPRIM_400000_NS6detail17trampoline_kernelINS0_14default_configENS1_38merge_sort_block_merge_config_selectorIN3c104HalfElEEZZNS1_27merge_sort_block_merge_implIS3_PS6_N6thrust23THRUST_200600_302600_NS10device_ptrIlEEmNSB_4lessIS6_EEEE10hipError_tT0_T1_T2_jT3_P12ihipStream_tbPNSt15iterator_traitsISH_E10value_typeEPNSN_ISI_E10value_typeEPSJ_NS1_7vsmem_tEENKUlT_SH_SI_SJ_E_clIS9_S9_SD_PlEESG_SW_SH_SI_SJ_EUlSW_E0_NS1_11comp_targetILNS1_3genE0ELNS1_11target_archE4294967295ELNS1_3gpuE0ELNS1_3repE0EEENS1_38merge_mergepath_config_static_selectorELNS0_4arch9wavefront6targetE1EEEvSI_ ; -- Begin function _ZN7rocprim17ROCPRIM_400000_NS6detail17trampoline_kernelINS0_14default_configENS1_38merge_sort_block_merge_config_selectorIN3c104HalfElEEZZNS1_27merge_sort_block_merge_implIS3_PS6_N6thrust23THRUST_200600_302600_NS10device_ptrIlEEmNSB_4lessIS6_EEEE10hipError_tT0_T1_T2_jT3_P12ihipStream_tbPNSt15iterator_traitsISH_E10value_typeEPNSN_ISI_E10value_typeEPSJ_NS1_7vsmem_tEENKUlT_SH_SI_SJ_E_clIS9_S9_SD_PlEESG_SW_SH_SI_SJ_EUlSW_E0_NS1_11comp_targetILNS1_3genE0ELNS1_11target_archE4294967295ELNS1_3gpuE0ELNS1_3repE0EEENS1_38merge_mergepath_config_static_selectorELNS0_4arch9wavefront6targetE1EEEvSI_
	.globl	_ZN7rocprim17ROCPRIM_400000_NS6detail17trampoline_kernelINS0_14default_configENS1_38merge_sort_block_merge_config_selectorIN3c104HalfElEEZZNS1_27merge_sort_block_merge_implIS3_PS6_N6thrust23THRUST_200600_302600_NS10device_ptrIlEEmNSB_4lessIS6_EEEE10hipError_tT0_T1_T2_jT3_P12ihipStream_tbPNSt15iterator_traitsISH_E10value_typeEPNSN_ISI_E10value_typeEPSJ_NS1_7vsmem_tEENKUlT_SH_SI_SJ_E_clIS9_S9_SD_PlEESG_SW_SH_SI_SJ_EUlSW_E0_NS1_11comp_targetILNS1_3genE0ELNS1_11target_archE4294967295ELNS1_3gpuE0ELNS1_3repE0EEENS1_38merge_mergepath_config_static_selectorELNS0_4arch9wavefront6targetE1EEEvSI_
	.p2align	8
	.type	_ZN7rocprim17ROCPRIM_400000_NS6detail17trampoline_kernelINS0_14default_configENS1_38merge_sort_block_merge_config_selectorIN3c104HalfElEEZZNS1_27merge_sort_block_merge_implIS3_PS6_N6thrust23THRUST_200600_302600_NS10device_ptrIlEEmNSB_4lessIS6_EEEE10hipError_tT0_T1_T2_jT3_P12ihipStream_tbPNSt15iterator_traitsISH_E10value_typeEPNSN_ISI_E10value_typeEPSJ_NS1_7vsmem_tEENKUlT_SH_SI_SJ_E_clIS9_S9_SD_PlEESG_SW_SH_SI_SJ_EUlSW_E0_NS1_11comp_targetILNS1_3genE0ELNS1_11target_archE4294967295ELNS1_3gpuE0ELNS1_3repE0EEENS1_38merge_mergepath_config_static_selectorELNS0_4arch9wavefront6targetE1EEEvSI_,@function
_ZN7rocprim17ROCPRIM_400000_NS6detail17trampoline_kernelINS0_14default_configENS1_38merge_sort_block_merge_config_selectorIN3c104HalfElEEZZNS1_27merge_sort_block_merge_implIS3_PS6_N6thrust23THRUST_200600_302600_NS10device_ptrIlEEmNSB_4lessIS6_EEEE10hipError_tT0_T1_T2_jT3_P12ihipStream_tbPNSt15iterator_traitsISH_E10value_typeEPNSN_ISI_E10value_typeEPSJ_NS1_7vsmem_tEENKUlT_SH_SI_SJ_E_clIS9_S9_SD_PlEESG_SW_SH_SI_SJ_EUlSW_E0_NS1_11comp_targetILNS1_3genE0ELNS1_11target_archE4294967295ELNS1_3gpuE0ELNS1_3repE0EEENS1_38merge_mergepath_config_static_selectorELNS0_4arch9wavefront6targetE1EEEvSI_: ; @_ZN7rocprim17ROCPRIM_400000_NS6detail17trampoline_kernelINS0_14default_configENS1_38merge_sort_block_merge_config_selectorIN3c104HalfElEEZZNS1_27merge_sort_block_merge_implIS3_PS6_N6thrust23THRUST_200600_302600_NS10device_ptrIlEEmNSB_4lessIS6_EEEE10hipError_tT0_T1_T2_jT3_P12ihipStream_tbPNSt15iterator_traitsISH_E10value_typeEPNSN_ISI_E10value_typeEPSJ_NS1_7vsmem_tEENKUlT_SH_SI_SJ_E_clIS9_S9_SD_PlEESG_SW_SH_SI_SJ_EUlSW_E0_NS1_11comp_targetILNS1_3genE0ELNS1_11target_archE4294967295ELNS1_3gpuE0ELNS1_3repE0EEENS1_38merge_mergepath_config_static_selectorELNS0_4arch9wavefront6targetE1EEEvSI_
; %bb.0:
	.section	.rodata,"a",@progbits
	.p2align	6, 0x0
	.amdhsa_kernel _ZN7rocprim17ROCPRIM_400000_NS6detail17trampoline_kernelINS0_14default_configENS1_38merge_sort_block_merge_config_selectorIN3c104HalfElEEZZNS1_27merge_sort_block_merge_implIS3_PS6_N6thrust23THRUST_200600_302600_NS10device_ptrIlEEmNSB_4lessIS6_EEEE10hipError_tT0_T1_T2_jT3_P12ihipStream_tbPNSt15iterator_traitsISH_E10value_typeEPNSN_ISI_E10value_typeEPSJ_NS1_7vsmem_tEENKUlT_SH_SI_SJ_E_clIS9_S9_SD_PlEESG_SW_SH_SI_SJ_EUlSW_E0_NS1_11comp_targetILNS1_3genE0ELNS1_11target_archE4294967295ELNS1_3gpuE0ELNS1_3repE0EEENS1_38merge_mergepath_config_static_selectorELNS0_4arch9wavefront6targetE1EEEvSI_
		.amdhsa_group_segment_fixed_size 0
		.amdhsa_private_segment_fixed_size 0
		.amdhsa_kernarg_size 72
		.amdhsa_user_sgpr_count 6
		.amdhsa_user_sgpr_private_segment_buffer 1
		.amdhsa_user_sgpr_dispatch_ptr 0
		.amdhsa_user_sgpr_queue_ptr 0
		.amdhsa_user_sgpr_kernarg_segment_ptr 1
		.amdhsa_user_sgpr_dispatch_id 0
		.amdhsa_user_sgpr_flat_scratch_init 0
		.amdhsa_user_sgpr_private_segment_size 0
		.amdhsa_uses_dynamic_stack 0
		.amdhsa_system_sgpr_private_segment_wavefront_offset 0
		.amdhsa_system_sgpr_workgroup_id_x 1
		.amdhsa_system_sgpr_workgroup_id_y 0
		.amdhsa_system_sgpr_workgroup_id_z 0
		.amdhsa_system_sgpr_workgroup_info 0
		.amdhsa_system_vgpr_workitem_id 0
		.amdhsa_next_free_vgpr 1
		.amdhsa_next_free_sgpr 0
		.amdhsa_reserve_vcc 0
		.amdhsa_reserve_flat_scratch 0
		.amdhsa_float_round_mode_32 0
		.amdhsa_float_round_mode_16_64 0
		.amdhsa_float_denorm_mode_32 3
		.amdhsa_float_denorm_mode_16_64 3
		.amdhsa_dx10_clamp 1
		.amdhsa_ieee_mode 1
		.amdhsa_fp16_overflow 0
		.amdhsa_exception_fp_ieee_invalid_op 0
		.amdhsa_exception_fp_denorm_src 0
		.amdhsa_exception_fp_ieee_div_zero 0
		.amdhsa_exception_fp_ieee_overflow 0
		.amdhsa_exception_fp_ieee_underflow 0
		.amdhsa_exception_fp_ieee_inexact 0
		.amdhsa_exception_int_div_zero 0
	.end_amdhsa_kernel
	.section	.text._ZN7rocprim17ROCPRIM_400000_NS6detail17trampoline_kernelINS0_14default_configENS1_38merge_sort_block_merge_config_selectorIN3c104HalfElEEZZNS1_27merge_sort_block_merge_implIS3_PS6_N6thrust23THRUST_200600_302600_NS10device_ptrIlEEmNSB_4lessIS6_EEEE10hipError_tT0_T1_T2_jT3_P12ihipStream_tbPNSt15iterator_traitsISH_E10value_typeEPNSN_ISI_E10value_typeEPSJ_NS1_7vsmem_tEENKUlT_SH_SI_SJ_E_clIS9_S9_SD_PlEESG_SW_SH_SI_SJ_EUlSW_E0_NS1_11comp_targetILNS1_3genE0ELNS1_11target_archE4294967295ELNS1_3gpuE0ELNS1_3repE0EEENS1_38merge_mergepath_config_static_selectorELNS0_4arch9wavefront6targetE1EEEvSI_,"axG",@progbits,_ZN7rocprim17ROCPRIM_400000_NS6detail17trampoline_kernelINS0_14default_configENS1_38merge_sort_block_merge_config_selectorIN3c104HalfElEEZZNS1_27merge_sort_block_merge_implIS3_PS6_N6thrust23THRUST_200600_302600_NS10device_ptrIlEEmNSB_4lessIS6_EEEE10hipError_tT0_T1_T2_jT3_P12ihipStream_tbPNSt15iterator_traitsISH_E10value_typeEPNSN_ISI_E10value_typeEPSJ_NS1_7vsmem_tEENKUlT_SH_SI_SJ_E_clIS9_S9_SD_PlEESG_SW_SH_SI_SJ_EUlSW_E0_NS1_11comp_targetILNS1_3genE0ELNS1_11target_archE4294967295ELNS1_3gpuE0ELNS1_3repE0EEENS1_38merge_mergepath_config_static_selectorELNS0_4arch9wavefront6targetE1EEEvSI_,comdat
.Lfunc_end2156:
	.size	_ZN7rocprim17ROCPRIM_400000_NS6detail17trampoline_kernelINS0_14default_configENS1_38merge_sort_block_merge_config_selectorIN3c104HalfElEEZZNS1_27merge_sort_block_merge_implIS3_PS6_N6thrust23THRUST_200600_302600_NS10device_ptrIlEEmNSB_4lessIS6_EEEE10hipError_tT0_T1_T2_jT3_P12ihipStream_tbPNSt15iterator_traitsISH_E10value_typeEPNSN_ISI_E10value_typeEPSJ_NS1_7vsmem_tEENKUlT_SH_SI_SJ_E_clIS9_S9_SD_PlEESG_SW_SH_SI_SJ_EUlSW_E0_NS1_11comp_targetILNS1_3genE0ELNS1_11target_archE4294967295ELNS1_3gpuE0ELNS1_3repE0EEENS1_38merge_mergepath_config_static_selectorELNS0_4arch9wavefront6targetE1EEEvSI_, .Lfunc_end2156-_ZN7rocprim17ROCPRIM_400000_NS6detail17trampoline_kernelINS0_14default_configENS1_38merge_sort_block_merge_config_selectorIN3c104HalfElEEZZNS1_27merge_sort_block_merge_implIS3_PS6_N6thrust23THRUST_200600_302600_NS10device_ptrIlEEmNSB_4lessIS6_EEEE10hipError_tT0_T1_T2_jT3_P12ihipStream_tbPNSt15iterator_traitsISH_E10value_typeEPNSN_ISI_E10value_typeEPSJ_NS1_7vsmem_tEENKUlT_SH_SI_SJ_E_clIS9_S9_SD_PlEESG_SW_SH_SI_SJ_EUlSW_E0_NS1_11comp_targetILNS1_3genE0ELNS1_11target_archE4294967295ELNS1_3gpuE0ELNS1_3repE0EEENS1_38merge_mergepath_config_static_selectorELNS0_4arch9wavefront6targetE1EEEvSI_
                                        ; -- End function
	.set _ZN7rocprim17ROCPRIM_400000_NS6detail17trampoline_kernelINS0_14default_configENS1_38merge_sort_block_merge_config_selectorIN3c104HalfElEEZZNS1_27merge_sort_block_merge_implIS3_PS6_N6thrust23THRUST_200600_302600_NS10device_ptrIlEEmNSB_4lessIS6_EEEE10hipError_tT0_T1_T2_jT3_P12ihipStream_tbPNSt15iterator_traitsISH_E10value_typeEPNSN_ISI_E10value_typeEPSJ_NS1_7vsmem_tEENKUlT_SH_SI_SJ_E_clIS9_S9_SD_PlEESG_SW_SH_SI_SJ_EUlSW_E0_NS1_11comp_targetILNS1_3genE0ELNS1_11target_archE4294967295ELNS1_3gpuE0ELNS1_3repE0EEENS1_38merge_mergepath_config_static_selectorELNS0_4arch9wavefront6targetE1EEEvSI_.num_vgpr, 0
	.set _ZN7rocprim17ROCPRIM_400000_NS6detail17trampoline_kernelINS0_14default_configENS1_38merge_sort_block_merge_config_selectorIN3c104HalfElEEZZNS1_27merge_sort_block_merge_implIS3_PS6_N6thrust23THRUST_200600_302600_NS10device_ptrIlEEmNSB_4lessIS6_EEEE10hipError_tT0_T1_T2_jT3_P12ihipStream_tbPNSt15iterator_traitsISH_E10value_typeEPNSN_ISI_E10value_typeEPSJ_NS1_7vsmem_tEENKUlT_SH_SI_SJ_E_clIS9_S9_SD_PlEESG_SW_SH_SI_SJ_EUlSW_E0_NS1_11comp_targetILNS1_3genE0ELNS1_11target_archE4294967295ELNS1_3gpuE0ELNS1_3repE0EEENS1_38merge_mergepath_config_static_selectorELNS0_4arch9wavefront6targetE1EEEvSI_.num_agpr, 0
	.set _ZN7rocprim17ROCPRIM_400000_NS6detail17trampoline_kernelINS0_14default_configENS1_38merge_sort_block_merge_config_selectorIN3c104HalfElEEZZNS1_27merge_sort_block_merge_implIS3_PS6_N6thrust23THRUST_200600_302600_NS10device_ptrIlEEmNSB_4lessIS6_EEEE10hipError_tT0_T1_T2_jT3_P12ihipStream_tbPNSt15iterator_traitsISH_E10value_typeEPNSN_ISI_E10value_typeEPSJ_NS1_7vsmem_tEENKUlT_SH_SI_SJ_E_clIS9_S9_SD_PlEESG_SW_SH_SI_SJ_EUlSW_E0_NS1_11comp_targetILNS1_3genE0ELNS1_11target_archE4294967295ELNS1_3gpuE0ELNS1_3repE0EEENS1_38merge_mergepath_config_static_selectorELNS0_4arch9wavefront6targetE1EEEvSI_.numbered_sgpr, 0
	.set _ZN7rocprim17ROCPRIM_400000_NS6detail17trampoline_kernelINS0_14default_configENS1_38merge_sort_block_merge_config_selectorIN3c104HalfElEEZZNS1_27merge_sort_block_merge_implIS3_PS6_N6thrust23THRUST_200600_302600_NS10device_ptrIlEEmNSB_4lessIS6_EEEE10hipError_tT0_T1_T2_jT3_P12ihipStream_tbPNSt15iterator_traitsISH_E10value_typeEPNSN_ISI_E10value_typeEPSJ_NS1_7vsmem_tEENKUlT_SH_SI_SJ_E_clIS9_S9_SD_PlEESG_SW_SH_SI_SJ_EUlSW_E0_NS1_11comp_targetILNS1_3genE0ELNS1_11target_archE4294967295ELNS1_3gpuE0ELNS1_3repE0EEENS1_38merge_mergepath_config_static_selectorELNS0_4arch9wavefront6targetE1EEEvSI_.num_named_barrier, 0
	.set _ZN7rocprim17ROCPRIM_400000_NS6detail17trampoline_kernelINS0_14default_configENS1_38merge_sort_block_merge_config_selectorIN3c104HalfElEEZZNS1_27merge_sort_block_merge_implIS3_PS6_N6thrust23THRUST_200600_302600_NS10device_ptrIlEEmNSB_4lessIS6_EEEE10hipError_tT0_T1_T2_jT3_P12ihipStream_tbPNSt15iterator_traitsISH_E10value_typeEPNSN_ISI_E10value_typeEPSJ_NS1_7vsmem_tEENKUlT_SH_SI_SJ_E_clIS9_S9_SD_PlEESG_SW_SH_SI_SJ_EUlSW_E0_NS1_11comp_targetILNS1_3genE0ELNS1_11target_archE4294967295ELNS1_3gpuE0ELNS1_3repE0EEENS1_38merge_mergepath_config_static_selectorELNS0_4arch9wavefront6targetE1EEEvSI_.private_seg_size, 0
	.set _ZN7rocprim17ROCPRIM_400000_NS6detail17trampoline_kernelINS0_14default_configENS1_38merge_sort_block_merge_config_selectorIN3c104HalfElEEZZNS1_27merge_sort_block_merge_implIS3_PS6_N6thrust23THRUST_200600_302600_NS10device_ptrIlEEmNSB_4lessIS6_EEEE10hipError_tT0_T1_T2_jT3_P12ihipStream_tbPNSt15iterator_traitsISH_E10value_typeEPNSN_ISI_E10value_typeEPSJ_NS1_7vsmem_tEENKUlT_SH_SI_SJ_E_clIS9_S9_SD_PlEESG_SW_SH_SI_SJ_EUlSW_E0_NS1_11comp_targetILNS1_3genE0ELNS1_11target_archE4294967295ELNS1_3gpuE0ELNS1_3repE0EEENS1_38merge_mergepath_config_static_selectorELNS0_4arch9wavefront6targetE1EEEvSI_.uses_vcc, 0
	.set _ZN7rocprim17ROCPRIM_400000_NS6detail17trampoline_kernelINS0_14default_configENS1_38merge_sort_block_merge_config_selectorIN3c104HalfElEEZZNS1_27merge_sort_block_merge_implIS3_PS6_N6thrust23THRUST_200600_302600_NS10device_ptrIlEEmNSB_4lessIS6_EEEE10hipError_tT0_T1_T2_jT3_P12ihipStream_tbPNSt15iterator_traitsISH_E10value_typeEPNSN_ISI_E10value_typeEPSJ_NS1_7vsmem_tEENKUlT_SH_SI_SJ_E_clIS9_S9_SD_PlEESG_SW_SH_SI_SJ_EUlSW_E0_NS1_11comp_targetILNS1_3genE0ELNS1_11target_archE4294967295ELNS1_3gpuE0ELNS1_3repE0EEENS1_38merge_mergepath_config_static_selectorELNS0_4arch9wavefront6targetE1EEEvSI_.uses_flat_scratch, 0
	.set _ZN7rocprim17ROCPRIM_400000_NS6detail17trampoline_kernelINS0_14default_configENS1_38merge_sort_block_merge_config_selectorIN3c104HalfElEEZZNS1_27merge_sort_block_merge_implIS3_PS6_N6thrust23THRUST_200600_302600_NS10device_ptrIlEEmNSB_4lessIS6_EEEE10hipError_tT0_T1_T2_jT3_P12ihipStream_tbPNSt15iterator_traitsISH_E10value_typeEPNSN_ISI_E10value_typeEPSJ_NS1_7vsmem_tEENKUlT_SH_SI_SJ_E_clIS9_S9_SD_PlEESG_SW_SH_SI_SJ_EUlSW_E0_NS1_11comp_targetILNS1_3genE0ELNS1_11target_archE4294967295ELNS1_3gpuE0ELNS1_3repE0EEENS1_38merge_mergepath_config_static_selectorELNS0_4arch9wavefront6targetE1EEEvSI_.has_dyn_sized_stack, 0
	.set _ZN7rocprim17ROCPRIM_400000_NS6detail17trampoline_kernelINS0_14default_configENS1_38merge_sort_block_merge_config_selectorIN3c104HalfElEEZZNS1_27merge_sort_block_merge_implIS3_PS6_N6thrust23THRUST_200600_302600_NS10device_ptrIlEEmNSB_4lessIS6_EEEE10hipError_tT0_T1_T2_jT3_P12ihipStream_tbPNSt15iterator_traitsISH_E10value_typeEPNSN_ISI_E10value_typeEPSJ_NS1_7vsmem_tEENKUlT_SH_SI_SJ_E_clIS9_S9_SD_PlEESG_SW_SH_SI_SJ_EUlSW_E0_NS1_11comp_targetILNS1_3genE0ELNS1_11target_archE4294967295ELNS1_3gpuE0ELNS1_3repE0EEENS1_38merge_mergepath_config_static_selectorELNS0_4arch9wavefront6targetE1EEEvSI_.has_recursion, 0
	.set _ZN7rocprim17ROCPRIM_400000_NS6detail17trampoline_kernelINS0_14default_configENS1_38merge_sort_block_merge_config_selectorIN3c104HalfElEEZZNS1_27merge_sort_block_merge_implIS3_PS6_N6thrust23THRUST_200600_302600_NS10device_ptrIlEEmNSB_4lessIS6_EEEE10hipError_tT0_T1_T2_jT3_P12ihipStream_tbPNSt15iterator_traitsISH_E10value_typeEPNSN_ISI_E10value_typeEPSJ_NS1_7vsmem_tEENKUlT_SH_SI_SJ_E_clIS9_S9_SD_PlEESG_SW_SH_SI_SJ_EUlSW_E0_NS1_11comp_targetILNS1_3genE0ELNS1_11target_archE4294967295ELNS1_3gpuE0ELNS1_3repE0EEENS1_38merge_mergepath_config_static_selectorELNS0_4arch9wavefront6targetE1EEEvSI_.has_indirect_call, 0
	.section	.AMDGPU.csdata,"",@progbits
; Kernel info:
; codeLenInByte = 0
; TotalNumSgprs: 4
; NumVgprs: 0
; ScratchSize: 0
; MemoryBound: 0
; FloatMode: 240
; IeeeMode: 1
; LDSByteSize: 0 bytes/workgroup (compile time only)
; SGPRBlocks: 0
; VGPRBlocks: 0
; NumSGPRsForWavesPerEU: 4
; NumVGPRsForWavesPerEU: 1
; Occupancy: 10
; WaveLimiterHint : 0
; COMPUTE_PGM_RSRC2:SCRATCH_EN: 0
; COMPUTE_PGM_RSRC2:USER_SGPR: 6
; COMPUTE_PGM_RSRC2:TRAP_HANDLER: 0
; COMPUTE_PGM_RSRC2:TGID_X_EN: 1
; COMPUTE_PGM_RSRC2:TGID_Y_EN: 0
; COMPUTE_PGM_RSRC2:TGID_Z_EN: 0
; COMPUTE_PGM_RSRC2:TIDIG_COMP_CNT: 0
	.section	.text._ZN7rocprim17ROCPRIM_400000_NS6detail17trampoline_kernelINS0_14default_configENS1_38merge_sort_block_merge_config_selectorIN3c104HalfElEEZZNS1_27merge_sort_block_merge_implIS3_PS6_N6thrust23THRUST_200600_302600_NS10device_ptrIlEEmNSB_4lessIS6_EEEE10hipError_tT0_T1_T2_jT3_P12ihipStream_tbPNSt15iterator_traitsISH_E10value_typeEPNSN_ISI_E10value_typeEPSJ_NS1_7vsmem_tEENKUlT_SH_SI_SJ_E_clIS9_S9_SD_PlEESG_SW_SH_SI_SJ_EUlSW_E0_NS1_11comp_targetILNS1_3genE10ELNS1_11target_archE1201ELNS1_3gpuE5ELNS1_3repE0EEENS1_38merge_mergepath_config_static_selectorELNS0_4arch9wavefront6targetE1EEEvSI_,"axG",@progbits,_ZN7rocprim17ROCPRIM_400000_NS6detail17trampoline_kernelINS0_14default_configENS1_38merge_sort_block_merge_config_selectorIN3c104HalfElEEZZNS1_27merge_sort_block_merge_implIS3_PS6_N6thrust23THRUST_200600_302600_NS10device_ptrIlEEmNSB_4lessIS6_EEEE10hipError_tT0_T1_T2_jT3_P12ihipStream_tbPNSt15iterator_traitsISH_E10value_typeEPNSN_ISI_E10value_typeEPSJ_NS1_7vsmem_tEENKUlT_SH_SI_SJ_E_clIS9_S9_SD_PlEESG_SW_SH_SI_SJ_EUlSW_E0_NS1_11comp_targetILNS1_3genE10ELNS1_11target_archE1201ELNS1_3gpuE5ELNS1_3repE0EEENS1_38merge_mergepath_config_static_selectorELNS0_4arch9wavefront6targetE1EEEvSI_,comdat
	.protected	_ZN7rocprim17ROCPRIM_400000_NS6detail17trampoline_kernelINS0_14default_configENS1_38merge_sort_block_merge_config_selectorIN3c104HalfElEEZZNS1_27merge_sort_block_merge_implIS3_PS6_N6thrust23THRUST_200600_302600_NS10device_ptrIlEEmNSB_4lessIS6_EEEE10hipError_tT0_T1_T2_jT3_P12ihipStream_tbPNSt15iterator_traitsISH_E10value_typeEPNSN_ISI_E10value_typeEPSJ_NS1_7vsmem_tEENKUlT_SH_SI_SJ_E_clIS9_S9_SD_PlEESG_SW_SH_SI_SJ_EUlSW_E0_NS1_11comp_targetILNS1_3genE10ELNS1_11target_archE1201ELNS1_3gpuE5ELNS1_3repE0EEENS1_38merge_mergepath_config_static_selectorELNS0_4arch9wavefront6targetE1EEEvSI_ ; -- Begin function _ZN7rocprim17ROCPRIM_400000_NS6detail17trampoline_kernelINS0_14default_configENS1_38merge_sort_block_merge_config_selectorIN3c104HalfElEEZZNS1_27merge_sort_block_merge_implIS3_PS6_N6thrust23THRUST_200600_302600_NS10device_ptrIlEEmNSB_4lessIS6_EEEE10hipError_tT0_T1_T2_jT3_P12ihipStream_tbPNSt15iterator_traitsISH_E10value_typeEPNSN_ISI_E10value_typeEPSJ_NS1_7vsmem_tEENKUlT_SH_SI_SJ_E_clIS9_S9_SD_PlEESG_SW_SH_SI_SJ_EUlSW_E0_NS1_11comp_targetILNS1_3genE10ELNS1_11target_archE1201ELNS1_3gpuE5ELNS1_3repE0EEENS1_38merge_mergepath_config_static_selectorELNS0_4arch9wavefront6targetE1EEEvSI_
	.globl	_ZN7rocprim17ROCPRIM_400000_NS6detail17trampoline_kernelINS0_14default_configENS1_38merge_sort_block_merge_config_selectorIN3c104HalfElEEZZNS1_27merge_sort_block_merge_implIS3_PS6_N6thrust23THRUST_200600_302600_NS10device_ptrIlEEmNSB_4lessIS6_EEEE10hipError_tT0_T1_T2_jT3_P12ihipStream_tbPNSt15iterator_traitsISH_E10value_typeEPNSN_ISI_E10value_typeEPSJ_NS1_7vsmem_tEENKUlT_SH_SI_SJ_E_clIS9_S9_SD_PlEESG_SW_SH_SI_SJ_EUlSW_E0_NS1_11comp_targetILNS1_3genE10ELNS1_11target_archE1201ELNS1_3gpuE5ELNS1_3repE0EEENS1_38merge_mergepath_config_static_selectorELNS0_4arch9wavefront6targetE1EEEvSI_
	.p2align	8
	.type	_ZN7rocprim17ROCPRIM_400000_NS6detail17trampoline_kernelINS0_14default_configENS1_38merge_sort_block_merge_config_selectorIN3c104HalfElEEZZNS1_27merge_sort_block_merge_implIS3_PS6_N6thrust23THRUST_200600_302600_NS10device_ptrIlEEmNSB_4lessIS6_EEEE10hipError_tT0_T1_T2_jT3_P12ihipStream_tbPNSt15iterator_traitsISH_E10value_typeEPNSN_ISI_E10value_typeEPSJ_NS1_7vsmem_tEENKUlT_SH_SI_SJ_E_clIS9_S9_SD_PlEESG_SW_SH_SI_SJ_EUlSW_E0_NS1_11comp_targetILNS1_3genE10ELNS1_11target_archE1201ELNS1_3gpuE5ELNS1_3repE0EEENS1_38merge_mergepath_config_static_selectorELNS0_4arch9wavefront6targetE1EEEvSI_,@function
_ZN7rocprim17ROCPRIM_400000_NS6detail17trampoline_kernelINS0_14default_configENS1_38merge_sort_block_merge_config_selectorIN3c104HalfElEEZZNS1_27merge_sort_block_merge_implIS3_PS6_N6thrust23THRUST_200600_302600_NS10device_ptrIlEEmNSB_4lessIS6_EEEE10hipError_tT0_T1_T2_jT3_P12ihipStream_tbPNSt15iterator_traitsISH_E10value_typeEPNSN_ISI_E10value_typeEPSJ_NS1_7vsmem_tEENKUlT_SH_SI_SJ_E_clIS9_S9_SD_PlEESG_SW_SH_SI_SJ_EUlSW_E0_NS1_11comp_targetILNS1_3genE10ELNS1_11target_archE1201ELNS1_3gpuE5ELNS1_3repE0EEENS1_38merge_mergepath_config_static_selectorELNS0_4arch9wavefront6targetE1EEEvSI_: ; @_ZN7rocprim17ROCPRIM_400000_NS6detail17trampoline_kernelINS0_14default_configENS1_38merge_sort_block_merge_config_selectorIN3c104HalfElEEZZNS1_27merge_sort_block_merge_implIS3_PS6_N6thrust23THRUST_200600_302600_NS10device_ptrIlEEmNSB_4lessIS6_EEEE10hipError_tT0_T1_T2_jT3_P12ihipStream_tbPNSt15iterator_traitsISH_E10value_typeEPNSN_ISI_E10value_typeEPSJ_NS1_7vsmem_tEENKUlT_SH_SI_SJ_E_clIS9_S9_SD_PlEESG_SW_SH_SI_SJ_EUlSW_E0_NS1_11comp_targetILNS1_3genE10ELNS1_11target_archE1201ELNS1_3gpuE5ELNS1_3repE0EEENS1_38merge_mergepath_config_static_selectorELNS0_4arch9wavefront6targetE1EEEvSI_
; %bb.0:
	.section	.rodata,"a",@progbits
	.p2align	6, 0x0
	.amdhsa_kernel _ZN7rocprim17ROCPRIM_400000_NS6detail17trampoline_kernelINS0_14default_configENS1_38merge_sort_block_merge_config_selectorIN3c104HalfElEEZZNS1_27merge_sort_block_merge_implIS3_PS6_N6thrust23THRUST_200600_302600_NS10device_ptrIlEEmNSB_4lessIS6_EEEE10hipError_tT0_T1_T2_jT3_P12ihipStream_tbPNSt15iterator_traitsISH_E10value_typeEPNSN_ISI_E10value_typeEPSJ_NS1_7vsmem_tEENKUlT_SH_SI_SJ_E_clIS9_S9_SD_PlEESG_SW_SH_SI_SJ_EUlSW_E0_NS1_11comp_targetILNS1_3genE10ELNS1_11target_archE1201ELNS1_3gpuE5ELNS1_3repE0EEENS1_38merge_mergepath_config_static_selectorELNS0_4arch9wavefront6targetE1EEEvSI_
		.amdhsa_group_segment_fixed_size 0
		.amdhsa_private_segment_fixed_size 0
		.amdhsa_kernarg_size 72
		.amdhsa_user_sgpr_count 6
		.amdhsa_user_sgpr_private_segment_buffer 1
		.amdhsa_user_sgpr_dispatch_ptr 0
		.amdhsa_user_sgpr_queue_ptr 0
		.amdhsa_user_sgpr_kernarg_segment_ptr 1
		.amdhsa_user_sgpr_dispatch_id 0
		.amdhsa_user_sgpr_flat_scratch_init 0
		.amdhsa_user_sgpr_private_segment_size 0
		.amdhsa_uses_dynamic_stack 0
		.amdhsa_system_sgpr_private_segment_wavefront_offset 0
		.amdhsa_system_sgpr_workgroup_id_x 1
		.amdhsa_system_sgpr_workgroup_id_y 0
		.amdhsa_system_sgpr_workgroup_id_z 0
		.amdhsa_system_sgpr_workgroup_info 0
		.amdhsa_system_vgpr_workitem_id 0
		.amdhsa_next_free_vgpr 1
		.amdhsa_next_free_sgpr 0
		.amdhsa_reserve_vcc 0
		.amdhsa_reserve_flat_scratch 0
		.amdhsa_float_round_mode_32 0
		.amdhsa_float_round_mode_16_64 0
		.amdhsa_float_denorm_mode_32 3
		.amdhsa_float_denorm_mode_16_64 3
		.amdhsa_dx10_clamp 1
		.amdhsa_ieee_mode 1
		.amdhsa_fp16_overflow 0
		.amdhsa_exception_fp_ieee_invalid_op 0
		.amdhsa_exception_fp_denorm_src 0
		.amdhsa_exception_fp_ieee_div_zero 0
		.amdhsa_exception_fp_ieee_overflow 0
		.amdhsa_exception_fp_ieee_underflow 0
		.amdhsa_exception_fp_ieee_inexact 0
		.amdhsa_exception_int_div_zero 0
	.end_amdhsa_kernel
	.section	.text._ZN7rocprim17ROCPRIM_400000_NS6detail17trampoline_kernelINS0_14default_configENS1_38merge_sort_block_merge_config_selectorIN3c104HalfElEEZZNS1_27merge_sort_block_merge_implIS3_PS6_N6thrust23THRUST_200600_302600_NS10device_ptrIlEEmNSB_4lessIS6_EEEE10hipError_tT0_T1_T2_jT3_P12ihipStream_tbPNSt15iterator_traitsISH_E10value_typeEPNSN_ISI_E10value_typeEPSJ_NS1_7vsmem_tEENKUlT_SH_SI_SJ_E_clIS9_S9_SD_PlEESG_SW_SH_SI_SJ_EUlSW_E0_NS1_11comp_targetILNS1_3genE10ELNS1_11target_archE1201ELNS1_3gpuE5ELNS1_3repE0EEENS1_38merge_mergepath_config_static_selectorELNS0_4arch9wavefront6targetE1EEEvSI_,"axG",@progbits,_ZN7rocprim17ROCPRIM_400000_NS6detail17trampoline_kernelINS0_14default_configENS1_38merge_sort_block_merge_config_selectorIN3c104HalfElEEZZNS1_27merge_sort_block_merge_implIS3_PS6_N6thrust23THRUST_200600_302600_NS10device_ptrIlEEmNSB_4lessIS6_EEEE10hipError_tT0_T1_T2_jT3_P12ihipStream_tbPNSt15iterator_traitsISH_E10value_typeEPNSN_ISI_E10value_typeEPSJ_NS1_7vsmem_tEENKUlT_SH_SI_SJ_E_clIS9_S9_SD_PlEESG_SW_SH_SI_SJ_EUlSW_E0_NS1_11comp_targetILNS1_3genE10ELNS1_11target_archE1201ELNS1_3gpuE5ELNS1_3repE0EEENS1_38merge_mergepath_config_static_selectorELNS0_4arch9wavefront6targetE1EEEvSI_,comdat
.Lfunc_end2157:
	.size	_ZN7rocprim17ROCPRIM_400000_NS6detail17trampoline_kernelINS0_14default_configENS1_38merge_sort_block_merge_config_selectorIN3c104HalfElEEZZNS1_27merge_sort_block_merge_implIS3_PS6_N6thrust23THRUST_200600_302600_NS10device_ptrIlEEmNSB_4lessIS6_EEEE10hipError_tT0_T1_T2_jT3_P12ihipStream_tbPNSt15iterator_traitsISH_E10value_typeEPNSN_ISI_E10value_typeEPSJ_NS1_7vsmem_tEENKUlT_SH_SI_SJ_E_clIS9_S9_SD_PlEESG_SW_SH_SI_SJ_EUlSW_E0_NS1_11comp_targetILNS1_3genE10ELNS1_11target_archE1201ELNS1_3gpuE5ELNS1_3repE0EEENS1_38merge_mergepath_config_static_selectorELNS0_4arch9wavefront6targetE1EEEvSI_, .Lfunc_end2157-_ZN7rocprim17ROCPRIM_400000_NS6detail17trampoline_kernelINS0_14default_configENS1_38merge_sort_block_merge_config_selectorIN3c104HalfElEEZZNS1_27merge_sort_block_merge_implIS3_PS6_N6thrust23THRUST_200600_302600_NS10device_ptrIlEEmNSB_4lessIS6_EEEE10hipError_tT0_T1_T2_jT3_P12ihipStream_tbPNSt15iterator_traitsISH_E10value_typeEPNSN_ISI_E10value_typeEPSJ_NS1_7vsmem_tEENKUlT_SH_SI_SJ_E_clIS9_S9_SD_PlEESG_SW_SH_SI_SJ_EUlSW_E0_NS1_11comp_targetILNS1_3genE10ELNS1_11target_archE1201ELNS1_3gpuE5ELNS1_3repE0EEENS1_38merge_mergepath_config_static_selectorELNS0_4arch9wavefront6targetE1EEEvSI_
                                        ; -- End function
	.set _ZN7rocprim17ROCPRIM_400000_NS6detail17trampoline_kernelINS0_14default_configENS1_38merge_sort_block_merge_config_selectorIN3c104HalfElEEZZNS1_27merge_sort_block_merge_implIS3_PS6_N6thrust23THRUST_200600_302600_NS10device_ptrIlEEmNSB_4lessIS6_EEEE10hipError_tT0_T1_T2_jT3_P12ihipStream_tbPNSt15iterator_traitsISH_E10value_typeEPNSN_ISI_E10value_typeEPSJ_NS1_7vsmem_tEENKUlT_SH_SI_SJ_E_clIS9_S9_SD_PlEESG_SW_SH_SI_SJ_EUlSW_E0_NS1_11comp_targetILNS1_3genE10ELNS1_11target_archE1201ELNS1_3gpuE5ELNS1_3repE0EEENS1_38merge_mergepath_config_static_selectorELNS0_4arch9wavefront6targetE1EEEvSI_.num_vgpr, 0
	.set _ZN7rocprim17ROCPRIM_400000_NS6detail17trampoline_kernelINS0_14default_configENS1_38merge_sort_block_merge_config_selectorIN3c104HalfElEEZZNS1_27merge_sort_block_merge_implIS3_PS6_N6thrust23THRUST_200600_302600_NS10device_ptrIlEEmNSB_4lessIS6_EEEE10hipError_tT0_T1_T2_jT3_P12ihipStream_tbPNSt15iterator_traitsISH_E10value_typeEPNSN_ISI_E10value_typeEPSJ_NS1_7vsmem_tEENKUlT_SH_SI_SJ_E_clIS9_S9_SD_PlEESG_SW_SH_SI_SJ_EUlSW_E0_NS1_11comp_targetILNS1_3genE10ELNS1_11target_archE1201ELNS1_3gpuE5ELNS1_3repE0EEENS1_38merge_mergepath_config_static_selectorELNS0_4arch9wavefront6targetE1EEEvSI_.num_agpr, 0
	.set _ZN7rocprim17ROCPRIM_400000_NS6detail17trampoline_kernelINS0_14default_configENS1_38merge_sort_block_merge_config_selectorIN3c104HalfElEEZZNS1_27merge_sort_block_merge_implIS3_PS6_N6thrust23THRUST_200600_302600_NS10device_ptrIlEEmNSB_4lessIS6_EEEE10hipError_tT0_T1_T2_jT3_P12ihipStream_tbPNSt15iterator_traitsISH_E10value_typeEPNSN_ISI_E10value_typeEPSJ_NS1_7vsmem_tEENKUlT_SH_SI_SJ_E_clIS9_S9_SD_PlEESG_SW_SH_SI_SJ_EUlSW_E0_NS1_11comp_targetILNS1_3genE10ELNS1_11target_archE1201ELNS1_3gpuE5ELNS1_3repE0EEENS1_38merge_mergepath_config_static_selectorELNS0_4arch9wavefront6targetE1EEEvSI_.numbered_sgpr, 0
	.set _ZN7rocprim17ROCPRIM_400000_NS6detail17trampoline_kernelINS0_14default_configENS1_38merge_sort_block_merge_config_selectorIN3c104HalfElEEZZNS1_27merge_sort_block_merge_implIS3_PS6_N6thrust23THRUST_200600_302600_NS10device_ptrIlEEmNSB_4lessIS6_EEEE10hipError_tT0_T1_T2_jT3_P12ihipStream_tbPNSt15iterator_traitsISH_E10value_typeEPNSN_ISI_E10value_typeEPSJ_NS1_7vsmem_tEENKUlT_SH_SI_SJ_E_clIS9_S9_SD_PlEESG_SW_SH_SI_SJ_EUlSW_E0_NS1_11comp_targetILNS1_3genE10ELNS1_11target_archE1201ELNS1_3gpuE5ELNS1_3repE0EEENS1_38merge_mergepath_config_static_selectorELNS0_4arch9wavefront6targetE1EEEvSI_.num_named_barrier, 0
	.set _ZN7rocprim17ROCPRIM_400000_NS6detail17trampoline_kernelINS0_14default_configENS1_38merge_sort_block_merge_config_selectorIN3c104HalfElEEZZNS1_27merge_sort_block_merge_implIS3_PS6_N6thrust23THRUST_200600_302600_NS10device_ptrIlEEmNSB_4lessIS6_EEEE10hipError_tT0_T1_T2_jT3_P12ihipStream_tbPNSt15iterator_traitsISH_E10value_typeEPNSN_ISI_E10value_typeEPSJ_NS1_7vsmem_tEENKUlT_SH_SI_SJ_E_clIS9_S9_SD_PlEESG_SW_SH_SI_SJ_EUlSW_E0_NS1_11comp_targetILNS1_3genE10ELNS1_11target_archE1201ELNS1_3gpuE5ELNS1_3repE0EEENS1_38merge_mergepath_config_static_selectorELNS0_4arch9wavefront6targetE1EEEvSI_.private_seg_size, 0
	.set _ZN7rocprim17ROCPRIM_400000_NS6detail17trampoline_kernelINS0_14default_configENS1_38merge_sort_block_merge_config_selectorIN3c104HalfElEEZZNS1_27merge_sort_block_merge_implIS3_PS6_N6thrust23THRUST_200600_302600_NS10device_ptrIlEEmNSB_4lessIS6_EEEE10hipError_tT0_T1_T2_jT3_P12ihipStream_tbPNSt15iterator_traitsISH_E10value_typeEPNSN_ISI_E10value_typeEPSJ_NS1_7vsmem_tEENKUlT_SH_SI_SJ_E_clIS9_S9_SD_PlEESG_SW_SH_SI_SJ_EUlSW_E0_NS1_11comp_targetILNS1_3genE10ELNS1_11target_archE1201ELNS1_3gpuE5ELNS1_3repE0EEENS1_38merge_mergepath_config_static_selectorELNS0_4arch9wavefront6targetE1EEEvSI_.uses_vcc, 0
	.set _ZN7rocprim17ROCPRIM_400000_NS6detail17trampoline_kernelINS0_14default_configENS1_38merge_sort_block_merge_config_selectorIN3c104HalfElEEZZNS1_27merge_sort_block_merge_implIS3_PS6_N6thrust23THRUST_200600_302600_NS10device_ptrIlEEmNSB_4lessIS6_EEEE10hipError_tT0_T1_T2_jT3_P12ihipStream_tbPNSt15iterator_traitsISH_E10value_typeEPNSN_ISI_E10value_typeEPSJ_NS1_7vsmem_tEENKUlT_SH_SI_SJ_E_clIS9_S9_SD_PlEESG_SW_SH_SI_SJ_EUlSW_E0_NS1_11comp_targetILNS1_3genE10ELNS1_11target_archE1201ELNS1_3gpuE5ELNS1_3repE0EEENS1_38merge_mergepath_config_static_selectorELNS0_4arch9wavefront6targetE1EEEvSI_.uses_flat_scratch, 0
	.set _ZN7rocprim17ROCPRIM_400000_NS6detail17trampoline_kernelINS0_14default_configENS1_38merge_sort_block_merge_config_selectorIN3c104HalfElEEZZNS1_27merge_sort_block_merge_implIS3_PS6_N6thrust23THRUST_200600_302600_NS10device_ptrIlEEmNSB_4lessIS6_EEEE10hipError_tT0_T1_T2_jT3_P12ihipStream_tbPNSt15iterator_traitsISH_E10value_typeEPNSN_ISI_E10value_typeEPSJ_NS1_7vsmem_tEENKUlT_SH_SI_SJ_E_clIS9_S9_SD_PlEESG_SW_SH_SI_SJ_EUlSW_E0_NS1_11comp_targetILNS1_3genE10ELNS1_11target_archE1201ELNS1_3gpuE5ELNS1_3repE0EEENS1_38merge_mergepath_config_static_selectorELNS0_4arch9wavefront6targetE1EEEvSI_.has_dyn_sized_stack, 0
	.set _ZN7rocprim17ROCPRIM_400000_NS6detail17trampoline_kernelINS0_14default_configENS1_38merge_sort_block_merge_config_selectorIN3c104HalfElEEZZNS1_27merge_sort_block_merge_implIS3_PS6_N6thrust23THRUST_200600_302600_NS10device_ptrIlEEmNSB_4lessIS6_EEEE10hipError_tT0_T1_T2_jT3_P12ihipStream_tbPNSt15iterator_traitsISH_E10value_typeEPNSN_ISI_E10value_typeEPSJ_NS1_7vsmem_tEENKUlT_SH_SI_SJ_E_clIS9_S9_SD_PlEESG_SW_SH_SI_SJ_EUlSW_E0_NS1_11comp_targetILNS1_3genE10ELNS1_11target_archE1201ELNS1_3gpuE5ELNS1_3repE0EEENS1_38merge_mergepath_config_static_selectorELNS0_4arch9wavefront6targetE1EEEvSI_.has_recursion, 0
	.set _ZN7rocprim17ROCPRIM_400000_NS6detail17trampoline_kernelINS0_14default_configENS1_38merge_sort_block_merge_config_selectorIN3c104HalfElEEZZNS1_27merge_sort_block_merge_implIS3_PS6_N6thrust23THRUST_200600_302600_NS10device_ptrIlEEmNSB_4lessIS6_EEEE10hipError_tT0_T1_T2_jT3_P12ihipStream_tbPNSt15iterator_traitsISH_E10value_typeEPNSN_ISI_E10value_typeEPSJ_NS1_7vsmem_tEENKUlT_SH_SI_SJ_E_clIS9_S9_SD_PlEESG_SW_SH_SI_SJ_EUlSW_E0_NS1_11comp_targetILNS1_3genE10ELNS1_11target_archE1201ELNS1_3gpuE5ELNS1_3repE0EEENS1_38merge_mergepath_config_static_selectorELNS0_4arch9wavefront6targetE1EEEvSI_.has_indirect_call, 0
	.section	.AMDGPU.csdata,"",@progbits
; Kernel info:
; codeLenInByte = 0
; TotalNumSgprs: 4
; NumVgprs: 0
; ScratchSize: 0
; MemoryBound: 0
; FloatMode: 240
; IeeeMode: 1
; LDSByteSize: 0 bytes/workgroup (compile time only)
; SGPRBlocks: 0
; VGPRBlocks: 0
; NumSGPRsForWavesPerEU: 4
; NumVGPRsForWavesPerEU: 1
; Occupancy: 10
; WaveLimiterHint : 0
; COMPUTE_PGM_RSRC2:SCRATCH_EN: 0
; COMPUTE_PGM_RSRC2:USER_SGPR: 6
; COMPUTE_PGM_RSRC2:TRAP_HANDLER: 0
; COMPUTE_PGM_RSRC2:TGID_X_EN: 1
; COMPUTE_PGM_RSRC2:TGID_Y_EN: 0
; COMPUTE_PGM_RSRC2:TGID_Z_EN: 0
; COMPUTE_PGM_RSRC2:TIDIG_COMP_CNT: 0
	.section	.text._ZN7rocprim17ROCPRIM_400000_NS6detail17trampoline_kernelINS0_14default_configENS1_38merge_sort_block_merge_config_selectorIN3c104HalfElEEZZNS1_27merge_sort_block_merge_implIS3_PS6_N6thrust23THRUST_200600_302600_NS10device_ptrIlEEmNSB_4lessIS6_EEEE10hipError_tT0_T1_T2_jT3_P12ihipStream_tbPNSt15iterator_traitsISH_E10value_typeEPNSN_ISI_E10value_typeEPSJ_NS1_7vsmem_tEENKUlT_SH_SI_SJ_E_clIS9_S9_SD_PlEESG_SW_SH_SI_SJ_EUlSW_E0_NS1_11comp_targetILNS1_3genE5ELNS1_11target_archE942ELNS1_3gpuE9ELNS1_3repE0EEENS1_38merge_mergepath_config_static_selectorELNS0_4arch9wavefront6targetE1EEEvSI_,"axG",@progbits,_ZN7rocprim17ROCPRIM_400000_NS6detail17trampoline_kernelINS0_14default_configENS1_38merge_sort_block_merge_config_selectorIN3c104HalfElEEZZNS1_27merge_sort_block_merge_implIS3_PS6_N6thrust23THRUST_200600_302600_NS10device_ptrIlEEmNSB_4lessIS6_EEEE10hipError_tT0_T1_T2_jT3_P12ihipStream_tbPNSt15iterator_traitsISH_E10value_typeEPNSN_ISI_E10value_typeEPSJ_NS1_7vsmem_tEENKUlT_SH_SI_SJ_E_clIS9_S9_SD_PlEESG_SW_SH_SI_SJ_EUlSW_E0_NS1_11comp_targetILNS1_3genE5ELNS1_11target_archE942ELNS1_3gpuE9ELNS1_3repE0EEENS1_38merge_mergepath_config_static_selectorELNS0_4arch9wavefront6targetE1EEEvSI_,comdat
	.protected	_ZN7rocprim17ROCPRIM_400000_NS6detail17trampoline_kernelINS0_14default_configENS1_38merge_sort_block_merge_config_selectorIN3c104HalfElEEZZNS1_27merge_sort_block_merge_implIS3_PS6_N6thrust23THRUST_200600_302600_NS10device_ptrIlEEmNSB_4lessIS6_EEEE10hipError_tT0_T1_T2_jT3_P12ihipStream_tbPNSt15iterator_traitsISH_E10value_typeEPNSN_ISI_E10value_typeEPSJ_NS1_7vsmem_tEENKUlT_SH_SI_SJ_E_clIS9_S9_SD_PlEESG_SW_SH_SI_SJ_EUlSW_E0_NS1_11comp_targetILNS1_3genE5ELNS1_11target_archE942ELNS1_3gpuE9ELNS1_3repE0EEENS1_38merge_mergepath_config_static_selectorELNS0_4arch9wavefront6targetE1EEEvSI_ ; -- Begin function _ZN7rocprim17ROCPRIM_400000_NS6detail17trampoline_kernelINS0_14default_configENS1_38merge_sort_block_merge_config_selectorIN3c104HalfElEEZZNS1_27merge_sort_block_merge_implIS3_PS6_N6thrust23THRUST_200600_302600_NS10device_ptrIlEEmNSB_4lessIS6_EEEE10hipError_tT0_T1_T2_jT3_P12ihipStream_tbPNSt15iterator_traitsISH_E10value_typeEPNSN_ISI_E10value_typeEPSJ_NS1_7vsmem_tEENKUlT_SH_SI_SJ_E_clIS9_S9_SD_PlEESG_SW_SH_SI_SJ_EUlSW_E0_NS1_11comp_targetILNS1_3genE5ELNS1_11target_archE942ELNS1_3gpuE9ELNS1_3repE0EEENS1_38merge_mergepath_config_static_selectorELNS0_4arch9wavefront6targetE1EEEvSI_
	.globl	_ZN7rocprim17ROCPRIM_400000_NS6detail17trampoline_kernelINS0_14default_configENS1_38merge_sort_block_merge_config_selectorIN3c104HalfElEEZZNS1_27merge_sort_block_merge_implIS3_PS6_N6thrust23THRUST_200600_302600_NS10device_ptrIlEEmNSB_4lessIS6_EEEE10hipError_tT0_T1_T2_jT3_P12ihipStream_tbPNSt15iterator_traitsISH_E10value_typeEPNSN_ISI_E10value_typeEPSJ_NS1_7vsmem_tEENKUlT_SH_SI_SJ_E_clIS9_S9_SD_PlEESG_SW_SH_SI_SJ_EUlSW_E0_NS1_11comp_targetILNS1_3genE5ELNS1_11target_archE942ELNS1_3gpuE9ELNS1_3repE0EEENS1_38merge_mergepath_config_static_selectorELNS0_4arch9wavefront6targetE1EEEvSI_
	.p2align	8
	.type	_ZN7rocprim17ROCPRIM_400000_NS6detail17trampoline_kernelINS0_14default_configENS1_38merge_sort_block_merge_config_selectorIN3c104HalfElEEZZNS1_27merge_sort_block_merge_implIS3_PS6_N6thrust23THRUST_200600_302600_NS10device_ptrIlEEmNSB_4lessIS6_EEEE10hipError_tT0_T1_T2_jT3_P12ihipStream_tbPNSt15iterator_traitsISH_E10value_typeEPNSN_ISI_E10value_typeEPSJ_NS1_7vsmem_tEENKUlT_SH_SI_SJ_E_clIS9_S9_SD_PlEESG_SW_SH_SI_SJ_EUlSW_E0_NS1_11comp_targetILNS1_3genE5ELNS1_11target_archE942ELNS1_3gpuE9ELNS1_3repE0EEENS1_38merge_mergepath_config_static_selectorELNS0_4arch9wavefront6targetE1EEEvSI_,@function
_ZN7rocprim17ROCPRIM_400000_NS6detail17trampoline_kernelINS0_14default_configENS1_38merge_sort_block_merge_config_selectorIN3c104HalfElEEZZNS1_27merge_sort_block_merge_implIS3_PS6_N6thrust23THRUST_200600_302600_NS10device_ptrIlEEmNSB_4lessIS6_EEEE10hipError_tT0_T1_T2_jT3_P12ihipStream_tbPNSt15iterator_traitsISH_E10value_typeEPNSN_ISI_E10value_typeEPSJ_NS1_7vsmem_tEENKUlT_SH_SI_SJ_E_clIS9_S9_SD_PlEESG_SW_SH_SI_SJ_EUlSW_E0_NS1_11comp_targetILNS1_3genE5ELNS1_11target_archE942ELNS1_3gpuE9ELNS1_3repE0EEENS1_38merge_mergepath_config_static_selectorELNS0_4arch9wavefront6targetE1EEEvSI_: ; @_ZN7rocprim17ROCPRIM_400000_NS6detail17trampoline_kernelINS0_14default_configENS1_38merge_sort_block_merge_config_selectorIN3c104HalfElEEZZNS1_27merge_sort_block_merge_implIS3_PS6_N6thrust23THRUST_200600_302600_NS10device_ptrIlEEmNSB_4lessIS6_EEEE10hipError_tT0_T1_T2_jT3_P12ihipStream_tbPNSt15iterator_traitsISH_E10value_typeEPNSN_ISI_E10value_typeEPSJ_NS1_7vsmem_tEENKUlT_SH_SI_SJ_E_clIS9_S9_SD_PlEESG_SW_SH_SI_SJ_EUlSW_E0_NS1_11comp_targetILNS1_3genE5ELNS1_11target_archE942ELNS1_3gpuE9ELNS1_3repE0EEENS1_38merge_mergepath_config_static_selectorELNS0_4arch9wavefront6targetE1EEEvSI_
; %bb.0:
	.section	.rodata,"a",@progbits
	.p2align	6, 0x0
	.amdhsa_kernel _ZN7rocprim17ROCPRIM_400000_NS6detail17trampoline_kernelINS0_14default_configENS1_38merge_sort_block_merge_config_selectorIN3c104HalfElEEZZNS1_27merge_sort_block_merge_implIS3_PS6_N6thrust23THRUST_200600_302600_NS10device_ptrIlEEmNSB_4lessIS6_EEEE10hipError_tT0_T1_T2_jT3_P12ihipStream_tbPNSt15iterator_traitsISH_E10value_typeEPNSN_ISI_E10value_typeEPSJ_NS1_7vsmem_tEENKUlT_SH_SI_SJ_E_clIS9_S9_SD_PlEESG_SW_SH_SI_SJ_EUlSW_E0_NS1_11comp_targetILNS1_3genE5ELNS1_11target_archE942ELNS1_3gpuE9ELNS1_3repE0EEENS1_38merge_mergepath_config_static_selectorELNS0_4arch9wavefront6targetE1EEEvSI_
		.amdhsa_group_segment_fixed_size 0
		.amdhsa_private_segment_fixed_size 0
		.amdhsa_kernarg_size 72
		.amdhsa_user_sgpr_count 6
		.amdhsa_user_sgpr_private_segment_buffer 1
		.amdhsa_user_sgpr_dispatch_ptr 0
		.amdhsa_user_sgpr_queue_ptr 0
		.amdhsa_user_sgpr_kernarg_segment_ptr 1
		.amdhsa_user_sgpr_dispatch_id 0
		.amdhsa_user_sgpr_flat_scratch_init 0
		.amdhsa_user_sgpr_private_segment_size 0
		.amdhsa_uses_dynamic_stack 0
		.amdhsa_system_sgpr_private_segment_wavefront_offset 0
		.amdhsa_system_sgpr_workgroup_id_x 1
		.amdhsa_system_sgpr_workgroup_id_y 0
		.amdhsa_system_sgpr_workgroup_id_z 0
		.amdhsa_system_sgpr_workgroup_info 0
		.amdhsa_system_vgpr_workitem_id 0
		.amdhsa_next_free_vgpr 1
		.amdhsa_next_free_sgpr 0
		.amdhsa_reserve_vcc 0
		.amdhsa_reserve_flat_scratch 0
		.amdhsa_float_round_mode_32 0
		.amdhsa_float_round_mode_16_64 0
		.amdhsa_float_denorm_mode_32 3
		.amdhsa_float_denorm_mode_16_64 3
		.amdhsa_dx10_clamp 1
		.amdhsa_ieee_mode 1
		.amdhsa_fp16_overflow 0
		.amdhsa_exception_fp_ieee_invalid_op 0
		.amdhsa_exception_fp_denorm_src 0
		.amdhsa_exception_fp_ieee_div_zero 0
		.amdhsa_exception_fp_ieee_overflow 0
		.amdhsa_exception_fp_ieee_underflow 0
		.amdhsa_exception_fp_ieee_inexact 0
		.amdhsa_exception_int_div_zero 0
	.end_amdhsa_kernel
	.section	.text._ZN7rocprim17ROCPRIM_400000_NS6detail17trampoline_kernelINS0_14default_configENS1_38merge_sort_block_merge_config_selectorIN3c104HalfElEEZZNS1_27merge_sort_block_merge_implIS3_PS6_N6thrust23THRUST_200600_302600_NS10device_ptrIlEEmNSB_4lessIS6_EEEE10hipError_tT0_T1_T2_jT3_P12ihipStream_tbPNSt15iterator_traitsISH_E10value_typeEPNSN_ISI_E10value_typeEPSJ_NS1_7vsmem_tEENKUlT_SH_SI_SJ_E_clIS9_S9_SD_PlEESG_SW_SH_SI_SJ_EUlSW_E0_NS1_11comp_targetILNS1_3genE5ELNS1_11target_archE942ELNS1_3gpuE9ELNS1_3repE0EEENS1_38merge_mergepath_config_static_selectorELNS0_4arch9wavefront6targetE1EEEvSI_,"axG",@progbits,_ZN7rocprim17ROCPRIM_400000_NS6detail17trampoline_kernelINS0_14default_configENS1_38merge_sort_block_merge_config_selectorIN3c104HalfElEEZZNS1_27merge_sort_block_merge_implIS3_PS6_N6thrust23THRUST_200600_302600_NS10device_ptrIlEEmNSB_4lessIS6_EEEE10hipError_tT0_T1_T2_jT3_P12ihipStream_tbPNSt15iterator_traitsISH_E10value_typeEPNSN_ISI_E10value_typeEPSJ_NS1_7vsmem_tEENKUlT_SH_SI_SJ_E_clIS9_S9_SD_PlEESG_SW_SH_SI_SJ_EUlSW_E0_NS1_11comp_targetILNS1_3genE5ELNS1_11target_archE942ELNS1_3gpuE9ELNS1_3repE0EEENS1_38merge_mergepath_config_static_selectorELNS0_4arch9wavefront6targetE1EEEvSI_,comdat
.Lfunc_end2158:
	.size	_ZN7rocprim17ROCPRIM_400000_NS6detail17trampoline_kernelINS0_14default_configENS1_38merge_sort_block_merge_config_selectorIN3c104HalfElEEZZNS1_27merge_sort_block_merge_implIS3_PS6_N6thrust23THRUST_200600_302600_NS10device_ptrIlEEmNSB_4lessIS6_EEEE10hipError_tT0_T1_T2_jT3_P12ihipStream_tbPNSt15iterator_traitsISH_E10value_typeEPNSN_ISI_E10value_typeEPSJ_NS1_7vsmem_tEENKUlT_SH_SI_SJ_E_clIS9_S9_SD_PlEESG_SW_SH_SI_SJ_EUlSW_E0_NS1_11comp_targetILNS1_3genE5ELNS1_11target_archE942ELNS1_3gpuE9ELNS1_3repE0EEENS1_38merge_mergepath_config_static_selectorELNS0_4arch9wavefront6targetE1EEEvSI_, .Lfunc_end2158-_ZN7rocprim17ROCPRIM_400000_NS6detail17trampoline_kernelINS0_14default_configENS1_38merge_sort_block_merge_config_selectorIN3c104HalfElEEZZNS1_27merge_sort_block_merge_implIS3_PS6_N6thrust23THRUST_200600_302600_NS10device_ptrIlEEmNSB_4lessIS6_EEEE10hipError_tT0_T1_T2_jT3_P12ihipStream_tbPNSt15iterator_traitsISH_E10value_typeEPNSN_ISI_E10value_typeEPSJ_NS1_7vsmem_tEENKUlT_SH_SI_SJ_E_clIS9_S9_SD_PlEESG_SW_SH_SI_SJ_EUlSW_E0_NS1_11comp_targetILNS1_3genE5ELNS1_11target_archE942ELNS1_3gpuE9ELNS1_3repE0EEENS1_38merge_mergepath_config_static_selectorELNS0_4arch9wavefront6targetE1EEEvSI_
                                        ; -- End function
	.set _ZN7rocprim17ROCPRIM_400000_NS6detail17trampoline_kernelINS0_14default_configENS1_38merge_sort_block_merge_config_selectorIN3c104HalfElEEZZNS1_27merge_sort_block_merge_implIS3_PS6_N6thrust23THRUST_200600_302600_NS10device_ptrIlEEmNSB_4lessIS6_EEEE10hipError_tT0_T1_T2_jT3_P12ihipStream_tbPNSt15iterator_traitsISH_E10value_typeEPNSN_ISI_E10value_typeEPSJ_NS1_7vsmem_tEENKUlT_SH_SI_SJ_E_clIS9_S9_SD_PlEESG_SW_SH_SI_SJ_EUlSW_E0_NS1_11comp_targetILNS1_3genE5ELNS1_11target_archE942ELNS1_3gpuE9ELNS1_3repE0EEENS1_38merge_mergepath_config_static_selectorELNS0_4arch9wavefront6targetE1EEEvSI_.num_vgpr, 0
	.set _ZN7rocprim17ROCPRIM_400000_NS6detail17trampoline_kernelINS0_14default_configENS1_38merge_sort_block_merge_config_selectorIN3c104HalfElEEZZNS1_27merge_sort_block_merge_implIS3_PS6_N6thrust23THRUST_200600_302600_NS10device_ptrIlEEmNSB_4lessIS6_EEEE10hipError_tT0_T1_T2_jT3_P12ihipStream_tbPNSt15iterator_traitsISH_E10value_typeEPNSN_ISI_E10value_typeEPSJ_NS1_7vsmem_tEENKUlT_SH_SI_SJ_E_clIS9_S9_SD_PlEESG_SW_SH_SI_SJ_EUlSW_E0_NS1_11comp_targetILNS1_3genE5ELNS1_11target_archE942ELNS1_3gpuE9ELNS1_3repE0EEENS1_38merge_mergepath_config_static_selectorELNS0_4arch9wavefront6targetE1EEEvSI_.num_agpr, 0
	.set _ZN7rocprim17ROCPRIM_400000_NS6detail17trampoline_kernelINS0_14default_configENS1_38merge_sort_block_merge_config_selectorIN3c104HalfElEEZZNS1_27merge_sort_block_merge_implIS3_PS6_N6thrust23THRUST_200600_302600_NS10device_ptrIlEEmNSB_4lessIS6_EEEE10hipError_tT0_T1_T2_jT3_P12ihipStream_tbPNSt15iterator_traitsISH_E10value_typeEPNSN_ISI_E10value_typeEPSJ_NS1_7vsmem_tEENKUlT_SH_SI_SJ_E_clIS9_S9_SD_PlEESG_SW_SH_SI_SJ_EUlSW_E0_NS1_11comp_targetILNS1_3genE5ELNS1_11target_archE942ELNS1_3gpuE9ELNS1_3repE0EEENS1_38merge_mergepath_config_static_selectorELNS0_4arch9wavefront6targetE1EEEvSI_.numbered_sgpr, 0
	.set _ZN7rocprim17ROCPRIM_400000_NS6detail17trampoline_kernelINS0_14default_configENS1_38merge_sort_block_merge_config_selectorIN3c104HalfElEEZZNS1_27merge_sort_block_merge_implIS3_PS6_N6thrust23THRUST_200600_302600_NS10device_ptrIlEEmNSB_4lessIS6_EEEE10hipError_tT0_T1_T2_jT3_P12ihipStream_tbPNSt15iterator_traitsISH_E10value_typeEPNSN_ISI_E10value_typeEPSJ_NS1_7vsmem_tEENKUlT_SH_SI_SJ_E_clIS9_S9_SD_PlEESG_SW_SH_SI_SJ_EUlSW_E0_NS1_11comp_targetILNS1_3genE5ELNS1_11target_archE942ELNS1_3gpuE9ELNS1_3repE0EEENS1_38merge_mergepath_config_static_selectorELNS0_4arch9wavefront6targetE1EEEvSI_.num_named_barrier, 0
	.set _ZN7rocprim17ROCPRIM_400000_NS6detail17trampoline_kernelINS0_14default_configENS1_38merge_sort_block_merge_config_selectorIN3c104HalfElEEZZNS1_27merge_sort_block_merge_implIS3_PS6_N6thrust23THRUST_200600_302600_NS10device_ptrIlEEmNSB_4lessIS6_EEEE10hipError_tT0_T1_T2_jT3_P12ihipStream_tbPNSt15iterator_traitsISH_E10value_typeEPNSN_ISI_E10value_typeEPSJ_NS1_7vsmem_tEENKUlT_SH_SI_SJ_E_clIS9_S9_SD_PlEESG_SW_SH_SI_SJ_EUlSW_E0_NS1_11comp_targetILNS1_3genE5ELNS1_11target_archE942ELNS1_3gpuE9ELNS1_3repE0EEENS1_38merge_mergepath_config_static_selectorELNS0_4arch9wavefront6targetE1EEEvSI_.private_seg_size, 0
	.set _ZN7rocprim17ROCPRIM_400000_NS6detail17trampoline_kernelINS0_14default_configENS1_38merge_sort_block_merge_config_selectorIN3c104HalfElEEZZNS1_27merge_sort_block_merge_implIS3_PS6_N6thrust23THRUST_200600_302600_NS10device_ptrIlEEmNSB_4lessIS6_EEEE10hipError_tT0_T1_T2_jT3_P12ihipStream_tbPNSt15iterator_traitsISH_E10value_typeEPNSN_ISI_E10value_typeEPSJ_NS1_7vsmem_tEENKUlT_SH_SI_SJ_E_clIS9_S9_SD_PlEESG_SW_SH_SI_SJ_EUlSW_E0_NS1_11comp_targetILNS1_3genE5ELNS1_11target_archE942ELNS1_3gpuE9ELNS1_3repE0EEENS1_38merge_mergepath_config_static_selectorELNS0_4arch9wavefront6targetE1EEEvSI_.uses_vcc, 0
	.set _ZN7rocprim17ROCPRIM_400000_NS6detail17trampoline_kernelINS0_14default_configENS1_38merge_sort_block_merge_config_selectorIN3c104HalfElEEZZNS1_27merge_sort_block_merge_implIS3_PS6_N6thrust23THRUST_200600_302600_NS10device_ptrIlEEmNSB_4lessIS6_EEEE10hipError_tT0_T1_T2_jT3_P12ihipStream_tbPNSt15iterator_traitsISH_E10value_typeEPNSN_ISI_E10value_typeEPSJ_NS1_7vsmem_tEENKUlT_SH_SI_SJ_E_clIS9_S9_SD_PlEESG_SW_SH_SI_SJ_EUlSW_E0_NS1_11comp_targetILNS1_3genE5ELNS1_11target_archE942ELNS1_3gpuE9ELNS1_3repE0EEENS1_38merge_mergepath_config_static_selectorELNS0_4arch9wavefront6targetE1EEEvSI_.uses_flat_scratch, 0
	.set _ZN7rocprim17ROCPRIM_400000_NS6detail17trampoline_kernelINS0_14default_configENS1_38merge_sort_block_merge_config_selectorIN3c104HalfElEEZZNS1_27merge_sort_block_merge_implIS3_PS6_N6thrust23THRUST_200600_302600_NS10device_ptrIlEEmNSB_4lessIS6_EEEE10hipError_tT0_T1_T2_jT3_P12ihipStream_tbPNSt15iterator_traitsISH_E10value_typeEPNSN_ISI_E10value_typeEPSJ_NS1_7vsmem_tEENKUlT_SH_SI_SJ_E_clIS9_S9_SD_PlEESG_SW_SH_SI_SJ_EUlSW_E0_NS1_11comp_targetILNS1_3genE5ELNS1_11target_archE942ELNS1_3gpuE9ELNS1_3repE0EEENS1_38merge_mergepath_config_static_selectorELNS0_4arch9wavefront6targetE1EEEvSI_.has_dyn_sized_stack, 0
	.set _ZN7rocprim17ROCPRIM_400000_NS6detail17trampoline_kernelINS0_14default_configENS1_38merge_sort_block_merge_config_selectorIN3c104HalfElEEZZNS1_27merge_sort_block_merge_implIS3_PS6_N6thrust23THRUST_200600_302600_NS10device_ptrIlEEmNSB_4lessIS6_EEEE10hipError_tT0_T1_T2_jT3_P12ihipStream_tbPNSt15iterator_traitsISH_E10value_typeEPNSN_ISI_E10value_typeEPSJ_NS1_7vsmem_tEENKUlT_SH_SI_SJ_E_clIS9_S9_SD_PlEESG_SW_SH_SI_SJ_EUlSW_E0_NS1_11comp_targetILNS1_3genE5ELNS1_11target_archE942ELNS1_3gpuE9ELNS1_3repE0EEENS1_38merge_mergepath_config_static_selectorELNS0_4arch9wavefront6targetE1EEEvSI_.has_recursion, 0
	.set _ZN7rocprim17ROCPRIM_400000_NS6detail17trampoline_kernelINS0_14default_configENS1_38merge_sort_block_merge_config_selectorIN3c104HalfElEEZZNS1_27merge_sort_block_merge_implIS3_PS6_N6thrust23THRUST_200600_302600_NS10device_ptrIlEEmNSB_4lessIS6_EEEE10hipError_tT0_T1_T2_jT3_P12ihipStream_tbPNSt15iterator_traitsISH_E10value_typeEPNSN_ISI_E10value_typeEPSJ_NS1_7vsmem_tEENKUlT_SH_SI_SJ_E_clIS9_S9_SD_PlEESG_SW_SH_SI_SJ_EUlSW_E0_NS1_11comp_targetILNS1_3genE5ELNS1_11target_archE942ELNS1_3gpuE9ELNS1_3repE0EEENS1_38merge_mergepath_config_static_selectorELNS0_4arch9wavefront6targetE1EEEvSI_.has_indirect_call, 0
	.section	.AMDGPU.csdata,"",@progbits
; Kernel info:
; codeLenInByte = 0
; TotalNumSgprs: 4
; NumVgprs: 0
; ScratchSize: 0
; MemoryBound: 0
; FloatMode: 240
; IeeeMode: 1
; LDSByteSize: 0 bytes/workgroup (compile time only)
; SGPRBlocks: 0
; VGPRBlocks: 0
; NumSGPRsForWavesPerEU: 4
; NumVGPRsForWavesPerEU: 1
; Occupancy: 10
; WaveLimiterHint : 0
; COMPUTE_PGM_RSRC2:SCRATCH_EN: 0
; COMPUTE_PGM_RSRC2:USER_SGPR: 6
; COMPUTE_PGM_RSRC2:TRAP_HANDLER: 0
; COMPUTE_PGM_RSRC2:TGID_X_EN: 1
; COMPUTE_PGM_RSRC2:TGID_Y_EN: 0
; COMPUTE_PGM_RSRC2:TGID_Z_EN: 0
; COMPUTE_PGM_RSRC2:TIDIG_COMP_CNT: 0
	.section	.text._ZN7rocprim17ROCPRIM_400000_NS6detail17trampoline_kernelINS0_14default_configENS1_38merge_sort_block_merge_config_selectorIN3c104HalfElEEZZNS1_27merge_sort_block_merge_implIS3_PS6_N6thrust23THRUST_200600_302600_NS10device_ptrIlEEmNSB_4lessIS6_EEEE10hipError_tT0_T1_T2_jT3_P12ihipStream_tbPNSt15iterator_traitsISH_E10value_typeEPNSN_ISI_E10value_typeEPSJ_NS1_7vsmem_tEENKUlT_SH_SI_SJ_E_clIS9_S9_SD_PlEESG_SW_SH_SI_SJ_EUlSW_E0_NS1_11comp_targetILNS1_3genE4ELNS1_11target_archE910ELNS1_3gpuE8ELNS1_3repE0EEENS1_38merge_mergepath_config_static_selectorELNS0_4arch9wavefront6targetE1EEEvSI_,"axG",@progbits,_ZN7rocprim17ROCPRIM_400000_NS6detail17trampoline_kernelINS0_14default_configENS1_38merge_sort_block_merge_config_selectorIN3c104HalfElEEZZNS1_27merge_sort_block_merge_implIS3_PS6_N6thrust23THRUST_200600_302600_NS10device_ptrIlEEmNSB_4lessIS6_EEEE10hipError_tT0_T1_T2_jT3_P12ihipStream_tbPNSt15iterator_traitsISH_E10value_typeEPNSN_ISI_E10value_typeEPSJ_NS1_7vsmem_tEENKUlT_SH_SI_SJ_E_clIS9_S9_SD_PlEESG_SW_SH_SI_SJ_EUlSW_E0_NS1_11comp_targetILNS1_3genE4ELNS1_11target_archE910ELNS1_3gpuE8ELNS1_3repE0EEENS1_38merge_mergepath_config_static_selectorELNS0_4arch9wavefront6targetE1EEEvSI_,comdat
	.protected	_ZN7rocprim17ROCPRIM_400000_NS6detail17trampoline_kernelINS0_14default_configENS1_38merge_sort_block_merge_config_selectorIN3c104HalfElEEZZNS1_27merge_sort_block_merge_implIS3_PS6_N6thrust23THRUST_200600_302600_NS10device_ptrIlEEmNSB_4lessIS6_EEEE10hipError_tT0_T1_T2_jT3_P12ihipStream_tbPNSt15iterator_traitsISH_E10value_typeEPNSN_ISI_E10value_typeEPSJ_NS1_7vsmem_tEENKUlT_SH_SI_SJ_E_clIS9_S9_SD_PlEESG_SW_SH_SI_SJ_EUlSW_E0_NS1_11comp_targetILNS1_3genE4ELNS1_11target_archE910ELNS1_3gpuE8ELNS1_3repE0EEENS1_38merge_mergepath_config_static_selectorELNS0_4arch9wavefront6targetE1EEEvSI_ ; -- Begin function _ZN7rocprim17ROCPRIM_400000_NS6detail17trampoline_kernelINS0_14default_configENS1_38merge_sort_block_merge_config_selectorIN3c104HalfElEEZZNS1_27merge_sort_block_merge_implIS3_PS6_N6thrust23THRUST_200600_302600_NS10device_ptrIlEEmNSB_4lessIS6_EEEE10hipError_tT0_T1_T2_jT3_P12ihipStream_tbPNSt15iterator_traitsISH_E10value_typeEPNSN_ISI_E10value_typeEPSJ_NS1_7vsmem_tEENKUlT_SH_SI_SJ_E_clIS9_S9_SD_PlEESG_SW_SH_SI_SJ_EUlSW_E0_NS1_11comp_targetILNS1_3genE4ELNS1_11target_archE910ELNS1_3gpuE8ELNS1_3repE0EEENS1_38merge_mergepath_config_static_selectorELNS0_4arch9wavefront6targetE1EEEvSI_
	.globl	_ZN7rocprim17ROCPRIM_400000_NS6detail17trampoline_kernelINS0_14default_configENS1_38merge_sort_block_merge_config_selectorIN3c104HalfElEEZZNS1_27merge_sort_block_merge_implIS3_PS6_N6thrust23THRUST_200600_302600_NS10device_ptrIlEEmNSB_4lessIS6_EEEE10hipError_tT0_T1_T2_jT3_P12ihipStream_tbPNSt15iterator_traitsISH_E10value_typeEPNSN_ISI_E10value_typeEPSJ_NS1_7vsmem_tEENKUlT_SH_SI_SJ_E_clIS9_S9_SD_PlEESG_SW_SH_SI_SJ_EUlSW_E0_NS1_11comp_targetILNS1_3genE4ELNS1_11target_archE910ELNS1_3gpuE8ELNS1_3repE0EEENS1_38merge_mergepath_config_static_selectorELNS0_4arch9wavefront6targetE1EEEvSI_
	.p2align	8
	.type	_ZN7rocprim17ROCPRIM_400000_NS6detail17trampoline_kernelINS0_14default_configENS1_38merge_sort_block_merge_config_selectorIN3c104HalfElEEZZNS1_27merge_sort_block_merge_implIS3_PS6_N6thrust23THRUST_200600_302600_NS10device_ptrIlEEmNSB_4lessIS6_EEEE10hipError_tT0_T1_T2_jT3_P12ihipStream_tbPNSt15iterator_traitsISH_E10value_typeEPNSN_ISI_E10value_typeEPSJ_NS1_7vsmem_tEENKUlT_SH_SI_SJ_E_clIS9_S9_SD_PlEESG_SW_SH_SI_SJ_EUlSW_E0_NS1_11comp_targetILNS1_3genE4ELNS1_11target_archE910ELNS1_3gpuE8ELNS1_3repE0EEENS1_38merge_mergepath_config_static_selectorELNS0_4arch9wavefront6targetE1EEEvSI_,@function
_ZN7rocprim17ROCPRIM_400000_NS6detail17trampoline_kernelINS0_14default_configENS1_38merge_sort_block_merge_config_selectorIN3c104HalfElEEZZNS1_27merge_sort_block_merge_implIS3_PS6_N6thrust23THRUST_200600_302600_NS10device_ptrIlEEmNSB_4lessIS6_EEEE10hipError_tT0_T1_T2_jT3_P12ihipStream_tbPNSt15iterator_traitsISH_E10value_typeEPNSN_ISI_E10value_typeEPSJ_NS1_7vsmem_tEENKUlT_SH_SI_SJ_E_clIS9_S9_SD_PlEESG_SW_SH_SI_SJ_EUlSW_E0_NS1_11comp_targetILNS1_3genE4ELNS1_11target_archE910ELNS1_3gpuE8ELNS1_3repE0EEENS1_38merge_mergepath_config_static_selectorELNS0_4arch9wavefront6targetE1EEEvSI_: ; @_ZN7rocprim17ROCPRIM_400000_NS6detail17trampoline_kernelINS0_14default_configENS1_38merge_sort_block_merge_config_selectorIN3c104HalfElEEZZNS1_27merge_sort_block_merge_implIS3_PS6_N6thrust23THRUST_200600_302600_NS10device_ptrIlEEmNSB_4lessIS6_EEEE10hipError_tT0_T1_T2_jT3_P12ihipStream_tbPNSt15iterator_traitsISH_E10value_typeEPNSN_ISI_E10value_typeEPSJ_NS1_7vsmem_tEENKUlT_SH_SI_SJ_E_clIS9_S9_SD_PlEESG_SW_SH_SI_SJ_EUlSW_E0_NS1_11comp_targetILNS1_3genE4ELNS1_11target_archE910ELNS1_3gpuE8ELNS1_3repE0EEENS1_38merge_mergepath_config_static_selectorELNS0_4arch9wavefront6targetE1EEEvSI_
; %bb.0:
	.section	.rodata,"a",@progbits
	.p2align	6, 0x0
	.amdhsa_kernel _ZN7rocprim17ROCPRIM_400000_NS6detail17trampoline_kernelINS0_14default_configENS1_38merge_sort_block_merge_config_selectorIN3c104HalfElEEZZNS1_27merge_sort_block_merge_implIS3_PS6_N6thrust23THRUST_200600_302600_NS10device_ptrIlEEmNSB_4lessIS6_EEEE10hipError_tT0_T1_T2_jT3_P12ihipStream_tbPNSt15iterator_traitsISH_E10value_typeEPNSN_ISI_E10value_typeEPSJ_NS1_7vsmem_tEENKUlT_SH_SI_SJ_E_clIS9_S9_SD_PlEESG_SW_SH_SI_SJ_EUlSW_E0_NS1_11comp_targetILNS1_3genE4ELNS1_11target_archE910ELNS1_3gpuE8ELNS1_3repE0EEENS1_38merge_mergepath_config_static_selectorELNS0_4arch9wavefront6targetE1EEEvSI_
		.amdhsa_group_segment_fixed_size 0
		.amdhsa_private_segment_fixed_size 0
		.amdhsa_kernarg_size 72
		.amdhsa_user_sgpr_count 6
		.amdhsa_user_sgpr_private_segment_buffer 1
		.amdhsa_user_sgpr_dispatch_ptr 0
		.amdhsa_user_sgpr_queue_ptr 0
		.amdhsa_user_sgpr_kernarg_segment_ptr 1
		.amdhsa_user_sgpr_dispatch_id 0
		.amdhsa_user_sgpr_flat_scratch_init 0
		.amdhsa_user_sgpr_private_segment_size 0
		.amdhsa_uses_dynamic_stack 0
		.amdhsa_system_sgpr_private_segment_wavefront_offset 0
		.amdhsa_system_sgpr_workgroup_id_x 1
		.amdhsa_system_sgpr_workgroup_id_y 0
		.amdhsa_system_sgpr_workgroup_id_z 0
		.amdhsa_system_sgpr_workgroup_info 0
		.amdhsa_system_vgpr_workitem_id 0
		.amdhsa_next_free_vgpr 1
		.amdhsa_next_free_sgpr 0
		.amdhsa_reserve_vcc 0
		.amdhsa_reserve_flat_scratch 0
		.amdhsa_float_round_mode_32 0
		.amdhsa_float_round_mode_16_64 0
		.amdhsa_float_denorm_mode_32 3
		.amdhsa_float_denorm_mode_16_64 3
		.amdhsa_dx10_clamp 1
		.amdhsa_ieee_mode 1
		.amdhsa_fp16_overflow 0
		.amdhsa_exception_fp_ieee_invalid_op 0
		.amdhsa_exception_fp_denorm_src 0
		.amdhsa_exception_fp_ieee_div_zero 0
		.amdhsa_exception_fp_ieee_overflow 0
		.amdhsa_exception_fp_ieee_underflow 0
		.amdhsa_exception_fp_ieee_inexact 0
		.amdhsa_exception_int_div_zero 0
	.end_amdhsa_kernel
	.section	.text._ZN7rocprim17ROCPRIM_400000_NS6detail17trampoline_kernelINS0_14default_configENS1_38merge_sort_block_merge_config_selectorIN3c104HalfElEEZZNS1_27merge_sort_block_merge_implIS3_PS6_N6thrust23THRUST_200600_302600_NS10device_ptrIlEEmNSB_4lessIS6_EEEE10hipError_tT0_T1_T2_jT3_P12ihipStream_tbPNSt15iterator_traitsISH_E10value_typeEPNSN_ISI_E10value_typeEPSJ_NS1_7vsmem_tEENKUlT_SH_SI_SJ_E_clIS9_S9_SD_PlEESG_SW_SH_SI_SJ_EUlSW_E0_NS1_11comp_targetILNS1_3genE4ELNS1_11target_archE910ELNS1_3gpuE8ELNS1_3repE0EEENS1_38merge_mergepath_config_static_selectorELNS0_4arch9wavefront6targetE1EEEvSI_,"axG",@progbits,_ZN7rocprim17ROCPRIM_400000_NS6detail17trampoline_kernelINS0_14default_configENS1_38merge_sort_block_merge_config_selectorIN3c104HalfElEEZZNS1_27merge_sort_block_merge_implIS3_PS6_N6thrust23THRUST_200600_302600_NS10device_ptrIlEEmNSB_4lessIS6_EEEE10hipError_tT0_T1_T2_jT3_P12ihipStream_tbPNSt15iterator_traitsISH_E10value_typeEPNSN_ISI_E10value_typeEPSJ_NS1_7vsmem_tEENKUlT_SH_SI_SJ_E_clIS9_S9_SD_PlEESG_SW_SH_SI_SJ_EUlSW_E0_NS1_11comp_targetILNS1_3genE4ELNS1_11target_archE910ELNS1_3gpuE8ELNS1_3repE0EEENS1_38merge_mergepath_config_static_selectorELNS0_4arch9wavefront6targetE1EEEvSI_,comdat
.Lfunc_end2159:
	.size	_ZN7rocprim17ROCPRIM_400000_NS6detail17trampoline_kernelINS0_14default_configENS1_38merge_sort_block_merge_config_selectorIN3c104HalfElEEZZNS1_27merge_sort_block_merge_implIS3_PS6_N6thrust23THRUST_200600_302600_NS10device_ptrIlEEmNSB_4lessIS6_EEEE10hipError_tT0_T1_T2_jT3_P12ihipStream_tbPNSt15iterator_traitsISH_E10value_typeEPNSN_ISI_E10value_typeEPSJ_NS1_7vsmem_tEENKUlT_SH_SI_SJ_E_clIS9_S9_SD_PlEESG_SW_SH_SI_SJ_EUlSW_E0_NS1_11comp_targetILNS1_3genE4ELNS1_11target_archE910ELNS1_3gpuE8ELNS1_3repE0EEENS1_38merge_mergepath_config_static_selectorELNS0_4arch9wavefront6targetE1EEEvSI_, .Lfunc_end2159-_ZN7rocprim17ROCPRIM_400000_NS6detail17trampoline_kernelINS0_14default_configENS1_38merge_sort_block_merge_config_selectorIN3c104HalfElEEZZNS1_27merge_sort_block_merge_implIS3_PS6_N6thrust23THRUST_200600_302600_NS10device_ptrIlEEmNSB_4lessIS6_EEEE10hipError_tT0_T1_T2_jT3_P12ihipStream_tbPNSt15iterator_traitsISH_E10value_typeEPNSN_ISI_E10value_typeEPSJ_NS1_7vsmem_tEENKUlT_SH_SI_SJ_E_clIS9_S9_SD_PlEESG_SW_SH_SI_SJ_EUlSW_E0_NS1_11comp_targetILNS1_3genE4ELNS1_11target_archE910ELNS1_3gpuE8ELNS1_3repE0EEENS1_38merge_mergepath_config_static_selectorELNS0_4arch9wavefront6targetE1EEEvSI_
                                        ; -- End function
	.set _ZN7rocprim17ROCPRIM_400000_NS6detail17trampoline_kernelINS0_14default_configENS1_38merge_sort_block_merge_config_selectorIN3c104HalfElEEZZNS1_27merge_sort_block_merge_implIS3_PS6_N6thrust23THRUST_200600_302600_NS10device_ptrIlEEmNSB_4lessIS6_EEEE10hipError_tT0_T1_T2_jT3_P12ihipStream_tbPNSt15iterator_traitsISH_E10value_typeEPNSN_ISI_E10value_typeEPSJ_NS1_7vsmem_tEENKUlT_SH_SI_SJ_E_clIS9_S9_SD_PlEESG_SW_SH_SI_SJ_EUlSW_E0_NS1_11comp_targetILNS1_3genE4ELNS1_11target_archE910ELNS1_3gpuE8ELNS1_3repE0EEENS1_38merge_mergepath_config_static_selectorELNS0_4arch9wavefront6targetE1EEEvSI_.num_vgpr, 0
	.set _ZN7rocprim17ROCPRIM_400000_NS6detail17trampoline_kernelINS0_14default_configENS1_38merge_sort_block_merge_config_selectorIN3c104HalfElEEZZNS1_27merge_sort_block_merge_implIS3_PS6_N6thrust23THRUST_200600_302600_NS10device_ptrIlEEmNSB_4lessIS6_EEEE10hipError_tT0_T1_T2_jT3_P12ihipStream_tbPNSt15iterator_traitsISH_E10value_typeEPNSN_ISI_E10value_typeEPSJ_NS1_7vsmem_tEENKUlT_SH_SI_SJ_E_clIS9_S9_SD_PlEESG_SW_SH_SI_SJ_EUlSW_E0_NS1_11comp_targetILNS1_3genE4ELNS1_11target_archE910ELNS1_3gpuE8ELNS1_3repE0EEENS1_38merge_mergepath_config_static_selectorELNS0_4arch9wavefront6targetE1EEEvSI_.num_agpr, 0
	.set _ZN7rocprim17ROCPRIM_400000_NS6detail17trampoline_kernelINS0_14default_configENS1_38merge_sort_block_merge_config_selectorIN3c104HalfElEEZZNS1_27merge_sort_block_merge_implIS3_PS6_N6thrust23THRUST_200600_302600_NS10device_ptrIlEEmNSB_4lessIS6_EEEE10hipError_tT0_T1_T2_jT3_P12ihipStream_tbPNSt15iterator_traitsISH_E10value_typeEPNSN_ISI_E10value_typeEPSJ_NS1_7vsmem_tEENKUlT_SH_SI_SJ_E_clIS9_S9_SD_PlEESG_SW_SH_SI_SJ_EUlSW_E0_NS1_11comp_targetILNS1_3genE4ELNS1_11target_archE910ELNS1_3gpuE8ELNS1_3repE0EEENS1_38merge_mergepath_config_static_selectorELNS0_4arch9wavefront6targetE1EEEvSI_.numbered_sgpr, 0
	.set _ZN7rocprim17ROCPRIM_400000_NS6detail17trampoline_kernelINS0_14default_configENS1_38merge_sort_block_merge_config_selectorIN3c104HalfElEEZZNS1_27merge_sort_block_merge_implIS3_PS6_N6thrust23THRUST_200600_302600_NS10device_ptrIlEEmNSB_4lessIS6_EEEE10hipError_tT0_T1_T2_jT3_P12ihipStream_tbPNSt15iterator_traitsISH_E10value_typeEPNSN_ISI_E10value_typeEPSJ_NS1_7vsmem_tEENKUlT_SH_SI_SJ_E_clIS9_S9_SD_PlEESG_SW_SH_SI_SJ_EUlSW_E0_NS1_11comp_targetILNS1_3genE4ELNS1_11target_archE910ELNS1_3gpuE8ELNS1_3repE0EEENS1_38merge_mergepath_config_static_selectorELNS0_4arch9wavefront6targetE1EEEvSI_.num_named_barrier, 0
	.set _ZN7rocprim17ROCPRIM_400000_NS6detail17trampoline_kernelINS0_14default_configENS1_38merge_sort_block_merge_config_selectorIN3c104HalfElEEZZNS1_27merge_sort_block_merge_implIS3_PS6_N6thrust23THRUST_200600_302600_NS10device_ptrIlEEmNSB_4lessIS6_EEEE10hipError_tT0_T1_T2_jT3_P12ihipStream_tbPNSt15iterator_traitsISH_E10value_typeEPNSN_ISI_E10value_typeEPSJ_NS1_7vsmem_tEENKUlT_SH_SI_SJ_E_clIS9_S9_SD_PlEESG_SW_SH_SI_SJ_EUlSW_E0_NS1_11comp_targetILNS1_3genE4ELNS1_11target_archE910ELNS1_3gpuE8ELNS1_3repE0EEENS1_38merge_mergepath_config_static_selectorELNS0_4arch9wavefront6targetE1EEEvSI_.private_seg_size, 0
	.set _ZN7rocprim17ROCPRIM_400000_NS6detail17trampoline_kernelINS0_14default_configENS1_38merge_sort_block_merge_config_selectorIN3c104HalfElEEZZNS1_27merge_sort_block_merge_implIS3_PS6_N6thrust23THRUST_200600_302600_NS10device_ptrIlEEmNSB_4lessIS6_EEEE10hipError_tT0_T1_T2_jT3_P12ihipStream_tbPNSt15iterator_traitsISH_E10value_typeEPNSN_ISI_E10value_typeEPSJ_NS1_7vsmem_tEENKUlT_SH_SI_SJ_E_clIS9_S9_SD_PlEESG_SW_SH_SI_SJ_EUlSW_E0_NS1_11comp_targetILNS1_3genE4ELNS1_11target_archE910ELNS1_3gpuE8ELNS1_3repE0EEENS1_38merge_mergepath_config_static_selectorELNS0_4arch9wavefront6targetE1EEEvSI_.uses_vcc, 0
	.set _ZN7rocprim17ROCPRIM_400000_NS6detail17trampoline_kernelINS0_14default_configENS1_38merge_sort_block_merge_config_selectorIN3c104HalfElEEZZNS1_27merge_sort_block_merge_implIS3_PS6_N6thrust23THRUST_200600_302600_NS10device_ptrIlEEmNSB_4lessIS6_EEEE10hipError_tT0_T1_T2_jT3_P12ihipStream_tbPNSt15iterator_traitsISH_E10value_typeEPNSN_ISI_E10value_typeEPSJ_NS1_7vsmem_tEENKUlT_SH_SI_SJ_E_clIS9_S9_SD_PlEESG_SW_SH_SI_SJ_EUlSW_E0_NS1_11comp_targetILNS1_3genE4ELNS1_11target_archE910ELNS1_3gpuE8ELNS1_3repE0EEENS1_38merge_mergepath_config_static_selectorELNS0_4arch9wavefront6targetE1EEEvSI_.uses_flat_scratch, 0
	.set _ZN7rocprim17ROCPRIM_400000_NS6detail17trampoline_kernelINS0_14default_configENS1_38merge_sort_block_merge_config_selectorIN3c104HalfElEEZZNS1_27merge_sort_block_merge_implIS3_PS6_N6thrust23THRUST_200600_302600_NS10device_ptrIlEEmNSB_4lessIS6_EEEE10hipError_tT0_T1_T2_jT3_P12ihipStream_tbPNSt15iterator_traitsISH_E10value_typeEPNSN_ISI_E10value_typeEPSJ_NS1_7vsmem_tEENKUlT_SH_SI_SJ_E_clIS9_S9_SD_PlEESG_SW_SH_SI_SJ_EUlSW_E0_NS1_11comp_targetILNS1_3genE4ELNS1_11target_archE910ELNS1_3gpuE8ELNS1_3repE0EEENS1_38merge_mergepath_config_static_selectorELNS0_4arch9wavefront6targetE1EEEvSI_.has_dyn_sized_stack, 0
	.set _ZN7rocprim17ROCPRIM_400000_NS6detail17trampoline_kernelINS0_14default_configENS1_38merge_sort_block_merge_config_selectorIN3c104HalfElEEZZNS1_27merge_sort_block_merge_implIS3_PS6_N6thrust23THRUST_200600_302600_NS10device_ptrIlEEmNSB_4lessIS6_EEEE10hipError_tT0_T1_T2_jT3_P12ihipStream_tbPNSt15iterator_traitsISH_E10value_typeEPNSN_ISI_E10value_typeEPSJ_NS1_7vsmem_tEENKUlT_SH_SI_SJ_E_clIS9_S9_SD_PlEESG_SW_SH_SI_SJ_EUlSW_E0_NS1_11comp_targetILNS1_3genE4ELNS1_11target_archE910ELNS1_3gpuE8ELNS1_3repE0EEENS1_38merge_mergepath_config_static_selectorELNS0_4arch9wavefront6targetE1EEEvSI_.has_recursion, 0
	.set _ZN7rocprim17ROCPRIM_400000_NS6detail17trampoline_kernelINS0_14default_configENS1_38merge_sort_block_merge_config_selectorIN3c104HalfElEEZZNS1_27merge_sort_block_merge_implIS3_PS6_N6thrust23THRUST_200600_302600_NS10device_ptrIlEEmNSB_4lessIS6_EEEE10hipError_tT0_T1_T2_jT3_P12ihipStream_tbPNSt15iterator_traitsISH_E10value_typeEPNSN_ISI_E10value_typeEPSJ_NS1_7vsmem_tEENKUlT_SH_SI_SJ_E_clIS9_S9_SD_PlEESG_SW_SH_SI_SJ_EUlSW_E0_NS1_11comp_targetILNS1_3genE4ELNS1_11target_archE910ELNS1_3gpuE8ELNS1_3repE0EEENS1_38merge_mergepath_config_static_selectorELNS0_4arch9wavefront6targetE1EEEvSI_.has_indirect_call, 0
	.section	.AMDGPU.csdata,"",@progbits
; Kernel info:
; codeLenInByte = 0
; TotalNumSgprs: 4
; NumVgprs: 0
; ScratchSize: 0
; MemoryBound: 0
; FloatMode: 240
; IeeeMode: 1
; LDSByteSize: 0 bytes/workgroup (compile time only)
; SGPRBlocks: 0
; VGPRBlocks: 0
; NumSGPRsForWavesPerEU: 4
; NumVGPRsForWavesPerEU: 1
; Occupancy: 10
; WaveLimiterHint : 0
; COMPUTE_PGM_RSRC2:SCRATCH_EN: 0
; COMPUTE_PGM_RSRC2:USER_SGPR: 6
; COMPUTE_PGM_RSRC2:TRAP_HANDLER: 0
; COMPUTE_PGM_RSRC2:TGID_X_EN: 1
; COMPUTE_PGM_RSRC2:TGID_Y_EN: 0
; COMPUTE_PGM_RSRC2:TGID_Z_EN: 0
; COMPUTE_PGM_RSRC2:TIDIG_COMP_CNT: 0
	.section	.text._ZN7rocprim17ROCPRIM_400000_NS6detail17trampoline_kernelINS0_14default_configENS1_38merge_sort_block_merge_config_selectorIN3c104HalfElEEZZNS1_27merge_sort_block_merge_implIS3_PS6_N6thrust23THRUST_200600_302600_NS10device_ptrIlEEmNSB_4lessIS6_EEEE10hipError_tT0_T1_T2_jT3_P12ihipStream_tbPNSt15iterator_traitsISH_E10value_typeEPNSN_ISI_E10value_typeEPSJ_NS1_7vsmem_tEENKUlT_SH_SI_SJ_E_clIS9_S9_SD_PlEESG_SW_SH_SI_SJ_EUlSW_E0_NS1_11comp_targetILNS1_3genE3ELNS1_11target_archE908ELNS1_3gpuE7ELNS1_3repE0EEENS1_38merge_mergepath_config_static_selectorELNS0_4arch9wavefront6targetE1EEEvSI_,"axG",@progbits,_ZN7rocprim17ROCPRIM_400000_NS6detail17trampoline_kernelINS0_14default_configENS1_38merge_sort_block_merge_config_selectorIN3c104HalfElEEZZNS1_27merge_sort_block_merge_implIS3_PS6_N6thrust23THRUST_200600_302600_NS10device_ptrIlEEmNSB_4lessIS6_EEEE10hipError_tT0_T1_T2_jT3_P12ihipStream_tbPNSt15iterator_traitsISH_E10value_typeEPNSN_ISI_E10value_typeEPSJ_NS1_7vsmem_tEENKUlT_SH_SI_SJ_E_clIS9_S9_SD_PlEESG_SW_SH_SI_SJ_EUlSW_E0_NS1_11comp_targetILNS1_3genE3ELNS1_11target_archE908ELNS1_3gpuE7ELNS1_3repE0EEENS1_38merge_mergepath_config_static_selectorELNS0_4arch9wavefront6targetE1EEEvSI_,comdat
	.protected	_ZN7rocprim17ROCPRIM_400000_NS6detail17trampoline_kernelINS0_14default_configENS1_38merge_sort_block_merge_config_selectorIN3c104HalfElEEZZNS1_27merge_sort_block_merge_implIS3_PS6_N6thrust23THRUST_200600_302600_NS10device_ptrIlEEmNSB_4lessIS6_EEEE10hipError_tT0_T1_T2_jT3_P12ihipStream_tbPNSt15iterator_traitsISH_E10value_typeEPNSN_ISI_E10value_typeEPSJ_NS1_7vsmem_tEENKUlT_SH_SI_SJ_E_clIS9_S9_SD_PlEESG_SW_SH_SI_SJ_EUlSW_E0_NS1_11comp_targetILNS1_3genE3ELNS1_11target_archE908ELNS1_3gpuE7ELNS1_3repE0EEENS1_38merge_mergepath_config_static_selectorELNS0_4arch9wavefront6targetE1EEEvSI_ ; -- Begin function _ZN7rocprim17ROCPRIM_400000_NS6detail17trampoline_kernelINS0_14default_configENS1_38merge_sort_block_merge_config_selectorIN3c104HalfElEEZZNS1_27merge_sort_block_merge_implIS3_PS6_N6thrust23THRUST_200600_302600_NS10device_ptrIlEEmNSB_4lessIS6_EEEE10hipError_tT0_T1_T2_jT3_P12ihipStream_tbPNSt15iterator_traitsISH_E10value_typeEPNSN_ISI_E10value_typeEPSJ_NS1_7vsmem_tEENKUlT_SH_SI_SJ_E_clIS9_S9_SD_PlEESG_SW_SH_SI_SJ_EUlSW_E0_NS1_11comp_targetILNS1_3genE3ELNS1_11target_archE908ELNS1_3gpuE7ELNS1_3repE0EEENS1_38merge_mergepath_config_static_selectorELNS0_4arch9wavefront6targetE1EEEvSI_
	.globl	_ZN7rocprim17ROCPRIM_400000_NS6detail17trampoline_kernelINS0_14default_configENS1_38merge_sort_block_merge_config_selectorIN3c104HalfElEEZZNS1_27merge_sort_block_merge_implIS3_PS6_N6thrust23THRUST_200600_302600_NS10device_ptrIlEEmNSB_4lessIS6_EEEE10hipError_tT0_T1_T2_jT3_P12ihipStream_tbPNSt15iterator_traitsISH_E10value_typeEPNSN_ISI_E10value_typeEPSJ_NS1_7vsmem_tEENKUlT_SH_SI_SJ_E_clIS9_S9_SD_PlEESG_SW_SH_SI_SJ_EUlSW_E0_NS1_11comp_targetILNS1_3genE3ELNS1_11target_archE908ELNS1_3gpuE7ELNS1_3repE0EEENS1_38merge_mergepath_config_static_selectorELNS0_4arch9wavefront6targetE1EEEvSI_
	.p2align	8
	.type	_ZN7rocprim17ROCPRIM_400000_NS6detail17trampoline_kernelINS0_14default_configENS1_38merge_sort_block_merge_config_selectorIN3c104HalfElEEZZNS1_27merge_sort_block_merge_implIS3_PS6_N6thrust23THRUST_200600_302600_NS10device_ptrIlEEmNSB_4lessIS6_EEEE10hipError_tT0_T1_T2_jT3_P12ihipStream_tbPNSt15iterator_traitsISH_E10value_typeEPNSN_ISI_E10value_typeEPSJ_NS1_7vsmem_tEENKUlT_SH_SI_SJ_E_clIS9_S9_SD_PlEESG_SW_SH_SI_SJ_EUlSW_E0_NS1_11comp_targetILNS1_3genE3ELNS1_11target_archE908ELNS1_3gpuE7ELNS1_3repE0EEENS1_38merge_mergepath_config_static_selectorELNS0_4arch9wavefront6targetE1EEEvSI_,@function
_ZN7rocprim17ROCPRIM_400000_NS6detail17trampoline_kernelINS0_14default_configENS1_38merge_sort_block_merge_config_selectorIN3c104HalfElEEZZNS1_27merge_sort_block_merge_implIS3_PS6_N6thrust23THRUST_200600_302600_NS10device_ptrIlEEmNSB_4lessIS6_EEEE10hipError_tT0_T1_T2_jT3_P12ihipStream_tbPNSt15iterator_traitsISH_E10value_typeEPNSN_ISI_E10value_typeEPSJ_NS1_7vsmem_tEENKUlT_SH_SI_SJ_E_clIS9_S9_SD_PlEESG_SW_SH_SI_SJ_EUlSW_E0_NS1_11comp_targetILNS1_3genE3ELNS1_11target_archE908ELNS1_3gpuE7ELNS1_3repE0EEENS1_38merge_mergepath_config_static_selectorELNS0_4arch9wavefront6targetE1EEEvSI_: ; @_ZN7rocprim17ROCPRIM_400000_NS6detail17trampoline_kernelINS0_14default_configENS1_38merge_sort_block_merge_config_selectorIN3c104HalfElEEZZNS1_27merge_sort_block_merge_implIS3_PS6_N6thrust23THRUST_200600_302600_NS10device_ptrIlEEmNSB_4lessIS6_EEEE10hipError_tT0_T1_T2_jT3_P12ihipStream_tbPNSt15iterator_traitsISH_E10value_typeEPNSN_ISI_E10value_typeEPSJ_NS1_7vsmem_tEENKUlT_SH_SI_SJ_E_clIS9_S9_SD_PlEESG_SW_SH_SI_SJ_EUlSW_E0_NS1_11comp_targetILNS1_3genE3ELNS1_11target_archE908ELNS1_3gpuE7ELNS1_3repE0EEENS1_38merge_mergepath_config_static_selectorELNS0_4arch9wavefront6targetE1EEEvSI_
; %bb.0:
	.section	.rodata,"a",@progbits
	.p2align	6, 0x0
	.amdhsa_kernel _ZN7rocprim17ROCPRIM_400000_NS6detail17trampoline_kernelINS0_14default_configENS1_38merge_sort_block_merge_config_selectorIN3c104HalfElEEZZNS1_27merge_sort_block_merge_implIS3_PS6_N6thrust23THRUST_200600_302600_NS10device_ptrIlEEmNSB_4lessIS6_EEEE10hipError_tT0_T1_T2_jT3_P12ihipStream_tbPNSt15iterator_traitsISH_E10value_typeEPNSN_ISI_E10value_typeEPSJ_NS1_7vsmem_tEENKUlT_SH_SI_SJ_E_clIS9_S9_SD_PlEESG_SW_SH_SI_SJ_EUlSW_E0_NS1_11comp_targetILNS1_3genE3ELNS1_11target_archE908ELNS1_3gpuE7ELNS1_3repE0EEENS1_38merge_mergepath_config_static_selectorELNS0_4arch9wavefront6targetE1EEEvSI_
		.amdhsa_group_segment_fixed_size 0
		.amdhsa_private_segment_fixed_size 0
		.amdhsa_kernarg_size 72
		.amdhsa_user_sgpr_count 6
		.amdhsa_user_sgpr_private_segment_buffer 1
		.amdhsa_user_sgpr_dispatch_ptr 0
		.amdhsa_user_sgpr_queue_ptr 0
		.amdhsa_user_sgpr_kernarg_segment_ptr 1
		.amdhsa_user_sgpr_dispatch_id 0
		.amdhsa_user_sgpr_flat_scratch_init 0
		.amdhsa_user_sgpr_private_segment_size 0
		.amdhsa_uses_dynamic_stack 0
		.amdhsa_system_sgpr_private_segment_wavefront_offset 0
		.amdhsa_system_sgpr_workgroup_id_x 1
		.amdhsa_system_sgpr_workgroup_id_y 0
		.amdhsa_system_sgpr_workgroup_id_z 0
		.amdhsa_system_sgpr_workgroup_info 0
		.amdhsa_system_vgpr_workitem_id 0
		.amdhsa_next_free_vgpr 1
		.amdhsa_next_free_sgpr 0
		.amdhsa_reserve_vcc 0
		.amdhsa_reserve_flat_scratch 0
		.amdhsa_float_round_mode_32 0
		.amdhsa_float_round_mode_16_64 0
		.amdhsa_float_denorm_mode_32 3
		.amdhsa_float_denorm_mode_16_64 3
		.amdhsa_dx10_clamp 1
		.amdhsa_ieee_mode 1
		.amdhsa_fp16_overflow 0
		.amdhsa_exception_fp_ieee_invalid_op 0
		.amdhsa_exception_fp_denorm_src 0
		.amdhsa_exception_fp_ieee_div_zero 0
		.amdhsa_exception_fp_ieee_overflow 0
		.amdhsa_exception_fp_ieee_underflow 0
		.amdhsa_exception_fp_ieee_inexact 0
		.amdhsa_exception_int_div_zero 0
	.end_amdhsa_kernel
	.section	.text._ZN7rocprim17ROCPRIM_400000_NS6detail17trampoline_kernelINS0_14default_configENS1_38merge_sort_block_merge_config_selectorIN3c104HalfElEEZZNS1_27merge_sort_block_merge_implIS3_PS6_N6thrust23THRUST_200600_302600_NS10device_ptrIlEEmNSB_4lessIS6_EEEE10hipError_tT0_T1_T2_jT3_P12ihipStream_tbPNSt15iterator_traitsISH_E10value_typeEPNSN_ISI_E10value_typeEPSJ_NS1_7vsmem_tEENKUlT_SH_SI_SJ_E_clIS9_S9_SD_PlEESG_SW_SH_SI_SJ_EUlSW_E0_NS1_11comp_targetILNS1_3genE3ELNS1_11target_archE908ELNS1_3gpuE7ELNS1_3repE0EEENS1_38merge_mergepath_config_static_selectorELNS0_4arch9wavefront6targetE1EEEvSI_,"axG",@progbits,_ZN7rocprim17ROCPRIM_400000_NS6detail17trampoline_kernelINS0_14default_configENS1_38merge_sort_block_merge_config_selectorIN3c104HalfElEEZZNS1_27merge_sort_block_merge_implIS3_PS6_N6thrust23THRUST_200600_302600_NS10device_ptrIlEEmNSB_4lessIS6_EEEE10hipError_tT0_T1_T2_jT3_P12ihipStream_tbPNSt15iterator_traitsISH_E10value_typeEPNSN_ISI_E10value_typeEPSJ_NS1_7vsmem_tEENKUlT_SH_SI_SJ_E_clIS9_S9_SD_PlEESG_SW_SH_SI_SJ_EUlSW_E0_NS1_11comp_targetILNS1_3genE3ELNS1_11target_archE908ELNS1_3gpuE7ELNS1_3repE0EEENS1_38merge_mergepath_config_static_selectorELNS0_4arch9wavefront6targetE1EEEvSI_,comdat
.Lfunc_end2160:
	.size	_ZN7rocprim17ROCPRIM_400000_NS6detail17trampoline_kernelINS0_14default_configENS1_38merge_sort_block_merge_config_selectorIN3c104HalfElEEZZNS1_27merge_sort_block_merge_implIS3_PS6_N6thrust23THRUST_200600_302600_NS10device_ptrIlEEmNSB_4lessIS6_EEEE10hipError_tT0_T1_T2_jT3_P12ihipStream_tbPNSt15iterator_traitsISH_E10value_typeEPNSN_ISI_E10value_typeEPSJ_NS1_7vsmem_tEENKUlT_SH_SI_SJ_E_clIS9_S9_SD_PlEESG_SW_SH_SI_SJ_EUlSW_E0_NS1_11comp_targetILNS1_3genE3ELNS1_11target_archE908ELNS1_3gpuE7ELNS1_3repE0EEENS1_38merge_mergepath_config_static_selectorELNS0_4arch9wavefront6targetE1EEEvSI_, .Lfunc_end2160-_ZN7rocprim17ROCPRIM_400000_NS6detail17trampoline_kernelINS0_14default_configENS1_38merge_sort_block_merge_config_selectorIN3c104HalfElEEZZNS1_27merge_sort_block_merge_implIS3_PS6_N6thrust23THRUST_200600_302600_NS10device_ptrIlEEmNSB_4lessIS6_EEEE10hipError_tT0_T1_T2_jT3_P12ihipStream_tbPNSt15iterator_traitsISH_E10value_typeEPNSN_ISI_E10value_typeEPSJ_NS1_7vsmem_tEENKUlT_SH_SI_SJ_E_clIS9_S9_SD_PlEESG_SW_SH_SI_SJ_EUlSW_E0_NS1_11comp_targetILNS1_3genE3ELNS1_11target_archE908ELNS1_3gpuE7ELNS1_3repE0EEENS1_38merge_mergepath_config_static_selectorELNS0_4arch9wavefront6targetE1EEEvSI_
                                        ; -- End function
	.set _ZN7rocprim17ROCPRIM_400000_NS6detail17trampoline_kernelINS0_14default_configENS1_38merge_sort_block_merge_config_selectorIN3c104HalfElEEZZNS1_27merge_sort_block_merge_implIS3_PS6_N6thrust23THRUST_200600_302600_NS10device_ptrIlEEmNSB_4lessIS6_EEEE10hipError_tT0_T1_T2_jT3_P12ihipStream_tbPNSt15iterator_traitsISH_E10value_typeEPNSN_ISI_E10value_typeEPSJ_NS1_7vsmem_tEENKUlT_SH_SI_SJ_E_clIS9_S9_SD_PlEESG_SW_SH_SI_SJ_EUlSW_E0_NS1_11comp_targetILNS1_3genE3ELNS1_11target_archE908ELNS1_3gpuE7ELNS1_3repE0EEENS1_38merge_mergepath_config_static_selectorELNS0_4arch9wavefront6targetE1EEEvSI_.num_vgpr, 0
	.set _ZN7rocprim17ROCPRIM_400000_NS6detail17trampoline_kernelINS0_14default_configENS1_38merge_sort_block_merge_config_selectorIN3c104HalfElEEZZNS1_27merge_sort_block_merge_implIS3_PS6_N6thrust23THRUST_200600_302600_NS10device_ptrIlEEmNSB_4lessIS6_EEEE10hipError_tT0_T1_T2_jT3_P12ihipStream_tbPNSt15iterator_traitsISH_E10value_typeEPNSN_ISI_E10value_typeEPSJ_NS1_7vsmem_tEENKUlT_SH_SI_SJ_E_clIS9_S9_SD_PlEESG_SW_SH_SI_SJ_EUlSW_E0_NS1_11comp_targetILNS1_3genE3ELNS1_11target_archE908ELNS1_3gpuE7ELNS1_3repE0EEENS1_38merge_mergepath_config_static_selectorELNS0_4arch9wavefront6targetE1EEEvSI_.num_agpr, 0
	.set _ZN7rocprim17ROCPRIM_400000_NS6detail17trampoline_kernelINS0_14default_configENS1_38merge_sort_block_merge_config_selectorIN3c104HalfElEEZZNS1_27merge_sort_block_merge_implIS3_PS6_N6thrust23THRUST_200600_302600_NS10device_ptrIlEEmNSB_4lessIS6_EEEE10hipError_tT0_T1_T2_jT3_P12ihipStream_tbPNSt15iterator_traitsISH_E10value_typeEPNSN_ISI_E10value_typeEPSJ_NS1_7vsmem_tEENKUlT_SH_SI_SJ_E_clIS9_S9_SD_PlEESG_SW_SH_SI_SJ_EUlSW_E0_NS1_11comp_targetILNS1_3genE3ELNS1_11target_archE908ELNS1_3gpuE7ELNS1_3repE0EEENS1_38merge_mergepath_config_static_selectorELNS0_4arch9wavefront6targetE1EEEvSI_.numbered_sgpr, 0
	.set _ZN7rocprim17ROCPRIM_400000_NS6detail17trampoline_kernelINS0_14default_configENS1_38merge_sort_block_merge_config_selectorIN3c104HalfElEEZZNS1_27merge_sort_block_merge_implIS3_PS6_N6thrust23THRUST_200600_302600_NS10device_ptrIlEEmNSB_4lessIS6_EEEE10hipError_tT0_T1_T2_jT3_P12ihipStream_tbPNSt15iterator_traitsISH_E10value_typeEPNSN_ISI_E10value_typeEPSJ_NS1_7vsmem_tEENKUlT_SH_SI_SJ_E_clIS9_S9_SD_PlEESG_SW_SH_SI_SJ_EUlSW_E0_NS1_11comp_targetILNS1_3genE3ELNS1_11target_archE908ELNS1_3gpuE7ELNS1_3repE0EEENS1_38merge_mergepath_config_static_selectorELNS0_4arch9wavefront6targetE1EEEvSI_.num_named_barrier, 0
	.set _ZN7rocprim17ROCPRIM_400000_NS6detail17trampoline_kernelINS0_14default_configENS1_38merge_sort_block_merge_config_selectorIN3c104HalfElEEZZNS1_27merge_sort_block_merge_implIS3_PS6_N6thrust23THRUST_200600_302600_NS10device_ptrIlEEmNSB_4lessIS6_EEEE10hipError_tT0_T1_T2_jT3_P12ihipStream_tbPNSt15iterator_traitsISH_E10value_typeEPNSN_ISI_E10value_typeEPSJ_NS1_7vsmem_tEENKUlT_SH_SI_SJ_E_clIS9_S9_SD_PlEESG_SW_SH_SI_SJ_EUlSW_E0_NS1_11comp_targetILNS1_3genE3ELNS1_11target_archE908ELNS1_3gpuE7ELNS1_3repE0EEENS1_38merge_mergepath_config_static_selectorELNS0_4arch9wavefront6targetE1EEEvSI_.private_seg_size, 0
	.set _ZN7rocprim17ROCPRIM_400000_NS6detail17trampoline_kernelINS0_14default_configENS1_38merge_sort_block_merge_config_selectorIN3c104HalfElEEZZNS1_27merge_sort_block_merge_implIS3_PS6_N6thrust23THRUST_200600_302600_NS10device_ptrIlEEmNSB_4lessIS6_EEEE10hipError_tT0_T1_T2_jT3_P12ihipStream_tbPNSt15iterator_traitsISH_E10value_typeEPNSN_ISI_E10value_typeEPSJ_NS1_7vsmem_tEENKUlT_SH_SI_SJ_E_clIS9_S9_SD_PlEESG_SW_SH_SI_SJ_EUlSW_E0_NS1_11comp_targetILNS1_3genE3ELNS1_11target_archE908ELNS1_3gpuE7ELNS1_3repE0EEENS1_38merge_mergepath_config_static_selectorELNS0_4arch9wavefront6targetE1EEEvSI_.uses_vcc, 0
	.set _ZN7rocprim17ROCPRIM_400000_NS6detail17trampoline_kernelINS0_14default_configENS1_38merge_sort_block_merge_config_selectorIN3c104HalfElEEZZNS1_27merge_sort_block_merge_implIS3_PS6_N6thrust23THRUST_200600_302600_NS10device_ptrIlEEmNSB_4lessIS6_EEEE10hipError_tT0_T1_T2_jT3_P12ihipStream_tbPNSt15iterator_traitsISH_E10value_typeEPNSN_ISI_E10value_typeEPSJ_NS1_7vsmem_tEENKUlT_SH_SI_SJ_E_clIS9_S9_SD_PlEESG_SW_SH_SI_SJ_EUlSW_E0_NS1_11comp_targetILNS1_3genE3ELNS1_11target_archE908ELNS1_3gpuE7ELNS1_3repE0EEENS1_38merge_mergepath_config_static_selectorELNS0_4arch9wavefront6targetE1EEEvSI_.uses_flat_scratch, 0
	.set _ZN7rocprim17ROCPRIM_400000_NS6detail17trampoline_kernelINS0_14default_configENS1_38merge_sort_block_merge_config_selectorIN3c104HalfElEEZZNS1_27merge_sort_block_merge_implIS3_PS6_N6thrust23THRUST_200600_302600_NS10device_ptrIlEEmNSB_4lessIS6_EEEE10hipError_tT0_T1_T2_jT3_P12ihipStream_tbPNSt15iterator_traitsISH_E10value_typeEPNSN_ISI_E10value_typeEPSJ_NS1_7vsmem_tEENKUlT_SH_SI_SJ_E_clIS9_S9_SD_PlEESG_SW_SH_SI_SJ_EUlSW_E0_NS1_11comp_targetILNS1_3genE3ELNS1_11target_archE908ELNS1_3gpuE7ELNS1_3repE0EEENS1_38merge_mergepath_config_static_selectorELNS0_4arch9wavefront6targetE1EEEvSI_.has_dyn_sized_stack, 0
	.set _ZN7rocprim17ROCPRIM_400000_NS6detail17trampoline_kernelINS0_14default_configENS1_38merge_sort_block_merge_config_selectorIN3c104HalfElEEZZNS1_27merge_sort_block_merge_implIS3_PS6_N6thrust23THRUST_200600_302600_NS10device_ptrIlEEmNSB_4lessIS6_EEEE10hipError_tT0_T1_T2_jT3_P12ihipStream_tbPNSt15iterator_traitsISH_E10value_typeEPNSN_ISI_E10value_typeEPSJ_NS1_7vsmem_tEENKUlT_SH_SI_SJ_E_clIS9_S9_SD_PlEESG_SW_SH_SI_SJ_EUlSW_E0_NS1_11comp_targetILNS1_3genE3ELNS1_11target_archE908ELNS1_3gpuE7ELNS1_3repE0EEENS1_38merge_mergepath_config_static_selectorELNS0_4arch9wavefront6targetE1EEEvSI_.has_recursion, 0
	.set _ZN7rocprim17ROCPRIM_400000_NS6detail17trampoline_kernelINS0_14default_configENS1_38merge_sort_block_merge_config_selectorIN3c104HalfElEEZZNS1_27merge_sort_block_merge_implIS3_PS6_N6thrust23THRUST_200600_302600_NS10device_ptrIlEEmNSB_4lessIS6_EEEE10hipError_tT0_T1_T2_jT3_P12ihipStream_tbPNSt15iterator_traitsISH_E10value_typeEPNSN_ISI_E10value_typeEPSJ_NS1_7vsmem_tEENKUlT_SH_SI_SJ_E_clIS9_S9_SD_PlEESG_SW_SH_SI_SJ_EUlSW_E0_NS1_11comp_targetILNS1_3genE3ELNS1_11target_archE908ELNS1_3gpuE7ELNS1_3repE0EEENS1_38merge_mergepath_config_static_selectorELNS0_4arch9wavefront6targetE1EEEvSI_.has_indirect_call, 0
	.section	.AMDGPU.csdata,"",@progbits
; Kernel info:
; codeLenInByte = 0
; TotalNumSgprs: 4
; NumVgprs: 0
; ScratchSize: 0
; MemoryBound: 0
; FloatMode: 240
; IeeeMode: 1
; LDSByteSize: 0 bytes/workgroup (compile time only)
; SGPRBlocks: 0
; VGPRBlocks: 0
; NumSGPRsForWavesPerEU: 4
; NumVGPRsForWavesPerEU: 1
; Occupancy: 10
; WaveLimiterHint : 0
; COMPUTE_PGM_RSRC2:SCRATCH_EN: 0
; COMPUTE_PGM_RSRC2:USER_SGPR: 6
; COMPUTE_PGM_RSRC2:TRAP_HANDLER: 0
; COMPUTE_PGM_RSRC2:TGID_X_EN: 1
; COMPUTE_PGM_RSRC2:TGID_Y_EN: 0
; COMPUTE_PGM_RSRC2:TGID_Z_EN: 0
; COMPUTE_PGM_RSRC2:TIDIG_COMP_CNT: 0
	.section	.text._ZN7rocprim17ROCPRIM_400000_NS6detail17trampoline_kernelINS0_14default_configENS1_38merge_sort_block_merge_config_selectorIN3c104HalfElEEZZNS1_27merge_sort_block_merge_implIS3_PS6_N6thrust23THRUST_200600_302600_NS10device_ptrIlEEmNSB_4lessIS6_EEEE10hipError_tT0_T1_T2_jT3_P12ihipStream_tbPNSt15iterator_traitsISH_E10value_typeEPNSN_ISI_E10value_typeEPSJ_NS1_7vsmem_tEENKUlT_SH_SI_SJ_E_clIS9_S9_SD_PlEESG_SW_SH_SI_SJ_EUlSW_E0_NS1_11comp_targetILNS1_3genE2ELNS1_11target_archE906ELNS1_3gpuE6ELNS1_3repE0EEENS1_38merge_mergepath_config_static_selectorELNS0_4arch9wavefront6targetE1EEEvSI_,"axG",@progbits,_ZN7rocprim17ROCPRIM_400000_NS6detail17trampoline_kernelINS0_14default_configENS1_38merge_sort_block_merge_config_selectorIN3c104HalfElEEZZNS1_27merge_sort_block_merge_implIS3_PS6_N6thrust23THRUST_200600_302600_NS10device_ptrIlEEmNSB_4lessIS6_EEEE10hipError_tT0_T1_T2_jT3_P12ihipStream_tbPNSt15iterator_traitsISH_E10value_typeEPNSN_ISI_E10value_typeEPSJ_NS1_7vsmem_tEENKUlT_SH_SI_SJ_E_clIS9_S9_SD_PlEESG_SW_SH_SI_SJ_EUlSW_E0_NS1_11comp_targetILNS1_3genE2ELNS1_11target_archE906ELNS1_3gpuE6ELNS1_3repE0EEENS1_38merge_mergepath_config_static_selectorELNS0_4arch9wavefront6targetE1EEEvSI_,comdat
	.protected	_ZN7rocprim17ROCPRIM_400000_NS6detail17trampoline_kernelINS0_14default_configENS1_38merge_sort_block_merge_config_selectorIN3c104HalfElEEZZNS1_27merge_sort_block_merge_implIS3_PS6_N6thrust23THRUST_200600_302600_NS10device_ptrIlEEmNSB_4lessIS6_EEEE10hipError_tT0_T1_T2_jT3_P12ihipStream_tbPNSt15iterator_traitsISH_E10value_typeEPNSN_ISI_E10value_typeEPSJ_NS1_7vsmem_tEENKUlT_SH_SI_SJ_E_clIS9_S9_SD_PlEESG_SW_SH_SI_SJ_EUlSW_E0_NS1_11comp_targetILNS1_3genE2ELNS1_11target_archE906ELNS1_3gpuE6ELNS1_3repE0EEENS1_38merge_mergepath_config_static_selectorELNS0_4arch9wavefront6targetE1EEEvSI_ ; -- Begin function _ZN7rocprim17ROCPRIM_400000_NS6detail17trampoline_kernelINS0_14default_configENS1_38merge_sort_block_merge_config_selectorIN3c104HalfElEEZZNS1_27merge_sort_block_merge_implIS3_PS6_N6thrust23THRUST_200600_302600_NS10device_ptrIlEEmNSB_4lessIS6_EEEE10hipError_tT0_T1_T2_jT3_P12ihipStream_tbPNSt15iterator_traitsISH_E10value_typeEPNSN_ISI_E10value_typeEPSJ_NS1_7vsmem_tEENKUlT_SH_SI_SJ_E_clIS9_S9_SD_PlEESG_SW_SH_SI_SJ_EUlSW_E0_NS1_11comp_targetILNS1_3genE2ELNS1_11target_archE906ELNS1_3gpuE6ELNS1_3repE0EEENS1_38merge_mergepath_config_static_selectorELNS0_4arch9wavefront6targetE1EEEvSI_
	.globl	_ZN7rocprim17ROCPRIM_400000_NS6detail17trampoline_kernelINS0_14default_configENS1_38merge_sort_block_merge_config_selectorIN3c104HalfElEEZZNS1_27merge_sort_block_merge_implIS3_PS6_N6thrust23THRUST_200600_302600_NS10device_ptrIlEEmNSB_4lessIS6_EEEE10hipError_tT0_T1_T2_jT3_P12ihipStream_tbPNSt15iterator_traitsISH_E10value_typeEPNSN_ISI_E10value_typeEPSJ_NS1_7vsmem_tEENKUlT_SH_SI_SJ_E_clIS9_S9_SD_PlEESG_SW_SH_SI_SJ_EUlSW_E0_NS1_11comp_targetILNS1_3genE2ELNS1_11target_archE906ELNS1_3gpuE6ELNS1_3repE0EEENS1_38merge_mergepath_config_static_selectorELNS0_4arch9wavefront6targetE1EEEvSI_
	.p2align	8
	.type	_ZN7rocprim17ROCPRIM_400000_NS6detail17trampoline_kernelINS0_14default_configENS1_38merge_sort_block_merge_config_selectorIN3c104HalfElEEZZNS1_27merge_sort_block_merge_implIS3_PS6_N6thrust23THRUST_200600_302600_NS10device_ptrIlEEmNSB_4lessIS6_EEEE10hipError_tT0_T1_T2_jT3_P12ihipStream_tbPNSt15iterator_traitsISH_E10value_typeEPNSN_ISI_E10value_typeEPSJ_NS1_7vsmem_tEENKUlT_SH_SI_SJ_E_clIS9_S9_SD_PlEESG_SW_SH_SI_SJ_EUlSW_E0_NS1_11comp_targetILNS1_3genE2ELNS1_11target_archE906ELNS1_3gpuE6ELNS1_3repE0EEENS1_38merge_mergepath_config_static_selectorELNS0_4arch9wavefront6targetE1EEEvSI_,@function
_ZN7rocprim17ROCPRIM_400000_NS6detail17trampoline_kernelINS0_14default_configENS1_38merge_sort_block_merge_config_selectorIN3c104HalfElEEZZNS1_27merge_sort_block_merge_implIS3_PS6_N6thrust23THRUST_200600_302600_NS10device_ptrIlEEmNSB_4lessIS6_EEEE10hipError_tT0_T1_T2_jT3_P12ihipStream_tbPNSt15iterator_traitsISH_E10value_typeEPNSN_ISI_E10value_typeEPSJ_NS1_7vsmem_tEENKUlT_SH_SI_SJ_E_clIS9_S9_SD_PlEESG_SW_SH_SI_SJ_EUlSW_E0_NS1_11comp_targetILNS1_3genE2ELNS1_11target_archE906ELNS1_3gpuE6ELNS1_3repE0EEENS1_38merge_mergepath_config_static_selectorELNS0_4arch9wavefront6targetE1EEEvSI_: ; @_ZN7rocprim17ROCPRIM_400000_NS6detail17trampoline_kernelINS0_14default_configENS1_38merge_sort_block_merge_config_selectorIN3c104HalfElEEZZNS1_27merge_sort_block_merge_implIS3_PS6_N6thrust23THRUST_200600_302600_NS10device_ptrIlEEmNSB_4lessIS6_EEEE10hipError_tT0_T1_T2_jT3_P12ihipStream_tbPNSt15iterator_traitsISH_E10value_typeEPNSN_ISI_E10value_typeEPSJ_NS1_7vsmem_tEENKUlT_SH_SI_SJ_E_clIS9_S9_SD_PlEESG_SW_SH_SI_SJ_EUlSW_E0_NS1_11comp_targetILNS1_3genE2ELNS1_11target_archE906ELNS1_3gpuE6ELNS1_3repE0EEENS1_38merge_mergepath_config_static_selectorELNS0_4arch9wavefront6targetE1EEEvSI_
; %bb.0:
	s_load_dwordx2 s[28:29], s[4:5], 0x48
	s_load_dword s1, s[4:5], 0x38
	s_add_u32 s26, s4, 0x48
	s_addc_u32 s27, s5, 0
	s_waitcnt lgkmcnt(0)
	s_mul_i32 s0, s29, s8
	s_add_i32 s0, s0, s7
	s_mul_i32 s0, s0, s28
	s_add_i32 s0, s0, s6
	s_cmp_ge_u32 s0, s1
	s_cbranch_scc1 .LBB2161_55
; %bb.1:
	s_load_dwordx2 s[2:3], s[4:5], 0x40
	s_load_dwordx4 s[16:19], s[4:5], 0x28
	s_mov_b32 s1, 0
	s_lshl_b64 s[8:9], s[0:1], 3
	s_waitcnt lgkmcnt(0)
	s_add_u32 s2, s2, s8
	s_addc_u32 s3, s3, s9
	s_lshr_b64 s[8:9], s[18:19], 9
	s_load_dwordx4 s[20:23], s[2:3], 0x0
	s_and_b32 s2, s8, -2
	s_sub_i32 s36, 0, s2
	s_and_b32 s8, s0, s36
	s_mov_b32 s9, s1
	s_lshl_b64 s[2:3], s[8:9], 10
	s_lshl_b64 s[24:25], s[0:1], 10
	s_sub_u32 s7, s24, s2
	s_subb_u32 s10, s25, s3
	s_lshl_b64 s[8:9], s[8:9], 11
	s_add_u32 s31, s8, s18
	s_addc_u32 s33, s9, s19
	s_add_u32 s7, s31, s7
	s_addc_u32 s30, s33, s10
	s_waitcnt lgkmcnt(0)
	s_sub_u32 s8, s7, s22
	s_subb_u32 s9, s30, s23
	s_add_u32 s34, s8, 0x400
	s_addc_u32 s35, s9, 0
	v_mov_b32_e32 v1, s34
	v_mov_b32_e32 v2, s35
	v_cmp_lt_u64_e32 vcc, s[16:17], v[1:2]
	s_load_dwordx8 s[8:15], s[4:5], 0x8
	s_and_b64 s[4:5], vcc, exec
	s_cselect_b32 s29, s16, s34
	s_or_b32 s4, s0, s36
	s_cmp_lg_u32 s4, -1
	s_cbranch_scc1 .LBB2161_3
; %bb.2:
	s_sub_u32 s2, s31, s2
	s_subb_u32 s3, s33, s3
	v_mov_b32_e32 v1, s2
	v_mov_b32_e32 v2, s3
	v_cmp_lt_u64_e32 vcc, s[16:17], v[1:2]
	s_and_b64 s[4:5], vcc, exec
	s_cselect_b32 s22, s16, s2
	s_add_u32 s2, s2, s18
	s_addc_u32 s3, s3, s19
	v_mov_b32_e32 v1, s2
	v_mov_b32_e32 v2, s3
	v_cmp_lt_u64_e32 vcc, s[16:17], v[1:2]
	s_and_b64 s[4:5], vcc, exec
	s_cselect_b32 s29, s16, s2
.LBB2161_3:
	s_lshr_b64 s[4:5], s[16:17], 10
	s_cmp_lg_u64 s[4:5], s[0:1]
	s_cselect_b64 s[18:19], -1, 0
	s_sub_u32 s2, s7, s20
	s_subb_u32 s3, s30, s21
	v_mov_b32_e32 v1, s2
	v_mov_b32_e32 v2, s3
	v_cmp_lt_u64_e32 vcc, s[16:17], v[1:2]
	v_mov_b32_e32 v2, 0
	s_and_b64 s[30:31], vcc, exec
	s_cselect_b32 s3, s17, s3
	s_cselect_b32 s2, s16, s2
	s_sub_i32 s17, s22, s20
	s_lshl_b64 s[22:23], s[20:21], 1
	s_waitcnt lgkmcnt(0)
	s_add_u32 s22, s8, s22
	s_addc_u32 s23, s9, s23
	s_lshl_b64 s[30:31], s[2:3], 1
	s_add_u32 s7, s8, s30
	global_load_dword v1, v2, s[26:27] offset:14
	s_addc_u32 s8, s9, s31
	s_cmp_lt_u32 s6, s28
	s_cselect_b32 s6, 12, 18
	s_add_u32 s26, s26, s6
	s_addc_u32 s27, s27, 0
	global_load_ushort v3, v2, s[26:27]
	s_cmp_eq_u64 s[4:5], s[0:1]
	v_lshlrev_b32_e32 v13, 1, v0
	s_waitcnt vmcnt(1)
	v_lshrrev_b32_e32 v4, 16, v1
	v_and_b32_e32 v1, 0xffff, v1
	v_mul_lo_u32 v1, v1, v4
	s_waitcnt vmcnt(0)
	v_mul_lo_u32 v18, v1, v3
	v_add_u32_e32 v11, v18, v0
	v_add_u32_e32 v9, v11, v18
	s_cbranch_scc1 .LBB2161_5
; %bb.4:
	v_mov_b32_e32 v1, s23
	v_add_co_u32_e32 v5, vcc, s22, v13
	v_addc_co_u32_e32 v6, vcc, 0, v1, vcc
	v_subrev_co_u32_e32 v1, vcc, s17, v0
	v_lshlrev_b64 v[3:4], 1, v[1:2]
	v_mov_b32_e32 v1, s8
	v_add_co_u32_e64 v3, s[0:1], s7, v3
	v_addc_co_u32_e64 v1, s[0:1], v1, v4, s[0:1]
	v_cndmask_b32_e32 v4, v1, v6, vcc
	v_cndmask_b32_e32 v3, v3, v5, vcc
	v_mov_b32_e32 v12, v2
	global_load_ushort v15, v[3:4], off
	v_lshlrev_b64 v[3:4], 1, v[11:12]
	v_mov_b32_e32 v1, s23
	v_add_co_u32_e32 v5, vcc, s22, v3
	v_addc_co_u32_e32 v6, vcc, v1, v4, vcc
	v_subrev_co_u32_e32 v1, vcc, s17, v11
	v_lshlrev_b64 v[3:4], 1, v[1:2]
	v_mov_b32_e32 v1, s8
	v_add_co_u32_e64 v3, s[0:1], s7, v3
	v_addc_co_u32_e64 v1, s[0:1], v1, v4, s[0:1]
	v_cndmask_b32_e32 v4, v1, v6, vcc
	v_cndmask_b32_e32 v3, v3, v5, vcc
	v_mov_b32_e32 v10, v2
	global_load_ushort v16, v[3:4], off
	v_lshlrev_b64 v[3:4], 1, v[9:10]
	v_mov_b32_e32 v1, s23
	v_add_co_u32_e32 v3, vcc, s22, v3
	v_addc_co_u32_e32 v4, vcc, v1, v4, vcc
	v_subrev_co_u32_e32 v1, vcc, s17, v9
	v_lshlrev_b64 v[1:2], 1, v[1:2]
	v_mov_b32_e32 v5, s8
	v_add_co_u32_e64 v1, s[0:1], s7, v1
	v_addc_co_u32_e64 v2, s[0:1], v5, v2, s[0:1]
	v_cndmask_b32_e32 v2, v2, v4, vcc
	v_cndmask_b32_e32 v1, v1, v3, vcc
	global_load_ushort v17, v[1:2], off
	v_add_u32_e32 v1, v9, v18
	s_mov_b64 s[0:1], -1
	s_sub_i32 s6, s29, s2
	s_cbranch_execz .LBB2161_6
	s_branch .LBB2161_13
.LBB2161_5:
	s_mov_b64 s[0:1], 0
                                        ; implicit-def: $vgpr1
                                        ; implicit-def: $vgpr17
                                        ; implicit-def: $vgpr16
                                        ; implicit-def: $vgpr15
	s_sub_i32 s6, s29, s2
.LBB2161_6:
	s_add_i32 s9, s17, s6
	v_cmp_gt_u32_e32 vcc, s9, v0
                                        ; implicit-def: $vgpr15
	s_and_saveexec_b64 s[4:5], vcc
	s_cbranch_execz .LBB2161_8
; %bb.7:
	v_mov_b32_e32 v1, s23
	v_add_co_u32_e32 v3, vcc, s22, v13
	v_addc_co_u32_e32 v4, vcc, 0, v1, vcc
	v_subrev_co_u32_e32 v1, vcc, s17, v0
	v_mov_b32_e32 v2, 0
	v_lshlrev_b64 v[1:2], 1, v[1:2]
	v_mov_b32_e32 v5, s8
	v_add_co_u32_e64 v1, s[0:1], s7, v1
	v_addc_co_u32_e64 v2, s[0:1], v5, v2, s[0:1]
	v_cndmask_b32_e32 v2, v2, v4, vcc
	v_cndmask_b32_e32 v1, v1, v3, vcc
	global_load_ushort v15, v[1:2], off
.LBB2161_8:
	s_or_b64 exec, exec, s[4:5]
	v_cmp_gt_u32_e32 vcc, s9, v11
                                        ; implicit-def: $vgpr16
	s_and_saveexec_b64 s[4:5], vcc
	s_cbranch_execz .LBB2161_10
; %bb.9:
	v_mov_b32_e32 v12, 0
	v_lshlrev_b64 v[1:2], 1, v[11:12]
	v_mov_b32_e32 v3, s23
	v_add_co_u32_e32 v4, vcc, s22, v1
	v_addc_co_u32_e32 v3, vcc, v3, v2, vcc
	v_subrev_co_u32_e32 v1, vcc, s17, v11
	v_mov_b32_e32 v2, v12
	v_lshlrev_b64 v[1:2], 1, v[1:2]
	v_mov_b32_e32 v5, s8
	v_add_co_u32_e64 v1, s[0:1], s7, v1
	v_addc_co_u32_e64 v2, s[0:1], v5, v2, s[0:1]
	v_cndmask_b32_e32 v2, v2, v3, vcc
	v_cndmask_b32_e32 v1, v1, v4, vcc
	global_load_ushort v16, v[1:2], off
.LBB2161_10:
	s_or_b64 exec, exec, s[4:5]
	v_cmp_gt_u32_e32 vcc, s9, v9
                                        ; implicit-def: $vgpr17
	s_and_saveexec_b64 s[4:5], vcc
	s_cbranch_execz .LBB2161_12
; %bb.11:
	v_mov_b32_e32 v10, 0
	v_lshlrev_b64 v[1:2], 1, v[9:10]
	v_mov_b32_e32 v3, s23
	v_add_co_u32_e32 v4, vcc, s22, v1
	v_addc_co_u32_e32 v3, vcc, v3, v2, vcc
	v_subrev_co_u32_e32 v1, vcc, s17, v9
	v_mov_b32_e32 v2, v10
	v_lshlrev_b64 v[1:2], 1, v[1:2]
	v_mov_b32_e32 v5, s8
	v_add_co_u32_e64 v1, s[0:1], s7, v1
	v_addc_co_u32_e64 v2, s[0:1], v5, v2, s[0:1]
	v_cndmask_b32_e32 v2, v2, v3, vcc
	v_cndmask_b32_e32 v1, v1, v4, vcc
	global_load_ushort v17, v[1:2], off
.LBB2161_12:
	s_or_b64 exec, exec, s[4:5]
	v_add_u32_e32 v1, v9, v18
	v_cmp_gt_u32_e64 s[0:1], s9, v1
.LBB2161_13:
                                        ; implicit-def: $vgpr19
	s_and_saveexec_b64 s[4:5], s[0:1]
	s_cbranch_execz .LBB2161_15
; %bb.14:
	v_mov_b32_e32 v2, 0
	v_lshlrev_b64 v[3:4], 1, v[1:2]
	v_mov_b32_e32 v5, s23
	v_add_co_u32_e32 v3, vcc, s22, v3
	v_addc_co_u32_e32 v4, vcc, v5, v4, vcc
	v_subrev_co_u32_e32 v1, vcc, s17, v1
	v_lshlrev_b64 v[1:2], 1, v[1:2]
	v_mov_b32_e32 v5, s8
	v_add_co_u32_e64 v1, s[0:1], s7, v1
	v_addc_co_u32_e64 v2, s[0:1], v5, v2, s[0:1]
	v_cndmask_b32_e32 v2, v2, v4, vcc
	v_cndmask_b32_e32 v1, v1, v3, vcc
	global_load_ushort v19, v[1:2], off
.LBB2161_15:
	s_or_b64 exec, exec, s[4:5]
	s_lshl_b64 s[0:1], s[20:21], 3
	s_add_u32 s5, s12, s0
	s_addc_u32 s8, s13, s1
	s_lshl_b64 s[0:1], s[2:3], 3
	s_add_u32 s4, s12, s0
	v_mov_b32_e32 v7, 0
	s_addc_u32 s7, s13, s1
	s_andn2_b64 vcc, exec, s[18:19]
	v_lshlrev_b32_e32 v14, 3, v0
	s_waitcnt vmcnt(0)
	ds_write_b16 v13, v15
	ds_write_b16 v13, v16 offset:512
	ds_write_b16 v13, v17 offset:1024
	;; [unrolled: 1-line block ×3, first 2 shown]
	s_cbranch_vccnz .LBB2161_17
; %bb.16:
	v_mov_b32_e32 v1, s8
	v_add_co_u32_e32 v3, vcc, s5, v14
	v_addc_co_u32_e32 v4, vcc, 0, v1, vcc
	v_subrev_co_u32_e32 v6, vcc, s17, v0
	v_lshlrev_b64 v[1:2], 3, v[6:7]
	v_mov_b32_e32 v5, s7
	v_add_co_u32_e64 v1, s[0:1], s4, v1
	v_addc_co_u32_e64 v2, s[0:1], v5, v2, s[0:1]
	v_mov_b32_e32 v12, v7
	v_cndmask_b32_e32 v2, v2, v4, vcc
	v_cndmask_b32_e32 v1, v1, v3, vcc
	v_lshlrev_b64 v[3:4], 3, v[11:12]
	v_mov_b32_e32 v5, s8
	v_add_co_u32_e32 v8, vcc, s5, v3
	v_addc_co_u32_e32 v5, vcc, v5, v4, vcc
	v_subrev_co_u32_e32 v6, vcc, s17, v11
	v_lshlrev_b64 v[3:4], 3, v[6:7]
	v_mov_b32_e32 v6, s7
	v_add_co_u32_e64 v3, s[0:1], s4, v3
	v_addc_co_u32_e64 v4, s[0:1], v6, v4, s[0:1]
	v_mov_b32_e32 v10, v7
	v_cndmask_b32_e32 v4, v4, v5, vcc
	v_lshlrev_b64 v[5:6], 3, v[9:10]
	v_cndmask_b32_e32 v3, v3, v8, vcc
	v_mov_b32_e32 v8, s8
	v_add_co_u32_e32 v10, vcc, s5, v5
	v_addc_co_u32_e32 v8, vcc, v8, v6, vcc
	v_subrev_co_u32_e32 v6, vcc, s17, v9
	v_lshlrev_b64 v[5:6], 3, v[6:7]
	v_mov_b32_e32 v12, s7
	v_add_co_u32_e64 v5, s[0:1], s4, v5
	v_addc_co_u32_e64 v6, s[0:1], v12, v6, s[0:1]
	v_cndmask_b32_e32 v6, v6, v8, vcc
	v_cndmask_b32_e32 v5, v5, v10, vcc
	global_load_dwordx2 v[1:2], v[1:2], off
	s_add_i32 s9, s17, s6
	global_load_dwordx2 v[3:4], v[3:4], off
	v_mov_b32_e32 v8, v7
	global_load_dwordx2 v[5:6], v[5:6], off
	v_add_u32_e32 v10, v9, v18
	s_mov_b64 s[0:1], -1
	v_mov_b32_e32 v12, s9
	s_cbranch_execz .LBB2161_18
	s_branch .LBB2161_23
.LBB2161_17:
	s_mov_b64 s[0:1], 0
                                        ; implicit-def: $vgpr10
                                        ; implicit-def: $vgpr1_vgpr2_vgpr3_vgpr4_vgpr5_vgpr6_vgpr7_vgpr8
                                        ; implicit-def: $vgpr12
.LBB2161_18:
	s_add_i32 s9, s17, s6
	s_waitcnt vmcnt(2)
	v_mov_b32_e32 v1, 0
	v_cmp_gt_u32_e32 vcc, s9, v0
	v_mov_b32_e32 v2, v1
	s_waitcnt vmcnt(1)
	v_mov_b32_e32 v3, v1
	v_mov_b32_e32 v4, v1
	s_waitcnt vmcnt(0)
	v_mov_b32_e32 v5, v1
	v_mov_b32_e32 v6, v1
	v_mov_b32_e32 v7, v1
	v_mov_b32_e32 v8, v1
	s_and_saveexec_b64 s[2:3], vcc
	s_cbranch_execz .LBB2161_37
; %bb.19:
	v_mov_b32_e32 v2, s8
	v_add_co_u32_e32 v4, vcc, s5, v14
	v_addc_co_u32_e32 v5, vcc, 0, v2, vcc
	v_subrev_co_u32_e32 v2, vcc, s17, v0
	v_mov_b32_e32 v3, v1
	v_lshlrev_b64 v[2:3], 3, v[2:3]
	v_mov_b32_e32 v6, s7
	v_add_co_u32_e64 v2, s[0:1], s4, v2
	v_addc_co_u32_e64 v3, s[0:1], v6, v3, s[0:1]
	v_cndmask_b32_e32 v3, v3, v5, vcc
	v_cndmask_b32_e32 v2, v2, v4, vcc
	global_load_dwordx2 v[20:21], v[2:3], off
	v_mov_b32_e32 v22, v1
	v_mov_b32_e32 v23, v1
	;; [unrolled: 1-line block ×6, first 2 shown]
	s_waitcnt vmcnt(0)
	v_mov_b32_e32 v1, v20
	v_mov_b32_e32 v2, v21
	;; [unrolled: 1-line block ×8, first 2 shown]
	s_or_b64 exec, exec, s[2:3]
	v_cmp_gt_u32_e32 vcc, s9, v11
	s_and_saveexec_b64 s[2:3], vcc
	s_cbranch_execnz .LBB2161_38
.LBB2161_20:
	s_or_b64 exec, exec, s[2:3]
	v_cmp_gt_u32_e32 vcc, s9, v9
	s_and_saveexec_b64 s[2:3], vcc
	s_cbranch_execz .LBB2161_22
.LBB2161_21:
	v_mov_b32_e32 v10, 0
	v_lshlrev_b64 v[5:6], 3, v[9:10]
	v_mov_b32_e32 v11, s8
	v_add_co_u32_e32 v12, vcc, s5, v5
	v_addc_co_u32_e32 v11, vcc, v11, v6, vcc
	v_subrev_co_u32_e32 v5, vcc, s17, v9
	v_mov_b32_e32 v6, v10
	v_lshlrev_b64 v[5:6], 3, v[5:6]
	v_mov_b32_e32 v10, s7
	v_add_co_u32_e64 v5, s[0:1], s4, v5
	v_addc_co_u32_e64 v6, s[0:1], v10, v6, s[0:1]
	v_cndmask_b32_e32 v6, v6, v11, vcc
	v_cndmask_b32_e32 v5, v5, v12, vcc
	global_load_dwordx2 v[5:6], v[5:6], off
.LBB2161_22:
	s_or_b64 exec, exec, s[2:3]
	v_add_u32_e32 v10, v9, v18
	v_cmp_gt_u32_e64 s[0:1], s9, v10
	v_mov_b32_e32 v12, s9
.LBB2161_23:
	s_and_saveexec_b64 s[2:3], s[0:1]
	s_cbranch_execz .LBB2161_25
; %bb.24:
	v_mov_b32_e32 v8, 0
	v_mov_b32_e32 v11, v8
	v_lshlrev_b64 v[20:21], 3, v[10:11]
	v_mov_b32_e32 v7, s8
	v_add_co_u32_e32 v9, vcc, s5, v20
	v_addc_co_u32_e32 v11, vcc, v7, v21, vcc
	v_subrev_co_u32_e32 v7, vcc, s17, v10
	v_lshlrev_b64 v[7:8], 3, v[7:8]
	v_mov_b32_e32 v10, s7
	v_add_co_u32_e64 v7, s[0:1], s4, v7
	v_addc_co_u32_e64 v8, s[0:1], v10, v8, s[0:1]
	v_cndmask_b32_e32 v8, v8, v11, vcc
	v_cndmask_b32_e32 v7, v7, v9, vcc
	global_load_dwordx2 v[7:8], v[7:8], off
.LBB2161_25:
	s_or_b64 exec, exec, s[2:3]
	v_lshlrev_b32_e32 v11, 2, v0
	v_min_u32_e32 v10, v12, v11
	v_sub_u32_e64 v9, v10, s6 clamp
	v_min_u32_e32 v18, s17, v10
	v_cmp_lt_u32_e32 vcc, v9, v18
	s_waitcnt vmcnt(0) lgkmcnt(0)
	s_barrier
	s_and_saveexec_b64 s[0:1], vcc
	s_cbranch_execz .LBB2161_29
; %bb.26:
	v_lshlrev_b32_e32 v20, 1, v10
	v_lshl_add_u32 v20, s17, 1, v20
	s_mov_b64 s[2:3], 0
.LBB2161_27:                            ; =>This Inner Loop Header: Depth=1
	v_add_u32_e32 v21, v18, v9
	v_lshrrev_b32_e32 v22, 1, v21
	v_not_b32_e32 v23, v22
	v_and_b32_e32 v21, -2, v21
	v_lshl_add_u32 v23, v23, 1, v20
	ds_read_u16 v21, v21
	ds_read_u16 v23, v23
	v_add_u32_e32 v24, 1, v22
	s_waitcnt lgkmcnt(0)
	v_cmp_lt_f16_e32 vcc, v23, v21
	v_cndmask_b32_e32 v18, v18, v22, vcc
	v_cndmask_b32_e32 v9, v24, v9, vcc
	v_cmp_ge_u32_e32 vcc, v9, v18
	s_or_b64 s[2:3], vcc, s[2:3]
	s_andn2_b64 exec, exec, s[2:3]
	s_cbranch_execnz .LBB2161_27
; %bb.28:
	s_or_b64 exec, exec, s[2:3]
.LBB2161_29:
	s_or_b64 exec, exec, s[0:1]
	v_sub_u32_e32 v10, v10, v9
	v_add_u32_e32 v21, s17, v10
	v_cmp_ge_u32_e32 vcc, s17, v9
	v_cmp_le_u32_e64 s[0:1], v21, v12
	s_or_b64 s[0:1], vcc, s[0:1]
	v_mov_b32_e32 v22, 0
	v_mov_b32_e32 v20, 0
	;; [unrolled: 1-line block ×4, first 2 shown]
	s_and_saveexec_b64 s[8:9], s[0:1]
	s_cbranch_execz .LBB2161_35
; %bb.30:
	v_cmp_gt_u32_e32 vcc, s17, v9
                                        ; implicit-def: $vgpr15
	s_and_saveexec_b64 s[0:1], vcc
; %bb.31:
	v_lshlrev_b32_e32 v10, 1, v9
	ds_read_u16 v15, v10
; %bb.32:
	s_or_b64 exec, exec, s[0:1]
	v_cmp_ge_u32_e64 s[0:1], v21, v12
	v_cmp_lt_u32_e64 s[2:3], v21, v12
                                        ; implicit-def: $vgpr16
	s_and_saveexec_b64 s[4:5], s[2:3]
; %bb.33:
	v_lshlrev_b32_e32 v10, 1, v21
	ds_read_u16 v16, v10
; %bb.34:
	s_or_b64 exec, exec, s[4:5]
	s_waitcnt lgkmcnt(0)
	v_cmp_nlt_f16_e64 s[2:3], v16, v15
	s_and_b64 s[2:3], vcc, s[2:3]
	s_or_b64 vcc, s[0:1], s[2:3]
	v_mov_b32_e32 v17, s17
	v_cndmask_b32_e32 v10, v21, v9, vcc
	v_cndmask_b32_e32 v18, v12, v17, vcc
	v_add_u32_e32 v19, 1, v10
	v_add_u32_e32 v18, -1, v18
	v_min_u32_e32 v18, v19, v18
	v_lshlrev_b32_e32 v18, 1, v18
	ds_read_u16 v18, v18
	v_cndmask_b32_e32 v9, v9, v19, vcc
	v_cndmask_b32_e32 v20, v19, v21, vcc
	v_cmp_gt_u32_e64 s[2:3], s17, v9
	v_cmp_ge_u32_e64 s[0:1], v20, v12
	s_waitcnt lgkmcnt(0)
	v_cndmask_b32_e32 v22, v18, v16, vcc
	v_cndmask_b32_e32 v23, v15, v18, vcc
	v_cmp_nlt_f16_e64 s[4:5], v22, v23
	s_and_b64 s[2:3], s[2:3], s[4:5]
	s_or_b64 s[0:1], s[0:1], s[2:3]
	v_cndmask_b32_e64 v18, v20, v9, s[0:1]
	v_cndmask_b32_e64 v19, v12, v17, s[0:1]
	v_add_u32_e32 v21, 1, v18
	v_add_u32_e32 v19, -1, v19
	v_min_u32_e32 v19, v21, v19
	v_lshlrev_b32_e32 v19, 1, v19
	ds_read_u16 v19, v19
	v_cndmask_b32_e64 v9, v9, v21, s[0:1]
	v_cndmask_b32_e64 v25, v21, v20, s[0:1]
	v_cmp_gt_u32_e64 s[4:5], s17, v9
	v_cmp_ge_u32_e64 s[2:3], v25, v12
	s_waitcnt lgkmcnt(0)
	v_cndmask_b32_e64 v24, v19, v22, s[0:1]
	v_cndmask_b32_e64 v19, v23, v19, s[0:1]
	v_cmp_nlt_f16_e64 s[6:7], v24, v19
	s_and_b64 s[4:5], s[4:5], s[6:7]
	s_or_b64 s[2:3], s[2:3], s[4:5]
	v_cndmask_b32_e64 v20, v25, v9, s[2:3]
	v_cndmask_b32_e64 v17, v12, v17, s[2:3]
	v_add_u32_e32 v21, 1, v20
	v_add_u32_e32 v17, -1, v17
	v_min_u32_e32 v17, v21, v17
	v_lshlrev_b32_e32 v17, 1, v17
	ds_read_u16 v26, v17
	v_cndmask_b32_e32 v15, v16, v15, vcc
	v_cndmask_b32_e64 v16, v22, v23, s[0:1]
	v_cndmask_b32_e64 v17, v24, v19, s[2:3]
	;; [unrolled: 1-line block ×3, first 2 shown]
	s_waitcnt lgkmcnt(0)
	v_cndmask_b32_e64 v23, v26, v24, s[2:3]
	v_cndmask_b32_e64 v19, v19, v26, s[2:3]
	;; [unrolled: 1-line block ×3, first 2 shown]
	v_cmp_gt_u32_e64 s[0:1], s17, v9
	v_cmp_nlt_f16_e64 s[2:3], v23, v19
	v_cmp_ge_u32_e32 vcc, v22, v12
	s_and_b64 s[0:1], s[0:1], s[2:3]
	s_or_b64 vcc, vcc, s[0:1]
	v_cndmask_b32_e32 v22, v22, v9, vcc
	v_cndmask_b32_e32 v19, v23, v19, vcc
.LBB2161_35:
	s_or_b64 exec, exec, s[8:9]
	v_mad_u32_u24 v9, v0, 6, v13
	s_barrier
	ds_write2st64_b64 v9, v[1:2], v[3:4] offset1:4
	ds_write2st64_b64 v9, v[5:6], v[7:8] offset0:8 offset1:12
	v_lshrrev_b32_e32 v9, 2, v0
	v_and_b32_e32 v9, 60, v9
	s_mov_b32 s2, 0x5040100
	v_lshlrev_b32_e32 v1, 3, v10
	v_lshlrev_b32_e32 v2, 3, v18
	;; [unrolled: 1-line block ×4, first 2 shown]
	v_lshl_add_u32 v9, v11, 1, v9
	v_perm_b32 v10, v19, v17, s2
	v_perm_b32 v12, v16, v15, s2
	s_waitcnt lgkmcnt(0)
	s_barrier
	ds_read_b64 v[5:6], v1
	ds_read_b64 v[7:8], v2
	;; [unrolled: 1-line block ×4, first 2 shown]
	s_waitcnt lgkmcnt(0)
	s_barrier
	s_barrier
	ds_write2_b32 v9, v12, v10 offset1:1
	v_lshrrev_b32_e32 v9, 4, v0
	v_and_b32_e32 v9, 12, v9
	v_or_b32_e32 v22, 0x100, v0
	v_add_u32_e32 v23, v9, v13
	v_lshrrev_b32_e32 v9, 4, v22
	v_and_b32_e32 v9, 28, v9
	v_or_b32_e32 v21, 0x200, v0
	v_add_u32_e32 v24, v9, v13
	v_lshrrev_b32_e32 v9, 4, v21
	s_lshl_b64 s[0:1], s[24:25], 1
	v_and_b32_e32 v9, 44, v9
	v_or_b32_e32 v20, 0x300, v0
	s_add_u32 s0, s10, s0
	v_add_u32_e32 v25, v9, v13
	v_lshrrev_b32_e32 v9, 4, v20
	s_addc_u32 s1, s11, s1
	v_and_b32_e32 v9, 60, v9
	v_add_u32_e32 v26, v9, v13
	v_mov_b32_e32 v10, s1
	v_add_co_u32_e32 v9, vcc, s0, v13
	v_addc_co_u32_e32 v10, vcc, 0, v10, vcc
	v_lshrrev_b32_e32 v18, 3, v0
	v_lshrrev_b32_e32 v15, 5, v0
	;; [unrolled: 1-line block ×5, first 2 shown]
	s_and_b64 vcc, exec, s[18:19]
	v_lshlrev_b32_e32 v13, 3, v11
	s_waitcnt lgkmcnt(0)
	s_cbranch_vccz .LBB2161_39
; %bb.36:
	s_barrier
	ds_read_u16 v11, v23
	ds_read_u16 v12, v24 offset:512
	ds_read_u16 v27, v25 offset:1024
	;; [unrolled: 1-line block ×3, first 2 shown]
	s_lshl_b64 s[0:1], s[24:25], 3
	s_add_u32 s0, s14, s0
	s_waitcnt lgkmcnt(3)
	global_store_short v[9:10], v11, off
	s_waitcnt lgkmcnt(2)
	global_store_short v[9:10], v12, off offset:512
	s_waitcnt lgkmcnt(1)
	global_store_short v[9:10], v27, off offset:1024
	;; [unrolled: 2-line block ×3, first 2 shown]
	v_lshl_add_u32 v11, v18, 3, v13
	s_waitcnt vmcnt(0)
	s_barrier
	ds_write2_b64 v11, v[5:6], v[7:8] offset1:1
	ds_write2_b64 v11, v[1:2], v[3:4] offset0:2 offset1:3
	v_lshl_add_u32 v11, v15, 3, v14
	v_lshl_add_u32 v12, v16, 3, v14
	;; [unrolled: 1-line block ×3, first 2 shown]
	s_addc_u32 s1, s15, s1
	s_waitcnt lgkmcnt(0)
	s_barrier
	v_lshl_add_u32 v33, v19, 3, v14
	ds_read_b64 v[27:28], v11
	ds_read_b64 v[29:30], v12 offset:2048
	ds_read_b64 v[31:32], v31 offset:4096
	;; [unrolled: 1-line block ×3, first 2 shown]
	v_mov_b32_e32 v33, s1
	v_add_co_u32_e32 v34, vcc, s0, v14
	v_addc_co_u32_e32 v33, vcc, 0, v33, vcc
	s_waitcnt lgkmcnt(3)
	global_store_dwordx2 v14, v[27:28], s[0:1]
	s_waitcnt lgkmcnt(2)
	global_store_dwordx2 v14, v[29:30], s[0:1] offset:2048
	v_add_co_u32_e32 v27, vcc, 0x1000, v34
	v_addc_co_u32_e32 v28, vcc, 0, v33, vcc
	s_waitcnt lgkmcnt(1)
	global_store_dwordx2 v[27:28], v[31:32], off
	s_mov_b64 s[6:7], -1
	s_cbranch_execz .LBB2161_40
	s_branch .LBB2161_53
.LBB2161_37:
	s_or_b64 exec, exec, s[2:3]
	v_cmp_gt_u32_e32 vcc, s9, v11
	s_and_saveexec_b64 s[2:3], vcc
	s_cbranch_execz .LBB2161_20
.LBB2161_38:
	v_mov_b32_e32 v12, 0
	v_lshlrev_b64 v[3:4], 3, v[11:12]
	v_mov_b32_e32 v10, s8
	v_add_co_u32_e32 v20, vcc, s5, v3
	v_addc_co_u32_e32 v10, vcc, v10, v4, vcc
	v_subrev_co_u32_e32 v11, vcc, s17, v11
	v_lshlrev_b64 v[3:4], 3, v[11:12]
	v_mov_b32_e32 v11, s7
	v_add_co_u32_e64 v3, s[0:1], s4, v3
	v_addc_co_u32_e64 v4, s[0:1], v11, v4, s[0:1]
	v_cndmask_b32_e32 v4, v4, v10, vcc
	v_cndmask_b32_e32 v3, v3, v20, vcc
	global_load_dwordx2 v[3:4], v[3:4], off
	s_or_b64 exec, exec, s[2:3]
	v_cmp_gt_u32_e32 vcc, s9, v9
	s_and_saveexec_b64 s[2:3], vcc
	s_cbranch_execnz .LBB2161_21
	s_branch .LBB2161_22
.LBB2161_39:
	s_mov_b64 s[6:7], 0
                                        ; implicit-def: $vgpr11_vgpr12
.LBB2161_40:
	s_waitcnt vmcnt(0) lgkmcnt(0)
	s_barrier
	ds_read_u16 v24, v24 offset:512
	ds_read_u16 v12, v25 offset:1024
	ds_read_u16 v11, v26 offset:1536
	s_sub_i32 s6, s16, s24
	v_cmp_gt_u32_e32 vcc, s6, v0
	s_and_saveexec_b64 s[0:1], vcc
	s_cbranch_execz .LBB2161_44
; %bb.41:
	ds_read_u16 v0, v23
	s_waitcnt lgkmcnt(0)
	global_store_short v[9:10], v0, off
	s_or_b64 exec, exec, s[0:1]
	v_cmp_gt_u32_e64 s[0:1], s6, v22
	s_and_saveexec_b64 s[2:3], s[0:1]
	s_cbranch_execnz .LBB2161_45
.LBB2161_42:
	s_or_b64 exec, exec, s[2:3]
	v_cmp_gt_u32_e64 s[2:3], s6, v21
	s_and_saveexec_b64 s[4:5], s[2:3]
	s_cbranch_execz .LBB2161_46
.LBB2161_43:
	s_waitcnt lgkmcnt(1)
	global_store_short v[9:10], v12, off offset:1024
	s_or_b64 exec, exec, s[4:5]
	v_cmp_gt_u32_e64 s[6:7], s6, v20
	s_and_saveexec_b64 s[4:5], s[6:7]
	s_cbranch_execnz .LBB2161_47
	s_branch .LBB2161_48
.LBB2161_44:
	s_or_b64 exec, exec, s[0:1]
	v_cmp_gt_u32_e64 s[0:1], s6, v22
	s_and_saveexec_b64 s[2:3], s[0:1]
	s_cbranch_execz .LBB2161_42
.LBB2161_45:
	s_waitcnt lgkmcnt(2)
	global_store_short v[9:10], v24, off offset:512
	s_or_b64 exec, exec, s[2:3]
	v_cmp_gt_u32_e64 s[2:3], s6, v21
	s_and_saveexec_b64 s[4:5], s[2:3]
	s_cbranch_execnz .LBB2161_43
.LBB2161_46:
	s_or_b64 exec, exec, s[4:5]
	v_cmp_gt_u32_e64 s[6:7], s6, v20
	s_and_saveexec_b64 s[4:5], s[6:7]
	s_cbranch_execz .LBB2161_48
.LBB2161_47:
	s_waitcnt lgkmcnt(0)
	global_store_short v[9:10], v11, off offset:1536
.LBB2161_48:
	s_or_b64 exec, exec, s[4:5]
	v_lshl_add_u32 v0, v18, 3, v13
	s_waitcnt vmcnt(0) lgkmcnt(0)
	s_barrier
	ds_write2_b64 v0, v[5:6], v[7:8] offset1:1
	ds_write2_b64 v0, v[1:2], v[3:4] offset0:2 offset1:3
	v_lshl_add_u32 v0, v16, 3, v14
	v_lshl_add_u32 v1, v17, 3, v14
	s_waitcnt lgkmcnt(0)
	s_barrier
	v_lshl_add_u32 v2, v19, 3, v14
	ds_read_b64 v[4:5], v0 offset:2048
	ds_read_b64 v[0:1], v1 offset:4096
	ds_read_b64 v[11:12], v2 offset:6144
	s_lshl_b64 s[4:5], s[24:25], 3
	s_add_u32 s4, s14, s4
	s_addc_u32 s5, s15, s5
	v_mov_b32_e32 v3, s5
	v_add_co_u32_e64 v2, s[4:5], s4, v14
	v_addc_co_u32_e64 v3, s[4:5], 0, v3, s[4:5]
	s_and_saveexec_b64 s[4:5], vcc
	s_cbranch_execz .LBB2161_56
; %bb.49:
	v_lshl_add_u32 v6, v15, 3, v14
	ds_read_b64 v[6:7], v6
	s_waitcnt lgkmcnt(0)
	global_store_dwordx2 v[2:3], v[6:7], off
	s_or_b64 exec, exec, s[4:5]
	s_and_saveexec_b64 s[4:5], s[0:1]
	s_cbranch_execnz .LBB2161_57
.LBB2161_50:
	s_or_b64 exec, exec, s[4:5]
	s_and_saveexec_b64 s[0:1], s[2:3]
	s_cbranch_execz .LBB2161_52
.LBB2161_51:
	v_add_co_u32_e32 v2, vcc, 0x1000, v2
	v_addc_co_u32_e32 v3, vcc, 0, v3, vcc
	s_waitcnt lgkmcnt(1)
	global_store_dwordx2 v[2:3], v[0:1], off
.LBB2161_52:
	s_or_b64 exec, exec, s[0:1]
.LBB2161_53:
	s_and_saveexec_b64 s[0:1], s[6:7]
	s_cbranch_execz .LBB2161_55
; %bb.54:
	s_lshl_b64 s[0:1], s[24:25], 3
	s_add_u32 s0, s14, s0
	s_addc_u32 s1, s15, s1
	s_waitcnt lgkmcnt(1)
	v_mov_b32_e32 v0, s1
	v_add_co_u32_e32 v1, vcc, s0, v14
	v_addc_co_u32_e32 v2, vcc, 0, v0, vcc
	v_add_co_u32_e32 v0, vcc, 0x1000, v1
	v_addc_co_u32_e32 v1, vcc, 0, v2, vcc
	s_waitcnt lgkmcnt(0)
	global_store_dwordx2 v[0:1], v[11:12], off offset:2048
.LBB2161_55:
	s_endpgm
.LBB2161_56:
	s_or_b64 exec, exec, s[4:5]
	s_and_saveexec_b64 s[4:5], s[0:1]
	s_cbranch_execz .LBB2161_50
.LBB2161_57:
	s_waitcnt lgkmcnt(2)
	global_store_dwordx2 v[2:3], v[4:5], off offset:2048
	s_or_b64 exec, exec, s[4:5]
	s_and_saveexec_b64 s[0:1], s[2:3]
	s_cbranch_execnz .LBB2161_51
	s_branch .LBB2161_52
	.section	.rodata,"a",@progbits
	.p2align	6, 0x0
	.amdhsa_kernel _ZN7rocprim17ROCPRIM_400000_NS6detail17trampoline_kernelINS0_14default_configENS1_38merge_sort_block_merge_config_selectorIN3c104HalfElEEZZNS1_27merge_sort_block_merge_implIS3_PS6_N6thrust23THRUST_200600_302600_NS10device_ptrIlEEmNSB_4lessIS6_EEEE10hipError_tT0_T1_T2_jT3_P12ihipStream_tbPNSt15iterator_traitsISH_E10value_typeEPNSN_ISI_E10value_typeEPSJ_NS1_7vsmem_tEENKUlT_SH_SI_SJ_E_clIS9_S9_SD_PlEESG_SW_SH_SI_SJ_EUlSW_E0_NS1_11comp_targetILNS1_3genE2ELNS1_11target_archE906ELNS1_3gpuE6ELNS1_3repE0EEENS1_38merge_mergepath_config_static_selectorELNS0_4arch9wavefront6targetE1EEEvSI_
		.amdhsa_group_segment_fixed_size 8448
		.amdhsa_private_segment_fixed_size 0
		.amdhsa_kernarg_size 328
		.amdhsa_user_sgpr_count 6
		.amdhsa_user_sgpr_private_segment_buffer 1
		.amdhsa_user_sgpr_dispatch_ptr 0
		.amdhsa_user_sgpr_queue_ptr 0
		.amdhsa_user_sgpr_kernarg_segment_ptr 1
		.amdhsa_user_sgpr_dispatch_id 0
		.amdhsa_user_sgpr_flat_scratch_init 0
		.amdhsa_user_sgpr_private_segment_size 0
		.amdhsa_uses_dynamic_stack 0
		.amdhsa_system_sgpr_private_segment_wavefront_offset 0
		.amdhsa_system_sgpr_workgroup_id_x 1
		.amdhsa_system_sgpr_workgroup_id_y 1
		.amdhsa_system_sgpr_workgroup_id_z 1
		.amdhsa_system_sgpr_workgroup_info 0
		.amdhsa_system_vgpr_workitem_id 0
		.amdhsa_next_free_vgpr 35
		.amdhsa_next_free_sgpr 77
		.amdhsa_reserve_vcc 1
		.amdhsa_reserve_flat_scratch 0
		.amdhsa_float_round_mode_32 0
		.amdhsa_float_round_mode_16_64 0
		.amdhsa_float_denorm_mode_32 3
		.amdhsa_float_denorm_mode_16_64 3
		.amdhsa_dx10_clamp 1
		.amdhsa_ieee_mode 1
		.amdhsa_fp16_overflow 0
		.amdhsa_exception_fp_ieee_invalid_op 0
		.amdhsa_exception_fp_denorm_src 0
		.amdhsa_exception_fp_ieee_div_zero 0
		.amdhsa_exception_fp_ieee_overflow 0
		.amdhsa_exception_fp_ieee_underflow 0
		.amdhsa_exception_fp_ieee_inexact 0
		.amdhsa_exception_int_div_zero 0
	.end_amdhsa_kernel
	.section	.text._ZN7rocprim17ROCPRIM_400000_NS6detail17trampoline_kernelINS0_14default_configENS1_38merge_sort_block_merge_config_selectorIN3c104HalfElEEZZNS1_27merge_sort_block_merge_implIS3_PS6_N6thrust23THRUST_200600_302600_NS10device_ptrIlEEmNSB_4lessIS6_EEEE10hipError_tT0_T1_T2_jT3_P12ihipStream_tbPNSt15iterator_traitsISH_E10value_typeEPNSN_ISI_E10value_typeEPSJ_NS1_7vsmem_tEENKUlT_SH_SI_SJ_E_clIS9_S9_SD_PlEESG_SW_SH_SI_SJ_EUlSW_E0_NS1_11comp_targetILNS1_3genE2ELNS1_11target_archE906ELNS1_3gpuE6ELNS1_3repE0EEENS1_38merge_mergepath_config_static_selectorELNS0_4arch9wavefront6targetE1EEEvSI_,"axG",@progbits,_ZN7rocprim17ROCPRIM_400000_NS6detail17trampoline_kernelINS0_14default_configENS1_38merge_sort_block_merge_config_selectorIN3c104HalfElEEZZNS1_27merge_sort_block_merge_implIS3_PS6_N6thrust23THRUST_200600_302600_NS10device_ptrIlEEmNSB_4lessIS6_EEEE10hipError_tT0_T1_T2_jT3_P12ihipStream_tbPNSt15iterator_traitsISH_E10value_typeEPNSN_ISI_E10value_typeEPSJ_NS1_7vsmem_tEENKUlT_SH_SI_SJ_E_clIS9_S9_SD_PlEESG_SW_SH_SI_SJ_EUlSW_E0_NS1_11comp_targetILNS1_3genE2ELNS1_11target_archE906ELNS1_3gpuE6ELNS1_3repE0EEENS1_38merge_mergepath_config_static_selectorELNS0_4arch9wavefront6targetE1EEEvSI_,comdat
.Lfunc_end2161:
	.size	_ZN7rocprim17ROCPRIM_400000_NS6detail17trampoline_kernelINS0_14default_configENS1_38merge_sort_block_merge_config_selectorIN3c104HalfElEEZZNS1_27merge_sort_block_merge_implIS3_PS6_N6thrust23THRUST_200600_302600_NS10device_ptrIlEEmNSB_4lessIS6_EEEE10hipError_tT0_T1_T2_jT3_P12ihipStream_tbPNSt15iterator_traitsISH_E10value_typeEPNSN_ISI_E10value_typeEPSJ_NS1_7vsmem_tEENKUlT_SH_SI_SJ_E_clIS9_S9_SD_PlEESG_SW_SH_SI_SJ_EUlSW_E0_NS1_11comp_targetILNS1_3genE2ELNS1_11target_archE906ELNS1_3gpuE6ELNS1_3repE0EEENS1_38merge_mergepath_config_static_selectorELNS0_4arch9wavefront6targetE1EEEvSI_, .Lfunc_end2161-_ZN7rocprim17ROCPRIM_400000_NS6detail17trampoline_kernelINS0_14default_configENS1_38merge_sort_block_merge_config_selectorIN3c104HalfElEEZZNS1_27merge_sort_block_merge_implIS3_PS6_N6thrust23THRUST_200600_302600_NS10device_ptrIlEEmNSB_4lessIS6_EEEE10hipError_tT0_T1_T2_jT3_P12ihipStream_tbPNSt15iterator_traitsISH_E10value_typeEPNSN_ISI_E10value_typeEPSJ_NS1_7vsmem_tEENKUlT_SH_SI_SJ_E_clIS9_S9_SD_PlEESG_SW_SH_SI_SJ_EUlSW_E0_NS1_11comp_targetILNS1_3genE2ELNS1_11target_archE906ELNS1_3gpuE6ELNS1_3repE0EEENS1_38merge_mergepath_config_static_selectorELNS0_4arch9wavefront6targetE1EEEvSI_
                                        ; -- End function
	.set _ZN7rocprim17ROCPRIM_400000_NS6detail17trampoline_kernelINS0_14default_configENS1_38merge_sort_block_merge_config_selectorIN3c104HalfElEEZZNS1_27merge_sort_block_merge_implIS3_PS6_N6thrust23THRUST_200600_302600_NS10device_ptrIlEEmNSB_4lessIS6_EEEE10hipError_tT0_T1_T2_jT3_P12ihipStream_tbPNSt15iterator_traitsISH_E10value_typeEPNSN_ISI_E10value_typeEPSJ_NS1_7vsmem_tEENKUlT_SH_SI_SJ_E_clIS9_S9_SD_PlEESG_SW_SH_SI_SJ_EUlSW_E0_NS1_11comp_targetILNS1_3genE2ELNS1_11target_archE906ELNS1_3gpuE6ELNS1_3repE0EEENS1_38merge_mergepath_config_static_selectorELNS0_4arch9wavefront6targetE1EEEvSI_.num_vgpr, 35
	.set _ZN7rocprim17ROCPRIM_400000_NS6detail17trampoline_kernelINS0_14default_configENS1_38merge_sort_block_merge_config_selectorIN3c104HalfElEEZZNS1_27merge_sort_block_merge_implIS3_PS6_N6thrust23THRUST_200600_302600_NS10device_ptrIlEEmNSB_4lessIS6_EEEE10hipError_tT0_T1_T2_jT3_P12ihipStream_tbPNSt15iterator_traitsISH_E10value_typeEPNSN_ISI_E10value_typeEPSJ_NS1_7vsmem_tEENKUlT_SH_SI_SJ_E_clIS9_S9_SD_PlEESG_SW_SH_SI_SJ_EUlSW_E0_NS1_11comp_targetILNS1_3genE2ELNS1_11target_archE906ELNS1_3gpuE6ELNS1_3repE0EEENS1_38merge_mergepath_config_static_selectorELNS0_4arch9wavefront6targetE1EEEvSI_.num_agpr, 0
	.set _ZN7rocprim17ROCPRIM_400000_NS6detail17trampoline_kernelINS0_14default_configENS1_38merge_sort_block_merge_config_selectorIN3c104HalfElEEZZNS1_27merge_sort_block_merge_implIS3_PS6_N6thrust23THRUST_200600_302600_NS10device_ptrIlEEmNSB_4lessIS6_EEEE10hipError_tT0_T1_T2_jT3_P12ihipStream_tbPNSt15iterator_traitsISH_E10value_typeEPNSN_ISI_E10value_typeEPSJ_NS1_7vsmem_tEENKUlT_SH_SI_SJ_E_clIS9_S9_SD_PlEESG_SW_SH_SI_SJ_EUlSW_E0_NS1_11comp_targetILNS1_3genE2ELNS1_11target_archE906ELNS1_3gpuE6ELNS1_3repE0EEENS1_38merge_mergepath_config_static_selectorELNS0_4arch9wavefront6targetE1EEEvSI_.numbered_sgpr, 37
	.set _ZN7rocprim17ROCPRIM_400000_NS6detail17trampoline_kernelINS0_14default_configENS1_38merge_sort_block_merge_config_selectorIN3c104HalfElEEZZNS1_27merge_sort_block_merge_implIS3_PS6_N6thrust23THRUST_200600_302600_NS10device_ptrIlEEmNSB_4lessIS6_EEEE10hipError_tT0_T1_T2_jT3_P12ihipStream_tbPNSt15iterator_traitsISH_E10value_typeEPNSN_ISI_E10value_typeEPSJ_NS1_7vsmem_tEENKUlT_SH_SI_SJ_E_clIS9_S9_SD_PlEESG_SW_SH_SI_SJ_EUlSW_E0_NS1_11comp_targetILNS1_3genE2ELNS1_11target_archE906ELNS1_3gpuE6ELNS1_3repE0EEENS1_38merge_mergepath_config_static_selectorELNS0_4arch9wavefront6targetE1EEEvSI_.num_named_barrier, 0
	.set _ZN7rocprim17ROCPRIM_400000_NS6detail17trampoline_kernelINS0_14default_configENS1_38merge_sort_block_merge_config_selectorIN3c104HalfElEEZZNS1_27merge_sort_block_merge_implIS3_PS6_N6thrust23THRUST_200600_302600_NS10device_ptrIlEEmNSB_4lessIS6_EEEE10hipError_tT0_T1_T2_jT3_P12ihipStream_tbPNSt15iterator_traitsISH_E10value_typeEPNSN_ISI_E10value_typeEPSJ_NS1_7vsmem_tEENKUlT_SH_SI_SJ_E_clIS9_S9_SD_PlEESG_SW_SH_SI_SJ_EUlSW_E0_NS1_11comp_targetILNS1_3genE2ELNS1_11target_archE906ELNS1_3gpuE6ELNS1_3repE0EEENS1_38merge_mergepath_config_static_selectorELNS0_4arch9wavefront6targetE1EEEvSI_.private_seg_size, 0
	.set _ZN7rocprim17ROCPRIM_400000_NS6detail17trampoline_kernelINS0_14default_configENS1_38merge_sort_block_merge_config_selectorIN3c104HalfElEEZZNS1_27merge_sort_block_merge_implIS3_PS6_N6thrust23THRUST_200600_302600_NS10device_ptrIlEEmNSB_4lessIS6_EEEE10hipError_tT0_T1_T2_jT3_P12ihipStream_tbPNSt15iterator_traitsISH_E10value_typeEPNSN_ISI_E10value_typeEPSJ_NS1_7vsmem_tEENKUlT_SH_SI_SJ_E_clIS9_S9_SD_PlEESG_SW_SH_SI_SJ_EUlSW_E0_NS1_11comp_targetILNS1_3genE2ELNS1_11target_archE906ELNS1_3gpuE6ELNS1_3repE0EEENS1_38merge_mergepath_config_static_selectorELNS0_4arch9wavefront6targetE1EEEvSI_.uses_vcc, 1
	.set _ZN7rocprim17ROCPRIM_400000_NS6detail17trampoline_kernelINS0_14default_configENS1_38merge_sort_block_merge_config_selectorIN3c104HalfElEEZZNS1_27merge_sort_block_merge_implIS3_PS6_N6thrust23THRUST_200600_302600_NS10device_ptrIlEEmNSB_4lessIS6_EEEE10hipError_tT0_T1_T2_jT3_P12ihipStream_tbPNSt15iterator_traitsISH_E10value_typeEPNSN_ISI_E10value_typeEPSJ_NS1_7vsmem_tEENKUlT_SH_SI_SJ_E_clIS9_S9_SD_PlEESG_SW_SH_SI_SJ_EUlSW_E0_NS1_11comp_targetILNS1_3genE2ELNS1_11target_archE906ELNS1_3gpuE6ELNS1_3repE0EEENS1_38merge_mergepath_config_static_selectorELNS0_4arch9wavefront6targetE1EEEvSI_.uses_flat_scratch, 0
	.set _ZN7rocprim17ROCPRIM_400000_NS6detail17trampoline_kernelINS0_14default_configENS1_38merge_sort_block_merge_config_selectorIN3c104HalfElEEZZNS1_27merge_sort_block_merge_implIS3_PS6_N6thrust23THRUST_200600_302600_NS10device_ptrIlEEmNSB_4lessIS6_EEEE10hipError_tT0_T1_T2_jT3_P12ihipStream_tbPNSt15iterator_traitsISH_E10value_typeEPNSN_ISI_E10value_typeEPSJ_NS1_7vsmem_tEENKUlT_SH_SI_SJ_E_clIS9_S9_SD_PlEESG_SW_SH_SI_SJ_EUlSW_E0_NS1_11comp_targetILNS1_3genE2ELNS1_11target_archE906ELNS1_3gpuE6ELNS1_3repE0EEENS1_38merge_mergepath_config_static_selectorELNS0_4arch9wavefront6targetE1EEEvSI_.has_dyn_sized_stack, 0
	.set _ZN7rocprim17ROCPRIM_400000_NS6detail17trampoline_kernelINS0_14default_configENS1_38merge_sort_block_merge_config_selectorIN3c104HalfElEEZZNS1_27merge_sort_block_merge_implIS3_PS6_N6thrust23THRUST_200600_302600_NS10device_ptrIlEEmNSB_4lessIS6_EEEE10hipError_tT0_T1_T2_jT3_P12ihipStream_tbPNSt15iterator_traitsISH_E10value_typeEPNSN_ISI_E10value_typeEPSJ_NS1_7vsmem_tEENKUlT_SH_SI_SJ_E_clIS9_S9_SD_PlEESG_SW_SH_SI_SJ_EUlSW_E0_NS1_11comp_targetILNS1_3genE2ELNS1_11target_archE906ELNS1_3gpuE6ELNS1_3repE0EEENS1_38merge_mergepath_config_static_selectorELNS0_4arch9wavefront6targetE1EEEvSI_.has_recursion, 0
	.set _ZN7rocprim17ROCPRIM_400000_NS6detail17trampoline_kernelINS0_14default_configENS1_38merge_sort_block_merge_config_selectorIN3c104HalfElEEZZNS1_27merge_sort_block_merge_implIS3_PS6_N6thrust23THRUST_200600_302600_NS10device_ptrIlEEmNSB_4lessIS6_EEEE10hipError_tT0_T1_T2_jT3_P12ihipStream_tbPNSt15iterator_traitsISH_E10value_typeEPNSN_ISI_E10value_typeEPSJ_NS1_7vsmem_tEENKUlT_SH_SI_SJ_E_clIS9_S9_SD_PlEESG_SW_SH_SI_SJ_EUlSW_E0_NS1_11comp_targetILNS1_3genE2ELNS1_11target_archE906ELNS1_3gpuE6ELNS1_3repE0EEENS1_38merge_mergepath_config_static_selectorELNS0_4arch9wavefront6targetE1EEEvSI_.has_indirect_call, 0
	.section	.AMDGPU.csdata,"",@progbits
; Kernel info:
; codeLenInByte = 3556
; TotalNumSgprs: 41
; NumVgprs: 35
; ScratchSize: 0
; MemoryBound: 0
; FloatMode: 240
; IeeeMode: 1
; LDSByteSize: 8448 bytes/workgroup (compile time only)
; SGPRBlocks: 10
; VGPRBlocks: 8
; NumSGPRsForWavesPerEU: 81
; NumVGPRsForWavesPerEU: 35
; Occupancy: 7
; WaveLimiterHint : 1
; COMPUTE_PGM_RSRC2:SCRATCH_EN: 0
; COMPUTE_PGM_RSRC2:USER_SGPR: 6
; COMPUTE_PGM_RSRC2:TRAP_HANDLER: 0
; COMPUTE_PGM_RSRC2:TGID_X_EN: 1
; COMPUTE_PGM_RSRC2:TGID_Y_EN: 1
; COMPUTE_PGM_RSRC2:TGID_Z_EN: 1
; COMPUTE_PGM_RSRC2:TIDIG_COMP_CNT: 0
	.section	.text._ZN7rocprim17ROCPRIM_400000_NS6detail17trampoline_kernelINS0_14default_configENS1_38merge_sort_block_merge_config_selectorIN3c104HalfElEEZZNS1_27merge_sort_block_merge_implIS3_PS6_N6thrust23THRUST_200600_302600_NS10device_ptrIlEEmNSB_4lessIS6_EEEE10hipError_tT0_T1_T2_jT3_P12ihipStream_tbPNSt15iterator_traitsISH_E10value_typeEPNSN_ISI_E10value_typeEPSJ_NS1_7vsmem_tEENKUlT_SH_SI_SJ_E_clIS9_S9_SD_PlEESG_SW_SH_SI_SJ_EUlSW_E0_NS1_11comp_targetILNS1_3genE9ELNS1_11target_archE1100ELNS1_3gpuE3ELNS1_3repE0EEENS1_38merge_mergepath_config_static_selectorELNS0_4arch9wavefront6targetE1EEEvSI_,"axG",@progbits,_ZN7rocprim17ROCPRIM_400000_NS6detail17trampoline_kernelINS0_14default_configENS1_38merge_sort_block_merge_config_selectorIN3c104HalfElEEZZNS1_27merge_sort_block_merge_implIS3_PS6_N6thrust23THRUST_200600_302600_NS10device_ptrIlEEmNSB_4lessIS6_EEEE10hipError_tT0_T1_T2_jT3_P12ihipStream_tbPNSt15iterator_traitsISH_E10value_typeEPNSN_ISI_E10value_typeEPSJ_NS1_7vsmem_tEENKUlT_SH_SI_SJ_E_clIS9_S9_SD_PlEESG_SW_SH_SI_SJ_EUlSW_E0_NS1_11comp_targetILNS1_3genE9ELNS1_11target_archE1100ELNS1_3gpuE3ELNS1_3repE0EEENS1_38merge_mergepath_config_static_selectorELNS0_4arch9wavefront6targetE1EEEvSI_,comdat
	.protected	_ZN7rocprim17ROCPRIM_400000_NS6detail17trampoline_kernelINS0_14default_configENS1_38merge_sort_block_merge_config_selectorIN3c104HalfElEEZZNS1_27merge_sort_block_merge_implIS3_PS6_N6thrust23THRUST_200600_302600_NS10device_ptrIlEEmNSB_4lessIS6_EEEE10hipError_tT0_T1_T2_jT3_P12ihipStream_tbPNSt15iterator_traitsISH_E10value_typeEPNSN_ISI_E10value_typeEPSJ_NS1_7vsmem_tEENKUlT_SH_SI_SJ_E_clIS9_S9_SD_PlEESG_SW_SH_SI_SJ_EUlSW_E0_NS1_11comp_targetILNS1_3genE9ELNS1_11target_archE1100ELNS1_3gpuE3ELNS1_3repE0EEENS1_38merge_mergepath_config_static_selectorELNS0_4arch9wavefront6targetE1EEEvSI_ ; -- Begin function _ZN7rocprim17ROCPRIM_400000_NS6detail17trampoline_kernelINS0_14default_configENS1_38merge_sort_block_merge_config_selectorIN3c104HalfElEEZZNS1_27merge_sort_block_merge_implIS3_PS6_N6thrust23THRUST_200600_302600_NS10device_ptrIlEEmNSB_4lessIS6_EEEE10hipError_tT0_T1_T2_jT3_P12ihipStream_tbPNSt15iterator_traitsISH_E10value_typeEPNSN_ISI_E10value_typeEPSJ_NS1_7vsmem_tEENKUlT_SH_SI_SJ_E_clIS9_S9_SD_PlEESG_SW_SH_SI_SJ_EUlSW_E0_NS1_11comp_targetILNS1_3genE9ELNS1_11target_archE1100ELNS1_3gpuE3ELNS1_3repE0EEENS1_38merge_mergepath_config_static_selectorELNS0_4arch9wavefront6targetE1EEEvSI_
	.globl	_ZN7rocprim17ROCPRIM_400000_NS6detail17trampoline_kernelINS0_14default_configENS1_38merge_sort_block_merge_config_selectorIN3c104HalfElEEZZNS1_27merge_sort_block_merge_implIS3_PS6_N6thrust23THRUST_200600_302600_NS10device_ptrIlEEmNSB_4lessIS6_EEEE10hipError_tT0_T1_T2_jT3_P12ihipStream_tbPNSt15iterator_traitsISH_E10value_typeEPNSN_ISI_E10value_typeEPSJ_NS1_7vsmem_tEENKUlT_SH_SI_SJ_E_clIS9_S9_SD_PlEESG_SW_SH_SI_SJ_EUlSW_E0_NS1_11comp_targetILNS1_3genE9ELNS1_11target_archE1100ELNS1_3gpuE3ELNS1_3repE0EEENS1_38merge_mergepath_config_static_selectorELNS0_4arch9wavefront6targetE1EEEvSI_
	.p2align	8
	.type	_ZN7rocprim17ROCPRIM_400000_NS6detail17trampoline_kernelINS0_14default_configENS1_38merge_sort_block_merge_config_selectorIN3c104HalfElEEZZNS1_27merge_sort_block_merge_implIS3_PS6_N6thrust23THRUST_200600_302600_NS10device_ptrIlEEmNSB_4lessIS6_EEEE10hipError_tT0_T1_T2_jT3_P12ihipStream_tbPNSt15iterator_traitsISH_E10value_typeEPNSN_ISI_E10value_typeEPSJ_NS1_7vsmem_tEENKUlT_SH_SI_SJ_E_clIS9_S9_SD_PlEESG_SW_SH_SI_SJ_EUlSW_E0_NS1_11comp_targetILNS1_3genE9ELNS1_11target_archE1100ELNS1_3gpuE3ELNS1_3repE0EEENS1_38merge_mergepath_config_static_selectorELNS0_4arch9wavefront6targetE1EEEvSI_,@function
_ZN7rocprim17ROCPRIM_400000_NS6detail17trampoline_kernelINS0_14default_configENS1_38merge_sort_block_merge_config_selectorIN3c104HalfElEEZZNS1_27merge_sort_block_merge_implIS3_PS6_N6thrust23THRUST_200600_302600_NS10device_ptrIlEEmNSB_4lessIS6_EEEE10hipError_tT0_T1_T2_jT3_P12ihipStream_tbPNSt15iterator_traitsISH_E10value_typeEPNSN_ISI_E10value_typeEPSJ_NS1_7vsmem_tEENKUlT_SH_SI_SJ_E_clIS9_S9_SD_PlEESG_SW_SH_SI_SJ_EUlSW_E0_NS1_11comp_targetILNS1_3genE9ELNS1_11target_archE1100ELNS1_3gpuE3ELNS1_3repE0EEENS1_38merge_mergepath_config_static_selectorELNS0_4arch9wavefront6targetE1EEEvSI_: ; @_ZN7rocprim17ROCPRIM_400000_NS6detail17trampoline_kernelINS0_14default_configENS1_38merge_sort_block_merge_config_selectorIN3c104HalfElEEZZNS1_27merge_sort_block_merge_implIS3_PS6_N6thrust23THRUST_200600_302600_NS10device_ptrIlEEmNSB_4lessIS6_EEEE10hipError_tT0_T1_T2_jT3_P12ihipStream_tbPNSt15iterator_traitsISH_E10value_typeEPNSN_ISI_E10value_typeEPSJ_NS1_7vsmem_tEENKUlT_SH_SI_SJ_E_clIS9_S9_SD_PlEESG_SW_SH_SI_SJ_EUlSW_E0_NS1_11comp_targetILNS1_3genE9ELNS1_11target_archE1100ELNS1_3gpuE3ELNS1_3repE0EEENS1_38merge_mergepath_config_static_selectorELNS0_4arch9wavefront6targetE1EEEvSI_
; %bb.0:
	.section	.rodata,"a",@progbits
	.p2align	6, 0x0
	.amdhsa_kernel _ZN7rocprim17ROCPRIM_400000_NS6detail17trampoline_kernelINS0_14default_configENS1_38merge_sort_block_merge_config_selectorIN3c104HalfElEEZZNS1_27merge_sort_block_merge_implIS3_PS6_N6thrust23THRUST_200600_302600_NS10device_ptrIlEEmNSB_4lessIS6_EEEE10hipError_tT0_T1_T2_jT3_P12ihipStream_tbPNSt15iterator_traitsISH_E10value_typeEPNSN_ISI_E10value_typeEPSJ_NS1_7vsmem_tEENKUlT_SH_SI_SJ_E_clIS9_S9_SD_PlEESG_SW_SH_SI_SJ_EUlSW_E0_NS1_11comp_targetILNS1_3genE9ELNS1_11target_archE1100ELNS1_3gpuE3ELNS1_3repE0EEENS1_38merge_mergepath_config_static_selectorELNS0_4arch9wavefront6targetE1EEEvSI_
		.amdhsa_group_segment_fixed_size 0
		.amdhsa_private_segment_fixed_size 0
		.amdhsa_kernarg_size 72
		.amdhsa_user_sgpr_count 6
		.amdhsa_user_sgpr_private_segment_buffer 1
		.amdhsa_user_sgpr_dispatch_ptr 0
		.amdhsa_user_sgpr_queue_ptr 0
		.amdhsa_user_sgpr_kernarg_segment_ptr 1
		.amdhsa_user_sgpr_dispatch_id 0
		.amdhsa_user_sgpr_flat_scratch_init 0
		.amdhsa_user_sgpr_private_segment_size 0
		.amdhsa_uses_dynamic_stack 0
		.amdhsa_system_sgpr_private_segment_wavefront_offset 0
		.amdhsa_system_sgpr_workgroup_id_x 1
		.amdhsa_system_sgpr_workgroup_id_y 0
		.amdhsa_system_sgpr_workgroup_id_z 0
		.amdhsa_system_sgpr_workgroup_info 0
		.amdhsa_system_vgpr_workitem_id 0
		.amdhsa_next_free_vgpr 1
		.amdhsa_next_free_sgpr 0
		.amdhsa_reserve_vcc 0
		.amdhsa_reserve_flat_scratch 0
		.amdhsa_float_round_mode_32 0
		.amdhsa_float_round_mode_16_64 0
		.amdhsa_float_denorm_mode_32 3
		.amdhsa_float_denorm_mode_16_64 3
		.amdhsa_dx10_clamp 1
		.amdhsa_ieee_mode 1
		.amdhsa_fp16_overflow 0
		.amdhsa_exception_fp_ieee_invalid_op 0
		.amdhsa_exception_fp_denorm_src 0
		.amdhsa_exception_fp_ieee_div_zero 0
		.amdhsa_exception_fp_ieee_overflow 0
		.amdhsa_exception_fp_ieee_underflow 0
		.amdhsa_exception_fp_ieee_inexact 0
		.amdhsa_exception_int_div_zero 0
	.end_amdhsa_kernel
	.section	.text._ZN7rocprim17ROCPRIM_400000_NS6detail17trampoline_kernelINS0_14default_configENS1_38merge_sort_block_merge_config_selectorIN3c104HalfElEEZZNS1_27merge_sort_block_merge_implIS3_PS6_N6thrust23THRUST_200600_302600_NS10device_ptrIlEEmNSB_4lessIS6_EEEE10hipError_tT0_T1_T2_jT3_P12ihipStream_tbPNSt15iterator_traitsISH_E10value_typeEPNSN_ISI_E10value_typeEPSJ_NS1_7vsmem_tEENKUlT_SH_SI_SJ_E_clIS9_S9_SD_PlEESG_SW_SH_SI_SJ_EUlSW_E0_NS1_11comp_targetILNS1_3genE9ELNS1_11target_archE1100ELNS1_3gpuE3ELNS1_3repE0EEENS1_38merge_mergepath_config_static_selectorELNS0_4arch9wavefront6targetE1EEEvSI_,"axG",@progbits,_ZN7rocprim17ROCPRIM_400000_NS6detail17trampoline_kernelINS0_14default_configENS1_38merge_sort_block_merge_config_selectorIN3c104HalfElEEZZNS1_27merge_sort_block_merge_implIS3_PS6_N6thrust23THRUST_200600_302600_NS10device_ptrIlEEmNSB_4lessIS6_EEEE10hipError_tT0_T1_T2_jT3_P12ihipStream_tbPNSt15iterator_traitsISH_E10value_typeEPNSN_ISI_E10value_typeEPSJ_NS1_7vsmem_tEENKUlT_SH_SI_SJ_E_clIS9_S9_SD_PlEESG_SW_SH_SI_SJ_EUlSW_E0_NS1_11comp_targetILNS1_3genE9ELNS1_11target_archE1100ELNS1_3gpuE3ELNS1_3repE0EEENS1_38merge_mergepath_config_static_selectorELNS0_4arch9wavefront6targetE1EEEvSI_,comdat
.Lfunc_end2162:
	.size	_ZN7rocprim17ROCPRIM_400000_NS6detail17trampoline_kernelINS0_14default_configENS1_38merge_sort_block_merge_config_selectorIN3c104HalfElEEZZNS1_27merge_sort_block_merge_implIS3_PS6_N6thrust23THRUST_200600_302600_NS10device_ptrIlEEmNSB_4lessIS6_EEEE10hipError_tT0_T1_T2_jT3_P12ihipStream_tbPNSt15iterator_traitsISH_E10value_typeEPNSN_ISI_E10value_typeEPSJ_NS1_7vsmem_tEENKUlT_SH_SI_SJ_E_clIS9_S9_SD_PlEESG_SW_SH_SI_SJ_EUlSW_E0_NS1_11comp_targetILNS1_3genE9ELNS1_11target_archE1100ELNS1_3gpuE3ELNS1_3repE0EEENS1_38merge_mergepath_config_static_selectorELNS0_4arch9wavefront6targetE1EEEvSI_, .Lfunc_end2162-_ZN7rocprim17ROCPRIM_400000_NS6detail17trampoline_kernelINS0_14default_configENS1_38merge_sort_block_merge_config_selectorIN3c104HalfElEEZZNS1_27merge_sort_block_merge_implIS3_PS6_N6thrust23THRUST_200600_302600_NS10device_ptrIlEEmNSB_4lessIS6_EEEE10hipError_tT0_T1_T2_jT3_P12ihipStream_tbPNSt15iterator_traitsISH_E10value_typeEPNSN_ISI_E10value_typeEPSJ_NS1_7vsmem_tEENKUlT_SH_SI_SJ_E_clIS9_S9_SD_PlEESG_SW_SH_SI_SJ_EUlSW_E0_NS1_11comp_targetILNS1_3genE9ELNS1_11target_archE1100ELNS1_3gpuE3ELNS1_3repE0EEENS1_38merge_mergepath_config_static_selectorELNS0_4arch9wavefront6targetE1EEEvSI_
                                        ; -- End function
	.set _ZN7rocprim17ROCPRIM_400000_NS6detail17trampoline_kernelINS0_14default_configENS1_38merge_sort_block_merge_config_selectorIN3c104HalfElEEZZNS1_27merge_sort_block_merge_implIS3_PS6_N6thrust23THRUST_200600_302600_NS10device_ptrIlEEmNSB_4lessIS6_EEEE10hipError_tT0_T1_T2_jT3_P12ihipStream_tbPNSt15iterator_traitsISH_E10value_typeEPNSN_ISI_E10value_typeEPSJ_NS1_7vsmem_tEENKUlT_SH_SI_SJ_E_clIS9_S9_SD_PlEESG_SW_SH_SI_SJ_EUlSW_E0_NS1_11comp_targetILNS1_3genE9ELNS1_11target_archE1100ELNS1_3gpuE3ELNS1_3repE0EEENS1_38merge_mergepath_config_static_selectorELNS0_4arch9wavefront6targetE1EEEvSI_.num_vgpr, 0
	.set _ZN7rocprim17ROCPRIM_400000_NS6detail17trampoline_kernelINS0_14default_configENS1_38merge_sort_block_merge_config_selectorIN3c104HalfElEEZZNS1_27merge_sort_block_merge_implIS3_PS6_N6thrust23THRUST_200600_302600_NS10device_ptrIlEEmNSB_4lessIS6_EEEE10hipError_tT0_T1_T2_jT3_P12ihipStream_tbPNSt15iterator_traitsISH_E10value_typeEPNSN_ISI_E10value_typeEPSJ_NS1_7vsmem_tEENKUlT_SH_SI_SJ_E_clIS9_S9_SD_PlEESG_SW_SH_SI_SJ_EUlSW_E0_NS1_11comp_targetILNS1_3genE9ELNS1_11target_archE1100ELNS1_3gpuE3ELNS1_3repE0EEENS1_38merge_mergepath_config_static_selectorELNS0_4arch9wavefront6targetE1EEEvSI_.num_agpr, 0
	.set _ZN7rocprim17ROCPRIM_400000_NS6detail17trampoline_kernelINS0_14default_configENS1_38merge_sort_block_merge_config_selectorIN3c104HalfElEEZZNS1_27merge_sort_block_merge_implIS3_PS6_N6thrust23THRUST_200600_302600_NS10device_ptrIlEEmNSB_4lessIS6_EEEE10hipError_tT0_T1_T2_jT3_P12ihipStream_tbPNSt15iterator_traitsISH_E10value_typeEPNSN_ISI_E10value_typeEPSJ_NS1_7vsmem_tEENKUlT_SH_SI_SJ_E_clIS9_S9_SD_PlEESG_SW_SH_SI_SJ_EUlSW_E0_NS1_11comp_targetILNS1_3genE9ELNS1_11target_archE1100ELNS1_3gpuE3ELNS1_3repE0EEENS1_38merge_mergepath_config_static_selectorELNS0_4arch9wavefront6targetE1EEEvSI_.numbered_sgpr, 0
	.set _ZN7rocprim17ROCPRIM_400000_NS6detail17trampoline_kernelINS0_14default_configENS1_38merge_sort_block_merge_config_selectorIN3c104HalfElEEZZNS1_27merge_sort_block_merge_implIS3_PS6_N6thrust23THRUST_200600_302600_NS10device_ptrIlEEmNSB_4lessIS6_EEEE10hipError_tT0_T1_T2_jT3_P12ihipStream_tbPNSt15iterator_traitsISH_E10value_typeEPNSN_ISI_E10value_typeEPSJ_NS1_7vsmem_tEENKUlT_SH_SI_SJ_E_clIS9_S9_SD_PlEESG_SW_SH_SI_SJ_EUlSW_E0_NS1_11comp_targetILNS1_3genE9ELNS1_11target_archE1100ELNS1_3gpuE3ELNS1_3repE0EEENS1_38merge_mergepath_config_static_selectorELNS0_4arch9wavefront6targetE1EEEvSI_.num_named_barrier, 0
	.set _ZN7rocprim17ROCPRIM_400000_NS6detail17trampoline_kernelINS0_14default_configENS1_38merge_sort_block_merge_config_selectorIN3c104HalfElEEZZNS1_27merge_sort_block_merge_implIS3_PS6_N6thrust23THRUST_200600_302600_NS10device_ptrIlEEmNSB_4lessIS6_EEEE10hipError_tT0_T1_T2_jT3_P12ihipStream_tbPNSt15iterator_traitsISH_E10value_typeEPNSN_ISI_E10value_typeEPSJ_NS1_7vsmem_tEENKUlT_SH_SI_SJ_E_clIS9_S9_SD_PlEESG_SW_SH_SI_SJ_EUlSW_E0_NS1_11comp_targetILNS1_3genE9ELNS1_11target_archE1100ELNS1_3gpuE3ELNS1_3repE0EEENS1_38merge_mergepath_config_static_selectorELNS0_4arch9wavefront6targetE1EEEvSI_.private_seg_size, 0
	.set _ZN7rocprim17ROCPRIM_400000_NS6detail17trampoline_kernelINS0_14default_configENS1_38merge_sort_block_merge_config_selectorIN3c104HalfElEEZZNS1_27merge_sort_block_merge_implIS3_PS6_N6thrust23THRUST_200600_302600_NS10device_ptrIlEEmNSB_4lessIS6_EEEE10hipError_tT0_T1_T2_jT3_P12ihipStream_tbPNSt15iterator_traitsISH_E10value_typeEPNSN_ISI_E10value_typeEPSJ_NS1_7vsmem_tEENKUlT_SH_SI_SJ_E_clIS9_S9_SD_PlEESG_SW_SH_SI_SJ_EUlSW_E0_NS1_11comp_targetILNS1_3genE9ELNS1_11target_archE1100ELNS1_3gpuE3ELNS1_3repE0EEENS1_38merge_mergepath_config_static_selectorELNS0_4arch9wavefront6targetE1EEEvSI_.uses_vcc, 0
	.set _ZN7rocprim17ROCPRIM_400000_NS6detail17trampoline_kernelINS0_14default_configENS1_38merge_sort_block_merge_config_selectorIN3c104HalfElEEZZNS1_27merge_sort_block_merge_implIS3_PS6_N6thrust23THRUST_200600_302600_NS10device_ptrIlEEmNSB_4lessIS6_EEEE10hipError_tT0_T1_T2_jT3_P12ihipStream_tbPNSt15iterator_traitsISH_E10value_typeEPNSN_ISI_E10value_typeEPSJ_NS1_7vsmem_tEENKUlT_SH_SI_SJ_E_clIS9_S9_SD_PlEESG_SW_SH_SI_SJ_EUlSW_E0_NS1_11comp_targetILNS1_3genE9ELNS1_11target_archE1100ELNS1_3gpuE3ELNS1_3repE0EEENS1_38merge_mergepath_config_static_selectorELNS0_4arch9wavefront6targetE1EEEvSI_.uses_flat_scratch, 0
	.set _ZN7rocprim17ROCPRIM_400000_NS6detail17trampoline_kernelINS0_14default_configENS1_38merge_sort_block_merge_config_selectorIN3c104HalfElEEZZNS1_27merge_sort_block_merge_implIS3_PS6_N6thrust23THRUST_200600_302600_NS10device_ptrIlEEmNSB_4lessIS6_EEEE10hipError_tT0_T1_T2_jT3_P12ihipStream_tbPNSt15iterator_traitsISH_E10value_typeEPNSN_ISI_E10value_typeEPSJ_NS1_7vsmem_tEENKUlT_SH_SI_SJ_E_clIS9_S9_SD_PlEESG_SW_SH_SI_SJ_EUlSW_E0_NS1_11comp_targetILNS1_3genE9ELNS1_11target_archE1100ELNS1_3gpuE3ELNS1_3repE0EEENS1_38merge_mergepath_config_static_selectorELNS0_4arch9wavefront6targetE1EEEvSI_.has_dyn_sized_stack, 0
	.set _ZN7rocprim17ROCPRIM_400000_NS6detail17trampoline_kernelINS0_14default_configENS1_38merge_sort_block_merge_config_selectorIN3c104HalfElEEZZNS1_27merge_sort_block_merge_implIS3_PS6_N6thrust23THRUST_200600_302600_NS10device_ptrIlEEmNSB_4lessIS6_EEEE10hipError_tT0_T1_T2_jT3_P12ihipStream_tbPNSt15iterator_traitsISH_E10value_typeEPNSN_ISI_E10value_typeEPSJ_NS1_7vsmem_tEENKUlT_SH_SI_SJ_E_clIS9_S9_SD_PlEESG_SW_SH_SI_SJ_EUlSW_E0_NS1_11comp_targetILNS1_3genE9ELNS1_11target_archE1100ELNS1_3gpuE3ELNS1_3repE0EEENS1_38merge_mergepath_config_static_selectorELNS0_4arch9wavefront6targetE1EEEvSI_.has_recursion, 0
	.set _ZN7rocprim17ROCPRIM_400000_NS6detail17trampoline_kernelINS0_14default_configENS1_38merge_sort_block_merge_config_selectorIN3c104HalfElEEZZNS1_27merge_sort_block_merge_implIS3_PS6_N6thrust23THRUST_200600_302600_NS10device_ptrIlEEmNSB_4lessIS6_EEEE10hipError_tT0_T1_T2_jT3_P12ihipStream_tbPNSt15iterator_traitsISH_E10value_typeEPNSN_ISI_E10value_typeEPSJ_NS1_7vsmem_tEENKUlT_SH_SI_SJ_E_clIS9_S9_SD_PlEESG_SW_SH_SI_SJ_EUlSW_E0_NS1_11comp_targetILNS1_3genE9ELNS1_11target_archE1100ELNS1_3gpuE3ELNS1_3repE0EEENS1_38merge_mergepath_config_static_selectorELNS0_4arch9wavefront6targetE1EEEvSI_.has_indirect_call, 0
	.section	.AMDGPU.csdata,"",@progbits
; Kernel info:
; codeLenInByte = 0
; TotalNumSgprs: 4
; NumVgprs: 0
; ScratchSize: 0
; MemoryBound: 0
; FloatMode: 240
; IeeeMode: 1
; LDSByteSize: 0 bytes/workgroup (compile time only)
; SGPRBlocks: 0
; VGPRBlocks: 0
; NumSGPRsForWavesPerEU: 4
; NumVGPRsForWavesPerEU: 1
; Occupancy: 10
; WaveLimiterHint : 0
; COMPUTE_PGM_RSRC2:SCRATCH_EN: 0
; COMPUTE_PGM_RSRC2:USER_SGPR: 6
; COMPUTE_PGM_RSRC2:TRAP_HANDLER: 0
; COMPUTE_PGM_RSRC2:TGID_X_EN: 1
; COMPUTE_PGM_RSRC2:TGID_Y_EN: 0
; COMPUTE_PGM_RSRC2:TGID_Z_EN: 0
; COMPUTE_PGM_RSRC2:TIDIG_COMP_CNT: 0
	.section	.text._ZN7rocprim17ROCPRIM_400000_NS6detail17trampoline_kernelINS0_14default_configENS1_38merge_sort_block_merge_config_selectorIN3c104HalfElEEZZNS1_27merge_sort_block_merge_implIS3_PS6_N6thrust23THRUST_200600_302600_NS10device_ptrIlEEmNSB_4lessIS6_EEEE10hipError_tT0_T1_T2_jT3_P12ihipStream_tbPNSt15iterator_traitsISH_E10value_typeEPNSN_ISI_E10value_typeEPSJ_NS1_7vsmem_tEENKUlT_SH_SI_SJ_E_clIS9_S9_SD_PlEESG_SW_SH_SI_SJ_EUlSW_E0_NS1_11comp_targetILNS1_3genE8ELNS1_11target_archE1030ELNS1_3gpuE2ELNS1_3repE0EEENS1_38merge_mergepath_config_static_selectorELNS0_4arch9wavefront6targetE1EEEvSI_,"axG",@progbits,_ZN7rocprim17ROCPRIM_400000_NS6detail17trampoline_kernelINS0_14default_configENS1_38merge_sort_block_merge_config_selectorIN3c104HalfElEEZZNS1_27merge_sort_block_merge_implIS3_PS6_N6thrust23THRUST_200600_302600_NS10device_ptrIlEEmNSB_4lessIS6_EEEE10hipError_tT0_T1_T2_jT3_P12ihipStream_tbPNSt15iterator_traitsISH_E10value_typeEPNSN_ISI_E10value_typeEPSJ_NS1_7vsmem_tEENKUlT_SH_SI_SJ_E_clIS9_S9_SD_PlEESG_SW_SH_SI_SJ_EUlSW_E0_NS1_11comp_targetILNS1_3genE8ELNS1_11target_archE1030ELNS1_3gpuE2ELNS1_3repE0EEENS1_38merge_mergepath_config_static_selectorELNS0_4arch9wavefront6targetE1EEEvSI_,comdat
	.protected	_ZN7rocprim17ROCPRIM_400000_NS6detail17trampoline_kernelINS0_14default_configENS1_38merge_sort_block_merge_config_selectorIN3c104HalfElEEZZNS1_27merge_sort_block_merge_implIS3_PS6_N6thrust23THRUST_200600_302600_NS10device_ptrIlEEmNSB_4lessIS6_EEEE10hipError_tT0_T1_T2_jT3_P12ihipStream_tbPNSt15iterator_traitsISH_E10value_typeEPNSN_ISI_E10value_typeEPSJ_NS1_7vsmem_tEENKUlT_SH_SI_SJ_E_clIS9_S9_SD_PlEESG_SW_SH_SI_SJ_EUlSW_E0_NS1_11comp_targetILNS1_3genE8ELNS1_11target_archE1030ELNS1_3gpuE2ELNS1_3repE0EEENS1_38merge_mergepath_config_static_selectorELNS0_4arch9wavefront6targetE1EEEvSI_ ; -- Begin function _ZN7rocprim17ROCPRIM_400000_NS6detail17trampoline_kernelINS0_14default_configENS1_38merge_sort_block_merge_config_selectorIN3c104HalfElEEZZNS1_27merge_sort_block_merge_implIS3_PS6_N6thrust23THRUST_200600_302600_NS10device_ptrIlEEmNSB_4lessIS6_EEEE10hipError_tT0_T1_T2_jT3_P12ihipStream_tbPNSt15iterator_traitsISH_E10value_typeEPNSN_ISI_E10value_typeEPSJ_NS1_7vsmem_tEENKUlT_SH_SI_SJ_E_clIS9_S9_SD_PlEESG_SW_SH_SI_SJ_EUlSW_E0_NS1_11comp_targetILNS1_3genE8ELNS1_11target_archE1030ELNS1_3gpuE2ELNS1_3repE0EEENS1_38merge_mergepath_config_static_selectorELNS0_4arch9wavefront6targetE1EEEvSI_
	.globl	_ZN7rocprim17ROCPRIM_400000_NS6detail17trampoline_kernelINS0_14default_configENS1_38merge_sort_block_merge_config_selectorIN3c104HalfElEEZZNS1_27merge_sort_block_merge_implIS3_PS6_N6thrust23THRUST_200600_302600_NS10device_ptrIlEEmNSB_4lessIS6_EEEE10hipError_tT0_T1_T2_jT3_P12ihipStream_tbPNSt15iterator_traitsISH_E10value_typeEPNSN_ISI_E10value_typeEPSJ_NS1_7vsmem_tEENKUlT_SH_SI_SJ_E_clIS9_S9_SD_PlEESG_SW_SH_SI_SJ_EUlSW_E0_NS1_11comp_targetILNS1_3genE8ELNS1_11target_archE1030ELNS1_3gpuE2ELNS1_3repE0EEENS1_38merge_mergepath_config_static_selectorELNS0_4arch9wavefront6targetE1EEEvSI_
	.p2align	8
	.type	_ZN7rocprim17ROCPRIM_400000_NS6detail17trampoline_kernelINS0_14default_configENS1_38merge_sort_block_merge_config_selectorIN3c104HalfElEEZZNS1_27merge_sort_block_merge_implIS3_PS6_N6thrust23THRUST_200600_302600_NS10device_ptrIlEEmNSB_4lessIS6_EEEE10hipError_tT0_T1_T2_jT3_P12ihipStream_tbPNSt15iterator_traitsISH_E10value_typeEPNSN_ISI_E10value_typeEPSJ_NS1_7vsmem_tEENKUlT_SH_SI_SJ_E_clIS9_S9_SD_PlEESG_SW_SH_SI_SJ_EUlSW_E0_NS1_11comp_targetILNS1_3genE8ELNS1_11target_archE1030ELNS1_3gpuE2ELNS1_3repE0EEENS1_38merge_mergepath_config_static_selectorELNS0_4arch9wavefront6targetE1EEEvSI_,@function
_ZN7rocprim17ROCPRIM_400000_NS6detail17trampoline_kernelINS0_14default_configENS1_38merge_sort_block_merge_config_selectorIN3c104HalfElEEZZNS1_27merge_sort_block_merge_implIS3_PS6_N6thrust23THRUST_200600_302600_NS10device_ptrIlEEmNSB_4lessIS6_EEEE10hipError_tT0_T1_T2_jT3_P12ihipStream_tbPNSt15iterator_traitsISH_E10value_typeEPNSN_ISI_E10value_typeEPSJ_NS1_7vsmem_tEENKUlT_SH_SI_SJ_E_clIS9_S9_SD_PlEESG_SW_SH_SI_SJ_EUlSW_E0_NS1_11comp_targetILNS1_3genE8ELNS1_11target_archE1030ELNS1_3gpuE2ELNS1_3repE0EEENS1_38merge_mergepath_config_static_selectorELNS0_4arch9wavefront6targetE1EEEvSI_: ; @_ZN7rocprim17ROCPRIM_400000_NS6detail17trampoline_kernelINS0_14default_configENS1_38merge_sort_block_merge_config_selectorIN3c104HalfElEEZZNS1_27merge_sort_block_merge_implIS3_PS6_N6thrust23THRUST_200600_302600_NS10device_ptrIlEEmNSB_4lessIS6_EEEE10hipError_tT0_T1_T2_jT3_P12ihipStream_tbPNSt15iterator_traitsISH_E10value_typeEPNSN_ISI_E10value_typeEPSJ_NS1_7vsmem_tEENKUlT_SH_SI_SJ_E_clIS9_S9_SD_PlEESG_SW_SH_SI_SJ_EUlSW_E0_NS1_11comp_targetILNS1_3genE8ELNS1_11target_archE1030ELNS1_3gpuE2ELNS1_3repE0EEENS1_38merge_mergepath_config_static_selectorELNS0_4arch9wavefront6targetE1EEEvSI_
; %bb.0:
	.section	.rodata,"a",@progbits
	.p2align	6, 0x0
	.amdhsa_kernel _ZN7rocprim17ROCPRIM_400000_NS6detail17trampoline_kernelINS0_14default_configENS1_38merge_sort_block_merge_config_selectorIN3c104HalfElEEZZNS1_27merge_sort_block_merge_implIS3_PS6_N6thrust23THRUST_200600_302600_NS10device_ptrIlEEmNSB_4lessIS6_EEEE10hipError_tT0_T1_T2_jT3_P12ihipStream_tbPNSt15iterator_traitsISH_E10value_typeEPNSN_ISI_E10value_typeEPSJ_NS1_7vsmem_tEENKUlT_SH_SI_SJ_E_clIS9_S9_SD_PlEESG_SW_SH_SI_SJ_EUlSW_E0_NS1_11comp_targetILNS1_3genE8ELNS1_11target_archE1030ELNS1_3gpuE2ELNS1_3repE0EEENS1_38merge_mergepath_config_static_selectorELNS0_4arch9wavefront6targetE1EEEvSI_
		.amdhsa_group_segment_fixed_size 0
		.amdhsa_private_segment_fixed_size 0
		.amdhsa_kernarg_size 72
		.amdhsa_user_sgpr_count 6
		.amdhsa_user_sgpr_private_segment_buffer 1
		.amdhsa_user_sgpr_dispatch_ptr 0
		.amdhsa_user_sgpr_queue_ptr 0
		.amdhsa_user_sgpr_kernarg_segment_ptr 1
		.amdhsa_user_sgpr_dispatch_id 0
		.amdhsa_user_sgpr_flat_scratch_init 0
		.amdhsa_user_sgpr_private_segment_size 0
		.amdhsa_uses_dynamic_stack 0
		.amdhsa_system_sgpr_private_segment_wavefront_offset 0
		.amdhsa_system_sgpr_workgroup_id_x 1
		.amdhsa_system_sgpr_workgroup_id_y 0
		.amdhsa_system_sgpr_workgroup_id_z 0
		.amdhsa_system_sgpr_workgroup_info 0
		.amdhsa_system_vgpr_workitem_id 0
		.amdhsa_next_free_vgpr 1
		.amdhsa_next_free_sgpr 0
		.amdhsa_reserve_vcc 0
		.amdhsa_reserve_flat_scratch 0
		.amdhsa_float_round_mode_32 0
		.amdhsa_float_round_mode_16_64 0
		.amdhsa_float_denorm_mode_32 3
		.amdhsa_float_denorm_mode_16_64 3
		.amdhsa_dx10_clamp 1
		.amdhsa_ieee_mode 1
		.amdhsa_fp16_overflow 0
		.amdhsa_exception_fp_ieee_invalid_op 0
		.amdhsa_exception_fp_denorm_src 0
		.amdhsa_exception_fp_ieee_div_zero 0
		.amdhsa_exception_fp_ieee_overflow 0
		.amdhsa_exception_fp_ieee_underflow 0
		.amdhsa_exception_fp_ieee_inexact 0
		.amdhsa_exception_int_div_zero 0
	.end_amdhsa_kernel
	.section	.text._ZN7rocprim17ROCPRIM_400000_NS6detail17trampoline_kernelINS0_14default_configENS1_38merge_sort_block_merge_config_selectorIN3c104HalfElEEZZNS1_27merge_sort_block_merge_implIS3_PS6_N6thrust23THRUST_200600_302600_NS10device_ptrIlEEmNSB_4lessIS6_EEEE10hipError_tT0_T1_T2_jT3_P12ihipStream_tbPNSt15iterator_traitsISH_E10value_typeEPNSN_ISI_E10value_typeEPSJ_NS1_7vsmem_tEENKUlT_SH_SI_SJ_E_clIS9_S9_SD_PlEESG_SW_SH_SI_SJ_EUlSW_E0_NS1_11comp_targetILNS1_3genE8ELNS1_11target_archE1030ELNS1_3gpuE2ELNS1_3repE0EEENS1_38merge_mergepath_config_static_selectorELNS0_4arch9wavefront6targetE1EEEvSI_,"axG",@progbits,_ZN7rocprim17ROCPRIM_400000_NS6detail17trampoline_kernelINS0_14default_configENS1_38merge_sort_block_merge_config_selectorIN3c104HalfElEEZZNS1_27merge_sort_block_merge_implIS3_PS6_N6thrust23THRUST_200600_302600_NS10device_ptrIlEEmNSB_4lessIS6_EEEE10hipError_tT0_T1_T2_jT3_P12ihipStream_tbPNSt15iterator_traitsISH_E10value_typeEPNSN_ISI_E10value_typeEPSJ_NS1_7vsmem_tEENKUlT_SH_SI_SJ_E_clIS9_S9_SD_PlEESG_SW_SH_SI_SJ_EUlSW_E0_NS1_11comp_targetILNS1_3genE8ELNS1_11target_archE1030ELNS1_3gpuE2ELNS1_3repE0EEENS1_38merge_mergepath_config_static_selectorELNS0_4arch9wavefront6targetE1EEEvSI_,comdat
.Lfunc_end2163:
	.size	_ZN7rocprim17ROCPRIM_400000_NS6detail17trampoline_kernelINS0_14default_configENS1_38merge_sort_block_merge_config_selectorIN3c104HalfElEEZZNS1_27merge_sort_block_merge_implIS3_PS6_N6thrust23THRUST_200600_302600_NS10device_ptrIlEEmNSB_4lessIS6_EEEE10hipError_tT0_T1_T2_jT3_P12ihipStream_tbPNSt15iterator_traitsISH_E10value_typeEPNSN_ISI_E10value_typeEPSJ_NS1_7vsmem_tEENKUlT_SH_SI_SJ_E_clIS9_S9_SD_PlEESG_SW_SH_SI_SJ_EUlSW_E0_NS1_11comp_targetILNS1_3genE8ELNS1_11target_archE1030ELNS1_3gpuE2ELNS1_3repE0EEENS1_38merge_mergepath_config_static_selectorELNS0_4arch9wavefront6targetE1EEEvSI_, .Lfunc_end2163-_ZN7rocprim17ROCPRIM_400000_NS6detail17trampoline_kernelINS0_14default_configENS1_38merge_sort_block_merge_config_selectorIN3c104HalfElEEZZNS1_27merge_sort_block_merge_implIS3_PS6_N6thrust23THRUST_200600_302600_NS10device_ptrIlEEmNSB_4lessIS6_EEEE10hipError_tT0_T1_T2_jT3_P12ihipStream_tbPNSt15iterator_traitsISH_E10value_typeEPNSN_ISI_E10value_typeEPSJ_NS1_7vsmem_tEENKUlT_SH_SI_SJ_E_clIS9_S9_SD_PlEESG_SW_SH_SI_SJ_EUlSW_E0_NS1_11comp_targetILNS1_3genE8ELNS1_11target_archE1030ELNS1_3gpuE2ELNS1_3repE0EEENS1_38merge_mergepath_config_static_selectorELNS0_4arch9wavefront6targetE1EEEvSI_
                                        ; -- End function
	.set _ZN7rocprim17ROCPRIM_400000_NS6detail17trampoline_kernelINS0_14default_configENS1_38merge_sort_block_merge_config_selectorIN3c104HalfElEEZZNS1_27merge_sort_block_merge_implIS3_PS6_N6thrust23THRUST_200600_302600_NS10device_ptrIlEEmNSB_4lessIS6_EEEE10hipError_tT0_T1_T2_jT3_P12ihipStream_tbPNSt15iterator_traitsISH_E10value_typeEPNSN_ISI_E10value_typeEPSJ_NS1_7vsmem_tEENKUlT_SH_SI_SJ_E_clIS9_S9_SD_PlEESG_SW_SH_SI_SJ_EUlSW_E0_NS1_11comp_targetILNS1_3genE8ELNS1_11target_archE1030ELNS1_3gpuE2ELNS1_3repE0EEENS1_38merge_mergepath_config_static_selectorELNS0_4arch9wavefront6targetE1EEEvSI_.num_vgpr, 0
	.set _ZN7rocprim17ROCPRIM_400000_NS6detail17trampoline_kernelINS0_14default_configENS1_38merge_sort_block_merge_config_selectorIN3c104HalfElEEZZNS1_27merge_sort_block_merge_implIS3_PS6_N6thrust23THRUST_200600_302600_NS10device_ptrIlEEmNSB_4lessIS6_EEEE10hipError_tT0_T1_T2_jT3_P12ihipStream_tbPNSt15iterator_traitsISH_E10value_typeEPNSN_ISI_E10value_typeEPSJ_NS1_7vsmem_tEENKUlT_SH_SI_SJ_E_clIS9_S9_SD_PlEESG_SW_SH_SI_SJ_EUlSW_E0_NS1_11comp_targetILNS1_3genE8ELNS1_11target_archE1030ELNS1_3gpuE2ELNS1_3repE0EEENS1_38merge_mergepath_config_static_selectorELNS0_4arch9wavefront6targetE1EEEvSI_.num_agpr, 0
	.set _ZN7rocprim17ROCPRIM_400000_NS6detail17trampoline_kernelINS0_14default_configENS1_38merge_sort_block_merge_config_selectorIN3c104HalfElEEZZNS1_27merge_sort_block_merge_implIS3_PS6_N6thrust23THRUST_200600_302600_NS10device_ptrIlEEmNSB_4lessIS6_EEEE10hipError_tT0_T1_T2_jT3_P12ihipStream_tbPNSt15iterator_traitsISH_E10value_typeEPNSN_ISI_E10value_typeEPSJ_NS1_7vsmem_tEENKUlT_SH_SI_SJ_E_clIS9_S9_SD_PlEESG_SW_SH_SI_SJ_EUlSW_E0_NS1_11comp_targetILNS1_3genE8ELNS1_11target_archE1030ELNS1_3gpuE2ELNS1_3repE0EEENS1_38merge_mergepath_config_static_selectorELNS0_4arch9wavefront6targetE1EEEvSI_.numbered_sgpr, 0
	.set _ZN7rocprim17ROCPRIM_400000_NS6detail17trampoline_kernelINS0_14default_configENS1_38merge_sort_block_merge_config_selectorIN3c104HalfElEEZZNS1_27merge_sort_block_merge_implIS3_PS6_N6thrust23THRUST_200600_302600_NS10device_ptrIlEEmNSB_4lessIS6_EEEE10hipError_tT0_T1_T2_jT3_P12ihipStream_tbPNSt15iterator_traitsISH_E10value_typeEPNSN_ISI_E10value_typeEPSJ_NS1_7vsmem_tEENKUlT_SH_SI_SJ_E_clIS9_S9_SD_PlEESG_SW_SH_SI_SJ_EUlSW_E0_NS1_11comp_targetILNS1_3genE8ELNS1_11target_archE1030ELNS1_3gpuE2ELNS1_3repE0EEENS1_38merge_mergepath_config_static_selectorELNS0_4arch9wavefront6targetE1EEEvSI_.num_named_barrier, 0
	.set _ZN7rocprim17ROCPRIM_400000_NS6detail17trampoline_kernelINS0_14default_configENS1_38merge_sort_block_merge_config_selectorIN3c104HalfElEEZZNS1_27merge_sort_block_merge_implIS3_PS6_N6thrust23THRUST_200600_302600_NS10device_ptrIlEEmNSB_4lessIS6_EEEE10hipError_tT0_T1_T2_jT3_P12ihipStream_tbPNSt15iterator_traitsISH_E10value_typeEPNSN_ISI_E10value_typeEPSJ_NS1_7vsmem_tEENKUlT_SH_SI_SJ_E_clIS9_S9_SD_PlEESG_SW_SH_SI_SJ_EUlSW_E0_NS1_11comp_targetILNS1_3genE8ELNS1_11target_archE1030ELNS1_3gpuE2ELNS1_3repE0EEENS1_38merge_mergepath_config_static_selectorELNS0_4arch9wavefront6targetE1EEEvSI_.private_seg_size, 0
	.set _ZN7rocprim17ROCPRIM_400000_NS6detail17trampoline_kernelINS0_14default_configENS1_38merge_sort_block_merge_config_selectorIN3c104HalfElEEZZNS1_27merge_sort_block_merge_implIS3_PS6_N6thrust23THRUST_200600_302600_NS10device_ptrIlEEmNSB_4lessIS6_EEEE10hipError_tT0_T1_T2_jT3_P12ihipStream_tbPNSt15iterator_traitsISH_E10value_typeEPNSN_ISI_E10value_typeEPSJ_NS1_7vsmem_tEENKUlT_SH_SI_SJ_E_clIS9_S9_SD_PlEESG_SW_SH_SI_SJ_EUlSW_E0_NS1_11comp_targetILNS1_3genE8ELNS1_11target_archE1030ELNS1_3gpuE2ELNS1_3repE0EEENS1_38merge_mergepath_config_static_selectorELNS0_4arch9wavefront6targetE1EEEvSI_.uses_vcc, 0
	.set _ZN7rocprim17ROCPRIM_400000_NS6detail17trampoline_kernelINS0_14default_configENS1_38merge_sort_block_merge_config_selectorIN3c104HalfElEEZZNS1_27merge_sort_block_merge_implIS3_PS6_N6thrust23THRUST_200600_302600_NS10device_ptrIlEEmNSB_4lessIS6_EEEE10hipError_tT0_T1_T2_jT3_P12ihipStream_tbPNSt15iterator_traitsISH_E10value_typeEPNSN_ISI_E10value_typeEPSJ_NS1_7vsmem_tEENKUlT_SH_SI_SJ_E_clIS9_S9_SD_PlEESG_SW_SH_SI_SJ_EUlSW_E0_NS1_11comp_targetILNS1_3genE8ELNS1_11target_archE1030ELNS1_3gpuE2ELNS1_3repE0EEENS1_38merge_mergepath_config_static_selectorELNS0_4arch9wavefront6targetE1EEEvSI_.uses_flat_scratch, 0
	.set _ZN7rocprim17ROCPRIM_400000_NS6detail17trampoline_kernelINS0_14default_configENS1_38merge_sort_block_merge_config_selectorIN3c104HalfElEEZZNS1_27merge_sort_block_merge_implIS3_PS6_N6thrust23THRUST_200600_302600_NS10device_ptrIlEEmNSB_4lessIS6_EEEE10hipError_tT0_T1_T2_jT3_P12ihipStream_tbPNSt15iterator_traitsISH_E10value_typeEPNSN_ISI_E10value_typeEPSJ_NS1_7vsmem_tEENKUlT_SH_SI_SJ_E_clIS9_S9_SD_PlEESG_SW_SH_SI_SJ_EUlSW_E0_NS1_11comp_targetILNS1_3genE8ELNS1_11target_archE1030ELNS1_3gpuE2ELNS1_3repE0EEENS1_38merge_mergepath_config_static_selectorELNS0_4arch9wavefront6targetE1EEEvSI_.has_dyn_sized_stack, 0
	.set _ZN7rocprim17ROCPRIM_400000_NS6detail17trampoline_kernelINS0_14default_configENS1_38merge_sort_block_merge_config_selectorIN3c104HalfElEEZZNS1_27merge_sort_block_merge_implIS3_PS6_N6thrust23THRUST_200600_302600_NS10device_ptrIlEEmNSB_4lessIS6_EEEE10hipError_tT0_T1_T2_jT3_P12ihipStream_tbPNSt15iterator_traitsISH_E10value_typeEPNSN_ISI_E10value_typeEPSJ_NS1_7vsmem_tEENKUlT_SH_SI_SJ_E_clIS9_S9_SD_PlEESG_SW_SH_SI_SJ_EUlSW_E0_NS1_11comp_targetILNS1_3genE8ELNS1_11target_archE1030ELNS1_3gpuE2ELNS1_3repE0EEENS1_38merge_mergepath_config_static_selectorELNS0_4arch9wavefront6targetE1EEEvSI_.has_recursion, 0
	.set _ZN7rocprim17ROCPRIM_400000_NS6detail17trampoline_kernelINS0_14default_configENS1_38merge_sort_block_merge_config_selectorIN3c104HalfElEEZZNS1_27merge_sort_block_merge_implIS3_PS6_N6thrust23THRUST_200600_302600_NS10device_ptrIlEEmNSB_4lessIS6_EEEE10hipError_tT0_T1_T2_jT3_P12ihipStream_tbPNSt15iterator_traitsISH_E10value_typeEPNSN_ISI_E10value_typeEPSJ_NS1_7vsmem_tEENKUlT_SH_SI_SJ_E_clIS9_S9_SD_PlEESG_SW_SH_SI_SJ_EUlSW_E0_NS1_11comp_targetILNS1_3genE8ELNS1_11target_archE1030ELNS1_3gpuE2ELNS1_3repE0EEENS1_38merge_mergepath_config_static_selectorELNS0_4arch9wavefront6targetE1EEEvSI_.has_indirect_call, 0
	.section	.AMDGPU.csdata,"",@progbits
; Kernel info:
; codeLenInByte = 0
; TotalNumSgprs: 4
; NumVgprs: 0
; ScratchSize: 0
; MemoryBound: 0
; FloatMode: 240
; IeeeMode: 1
; LDSByteSize: 0 bytes/workgroup (compile time only)
; SGPRBlocks: 0
; VGPRBlocks: 0
; NumSGPRsForWavesPerEU: 4
; NumVGPRsForWavesPerEU: 1
; Occupancy: 10
; WaveLimiterHint : 0
; COMPUTE_PGM_RSRC2:SCRATCH_EN: 0
; COMPUTE_PGM_RSRC2:USER_SGPR: 6
; COMPUTE_PGM_RSRC2:TRAP_HANDLER: 0
; COMPUTE_PGM_RSRC2:TGID_X_EN: 1
; COMPUTE_PGM_RSRC2:TGID_Y_EN: 0
; COMPUTE_PGM_RSRC2:TGID_Z_EN: 0
; COMPUTE_PGM_RSRC2:TIDIG_COMP_CNT: 0
	.section	.text._ZN7rocprim17ROCPRIM_400000_NS6detail17trampoline_kernelINS0_14default_configENS1_38merge_sort_block_merge_config_selectorIN3c104HalfElEEZZNS1_27merge_sort_block_merge_implIS3_PS6_N6thrust23THRUST_200600_302600_NS10device_ptrIlEEmNSB_4lessIS6_EEEE10hipError_tT0_T1_T2_jT3_P12ihipStream_tbPNSt15iterator_traitsISH_E10value_typeEPNSN_ISI_E10value_typeEPSJ_NS1_7vsmem_tEENKUlT_SH_SI_SJ_E_clIS9_S9_SD_PlEESG_SW_SH_SI_SJ_EUlSW_E1_NS1_11comp_targetILNS1_3genE0ELNS1_11target_archE4294967295ELNS1_3gpuE0ELNS1_3repE0EEENS1_36merge_oddeven_config_static_selectorELNS0_4arch9wavefront6targetE1EEEvSI_,"axG",@progbits,_ZN7rocprim17ROCPRIM_400000_NS6detail17trampoline_kernelINS0_14default_configENS1_38merge_sort_block_merge_config_selectorIN3c104HalfElEEZZNS1_27merge_sort_block_merge_implIS3_PS6_N6thrust23THRUST_200600_302600_NS10device_ptrIlEEmNSB_4lessIS6_EEEE10hipError_tT0_T1_T2_jT3_P12ihipStream_tbPNSt15iterator_traitsISH_E10value_typeEPNSN_ISI_E10value_typeEPSJ_NS1_7vsmem_tEENKUlT_SH_SI_SJ_E_clIS9_S9_SD_PlEESG_SW_SH_SI_SJ_EUlSW_E1_NS1_11comp_targetILNS1_3genE0ELNS1_11target_archE4294967295ELNS1_3gpuE0ELNS1_3repE0EEENS1_36merge_oddeven_config_static_selectorELNS0_4arch9wavefront6targetE1EEEvSI_,comdat
	.protected	_ZN7rocprim17ROCPRIM_400000_NS6detail17trampoline_kernelINS0_14default_configENS1_38merge_sort_block_merge_config_selectorIN3c104HalfElEEZZNS1_27merge_sort_block_merge_implIS3_PS6_N6thrust23THRUST_200600_302600_NS10device_ptrIlEEmNSB_4lessIS6_EEEE10hipError_tT0_T1_T2_jT3_P12ihipStream_tbPNSt15iterator_traitsISH_E10value_typeEPNSN_ISI_E10value_typeEPSJ_NS1_7vsmem_tEENKUlT_SH_SI_SJ_E_clIS9_S9_SD_PlEESG_SW_SH_SI_SJ_EUlSW_E1_NS1_11comp_targetILNS1_3genE0ELNS1_11target_archE4294967295ELNS1_3gpuE0ELNS1_3repE0EEENS1_36merge_oddeven_config_static_selectorELNS0_4arch9wavefront6targetE1EEEvSI_ ; -- Begin function _ZN7rocprim17ROCPRIM_400000_NS6detail17trampoline_kernelINS0_14default_configENS1_38merge_sort_block_merge_config_selectorIN3c104HalfElEEZZNS1_27merge_sort_block_merge_implIS3_PS6_N6thrust23THRUST_200600_302600_NS10device_ptrIlEEmNSB_4lessIS6_EEEE10hipError_tT0_T1_T2_jT3_P12ihipStream_tbPNSt15iterator_traitsISH_E10value_typeEPNSN_ISI_E10value_typeEPSJ_NS1_7vsmem_tEENKUlT_SH_SI_SJ_E_clIS9_S9_SD_PlEESG_SW_SH_SI_SJ_EUlSW_E1_NS1_11comp_targetILNS1_3genE0ELNS1_11target_archE4294967295ELNS1_3gpuE0ELNS1_3repE0EEENS1_36merge_oddeven_config_static_selectorELNS0_4arch9wavefront6targetE1EEEvSI_
	.globl	_ZN7rocprim17ROCPRIM_400000_NS6detail17trampoline_kernelINS0_14default_configENS1_38merge_sort_block_merge_config_selectorIN3c104HalfElEEZZNS1_27merge_sort_block_merge_implIS3_PS6_N6thrust23THRUST_200600_302600_NS10device_ptrIlEEmNSB_4lessIS6_EEEE10hipError_tT0_T1_T2_jT3_P12ihipStream_tbPNSt15iterator_traitsISH_E10value_typeEPNSN_ISI_E10value_typeEPSJ_NS1_7vsmem_tEENKUlT_SH_SI_SJ_E_clIS9_S9_SD_PlEESG_SW_SH_SI_SJ_EUlSW_E1_NS1_11comp_targetILNS1_3genE0ELNS1_11target_archE4294967295ELNS1_3gpuE0ELNS1_3repE0EEENS1_36merge_oddeven_config_static_selectorELNS0_4arch9wavefront6targetE1EEEvSI_
	.p2align	8
	.type	_ZN7rocprim17ROCPRIM_400000_NS6detail17trampoline_kernelINS0_14default_configENS1_38merge_sort_block_merge_config_selectorIN3c104HalfElEEZZNS1_27merge_sort_block_merge_implIS3_PS6_N6thrust23THRUST_200600_302600_NS10device_ptrIlEEmNSB_4lessIS6_EEEE10hipError_tT0_T1_T2_jT3_P12ihipStream_tbPNSt15iterator_traitsISH_E10value_typeEPNSN_ISI_E10value_typeEPSJ_NS1_7vsmem_tEENKUlT_SH_SI_SJ_E_clIS9_S9_SD_PlEESG_SW_SH_SI_SJ_EUlSW_E1_NS1_11comp_targetILNS1_3genE0ELNS1_11target_archE4294967295ELNS1_3gpuE0ELNS1_3repE0EEENS1_36merge_oddeven_config_static_selectorELNS0_4arch9wavefront6targetE1EEEvSI_,@function
_ZN7rocprim17ROCPRIM_400000_NS6detail17trampoline_kernelINS0_14default_configENS1_38merge_sort_block_merge_config_selectorIN3c104HalfElEEZZNS1_27merge_sort_block_merge_implIS3_PS6_N6thrust23THRUST_200600_302600_NS10device_ptrIlEEmNSB_4lessIS6_EEEE10hipError_tT0_T1_T2_jT3_P12ihipStream_tbPNSt15iterator_traitsISH_E10value_typeEPNSN_ISI_E10value_typeEPSJ_NS1_7vsmem_tEENKUlT_SH_SI_SJ_E_clIS9_S9_SD_PlEESG_SW_SH_SI_SJ_EUlSW_E1_NS1_11comp_targetILNS1_3genE0ELNS1_11target_archE4294967295ELNS1_3gpuE0ELNS1_3repE0EEENS1_36merge_oddeven_config_static_selectorELNS0_4arch9wavefront6targetE1EEEvSI_: ; @_ZN7rocprim17ROCPRIM_400000_NS6detail17trampoline_kernelINS0_14default_configENS1_38merge_sort_block_merge_config_selectorIN3c104HalfElEEZZNS1_27merge_sort_block_merge_implIS3_PS6_N6thrust23THRUST_200600_302600_NS10device_ptrIlEEmNSB_4lessIS6_EEEE10hipError_tT0_T1_T2_jT3_P12ihipStream_tbPNSt15iterator_traitsISH_E10value_typeEPNSN_ISI_E10value_typeEPSJ_NS1_7vsmem_tEENKUlT_SH_SI_SJ_E_clIS9_S9_SD_PlEESG_SW_SH_SI_SJ_EUlSW_E1_NS1_11comp_targetILNS1_3genE0ELNS1_11target_archE4294967295ELNS1_3gpuE0ELNS1_3repE0EEENS1_36merge_oddeven_config_static_selectorELNS0_4arch9wavefront6targetE1EEEvSI_
; %bb.0:
	.section	.rodata,"a",@progbits
	.p2align	6, 0x0
	.amdhsa_kernel _ZN7rocprim17ROCPRIM_400000_NS6detail17trampoline_kernelINS0_14default_configENS1_38merge_sort_block_merge_config_selectorIN3c104HalfElEEZZNS1_27merge_sort_block_merge_implIS3_PS6_N6thrust23THRUST_200600_302600_NS10device_ptrIlEEmNSB_4lessIS6_EEEE10hipError_tT0_T1_T2_jT3_P12ihipStream_tbPNSt15iterator_traitsISH_E10value_typeEPNSN_ISI_E10value_typeEPSJ_NS1_7vsmem_tEENKUlT_SH_SI_SJ_E_clIS9_S9_SD_PlEESG_SW_SH_SI_SJ_EUlSW_E1_NS1_11comp_targetILNS1_3genE0ELNS1_11target_archE4294967295ELNS1_3gpuE0ELNS1_3repE0EEENS1_36merge_oddeven_config_static_selectorELNS0_4arch9wavefront6targetE1EEEvSI_
		.amdhsa_group_segment_fixed_size 0
		.amdhsa_private_segment_fixed_size 0
		.amdhsa_kernarg_size 56
		.amdhsa_user_sgpr_count 6
		.amdhsa_user_sgpr_private_segment_buffer 1
		.amdhsa_user_sgpr_dispatch_ptr 0
		.amdhsa_user_sgpr_queue_ptr 0
		.amdhsa_user_sgpr_kernarg_segment_ptr 1
		.amdhsa_user_sgpr_dispatch_id 0
		.amdhsa_user_sgpr_flat_scratch_init 0
		.amdhsa_user_sgpr_private_segment_size 0
		.amdhsa_uses_dynamic_stack 0
		.amdhsa_system_sgpr_private_segment_wavefront_offset 0
		.amdhsa_system_sgpr_workgroup_id_x 1
		.amdhsa_system_sgpr_workgroup_id_y 0
		.amdhsa_system_sgpr_workgroup_id_z 0
		.amdhsa_system_sgpr_workgroup_info 0
		.amdhsa_system_vgpr_workitem_id 0
		.amdhsa_next_free_vgpr 1
		.amdhsa_next_free_sgpr 0
		.amdhsa_reserve_vcc 0
		.amdhsa_reserve_flat_scratch 0
		.amdhsa_float_round_mode_32 0
		.amdhsa_float_round_mode_16_64 0
		.amdhsa_float_denorm_mode_32 3
		.amdhsa_float_denorm_mode_16_64 3
		.amdhsa_dx10_clamp 1
		.amdhsa_ieee_mode 1
		.amdhsa_fp16_overflow 0
		.amdhsa_exception_fp_ieee_invalid_op 0
		.amdhsa_exception_fp_denorm_src 0
		.amdhsa_exception_fp_ieee_div_zero 0
		.amdhsa_exception_fp_ieee_overflow 0
		.amdhsa_exception_fp_ieee_underflow 0
		.amdhsa_exception_fp_ieee_inexact 0
		.amdhsa_exception_int_div_zero 0
	.end_amdhsa_kernel
	.section	.text._ZN7rocprim17ROCPRIM_400000_NS6detail17trampoline_kernelINS0_14default_configENS1_38merge_sort_block_merge_config_selectorIN3c104HalfElEEZZNS1_27merge_sort_block_merge_implIS3_PS6_N6thrust23THRUST_200600_302600_NS10device_ptrIlEEmNSB_4lessIS6_EEEE10hipError_tT0_T1_T2_jT3_P12ihipStream_tbPNSt15iterator_traitsISH_E10value_typeEPNSN_ISI_E10value_typeEPSJ_NS1_7vsmem_tEENKUlT_SH_SI_SJ_E_clIS9_S9_SD_PlEESG_SW_SH_SI_SJ_EUlSW_E1_NS1_11comp_targetILNS1_3genE0ELNS1_11target_archE4294967295ELNS1_3gpuE0ELNS1_3repE0EEENS1_36merge_oddeven_config_static_selectorELNS0_4arch9wavefront6targetE1EEEvSI_,"axG",@progbits,_ZN7rocprim17ROCPRIM_400000_NS6detail17trampoline_kernelINS0_14default_configENS1_38merge_sort_block_merge_config_selectorIN3c104HalfElEEZZNS1_27merge_sort_block_merge_implIS3_PS6_N6thrust23THRUST_200600_302600_NS10device_ptrIlEEmNSB_4lessIS6_EEEE10hipError_tT0_T1_T2_jT3_P12ihipStream_tbPNSt15iterator_traitsISH_E10value_typeEPNSN_ISI_E10value_typeEPSJ_NS1_7vsmem_tEENKUlT_SH_SI_SJ_E_clIS9_S9_SD_PlEESG_SW_SH_SI_SJ_EUlSW_E1_NS1_11comp_targetILNS1_3genE0ELNS1_11target_archE4294967295ELNS1_3gpuE0ELNS1_3repE0EEENS1_36merge_oddeven_config_static_selectorELNS0_4arch9wavefront6targetE1EEEvSI_,comdat
.Lfunc_end2164:
	.size	_ZN7rocprim17ROCPRIM_400000_NS6detail17trampoline_kernelINS0_14default_configENS1_38merge_sort_block_merge_config_selectorIN3c104HalfElEEZZNS1_27merge_sort_block_merge_implIS3_PS6_N6thrust23THRUST_200600_302600_NS10device_ptrIlEEmNSB_4lessIS6_EEEE10hipError_tT0_T1_T2_jT3_P12ihipStream_tbPNSt15iterator_traitsISH_E10value_typeEPNSN_ISI_E10value_typeEPSJ_NS1_7vsmem_tEENKUlT_SH_SI_SJ_E_clIS9_S9_SD_PlEESG_SW_SH_SI_SJ_EUlSW_E1_NS1_11comp_targetILNS1_3genE0ELNS1_11target_archE4294967295ELNS1_3gpuE0ELNS1_3repE0EEENS1_36merge_oddeven_config_static_selectorELNS0_4arch9wavefront6targetE1EEEvSI_, .Lfunc_end2164-_ZN7rocprim17ROCPRIM_400000_NS6detail17trampoline_kernelINS0_14default_configENS1_38merge_sort_block_merge_config_selectorIN3c104HalfElEEZZNS1_27merge_sort_block_merge_implIS3_PS6_N6thrust23THRUST_200600_302600_NS10device_ptrIlEEmNSB_4lessIS6_EEEE10hipError_tT0_T1_T2_jT3_P12ihipStream_tbPNSt15iterator_traitsISH_E10value_typeEPNSN_ISI_E10value_typeEPSJ_NS1_7vsmem_tEENKUlT_SH_SI_SJ_E_clIS9_S9_SD_PlEESG_SW_SH_SI_SJ_EUlSW_E1_NS1_11comp_targetILNS1_3genE0ELNS1_11target_archE4294967295ELNS1_3gpuE0ELNS1_3repE0EEENS1_36merge_oddeven_config_static_selectorELNS0_4arch9wavefront6targetE1EEEvSI_
                                        ; -- End function
	.set _ZN7rocprim17ROCPRIM_400000_NS6detail17trampoline_kernelINS0_14default_configENS1_38merge_sort_block_merge_config_selectorIN3c104HalfElEEZZNS1_27merge_sort_block_merge_implIS3_PS6_N6thrust23THRUST_200600_302600_NS10device_ptrIlEEmNSB_4lessIS6_EEEE10hipError_tT0_T1_T2_jT3_P12ihipStream_tbPNSt15iterator_traitsISH_E10value_typeEPNSN_ISI_E10value_typeEPSJ_NS1_7vsmem_tEENKUlT_SH_SI_SJ_E_clIS9_S9_SD_PlEESG_SW_SH_SI_SJ_EUlSW_E1_NS1_11comp_targetILNS1_3genE0ELNS1_11target_archE4294967295ELNS1_3gpuE0ELNS1_3repE0EEENS1_36merge_oddeven_config_static_selectorELNS0_4arch9wavefront6targetE1EEEvSI_.num_vgpr, 0
	.set _ZN7rocprim17ROCPRIM_400000_NS6detail17trampoline_kernelINS0_14default_configENS1_38merge_sort_block_merge_config_selectorIN3c104HalfElEEZZNS1_27merge_sort_block_merge_implIS3_PS6_N6thrust23THRUST_200600_302600_NS10device_ptrIlEEmNSB_4lessIS6_EEEE10hipError_tT0_T1_T2_jT3_P12ihipStream_tbPNSt15iterator_traitsISH_E10value_typeEPNSN_ISI_E10value_typeEPSJ_NS1_7vsmem_tEENKUlT_SH_SI_SJ_E_clIS9_S9_SD_PlEESG_SW_SH_SI_SJ_EUlSW_E1_NS1_11comp_targetILNS1_3genE0ELNS1_11target_archE4294967295ELNS1_3gpuE0ELNS1_3repE0EEENS1_36merge_oddeven_config_static_selectorELNS0_4arch9wavefront6targetE1EEEvSI_.num_agpr, 0
	.set _ZN7rocprim17ROCPRIM_400000_NS6detail17trampoline_kernelINS0_14default_configENS1_38merge_sort_block_merge_config_selectorIN3c104HalfElEEZZNS1_27merge_sort_block_merge_implIS3_PS6_N6thrust23THRUST_200600_302600_NS10device_ptrIlEEmNSB_4lessIS6_EEEE10hipError_tT0_T1_T2_jT3_P12ihipStream_tbPNSt15iterator_traitsISH_E10value_typeEPNSN_ISI_E10value_typeEPSJ_NS1_7vsmem_tEENKUlT_SH_SI_SJ_E_clIS9_S9_SD_PlEESG_SW_SH_SI_SJ_EUlSW_E1_NS1_11comp_targetILNS1_3genE0ELNS1_11target_archE4294967295ELNS1_3gpuE0ELNS1_3repE0EEENS1_36merge_oddeven_config_static_selectorELNS0_4arch9wavefront6targetE1EEEvSI_.numbered_sgpr, 0
	.set _ZN7rocprim17ROCPRIM_400000_NS6detail17trampoline_kernelINS0_14default_configENS1_38merge_sort_block_merge_config_selectorIN3c104HalfElEEZZNS1_27merge_sort_block_merge_implIS3_PS6_N6thrust23THRUST_200600_302600_NS10device_ptrIlEEmNSB_4lessIS6_EEEE10hipError_tT0_T1_T2_jT3_P12ihipStream_tbPNSt15iterator_traitsISH_E10value_typeEPNSN_ISI_E10value_typeEPSJ_NS1_7vsmem_tEENKUlT_SH_SI_SJ_E_clIS9_S9_SD_PlEESG_SW_SH_SI_SJ_EUlSW_E1_NS1_11comp_targetILNS1_3genE0ELNS1_11target_archE4294967295ELNS1_3gpuE0ELNS1_3repE0EEENS1_36merge_oddeven_config_static_selectorELNS0_4arch9wavefront6targetE1EEEvSI_.num_named_barrier, 0
	.set _ZN7rocprim17ROCPRIM_400000_NS6detail17trampoline_kernelINS0_14default_configENS1_38merge_sort_block_merge_config_selectorIN3c104HalfElEEZZNS1_27merge_sort_block_merge_implIS3_PS6_N6thrust23THRUST_200600_302600_NS10device_ptrIlEEmNSB_4lessIS6_EEEE10hipError_tT0_T1_T2_jT3_P12ihipStream_tbPNSt15iterator_traitsISH_E10value_typeEPNSN_ISI_E10value_typeEPSJ_NS1_7vsmem_tEENKUlT_SH_SI_SJ_E_clIS9_S9_SD_PlEESG_SW_SH_SI_SJ_EUlSW_E1_NS1_11comp_targetILNS1_3genE0ELNS1_11target_archE4294967295ELNS1_3gpuE0ELNS1_3repE0EEENS1_36merge_oddeven_config_static_selectorELNS0_4arch9wavefront6targetE1EEEvSI_.private_seg_size, 0
	.set _ZN7rocprim17ROCPRIM_400000_NS6detail17trampoline_kernelINS0_14default_configENS1_38merge_sort_block_merge_config_selectorIN3c104HalfElEEZZNS1_27merge_sort_block_merge_implIS3_PS6_N6thrust23THRUST_200600_302600_NS10device_ptrIlEEmNSB_4lessIS6_EEEE10hipError_tT0_T1_T2_jT3_P12ihipStream_tbPNSt15iterator_traitsISH_E10value_typeEPNSN_ISI_E10value_typeEPSJ_NS1_7vsmem_tEENKUlT_SH_SI_SJ_E_clIS9_S9_SD_PlEESG_SW_SH_SI_SJ_EUlSW_E1_NS1_11comp_targetILNS1_3genE0ELNS1_11target_archE4294967295ELNS1_3gpuE0ELNS1_3repE0EEENS1_36merge_oddeven_config_static_selectorELNS0_4arch9wavefront6targetE1EEEvSI_.uses_vcc, 0
	.set _ZN7rocprim17ROCPRIM_400000_NS6detail17trampoline_kernelINS0_14default_configENS1_38merge_sort_block_merge_config_selectorIN3c104HalfElEEZZNS1_27merge_sort_block_merge_implIS3_PS6_N6thrust23THRUST_200600_302600_NS10device_ptrIlEEmNSB_4lessIS6_EEEE10hipError_tT0_T1_T2_jT3_P12ihipStream_tbPNSt15iterator_traitsISH_E10value_typeEPNSN_ISI_E10value_typeEPSJ_NS1_7vsmem_tEENKUlT_SH_SI_SJ_E_clIS9_S9_SD_PlEESG_SW_SH_SI_SJ_EUlSW_E1_NS1_11comp_targetILNS1_3genE0ELNS1_11target_archE4294967295ELNS1_3gpuE0ELNS1_3repE0EEENS1_36merge_oddeven_config_static_selectorELNS0_4arch9wavefront6targetE1EEEvSI_.uses_flat_scratch, 0
	.set _ZN7rocprim17ROCPRIM_400000_NS6detail17trampoline_kernelINS0_14default_configENS1_38merge_sort_block_merge_config_selectorIN3c104HalfElEEZZNS1_27merge_sort_block_merge_implIS3_PS6_N6thrust23THRUST_200600_302600_NS10device_ptrIlEEmNSB_4lessIS6_EEEE10hipError_tT0_T1_T2_jT3_P12ihipStream_tbPNSt15iterator_traitsISH_E10value_typeEPNSN_ISI_E10value_typeEPSJ_NS1_7vsmem_tEENKUlT_SH_SI_SJ_E_clIS9_S9_SD_PlEESG_SW_SH_SI_SJ_EUlSW_E1_NS1_11comp_targetILNS1_3genE0ELNS1_11target_archE4294967295ELNS1_3gpuE0ELNS1_3repE0EEENS1_36merge_oddeven_config_static_selectorELNS0_4arch9wavefront6targetE1EEEvSI_.has_dyn_sized_stack, 0
	.set _ZN7rocprim17ROCPRIM_400000_NS6detail17trampoline_kernelINS0_14default_configENS1_38merge_sort_block_merge_config_selectorIN3c104HalfElEEZZNS1_27merge_sort_block_merge_implIS3_PS6_N6thrust23THRUST_200600_302600_NS10device_ptrIlEEmNSB_4lessIS6_EEEE10hipError_tT0_T1_T2_jT3_P12ihipStream_tbPNSt15iterator_traitsISH_E10value_typeEPNSN_ISI_E10value_typeEPSJ_NS1_7vsmem_tEENKUlT_SH_SI_SJ_E_clIS9_S9_SD_PlEESG_SW_SH_SI_SJ_EUlSW_E1_NS1_11comp_targetILNS1_3genE0ELNS1_11target_archE4294967295ELNS1_3gpuE0ELNS1_3repE0EEENS1_36merge_oddeven_config_static_selectorELNS0_4arch9wavefront6targetE1EEEvSI_.has_recursion, 0
	.set _ZN7rocprim17ROCPRIM_400000_NS6detail17trampoline_kernelINS0_14default_configENS1_38merge_sort_block_merge_config_selectorIN3c104HalfElEEZZNS1_27merge_sort_block_merge_implIS3_PS6_N6thrust23THRUST_200600_302600_NS10device_ptrIlEEmNSB_4lessIS6_EEEE10hipError_tT0_T1_T2_jT3_P12ihipStream_tbPNSt15iterator_traitsISH_E10value_typeEPNSN_ISI_E10value_typeEPSJ_NS1_7vsmem_tEENKUlT_SH_SI_SJ_E_clIS9_S9_SD_PlEESG_SW_SH_SI_SJ_EUlSW_E1_NS1_11comp_targetILNS1_3genE0ELNS1_11target_archE4294967295ELNS1_3gpuE0ELNS1_3repE0EEENS1_36merge_oddeven_config_static_selectorELNS0_4arch9wavefront6targetE1EEEvSI_.has_indirect_call, 0
	.section	.AMDGPU.csdata,"",@progbits
; Kernel info:
; codeLenInByte = 0
; TotalNumSgprs: 4
; NumVgprs: 0
; ScratchSize: 0
; MemoryBound: 0
; FloatMode: 240
; IeeeMode: 1
; LDSByteSize: 0 bytes/workgroup (compile time only)
; SGPRBlocks: 0
; VGPRBlocks: 0
; NumSGPRsForWavesPerEU: 4
; NumVGPRsForWavesPerEU: 1
; Occupancy: 10
; WaveLimiterHint : 0
; COMPUTE_PGM_RSRC2:SCRATCH_EN: 0
; COMPUTE_PGM_RSRC2:USER_SGPR: 6
; COMPUTE_PGM_RSRC2:TRAP_HANDLER: 0
; COMPUTE_PGM_RSRC2:TGID_X_EN: 1
; COMPUTE_PGM_RSRC2:TGID_Y_EN: 0
; COMPUTE_PGM_RSRC2:TGID_Z_EN: 0
; COMPUTE_PGM_RSRC2:TIDIG_COMP_CNT: 0
	.section	.text._ZN7rocprim17ROCPRIM_400000_NS6detail17trampoline_kernelINS0_14default_configENS1_38merge_sort_block_merge_config_selectorIN3c104HalfElEEZZNS1_27merge_sort_block_merge_implIS3_PS6_N6thrust23THRUST_200600_302600_NS10device_ptrIlEEmNSB_4lessIS6_EEEE10hipError_tT0_T1_T2_jT3_P12ihipStream_tbPNSt15iterator_traitsISH_E10value_typeEPNSN_ISI_E10value_typeEPSJ_NS1_7vsmem_tEENKUlT_SH_SI_SJ_E_clIS9_S9_SD_PlEESG_SW_SH_SI_SJ_EUlSW_E1_NS1_11comp_targetILNS1_3genE10ELNS1_11target_archE1201ELNS1_3gpuE5ELNS1_3repE0EEENS1_36merge_oddeven_config_static_selectorELNS0_4arch9wavefront6targetE1EEEvSI_,"axG",@progbits,_ZN7rocprim17ROCPRIM_400000_NS6detail17trampoline_kernelINS0_14default_configENS1_38merge_sort_block_merge_config_selectorIN3c104HalfElEEZZNS1_27merge_sort_block_merge_implIS3_PS6_N6thrust23THRUST_200600_302600_NS10device_ptrIlEEmNSB_4lessIS6_EEEE10hipError_tT0_T1_T2_jT3_P12ihipStream_tbPNSt15iterator_traitsISH_E10value_typeEPNSN_ISI_E10value_typeEPSJ_NS1_7vsmem_tEENKUlT_SH_SI_SJ_E_clIS9_S9_SD_PlEESG_SW_SH_SI_SJ_EUlSW_E1_NS1_11comp_targetILNS1_3genE10ELNS1_11target_archE1201ELNS1_3gpuE5ELNS1_3repE0EEENS1_36merge_oddeven_config_static_selectorELNS0_4arch9wavefront6targetE1EEEvSI_,comdat
	.protected	_ZN7rocprim17ROCPRIM_400000_NS6detail17trampoline_kernelINS0_14default_configENS1_38merge_sort_block_merge_config_selectorIN3c104HalfElEEZZNS1_27merge_sort_block_merge_implIS3_PS6_N6thrust23THRUST_200600_302600_NS10device_ptrIlEEmNSB_4lessIS6_EEEE10hipError_tT0_T1_T2_jT3_P12ihipStream_tbPNSt15iterator_traitsISH_E10value_typeEPNSN_ISI_E10value_typeEPSJ_NS1_7vsmem_tEENKUlT_SH_SI_SJ_E_clIS9_S9_SD_PlEESG_SW_SH_SI_SJ_EUlSW_E1_NS1_11comp_targetILNS1_3genE10ELNS1_11target_archE1201ELNS1_3gpuE5ELNS1_3repE0EEENS1_36merge_oddeven_config_static_selectorELNS0_4arch9wavefront6targetE1EEEvSI_ ; -- Begin function _ZN7rocprim17ROCPRIM_400000_NS6detail17trampoline_kernelINS0_14default_configENS1_38merge_sort_block_merge_config_selectorIN3c104HalfElEEZZNS1_27merge_sort_block_merge_implIS3_PS6_N6thrust23THRUST_200600_302600_NS10device_ptrIlEEmNSB_4lessIS6_EEEE10hipError_tT0_T1_T2_jT3_P12ihipStream_tbPNSt15iterator_traitsISH_E10value_typeEPNSN_ISI_E10value_typeEPSJ_NS1_7vsmem_tEENKUlT_SH_SI_SJ_E_clIS9_S9_SD_PlEESG_SW_SH_SI_SJ_EUlSW_E1_NS1_11comp_targetILNS1_3genE10ELNS1_11target_archE1201ELNS1_3gpuE5ELNS1_3repE0EEENS1_36merge_oddeven_config_static_selectorELNS0_4arch9wavefront6targetE1EEEvSI_
	.globl	_ZN7rocprim17ROCPRIM_400000_NS6detail17trampoline_kernelINS0_14default_configENS1_38merge_sort_block_merge_config_selectorIN3c104HalfElEEZZNS1_27merge_sort_block_merge_implIS3_PS6_N6thrust23THRUST_200600_302600_NS10device_ptrIlEEmNSB_4lessIS6_EEEE10hipError_tT0_T1_T2_jT3_P12ihipStream_tbPNSt15iterator_traitsISH_E10value_typeEPNSN_ISI_E10value_typeEPSJ_NS1_7vsmem_tEENKUlT_SH_SI_SJ_E_clIS9_S9_SD_PlEESG_SW_SH_SI_SJ_EUlSW_E1_NS1_11comp_targetILNS1_3genE10ELNS1_11target_archE1201ELNS1_3gpuE5ELNS1_3repE0EEENS1_36merge_oddeven_config_static_selectorELNS0_4arch9wavefront6targetE1EEEvSI_
	.p2align	8
	.type	_ZN7rocprim17ROCPRIM_400000_NS6detail17trampoline_kernelINS0_14default_configENS1_38merge_sort_block_merge_config_selectorIN3c104HalfElEEZZNS1_27merge_sort_block_merge_implIS3_PS6_N6thrust23THRUST_200600_302600_NS10device_ptrIlEEmNSB_4lessIS6_EEEE10hipError_tT0_T1_T2_jT3_P12ihipStream_tbPNSt15iterator_traitsISH_E10value_typeEPNSN_ISI_E10value_typeEPSJ_NS1_7vsmem_tEENKUlT_SH_SI_SJ_E_clIS9_S9_SD_PlEESG_SW_SH_SI_SJ_EUlSW_E1_NS1_11comp_targetILNS1_3genE10ELNS1_11target_archE1201ELNS1_3gpuE5ELNS1_3repE0EEENS1_36merge_oddeven_config_static_selectorELNS0_4arch9wavefront6targetE1EEEvSI_,@function
_ZN7rocprim17ROCPRIM_400000_NS6detail17trampoline_kernelINS0_14default_configENS1_38merge_sort_block_merge_config_selectorIN3c104HalfElEEZZNS1_27merge_sort_block_merge_implIS3_PS6_N6thrust23THRUST_200600_302600_NS10device_ptrIlEEmNSB_4lessIS6_EEEE10hipError_tT0_T1_T2_jT3_P12ihipStream_tbPNSt15iterator_traitsISH_E10value_typeEPNSN_ISI_E10value_typeEPSJ_NS1_7vsmem_tEENKUlT_SH_SI_SJ_E_clIS9_S9_SD_PlEESG_SW_SH_SI_SJ_EUlSW_E1_NS1_11comp_targetILNS1_3genE10ELNS1_11target_archE1201ELNS1_3gpuE5ELNS1_3repE0EEENS1_36merge_oddeven_config_static_selectorELNS0_4arch9wavefront6targetE1EEEvSI_: ; @_ZN7rocprim17ROCPRIM_400000_NS6detail17trampoline_kernelINS0_14default_configENS1_38merge_sort_block_merge_config_selectorIN3c104HalfElEEZZNS1_27merge_sort_block_merge_implIS3_PS6_N6thrust23THRUST_200600_302600_NS10device_ptrIlEEmNSB_4lessIS6_EEEE10hipError_tT0_T1_T2_jT3_P12ihipStream_tbPNSt15iterator_traitsISH_E10value_typeEPNSN_ISI_E10value_typeEPSJ_NS1_7vsmem_tEENKUlT_SH_SI_SJ_E_clIS9_S9_SD_PlEESG_SW_SH_SI_SJ_EUlSW_E1_NS1_11comp_targetILNS1_3genE10ELNS1_11target_archE1201ELNS1_3gpuE5ELNS1_3repE0EEENS1_36merge_oddeven_config_static_selectorELNS0_4arch9wavefront6targetE1EEEvSI_
; %bb.0:
	.section	.rodata,"a",@progbits
	.p2align	6, 0x0
	.amdhsa_kernel _ZN7rocprim17ROCPRIM_400000_NS6detail17trampoline_kernelINS0_14default_configENS1_38merge_sort_block_merge_config_selectorIN3c104HalfElEEZZNS1_27merge_sort_block_merge_implIS3_PS6_N6thrust23THRUST_200600_302600_NS10device_ptrIlEEmNSB_4lessIS6_EEEE10hipError_tT0_T1_T2_jT3_P12ihipStream_tbPNSt15iterator_traitsISH_E10value_typeEPNSN_ISI_E10value_typeEPSJ_NS1_7vsmem_tEENKUlT_SH_SI_SJ_E_clIS9_S9_SD_PlEESG_SW_SH_SI_SJ_EUlSW_E1_NS1_11comp_targetILNS1_3genE10ELNS1_11target_archE1201ELNS1_3gpuE5ELNS1_3repE0EEENS1_36merge_oddeven_config_static_selectorELNS0_4arch9wavefront6targetE1EEEvSI_
		.amdhsa_group_segment_fixed_size 0
		.amdhsa_private_segment_fixed_size 0
		.amdhsa_kernarg_size 56
		.amdhsa_user_sgpr_count 6
		.amdhsa_user_sgpr_private_segment_buffer 1
		.amdhsa_user_sgpr_dispatch_ptr 0
		.amdhsa_user_sgpr_queue_ptr 0
		.amdhsa_user_sgpr_kernarg_segment_ptr 1
		.amdhsa_user_sgpr_dispatch_id 0
		.amdhsa_user_sgpr_flat_scratch_init 0
		.amdhsa_user_sgpr_private_segment_size 0
		.amdhsa_uses_dynamic_stack 0
		.amdhsa_system_sgpr_private_segment_wavefront_offset 0
		.amdhsa_system_sgpr_workgroup_id_x 1
		.amdhsa_system_sgpr_workgroup_id_y 0
		.amdhsa_system_sgpr_workgroup_id_z 0
		.amdhsa_system_sgpr_workgroup_info 0
		.amdhsa_system_vgpr_workitem_id 0
		.amdhsa_next_free_vgpr 1
		.amdhsa_next_free_sgpr 0
		.amdhsa_reserve_vcc 0
		.amdhsa_reserve_flat_scratch 0
		.amdhsa_float_round_mode_32 0
		.amdhsa_float_round_mode_16_64 0
		.amdhsa_float_denorm_mode_32 3
		.amdhsa_float_denorm_mode_16_64 3
		.amdhsa_dx10_clamp 1
		.amdhsa_ieee_mode 1
		.amdhsa_fp16_overflow 0
		.amdhsa_exception_fp_ieee_invalid_op 0
		.amdhsa_exception_fp_denorm_src 0
		.amdhsa_exception_fp_ieee_div_zero 0
		.amdhsa_exception_fp_ieee_overflow 0
		.amdhsa_exception_fp_ieee_underflow 0
		.amdhsa_exception_fp_ieee_inexact 0
		.amdhsa_exception_int_div_zero 0
	.end_amdhsa_kernel
	.section	.text._ZN7rocprim17ROCPRIM_400000_NS6detail17trampoline_kernelINS0_14default_configENS1_38merge_sort_block_merge_config_selectorIN3c104HalfElEEZZNS1_27merge_sort_block_merge_implIS3_PS6_N6thrust23THRUST_200600_302600_NS10device_ptrIlEEmNSB_4lessIS6_EEEE10hipError_tT0_T1_T2_jT3_P12ihipStream_tbPNSt15iterator_traitsISH_E10value_typeEPNSN_ISI_E10value_typeEPSJ_NS1_7vsmem_tEENKUlT_SH_SI_SJ_E_clIS9_S9_SD_PlEESG_SW_SH_SI_SJ_EUlSW_E1_NS1_11comp_targetILNS1_3genE10ELNS1_11target_archE1201ELNS1_3gpuE5ELNS1_3repE0EEENS1_36merge_oddeven_config_static_selectorELNS0_4arch9wavefront6targetE1EEEvSI_,"axG",@progbits,_ZN7rocprim17ROCPRIM_400000_NS6detail17trampoline_kernelINS0_14default_configENS1_38merge_sort_block_merge_config_selectorIN3c104HalfElEEZZNS1_27merge_sort_block_merge_implIS3_PS6_N6thrust23THRUST_200600_302600_NS10device_ptrIlEEmNSB_4lessIS6_EEEE10hipError_tT0_T1_T2_jT3_P12ihipStream_tbPNSt15iterator_traitsISH_E10value_typeEPNSN_ISI_E10value_typeEPSJ_NS1_7vsmem_tEENKUlT_SH_SI_SJ_E_clIS9_S9_SD_PlEESG_SW_SH_SI_SJ_EUlSW_E1_NS1_11comp_targetILNS1_3genE10ELNS1_11target_archE1201ELNS1_3gpuE5ELNS1_3repE0EEENS1_36merge_oddeven_config_static_selectorELNS0_4arch9wavefront6targetE1EEEvSI_,comdat
.Lfunc_end2165:
	.size	_ZN7rocprim17ROCPRIM_400000_NS6detail17trampoline_kernelINS0_14default_configENS1_38merge_sort_block_merge_config_selectorIN3c104HalfElEEZZNS1_27merge_sort_block_merge_implIS3_PS6_N6thrust23THRUST_200600_302600_NS10device_ptrIlEEmNSB_4lessIS6_EEEE10hipError_tT0_T1_T2_jT3_P12ihipStream_tbPNSt15iterator_traitsISH_E10value_typeEPNSN_ISI_E10value_typeEPSJ_NS1_7vsmem_tEENKUlT_SH_SI_SJ_E_clIS9_S9_SD_PlEESG_SW_SH_SI_SJ_EUlSW_E1_NS1_11comp_targetILNS1_3genE10ELNS1_11target_archE1201ELNS1_3gpuE5ELNS1_3repE0EEENS1_36merge_oddeven_config_static_selectorELNS0_4arch9wavefront6targetE1EEEvSI_, .Lfunc_end2165-_ZN7rocprim17ROCPRIM_400000_NS6detail17trampoline_kernelINS0_14default_configENS1_38merge_sort_block_merge_config_selectorIN3c104HalfElEEZZNS1_27merge_sort_block_merge_implIS3_PS6_N6thrust23THRUST_200600_302600_NS10device_ptrIlEEmNSB_4lessIS6_EEEE10hipError_tT0_T1_T2_jT3_P12ihipStream_tbPNSt15iterator_traitsISH_E10value_typeEPNSN_ISI_E10value_typeEPSJ_NS1_7vsmem_tEENKUlT_SH_SI_SJ_E_clIS9_S9_SD_PlEESG_SW_SH_SI_SJ_EUlSW_E1_NS1_11comp_targetILNS1_3genE10ELNS1_11target_archE1201ELNS1_3gpuE5ELNS1_3repE0EEENS1_36merge_oddeven_config_static_selectorELNS0_4arch9wavefront6targetE1EEEvSI_
                                        ; -- End function
	.set _ZN7rocprim17ROCPRIM_400000_NS6detail17trampoline_kernelINS0_14default_configENS1_38merge_sort_block_merge_config_selectorIN3c104HalfElEEZZNS1_27merge_sort_block_merge_implIS3_PS6_N6thrust23THRUST_200600_302600_NS10device_ptrIlEEmNSB_4lessIS6_EEEE10hipError_tT0_T1_T2_jT3_P12ihipStream_tbPNSt15iterator_traitsISH_E10value_typeEPNSN_ISI_E10value_typeEPSJ_NS1_7vsmem_tEENKUlT_SH_SI_SJ_E_clIS9_S9_SD_PlEESG_SW_SH_SI_SJ_EUlSW_E1_NS1_11comp_targetILNS1_3genE10ELNS1_11target_archE1201ELNS1_3gpuE5ELNS1_3repE0EEENS1_36merge_oddeven_config_static_selectorELNS0_4arch9wavefront6targetE1EEEvSI_.num_vgpr, 0
	.set _ZN7rocprim17ROCPRIM_400000_NS6detail17trampoline_kernelINS0_14default_configENS1_38merge_sort_block_merge_config_selectorIN3c104HalfElEEZZNS1_27merge_sort_block_merge_implIS3_PS6_N6thrust23THRUST_200600_302600_NS10device_ptrIlEEmNSB_4lessIS6_EEEE10hipError_tT0_T1_T2_jT3_P12ihipStream_tbPNSt15iterator_traitsISH_E10value_typeEPNSN_ISI_E10value_typeEPSJ_NS1_7vsmem_tEENKUlT_SH_SI_SJ_E_clIS9_S9_SD_PlEESG_SW_SH_SI_SJ_EUlSW_E1_NS1_11comp_targetILNS1_3genE10ELNS1_11target_archE1201ELNS1_3gpuE5ELNS1_3repE0EEENS1_36merge_oddeven_config_static_selectorELNS0_4arch9wavefront6targetE1EEEvSI_.num_agpr, 0
	.set _ZN7rocprim17ROCPRIM_400000_NS6detail17trampoline_kernelINS0_14default_configENS1_38merge_sort_block_merge_config_selectorIN3c104HalfElEEZZNS1_27merge_sort_block_merge_implIS3_PS6_N6thrust23THRUST_200600_302600_NS10device_ptrIlEEmNSB_4lessIS6_EEEE10hipError_tT0_T1_T2_jT3_P12ihipStream_tbPNSt15iterator_traitsISH_E10value_typeEPNSN_ISI_E10value_typeEPSJ_NS1_7vsmem_tEENKUlT_SH_SI_SJ_E_clIS9_S9_SD_PlEESG_SW_SH_SI_SJ_EUlSW_E1_NS1_11comp_targetILNS1_3genE10ELNS1_11target_archE1201ELNS1_3gpuE5ELNS1_3repE0EEENS1_36merge_oddeven_config_static_selectorELNS0_4arch9wavefront6targetE1EEEvSI_.numbered_sgpr, 0
	.set _ZN7rocprim17ROCPRIM_400000_NS6detail17trampoline_kernelINS0_14default_configENS1_38merge_sort_block_merge_config_selectorIN3c104HalfElEEZZNS1_27merge_sort_block_merge_implIS3_PS6_N6thrust23THRUST_200600_302600_NS10device_ptrIlEEmNSB_4lessIS6_EEEE10hipError_tT0_T1_T2_jT3_P12ihipStream_tbPNSt15iterator_traitsISH_E10value_typeEPNSN_ISI_E10value_typeEPSJ_NS1_7vsmem_tEENKUlT_SH_SI_SJ_E_clIS9_S9_SD_PlEESG_SW_SH_SI_SJ_EUlSW_E1_NS1_11comp_targetILNS1_3genE10ELNS1_11target_archE1201ELNS1_3gpuE5ELNS1_3repE0EEENS1_36merge_oddeven_config_static_selectorELNS0_4arch9wavefront6targetE1EEEvSI_.num_named_barrier, 0
	.set _ZN7rocprim17ROCPRIM_400000_NS6detail17trampoline_kernelINS0_14default_configENS1_38merge_sort_block_merge_config_selectorIN3c104HalfElEEZZNS1_27merge_sort_block_merge_implIS3_PS6_N6thrust23THRUST_200600_302600_NS10device_ptrIlEEmNSB_4lessIS6_EEEE10hipError_tT0_T1_T2_jT3_P12ihipStream_tbPNSt15iterator_traitsISH_E10value_typeEPNSN_ISI_E10value_typeEPSJ_NS1_7vsmem_tEENKUlT_SH_SI_SJ_E_clIS9_S9_SD_PlEESG_SW_SH_SI_SJ_EUlSW_E1_NS1_11comp_targetILNS1_3genE10ELNS1_11target_archE1201ELNS1_3gpuE5ELNS1_3repE0EEENS1_36merge_oddeven_config_static_selectorELNS0_4arch9wavefront6targetE1EEEvSI_.private_seg_size, 0
	.set _ZN7rocprim17ROCPRIM_400000_NS6detail17trampoline_kernelINS0_14default_configENS1_38merge_sort_block_merge_config_selectorIN3c104HalfElEEZZNS1_27merge_sort_block_merge_implIS3_PS6_N6thrust23THRUST_200600_302600_NS10device_ptrIlEEmNSB_4lessIS6_EEEE10hipError_tT0_T1_T2_jT3_P12ihipStream_tbPNSt15iterator_traitsISH_E10value_typeEPNSN_ISI_E10value_typeEPSJ_NS1_7vsmem_tEENKUlT_SH_SI_SJ_E_clIS9_S9_SD_PlEESG_SW_SH_SI_SJ_EUlSW_E1_NS1_11comp_targetILNS1_3genE10ELNS1_11target_archE1201ELNS1_3gpuE5ELNS1_3repE0EEENS1_36merge_oddeven_config_static_selectorELNS0_4arch9wavefront6targetE1EEEvSI_.uses_vcc, 0
	.set _ZN7rocprim17ROCPRIM_400000_NS6detail17trampoline_kernelINS0_14default_configENS1_38merge_sort_block_merge_config_selectorIN3c104HalfElEEZZNS1_27merge_sort_block_merge_implIS3_PS6_N6thrust23THRUST_200600_302600_NS10device_ptrIlEEmNSB_4lessIS6_EEEE10hipError_tT0_T1_T2_jT3_P12ihipStream_tbPNSt15iterator_traitsISH_E10value_typeEPNSN_ISI_E10value_typeEPSJ_NS1_7vsmem_tEENKUlT_SH_SI_SJ_E_clIS9_S9_SD_PlEESG_SW_SH_SI_SJ_EUlSW_E1_NS1_11comp_targetILNS1_3genE10ELNS1_11target_archE1201ELNS1_3gpuE5ELNS1_3repE0EEENS1_36merge_oddeven_config_static_selectorELNS0_4arch9wavefront6targetE1EEEvSI_.uses_flat_scratch, 0
	.set _ZN7rocprim17ROCPRIM_400000_NS6detail17trampoline_kernelINS0_14default_configENS1_38merge_sort_block_merge_config_selectorIN3c104HalfElEEZZNS1_27merge_sort_block_merge_implIS3_PS6_N6thrust23THRUST_200600_302600_NS10device_ptrIlEEmNSB_4lessIS6_EEEE10hipError_tT0_T1_T2_jT3_P12ihipStream_tbPNSt15iterator_traitsISH_E10value_typeEPNSN_ISI_E10value_typeEPSJ_NS1_7vsmem_tEENKUlT_SH_SI_SJ_E_clIS9_S9_SD_PlEESG_SW_SH_SI_SJ_EUlSW_E1_NS1_11comp_targetILNS1_3genE10ELNS1_11target_archE1201ELNS1_3gpuE5ELNS1_3repE0EEENS1_36merge_oddeven_config_static_selectorELNS0_4arch9wavefront6targetE1EEEvSI_.has_dyn_sized_stack, 0
	.set _ZN7rocprim17ROCPRIM_400000_NS6detail17trampoline_kernelINS0_14default_configENS1_38merge_sort_block_merge_config_selectorIN3c104HalfElEEZZNS1_27merge_sort_block_merge_implIS3_PS6_N6thrust23THRUST_200600_302600_NS10device_ptrIlEEmNSB_4lessIS6_EEEE10hipError_tT0_T1_T2_jT3_P12ihipStream_tbPNSt15iterator_traitsISH_E10value_typeEPNSN_ISI_E10value_typeEPSJ_NS1_7vsmem_tEENKUlT_SH_SI_SJ_E_clIS9_S9_SD_PlEESG_SW_SH_SI_SJ_EUlSW_E1_NS1_11comp_targetILNS1_3genE10ELNS1_11target_archE1201ELNS1_3gpuE5ELNS1_3repE0EEENS1_36merge_oddeven_config_static_selectorELNS0_4arch9wavefront6targetE1EEEvSI_.has_recursion, 0
	.set _ZN7rocprim17ROCPRIM_400000_NS6detail17trampoline_kernelINS0_14default_configENS1_38merge_sort_block_merge_config_selectorIN3c104HalfElEEZZNS1_27merge_sort_block_merge_implIS3_PS6_N6thrust23THRUST_200600_302600_NS10device_ptrIlEEmNSB_4lessIS6_EEEE10hipError_tT0_T1_T2_jT3_P12ihipStream_tbPNSt15iterator_traitsISH_E10value_typeEPNSN_ISI_E10value_typeEPSJ_NS1_7vsmem_tEENKUlT_SH_SI_SJ_E_clIS9_S9_SD_PlEESG_SW_SH_SI_SJ_EUlSW_E1_NS1_11comp_targetILNS1_3genE10ELNS1_11target_archE1201ELNS1_3gpuE5ELNS1_3repE0EEENS1_36merge_oddeven_config_static_selectorELNS0_4arch9wavefront6targetE1EEEvSI_.has_indirect_call, 0
	.section	.AMDGPU.csdata,"",@progbits
; Kernel info:
; codeLenInByte = 0
; TotalNumSgprs: 4
; NumVgprs: 0
; ScratchSize: 0
; MemoryBound: 0
; FloatMode: 240
; IeeeMode: 1
; LDSByteSize: 0 bytes/workgroup (compile time only)
; SGPRBlocks: 0
; VGPRBlocks: 0
; NumSGPRsForWavesPerEU: 4
; NumVGPRsForWavesPerEU: 1
; Occupancy: 10
; WaveLimiterHint : 0
; COMPUTE_PGM_RSRC2:SCRATCH_EN: 0
; COMPUTE_PGM_RSRC2:USER_SGPR: 6
; COMPUTE_PGM_RSRC2:TRAP_HANDLER: 0
; COMPUTE_PGM_RSRC2:TGID_X_EN: 1
; COMPUTE_PGM_RSRC2:TGID_Y_EN: 0
; COMPUTE_PGM_RSRC2:TGID_Z_EN: 0
; COMPUTE_PGM_RSRC2:TIDIG_COMP_CNT: 0
	.section	.text._ZN7rocprim17ROCPRIM_400000_NS6detail17trampoline_kernelINS0_14default_configENS1_38merge_sort_block_merge_config_selectorIN3c104HalfElEEZZNS1_27merge_sort_block_merge_implIS3_PS6_N6thrust23THRUST_200600_302600_NS10device_ptrIlEEmNSB_4lessIS6_EEEE10hipError_tT0_T1_T2_jT3_P12ihipStream_tbPNSt15iterator_traitsISH_E10value_typeEPNSN_ISI_E10value_typeEPSJ_NS1_7vsmem_tEENKUlT_SH_SI_SJ_E_clIS9_S9_SD_PlEESG_SW_SH_SI_SJ_EUlSW_E1_NS1_11comp_targetILNS1_3genE5ELNS1_11target_archE942ELNS1_3gpuE9ELNS1_3repE0EEENS1_36merge_oddeven_config_static_selectorELNS0_4arch9wavefront6targetE1EEEvSI_,"axG",@progbits,_ZN7rocprim17ROCPRIM_400000_NS6detail17trampoline_kernelINS0_14default_configENS1_38merge_sort_block_merge_config_selectorIN3c104HalfElEEZZNS1_27merge_sort_block_merge_implIS3_PS6_N6thrust23THRUST_200600_302600_NS10device_ptrIlEEmNSB_4lessIS6_EEEE10hipError_tT0_T1_T2_jT3_P12ihipStream_tbPNSt15iterator_traitsISH_E10value_typeEPNSN_ISI_E10value_typeEPSJ_NS1_7vsmem_tEENKUlT_SH_SI_SJ_E_clIS9_S9_SD_PlEESG_SW_SH_SI_SJ_EUlSW_E1_NS1_11comp_targetILNS1_3genE5ELNS1_11target_archE942ELNS1_3gpuE9ELNS1_3repE0EEENS1_36merge_oddeven_config_static_selectorELNS0_4arch9wavefront6targetE1EEEvSI_,comdat
	.protected	_ZN7rocprim17ROCPRIM_400000_NS6detail17trampoline_kernelINS0_14default_configENS1_38merge_sort_block_merge_config_selectorIN3c104HalfElEEZZNS1_27merge_sort_block_merge_implIS3_PS6_N6thrust23THRUST_200600_302600_NS10device_ptrIlEEmNSB_4lessIS6_EEEE10hipError_tT0_T1_T2_jT3_P12ihipStream_tbPNSt15iterator_traitsISH_E10value_typeEPNSN_ISI_E10value_typeEPSJ_NS1_7vsmem_tEENKUlT_SH_SI_SJ_E_clIS9_S9_SD_PlEESG_SW_SH_SI_SJ_EUlSW_E1_NS1_11comp_targetILNS1_3genE5ELNS1_11target_archE942ELNS1_3gpuE9ELNS1_3repE0EEENS1_36merge_oddeven_config_static_selectorELNS0_4arch9wavefront6targetE1EEEvSI_ ; -- Begin function _ZN7rocprim17ROCPRIM_400000_NS6detail17trampoline_kernelINS0_14default_configENS1_38merge_sort_block_merge_config_selectorIN3c104HalfElEEZZNS1_27merge_sort_block_merge_implIS3_PS6_N6thrust23THRUST_200600_302600_NS10device_ptrIlEEmNSB_4lessIS6_EEEE10hipError_tT0_T1_T2_jT3_P12ihipStream_tbPNSt15iterator_traitsISH_E10value_typeEPNSN_ISI_E10value_typeEPSJ_NS1_7vsmem_tEENKUlT_SH_SI_SJ_E_clIS9_S9_SD_PlEESG_SW_SH_SI_SJ_EUlSW_E1_NS1_11comp_targetILNS1_3genE5ELNS1_11target_archE942ELNS1_3gpuE9ELNS1_3repE0EEENS1_36merge_oddeven_config_static_selectorELNS0_4arch9wavefront6targetE1EEEvSI_
	.globl	_ZN7rocprim17ROCPRIM_400000_NS6detail17trampoline_kernelINS0_14default_configENS1_38merge_sort_block_merge_config_selectorIN3c104HalfElEEZZNS1_27merge_sort_block_merge_implIS3_PS6_N6thrust23THRUST_200600_302600_NS10device_ptrIlEEmNSB_4lessIS6_EEEE10hipError_tT0_T1_T2_jT3_P12ihipStream_tbPNSt15iterator_traitsISH_E10value_typeEPNSN_ISI_E10value_typeEPSJ_NS1_7vsmem_tEENKUlT_SH_SI_SJ_E_clIS9_S9_SD_PlEESG_SW_SH_SI_SJ_EUlSW_E1_NS1_11comp_targetILNS1_3genE5ELNS1_11target_archE942ELNS1_3gpuE9ELNS1_3repE0EEENS1_36merge_oddeven_config_static_selectorELNS0_4arch9wavefront6targetE1EEEvSI_
	.p2align	8
	.type	_ZN7rocprim17ROCPRIM_400000_NS6detail17trampoline_kernelINS0_14default_configENS1_38merge_sort_block_merge_config_selectorIN3c104HalfElEEZZNS1_27merge_sort_block_merge_implIS3_PS6_N6thrust23THRUST_200600_302600_NS10device_ptrIlEEmNSB_4lessIS6_EEEE10hipError_tT0_T1_T2_jT3_P12ihipStream_tbPNSt15iterator_traitsISH_E10value_typeEPNSN_ISI_E10value_typeEPSJ_NS1_7vsmem_tEENKUlT_SH_SI_SJ_E_clIS9_S9_SD_PlEESG_SW_SH_SI_SJ_EUlSW_E1_NS1_11comp_targetILNS1_3genE5ELNS1_11target_archE942ELNS1_3gpuE9ELNS1_3repE0EEENS1_36merge_oddeven_config_static_selectorELNS0_4arch9wavefront6targetE1EEEvSI_,@function
_ZN7rocprim17ROCPRIM_400000_NS6detail17trampoline_kernelINS0_14default_configENS1_38merge_sort_block_merge_config_selectorIN3c104HalfElEEZZNS1_27merge_sort_block_merge_implIS3_PS6_N6thrust23THRUST_200600_302600_NS10device_ptrIlEEmNSB_4lessIS6_EEEE10hipError_tT0_T1_T2_jT3_P12ihipStream_tbPNSt15iterator_traitsISH_E10value_typeEPNSN_ISI_E10value_typeEPSJ_NS1_7vsmem_tEENKUlT_SH_SI_SJ_E_clIS9_S9_SD_PlEESG_SW_SH_SI_SJ_EUlSW_E1_NS1_11comp_targetILNS1_3genE5ELNS1_11target_archE942ELNS1_3gpuE9ELNS1_3repE0EEENS1_36merge_oddeven_config_static_selectorELNS0_4arch9wavefront6targetE1EEEvSI_: ; @_ZN7rocprim17ROCPRIM_400000_NS6detail17trampoline_kernelINS0_14default_configENS1_38merge_sort_block_merge_config_selectorIN3c104HalfElEEZZNS1_27merge_sort_block_merge_implIS3_PS6_N6thrust23THRUST_200600_302600_NS10device_ptrIlEEmNSB_4lessIS6_EEEE10hipError_tT0_T1_T2_jT3_P12ihipStream_tbPNSt15iterator_traitsISH_E10value_typeEPNSN_ISI_E10value_typeEPSJ_NS1_7vsmem_tEENKUlT_SH_SI_SJ_E_clIS9_S9_SD_PlEESG_SW_SH_SI_SJ_EUlSW_E1_NS1_11comp_targetILNS1_3genE5ELNS1_11target_archE942ELNS1_3gpuE9ELNS1_3repE0EEENS1_36merge_oddeven_config_static_selectorELNS0_4arch9wavefront6targetE1EEEvSI_
; %bb.0:
	.section	.rodata,"a",@progbits
	.p2align	6, 0x0
	.amdhsa_kernel _ZN7rocprim17ROCPRIM_400000_NS6detail17trampoline_kernelINS0_14default_configENS1_38merge_sort_block_merge_config_selectorIN3c104HalfElEEZZNS1_27merge_sort_block_merge_implIS3_PS6_N6thrust23THRUST_200600_302600_NS10device_ptrIlEEmNSB_4lessIS6_EEEE10hipError_tT0_T1_T2_jT3_P12ihipStream_tbPNSt15iterator_traitsISH_E10value_typeEPNSN_ISI_E10value_typeEPSJ_NS1_7vsmem_tEENKUlT_SH_SI_SJ_E_clIS9_S9_SD_PlEESG_SW_SH_SI_SJ_EUlSW_E1_NS1_11comp_targetILNS1_3genE5ELNS1_11target_archE942ELNS1_3gpuE9ELNS1_3repE0EEENS1_36merge_oddeven_config_static_selectorELNS0_4arch9wavefront6targetE1EEEvSI_
		.amdhsa_group_segment_fixed_size 0
		.amdhsa_private_segment_fixed_size 0
		.amdhsa_kernarg_size 56
		.amdhsa_user_sgpr_count 6
		.amdhsa_user_sgpr_private_segment_buffer 1
		.amdhsa_user_sgpr_dispatch_ptr 0
		.amdhsa_user_sgpr_queue_ptr 0
		.amdhsa_user_sgpr_kernarg_segment_ptr 1
		.amdhsa_user_sgpr_dispatch_id 0
		.amdhsa_user_sgpr_flat_scratch_init 0
		.amdhsa_user_sgpr_private_segment_size 0
		.amdhsa_uses_dynamic_stack 0
		.amdhsa_system_sgpr_private_segment_wavefront_offset 0
		.amdhsa_system_sgpr_workgroup_id_x 1
		.amdhsa_system_sgpr_workgroup_id_y 0
		.amdhsa_system_sgpr_workgroup_id_z 0
		.amdhsa_system_sgpr_workgroup_info 0
		.amdhsa_system_vgpr_workitem_id 0
		.amdhsa_next_free_vgpr 1
		.amdhsa_next_free_sgpr 0
		.amdhsa_reserve_vcc 0
		.amdhsa_reserve_flat_scratch 0
		.amdhsa_float_round_mode_32 0
		.amdhsa_float_round_mode_16_64 0
		.amdhsa_float_denorm_mode_32 3
		.amdhsa_float_denorm_mode_16_64 3
		.amdhsa_dx10_clamp 1
		.amdhsa_ieee_mode 1
		.amdhsa_fp16_overflow 0
		.amdhsa_exception_fp_ieee_invalid_op 0
		.amdhsa_exception_fp_denorm_src 0
		.amdhsa_exception_fp_ieee_div_zero 0
		.amdhsa_exception_fp_ieee_overflow 0
		.amdhsa_exception_fp_ieee_underflow 0
		.amdhsa_exception_fp_ieee_inexact 0
		.amdhsa_exception_int_div_zero 0
	.end_amdhsa_kernel
	.section	.text._ZN7rocprim17ROCPRIM_400000_NS6detail17trampoline_kernelINS0_14default_configENS1_38merge_sort_block_merge_config_selectorIN3c104HalfElEEZZNS1_27merge_sort_block_merge_implIS3_PS6_N6thrust23THRUST_200600_302600_NS10device_ptrIlEEmNSB_4lessIS6_EEEE10hipError_tT0_T1_T2_jT3_P12ihipStream_tbPNSt15iterator_traitsISH_E10value_typeEPNSN_ISI_E10value_typeEPSJ_NS1_7vsmem_tEENKUlT_SH_SI_SJ_E_clIS9_S9_SD_PlEESG_SW_SH_SI_SJ_EUlSW_E1_NS1_11comp_targetILNS1_3genE5ELNS1_11target_archE942ELNS1_3gpuE9ELNS1_3repE0EEENS1_36merge_oddeven_config_static_selectorELNS0_4arch9wavefront6targetE1EEEvSI_,"axG",@progbits,_ZN7rocprim17ROCPRIM_400000_NS6detail17trampoline_kernelINS0_14default_configENS1_38merge_sort_block_merge_config_selectorIN3c104HalfElEEZZNS1_27merge_sort_block_merge_implIS3_PS6_N6thrust23THRUST_200600_302600_NS10device_ptrIlEEmNSB_4lessIS6_EEEE10hipError_tT0_T1_T2_jT3_P12ihipStream_tbPNSt15iterator_traitsISH_E10value_typeEPNSN_ISI_E10value_typeEPSJ_NS1_7vsmem_tEENKUlT_SH_SI_SJ_E_clIS9_S9_SD_PlEESG_SW_SH_SI_SJ_EUlSW_E1_NS1_11comp_targetILNS1_3genE5ELNS1_11target_archE942ELNS1_3gpuE9ELNS1_3repE0EEENS1_36merge_oddeven_config_static_selectorELNS0_4arch9wavefront6targetE1EEEvSI_,comdat
.Lfunc_end2166:
	.size	_ZN7rocprim17ROCPRIM_400000_NS6detail17trampoline_kernelINS0_14default_configENS1_38merge_sort_block_merge_config_selectorIN3c104HalfElEEZZNS1_27merge_sort_block_merge_implIS3_PS6_N6thrust23THRUST_200600_302600_NS10device_ptrIlEEmNSB_4lessIS6_EEEE10hipError_tT0_T1_T2_jT3_P12ihipStream_tbPNSt15iterator_traitsISH_E10value_typeEPNSN_ISI_E10value_typeEPSJ_NS1_7vsmem_tEENKUlT_SH_SI_SJ_E_clIS9_S9_SD_PlEESG_SW_SH_SI_SJ_EUlSW_E1_NS1_11comp_targetILNS1_3genE5ELNS1_11target_archE942ELNS1_3gpuE9ELNS1_3repE0EEENS1_36merge_oddeven_config_static_selectorELNS0_4arch9wavefront6targetE1EEEvSI_, .Lfunc_end2166-_ZN7rocprim17ROCPRIM_400000_NS6detail17trampoline_kernelINS0_14default_configENS1_38merge_sort_block_merge_config_selectorIN3c104HalfElEEZZNS1_27merge_sort_block_merge_implIS3_PS6_N6thrust23THRUST_200600_302600_NS10device_ptrIlEEmNSB_4lessIS6_EEEE10hipError_tT0_T1_T2_jT3_P12ihipStream_tbPNSt15iterator_traitsISH_E10value_typeEPNSN_ISI_E10value_typeEPSJ_NS1_7vsmem_tEENKUlT_SH_SI_SJ_E_clIS9_S9_SD_PlEESG_SW_SH_SI_SJ_EUlSW_E1_NS1_11comp_targetILNS1_3genE5ELNS1_11target_archE942ELNS1_3gpuE9ELNS1_3repE0EEENS1_36merge_oddeven_config_static_selectorELNS0_4arch9wavefront6targetE1EEEvSI_
                                        ; -- End function
	.set _ZN7rocprim17ROCPRIM_400000_NS6detail17trampoline_kernelINS0_14default_configENS1_38merge_sort_block_merge_config_selectorIN3c104HalfElEEZZNS1_27merge_sort_block_merge_implIS3_PS6_N6thrust23THRUST_200600_302600_NS10device_ptrIlEEmNSB_4lessIS6_EEEE10hipError_tT0_T1_T2_jT3_P12ihipStream_tbPNSt15iterator_traitsISH_E10value_typeEPNSN_ISI_E10value_typeEPSJ_NS1_7vsmem_tEENKUlT_SH_SI_SJ_E_clIS9_S9_SD_PlEESG_SW_SH_SI_SJ_EUlSW_E1_NS1_11comp_targetILNS1_3genE5ELNS1_11target_archE942ELNS1_3gpuE9ELNS1_3repE0EEENS1_36merge_oddeven_config_static_selectorELNS0_4arch9wavefront6targetE1EEEvSI_.num_vgpr, 0
	.set _ZN7rocprim17ROCPRIM_400000_NS6detail17trampoline_kernelINS0_14default_configENS1_38merge_sort_block_merge_config_selectorIN3c104HalfElEEZZNS1_27merge_sort_block_merge_implIS3_PS6_N6thrust23THRUST_200600_302600_NS10device_ptrIlEEmNSB_4lessIS6_EEEE10hipError_tT0_T1_T2_jT3_P12ihipStream_tbPNSt15iterator_traitsISH_E10value_typeEPNSN_ISI_E10value_typeEPSJ_NS1_7vsmem_tEENKUlT_SH_SI_SJ_E_clIS9_S9_SD_PlEESG_SW_SH_SI_SJ_EUlSW_E1_NS1_11comp_targetILNS1_3genE5ELNS1_11target_archE942ELNS1_3gpuE9ELNS1_3repE0EEENS1_36merge_oddeven_config_static_selectorELNS0_4arch9wavefront6targetE1EEEvSI_.num_agpr, 0
	.set _ZN7rocprim17ROCPRIM_400000_NS6detail17trampoline_kernelINS0_14default_configENS1_38merge_sort_block_merge_config_selectorIN3c104HalfElEEZZNS1_27merge_sort_block_merge_implIS3_PS6_N6thrust23THRUST_200600_302600_NS10device_ptrIlEEmNSB_4lessIS6_EEEE10hipError_tT0_T1_T2_jT3_P12ihipStream_tbPNSt15iterator_traitsISH_E10value_typeEPNSN_ISI_E10value_typeEPSJ_NS1_7vsmem_tEENKUlT_SH_SI_SJ_E_clIS9_S9_SD_PlEESG_SW_SH_SI_SJ_EUlSW_E1_NS1_11comp_targetILNS1_3genE5ELNS1_11target_archE942ELNS1_3gpuE9ELNS1_3repE0EEENS1_36merge_oddeven_config_static_selectorELNS0_4arch9wavefront6targetE1EEEvSI_.numbered_sgpr, 0
	.set _ZN7rocprim17ROCPRIM_400000_NS6detail17trampoline_kernelINS0_14default_configENS1_38merge_sort_block_merge_config_selectorIN3c104HalfElEEZZNS1_27merge_sort_block_merge_implIS3_PS6_N6thrust23THRUST_200600_302600_NS10device_ptrIlEEmNSB_4lessIS6_EEEE10hipError_tT0_T1_T2_jT3_P12ihipStream_tbPNSt15iterator_traitsISH_E10value_typeEPNSN_ISI_E10value_typeEPSJ_NS1_7vsmem_tEENKUlT_SH_SI_SJ_E_clIS9_S9_SD_PlEESG_SW_SH_SI_SJ_EUlSW_E1_NS1_11comp_targetILNS1_3genE5ELNS1_11target_archE942ELNS1_3gpuE9ELNS1_3repE0EEENS1_36merge_oddeven_config_static_selectorELNS0_4arch9wavefront6targetE1EEEvSI_.num_named_barrier, 0
	.set _ZN7rocprim17ROCPRIM_400000_NS6detail17trampoline_kernelINS0_14default_configENS1_38merge_sort_block_merge_config_selectorIN3c104HalfElEEZZNS1_27merge_sort_block_merge_implIS3_PS6_N6thrust23THRUST_200600_302600_NS10device_ptrIlEEmNSB_4lessIS6_EEEE10hipError_tT0_T1_T2_jT3_P12ihipStream_tbPNSt15iterator_traitsISH_E10value_typeEPNSN_ISI_E10value_typeEPSJ_NS1_7vsmem_tEENKUlT_SH_SI_SJ_E_clIS9_S9_SD_PlEESG_SW_SH_SI_SJ_EUlSW_E1_NS1_11comp_targetILNS1_3genE5ELNS1_11target_archE942ELNS1_3gpuE9ELNS1_3repE0EEENS1_36merge_oddeven_config_static_selectorELNS0_4arch9wavefront6targetE1EEEvSI_.private_seg_size, 0
	.set _ZN7rocprim17ROCPRIM_400000_NS6detail17trampoline_kernelINS0_14default_configENS1_38merge_sort_block_merge_config_selectorIN3c104HalfElEEZZNS1_27merge_sort_block_merge_implIS3_PS6_N6thrust23THRUST_200600_302600_NS10device_ptrIlEEmNSB_4lessIS6_EEEE10hipError_tT0_T1_T2_jT3_P12ihipStream_tbPNSt15iterator_traitsISH_E10value_typeEPNSN_ISI_E10value_typeEPSJ_NS1_7vsmem_tEENKUlT_SH_SI_SJ_E_clIS9_S9_SD_PlEESG_SW_SH_SI_SJ_EUlSW_E1_NS1_11comp_targetILNS1_3genE5ELNS1_11target_archE942ELNS1_3gpuE9ELNS1_3repE0EEENS1_36merge_oddeven_config_static_selectorELNS0_4arch9wavefront6targetE1EEEvSI_.uses_vcc, 0
	.set _ZN7rocprim17ROCPRIM_400000_NS6detail17trampoline_kernelINS0_14default_configENS1_38merge_sort_block_merge_config_selectorIN3c104HalfElEEZZNS1_27merge_sort_block_merge_implIS3_PS6_N6thrust23THRUST_200600_302600_NS10device_ptrIlEEmNSB_4lessIS6_EEEE10hipError_tT0_T1_T2_jT3_P12ihipStream_tbPNSt15iterator_traitsISH_E10value_typeEPNSN_ISI_E10value_typeEPSJ_NS1_7vsmem_tEENKUlT_SH_SI_SJ_E_clIS9_S9_SD_PlEESG_SW_SH_SI_SJ_EUlSW_E1_NS1_11comp_targetILNS1_3genE5ELNS1_11target_archE942ELNS1_3gpuE9ELNS1_3repE0EEENS1_36merge_oddeven_config_static_selectorELNS0_4arch9wavefront6targetE1EEEvSI_.uses_flat_scratch, 0
	.set _ZN7rocprim17ROCPRIM_400000_NS6detail17trampoline_kernelINS0_14default_configENS1_38merge_sort_block_merge_config_selectorIN3c104HalfElEEZZNS1_27merge_sort_block_merge_implIS3_PS6_N6thrust23THRUST_200600_302600_NS10device_ptrIlEEmNSB_4lessIS6_EEEE10hipError_tT0_T1_T2_jT3_P12ihipStream_tbPNSt15iterator_traitsISH_E10value_typeEPNSN_ISI_E10value_typeEPSJ_NS1_7vsmem_tEENKUlT_SH_SI_SJ_E_clIS9_S9_SD_PlEESG_SW_SH_SI_SJ_EUlSW_E1_NS1_11comp_targetILNS1_3genE5ELNS1_11target_archE942ELNS1_3gpuE9ELNS1_3repE0EEENS1_36merge_oddeven_config_static_selectorELNS0_4arch9wavefront6targetE1EEEvSI_.has_dyn_sized_stack, 0
	.set _ZN7rocprim17ROCPRIM_400000_NS6detail17trampoline_kernelINS0_14default_configENS1_38merge_sort_block_merge_config_selectorIN3c104HalfElEEZZNS1_27merge_sort_block_merge_implIS3_PS6_N6thrust23THRUST_200600_302600_NS10device_ptrIlEEmNSB_4lessIS6_EEEE10hipError_tT0_T1_T2_jT3_P12ihipStream_tbPNSt15iterator_traitsISH_E10value_typeEPNSN_ISI_E10value_typeEPSJ_NS1_7vsmem_tEENKUlT_SH_SI_SJ_E_clIS9_S9_SD_PlEESG_SW_SH_SI_SJ_EUlSW_E1_NS1_11comp_targetILNS1_3genE5ELNS1_11target_archE942ELNS1_3gpuE9ELNS1_3repE0EEENS1_36merge_oddeven_config_static_selectorELNS0_4arch9wavefront6targetE1EEEvSI_.has_recursion, 0
	.set _ZN7rocprim17ROCPRIM_400000_NS6detail17trampoline_kernelINS0_14default_configENS1_38merge_sort_block_merge_config_selectorIN3c104HalfElEEZZNS1_27merge_sort_block_merge_implIS3_PS6_N6thrust23THRUST_200600_302600_NS10device_ptrIlEEmNSB_4lessIS6_EEEE10hipError_tT0_T1_T2_jT3_P12ihipStream_tbPNSt15iterator_traitsISH_E10value_typeEPNSN_ISI_E10value_typeEPSJ_NS1_7vsmem_tEENKUlT_SH_SI_SJ_E_clIS9_S9_SD_PlEESG_SW_SH_SI_SJ_EUlSW_E1_NS1_11comp_targetILNS1_3genE5ELNS1_11target_archE942ELNS1_3gpuE9ELNS1_3repE0EEENS1_36merge_oddeven_config_static_selectorELNS0_4arch9wavefront6targetE1EEEvSI_.has_indirect_call, 0
	.section	.AMDGPU.csdata,"",@progbits
; Kernel info:
; codeLenInByte = 0
; TotalNumSgprs: 4
; NumVgprs: 0
; ScratchSize: 0
; MemoryBound: 0
; FloatMode: 240
; IeeeMode: 1
; LDSByteSize: 0 bytes/workgroup (compile time only)
; SGPRBlocks: 0
; VGPRBlocks: 0
; NumSGPRsForWavesPerEU: 4
; NumVGPRsForWavesPerEU: 1
; Occupancy: 10
; WaveLimiterHint : 0
; COMPUTE_PGM_RSRC2:SCRATCH_EN: 0
; COMPUTE_PGM_RSRC2:USER_SGPR: 6
; COMPUTE_PGM_RSRC2:TRAP_HANDLER: 0
; COMPUTE_PGM_RSRC2:TGID_X_EN: 1
; COMPUTE_PGM_RSRC2:TGID_Y_EN: 0
; COMPUTE_PGM_RSRC2:TGID_Z_EN: 0
; COMPUTE_PGM_RSRC2:TIDIG_COMP_CNT: 0
	.section	.text._ZN7rocprim17ROCPRIM_400000_NS6detail17trampoline_kernelINS0_14default_configENS1_38merge_sort_block_merge_config_selectorIN3c104HalfElEEZZNS1_27merge_sort_block_merge_implIS3_PS6_N6thrust23THRUST_200600_302600_NS10device_ptrIlEEmNSB_4lessIS6_EEEE10hipError_tT0_T1_T2_jT3_P12ihipStream_tbPNSt15iterator_traitsISH_E10value_typeEPNSN_ISI_E10value_typeEPSJ_NS1_7vsmem_tEENKUlT_SH_SI_SJ_E_clIS9_S9_SD_PlEESG_SW_SH_SI_SJ_EUlSW_E1_NS1_11comp_targetILNS1_3genE4ELNS1_11target_archE910ELNS1_3gpuE8ELNS1_3repE0EEENS1_36merge_oddeven_config_static_selectorELNS0_4arch9wavefront6targetE1EEEvSI_,"axG",@progbits,_ZN7rocprim17ROCPRIM_400000_NS6detail17trampoline_kernelINS0_14default_configENS1_38merge_sort_block_merge_config_selectorIN3c104HalfElEEZZNS1_27merge_sort_block_merge_implIS3_PS6_N6thrust23THRUST_200600_302600_NS10device_ptrIlEEmNSB_4lessIS6_EEEE10hipError_tT0_T1_T2_jT3_P12ihipStream_tbPNSt15iterator_traitsISH_E10value_typeEPNSN_ISI_E10value_typeEPSJ_NS1_7vsmem_tEENKUlT_SH_SI_SJ_E_clIS9_S9_SD_PlEESG_SW_SH_SI_SJ_EUlSW_E1_NS1_11comp_targetILNS1_3genE4ELNS1_11target_archE910ELNS1_3gpuE8ELNS1_3repE0EEENS1_36merge_oddeven_config_static_selectorELNS0_4arch9wavefront6targetE1EEEvSI_,comdat
	.protected	_ZN7rocprim17ROCPRIM_400000_NS6detail17trampoline_kernelINS0_14default_configENS1_38merge_sort_block_merge_config_selectorIN3c104HalfElEEZZNS1_27merge_sort_block_merge_implIS3_PS6_N6thrust23THRUST_200600_302600_NS10device_ptrIlEEmNSB_4lessIS6_EEEE10hipError_tT0_T1_T2_jT3_P12ihipStream_tbPNSt15iterator_traitsISH_E10value_typeEPNSN_ISI_E10value_typeEPSJ_NS1_7vsmem_tEENKUlT_SH_SI_SJ_E_clIS9_S9_SD_PlEESG_SW_SH_SI_SJ_EUlSW_E1_NS1_11comp_targetILNS1_3genE4ELNS1_11target_archE910ELNS1_3gpuE8ELNS1_3repE0EEENS1_36merge_oddeven_config_static_selectorELNS0_4arch9wavefront6targetE1EEEvSI_ ; -- Begin function _ZN7rocprim17ROCPRIM_400000_NS6detail17trampoline_kernelINS0_14default_configENS1_38merge_sort_block_merge_config_selectorIN3c104HalfElEEZZNS1_27merge_sort_block_merge_implIS3_PS6_N6thrust23THRUST_200600_302600_NS10device_ptrIlEEmNSB_4lessIS6_EEEE10hipError_tT0_T1_T2_jT3_P12ihipStream_tbPNSt15iterator_traitsISH_E10value_typeEPNSN_ISI_E10value_typeEPSJ_NS1_7vsmem_tEENKUlT_SH_SI_SJ_E_clIS9_S9_SD_PlEESG_SW_SH_SI_SJ_EUlSW_E1_NS1_11comp_targetILNS1_3genE4ELNS1_11target_archE910ELNS1_3gpuE8ELNS1_3repE0EEENS1_36merge_oddeven_config_static_selectorELNS0_4arch9wavefront6targetE1EEEvSI_
	.globl	_ZN7rocprim17ROCPRIM_400000_NS6detail17trampoline_kernelINS0_14default_configENS1_38merge_sort_block_merge_config_selectorIN3c104HalfElEEZZNS1_27merge_sort_block_merge_implIS3_PS6_N6thrust23THRUST_200600_302600_NS10device_ptrIlEEmNSB_4lessIS6_EEEE10hipError_tT0_T1_T2_jT3_P12ihipStream_tbPNSt15iterator_traitsISH_E10value_typeEPNSN_ISI_E10value_typeEPSJ_NS1_7vsmem_tEENKUlT_SH_SI_SJ_E_clIS9_S9_SD_PlEESG_SW_SH_SI_SJ_EUlSW_E1_NS1_11comp_targetILNS1_3genE4ELNS1_11target_archE910ELNS1_3gpuE8ELNS1_3repE0EEENS1_36merge_oddeven_config_static_selectorELNS0_4arch9wavefront6targetE1EEEvSI_
	.p2align	8
	.type	_ZN7rocprim17ROCPRIM_400000_NS6detail17trampoline_kernelINS0_14default_configENS1_38merge_sort_block_merge_config_selectorIN3c104HalfElEEZZNS1_27merge_sort_block_merge_implIS3_PS6_N6thrust23THRUST_200600_302600_NS10device_ptrIlEEmNSB_4lessIS6_EEEE10hipError_tT0_T1_T2_jT3_P12ihipStream_tbPNSt15iterator_traitsISH_E10value_typeEPNSN_ISI_E10value_typeEPSJ_NS1_7vsmem_tEENKUlT_SH_SI_SJ_E_clIS9_S9_SD_PlEESG_SW_SH_SI_SJ_EUlSW_E1_NS1_11comp_targetILNS1_3genE4ELNS1_11target_archE910ELNS1_3gpuE8ELNS1_3repE0EEENS1_36merge_oddeven_config_static_selectorELNS0_4arch9wavefront6targetE1EEEvSI_,@function
_ZN7rocprim17ROCPRIM_400000_NS6detail17trampoline_kernelINS0_14default_configENS1_38merge_sort_block_merge_config_selectorIN3c104HalfElEEZZNS1_27merge_sort_block_merge_implIS3_PS6_N6thrust23THRUST_200600_302600_NS10device_ptrIlEEmNSB_4lessIS6_EEEE10hipError_tT0_T1_T2_jT3_P12ihipStream_tbPNSt15iterator_traitsISH_E10value_typeEPNSN_ISI_E10value_typeEPSJ_NS1_7vsmem_tEENKUlT_SH_SI_SJ_E_clIS9_S9_SD_PlEESG_SW_SH_SI_SJ_EUlSW_E1_NS1_11comp_targetILNS1_3genE4ELNS1_11target_archE910ELNS1_3gpuE8ELNS1_3repE0EEENS1_36merge_oddeven_config_static_selectorELNS0_4arch9wavefront6targetE1EEEvSI_: ; @_ZN7rocprim17ROCPRIM_400000_NS6detail17trampoline_kernelINS0_14default_configENS1_38merge_sort_block_merge_config_selectorIN3c104HalfElEEZZNS1_27merge_sort_block_merge_implIS3_PS6_N6thrust23THRUST_200600_302600_NS10device_ptrIlEEmNSB_4lessIS6_EEEE10hipError_tT0_T1_T2_jT3_P12ihipStream_tbPNSt15iterator_traitsISH_E10value_typeEPNSN_ISI_E10value_typeEPSJ_NS1_7vsmem_tEENKUlT_SH_SI_SJ_E_clIS9_S9_SD_PlEESG_SW_SH_SI_SJ_EUlSW_E1_NS1_11comp_targetILNS1_3genE4ELNS1_11target_archE910ELNS1_3gpuE8ELNS1_3repE0EEENS1_36merge_oddeven_config_static_selectorELNS0_4arch9wavefront6targetE1EEEvSI_
; %bb.0:
	.section	.rodata,"a",@progbits
	.p2align	6, 0x0
	.amdhsa_kernel _ZN7rocprim17ROCPRIM_400000_NS6detail17trampoline_kernelINS0_14default_configENS1_38merge_sort_block_merge_config_selectorIN3c104HalfElEEZZNS1_27merge_sort_block_merge_implIS3_PS6_N6thrust23THRUST_200600_302600_NS10device_ptrIlEEmNSB_4lessIS6_EEEE10hipError_tT0_T1_T2_jT3_P12ihipStream_tbPNSt15iterator_traitsISH_E10value_typeEPNSN_ISI_E10value_typeEPSJ_NS1_7vsmem_tEENKUlT_SH_SI_SJ_E_clIS9_S9_SD_PlEESG_SW_SH_SI_SJ_EUlSW_E1_NS1_11comp_targetILNS1_3genE4ELNS1_11target_archE910ELNS1_3gpuE8ELNS1_3repE0EEENS1_36merge_oddeven_config_static_selectorELNS0_4arch9wavefront6targetE1EEEvSI_
		.amdhsa_group_segment_fixed_size 0
		.amdhsa_private_segment_fixed_size 0
		.amdhsa_kernarg_size 56
		.amdhsa_user_sgpr_count 6
		.amdhsa_user_sgpr_private_segment_buffer 1
		.amdhsa_user_sgpr_dispatch_ptr 0
		.amdhsa_user_sgpr_queue_ptr 0
		.amdhsa_user_sgpr_kernarg_segment_ptr 1
		.amdhsa_user_sgpr_dispatch_id 0
		.amdhsa_user_sgpr_flat_scratch_init 0
		.amdhsa_user_sgpr_private_segment_size 0
		.amdhsa_uses_dynamic_stack 0
		.amdhsa_system_sgpr_private_segment_wavefront_offset 0
		.amdhsa_system_sgpr_workgroup_id_x 1
		.amdhsa_system_sgpr_workgroup_id_y 0
		.amdhsa_system_sgpr_workgroup_id_z 0
		.amdhsa_system_sgpr_workgroup_info 0
		.amdhsa_system_vgpr_workitem_id 0
		.amdhsa_next_free_vgpr 1
		.amdhsa_next_free_sgpr 0
		.amdhsa_reserve_vcc 0
		.amdhsa_reserve_flat_scratch 0
		.amdhsa_float_round_mode_32 0
		.amdhsa_float_round_mode_16_64 0
		.amdhsa_float_denorm_mode_32 3
		.amdhsa_float_denorm_mode_16_64 3
		.amdhsa_dx10_clamp 1
		.amdhsa_ieee_mode 1
		.amdhsa_fp16_overflow 0
		.amdhsa_exception_fp_ieee_invalid_op 0
		.amdhsa_exception_fp_denorm_src 0
		.amdhsa_exception_fp_ieee_div_zero 0
		.amdhsa_exception_fp_ieee_overflow 0
		.amdhsa_exception_fp_ieee_underflow 0
		.amdhsa_exception_fp_ieee_inexact 0
		.amdhsa_exception_int_div_zero 0
	.end_amdhsa_kernel
	.section	.text._ZN7rocprim17ROCPRIM_400000_NS6detail17trampoline_kernelINS0_14default_configENS1_38merge_sort_block_merge_config_selectorIN3c104HalfElEEZZNS1_27merge_sort_block_merge_implIS3_PS6_N6thrust23THRUST_200600_302600_NS10device_ptrIlEEmNSB_4lessIS6_EEEE10hipError_tT0_T1_T2_jT3_P12ihipStream_tbPNSt15iterator_traitsISH_E10value_typeEPNSN_ISI_E10value_typeEPSJ_NS1_7vsmem_tEENKUlT_SH_SI_SJ_E_clIS9_S9_SD_PlEESG_SW_SH_SI_SJ_EUlSW_E1_NS1_11comp_targetILNS1_3genE4ELNS1_11target_archE910ELNS1_3gpuE8ELNS1_3repE0EEENS1_36merge_oddeven_config_static_selectorELNS0_4arch9wavefront6targetE1EEEvSI_,"axG",@progbits,_ZN7rocprim17ROCPRIM_400000_NS6detail17trampoline_kernelINS0_14default_configENS1_38merge_sort_block_merge_config_selectorIN3c104HalfElEEZZNS1_27merge_sort_block_merge_implIS3_PS6_N6thrust23THRUST_200600_302600_NS10device_ptrIlEEmNSB_4lessIS6_EEEE10hipError_tT0_T1_T2_jT3_P12ihipStream_tbPNSt15iterator_traitsISH_E10value_typeEPNSN_ISI_E10value_typeEPSJ_NS1_7vsmem_tEENKUlT_SH_SI_SJ_E_clIS9_S9_SD_PlEESG_SW_SH_SI_SJ_EUlSW_E1_NS1_11comp_targetILNS1_3genE4ELNS1_11target_archE910ELNS1_3gpuE8ELNS1_3repE0EEENS1_36merge_oddeven_config_static_selectorELNS0_4arch9wavefront6targetE1EEEvSI_,comdat
.Lfunc_end2167:
	.size	_ZN7rocprim17ROCPRIM_400000_NS6detail17trampoline_kernelINS0_14default_configENS1_38merge_sort_block_merge_config_selectorIN3c104HalfElEEZZNS1_27merge_sort_block_merge_implIS3_PS6_N6thrust23THRUST_200600_302600_NS10device_ptrIlEEmNSB_4lessIS6_EEEE10hipError_tT0_T1_T2_jT3_P12ihipStream_tbPNSt15iterator_traitsISH_E10value_typeEPNSN_ISI_E10value_typeEPSJ_NS1_7vsmem_tEENKUlT_SH_SI_SJ_E_clIS9_S9_SD_PlEESG_SW_SH_SI_SJ_EUlSW_E1_NS1_11comp_targetILNS1_3genE4ELNS1_11target_archE910ELNS1_3gpuE8ELNS1_3repE0EEENS1_36merge_oddeven_config_static_selectorELNS0_4arch9wavefront6targetE1EEEvSI_, .Lfunc_end2167-_ZN7rocprim17ROCPRIM_400000_NS6detail17trampoline_kernelINS0_14default_configENS1_38merge_sort_block_merge_config_selectorIN3c104HalfElEEZZNS1_27merge_sort_block_merge_implIS3_PS6_N6thrust23THRUST_200600_302600_NS10device_ptrIlEEmNSB_4lessIS6_EEEE10hipError_tT0_T1_T2_jT3_P12ihipStream_tbPNSt15iterator_traitsISH_E10value_typeEPNSN_ISI_E10value_typeEPSJ_NS1_7vsmem_tEENKUlT_SH_SI_SJ_E_clIS9_S9_SD_PlEESG_SW_SH_SI_SJ_EUlSW_E1_NS1_11comp_targetILNS1_3genE4ELNS1_11target_archE910ELNS1_3gpuE8ELNS1_3repE0EEENS1_36merge_oddeven_config_static_selectorELNS0_4arch9wavefront6targetE1EEEvSI_
                                        ; -- End function
	.set _ZN7rocprim17ROCPRIM_400000_NS6detail17trampoline_kernelINS0_14default_configENS1_38merge_sort_block_merge_config_selectorIN3c104HalfElEEZZNS1_27merge_sort_block_merge_implIS3_PS6_N6thrust23THRUST_200600_302600_NS10device_ptrIlEEmNSB_4lessIS6_EEEE10hipError_tT0_T1_T2_jT3_P12ihipStream_tbPNSt15iterator_traitsISH_E10value_typeEPNSN_ISI_E10value_typeEPSJ_NS1_7vsmem_tEENKUlT_SH_SI_SJ_E_clIS9_S9_SD_PlEESG_SW_SH_SI_SJ_EUlSW_E1_NS1_11comp_targetILNS1_3genE4ELNS1_11target_archE910ELNS1_3gpuE8ELNS1_3repE0EEENS1_36merge_oddeven_config_static_selectorELNS0_4arch9wavefront6targetE1EEEvSI_.num_vgpr, 0
	.set _ZN7rocprim17ROCPRIM_400000_NS6detail17trampoline_kernelINS0_14default_configENS1_38merge_sort_block_merge_config_selectorIN3c104HalfElEEZZNS1_27merge_sort_block_merge_implIS3_PS6_N6thrust23THRUST_200600_302600_NS10device_ptrIlEEmNSB_4lessIS6_EEEE10hipError_tT0_T1_T2_jT3_P12ihipStream_tbPNSt15iterator_traitsISH_E10value_typeEPNSN_ISI_E10value_typeEPSJ_NS1_7vsmem_tEENKUlT_SH_SI_SJ_E_clIS9_S9_SD_PlEESG_SW_SH_SI_SJ_EUlSW_E1_NS1_11comp_targetILNS1_3genE4ELNS1_11target_archE910ELNS1_3gpuE8ELNS1_3repE0EEENS1_36merge_oddeven_config_static_selectorELNS0_4arch9wavefront6targetE1EEEvSI_.num_agpr, 0
	.set _ZN7rocprim17ROCPRIM_400000_NS6detail17trampoline_kernelINS0_14default_configENS1_38merge_sort_block_merge_config_selectorIN3c104HalfElEEZZNS1_27merge_sort_block_merge_implIS3_PS6_N6thrust23THRUST_200600_302600_NS10device_ptrIlEEmNSB_4lessIS6_EEEE10hipError_tT0_T1_T2_jT3_P12ihipStream_tbPNSt15iterator_traitsISH_E10value_typeEPNSN_ISI_E10value_typeEPSJ_NS1_7vsmem_tEENKUlT_SH_SI_SJ_E_clIS9_S9_SD_PlEESG_SW_SH_SI_SJ_EUlSW_E1_NS1_11comp_targetILNS1_3genE4ELNS1_11target_archE910ELNS1_3gpuE8ELNS1_3repE0EEENS1_36merge_oddeven_config_static_selectorELNS0_4arch9wavefront6targetE1EEEvSI_.numbered_sgpr, 0
	.set _ZN7rocprim17ROCPRIM_400000_NS6detail17trampoline_kernelINS0_14default_configENS1_38merge_sort_block_merge_config_selectorIN3c104HalfElEEZZNS1_27merge_sort_block_merge_implIS3_PS6_N6thrust23THRUST_200600_302600_NS10device_ptrIlEEmNSB_4lessIS6_EEEE10hipError_tT0_T1_T2_jT3_P12ihipStream_tbPNSt15iterator_traitsISH_E10value_typeEPNSN_ISI_E10value_typeEPSJ_NS1_7vsmem_tEENKUlT_SH_SI_SJ_E_clIS9_S9_SD_PlEESG_SW_SH_SI_SJ_EUlSW_E1_NS1_11comp_targetILNS1_3genE4ELNS1_11target_archE910ELNS1_3gpuE8ELNS1_3repE0EEENS1_36merge_oddeven_config_static_selectorELNS0_4arch9wavefront6targetE1EEEvSI_.num_named_barrier, 0
	.set _ZN7rocprim17ROCPRIM_400000_NS6detail17trampoline_kernelINS0_14default_configENS1_38merge_sort_block_merge_config_selectorIN3c104HalfElEEZZNS1_27merge_sort_block_merge_implIS3_PS6_N6thrust23THRUST_200600_302600_NS10device_ptrIlEEmNSB_4lessIS6_EEEE10hipError_tT0_T1_T2_jT3_P12ihipStream_tbPNSt15iterator_traitsISH_E10value_typeEPNSN_ISI_E10value_typeEPSJ_NS1_7vsmem_tEENKUlT_SH_SI_SJ_E_clIS9_S9_SD_PlEESG_SW_SH_SI_SJ_EUlSW_E1_NS1_11comp_targetILNS1_3genE4ELNS1_11target_archE910ELNS1_3gpuE8ELNS1_3repE0EEENS1_36merge_oddeven_config_static_selectorELNS0_4arch9wavefront6targetE1EEEvSI_.private_seg_size, 0
	.set _ZN7rocprim17ROCPRIM_400000_NS6detail17trampoline_kernelINS0_14default_configENS1_38merge_sort_block_merge_config_selectorIN3c104HalfElEEZZNS1_27merge_sort_block_merge_implIS3_PS6_N6thrust23THRUST_200600_302600_NS10device_ptrIlEEmNSB_4lessIS6_EEEE10hipError_tT0_T1_T2_jT3_P12ihipStream_tbPNSt15iterator_traitsISH_E10value_typeEPNSN_ISI_E10value_typeEPSJ_NS1_7vsmem_tEENKUlT_SH_SI_SJ_E_clIS9_S9_SD_PlEESG_SW_SH_SI_SJ_EUlSW_E1_NS1_11comp_targetILNS1_3genE4ELNS1_11target_archE910ELNS1_3gpuE8ELNS1_3repE0EEENS1_36merge_oddeven_config_static_selectorELNS0_4arch9wavefront6targetE1EEEvSI_.uses_vcc, 0
	.set _ZN7rocprim17ROCPRIM_400000_NS6detail17trampoline_kernelINS0_14default_configENS1_38merge_sort_block_merge_config_selectorIN3c104HalfElEEZZNS1_27merge_sort_block_merge_implIS3_PS6_N6thrust23THRUST_200600_302600_NS10device_ptrIlEEmNSB_4lessIS6_EEEE10hipError_tT0_T1_T2_jT3_P12ihipStream_tbPNSt15iterator_traitsISH_E10value_typeEPNSN_ISI_E10value_typeEPSJ_NS1_7vsmem_tEENKUlT_SH_SI_SJ_E_clIS9_S9_SD_PlEESG_SW_SH_SI_SJ_EUlSW_E1_NS1_11comp_targetILNS1_3genE4ELNS1_11target_archE910ELNS1_3gpuE8ELNS1_3repE0EEENS1_36merge_oddeven_config_static_selectorELNS0_4arch9wavefront6targetE1EEEvSI_.uses_flat_scratch, 0
	.set _ZN7rocprim17ROCPRIM_400000_NS6detail17trampoline_kernelINS0_14default_configENS1_38merge_sort_block_merge_config_selectorIN3c104HalfElEEZZNS1_27merge_sort_block_merge_implIS3_PS6_N6thrust23THRUST_200600_302600_NS10device_ptrIlEEmNSB_4lessIS6_EEEE10hipError_tT0_T1_T2_jT3_P12ihipStream_tbPNSt15iterator_traitsISH_E10value_typeEPNSN_ISI_E10value_typeEPSJ_NS1_7vsmem_tEENKUlT_SH_SI_SJ_E_clIS9_S9_SD_PlEESG_SW_SH_SI_SJ_EUlSW_E1_NS1_11comp_targetILNS1_3genE4ELNS1_11target_archE910ELNS1_3gpuE8ELNS1_3repE0EEENS1_36merge_oddeven_config_static_selectorELNS0_4arch9wavefront6targetE1EEEvSI_.has_dyn_sized_stack, 0
	.set _ZN7rocprim17ROCPRIM_400000_NS6detail17trampoline_kernelINS0_14default_configENS1_38merge_sort_block_merge_config_selectorIN3c104HalfElEEZZNS1_27merge_sort_block_merge_implIS3_PS6_N6thrust23THRUST_200600_302600_NS10device_ptrIlEEmNSB_4lessIS6_EEEE10hipError_tT0_T1_T2_jT3_P12ihipStream_tbPNSt15iterator_traitsISH_E10value_typeEPNSN_ISI_E10value_typeEPSJ_NS1_7vsmem_tEENKUlT_SH_SI_SJ_E_clIS9_S9_SD_PlEESG_SW_SH_SI_SJ_EUlSW_E1_NS1_11comp_targetILNS1_3genE4ELNS1_11target_archE910ELNS1_3gpuE8ELNS1_3repE0EEENS1_36merge_oddeven_config_static_selectorELNS0_4arch9wavefront6targetE1EEEvSI_.has_recursion, 0
	.set _ZN7rocprim17ROCPRIM_400000_NS6detail17trampoline_kernelINS0_14default_configENS1_38merge_sort_block_merge_config_selectorIN3c104HalfElEEZZNS1_27merge_sort_block_merge_implIS3_PS6_N6thrust23THRUST_200600_302600_NS10device_ptrIlEEmNSB_4lessIS6_EEEE10hipError_tT0_T1_T2_jT3_P12ihipStream_tbPNSt15iterator_traitsISH_E10value_typeEPNSN_ISI_E10value_typeEPSJ_NS1_7vsmem_tEENKUlT_SH_SI_SJ_E_clIS9_S9_SD_PlEESG_SW_SH_SI_SJ_EUlSW_E1_NS1_11comp_targetILNS1_3genE4ELNS1_11target_archE910ELNS1_3gpuE8ELNS1_3repE0EEENS1_36merge_oddeven_config_static_selectorELNS0_4arch9wavefront6targetE1EEEvSI_.has_indirect_call, 0
	.section	.AMDGPU.csdata,"",@progbits
; Kernel info:
; codeLenInByte = 0
; TotalNumSgprs: 4
; NumVgprs: 0
; ScratchSize: 0
; MemoryBound: 0
; FloatMode: 240
; IeeeMode: 1
; LDSByteSize: 0 bytes/workgroup (compile time only)
; SGPRBlocks: 0
; VGPRBlocks: 0
; NumSGPRsForWavesPerEU: 4
; NumVGPRsForWavesPerEU: 1
; Occupancy: 10
; WaveLimiterHint : 0
; COMPUTE_PGM_RSRC2:SCRATCH_EN: 0
; COMPUTE_PGM_RSRC2:USER_SGPR: 6
; COMPUTE_PGM_RSRC2:TRAP_HANDLER: 0
; COMPUTE_PGM_RSRC2:TGID_X_EN: 1
; COMPUTE_PGM_RSRC2:TGID_Y_EN: 0
; COMPUTE_PGM_RSRC2:TGID_Z_EN: 0
; COMPUTE_PGM_RSRC2:TIDIG_COMP_CNT: 0
	.section	.text._ZN7rocprim17ROCPRIM_400000_NS6detail17trampoline_kernelINS0_14default_configENS1_38merge_sort_block_merge_config_selectorIN3c104HalfElEEZZNS1_27merge_sort_block_merge_implIS3_PS6_N6thrust23THRUST_200600_302600_NS10device_ptrIlEEmNSB_4lessIS6_EEEE10hipError_tT0_T1_T2_jT3_P12ihipStream_tbPNSt15iterator_traitsISH_E10value_typeEPNSN_ISI_E10value_typeEPSJ_NS1_7vsmem_tEENKUlT_SH_SI_SJ_E_clIS9_S9_SD_PlEESG_SW_SH_SI_SJ_EUlSW_E1_NS1_11comp_targetILNS1_3genE3ELNS1_11target_archE908ELNS1_3gpuE7ELNS1_3repE0EEENS1_36merge_oddeven_config_static_selectorELNS0_4arch9wavefront6targetE1EEEvSI_,"axG",@progbits,_ZN7rocprim17ROCPRIM_400000_NS6detail17trampoline_kernelINS0_14default_configENS1_38merge_sort_block_merge_config_selectorIN3c104HalfElEEZZNS1_27merge_sort_block_merge_implIS3_PS6_N6thrust23THRUST_200600_302600_NS10device_ptrIlEEmNSB_4lessIS6_EEEE10hipError_tT0_T1_T2_jT3_P12ihipStream_tbPNSt15iterator_traitsISH_E10value_typeEPNSN_ISI_E10value_typeEPSJ_NS1_7vsmem_tEENKUlT_SH_SI_SJ_E_clIS9_S9_SD_PlEESG_SW_SH_SI_SJ_EUlSW_E1_NS1_11comp_targetILNS1_3genE3ELNS1_11target_archE908ELNS1_3gpuE7ELNS1_3repE0EEENS1_36merge_oddeven_config_static_selectorELNS0_4arch9wavefront6targetE1EEEvSI_,comdat
	.protected	_ZN7rocprim17ROCPRIM_400000_NS6detail17trampoline_kernelINS0_14default_configENS1_38merge_sort_block_merge_config_selectorIN3c104HalfElEEZZNS1_27merge_sort_block_merge_implIS3_PS6_N6thrust23THRUST_200600_302600_NS10device_ptrIlEEmNSB_4lessIS6_EEEE10hipError_tT0_T1_T2_jT3_P12ihipStream_tbPNSt15iterator_traitsISH_E10value_typeEPNSN_ISI_E10value_typeEPSJ_NS1_7vsmem_tEENKUlT_SH_SI_SJ_E_clIS9_S9_SD_PlEESG_SW_SH_SI_SJ_EUlSW_E1_NS1_11comp_targetILNS1_3genE3ELNS1_11target_archE908ELNS1_3gpuE7ELNS1_3repE0EEENS1_36merge_oddeven_config_static_selectorELNS0_4arch9wavefront6targetE1EEEvSI_ ; -- Begin function _ZN7rocprim17ROCPRIM_400000_NS6detail17trampoline_kernelINS0_14default_configENS1_38merge_sort_block_merge_config_selectorIN3c104HalfElEEZZNS1_27merge_sort_block_merge_implIS3_PS6_N6thrust23THRUST_200600_302600_NS10device_ptrIlEEmNSB_4lessIS6_EEEE10hipError_tT0_T1_T2_jT3_P12ihipStream_tbPNSt15iterator_traitsISH_E10value_typeEPNSN_ISI_E10value_typeEPSJ_NS1_7vsmem_tEENKUlT_SH_SI_SJ_E_clIS9_S9_SD_PlEESG_SW_SH_SI_SJ_EUlSW_E1_NS1_11comp_targetILNS1_3genE3ELNS1_11target_archE908ELNS1_3gpuE7ELNS1_3repE0EEENS1_36merge_oddeven_config_static_selectorELNS0_4arch9wavefront6targetE1EEEvSI_
	.globl	_ZN7rocprim17ROCPRIM_400000_NS6detail17trampoline_kernelINS0_14default_configENS1_38merge_sort_block_merge_config_selectorIN3c104HalfElEEZZNS1_27merge_sort_block_merge_implIS3_PS6_N6thrust23THRUST_200600_302600_NS10device_ptrIlEEmNSB_4lessIS6_EEEE10hipError_tT0_T1_T2_jT3_P12ihipStream_tbPNSt15iterator_traitsISH_E10value_typeEPNSN_ISI_E10value_typeEPSJ_NS1_7vsmem_tEENKUlT_SH_SI_SJ_E_clIS9_S9_SD_PlEESG_SW_SH_SI_SJ_EUlSW_E1_NS1_11comp_targetILNS1_3genE3ELNS1_11target_archE908ELNS1_3gpuE7ELNS1_3repE0EEENS1_36merge_oddeven_config_static_selectorELNS0_4arch9wavefront6targetE1EEEvSI_
	.p2align	8
	.type	_ZN7rocprim17ROCPRIM_400000_NS6detail17trampoline_kernelINS0_14default_configENS1_38merge_sort_block_merge_config_selectorIN3c104HalfElEEZZNS1_27merge_sort_block_merge_implIS3_PS6_N6thrust23THRUST_200600_302600_NS10device_ptrIlEEmNSB_4lessIS6_EEEE10hipError_tT0_T1_T2_jT3_P12ihipStream_tbPNSt15iterator_traitsISH_E10value_typeEPNSN_ISI_E10value_typeEPSJ_NS1_7vsmem_tEENKUlT_SH_SI_SJ_E_clIS9_S9_SD_PlEESG_SW_SH_SI_SJ_EUlSW_E1_NS1_11comp_targetILNS1_3genE3ELNS1_11target_archE908ELNS1_3gpuE7ELNS1_3repE0EEENS1_36merge_oddeven_config_static_selectorELNS0_4arch9wavefront6targetE1EEEvSI_,@function
_ZN7rocprim17ROCPRIM_400000_NS6detail17trampoline_kernelINS0_14default_configENS1_38merge_sort_block_merge_config_selectorIN3c104HalfElEEZZNS1_27merge_sort_block_merge_implIS3_PS6_N6thrust23THRUST_200600_302600_NS10device_ptrIlEEmNSB_4lessIS6_EEEE10hipError_tT0_T1_T2_jT3_P12ihipStream_tbPNSt15iterator_traitsISH_E10value_typeEPNSN_ISI_E10value_typeEPSJ_NS1_7vsmem_tEENKUlT_SH_SI_SJ_E_clIS9_S9_SD_PlEESG_SW_SH_SI_SJ_EUlSW_E1_NS1_11comp_targetILNS1_3genE3ELNS1_11target_archE908ELNS1_3gpuE7ELNS1_3repE0EEENS1_36merge_oddeven_config_static_selectorELNS0_4arch9wavefront6targetE1EEEvSI_: ; @_ZN7rocprim17ROCPRIM_400000_NS6detail17trampoline_kernelINS0_14default_configENS1_38merge_sort_block_merge_config_selectorIN3c104HalfElEEZZNS1_27merge_sort_block_merge_implIS3_PS6_N6thrust23THRUST_200600_302600_NS10device_ptrIlEEmNSB_4lessIS6_EEEE10hipError_tT0_T1_T2_jT3_P12ihipStream_tbPNSt15iterator_traitsISH_E10value_typeEPNSN_ISI_E10value_typeEPSJ_NS1_7vsmem_tEENKUlT_SH_SI_SJ_E_clIS9_S9_SD_PlEESG_SW_SH_SI_SJ_EUlSW_E1_NS1_11comp_targetILNS1_3genE3ELNS1_11target_archE908ELNS1_3gpuE7ELNS1_3repE0EEENS1_36merge_oddeven_config_static_selectorELNS0_4arch9wavefront6targetE1EEEvSI_
; %bb.0:
	.section	.rodata,"a",@progbits
	.p2align	6, 0x0
	.amdhsa_kernel _ZN7rocprim17ROCPRIM_400000_NS6detail17trampoline_kernelINS0_14default_configENS1_38merge_sort_block_merge_config_selectorIN3c104HalfElEEZZNS1_27merge_sort_block_merge_implIS3_PS6_N6thrust23THRUST_200600_302600_NS10device_ptrIlEEmNSB_4lessIS6_EEEE10hipError_tT0_T1_T2_jT3_P12ihipStream_tbPNSt15iterator_traitsISH_E10value_typeEPNSN_ISI_E10value_typeEPSJ_NS1_7vsmem_tEENKUlT_SH_SI_SJ_E_clIS9_S9_SD_PlEESG_SW_SH_SI_SJ_EUlSW_E1_NS1_11comp_targetILNS1_3genE3ELNS1_11target_archE908ELNS1_3gpuE7ELNS1_3repE0EEENS1_36merge_oddeven_config_static_selectorELNS0_4arch9wavefront6targetE1EEEvSI_
		.amdhsa_group_segment_fixed_size 0
		.amdhsa_private_segment_fixed_size 0
		.amdhsa_kernarg_size 56
		.amdhsa_user_sgpr_count 6
		.amdhsa_user_sgpr_private_segment_buffer 1
		.amdhsa_user_sgpr_dispatch_ptr 0
		.amdhsa_user_sgpr_queue_ptr 0
		.amdhsa_user_sgpr_kernarg_segment_ptr 1
		.amdhsa_user_sgpr_dispatch_id 0
		.amdhsa_user_sgpr_flat_scratch_init 0
		.amdhsa_user_sgpr_private_segment_size 0
		.amdhsa_uses_dynamic_stack 0
		.amdhsa_system_sgpr_private_segment_wavefront_offset 0
		.amdhsa_system_sgpr_workgroup_id_x 1
		.amdhsa_system_sgpr_workgroup_id_y 0
		.amdhsa_system_sgpr_workgroup_id_z 0
		.amdhsa_system_sgpr_workgroup_info 0
		.amdhsa_system_vgpr_workitem_id 0
		.amdhsa_next_free_vgpr 1
		.amdhsa_next_free_sgpr 0
		.amdhsa_reserve_vcc 0
		.amdhsa_reserve_flat_scratch 0
		.amdhsa_float_round_mode_32 0
		.amdhsa_float_round_mode_16_64 0
		.amdhsa_float_denorm_mode_32 3
		.amdhsa_float_denorm_mode_16_64 3
		.amdhsa_dx10_clamp 1
		.amdhsa_ieee_mode 1
		.amdhsa_fp16_overflow 0
		.amdhsa_exception_fp_ieee_invalid_op 0
		.amdhsa_exception_fp_denorm_src 0
		.amdhsa_exception_fp_ieee_div_zero 0
		.amdhsa_exception_fp_ieee_overflow 0
		.amdhsa_exception_fp_ieee_underflow 0
		.amdhsa_exception_fp_ieee_inexact 0
		.amdhsa_exception_int_div_zero 0
	.end_amdhsa_kernel
	.section	.text._ZN7rocprim17ROCPRIM_400000_NS6detail17trampoline_kernelINS0_14default_configENS1_38merge_sort_block_merge_config_selectorIN3c104HalfElEEZZNS1_27merge_sort_block_merge_implIS3_PS6_N6thrust23THRUST_200600_302600_NS10device_ptrIlEEmNSB_4lessIS6_EEEE10hipError_tT0_T1_T2_jT3_P12ihipStream_tbPNSt15iterator_traitsISH_E10value_typeEPNSN_ISI_E10value_typeEPSJ_NS1_7vsmem_tEENKUlT_SH_SI_SJ_E_clIS9_S9_SD_PlEESG_SW_SH_SI_SJ_EUlSW_E1_NS1_11comp_targetILNS1_3genE3ELNS1_11target_archE908ELNS1_3gpuE7ELNS1_3repE0EEENS1_36merge_oddeven_config_static_selectorELNS0_4arch9wavefront6targetE1EEEvSI_,"axG",@progbits,_ZN7rocprim17ROCPRIM_400000_NS6detail17trampoline_kernelINS0_14default_configENS1_38merge_sort_block_merge_config_selectorIN3c104HalfElEEZZNS1_27merge_sort_block_merge_implIS3_PS6_N6thrust23THRUST_200600_302600_NS10device_ptrIlEEmNSB_4lessIS6_EEEE10hipError_tT0_T1_T2_jT3_P12ihipStream_tbPNSt15iterator_traitsISH_E10value_typeEPNSN_ISI_E10value_typeEPSJ_NS1_7vsmem_tEENKUlT_SH_SI_SJ_E_clIS9_S9_SD_PlEESG_SW_SH_SI_SJ_EUlSW_E1_NS1_11comp_targetILNS1_3genE3ELNS1_11target_archE908ELNS1_3gpuE7ELNS1_3repE0EEENS1_36merge_oddeven_config_static_selectorELNS0_4arch9wavefront6targetE1EEEvSI_,comdat
.Lfunc_end2168:
	.size	_ZN7rocprim17ROCPRIM_400000_NS6detail17trampoline_kernelINS0_14default_configENS1_38merge_sort_block_merge_config_selectorIN3c104HalfElEEZZNS1_27merge_sort_block_merge_implIS3_PS6_N6thrust23THRUST_200600_302600_NS10device_ptrIlEEmNSB_4lessIS6_EEEE10hipError_tT0_T1_T2_jT3_P12ihipStream_tbPNSt15iterator_traitsISH_E10value_typeEPNSN_ISI_E10value_typeEPSJ_NS1_7vsmem_tEENKUlT_SH_SI_SJ_E_clIS9_S9_SD_PlEESG_SW_SH_SI_SJ_EUlSW_E1_NS1_11comp_targetILNS1_3genE3ELNS1_11target_archE908ELNS1_3gpuE7ELNS1_3repE0EEENS1_36merge_oddeven_config_static_selectorELNS0_4arch9wavefront6targetE1EEEvSI_, .Lfunc_end2168-_ZN7rocprim17ROCPRIM_400000_NS6detail17trampoline_kernelINS0_14default_configENS1_38merge_sort_block_merge_config_selectorIN3c104HalfElEEZZNS1_27merge_sort_block_merge_implIS3_PS6_N6thrust23THRUST_200600_302600_NS10device_ptrIlEEmNSB_4lessIS6_EEEE10hipError_tT0_T1_T2_jT3_P12ihipStream_tbPNSt15iterator_traitsISH_E10value_typeEPNSN_ISI_E10value_typeEPSJ_NS1_7vsmem_tEENKUlT_SH_SI_SJ_E_clIS9_S9_SD_PlEESG_SW_SH_SI_SJ_EUlSW_E1_NS1_11comp_targetILNS1_3genE3ELNS1_11target_archE908ELNS1_3gpuE7ELNS1_3repE0EEENS1_36merge_oddeven_config_static_selectorELNS0_4arch9wavefront6targetE1EEEvSI_
                                        ; -- End function
	.set _ZN7rocprim17ROCPRIM_400000_NS6detail17trampoline_kernelINS0_14default_configENS1_38merge_sort_block_merge_config_selectorIN3c104HalfElEEZZNS1_27merge_sort_block_merge_implIS3_PS6_N6thrust23THRUST_200600_302600_NS10device_ptrIlEEmNSB_4lessIS6_EEEE10hipError_tT0_T1_T2_jT3_P12ihipStream_tbPNSt15iterator_traitsISH_E10value_typeEPNSN_ISI_E10value_typeEPSJ_NS1_7vsmem_tEENKUlT_SH_SI_SJ_E_clIS9_S9_SD_PlEESG_SW_SH_SI_SJ_EUlSW_E1_NS1_11comp_targetILNS1_3genE3ELNS1_11target_archE908ELNS1_3gpuE7ELNS1_3repE0EEENS1_36merge_oddeven_config_static_selectorELNS0_4arch9wavefront6targetE1EEEvSI_.num_vgpr, 0
	.set _ZN7rocprim17ROCPRIM_400000_NS6detail17trampoline_kernelINS0_14default_configENS1_38merge_sort_block_merge_config_selectorIN3c104HalfElEEZZNS1_27merge_sort_block_merge_implIS3_PS6_N6thrust23THRUST_200600_302600_NS10device_ptrIlEEmNSB_4lessIS6_EEEE10hipError_tT0_T1_T2_jT3_P12ihipStream_tbPNSt15iterator_traitsISH_E10value_typeEPNSN_ISI_E10value_typeEPSJ_NS1_7vsmem_tEENKUlT_SH_SI_SJ_E_clIS9_S9_SD_PlEESG_SW_SH_SI_SJ_EUlSW_E1_NS1_11comp_targetILNS1_3genE3ELNS1_11target_archE908ELNS1_3gpuE7ELNS1_3repE0EEENS1_36merge_oddeven_config_static_selectorELNS0_4arch9wavefront6targetE1EEEvSI_.num_agpr, 0
	.set _ZN7rocprim17ROCPRIM_400000_NS6detail17trampoline_kernelINS0_14default_configENS1_38merge_sort_block_merge_config_selectorIN3c104HalfElEEZZNS1_27merge_sort_block_merge_implIS3_PS6_N6thrust23THRUST_200600_302600_NS10device_ptrIlEEmNSB_4lessIS6_EEEE10hipError_tT0_T1_T2_jT3_P12ihipStream_tbPNSt15iterator_traitsISH_E10value_typeEPNSN_ISI_E10value_typeEPSJ_NS1_7vsmem_tEENKUlT_SH_SI_SJ_E_clIS9_S9_SD_PlEESG_SW_SH_SI_SJ_EUlSW_E1_NS1_11comp_targetILNS1_3genE3ELNS1_11target_archE908ELNS1_3gpuE7ELNS1_3repE0EEENS1_36merge_oddeven_config_static_selectorELNS0_4arch9wavefront6targetE1EEEvSI_.numbered_sgpr, 0
	.set _ZN7rocprim17ROCPRIM_400000_NS6detail17trampoline_kernelINS0_14default_configENS1_38merge_sort_block_merge_config_selectorIN3c104HalfElEEZZNS1_27merge_sort_block_merge_implIS3_PS6_N6thrust23THRUST_200600_302600_NS10device_ptrIlEEmNSB_4lessIS6_EEEE10hipError_tT0_T1_T2_jT3_P12ihipStream_tbPNSt15iterator_traitsISH_E10value_typeEPNSN_ISI_E10value_typeEPSJ_NS1_7vsmem_tEENKUlT_SH_SI_SJ_E_clIS9_S9_SD_PlEESG_SW_SH_SI_SJ_EUlSW_E1_NS1_11comp_targetILNS1_3genE3ELNS1_11target_archE908ELNS1_3gpuE7ELNS1_3repE0EEENS1_36merge_oddeven_config_static_selectorELNS0_4arch9wavefront6targetE1EEEvSI_.num_named_barrier, 0
	.set _ZN7rocprim17ROCPRIM_400000_NS6detail17trampoline_kernelINS0_14default_configENS1_38merge_sort_block_merge_config_selectorIN3c104HalfElEEZZNS1_27merge_sort_block_merge_implIS3_PS6_N6thrust23THRUST_200600_302600_NS10device_ptrIlEEmNSB_4lessIS6_EEEE10hipError_tT0_T1_T2_jT3_P12ihipStream_tbPNSt15iterator_traitsISH_E10value_typeEPNSN_ISI_E10value_typeEPSJ_NS1_7vsmem_tEENKUlT_SH_SI_SJ_E_clIS9_S9_SD_PlEESG_SW_SH_SI_SJ_EUlSW_E1_NS1_11comp_targetILNS1_3genE3ELNS1_11target_archE908ELNS1_3gpuE7ELNS1_3repE0EEENS1_36merge_oddeven_config_static_selectorELNS0_4arch9wavefront6targetE1EEEvSI_.private_seg_size, 0
	.set _ZN7rocprim17ROCPRIM_400000_NS6detail17trampoline_kernelINS0_14default_configENS1_38merge_sort_block_merge_config_selectorIN3c104HalfElEEZZNS1_27merge_sort_block_merge_implIS3_PS6_N6thrust23THRUST_200600_302600_NS10device_ptrIlEEmNSB_4lessIS6_EEEE10hipError_tT0_T1_T2_jT3_P12ihipStream_tbPNSt15iterator_traitsISH_E10value_typeEPNSN_ISI_E10value_typeEPSJ_NS1_7vsmem_tEENKUlT_SH_SI_SJ_E_clIS9_S9_SD_PlEESG_SW_SH_SI_SJ_EUlSW_E1_NS1_11comp_targetILNS1_3genE3ELNS1_11target_archE908ELNS1_3gpuE7ELNS1_3repE0EEENS1_36merge_oddeven_config_static_selectorELNS0_4arch9wavefront6targetE1EEEvSI_.uses_vcc, 0
	.set _ZN7rocprim17ROCPRIM_400000_NS6detail17trampoline_kernelINS0_14default_configENS1_38merge_sort_block_merge_config_selectorIN3c104HalfElEEZZNS1_27merge_sort_block_merge_implIS3_PS6_N6thrust23THRUST_200600_302600_NS10device_ptrIlEEmNSB_4lessIS6_EEEE10hipError_tT0_T1_T2_jT3_P12ihipStream_tbPNSt15iterator_traitsISH_E10value_typeEPNSN_ISI_E10value_typeEPSJ_NS1_7vsmem_tEENKUlT_SH_SI_SJ_E_clIS9_S9_SD_PlEESG_SW_SH_SI_SJ_EUlSW_E1_NS1_11comp_targetILNS1_3genE3ELNS1_11target_archE908ELNS1_3gpuE7ELNS1_3repE0EEENS1_36merge_oddeven_config_static_selectorELNS0_4arch9wavefront6targetE1EEEvSI_.uses_flat_scratch, 0
	.set _ZN7rocprim17ROCPRIM_400000_NS6detail17trampoline_kernelINS0_14default_configENS1_38merge_sort_block_merge_config_selectorIN3c104HalfElEEZZNS1_27merge_sort_block_merge_implIS3_PS6_N6thrust23THRUST_200600_302600_NS10device_ptrIlEEmNSB_4lessIS6_EEEE10hipError_tT0_T1_T2_jT3_P12ihipStream_tbPNSt15iterator_traitsISH_E10value_typeEPNSN_ISI_E10value_typeEPSJ_NS1_7vsmem_tEENKUlT_SH_SI_SJ_E_clIS9_S9_SD_PlEESG_SW_SH_SI_SJ_EUlSW_E1_NS1_11comp_targetILNS1_3genE3ELNS1_11target_archE908ELNS1_3gpuE7ELNS1_3repE0EEENS1_36merge_oddeven_config_static_selectorELNS0_4arch9wavefront6targetE1EEEvSI_.has_dyn_sized_stack, 0
	.set _ZN7rocprim17ROCPRIM_400000_NS6detail17trampoline_kernelINS0_14default_configENS1_38merge_sort_block_merge_config_selectorIN3c104HalfElEEZZNS1_27merge_sort_block_merge_implIS3_PS6_N6thrust23THRUST_200600_302600_NS10device_ptrIlEEmNSB_4lessIS6_EEEE10hipError_tT0_T1_T2_jT3_P12ihipStream_tbPNSt15iterator_traitsISH_E10value_typeEPNSN_ISI_E10value_typeEPSJ_NS1_7vsmem_tEENKUlT_SH_SI_SJ_E_clIS9_S9_SD_PlEESG_SW_SH_SI_SJ_EUlSW_E1_NS1_11comp_targetILNS1_3genE3ELNS1_11target_archE908ELNS1_3gpuE7ELNS1_3repE0EEENS1_36merge_oddeven_config_static_selectorELNS0_4arch9wavefront6targetE1EEEvSI_.has_recursion, 0
	.set _ZN7rocprim17ROCPRIM_400000_NS6detail17trampoline_kernelINS0_14default_configENS1_38merge_sort_block_merge_config_selectorIN3c104HalfElEEZZNS1_27merge_sort_block_merge_implIS3_PS6_N6thrust23THRUST_200600_302600_NS10device_ptrIlEEmNSB_4lessIS6_EEEE10hipError_tT0_T1_T2_jT3_P12ihipStream_tbPNSt15iterator_traitsISH_E10value_typeEPNSN_ISI_E10value_typeEPSJ_NS1_7vsmem_tEENKUlT_SH_SI_SJ_E_clIS9_S9_SD_PlEESG_SW_SH_SI_SJ_EUlSW_E1_NS1_11comp_targetILNS1_3genE3ELNS1_11target_archE908ELNS1_3gpuE7ELNS1_3repE0EEENS1_36merge_oddeven_config_static_selectorELNS0_4arch9wavefront6targetE1EEEvSI_.has_indirect_call, 0
	.section	.AMDGPU.csdata,"",@progbits
; Kernel info:
; codeLenInByte = 0
; TotalNumSgprs: 4
; NumVgprs: 0
; ScratchSize: 0
; MemoryBound: 0
; FloatMode: 240
; IeeeMode: 1
; LDSByteSize: 0 bytes/workgroup (compile time only)
; SGPRBlocks: 0
; VGPRBlocks: 0
; NumSGPRsForWavesPerEU: 4
; NumVGPRsForWavesPerEU: 1
; Occupancy: 10
; WaveLimiterHint : 0
; COMPUTE_PGM_RSRC2:SCRATCH_EN: 0
; COMPUTE_PGM_RSRC2:USER_SGPR: 6
; COMPUTE_PGM_RSRC2:TRAP_HANDLER: 0
; COMPUTE_PGM_RSRC2:TGID_X_EN: 1
; COMPUTE_PGM_RSRC2:TGID_Y_EN: 0
; COMPUTE_PGM_RSRC2:TGID_Z_EN: 0
; COMPUTE_PGM_RSRC2:TIDIG_COMP_CNT: 0
	.section	.text._ZN7rocprim17ROCPRIM_400000_NS6detail17trampoline_kernelINS0_14default_configENS1_38merge_sort_block_merge_config_selectorIN3c104HalfElEEZZNS1_27merge_sort_block_merge_implIS3_PS6_N6thrust23THRUST_200600_302600_NS10device_ptrIlEEmNSB_4lessIS6_EEEE10hipError_tT0_T1_T2_jT3_P12ihipStream_tbPNSt15iterator_traitsISH_E10value_typeEPNSN_ISI_E10value_typeEPSJ_NS1_7vsmem_tEENKUlT_SH_SI_SJ_E_clIS9_S9_SD_PlEESG_SW_SH_SI_SJ_EUlSW_E1_NS1_11comp_targetILNS1_3genE2ELNS1_11target_archE906ELNS1_3gpuE6ELNS1_3repE0EEENS1_36merge_oddeven_config_static_selectorELNS0_4arch9wavefront6targetE1EEEvSI_,"axG",@progbits,_ZN7rocprim17ROCPRIM_400000_NS6detail17trampoline_kernelINS0_14default_configENS1_38merge_sort_block_merge_config_selectorIN3c104HalfElEEZZNS1_27merge_sort_block_merge_implIS3_PS6_N6thrust23THRUST_200600_302600_NS10device_ptrIlEEmNSB_4lessIS6_EEEE10hipError_tT0_T1_T2_jT3_P12ihipStream_tbPNSt15iterator_traitsISH_E10value_typeEPNSN_ISI_E10value_typeEPSJ_NS1_7vsmem_tEENKUlT_SH_SI_SJ_E_clIS9_S9_SD_PlEESG_SW_SH_SI_SJ_EUlSW_E1_NS1_11comp_targetILNS1_3genE2ELNS1_11target_archE906ELNS1_3gpuE6ELNS1_3repE0EEENS1_36merge_oddeven_config_static_selectorELNS0_4arch9wavefront6targetE1EEEvSI_,comdat
	.protected	_ZN7rocprim17ROCPRIM_400000_NS6detail17trampoline_kernelINS0_14default_configENS1_38merge_sort_block_merge_config_selectorIN3c104HalfElEEZZNS1_27merge_sort_block_merge_implIS3_PS6_N6thrust23THRUST_200600_302600_NS10device_ptrIlEEmNSB_4lessIS6_EEEE10hipError_tT0_T1_T2_jT3_P12ihipStream_tbPNSt15iterator_traitsISH_E10value_typeEPNSN_ISI_E10value_typeEPSJ_NS1_7vsmem_tEENKUlT_SH_SI_SJ_E_clIS9_S9_SD_PlEESG_SW_SH_SI_SJ_EUlSW_E1_NS1_11comp_targetILNS1_3genE2ELNS1_11target_archE906ELNS1_3gpuE6ELNS1_3repE0EEENS1_36merge_oddeven_config_static_selectorELNS0_4arch9wavefront6targetE1EEEvSI_ ; -- Begin function _ZN7rocprim17ROCPRIM_400000_NS6detail17trampoline_kernelINS0_14default_configENS1_38merge_sort_block_merge_config_selectorIN3c104HalfElEEZZNS1_27merge_sort_block_merge_implIS3_PS6_N6thrust23THRUST_200600_302600_NS10device_ptrIlEEmNSB_4lessIS6_EEEE10hipError_tT0_T1_T2_jT3_P12ihipStream_tbPNSt15iterator_traitsISH_E10value_typeEPNSN_ISI_E10value_typeEPSJ_NS1_7vsmem_tEENKUlT_SH_SI_SJ_E_clIS9_S9_SD_PlEESG_SW_SH_SI_SJ_EUlSW_E1_NS1_11comp_targetILNS1_3genE2ELNS1_11target_archE906ELNS1_3gpuE6ELNS1_3repE0EEENS1_36merge_oddeven_config_static_selectorELNS0_4arch9wavefront6targetE1EEEvSI_
	.globl	_ZN7rocprim17ROCPRIM_400000_NS6detail17trampoline_kernelINS0_14default_configENS1_38merge_sort_block_merge_config_selectorIN3c104HalfElEEZZNS1_27merge_sort_block_merge_implIS3_PS6_N6thrust23THRUST_200600_302600_NS10device_ptrIlEEmNSB_4lessIS6_EEEE10hipError_tT0_T1_T2_jT3_P12ihipStream_tbPNSt15iterator_traitsISH_E10value_typeEPNSN_ISI_E10value_typeEPSJ_NS1_7vsmem_tEENKUlT_SH_SI_SJ_E_clIS9_S9_SD_PlEESG_SW_SH_SI_SJ_EUlSW_E1_NS1_11comp_targetILNS1_3genE2ELNS1_11target_archE906ELNS1_3gpuE6ELNS1_3repE0EEENS1_36merge_oddeven_config_static_selectorELNS0_4arch9wavefront6targetE1EEEvSI_
	.p2align	8
	.type	_ZN7rocprim17ROCPRIM_400000_NS6detail17trampoline_kernelINS0_14default_configENS1_38merge_sort_block_merge_config_selectorIN3c104HalfElEEZZNS1_27merge_sort_block_merge_implIS3_PS6_N6thrust23THRUST_200600_302600_NS10device_ptrIlEEmNSB_4lessIS6_EEEE10hipError_tT0_T1_T2_jT3_P12ihipStream_tbPNSt15iterator_traitsISH_E10value_typeEPNSN_ISI_E10value_typeEPSJ_NS1_7vsmem_tEENKUlT_SH_SI_SJ_E_clIS9_S9_SD_PlEESG_SW_SH_SI_SJ_EUlSW_E1_NS1_11comp_targetILNS1_3genE2ELNS1_11target_archE906ELNS1_3gpuE6ELNS1_3repE0EEENS1_36merge_oddeven_config_static_selectorELNS0_4arch9wavefront6targetE1EEEvSI_,@function
_ZN7rocprim17ROCPRIM_400000_NS6detail17trampoline_kernelINS0_14default_configENS1_38merge_sort_block_merge_config_selectorIN3c104HalfElEEZZNS1_27merge_sort_block_merge_implIS3_PS6_N6thrust23THRUST_200600_302600_NS10device_ptrIlEEmNSB_4lessIS6_EEEE10hipError_tT0_T1_T2_jT3_P12ihipStream_tbPNSt15iterator_traitsISH_E10value_typeEPNSN_ISI_E10value_typeEPSJ_NS1_7vsmem_tEENKUlT_SH_SI_SJ_E_clIS9_S9_SD_PlEESG_SW_SH_SI_SJ_EUlSW_E1_NS1_11comp_targetILNS1_3genE2ELNS1_11target_archE906ELNS1_3gpuE6ELNS1_3repE0EEENS1_36merge_oddeven_config_static_selectorELNS0_4arch9wavefront6targetE1EEEvSI_: ; @_ZN7rocprim17ROCPRIM_400000_NS6detail17trampoline_kernelINS0_14default_configENS1_38merge_sort_block_merge_config_selectorIN3c104HalfElEEZZNS1_27merge_sort_block_merge_implIS3_PS6_N6thrust23THRUST_200600_302600_NS10device_ptrIlEEmNSB_4lessIS6_EEEE10hipError_tT0_T1_T2_jT3_P12ihipStream_tbPNSt15iterator_traitsISH_E10value_typeEPNSN_ISI_E10value_typeEPSJ_NS1_7vsmem_tEENKUlT_SH_SI_SJ_E_clIS9_S9_SD_PlEESG_SW_SH_SI_SJ_EUlSW_E1_NS1_11comp_targetILNS1_3genE2ELNS1_11target_archE906ELNS1_3gpuE6ELNS1_3repE0EEENS1_36merge_oddeven_config_static_selectorELNS0_4arch9wavefront6targetE1EEEvSI_
; %bb.0:
	s_load_dwordx4 s[8:11], s[4:5], 0x18
	s_waitcnt lgkmcnt(0)
	s_lshr_b32 s0, s10, 8
	s_cmp_eq_u32 s6, s0
	s_cselect_b64 s[16:17], -1, 0
	s_cmp_lg_u32 s6, s0
	s_cselect_b64 s[0:1], -1, 0
	s_lshl_b32 s18, s6, 8
	s_sub_i32 s2, s10, s18
	v_cmp_gt_u32_e64 s[2:3], s2, v0
	s_or_b64 s[0:1], s[0:1], s[2:3]
	s_and_saveexec_b64 s[12:13], s[0:1]
	s_cbranch_execz .LBB2169_24
; %bb.1:
	s_load_dwordx4 s[12:15], s[4:5], 0x0
	s_load_dwordx2 s[0:1], s[4:5], 0x10
	s_mov_b32 s19, 0
	s_lshl_b64 s[20:21], s[18:19], 1
	v_lshlrev_b32_e32 v4, 3, v0
	s_waitcnt lgkmcnt(0)
	s_add_u32 s20, s12, s20
	s_addc_u32 s21, s13, s21
	s_lshl_b64 s[22:23], s[18:19], 3
	s_add_u32 s0, s0, s22
	s_addc_u32 s1, s1, s23
	v_lshlrev_b32_e32 v3, 1, v0
	global_load_dwordx2 v[1:2], v4, s[0:1]
	global_load_ushort v5, v3, s[20:21]
	s_load_dword s11, s[4:5], 0x28
	v_add_u32_e32 v3, s18, v0
	s_waitcnt lgkmcnt(0)
	s_lshr_b32 s0, s11, 8
	s_sub_i32 s1, 0, s0
	s_and_b32 s1, s6, s1
	s_and_b32 s0, s1, s0
	s_lshl_b32 s19, s1, 8
	s_sub_i32 s6, 0, s11
	s_cmp_eq_u32 s0, 0
	s_cselect_b64 s[0:1], -1, 0
	s_and_b64 s[4:5], s[0:1], exec
	s_cselect_b32 s6, s11, s6
	s_add_i32 s6, s6, s19
	s_mov_b64 s[4:5], -1
	s_cmp_lt_u32 s6, s10
	s_cbranch_scc1 .LBB2169_9
; %bb.2:
	s_and_b64 vcc, exec, s[16:17]
	s_cbranch_vccz .LBB2169_6
; %bb.3:
	v_cmp_gt_u32_e32 vcc, s10, v3
	s_and_saveexec_b64 s[4:5], vcc
	s_cbranch_execz .LBB2169_5
; %bb.4:
	v_mov_b32_e32 v4, 0
	v_lshlrev_b64 v[6:7], 1, v[3:4]
	v_mov_b32_e32 v0, s15
	v_add_co_u32_e32 v6, vcc, s14, v6
	v_lshlrev_b64 v[8:9], 3, v[3:4]
	v_addc_co_u32_e32 v7, vcc, v0, v7, vcc
	v_mov_b32_e32 v0, s9
	v_add_co_u32_e32 v8, vcc, s8, v8
	v_addc_co_u32_e32 v9, vcc, v0, v9, vcc
	s_waitcnt vmcnt(0)
	global_store_short v[6:7], v5, off
	global_store_dwordx2 v[8:9], v[1:2], off
.LBB2169_5:
	s_or_b64 exec, exec, s[4:5]
	s_mov_b64 s[4:5], 0
.LBB2169_6:
	s_andn2_b64 vcc, exec, s[4:5]
	s_cbranch_vccnz .LBB2169_8
; %bb.7:
	v_mov_b32_e32 v4, 0
	v_lshlrev_b64 v[6:7], 1, v[3:4]
	v_mov_b32_e32 v0, s15
	v_add_co_u32_e32 v6, vcc, s14, v6
	v_lshlrev_b64 v[8:9], 3, v[3:4]
	v_addc_co_u32_e32 v7, vcc, v0, v7, vcc
	v_mov_b32_e32 v0, s9
	v_add_co_u32_e32 v8, vcc, s8, v8
	v_addc_co_u32_e32 v9, vcc, v0, v9, vcc
	s_waitcnt vmcnt(0)
	global_store_short v[6:7], v5, off
	global_store_dwordx2 v[8:9], v[1:2], off
.LBB2169_8:
	s_mov_b64 s[4:5], 0
.LBB2169_9:
	s_andn2_b64 vcc, exec, s[4:5]
	s_cbranch_vccnz .LBB2169_24
; %bb.10:
	s_min_u32 s7, s6, s10
	s_add_i32 s4, s7, s11
	s_min_u32 s10, s4, s10
	s_min_u32 s4, s19, s7
	s_add_i32 s19, s19, s7
	v_subrev_u32_e32 v0, s19, v3
	v_add_u32_e32 v0, s4, v0
	s_mov_b64 s[4:5], -1
	s_and_b64 vcc, exec, s[16:17]
	s_cbranch_vccz .LBB2169_18
; %bb.11:
	s_and_saveexec_b64 s[4:5], s[2:3]
	s_cbranch_execz .LBB2169_17
; %bb.12:
	s_cmp_ge_u32 s6, s10
	v_mov_b32_e32 v3, s7
	s_cbranch_scc1 .LBB2169_16
; %bb.13:
	s_mov_b64 s[2:3], 0
	v_mov_b32_e32 v4, s10
	v_mov_b32_e32 v3, s7
.LBB2169_14:                            ; =>This Inner Loop Header: Depth=1
	v_add_u32_e32 v6, v3, v4
	v_and_b32_e32 v7, -2, v6
	global_load_ushort v7, v7, s[12:13]
	v_lshrrev_b32_e32 v6, 1, v6
	v_add_u32_e32 v8, 1, v6
	s_waitcnt vmcnt(0)
	v_cmp_lt_f16_e32 vcc, v7, v5
	v_cndmask_b32_e64 v9, 0, 1, vcc
	v_cmp_ngt_f16_e32 vcc, v7, v5
	v_cndmask_b32_e64 v7, 0, 1, vcc
	v_cndmask_b32_e64 v7, v7, v9, s[0:1]
	v_and_b32_e32 v7, 1, v7
	v_cmp_eq_u32_e32 vcc, 1, v7
	v_cndmask_b32_e32 v4, v6, v4, vcc
	v_cndmask_b32_e32 v3, v3, v8, vcc
	v_cmp_ge_u32_e32 vcc, v3, v4
	s_or_b64 s[2:3], vcc, s[2:3]
	s_andn2_b64 exec, exec, s[2:3]
	s_cbranch_execnz .LBB2169_14
; %bb.15:
	s_or_b64 exec, exec, s[2:3]
.LBB2169_16:
	v_add_u32_e32 v3, v3, v0
	v_mov_b32_e32 v4, 0
	v_lshlrev_b64 v[6:7], 1, v[3:4]
	v_mov_b32_e32 v8, s15
	v_add_co_u32_e32 v6, vcc, s14, v6
	v_lshlrev_b64 v[3:4], 3, v[3:4]
	v_addc_co_u32_e32 v7, vcc, v8, v7, vcc
	s_waitcnt vmcnt(0)
	global_store_short v[6:7], v5, off
	v_mov_b32_e32 v6, s9
	v_add_co_u32_e32 v3, vcc, s8, v3
	v_addc_co_u32_e32 v4, vcc, v6, v4, vcc
	global_store_dwordx2 v[3:4], v[1:2], off
.LBB2169_17:
	s_or_b64 exec, exec, s[4:5]
	s_mov_b64 s[4:5], 0
.LBB2169_18:
	s_andn2_b64 vcc, exec, s[4:5]
	s_cbranch_vccnz .LBB2169_24
; %bb.19:
	s_cmp_ge_u32 s6, s10
	v_mov_b32_e32 v3, s7
	s_cbranch_scc1 .LBB2169_23
; %bb.20:
	s_mov_b64 s[2:3], 0
	v_mov_b32_e32 v4, s10
	v_mov_b32_e32 v3, s7
.LBB2169_21:                            ; =>This Inner Loop Header: Depth=1
	v_add_u32_e32 v6, v3, v4
	v_and_b32_e32 v7, -2, v6
	global_load_ushort v7, v7, s[12:13]
	v_lshrrev_b32_e32 v6, 1, v6
	v_add_u32_e32 v8, 1, v6
	s_waitcnt vmcnt(0)
	v_cmp_lt_f16_e32 vcc, v7, v5
	v_cndmask_b32_e64 v9, 0, 1, vcc
	v_cmp_ngt_f16_e32 vcc, v7, v5
	v_cndmask_b32_e64 v7, 0, 1, vcc
	v_cndmask_b32_e64 v7, v7, v9, s[0:1]
	v_and_b32_e32 v7, 1, v7
	v_cmp_eq_u32_e32 vcc, 1, v7
	v_cndmask_b32_e32 v4, v6, v4, vcc
	v_cndmask_b32_e32 v3, v3, v8, vcc
	v_cmp_ge_u32_e32 vcc, v3, v4
	s_or_b64 s[2:3], vcc, s[2:3]
	s_andn2_b64 exec, exec, s[2:3]
	s_cbranch_execnz .LBB2169_21
; %bb.22:
	s_or_b64 exec, exec, s[2:3]
.LBB2169_23:
	v_add_u32_e32 v3, v3, v0
	v_mov_b32_e32 v4, 0
	v_lshlrev_b64 v[6:7], 1, v[3:4]
	v_mov_b32_e32 v0, s15
	v_add_co_u32_e32 v6, vcc, s14, v6
	v_lshlrev_b64 v[3:4], 3, v[3:4]
	v_addc_co_u32_e32 v7, vcc, v0, v7, vcc
	v_mov_b32_e32 v0, s9
	v_add_co_u32_e32 v3, vcc, s8, v3
	v_addc_co_u32_e32 v4, vcc, v0, v4, vcc
	s_waitcnt vmcnt(0)
	global_store_short v[6:7], v5, off
	global_store_dwordx2 v[3:4], v[1:2], off
.LBB2169_24:
	s_endpgm
	.section	.rodata,"a",@progbits
	.p2align	6, 0x0
	.amdhsa_kernel _ZN7rocprim17ROCPRIM_400000_NS6detail17trampoline_kernelINS0_14default_configENS1_38merge_sort_block_merge_config_selectorIN3c104HalfElEEZZNS1_27merge_sort_block_merge_implIS3_PS6_N6thrust23THRUST_200600_302600_NS10device_ptrIlEEmNSB_4lessIS6_EEEE10hipError_tT0_T1_T2_jT3_P12ihipStream_tbPNSt15iterator_traitsISH_E10value_typeEPNSN_ISI_E10value_typeEPSJ_NS1_7vsmem_tEENKUlT_SH_SI_SJ_E_clIS9_S9_SD_PlEESG_SW_SH_SI_SJ_EUlSW_E1_NS1_11comp_targetILNS1_3genE2ELNS1_11target_archE906ELNS1_3gpuE6ELNS1_3repE0EEENS1_36merge_oddeven_config_static_selectorELNS0_4arch9wavefront6targetE1EEEvSI_
		.amdhsa_group_segment_fixed_size 0
		.amdhsa_private_segment_fixed_size 0
		.amdhsa_kernarg_size 56
		.amdhsa_user_sgpr_count 6
		.amdhsa_user_sgpr_private_segment_buffer 1
		.amdhsa_user_sgpr_dispatch_ptr 0
		.amdhsa_user_sgpr_queue_ptr 0
		.amdhsa_user_sgpr_kernarg_segment_ptr 1
		.amdhsa_user_sgpr_dispatch_id 0
		.amdhsa_user_sgpr_flat_scratch_init 0
		.amdhsa_user_sgpr_private_segment_size 0
		.amdhsa_uses_dynamic_stack 0
		.amdhsa_system_sgpr_private_segment_wavefront_offset 0
		.amdhsa_system_sgpr_workgroup_id_x 1
		.amdhsa_system_sgpr_workgroup_id_y 0
		.amdhsa_system_sgpr_workgroup_id_z 0
		.amdhsa_system_sgpr_workgroup_info 0
		.amdhsa_system_vgpr_workitem_id 0
		.amdhsa_next_free_vgpr 10
		.amdhsa_next_free_sgpr 24
		.amdhsa_reserve_vcc 1
		.amdhsa_reserve_flat_scratch 0
		.amdhsa_float_round_mode_32 0
		.amdhsa_float_round_mode_16_64 0
		.amdhsa_float_denorm_mode_32 3
		.amdhsa_float_denorm_mode_16_64 3
		.amdhsa_dx10_clamp 1
		.amdhsa_ieee_mode 1
		.amdhsa_fp16_overflow 0
		.amdhsa_exception_fp_ieee_invalid_op 0
		.amdhsa_exception_fp_denorm_src 0
		.amdhsa_exception_fp_ieee_div_zero 0
		.amdhsa_exception_fp_ieee_overflow 0
		.amdhsa_exception_fp_ieee_underflow 0
		.amdhsa_exception_fp_ieee_inexact 0
		.amdhsa_exception_int_div_zero 0
	.end_amdhsa_kernel
	.section	.text._ZN7rocprim17ROCPRIM_400000_NS6detail17trampoline_kernelINS0_14default_configENS1_38merge_sort_block_merge_config_selectorIN3c104HalfElEEZZNS1_27merge_sort_block_merge_implIS3_PS6_N6thrust23THRUST_200600_302600_NS10device_ptrIlEEmNSB_4lessIS6_EEEE10hipError_tT0_T1_T2_jT3_P12ihipStream_tbPNSt15iterator_traitsISH_E10value_typeEPNSN_ISI_E10value_typeEPSJ_NS1_7vsmem_tEENKUlT_SH_SI_SJ_E_clIS9_S9_SD_PlEESG_SW_SH_SI_SJ_EUlSW_E1_NS1_11comp_targetILNS1_3genE2ELNS1_11target_archE906ELNS1_3gpuE6ELNS1_3repE0EEENS1_36merge_oddeven_config_static_selectorELNS0_4arch9wavefront6targetE1EEEvSI_,"axG",@progbits,_ZN7rocprim17ROCPRIM_400000_NS6detail17trampoline_kernelINS0_14default_configENS1_38merge_sort_block_merge_config_selectorIN3c104HalfElEEZZNS1_27merge_sort_block_merge_implIS3_PS6_N6thrust23THRUST_200600_302600_NS10device_ptrIlEEmNSB_4lessIS6_EEEE10hipError_tT0_T1_T2_jT3_P12ihipStream_tbPNSt15iterator_traitsISH_E10value_typeEPNSN_ISI_E10value_typeEPSJ_NS1_7vsmem_tEENKUlT_SH_SI_SJ_E_clIS9_S9_SD_PlEESG_SW_SH_SI_SJ_EUlSW_E1_NS1_11comp_targetILNS1_3genE2ELNS1_11target_archE906ELNS1_3gpuE6ELNS1_3repE0EEENS1_36merge_oddeven_config_static_selectorELNS0_4arch9wavefront6targetE1EEEvSI_,comdat
.Lfunc_end2169:
	.size	_ZN7rocprim17ROCPRIM_400000_NS6detail17trampoline_kernelINS0_14default_configENS1_38merge_sort_block_merge_config_selectorIN3c104HalfElEEZZNS1_27merge_sort_block_merge_implIS3_PS6_N6thrust23THRUST_200600_302600_NS10device_ptrIlEEmNSB_4lessIS6_EEEE10hipError_tT0_T1_T2_jT3_P12ihipStream_tbPNSt15iterator_traitsISH_E10value_typeEPNSN_ISI_E10value_typeEPSJ_NS1_7vsmem_tEENKUlT_SH_SI_SJ_E_clIS9_S9_SD_PlEESG_SW_SH_SI_SJ_EUlSW_E1_NS1_11comp_targetILNS1_3genE2ELNS1_11target_archE906ELNS1_3gpuE6ELNS1_3repE0EEENS1_36merge_oddeven_config_static_selectorELNS0_4arch9wavefront6targetE1EEEvSI_, .Lfunc_end2169-_ZN7rocprim17ROCPRIM_400000_NS6detail17trampoline_kernelINS0_14default_configENS1_38merge_sort_block_merge_config_selectorIN3c104HalfElEEZZNS1_27merge_sort_block_merge_implIS3_PS6_N6thrust23THRUST_200600_302600_NS10device_ptrIlEEmNSB_4lessIS6_EEEE10hipError_tT0_T1_T2_jT3_P12ihipStream_tbPNSt15iterator_traitsISH_E10value_typeEPNSN_ISI_E10value_typeEPSJ_NS1_7vsmem_tEENKUlT_SH_SI_SJ_E_clIS9_S9_SD_PlEESG_SW_SH_SI_SJ_EUlSW_E1_NS1_11comp_targetILNS1_3genE2ELNS1_11target_archE906ELNS1_3gpuE6ELNS1_3repE0EEENS1_36merge_oddeven_config_static_selectorELNS0_4arch9wavefront6targetE1EEEvSI_
                                        ; -- End function
	.set _ZN7rocprim17ROCPRIM_400000_NS6detail17trampoline_kernelINS0_14default_configENS1_38merge_sort_block_merge_config_selectorIN3c104HalfElEEZZNS1_27merge_sort_block_merge_implIS3_PS6_N6thrust23THRUST_200600_302600_NS10device_ptrIlEEmNSB_4lessIS6_EEEE10hipError_tT0_T1_T2_jT3_P12ihipStream_tbPNSt15iterator_traitsISH_E10value_typeEPNSN_ISI_E10value_typeEPSJ_NS1_7vsmem_tEENKUlT_SH_SI_SJ_E_clIS9_S9_SD_PlEESG_SW_SH_SI_SJ_EUlSW_E1_NS1_11comp_targetILNS1_3genE2ELNS1_11target_archE906ELNS1_3gpuE6ELNS1_3repE0EEENS1_36merge_oddeven_config_static_selectorELNS0_4arch9wavefront6targetE1EEEvSI_.num_vgpr, 10
	.set _ZN7rocprim17ROCPRIM_400000_NS6detail17trampoline_kernelINS0_14default_configENS1_38merge_sort_block_merge_config_selectorIN3c104HalfElEEZZNS1_27merge_sort_block_merge_implIS3_PS6_N6thrust23THRUST_200600_302600_NS10device_ptrIlEEmNSB_4lessIS6_EEEE10hipError_tT0_T1_T2_jT3_P12ihipStream_tbPNSt15iterator_traitsISH_E10value_typeEPNSN_ISI_E10value_typeEPSJ_NS1_7vsmem_tEENKUlT_SH_SI_SJ_E_clIS9_S9_SD_PlEESG_SW_SH_SI_SJ_EUlSW_E1_NS1_11comp_targetILNS1_3genE2ELNS1_11target_archE906ELNS1_3gpuE6ELNS1_3repE0EEENS1_36merge_oddeven_config_static_selectorELNS0_4arch9wavefront6targetE1EEEvSI_.num_agpr, 0
	.set _ZN7rocprim17ROCPRIM_400000_NS6detail17trampoline_kernelINS0_14default_configENS1_38merge_sort_block_merge_config_selectorIN3c104HalfElEEZZNS1_27merge_sort_block_merge_implIS3_PS6_N6thrust23THRUST_200600_302600_NS10device_ptrIlEEmNSB_4lessIS6_EEEE10hipError_tT0_T1_T2_jT3_P12ihipStream_tbPNSt15iterator_traitsISH_E10value_typeEPNSN_ISI_E10value_typeEPSJ_NS1_7vsmem_tEENKUlT_SH_SI_SJ_E_clIS9_S9_SD_PlEESG_SW_SH_SI_SJ_EUlSW_E1_NS1_11comp_targetILNS1_3genE2ELNS1_11target_archE906ELNS1_3gpuE6ELNS1_3repE0EEENS1_36merge_oddeven_config_static_selectorELNS0_4arch9wavefront6targetE1EEEvSI_.numbered_sgpr, 24
	.set _ZN7rocprim17ROCPRIM_400000_NS6detail17trampoline_kernelINS0_14default_configENS1_38merge_sort_block_merge_config_selectorIN3c104HalfElEEZZNS1_27merge_sort_block_merge_implIS3_PS6_N6thrust23THRUST_200600_302600_NS10device_ptrIlEEmNSB_4lessIS6_EEEE10hipError_tT0_T1_T2_jT3_P12ihipStream_tbPNSt15iterator_traitsISH_E10value_typeEPNSN_ISI_E10value_typeEPSJ_NS1_7vsmem_tEENKUlT_SH_SI_SJ_E_clIS9_S9_SD_PlEESG_SW_SH_SI_SJ_EUlSW_E1_NS1_11comp_targetILNS1_3genE2ELNS1_11target_archE906ELNS1_3gpuE6ELNS1_3repE0EEENS1_36merge_oddeven_config_static_selectorELNS0_4arch9wavefront6targetE1EEEvSI_.num_named_barrier, 0
	.set _ZN7rocprim17ROCPRIM_400000_NS6detail17trampoline_kernelINS0_14default_configENS1_38merge_sort_block_merge_config_selectorIN3c104HalfElEEZZNS1_27merge_sort_block_merge_implIS3_PS6_N6thrust23THRUST_200600_302600_NS10device_ptrIlEEmNSB_4lessIS6_EEEE10hipError_tT0_T1_T2_jT3_P12ihipStream_tbPNSt15iterator_traitsISH_E10value_typeEPNSN_ISI_E10value_typeEPSJ_NS1_7vsmem_tEENKUlT_SH_SI_SJ_E_clIS9_S9_SD_PlEESG_SW_SH_SI_SJ_EUlSW_E1_NS1_11comp_targetILNS1_3genE2ELNS1_11target_archE906ELNS1_3gpuE6ELNS1_3repE0EEENS1_36merge_oddeven_config_static_selectorELNS0_4arch9wavefront6targetE1EEEvSI_.private_seg_size, 0
	.set _ZN7rocprim17ROCPRIM_400000_NS6detail17trampoline_kernelINS0_14default_configENS1_38merge_sort_block_merge_config_selectorIN3c104HalfElEEZZNS1_27merge_sort_block_merge_implIS3_PS6_N6thrust23THRUST_200600_302600_NS10device_ptrIlEEmNSB_4lessIS6_EEEE10hipError_tT0_T1_T2_jT3_P12ihipStream_tbPNSt15iterator_traitsISH_E10value_typeEPNSN_ISI_E10value_typeEPSJ_NS1_7vsmem_tEENKUlT_SH_SI_SJ_E_clIS9_S9_SD_PlEESG_SW_SH_SI_SJ_EUlSW_E1_NS1_11comp_targetILNS1_3genE2ELNS1_11target_archE906ELNS1_3gpuE6ELNS1_3repE0EEENS1_36merge_oddeven_config_static_selectorELNS0_4arch9wavefront6targetE1EEEvSI_.uses_vcc, 1
	.set _ZN7rocprim17ROCPRIM_400000_NS6detail17trampoline_kernelINS0_14default_configENS1_38merge_sort_block_merge_config_selectorIN3c104HalfElEEZZNS1_27merge_sort_block_merge_implIS3_PS6_N6thrust23THRUST_200600_302600_NS10device_ptrIlEEmNSB_4lessIS6_EEEE10hipError_tT0_T1_T2_jT3_P12ihipStream_tbPNSt15iterator_traitsISH_E10value_typeEPNSN_ISI_E10value_typeEPSJ_NS1_7vsmem_tEENKUlT_SH_SI_SJ_E_clIS9_S9_SD_PlEESG_SW_SH_SI_SJ_EUlSW_E1_NS1_11comp_targetILNS1_3genE2ELNS1_11target_archE906ELNS1_3gpuE6ELNS1_3repE0EEENS1_36merge_oddeven_config_static_selectorELNS0_4arch9wavefront6targetE1EEEvSI_.uses_flat_scratch, 0
	.set _ZN7rocprim17ROCPRIM_400000_NS6detail17trampoline_kernelINS0_14default_configENS1_38merge_sort_block_merge_config_selectorIN3c104HalfElEEZZNS1_27merge_sort_block_merge_implIS3_PS6_N6thrust23THRUST_200600_302600_NS10device_ptrIlEEmNSB_4lessIS6_EEEE10hipError_tT0_T1_T2_jT3_P12ihipStream_tbPNSt15iterator_traitsISH_E10value_typeEPNSN_ISI_E10value_typeEPSJ_NS1_7vsmem_tEENKUlT_SH_SI_SJ_E_clIS9_S9_SD_PlEESG_SW_SH_SI_SJ_EUlSW_E1_NS1_11comp_targetILNS1_3genE2ELNS1_11target_archE906ELNS1_3gpuE6ELNS1_3repE0EEENS1_36merge_oddeven_config_static_selectorELNS0_4arch9wavefront6targetE1EEEvSI_.has_dyn_sized_stack, 0
	.set _ZN7rocprim17ROCPRIM_400000_NS6detail17trampoline_kernelINS0_14default_configENS1_38merge_sort_block_merge_config_selectorIN3c104HalfElEEZZNS1_27merge_sort_block_merge_implIS3_PS6_N6thrust23THRUST_200600_302600_NS10device_ptrIlEEmNSB_4lessIS6_EEEE10hipError_tT0_T1_T2_jT3_P12ihipStream_tbPNSt15iterator_traitsISH_E10value_typeEPNSN_ISI_E10value_typeEPSJ_NS1_7vsmem_tEENKUlT_SH_SI_SJ_E_clIS9_S9_SD_PlEESG_SW_SH_SI_SJ_EUlSW_E1_NS1_11comp_targetILNS1_3genE2ELNS1_11target_archE906ELNS1_3gpuE6ELNS1_3repE0EEENS1_36merge_oddeven_config_static_selectorELNS0_4arch9wavefront6targetE1EEEvSI_.has_recursion, 0
	.set _ZN7rocprim17ROCPRIM_400000_NS6detail17trampoline_kernelINS0_14default_configENS1_38merge_sort_block_merge_config_selectorIN3c104HalfElEEZZNS1_27merge_sort_block_merge_implIS3_PS6_N6thrust23THRUST_200600_302600_NS10device_ptrIlEEmNSB_4lessIS6_EEEE10hipError_tT0_T1_T2_jT3_P12ihipStream_tbPNSt15iterator_traitsISH_E10value_typeEPNSN_ISI_E10value_typeEPSJ_NS1_7vsmem_tEENKUlT_SH_SI_SJ_E_clIS9_S9_SD_PlEESG_SW_SH_SI_SJ_EUlSW_E1_NS1_11comp_targetILNS1_3genE2ELNS1_11target_archE906ELNS1_3gpuE6ELNS1_3repE0EEENS1_36merge_oddeven_config_static_selectorELNS0_4arch9wavefront6targetE1EEEvSI_.has_indirect_call, 0
	.section	.AMDGPU.csdata,"",@progbits
; Kernel info:
; codeLenInByte = 824
; TotalNumSgprs: 28
; NumVgprs: 10
; ScratchSize: 0
; MemoryBound: 0
; FloatMode: 240
; IeeeMode: 1
; LDSByteSize: 0 bytes/workgroup (compile time only)
; SGPRBlocks: 3
; VGPRBlocks: 2
; NumSGPRsForWavesPerEU: 28
; NumVGPRsForWavesPerEU: 10
; Occupancy: 10
; WaveLimiterHint : 0
; COMPUTE_PGM_RSRC2:SCRATCH_EN: 0
; COMPUTE_PGM_RSRC2:USER_SGPR: 6
; COMPUTE_PGM_RSRC2:TRAP_HANDLER: 0
; COMPUTE_PGM_RSRC2:TGID_X_EN: 1
; COMPUTE_PGM_RSRC2:TGID_Y_EN: 0
; COMPUTE_PGM_RSRC2:TGID_Z_EN: 0
; COMPUTE_PGM_RSRC2:TIDIG_COMP_CNT: 0
	.section	.text._ZN7rocprim17ROCPRIM_400000_NS6detail17trampoline_kernelINS0_14default_configENS1_38merge_sort_block_merge_config_selectorIN3c104HalfElEEZZNS1_27merge_sort_block_merge_implIS3_PS6_N6thrust23THRUST_200600_302600_NS10device_ptrIlEEmNSB_4lessIS6_EEEE10hipError_tT0_T1_T2_jT3_P12ihipStream_tbPNSt15iterator_traitsISH_E10value_typeEPNSN_ISI_E10value_typeEPSJ_NS1_7vsmem_tEENKUlT_SH_SI_SJ_E_clIS9_S9_SD_PlEESG_SW_SH_SI_SJ_EUlSW_E1_NS1_11comp_targetILNS1_3genE9ELNS1_11target_archE1100ELNS1_3gpuE3ELNS1_3repE0EEENS1_36merge_oddeven_config_static_selectorELNS0_4arch9wavefront6targetE1EEEvSI_,"axG",@progbits,_ZN7rocprim17ROCPRIM_400000_NS6detail17trampoline_kernelINS0_14default_configENS1_38merge_sort_block_merge_config_selectorIN3c104HalfElEEZZNS1_27merge_sort_block_merge_implIS3_PS6_N6thrust23THRUST_200600_302600_NS10device_ptrIlEEmNSB_4lessIS6_EEEE10hipError_tT0_T1_T2_jT3_P12ihipStream_tbPNSt15iterator_traitsISH_E10value_typeEPNSN_ISI_E10value_typeEPSJ_NS1_7vsmem_tEENKUlT_SH_SI_SJ_E_clIS9_S9_SD_PlEESG_SW_SH_SI_SJ_EUlSW_E1_NS1_11comp_targetILNS1_3genE9ELNS1_11target_archE1100ELNS1_3gpuE3ELNS1_3repE0EEENS1_36merge_oddeven_config_static_selectorELNS0_4arch9wavefront6targetE1EEEvSI_,comdat
	.protected	_ZN7rocprim17ROCPRIM_400000_NS6detail17trampoline_kernelINS0_14default_configENS1_38merge_sort_block_merge_config_selectorIN3c104HalfElEEZZNS1_27merge_sort_block_merge_implIS3_PS6_N6thrust23THRUST_200600_302600_NS10device_ptrIlEEmNSB_4lessIS6_EEEE10hipError_tT0_T1_T2_jT3_P12ihipStream_tbPNSt15iterator_traitsISH_E10value_typeEPNSN_ISI_E10value_typeEPSJ_NS1_7vsmem_tEENKUlT_SH_SI_SJ_E_clIS9_S9_SD_PlEESG_SW_SH_SI_SJ_EUlSW_E1_NS1_11comp_targetILNS1_3genE9ELNS1_11target_archE1100ELNS1_3gpuE3ELNS1_3repE0EEENS1_36merge_oddeven_config_static_selectorELNS0_4arch9wavefront6targetE1EEEvSI_ ; -- Begin function _ZN7rocprim17ROCPRIM_400000_NS6detail17trampoline_kernelINS0_14default_configENS1_38merge_sort_block_merge_config_selectorIN3c104HalfElEEZZNS1_27merge_sort_block_merge_implIS3_PS6_N6thrust23THRUST_200600_302600_NS10device_ptrIlEEmNSB_4lessIS6_EEEE10hipError_tT0_T1_T2_jT3_P12ihipStream_tbPNSt15iterator_traitsISH_E10value_typeEPNSN_ISI_E10value_typeEPSJ_NS1_7vsmem_tEENKUlT_SH_SI_SJ_E_clIS9_S9_SD_PlEESG_SW_SH_SI_SJ_EUlSW_E1_NS1_11comp_targetILNS1_3genE9ELNS1_11target_archE1100ELNS1_3gpuE3ELNS1_3repE0EEENS1_36merge_oddeven_config_static_selectorELNS0_4arch9wavefront6targetE1EEEvSI_
	.globl	_ZN7rocprim17ROCPRIM_400000_NS6detail17trampoline_kernelINS0_14default_configENS1_38merge_sort_block_merge_config_selectorIN3c104HalfElEEZZNS1_27merge_sort_block_merge_implIS3_PS6_N6thrust23THRUST_200600_302600_NS10device_ptrIlEEmNSB_4lessIS6_EEEE10hipError_tT0_T1_T2_jT3_P12ihipStream_tbPNSt15iterator_traitsISH_E10value_typeEPNSN_ISI_E10value_typeEPSJ_NS1_7vsmem_tEENKUlT_SH_SI_SJ_E_clIS9_S9_SD_PlEESG_SW_SH_SI_SJ_EUlSW_E1_NS1_11comp_targetILNS1_3genE9ELNS1_11target_archE1100ELNS1_3gpuE3ELNS1_3repE0EEENS1_36merge_oddeven_config_static_selectorELNS0_4arch9wavefront6targetE1EEEvSI_
	.p2align	8
	.type	_ZN7rocprim17ROCPRIM_400000_NS6detail17trampoline_kernelINS0_14default_configENS1_38merge_sort_block_merge_config_selectorIN3c104HalfElEEZZNS1_27merge_sort_block_merge_implIS3_PS6_N6thrust23THRUST_200600_302600_NS10device_ptrIlEEmNSB_4lessIS6_EEEE10hipError_tT0_T1_T2_jT3_P12ihipStream_tbPNSt15iterator_traitsISH_E10value_typeEPNSN_ISI_E10value_typeEPSJ_NS1_7vsmem_tEENKUlT_SH_SI_SJ_E_clIS9_S9_SD_PlEESG_SW_SH_SI_SJ_EUlSW_E1_NS1_11comp_targetILNS1_3genE9ELNS1_11target_archE1100ELNS1_3gpuE3ELNS1_3repE0EEENS1_36merge_oddeven_config_static_selectorELNS0_4arch9wavefront6targetE1EEEvSI_,@function
_ZN7rocprim17ROCPRIM_400000_NS6detail17trampoline_kernelINS0_14default_configENS1_38merge_sort_block_merge_config_selectorIN3c104HalfElEEZZNS1_27merge_sort_block_merge_implIS3_PS6_N6thrust23THRUST_200600_302600_NS10device_ptrIlEEmNSB_4lessIS6_EEEE10hipError_tT0_T1_T2_jT3_P12ihipStream_tbPNSt15iterator_traitsISH_E10value_typeEPNSN_ISI_E10value_typeEPSJ_NS1_7vsmem_tEENKUlT_SH_SI_SJ_E_clIS9_S9_SD_PlEESG_SW_SH_SI_SJ_EUlSW_E1_NS1_11comp_targetILNS1_3genE9ELNS1_11target_archE1100ELNS1_3gpuE3ELNS1_3repE0EEENS1_36merge_oddeven_config_static_selectorELNS0_4arch9wavefront6targetE1EEEvSI_: ; @_ZN7rocprim17ROCPRIM_400000_NS6detail17trampoline_kernelINS0_14default_configENS1_38merge_sort_block_merge_config_selectorIN3c104HalfElEEZZNS1_27merge_sort_block_merge_implIS3_PS6_N6thrust23THRUST_200600_302600_NS10device_ptrIlEEmNSB_4lessIS6_EEEE10hipError_tT0_T1_T2_jT3_P12ihipStream_tbPNSt15iterator_traitsISH_E10value_typeEPNSN_ISI_E10value_typeEPSJ_NS1_7vsmem_tEENKUlT_SH_SI_SJ_E_clIS9_S9_SD_PlEESG_SW_SH_SI_SJ_EUlSW_E1_NS1_11comp_targetILNS1_3genE9ELNS1_11target_archE1100ELNS1_3gpuE3ELNS1_3repE0EEENS1_36merge_oddeven_config_static_selectorELNS0_4arch9wavefront6targetE1EEEvSI_
; %bb.0:
	.section	.rodata,"a",@progbits
	.p2align	6, 0x0
	.amdhsa_kernel _ZN7rocprim17ROCPRIM_400000_NS6detail17trampoline_kernelINS0_14default_configENS1_38merge_sort_block_merge_config_selectorIN3c104HalfElEEZZNS1_27merge_sort_block_merge_implIS3_PS6_N6thrust23THRUST_200600_302600_NS10device_ptrIlEEmNSB_4lessIS6_EEEE10hipError_tT0_T1_T2_jT3_P12ihipStream_tbPNSt15iterator_traitsISH_E10value_typeEPNSN_ISI_E10value_typeEPSJ_NS1_7vsmem_tEENKUlT_SH_SI_SJ_E_clIS9_S9_SD_PlEESG_SW_SH_SI_SJ_EUlSW_E1_NS1_11comp_targetILNS1_3genE9ELNS1_11target_archE1100ELNS1_3gpuE3ELNS1_3repE0EEENS1_36merge_oddeven_config_static_selectorELNS0_4arch9wavefront6targetE1EEEvSI_
		.amdhsa_group_segment_fixed_size 0
		.amdhsa_private_segment_fixed_size 0
		.amdhsa_kernarg_size 56
		.amdhsa_user_sgpr_count 6
		.amdhsa_user_sgpr_private_segment_buffer 1
		.amdhsa_user_sgpr_dispatch_ptr 0
		.amdhsa_user_sgpr_queue_ptr 0
		.amdhsa_user_sgpr_kernarg_segment_ptr 1
		.amdhsa_user_sgpr_dispatch_id 0
		.amdhsa_user_sgpr_flat_scratch_init 0
		.amdhsa_user_sgpr_private_segment_size 0
		.amdhsa_uses_dynamic_stack 0
		.amdhsa_system_sgpr_private_segment_wavefront_offset 0
		.amdhsa_system_sgpr_workgroup_id_x 1
		.amdhsa_system_sgpr_workgroup_id_y 0
		.amdhsa_system_sgpr_workgroup_id_z 0
		.amdhsa_system_sgpr_workgroup_info 0
		.amdhsa_system_vgpr_workitem_id 0
		.amdhsa_next_free_vgpr 1
		.amdhsa_next_free_sgpr 0
		.amdhsa_reserve_vcc 0
		.amdhsa_reserve_flat_scratch 0
		.amdhsa_float_round_mode_32 0
		.amdhsa_float_round_mode_16_64 0
		.amdhsa_float_denorm_mode_32 3
		.amdhsa_float_denorm_mode_16_64 3
		.amdhsa_dx10_clamp 1
		.amdhsa_ieee_mode 1
		.amdhsa_fp16_overflow 0
		.amdhsa_exception_fp_ieee_invalid_op 0
		.amdhsa_exception_fp_denorm_src 0
		.amdhsa_exception_fp_ieee_div_zero 0
		.amdhsa_exception_fp_ieee_overflow 0
		.amdhsa_exception_fp_ieee_underflow 0
		.amdhsa_exception_fp_ieee_inexact 0
		.amdhsa_exception_int_div_zero 0
	.end_amdhsa_kernel
	.section	.text._ZN7rocprim17ROCPRIM_400000_NS6detail17trampoline_kernelINS0_14default_configENS1_38merge_sort_block_merge_config_selectorIN3c104HalfElEEZZNS1_27merge_sort_block_merge_implIS3_PS6_N6thrust23THRUST_200600_302600_NS10device_ptrIlEEmNSB_4lessIS6_EEEE10hipError_tT0_T1_T2_jT3_P12ihipStream_tbPNSt15iterator_traitsISH_E10value_typeEPNSN_ISI_E10value_typeEPSJ_NS1_7vsmem_tEENKUlT_SH_SI_SJ_E_clIS9_S9_SD_PlEESG_SW_SH_SI_SJ_EUlSW_E1_NS1_11comp_targetILNS1_3genE9ELNS1_11target_archE1100ELNS1_3gpuE3ELNS1_3repE0EEENS1_36merge_oddeven_config_static_selectorELNS0_4arch9wavefront6targetE1EEEvSI_,"axG",@progbits,_ZN7rocprim17ROCPRIM_400000_NS6detail17trampoline_kernelINS0_14default_configENS1_38merge_sort_block_merge_config_selectorIN3c104HalfElEEZZNS1_27merge_sort_block_merge_implIS3_PS6_N6thrust23THRUST_200600_302600_NS10device_ptrIlEEmNSB_4lessIS6_EEEE10hipError_tT0_T1_T2_jT3_P12ihipStream_tbPNSt15iterator_traitsISH_E10value_typeEPNSN_ISI_E10value_typeEPSJ_NS1_7vsmem_tEENKUlT_SH_SI_SJ_E_clIS9_S9_SD_PlEESG_SW_SH_SI_SJ_EUlSW_E1_NS1_11comp_targetILNS1_3genE9ELNS1_11target_archE1100ELNS1_3gpuE3ELNS1_3repE0EEENS1_36merge_oddeven_config_static_selectorELNS0_4arch9wavefront6targetE1EEEvSI_,comdat
.Lfunc_end2170:
	.size	_ZN7rocprim17ROCPRIM_400000_NS6detail17trampoline_kernelINS0_14default_configENS1_38merge_sort_block_merge_config_selectorIN3c104HalfElEEZZNS1_27merge_sort_block_merge_implIS3_PS6_N6thrust23THRUST_200600_302600_NS10device_ptrIlEEmNSB_4lessIS6_EEEE10hipError_tT0_T1_T2_jT3_P12ihipStream_tbPNSt15iterator_traitsISH_E10value_typeEPNSN_ISI_E10value_typeEPSJ_NS1_7vsmem_tEENKUlT_SH_SI_SJ_E_clIS9_S9_SD_PlEESG_SW_SH_SI_SJ_EUlSW_E1_NS1_11comp_targetILNS1_3genE9ELNS1_11target_archE1100ELNS1_3gpuE3ELNS1_3repE0EEENS1_36merge_oddeven_config_static_selectorELNS0_4arch9wavefront6targetE1EEEvSI_, .Lfunc_end2170-_ZN7rocprim17ROCPRIM_400000_NS6detail17trampoline_kernelINS0_14default_configENS1_38merge_sort_block_merge_config_selectorIN3c104HalfElEEZZNS1_27merge_sort_block_merge_implIS3_PS6_N6thrust23THRUST_200600_302600_NS10device_ptrIlEEmNSB_4lessIS6_EEEE10hipError_tT0_T1_T2_jT3_P12ihipStream_tbPNSt15iterator_traitsISH_E10value_typeEPNSN_ISI_E10value_typeEPSJ_NS1_7vsmem_tEENKUlT_SH_SI_SJ_E_clIS9_S9_SD_PlEESG_SW_SH_SI_SJ_EUlSW_E1_NS1_11comp_targetILNS1_3genE9ELNS1_11target_archE1100ELNS1_3gpuE3ELNS1_3repE0EEENS1_36merge_oddeven_config_static_selectorELNS0_4arch9wavefront6targetE1EEEvSI_
                                        ; -- End function
	.set _ZN7rocprim17ROCPRIM_400000_NS6detail17trampoline_kernelINS0_14default_configENS1_38merge_sort_block_merge_config_selectorIN3c104HalfElEEZZNS1_27merge_sort_block_merge_implIS3_PS6_N6thrust23THRUST_200600_302600_NS10device_ptrIlEEmNSB_4lessIS6_EEEE10hipError_tT0_T1_T2_jT3_P12ihipStream_tbPNSt15iterator_traitsISH_E10value_typeEPNSN_ISI_E10value_typeEPSJ_NS1_7vsmem_tEENKUlT_SH_SI_SJ_E_clIS9_S9_SD_PlEESG_SW_SH_SI_SJ_EUlSW_E1_NS1_11comp_targetILNS1_3genE9ELNS1_11target_archE1100ELNS1_3gpuE3ELNS1_3repE0EEENS1_36merge_oddeven_config_static_selectorELNS0_4arch9wavefront6targetE1EEEvSI_.num_vgpr, 0
	.set _ZN7rocprim17ROCPRIM_400000_NS6detail17trampoline_kernelINS0_14default_configENS1_38merge_sort_block_merge_config_selectorIN3c104HalfElEEZZNS1_27merge_sort_block_merge_implIS3_PS6_N6thrust23THRUST_200600_302600_NS10device_ptrIlEEmNSB_4lessIS6_EEEE10hipError_tT0_T1_T2_jT3_P12ihipStream_tbPNSt15iterator_traitsISH_E10value_typeEPNSN_ISI_E10value_typeEPSJ_NS1_7vsmem_tEENKUlT_SH_SI_SJ_E_clIS9_S9_SD_PlEESG_SW_SH_SI_SJ_EUlSW_E1_NS1_11comp_targetILNS1_3genE9ELNS1_11target_archE1100ELNS1_3gpuE3ELNS1_3repE0EEENS1_36merge_oddeven_config_static_selectorELNS0_4arch9wavefront6targetE1EEEvSI_.num_agpr, 0
	.set _ZN7rocprim17ROCPRIM_400000_NS6detail17trampoline_kernelINS0_14default_configENS1_38merge_sort_block_merge_config_selectorIN3c104HalfElEEZZNS1_27merge_sort_block_merge_implIS3_PS6_N6thrust23THRUST_200600_302600_NS10device_ptrIlEEmNSB_4lessIS6_EEEE10hipError_tT0_T1_T2_jT3_P12ihipStream_tbPNSt15iterator_traitsISH_E10value_typeEPNSN_ISI_E10value_typeEPSJ_NS1_7vsmem_tEENKUlT_SH_SI_SJ_E_clIS9_S9_SD_PlEESG_SW_SH_SI_SJ_EUlSW_E1_NS1_11comp_targetILNS1_3genE9ELNS1_11target_archE1100ELNS1_3gpuE3ELNS1_3repE0EEENS1_36merge_oddeven_config_static_selectorELNS0_4arch9wavefront6targetE1EEEvSI_.numbered_sgpr, 0
	.set _ZN7rocprim17ROCPRIM_400000_NS6detail17trampoline_kernelINS0_14default_configENS1_38merge_sort_block_merge_config_selectorIN3c104HalfElEEZZNS1_27merge_sort_block_merge_implIS3_PS6_N6thrust23THRUST_200600_302600_NS10device_ptrIlEEmNSB_4lessIS6_EEEE10hipError_tT0_T1_T2_jT3_P12ihipStream_tbPNSt15iterator_traitsISH_E10value_typeEPNSN_ISI_E10value_typeEPSJ_NS1_7vsmem_tEENKUlT_SH_SI_SJ_E_clIS9_S9_SD_PlEESG_SW_SH_SI_SJ_EUlSW_E1_NS1_11comp_targetILNS1_3genE9ELNS1_11target_archE1100ELNS1_3gpuE3ELNS1_3repE0EEENS1_36merge_oddeven_config_static_selectorELNS0_4arch9wavefront6targetE1EEEvSI_.num_named_barrier, 0
	.set _ZN7rocprim17ROCPRIM_400000_NS6detail17trampoline_kernelINS0_14default_configENS1_38merge_sort_block_merge_config_selectorIN3c104HalfElEEZZNS1_27merge_sort_block_merge_implIS3_PS6_N6thrust23THRUST_200600_302600_NS10device_ptrIlEEmNSB_4lessIS6_EEEE10hipError_tT0_T1_T2_jT3_P12ihipStream_tbPNSt15iterator_traitsISH_E10value_typeEPNSN_ISI_E10value_typeEPSJ_NS1_7vsmem_tEENKUlT_SH_SI_SJ_E_clIS9_S9_SD_PlEESG_SW_SH_SI_SJ_EUlSW_E1_NS1_11comp_targetILNS1_3genE9ELNS1_11target_archE1100ELNS1_3gpuE3ELNS1_3repE0EEENS1_36merge_oddeven_config_static_selectorELNS0_4arch9wavefront6targetE1EEEvSI_.private_seg_size, 0
	.set _ZN7rocprim17ROCPRIM_400000_NS6detail17trampoline_kernelINS0_14default_configENS1_38merge_sort_block_merge_config_selectorIN3c104HalfElEEZZNS1_27merge_sort_block_merge_implIS3_PS6_N6thrust23THRUST_200600_302600_NS10device_ptrIlEEmNSB_4lessIS6_EEEE10hipError_tT0_T1_T2_jT3_P12ihipStream_tbPNSt15iterator_traitsISH_E10value_typeEPNSN_ISI_E10value_typeEPSJ_NS1_7vsmem_tEENKUlT_SH_SI_SJ_E_clIS9_S9_SD_PlEESG_SW_SH_SI_SJ_EUlSW_E1_NS1_11comp_targetILNS1_3genE9ELNS1_11target_archE1100ELNS1_3gpuE3ELNS1_3repE0EEENS1_36merge_oddeven_config_static_selectorELNS0_4arch9wavefront6targetE1EEEvSI_.uses_vcc, 0
	.set _ZN7rocprim17ROCPRIM_400000_NS6detail17trampoline_kernelINS0_14default_configENS1_38merge_sort_block_merge_config_selectorIN3c104HalfElEEZZNS1_27merge_sort_block_merge_implIS3_PS6_N6thrust23THRUST_200600_302600_NS10device_ptrIlEEmNSB_4lessIS6_EEEE10hipError_tT0_T1_T2_jT3_P12ihipStream_tbPNSt15iterator_traitsISH_E10value_typeEPNSN_ISI_E10value_typeEPSJ_NS1_7vsmem_tEENKUlT_SH_SI_SJ_E_clIS9_S9_SD_PlEESG_SW_SH_SI_SJ_EUlSW_E1_NS1_11comp_targetILNS1_3genE9ELNS1_11target_archE1100ELNS1_3gpuE3ELNS1_3repE0EEENS1_36merge_oddeven_config_static_selectorELNS0_4arch9wavefront6targetE1EEEvSI_.uses_flat_scratch, 0
	.set _ZN7rocprim17ROCPRIM_400000_NS6detail17trampoline_kernelINS0_14default_configENS1_38merge_sort_block_merge_config_selectorIN3c104HalfElEEZZNS1_27merge_sort_block_merge_implIS3_PS6_N6thrust23THRUST_200600_302600_NS10device_ptrIlEEmNSB_4lessIS6_EEEE10hipError_tT0_T1_T2_jT3_P12ihipStream_tbPNSt15iterator_traitsISH_E10value_typeEPNSN_ISI_E10value_typeEPSJ_NS1_7vsmem_tEENKUlT_SH_SI_SJ_E_clIS9_S9_SD_PlEESG_SW_SH_SI_SJ_EUlSW_E1_NS1_11comp_targetILNS1_3genE9ELNS1_11target_archE1100ELNS1_3gpuE3ELNS1_3repE0EEENS1_36merge_oddeven_config_static_selectorELNS0_4arch9wavefront6targetE1EEEvSI_.has_dyn_sized_stack, 0
	.set _ZN7rocprim17ROCPRIM_400000_NS6detail17trampoline_kernelINS0_14default_configENS1_38merge_sort_block_merge_config_selectorIN3c104HalfElEEZZNS1_27merge_sort_block_merge_implIS3_PS6_N6thrust23THRUST_200600_302600_NS10device_ptrIlEEmNSB_4lessIS6_EEEE10hipError_tT0_T1_T2_jT3_P12ihipStream_tbPNSt15iterator_traitsISH_E10value_typeEPNSN_ISI_E10value_typeEPSJ_NS1_7vsmem_tEENKUlT_SH_SI_SJ_E_clIS9_S9_SD_PlEESG_SW_SH_SI_SJ_EUlSW_E1_NS1_11comp_targetILNS1_3genE9ELNS1_11target_archE1100ELNS1_3gpuE3ELNS1_3repE0EEENS1_36merge_oddeven_config_static_selectorELNS0_4arch9wavefront6targetE1EEEvSI_.has_recursion, 0
	.set _ZN7rocprim17ROCPRIM_400000_NS6detail17trampoline_kernelINS0_14default_configENS1_38merge_sort_block_merge_config_selectorIN3c104HalfElEEZZNS1_27merge_sort_block_merge_implIS3_PS6_N6thrust23THRUST_200600_302600_NS10device_ptrIlEEmNSB_4lessIS6_EEEE10hipError_tT0_T1_T2_jT3_P12ihipStream_tbPNSt15iterator_traitsISH_E10value_typeEPNSN_ISI_E10value_typeEPSJ_NS1_7vsmem_tEENKUlT_SH_SI_SJ_E_clIS9_S9_SD_PlEESG_SW_SH_SI_SJ_EUlSW_E1_NS1_11comp_targetILNS1_3genE9ELNS1_11target_archE1100ELNS1_3gpuE3ELNS1_3repE0EEENS1_36merge_oddeven_config_static_selectorELNS0_4arch9wavefront6targetE1EEEvSI_.has_indirect_call, 0
	.section	.AMDGPU.csdata,"",@progbits
; Kernel info:
; codeLenInByte = 0
; TotalNumSgprs: 4
; NumVgprs: 0
; ScratchSize: 0
; MemoryBound: 0
; FloatMode: 240
; IeeeMode: 1
; LDSByteSize: 0 bytes/workgroup (compile time only)
; SGPRBlocks: 0
; VGPRBlocks: 0
; NumSGPRsForWavesPerEU: 4
; NumVGPRsForWavesPerEU: 1
; Occupancy: 10
; WaveLimiterHint : 0
; COMPUTE_PGM_RSRC2:SCRATCH_EN: 0
; COMPUTE_PGM_RSRC2:USER_SGPR: 6
; COMPUTE_PGM_RSRC2:TRAP_HANDLER: 0
; COMPUTE_PGM_RSRC2:TGID_X_EN: 1
; COMPUTE_PGM_RSRC2:TGID_Y_EN: 0
; COMPUTE_PGM_RSRC2:TGID_Z_EN: 0
; COMPUTE_PGM_RSRC2:TIDIG_COMP_CNT: 0
	.section	.text._ZN7rocprim17ROCPRIM_400000_NS6detail17trampoline_kernelINS0_14default_configENS1_38merge_sort_block_merge_config_selectorIN3c104HalfElEEZZNS1_27merge_sort_block_merge_implIS3_PS6_N6thrust23THRUST_200600_302600_NS10device_ptrIlEEmNSB_4lessIS6_EEEE10hipError_tT0_T1_T2_jT3_P12ihipStream_tbPNSt15iterator_traitsISH_E10value_typeEPNSN_ISI_E10value_typeEPSJ_NS1_7vsmem_tEENKUlT_SH_SI_SJ_E_clIS9_S9_SD_PlEESG_SW_SH_SI_SJ_EUlSW_E1_NS1_11comp_targetILNS1_3genE8ELNS1_11target_archE1030ELNS1_3gpuE2ELNS1_3repE0EEENS1_36merge_oddeven_config_static_selectorELNS0_4arch9wavefront6targetE1EEEvSI_,"axG",@progbits,_ZN7rocprim17ROCPRIM_400000_NS6detail17trampoline_kernelINS0_14default_configENS1_38merge_sort_block_merge_config_selectorIN3c104HalfElEEZZNS1_27merge_sort_block_merge_implIS3_PS6_N6thrust23THRUST_200600_302600_NS10device_ptrIlEEmNSB_4lessIS6_EEEE10hipError_tT0_T1_T2_jT3_P12ihipStream_tbPNSt15iterator_traitsISH_E10value_typeEPNSN_ISI_E10value_typeEPSJ_NS1_7vsmem_tEENKUlT_SH_SI_SJ_E_clIS9_S9_SD_PlEESG_SW_SH_SI_SJ_EUlSW_E1_NS1_11comp_targetILNS1_3genE8ELNS1_11target_archE1030ELNS1_3gpuE2ELNS1_3repE0EEENS1_36merge_oddeven_config_static_selectorELNS0_4arch9wavefront6targetE1EEEvSI_,comdat
	.protected	_ZN7rocprim17ROCPRIM_400000_NS6detail17trampoline_kernelINS0_14default_configENS1_38merge_sort_block_merge_config_selectorIN3c104HalfElEEZZNS1_27merge_sort_block_merge_implIS3_PS6_N6thrust23THRUST_200600_302600_NS10device_ptrIlEEmNSB_4lessIS6_EEEE10hipError_tT0_T1_T2_jT3_P12ihipStream_tbPNSt15iterator_traitsISH_E10value_typeEPNSN_ISI_E10value_typeEPSJ_NS1_7vsmem_tEENKUlT_SH_SI_SJ_E_clIS9_S9_SD_PlEESG_SW_SH_SI_SJ_EUlSW_E1_NS1_11comp_targetILNS1_3genE8ELNS1_11target_archE1030ELNS1_3gpuE2ELNS1_3repE0EEENS1_36merge_oddeven_config_static_selectorELNS0_4arch9wavefront6targetE1EEEvSI_ ; -- Begin function _ZN7rocprim17ROCPRIM_400000_NS6detail17trampoline_kernelINS0_14default_configENS1_38merge_sort_block_merge_config_selectorIN3c104HalfElEEZZNS1_27merge_sort_block_merge_implIS3_PS6_N6thrust23THRUST_200600_302600_NS10device_ptrIlEEmNSB_4lessIS6_EEEE10hipError_tT0_T1_T2_jT3_P12ihipStream_tbPNSt15iterator_traitsISH_E10value_typeEPNSN_ISI_E10value_typeEPSJ_NS1_7vsmem_tEENKUlT_SH_SI_SJ_E_clIS9_S9_SD_PlEESG_SW_SH_SI_SJ_EUlSW_E1_NS1_11comp_targetILNS1_3genE8ELNS1_11target_archE1030ELNS1_3gpuE2ELNS1_3repE0EEENS1_36merge_oddeven_config_static_selectorELNS0_4arch9wavefront6targetE1EEEvSI_
	.globl	_ZN7rocprim17ROCPRIM_400000_NS6detail17trampoline_kernelINS0_14default_configENS1_38merge_sort_block_merge_config_selectorIN3c104HalfElEEZZNS1_27merge_sort_block_merge_implIS3_PS6_N6thrust23THRUST_200600_302600_NS10device_ptrIlEEmNSB_4lessIS6_EEEE10hipError_tT0_T1_T2_jT3_P12ihipStream_tbPNSt15iterator_traitsISH_E10value_typeEPNSN_ISI_E10value_typeEPSJ_NS1_7vsmem_tEENKUlT_SH_SI_SJ_E_clIS9_S9_SD_PlEESG_SW_SH_SI_SJ_EUlSW_E1_NS1_11comp_targetILNS1_3genE8ELNS1_11target_archE1030ELNS1_3gpuE2ELNS1_3repE0EEENS1_36merge_oddeven_config_static_selectorELNS0_4arch9wavefront6targetE1EEEvSI_
	.p2align	8
	.type	_ZN7rocprim17ROCPRIM_400000_NS6detail17trampoline_kernelINS0_14default_configENS1_38merge_sort_block_merge_config_selectorIN3c104HalfElEEZZNS1_27merge_sort_block_merge_implIS3_PS6_N6thrust23THRUST_200600_302600_NS10device_ptrIlEEmNSB_4lessIS6_EEEE10hipError_tT0_T1_T2_jT3_P12ihipStream_tbPNSt15iterator_traitsISH_E10value_typeEPNSN_ISI_E10value_typeEPSJ_NS1_7vsmem_tEENKUlT_SH_SI_SJ_E_clIS9_S9_SD_PlEESG_SW_SH_SI_SJ_EUlSW_E1_NS1_11comp_targetILNS1_3genE8ELNS1_11target_archE1030ELNS1_3gpuE2ELNS1_3repE0EEENS1_36merge_oddeven_config_static_selectorELNS0_4arch9wavefront6targetE1EEEvSI_,@function
_ZN7rocprim17ROCPRIM_400000_NS6detail17trampoline_kernelINS0_14default_configENS1_38merge_sort_block_merge_config_selectorIN3c104HalfElEEZZNS1_27merge_sort_block_merge_implIS3_PS6_N6thrust23THRUST_200600_302600_NS10device_ptrIlEEmNSB_4lessIS6_EEEE10hipError_tT0_T1_T2_jT3_P12ihipStream_tbPNSt15iterator_traitsISH_E10value_typeEPNSN_ISI_E10value_typeEPSJ_NS1_7vsmem_tEENKUlT_SH_SI_SJ_E_clIS9_S9_SD_PlEESG_SW_SH_SI_SJ_EUlSW_E1_NS1_11comp_targetILNS1_3genE8ELNS1_11target_archE1030ELNS1_3gpuE2ELNS1_3repE0EEENS1_36merge_oddeven_config_static_selectorELNS0_4arch9wavefront6targetE1EEEvSI_: ; @_ZN7rocprim17ROCPRIM_400000_NS6detail17trampoline_kernelINS0_14default_configENS1_38merge_sort_block_merge_config_selectorIN3c104HalfElEEZZNS1_27merge_sort_block_merge_implIS3_PS6_N6thrust23THRUST_200600_302600_NS10device_ptrIlEEmNSB_4lessIS6_EEEE10hipError_tT0_T1_T2_jT3_P12ihipStream_tbPNSt15iterator_traitsISH_E10value_typeEPNSN_ISI_E10value_typeEPSJ_NS1_7vsmem_tEENKUlT_SH_SI_SJ_E_clIS9_S9_SD_PlEESG_SW_SH_SI_SJ_EUlSW_E1_NS1_11comp_targetILNS1_3genE8ELNS1_11target_archE1030ELNS1_3gpuE2ELNS1_3repE0EEENS1_36merge_oddeven_config_static_selectorELNS0_4arch9wavefront6targetE1EEEvSI_
; %bb.0:
	.section	.rodata,"a",@progbits
	.p2align	6, 0x0
	.amdhsa_kernel _ZN7rocprim17ROCPRIM_400000_NS6detail17trampoline_kernelINS0_14default_configENS1_38merge_sort_block_merge_config_selectorIN3c104HalfElEEZZNS1_27merge_sort_block_merge_implIS3_PS6_N6thrust23THRUST_200600_302600_NS10device_ptrIlEEmNSB_4lessIS6_EEEE10hipError_tT0_T1_T2_jT3_P12ihipStream_tbPNSt15iterator_traitsISH_E10value_typeEPNSN_ISI_E10value_typeEPSJ_NS1_7vsmem_tEENKUlT_SH_SI_SJ_E_clIS9_S9_SD_PlEESG_SW_SH_SI_SJ_EUlSW_E1_NS1_11comp_targetILNS1_3genE8ELNS1_11target_archE1030ELNS1_3gpuE2ELNS1_3repE0EEENS1_36merge_oddeven_config_static_selectorELNS0_4arch9wavefront6targetE1EEEvSI_
		.amdhsa_group_segment_fixed_size 0
		.amdhsa_private_segment_fixed_size 0
		.amdhsa_kernarg_size 56
		.amdhsa_user_sgpr_count 6
		.amdhsa_user_sgpr_private_segment_buffer 1
		.amdhsa_user_sgpr_dispatch_ptr 0
		.amdhsa_user_sgpr_queue_ptr 0
		.amdhsa_user_sgpr_kernarg_segment_ptr 1
		.amdhsa_user_sgpr_dispatch_id 0
		.amdhsa_user_sgpr_flat_scratch_init 0
		.amdhsa_user_sgpr_private_segment_size 0
		.amdhsa_uses_dynamic_stack 0
		.amdhsa_system_sgpr_private_segment_wavefront_offset 0
		.amdhsa_system_sgpr_workgroup_id_x 1
		.amdhsa_system_sgpr_workgroup_id_y 0
		.amdhsa_system_sgpr_workgroup_id_z 0
		.amdhsa_system_sgpr_workgroup_info 0
		.amdhsa_system_vgpr_workitem_id 0
		.amdhsa_next_free_vgpr 1
		.amdhsa_next_free_sgpr 0
		.amdhsa_reserve_vcc 0
		.amdhsa_reserve_flat_scratch 0
		.amdhsa_float_round_mode_32 0
		.amdhsa_float_round_mode_16_64 0
		.amdhsa_float_denorm_mode_32 3
		.amdhsa_float_denorm_mode_16_64 3
		.amdhsa_dx10_clamp 1
		.amdhsa_ieee_mode 1
		.amdhsa_fp16_overflow 0
		.amdhsa_exception_fp_ieee_invalid_op 0
		.amdhsa_exception_fp_denorm_src 0
		.amdhsa_exception_fp_ieee_div_zero 0
		.amdhsa_exception_fp_ieee_overflow 0
		.amdhsa_exception_fp_ieee_underflow 0
		.amdhsa_exception_fp_ieee_inexact 0
		.amdhsa_exception_int_div_zero 0
	.end_amdhsa_kernel
	.section	.text._ZN7rocprim17ROCPRIM_400000_NS6detail17trampoline_kernelINS0_14default_configENS1_38merge_sort_block_merge_config_selectorIN3c104HalfElEEZZNS1_27merge_sort_block_merge_implIS3_PS6_N6thrust23THRUST_200600_302600_NS10device_ptrIlEEmNSB_4lessIS6_EEEE10hipError_tT0_T1_T2_jT3_P12ihipStream_tbPNSt15iterator_traitsISH_E10value_typeEPNSN_ISI_E10value_typeEPSJ_NS1_7vsmem_tEENKUlT_SH_SI_SJ_E_clIS9_S9_SD_PlEESG_SW_SH_SI_SJ_EUlSW_E1_NS1_11comp_targetILNS1_3genE8ELNS1_11target_archE1030ELNS1_3gpuE2ELNS1_3repE0EEENS1_36merge_oddeven_config_static_selectorELNS0_4arch9wavefront6targetE1EEEvSI_,"axG",@progbits,_ZN7rocprim17ROCPRIM_400000_NS6detail17trampoline_kernelINS0_14default_configENS1_38merge_sort_block_merge_config_selectorIN3c104HalfElEEZZNS1_27merge_sort_block_merge_implIS3_PS6_N6thrust23THRUST_200600_302600_NS10device_ptrIlEEmNSB_4lessIS6_EEEE10hipError_tT0_T1_T2_jT3_P12ihipStream_tbPNSt15iterator_traitsISH_E10value_typeEPNSN_ISI_E10value_typeEPSJ_NS1_7vsmem_tEENKUlT_SH_SI_SJ_E_clIS9_S9_SD_PlEESG_SW_SH_SI_SJ_EUlSW_E1_NS1_11comp_targetILNS1_3genE8ELNS1_11target_archE1030ELNS1_3gpuE2ELNS1_3repE0EEENS1_36merge_oddeven_config_static_selectorELNS0_4arch9wavefront6targetE1EEEvSI_,comdat
.Lfunc_end2171:
	.size	_ZN7rocprim17ROCPRIM_400000_NS6detail17trampoline_kernelINS0_14default_configENS1_38merge_sort_block_merge_config_selectorIN3c104HalfElEEZZNS1_27merge_sort_block_merge_implIS3_PS6_N6thrust23THRUST_200600_302600_NS10device_ptrIlEEmNSB_4lessIS6_EEEE10hipError_tT0_T1_T2_jT3_P12ihipStream_tbPNSt15iterator_traitsISH_E10value_typeEPNSN_ISI_E10value_typeEPSJ_NS1_7vsmem_tEENKUlT_SH_SI_SJ_E_clIS9_S9_SD_PlEESG_SW_SH_SI_SJ_EUlSW_E1_NS1_11comp_targetILNS1_3genE8ELNS1_11target_archE1030ELNS1_3gpuE2ELNS1_3repE0EEENS1_36merge_oddeven_config_static_selectorELNS0_4arch9wavefront6targetE1EEEvSI_, .Lfunc_end2171-_ZN7rocprim17ROCPRIM_400000_NS6detail17trampoline_kernelINS0_14default_configENS1_38merge_sort_block_merge_config_selectorIN3c104HalfElEEZZNS1_27merge_sort_block_merge_implIS3_PS6_N6thrust23THRUST_200600_302600_NS10device_ptrIlEEmNSB_4lessIS6_EEEE10hipError_tT0_T1_T2_jT3_P12ihipStream_tbPNSt15iterator_traitsISH_E10value_typeEPNSN_ISI_E10value_typeEPSJ_NS1_7vsmem_tEENKUlT_SH_SI_SJ_E_clIS9_S9_SD_PlEESG_SW_SH_SI_SJ_EUlSW_E1_NS1_11comp_targetILNS1_3genE8ELNS1_11target_archE1030ELNS1_3gpuE2ELNS1_3repE0EEENS1_36merge_oddeven_config_static_selectorELNS0_4arch9wavefront6targetE1EEEvSI_
                                        ; -- End function
	.set _ZN7rocprim17ROCPRIM_400000_NS6detail17trampoline_kernelINS0_14default_configENS1_38merge_sort_block_merge_config_selectorIN3c104HalfElEEZZNS1_27merge_sort_block_merge_implIS3_PS6_N6thrust23THRUST_200600_302600_NS10device_ptrIlEEmNSB_4lessIS6_EEEE10hipError_tT0_T1_T2_jT3_P12ihipStream_tbPNSt15iterator_traitsISH_E10value_typeEPNSN_ISI_E10value_typeEPSJ_NS1_7vsmem_tEENKUlT_SH_SI_SJ_E_clIS9_S9_SD_PlEESG_SW_SH_SI_SJ_EUlSW_E1_NS1_11comp_targetILNS1_3genE8ELNS1_11target_archE1030ELNS1_3gpuE2ELNS1_3repE0EEENS1_36merge_oddeven_config_static_selectorELNS0_4arch9wavefront6targetE1EEEvSI_.num_vgpr, 0
	.set _ZN7rocprim17ROCPRIM_400000_NS6detail17trampoline_kernelINS0_14default_configENS1_38merge_sort_block_merge_config_selectorIN3c104HalfElEEZZNS1_27merge_sort_block_merge_implIS3_PS6_N6thrust23THRUST_200600_302600_NS10device_ptrIlEEmNSB_4lessIS6_EEEE10hipError_tT0_T1_T2_jT3_P12ihipStream_tbPNSt15iterator_traitsISH_E10value_typeEPNSN_ISI_E10value_typeEPSJ_NS1_7vsmem_tEENKUlT_SH_SI_SJ_E_clIS9_S9_SD_PlEESG_SW_SH_SI_SJ_EUlSW_E1_NS1_11comp_targetILNS1_3genE8ELNS1_11target_archE1030ELNS1_3gpuE2ELNS1_3repE0EEENS1_36merge_oddeven_config_static_selectorELNS0_4arch9wavefront6targetE1EEEvSI_.num_agpr, 0
	.set _ZN7rocprim17ROCPRIM_400000_NS6detail17trampoline_kernelINS0_14default_configENS1_38merge_sort_block_merge_config_selectorIN3c104HalfElEEZZNS1_27merge_sort_block_merge_implIS3_PS6_N6thrust23THRUST_200600_302600_NS10device_ptrIlEEmNSB_4lessIS6_EEEE10hipError_tT0_T1_T2_jT3_P12ihipStream_tbPNSt15iterator_traitsISH_E10value_typeEPNSN_ISI_E10value_typeEPSJ_NS1_7vsmem_tEENKUlT_SH_SI_SJ_E_clIS9_S9_SD_PlEESG_SW_SH_SI_SJ_EUlSW_E1_NS1_11comp_targetILNS1_3genE8ELNS1_11target_archE1030ELNS1_3gpuE2ELNS1_3repE0EEENS1_36merge_oddeven_config_static_selectorELNS0_4arch9wavefront6targetE1EEEvSI_.numbered_sgpr, 0
	.set _ZN7rocprim17ROCPRIM_400000_NS6detail17trampoline_kernelINS0_14default_configENS1_38merge_sort_block_merge_config_selectorIN3c104HalfElEEZZNS1_27merge_sort_block_merge_implIS3_PS6_N6thrust23THRUST_200600_302600_NS10device_ptrIlEEmNSB_4lessIS6_EEEE10hipError_tT0_T1_T2_jT3_P12ihipStream_tbPNSt15iterator_traitsISH_E10value_typeEPNSN_ISI_E10value_typeEPSJ_NS1_7vsmem_tEENKUlT_SH_SI_SJ_E_clIS9_S9_SD_PlEESG_SW_SH_SI_SJ_EUlSW_E1_NS1_11comp_targetILNS1_3genE8ELNS1_11target_archE1030ELNS1_3gpuE2ELNS1_3repE0EEENS1_36merge_oddeven_config_static_selectorELNS0_4arch9wavefront6targetE1EEEvSI_.num_named_barrier, 0
	.set _ZN7rocprim17ROCPRIM_400000_NS6detail17trampoline_kernelINS0_14default_configENS1_38merge_sort_block_merge_config_selectorIN3c104HalfElEEZZNS1_27merge_sort_block_merge_implIS3_PS6_N6thrust23THRUST_200600_302600_NS10device_ptrIlEEmNSB_4lessIS6_EEEE10hipError_tT0_T1_T2_jT3_P12ihipStream_tbPNSt15iterator_traitsISH_E10value_typeEPNSN_ISI_E10value_typeEPSJ_NS1_7vsmem_tEENKUlT_SH_SI_SJ_E_clIS9_S9_SD_PlEESG_SW_SH_SI_SJ_EUlSW_E1_NS1_11comp_targetILNS1_3genE8ELNS1_11target_archE1030ELNS1_3gpuE2ELNS1_3repE0EEENS1_36merge_oddeven_config_static_selectorELNS0_4arch9wavefront6targetE1EEEvSI_.private_seg_size, 0
	.set _ZN7rocprim17ROCPRIM_400000_NS6detail17trampoline_kernelINS0_14default_configENS1_38merge_sort_block_merge_config_selectorIN3c104HalfElEEZZNS1_27merge_sort_block_merge_implIS3_PS6_N6thrust23THRUST_200600_302600_NS10device_ptrIlEEmNSB_4lessIS6_EEEE10hipError_tT0_T1_T2_jT3_P12ihipStream_tbPNSt15iterator_traitsISH_E10value_typeEPNSN_ISI_E10value_typeEPSJ_NS1_7vsmem_tEENKUlT_SH_SI_SJ_E_clIS9_S9_SD_PlEESG_SW_SH_SI_SJ_EUlSW_E1_NS1_11comp_targetILNS1_3genE8ELNS1_11target_archE1030ELNS1_3gpuE2ELNS1_3repE0EEENS1_36merge_oddeven_config_static_selectorELNS0_4arch9wavefront6targetE1EEEvSI_.uses_vcc, 0
	.set _ZN7rocprim17ROCPRIM_400000_NS6detail17trampoline_kernelINS0_14default_configENS1_38merge_sort_block_merge_config_selectorIN3c104HalfElEEZZNS1_27merge_sort_block_merge_implIS3_PS6_N6thrust23THRUST_200600_302600_NS10device_ptrIlEEmNSB_4lessIS6_EEEE10hipError_tT0_T1_T2_jT3_P12ihipStream_tbPNSt15iterator_traitsISH_E10value_typeEPNSN_ISI_E10value_typeEPSJ_NS1_7vsmem_tEENKUlT_SH_SI_SJ_E_clIS9_S9_SD_PlEESG_SW_SH_SI_SJ_EUlSW_E1_NS1_11comp_targetILNS1_3genE8ELNS1_11target_archE1030ELNS1_3gpuE2ELNS1_3repE0EEENS1_36merge_oddeven_config_static_selectorELNS0_4arch9wavefront6targetE1EEEvSI_.uses_flat_scratch, 0
	.set _ZN7rocprim17ROCPRIM_400000_NS6detail17trampoline_kernelINS0_14default_configENS1_38merge_sort_block_merge_config_selectorIN3c104HalfElEEZZNS1_27merge_sort_block_merge_implIS3_PS6_N6thrust23THRUST_200600_302600_NS10device_ptrIlEEmNSB_4lessIS6_EEEE10hipError_tT0_T1_T2_jT3_P12ihipStream_tbPNSt15iterator_traitsISH_E10value_typeEPNSN_ISI_E10value_typeEPSJ_NS1_7vsmem_tEENKUlT_SH_SI_SJ_E_clIS9_S9_SD_PlEESG_SW_SH_SI_SJ_EUlSW_E1_NS1_11comp_targetILNS1_3genE8ELNS1_11target_archE1030ELNS1_3gpuE2ELNS1_3repE0EEENS1_36merge_oddeven_config_static_selectorELNS0_4arch9wavefront6targetE1EEEvSI_.has_dyn_sized_stack, 0
	.set _ZN7rocprim17ROCPRIM_400000_NS6detail17trampoline_kernelINS0_14default_configENS1_38merge_sort_block_merge_config_selectorIN3c104HalfElEEZZNS1_27merge_sort_block_merge_implIS3_PS6_N6thrust23THRUST_200600_302600_NS10device_ptrIlEEmNSB_4lessIS6_EEEE10hipError_tT0_T1_T2_jT3_P12ihipStream_tbPNSt15iterator_traitsISH_E10value_typeEPNSN_ISI_E10value_typeEPSJ_NS1_7vsmem_tEENKUlT_SH_SI_SJ_E_clIS9_S9_SD_PlEESG_SW_SH_SI_SJ_EUlSW_E1_NS1_11comp_targetILNS1_3genE8ELNS1_11target_archE1030ELNS1_3gpuE2ELNS1_3repE0EEENS1_36merge_oddeven_config_static_selectorELNS0_4arch9wavefront6targetE1EEEvSI_.has_recursion, 0
	.set _ZN7rocprim17ROCPRIM_400000_NS6detail17trampoline_kernelINS0_14default_configENS1_38merge_sort_block_merge_config_selectorIN3c104HalfElEEZZNS1_27merge_sort_block_merge_implIS3_PS6_N6thrust23THRUST_200600_302600_NS10device_ptrIlEEmNSB_4lessIS6_EEEE10hipError_tT0_T1_T2_jT3_P12ihipStream_tbPNSt15iterator_traitsISH_E10value_typeEPNSN_ISI_E10value_typeEPSJ_NS1_7vsmem_tEENKUlT_SH_SI_SJ_E_clIS9_S9_SD_PlEESG_SW_SH_SI_SJ_EUlSW_E1_NS1_11comp_targetILNS1_3genE8ELNS1_11target_archE1030ELNS1_3gpuE2ELNS1_3repE0EEENS1_36merge_oddeven_config_static_selectorELNS0_4arch9wavefront6targetE1EEEvSI_.has_indirect_call, 0
	.section	.AMDGPU.csdata,"",@progbits
; Kernel info:
; codeLenInByte = 0
; TotalNumSgprs: 4
; NumVgprs: 0
; ScratchSize: 0
; MemoryBound: 0
; FloatMode: 240
; IeeeMode: 1
; LDSByteSize: 0 bytes/workgroup (compile time only)
; SGPRBlocks: 0
; VGPRBlocks: 0
; NumSGPRsForWavesPerEU: 4
; NumVGPRsForWavesPerEU: 1
; Occupancy: 10
; WaveLimiterHint : 0
; COMPUTE_PGM_RSRC2:SCRATCH_EN: 0
; COMPUTE_PGM_RSRC2:USER_SGPR: 6
; COMPUTE_PGM_RSRC2:TRAP_HANDLER: 0
; COMPUTE_PGM_RSRC2:TGID_X_EN: 1
; COMPUTE_PGM_RSRC2:TGID_Y_EN: 0
; COMPUTE_PGM_RSRC2:TGID_Z_EN: 0
; COMPUTE_PGM_RSRC2:TIDIG_COMP_CNT: 0
	.section	.text._ZN7rocprim17ROCPRIM_400000_NS6detail17trampoline_kernelINS0_14default_configENS1_25transform_config_selectorIN3c104HalfELb1EEEZNS1_14transform_implILb1ES3_S7_PS6_S9_NS0_8identityIS6_EEEE10hipError_tT2_T3_mT4_P12ihipStream_tbEUlT_E_NS1_11comp_targetILNS1_3genE0ELNS1_11target_archE4294967295ELNS1_3gpuE0ELNS1_3repE0EEENS1_30default_config_static_selectorELNS0_4arch9wavefront6targetE1EEEvT1_,"axG",@progbits,_ZN7rocprim17ROCPRIM_400000_NS6detail17trampoline_kernelINS0_14default_configENS1_25transform_config_selectorIN3c104HalfELb1EEEZNS1_14transform_implILb1ES3_S7_PS6_S9_NS0_8identityIS6_EEEE10hipError_tT2_T3_mT4_P12ihipStream_tbEUlT_E_NS1_11comp_targetILNS1_3genE0ELNS1_11target_archE4294967295ELNS1_3gpuE0ELNS1_3repE0EEENS1_30default_config_static_selectorELNS0_4arch9wavefront6targetE1EEEvT1_,comdat
	.protected	_ZN7rocprim17ROCPRIM_400000_NS6detail17trampoline_kernelINS0_14default_configENS1_25transform_config_selectorIN3c104HalfELb1EEEZNS1_14transform_implILb1ES3_S7_PS6_S9_NS0_8identityIS6_EEEE10hipError_tT2_T3_mT4_P12ihipStream_tbEUlT_E_NS1_11comp_targetILNS1_3genE0ELNS1_11target_archE4294967295ELNS1_3gpuE0ELNS1_3repE0EEENS1_30default_config_static_selectorELNS0_4arch9wavefront6targetE1EEEvT1_ ; -- Begin function _ZN7rocprim17ROCPRIM_400000_NS6detail17trampoline_kernelINS0_14default_configENS1_25transform_config_selectorIN3c104HalfELb1EEEZNS1_14transform_implILb1ES3_S7_PS6_S9_NS0_8identityIS6_EEEE10hipError_tT2_T3_mT4_P12ihipStream_tbEUlT_E_NS1_11comp_targetILNS1_3genE0ELNS1_11target_archE4294967295ELNS1_3gpuE0ELNS1_3repE0EEENS1_30default_config_static_selectorELNS0_4arch9wavefront6targetE1EEEvT1_
	.globl	_ZN7rocprim17ROCPRIM_400000_NS6detail17trampoline_kernelINS0_14default_configENS1_25transform_config_selectorIN3c104HalfELb1EEEZNS1_14transform_implILb1ES3_S7_PS6_S9_NS0_8identityIS6_EEEE10hipError_tT2_T3_mT4_P12ihipStream_tbEUlT_E_NS1_11comp_targetILNS1_3genE0ELNS1_11target_archE4294967295ELNS1_3gpuE0ELNS1_3repE0EEENS1_30default_config_static_selectorELNS0_4arch9wavefront6targetE1EEEvT1_
	.p2align	8
	.type	_ZN7rocprim17ROCPRIM_400000_NS6detail17trampoline_kernelINS0_14default_configENS1_25transform_config_selectorIN3c104HalfELb1EEEZNS1_14transform_implILb1ES3_S7_PS6_S9_NS0_8identityIS6_EEEE10hipError_tT2_T3_mT4_P12ihipStream_tbEUlT_E_NS1_11comp_targetILNS1_3genE0ELNS1_11target_archE4294967295ELNS1_3gpuE0ELNS1_3repE0EEENS1_30default_config_static_selectorELNS0_4arch9wavefront6targetE1EEEvT1_,@function
_ZN7rocprim17ROCPRIM_400000_NS6detail17trampoline_kernelINS0_14default_configENS1_25transform_config_selectorIN3c104HalfELb1EEEZNS1_14transform_implILb1ES3_S7_PS6_S9_NS0_8identityIS6_EEEE10hipError_tT2_T3_mT4_P12ihipStream_tbEUlT_E_NS1_11comp_targetILNS1_3genE0ELNS1_11target_archE4294967295ELNS1_3gpuE0ELNS1_3repE0EEENS1_30default_config_static_selectorELNS0_4arch9wavefront6targetE1EEEvT1_: ; @_ZN7rocprim17ROCPRIM_400000_NS6detail17trampoline_kernelINS0_14default_configENS1_25transform_config_selectorIN3c104HalfELb1EEEZNS1_14transform_implILb1ES3_S7_PS6_S9_NS0_8identityIS6_EEEE10hipError_tT2_T3_mT4_P12ihipStream_tbEUlT_E_NS1_11comp_targetILNS1_3genE0ELNS1_11target_archE4294967295ELNS1_3gpuE0ELNS1_3repE0EEENS1_30default_config_static_selectorELNS0_4arch9wavefront6targetE1EEEvT1_
; %bb.0:
	.section	.rodata,"a",@progbits
	.p2align	6, 0x0
	.amdhsa_kernel _ZN7rocprim17ROCPRIM_400000_NS6detail17trampoline_kernelINS0_14default_configENS1_25transform_config_selectorIN3c104HalfELb1EEEZNS1_14transform_implILb1ES3_S7_PS6_S9_NS0_8identityIS6_EEEE10hipError_tT2_T3_mT4_P12ihipStream_tbEUlT_E_NS1_11comp_targetILNS1_3genE0ELNS1_11target_archE4294967295ELNS1_3gpuE0ELNS1_3repE0EEENS1_30default_config_static_selectorELNS0_4arch9wavefront6targetE1EEEvT1_
		.amdhsa_group_segment_fixed_size 0
		.amdhsa_private_segment_fixed_size 0
		.amdhsa_kernarg_size 40
		.amdhsa_user_sgpr_count 6
		.amdhsa_user_sgpr_private_segment_buffer 1
		.amdhsa_user_sgpr_dispatch_ptr 0
		.amdhsa_user_sgpr_queue_ptr 0
		.amdhsa_user_sgpr_kernarg_segment_ptr 1
		.amdhsa_user_sgpr_dispatch_id 0
		.amdhsa_user_sgpr_flat_scratch_init 0
		.amdhsa_user_sgpr_private_segment_size 0
		.amdhsa_uses_dynamic_stack 0
		.amdhsa_system_sgpr_private_segment_wavefront_offset 0
		.amdhsa_system_sgpr_workgroup_id_x 1
		.amdhsa_system_sgpr_workgroup_id_y 0
		.amdhsa_system_sgpr_workgroup_id_z 0
		.amdhsa_system_sgpr_workgroup_info 0
		.amdhsa_system_vgpr_workitem_id 0
		.amdhsa_next_free_vgpr 1
		.amdhsa_next_free_sgpr 0
		.amdhsa_reserve_vcc 0
		.amdhsa_reserve_flat_scratch 0
		.amdhsa_float_round_mode_32 0
		.amdhsa_float_round_mode_16_64 0
		.amdhsa_float_denorm_mode_32 3
		.amdhsa_float_denorm_mode_16_64 3
		.amdhsa_dx10_clamp 1
		.amdhsa_ieee_mode 1
		.amdhsa_fp16_overflow 0
		.amdhsa_exception_fp_ieee_invalid_op 0
		.amdhsa_exception_fp_denorm_src 0
		.amdhsa_exception_fp_ieee_div_zero 0
		.amdhsa_exception_fp_ieee_overflow 0
		.amdhsa_exception_fp_ieee_underflow 0
		.amdhsa_exception_fp_ieee_inexact 0
		.amdhsa_exception_int_div_zero 0
	.end_amdhsa_kernel
	.section	.text._ZN7rocprim17ROCPRIM_400000_NS6detail17trampoline_kernelINS0_14default_configENS1_25transform_config_selectorIN3c104HalfELb1EEEZNS1_14transform_implILb1ES3_S7_PS6_S9_NS0_8identityIS6_EEEE10hipError_tT2_T3_mT4_P12ihipStream_tbEUlT_E_NS1_11comp_targetILNS1_3genE0ELNS1_11target_archE4294967295ELNS1_3gpuE0ELNS1_3repE0EEENS1_30default_config_static_selectorELNS0_4arch9wavefront6targetE1EEEvT1_,"axG",@progbits,_ZN7rocprim17ROCPRIM_400000_NS6detail17trampoline_kernelINS0_14default_configENS1_25transform_config_selectorIN3c104HalfELb1EEEZNS1_14transform_implILb1ES3_S7_PS6_S9_NS0_8identityIS6_EEEE10hipError_tT2_T3_mT4_P12ihipStream_tbEUlT_E_NS1_11comp_targetILNS1_3genE0ELNS1_11target_archE4294967295ELNS1_3gpuE0ELNS1_3repE0EEENS1_30default_config_static_selectorELNS0_4arch9wavefront6targetE1EEEvT1_,comdat
.Lfunc_end2172:
	.size	_ZN7rocprim17ROCPRIM_400000_NS6detail17trampoline_kernelINS0_14default_configENS1_25transform_config_selectorIN3c104HalfELb1EEEZNS1_14transform_implILb1ES3_S7_PS6_S9_NS0_8identityIS6_EEEE10hipError_tT2_T3_mT4_P12ihipStream_tbEUlT_E_NS1_11comp_targetILNS1_3genE0ELNS1_11target_archE4294967295ELNS1_3gpuE0ELNS1_3repE0EEENS1_30default_config_static_selectorELNS0_4arch9wavefront6targetE1EEEvT1_, .Lfunc_end2172-_ZN7rocprim17ROCPRIM_400000_NS6detail17trampoline_kernelINS0_14default_configENS1_25transform_config_selectorIN3c104HalfELb1EEEZNS1_14transform_implILb1ES3_S7_PS6_S9_NS0_8identityIS6_EEEE10hipError_tT2_T3_mT4_P12ihipStream_tbEUlT_E_NS1_11comp_targetILNS1_3genE0ELNS1_11target_archE4294967295ELNS1_3gpuE0ELNS1_3repE0EEENS1_30default_config_static_selectorELNS0_4arch9wavefront6targetE1EEEvT1_
                                        ; -- End function
	.set _ZN7rocprim17ROCPRIM_400000_NS6detail17trampoline_kernelINS0_14default_configENS1_25transform_config_selectorIN3c104HalfELb1EEEZNS1_14transform_implILb1ES3_S7_PS6_S9_NS0_8identityIS6_EEEE10hipError_tT2_T3_mT4_P12ihipStream_tbEUlT_E_NS1_11comp_targetILNS1_3genE0ELNS1_11target_archE4294967295ELNS1_3gpuE0ELNS1_3repE0EEENS1_30default_config_static_selectorELNS0_4arch9wavefront6targetE1EEEvT1_.num_vgpr, 0
	.set _ZN7rocprim17ROCPRIM_400000_NS6detail17trampoline_kernelINS0_14default_configENS1_25transform_config_selectorIN3c104HalfELb1EEEZNS1_14transform_implILb1ES3_S7_PS6_S9_NS0_8identityIS6_EEEE10hipError_tT2_T3_mT4_P12ihipStream_tbEUlT_E_NS1_11comp_targetILNS1_3genE0ELNS1_11target_archE4294967295ELNS1_3gpuE0ELNS1_3repE0EEENS1_30default_config_static_selectorELNS0_4arch9wavefront6targetE1EEEvT1_.num_agpr, 0
	.set _ZN7rocprim17ROCPRIM_400000_NS6detail17trampoline_kernelINS0_14default_configENS1_25transform_config_selectorIN3c104HalfELb1EEEZNS1_14transform_implILb1ES3_S7_PS6_S9_NS0_8identityIS6_EEEE10hipError_tT2_T3_mT4_P12ihipStream_tbEUlT_E_NS1_11comp_targetILNS1_3genE0ELNS1_11target_archE4294967295ELNS1_3gpuE0ELNS1_3repE0EEENS1_30default_config_static_selectorELNS0_4arch9wavefront6targetE1EEEvT1_.numbered_sgpr, 0
	.set _ZN7rocprim17ROCPRIM_400000_NS6detail17trampoline_kernelINS0_14default_configENS1_25transform_config_selectorIN3c104HalfELb1EEEZNS1_14transform_implILb1ES3_S7_PS6_S9_NS0_8identityIS6_EEEE10hipError_tT2_T3_mT4_P12ihipStream_tbEUlT_E_NS1_11comp_targetILNS1_3genE0ELNS1_11target_archE4294967295ELNS1_3gpuE0ELNS1_3repE0EEENS1_30default_config_static_selectorELNS0_4arch9wavefront6targetE1EEEvT1_.num_named_barrier, 0
	.set _ZN7rocprim17ROCPRIM_400000_NS6detail17trampoline_kernelINS0_14default_configENS1_25transform_config_selectorIN3c104HalfELb1EEEZNS1_14transform_implILb1ES3_S7_PS6_S9_NS0_8identityIS6_EEEE10hipError_tT2_T3_mT4_P12ihipStream_tbEUlT_E_NS1_11comp_targetILNS1_3genE0ELNS1_11target_archE4294967295ELNS1_3gpuE0ELNS1_3repE0EEENS1_30default_config_static_selectorELNS0_4arch9wavefront6targetE1EEEvT1_.private_seg_size, 0
	.set _ZN7rocprim17ROCPRIM_400000_NS6detail17trampoline_kernelINS0_14default_configENS1_25transform_config_selectorIN3c104HalfELb1EEEZNS1_14transform_implILb1ES3_S7_PS6_S9_NS0_8identityIS6_EEEE10hipError_tT2_T3_mT4_P12ihipStream_tbEUlT_E_NS1_11comp_targetILNS1_3genE0ELNS1_11target_archE4294967295ELNS1_3gpuE0ELNS1_3repE0EEENS1_30default_config_static_selectorELNS0_4arch9wavefront6targetE1EEEvT1_.uses_vcc, 0
	.set _ZN7rocprim17ROCPRIM_400000_NS6detail17trampoline_kernelINS0_14default_configENS1_25transform_config_selectorIN3c104HalfELb1EEEZNS1_14transform_implILb1ES3_S7_PS6_S9_NS0_8identityIS6_EEEE10hipError_tT2_T3_mT4_P12ihipStream_tbEUlT_E_NS1_11comp_targetILNS1_3genE0ELNS1_11target_archE4294967295ELNS1_3gpuE0ELNS1_3repE0EEENS1_30default_config_static_selectorELNS0_4arch9wavefront6targetE1EEEvT1_.uses_flat_scratch, 0
	.set _ZN7rocprim17ROCPRIM_400000_NS6detail17trampoline_kernelINS0_14default_configENS1_25transform_config_selectorIN3c104HalfELb1EEEZNS1_14transform_implILb1ES3_S7_PS6_S9_NS0_8identityIS6_EEEE10hipError_tT2_T3_mT4_P12ihipStream_tbEUlT_E_NS1_11comp_targetILNS1_3genE0ELNS1_11target_archE4294967295ELNS1_3gpuE0ELNS1_3repE0EEENS1_30default_config_static_selectorELNS0_4arch9wavefront6targetE1EEEvT1_.has_dyn_sized_stack, 0
	.set _ZN7rocprim17ROCPRIM_400000_NS6detail17trampoline_kernelINS0_14default_configENS1_25transform_config_selectorIN3c104HalfELb1EEEZNS1_14transform_implILb1ES3_S7_PS6_S9_NS0_8identityIS6_EEEE10hipError_tT2_T3_mT4_P12ihipStream_tbEUlT_E_NS1_11comp_targetILNS1_3genE0ELNS1_11target_archE4294967295ELNS1_3gpuE0ELNS1_3repE0EEENS1_30default_config_static_selectorELNS0_4arch9wavefront6targetE1EEEvT1_.has_recursion, 0
	.set _ZN7rocprim17ROCPRIM_400000_NS6detail17trampoline_kernelINS0_14default_configENS1_25transform_config_selectorIN3c104HalfELb1EEEZNS1_14transform_implILb1ES3_S7_PS6_S9_NS0_8identityIS6_EEEE10hipError_tT2_T3_mT4_P12ihipStream_tbEUlT_E_NS1_11comp_targetILNS1_3genE0ELNS1_11target_archE4294967295ELNS1_3gpuE0ELNS1_3repE0EEENS1_30default_config_static_selectorELNS0_4arch9wavefront6targetE1EEEvT1_.has_indirect_call, 0
	.section	.AMDGPU.csdata,"",@progbits
; Kernel info:
; codeLenInByte = 0
; TotalNumSgprs: 4
; NumVgprs: 0
; ScratchSize: 0
; MemoryBound: 0
; FloatMode: 240
; IeeeMode: 1
; LDSByteSize: 0 bytes/workgroup (compile time only)
; SGPRBlocks: 0
; VGPRBlocks: 0
; NumSGPRsForWavesPerEU: 4
; NumVGPRsForWavesPerEU: 1
; Occupancy: 10
; WaveLimiterHint : 0
; COMPUTE_PGM_RSRC2:SCRATCH_EN: 0
; COMPUTE_PGM_RSRC2:USER_SGPR: 6
; COMPUTE_PGM_RSRC2:TRAP_HANDLER: 0
; COMPUTE_PGM_RSRC2:TGID_X_EN: 1
; COMPUTE_PGM_RSRC2:TGID_Y_EN: 0
; COMPUTE_PGM_RSRC2:TGID_Z_EN: 0
; COMPUTE_PGM_RSRC2:TIDIG_COMP_CNT: 0
	.section	.text._ZN7rocprim17ROCPRIM_400000_NS6detail17trampoline_kernelINS0_14default_configENS1_25transform_config_selectorIN3c104HalfELb1EEEZNS1_14transform_implILb1ES3_S7_PS6_S9_NS0_8identityIS6_EEEE10hipError_tT2_T3_mT4_P12ihipStream_tbEUlT_E_NS1_11comp_targetILNS1_3genE10ELNS1_11target_archE1201ELNS1_3gpuE5ELNS1_3repE0EEENS1_30default_config_static_selectorELNS0_4arch9wavefront6targetE1EEEvT1_,"axG",@progbits,_ZN7rocprim17ROCPRIM_400000_NS6detail17trampoline_kernelINS0_14default_configENS1_25transform_config_selectorIN3c104HalfELb1EEEZNS1_14transform_implILb1ES3_S7_PS6_S9_NS0_8identityIS6_EEEE10hipError_tT2_T3_mT4_P12ihipStream_tbEUlT_E_NS1_11comp_targetILNS1_3genE10ELNS1_11target_archE1201ELNS1_3gpuE5ELNS1_3repE0EEENS1_30default_config_static_selectorELNS0_4arch9wavefront6targetE1EEEvT1_,comdat
	.protected	_ZN7rocprim17ROCPRIM_400000_NS6detail17trampoline_kernelINS0_14default_configENS1_25transform_config_selectorIN3c104HalfELb1EEEZNS1_14transform_implILb1ES3_S7_PS6_S9_NS0_8identityIS6_EEEE10hipError_tT2_T3_mT4_P12ihipStream_tbEUlT_E_NS1_11comp_targetILNS1_3genE10ELNS1_11target_archE1201ELNS1_3gpuE5ELNS1_3repE0EEENS1_30default_config_static_selectorELNS0_4arch9wavefront6targetE1EEEvT1_ ; -- Begin function _ZN7rocprim17ROCPRIM_400000_NS6detail17trampoline_kernelINS0_14default_configENS1_25transform_config_selectorIN3c104HalfELb1EEEZNS1_14transform_implILb1ES3_S7_PS6_S9_NS0_8identityIS6_EEEE10hipError_tT2_T3_mT4_P12ihipStream_tbEUlT_E_NS1_11comp_targetILNS1_3genE10ELNS1_11target_archE1201ELNS1_3gpuE5ELNS1_3repE0EEENS1_30default_config_static_selectorELNS0_4arch9wavefront6targetE1EEEvT1_
	.globl	_ZN7rocprim17ROCPRIM_400000_NS6detail17trampoline_kernelINS0_14default_configENS1_25transform_config_selectorIN3c104HalfELb1EEEZNS1_14transform_implILb1ES3_S7_PS6_S9_NS0_8identityIS6_EEEE10hipError_tT2_T3_mT4_P12ihipStream_tbEUlT_E_NS1_11comp_targetILNS1_3genE10ELNS1_11target_archE1201ELNS1_3gpuE5ELNS1_3repE0EEENS1_30default_config_static_selectorELNS0_4arch9wavefront6targetE1EEEvT1_
	.p2align	8
	.type	_ZN7rocprim17ROCPRIM_400000_NS6detail17trampoline_kernelINS0_14default_configENS1_25transform_config_selectorIN3c104HalfELb1EEEZNS1_14transform_implILb1ES3_S7_PS6_S9_NS0_8identityIS6_EEEE10hipError_tT2_T3_mT4_P12ihipStream_tbEUlT_E_NS1_11comp_targetILNS1_3genE10ELNS1_11target_archE1201ELNS1_3gpuE5ELNS1_3repE0EEENS1_30default_config_static_selectorELNS0_4arch9wavefront6targetE1EEEvT1_,@function
_ZN7rocprim17ROCPRIM_400000_NS6detail17trampoline_kernelINS0_14default_configENS1_25transform_config_selectorIN3c104HalfELb1EEEZNS1_14transform_implILb1ES3_S7_PS6_S9_NS0_8identityIS6_EEEE10hipError_tT2_T3_mT4_P12ihipStream_tbEUlT_E_NS1_11comp_targetILNS1_3genE10ELNS1_11target_archE1201ELNS1_3gpuE5ELNS1_3repE0EEENS1_30default_config_static_selectorELNS0_4arch9wavefront6targetE1EEEvT1_: ; @_ZN7rocprim17ROCPRIM_400000_NS6detail17trampoline_kernelINS0_14default_configENS1_25transform_config_selectorIN3c104HalfELb1EEEZNS1_14transform_implILb1ES3_S7_PS6_S9_NS0_8identityIS6_EEEE10hipError_tT2_T3_mT4_P12ihipStream_tbEUlT_E_NS1_11comp_targetILNS1_3genE10ELNS1_11target_archE1201ELNS1_3gpuE5ELNS1_3repE0EEENS1_30default_config_static_selectorELNS0_4arch9wavefront6targetE1EEEvT1_
; %bb.0:
	.section	.rodata,"a",@progbits
	.p2align	6, 0x0
	.amdhsa_kernel _ZN7rocprim17ROCPRIM_400000_NS6detail17trampoline_kernelINS0_14default_configENS1_25transform_config_selectorIN3c104HalfELb1EEEZNS1_14transform_implILb1ES3_S7_PS6_S9_NS0_8identityIS6_EEEE10hipError_tT2_T3_mT4_P12ihipStream_tbEUlT_E_NS1_11comp_targetILNS1_3genE10ELNS1_11target_archE1201ELNS1_3gpuE5ELNS1_3repE0EEENS1_30default_config_static_selectorELNS0_4arch9wavefront6targetE1EEEvT1_
		.amdhsa_group_segment_fixed_size 0
		.amdhsa_private_segment_fixed_size 0
		.amdhsa_kernarg_size 40
		.amdhsa_user_sgpr_count 6
		.amdhsa_user_sgpr_private_segment_buffer 1
		.amdhsa_user_sgpr_dispatch_ptr 0
		.amdhsa_user_sgpr_queue_ptr 0
		.amdhsa_user_sgpr_kernarg_segment_ptr 1
		.amdhsa_user_sgpr_dispatch_id 0
		.amdhsa_user_sgpr_flat_scratch_init 0
		.amdhsa_user_sgpr_private_segment_size 0
		.amdhsa_uses_dynamic_stack 0
		.amdhsa_system_sgpr_private_segment_wavefront_offset 0
		.amdhsa_system_sgpr_workgroup_id_x 1
		.amdhsa_system_sgpr_workgroup_id_y 0
		.amdhsa_system_sgpr_workgroup_id_z 0
		.amdhsa_system_sgpr_workgroup_info 0
		.amdhsa_system_vgpr_workitem_id 0
		.amdhsa_next_free_vgpr 1
		.amdhsa_next_free_sgpr 0
		.amdhsa_reserve_vcc 0
		.amdhsa_reserve_flat_scratch 0
		.amdhsa_float_round_mode_32 0
		.amdhsa_float_round_mode_16_64 0
		.amdhsa_float_denorm_mode_32 3
		.amdhsa_float_denorm_mode_16_64 3
		.amdhsa_dx10_clamp 1
		.amdhsa_ieee_mode 1
		.amdhsa_fp16_overflow 0
		.amdhsa_exception_fp_ieee_invalid_op 0
		.amdhsa_exception_fp_denorm_src 0
		.amdhsa_exception_fp_ieee_div_zero 0
		.amdhsa_exception_fp_ieee_overflow 0
		.amdhsa_exception_fp_ieee_underflow 0
		.amdhsa_exception_fp_ieee_inexact 0
		.amdhsa_exception_int_div_zero 0
	.end_amdhsa_kernel
	.section	.text._ZN7rocprim17ROCPRIM_400000_NS6detail17trampoline_kernelINS0_14default_configENS1_25transform_config_selectorIN3c104HalfELb1EEEZNS1_14transform_implILb1ES3_S7_PS6_S9_NS0_8identityIS6_EEEE10hipError_tT2_T3_mT4_P12ihipStream_tbEUlT_E_NS1_11comp_targetILNS1_3genE10ELNS1_11target_archE1201ELNS1_3gpuE5ELNS1_3repE0EEENS1_30default_config_static_selectorELNS0_4arch9wavefront6targetE1EEEvT1_,"axG",@progbits,_ZN7rocprim17ROCPRIM_400000_NS6detail17trampoline_kernelINS0_14default_configENS1_25transform_config_selectorIN3c104HalfELb1EEEZNS1_14transform_implILb1ES3_S7_PS6_S9_NS0_8identityIS6_EEEE10hipError_tT2_T3_mT4_P12ihipStream_tbEUlT_E_NS1_11comp_targetILNS1_3genE10ELNS1_11target_archE1201ELNS1_3gpuE5ELNS1_3repE0EEENS1_30default_config_static_selectorELNS0_4arch9wavefront6targetE1EEEvT1_,comdat
.Lfunc_end2173:
	.size	_ZN7rocprim17ROCPRIM_400000_NS6detail17trampoline_kernelINS0_14default_configENS1_25transform_config_selectorIN3c104HalfELb1EEEZNS1_14transform_implILb1ES3_S7_PS6_S9_NS0_8identityIS6_EEEE10hipError_tT2_T3_mT4_P12ihipStream_tbEUlT_E_NS1_11comp_targetILNS1_3genE10ELNS1_11target_archE1201ELNS1_3gpuE5ELNS1_3repE0EEENS1_30default_config_static_selectorELNS0_4arch9wavefront6targetE1EEEvT1_, .Lfunc_end2173-_ZN7rocprim17ROCPRIM_400000_NS6detail17trampoline_kernelINS0_14default_configENS1_25transform_config_selectorIN3c104HalfELb1EEEZNS1_14transform_implILb1ES3_S7_PS6_S9_NS0_8identityIS6_EEEE10hipError_tT2_T3_mT4_P12ihipStream_tbEUlT_E_NS1_11comp_targetILNS1_3genE10ELNS1_11target_archE1201ELNS1_3gpuE5ELNS1_3repE0EEENS1_30default_config_static_selectorELNS0_4arch9wavefront6targetE1EEEvT1_
                                        ; -- End function
	.set _ZN7rocprim17ROCPRIM_400000_NS6detail17trampoline_kernelINS0_14default_configENS1_25transform_config_selectorIN3c104HalfELb1EEEZNS1_14transform_implILb1ES3_S7_PS6_S9_NS0_8identityIS6_EEEE10hipError_tT2_T3_mT4_P12ihipStream_tbEUlT_E_NS1_11comp_targetILNS1_3genE10ELNS1_11target_archE1201ELNS1_3gpuE5ELNS1_3repE0EEENS1_30default_config_static_selectorELNS0_4arch9wavefront6targetE1EEEvT1_.num_vgpr, 0
	.set _ZN7rocprim17ROCPRIM_400000_NS6detail17trampoline_kernelINS0_14default_configENS1_25transform_config_selectorIN3c104HalfELb1EEEZNS1_14transform_implILb1ES3_S7_PS6_S9_NS0_8identityIS6_EEEE10hipError_tT2_T3_mT4_P12ihipStream_tbEUlT_E_NS1_11comp_targetILNS1_3genE10ELNS1_11target_archE1201ELNS1_3gpuE5ELNS1_3repE0EEENS1_30default_config_static_selectorELNS0_4arch9wavefront6targetE1EEEvT1_.num_agpr, 0
	.set _ZN7rocprim17ROCPRIM_400000_NS6detail17trampoline_kernelINS0_14default_configENS1_25transform_config_selectorIN3c104HalfELb1EEEZNS1_14transform_implILb1ES3_S7_PS6_S9_NS0_8identityIS6_EEEE10hipError_tT2_T3_mT4_P12ihipStream_tbEUlT_E_NS1_11comp_targetILNS1_3genE10ELNS1_11target_archE1201ELNS1_3gpuE5ELNS1_3repE0EEENS1_30default_config_static_selectorELNS0_4arch9wavefront6targetE1EEEvT1_.numbered_sgpr, 0
	.set _ZN7rocprim17ROCPRIM_400000_NS6detail17trampoline_kernelINS0_14default_configENS1_25transform_config_selectorIN3c104HalfELb1EEEZNS1_14transform_implILb1ES3_S7_PS6_S9_NS0_8identityIS6_EEEE10hipError_tT2_T3_mT4_P12ihipStream_tbEUlT_E_NS1_11comp_targetILNS1_3genE10ELNS1_11target_archE1201ELNS1_3gpuE5ELNS1_3repE0EEENS1_30default_config_static_selectorELNS0_4arch9wavefront6targetE1EEEvT1_.num_named_barrier, 0
	.set _ZN7rocprim17ROCPRIM_400000_NS6detail17trampoline_kernelINS0_14default_configENS1_25transform_config_selectorIN3c104HalfELb1EEEZNS1_14transform_implILb1ES3_S7_PS6_S9_NS0_8identityIS6_EEEE10hipError_tT2_T3_mT4_P12ihipStream_tbEUlT_E_NS1_11comp_targetILNS1_3genE10ELNS1_11target_archE1201ELNS1_3gpuE5ELNS1_3repE0EEENS1_30default_config_static_selectorELNS0_4arch9wavefront6targetE1EEEvT1_.private_seg_size, 0
	.set _ZN7rocprim17ROCPRIM_400000_NS6detail17trampoline_kernelINS0_14default_configENS1_25transform_config_selectorIN3c104HalfELb1EEEZNS1_14transform_implILb1ES3_S7_PS6_S9_NS0_8identityIS6_EEEE10hipError_tT2_T3_mT4_P12ihipStream_tbEUlT_E_NS1_11comp_targetILNS1_3genE10ELNS1_11target_archE1201ELNS1_3gpuE5ELNS1_3repE0EEENS1_30default_config_static_selectorELNS0_4arch9wavefront6targetE1EEEvT1_.uses_vcc, 0
	.set _ZN7rocprim17ROCPRIM_400000_NS6detail17trampoline_kernelINS0_14default_configENS1_25transform_config_selectorIN3c104HalfELb1EEEZNS1_14transform_implILb1ES3_S7_PS6_S9_NS0_8identityIS6_EEEE10hipError_tT2_T3_mT4_P12ihipStream_tbEUlT_E_NS1_11comp_targetILNS1_3genE10ELNS1_11target_archE1201ELNS1_3gpuE5ELNS1_3repE0EEENS1_30default_config_static_selectorELNS0_4arch9wavefront6targetE1EEEvT1_.uses_flat_scratch, 0
	.set _ZN7rocprim17ROCPRIM_400000_NS6detail17trampoline_kernelINS0_14default_configENS1_25transform_config_selectorIN3c104HalfELb1EEEZNS1_14transform_implILb1ES3_S7_PS6_S9_NS0_8identityIS6_EEEE10hipError_tT2_T3_mT4_P12ihipStream_tbEUlT_E_NS1_11comp_targetILNS1_3genE10ELNS1_11target_archE1201ELNS1_3gpuE5ELNS1_3repE0EEENS1_30default_config_static_selectorELNS0_4arch9wavefront6targetE1EEEvT1_.has_dyn_sized_stack, 0
	.set _ZN7rocprim17ROCPRIM_400000_NS6detail17trampoline_kernelINS0_14default_configENS1_25transform_config_selectorIN3c104HalfELb1EEEZNS1_14transform_implILb1ES3_S7_PS6_S9_NS0_8identityIS6_EEEE10hipError_tT2_T3_mT4_P12ihipStream_tbEUlT_E_NS1_11comp_targetILNS1_3genE10ELNS1_11target_archE1201ELNS1_3gpuE5ELNS1_3repE0EEENS1_30default_config_static_selectorELNS0_4arch9wavefront6targetE1EEEvT1_.has_recursion, 0
	.set _ZN7rocprim17ROCPRIM_400000_NS6detail17trampoline_kernelINS0_14default_configENS1_25transform_config_selectorIN3c104HalfELb1EEEZNS1_14transform_implILb1ES3_S7_PS6_S9_NS0_8identityIS6_EEEE10hipError_tT2_T3_mT4_P12ihipStream_tbEUlT_E_NS1_11comp_targetILNS1_3genE10ELNS1_11target_archE1201ELNS1_3gpuE5ELNS1_3repE0EEENS1_30default_config_static_selectorELNS0_4arch9wavefront6targetE1EEEvT1_.has_indirect_call, 0
	.section	.AMDGPU.csdata,"",@progbits
; Kernel info:
; codeLenInByte = 0
; TotalNumSgprs: 4
; NumVgprs: 0
; ScratchSize: 0
; MemoryBound: 0
; FloatMode: 240
; IeeeMode: 1
; LDSByteSize: 0 bytes/workgroup (compile time only)
; SGPRBlocks: 0
; VGPRBlocks: 0
; NumSGPRsForWavesPerEU: 4
; NumVGPRsForWavesPerEU: 1
; Occupancy: 10
; WaveLimiterHint : 0
; COMPUTE_PGM_RSRC2:SCRATCH_EN: 0
; COMPUTE_PGM_RSRC2:USER_SGPR: 6
; COMPUTE_PGM_RSRC2:TRAP_HANDLER: 0
; COMPUTE_PGM_RSRC2:TGID_X_EN: 1
; COMPUTE_PGM_RSRC2:TGID_Y_EN: 0
; COMPUTE_PGM_RSRC2:TGID_Z_EN: 0
; COMPUTE_PGM_RSRC2:TIDIG_COMP_CNT: 0
	.section	.text._ZN7rocprim17ROCPRIM_400000_NS6detail17trampoline_kernelINS0_14default_configENS1_25transform_config_selectorIN3c104HalfELb1EEEZNS1_14transform_implILb1ES3_S7_PS6_S9_NS0_8identityIS6_EEEE10hipError_tT2_T3_mT4_P12ihipStream_tbEUlT_E_NS1_11comp_targetILNS1_3genE5ELNS1_11target_archE942ELNS1_3gpuE9ELNS1_3repE0EEENS1_30default_config_static_selectorELNS0_4arch9wavefront6targetE1EEEvT1_,"axG",@progbits,_ZN7rocprim17ROCPRIM_400000_NS6detail17trampoline_kernelINS0_14default_configENS1_25transform_config_selectorIN3c104HalfELb1EEEZNS1_14transform_implILb1ES3_S7_PS6_S9_NS0_8identityIS6_EEEE10hipError_tT2_T3_mT4_P12ihipStream_tbEUlT_E_NS1_11comp_targetILNS1_3genE5ELNS1_11target_archE942ELNS1_3gpuE9ELNS1_3repE0EEENS1_30default_config_static_selectorELNS0_4arch9wavefront6targetE1EEEvT1_,comdat
	.protected	_ZN7rocprim17ROCPRIM_400000_NS6detail17trampoline_kernelINS0_14default_configENS1_25transform_config_selectorIN3c104HalfELb1EEEZNS1_14transform_implILb1ES3_S7_PS6_S9_NS0_8identityIS6_EEEE10hipError_tT2_T3_mT4_P12ihipStream_tbEUlT_E_NS1_11comp_targetILNS1_3genE5ELNS1_11target_archE942ELNS1_3gpuE9ELNS1_3repE0EEENS1_30default_config_static_selectorELNS0_4arch9wavefront6targetE1EEEvT1_ ; -- Begin function _ZN7rocprim17ROCPRIM_400000_NS6detail17trampoline_kernelINS0_14default_configENS1_25transform_config_selectorIN3c104HalfELb1EEEZNS1_14transform_implILb1ES3_S7_PS6_S9_NS0_8identityIS6_EEEE10hipError_tT2_T3_mT4_P12ihipStream_tbEUlT_E_NS1_11comp_targetILNS1_3genE5ELNS1_11target_archE942ELNS1_3gpuE9ELNS1_3repE0EEENS1_30default_config_static_selectorELNS0_4arch9wavefront6targetE1EEEvT1_
	.globl	_ZN7rocprim17ROCPRIM_400000_NS6detail17trampoline_kernelINS0_14default_configENS1_25transform_config_selectorIN3c104HalfELb1EEEZNS1_14transform_implILb1ES3_S7_PS6_S9_NS0_8identityIS6_EEEE10hipError_tT2_T3_mT4_P12ihipStream_tbEUlT_E_NS1_11comp_targetILNS1_3genE5ELNS1_11target_archE942ELNS1_3gpuE9ELNS1_3repE0EEENS1_30default_config_static_selectorELNS0_4arch9wavefront6targetE1EEEvT1_
	.p2align	8
	.type	_ZN7rocprim17ROCPRIM_400000_NS6detail17trampoline_kernelINS0_14default_configENS1_25transform_config_selectorIN3c104HalfELb1EEEZNS1_14transform_implILb1ES3_S7_PS6_S9_NS0_8identityIS6_EEEE10hipError_tT2_T3_mT4_P12ihipStream_tbEUlT_E_NS1_11comp_targetILNS1_3genE5ELNS1_11target_archE942ELNS1_3gpuE9ELNS1_3repE0EEENS1_30default_config_static_selectorELNS0_4arch9wavefront6targetE1EEEvT1_,@function
_ZN7rocprim17ROCPRIM_400000_NS6detail17trampoline_kernelINS0_14default_configENS1_25transform_config_selectorIN3c104HalfELb1EEEZNS1_14transform_implILb1ES3_S7_PS6_S9_NS0_8identityIS6_EEEE10hipError_tT2_T3_mT4_P12ihipStream_tbEUlT_E_NS1_11comp_targetILNS1_3genE5ELNS1_11target_archE942ELNS1_3gpuE9ELNS1_3repE0EEENS1_30default_config_static_selectorELNS0_4arch9wavefront6targetE1EEEvT1_: ; @_ZN7rocprim17ROCPRIM_400000_NS6detail17trampoline_kernelINS0_14default_configENS1_25transform_config_selectorIN3c104HalfELb1EEEZNS1_14transform_implILb1ES3_S7_PS6_S9_NS0_8identityIS6_EEEE10hipError_tT2_T3_mT4_P12ihipStream_tbEUlT_E_NS1_11comp_targetILNS1_3genE5ELNS1_11target_archE942ELNS1_3gpuE9ELNS1_3repE0EEENS1_30default_config_static_selectorELNS0_4arch9wavefront6targetE1EEEvT1_
; %bb.0:
	.section	.rodata,"a",@progbits
	.p2align	6, 0x0
	.amdhsa_kernel _ZN7rocprim17ROCPRIM_400000_NS6detail17trampoline_kernelINS0_14default_configENS1_25transform_config_selectorIN3c104HalfELb1EEEZNS1_14transform_implILb1ES3_S7_PS6_S9_NS0_8identityIS6_EEEE10hipError_tT2_T3_mT4_P12ihipStream_tbEUlT_E_NS1_11comp_targetILNS1_3genE5ELNS1_11target_archE942ELNS1_3gpuE9ELNS1_3repE0EEENS1_30default_config_static_selectorELNS0_4arch9wavefront6targetE1EEEvT1_
		.amdhsa_group_segment_fixed_size 0
		.amdhsa_private_segment_fixed_size 0
		.amdhsa_kernarg_size 40
		.amdhsa_user_sgpr_count 6
		.amdhsa_user_sgpr_private_segment_buffer 1
		.amdhsa_user_sgpr_dispatch_ptr 0
		.amdhsa_user_sgpr_queue_ptr 0
		.amdhsa_user_sgpr_kernarg_segment_ptr 1
		.amdhsa_user_sgpr_dispatch_id 0
		.amdhsa_user_sgpr_flat_scratch_init 0
		.amdhsa_user_sgpr_private_segment_size 0
		.amdhsa_uses_dynamic_stack 0
		.amdhsa_system_sgpr_private_segment_wavefront_offset 0
		.amdhsa_system_sgpr_workgroup_id_x 1
		.amdhsa_system_sgpr_workgroup_id_y 0
		.amdhsa_system_sgpr_workgroup_id_z 0
		.amdhsa_system_sgpr_workgroup_info 0
		.amdhsa_system_vgpr_workitem_id 0
		.amdhsa_next_free_vgpr 1
		.amdhsa_next_free_sgpr 0
		.amdhsa_reserve_vcc 0
		.amdhsa_reserve_flat_scratch 0
		.amdhsa_float_round_mode_32 0
		.amdhsa_float_round_mode_16_64 0
		.amdhsa_float_denorm_mode_32 3
		.amdhsa_float_denorm_mode_16_64 3
		.amdhsa_dx10_clamp 1
		.amdhsa_ieee_mode 1
		.amdhsa_fp16_overflow 0
		.amdhsa_exception_fp_ieee_invalid_op 0
		.amdhsa_exception_fp_denorm_src 0
		.amdhsa_exception_fp_ieee_div_zero 0
		.amdhsa_exception_fp_ieee_overflow 0
		.amdhsa_exception_fp_ieee_underflow 0
		.amdhsa_exception_fp_ieee_inexact 0
		.amdhsa_exception_int_div_zero 0
	.end_amdhsa_kernel
	.section	.text._ZN7rocprim17ROCPRIM_400000_NS6detail17trampoline_kernelINS0_14default_configENS1_25transform_config_selectorIN3c104HalfELb1EEEZNS1_14transform_implILb1ES3_S7_PS6_S9_NS0_8identityIS6_EEEE10hipError_tT2_T3_mT4_P12ihipStream_tbEUlT_E_NS1_11comp_targetILNS1_3genE5ELNS1_11target_archE942ELNS1_3gpuE9ELNS1_3repE0EEENS1_30default_config_static_selectorELNS0_4arch9wavefront6targetE1EEEvT1_,"axG",@progbits,_ZN7rocprim17ROCPRIM_400000_NS6detail17trampoline_kernelINS0_14default_configENS1_25transform_config_selectorIN3c104HalfELb1EEEZNS1_14transform_implILb1ES3_S7_PS6_S9_NS0_8identityIS6_EEEE10hipError_tT2_T3_mT4_P12ihipStream_tbEUlT_E_NS1_11comp_targetILNS1_3genE5ELNS1_11target_archE942ELNS1_3gpuE9ELNS1_3repE0EEENS1_30default_config_static_selectorELNS0_4arch9wavefront6targetE1EEEvT1_,comdat
.Lfunc_end2174:
	.size	_ZN7rocprim17ROCPRIM_400000_NS6detail17trampoline_kernelINS0_14default_configENS1_25transform_config_selectorIN3c104HalfELb1EEEZNS1_14transform_implILb1ES3_S7_PS6_S9_NS0_8identityIS6_EEEE10hipError_tT2_T3_mT4_P12ihipStream_tbEUlT_E_NS1_11comp_targetILNS1_3genE5ELNS1_11target_archE942ELNS1_3gpuE9ELNS1_3repE0EEENS1_30default_config_static_selectorELNS0_4arch9wavefront6targetE1EEEvT1_, .Lfunc_end2174-_ZN7rocprim17ROCPRIM_400000_NS6detail17trampoline_kernelINS0_14default_configENS1_25transform_config_selectorIN3c104HalfELb1EEEZNS1_14transform_implILb1ES3_S7_PS6_S9_NS0_8identityIS6_EEEE10hipError_tT2_T3_mT4_P12ihipStream_tbEUlT_E_NS1_11comp_targetILNS1_3genE5ELNS1_11target_archE942ELNS1_3gpuE9ELNS1_3repE0EEENS1_30default_config_static_selectorELNS0_4arch9wavefront6targetE1EEEvT1_
                                        ; -- End function
	.set _ZN7rocprim17ROCPRIM_400000_NS6detail17trampoline_kernelINS0_14default_configENS1_25transform_config_selectorIN3c104HalfELb1EEEZNS1_14transform_implILb1ES3_S7_PS6_S9_NS0_8identityIS6_EEEE10hipError_tT2_T3_mT4_P12ihipStream_tbEUlT_E_NS1_11comp_targetILNS1_3genE5ELNS1_11target_archE942ELNS1_3gpuE9ELNS1_3repE0EEENS1_30default_config_static_selectorELNS0_4arch9wavefront6targetE1EEEvT1_.num_vgpr, 0
	.set _ZN7rocprim17ROCPRIM_400000_NS6detail17trampoline_kernelINS0_14default_configENS1_25transform_config_selectorIN3c104HalfELb1EEEZNS1_14transform_implILb1ES3_S7_PS6_S9_NS0_8identityIS6_EEEE10hipError_tT2_T3_mT4_P12ihipStream_tbEUlT_E_NS1_11comp_targetILNS1_3genE5ELNS1_11target_archE942ELNS1_3gpuE9ELNS1_3repE0EEENS1_30default_config_static_selectorELNS0_4arch9wavefront6targetE1EEEvT1_.num_agpr, 0
	.set _ZN7rocprim17ROCPRIM_400000_NS6detail17trampoline_kernelINS0_14default_configENS1_25transform_config_selectorIN3c104HalfELb1EEEZNS1_14transform_implILb1ES3_S7_PS6_S9_NS0_8identityIS6_EEEE10hipError_tT2_T3_mT4_P12ihipStream_tbEUlT_E_NS1_11comp_targetILNS1_3genE5ELNS1_11target_archE942ELNS1_3gpuE9ELNS1_3repE0EEENS1_30default_config_static_selectorELNS0_4arch9wavefront6targetE1EEEvT1_.numbered_sgpr, 0
	.set _ZN7rocprim17ROCPRIM_400000_NS6detail17trampoline_kernelINS0_14default_configENS1_25transform_config_selectorIN3c104HalfELb1EEEZNS1_14transform_implILb1ES3_S7_PS6_S9_NS0_8identityIS6_EEEE10hipError_tT2_T3_mT4_P12ihipStream_tbEUlT_E_NS1_11comp_targetILNS1_3genE5ELNS1_11target_archE942ELNS1_3gpuE9ELNS1_3repE0EEENS1_30default_config_static_selectorELNS0_4arch9wavefront6targetE1EEEvT1_.num_named_barrier, 0
	.set _ZN7rocprim17ROCPRIM_400000_NS6detail17trampoline_kernelINS0_14default_configENS1_25transform_config_selectorIN3c104HalfELb1EEEZNS1_14transform_implILb1ES3_S7_PS6_S9_NS0_8identityIS6_EEEE10hipError_tT2_T3_mT4_P12ihipStream_tbEUlT_E_NS1_11comp_targetILNS1_3genE5ELNS1_11target_archE942ELNS1_3gpuE9ELNS1_3repE0EEENS1_30default_config_static_selectorELNS0_4arch9wavefront6targetE1EEEvT1_.private_seg_size, 0
	.set _ZN7rocprim17ROCPRIM_400000_NS6detail17trampoline_kernelINS0_14default_configENS1_25transform_config_selectorIN3c104HalfELb1EEEZNS1_14transform_implILb1ES3_S7_PS6_S9_NS0_8identityIS6_EEEE10hipError_tT2_T3_mT4_P12ihipStream_tbEUlT_E_NS1_11comp_targetILNS1_3genE5ELNS1_11target_archE942ELNS1_3gpuE9ELNS1_3repE0EEENS1_30default_config_static_selectorELNS0_4arch9wavefront6targetE1EEEvT1_.uses_vcc, 0
	.set _ZN7rocprim17ROCPRIM_400000_NS6detail17trampoline_kernelINS0_14default_configENS1_25transform_config_selectorIN3c104HalfELb1EEEZNS1_14transform_implILb1ES3_S7_PS6_S9_NS0_8identityIS6_EEEE10hipError_tT2_T3_mT4_P12ihipStream_tbEUlT_E_NS1_11comp_targetILNS1_3genE5ELNS1_11target_archE942ELNS1_3gpuE9ELNS1_3repE0EEENS1_30default_config_static_selectorELNS0_4arch9wavefront6targetE1EEEvT1_.uses_flat_scratch, 0
	.set _ZN7rocprim17ROCPRIM_400000_NS6detail17trampoline_kernelINS0_14default_configENS1_25transform_config_selectorIN3c104HalfELb1EEEZNS1_14transform_implILb1ES3_S7_PS6_S9_NS0_8identityIS6_EEEE10hipError_tT2_T3_mT4_P12ihipStream_tbEUlT_E_NS1_11comp_targetILNS1_3genE5ELNS1_11target_archE942ELNS1_3gpuE9ELNS1_3repE0EEENS1_30default_config_static_selectorELNS0_4arch9wavefront6targetE1EEEvT1_.has_dyn_sized_stack, 0
	.set _ZN7rocprim17ROCPRIM_400000_NS6detail17trampoline_kernelINS0_14default_configENS1_25transform_config_selectorIN3c104HalfELb1EEEZNS1_14transform_implILb1ES3_S7_PS6_S9_NS0_8identityIS6_EEEE10hipError_tT2_T3_mT4_P12ihipStream_tbEUlT_E_NS1_11comp_targetILNS1_3genE5ELNS1_11target_archE942ELNS1_3gpuE9ELNS1_3repE0EEENS1_30default_config_static_selectorELNS0_4arch9wavefront6targetE1EEEvT1_.has_recursion, 0
	.set _ZN7rocprim17ROCPRIM_400000_NS6detail17trampoline_kernelINS0_14default_configENS1_25transform_config_selectorIN3c104HalfELb1EEEZNS1_14transform_implILb1ES3_S7_PS6_S9_NS0_8identityIS6_EEEE10hipError_tT2_T3_mT4_P12ihipStream_tbEUlT_E_NS1_11comp_targetILNS1_3genE5ELNS1_11target_archE942ELNS1_3gpuE9ELNS1_3repE0EEENS1_30default_config_static_selectorELNS0_4arch9wavefront6targetE1EEEvT1_.has_indirect_call, 0
	.section	.AMDGPU.csdata,"",@progbits
; Kernel info:
; codeLenInByte = 0
; TotalNumSgprs: 4
; NumVgprs: 0
; ScratchSize: 0
; MemoryBound: 0
; FloatMode: 240
; IeeeMode: 1
; LDSByteSize: 0 bytes/workgroup (compile time only)
; SGPRBlocks: 0
; VGPRBlocks: 0
; NumSGPRsForWavesPerEU: 4
; NumVGPRsForWavesPerEU: 1
; Occupancy: 10
; WaveLimiterHint : 0
; COMPUTE_PGM_RSRC2:SCRATCH_EN: 0
; COMPUTE_PGM_RSRC2:USER_SGPR: 6
; COMPUTE_PGM_RSRC2:TRAP_HANDLER: 0
; COMPUTE_PGM_RSRC2:TGID_X_EN: 1
; COMPUTE_PGM_RSRC2:TGID_Y_EN: 0
; COMPUTE_PGM_RSRC2:TGID_Z_EN: 0
; COMPUTE_PGM_RSRC2:TIDIG_COMP_CNT: 0
	.section	.text._ZN7rocprim17ROCPRIM_400000_NS6detail17trampoline_kernelINS0_14default_configENS1_25transform_config_selectorIN3c104HalfELb1EEEZNS1_14transform_implILb1ES3_S7_PS6_S9_NS0_8identityIS6_EEEE10hipError_tT2_T3_mT4_P12ihipStream_tbEUlT_E_NS1_11comp_targetILNS1_3genE4ELNS1_11target_archE910ELNS1_3gpuE8ELNS1_3repE0EEENS1_30default_config_static_selectorELNS0_4arch9wavefront6targetE1EEEvT1_,"axG",@progbits,_ZN7rocprim17ROCPRIM_400000_NS6detail17trampoline_kernelINS0_14default_configENS1_25transform_config_selectorIN3c104HalfELb1EEEZNS1_14transform_implILb1ES3_S7_PS6_S9_NS0_8identityIS6_EEEE10hipError_tT2_T3_mT4_P12ihipStream_tbEUlT_E_NS1_11comp_targetILNS1_3genE4ELNS1_11target_archE910ELNS1_3gpuE8ELNS1_3repE0EEENS1_30default_config_static_selectorELNS0_4arch9wavefront6targetE1EEEvT1_,comdat
	.protected	_ZN7rocprim17ROCPRIM_400000_NS6detail17trampoline_kernelINS0_14default_configENS1_25transform_config_selectorIN3c104HalfELb1EEEZNS1_14transform_implILb1ES3_S7_PS6_S9_NS0_8identityIS6_EEEE10hipError_tT2_T3_mT4_P12ihipStream_tbEUlT_E_NS1_11comp_targetILNS1_3genE4ELNS1_11target_archE910ELNS1_3gpuE8ELNS1_3repE0EEENS1_30default_config_static_selectorELNS0_4arch9wavefront6targetE1EEEvT1_ ; -- Begin function _ZN7rocprim17ROCPRIM_400000_NS6detail17trampoline_kernelINS0_14default_configENS1_25transform_config_selectorIN3c104HalfELb1EEEZNS1_14transform_implILb1ES3_S7_PS6_S9_NS0_8identityIS6_EEEE10hipError_tT2_T3_mT4_P12ihipStream_tbEUlT_E_NS1_11comp_targetILNS1_3genE4ELNS1_11target_archE910ELNS1_3gpuE8ELNS1_3repE0EEENS1_30default_config_static_selectorELNS0_4arch9wavefront6targetE1EEEvT1_
	.globl	_ZN7rocprim17ROCPRIM_400000_NS6detail17trampoline_kernelINS0_14default_configENS1_25transform_config_selectorIN3c104HalfELb1EEEZNS1_14transform_implILb1ES3_S7_PS6_S9_NS0_8identityIS6_EEEE10hipError_tT2_T3_mT4_P12ihipStream_tbEUlT_E_NS1_11comp_targetILNS1_3genE4ELNS1_11target_archE910ELNS1_3gpuE8ELNS1_3repE0EEENS1_30default_config_static_selectorELNS0_4arch9wavefront6targetE1EEEvT1_
	.p2align	8
	.type	_ZN7rocprim17ROCPRIM_400000_NS6detail17trampoline_kernelINS0_14default_configENS1_25transform_config_selectorIN3c104HalfELb1EEEZNS1_14transform_implILb1ES3_S7_PS6_S9_NS0_8identityIS6_EEEE10hipError_tT2_T3_mT4_P12ihipStream_tbEUlT_E_NS1_11comp_targetILNS1_3genE4ELNS1_11target_archE910ELNS1_3gpuE8ELNS1_3repE0EEENS1_30default_config_static_selectorELNS0_4arch9wavefront6targetE1EEEvT1_,@function
_ZN7rocprim17ROCPRIM_400000_NS6detail17trampoline_kernelINS0_14default_configENS1_25transform_config_selectorIN3c104HalfELb1EEEZNS1_14transform_implILb1ES3_S7_PS6_S9_NS0_8identityIS6_EEEE10hipError_tT2_T3_mT4_P12ihipStream_tbEUlT_E_NS1_11comp_targetILNS1_3genE4ELNS1_11target_archE910ELNS1_3gpuE8ELNS1_3repE0EEENS1_30default_config_static_selectorELNS0_4arch9wavefront6targetE1EEEvT1_: ; @_ZN7rocprim17ROCPRIM_400000_NS6detail17trampoline_kernelINS0_14default_configENS1_25transform_config_selectorIN3c104HalfELb1EEEZNS1_14transform_implILb1ES3_S7_PS6_S9_NS0_8identityIS6_EEEE10hipError_tT2_T3_mT4_P12ihipStream_tbEUlT_E_NS1_11comp_targetILNS1_3genE4ELNS1_11target_archE910ELNS1_3gpuE8ELNS1_3repE0EEENS1_30default_config_static_selectorELNS0_4arch9wavefront6targetE1EEEvT1_
; %bb.0:
	.section	.rodata,"a",@progbits
	.p2align	6, 0x0
	.amdhsa_kernel _ZN7rocprim17ROCPRIM_400000_NS6detail17trampoline_kernelINS0_14default_configENS1_25transform_config_selectorIN3c104HalfELb1EEEZNS1_14transform_implILb1ES3_S7_PS6_S9_NS0_8identityIS6_EEEE10hipError_tT2_T3_mT4_P12ihipStream_tbEUlT_E_NS1_11comp_targetILNS1_3genE4ELNS1_11target_archE910ELNS1_3gpuE8ELNS1_3repE0EEENS1_30default_config_static_selectorELNS0_4arch9wavefront6targetE1EEEvT1_
		.amdhsa_group_segment_fixed_size 0
		.amdhsa_private_segment_fixed_size 0
		.amdhsa_kernarg_size 40
		.amdhsa_user_sgpr_count 6
		.amdhsa_user_sgpr_private_segment_buffer 1
		.amdhsa_user_sgpr_dispatch_ptr 0
		.amdhsa_user_sgpr_queue_ptr 0
		.amdhsa_user_sgpr_kernarg_segment_ptr 1
		.amdhsa_user_sgpr_dispatch_id 0
		.amdhsa_user_sgpr_flat_scratch_init 0
		.amdhsa_user_sgpr_private_segment_size 0
		.amdhsa_uses_dynamic_stack 0
		.amdhsa_system_sgpr_private_segment_wavefront_offset 0
		.amdhsa_system_sgpr_workgroup_id_x 1
		.amdhsa_system_sgpr_workgroup_id_y 0
		.amdhsa_system_sgpr_workgroup_id_z 0
		.amdhsa_system_sgpr_workgroup_info 0
		.amdhsa_system_vgpr_workitem_id 0
		.amdhsa_next_free_vgpr 1
		.amdhsa_next_free_sgpr 0
		.amdhsa_reserve_vcc 0
		.amdhsa_reserve_flat_scratch 0
		.amdhsa_float_round_mode_32 0
		.amdhsa_float_round_mode_16_64 0
		.amdhsa_float_denorm_mode_32 3
		.amdhsa_float_denorm_mode_16_64 3
		.amdhsa_dx10_clamp 1
		.amdhsa_ieee_mode 1
		.amdhsa_fp16_overflow 0
		.amdhsa_exception_fp_ieee_invalid_op 0
		.amdhsa_exception_fp_denorm_src 0
		.amdhsa_exception_fp_ieee_div_zero 0
		.amdhsa_exception_fp_ieee_overflow 0
		.amdhsa_exception_fp_ieee_underflow 0
		.amdhsa_exception_fp_ieee_inexact 0
		.amdhsa_exception_int_div_zero 0
	.end_amdhsa_kernel
	.section	.text._ZN7rocprim17ROCPRIM_400000_NS6detail17trampoline_kernelINS0_14default_configENS1_25transform_config_selectorIN3c104HalfELb1EEEZNS1_14transform_implILb1ES3_S7_PS6_S9_NS0_8identityIS6_EEEE10hipError_tT2_T3_mT4_P12ihipStream_tbEUlT_E_NS1_11comp_targetILNS1_3genE4ELNS1_11target_archE910ELNS1_3gpuE8ELNS1_3repE0EEENS1_30default_config_static_selectorELNS0_4arch9wavefront6targetE1EEEvT1_,"axG",@progbits,_ZN7rocprim17ROCPRIM_400000_NS6detail17trampoline_kernelINS0_14default_configENS1_25transform_config_selectorIN3c104HalfELb1EEEZNS1_14transform_implILb1ES3_S7_PS6_S9_NS0_8identityIS6_EEEE10hipError_tT2_T3_mT4_P12ihipStream_tbEUlT_E_NS1_11comp_targetILNS1_3genE4ELNS1_11target_archE910ELNS1_3gpuE8ELNS1_3repE0EEENS1_30default_config_static_selectorELNS0_4arch9wavefront6targetE1EEEvT1_,comdat
.Lfunc_end2175:
	.size	_ZN7rocprim17ROCPRIM_400000_NS6detail17trampoline_kernelINS0_14default_configENS1_25transform_config_selectorIN3c104HalfELb1EEEZNS1_14transform_implILb1ES3_S7_PS6_S9_NS0_8identityIS6_EEEE10hipError_tT2_T3_mT4_P12ihipStream_tbEUlT_E_NS1_11comp_targetILNS1_3genE4ELNS1_11target_archE910ELNS1_3gpuE8ELNS1_3repE0EEENS1_30default_config_static_selectorELNS0_4arch9wavefront6targetE1EEEvT1_, .Lfunc_end2175-_ZN7rocprim17ROCPRIM_400000_NS6detail17trampoline_kernelINS0_14default_configENS1_25transform_config_selectorIN3c104HalfELb1EEEZNS1_14transform_implILb1ES3_S7_PS6_S9_NS0_8identityIS6_EEEE10hipError_tT2_T3_mT4_P12ihipStream_tbEUlT_E_NS1_11comp_targetILNS1_3genE4ELNS1_11target_archE910ELNS1_3gpuE8ELNS1_3repE0EEENS1_30default_config_static_selectorELNS0_4arch9wavefront6targetE1EEEvT1_
                                        ; -- End function
	.set _ZN7rocprim17ROCPRIM_400000_NS6detail17trampoline_kernelINS0_14default_configENS1_25transform_config_selectorIN3c104HalfELb1EEEZNS1_14transform_implILb1ES3_S7_PS6_S9_NS0_8identityIS6_EEEE10hipError_tT2_T3_mT4_P12ihipStream_tbEUlT_E_NS1_11comp_targetILNS1_3genE4ELNS1_11target_archE910ELNS1_3gpuE8ELNS1_3repE0EEENS1_30default_config_static_selectorELNS0_4arch9wavefront6targetE1EEEvT1_.num_vgpr, 0
	.set _ZN7rocprim17ROCPRIM_400000_NS6detail17trampoline_kernelINS0_14default_configENS1_25transform_config_selectorIN3c104HalfELb1EEEZNS1_14transform_implILb1ES3_S7_PS6_S9_NS0_8identityIS6_EEEE10hipError_tT2_T3_mT4_P12ihipStream_tbEUlT_E_NS1_11comp_targetILNS1_3genE4ELNS1_11target_archE910ELNS1_3gpuE8ELNS1_3repE0EEENS1_30default_config_static_selectorELNS0_4arch9wavefront6targetE1EEEvT1_.num_agpr, 0
	.set _ZN7rocprim17ROCPRIM_400000_NS6detail17trampoline_kernelINS0_14default_configENS1_25transform_config_selectorIN3c104HalfELb1EEEZNS1_14transform_implILb1ES3_S7_PS6_S9_NS0_8identityIS6_EEEE10hipError_tT2_T3_mT4_P12ihipStream_tbEUlT_E_NS1_11comp_targetILNS1_3genE4ELNS1_11target_archE910ELNS1_3gpuE8ELNS1_3repE0EEENS1_30default_config_static_selectorELNS0_4arch9wavefront6targetE1EEEvT1_.numbered_sgpr, 0
	.set _ZN7rocprim17ROCPRIM_400000_NS6detail17trampoline_kernelINS0_14default_configENS1_25transform_config_selectorIN3c104HalfELb1EEEZNS1_14transform_implILb1ES3_S7_PS6_S9_NS0_8identityIS6_EEEE10hipError_tT2_T3_mT4_P12ihipStream_tbEUlT_E_NS1_11comp_targetILNS1_3genE4ELNS1_11target_archE910ELNS1_3gpuE8ELNS1_3repE0EEENS1_30default_config_static_selectorELNS0_4arch9wavefront6targetE1EEEvT1_.num_named_barrier, 0
	.set _ZN7rocprim17ROCPRIM_400000_NS6detail17trampoline_kernelINS0_14default_configENS1_25transform_config_selectorIN3c104HalfELb1EEEZNS1_14transform_implILb1ES3_S7_PS6_S9_NS0_8identityIS6_EEEE10hipError_tT2_T3_mT4_P12ihipStream_tbEUlT_E_NS1_11comp_targetILNS1_3genE4ELNS1_11target_archE910ELNS1_3gpuE8ELNS1_3repE0EEENS1_30default_config_static_selectorELNS0_4arch9wavefront6targetE1EEEvT1_.private_seg_size, 0
	.set _ZN7rocprim17ROCPRIM_400000_NS6detail17trampoline_kernelINS0_14default_configENS1_25transform_config_selectorIN3c104HalfELb1EEEZNS1_14transform_implILb1ES3_S7_PS6_S9_NS0_8identityIS6_EEEE10hipError_tT2_T3_mT4_P12ihipStream_tbEUlT_E_NS1_11comp_targetILNS1_3genE4ELNS1_11target_archE910ELNS1_3gpuE8ELNS1_3repE0EEENS1_30default_config_static_selectorELNS0_4arch9wavefront6targetE1EEEvT1_.uses_vcc, 0
	.set _ZN7rocprim17ROCPRIM_400000_NS6detail17trampoline_kernelINS0_14default_configENS1_25transform_config_selectorIN3c104HalfELb1EEEZNS1_14transform_implILb1ES3_S7_PS6_S9_NS0_8identityIS6_EEEE10hipError_tT2_T3_mT4_P12ihipStream_tbEUlT_E_NS1_11comp_targetILNS1_3genE4ELNS1_11target_archE910ELNS1_3gpuE8ELNS1_3repE0EEENS1_30default_config_static_selectorELNS0_4arch9wavefront6targetE1EEEvT1_.uses_flat_scratch, 0
	.set _ZN7rocprim17ROCPRIM_400000_NS6detail17trampoline_kernelINS0_14default_configENS1_25transform_config_selectorIN3c104HalfELb1EEEZNS1_14transform_implILb1ES3_S7_PS6_S9_NS0_8identityIS6_EEEE10hipError_tT2_T3_mT4_P12ihipStream_tbEUlT_E_NS1_11comp_targetILNS1_3genE4ELNS1_11target_archE910ELNS1_3gpuE8ELNS1_3repE0EEENS1_30default_config_static_selectorELNS0_4arch9wavefront6targetE1EEEvT1_.has_dyn_sized_stack, 0
	.set _ZN7rocprim17ROCPRIM_400000_NS6detail17trampoline_kernelINS0_14default_configENS1_25transform_config_selectorIN3c104HalfELb1EEEZNS1_14transform_implILb1ES3_S7_PS6_S9_NS0_8identityIS6_EEEE10hipError_tT2_T3_mT4_P12ihipStream_tbEUlT_E_NS1_11comp_targetILNS1_3genE4ELNS1_11target_archE910ELNS1_3gpuE8ELNS1_3repE0EEENS1_30default_config_static_selectorELNS0_4arch9wavefront6targetE1EEEvT1_.has_recursion, 0
	.set _ZN7rocprim17ROCPRIM_400000_NS6detail17trampoline_kernelINS0_14default_configENS1_25transform_config_selectorIN3c104HalfELb1EEEZNS1_14transform_implILb1ES3_S7_PS6_S9_NS0_8identityIS6_EEEE10hipError_tT2_T3_mT4_P12ihipStream_tbEUlT_E_NS1_11comp_targetILNS1_3genE4ELNS1_11target_archE910ELNS1_3gpuE8ELNS1_3repE0EEENS1_30default_config_static_selectorELNS0_4arch9wavefront6targetE1EEEvT1_.has_indirect_call, 0
	.section	.AMDGPU.csdata,"",@progbits
; Kernel info:
; codeLenInByte = 0
; TotalNumSgprs: 4
; NumVgprs: 0
; ScratchSize: 0
; MemoryBound: 0
; FloatMode: 240
; IeeeMode: 1
; LDSByteSize: 0 bytes/workgroup (compile time only)
; SGPRBlocks: 0
; VGPRBlocks: 0
; NumSGPRsForWavesPerEU: 4
; NumVGPRsForWavesPerEU: 1
; Occupancy: 10
; WaveLimiterHint : 0
; COMPUTE_PGM_RSRC2:SCRATCH_EN: 0
; COMPUTE_PGM_RSRC2:USER_SGPR: 6
; COMPUTE_PGM_RSRC2:TRAP_HANDLER: 0
; COMPUTE_PGM_RSRC2:TGID_X_EN: 1
; COMPUTE_PGM_RSRC2:TGID_Y_EN: 0
; COMPUTE_PGM_RSRC2:TGID_Z_EN: 0
; COMPUTE_PGM_RSRC2:TIDIG_COMP_CNT: 0
	.section	.text._ZN7rocprim17ROCPRIM_400000_NS6detail17trampoline_kernelINS0_14default_configENS1_25transform_config_selectorIN3c104HalfELb1EEEZNS1_14transform_implILb1ES3_S7_PS6_S9_NS0_8identityIS6_EEEE10hipError_tT2_T3_mT4_P12ihipStream_tbEUlT_E_NS1_11comp_targetILNS1_3genE3ELNS1_11target_archE908ELNS1_3gpuE7ELNS1_3repE0EEENS1_30default_config_static_selectorELNS0_4arch9wavefront6targetE1EEEvT1_,"axG",@progbits,_ZN7rocprim17ROCPRIM_400000_NS6detail17trampoline_kernelINS0_14default_configENS1_25transform_config_selectorIN3c104HalfELb1EEEZNS1_14transform_implILb1ES3_S7_PS6_S9_NS0_8identityIS6_EEEE10hipError_tT2_T3_mT4_P12ihipStream_tbEUlT_E_NS1_11comp_targetILNS1_3genE3ELNS1_11target_archE908ELNS1_3gpuE7ELNS1_3repE0EEENS1_30default_config_static_selectorELNS0_4arch9wavefront6targetE1EEEvT1_,comdat
	.protected	_ZN7rocprim17ROCPRIM_400000_NS6detail17trampoline_kernelINS0_14default_configENS1_25transform_config_selectorIN3c104HalfELb1EEEZNS1_14transform_implILb1ES3_S7_PS6_S9_NS0_8identityIS6_EEEE10hipError_tT2_T3_mT4_P12ihipStream_tbEUlT_E_NS1_11comp_targetILNS1_3genE3ELNS1_11target_archE908ELNS1_3gpuE7ELNS1_3repE0EEENS1_30default_config_static_selectorELNS0_4arch9wavefront6targetE1EEEvT1_ ; -- Begin function _ZN7rocprim17ROCPRIM_400000_NS6detail17trampoline_kernelINS0_14default_configENS1_25transform_config_selectorIN3c104HalfELb1EEEZNS1_14transform_implILb1ES3_S7_PS6_S9_NS0_8identityIS6_EEEE10hipError_tT2_T3_mT4_P12ihipStream_tbEUlT_E_NS1_11comp_targetILNS1_3genE3ELNS1_11target_archE908ELNS1_3gpuE7ELNS1_3repE0EEENS1_30default_config_static_selectorELNS0_4arch9wavefront6targetE1EEEvT1_
	.globl	_ZN7rocprim17ROCPRIM_400000_NS6detail17trampoline_kernelINS0_14default_configENS1_25transform_config_selectorIN3c104HalfELb1EEEZNS1_14transform_implILb1ES3_S7_PS6_S9_NS0_8identityIS6_EEEE10hipError_tT2_T3_mT4_P12ihipStream_tbEUlT_E_NS1_11comp_targetILNS1_3genE3ELNS1_11target_archE908ELNS1_3gpuE7ELNS1_3repE0EEENS1_30default_config_static_selectorELNS0_4arch9wavefront6targetE1EEEvT1_
	.p2align	8
	.type	_ZN7rocprim17ROCPRIM_400000_NS6detail17trampoline_kernelINS0_14default_configENS1_25transform_config_selectorIN3c104HalfELb1EEEZNS1_14transform_implILb1ES3_S7_PS6_S9_NS0_8identityIS6_EEEE10hipError_tT2_T3_mT4_P12ihipStream_tbEUlT_E_NS1_11comp_targetILNS1_3genE3ELNS1_11target_archE908ELNS1_3gpuE7ELNS1_3repE0EEENS1_30default_config_static_selectorELNS0_4arch9wavefront6targetE1EEEvT1_,@function
_ZN7rocprim17ROCPRIM_400000_NS6detail17trampoline_kernelINS0_14default_configENS1_25transform_config_selectorIN3c104HalfELb1EEEZNS1_14transform_implILb1ES3_S7_PS6_S9_NS0_8identityIS6_EEEE10hipError_tT2_T3_mT4_P12ihipStream_tbEUlT_E_NS1_11comp_targetILNS1_3genE3ELNS1_11target_archE908ELNS1_3gpuE7ELNS1_3repE0EEENS1_30default_config_static_selectorELNS0_4arch9wavefront6targetE1EEEvT1_: ; @_ZN7rocprim17ROCPRIM_400000_NS6detail17trampoline_kernelINS0_14default_configENS1_25transform_config_selectorIN3c104HalfELb1EEEZNS1_14transform_implILb1ES3_S7_PS6_S9_NS0_8identityIS6_EEEE10hipError_tT2_T3_mT4_P12ihipStream_tbEUlT_E_NS1_11comp_targetILNS1_3genE3ELNS1_11target_archE908ELNS1_3gpuE7ELNS1_3repE0EEENS1_30default_config_static_selectorELNS0_4arch9wavefront6targetE1EEEvT1_
; %bb.0:
	.section	.rodata,"a",@progbits
	.p2align	6, 0x0
	.amdhsa_kernel _ZN7rocprim17ROCPRIM_400000_NS6detail17trampoline_kernelINS0_14default_configENS1_25transform_config_selectorIN3c104HalfELb1EEEZNS1_14transform_implILb1ES3_S7_PS6_S9_NS0_8identityIS6_EEEE10hipError_tT2_T3_mT4_P12ihipStream_tbEUlT_E_NS1_11comp_targetILNS1_3genE3ELNS1_11target_archE908ELNS1_3gpuE7ELNS1_3repE0EEENS1_30default_config_static_selectorELNS0_4arch9wavefront6targetE1EEEvT1_
		.amdhsa_group_segment_fixed_size 0
		.amdhsa_private_segment_fixed_size 0
		.amdhsa_kernarg_size 40
		.amdhsa_user_sgpr_count 6
		.amdhsa_user_sgpr_private_segment_buffer 1
		.amdhsa_user_sgpr_dispatch_ptr 0
		.amdhsa_user_sgpr_queue_ptr 0
		.amdhsa_user_sgpr_kernarg_segment_ptr 1
		.amdhsa_user_sgpr_dispatch_id 0
		.amdhsa_user_sgpr_flat_scratch_init 0
		.amdhsa_user_sgpr_private_segment_size 0
		.amdhsa_uses_dynamic_stack 0
		.amdhsa_system_sgpr_private_segment_wavefront_offset 0
		.amdhsa_system_sgpr_workgroup_id_x 1
		.amdhsa_system_sgpr_workgroup_id_y 0
		.amdhsa_system_sgpr_workgroup_id_z 0
		.amdhsa_system_sgpr_workgroup_info 0
		.amdhsa_system_vgpr_workitem_id 0
		.amdhsa_next_free_vgpr 1
		.amdhsa_next_free_sgpr 0
		.amdhsa_reserve_vcc 0
		.amdhsa_reserve_flat_scratch 0
		.amdhsa_float_round_mode_32 0
		.amdhsa_float_round_mode_16_64 0
		.amdhsa_float_denorm_mode_32 3
		.amdhsa_float_denorm_mode_16_64 3
		.amdhsa_dx10_clamp 1
		.amdhsa_ieee_mode 1
		.amdhsa_fp16_overflow 0
		.amdhsa_exception_fp_ieee_invalid_op 0
		.amdhsa_exception_fp_denorm_src 0
		.amdhsa_exception_fp_ieee_div_zero 0
		.amdhsa_exception_fp_ieee_overflow 0
		.amdhsa_exception_fp_ieee_underflow 0
		.amdhsa_exception_fp_ieee_inexact 0
		.amdhsa_exception_int_div_zero 0
	.end_amdhsa_kernel
	.section	.text._ZN7rocprim17ROCPRIM_400000_NS6detail17trampoline_kernelINS0_14default_configENS1_25transform_config_selectorIN3c104HalfELb1EEEZNS1_14transform_implILb1ES3_S7_PS6_S9_NS0_8identityIS6_EEEE10hipError_tT2_T3_mT4_P12ihipStream_tbEUlT_E_NS1_11comp_targetILNS1_3genE3ELNS1_11target_archE908ELNS1_3gpuE7ELNS1_3repE0EEENS1_30default_config_static_selectorELNS0_4arch9wavefront6targetE1EEEvT1_,"axG",@progbits,_ZN7rocprim17ROCPRIM_400000_NS6detail17trampoline_kernelINS0_14default_configENS1_25transform_config_selectorIN3c104HalfELb1EEEZNS1_14transform_implILb1ES3_S7_PS6_S9_NS0_8identityIS6_EEEE10hipError_tT2_T3_mT4_P12ihipStream_tbEUlT_E_NS1_11comp_targetILNS1_3genE3ELNS1_11target_archE908ELNS1_3gpuE7ELNS1_3repE0EEENS1_30default_config_static_selectorELNS0_4arch9wavefront6targetE1EEEvT1_,comdat
.Lfunc_end2176:
	.size	_ZN7rocprim17ROCPRIM_400000_NS6detail17trampoline_kernelINS0_14default_configENS1_25transform_config_selectorIN3c104HalfELb1EEEZNS1_14transform_implILb1ES3_S7_PS6_S9_NS0_8identityIS6_EEEE10hipError_tT2_T3_mT4_P12ihipStream_tbEUlT_E_NS1_11comp_targetILNS1_3genE3ELNS1_11target_archE908ELNS1_3gpuE7ELNS1_3repE0EEENS1_30default_config_static_selectorELNS0_4arch9wavefront6targetE1EEEvT1_, .Lfunc_end2176-_ZN7rocprim17ROCPRIM_400000_NS6detail17trampoline_kernelINS0_14default_configENS1_25transform_config_selectorIN3c104HalfELb1EEEZNS1_14transform_implILb1ES3_S7_PS6_S9_NS0_8identityIS6_EEEE10hipError_tT2_T3_mT4_P12ihipStream_tbEUlT_E_NS1_11comp_targetILNS1_3genE3ELNS1_11target_archE908ELNS1_3gpuE7ELNS1_3repE0EEENS1_30default_config_static_selectorELNS0_4arch9wavefront6targetE1EEEvT1_
                                        ; -- End function
	.set _ZN7rocprim17ROCPRIM_400000_NS6detail17trampoline_kernelINS0_14default_configENS1_25transform_config_selectorIN3c104HalfELb1EEEZNS1_14transform_implILb1ES3_S7_PS6_S9_NS0_8identityIS6_EEEE10hipError_tT2_T3_mT4_P12ihipStream_tbEUlT_E_NS1_11comp_targetILNS1_3genE3ELNS1_11target_archE908ELNS1_3gpuE7ELNS1_3repE0EEENS1_30default_config_static_selectorELNS0_4arch9wavefront6targetE1EEEvT1_.num_vgpr, 0
	.set _ZN7rocprim17ROCPRIM_400000_NS6detail17trampoline_kernelINS0_14default_configENS1_25transform_config_selectorIN3c104HalfELb1EEEZNS1_14transform_implILb1ES3_S7_PS6_S9_NS0_8identityIS6_EEEE10hipError_tT2_T3_mT4_P12ihipStream_tbEUlT_E_NS1_11comp_targetILNS1_3genE3ELNS1_11target_archE908ELNS1_3gpuE7ELNS1_3repE0EEENS1_30default_config_static_selectorELNS0_4arch9wavefront6targetE1EEEvT1_.num_agpr, 0
	.set _ZN7rocprim17ROCPRIM_400000_NS6detail17trampoline_kernelINS0_14default_configENS1_25transform_config_selectorIN3c104HalfELb1EEEZNS1_14transform_implILb1ES3_S7_PS6_S9_NS0_8identityIS6_EEEE10hipError_tT2_T3_mT4_P12ihipStream_tbEUlT_E_NS1_11comp_targetILNS1_3genE3ELNS1_11target_archE908ELNS1_3gpuE7ELNS1_3repE0EEENS1_30default_config_static_selectorELNS0_4arch9wavefront6targetE1EEEvT1_.numbered_sgpr, 0
	.set _ZN7rocprim17ROCPRIM_400000_NS6detail17trampoline_kernelINS0_14default_configENS1_25transform_config_selectorIN3c104HalfELb1EEEZNS1_14transform_implILb1ES3_S7_PS6_S9_NS0_8identityIS6_EEEE10hipError_tT2_T3_mT4_P12ihipStream_tbEUlT_E_NS1_11comp_targetILNS1_3genE3ELNS1_11target_archE908ELNS1_3gpuE7ELNS1_3repE0EEENS1_30default_config_static_selectorELNS0_4arch9wavefront6targetE1EEEvT1_.num_named_barrier, 0
	.set _ZN7rocprim17ROCPRIM_400000_NS6detail17trampoline_kernelINS0_14default_configENS1_25transform_config_selectorIN3c104HalfELb1EEEZNS1_14transform_implILb1ES3_S7_PS6_S9_NS0_8identityIS6_EEEE10hipError_tT2_T3_mT4_P12ihipStream_tbEUlT_E_NS1_11comp_targetILNS1_3genE3ELNS1_11target_archE908ELNS1_3gpuE7ELNS1_3repE0EEENS1_30default_config_static_selectorELNS0_4arch9wavefront6targetE1EEEvT1_.private_seg_size, 0
	.set _ZN7rocprim17ROCPRIM_400000_NS6detail17trampoline_kernelINS0_14default_configENS1_25transform_config_selectorIN3c104HalfELb1EEEZNS1_14transform_implILb1ES3_S7_PS6_S9_NS0_8identityIS6_EEEE10hipError_tT2_T3_mT4_P12ihipStream_tbEUlT_E_NS1_11comp_targetILNS1_3genE3ELNS1_11target_archE908ELNS1_3gpuE7ELNS1_3repE0EEENS1_30default_config_static_selectorELNS0_4arch9wavefront6targetE1EEEvT1_.uses_vcc, 0
	.set _ZN7rocprim17ROCPRIM_400000_NS6detail17trampoline_kernelINS0_14default_configENS1_25transform_config_selectorIN3c104HalfELb1EEEZNS1_14transform_implILb1ES3_S7_PS6_S9_NS0_8identityIS6_EEEE10hipError_tT2_T3_mT4_P12ihipStream_tbEUlT_E_NS1_11comp_targetILNS1_3genE3ELNS1_11target_archE908ELNS1_3gpuE7ELNS1_3repE0EEENS1_30default_config_static_selectorELNS0_4arch9wavefront6targetE1EEEvT1_.uses_flat_scratch, 0
	.set _ZN7rocprim17ROCPRIM_400000_NS6detail17trampoline_kernelINS0_14default_configENS1_25transform_config_selectorIN3c104HalfELb1EEEZNS1_14transform_implILb1ES3_S7_PS6_S9_NS0_8identityIS6_EEEE10hipError_tT2_T3_mT4_P12ihipStream_tbEUlT_E_NS1_11comp_targetILNS1_3genE3ELNS1_11target_archE908ELNS1_3gpuE7ELNS1_3repE0EEENS1_30default_config_static_selectorELNS0_4arch9wavefront6targetE1EEEvT1_.has_dyn_sized_stack, 0
	.set _ZN7rocprim17ROCPRIM_400000_NS6detail17trampoline_kernelINS0_14default_configENS1_25transform_config_selectorIN3c104HalfELb1EEEZNS1_14transform_implILb1ES3_S7_PS6_S9_NS0_8identityIS6_EEEE10hipError_tT2_T3_mT4_P12ihipStream_tbEUlT_E_NS1_11comp_targetILNS1_3genE3ELNS1_11target_archE908ELNS1_3gpuE7ELNS1_3repE0EEENS1_30default_config_static_selectorELNS0_4arch9wavefront6targetE1EEEvT1_.has_recursion, 0
	.set _ZN7rocprim17ROCPRIM_400000_NS6detail17trampoline_kernelINS0_14default_configENS1_25transform_config_selectorIN3c104HalfELb1EEEZNS1_14transform_implILb1ES3_S7_PS6_S9_NS0_8identityIS6_EEEE10hipError_tT2_T3_mT4_P12ihipStream_tbEUlT_E_NS1_11comp_targetILNS1_3genE3ELNS1_11target_archE908ELNS1_3gpuE7ELNS1_3repE0EEENS1_30default_config_static_selectorELNS0_4arch9wavefront6targetE1EEEvT1_.has_indirect_call, 0
	.section	.AMDGPU.csdata,"",@progbits
; Kernel info:
; codeLenInByte = 0
; TotalNumSgprs: 4
; NumVgprs: 0
; ScratchSize: 0
; MemoryBound: 0
; FloatMode: 240
; IeeeMode: 1
; LDSByteSize: 0 bytes/workgroup (compile time only)
; SGPRBlocks: 0
; VGPRBlocks: 0
; NumSGPRsForWavesPerEU: 4
; NumVGPRsForWavesPerEU: 1
; Occupancy: 10
; WaveLimiterHint : 0
; COMPUTE_PGM_RSRC2:SCRATCH_EN: 0
; COMPUTE_PGM_RSRC2:USER_SGPR: 6
; COMPUTE_PGM_RSRC2:TRAP_HANDLER: 0
; COMPUTE_PGM_RSRC2:TGID_X_EN: 1
; COMPUTE_PGM_RSRC2:TGID_Y_EN: 0
; COMPUTE_PGM_RSRC2:TGID_Z_EN: 0
; COMPUTE_PGM_RSRC2:TIDIG_COMP_CNT: 0
	.section	.text._ZN7rocprim17ROCPRIM_400000_NS6detail17trampoline_kernelINS0_14default_configENS1_25transform_config_selectorIN3c104HalfELb1EEEZNS1_14transform_implILb1ES3_S7_PS6_S9_NS0_8identityIS6_EEEE10hipError_tT2_T3_mT4_P12ihipStream_tbEUlT_E_NS1_11comp_targetILNS1_3genE2ELNS1_11target_archE906ELNS1_3gpuE6ELNS1_3repE0EEENS1_30default_config_static_selectorELNS0_4arch9wavefront6targetE1EEEvT1_,"axG",@progbits,_ZN7rocprim17ROCPRIM_400000_NS6detail17trampoline_kernelINS0_14default_configENS1_25transform_config_selectorIN3c104HalfELb1EEEZNS1_14transform_implILb1ES3_S7_PS6_S9_NS0_8identityIS6_EEEE10hipError_tT2_T3_mT4_P12ihipStream_tbEUlT_E_NS1_11comp_targetILNS1_3genE2ELNS1_11target_archE906ELNS1_3gpuE6ELNS1_3repE0EEENS1_30default_config_static_selectorELNS0_4arch9wavefront6targetE1EEEvT1_,comdat
	.protected	_ZN7rocprim17ROCPRIM_400000_NS6detail17trampoline_kernelINS0_14default_configENS1_25transform_config_selectorIN3c104HalfELb1EEEZNS1_14transform_implILb1ES3_S7_PS6_S9_NS0_8identityIS6_EEEE10hipError_tT2_T3_mT4_P12ihipStream_tbEUlT_E_NS1_11comp_targetILNS1_3genE2ELNS1_11target_archE906ELNS1_3gpuE6ELNS1_3repE0EEENS1_30default_config_static_selectorELNS0_4arch9wavefront6targetE1EEEvT1_ ; -- Begin function _ZN7rocprim17ROCPRIM_400000_NS6detail17trampoline_kernelINS0_14default_configENS1_25transform_config_selectorIN3c104HalfELb1EEEZNS1_14transform_implILb1ES3_S7_PS6_S9_NS0_8identityIS6_EEEE10hipError_tT2_T3_mT4_P12ihipStream_tbEUlT_E_NS1_11comp_targetILNS1_3genE2ELNS1_11target_archE906ELNS1_3gpuE6ELNS1_3repE0EEENS1_30default_config_static_selectorELNS0_4arch9wavefront6targetE1EEEvT1_
	.globl	_ZN7rocprim17ROCPRIM_400000_NS6detail17trampoline_kernelINS0_14default_configENS1_25transform_config_selectorIN3c104HalfELb1EEEZNS1_14transform_implILb1ES3_S7_PS6_S9_NS0_8identityIS6_EEEE10hipError_tT2_T3_mT4_P12ihipStream_tbEUlT_E_NS1_11comp_targetILNS1_3genE2ELNS1_11target_archE906ELNS1_3gpuE6ELNS1_3repE0EEENS1_30default_config_static_selectorELNS0_4arch9wavefront6targetE1EEEvT1_
	.p2align	8
	.type	_ZN7rocprim17ROCPRIM_400000_NS6detail17trampoline_kernelINS0_14default_configENS1_25transform_config_selectorIN3c104HalfELb1EEEZNS1_14transform_implILb1ES3_S7_PS6_S9_NS0_8identityIS6_EEEE10hipError_tT2_T3_mT4_P12ihipStream_tbEUlT_E_NS1_11comp_targetILNS1_3genE2ELNS1_11target_archE906ELNS1_3gpuE6ELNS1_3repE0EEENS1_30default_config_static_selectorELNS0_4arch9wavefront6targetE1EEEvT1_,@function
_ZN7rocprim17ROCPRIM_400000_NS6detail17trampoline_kernelINS0_14default_configENS1_25transform_config_selectorIN3c104HalfELb1EEEZNS1_14transform_implILb1ES3_S7_PS6_S9_NS0_8identityIS6_EEEE10hipError_tT2_T3_mT4_P12ihipStream_tbEUlT_E_NS1_11comp_targetILNS1_3genE2ELNS1_11target_archE906ELNS1_3gpuE6ELNS1_3repE0EEENS1_30default_config_static_selectorELNS0_4arch9wavefront6targetE1EEEvT1_: ; @_ZN7rocprim17ROCPRIM_400000_NS6detail17trampoline_kernelINS0_14default_configENS1_25transform_config_selectorIN3c104HalfELb1EEEZNS1_14transform_implILb1ES3_S7_PS6_S9_NS0_8identityIS6_EEEE10hipError_tT2_T3_mT4_P12ihipStream_tbEUlT_E_NS1_11comp_targetILNS1_3genE2ELNS1_11target_archE906ELNS1_3gpuE6ELNS1_3repE0EEENS1_30default_config_static_selectorELNS0_4arch9wavefront6targetE1EEEvT1_
; %bb.0:
	s_load_dwordx8 s[8:15], s[4:5], 0x0
	s_load_dword s2, s[4:5], 0x28
	s_waitcnt lgkmcnt(0)
	s_lshl_b64 s[0:1], s[10:11], 1
	s_add_u32 s3, s8, s0
	s_addc_u32 s4, s9, s1
	s_add_u32 s20, s14, s0
	s_addc_u32 s21, s15, s1
	s_lshl_b32 s0, s6, 13
	s_mov_b32 s1, 0
	s_add_i32 s2, s2, -1
	s_lshl_b64 s[14:15], s[0:1], 1
	s_add_u32 s16, s3, s14
	s_addc_u32 s17, s4, s15
	s_cmp_lg_u32 s6, s2
	s_mov_b64 s[2:3], -1
	s_cbranch_scc0 .LBB2177_2
; %bb.1:
	v_lshlrev_b32_e32 v5, 4, v0
	global_load_dwordx4 v[1:4], v5, s[16:17]
	s_add_u32 s2, s20, s14
	s_addc_u32 s3, s21, s15
	s_waitcnt vmcnt(0)
	global_store_dwordx4 v5, v[1:4], s[2:3]
	s_mov_b64 s[2:3], 0
.LBB2177_2:
	s_andn2_b64 vcc, exec, s[2:3]
	s_cbranch_vccnz .LBB2177_28
; %bb.3:
	s_sub_i32 s18, s12, s0
	v_cmp_gt_u32_e32 vcc, s18, v0
	v_lshlrev_b32_e32 v1, 1, v0
                                        ; implicit-def: $vgpr2
	s_and_saveexec_b64 s[0:1], vcc
	s_cbranch_execz .LBB2177_5
; %bb.4:
	global_load_ushort v2, v1, s[16:17]
.LBB2177_5:
	s_or_b64 exec, exec, s[0:1]
	v_or_b32_e32 v3, 0x400, v0
	v_cmp_gt_u32_e64 s[0:1], s18, v3
                                        ; implicit-def: $vgpr3
	s_and_saveexec_b64 s[2:3], s[0:1]
	s_cbranch_execz .LBB2177_7
; %bb.6:
	global_load_ushort v3, v1, s[16:17] offset:2048
.LBB2177_7:
	s_or_b64 exec, exec, s[2:3]
	v_or_b32_e32 v5, 0x800, v0
	v_cmp_gt_u32_e64 s[2:3], s18, v5
                                        ; implicit-def: $vgpr4
	s_and_saveexec_b64 s[4:5], s[2:3]
	s_cbranch_execz .LBB2177_9
; %bb.8:
	v_lshlrev_b32_e32 v4, 1, v5
	global_load_ushort v4, v4, s[16:17]
.LBB2177_9:
	s_or_b64 exec, exec, s[4:5]
	v_or_b32_e32 v6, 0xc00, v0
	v_cmp_gt_u32_e64 s[4:5], s18, v6
                                        ; implicit-def: $vgpr5
	s_and_saveexec_b64 s[6:7], s[4:5]
	s_cbranch_execz .LBB2177_11
; %bb.10:
	v_lshlrev_b32_e32 v5, 1, v6
	global_load_ushort v5, v5, s[16:17]
.LBB2177_11:
	s_or_b64 exec, exec, s[6:7]
	v_or_b32_e32 v7, 0x1000, v0
	v_cmp_gt_u32_e64 s[6:7], s18, v7
                                        ; implicit-def: $vgpr6
	s_and_saveexec_b64 s[8:9], s[6:7]
	s_cbranch_execz .LBB2177_13
; %bb.12:
	v_lshlrev_b32_e32 v6, 1, v7
	global_load_ushort v6, v6, s[16:17]
.LBB2177_13:
	s_or_b64 exec, exec, s[8:9]
	v_or_b32_e32 v8, 0x1400, v0
	v_cmp_gt_u32_e64 s[8:9], s18, v8
                                        ; implicit-def: $vgpr7
	s_and_saveexec_b64 s[10:11], s[8:9]
	s_cbranch_execz .LBB2177_15
; %bb.14:
	v_lshlrev_b32_e32 v7, 1, v8
	global_load_ushort v7, v7, s[16:17]
.LBB2177_15:
	s_or_b64 exec, exec, s[10:11]
	v_or_b32_e32 v9, 0x1800, v0
	v_cmp_gt_u32_e64 s[10:11], s18, v9
                                        ; implicit-def: $vgpr8
	s_and_saveexec_b64 s[12:13], s[10:11]
	s_cbranch_execz .LBB2177_17
; %bb.16:
	v_lshlrev_b32_e32 v8, 1, v9
	global_load_ushort v8, v8, s[16:17]
.LBB2177_17:
	s_or_b64 exec, exec, s[12:13]
	v_or_b32_e32 v0, 0x1c00, v0
	v_cmp_gt_u32_e64 s[12:13], s18, v0
                                        ; implicit-def: $vgpr9
	s_and_saveexec_b64 s[18:19], s[12:13]
	s_cbranch_execz .LBB2177_19
; %bb.18:
	v_lshlrev_b32_e32 v0, 1, v0
	global_load_ushort v9, v0, s[16:17]
.LBB2177_19:
	s_or_b64 exec, exec, s[18:19]
	s_add_u32 s14, s20, s14
	s_addc_u32 s15, s21, s15
	v_mov_b32_e32 v10, s15
	v_add_co_u32_e64 v0, s[14:15], s14, v1
	v_addc_co_u32_e64 v1, s[14:15], 0, v10, s[14:15]
	s_and_saveexec_b64 s[14:15], vcc
	s_cbranch_execnz .LBB2177_29
; %bb.20:
	s_or_b64 exec, exec, s[14:15]
	s_and_saveexec_b64 s[14:15], s[0:1]
	s_cbranch_execnz .LBB2177_30
.LBB2177_21:
	s_or_b64 exec, exec, s[14:15]
	s_and_saveexec_b64 s[0:1], s[2:3]
	s_cbranch_execnz .LBB2177_31
.LBB2177_22:
	s_or_b64 exec, exec, s[0:1]
	s_and_saveexec_b64 s[0:1], s[4:5]
	s_cbranch_execnz .LBB2177_32
.LBB2177_23:
	s_or_b64 exec, exec, s[0:1]
	s_and_saveexec_b64 s[0:1], s[6:7]
	s_cbranch_execnz .LBB2177_33
.LBB2177_24:
	s_or_b64 exec, exec, s[0:1]
	s_and_saveexec_b64 s[0:1], s[8:9]
	s_cbranch_execnz .LBB2177_34
.LBB2177_25:
	s_or_b64 exec, exec, s[0:1]
	s_and_saveexec_b64 s[0:1], s[10:11]
	s_cbranch_execnz .LBB2177_35
.LBB2177_26:
	s_or_b64 exec, exec, s[0:1]
	s_and_saveexec_b64 s[0:1], s[12:13]
	s_cbranch_execz .LBB2177_28
.LBB2177_27:
	v_add_co_u32_e32 v0, vcc, 0x3000, v0
	v_addc_co_u32_e32 v1, vcc, 0, v1, vcc
	s_waitcnt vmcnt(0)
	global_store_short v[0:1], v9, off offset:2048
.LBB2177_28:
	s_endpgm
.LBB2177_29:
	s_waitcnt vmcnt(0)
	global_store_short v[0:1], v2, off
	s_or_b64 exec, exec, s[14:15]
	s_and_saveexec_b64 s[14:15], s[0:1]
	s_cbranch_execz .LBB2177_21
.LBB2177_30:
	s_waitcnt vmcnt(0)
	global_store_short v[0:1], v3, off offset:2048
	s_or_b64 exec, exec, s[14:15]
	s_and_saveexec_b64 s[0:1], s[2:3]
	s_cbranch_execz .LBB2177_22
.LBB2177_31:
	s_waitcnt vmcnt(0)
	v_add_co_u32_e32 v2, vcc, 0x1000, v0
	v_addc_co_u32_e32 v3, vcc, 0, v1, vcc
	global_store_short v[2:3], v4, off
	s_or_b64 exec, exec, s[0:1]
	s_and_saveexec_b64 s[0:1], s[4:5]
	s_cbranch_execz .LBB2177_23
.LBB2177_32:
	s_waitcnt vmcnt(0)
	v_add_co_u32_e32 v2, vcc, 0x1000, v0
	v_addc_co_u32_e32 v3, vcc, 0, v1, vcc
	global_store_short v[2:3], v5, off offset:2048
	s_or_b64 exec, exec, s[0:1]
	s_and_saveexec_b64 s[0:1], s[6:7]
	s_cbranch_execz .LBB2177_24
.LBB2177_33:
	s_waitcnt vmcnt(0)
	v_add_co_u32_e32 v2, vcc, 0x2000, v0
	v_addc_co_u32_e32 v3, vcc, 0, v1, vcc
	global_store_short v[2:3], v6, off
	s_or_b64 exec, exec, s[0:1]
	s_and_saveexec_b64 s[0:1], s[8:9]
	s_cbranch_execz .LBB2177_25
.LBB2177_34:
	s_waitcnt vmcnt(0)
	v_add_co_u32_e32 v2, vcc, 0x2000, v0
	v_addc_co_u32_e32 v3, vcc, 0, v1, vcc
	global_store_short v[2:3], v7, off offset:2048
	s_or_b64 exec, exec, s[0:1]
	s_and_saveexec_b64 s[0:1], s[10:11]
	s_cbranch_execz .LBB2177_26
.LBB2177_35:
	s_waitcnt vmcnt(0)
	v_add_co_u32_e32 v2, vcc, 0x3000, v0
	v_addc_co_u32_e32 v3, vcc, 0, v1, vcc
	global_store_short v[2:3], v8, off
	s_or_b64 exec, exec, s[0:1]
	s_and_saveexec_b64 s[0:1], s[12:13]
	s_cbranch_execnz .LBB2177_27
	s_branch .LBB2177_28
	.section	.rodata,"a",@progbits
	.p2align	6, 0x0
	.amdhsa_kernel _ZN7rocprim17ROCPRIM_400000_NS6detail17trampoline_kernelINS0_14default_configENS1_25transform_config_selectorIN3c104HalfELb1EEEZNS1_14transform_implILb1ES3_S7_PS6_S9_NS0_8identityIS6_EEEE10hipError_tT2_T3_mT4_P12ihipStream_tbEUlT_E_NS1_11comp_targetILNS1_3genE2ELNS1_11target_archE906ELNS1_3gpuE6ELNS1_3repE0EEENS1_30default_config_static_selectorELNS0_4arch9wavefront6targetE1EEEvT1_
		.amdhsa_group_segment_fixed_size 0
		.amdhsa_private_segment_fixed_size 0
		.amdhsa_kernarg_size 296
		.amdhsa_user_sgpr_count 6
		.amdhsa_user_sgpr_private_segment_buffer 1
		.amdhsa_user_sgpr_dispatch_ptr 0
		.amdhsa_user_sgpr_queue_ptr 0
		.amdhsa_user_sgpr_kernarg_segment_ptr 1
		.amdhsa_user_sgpr_dispatch_id 0
		.amdhsa_user_sgpr_flat_scratch_init 0
		.amdhsa_user_sgpr_private_segment_size 0
		.amdhsa_uses_dynamic_stack 0
		.amdhsa_system_sgpr_private_segment_wavefront_offset 0
		.amdhsa_system_sgpr_workgroup_id_x 1
		.amdhsa_system_sgpr_workgroup_id_y 0
		.amdhsa_system_sgpr_workgroup_id_z 0
		.amdhsa_system_sgpr_workgroup_info 0
		.amdhsa_system_vgpr_workitem_id 0
		.amdhsa_next_free_vgpr 11
		.amdhsa_next_free_sgpr 22
		.amdhsa_reserve_vcc 1
		.amdhsa_reserve_flat_scratch 0
		.amdhsa_float_round_mode_32 0
		.amdhsa_float_round_mode_16_64 0
		.amdhsa_float_denorm_mode_32 3
		.amdhsa_float_denorm_mode_16_64 3
		.amdhsa_dx10_clamp 1
		.amdhsa_ieee_mode 1
		.amdhsa_fp16_overflow 0
		.amdhsa_exception_fp_ieee_invalid_op 0
		.amdhsa_exception_fp_denorm_src 0
		.amdhsa_exception_fp_ieee_div_zero 0
		.amdhsa_exception_fp_ieee_overflow 0
		.amdhsa_exception_fp_ieee_underflow 0
		.amdhsa_exception_fp_ieee_inexact 0
		.amdhsa_exception_int_div_zero 0
	.end_amdhsa_kernel
	.section	.text._ZN7rocprim17ROCPRIM_400000_NS6detail17trampoline_kernelINS0_14default_configENS1_25transform_config_selectorIN3c104HalfELb1EEEZNS1_14transform_implILb1ES3_S7_PS6_S9_NS0_8identityIS6_EEEE10hipError_tT2_T3_mT4_P12ihipStream_tbEUlT_E_NS1_11comp_targetILNS1_3genE2ELNS1_11target_archE906ELNS1_3gpuE6ELNS1_3repE0EEENS1_30default_config_static_selectorELNS0_4arch9wavefront6targetE1EEEvT1_,"axG",@progbits,_ZN7rocprim17ROCPRIM_400000_NS6detail17trampoline_kernelINS0_14default_configENS1_25transform_config_selectorIN3c104HalfELb1EEEZNS1_14transform_implILb1ES3_S7_PS6_S9_NS0_8identityIS6_EEEE10hipError_tT2_T3_mT4_P12ihipStream_tbEUlT_E_NS1_11comp_targetILNS1_3genE2ELNS1_11target_archE906ELNS1_3gpuE6ELNS1_3repE0EEENS1_30default_config_static_selectorELNS0_4arch9wavefront6targetE1EEEvT1_,comdat
.Lfunc_end2177:
	.size	_ZN7rocprim17ROCPRIM_400000_NS6detail17trampoline_kernelINS0_14default_configENS1_25transform_config_selectorIN3c104HalfELb1EEEZNS1_14transform_implILb1ES3_S7_PS6_S9_NS0_8identityIS6_EEEE10hipError_tT2_T3_mT4_P12ihipStream_tbEUlT_E_NS1_11comp_targetILNS1_3genE2ELNS1_11target_archE906ELNS1_3gpuE6ELNS1_3repE0EEENS1_30default_config_static_selectorELNS0_4arch9wavefront6targetE1EEEvT1_, .Lfunc_end2177-_ZN7rocprim17ROCPRIM_400000_NS6detail17trampoline_kernelINS0_14default_configENS1_25transform_config_selectorIN3c104HalfELb1EEEZNS1_14transform_implILb1ES3_S7_PS6_S9_NS0_8identityIS6_EEEE10hipError_tT2_T3_mT4_P12ihipStream_tbEUlT_E_NS1_11comp_targetILNS1_3genE2ELNS1_11target_archE906ELNS1_3gpuE6ELNS1_3repE0EEENS1_30default_config_static_selectorELNS0_4arch9wavefront6targetE1EEEvT1_
                                        ; -- End function
	.set _ZN7rocprim17ROCPRIM_400000_NS6detail17trampoline_kernelINS0_14default_configENS1_25transform_config_selectorIN3c104HalfELb1EEEZNS1_14transform_implILb1ES3_S7_PS6_S9_NS0_8identityIS6_EEEE10hipError_tT2_T3_mT4_P12ihipStream_tbEUlT_E_NS1_11comp_targetILNS1_3genE2ELNS1_11target_archE906ELNS1_3gpuE6ELNS1_3repE0EEENS1_30default_config_static_selectorELNS0_4arch9wavefront6targetE1EEEvT1_.num_vgpr, 11
	.set _ZN7rocprim17ROCPRIM_400000_NS6detail17trampoline_kernelINS0_14default_configENS1_25transform_config_selectorIN3c104HalfELb1EEEZNS1_14transform_implILb1ES3_S7_PS6_S9_NS0_8identityIS6_EEEE10hipError_tT2_T3_mT4_P12ihipStream_tbEUlT_E_NS1_11comp_targetILNS1_3genE2ELNS1_11target_archE906ELNS1_3gpuE6ELNS1_3repE0EEENS1_30default_config_static_selectorELNS0_4arch9wavefront6targetE1EEEvT1_.num_agpr, 0
	.set _ZN7rocprim17ROCPRIM_400000_NS6detail17trampoline_kernelINS0_14default_configENS1_25transform_config_selectorIN3c104HalfELb1EEEZNS1_14transform_implILb1ES3_S7_PS6_S9_NS0_8identityIS6_EEEE10hipError_tT2_T3_mT4_P12ihipStream_tbEUlT_E_NS1_11comp_targetILNS1_3genE2ELNS1_11target_archE906ELNS1_3gpuE6ELNS1_3repE0EEENS1_30default_config_static_selectorELNS0_4arch9wavefront6targetE1EEEvT1_.numbered_sgpr, 22
	.set _ZN7rocprim17ROCPRIM_400000_NS6detail17trampoline_kernelINS0_14default_configENS1_25transform_config_selectorIN3c104HalfELb1EEEZNS1_14transform_implILb1ES3_S7_PS6_S9_NS0_8identityIS6_EEEE10hipError_tT2_T3_mT4_P12ihipStream_tbEUlT_E_NS1_11comp_targetILNS1_3genE2ELNS1_11target_archE906ELNS1_3gpuE6ELNS1_3repE0EEENS1_30default_config_static_selectorELNS0_4arch9wavefront6targetE1EEEvT1_.num_named_barrier, 0
	.set _ZN7rocprim17ROCPRIM_400000_NS6detail17trampoline_kernelINS0_14default_configENS1_25transform_config_selectorIN3c104HalfELb1EEEZNS1_14transform_implILb1ES3_S7_PS6_S9_NS0_8identityIS6_EEEE10hipError_tT2_T3_mT4_P12ihipStream_tbEUlT_E_NS1_11comp_targetILNS1_3genE2ELNS1_11target_archE906ELNS1_3gpuE6ELNS1_3repE0EEENS1_30default_config_static_selectorELNS0_4arch9wavefront6targetE1EEEvT1_.private_seg_size, 0
	.set _ZN7rocprim17ROCPRIM_400000_NS6detail17trampoline_kernelINS0_14default_configENS1_25transform_config_selectorIN3c104HalfELb1EEEZNS1_14transform_implILb1ES3_S7_PS6_S9_NS0_8identityIS6_EEEE10hipError_tT2_T3_mT4_P12ihipStream_tbEUlT_E_NS1_11comp_targetILNS1_3genE2ELNS1_11target_archE906ELNS1_3gpuE6ELNS1_3repE0EEENS1_30default_config_static_selectorELNS0_4arch9wavefront6targetE1EEEvT1_.uses_vcc, 1
	.set _ZN7rocprim17ROCPRIM_400000_NS6detail17trampoline_kernelINS0_14default_configENS1_25transform_config_selectorIN3c104HalfELb1EEEZNS1_14transform_implILb1ES3_S7_PS6_S9_NS0_8identityIS6_EEEE10hipError_tT2_T3_mT4_P12ihipStream_tbEUlT_E_NS1_11comp_targetILNS1_3genE2ELNS1_11target_archE906ELNS1_3gpuE6ELNS1_3repE0EEENS1_30default_config_static_selectorELNS0_4arch9wavefront6targetE1EEEvT1_.uses_flat_scratch, 0
	.set _ZN7rocprim17ROCPRIM_400000_NS6detail17trampoline_kernelINS0_14default_configENS1_25transform_config_selectorIN3c104HalfELb1EEEZNS1_14transform_implILb1ES3_S7_PS6_S9_NS0_8identityIS6_EEEE10hipError_tT2_T3_mT4_P12ihipStream_tbEUlT_E_NS1_11comp_targetILNS1_3genE2ELNS1_11target_archE906ELNS1_3gpuE6ELNS1_3repE0EEENS1_30default_config_static_selectorELNS0_4arch9wavefront6targetE1EEEvT1_.has_dyn_sized_stack, 0
	.set _ZN7rocprim17ROCPRIM_400000_NS6detail17trampoline_kernelINS0_14default_configENS1_25transform_config_selectorIN3c104HalfELb1EEEZNS1_14transform_implILb1ES3_S7_PS6_S9_NS0_8identityIS6_EEEE10hipError_tT2_T3_mT4_P12ihipStream_tbEUlT_E_NS1_11comp_targetILNS1_3genE2ELNS1_11target_archE906ELNS1_3gpuE6ELNS1_3repE0EEENS1_30default_config_static_selectorELNS0_4arch9wavefront6targetE1EEEvT1_.has_recursion, 0
	.set _ZN7rocprim17ROCPRIM_400000_NS6detail17trampoline_kernelINS0_14default_configENS1_25transform_config_selectorIN3c104HalfELb1EEEZNS1_14transform_implILb1ES3_S7_PS6_S9_NS0_8identityIS6_EEEE10hipError_tT2_T3_mT4_P12ihipStream_tbEUlT_E_NS1_11comp_targetILNS1_3genE2ELNS1_11target_archE906ELNS1_3gpuE6ELNS1_3repE0EEENS1_30default_config_static_selectorELNS0_4arch9wavefront6targetE1EEEvT1_.has_indirect_call, 0
	.section	.AMDGPU.csdata,"",@progbits
; Kernel info:
; codeLenInByte = 808
; TotalNumSgprs: 26
; NumVgprs: 11
; ScratchSize: 0
; MemoryBound: 1
; FloatMode: 240
; IeeeMode: 1
; LDSByteSize: 0 bytes/workgroup (compile time only)
; SGPRBlocks: 3
; VGPRBlocks: 2
; NumSGPRsForWavesPerEU: 26
; NumVGPRsForWavesPerEU: 11
; Occupancy: 10
; WaveLimiterHint : 0
; COMPUTE_PGM_RSRC2:SCRATCH_EN: 0
; COMPUTE_PGM_RSRC2:USER_SGPR: 6
; COMPUTE_PGM_RSRC2:TRAP_HANDLER: 0
; COMPUTE_PGM_RSRC2:TGID_X_EN: 1
; COMPUTE_PGM_RSRC2:TGID_Y_EN: 0
; COMPUTE_PGM_RSRC2:TGID_Z_EN: 0
; COMPUTE_PGM_RSRC2:TIDIG_COMP_CNT: 0
	.section	.text._ZN7rocprim17ROCPRIM_400000_NS6detail17trampoline_kernelINS0_14default_configENS1_25transform_config_selectorIN3c104HalfELb1EEEZNS1_14transform_implILb1ES3_S7_PS6_S9_NS0_8identityIS6_EEEE10hipError_tT2_T3_mT4_P12ihipStream_tbEUlT_E_NS1_11comp_targetILNS1_3genE9ELNS1_11target_archE1100ELNS1_3gpuE3ELNS1_3repE0EEENS1_30default_config_static_selectorELNS0_4arch9wavefront6targetE1EEEvT1_,"axG",@progbits,_ZN7rocprim17ROCPRIM_400000_NS6detail17trampoline_kernelINS0_14default_configENS1_25transform_config_selectorIN3c104HalfELb1EEEZNS1_14transform_implILb1ES3_S7_PS6_S9_NS0_8identityIS6_EEEE10hipError_tT2_T3_mT4_P12ihipStream_tbEUlT_E_NS1_11comp_targetILNS1_3genE9ELNS1_11target_archE1100ELNS1_3gpuE3ELNS1_3repE0EEENS1_30default_config_static_selectorELNS0_4arch9wavefront6targetE1EEEvT1_,comdat
	.protected	_ZN7rocprim17ROCPRIM_400000_NS6detail17trampoline_kernelINS0_14default_configENS1_25transform_config_selectorIN3c104HalfELb1EEEZNS1_14transform_implILb1ES3_S7_PS6_S9_NS0_8identityIS6_EEEE10hipError_tT2_T3_mT4_P12ihipStream_tbEUlT_E_NS1_11comp_targetILNS1_3genE9ELNS1_11target_archE1100ELNS1_3gpuE3ELNS1_3repE0EEENS1_30default_config_static_selectorELNS0_4arch9wavefront6targetE1EEEvT1_ ; -- Begin function _ZN7rocprim17ROCPRIM_400000_NS6detail17trampoline_kernelINS0_14default_configENS1_25transform_config_selectorIN3c104HalfELb1EEEZNS1_14transform_implILb1ES3_S7_PS6_S9_NS0_8identityIS6_EEEE10hipError_tT2_T3_mT4_P12ihipStream_tbEUlT_E_NS1_11comp_targetILNS1_3genE9ELNS1_11target_archE1100ELNS1_3gpuE3ELNS1_3repE0EEENS1_30default_config_static_selectorELNS0_4arch9wavefront6targetE1EEEvT1_
	.globl	_ZN7rocprim17ROCPRIM_400000_NS6detail17trampoline_kernelINS0_14default_configENS1_25transform_config_selectorIN3c104HalfELb1EEEZNS1_14transform_implILb1ES3_S7_PS6_S9_NS0_8identityIS6_EEEE10hipError_tT2_T3_mT4_P12ihipStream_tbEUlT_E_NS1_11comp_targetILNS1_3genE9ELNS1_11target_archE1100ELNS1_3gpuE3ELNS1_3repE0EEENS1_30default_config_static_selectorELNS0_4arch9wavefront6targetE1EEEvT1_
	.p2align	8
	.type	_ZN7rocprim17ROCPRIM_400000_NS6detail17trampoline_kernelINS0_14default_configENS1_25transform_config_selectorIN3c104HalfELb1EEEZNS1_14transform_implILb1ES3_S7_PS6_S9_NS0_8identityIS6_EEEE10hipError_tT2_T3_mT4_P12ihipStream_tbEUlT_E_NS1_11comp_targetILNS1_3genE9ELNS1_11target_archE1100ELNS1_3gpuE3ELNS1_3repE0EEENS1_30default_config_static_selectorELNS0_4arch9wavefront6targetE1EEEvT1_,@function
_ZN7rocprim17ROCPRIM_400000_NS6detail17trampoline_kernelINS0_14default_configENS1_25transform_config_selectorIN3c104HalfELb1EEEZNS1_14transform_implILb1ES3_S7_PS6_S9_NS0_8identityIS6_EEEE10hipError_tT2_T3_mT4_P12ihipStream_tbEUlT_E_NS1_11comp_targetILNS1_3genE9ELNS1_11target_archE1100ELNS1_3gpuE3ELNS1_3repE0EEENS1_30default_config_static_selectorELNS0_4arch9wavefront6targetE1EEEvT1_: ; @_ZN7rocprim17ROCPRIM_400000_NS6detail17trampoline_kernelINS0_14default_configENS1_25transform_config_selectorIN3c104HalfELb1EEEZNS1_14transform_implILb1ES3_S7_PS6_S9_NS0_8identityIS6_EEEE10hipError_tT2_T3_mT4_P12ihipStream_tbEUlT_E_NS1_11comp_targetILNS1_3genE9ELNS1_11target_archE1100ELNS1_3gpuE3ELNS1_3repE0EEENS1_30default_config_static_selectorELNS0_4arch9wavefront6targetE1EEEvT1_
; %bb.0:
	.section	.rodata,"a",@progbits
	.p2align	6, 0x0
	.amdhsa_kernel _ZN7rocprim17ROCPRIM_400000_NS6detail17trampoline_kernelINS0_14default_configENS1_25transform_config_selectorIN3c104HalfELb1EEEZNS1_14transform_implILb1ES3_S7_PS6_S9_NS0_8identityIS6_EEEE10hipError_tT2_T3_mT4_P12ihipStream_tbEUlT_E_NS1_11comp_targetILNS1_3genE9ELNS1_11target_archE1100ELNS1_3gpuE3ELNS1_3repE0EEENS1_30default_config_static_selectorELNS0_4arch9wavefront6targetE1EEEvT1_
		.amdhsa_group_segment_fixed_size 0
		.amdhsa_private_segment_fixed_size 0
		.amdhsa_kernarg_size 40
		.amdhsa_user_sgpr_count 6
		.amdhsa_user_sgpr_private_segment_buffer 1
		.amdhsa_user_sgpr_dispatch_ptr 0
		.amdhsa_user_sgpr_queue_ptr 0
		.amdhsa_user_sgpr_kernarg_segment_ptr 1
		.amdhsa_user_sgpr_dispatch_id 0
		.amdhsa_user_sgpr_flat_scratch_init 0
		.amdhsa_user_sgpr_private_segment_size 0
		.amdhsa_uses_dynamic_stack 0
		.amdhsa_system_sgpr_private_segment_wavefront_offset 0
		.amdhsa_system_sgpr_workgroup_id_x 1
		.amdhsa_system_sgpr_workgroup_id_y 0
		.amdhsa_system_sgpr_workgroup_id_z 0
		.amdhsa_system_sgpr_workgroup_info 0
		.amdhsa_system_vgpr_workitem_id 0
		.amdhsa_next_free_vgpr 1
		.amdhsa_next_free_sgpr 0
		.amdhsa_reserve_vcc 0
		.amdhsa_reserve_flat_scratch 0
		.amdhsa_float_round_mode_32 0
		.amdhsa_float_round_mode_16_64 0
		.amdhsa_float_denorm_mode_32 3
		.amdhsa_float_denorm_mode_16_64 3
		.amdhsa_dx10_clamp 1
		.amdhsa_ieee_mode 1
		.amdhsa_fp16_overflow 0
		.amdhsa_exception_fp_ieee_invalid_op 0
		.amdhsa_exception_fp_denorm_src 0
		.amdhsa_exception_fp_ieee_div_zero 0
		.amdhsa_exception_fp_ieee_overflow 0
		.amdhsa_exception_fp_ieee_underflow 0
		.amdhsa_exception_fp_ieee_inexact 0
		.amdhsa_exception_int_div_zero 0
	.end_amdhsa_kernel
	.section	.text._ZN7rocprim17ROCPRIM_400000_NS6detail17trampoline_kernelINS0_14default_configENS1_25transform_config_selectorIN3c104HalfELb1EEEZNS1_14transform_implILb1ES3_S7_PS6_S9_NS0_8identityIS6_EEEE10hipError_tT2_T3_mT4_P12ihipStream_tbEUlT_E_NS1_11comp_targetILNS1_3genE9ELNS1_11target_archE1100ELNS1_3gpuE3ELNS1_3repE0EEENS1_30default_config_static_selectorELNS0_4arch9wavefront6targetE1EEEvT1_,"axG",@progbits,_ZN7rocprim17ROCPRIM_400000_NS6detail17trampoline_kernelINS0_14default_configENS1_25transform_config_selectorIN3c104HalfELb1EEEZNS1_14transform_implILb1ES3_S7_PS6_S9_NS0_8identityIS6_EEEE10hipError_tT2_T3_mT4_P12ihipStream_tbEUlT_E_NS1_11comp_targetILNS1_3genE9ELNS1_11target_archE1100ELNS1_3gpuE3ELNS1_3repE0EEENS1_30default_config_static_selectorELNS0_4arch9wavefront6targetE1EEEvT1_,comdat
.Lfunc_end2178:
	.size	_ZN7rocprim17ROCPRIM_400000_NS6detail17trampoline_kernelINS0_14default_configENS1_25transform_config_selectorIN3c104HalfELb1EEEZNS1_14transform_implILb1ES3_S7_PS6_S9_NS0_8identityIS6_EEEE10hipError_tT2_T3_mT4_P12ihipStream_tbEUlT_E_NS1_11comp_targetILNS1_3genE9ELNS1_11target_archE1100ELNS1_3gpuE3ELNS1_3repE0EEENS1_30default_config_static_selectorELNS0_4arch9wavefront6targetE1EEEvT1_, .Lfunc_end2178-_ZN7rocprim17ROCPRIM_400000_NS6detail17trampoline_kernelINS0_14default_configENS1_25transform_config_selectorIN3c104HalfELb1EEEZNS1_14transform_implILb1ES3_S7_PS6_S9_NS0_8identityIS6_EEEE10hipError_tT2_T3_mT4_P12ihipStream_tbEUlT_E_NS1_11comp_targetILNS1_3genE9ELNS1_11target_archE1100ELNS1_3gpuE3ELNS1_3repE0EEENS1_30default_config_static_selectorELNS0_4arch9wavefront6targetE1EEEvT1_
                                        ; -- End function
	.set _ZN7rocprim17ROCPRIM_400000_NS6detail17trampoline_kernelINS0_14default_configENS1_25transform_config_selectorIN3c104HalfELb1EEEZNS1_14transform_implILb1ES3_S7_PS6_S9_NS0_8identityIS6_EEEE10hipError_tT2_T3_mT4_P12ihipStream_tbEUlT_E_NS1_11comp_targetILNS1_3genE9ELNS1_11target_archE1100ELNS1_3gpuE3ELNS1_3repE0EEENS1_30default_config_static_selectorELNS0_4arch9wavefront6targetE1EEEvT1_.num_vgpr, 0
	.set _ZN7rocprim17ROCPRIM_400000_NS6detail17trampoline_kernelINS0_14default_configENS1_25transform_config_selectorIN3c104HalfELb1EEEZNS1_14transform_implILb1ES3_S7_PS6_S9_NS0_8identityIS6_EEEE10hipError_tT2_T3_mT4_P12ihipStream_tbEUlT_E_NS1_11comp_targetILNS1_3genE9ELNS1_11target_archE1100ELNS1_3gpuE3ELNS1_3repE0EEENS1_30default_config_static_selectorELNS0_4arch9wavefront6targetE1EEEvT1_.num_agpr, 0
	.set _ZN7rocprim17ROCPRIM_400000_NS6detail17trampoline_kernelINS0_14default_configENS1_25transform_config_selectorIN3c104HalfELb1EEEZNS1_14transform_implILb1ES3_S7_PS6_S9_NS0_8identityIS6_EEEE10hipError_tT2_T3_mT4_P12ihipStream_tbEUlT_E_NS1_11comp_targetILNS1_3genE9ELNS1_11target_archE1100ELNS1_3gpuE3ELNS1_3repE0EEENS1_30default_config_static_selectorELNS0_4arch9wavefront6targetE1EEEvT1_.numbered_sgpr, 0
	.set _ZN7rocprim17ROCPRIM_400000_NS6detail17trampoline_kernelINS0_14default_configENS1_25transform_config_selectorIN3c104HalfELb1EEEZNS1_14transform_implILb1ES3_S7_PS6_S9_NS0_8identityIS6_EEEE10hipError_tT2_T3_mT4_P12ihipStream_tbEUlT_E_NS1_11comp_targetILNS1_3genE9ELNS1_11target_archE1100ELNS1_3gpuE3ELNS1_3repE0EEENS1_30default_config_static_selectorELNS0_4arch9wavefront6targetE1EEEvT1_.num_named_barrier, 0
	.set _ZN7rocprim17ROCPRIM_400000_NS6detail17trampoline_kernelINS0_14default_configENS1_25transform_config_selectorIN3c104HalfELb1EEEZNS1_14transform_implILb1ES3_S7_PS6_S9_NS0_8identityIS6_EEEE10hipError_tT2_T3_mT4_P12ihipStream_tbEUlT_E_NS1_11comp_targetILNS1_3genE9ELNS1_11target_archE1100ELNS1_3gpuE3ELNS1_3repE0EEENS1_30default_config_static_selectorELNS0_4arch9wavefront6targetE1EEEvT1_.private_seg_size, 0
	.set _ZN7rocprim17ROCPRIM_400000_NS6detail17trampoline_kernelINS0_14default_configENS1_25transform_config_selectorIN3c104HalfELb1EEEZNS1_14transform_implILb1ES3_S7_PS6_S9_NS0_8identityIS6_EEEE10hipError_tT2_T3_mT4_P12ihipStream_tbEUlT_E_NS1_11comp_targetILNS1_3genE9ELNS1_11target_archE1100ELNS1_3gpuE3ELNS1_3repE0EEENS1_30default_config_static_selectorELNS0_4arch9wavefront6targetE1EEEvT1_.uses_vcc, 0
	.set _ZN7rocprim17ROCPRIM_400000_NS6detail17trampoline_kernelINS0_14default_configENS1_25transform_config_selectorIN3c104HalfELb1EEEZNS1_14transform_implILb1ES3_S7_PS6_S9_NS0_8identityIS6_EEEE10hipError_tT2_T3_mT4_P12ihipStream_tbEUlT_E_NS1_11comp_targetILNS1_3genE9ELNS1_11target_archE1100ELNS1_3gpuE3ELNS1_3repE0EEENS1_30default_config_static_selectorELNS0_4arch9wavefront6targetE1EEEvT1_.uses_flat_scratch, 0
	.set _ZN7rocprim17ROCPRIM_400000_NS6detail17trampoline_kernelINS0_14default_configENS1_25transform_config_selectorIN3c104HalfELb1EEEZNS1_14transform_implILb1ES3_S7_PS6_S9_NS0_8identityIS6_EEEE10hipError_tT2_T3_mT4_P12ihipStream_tbEUlT_E_NS1_11comp_targetILNS1_3genE9ELNS1_11target_archE1100ELNS1_3gpuE3ELNS1_3repE0EEENS1_30default_config_static_selectorELNS0_4arch9wavefront6targetE1EEEvT1_.has_dyn_sized_stack, 0
	.set _ZN7rocprim17ROCPRIM_400000_NS6detail17trampoline_kernelINS0_14default_configENS1_25transform_config_selectorIN3c104HalfELb1EEEZNS1_14transform_implILb1ES3_S7_PS6_S9_NS0_8identityIS6_EEEE10hipError_tT2_T3_mT4_P12ihipStream_tbEUlT_E_NS1_11comp_targetILNS1_3genE9ELNS1_11target_archE1100ELNS1_3gpuE3ELNS1_3repE0EEENS1_30default_config_static_selectorELNS0_4arch9wavefront6targetE1EEEvT1_.has_recursion, 0
	.set _ZN7rocprim17ROCPRIM_400000_NS6detail17trampoline_kernelINS0_14default_configENS1_25transform_config_selectorIN3c104HalfELb1EEEZNS1_14transform_implILb1ES3_S7_PS6_S9_NS0_8identityIS6_EEEE10hipError_tT2_T3_mT4_P12ihipStream_tbEUlT_E_NS1_11comp_targetILNS1_3genE9ELNS1_11target_archE1100ELNS1_3gpuE3ELNS1_3repE0EEENS1_30default_config_static_selectorELNS0_4arch9wavefront6targetE1EEEvT1_.has_indirect_call, 0
	.section	.AMDGPU.csdata,"",@progbits
; Kernel info:
; codeLenInByte = 0
; TotalNumSgprs: 4
; NumVgprs: 0
; ScratchSize: 0
; MemoryBound: 0
; FloatMode: 240
; IeeeMode: 1
; LDSByteSize: 0 bytes/workgroup (compile time only)
; SGPRBlocks: 0
; VGPRBlocks: 0
; NumSGPRsForWavesPerEU: 4
; NumVGPRsForWavesPerEU: 1
; Occupancy: 10
; WaveLimiterHint : 0
; COMPUTE_PGM_RSRC2:SCRATCH_EN: 0
; COMPUTE_PGM_RSRC2:USER_SGPR: 6
; COMPUTE_PGM_RSRC2:TRAP_HANDLER: 0
; COMPUTE_PGM_RSRC2:TGID_X_EN: 1
; COMPUTE_PGM_RSRC2:TGID_Y_EN: 0
; COMPUTE_PGM_RSRC2:TGID_Z_EN: 0
; COMPUTE_PGM_RSRC2:TIDIG_COMP_CNT: 0
	.section	.text._ZN7rocprim17ROCPRIM_400000_NS6detail17trampoline_kernelINS0_14default_configENS1_25transform_config_selectorIN3c104HalfELb1EEEZNS1_14transform_implILb1ES3_S7_PS6_S9_NS0_8identityIS6_EEEE10hipError_tT2_T3_mT4_P12ihipStream_tbEUlT_E_NS1_11comp_targetILNS1_3genE8ELNS1_11target_archE1030ELNS1_3gpuE2ELNS1_3repE0EEENS1_30default_config_static_selectorELNS0_4arch9wavefront6targetE1EEEvT1_,"axG",@progbits,_ZN7rocprim17ROCPRIM_400000_NS6detail17trampoline_kernelINS0_14default_configENS1_25transform_config_selectorIN3c104HalfELb1EEEZNS1_14transform_implILb1ES3_S7_PS6_S9_NS0_8identityIS6_EEEE10hipError_tT2_T3_mT4_P12ihipStream_tbEUlT_E_NS1_11comp_targetILNS1_3genE8ELNS1_11target_archE1030ELNS1_3gpuE2ELNS1_3repE0EEENS1_30default_config_static_selectorELNS0_4arch9wavefront6targetE1EEEvT1_,comdat
	.protected	_ZN7rocprim17ROCPRIM_400000_NS6detail17trampoline_kernelINS0_14default_configENS1_25transform_config_selectorIN3c104HalfELb1EEEZNS1_14transform_implILb1ES3_S7_PS6_S9_NS0_8identityIS6_EEEE10hipError_tT2_T3_mT4_P12ihipStream_tbEUlT_E_NS1_11comp_targetILNS1_3genE8ELNS1_11target_archE1030ELNS1_3gpuE2ELNS1_3repE0EEENS1_30default_config_static_selectorELNS0_4arch9wavefront6targetE1EEEvT1_ ; -- Begin function _ZN7rocprim17ROCPRIM_400000_NS6detail17trampoline_kernelINS0_14default_configENS1_25transform_config_selectorIN3c104HalfELb1EEEZNS1_14transform_implILb1ES3_S7_PS6_S9_NS0_8identityIS6_EEEE10hipError_tT2_T3_mT4_P12ihipStream_tbEUlT_E_NS1_11comp_targetILNS1_3genE8ELNS1_11target_archE1030ELNS1_3gpuE2ELNS1_3repE0EEENS1_30default_config_static_selectorELNS0_4arch9wavefront6targetE1EEEvT1_
	.globl	_ZN7rocprim17ROCPRIM_400000_NS6detail17trampoline_kernelINS0_14default_configENS1_25transform_config_selectorIN3c104HalfELb1EEEZNS1_14transform_implILb1ES3_S7_PS6_S9_NS0_8identityIS6_EEEE10hipError_tT2_T3_mT4_P12ihipStream_tbEUlT_E_NS1_11comp_targetILNS1_3genE8ELNS1_11target_archE1030ELNS1_3gpuE2ELNS1_3repE0EEENS1_30default_config_static_selectorELNS0_4arch9wavefront6targetE1EEEvT1_
	.p2align	8
	.type	_ZN7rocprim17ROCPRIM_400000_NS6detail17trampoline_kernelINS0_14default_configENS1_25transform_config_selectorIN3c104HalfELb1EEEZNS1_14transform_implILb1ES3_S7_PS6_S9_NS0_8identityIS6_EEEE10hipError_tT2_T3_mT4_P12ihipStream_tbEUlT_E_NS1_11comp_targetILNS1_3genE8ELNS1_11target_archE1030ELNS1_3gpuE2ELNS1_3repE0EEENS1_30default_config_static_selectorELNS0_4arch9wavefront6targetE1EEEvT1_,@function
_ZN7rocprim17ROCPRIM_400000_NS6detail17trampoline_kernelINS0_14default_configENS1_25transform_config_selectorIN3c104HalfELb1EEEZNS1_14transform_implILb1ES3_S7_PS6_S9_NS0_8identityIS6_EEEE10hipError_tT2_T3_mT4_P12ihipStream_tbEUlT_E_NS1_11comp_targetILNS1_3genE8ELNS1_11target_archE1030ELNS1_3gpuE2ELNS1_3repE0EEENS1_30default_config_static_selectorELNS0_4arch9wavefront6targetE1EEEvT1_: ; @_ZN7rocprim17ROCPRIM_400000_NS6detail17trampoline_kernelINS0_14default_configENS1_25transform_config_selectorIN3c104HalfELb1EEEZNS1_14transform_implILb1ES3_S7_PS6_S9_NS0_8identityIS6_EEEE10hipError_tT2_T3_mT4_P12ihipStream_tbEUlT_E_NS1_11comp_targetILNS1_3genE8ELNS1_11target_archE1030ELNS1_3gpuE2ELNS1_3repE0EEENS1_30default_config_static_selectorELNS0_4arch9wavefront6targetE1EEEvT1_
; %bb.0:
	.section	.rodata,"a",@progbits
	.p2align	6, 0x0
	.amdhsa_kernel _ZN7rocprim17ROCPRIM_400000_NS6detail17trampoline_kernelINS0_14default_configENS1_25transform_config_selectorIN3c104HalfELb1EEEZNS1_14transform_implILb1ES3_S7_PS6_S9_NS0_8identityIS6_EEEE10hipError_tT2_T3_mT4_P12ihipStream_tbEUlT_E_NS1_11comp_targetILNS1_3genE8ELNS1_11target_archE1030ELNS1_3gpuE2ELNS1_3repE0EEENS1_30default_config_static_selectorELNS0_4arch9wavefront6targetE1EEEvT1_
		.amdhsa_group_segment_fixed_size 0
		.amdhsa_private_segment_fixed_size 0
		.amdhsa_kernarg_size 40
		.amdhsa_user_sgpr_count 6
		.amdhsa_user_sgpr_private_segment_buffer 1
		.amdhsa_user_sgpr_dispatch_ptr 0
		.amdhsa_user_sgpr_queue_ptr 0
		.amdhsa_user_sgpr_kernarg_segment_ptr 1
		.amdhsa_user_sgpr_dispatch_id 0
		.amdhsa_user_sgpr_flat_scratch_init 0
		.amdhsa_user_sgpr_private_segment_size 0
		.amdhsa_uses_dynamic_stack 0
		.amdhsa_system_sgpr_private_segment_wavefront_offset 0
		.amdhsa_system_sgpr_workgroup_id_x 1
		.amdhsa_system_sgpr_workgroup_id_y 0
		.amdhsa_system_sgpr_workgroup_id_z 0
		.amdhsa_system_sgpr_workgroup_info 0
		.amdhsa_system_vgpr_workitem_id 0
		.amdhsa_next_free_vgpr 1
		.amdhsa_next_free_sgpr 0
		.amdhsa_reserve_vcc 0
		.amdhsa_reserve_flat_scratch 0
		.amdhsa_float_round_mode_32 0
		.amdhsa_float_round_mode_16_64 0
		.amdhsa_float_denorm_mode_32 3
		.amdhsa_float_denorm_mode_16_64 3
		.amdhsa_dx10_clamp 1
		.amdhsa_ieee_mode 1
		.amdhsa_fp16_overflow 0
		.amdhsa_exception_fp_ieee_invalid_op 0
		.amdhsa_exception_fp_denorm_src 0
		.amdhsa_exception_fp_ieee_div_zero 0
		.amdhsa_exception_fp_ieee_overflow 0
		.amdhsa_exception_fp_ieee_underflow 0
		.amdhsa_exception_fp_ieee_inexact 0
		.amdhsa_exception_int_div_zero 0
	.end_amdhsa_kernel
	.section	.text._ZN7rocprim17ROCPRIM_400000_NS6detail17trampoline_kernelINS0_14default_configENS1_25transform_config_selectorIN3c104HalfELb1EEEZNS1_14transform_implILb1ES3_S7_PS6_S9_NS0_8identityIS6_EEEE10hipError_tT2_T3_mT4_P12ihipStream_tbEUlT_E_NS1_11comp_targetILNS1_3genE8ELNS1_11target_archE1030ELNS1_3gpuE2ELNS1_3repE0EEENS1_30default_config_static_selectorELNS0_4arch9wavefront6targetE1EEEvT1_,"axG",@progbits,_ZN7rocprim17ROCPRIM_400000_NS6detail17trampoline_kernelINS0_14default_configENS1_25transform_config_selectorIN3c104HalfELb1EEEZNS1_14transform_implILb1ES3_S7_PS6_S9_NS0_8identityIS6_EEEE10hipError_tT2_T3_mT4_P12ihipStream_tbEUlT_E_NS1_11comp_targetILNS1_3genE8ELNS1_11target_archE1030ELNS1_3gpuE2ELNS1_3repE0EEENS1_30default_config_static_selectorELNS0_4arch9wavefront6targetE1EEEvT1_,comdat
.Lfunc_end2179:
	.size	_ZN7rocprim17ROCPRIM_400000_NS6detail17trampoline_kernelINS0_14default_configENS1_25transform_config_selectorIN3c104HalfELb1EEEZNS1_14transform_implILb1ES3_S7_PS6_S9_NS0_8identityIS6_EEEE10hipError_tT2_T3_mT4_P12ihipStream_tbEUlT_E_NS1_11comp_targetILNS1_3genE8ELNS1_11target_archE1030ELNS1_3gpuE2ELNS1_3repE0EEENS1_30default_config_static_selectorELNS0_4arch9wavefront6targetE1EEEvT1_, .Lfunc_end2179-_ZN7rocprim17ROCPRIM_400000_NS6detail17trampoline_kernelINS0_14default_configENS1_25transform_config_selectorIN3c104HalfELb1EEEZNS1_14transform_implILb1ES3_S7_PS6_S9_NS0_8identityIS6_EEEE10hipError_tT2_T3_mT4_P12ihipStream_tbEUlT_E_NS1_11comp_targetILNS1_3genE8ELNS1_11target_archE1030ELNS1_3gpuE2ELNS1_3repE0EEENS1_30default_config_static_selectorELNS0_4arch9wavefront6targetE1EEEvT1_
                                        ; -- End function
	.set _ZN7rocprim17ROCPRIM_400000_NS6detail17trampoline_kernelINS0_14default_configENS1_25transform_config_selectorIN3c104HalfELb1EEEZNS1_14transform_implILb1ES3_S7_PS6_S9_NS0_8identityIS6_EEEE10hipError_tT2_T3_mT4_P12ihipStream_tbEUlT_E_NS1_11comp_targetILNS1_3genE8ELNS1_11target_archE1030ELNS1_3gpuE2ELNS1_3repE0EEENS1_30default_config_static_selectorELNS0_4arch9wavefront6targetE1EEEvT1_.num_vgpr, 0
	.set _ZN7rocprim17ROCPRIM_400000_NS6detail17trampoline_kernelINS0_14default_configENS1_25transform_config_selectorIN3c104HalfELb1EEEZNS1_14transform_implILb1ES3_S7_PS6_S9_NS0_8identityIS6_EEEE10hipError_tT2_T3_mT4_P12ihipStream_tbEUlT_E_NS1_11comp_targetILNS1_3genE8ELNS1_11target_archE1030ELNS1_3gpuE2ELNS1_3repE0EEENS1_30default_config_static_selectorELNS0_4arch9wavefront6targetE1EEEvT1_.num_agpr, 0
	.set _ZN7rocprim17ROCPRIM_400000_NS6detail17trampoline_kernelINS0_14default_configENS1_25transform_config_selectorIN3c104HalfELb1EEEZNS1_14transform_implILb1ES3_S7_PS6_S9_NS0_8identityIS6_EEEE10hipError_tT2_T3_mT4_P12ihipStream_tbEUlT_E_NS1_11comp_targetILNS1_3genE8ELNS1_11target_archE1030ELNS1_3gpuE2ELNS1_3repE0EEENS1_30default_config_static_selectorELNS0_4arch9wavefront6targetE1EEEvT1_.numbered_sgpr, 0
	.set _ZN7rocprim17ROCPRIM_400000_NS6detail17trampoline_kernelINS0_14default_configENS1_25transform_config_selectorIN3c104HalfELb1EEEZNS1_14transform_implILb1ES3_S7_PS6_S9_NS0_8identityIS6_EEEE10hipError_tT2_T3_mT4_P12ihipStream_tbEUlT_E_NS1_11comp_targetILNS1_3genE8ELNS1_11target_archE1030ELNS1_3gpuE2ELNS1_3repE0EEENS1_30default_config_static_selectorELNS0_4arch9wavefront6targetE1EEEvT1_.num_named_barrier, 0
	.set _ZN7rocprim17ROCPRIM_400000_NS6detail17trampoline_kernelINS0_14default_configENS1_25transform_config_selectorIN3c104HalfELb1EEEZNS1_14transform_implILb1ES3_S7_PS6_S9_NS0_8identityIS6_EEEE10hipError_tT2_T3_mT4_P12ihipStream_tbEUlT_E_NS1_11comp_targetILNS1_3genE8ELNS1_11target_archE1030ELNS1_3gpuE2ELNS1_3repE0EEENS1_30default_config_static_selectorELNS0_4arch9wavefront6targetE1EEEvT1_.private_seg_size, 0
	.set _ZN7rocprim17ROCPRIM_400000_NS6detail17trampoline_kernelINS0_14default_configENS1_25transform_config_selectorIN3c104HalfELb1EEEZNS1_14transform_implILb1ES3_S7_PS6_S9_NS0_8identityIS6_EEEE10hipError_tT2_T3_mT4_P12ihipStream_tbEUlT_E_NS1_11comp_targetILNS1_3genE8ELNS1_11target_archE1030ELNS1_3gpuE2ELNS1_3repE0EEENS1_30default_config_static_selectorELNS0_4arch9wavefront6targetE1EEEvT1_.uses_vcc, 0
	.set _ZN7rocprim17ROCPRIM_400000_NS6detail17trampoline_kernelINS0_14default_configENS1_25transform_config_selectorIN3c104HalfELb1EEEZNS1_14transform_implILb1ES3_S7_PS6_S9_NS0_8identityIS6_EEEE10hipError_tT2_T3_mT4_P12ihipStream_tbEUlT_E_NS1_11comp_targetILNS1_3genE8ELNS1_11target_archE1030ELNS1_3gpuE2ELNS1_3repE0EEENS1_30default_config_static_selectorELNS0_4arch9wavefront6targetE1EEEvT1_.uses_flat_scratch, 0
	.set _ZN7rocprim17ROCPRIM_400000_NS6detail17trampoline_kernelINS0_14default_configENS1_25transform_config_selectorIN3c104HalfELb1EEEZNS1_14transform_implILb1ES3_S7_PS6_S9_NS0_8identityIS6_EEEE10hipError_tT2_T3_mT4_P12ihipStream_tbEUlT_E_NS1_11comp_targetILNS1_3genE8ELNS1_11target_archE1030ELNS1_3gpuE2ELNS1_3repE0EEENS1_30default_config_static_selectorELNS0_4arch9wavefront6targetE1EEEvT1_.has_dyn_sized_stack, 0
	.set _ZN7rocprim17ROCPRIM_400000_NS6detail17trampoline_kernelINS0_14default_configENS1_25transform_config_selectorIN3c104HalfELb1EEEZNS1_14transform_implILb1ES3_S7_PS6_S9_NS0_8identityIS6_EEEE10hipError_tT2_T3_mT4_P12ihipStream_tbEUlT_E_NS1_11comp_targetILNS1_3genE8ELNS1_11target_archE1030ELNS1_3gpuE2ELNS1_3repE0EEENS1_30default_config_static_selectorELNS0_4arch9wavefront6targetE1EEEvT1_.has_recursion, 0
	.set _ZN7rocprim17ROCPRIM_400000_NS6detail17trampoline_kernelINS0_14default_configENS1_25transform_config_selectorIN3c104HalfELb1EEEZNS1_14transform_implILb1ES3_S7_PS6_S9_NS0_8identityIS6_EEEE10hipError_tT2_T3_mT4_P12ihipStream_tbEUlT_E_NS1_11comp_targetILNS1_3genE8ELNS1_11target_archE1030ELNS1_3gpuE2ELNS1_3repE0EEENS1_30default_config_static_selectorELNS0_4arch9wavefront6targetE1EEEvT1_.has_indirect_call, 0
	.section	.AMDGPU.csdata,"",@progbits
; Kernel info:
; codeLenInByte = 0
; TotalNumSgprs: 4
; NumVgprs: 0
; ScratchSize: 0
; MemoryBound: 0
; FloatMode: 240
; IeeeMode: 1
; LDSByteSize: 0 bytes/workgroup (compile time only)
; SGPRBlocks: 0
; VGPRBlocks: 0
; NumSGPRsForWavesPerEU: 4
; NumVGPRsForWavesPerEU: 1
; Occupancy: 10
; WaveLimiterHint : 0
; COMPUTE_PGM_RSRC2:SCRATCH_EN: 0
; COMPUTE_PGM_RSRC2:USER_SGPR: 6
; COMPUTE_PGM_RSRC2:TRAP_HANDLER: 0
; COMPUTE_PGM_RSRC2:TGID_X_EN: 1
; COMPUTE_PGM_RSRC2:TGID_Y_EN: 0
; COMPUTE_PGM_RSRC2:TGID_Z_EN: 0
; COMPUTE_PGM_RSRC2:TIDIG_COMP_CNT: 0
	.section	.text._ZN7rocprim17ROCPRIM_400000_NS6detail17trampoline_kernelINS0_14default_configENS1_22reduce_config_selectorIiEEZNS1_11reduce_implILb1ES3_N6thrust23THRUST_200600_302600_NS11hip_rocprim35transform_pair_of_input_iterators_tIiPN3c104HalfESD_NS8_12not_equal_toISC_EEEEPiiNS8_4plusIiEEEE10hipError_tPvRmT1_T2_T3_mT4_P12ihipStream_tbEUlT_E0_NS1_11comp_targetILNS1_3genE0ELNS1_11target_archE4294967295ELNS1_3gpuE0ELNS1_3repE0EEENS1_30default_config_static_selectorELNS0_4arch9wavefront6targetE1EEEvSN_,"axG",@progbits,_ZN7rocprim17ROCPRIM_400000_NS6detail17trampoline_kernelINS0_14default_configENS1_22reduce_config_selectorIiEEZNS1_11reduce_implILb1ES3_N6thrust23THRUST_200600_302600_NS11hip_rocprim35transform_pair_of_input_iterators_tIiPN3c104HalfESD_NS8_12not_equal_toISC_EEEEPiiNS8_4plusIiEEEE10hipError_tPvRmT1_T2_T3_mT4_P12ihipStream_tbEUlT_E0_NS1_11comp_targetILNS1_3genE0ELNS1_11target_archE4294967295ELNS1_3gpuE0ELNS1_3repE0EEENS1_30default_config_static_selectorELNS0_4arch9wavefront6targetE1EEEvSN_,comdat
	.protected	_ZN7rocprim17ROCPRIM_400000_NS6detail17trampoline_kernelINS0_14default_configENS1_22reduce_config_selectorIiEEZNS1_11reduce_implILb1ES3_N6thrust23THRUST_200600_302600_NS11hip_rocprim35transform_pair_of_input_iterators_tIiPN3c104HalfESD_NS8_12not_equal_toISC_EEEEPiiNS8_4plusIiEEEE10hipError_tPvRmT1_T2_T3_mT4_P12ihipStream_tbEUlT_E0_NS1_11comp_targetILNS1_3genE0ELNS1_11target_archE4294967295ELNS1_3gpuE0ELNS1_3repE0EEENS1_30default_config_static_selectorELNS0_4arch9wavefront6targetE1EEEvSN_ ; -- Begin function _ZN7rocprim17ROCPRIM_400000_NS6detail17trampoline_kernelINS0_14default_configENS1_22reduce_config_selectorIiEEZNS1_11reduce_implILb1ES3_N6thrust23THRUST_200600_302600_NS11hip_rocprim35transform_pair_of_input_iterators_tIiPN3c104HalfESD_NS8_12not_equal_toISC_EEEEPiiNS8_4plusIiEEEE10hipError_tPvRmT1_T2_T3_mT4_P12ihipStream_tbEUlT_E0_NS1_11comp_targetILNS1_3genE0ELNS1_11target_archE4294967295ELNS1_3gpuE0ELNS1_3repE0EEENS1_30default_config_static_selectorELNS0_4arch9wavefront6targetE1EEEvSN_
	.globl	_ZN7rocprim17ROCPRIM_400000_NS6detail17trampoline_kernelINS0_14default_configENS1_22reduce_config_selectorIiEEZNS1_11reduce_implILb1ES3_N6thrust23THRUST_200600_302600_NS11hip_rocprim35transform_pair_of_input_iterators_tIiPN3c104HalfESD_NS8_12not_equal_toISC_EEEEPiiNS8_4plusIiEEEE10hipError_tPvRmT1_T2_T3_mT4_P12ihipStream_tbEUlT_E0_NS1_11comp_targetILNS1_3genE0ELNS1_11target_archE4294967295ELNS1_3gpuE0ELNS1_3repE0EEENS1_30default_config_static_selectorELNS0_4arch9wavefront6targetE1EEEvSN_
	.p2align	8
	.type	_ZN7rocprim17ROCPRIM_400000_NS6detail17trampoline_kernelINS0_14default_configENS1_22reduce_config_selectorIiEEZNS1_11reduce_implILb1ES3_N6thrust23THRUST_200600_302600_NS11hip_rocprim35transform_pair_of_input_iterators_tIiPN3c104HalfESD_NS8_12not_equal_toISC_EEEEPiiNS8_4plusIiEEEE10hipError_tPvRmT1_T2_T3_mT4_P12ihipStream_tbEUlT_E0_NS1_11comp_targetILNS1_3genE0ELNS1_11target_archE4294967295ELNS1_3gpuE0ELNS1_3repE0EEENS1_30default_config_static_selectorELNS0_4arch9wavefront6targetE1EEEvSN_,@function
_ZN7rocprim17ROCPRIM_400000_NS6detail17trampoline_kernelINS0_14default_configENS1_22reduce_config_selectorIiEEZNS1_11reduce_implILb1ES3_N6thrust23THRUST_200600_302600_NS11hip_rocprim35transform_pair_of_input_iterators_tIiPN3c104HalfESD_NS8_12not_equal_toISC_EEEEPiiNS8_4plusIiEEEE10hipError_tPvRmT1_T2_T3_mT4_P12ihipStream_tbEUlT_E0_NS1_11comp_targetILNS1_3genE0ELNS1_11target_archE4294967295ELNS1_3gpuE0ELNS1_3repE0EEENS1_30default_config_static_selectorELNS0_4arch9wavefront6targetE1EEEvSN_: ; @_ZN7rocprim17ROCPRIM_400000_NS6detail17trampoline_kernelINS0_14default_configENS1_22reduce_config_selectorIiEEZNS1_11reduce_implILb1ES3_N6thrust23THRUST_200600_302600_NS11hip_rocprim35transform_pair_of_input_iterators_tIiPN3c104HalfESD_NS8_12not_equal_toISC_EEEEPiiNS8_4plusIiEEEE10hipError_tPvRmT1_T2_T3_mT4_P12ihipStream_tbEUlT_E0_NS1_11comp_targetILNS1_3genE0ELNS1_11target_archE4294967295ELNS1_3gpuE0ELNS1_3repE0EEENS1_30default_config_static_selectorELNS0_4arch9wavefront6targetE1EEEvSN_
; %bb.0:
	.section	.rodata,"a",@progbits
	.p2align	6, 0x0
	.amdhsa_kernel _ZN7rocprim17ROCPRIM_400000_NS6detail17trampoline_kernelINS0_14default_configENS1_22reduce_config_selectorIiEEZNS1_11reduce_implILb1ES3_N6thrust23THRUST_200600_302600_NS11hip_rocprim35transform_pair_of_input_iterators_tIiPN3c104HalfESD_NS8_12not_equal_toISC_EEEEPiiNS8_4plusIiEEEE10hipError_tPvRmT1_T2_T3_mT4_P12ihipStream_tbEUlT_E0_NS1_11comp_targetILNS1_3genE0ELNS1_11target_archE4294967295ELNS1_3gpuE0ELNS1_3repE0EEENS1_30default_config_static_selectorELNS0_4arch9wavefront6targetE1EEEvSN_
		.amdhsa_group_segment_fixed_size 0
		.amdhsa_private_segment_fixed_size 0
		.amdhsa_kernarg_size 72
		.amdhsa_user_sgpr_count 6
		.amdhsa_user_sgpr_private_segment_buffer 1
		.amdhsa_user_sgpr_dispatch_ptr 0
		.amdhsa_user_sgpr_queue_ptr 0
		.amdhsa_user_sgpr_kernarg_segment_ptr 1
		.amdhsa_user_sgpr_dispatch_id 0
		.amdhsa_user_sgpr_flat_scratch_init 0
		.amdhsa_user_sgpr_private_segment_size 0
		.amdhsa_uses_dynamic_stack 0
		.amdhsa_system_sgpr_private_segment_wavefront_offset 0
		.amdhsa_system_sgpr_workgroup_id_x 1
		.amdhsa_system_sgpr_workgroup_id_y 0
		.amdhsa_system_sgpr_workgroup_id_z 0
		.amdhsa_system_sgpr_workgroup_info 0
		.amdhsa_system_vgpr_workitem_id 0
		.amdhsa_next_free_vgpr 1
		.amdhsa_next_free_sgpr 0
		.amdhsa_reserve_vcc 0
		.amdhsa_reserve_flat_scratch 0
		.amdhsa_float_round_mode_32 0
		.amdhsa_float_round_mode_16_64 0
		.amdhsa_float_denorm_mode_32 3
		.amdhsa_float_denorm_mode_16_64 3
		.amdhsa_dx10_clamp 1
		.amdhsa_ieee_mode 1
		.amdhsa_fp16_overflow 0
		.amdhsa_exception_fp_ieee_invalid_op 0
		.amdhsa_exception_fp_denorm_src 0
		.amdhsa_exception_fp_ieee_div_zero 0
		.amdhsa_exception_fp_ieee_overflow 0
		.amdhsa_exception_fp_ieee_underflow 0
		.amdhsa_exception_fp_ieee_inexact 0
		.amdhsa_exception_int_div_zero 0
	.end_amdhsa_kernel
	.section	.text._ZN7rocprim17ROCPRIM_400000_NS6detail17trampoline_kernelINS0_14default_configENS1_22reduce_config_selectorIiEEZNS1_11reduce_implILb1ES3_N6thrust23THRUST_200600_302600_NS11hip_rocprim35transform_pair_of_input_iterators_tIiPN3c104HalfESD_NS8_12not_equal_toISC_EEEEPiiNS8_4plusIiEEEE10hipError_tPvRmT1_T2_T3_mT4_P12ihipStream_tbEUlT_E0_NS1_11comp_targetILNS1_3genE0ELNS1_11target_archE4294967295ELNS1_3gpuE0ELNS1_3repE0EEENS1_30default_config_static_selectorELNS0_4arch9wavefront6targetE1EEEvSN_,"axG",@progbits,_ZN7rocprim17ROCPRIM_400000_NS6detail17trampoline_kernelINS0_14default_configENS1_22reduce_config_selectorIiEEZNS1_11reduce_implILb1ES3_N6thrust23THRUST_200600_302600_NS11hip_rocprim35transform_pair_of_input_iterators_tIiPN3c104HalfESD_NS8_12not_equal_toISC_EEEEPiiNS8_4plusIiEEEE10hipError_tPvRmT1_T2_T3_mT4_P12ihipStream_tbEUlT_E0_NS1_11comp_targetILNS1_3genE0ELNS1_11target_archE4294967295ELNS1_3gpuE0ELNS1_3repE0EEENS1_30default_config_static_selectorELNS0_4arch9wavefront6targetE1EEEvSN_,comdat
.Lfunc_end2180:
	.size	_ZN7rocprim17ROCPRIM_400000_NS6detail17trampoline_kernelINS0_14default_configENS1_22reduce_config_selectorIiEEZNS1_11reduce_implILb1ES3_N6thrust23THRUST_200600_302600_NS11hip_rocprim35transform_pair_of_input_iterators_tIiPN3c104HalfESD_NS8_12not_equal_toISC_EEEEPiiNS8_4plusIiEEEE10hipError_tPvRmT1_T2_T3_mT4_P12ihipStream_tbEUlT_E0_NS1_11comp_targetILNS1_3genE0ELNS1_11target_archE4294967295ELNS1_3gpuE0ELNS1_3repE0EEENS1_30default_config_static_selectorELNS0_4arch9wavefront6targetE1EEEvSN_, .Lfunc_end2180-_ZN7rocprim17ROCPRIM_400000_NS6detail17trampoline_kernelINS0_14default_configENS1_22reduce_config_selectorIiEEZNS1_11reduce_implILb1ES3_N6thrust23THRUST_200600_302600_NS11hip_rocprim35transform_pair_of_input_iterators_tIiPN3c104HalfESD_NS8_12not_equal_toISC_EEEEPiiNS8_4plusIiEEEE10hipError_tPvRmT1_T2_T3_mT4_P12ihipStream_tbEUlT_E0_NS1_11comp_targetILNS1_3genE0ELNS1_11target_archE4294967295ELNS1_3gpuE0ELNS1_3repE0EEENS1_30default_config_static_selectorELNS0_4arch9wavefront6targetE1EEEvSN_
                                        ; -- End function
	.set _ZN7rocprim17ROCPRIM_400000_NS6detail17trampoline_kernelINS0_14default_configENS1_22reduce_config_selectorIiEEZNS1_11reduce_implILb1ES3_N6thrust23THRUST_200600_302600_NS11hip_rocprim35transform_pair_of_input_iterators_tIiPN3c104HalfESD_NS8_12not_equal_toISC_EEEEPiiNS8_4plusIiEEEE10hipError_tPvRmT1_T2_T3_mT4_P12ihipStream_tbEUlT_E0_NS1_11comp_targetILNS1_3genE0ELNS1_11target_archE4294967295ELNS1_3gpuE0ELNS1_3repE0EEENS1_30default_config_static_selectorELNS0_4arch9wavefront6targetE1EEEvSN_.num_vgpr, 0
	.set _ZN7rocprim17ROCPRIM_400000_NS6detail17trampoline_kernelINS0_14default_configENS1_22reduce_config_selectorIiEEZNS1_11reduce_implILb1ES3_N6thrust23THRUST_200600_302600_NS11hip_rocprim35transform_pair_of_input_iterators_tIiPN3c104HalfESD_NS8_12not_equal_toISC_EEEEPiiNS8_4plusIiEEEE10hipError_tPvRmT1_T2_T3_mT4_P12ihipStream_tbEUlT_E0_NS1_11comp_targetILNS1_3genE0ELNS1_11target_archE4294967295ELNS1_3gpuE0ELNS1_3repE0EEENS1_30default_config_static_selectorELNS0_4arch9wavefront6targetE1EEEvSN_.num_agpr, 0
	.set _ZN7rocprim17ROCPRIM_400000_NS6detail17trampoline_kernelINS0_14default_configENS1_22reduce_config_selectorIiEEZNS1_11reduce_implILb1ES3_N6thrust23THRUST_200600_302600_NS11hip_rocprim35transform_pair_of_input_iterators_tIiPN3c104HalfESD_NS8_12not_equal_toISC_EEEEPiiNS8_4plusIiEEEE10hipError_tPvRmT1_T2_T3_mT4_P12ihipStream_tbEUlT_E0_NS1_11comp_targetILNS1_3genE0ELNS1_11target_archE4294967295ELNS1_3gpuE0ELNS1_3repE0EEENS1_30default_config_static_selectorELNS0_4arch9wavefront6targetE1EEEvSN_.numbered_sgpr, 0
	.set _ZN7rocprim17ROCPRIM_400000_NS6detail17trampoline_kernelINS0_14default_configENS1_22reduce_config_selectorIiEEZNS1_11reduce_implILb1ES3_N6thrust23THRUST_200600_302600_NS11hip_rocprim35transform_pair_of_input_iterators_tIiPN3c104HalfESD_NS8_12not_equal_toISC_EEEEPiiNS8_4plusIiEEEE10hipError_tPvRmT1_T2_T3_mT4_P12ihipStream_tbEUlT_E0_NS1_11comp_targetILNS1_3genE0ELNS1_11target_archE4294967295ELNS1_3gpuE0ELNS1_3repE0EEENS1_30default_config_static_selectorELNS0_4arch9wavefront6targetE1EEEvSN_.num_named_barrier, 0
	.set _ZN7rocprim17ROCPRIM_400000_NS6detail17trampoline_kernelINS0_14default_configENS1_22reduce_config_selectorIiEEZNS1_11reduce_implILb1ES3_N6thrust23THRUST_200600_302600_NS11hip_rocprim35transform_pair_of_input_iterators_tIiPN3c104HalfESD_NS8_12not_equal_toISC_EEEEPiiNS8_4plusIiEEEE10hipError_tPvRmT1_T2_T3_mT4_P12ihipStream_tbEUlT_E0_NS1_11comp_targetILNS1_3genE0ELNS1_11target_archE4294967295ELNS1_3gpuE0ELNS1_3repE0EEENS1_30default_config_static_selectorELNS0_4arch9wavefront6targetE1EEEvSN_.private_seg_size, 0
	.set _ZN7rocprim17ROCPRIM_400000_NS6detail17trampoline_kernelINS0_14default_configENS1_22reduce_config_selectorIiEEZNS1_11reduce_implILb1ES3_N6thrust23THRUST_200600_302600_NS11hip_rocprim35transform_pair_of_input_iterators_tIiPN3c104HalfESD_NS8_12not_equal_toISC_EEEEPiiNS8_4plusIiEEEE10hipError_tPvRmT1_T2_T3_mT4_P12ihipStream_tbEUlT_E0_NS1_11comp_targetILNS1_3genE0ELNS1_11target_archE4294967295ELNS1_3gpuE0ELNS1_3repE0EEENS1_30default_config_static_selectorELNS0_4arch9wavefront6targetE1EEEvSN_.uses_vcc, 0
	.set _ZN7rocprim17ROCPRIM_400000_NS6detail17trampoline_kernelINS0_14default_configENS1_22reduce_config_selectorIiEEZNS1_11reduce_implILb1ES3_N6thrust23THRUST_200600_302600_NS11hip_rocprim35transform_pair_of_input_iterators_tIiPN3c104HalfESD_NS8_12not_equal_toISC_EEEEPiiNS8_4plusIiEEEE10hipError_tPvRmT1_T2_T3_mT4_P12ihipStream_tbEUlT_E0_NS1_11comp_targetILNS1_3genE0ELNS1_11target_archE4294967295ELNS1_3gpuE0ELNS1_3repE0EEENS1_30default_config_static_selectorELNS0_4arch9wavefront6targetE1EEEvSN_.uses_flat_scratch, 0
	.set _ZN7rocprim17ROCPRIM_400000_NS6detail17trampoline_kernelINS0_14default_configENS1_22reduce_config_selectorIiEEZNS1_11reduce_implILb1ES3_N6thrust23THRUST_200600_302600_NS11hip_rocprim35transform_pair_of_input_iterators_tIiPN3c104HalfESD_NS8_12not_equal_toISC_EEEEPiiNS8_4plusIiEEEE10hipError_tPvRmT1_T2_T3_mT4_P12ihipStream_tbEUlT_E0_NS1_11comp_targetILNS1_3genE0ELNS1_11target_archE4294967295ELNS1_3gpuE0ELNS1_3repE0EEENS1_30default_config_static_selectorELNS0_4arch9wavefront6targetE1EEEvSN_.has_dyn_sized_stack, 0
	.set _ZN7rocprim17ROCPRIM_400000_NS6detail17trampoline_kernelINS0_14default_configENS1_22reduce_config_selectorIiEEZNS1_11reduce_implILb1ES3_N6thrust23THRUST_200600_302600_NS11hip_rocprim35transform_pair_of_input_iterators_tIiPN3c104HalfESD_NS8_12not_equal_toISC_EEEEPiiNS8_4plusIiEEEE10hipError_tPvRmT1_T2_T3_mT4_P12ihipStream_tbEUlT_E0_NS1_11comp_targetILNS1_3genE0ELNS1_11target_archE4294967295ELNS1_3gpuE0ELNS1_3repE0EEENS1_30default_config_static_selectorELNS0_4arch9wavefront6targetE1EEEvSN_.has_recursion, 0
	.set _ZN7rocprim17ROCPRIM_400000_NS6detail17trampoline_kernelINS0_14default_configENS1_22reduce_config_selectorIiEEZNS1_11reduce_implILb1ES3_N6thrust23THRUST_200600_302600_NS11hip_rocprim35transform_pair_of_input_iterators_tIiPN3c104HalfESD_NS8_12not_equal_toISC_EEEEPiiNS8_4plusIiEEEE10hipError_tPvRmT1_T2_T3_mT4_P12ihipStream_tbEUlT_E0_NS1_11comp_targetILNS1_3genE0ELNS1_11target_archE4294967295ELNS1_3gpuE0ELNS1_3repE0EEENS1_30default_config_static_selectorELNS0_4arch9wavefront6targetE1EEEvSN_.has_indirect_call, 0
	.section	.AMDGPU.csdata,"",@progbits
; Kernel info:
; codeLenInByte = 0
; TotalNumSgprs: 4
; NumVgprs: 0
; ScratchSize: 0
; MemoryBound: 0
; FloatMode: 240
; IeeeMode: 1
; LDSByteSize: 0 bytes/workgroup (compile time only)
; SGPRBlocks: 0
; VGPRBlocks: 0
; NumSGPRsForWavesPerEU: 4
; NumVGPRsForWavesPerEU: 1
; Occupancy: 10
; WaveLimiterHint : 0
; COMPUTE_PGM_RSRC2:SCRATCH_EN: 0
; COMPUTE_PGM_RSRC2:USER_SGPR: 6
; COMPUTE_PGM_RSRC2:TRAP_HANDLER: 0
; COMPUTE_PGM_RSRC2:TGID_X_EN: 1
; COMPUTE_PGM_RSRC2:TGID_Y_EN: 0
; COMPUTE_PGM_RSRC2:TGID_Z_EN: 0
; COMPUTE_PGM_RSRC2:TIDIG_COMP_CNT: 0
	.section	.text._ZN7rocprim17ROCPRIM_400000_NS6detail17trampoline_kernelINS0_14default_configENS1_22reduce_config_selectorIiEEZNS1_11reduce_implILb1ES3_N6thrust23THRUST_200600_302600_NS11hip_rocprim35transform_pair_of_input_iterators_tIiPN3c104HalfESD_NS8_12not_equal_toISC_EEEEPiiNS8_4plusIiEEEE10hipError_tPvRmT1_T2_T3_mT4_P12ihipStream_tbEUlT_E0_NS1_11comp_targetILNS1_3genE5ELNS1_11target_archE942ELNS1_3gpuE9ELNS1_3repE0EEENS1_30default_config_static_selectorELNS0_4arch9wavefront6targetE1EEEvSN_,"axG",@progbits,_ZN7rocprim17ROCPRIM_400000_NS6detail17trampoline_kernelINS0_14default_configENS1_22reduce_config_selectorIiEEZNS1_11reduce_implILb1ES3_N6thrust23THRUST_200600_302600_NS11hip_rocprim35transform_pair_of_input_iterators_tIiPN3c104HalfESD_NS8_12not_equal_toISC_EEEEPiiNS8_4plusIiEEEE10hipError_tPvRmT1_T2_T3_mT4_P12ihipStream_tbEUlT_E0_NS1_11comp_targetILNS1_3genE5ELNS1_11target_archE942ELNS1_3gpuE9ELNS1_3repE0EEENS1_30default_config_static_selectorELNS0_4arch9wavefront6targetE1EEEvSN_,comdat
	.protected	_ZN7rocprim17ROCPRIM_400000_NS6detail17trampoline_kernelINS0_14default_configENS1_22reduce_config_selectorIiEEZNS1_11reduce_implILb1ES3_N6thrust23THRUST_200600_302600_NS11hip_rocprim35transform_pair_of_input_iterators_tIiPN3c104HalfESD_NS8_12not_equal_toISC_EEEEPiiNS8_4plusIiEEEE10hipError_tPvRmT1_T2_T3_mT4_P12ihipStream_tbEUlT_E0_NS1_11comp_targetILNS1_3genE5ELNS1_11target_archE942ELNS1_3gpuE9ELNS1_3repE0EEENS1_30default_config_static_selectorELNS0_4arch9wavefront6targetE1EEEvSN_ ; -- Begin function _ZN7rocprim17ROCPRIM_400000_NS6detail17trampoline_kernelINS0_14default_configENS1_22reduce_config_selectorIiEEZNS1_11reduce_implILb1ES3_N6thrust23THRUST_200600_302600_NS11hip_rocprim35transform_pair_of_input_iterators_tIiPN3c104HalfESD_NS8_12not_equal_toISC_EEEEPiiNS8_4plusIiEEEE10hipError_tPvRmT1_T2_T3_mT4_P12ihipStream_tbEUlT_E0_NS1_11comp_targetILNS1_3genE5ELNS1_11target_archE942ELNS1_3gpuE9ELNS1_3repE0EEENS1_30default_config_static_selectorELNS0_4arch9wavefront6targetE1EEEvSN_
	.globl	_ZN7rocprim17ROCPRIM_400000_NS6detail17trampoline_kernelINS0_14default_configENS1_22reduce_config_selectorIiEEZNS1_11reduce_implILb1ES3_N6thrust23THRUST_200600_302600_NS11hip_rocprim35transform_pair_of_input_iterators_tIiPN3c104HalfESD_NS8_12not_equal_toISC_EEEEPiiNS8_4plusIiEEEE10hipError_tPvRmT1_T2_T3_mT4_P12ihipStream_tbEUlT_E0_NS1_11comp_targetILNS1_3genE5ELNS1_11target_archE942ELNS1_3gpuE9ELNS1_3repE0EEENS1_30default_config_static_selectorELNS0_4arch9wavefront6targetE1EEEvSN_
	.p2align	8
	.type	_ZN7rocprim17ROCPRIM_400000_NS6detail17trampoline_kernelINS0_14default_configENS1_22reduce_config_selectorIiEEZNS1_11reduce_implILb1ES3_N6thrust23THRUST_200600_302600_NS11hip_rocprim35transform_pair_of_input_iterators_tIiPN3c104HalfESD_NS8_12not_equal_toISC_EEEEPiiNS8_4plusIiEEEE10hipError_tPvRmT1_T2_T3_mT4_P12ihipStream_tbEUlT_E0_NS1_11comp_targetILNS1_3genE5ELNS1_11target_archE942ELNS1_3gpuE9ELNS1_3repE0EEENS1_30default_config_static_selectorELNS0_4arch9wavefront6targetE1EEEvSN_,@function
_ZN7rocprim17ROCPRIM_400000_NS6detail17trampoline_kernelINS0_14default_configENS1_22reduce_config_selectorIiEEZNS1_11reduce_implILb1ES3_N6thrust23THRUST_200600_302600_NS11hip_rocprim35transform_pair_of_input_iterators_tIiPN3c104HalfESD_NS8_12not_equal_toISC_EEEEPiiNS8_4plusIiEEEE10hipError_tPvRmT1_T2_T3_mT4_P12ihipStream_tbEUlT_E0_NS1_11comp_targetILNS1_3genE5ELNS1_11target_archE942ELNS1_3gpuE9ELNS1_3repE0EEENS1_30default_config_static_selectorELNS0_4arch9wavefront6targetE1EEEvSN_: ; @_ZN7rocprim17ROCPRIM_400000_NS6detail17trampoline_kernelINS0_14default_configENS1_22reduce_config_selectorIiEEZNS1_11reduce_implILb1ES3_N6thrust23THRUST_200600_302600_NS11hip_rocprim35transform_pair_of_input_iterators_tIiPN3c104HalfESD_NS8_12not_equal_toISC_EEEEPiiNS8_4plusIiEEEE10hipError_tPvRmT1_T2_T3_mT4_P12ihipStream_tbEUlT_E0_NS1_11comp_targetILNS1_3genE5ELNS1_11target_archE942ELNS1_3gpuE9ELNS1_3repE0EEENS1_30default_config_static_selectorELNS0_4arch9wavefront6targetE1EEEvSN_
; %bb.0:
	.section	.rodata,"a",@progbits
	.p2align	6, 0x0
	.amdhsa_kernel _ZN7rocprim17ROCPRIM_400000_NS6detail17trampoline_kernelINS0_14default_configENS1_22reduce_config_selectorIiEEZNS1_11reduce_implILb1ES3_N6thrust23THRUST_200600_302600_NS11hip_rocprim35transform_pair_of_input_iterators_tIiPN3c104HalfESD_NS8_12not_equal_toISC_EEEEPiiNS8_4plusIiEEEE10hipError_tPvRmT1_T2_T3_mT4_P12ihipStream_tbEUlT_E0_NS1_11comp_targetILNS1_3genE5ELNS1_11target_archE942ELNS1_3gpuE9ELNS1_3repE0EEENS1_30default_config_static_selectorELNS0_4arch9wavefront6targetE1EEEvSN_
		.amdhsa_group_segment_fixed_size 0
		.amdhsa_private_segment_fixed_size 0
		.amdhsa_kernarg_size 72
		.amdhsa_user_sgpr_count 6
		.amdhsa_user_sgpr_private_segment_buffer 1
		.amdhsa_user_sgpr_dispatch_ptr 0
		.amdhsa_user_sgpr_queue_ptr 0
		.amdhsa_user_sgpr_kernarg_segment_ptr 1
		.amdhsa_user_sgpr_dispatch_id 0
		.amdhsa_user_sgpr_flat_scratch_init 0
		.amdhsa_user_sgpr_private_segment_size 0
		.amdhsa_uses_dynamic_stack 0
		.amdhsa_system_sgpr_private_segment_wavefront_offset 0
		.amdhsa_system_sgpr_workgroup_id_x 1
		.amdhsa_system_sgpr_workgroup_id_y 0
		.amdhsa_system_sgpr_workgroup_id_z 0
		.amdhsa_system_sgpr_workgroup_info 0
		.amdhsa_system_vgpr_workitem_id 0
		.amdhsa_next_free_vgpr 1
		.amdhsa_next_free_sgpr 0
		.amdhsa_reserve_vcc 0
		.amdhsa_reserve_flat_scratch 0
		.amdhsa_float_round_mode_32 0
		.amdhsa_float_round_mode_16_64 0
		.amdhsa_float_denorm_mode_32 3
		.amdhsa_float_denorm_mode_16_64 3
		.amdhsa_dx10_clamp 1
		.amdhsa_ieee_mode 1
		.amdhsa_fp16_overflow 0
		.amdhsa_exception_fp_ieee_invalid_op 0
		.amdhsa_exception_fp_denorm_src 0
		.amdhsa_exception_fp_ieee_div_zero 0
		.amdhsa_exception_fp_ieee_overflow 0
		.amdhsa_exception_fp_ieee_underflow 0
		.amdhsa_exception_fp_ieee_inexact 0
		.amdhsa_exception_int_div_zero 0
	.end_amdhsa_kernel
	.section	.text._ZN7rocprim17ROCPRIM_400000_NS6detail17trampoline_kernelINS0_14default_configENS1_22reduce_config_selectorIiEEZNS1_11reduce_implILb1ES3_N6thrust23THRUST_200600_302600_NS11hip_rocprim35transform_pair_of_input_iterators_tIiPN3c104HalfESD_NS8_12not_equal_toISC_EEEEPiiNS8_4plusIiEEEE10hipError_tPvRmT1_T2_T3_mT4_P12ihipStream_tbEUlT_E0_NS1_11comp_targetILNS1_3genE5ELNS1_11target_archE942ELNS1_3gpuE9ELNS1_3repE0EEENS1_30default_config_static_selectorELNS0_4arch9wavefront6targetE1EEEvSN_,"axG",@progbits,_ZN7rocprim17ROCPRIM_400000_NS6detail17trampoline_kernelINS0_14default_configENS1_22reduce_config_selectorIiEEZNS1_11reduce_implILb1ES3_N6thrust23THRUST_200600_302600_NS11hip_rocprim35transform_pair_of_input_iterators_tIiPN3c104HalfESD_NS8_12not_equal_toISC_EEEEPiiNS8_4plusIiEEEE10hipError_tPvRmT1_T2_T3_mT4_P12ihipStream_tbEUlT_E0_NS1_11comp_targetILNS1_3genE5ELNS1_11target_archE942ELNS1_3gpuE9ELNS1_3repE0EEENS1_30default_config_static_selectorELNS0_4arch9wavefront6targetE1EEEvSN_,comdat
.Lfunc_end2181:
	.size	_ZN7rocprim17ROCPRIM_400000_NS6detail17trampoline_kernelINS0_14default_configENS1_22reduce_config_selectorIiEEZNS1_11reduce_implILb1ES3_N6thrust23THRUST_200600_302600_NS11hip_rocprim35transform_pair_of_input_iterators_tIiPN3c104HalfESD_NS8_12not_equal_toISC_EEEEPiiNS8_4plusIiEEEE10hipError_tPvRmT1_T2_T3_mT4_P12ihipStream_tbEUlT_E0_NS1_11comp_targetILNS1_3genE5ELNS1_11target_archE942ELNS1_3gpuE9ELNS1_3repE0EEENS1_30default_config_static_selectorELNS0_4arch9wavefront6targetE1EEEvSN_, .Lfunc_end2181-_ZN7rocprim17ROCPRIM_400000_NS6detail17trampoline_kernelINS0_14default_configENS1_22reduce_config_selectorIiEEZNS1_11reduce_implILb1ES3_N6thrust23THRUST_200600_302600_NS11hip_rocprim35transform_pair_of_input_iterators_tIiPN3c104HalfESD_NS8_12not_equal_toISC_EEEEPiiNS8_4plusIiEEEE10hipError_tPvRmT1_T2_T3_mT4_P12ihipStream_tbEUlT_E0_NS1_11comp_targetILNS1_3genE5ELNS1_11target_archE942ELNS1_3gpuE9ELNS1_3repE0EEENS1_30default_config_static_selectorELNS0_4arch9wavefront6targetE1EEEvSN_
                                        ; -- End function
	.set _ZN7rocprim17ROCPRIM_400000_NS6detail17trampoline_kernelINS0_14default_configENS1_22reduce_config_selectorIiEEZNS1_11reduce_implILb1ES3_N6thrust23THRUST_200600_302600_NS11hip_rocprim35transform_pair_of_input_iterators_tIiPN3c104HalfESD_NS8_12not_equal_toISC_EEEEPiiNS8_4plusIiEEEE10hipError_tPvRmT1_T2_T3_mT4_P12ihipStream_tbEUlT_E0_NS1_11comp_targetILNS1_3genE5ELNS1_11target_archE942ELNS1_3gpuE9ELNS1_3repE0EEENS1_30default_config_static_selectorELNS0_4arch9wavefront6targetE1EEEvSN_.num_vgpr, 0
	.set _ZN7rocprim17ROCPRIM_400000_NS6detail17trampoline_kernelINS0_14default_configENS1_22reduce_config_selectorIiEEZNS1_11reduce_implILb1ES3_N6thrust23THRUST_200600_302600_NS11hip_rocprim35transform_pair_of_input_iterators_tIiPN3c104HalfESD_NS8_12not_equal_toISC_EEEEPiiNS8_4plusIiEEEE10hipError_tPvRmT1_T2_T3_mT4_P12ihipStream_tbEUlT_E0_NS1_11comp_targetILNS1_3genE5ELNS1_11target_archE942ELNS1_3gpuE9ELNS1_3repE0EEENS1_30default_config_static_selectorELNS0_4arch9wavefront6targetE1EEEvSN_.num_agpr, 0
	.set _ZN7rocprim17ROCPRIM_400000_NS6detail17trampoline_kernelINS0_14default_configENS1_22reduce_config_selectorIiEEZNS1_11reduce_implILb1ES3_N6thrust23THRUST_200600_302600_NS11hip_rocprim35transform_pair_of_input_iterators_tIiPN3c104HalfESD_NS8_12not_equal_toISC_EEEEPiiNS8_4plusIiEEEE10hipError_tPvRmT1_T2_T3_mT4_P12ihipStream_tbEUlT_E0_NS1_11comp_targetILNS1_3genE5ELNS1_11target_archE942ELNS1_3gpuE9ELNS1_3repE0EEENS1_30default_config_static_selectorELNS0_4arch9wavefront6targetE1EEEvSN_.numbered_sgpr, 0
	.set _ZN7rocprim17ROCPRIM_400000_NS6detail17trampoline_kernelINS0_14default_configENS1_22reduce_config_selectorIiEEZNS1_11reduce_implILb1ES3_N6thrust23THRUST_200600_302600_NS11hip_rocprim35transform_pair_of_input_iterators_tIiPN3c104HalfESD_NS8_12not_equal_toISC_EEEEPiiNS8_4plusIiEEEE10hipError_tPvRmT1_T2_T3_mT4_P12ihipStream_tbEUlT_E0_NS1_11comp_targetILNS1_3genE5ELNS1_11target_archE942ELNS1_3gpuE9ELNS1_3repE0EEENS1_30default_config_static_selectorELNS0_4arch9wavefront6targetE1EEEvSN_.num_named_barrier, 0
	.set _ZN7rocprim17ROCPRIM_400000_NS6detail17trampoline_kernelINS0_14default_configENS1_22reduce_config_selectorIiEEZNS1_11reduce_implILb1ES3_N6thrust23THRUST_200600_302600_NS11hip_rocprim35transform_pair_of_input_iterators_tIiPN3c104HalfESD_NS8_12not_equal_toISC_EEEEPiiNS8_4plusIiEEEE10hipError_tPvRmT1_T2_T3_mT4_P12ihipStream_tbEUlT_E0_NS1_11comp_targetILNS1_3genE5ELNS1_11target_archE942ELNS1_3gpuE9ELNS1_3repE0EEENS1_30default_config_static_selectorELNS0_4arch9wavefront6targetE1EEEvSN_.private_seg_size, 0
	.set _ZN7rocprim17ROCPRIM_400000_NS6detail17trampoline_kernelINS0_14default_configENS1_22reduce_config_selectorIiEEZNS1_11reduce_implILb1ES3_N6thrust23THRUST_200600_302600_NS11hip_rocprim35transform_pair_of_input_iterators_tIiPN3c104HalfESD_NS8_12not_equal_toISC_EEEEPiiNS8_4plusIiEEEE10hipError_tPvRmT1_T2_T3_mT4_P12ihipStream_tbEUlT_E0_NS1_11comp_targetILNS1_3genE5ELNS1_11target_archE942ELNS1_3gpuE9ELNS1_3repE0EEENS1_30default_config_static_selectorELNS0_4arch9wavefront6targetE1EEEvSN_.uses_vcc, 0
	.set _ZN7rocprim17ROCPRIM_400000_NS6detail17trampoline_kernelINS0_14default_configENS1_22reduce_config_selectorIiEEZNS1_11reduce_implILb1ES3_N6thrust23THRUST_200600_302600_NS11hip_rocprim35transform_pair_of_input_iterators_tIiPN3c104HalfESD_NS8_12not_equal_toISC_EEEEPiiNS8_4plusIiEEEE10hipError_tPvRmT1_T2_T3_mT4_P12ihipStream_tbEUlT_E0_NS1_11comp_targetILNS1_3genE5ELNS1_11target_archE942ELNS1_3gpuE9ELNS1_3repE0EEENS1_30default_config_static_selectorELNS0_4arch9wavefront6targetE1EEEvSN_.uses_flat_scratch, 0
	.set _ZN7rocprim17ROCPRIM_400000_NS6detail17trampoline_kernelINS0_14default_configENS1_22reduce_config_selectorIiEEZNS1_11reduce_implILb1ES3_N6thrust23THRUST_200600_302600_NS11hip_rocprim35transform_pair_of_input_iterators_tIiPN3c104HalfESD_NS8_12not_equal_toISC_EEEEPiiNS8_4plusIiEEEE10hipError_tPvRmT1_T2_T3_mT4_P12ihipStream_tbEUlT_E0_NS1_11comp_targetILNS1_3genE5ELNS1_11target_archE942ELNS1_3gpuE9ELNS1_3repE0EEENS1_30default_config_static_selectorELNS0_4arch9wavefront6targetE1EEEvSN_.has_dyn_sized_stack, 0
	.set _ZN7rocprim17ROCPRIM_400000_NS6detail17trampoline_kernelINS0_14default_configENS1_22reduce_config_selectorIiEEZNS1_11reduce_implILb1ES3_N6thrust23THRUST_200600_302600_NS11hip_rocprim35transform_pair_of_input_iterators_tIiPN3c104HalfESD_NS8_12not_equal_toISC_EEEEPiiNS8_4plusIiEEEE10hipError_tPvRmT1_T2_T3_mT4_P12ihipStream_tbEUlT_E0_NS1_11comp_targetILNS1_3genE5ELNS1_11target_archE942ELNS1_3gpuE9ELNS1_3repE0EEENS1_30default_config_static_selectorELNS0_4arch9wavefront6targetE1EEEvSN_.has_recursion, 0
	.set _ZN7rocprim17ROCPRIM_400000_NS6detail17trampoline_kernelINS0_14default_configENS1_22reduce_config_selectorIiEEZNS1_11reduce_implILb1ES3_N6thrust23THRUST_200600_302600_NS11hip_rocprim35transform_pair_of_input_iterators_tIiPN3c104HalfESD_NS8_12not_equal_toISC_EEEEPiiNS8_4plusIiEEEE10hipError_tPvRmT1_T2_T3_mT4_P12ihipStream_tbEUlT_E0_NS1_11comp_targetILNS1_3genE5ELNS1_11target_archE942ELNS1_3gpuE9ELNS1_3repE0EEENS1_30default_config_static_selectorELNS0_4arch9wavefront6targetE1EEEvSN_.has_indirect_call, 0
	.section	.AMDGPU.csdata,"",@progbits
; Kernel info:
; codeLenInByte = 0
; TotalNumSgprs: 4
; NumVgprs: 0
; ScratchSize: 0
; MemoryBound: 0
; FloatMode: 240
; IeeeMode: 1
; LDSByteSize: 0 bytes/workgroup (compile time only)
; SGPRBlocks: 0
; VGPRBlocks: 0
; NumSGPRsForWavesPerEU: 4
; NumVGPRsForWavesPerEU: 1
; Occupancy: 10
; WaveLimiterHint : 0
; COMPUTE_PGM_RSRC2:SCRATCH_EN: 0
; COMPUTE_PGM_RSRC2:USER_SGPR: 6
; COMPUTE_PGM_RSRC2:TRAP_HANDLER: 0
; COMPUTE_PGM_RSRC2:TGID_X_EN: 1
; COMPUTE_PGM_RSRC2:TGID_Y_EN: 0
; COMPUTE_PGM_RSRC2:TGID_Z_EN: 0
; COMPUTE_PGM_RSRC2:TIDIG_COMP_CNT: 0
	.section	.text._ZN7rocprim17ROCPRIM_400000_NS6detail17trampoline_kernelINS0_14default_configENS1_22reduce_config_selectorIiEEZNS1_11reduce_implILb1ES3_N6thrust23THRUST_200600_302600_NS11hip_rocprim35transform_pair_of_input_iterators_tIiPN3c104HalfESD_NS8_12not_equal_toISC_EEEEPiiNS8_4plusIiEEEE10hipError_tPvRmT1_T2_T3_mT4_P12ihipStream_tbEUlT_E0_NS1_11comp_targetILNS1_3genE4ELNS1_11target_archE910ELNS1_3gpuE8ELNS1_3repE0EEENS1_30default_config_static_selectorELNS0_4arch9wavefront6targetE1EEEvSN_,"axG",@progbits,_ZN7rocprim17ROCPRIM_400000_NS6detail17trampoline_kernelINS0_14default_configENS1_22reduce_config_selectorIiEEZNS1_11reduce_implILb1ES3_N6thrust23THRUST_200600_302600_NS11hip_rocprim35transform_pair_of_input_iterators_tIiPN3c104HalfESD_NS8_12not_equal_toISC_EEEEPiiNS8_4plusIiEEEE10hipError_tPvRmT1_T2_T3_mT4_P12ihipStream_tbEUlT_E0_NS1_11comp_targetILNS1_3genE4ELNS1_11target_archE910ELNS1_3gpuE8ELNS1_3repE0EEENS1_30default_config_static_selectorELNS0_4arch9wavefront6targetE1EEEvSN_,comdat
	.protected	_ZN7rocprim17ROCPRIM_400000_NS6detail17trampoline_kernelINS0_14default_configENS1_22reduce_config_selectorIiEEZNS1_11reduce_implILb1ES3_N6thrust23THRUST_200600_302600_NS11hip_rocprim35transform_pair_of_input_iterators_tIiPN3c104HalfESD_NS8_12not_equal_toISC_EEEEPiiNS8_4plusIiEEEE10hipError_tPvRmT1_T2_T3_mT4_P12ihipStream_tbEUlT_E0_NS1_11comp_targetILNS1_3genE4ELNS1_11target_archE910ELNS1_3gpuE8ELNS1_3repE0EEENS1_30default_config_static_selectorELNS0_4arch9wavefront6targetE1EEEvSN_ ; -- Begin function _ZN7rocprim17ROCPRIM_400000_NS6detail17trampoline_kernelINS0_14default_configENS1_22reduce_config_selectorIiEEZNS1_11reduce_implILb1ES3_N6thrust23THRUST_200600_302600_NS11hip_rocprim35transform_pair_of_input_iterators_tIiPN3c104HalfESD_NS8_12not_equal_toISC_EEEEPiiNS8_4plusIiEEEE10hipError_tPvRmT1_T2_T3_mT4_P12ihipStream_tbEUlT_E0_NS1_11comp_targetILNS1_3genE4ELNS1_11target_archE910ELNS1_3gpuE8ELNS1_3repE0EEENS1_30default_config_static_selectorELNS0_4arch9wavefront6targetE1EEEvSN_
	.globl	_ZN7rocprim17ROCPRIM_400000_NS6detail17trampoline_kernelINS0_14default_configENS1_22reduce_config_selectorIiEEZNS1_11reduce_implILb1ES3_N6thrust23THRUST_200600_302600_NS11hip_rocprim35transform_pair_of_input_iterators_tIiPN3c104HalfESD_NS8_12not_equal_toISC_EEEEPiiNS8_4plusIiEEEE10hipError_tPvRmT1_T2_T3_mT4_P12ihipStream_tbEUlT_E0_NS1_11comp_targetILNS1_3genE4ELNS1_11target_archE910ELNS1_3gpuE8ELNS1_3repE0EEENS1_30default_config_static_selectorELNS0_4arch9wavefront6targetE1EEEvSN_
	.p2align	8
	.type	_ZN7rocprim17ROCPRIM_400000_NS6detail17trampoline_kernelINS0_14default_configENS1_22reduce_config_selectorIiEEZNS1_11reduce_implILb1ES3_N6thrust23THRUST_200600_302600_NS11hip_rocprim35transform_pair_of_input_iterators_tIiPN3c104HalfESD_NS8_12not_equal_toISC_EEEEPiiNS8_4plusIiEEEE10hipError_tPvRmT1_T2_T3_mT4_P12ihipStream_tbEUlT_E0_NS1_11comp_targetILNS1_3genE4ELNS1_11target_archE910ELNS1_3gpuE8ELNS1_3repE0EEENS1_30default_config_static_selectorELNS0_4arch9wavefront6targetE1EEEvSN_,@function
_ZN7rocprim17ROCPRIM_400000_NS6detail17trampoline_kernelINS0_14default_configENS1_22reduce_config_selectorIiEEZNS1_11reduce_implILb1ES3_N6thrust23THRUST_200600_302600_NS11hip_rocprim35transform_pair_of_input_iterators_tIiPN3c104HalfESD_NS8_12not_equal_toISC_EEEEPiiNS8_4plusIiEEEE10hipError_tPvRmT1_T2_T3_mT4_P12ihipStream_tbEUlT_E0_NS1_11comp_targetILNS1_3genE4ELNS1_11target_archE910ELNS1_3gpuE8ELNS1_3repE0EEENS1_30default_config_static_selectorELNS0_4arch9wavefront6targetE1EEEvSN_: ; @_ZN7rocprim17ROCPRIM_400000_NS6detail17trampoline_kernelINS0_14default_configENS1_22reduce_config_selectorIiEEZNS1_11reduce_implILb1ES3_N6thrust23THRUST_200600_302600_NS11hip_rocprim35transform_pair_of_input_iterators_tIiPN3c104HalfESD_NS8_12not_equal_toISC_EEEEPiiNS8_4plusIiEEEE10hipError_tPvRmT1_T2_T3_mT4_P12ihipStream_tbEUlT_E0_NS1_11comp_targetILNS1_3genE4ELNS1_11target_archE910ELNS1_3gpuE8ELNS1_3repE0EEENS1_30default_config_static_selectorELNS0_4arch9wavefront6targetE1EEEvSN_
; %bb.0:
	.section	.rodata,"a",@progbits
	.p2align	6, 0x0
	.amdhsa_kernel _ZN7rocprim17ROCPRIM_400000_NS6detail17trampoline_kernelINS0_14default_configENS1_22reduce_config_selectorIiEEZNS1_11reduce_implILb1ES3_N6thrust23THRUST_200600_302600_NS11hip_rocprim35transform_pair_of_input_iterators_tIiPN3c104HalfESD_NS8_12not_equal_toISC_EEEEPiiNS8_4plusIiEEEE10hipError_tPvRmT1_T2_T3_mT4_P12ihipStream_tbEUlT_E0_NS1_11comp_targetILNS1_3genE4ELNS1_11target_archE910ELNS1_3gpuE8ELNS1_3repE0EEENS1_30default_config_static_selectorELNS0_4arch9wavefront6targetE1EEEvSN_
		.amdhsa_group_segment_fixed_size 0
		.amdhsa_private_segment_fixed_size 0
		.amdhsa_kernarg_size 72
		.amdhsa_user_sgpr_count 6
		.amdhsa_user_sgpr_private_segment_buffer 1
		.amdhsa_user_sgpr_dispatch_ptr 0
		.amdhsa_user_sgpr_queue_ptr 0
		.amdhsa_user_sgpr_kernarg_segment_ptr 1
		.amdhsa_user_sgpr_dispatch_id 0
		.amdhsa_user_sgpr_flat_scratch_init 0
		.amdhsa_user_sgpr_private_segment_size 0
		.amdhsa_uses_dynamic_stack 0
		.amdhsa_system_sgpr_private_segment_wavefront_offset 0
		.amdhsa_system_sgpr_workgroup_id_x 1
		.amdhsa_system_sgpr_workgroup_id_y 0
		.amdhsa_system_sgpr_workgroup_id_z 0
		.amdhsa_system_sgpr_workgroup_info 0
		.amdhsa_system_vgpr_workitem_id 0
		.amdhsa_next_free_vgpr 1
		.amdhsa_next_free_sgpr 0
		.amdhsa_reserve_vcc 0
		.amdhsa_reserve_flat_scratch 0
		.amdhsa_float_round_mode_32 0
		.amdhsa_float_round_mode_16_64 0
		.amdhsa_float_denorm_mode_32 3
		.amdhsa_float_denorm_mode_16_64 3
		.amdhsa_dx10_clamp 1
		.amdhsa_ieee_mode 1
		.amdhsa_fp16_overflow 0
		.amdhsa_exception_fp_ieee_invalid_op 0
		.amdhsa_exception_fp_denorm_src 0
		.amdhsa_exception_fp_ieee_div_zero 0
		.amdhsa_exception_fp_ieee_overflow 0
		.amdhsa_exception_fp_ieee_underflow 0
		.amdhsa_exception_fp_ieee_inexact 0
		.amdhsa_exception_int_div_zero 0
	.end_amdhsa_kernel
	.section	.text._ZN7rocprim17ROCPRIM_400000_NS6detail17trampoline_kernelINS0_14default_configENS1_22reduce_config_selectorIiEEZNS1_11reduce_implILb1ES3_N6thrust23THRUST_200600_302600_NS11hip_rocprim35transform_pair_of_input_iterators_tIiPN3c104HalfESD_NS8_12not_equal_toISC_EEEEPiiNS8_4plusIiEEEE10hipError_tPvRmT1_T2_T3_mT4_P12ihipStream_tbEUlT_E0_NS1_11comp_targetILNS1_3genE4ELNS1_11target_archE910ELNS1_3gpuE8ELNS1_3repE0EEENS1_30default_config_static_selectorELNS0_4arch9wavefront6targetE1EEEvSN_,"axG",@progbits,_ZN7rocprim17ROCPRIM_400000_NS6detail17trampoline_kernelINS0_14default_configENS1_22reduce_config_selectorIiEEZNS1_11reduce_implILb1ES3_N6thrust23THRUST_200600_302600_NS11hip_rocprim35transform_pair_of_input_iterators_tIiPN3c104HalfESD_NS8_12not_equal_toISC_EEEEPiiNS8_4plusIiEEEE10hipError_tPvRmT1_T2_T3_mT4_P12ihipStream_tbEUlT_E0_NS1_11comp_targetILNS1_3genE4ELNS1_11target_archE910ELNS1_3gpuE8ELNS1_3repE0EEENS1_30default_config_static_selectorELNS0_4arch9wavefront6targetE1EEEvSN_,comdat
.Lfunc_end2182:
	.size	_ZN7rocprim17ROCPRIM_400000_NS6detail17trampoline_kernelINS0_14default_configENS1_22reduce_config_selectorIiEEZNS1_11reduce_implILb1ES3_N6thrust23THRUST_200600_302600_NS11hip_rocprim35transform_pair_of_input_iterators_tIiPN3c104HalfESD_NS8_12not_equal_toISC_EEEEPiiNS8_4plusIiEEEE10hipError_tPvRmT1_T2_T3_mT4_P12ihipStream_tbEUlT_E0_NS1_11comp_targetILNS1_3genE4ELNS1_11target_archE910ELNS1_3gpuE8ELNS1_3repE0EEENS1_30default_config_static_selectorELNS0_4arch9wavefront6targetE1EEEvSN_, .Lfunc_end2182-_ZN7rocprim17ROCPRIM_400000_NS6detail17trampoline_kernelINS0_14default_configENS1_22reduce_config_selectorIiEEZNS1_11reduce_implILb1ES3_N6thrust23THRUST_200600_302600_NS11hip_rocprim35transform_pair_of_input_iterators_tIiPN3c104HalfESD_NS8_12not_equal_toISC_EEEEPiiNS8_4plusIiEEEE10hipError_tPvRmT1_T2_T3_mT4_P12ihipStream_tbEUlT_E0_NS1_11comp_targetILNS1_3genE4ELNS1_11target_archE910ELNS1_3gpuE8ELNS1_3repE0EEENS1_30default_config_static_selectorELNS0_4arch9wavefront6targetE1EEEvSN_
                                        ; -- End function
	.set _ZN7rocprim17ROCPRIM_400000_NS6detail17trampoline_kernelINS0_14default_configENS1_22reduce_config_selectorIiEEZNS1_11reduce_implILb1ES3_N6thrust23THRUST_200600_302600_NS11hip_rocprim35transform_pair_of_input_iterators_tIiPN3c104HalfESD_NS8_12not_equal_toISC_EEEEPiiNS8_4plusIiEEEE10hipError_tPvRmT1_T2_T3_mT4_P12ihipStream_tbEUlT_E0_NS1_11comp_targetILNS1_3genE4ELNS1_11target_archE910ELNS1_3gpuE8ELNS1_3repE0EEENS1_30default_config_static_selectorELNS0_4arch9wavefront6targetE1EEEvSN_.num_vgpr, 0
	.set _ZN7rocprim17ROCPRIM_400000_NS6detail17trampoline_kernelINS0_14default_configENS1_22reduce_config_selectorIiEEZNS1_11reduce_implILb1ES3_N6thrust23THRUST_200600_302600_NS11hip_rocprim35transform_pair_of_input_iterators_tIiPN3c104HalfESD_NS8_12not_equal_toISC_EEEEPiiNS8_4plusIiEEEE10hipError_tPvRmT1_T2_T3_mT4_P12ihipStream_tbEUlT_E0_NS1_11comp_targetILNS1_3genE4ELNS1_11target_archE910ELNS1_3gpuE8ELNS1_3repE0EEENS1_30default_config_static_selectorELNS0_4arch9wavefront6targetE1EEEvSN_.num_agpr, 0
	.set _ZN7rocprim17ROCPRIM_400000_NS6detail17trampoline_kernelINS0_14default_configENS1_22reduce_config_selectorIiEEZNS1_11reduce_implILb1ES3_N6thrust23THRUST_200600_302600_NS11hip_rocprim35transform_pair_of_input_iterators_tIiPN3c104HalfESD_NS8_12not_equal_toISC_EEEEPiiNS8_4plusIiEEEE10hipError_tPvRmT1_T2_T3_mT4_P12ihipStream_tbEUlT_E0_NS1_11comp_targetILNS1_3genE4ELNS1_11target_archE910ELNS1_3gpuE8ELNS1_3repE0EEENS1_30default_config_static_selectorELNS0_4arch9wavefront6targetE1EEEvSN_.numbered_sgpr, 0
	.set _ZN7rocprim17ROCPRIM_400000_NS6detail17trampoline_kernelINS0_14default_configENS1_22reduce_config_selectorIiEEZNS1_11reduce_implILb1ES3_N6thrust23THRUST_200600_302600_NS11hip_rocprim35transform_pair_of_input_iterators_tIiPN3c104HalfESD_NS8_12not_equal_toISC_EEEEPiiNS8_4plusIiEEEE10hipError_tPvRmT1_T2_T3_mT4_P12ihipStream_tbEUlT_E0_NS1_11comp_targetILNS1_3genE4ELNS1_11target_archE910ELNS1_3gpuE8ELNS1_3repE0EEENS1_30default_config_static_selectorELNS0_4arch9wavefront6targetE1EEEvSN_.num_named_barrier, 0
	.set _ZN7rocprim17ROCPRIM_400000_NS6detail17trampoline_kernelINS0_14default_configENS1_22reduce_config_selectorIiEEZNS1_11reduce_implILb1ES3_N6thrust23THRUST_200600_302600_NS11hip_rocprim35transform_pair_of_input_iterators_tIiPN3c104HalfESD_NS8_12not_equal_toISC_EEEEPiiNS8_4plusIiEEEE10hipError_tPvRmT1_T2_T3_mT4_P12ihipStream_tbEUlT_E0_NS1_11comp_targetILNS1_3genE4ELNS1_11target_archE910ELNS1_3gpuE8ELNS1_3repE0EEENS1_30default_config_static_selectorELNS0_4arch9wavefront6targetE1EEEvSN_.private_seg_size, 0
	.set _ZN7rocprim17ROCPRIM_400000_NS6detail17trampoline_kernelINS0_14default_configENS1_22reduce_config_selectorIiEEZNS1_11reduce_implILb1ES3_N6thrust23THRUST_200600_302600_NS11hip_rocprim35transform_pair_of_input_iterators_tIiPN3c104HalfESD_NS8_12not_equal_toISC_EEEEPiiNS8_4plusIiEEEE10hipError_tPvRmT1_T2_T3_mT4_P12ihipStream_tbEUlT_E0_NS1_11comp_targetILNS1_3genE4ELNS1_11target_archE910ELNS1_3gpuE8ELNS1_3repE0EEENS1_30default_config_static_selectorELNS0_4arch9wavefront6targetE1EEEvSN_.uses_vcc, 0
	.set _ZN7rocprim17ROCPRIM_400000_NS6detail17trampoline_kernelINS0_14default_configENS1_22reduce_config_selectorIiEEZNS1_11reduce_implILb1ES3_N6thrust23THRUST_200600_302600_NS11hip_rocprim35transform_pair_of_input_iterators_tIiPN3c104HalfESD_NS8_12not_equal_toISC_EEEEPiiNS8_4plusIiEEEE10hipError_tPvRmT1_T2_T3_mT4_P12ihipStream_tbEUlT_E0_NS1_11comp_targetILNS1_3genE4ELNS1_11target_archE910ELNS1_3gpuE8ELNS1_3repE0EEENS1_30default_config_static_selectorELNS0_4arch9wavefront6targetE1EEEvSN_.uses_flat_scratch, 0
	.set _ZN7rocprim17ROCPRIM_400000_NS6detail17trampoline_kernelINS0_14default_configENS1_22reduce_config_selectorIiEEZNS1_11reduce_implILb1ES3_N6thrust23THRUST_200600_302600_NS11hip_rocprim35transform_pair_of_input_iterators_tIiPN3c104HalfESD_NS8_12not_equal_toISC_EEEEPiiNS8_4plusIiEEEE10hipError_tPvRmT1_T2_T3_mT4_P12ihipStream_tbEUlT_E0_NS1_11comp_targetILNS1_3genE4ELNS1_11target_archE910ELNS1_3gpuE8ELNS1_3repE0EEENS1_30default_config_static_selectorELNS0_4arch9wavefront6targetE1EEEvSN_.has_dyn_sized_stack, 0
	.set _ZN7rocprim17ROCPRIM_400000_NS6detail17trampoline_kernelINS0_14default_configENS1_22reduce_config_selectorIiEEZNS1_11reduce_implILb1ES3_N6thrust23THRUST_200600_302600_NS11hip_rocprim35transform_pair_of_input_iterators_tIiPN3c104HalfESD_NS8_12not_equal_toISC_EEEEPiiNS8_4plusIiEEEE10hipError_tPvRmT1_T2_T3_mT4_P12ihipStream_tbEUlT_E0_NS1_11comp_targetILNS1_3genE4ELNS1_11target_archE910ELNS1_3gpuE8ELNS1_3repE0EEENS1_30default_config_static_selectorELNS0_4arch9wavefront6targetE1EEEvSN_.has_recursion, 0
	.set _ZN7rocprim17ROCPRIM_400000_NS6detail17trampoline_kernelINS0_14default_configENS1_22reduce_config_selectorIiEEZNS1_11reduce_implILb1ES3_N6thrust23THRUST_200600_302600_NS11hip_rocprim35transform_pair_of_input_iterators_tIiPN3c104HalfESD_NS8_12not_equal_toISC_EEEEPiiNS8_4plusIiEEEE10hipError_tPvRmT1_T2_T3_mT4_P12ihipStream_tbEUlT_E0_NS1_11comp_targetILNS1_3genE4ELNS1_11target_archE910ELNS1_3gpuE8ELNS1_3repE0EEENS1_30default_config_static_selectorELNS0_4arch9wavefront6targetE1EEEvSN_.has_indirect_call, 0
	.section	.AMDGPU.csdata,"",@progbits
; Kernel info:
; codeLenInByte = 0
; TotalNumSgprs: 4
; NumVgprs: 0
; ScratchSize: 0
; MemoryBound: 0
; FloatMode: 240
; IeeeMode: 1
; LDSByteSize: 0 bytes/workgroup (compile time only)
; SGPRBlocks: 0
; VGPRBlocks: 0
; NumSGPRsForWavesPerEU: 4
; NumVGPRsForWavesPerEU: 1
; Occupancy: 10
; WaveLimiterHint : 0
; COMPUTE_PGM_RSRC2:SCRATCH_EN: 0
; COMPUTE_PGM_RSRC2:USER_SGPR: 6
; COMPUTE_PGM_RSRC2:TRAP_HANDLER: 0
; COMPUTE_PGM_RSRC2:TGID_X_EN: 1
; COMPUTE_PGM_RSRC2:TGID_Y_EN: 0
; COMPUTE_PGM_RSRC2:TGID_Z_EN: 0
; COMPUTE_PGM_RSRC2:TIDIG_COMP_CNT: 0
	.section	.text._ZN7rocprim17ROCPRIM_400000_NS6detail17trampoline_kernelINS0_14default_configENS1_22reduce_config_selectorIiEEZNS1_11reduce_implILb1ES3_N6thrust23THRUST_200600_302600_NS11hip_rocprim35transform_pair_of_input_iterators_tIiPN3c104HalfESD_NS8_12not_equal_toISC_EEEEPiiNS8_4plusIiEEEE10hipError_tPvRmT1_T2_T3_mT4_P12ihipStream_tbEUlT_E0_NS1_11comp_targetILNS1_3genE3ELNS1_11target_archE908ELNS1_3gpuE7ELNS1_3repE0EEENS1_30default_config_static_selectorELNS0_4arch9wavefront6targetE1EEEvSN_,"axG",@progbits,_ZN7rocprim17ROCPRIM_400000_NS6detail17trampoline_kernelINS0_14default_configENS1_22reduce_config_selectorIiEEZNS1_11reduce_implILb1ES3_N6thrust23THRUST_200600_302600_NS11hip_rocprim35transform_pair_of_input_iterators_tIiPN3c104HalfESD_NS8_12not_equal_toISC_EEEEPiiNS8_4plusIiEEEE10hipError_tPvRmT1_T2_T3_mT4_P12ihipStream_tbEUlT_E0_NS1_11comp_targetILNS1_3genE3ELNS1_11target_archE908ELNS1_3gpuE7ELNS1_3repE0EEENS1_30default_config_static_selectorELNS0_4arch9wavefront6targetE1EEEvSN_,comdat
	.protected	_ZN7rocprim17ROCPRIM_400000_NS6detail17trampoline_kernelINS0_14default_configENS1_22reduce_config_selectorIiEEZNS1_11reduce_implILb1ES3_N6thrust23THRUST_200600_302600_NS11hip_rocprim35transform_pair_of_input_iterators_tIiPN3c104HalfESD_NS8_12not_equal_toISC_EEEEPiiNS8_4plusIiEEEE10hipError_tPvRmT1_T2_T3_mT4_P12ihipStream_tbEUlT_E0_NS1_11comp_targetILNS1_3genE3ELNS1_11target_archE908ELNS1_3gpuE7ELNS1_3repE0EEENS1_30default_config_static_selectorELNS0_4arch9wavefront6targetE1EEEvSN_ ; -- Begin function _ZN7rocprim17ROCPRIM_400000_NS6detail17trampoline_kernelINS0_14default_configENS1_22reduce_config_selectorIiEEZNS1_11reduce_implILb1ES3_N6thrust23THRUST_200600_302600_NS11hip_rocprim35transform_pair_of_input_iterators_tIiPN3c104HalfESD_NS8_12not_equal_toISC_EEEEPiiNS8_4plusIiEEEE10hipError_tPvRmT1_T2_T3_mT4_P12ihipStream_tbEUlT_E0_NS1_11comp_targetILNS1_3genE3ELNS1_11target_archE908ELNS1_3gpuE7ELNS1_3repE0EEENS1_30default_config_static_selectorELNS0_4arch9wavefront6targetE1EEEvSN_
	.globl	_ZN7rocprim17ROCPRIM_400000_NS6detail17trampoline_kernelINS0_14default_configENS1_22reduce_config_selectorIiEEZNS1_11reduce_implILb1ES3_N6thrust23THRUST_200600_302600_NS11hip_rocprim35transform_pair_of_input_iterators_tIiPN3c104HalfESD_NS8_12not_equal_toISC_EEEEPiiNS8_4plusIiEEEE10hipError_tPvRmT1_T2_T3_mT4_P12ihipStream_tbEUlT_E0_NS1_11comp_targetILNS1_3genE3ELNS1_11target_archE908ELNS1_3gpuE7ELNS1_3repE0EEENS1_30default_config_static_selectorELNS0_4arch9wavefront6targetE1EEEvSN_
	.p2align	8
	.type	_ZN7rocprim17ROCPRIM_400000_NS6detail17trampoline_kernelINS0_14default_configENS1_22reduce_config_selectorIiEEZNS1_11reduce_implILb1ES3_N6thrust23THRUST_200600_302600_NS11hip_rocprim35transform_pair_of_input_iterators_tIiPN3c104HalfESD_NS8_12not_equal_toISC_EEEEPiiNS8_4plusIiEEEE10hipError_tPvRmT1_T2_T3_mT4_P12ihipStream_tbEUlT_E0_NS1_11comp_targetILNS1_3genE3ELNS1_11target_archE908ELNS1_3gpuE7ELNS1_3repE0EEENS1_30default_config_static_selectorELNS0_4arch9wavefront6targetE1EEEvSN_,@function
_ZN7rocprim17ROCPRIM_400000_NS6detail17trampoline_kernelINS0_14default_configENS1_22reduce_config_selectorIiEEZNS1_11reduce_implILb1ES3_N6thrust23THRUST_200600_302600_NS11hip_rocprim35transform_pair_of_input_iterators_tIiPN3c104HalfESD_NS8_12not_equal_toISC_EEEEPiiNS8_4plusIiEEEE10hipError_tPvRmT1_T2_T3_mT4_P12ihipStream_tbEUlT_E0_NS1_11comp_targetILNS1_3genE3ELNS1_11target_archE908ELNS1_3gpuE7ELNS1_3repE0EEENS1_30default_config_static_selectorELNS0_4arch9wavefront6targetE1EEEvSN_: ; @_ZN7rocprim17ROCPRIM_400000_NS6detail17trampoline_kernelINS0_14default_configENS1_22reduce_config_selectorIiEEZNS1_11reduce_implILb1ES3_N6thrust23THRUST_200600_302600_NS11hip_rocprim35transform_pair_of_input_iterators_tIiPN3c104HalfESD_NS8_12not_equal_toISC_EEEEPiiNS8_4plusIiEEEE10hipError_tPvRmT1_T2_T3_mT4_P12ihipStream_tbEUlT_E0_NS1_11comp_targetILNS1_3genE3ELNS1_11target_archE908ELNS1_3gpuE7ELNS1_3repE0EEENS1_30default_config_static_selectorELNS0_4arch9wavefront6targetE1EEEvSN_
; %bb.0:
	.section	.rodata,"a",@progbits
	.p2align	6, 0x0
	.amdhsa_kernel _ZN7rocprim17ROCPRIM_400000_NS6detail17trampoline_kernelINS0_14default_configENS1_22reduce_config_selectorIiEEZNS1_11reduce_implILb1ES3_N6thrust23THRUST_200600_302600_NS11hip_rocprim35transform_pair_of_input_iterators_tIiPN3c104HalfESD_NS8_12not_equal_toISC_EEEEPiiNS8_4plusIiEEEE10hipError_tPvRmT1_T2_T3_mT4_P12ihipStream_tbEUlT_E0_NS1_11comp_targetILNS1_3genE3ELNS1_11target_archE908ELNS1_3gpuE7ELNS1_3repE0EEENS1_30default_config_static_selectorELNS0_4arch9wavefront6targetE1EEEvSN_
		.amdhsa_group_segment_fixed_size 0
		.amdhsa_private_segment_fixed_size 0
		.amdhsa_kernarg_size 72
		.amdhsa_user_sgpr_count 6
		.amdhsa_user_sgpr_private_segment_buffer 1
		.amdhsa_user_sgpr_dispatch_ptr 0
		.amdhsa_user_sgpr_queue_ptr 0
		.amdhsa_user_sgpr_kernarg_segment_ptr 1
		.amdhsa_user_sgpr_dispatch_id 0
		.amdhsa_user_sgpr_flat_scratch_init 0
		.amdhsa_user_sgpr_private_segment_size 0
		.amdhsa_uses_dynamic_stack 0
		.amdhsa_system_sgpr_private_segment_wavefront_offset 0
		.amdhsa_system_sgpr_workgroup_id_x 1
		.amdhsa_system_sgpr_workgroup_id_y 0
		.amdhsa_system_sgpr_workgroup_id_z 0
		.amdhsa_system_sgpr_workgroup_info 0
		.amdhsa_system_vgpr_workitem_id 0
		.amdhsa_next_free_vgpr 1
		.amdhsa_next_free_sgpr 0
		.amdhsa_reserve_vcc 0
		.amdhsa_reserve_flat_scratch 0
		.amdhsa_float_round_mode_32 0
		.amdhsa_float_round_mode_16_64 0
		.amdhsa_float_denorm_mode_32 3
		.amdhsa_float_denorm_mode_16_64 3
		.amdhsa_dx10_clamp 1
		.amdhsa_ieee_mode 1
		.amdhsa_fp16_overflow 0
		.amdhsa_exception_fp_ieee_invalid_op 0
		.amdhsa_exception_fp_denorm_src 0
		.amdhsa_exception_fp_ieee_div_zero 0
		.amdhsa_exception_fp_ieee_overflow 0
		.amdhsa_exception_fp_ieee_underflow 0
		.amdhsa_exception_fp_ieee_inexact 0
		.amdhsa_exception_int_div_zero 0
	.end_amdhsa_kernel
	.section	.text._ZN7rocprim17ROCPRIM_400000_NS6detail17trampoline_kernelINS0_14default_configENS1_22reduce_config_selectorIiEEZNS1_11reduce_implILb1ES3_N6thrust23THRUST_200600_302600_NS11hip_rocprim35transform_pair_of_input_iterators_tIiPN3c104HalfESD_NS8_12not_equal_toISC_EEEEPiiNS8_4plusIiEEEE10hipError_tPvRmT1_T2_T3_mT4_P12ihipStream_tbEUlT_E0_NS1_11comp_targetILNS1_3genE3ELNS1_11target_archE908ELNS1_3gpuE7ELNS1_3repE0EEENS1_30default_config_static_selectorELNS0_4arch9wavefront6targetE1EEEvSN_,"axG",@progbits,_ZN7rocprim17ROCPRIM_400000_NS6detail17trampoline_kernelINS0_14default_configENS1_22reduce_config_selectorIiEEZNS1_11reduce_implILb1ES3_N6thrust23THRUST_200600_302600_NS11hip_rocprim35transform_pair_of_input_iterators_tIiPN3c104HalfESD_NS8_12not_equal_toISC_EEEEPiiNS8_4plusIiEEEE10hipError_tPvRmT1_T2_T3_mT4_P12ihipStream_tbEUlT_E0_NS1_11comp_targetILNS1_3genE3ELNS1_11target_archE908ELNS1_3gpuE7ELNS1_3repE0EEENS1_30default_config_static_selectorELNS0_4arch9wavefront6targetE1EEEvSN_,comdat
.Lfunc_end2183:
	.size	_ZN7rocprim17ROCPRIM_400000_NS6detail17trampoline_kernelINS0_14default_configENS1_22reduce_config_selectorIiEEZNS1_11reduce_implILb1ES3_N6thrust23THRUST_200600_302600_NS11hip_rocprim35transform_pair_of_input_iterators_tIiPN3c104HalfESD_NS8_12not_equal_toISC_EEEEPiiNS8_4plusIiEEEE10hipError_tPvRmT1_T2_T3_mT4_P12ihipStream_tbEUlT_E0_NS1_11comp_targetILNS1_3genE3ELNS1_11target_archE908ELNS1_3gpuE7ELNS1_3repE0EEENS1_30default_config_static_selectorELNS0_4arch9wavefront6targetE1EEEvSN_, .Lfunc_end2183-_ZN7rocprim17ROCPRIM_400000_NS6detail17trampoline_kernelINS0_14default_configENS1_22reduce_config_selectorIiEEZNS1_11reduce_implILb1ES3_N6thrust23THRUST_200600_302600_NS11hip_rocprim35transform_pair_of_input_iterators_tIiPN3c104HalfESD_NS8_12not_equal_toISC_EEEEPiiNS8_4plusIiEEEE10hipError_tPvRmT1_T2_T3_mT4_P12ihipStream_tbEUlT_E0_NS1_11comp_targetILNS1_3genE3ELNS1_11target_archE908ELNS1_3gpuE7ELNS1_3repE0EEENS1_30default_config_static_selectorELNS0_4arch9wavefront6targetE1EEEvSN_
                                        ; -- End function
	.set _ZN7rocprim17ROCPRIM_400000_NS6detail17trampoline_kernelINS0_14default_configENS1_22reduce_config_selectorIiEEZNS1_11reduce_implILb1ES3_N6thrust23THRUST_200600_302600_NS11hip_rocprim35transform_pair_of_input_iterators_tIiPN3c104HalfESD_NS8_12not_equal_toISC_EEEEPiiNS8_4plusIiEEEE10hipError_tPvRmT1_T2_T3_mT4_P12ihipStream_tbEUlT_E0_NS1_11comp_targetILNS1_3genE3ELNS1_11target_archE908ELNS1_3gpuE7ELNS1_3repE0EEENS1_30default_config_static_selectorELNS0_4arch9wavefront6targetE1EEEvSN_.num_vgpr, 0
	.set _ZN7rocprim17ROCPRIM_400000_NS6detail17trampoline_kernelINS0_14default_configENS1_22reduce_config_selectorIiEEZNS1_11reduce_implILb1ES3_N6thrust23THRUST_200600_302600_NS11hip_rocprim35transform_pair_of_input_iterators_tIiPN3c104HalfESD_NS8_12not_equal_toISC_EEEEPiiNS8_4plusIiEEEE10hipError_tPvRmT1_T2_T3_mT4_P12ihipStream_tbEUlT_E0_NS1_11comp_targetILNS1_3genE3ELNS1_11target_archE908ELNS1_3gpuE7ELNS1_3repE0EEENS1_30default_config_static_selectorELNS0_4arch9wavefront6targetE1EEEvSN_.num_agpr, 0
	.set _ZN7rocprim17ROCPRIM_400000_NS6detail17trampoline_kernelINS0_14default_configENS1_22reduce_config_selectorIiEEZNS1_11reduce_implILb1ES3_N6thrust23THRUST_200600_302600_NS11hip_rocprim35transform_pair_of_input_iterators_tIiPN3c104HalfESD_NS8_12not_equal_toISC_EEEEPiiNS8_4plusIiEEEE10hipError_tPvRmT1_T2_T3_mT4_P12ihipStream_tbEUlT_E0_NS1_11comp_targetILNS1_3genE3ELNS1_11target_archE908ELNS1_3gpuE7ELNS1_3repE0EEENS1_30default_config_static_selectorELNS0_4arch9wavefront6targetE1EEEvSN_.numbered_sgpr, 0
	.set _ZN7rocprim17ROCPRIM_400000_NS6detail17trampoline_kernelINS0_14default_configENS1_22reduce_config_selectorIiEEZNS1_11reduce_implILb1ES3_N6thrust23THRUST_200600_302600_NS11hip_rocprim35transform_pair_of_input_iterators_tIiPN3c104HalfESD_NS8_12not_equal_toISC_EEEEPiiNS8_4plusIiEEEE10hipError_tPvRmT1_T2_T3_mT4_P12ihipStream_tbEUlT_E0_NS1_11comp_targetILNS1_3genE3ELNS1_11target_archE908ELNS1_3gpuE7ELNS1_3repE0EEENS1_30default_config_static_selectorELNS0_4arch9wavefront6targetE1EEEvSN_.num_named_barrier, 0
	.set _ZN7rocprim17ROCPRIM_400000_NS6detail17trampoline_kernelINS0_14default_configENS1_22reduce_config_selectorIiEEZNS1_11reduce_implILb1ES3_N6thrust23THRUST_200600_302600_NS11hip_rocprim35transform_pair_of_input_iterators_tIiPN3c104HalfESD_NS8_12not_equal_toISC_EEEEPiiNS8_4plusIiEEEE10hipError_tPvRmT1_T2_T3_mT4_P12ihipStream_tbEUlT_E0_NS1_11comp_targetILNS1_3genE3ELNS1_11target_archE908ELNS1_3gpuE7ELNS1_3repE0EEENS1_30default_config_static_selectorELNS0_4arch9wavefront6targetE1EEEvSN_.private_seg_size, 0
	.set _ZN7rocprim17ROCPRIM_400000_NS6detail17trampoline_kernelINS0_14default_configENS1_22reduce_config_selectorIiEEZNS1_11reduce_implILb1ES3_N6thrust23THRUST_200600_302600_NS11hip_rocprim35transform_pair_of_input_iterators_tIiPN3c104HalfESD_NS8_12not_equal_toISC_EEEEPiiNS8_4plusIiEEEE10hipError_tPvRmT1_T2_T3_mT4_P12ihipStream_tbEUlT_E0_NS1_11comp_targetILNS1_3genE3ELNS1_11target_archE908ELNS1_3gpuE7ELNS1_3repE0EEENS1_30default_config_static_selectorELNS0_4arch9wavefront6targetE1EEEvSN_.uses_vcc, 0
	.set _ZN7rocprim17ROCPRIM_400000_NS6detail17trampoline_kernelINS0_14default_configENS1_22reduce_config_selectorIiEEZNS1_11reduce_implILb1ES3_N6thrust23THRUST_200600_302600_NS11hip_rocprim35transform_pair_of_input_iterators_tIiPN3c104HalfESD_NS8_12not_equal_toISC_EEEEPiiNS8_4plusIiEEEE10hipError_tPvRmT1_T2_T3_mT4_P12ihipStream_tbEUlT_E0_NS1_11comp_targetILNS1_3genE3ELNS1_11target_archE908ELNS1_3gpuE7ELNS1_3repE0EEENS1_30default_config_static_selectorELNS0_4arch9wavefront6targetE1EEEvSN_.uses_flat_scratch, 0
	.set _ZN7rocprim17ROCPRIM_400000_NS6detail17trampoline_kernelINS0_14default_configENS1_22reduce_config_selectorIiEEZNS1_11reduce_implILb1ES3_N6thrust23THRUST_200600_302600_NS11hip_rocprim35transform_pair_of_input_iterators_tIiPN3c104HalfESD_NS8_12not_equal_toISC_EEEEPiiNS8_4plusIiEEEE10hipError_tPvRmT1_T2_T3_mT4_P12ihipStream_tbEUlT_E0_NS1_11comp_targetILNS1_3genE3ELNS1_11target_archE908ELNS1_3gpuE7ELNS1_3repE0EEENS1_30default_config_static_selectorELNS0_4arch9wavefront6targetE1EEEvSN_.has_dyn_sized_stack, 0
	.set _ZN7rocprim17ROCPRIM_400000_NS6detail17trampoline_kernelINS0_14default_configENS1_22reduce_config_selectorIiEEZNS1_11reduce_implILb1ES3_N6thrust23THRUST_200600_302600_NS11hip_rocprim35transform_pair_of_input_iterators_tIiPN3c104HalfESD_NS8_12not_equal_toISC_EEEEPiiNS8_4plusIiEEEE10hipError_tPvRmT1_T2_T3_mT4_P12ihipStream_tbEUlT_E0_NS1_11comp_targetILNS1_3genE3ELNS1_11target_archE908ELNS1_3gpuE7ELNS1_3repE0EEENS1_30default_config_static_selectorELNS0_4arch9wavefront6targetE1EEEvSN_.has_recursion, 0
	.set _ZN7rocprim17ROCPRIM_400000_NS6detail17trampoline_kernelINS0_14default_configENS1_22reduce_config_selectorIiEEZNS1_11reduce_implILb1ES3_N6thrust23THRUST_200600_302600_NS11hip_rocprim35transform_pair_of_input_iterators_tIiPN3c104HalfESD_NS8_12not_equal_toISC_EEEEPiiNS8_4plusIiEEEE10hipError_tPvRmT1_T2_T3_mT4_P12ihipStream_tbEUlT_E0_NS1_11comp_targetILNS1_3genE3ELNS1_11target_archE908ELNS1_3gpuE7ELNS1_3repE0EEENS1_30default_config_static_selectorELNS0_4arch9wavefront6targetE1EEEvSN_.has_indirect_call, 0
	.section	.AMDGPU.csdata,"",@progbits
; Kernel info:
; codeLenInByte = 0
; TotalNumSgprs: 4
; NumVgprs: 0
; ScratchSize: 0
; MemoryBound: 0
; FloatMode: 240
; IeeeMode: 1
; LDSByteSize: 0 bytes/workgroup (compile time only)
; SGPRBlocks: 0
; VGPRBlocks: 0
; NumSGPRsForWavesPerEU: 4
; NumVGPRsForWavesPerEU: 1
; Occupancy: 10
; WaveLimiterHint : 0
; COMPUTE_PGM_RSRC2:SCRATCH_EN: 0
; COMPUTE_PGM_RSRC2:USER_SGPR: 6
; COMPUTE_PGM_RSRC2:TRAP_HANDLER: 0
; COMPUTE_PGM_RSRC2:TGID_X_EN: 1
; COMPUTE_PGM_RSRC2:TGID_Y_EN: 0
; COMPUTE_PGM_RSRC2:TGID_Z_EN: 0
; COMPUTE_PGM_RSRC2:TIDIG_COMP_CNT: 0
	.section	.text._ZN7rocprim17ROCPRIM_400000_NS6detail17trampoline_kernelINS0_14default_configENS1_22reduce_config_selectorIiEEZNS1_11reduce_implILb1ES3_N6thrust23THRUST_200600_302600_NS11hip_rocprim35transform_pair_of_input_iterators_tIiPN3c104HalfESD_NS8_12not_equal_toISC_EEEEPiiNS8_4plusIiEEEE10hipError_tPvRmT1_T2_T3_mT4_P12ihipStream_tbEUlT_E0_NS1_11comp_targetILNS1_3genE2ELNS1_11target_archE906ELNS1_3gpuE6ELNS1_3repE0EEENS1_30default_config_static_selectorELNS0_4arch9wavefront6targetE1EEEvSN_,"axG",@progbits,_ZN7rocprim17ROCPRIM_400000_NS6detail17trampoline_kernelINS0_14default_configENS1_22reduce_config_selectorIiEEZNS1_11reduce_implILb1ES3_N6thrust23THRUST_200600_302600_NS11hip_rocprim35transform_pair_of_input_iterators_tIiPN3c104HalfESD_NS8_12not_equal_toISC_EEEEPiiNS8_4plusIiEEEE10hipError_tPvRmT1_T2_T3_mT4_P12ihipStream_tbEUlT_E0_NS1_11comp_targetILNS1_3genE2ELNS1_11target_archE906ELNS1_3gpuE6ELNS1_3repE0EEENS1_30default_config_static_selectorELNS0_4arch9wavefront6targetE1EEEvSN_,comdat
	.protected	_ZN7rocprim17ROCPRIM_400000_NS6detail17trampoline_kernelINS0_14default_configENS1_22reduce_config_selectorIiEEZNS1_11reduce_implILb1ES3_N6thrust23THRUST_200600_302600_NS11hip_rocprim35transform_pair_of_input_iterators_tIiPN3c104HalfESD_NS8_12not_equal_toISC_EEEEPiiNS8_4plusIiEEEE10hipError_tPvRmT1_T2_T3_mT4_P12ihipStream_tbEUlT_E0_NS1_11comp_targetILNS1_3genE2ELNS1_11target_archE906ELNS1_3gpuE6ELNS1_3repE0EEENS1_30default_config_static_selectorELNS0_4arch9wavefront6targetE1EEEvSN_ ; -- Begin function _ZN7rocprim17ROCPRIM_400000_NS6detail17trampoline_kernelINS0_14default_configENS1_22reduce_config_selectorIiEEZNS1_11reduce_implILb1ES3_N6thrust23THRUST_200600_302600_NS11hip_rocprim35transform_pair_of_input_iterators_tIiPN3c104HalfESD_NS8_12not_equal_toISC_EEEEPiiNS8_4plusIiEEEE10hipError_tPvRmT1_T2_T3_mT4_P12ihipStream_tbEUlT_E0_NS1_11comp_targetILNS1_3genE2ELNS1_11target_archE906ELNS1_3gpuE6ELNS1_3repE0EEENS1_30default_config_static_selectorELNS0_4arch9wavefront6targetE1EEEvSN_
	.globl	_ZN7rocprim17ROCPRIM_400000_NS6detail17trampoline_kernelINS0_14default_configENS1_22reduce_config_selectorIiEEZNS1_11reduce_implILb1ES3_N6thrust23THRUST_200600_302600_NS11hip_rocprim35transform_pair_of_input_iterators_tIiPN3c104HalfESD_NS8_12not_equal_toISC_EEEEPiiNS8_4plusIiEEEE10hipError_tPvRmT1_T2_T3_mT4_P12ihipStream_tbEUlT_E0_NS1_11comp_targetILNS1_3genE2ELNS1_11target_archE906ELNS1_3gpuE6ELNS1_3repE0EEENS1_30default_config_static_selectorELNS0_4arch9wavefront6targetE1EEEvSN_
	.p2align	8
	.type	_ZN7rocprim17ROCPRIM_400000_NS6detail17trampoline_kernelINS0_14default_configENS1_22reduce_config_selectorIiEEZNS1_11reduce_implILb1ES3_N6thrust23THRUST_200600_302600_NS11hip_rocprim35transform_pair_of_input_iterators_tIiPN3c104HalfESD_NS8_12not_equal_toISC_EEEEPiiNS8_4plusIiEEEE10hipError_tPvRmT1_T2_T3_mT4_P12ihipStream_tbEUlT_E0_NS1_11comp_targetILNS1_3genE2ELNS1_11target_archE906ELNS1_3gpuE6ELNS1_3repE0EEENS1_30default_config_static_selectorELNS0_4arch9wavefront6targetE1EEEvSN_,@function
_ZN7rocprim17ROCPRIM_400000_NS6detail17trampoline_kernelINS0_14default_configENS1_22reduce_config_selectorIiEEZNS1_11reduce_implILb1ES3_N6thrust23THRUST_200600_302600_NS11hip_rocprim35transform_pair_of_input_iterators_tIiPN3c104HalfESD_NS8_12not_equal_toISC_EEEEPiiNS8_4plusIiEEEE10hipError_tPvRmT1_T2_T3_mT4_P12ihipStream_tbEUlT_E0_NS1_11comp_targetILNS1_3genE2ELNS1_11target_archE906ELNS1_3gpuE6ELNS1_3repE0EEENS1_30default_config_static_selectorELNS0_4arch9wavefront6targetE1EEEvSN_: ; @_ZN7rocprim17ROCPRIM_400000_NS6detail17trampoline_kernelINS0_14default_configENS1_22reduce_config_selectorIiEEZNS1_11reduce_implILb1ES3_N6thrust23THRUST_200600_302600_NS11hip_rocprim35transform_pair_of_input_iterators_tIiPN3c104HalfESD_NS8_12not_equal_toISC_EEEEPiiNS8_4plusIiEEEE10hipError_tPvRmT1_T2_T3_mT4_P12ihipStream_tbEUlT_E0_NS1_11comp_targetILNS1_3genE2ELNS1_11target_archE906ELNS1_3gpuE6ELNS1_3repE0EEENS1_30default_config_static_selectorELNS0_4arch9wavefront6targetE1EEEvSN_
; %bb.0:
	s_load_dwordx8 s[8:15], s[4:5], 0x18
	s_load_dwordx4 s[0:3], s[4:5], 0x0
	s_load_dwordx2 s[16:17], s[4:5], 0x38
	v_lshlrev_b32_e32 v6, 1, v0
	v_mbcnt_lo_u32_b32 v5, -1, 0
	s_waitcnt lgkmcnt(0)
	s_lshl_b64 s[8:9], s[8:9], 1
	s_add_u32 s20, s0, s8
	s_addc_u32 s21, s1, s9
	s_add_u32 s22, s2, s8
	s_addc_u32 s23, s3, s9
	s_lshl_b32 s0, s6, 10
	s_mov_b32 s1, 0
	s_lshr_b64 s[2:3], s[10:11], 10
	s_lshl_b64 s[18:19], s[0:1], 1
	s_add_u32 s8, s20, s18
	s_addc_u32 s9, s21, s19
	s_add_u32 s18, s22, s18
	s_mov_b32 s7, s1
	s_addc_u32 s19, s23, s19
	s_cmp_lg_u64 s[2:3], s[6:7]
	s_cbranch_scc0 .LBB2184_6
; %bb.1:
	global_load_ushort v1, v6, s[8:9]
	global_load_ushort v4, v6, s[18:19]
	global_load_ushort v7, v6, s[8:9] offset:1024
	global_load_ushort v8, v6, s[18:19] offset:1024
	;; [unrolled: 1-line block ×6, first 2 shown]
	v_mbcnt_hi_u32_b32 v2, -1, v5
	v_lshlrev_b32_e32 v3, 2, v2
	s_waitcnt vmcnt(6)
	v_cmp_neq_f16_e32 vcc, v1, v4
	v_cndmask_b32_e64 v1, 0, 1, vcc
	s_waitcnt vmcnt(4)
	v_cmp_neq_f16_e32 vcc, v7, v8
	v_cndmask_b32_e64 v4, 0, 1, vcc
	s_waitcnt vmcnt(2)
	v_cmp_neq_f16_e32 vcc, v9, v10
	v_addc_co_u32_e32 v1, vcc, 0, v1, vcc
	s_waitcnt vmcnt(0)
	v_cmp_neq_f16_e32 vcc, v12, v11
	v_addc_co_u32_e32 v1, vcc, v1, v4, vcc
	v_or_b32_e32 v4, 0xfc, v3
	s_nop 0
	v_add_u32_dpp v1, v1, v1 quad_perm:[1,0,3,2] row_mask:0xf bank_mask:0xf bound_ctrl:1
	v_cmp_eq_u32_e32 vcc, 0, v2
	s_nop 0
	v_add_u32_dpp v1, v1, v1 quad_perm:[2,3,0,1] row_mask:0xf bank_mask:0xf bound_ctrl:1
	s_nop 1
	v_add_u32_dpp v1, v1, v1 row_ror:4 row_mask:0xf bank_mask:0xf bound_ctrl:1
	s_nop 1
	v_add_u32_dpp v1, v1, v1 row_ror:8 row_mask:0xf bank_mask:0xf bound_ctrl:1
	s_nop 1
	v_add_u32_dpp v1, v1, v1 row_bcast:15 row_mask:0xf bank_mask:0xf bound_ctrl:1
	s_nop 1
	v_add_u32_dpp v1, v1, v1 row_bcast:31 row_mask:0xf bank_mask:0xf bound_ctrl:1
	ds_bpermute_b32 v1, v4, v1
	s_and_saveexec_b64 s[2:3], vcc
	s_cbranch_execz .LBB2184_3
; %bb.2:
	v_lshrrev_b32_e32 v4, 4, v0
	v_and_b32_e32 v4, 12, v4
	s_waitcnt lgkmcnt(0)
	ds_write_b32 v4, v1
.LBB2184_3:
	s_or_b64 exec, exec, s[2:3]
	v_cmp_gt_u32_e32 vcc, 64, v0
	s_waitcnt lgkmcnt(0)
	s_barrier
	s_and_saveexec_b64 s[2:3], vcc
	s_cbranch_execz .LBB2184_5
; %bb.4:
	v_and_b32_e32 v1, 3, v2
	v_lshlrev_b32_e32 v4, 2, v1
	ds_read_b32 v4, v4
	v_cmp_ne_u32_e32 vcc, 3, v1
	v_addc_co_u32_e32 v1, vcc, 0, v2, vcc
	v_lshlrev_b32_e32 v1, 2, v1
	s_waitcnt lgkmcnt(0)
	ds_bpermute_b32 v1, v1, v4
	v_or_b32_e32 v2, 8, v3
	s_waitcnt lgkmcnt(0)
	v_add_u32_e32 v1, v1, v4
	ds_bpermute_b32 v2, v2, v1
	s_waitcnt lgkmcnt(0)
	v_add_u32_e32 v1, v2, v1
.LBB2184_5:
	s_or_b64 exec, exec, s[2:3]
	s_load_dword s22, s[4:5], 0x40
	s_branch .LBB2184_20
.LBB2184_6:
                                        ; implicit-def: $vgpr1
	s_load_dword s22, s[4:5], 0x40
	s_cbranch_execz .LBB2184_20
; %bb.7:
	s_sub_i32 s23, s10, s0
	v_mov_b32_e32 v1, 0
	v_cmp_gt_u32_e32 vcc, s23, v0
	v_mov_b32_e32 v2, v1
	v_mov_b32_e32 v3, v1
	;; [unrolled: 1-line block ×3, first 2 shown]
	s_and_saveexec_b64 s[0:1], vcc
	s_cbranch_execz .LBB2184_9
; %bb.8:
	global_load_ushort v2, v6, s[8:9]
	global_load_ushort v3, v6, s[18:19]
	v_mov_b32_e32 v8, v1
	v_mov_b32_e32 v9, v1
	;; [unrolled: 1-line block ×3, first 2 shown]
	s_waitcnt vmcnt(0)
	v_cmp_neq_f16_e32 vcc, v2, v3
	v_cndmask_b32_e64 v2, 0, 1, vcc
	v_and_b32_e32 v7, 0xffff, v2
	v_mov_b32_e32 v1, v7
	v_mov_b32_e32 v2, v8
	v_mov_b32_e32 v3, v9
	v_mov_b32_e32 v4, v10
.LBB2184_9:
	s_or_b64 exec, exec, s[0:1]
	v_or_b32_e32 v7, 0x100, v0
	v_cmp_gt_u32_e32 vcc, s23, v7
	s_and_saveexec_b64 s[2:3], vcc
	s_cbranch_execz .LBB2184_11
; %bb.10:
	global_load_ushort v2, v6, s[8:9] offset:512
	global_load_ushort v7, v6, s[18:19] offset:512
	s_waitcnt vmcnt(0)
	v_cmp_neq_f16_e64 s[0:1], v2, v7
	v_cndmask_b32_e64 v2, 0, 1, s[0:1]
.LBB2184_11:
	s_or_b64 exec, exec, s[2:3]
	v_or_b32_e32 v7, 0x200, v0
	v_cmp_gt_u32_e64 s[0:1], s23, v7
	s_and_saveexec_b64 s[4:5], s[0:1]
	s_cbranch_execz .LBB2184_13
; %bb.12:
	global_load_ushort v3, v6, s[8:9] offset:1024
	global_load_ushort v7, v6, s[18:19] offset:1024
	s_waitcnt vmcnt(0)
	v_cmp_neq_f16_e64 s[2:3], v3, v7
	v_cndmask_b32_e64 v3, 0, 1, s[2:3]
.LBB2184_13:
	s_or_b64 exec, exec, s[4:5]
	v_or_b32_e32 v7, 0x300, v0
	v_cmp_gt_u32_e64 s[2:3], s23, v7
	s_and_saveexec_b64 s[20:21], s[2:3]
	s_cbranch_execz .LBB2184_15
; %bb.14:
	global_load_ushort v4, v6, s[8:9] offset:1536
	global_load_ushort v7, v6, s[18:19] offset:1536
	s_waitcnt vmcnt(0)
	v_cmp_neq_f16_e64 s[4:5], v4, v7
	v_cndmask_b32_e64 v4, 0, 1, s[4:5]
.LBB2184_15:
	s_or_b64 exec, exec, s[20:21]
	v_cndmask_b32_e32 v2, 0, v2, vcc
	v_add_u32_e32 v1, v2, v1
	v_cndmask_b32_e64 v2, 0, v3, s[0:1]
	v_cndmask_b32_e64 v3, 0, v4, s[2:3]
	v_add3_u32 v1, v1, v2, v3
	v_mbcnt_hi_u32_b32 v2, -1, v5
	v_and_b32_e32 v4, 63, v2
	v_cmp_ne_u32_e32 vcc, 63, v4
	v_addc_co_u32_e32 v3, vcc, 0, v2, vcc
	v_lshlrev_b32_e32 v3, 2, v3
	ds_bpermute_b32 v3, v3, v1
	s_min_u32 s2, s23, 0x100
	v_and_b32_e32 v5, 0xc0, v0
	v_sub_u32_e64 v5, s2, v5 clamp
	v_add_u32_e32 v6, 1, v4
	v_cmp_lt_u32_e32 vcc, v6, v5
	s_waitcnt lgkmcnt(0)
	v_cndmask_b32_e32 v3, 0, v3, vcc
	v_cmp_gt_u32_e32 vcc, 62, v4
	v_add_u32_e32 v1, v3, v1
	v_cndmask_b32_e64 v3, 0, 2, vcc
	v_add_lshl_u32 v3, v3, v2, 2
	ds_bpermute_b32 v3, v3, v1
	v_add_u32_e32 v6, 2, v4
	v_cmp_lt_u32_e32 vcc, v6, v5
	v_add_u32_e32 v6, 4, v4
	s_waitcnt lgkmcnt(0)
	v_cndmask_b32_e32 v3, 0, v3, vcc
	v_cmp_gt_u32_e32 vcc, 60, v4
	v_add_u32_e32 v1, v1, v3
	v_cndmask_b32_e64 v3, 0, 4, vcc
	v_add_lshl_u32 v3, v3, v2, 2
	ds_bpermute_b32 v3, v3, v1
	v_cmp_lt_u32_e32 vcc, v6, v5
	v_add_u32_e32 v6, 8, v4
	s_waitcnt lgkmcnt(0)
	v_cndmask_b32_e32 v3, 0, v3, vcc
	v_cmp_gt_u32_e32 vcc, 56, v4
	v_add_u32_e32 v1, v1, v3
	v_cndmask_b32_e64 v3, 0, 8, vcc
	v_add_lshl_u32 v3, v3, v2, 2
	ds_bpermute_b32 v3, v3, v1
	;; [unrolled: 9-line block ×3, first 2 shown]
	v_cmp_lt_u32_e32 vcc, v6, v5
	v_add_u32_e32 v4, 32, v4
	s_waitcnt lgkmcnt(0)
	v_cndmask_b32_e32 v3, 0, v3, vcc
	v_add_u32_e32 v1, v1, v3
	v_lshlrev_b32_e32 v3, 2, v2
	v_or_b32_e32 v6, 0x80, v3
	ds_bpermute_b32 v6, v6, v1
	v_cmp_lt_u32_e32 vcc, v4, v5
	s_waitcnt lgkmcnt(0)
	v_cndmask_b32_e32 v4, 0, v6, vcc
	v_add_u32_e32 v1, v1, v4
	v_cmp_eq_u32_e32 vcc, 0, v2
	s_and_saveexec_b64 s[0:1], vcc
; %bb.16:
	v_lshrrev_b32_e32 v4, 4, v0
	v_and_b32_e32 v4, 12, v4
	ds_write_b32 v4, v1 offset:16
; %bb.17:
	s_or_b64 exec, exec, s[0:1]
	v_cmp_gt_u32_e32 vcc, 4, v0
	s_waitcnt lgkmcnt(0)
	s_barrier
	s_and_saveexec_b64 s[0:1], vcc
	s_cbranch_execz .LBB2184_19
; %bb.18:
	ds_read_b32 v1, v3 offset:16
	v_and_b32_e32 v4, 3, v2
	v_cmp_ne_u32_e32 vcc, 3, v4
	v_addc_co_u32_e32 v2, vcc, 0, v2, vcc
	v_lshlrev_b32_e32 v2, 2, v2
	s_waitcnt lgkmcnt(0)
	ds_bpermute_b32 v2, v2, v1
	s_add_i32 s2, s2, 63
	s_lshr_b32 s2, s2, 6
	v_add_u32_e32 v5, 1, v4
	v_cmp_gt_u32_e32 vcc, s2, v5
	s_waitcnt lgkmcnt(0)
	v_cndmask_b32_e32 v2, 0, v2, vcc
	v_add_u32_e32 v1, v2, v1
	v_or_b32_e32 v2, 8, v3
	ds_bpermute_b32 v2, v2, v1
	v_add_u32_e32 v3, 2, v4
	v_cmp_gt_u32_e32 vcc, s2, v3
	s_waitcnt lgkmcnt(0)
	v_cndmask_b32_e32 v2, 0, v2, vcc
	v_add_u32_e32 v1, v1, v2
.LBB2184_19:
	s_or_b64 exec, exec, s[0:1]
.LBB2184_20:
	v_cmp_eq_u32_e32 vcc, 0, v0
	s_and_saveexec_b64 s[0:1], vcc
	s_cbranch_execnz .LBB2184_22
; %bb.21:
	s_endpgm
.LBB2184_22:
	s_mul_i32 s0, s16, s15
	s_mul_hi_u32 s1, s16, s14
	s_add_i32 s0, s1, s0
	s_mul_i32 s1, s17, s14
	s_add_i32 s1, s0, s1
	s_mul_i32 s0, s16, s14
	s_lshl_b64 s[0:1], s[0:1], 2
	s_add_u32 s2, s12, s0
	s_addc_u32 s3, s13, s1
	s_cmp_eq_u64 s[10:11], 0
	s_cselect_b64 vcc, -1, 0
	s_lshl_b64 s[0:1], s[6:7], 2
	s_waitcnt lgkmcnt(0)
	v_mov_b32_e32 v0, s22
	s_add_u32 s0, s2, s0
	v_cndmask_b32_e32 v0, v1, v0, vcc
	s_addc_u32 s1, s3, s1
	v_mov_b32_e32 v1, 0
	global_store_dword v1, v0, s[0:1]
	s_endpgm
	.section	.rodata,"a",@progbits
	.p2align	6, 0x0
	.amdhsa_kernel _ZN7rocprim17ROCPRIM_400000_NS6detail17trampoline_kernelINS0_14default_configENS1_22reduce_config_selectorIiEEZNS1_11reduce_implILb1ES3_N6thrust23THRUST_200600_302600_NS11hip_rocprim35transform_pair_of_input_iterators_tIiPN3c104HalfESD_NS8_12not_equal_toISC_EEEEPiiNS8_4plusIiEEEE10hipError_tPvRmT1_T2_T3_mT4_P12ihipStream_tbEUlT_E0_NS1_11comp_targetILNS1_3genE2ELNS1_11target_archE906ELNS1_3gpuE6ELNS1_3repE0EEENS1_30default_config_static_selectorELNS0_4arch9wavefront6targetE1EEEvSN_
		.amdhsa_group_segment_fixed_size 32
		.amdhsa_private_segment_fixed_size 0
		.amdhsa_kernarg_size 72
		.amdhsa_user_sgpr_count 6
		.amdhsa_user_sgpr_private_segment_buffer 1
		.amdhsa_user_sgpr_dispatch_ptr 0
		.amdhsa_user_sgpr_queue_ptr 0
		.amdhsa_user_sgpr_kernarg_segment_ptr 1
		.amdhsa_user_sgpr_dispatch_id 0
		.amdhsa_user_sgpr_flat_scratch_init 0
		.amdhsa_user_sgpr_private_segment_size 0
		.amdhsa_uses_dynamic_stack 0
		.amdhsa_system_sgpr_private_segment_wavefront_offset 0
		.amdhsa_system_sgpr_workgroup_id_x 1
		.amdhsa_system_sgpr_workgroup_id_y 0
		.amdhsa_system_sgpr_workgroup_id_z 0
		.amdhsa_system_sgpr_workgroup_info 0
		.amdhsa_system_vgpr_workitem_id 0
		.amdhsa_next_free_vgpr 13
		.amdhsa_next_free_sgpr 24
		.amdhsa_reserve_vcc 1
		.amdhsa_reserve_flat_scratch 0
		.amdhsa_float_round_mode_32 0
		.amdhsa_float_round_mode_16_64 0
		.amdhsa_float_denorm_mode_32 3
		.amdhsa_float_denorm_mode_16_64 3
		.amdhsa_dx10_clamp 1
		.amdhsa_ieee_mode 1
		.amdhsa_fp16_overflow 0
		.amdhsa_exception_fp_ieee_invalid_op 0
		.amdhsa_exception_fp_denorm_src 0
		.amdhsa_exception_fp_ieee_div_zero 0
		.amdhsa_exception_fp_ieee_overflow 0
		.amdhsa_exception_fp_ieee_underflow 0
		.amdhsa_exception_fp_ieee_inexact 0
		.amdhsa_exception_int_div_zero 0
	.end_amdhsa_kernel
	.section	.text._ZN7rocprim17ROCPRIM_400000_NS6detail17trampoline_kernelINS0_14default_configENS1_22reduce_config_selectorIiEEZNS1_11reduce_implILb1ES3_N6thrust23THRUST_200600_302600_NS11hip_rocprim35transform_pair_of_input_iterators_tIiPN3c104HalfESD_NS8_12not_equal_toISC_EEEEPiiNS8_4plusIiEEEE10hipError_tPvRmT1_T2_T3_mT4_P12ihipStream_tbEUlT_E0_NS1_11comp_targetILNS1_3genE2ELNS1_11target_archE906ELNS1_3gpuE6ELNS1_3repE0EEENS1_30default_config_static_selectorELNS0_4arch9wavefront6targetE1EEEvSN_,"axG",@progbits,_ZN7rocprim17ROCPRIM_400000_NS6detail17trampoline_kernelINS0_14default_configENS1_22reduce_config_selectorIiEEZNS1_11reduce_implILb1ES3_N6thrust23THRUST_200600_302600_NS11hip_rocprim35transform_pair_of_input_iterators_tIiPN3c104HalfESD_NS8_12not_equal_toISC_EEEEPiiNS8_4plusIiEEEE10hipError_tPvRmT1_T2_T3_mT4_P12ihipStream_tbEUlT_E0_NS1_11comp_targetILNS1_3genE2ELNS1_11target_archE906ELNS1_3gpuE6ELNS1_3repE0EEENS1_30default_config_static_selectorELNS0_4arch9wavefront6targetE1EEEvSN_,comdat
.Lfunc_end2184:
	.size	_ZN7rocprim17ROCPRIM_400000_NS6detail17trampoline_kernelINS0_14default_configENS1_22reduce_config_selectorIiEEZNS1_11reduce_implILb1ES3_N6thrust23THRUST_200600_302600_NS11hip_rocprim35transform_pair_of_input_iterators_tIiPN3c104HalfESD_NS8_12not_equal_toISC_EEEEPiiNS8_4plusIiEEEE10hipError_tPvRmT1_T2_T3_mT4_P12ihipStream_tbEUlT_E0_NS1_11comp_targetILNS1_3genE2ELNS1_11target_archE906ELNS1_3gpuE6ELNS1_3repE0EEENS1_30default_config_static_selectorELNS0_4arch9wavefront6targetE1EEEvSN_, .Lfunc_end2184-_ZN7rocprim17ROCPRIM_400000_NS6detail17trampoline_kernelINS0_14default_configENS1_22reduce_config_selectorIiEEZNS1_11reduce_implILb1ES3_N6thrust23THRUST_200600_302600_NS11hip_rocprim35transform_pair_of_input_iterators_tIiPN3c104HalfESD_NS8_12not_equal_toISC_EEEEPiiNS8_4plusIiEEEE10hipError_tPvRmT1_T2_T3_mT4_P12ihipStream_tbEUlT_E0_NS1_11comp_targetILNS1_3genE2ELNS1_11target_archE906ELNS1_3gpuE6ELNS1_3repE0EEENS1_30default_config_static_selectorELNS0_4arch9wavefront6targetE1EEEvSN_
                                        ; -- End function
	.set _ZN7rocprim17ROCPRIM_400000_NS6detail17trampoline_kernelINS0_14default_configENS1_22reduce_config_selectorIiEEZNS1_11reduce_implILb1ES3_N6thrust23THRUST_200600_302600_NS11hip_rocprim35transform_pair_of_input_iterators_tIiPN3c104HalfESD_NS8_12not_equal_toISC_EEEEPiiNS8_4plusIiEEEE10hipError_tPvRmT1_T2_T3_mT4_P12ihipStream_tbEUlT_E0_NS1_11comp_targetILNS1_3genE2ELNS1_11target_archE906ELNS1_3gpuE6ELNS1_3repE0EEENS1_30default_config_static_selectorELNS0_4arch9wavefront6targetE1EEEvSN_.num_vgpr, 13
	.set _ZN7rocprim17ROCPRIM_400000_NS6detail17trampoline_kernelINS0_14default_configENS1_22reduce_config_selectorIiEEZNS1_11reduce_implILb1ES3_N6thrust23THRUST_200600_302600_NS11hip_rocprim35transform_pair_of_input_iterators_tIiPN3c104HalfESD_NS8_12not_equal_toISC_EEEEPiiNS8_4plusIiEEEE10hipError_tPvRmT1_T2_T3_mT4_P12ihipStream_tbEUlT_E0_NS1_11comp_targetILNS1_3genE2ELNS1_11target_archE906ELNS1_3gpuE6ELNS1_3repE0EEENS1_30default_config_static_selectorELNS0_4arch9wavefront6targetE1EEEvSN_.num_agpr, 0
	.set _ZN7rocprim17ROCPRIM_400000_NS6detail17trampoline_kernelINS0_14default_configENS1_22reduce_config_selectorIiEEZNS1_11reduce_implILb1ES3_N6thrust23THRUST_200600_302600_NS11hip_rocprim35transform_pair_of_input_iterators_tIiPN3c104HalfESD_NS8_12not_equal_toISC_EEEEPiiNS8_4plusIiEEEE10hipError_tPvRmT1_T2_T3_mT4_P12ihipStream_tbEUlT_E0_NS1_11comp_targetILNS1_3genE2ELNS1_11target_archE906ELNS1_3gpuE6ELNS1_3repE0EEENS1_30default_config_static_selectorELNS0_4arch9wavefront6targetE1EEEvSN_.numbered_sgpr, 24
	.set _ZN7rocprim17ROCPRIM_400000_NS6detail17trampoline_kernelINS0_14default_configENS1_22reduce_config_selectorIiEEZNS1_11reduce_implILb1ES3_N6thrust23THRUST_200600_302600_NS11hip_rocprim35transform_pair_of_input_iterators_tIiPN3c104HalfESD_NS8_12not_equal_toISC_EEEEPiiNS8_4plusIiEEEE10hipError_tPvRmT1_T2_T3_mT4_P12ihipStream_tbEUlT_E0_NS1_11comp_targetILNS1_3genE2ELNS1_11target_archE906ELNS1_3gpuE6ELNS1_3repE0EEENS1_30default_config_static_selectorELNS0_4arch9wavefront6targetE1EEEvSN_.num_named_barrier, 0
	.set _ZN7rocprim17ROCPRIM_400000_NS6detail17trampoline_kernelINS0_14default_configENS1_22reduce_config_selectorIiEEZNS1_11reduce_implILb1ES3_N6thrust23THRUST_200600_302600_NS11hip_rocprim35transform_pair_of_input_iterators_tIiPN3c104HalfESD_NS8_12not_equal_toISC_EEEEPiiNS8_4plusIiEEEE10hipError_tPvRmT1_T2_T3_mT4_P12ihipStream_tbEUlT_E0_NS1_11comp_targetILNS1_3genE2ELNS1_11target_archE906ELNS1_3gpuE6ELNS1_3repE0EEENS1_30default_config_static_selectorELNS0_4arch9wavefront6targetE1EEEvSN_.private_seg_size, 0
	.set _ZN7rocprim17ROCPRIM_400000_NS6detail17trampoline_kernelINS0_14default_configENS1_22reduce_config_selectorIiEEZNS1_11reduce_implILb1ES3_N6thrust23THRUST_200600_302600_NS11hip_rocprim35transform_pair_of_input_iterators_tIiPN3c104HalfESD_NS8_12not_equal_toISC_EEEEPiiNS8_4plusIiEEEE10hipError_tPvRmT1_T2_T3_mT4_P12ihipStream_tbEUlT_E0_NS1_11comp_targetILNS1_3genE2ELNS1_11target_archE906ELNS1_3gpuE6ELNS1_3repE0EEENS1_30default_config_static_selectorELNS0_4arch9wavefront6targetE1EEEvSN_.uses_vcc, 1
	.set _ZN7rocprim17ROCPRIM_400000_NS6detail17trampoline_kernelINS0_14default_configENS1_22reduce_config_selectorIiEEZNS1_11reduce_implILb1ES3_N6thrust23THRUST_200600_302600_NS11hip_rocprim35transform_pair_of_input_iterators_tIiPN3c104HalfESD_NS8_12not_equal_toISC_EEEEPiiNS8_4plusIiEEEE10hipError_tPvRmT1_T2_T3_mT4_P12ihipStream_tbEUlT_E0_NS1_11comp_targetILNS1_3genE2ELNS1_11target_archE906ELNS1_3gpuE6ELNS1_3repE0EEENS1_30default_config_static_selectorELNS0_4arch9wavefront6targetE1EEEvSN_.uses_flat_scratch, 0
	.set _ZN7rocprim17ROCPRIM_400000_NS6detail17trampoline_kernelINS0_14default_configENS1_22reduce_config_selectorIiEEZNS1_11reduce_implILb1ES3_N6thrust23THRUST_200600_302600_NS11hip_rocprim35transform_pair_of_input_iterators_tIiPN3c104HalfESD_NS8_12not_equal_toISC_EEEEPiiNS8_4plusIiEEEE10hipError_tPvRmT1_T2_T3_mT4_P12ihipStream_tbEUlT_E0_NS1_11comp_targetILNS1_3genE2ELNS1_11target_archE906ELNS1_3gpuE6ELNS1_3repE0EEENS1_30default_config_static_selectorELNS0_4arch9wavefront6targetE1EEEvSN_.has_dyn_sized_stack, 0
	.set _ZN7rocprim17ROCPRIM_400000_NS6detail17trampoline_kernelINS0_14default_configENS1_22reduce_config_selectorIiEEZNS1_11reduce_implILb1ES3_N6thrust23THRUST_200600_302600_NS11hip_rocprim35transform_pair_of_input_iterators_tIiPN3c104HalfESD_NS8_12not_equal_toISC_EEEEPiiNS8_4plusIiEEEE10hipError_tPvRmT1_T2_T3_mT4_P12ihipStream_tbEUlT_E0_NS1_11comp_targetILNS1_3genE2ELNS1_11target_archE906ELNS1_3gpuE6ELNS1_3repE0EEENS1_30default_config_static_selectorELNS0_4arch9wavefront6targetE1EEEvSN_.has_recursion, 0
	.set _ZN7rocprim17ROCPRIM_400000_NS6detail17trampoline_kernelINS0_14default_configENS1_22reduce_config_selectorIiEEZNS1_11reduce_implILb1ES3_N6thrust23THRUST_200600_302600_NS11hip_rocprim35transform_pair_of_input_iterators_tIiPN3c104HalfESD_NS8_12not_equal_toISC_EEEEPiiNS8_4plusIiEEEE10hipError_tPvRmT1_T2_T3_mT4_P12ihipStream_tbEUlT_E0_NS1_11comp_targetILNS1_3genE2ELNS1_11target_archE906ELNS1_3gpuE6ELNS1_3repE0EEENS1_30default_config_static_selectorELNS0_4arch9wavefront6targetE1EEEvSN_.has_indirect_call, 0
	.section	.AMDGPU.csdata,"",@progbits
; Kernel info:
; codeLenInByte = 1356
; TotalNumSgprs: 28
; NumVgprs: 13
; ScratchSize: 0
; MemoryBound: 0
; FloatMode: 240
; IeeeMode: 1
; LDSByteSize: 32 bytes/workgroup (compile time only)
; SGPRBlocks: 3
; VGPRBlocks: 3
; NumSGPRsForWavesPerEU: 28
; NumVGPRsForWavesPerEU: 13
; Occupancy: 10
; WaveLimiterHint : 0
; COMPUTE_PGM_RSRC2:SCRATCH_EN: 0
; COMPUTE_PGM_RSRC2:USER_SGPR: 6
; COMPUTE_PGM_RSRC2:TRAP_HANDLER: 0
; COMPUTE_PGM_RSRC2:TGID_X_EN: 1
; COMPUTE_PGM_RSRC2:TGID_Y_EN: 0
; COMPUTE_PGM_RSRC2:TGID_Z_EN: 0
; COMPUTE_PGM_RSRC2:TIDIG_COMP_CNT: 0
	.section	.text._ZN7rocprim17ROCPRIM_400000_NS6detail17trampoline_kernelINS0_14default_configENS1_22reduce_config_selectorIiEEZNS1_11reduce_implILb1ES3_N6thrust23THRUST_200600_302600_NS11hip_rocprim35transform_pair_of_input_iterators_tIiPN3c104HalfESD_NS8_12not_equal_toISC_EEEEPiiNS8_4plusIiEEEE10hipError_tPvRmT1_T2_T3_mT4_P12ihipStream_tbEUlT_E0_NS1_11comp_targetILNS1_3genE10ELNS1_11target_archE1201ELNS1_3gpuE5ELNS1_3repE0EEENS1_30default_config_static_selectorELNS0_4arch9wavefront6targetE1EEEvSN_,"axG",@progbits,_ZN7rocprim17ROCPRIM_400000_NS6detail17trampoline_kernelINS0_14default_configENS1_22reduce_config_selectorIiEEZNS1_11reduce_implILb1ES3_N6thrust23THRUST_200600_302600_NS11hip_rocprim35transform_pair_of_input_iterators_tIiPN3c104HalfESD_NS8_12not_equal_toISC_EEEEPiiNS8_4plusIiEEEE10hipError_tPvRmT1_T2_T3_mT4_P12ihipStream_tbEUlT_E0_NS1_11comp_targetILNS1_3genE10ELNS1_11target_archE1201ELNS1_3gpuE5ELNS1_3repE0EEENS1_30default_config_static_selectorELNS0_4arch9wavefront6targetE1EEEvSN_,comdat
	.protected	_ZN7rocprim17ROCPRIM_400000_NS6detail17trampoline_kernelINS0_14default_configENS1_22reduce_config_selectorIiEEZNS1_11reduce_implILb1ES3_N6thrust23THRUST_200600_302600_NS11hip_rocprim35transform_pair_of_input_iterators_tIiPN3c104HalfESD_NS8_12not_equal_toISC_EEEEPiiNS8_4plusIiEEEE10hipError_tPvRmT1_T2_T3_mT4_P12ihipStream_tbEUlT_E0_NS1_11comp_targetILNS1_3genE10ELNS1_11target_archE1201ELNS1_3gpuE5ELNS1_3repE0EEENS1_30default_config_static_selectorELNS0_4arch9wavefront6targetE1EEEvSN_ ; -- Begin function _ZN7rocprim17ROCPRIM_400000_NS6detail17trampoline_kernelINS0_14default_configENS1_22reduce_config_selectorIiEEZNS1_11reduce_implILb1ES3_N6thrust23THRUST_200600_302600_NS11hip_rocprim35transform_pair_of_input_iterators_tIiPN3c104HalfESD_NS8_12not_equal_toISC_EEEEPiiNS8_4plusIiEEEE10hipError_tPvRmT1_T2_T3_mT4_P12ihipStream_tbEUlT_E0_NS1_11comp_targetILNS1_3genE10ELNS1_11target_archE1201ELNS1_3gpuE5ELNS1_3repE0EEENS1_30default_config_static_selectorELNS0_4arch9wavefront6targetE1EEEvSN_
	.globl	_ZN7rocprim17ROCPRIM_400000_NS6detail17trampoline_kernelINS0_14default_configENS1_22reduce_config_selectorIiEEZNS1_11reduce_implILb1ES3_N6thrust23THRUST_200600_302600_NS11hip_rocprim35transform_pair_of_input_iterators_tIiPN3c104HalfESD_NS8_12not_equal_toISC_EEEEPiiNS8_4plusIiEEEE10hipError_tPvRmT1_T2_T3_mT4_P12ihipStream_tbEUlT_E0_NS1_11comp_targetILNS1_3genE10ELNS1_11target_archE1201ELNS1_3gpuE5ELNS1_3repE0EEENS1_30default_config_static_selectorELNS0_4arch9wavefront6targetE1EEEvSN_
	.p2align	8
	.type	_ZN7rocprim17ROCPRIM_400000_NS6detail17trampoline_kernelINS0_14default_configENS1_22reduce_config_selectorIiEEZNS1_11reduce_implILb1ES3_N6thrust23THRUST_200600_302600_NS11hip_rocprim35transform_pair_of_input_iterators_tIiPN3c104HalfESD_NS8_12not_equal_toISC_EEEEPiiNS8_4plusIiEEEE10hipError_tPvRmT1_T2_T3_mT4_P12ihipStream_tbEUlT_E0_NS1_11comp_targetILNS1_3genE10ELNS1_11target_archE1201ELNS1_3gpuE5ELNS1_3repE0EEENS1_30default_config_static_selectorELNS0_4arch9wavefront6targetE1EEEvSN_,@function
_ZN7rocprim17ROCPRIM_400000_NS6detail17trampoline_kernelINS0_14default_configENS1_22reduce_config_selectorIiEEZNS1_11reduce_implILb1ES3_N6thrust23THRUST_200600_302600_NS11hip_rocprim35transform_pair_of_input_iterators_tIiPN3c104HalfESD_NS8_12not_equal_toISC_EEEEPiiNS8_4plusIiEEEE10hipError_tPvRmT1_T2_T3_mT4_P12ihipStream_tbEUlT_E0_NS1_11comp_targetILNS1_3genE10ELNS1_11target_archE1201ELNS1_3gpuE5ELNS1_3repE0EEENS1_30default_config_static_selectorELNS0_4arch9wavefront6targetE1EEEvSN_: ; @_ZN7rocprim17ROCPRIM_400000_NS6detail17trampoline_kernelINS0_14default_configENS1_22reduce_config_selectorIiEEZNS1_11reduce_implILb1ES3_N6thrust23THRUST_200600_302600_NS11hip_rocprim35transform_pair_of_input_iterators_tIiPN3c104HalfESD_NS8_12not_equal_toISC_EEEEPiiNS8_4plusIiEEEE10hipError_tPvRmT1_T2_T3_mT4_P12ihipStream_tbEUlT_E0_NS1_11comp_targetILNS1_3genE10ELNS1_11target_archE1201ELNS1_3gpuE5ELNS1_3repE0EEENS1_30default_config_static_selectorELNS0_4arch9wavefront6targetE1EEEvSN_
; %bb.0:
	.section	.rodata,"a",@progbits
	.p2align	6, 0x0
	.amdhsa_kernel _ZN7rocprim17ROCPRIM_400000_NS6detail17trampoline_kernelINS0_14default_configENS1_22reduce_config_selectorIiEEZNS1_11reduce_implILb1ES3_N6thrust23THRUST_200600_302600_NS11hip_rocprim35transform_pair_of_input_iterators_tIiPN3c104HalfESD_NS8_12not_equal_toISC_EEEEPiiNS8_4plusIiEEEE10hipError_tPvRmT1_T2_T3_mT4_P12ihipStream_tbEUlT_E0_NS1_11comp_targetILNS1_3genE10ELNS1_11target_archE1201ELNS1_3gpuE5ELNS1_3repE0EEENS1_30default_config_static_selectorELNS0_4arch9wavefront6targetE1EEEvSN_
		.amdhsa_group_segment_fixed_size 0
		.amdhsa_private_segment_fixed_size 0
		.amdhsa_kernarg_size 72
		.amdhsa_user_sgpr_count 6
		.amdhsa_user_sgpr_private_segment_buffer 1
		.amdhsa_user_sgpr_dispatch_ptr 0
		.amdhsa_user_sgpr_queue_ptr 0
		.amdhsa_user_sgpr_kernarg_segment_ptr 1
		.amdhsa_user_sgpr_dispatch_id 0
		.amdhsa_user_sgpr_flat_scratch_init 0
		.amdhsa_user_sgpr_private_segment_size 0
		.amdhsa_uses_dynamic_stack 0
		.amdhsa_system_sgpr_private_segment_wavefront_offset 0
		.amdhsa_system_sgpr_workgroup_id_x 1
		.amdhsa_system_sgpr_workgroup_id_y 0
		.amdhsa_system_sgpr_workgroup_id_z 0
		.amdhsa_system_sgpr_workgroup_info 0
		.amdhsa_system_vgpr_workitem_id 0
		.amdhsa_next_free_vgpr 1
		.amdhsa_next_free_sgpr 0
		.amdhsa_reserve_vcc 0
		.amdhsa_reserve_flat_scratch 0
		.amdhsa_float_round_mode_32 0
		.amdhsa_float_round_mode_16_64 0
		.amdhsa_float_denorm_mode_32 3
		.amdhsa_float_denorm_mode_16_64 3
		.amdhsa_dx10_clamp 1
		.amdhsa_ieee_mode 1
		.amdhsa_fp16_overflow 0
		.amdhsa_exception_fp_ieee_invalid_op 0
		.amdhsa_exception_fp_denorm_src 0
		.amdhsa_exception_fp_ieee_div_zero 0
		.amdhsa_exception_fp_ieee_overflow 0
		.amdhsa_exception_fp_ieee_underflow 0
		.amdhsa_exception_fp_ieee_inexact 0
		.amdhsa_exception_int_div_zero 0
	.end_amdhsa_kernel
	.section	.text._ZN7rocprim17ROCPRIM_400000_NS6detail17trampoline_kernelINS0_14default_configENS1_22reduce_config_selectorIiEEZNS1_11reduce_implILb1ES3_N6thrust23THRUST_200600_302600_NS11hip_rocprim35transform_pair_of_input_iterators_tIiPN3c104HalfESD_NS8_12not_equal_toISC_EEEEPiiNS8_4plusIiEEEE10hipError_tPvRmT1_T2_T3_mT4_P12ihipStream_tbEUlT_E0_NS1_11comp_targetILNS1_3genE10ELNS1_11target_archE1201ELNS1_3gpuE5ELNS1_3repE0EEENS1_30default_config_static_selectorELNS0_4arch9wavefront6targetE1EEEvSN_,"axG",@progbits,_ZN7rocprim17ROCPRIM_400000_NS6detail17trampoline_kernelINS0_14default_configENS1_22reduce_config_selectorIiEEZNS1_11reduce_implILb1ES3_N6thrust23THRUST_200600_302600_NS11hip_rocprim35transform_pair_of_input_iterators_tIiPN3c104HalfESD_NS8_12not_equal_toISC_EEEEPiiNS8_4plusIiEEEE10hipError_tPvRmT1_T2_T3_mT4_P12ihipStream_tbEUlT_E0_NS1_11comp_targetILNS1_3genE10ELNS1_11target_archE1201ELNS1_3gpuE5ELNS1_3repE0EEENS1_30default_config_static_selectorELNS0_4arch9wavefront6targetE1EEEvSN_,comdat
.Lfunc_end2185:
	.size	_ZN7rocprim17ROCPRIM_400000_NS6detail17trampoline_kernelINS0_14default_configENS1_22reduce_config_selectorIiEEZNS1_11reduce_implILb1ES3_N6thrust23THRUST_200600_302600_NS11hip_rocprim35transform_pair_of_input_iterators_tIiPN3c104HalfESD_NS8_12not_equal_toISC_EEEEPiiNS8_4plusIiEEEE10hipError_tPvRmT1_T2_T3_mT4_P12ihipStream_tbEUlT_E0_NS1_11comp_targetILNS1_3genE10ELNS1_11target_archE1201ELNS1_3gpuE5ELNS1_3repE0EEENS1_30default_config_static_selectorELNS0_4arch9wavefront6targetE1EEEvSN_, .Lfunc_end2185-_ZN7rocprim17ROCPRIM_400000_NS6detail17trampoline_kernelINS0_14default_configENS1_22reduce_config_selectorIiEEZNS1_11reduce_implILb1ES3_N6thrust23THRUST_200600_302600_NS11hip_rocprim35transform_pair_of_input_iterators_tIiPN3c104HalfESD_NS8_12not_equal_toISC_EEEEPiiNS8_4plusIiEEEE10hipError_tPvRmT1_T2_T3_mT4_P12ihipStream_tbEUlT_E0_NS1_11comp_targetILNS1_3genE10ELNS1_11target_archE1201ELNS1_3gpuE5ELNS1_3repE0EEENS1_30default_config_static_selectorELNS0_4arch9wavefront6targetE1EEEvSN_
                                        ; -- End function
	.set _ZN7rocprim17ROCPRIM_400000_NS6detail17trampoline_kernelINS0_14default_configENS1_22reduce_config_selectorIiEEZNS1_11reduce_implILb1ES3_N6thrust23THRUST_200600_302600_NS11hip_rocprim35transform_pair_of_input_iterators_tIiPN3c104HalfESD_NS8_12not_equal_toISC_EEEEPiiNS8_4plusIiEEEE10hipError_tPvRmT1_T2_T3_mT4_P12ihipStream_tbEUlT_E0_NS1_11comp_targetILNS1_3genE10ELNS1_11target_archE1201ELNS1_3gpuE5ELNS1_3repE0EEENS1_30default_config_static_selectorELNS0_4arch9wavefront6targetE1EEEvSN_.num_vgpr, 0
	.set _ZN7rocprim17ROCPRIM_400000_NS6detail17trampoline_kernelINS0_14default_configENS1_22reduce_config_selectorIiEEZNS1_11reduce_implILb1ES3_N6thrust23THRUST_200600_302600_NS11hip_rocprim35transform_pair_of_input_iterators_tIiPN3c104HalfESD_NS8_12not_equal_toISC_EEEEPiiNS8_4plusIiEEEE10hipError_tPvRmT1_T2_T3_mT4_P12ihipStream_tbEUlT_E0_NS1_11comp_targetILNS1_3genE10ELNS1_11target_archE1201ELNS1_3gpuE5ELNS1_3repE0EEENS1_30default_config_static_selectorELNS0_4arch9wavefront6targetE1EEEvSN_.num_agpr, 0
	.set _ZN7rocprim17ROCPRIM_400000_NS6detail17trampoline_kernelINS0_14default_configENS1_22reduce_config_selectorIiEEZNS1_11reduce_implILb1ES3_N6thrust23THRUST_200600_302600_NS11hip_rocprim35transform_pair_of_input_iterators_tIiPN3c104HalfESD_NS8_12not_equal_toISC_EEEEPiiNS8_4plusIiEEEE10hipError_tPvRmT1_T2_T3_mT4_P12ihipStream_tbEUlT_E0_NS1_11comp_targetILNS1_3genE10ELNS1_11target_archE1201ELNS1_3gpuE5ELNS1_3repE0EEENS1_30default_config_static_selectorELNS0_4arch9wavefront6targetE1EEEvSN_.numbered_sgpr, 0
	.set _ZN7rocprim17ROCPRIM_400000_NS6detail17trampoline_kernelINS0_14default_configENS1_22reduce_config_selectorIiEEZNS1_11reduce_implILb1ES3_N6thrust23THRUST_200600_302600_NS11hip_rocprim35transform_pair_of_input_iterators_tIiPN3c104HalfESD_NS8_12not_equal_toISC_EEEEPiiNS8_4plusIiEEEE10hipError_tPvRmT1_T2_T3_mT4_P12ihipStream_tbEUlT_E0_NS1_11comp_targetILNS1_3genE10ELNS1_11target_archE1201ELNS1_3gpuE5ELNS1_3repE0EEENS1_30default_config_static_selectorELNS0_4arch9wavefront6targetE1EEEvSN_.num_named_barrier, 0
	.set _ZN7rocprim17ROCPRIM_400000_NS6detail17trampoline_kernelINS0_14default_configENS1_22reduce_config_selectorIiEEZNS1_11reduce_implILb1ES3_N6thrust23THRUST_200600_302600_NS11hip_rocprim35transform_pair_of_input_iterators_tIiPN3c104HalfESD_NS8_12not_equal_toISC_EEEEPiiNS8_4plusIiEEEE10hipError_tPvRmT1_T2_T3_mT4_P12ihipStream_tbEUlT_E0_NS1_11comp_targetILNS1_3genE10ELNS1_11target_archE1201ELNS1_3gpuE5ELNS1_3repE0EEENS1_30default_config_static_selectorELNS0_4arch9wavefront6targetE1EEEvSN_.private_seg_size, 0
	.set _ZN7rocprim17ROCPRIM_400000_NS6detail17trampoline_kernelINS0_14default_configENS1_22reduce_config_selectorIiEEZNS1_11reduce_implILb1ES3_N6thrust23THRUST_200600_302600_NS11hip_rocprim35transform_pair_of_input_iterators_tIiPN3c104HalfESD_NS8_12not_equal_toISC_EEEEPiiNS8_4plusIiEEEE10hipError_tPvRmT1_T2_T3_mT4_P12ihipStream_tbEUlT_E0_NS1_11comp_targetILNS1_3genE10ELNS1_11target_archE1201ELNS1_3gpuE5ELNS1_3repE0EEENS1_30default_config_static_selectorELNS0_4arch9wavefront6targetE1EEEvSN_.uses_vcc, 0
	.set _ZN7rocprim17ROCPRIM_400000_NS6detail17trampoline_kernelINS0_14default_configENS1_22reduce_config_selectorIiEEZNS1_11reduce_implILb1ES3_N6thrust23THRUST_200600_302600_NS11hip_rocprim35transform_pair_of_input_iterators_tIiPN3c104HalfESD_NS8_12not_equal_toISC_EEEEPiiNS8_4plusIiEEEE10hipError_tPvRmT1_T2_T3_mT4_P12ihipStream_tbEUlT_E0_NS1_11comp_targetILNS1_3genE10ELNS1_11target_archE1201ELNS1_3gpuE5ELNS1_3repE0EEENS1_30default_config_static_selectorELNS0_4arch9wavefront6targetE1EEEvSN_.uses_flat_scratch, 0
	.set _ZN7rocprim17ROCPRIM_400000_NS6detail17trampoline_kernelINS0_14default_configENS1_22reduce_config_selectorIiEEZNS1_11reduce_implILb1ES3_N6thrust23THRUST_200600_302600_NS11hip_rocprim35transform_pair_of_input_iterators_tIiPN3c104HalfESD_NS8_12not_equal_toISC_EEEEPiiNS8_4plusIiEEEE10hipError_tPvRmT1_T2_T3_mT4_P12ihipStream_tbEUlT_E0_NS1_11comp_targetILNS1_3genE10ELNS1_11target_archE1201ELNS1_3gpuE5ELNS1_3repE0EEENS1_30default_config_static_selectorELNS0_4arch9wavefront6targetE1EEEvSN_.has_dyn_sized_stack, 0
	.set _ZN7rocprim17ROCPRIM_400000_NS6detail17trampoline_kernelINS0_14default_configENS1_22reduce_config_selectorIiEEZNS1_11reduce_implILb1ES3_N6thrust23THRUST_200600_302600_NS11hip_rocprim35transform_pair_of_input_iterators_tIiPN3c104HalfESD_NS8_12not_equal_toISC_EEEEPiiNS8_4plusIiEEEE10hipError_tPvRmT1_T2_T3_mT4_P12ihipStream_tbEUlT_E0_NS1_11comp_targetILNS1_3genE10ELNS1_11target_archE1201ELNS1_3gpuE5ELNS1_3repE0EEENS1_30default_config_static_selectorELNS0_4arch9wavefront6targetE1EEEvSN_.has_recursion, 0
	.set _ZN7rocprim17ROCPRIM_400000_NS6detail17trampoline_kernelINS0_14default_configENS1_22reduce_config_selectorIiEEZNS1_11reduce_implILb1ES3_N6thrust23THRUST_200600_302600_NS11hip_rocprim35transform_pair_of_input_iterators_tIiPN3c104HalfESD_NS8_12not_equal_toISC_EEEEPiiNS8_4plusIiEEEE10hipError_tPvRmT1_T2_T3_mT4_P12ihipStream_tbEUlT_E0_NS1_11comp_targetILNS1_3genE10ELNS1_11target_archE1201ELNS1_3gpuE5ELNS1_3repE0EEENS1_30default_config_static_selectorELNS0_4arch9wavefront6targetE1EEEvSN_.has_indirect_call, 0
	.section	.AMDGPU.csdata,"",@progbits
; Kernel info:
; codeLenInByte = 0
; TotalNumSgprs: 4
; NumVgprs: 0
; ScratchSize: 0
; MemoryBound: 0
; FloatMode: 240
; IeeeMode: 1
; LDSByteSize: 0 bytes/workgroup (compile time only)
; SGPRBlocks: 0
; VGPRBlocks: 0
; NumSGPRsForWavesPerEU: 4
; NumVGPRsForWavesPerEU: 1
; Occupancy: 10
; WaveLimiterHint : 0
; COMPUTE_PGM_RSRC2:SCRATCH_EN: 0
; COMPUTE_PGM_RSRC2:USER_SGPR: 6
; COMPUTE_PGM_RSRC2:TRAP_HANDLER: 0
; COMPUTE_PGM_RSRC2:TGID_X_EN: 1
; COMPUTE_PGM_RSRC2:TGID_Y_EN: 0
; COMPUTE_PGM_RSRC2:TGID_Z_EN: 0
; COMPUTE_PGM_RSRC2:TIDIG_COMP_CNT: 0
	.section	.text._ZN7rocprim17ROCPRIM_400000_NS6detail17trampoline_kernelINS0_14default_configENS1_22reduce_config_selectorIiEEZNS1_11reduce_implILb1ES3_N6thrust23THRUST_200600_302600_NS11hip_rocprim35transform_pair_of_input_iterators_tIiPN3c104HalfESD_NS8_12not_equal_toISC_EEEEPiiNS8_4plusIiEEEE10hipError_tPvRmT1_T2_T3_mT4_P12ihipStream_tbEUlT_E0_NS1_11comp_targetILNS1_3genE10ELNS1_11target_archE1200ELNS1_3gpuE4ELNS1_3repE0EEENS1_30default_config_static_selectorELNS0_4arch9wavefront6targetE1EEEvSN_,"axG",@progbits,_ZN7rocprim17ROCPRIM_400000_NS6detail17trampoline_kernelINS0_14default_configENS1_22reduce_config_selectorIiEEZNS1_11reduce_implILb1ES3_N6thrust23THRUST_200600_302600_NS11hip_rocprim35transform_pair_of_input_iterators_tIiPN3c104HalfESD_NS8_12not_equal_toISC_EEEEPiiNS8_4plusIiEEEE10hipError_tPvRmT1_T2_T3_mT4_P12ihipStream_tbEUlT_E0_NS1_11comp_targetILNS1_3genE10ELNS1_11target_archE1200ELNS1_3gpuE4ELNS1_3repE0EEENS1_30default_config_static_selectorELNS0_4arch9wavefront6targetE1EEEvSN_,comdat
	.protected	_ZN7rocprim17ROCPRIM_400000_NS6detail17trampoline_kernelINS0_14default_configENS1_22reduce_config_selectorIiEEZNS1_11reduce_implILb1ES3_N6thrust23THRUST_200600_302600_NS11hip_rocprim35transform_pair_of_input_iterators_tIiPN3c104HalfESD_NS8_12not_equal_toISC_EEEEPiiNS8_4plusIiEEEE10hipError_tPvRmT1_T2_T3_mT4_P12ihipStream_tbEUlT_E0_NS1_11comp_targetILNS1_3genE10ELNS1_11target_archE1200ELNS1_3gpuE4ELNS1_3repE0EEENS1_30default_config_static_selectorELNS0_4arch9wavefront6targetE1EEEvSN_ ; -- Begin function _ZN7rocprim17ROCPRIM_400000_NS6detail17trampoline_kernelINS0_14default_configENS1_22reduce_config_selectorIiEEZNS1_11reduce_implILb1ES3_N6thrust23THRUST_200600_302600_NS11hip_rocprim35transform_pair_of_input_iterators_tIiPN3c104HalfESD_NS8_12not_equal_toISC_EEEEPiiNS8_4plusIiEEEE10hipError_tPvRmT1_T2_T3_mT4_P12ihipStream_tbEUlT_E0_NS1_11comp_targetILNS1_3genE10ELNS1_11target_archE1200ELNS1_3gpuE4ELNS1_3repE0EEENS1_30default_config_static_selectorELNS0_4arch9wavefront6targetE1EEEvSN_
	.globl	_ZN7rocprim17ROCPRIM_400000_NS6detail17trampoline_kernelINS0_14default_configENS1_22reduce_config_selectorIiEEZNS1_11reduce_implILb1ES3_N6thrust23THRUST_200600_302600_NS11hip_rocprim35transform_pair_of_input_iterators_tIiPN3c104HalfESD_NS8_12not_equal_toISC_EEEEPiiNS8_4plusIiEEEE10hipError_tPvRmT1_T2_T3_mT4_P12ihipStream_tbEUlT_E0_NS1_11comp_targetILNS1_3genE10ELNS1_11target_archE1200ELNS1_3gpuE4ELNS1_3repE0EEENS1_30default_config_static_selectorELNS0_4arch9wavefront6targetE1EEEvSN_
	.p2align	8
	.type	_ZN7rocprim17ROCPRIM_400000_NS6detail17trampoline_kernelINS0_14default_configENS1_22reduce_config_selectorIiEEZNS1_11reduce_implILb1ES3_N6thrust23THRUST_200600_302600_NS11hip_rocprim35transform_pair_of_input_iterators_tIiPN3c104HalfESD_NS8_12not_equal_toISC_EEEEPiiNS8_4plusIiEEEE10hipError_tPvRmT1_T2_T3_mT4_P12ihipStream_tbEUlT_E0_NS1_11comp_targetILNS1_3genE10ELNS1_11target_archE1200ELNS1_3gpuE4ELNS1_3repE0EEENS1_30default_config_static_selectorELNS0_4arch9wavefront6targetE1EEEvSN_,@function
_ZN7rocprim17ROCPRIM_400000_NS6detail17trampoline_kernelINS0_14default_configENS1_22reduce_config_selectorIiEEZNS1_11reduce_implILb1ES3_N6thrust23THRUST_200600_302600_NS11hip_rocprim35transform_pair_of_input_iterators_tIiPN3c104HalfESD_NS8_12not_equal_toISC_EEEEPiiNS8_4plusIiEEEE10hipError_tPvRmT1_T2_T3_mT4_P12ihipStream_tbEUlT_E0_NS1_11comp_targetILNS1_3genE10ELNS1_11target_archE1200ELNS1_3gpuE4ELNS1_3repE0EEENS1_30default_config_static_selectorELNS0_4arch9wavefront6targetE1EEEvSN_: ; @_ZN7rocprim17ROCPRIM_400000_NS6detail17trampoline_kernelINS0_14default_configENS1_22reduce_config_selectorIiEEZNS1_11reduce_implILb1ES3_N6thrust23THRUST_200600_302600_NS11hip_rocprim35transform_pair_of_input_iterators_tIiPN3c104HalfESD_NS8_12not_equal_toISC_EEEEPiiNS8_4plusIiEEEE10hipError_tPvRmT1_T2_T3_mT4_P12ihipStream_tbEUlT_E0_NS1_11comp_targetILNS1_3genE10ELNS1_11target_archE1200ELNS1_3gpuE4ELNS1_3repE0EEENS1_30default_config_static_selectorELNS0_4arch9wavefront6targetE1EEEvSN_
; %bb.0:
	.section	.rodata,"a",@progbits
	.p2align	6, 0x0
	.amdhsa_kernel _ZN7rocprim17ROCPRIM_400000_NS6detail17trampoline_kernelINS0_14default_configENS1_22reduce_config_selectorIiEEZNS1_11reduce_implILb1ES3_N6thrust23THRUST_200600_302600_NS11hip_rocprim35transform_pair_of_input_iterators_tIiPN3c104HalfESD_NS8_12not_equal_toISC_EEEEPiiNS8_4plusIiEEEE10hipError_tPvRmT1_T2_T3_mT4_P12ihipStream_tbEUlT_E0_NS1_11comp_targetILNS1_3genE10ELNS1_11target_archE1200ELNS1_3gpuE4ELNS1_3repE0EEENS1_30default_config_static_selectorELNS0_4arch9wavefront6targetE1EEEvSN_
		.amdhsa_group_segment_fixed_size 0
		.amdhsa_private_segment_fixed_size 0
		.amdhsa_kernarg_size 72
		.amdhsa_user_sgpr_count 6
		.amdhsa_user_sgpr_private_segment_buffer 1
		.amdhsa_user_sgpr_dispatch_ptr 0
		.amdhsa_user_sgpr_queue_ptr 0
		.amdhsa_user_sgpr_kernarg_segment_ptr 1
		.amdhsa_user_sgpr_dispatch_id 0
		.amdhsa_user_sgpr_flat_scratch_init 0
		.amdhsa_user_sgpr_private_segment_size 0
		.amdhsa_uses_dynamic_stack 0
		.amdhsa_system_sgpr_private_segment_wavefront_offset 0
		.amdhsa_system_sgpr_workgroup_id_x 1
		.amdhsa_system_sgpr_workgroup_id_y 0
		.amdhsa_system_sgpr_workgroup_id_z 0
		.amdhsa_system_sgpr_workgroup_info 0
		.amdhsa_system_vgpr_workitem_id 0
		.amdhsa_next_free_vgpr 1
		.amdhsa_next_free_sgpr 0
		.amdhsa_reserve_vcc 0
		.amdhsa_reserve_flat_scratch 0
		.amdhsa_float_round_mode_32 0
		.amdhsa_float_round_mode_16_64 0
		.amdhsa_float_denorm_mode_32 3
		.amdhsa_float_denorm_mode_16_64 3
		.amdhsa_dx10_clamp 1
		.amdhsa_ieee_mode 1
		.amdhsa_fp16_overflow 0
		.amdhsa_exception_fp_ieee_invalid_op 0
		.amdhsa_exception_fp_denorm_src 0
		.amdhsa_exception_fp_ieee_div_zero 0
		.amdhsa_exception_fp_ieee_overflow 0
		.amdhsa_exception_fp_ieee_underflow 0
		.amdhsa_exception_fp_ieee_inexact 0
		.amdhsa_exception_int_div_zero 0
	.end_amdhsa_kernel
	.section	.text._ZN7rocprim17ROCPRIM_400000_NS6detail17trampoline_kernelINS0_14default_configENS1_22reduce_config_selectorIiEEZNS1_11reduce_implILb1ES3_N6thrust23THRUST_200600_302600_NS11hip_rocprim35transform_pair_of_input_iterators_tIiPN3c104HalfESD_NS8_12not_equal_toISC_EEEEPiiNS8_4plusIiEEEE10hipError_tPvRmT1_T2_T3_mT4_P12ihipStream_tbEUlT_E0_NS1_11comp_targetILNS1_3genE10ELNS1_11target_archE1200ELNS1_3gpuE4ELNS1_3repE0EEENS1_30default_config_static_selectorELNS0_4arch9wavefront6targetE1EEEvSN_,"axG",@progbits,_ZN7rocprim17ROCPRIM_400000_NS6detail17trampoline_kernelINS0_14default_configENS1_22reduce_config_selectorIiEEZNS1_11reduce_implILb1ES3_N6thrust23THRUST_200600_302600_NS11hip_rocprim35transform_pair_of_input_iterators_tIiPN3c104HalfESD_NS8_12not_equal_toISC_EEEEPiiNS8_4plusIiEEEE10hipError_tPvRmT1_T2_T3_mT4_P12ihipStream_tbEUlT_E0_NS1_11comp_targetILNS1_3genE10ELNS1_11target_archE1200ELNS1_3gpuE4ELNS1_3repE0EEENS1_30default_config_static_selectorELNS0_4arch9wavefront6targetE1EEEvSN_,comdat
.Lfunc_end2186:
	.size	_ZN7rocprim17ROCPRIM_400000_NS6detail17trampoline_kernelINS0_14default_configENS1_22reduce_config_selectorIiEEZNS1_11reduce_implILb1ES3_N6thrust23THRUST_200600_302600_NS11hip_rocprim35transform_pair_of_input_iterators_tIiPN3c104HalfESD_NS8_12not_equal_toISC_EEEEPiiNS8_4plusIiEEEE10hipError_tPvRmT1_T2_T3_mT4_P12ihipStream_tbEUlT_E0_NS1_11comp_targetILNS1_3genE10ELNS1_11target_archE1200ELNS1_3gpuE4ELNS1_3repE0EEENS1_30default_config_static_selectorELNS0_4arch9wavefront6targetE1EEEvSN_, .Lfunc_end2186-_ZN7rocprim17ROCPRIM_400000_NS6detail17trampoline_kernelINS0_14default_configENS1_22reduce_config_selectorIiEEZNS1_11reduce_implILb1ES3_N6thrust23THRUST_200600_302600_NS11hip_rocprim35transform_pair_of_input_iterators_tIiPN3c104HalfESD_NS8_12not_equal_toISC_EEEEPiiNS8_4plusIiEEEE10hipError_tPvRmT1_T2_T3_mT4_P12ihipStream_tbEUlT_E0_NS1_11comp_targetILNS1_3genE10ELNS1_11target_archE1200ELNS1_3gpuE4ELNS1_3repE0EEENS1_30default_config_static_selectorELNS0_4arch9wavefront6targetE1EEEvSN_
                                        ; -- End function
	.set _ZN7rocprim17ROCPRIM_400000_NS6detail17trampoline_kernelINS0_14default_configENS1_22reduce_config_selectorIiEEZNS1_11reduce_implILb1ES3_N6thrust23THRUST_200600_302600_NS11hip_rocprim35transform_pair_of_input_iterators_tIiPN3c104HalfESD_NS8_12not_equal_toISC_EEEEPiiNS8_4plusIiEEEE10hipError_tPvRmT1_T2_T3_mT4_P12ihipStream_tbEUlT_E0_NS1_11comp_targetILNS1_3genE10ELNS1_11target_archE1200ELNS1_3gpuE4ELNS1_3repE0EEENS1_30default_config_static_selectorELNS0_4arch9wavefront6targetE1EEEvSN_.num_vgpr, 0
	.set _ZN7rocprim17ROCPRIM_400000_NS6detail17trampoline_kernelINS0_14default_configENS1_22reduce_config_selectorIiEEZNS1_11reduce_implILb1ES3_N6thrust23THRUST_200600_302600_NS11hip_rocprim35transform_pair_of_input_iterators_tIiPN3c104HalfESD_NS8_12not_equal_toISC_EEEEPiiNS8_4plusIiEEEE10hipError_tPvRmT1_T2_T3_mT4_P12ihipStream_tbEUlT_E0_NS1_11comp_targetILNS1_3genE10ELNS1_11target_archE1200ELNS1_3gpuE4ELNS1_3repE0EEENS1_30default_config_static_selectorELNS0_4arch9wavefront6targetE1EEEvSN_.num_agpr, 0
	.set _ZN7rocprim17ROCPRIM_400000_NS6detail17trampoline_kernelINS0_14default_configENS1_22reduce_config_selectorIiEEZNS1_11reduce_implILb1ES3_N6thrust23THRUST_200600_302600_NS11hip_rocprim35transform_pair_of_input_iterators_tIiPN3c104HalfESD_NS8_12not_equal_toISC_EEEEPiiNS8_4plusIiEEEE10hipError_tPvRmT1_T2_T3_mT4_P12ihipStream_tbEUlT_E0_NS1_11comp_targetILNS1_3genE10ELNS1_11target_archE1200ELNS1_3gpuE4ELNS1_3repE0EEENS1_30default_config_static_selectorELNS0_4arch9wavefront6targetE1EEEvSN_.numbered_sgpr, 0
	.set _ZN7rocprim17ROCPRIM_400000_NS6detail17trampoline_kernelINS0_14default_configENS1_22reduce_config_selectorIiEEZNS1_11reduce_implILb1ES3_N6thrust23THRUST_200600_302600_NS11hip_rocprim35transform_pair_of_input_iterators_tIiPN3c104HalfESD_NS8_12not_equal_toISC_EEEEPiiNS8_4plusIiEEEE10hipError_tPvRmT1_T2_T3_mT4_P12ihipStream_tbEUlT_E0_NS1_11comp_targetILNS1_3genE10ELNS1_11target_archE1200ELNS1_3gpuE4ELNS1_3repE0EEENS1_30default_config_static_selectorELNS0_4arch9wavefront6targetE1EEEvSN_.num_named_barrier, 0
	.set _ZN7rocprim17ROCPRIM_400000_NS6detail17trampoline_kernelINS0_14default_configENS1_22reduce_config_selectorIiEEZNS1_11reduce_implILb1ES3_N6thrust23THRUST_200600_302600_NS11hip_rocprim35transform_pair_of_input_iterators_tIiPN3c104HalfESD_NS8_12not_equal_toISC_EEEEPiiNS8_4plusIiEEEE10hipError_tPvRmT1_T2_T3_mT4_P12ihipStream_tbEUlT_E0_NS1_11comp_targetILNS1_3genE10ELNS1_11target_archE1200ELNS1_3gpuE4ELNS1_3repE0EEENS1_30default_config_static_selectorELNS0_4arch9wavefront6targetE1EEEvSN_.private_seg_size, 0
	.set _ZN7rocprim17ROCPRIM_400000_NS6detail17trampoline_kernelINS0_14default_configENS1_22reduce_config_selectorIiEEZNS1_11reduce_implILb1ES3_N6thrust23THRUST_200600_302600_NS11hip_rocprim35transform_pair_of_input_iterators_tIiPN3c104HalfESD_NS8_12not_equal_toISC_EEEEPiiNS8_4plusIiEEEE10hipError_tPvRmT1_T2_T3_mT4_P12ihipStream_tbEUlT_E0_NS1_11comp_targetILNS1_3genE10ELNS1_11target_archE1200ELNS1_3gpuE4ELNS1_3repE0EEENS1_30default_config_static_selectorELNS0_4arch9wavefront6targetE1EEEvSN_.uses_vcc, 0
	.set _ZN7rocprim17ROCPRIM_400000_NS6detail17trampoline_kernelINS0_14default_configENS1_22reduce_config_selectorIiEEZNS1_11reduce_implILb1ES3_N6thrust23THRUST_200600_302600_NS11hip_rocprim35transform_pair_of_input_iterators_tIiPN3c104HalfESD_NS8_12not_equal_toISC_EEEEPiiNS8_4plusIiEEEE10hipError_tPvRmT1_T2_T3_mT4_P12ihipStream_tbEUlT_E0_NS1_11comp_targetILNS1_3genE10ELNS1_11target_archE1200ELNS1_3gpuE4ELNS1_3repE0EEENS1_30default_config_static_selectorELNS0_4arch9wavefront6targetE1EEEvSN_.uses_flat_scratch, 0
	.set _ZN7rocprim17ROCPRIM_400000_NS6detail17trampoline_kernelINS0_14default_configENS1_22reduce_config_selectorIiEEZNS1_11reduce_implILb1ES3_N6thrust23THRUST_200600_302600_NS11hip_rocprim35transform_pair_of_input_iterators_tIiPN3c104HalfESD_NS8_12not_equal_toISC_EEEEPiiNS8_4plusIiEEEE10hipError_tPvRmT1_T2_T3_mT4_P12ihipStream_tbEUlT_E0_NS1_11comp_targetILNS1_3genE10ELNS1_11target_archE1200ELNS1_3gpuE4ELNS1_3repE0EEENS1_30default_config_static_selectorELNS0_4arch9wavefront6targetE1EEEvSN_.has_dyn_sized_stack, 0
	.set _ZN7rocprim17ROCPRIM_400000_NS6detail17trampoline_kernelINS0_14default_configENS1_22reduce_config_selectorIiEEZNS1_11reduce_implILb1ES3_N6thrust23THRUST_200600_302600_NS11hip_rocprim35transform_pair_of_input_iterators_tIiPN3c104HalfESD_NS8_12not_equal_toISC_EEEEPiiNS8_4plusIiEEEE10hipError_tPvRmT1_T2_T3_mT4_P12ihipStream_tbEUlT_E0_NS1_11comp_targetILNS1_3genE10ELNS1_11target_archE1200ELNS1_3gpuE4ELNS1_3repE0EEENS1_30default_config_static_selectorELNS0_4arch9wavefront6targetE1EEEvSN_.has_recursion, 0
	.set _ZN7rocprim17ROCPRIM_400000_NS6detail17trampoline_kernelINS0_14default_configENS1_22reduce_config_selectorIiEEZNS1_11reduce_implILb1ES3_N6thrust23THRUST_200600_302600_NS11hip_rocprim35transform_pair_of_input_iterators_tIiPN3c104HalfESD_NS8_12not_equal_toISC_EEEEPiiNS8_4plusIiEEEE10hipError_tPvRmT1_T2_T3_mT4_P12ihipStream_tbEUlT_E0_NS1_11comp_targetILNS1_3genE10ELNS1_11target_archE1200ELNS1_3gpuE4ELNS1_3repE0EEENS1_30default_config_static_selectorELNS0_4arch9wavefront6targetE1EEEvSN_.has_indirect_call, 0
	.section	.AMDGPU.csdata,"",@progbits
; Kernel info:
; codeLenInByte = 0
; TotalNumSgprs: 4
; NumVgprs: 0
; ScratchSize: 0
; MemoryBound: 0
; FloatMode: 240
; IeeeMode: 1
; LDSByteSize: 0 bytes/workgroup (compile time only)
; SGPRBlocks: 0
; VGPRBlocks: 0
; NumSGPRsForWavesPerEU: 4
; NumVGPRsForWavesPerEU: 1
; Occupancy: 10
; WaveLimiterHint : 0
; COMPUTE_PGM_RSRC2:SCRATCH_EN: 0
; COMPUTE_PGM_RSRC2:USER_SGPR: 6
; COMPUTE_PGM_RSRC2:TRAP_HANDLER: 0
; COMPUTE_PGM_RSRC2:TGID_X_EN: 1
; COMPUTE_PGM_RSRC2:TGID_Y_EN: 0
; COMPUTE_PGM_RSRC2:TGID_Z_EN: 0
; COMPUTE_PGM_RSRC2:TIDIG_COMP_CNT: 0
	.section	.text._ZN7rocprim17ROCPRIM_400000_NS6detail17trampoline_kernelINS0_14default_configENS1_22reduce_config_selectorIiEEZNS1_11reduce_implILb1ES3_N6thrust23THRUST_200600_302600_NS11hip_rocprim35transform_pair_of_input_iterators_tIiPN3c104HalfESD_NS8_12not_equal_toISC_EEEEPiiNS8_4plusIiEEEE10hipError_tPvRmT1_T2_T3_mT4_P12ihipStream_tbEUlT_E0_NS1_11comp_targetILNS1_3genE9ELNS1_11target_archE1100ELNS1_3gpuE3ELNS1_3repE0EEENS1_30default_config_static_selectorELNS0_4arch9wavefront6targetE1EEEvSN_,"axG",@progbits,_ZN7rocprim17ROCPRIM_400000_NS6detail17trampoline_kernelINS0_14default_configENS1_22reduce_config_selectorIiEEZNS1_11reduce_implILb1ES3_N6thrust23THRUST_200600_302600_NS11hip_rocprim35transform_pair_of_input_iterators_tIiPN3c104HalfESD_NS8_12not_equal_toISC_EEEEPiiNS8_4plusIiEEEE10hipError_tPvRmT1_T2_T3_mT4_P12ihipStream_tbEUlT_E0_NS1_11comp_targetILNS1_3genE9ELNS1_11target_archE1100ELNS1_3gpuE3ELNS1_3repE0EEENS1_30default_config_static_selectorELNS0_4arch9wavefront6targetE1EEEvSN_,comdat
	.protected	_ZN7rocprim17ROCPRIM_400000_NS6detail17trampoline_kernelINS0_14default_configENS1_22reduce_config_selectorIiEEZNS1_11reduce_implILb1ES3_N6thrust23THRUST_200600_302600_NS11hip_rocprim35transform_pair_of_input_iterators_tIiPN3c104HalfESD_NS8_12not_equal_toISC_EEEEPiiNS8_4plusIiEEEE10hipError_tPvRmT1_T2_T3_mT4_P12ihipStream_tbEUlT_E0_NS1_11comp_targetILNS1_3genE9ELNS1_11target_archE1100ELNS1_3gpuE3ELNS1_3repE0EEENS1_30default_config_static_selectorELNS0_4arch9wavefront6targetE1EEEvSN_ ; -- Begin function _ZN7rocprim17ROCPRIM_400000_NS6detail17trampoline_kernelINS0_14default_configENS1_22reduce_config_selectorIiEEZNS1_11reduce_implILb1ES3_N6thrust23THRUST_200600_302600_NS11hip_rocprim35transform_pair_of_input_iterators_tIiPN3c104HalfESD_NS8_12not_equal_toISC_EEEEPiiNS8_4plusIiEEEE10hipError_tPvRmT1_T2_T3_mT4_P12ihipStream_tbEUlT_E0_NS1_11comp_targetILNS1_3genE9ELNS1_11target_archE1100ELNS1_3gpuE3ELNS1_3repE0EEENS1_30default_config_static_selectorELNS0_4arch9wavefront6targetE1EEEvSN_
	.globl	_ZN7rocprim17ROCPRIM_400000_NS6detail17trampoline_kernelINS0_14default_configENS1_22reduce_config_selectorIiEEZNS1_11reduce_implILb1ES3_N6thrust23THRUST_200600_302600_NS11hip_rocprim35transform_pair_of_input_iterators_tIiPN3c104HalfESD_NS8_12not_equal_toISC_EEEEPiiNS8_4plusIiEEEE10hipError_tPvRmT1_T2_T3_mT4_P12ihipStream_tbEUlT_E0_NS1_11comp_targetILNS1_3genE9ELNS1_11target_archE1100ELNS1_3gpuE3ELNS1_3repE0EEENS1_30default_config_static_selectorELNS0_4arch9wavefront6targetE1EEEvSN_
	.p2align	8
	.type	_ZN7rocprim17ROCPRIM_400000_NS6detail17trampoline_kernelINS0_14default_configENS1_22reduce_config_selectorIiEEZNS1_11reduce_implILb1ES3_N6thrust23THRUST_200600_302600_NS11hip_rocprim35transform_pair_of_input_iterators_tIiPN3c104HalfESD_NS8_12not_equal_toISC_EEEEPiiNS8_4plusIiEEEE10hipError_tPvRmT1_T2_T3_mT4_P12ihipStream_tbEUlT_E0_NS1_11comp_targetILNS1_3genE9ELNS1_11target_archE1100ELNS1_3gpuE3ELNS1_3repE0EEENS1_30default_config_static_selectorELNS0_4arch9wavefront6targetE1EEEvSN_,@function
_ZN7rocprim17ROCPRIM_400000_NS6detail17trampoline_kernelINS0_14default_configENS1_22reduce_config_selectorIiEEZNS1_11reduce_implILb1ES3_N6thrust23THRUST_200600_302600_NS11hip_rocprim35transform_pair_of_input_iterators_tIiPN3c104HalfESD_NS8_12not_equal_toISC_EEEEPiiNS8_4plusIiEEEE10hipError_tPvRmT1_T2_T3_mT4_P12ihipStream_tbEUlT_E0_NS1_11comp_targetILNS1_3genE9ELNS1_11target_archE1100ELNS1_3gpuE3ELNS1_3repE0EEENS1_30default_config_static_selectorELNS0_4arch9wavefront6targetE1EEEvSN_: ; @_ZN7rocprim17ROCPRIM_400000_NS6detail17trampoline_kernelINS0_14default_configENS1_22reduce_config_selectorIiEEZNS1_11reduce_implILb1ES3_N6thrust23THRUST_200600_302600_NS11hip_rocprim35transform_pair_of_input_iterators_tIiPN3c104HalfESD_NS8_12not_equal_toISC_EEEEPiiNS8_4plusIiEEEE10hipError_tPvRmT1_T2_T3_mT4_P12ihipStream_tbEUlT_E0_NS1_11comp_targetILNS1_3genE9ELNS1_11target_archE1100ELNS1_3gpuE3ELNS1_3repE0EEENS1_30default_config_static_selectorELNS0_4arch9wavefront6targetE1EEEvSN_
; %bb.0:
	.section	.rodata,"a",@progbits
	.p2align	6, 0x0
	.amdhsa_kernel _ZN7rocprim17ROCPRIM_400000_NS6detail17trampoline_kernelINS0_14default_configENS1_22reduce_config_selectorIiEEZNS1_11reduce_implILb1ES3_N6thrust23THRUST_200600_302600_NS11hip_rocprim35transform_pair_of_input_iterators_tIiPN3c104HalfESD_NS8_12not_equal_toISC_EEEEPiiNS8_4plusIiEEEE10hipError_tPvRmT1_T2_T3_mT4_P12ihipStream_tbEUlT_E0_NS1_11comp_targetILNS1_3genE9ELNS1_11target_archE1100ELNS1_3gpuE3ELNS1_3repE0EEENS1_30default_config_static_selectorELNS0_4arch9wavefront6targetE1EEEvSN_
		.amdhsa_group_segment_fixed_size 0
		.amdhsa_private_segment_fixed_size 0
		.amdhsa_kernarg_size 72
		.amdhsa_user_sgpr_count 6
		.amdhsa_user_sgpr_private_segment_buffer 1
		.amdhsa_user_sgpr_dispatch_ptr 0
		.amdhsa_user_sgpr_queue_ptr 0
		.amdhsa_user_sgpr_kernarg_segment_ptr 1
		.amdhsa_user_sgpr_dispatch_id 0
		.amdhsa_user_sgpr_flat_scratch_init 0
		.amdhsa_user_sgpr_private_segment_size 0
		.amdhsa_uses_dynamic_stack 0
		.amdhsa_system_sgpr_private_segment_wavefront_offset 0
		.amdhsa_system_sgpr_workgroup_id_x 1
		.amdhsa_system_sgpr_workgroup_id_y 0
		.amdhsa_system_sgpr_workgroup_id_z 0
		.amdhsa_system_sgpr_workgroup_info 0
		.amdhsa_system_vgpr_workitem_id 0
		.amdhsa_next_free_vgpr 1
		.amdhsa_next_free_sgpr 0
		.amdhsa_reserve_vcc 0
		.amdhsa_reserve_flat_scratch 0
		.amdhsa_float_round_mode_32 0
		.amdhsa_float_round_mode_16_64 0
		.amdhsa_float_denorm_mode_32 3
		.amdhsa_float_denorm_mode_16_64 3
		.amdhsa_dx10_clamp 1
		.amdhsa_ieee_mode 1
		.amdhsa_fp16_overflow 0
		.amdhsa_exception_fp_ieee_invalid_op 0
		.amdhsa_exception_fp_denorm_src 0
		.amdhsa_exception_fp_ieee_div_zero 0
		.amdhsa_exception_fp_ieee_overflow 0
		.amdhsa_exception_fp_ieee_underflow 0
		.amdhsa_exception_fp_ieee_inexact 0
		.amdhsa_exception_int_div_zero 0
	.end_amdhsa_kernel
	.section	.text._ZN7rocprim17ROCPRIM_400000_NS6detail17trampoline_kernelINS0_14default_configENS1_22reduce_config_selectorIiEEZNS1_11reduce_implILb1ES3_N6thrust23THRUST_200600_302600_NS11hip_rocprim35transform_pair_of_input_iterators_tIiPN3c104HalfESD_NS8_12not_equal_toISC_EEEEPiiNS8_4plusIiEEEE10hipError_tPvRmT1_T2_T3_mT4_P12ihipStream_tbEUlT_E0_NS1_11comp_targetILNS1_3genE9ELNS1_11target_archE1100ELNS1_3gpuE3ELNS1_3repE0EEENS1_30default_config_static_selectorELNS0_4arch9wavefront6targetE1EEEvSN_,"axG",@progbits,_ZN7rocprim17ROCPRIM_400000_NS6detail17trampoline_kernelINS0_14default_configENS1_22reduce_config_selectorIiEEZNS1_11reduce_implILb1ES3_N6thrust23THRUST_200600_302600_NS11hip_rocprim35transform_pair_of_input_iterators_tIiPN3c104HalfESD_NS8_12not_equal_toISC_EEEEPiiNS8_4plusIiEEEE10hipError_tPvRmT1_T2_T3_mT4_P12ihipStream_tbEUlT_E0_NS1_11comp_targetILNS1_3genE9ELNS1_11target_archE1100ELNS1_3gpuE3ELNS1_3repE0EEENS1_30default_config_static_selectorELNS0_4arch9wavefront6targetE1EEEvSN_,comdat
.Lfunc_end2187:
	.size	_ZN7rocprim17ROCPRIM_400000_NS6detail17trampoline_kernelINS0_14default_configENS1_22reduce_config_selectorIiEEZNS1_11reduce_implILb1ES3_N6thrust23THRUST_200600_302600_NS11hip_rocprim35transform_pair_of_input_iterators_tIiPN3c104HalfESD_NS8_12not_equal_toISC_EEEEPiiNS8_4plusIiEEEE10hipError_tPvRmT1_T2_T3_mT4_P12ihipStream_tbEUlT_E0_NS1_11comp_targetILNS1_3genE9ELNS1_11target_archE1100ELNS1_3gpuE3ELNS1_3repE0EEENS1_30default_config_static_selectorELNS0_4arch9wavefront6targetE1EEEvSN_, .Lfunc_end2187-_ZN7rocprim17ROCPRIM_400000_NS6detail17trampoline_kernelINS0_14default_configENS1_22reduce_config_selectorIiEEZNS1_11reduce_implILb1ES3_N6thrust23THRUST_200600_302600_NS11hip_rocprim35transform_pair_of_input_iterators_tIiPN3c104HalfESD_NS8_12not_equal_toISC_EEEEPiiNS8_4plusIiEEEE10hipError_tPvRmT1_T2_T3_mT4_P12ihipStream_tbEUlT_E0_NS1_11comp_targetILNS1_3genE9ELNS1_11target_archE1100ELNS1_3gpuE3ELNS1_3repE0EEENS1_30default_config_static_selectorELNS0_4arch9wavefront6targetE1EEEvSN_
                                        ; -- End function
	.set _ZN7rocprim17ROCPRIM_400000_NS6detail17trampoline_kernelINS0_14default_configENS1_22reduce_config_selectorIiEEZNS1_11reduce_implILb1ES3_N6thrust23THRUST_200600_302600_NS11hip_rocprim35transform_pair_of_input_iterators_tIiPN3c104HalfESD_NS8_12not_equal_toISC_EEEEPiiNS8_4plusIiEEEE10hipError_tPvRmT1_T2_T3_mT4_P12ihipStream_tbEUlT_E0_NS1_11comp_targetILNS1_3genE9ELNS1_11target_archE1100ELNS1_3gpuE3ELNS1_3repE0EEENS1_30default_config_static_selectorELNS0_4arch9wavefront6targetE1EEEvSN_.num_vgpr, 0
	.set _ZN7rocprim17ROCPRIM_400000_NS6detail17trampoline_kernelINS0_14default_configENS1_22reduce_config_selectorIiEEZNS1_11reduce_implILb1ES3_N6thrust23THRUST_200600_302600_NS11hip_rocprim35transform_pair_of_input_iterators_tIiPN3c104HalfESD_NS8_12not_equal_toISC_EEEEPiiNS8_4plusIiEEEE10hipError_tPvRmT1_T2_T3_mT4_P12ihipStream_tbEUlT_E0_NS1_11comp_targetILNS1_3genE9ELNS1_11target_archE1100ELNS1_3gpuE3ELNS1_3repE0EEENS1_30default_config_static_selectorELNS0_4arch9wavefront6targetE1EEEvSN_.num_agpr, 0
	.set _ZN7rocprim17ROCPRIM_400000_NS6detail17trampoline_kernelINS0_14default_configENS1_22reduce_config_selectorIiEEZNS1_11reduce_implILb1ES3_N6thrust23THRUST_200600_302600_NS11hip_rocprim35transform_pair_of_input_iterators_tIiPN3c104HalfESD_NS8_12not_equal_toISC_EEEEPiiNS8_4plusIiEEEE10hipError_tPvRmT1_T2_T3_mT4_P12ihipStream_tbEUlT_E0_NS1_11comp_targetILNS1_3genE9ELNS1_11target_archE1100ELNS1_3gpuE3ELNS1_3repE0EEENS1_30default_config_static_selectorELNS0_4arch9wavefront6targetE1EEEvSN_.numbered_sgpr, 0
	.set _ZN7rocprim17ROCPRIM_400000_NS6detail17trampoline_kernelINS0_14default_configENS1_22reduce_config_selectorIiEEZNS1_11reduce_implILb1ES3_N6thrust23THRUST_200600_302600_NS11hip_rocprim35transform_pair_of_input_iterators_tIiPN3c104HalfESD_NS8_12not_equal_toISC_EEEEPiiNS8_4plusIiEEEE10hipError_tPvRmT1_T2_T3_mT4_P12ihipStream_tbEUlT_E0_NS1_11comp_targetILNS1_3genE9ELNS1_11target_archE1100ELNS1_3gpuE3ELNS1_3repE0EEENS1_30default_config_static_selectorELNS0_4arch9wavefront6targetE1EEEvSN_.num_named_barrier, 0
	.set _ZN7rocprim17ROCPRIM_400000_NS6detail17trampoline_kernelINS0_14default_configENS1_22reduce_config_selectorIiEEZNS1_11reduce_implILb1ES3_N6thrust23THRUST_200600_302600_NS11hip_rocprim35transform_pair_of_input_iterators_tIiPN3c104HalfESD_NS8_12not_equal_toISC_EEEEPiiNS8_4plusIiEEEE10hipError_tPvRmT1_T2_T3_mT4_P12ihipStream_tbEUlT_E0_NS1_11comp_targetILNS1_3genE9ELNS1_11target_archE1100ELNS1_3gpuE3ELNS1_3repE0EEENS1_30default_config_static_selectorELNS0_4arch9wavefront6targetE1EEEvSN_.private_seg_size, 0
	.set _ZN7rocprim17ROCPRIM_400000_NS6detail17trampoline_kernelINS0_14default_configENS1_22reduce_config_selectorIiEEZNS1_11reduce_implILb1ES3_N6thrust23THRUST_200600_302600_NS11hip_rocprim35transform_pair_of_input_iterators_tIiPN3c104HalfESD_NS8_12not_equal_toISC_EEEEPiiNS8_4plusIiEEEE10hipError_tPvRmT1_T2_T3_mT4_P12ihipStream_tbEUlT_E0_NS1_11comp_targetILNS1_3genE9ELNS1_11target_archE1100ELNS1_3gpuE3ELNS1_3repE0EEENS1_30default_config_static_selectorELNS0_4arch9wavefront6targetE1EEEvSN_.uses_vcc, 0
	.set _ZN7rocprim17ROCPRIM_400000_NS6detail17trampoline_kernelINS0_14default_configENS1_22reduce_config_selectorIiEEZNS1_11reduce_implILb1ES3_N6thrust23THRUST_200600_302600_NS11hip_rocprim35transform_pair_of_input_iterators_tIiPN3c104HalfESD_NS8_12not_equal_toISC_EEEEPiiNS8_4plusIiEEEE10hipError_tPvRmT1_T2_T3_mT4_P12ihipStream_tbEUlT_E0_NS1_11comp_targetILNS1_3genE9ELNS1_11target_archE1100ELNS1_3gpuE3ELNS1_3repE0EEENS1_30default_config_static_selectorELNS0_4arch9wavefront6targetE1EEEvSN_.uses_flat_scratch, 0
	.set _ZN7rocprim17ROCPRIM_400000_NS6detail17trampoline_kernelINS0_14default_configENS1_22reduce_config_selectorIiEEZNS1_11reduce_implILb1ES3_N6thrust23THRUST_200600_302600_NS11hip_rocprim35transform_pair_of_input_iterators_tIiPN3c104HalfESD_NS8_12not_equal_toISC_EEEEPiiNS8_4plusIiEEEE10hipError_tPvRmT1_T2_T3_mT4_P12ihipStream_tbEUlT_E0_NS1_11comp_targetILNS1_3genE9ELNS1_11target_archE1100ELNS1_3gpuE3ELNS1_3repE0EEENS1_30default_config_static_selectorELNS0_4arch9wavefront6targetE1EEEvSN_.has_dyn_sized_stack, 0
	.set _ZN7rocprim17ROCPRIM_400000_NS6detail17trampoline_kernelINS0_14default_configENS1_22reduce_config_selectorIiEEZNS1_11reduce_implILb1ES3_N6thrust23THRUST_200600_302600_NS11hip_rocprim35transform_pair_of_input_iterators_tIiPN3c104HalfESD_NS8_12not_equal_toISC_EEEEPiiNS8_4plusIiEEEE10hipError_tPvRmT1_T2_T3_mT4_P12ihipStream_tbEUlT_E0_NS1_11comp_targetILNS1_3genE9ELNS1_11target_archE1100ELNS1_3gpuE3ELNS1_3repE0EEENS1_30default_config_static_selectorELNS0_4arch9wavefront6targetE1EEEvSN_.has_recursion, 0
	.set _ZN7rocprim17ROCPRIM_400000_NS6detail17trampoline_kernelINS0_14default_configENS1_22reduce_config_selectorIiEEZNS1_11reduce_implILb1ES3_N6thrust23THRUST_200600_302600_NS11hip_rocprim35transform_pair_of_input_iterators_tIiPN3c104HalfESD_NS8_12not_equal_toISC_EEEEPiiNS8_4plusIiEEEE10hipError_tPvRmT1_T2_T3_mT4_P12ihipStream_tbEUlT_E0_NS1_11comp_targetILNS1_3genE9ELNS1_11target_archE1100ELNS1_3gpuE3ELNS1_3repE0EEENS1_30default_config_static_selectorELNS0_4arch9wavefront6targetE1EEEvSN_.has_indirect_call, 0
	.section	.AMDGPU.csdata,"",@progbits
; Kernel info:
; codeLenInByte = 0
; TotalNumSgprs: 4
; NumVgprs: 0
; ScratchSize: 0
; MemoryBound: 0
; FloatMode: 240
; IeeeMode: 1
; LDSByteSize: 0 bytes/workgroup (compile time only)
; SGPRBlocks: 0
; VGPRBlocks: 0
; NumSGPRsForWavesPerEU: 4
; NumVGPRsForWavesPerEU: 1
; Occupancy: 10
; WaveLimiterHint : 0
; COMPUTE_PGM_RSRC2:SCRATCH_EN: 0
; COMPUTE_PGM_RSRC2:USER_SGPR: 6
; COMPUTE_PGM_RSRC2:TRAP_HANDLER: 0
; COMPUTE_PGM_RSRC2:TGID_X_EN: 1
; COMPUTE_PGM_RSRC2:TGID_Y_EN: 0
; COMPUTE_PGM_RSRC2:TGID_Z_EN: 0
; COMPUTE_PGM_RSRC2:TIDIG_COMP_CNT: 0
	.section	.text._ZN7rocprim17ROCPRIM_400000_NS6detail17trampoline_kernelINS0_14default_configENS1_22reduce_config_selectorIiEEZNS1_11reduce_implILb1ES3_N6thrust23THRUST_200600_302600_NS11hip_rocprim35transform_pair_of_input_iterators_tIiPN3c104HalfESD_NS8_12not_equal_toISC_EEEEPiiNS8_4plusIiEEEE10hipError_tPvRmT1_T2_T3_mT4_P12ihipStream_tbEUlT_E0_NS1_11comp_targetILNS1_3genE8ELNS1_11target_archE1030ELNS1_3gpuE2ELNS1_3repE0EEENS1_30default_config_static_selectorELNS0_4arch9wavefront6targetE1EEEvSN_,"axG",@progbits,_ZN7rocprim17ROCPRIM_400000_NS6detail17trampoline_kernelINS0_14default_configENS1_22reduce_config_selectorIiEEZNS1_11reduce_implILb1ES3_N6thrust23THRUST_200600_302600_NS11hip_rocprim35transform_pair_of_input_iterators_tIiPN3c104HalfESD_NS8_12not_equal_toISC_EEEEPiiNS8_4plusIiEEEE10hipError_tPvRmT1_T2_T3_mT4_P12ihipStream_tbEUlT_E0_NS1_11comp_targetILNS1_3genE8ELNS1_11target_archE1030ELNS1_3gpuE2ELNS1_3repE0EEENS1_30default_config_static_selectorELNS0_4arch9wavefront6targetE1EEEvSN_,comdat
	.protected	_ZN7rocprim17ROCPRIM_400000_NS6detail17trampoline_kernelINS0_14default_configENS1_22reduce_config_selectorIiEEZNS1_11reduce_implILb1ES3_N6thrust23THRUST_200600_302600_NS11hip_rocprim35transform_pair_of_input_iterators_tIiPN3c104HalfESD_NS8_12not_equal_toISC_EEEEPiiNS8_4plusIiEEEE10hipError_tPvRmT1_T2_T3_mT4_P12ihipStream_tbEUlT_E0_NS1_11comp_targetILNS1_3genE8ELNS1_11target_archE1030ELNS1_3gpuE2ELNS1_3repE0EEENS1_30default_config_static_selectorELNS0_4arch9wavefront6targetE1EEEvSN_ ; -- Begin function _ZN7rocprim17ROCPRIM_400000_NS6detail17trampoline_kernelINS0_14default_configENS1_22reduce_config_selectorIiEEZNS1_11reduce_implILb1ES3_N6thrust23THRUST_200600_302600_NS11hip_rocprim35transform_pair_of_input_iterators_tIiPN3c104HalfESD_NS8_12not_equal_toISC_EEEEPiiNS8_4plusIiEEEE10hipError_tPvRmT1_T2_T3_mT4_P12ihipStream_tbEUlT_E0_NS1_11comp_targetILNS1_3genE8ELNS1_11target_archE1030ELNS1_3gpuE2ELNS1_3repE0EEENS1_30default_config_static_selectorELNS0_4arch9wavefront6targetE1EEEvSN_
	.globl	_ZN7rocprim17ROCPRIM_400000_NS6detail17trampoline_kernelINS0_14default_configENS1_22reduce_config_selectorIiEEZNS1_11reduce_implILb1ES3_N6thrust23THRUST_200600_302600_NS11hip_rocprim35transform_pair_of_input_iterators_tIiPN3c104HalfESD_NS8_12not_equal_toISC_EEEEPiiNS8_4plusIiEEEE10hipError_tPvRmT1_T2_T3_mT4_P12ihipStream_tbEUlT_E0_NS1_11comp_targetILNS1_3genE8ELNS1_11target_archE1030ELNS1_3gpuE2ELNS1_3repE0EEENS1_30default_config_static_selectorELNS0_4arch9wavefront6targetE1EEEvSN_
	.p2align	8
	.type	_ZN7rocprim17ROCPRIM_400000_NS6detail17trampoline_kernelINS0_14default_configENS1_22reduce_config_selectorIiEEZNS1_11reduce_implILb1ES3_N6thrust23THRUST_200600_302600_NS11hip_rocprim35transform_pair_of_input_iterators_tIiPN3c104HalfESD_NS8_12not_equal_toISC_EEEEPiiNS8_4plusIiEEEE10hipError_tPvRmT1_T2_T3_mT4_P12ihipStream_tbEUlT_E0_NS1_11comp_targetILNS1_3genE8ELNS1_11target_archE1030ELNS1_3gpuE2ELNS1_3repE0EEENS1_30default_config_static_selectorELNS0_4arch9wavefront6targetE1EEEvSN_,@function
_ZN7rocprim17ROCPRIM_400000_NS6detail17trampoline_kernelINS0_14default_configENS1_22reduce_config_selectorIiEEZNS1_11reduce_implILb1ES3_N6thrust23THRUST_200600_302600_NS11hip_rocprim35transform_pair_of_input_iterators_tIiPN3c104HalfESD_NS8_12not_equal_toISC_EEEEPiiNS8_4plusIiEEEE10hipError_tPvRmT1_T2_T3_mT4_P12ihipStream_tbEUlT_E0_NS1_11comp_targetILNS1_3genE8ELNS1_11target_archE1030ELNS1_3gpuE2ELNS1_3repE0EEENS1_30default_config_static_selectorELNS0_4arch9wavefront6targetE1EEEvSN_: ; @_ZN7rocprim17ROCPRIM_400000_NS6detail17trampoline_kernelINS0_14default_configENS1_22reduce_config_selectorIiEEZNS1_11reduce_implILb1ES3_N6thrust23THRUST_200600_302600_NS11hip_rocprim35transform_pair_of_input_iterators_tIiPN3c104HalfESD_NS8_12not_equal_toISC_EEEEPiiNS8_4plusIiEEEE10hipError_tPvRmT1_T2_T3_mT4_P12ihipStream_tbEUlT_E0_NS1_11comp_targetILNS1_3genE8ELNS1_11target_archE1030ELNS1_3gpuE2ELNS1_3repE0EEENS1_30default_config_static_selectorELNS0_4arch9wavefront6targetE1EEEvSN_
; %bb.0:
	.section	.rodata,"a",@progbits
	.p2align	6, 0x0
	.amdhsa_kernel _ZN7rocprim17ROCPRIM_400000_NS6detail17trampoline_kernelINS0_14default_configENS1_22reduce_config_selectorIiEEZNS1_11reduce_implILb1ES3_N6thrust23THRUST_200600_302600_NS11hip_rocprim35transform_pair_of_input_iterators_tIiPN3c104HalfESD_NS8_12not_equal_toISC_EEEEPiiNS8_4plusIiEEEE10hipError_tPvRmT1_T2_T3_mT4_P12ihipStream_tbEUlT_E0_NS1_11comp_targetILNS1_3genE8ELNS1_11target_archE1030ELNS1_3gpuE2ELNS1_3repE0EEENS1_30default_config_static_selectorELNS0_4arch9wavefront6targetE1EEEvSN_
		.amdhsa_group_segment_fixed_size 0
		.amdhsa_private_segment_fixed_size 0
		.amdhsa_kernarg_size 72
		.amdhsa_user_sgpr_count 6
		.amdhsa_user_sgpr_private_segment_buffer 1
		.amdhsa_user_sgpr_dispatch_ptr 0
		.amdhsa_user_sgpr_queue_ptr 0
		.amdhsa_user_sgpr_kernarg_segment_ptr 1
		.amdhsa_user_sgpr_dispatch_id 0
		.amdhsa_user_sgpr_flat_scratch_init 0
		.amdhsa_user_sgpr_private_segment_size 0
		.amdhsa_uses_dynamic_stack 0
		.amdhsa_system_sgpr_private_segment_wavefront_offset 0
		.amdhsa_system_sgpr_workgroup_id_x 1
		.amdhsa_system_sgpr_workgroup_id_y 0
		.amdhsa_system_sgpr_workgroup_id_z 0
		.amdhsa_system_sgpr_workgroup_info 0
		.amdhsa_system_vgpr_workitem_id 0
		.amdhsa_next_free_vgpr 1
		.amdhsa_next_free_sgpr 0
		.amdhsa_reserve_vcc 0
		.amdhsa_reserve_flat_scratch 0
		.amdhsa_float_round_mode_32 0
		.amdhsa_float_round_mode_16_64 0
		.amdhsa_float_denorm_mode_32 3
		.amdhsa_float_denorm_mode_16_64 3
		.amdhsa_dx10_clamp 1
		.amdhsa_ieee_mode 1
		.amdhsa_fp16_overflow 0
		.amdhsa_exception_fp_ieee_invalid_op 0
		.amdhsa_exception_fp_denorm_src 0
		.amdhsa_exception_fp_ieee_div_zero 0
		.amdhsa_exception_fp_ieee_overflow 0
		.amdhsa_exception_fp_ieee_underflow 0
		.amdhsa_exception_fp_ieee_inexact 0
		.amdhsa_exception_int_div_zero 0
	.end_amdhsa_kernel
	.section	.text._ZN7rocprim17ROCPRIM_400000_NS6detail17trampoline_kernelINS0_14default_configENS1_22reduce_config_selectorIiEEZNS1_11reduce_implILb1ES3_N6thrust23THRUST_200600_302600_NS11hip_rocprim35transform_pair_of_input_iterators_tIiPN3c104HalfESD_NS8_12not_equal_toISC_EEEEPiiNS8_4plusIiEEEE10hipError_tPvRmT1_T2_T3_mT4_P12ihipStream_tbEUlT_E0_NS1_11comp_targetILNS1_3genE8ELNS1_11target_archE1030ELNS1_3gpuE2ELNS1_3repE0EEENS1_30default_config_static_selectorELNS0_4arch9wavefront6targetE1EEEvSN_,"axG",@progbits,_ZN7rocprim17ROCPRIM_400000_NS6detail17trampoline_kernelINS0_14default_configENS1_22reduce_config_selectorIiEEZNS1_11reduce_implILb1ES3_N6thrust23THRUST_200600_302600_NS11hip_rocprim35transform_pair_of_input_iterators_tIiPN3c104HalfESD_NS8_12not_equal_toISC_EEEEPiiNS8_4plusIiEEEE10hipError_tPvRmT1_T2_T3_mT4_P12ihipStream_tbEUlT_E0_NS1_11comp_targetILNS1_3genE8ELNS1_11target_archE1030ELNS1_3gpuE2ELNS1_3repE0EEENS1_30default_config_static_selectorELNS0_4arch9wavefront6targetE1EEEvSN_,comdat
.Lfunc_end2188:
	.size	_ZN7rocprim17ROCPRIM_400000_NS6detail17trampoline_kernelINS0_14default_configENS1_22reduce_config_selectorIiEEZNS1_11reduce_implILb1ES3_N6thrust23THRUST_200600_302600_NS11hip_rocprim35transform_pair_of_input_iterators_tIiPN3c104HalfESD_NS8_12not_equal_toISC_EEEEPiiNS8_4plusIiEEEE10hipError_tPvRmT1_T2_T3_mT4_P12ihipStream_tbEUlT_E0_NS1_11comp_targetILNS1_3genE8ELNS1_11target_archE1030ELNS1_3gpuE2ELNS1_3repE0EEENS1_30default_config_static_selectorELNS0_4arch9wavefront6targetE1EEEvSN_, .Lfunc_end2188-_ZN7rocprim17ROCPRIM_400000_NS6detail17trampoline_kernelINS0_14default_configENS1_22reduce_config_selectorIiEEZNS1_11reduce_implILb1ES3_N6thrust23THRUST_200600_302600_NS11hip_rocprim35transform_pair_of_input_iterators_tIiPN3c104HalfESD_NS8_12not_equal_toISC_EEEEPiiNS8_4plusIiEEEE10hipError_tPvRmT1_T2_T3_mT4_P12ihipStream_tbEUlT_E0_NS1_11comp_targetILNS1_3genE8ELNS1_11target_archE1030ELNS1_3gpuE2ELNS1_3repE0EEENS1_30default_config_static_selectorELNS0_4arch9wavefront6targetE1EEEvSN_
                                        ; -- End function
	.set _ZN7rocprim17ROCPRIM_400000_NS6detail17trampoline_kernelINS0_14default_configENS1_22reduce_config_selectorIiEEZNS1_11reduce_implILb1ES3_N6thrust23THRUST_200600_302600_NS11hip_rocprim35transform_pair_of_input_iterators_tIiPN3c104HalfESD_NS8_12not_equal_toISC_EEEEPiiNS8_4plusIiEEEE10hipError_tPvRmT1_T2_T3_mT4_P12ihipStream_tbEUlT_E0_NS1_11comp_targetILNS1_3genE8ELNS1_11target_archE1030ELNS1_3gpuE2ELNS1_3repE0EEENS1_30default_config_static_selectorELNS0_4arch9wavefront6targetE1EEEvSN_.num_vgpr, 0
	.set _ZN7rocprim17ROCPRIM_400000_NS6detail17trampoline_kernelINS0_14default_configENS1_22reduce_config_selectorIiEEZNS1_11reduce_implILb1ES3_N6thrust23THRUST_200600_302600_NS11hip_rocprim35transform_pair_of_input_iterators_tIiPN3c104HalfESD_NS8_12not_equal_toISC_EEEEPiiNS8_4plusIiEEEE10hipError_tPvRmT1_T2_T3_mT4_P12ihipStream_tbEUlT_E0_NS1_11comp_targetILNS1_3genE8ELNS1_11target_archE1030ELNS1_3gpuE2ELNS1_3repE0EEENS1_30default_config_static_selectorELNS0_4arch9wavefront6targetE1EEEvSN_.num_agpr, 0
	.set _ZN7rocprim17ROCPRIM_400000_NS6detail17trampoline_kernelINS0_14default_configENS1_22reduce_config_selectorIiEEZNS1_11reduce_implILb1ES3_N6thrust23THRUST_200600_302600_NS11hip_rocprim35transform_pair_of_input_iterators_tIiPN3c104HalfESD_NS8_12not_equal_toISC_EEEEPiiNS8_4plusIiEEEE10hipError_tPvRmT1_T2_T3_mT4_P12ihipStream_tbEUlT_E0_NS1_11comp_targetILNS1_3genE8ELNS1_11target_archE1030ELNS1_3gpuE2ELNS1_3repE0EEENS1_30default_config_static_selectorELNS0_4arch9wavefront6targetE1EEEvSN_.numbered_sgpr, 0
	.set _ZN7rocprim17ROCPRIM_400000_NS6detail17trampoline_kernelINS0_14default_configENS1_22reduce_config_selectorIiEEZNS1_11reduce_implILb1ES3_N6thrust23THRUST_200600_302600_NS11hip_rocprim35transform_pair_of_input_iterators_tIiPN3c104HalfESD_NS8_12not_equal_toISC_EEEEPiiNS8_4plusIiEEEE10hipError_tPvRmT1_T2_T3_mT4_P12ihipStream_tbEUlT_E0_NS1_11comp_targetILNS1_3genE8ELNS1_11target_archE1030ELNS1_3gpuE2ELNS1_3repE0EEENS1_30default_config_static_selectorELNS0_4arch9wavefront6targetE1EEEvSN_.num_named_barrier, 0
	.set _ZN7rocprim17ROCPRIM_400000_NS6detail17trampoline_kernelINS0_14default_configENS1_22reduce_config_selectorIiEEZNS1_11reduce_implILb1ES3_N6thrust23THRUST_200600_302600_NS11hip_rocprim35transform_pair_of_input_iterators_tIiPN3c104HalfESD_NS8_12not_equal_toISC_EEEEPiiNS8_4plusIiEEEE10hipError_tPvRmT1_T2_T3_mT4_P12ihipStream_tbEUlT_E0_NS1_11comp_targetILNS1_3genE8ELNS1_11target_archE1030ELNS1_3gpuE2ELNS1_3repE0EEENS1_30default_config_static_selectorELNS0_4arch9wavefront6targetE1EEEvSN_.private_seg_size, 0
	.set _ZN7rocprim17ROCPRIM_400000_NS6detail17trampoline_kernelINS0_14default_configENS1_22reduce_config_selectorIiEEZNS1_11reduce_implILb1ES3_N6thrust23THRUST_200600_302600_NS11hip_rocprim35transform_pair_of_input_iterators_tIiPN3c104HalfESD_NS8_12not_equal_toISC_EEEEPiiNS8_4plusIiEEEE10hipError_tPvRmT1_T2_T3_mT4_P12ihipStream_tbEUlT_E0_NS1_11comp_targetILNS1_3genE8ELNS1_11target_archE1030ELNS1_3gpuE2ELNS1_3repE0EEENS1_30default_config_static_selectorELNS0_4arch9wavefront6targetE1EEEvSN_.uses_vcc, 0
	.set _ZN7rocprim17ROCPRIM_400000_NS6detail17trampoline_kernelINS0_14default_configENS1_22reduce_config_selectorIiEEZNS1_11reduce_implILb1ES3_N6thrust23THRUST_200600_302600_NS11hip_rocprim35transform_pair_of_input_iterators_tIiPN3c104HalfESD_NS8_12not_equal_toISC_EEEEPiiNS8_4plusIiEEEE10hipError_tPvRmT1_T2_T3_mT4_P12ihipStream_tbEUlT_E0_NS1_11comp_targetILNS1_3genE8ELNS1_11target_archE1030ELNS1_3gpuE2ELNS1_3repE0EEENS1_30default_config_static_selectorELNS0_4arch9wavefront6targetE1EEEvSN_.uses_flat_scratch, 0
	.set _ZN7rocprim17ROCPRIM_400000_NS6detail17trampoline_kernelINS0_14default_configENS1_22reduce_config_selectorIiEEZNS1_11reduce_implILb1ES3_N6thrust23THRUST_200600_302600_NS11hip_rocprim35transform_pair_of_input_iterators_tIiPN3c104HalfESD_NS8_12not_equal_toISC_EEEEPiiNS8_4plusIiEEEE10hipError_tPvRmT1_T2_T3_mT4_P12ihipStream_tbEUlT_E0_NS1_11comp_targetILNS1_3genE8ELNS1_11target_archE1030ELNS1_3gpuE2ELNS1_3repE0EEENS1_30default_config_static_selectorELNS0_4arch9wavefront6targetE1EEEvSN_.has_dyn_sized_stack, 0
	.set _ZN7rocprim17ROCPRIM_400000_NS6detail17trampoline_kernelINS0_14default_configENS1_22reduce_config_selectorIiEEZNS1_11reduce_implILb1ES3_N6thrust23THRUST_200600_302600_NS11hip_rocprim35transform_pair_of_input_iterators_tIiPN3c104HalfESD_NS8_12not_equal_toISC_EEEEPiiNS8_4plusIiEEEE10hipError_tPvRmT1_T2_T3_mT4_P12ihipStream_tbEUlT_E0_NS1_11comp_targetILNS1_3genE8ELNS1_11target_archE1030ELNS1_3gpuE2ELNS1_3repE0EEENS1_30default_config_static_selectorELNS0_4arch9wavefront6targetE1EEEvSN_.has_recursion, 0
	.set _ZN7rocprim17ROCPRIM_400000_NS6detail17trampoline_kernelINS0_14default_configENS1_22reduce_config_selectorIiEEZNS1_11reduce_implILb1ES3_N6thrust23THRUST_200600_302600_NS11hip_rocprim35transform_pair_of_input_iterators_tIiPN3c104HalfESD_NS8_12not_equal_toISC_EEEEPiiNS8_4plusIiEEEE10hipError_tPvRmT1_T2_T3_mT4_P12ihipStream_tbEUlT_E0_NS1_11comp_targetILNS1_3genE8ELNS1_11target_archE1030ELNS1_3gpuE2ELNS1_3repE0EEENS1_30default_config_static_selectorELNS0_4arch9wavefront6targetE1EEEvSN_.has_indirect_call, 0
	.section	.AMDGPU.csdata,"",@progbits
; Kernel info:
; codeLenInByte = 0
; TotalNumSgprs: 4
; NumVgprs: 0
; ScratchSize: 0
; MemoryBound: 0
; FloatMode: 240
; IeeeMode: 1
; LDSByteSize: 0 bytes/workgroup (compile time only)
; SGPRBlocks: 0
; VGPRBlocks: 0
; NumSGPRsForWavesPerEU: 4
; NumVGPRsForWavesPerEU: 1
; Occupancy: 10
; WaveLimiterHint : 0
; COMPUTE_PGM_RSRC2:SCRATCH_EN: 0
; COMPUTE_PGM_RSRC2:USER_SGPR: 6
; COMPUTE_PGM_RSRC2:TRAP_HANDLER: 0
; COMPUTE_PGM_RSRC2:TGID_X_EN: 1
; COMPUTE_PGM_RSRC2:TGID_Y_EN: 0
; COMPUTE_PGM_RSRC2:TGID_Z_EN: 0
; COMPUTE_PGM_RSRC2:TIDIG_COMP_CNT: 0
	.section	.text._ZN7rocprim17ROCPRIM_400000_NS6detail17trampoline_kernelINS0_14default_configENS1_22reduce_config_selectorIiEEZNS1_11reduce_implILb1ES3_N6thrust23THRUST_200600_302600_NS11hip_rocprim35transform_pair_of_input_iterators_tIiPN3c104HalfESD_NS8_12not_equal_toISC_EEEEPiiNS8_4plusIiEEEE10hipError_tPvRmT1_T2_T3_mT4_P12ihipStream_tbEUlT_E1_NS1_11comp_targetILNS1_3genE0ELNS1_11target_archE4294967295ELNS1_3gpuE0ELNS1_3repE0EEENS1_30default_config_static_selectorELNS0_4arch9wavefront6targetE1EEEvSN_,"axG",@progbits,_ZN7rocprim17ROCPRIM_400000_NS6detail17trampoline_kernelINS0_14default_configENS1_22reduce_config_selectorIiEEZNS1_11reduce_implILb1ES3_N6thrust23THRUST_200600_302600_NS11hip_rocprim35transform_pair_of_input_iterators_tIiPN3c104HalfESD_NS8_12not_equal_toISC_EEEEPiiNS8_4plusIiEEEE10hipError_tPvRmT1_T2_T3_mT4_P12ihipStream_tbEUlT_E1_NS1_11comp_targetILNS1_3genE0ELNS1_11target_archE4294967295ELNS1_3gpuE0ELNS1_3repE0EEENS1_30default_config_static_selectorELNS0_4arch9wavefront6targetE1EEEvSN_,comdat
	.protected	_ZN7rocprim17ROCPRIM_400000_NS6detail17trampoline_kernelINS0_14default_configENS1_22reduce_config_selectorIiEEZNS1_11reduce_implILb1ES3_N6thrust23THRUST_200600_302600_NS11hip_rocprim35transform_pair_of_input_iterators_tIiPN3c104HalfESD_NS8_12not_equal_toISC_EEEEPiiNS8_4plusIiEEEE10hipError_tPvRmT1_T2_T3_mT4_P12ihipStream_tbEUlT_E1_NS1_11comp_targetILNS1_3genE0ELNS1_11target_archE4294967295ELNS1_3gpuE0ELNS1_3repE0EEENS1_30default_config_static_selectorELNS0_4arch9wavefront6targetE1EEEvSN_ ; -- Begin function _ZN7rocprim17ROCPRIM_400000_NS6detail17trampoline_kernelINS0_14default_configENS1_22reduce_config_selectorIiEEZNS1_11reduce_implILb1ES3_N6thrust23THRUST_200600_302600_NS11hip_rocprim35transform_pair_of_input_iterators_tIiPN3c104HalfESD_NS8_12not_equal_toISC_EEEEPiiNS8_4plusIiEEEE10hipError_tPvRmT1_T2_T3_mT4_P12ihipStream_tbEUlT_E1_NS1_11comp_targetILNS1_3genE0ELNS1_11target_archE4294967295ELNS1_3gpuE0ELNS1_3repE0EEENS1_30default_config_static_selectorELNS0_4arch9wavefront6targetE1EEEvSN_
	.globl	_ZN7rocprim17ROCPRIM_400000_NS6detail17trampoline_kernelINS0_14default_configENS1_22reduce_config_selectorIiEEZNS1_11reduce_implILb1ES3_N6thrust23THRUST_200600_302600_NS11hip_rocprim35transform_pair_of_input_iterators_tIiPN3c104HalfESD_NS8_12not_equal_toISC_EEEEPiiNS8_4plusIiEEEE10hipError_tPvRmT1_T2_T3_mT4_P12ihipStream_tbEUlT_E1_NS1_11comp_targetILNS1_3genE0ELNS1_11target_archE4294967295ELNS1_3gpuE0ELNS1_3repE0EEENS1_30default_config_static_selectorELNS0_4arch9wavefront6targetE1EEEvSN_
	.p2align	8
	.type	_ZN7rocprim17ROCPRIM_400000_NS6detail17trampoline_kernelINS0_14default_configENS1_22reduce_config_selectorIiEEZNS1_11reduce_implILb1ES3_N6thrust23THRUST_200600_302600_NS11hip_rocprim35transform_pair_of_input_iterators_tIiPN3c104HalfESD_NS8_12not_equal_toISC_EEEEPiiNS8_4plusIiEEEE10hipError_tPvRmT1_T2_T3_mT4_P12ihipStream_tbEUlT_E1_NS1_11comp_targetILNS1_3genE0ELNS1_11target_archE4294967295ELNS1_3gpuE0ELNS1_3repE0EEENS1_30default_config_static_selectorELNS0_4arch9wavefront6targetE1EEEvSN_,@function
_ZN7rocprim17ROCPRIM_400000_NS6detail17trampoline_kernelINS0_14default_configENS1_22reduce_config_selectorIiEEZNS1_11reduce_implILb1ES3_N6thrust23THRUST_200600_302600_NS11hip_rocprim35transform_pair_of_input_iterators_tIiPN3c104HalfESD_NS8_12not_equal_toISC_EEEEPiiNS8_4plusIiEEEE10hipError_tPvRmT1_T2_T3_mT4_P12ihipStream_tbEUlT_E1_NS1_11comp_targetILNS1_3genE0ELNS1_11target_archE4294967295ELNS1_3gpuE0ELNS1_3repE0EEENS1_30default_config_static_selectorELNS0_4arch9wavefront6targetE1EEEvSN_: ; @_ZN7rocprim17ROCPRIM_400000_NS6detail17trampoline_kernelINS0_14default_configENS1_22reduce_config_selectorIiEEZNS1_11reduce_implILb1ES3_N6thrust23THRUST_200600_302600_NS11hip_rocprim35transform_pair_of_input_iterators_tIiPN3c104HalfESD_NS8_12not_equal_toISC_EEEEPiiNS8_4plusIiEEEE10hipError_tPvRmT1_T2_T3_mT4_P12ihipStream_tbEUlT_E1_NS1_11comp_targetILNS1_3genE0ELNS1_11target_archE4294967295ELNS1_3gpuE0ELNS1_3repE0EEENS1_30default_config_static_selectorELNS0_4arch9wavefront6targetE1EEEvSN_
; %bb.0:
	.section	.rodata,"a",@progbits
	.p2align	6, 0x0
	.amdhsa_kernel _ZN7rocprim17ROCPRIM_400000_NS6detail17trampoline_kernelINS0_14default_configENS1_22reduce_config_selectorIiEEZNS1_11reduce_implILb1ES3_N6thrust23THRUST_200600_302600_NS11hip_rocprim35transform_pair_of_input_iterators_tIiPN3c104HalfESD_NS8_12not_equal_toISC_EEEEPiiNS8_4plusIiEEEE10hipError_tPvRmT1_T2_T3_mT4_P12ihipStream_tbEUlT_E1_NS1_11comp_targetILNS1_3genE0ELNS1_11target_archE4294967295ELNS1_3gpuE0ELNS1_3repE0EEENS1_30default_config_static_selectorELNS0_4arch9wavefront6targetE1EEEvSN_
		.amdhsa_group_segment_fixed_size 0
		.amdhsa_private_segment_fixed_size 0
		.amdhsa_kernarg_size 56
		.amdhsa_user_sgpr_count 6
		.amdhsa_user_sgpr_private_segment_buffer 1
		.amdhsa_user_sgpr_dispatch_ptr 0
		.amdhsa_user_sgpr_queue_ptr 0
		.amdhsa_user_sgpr_kernarg_segment_ptr 1
		.amdhsa_user_sgpr_dispatch_id 0
		.amdhsa_user_sgpr_flat_scratch_init 0
		.amdhsa_user_sgpr_private_segment_size 0
		.amdhsa_uses_dynamic_stack 0
		.amdhsa_system_sgpr_private_segment_wavefront_offset 0
		.amdhsa_system_sgpr_workgroup_id_x 1
		.amdhsa_system_sgpr_workgroup_id_y 0
		.amdhsa_system_sgpr_workgroup_id_z 0
		.amdhsa_system_sgpr_workgroup_info 0
		.amdhsa_system_vgpr_workitem_id 0
		.amdhsa_next_free_vgpr 1
		.amdhsa_next_free_sgpr 0
		.amdhsa_reserve_vcc 0
		.amdhsa_reserve_flat_scratch 0
		.amdhsa_float_round_mode_32 0
		.amdhsa_float_round_mode_16_64 0
		.amdhsa_float_denorm_mode_32 3
		.amdhsa_float_denorm_mode_16_64 3
		.amdhsa_dx10_clamp 1
		.amdhsa_ieee_mode 1
		.amdhsa_fp16_overflow 0
		.amdhsa_exception_fp_ieee_invalid_op 0
		.amdhsa_exception_fp_denorm_src 0
		.amdhsa_exception_fp_ieee_div_zero 0
		.amdhsa_exception_fp_ieee_overflow 0
		.amdhsa_exception_fp_ieee_underflow 0
		.amdhsa_exception_fp_ieee_inexact 0
		.amdhsa_exception_int_div_zero 0
	.end_amdhsa_kernel
	.section	.text._ZN7rocprim17ROCPRIM_400000_NS6detail17trampoline_kernelINS0_14default_configENS1_22reduce_config_selectorIiEEZNS1_11reduce_implILb1ES3_N6thrust23THRUST_200600_302600_NS11hip_rocprim35transform_pair_of_input_iterators_tIiPN3c104HalfESD_NS8_12not_equal_toISC_EEEEPiiNS8_4plusIiEEEE10hipError_tPvRmT1_T2_T3_mT4_P12ihipStream_tbEUlT_E1_NS1_11comp_targetILNS1_3genE0ELNS1_11target_archE4294967295ELNS1_3gpuE0ELNS1_3repE0EEENS1_30default_config_static_selectorELNS0_4arch9wavefront6targetE1EEEvSN_,"axG",@progbits,_ZN7rocprim17ROCPRIM_400000_NS6detail17trampoline_kernelINS0_14default_configENS1_22reduce_config_selectorIiEEZNS1_11reduce_implILb1ES3_N6thrust23THRUST_200600_302600_NS11hip_rocprim35transform_pair_of_input_iterators_tIiPN3c104HalfESD_NS8_12not_equal_toISC_EEEEPiiNS8_4plusIiEEEE10hipError_tPvRmT1_T2_T3_mT4_P12ihipStream_tbEUlT_E1_NS1_11comp_targetILNS1_3genE0ELNS1_11target_archE4294967295ELNS1_3gpuE0ELNS1_3repE0EEENS1_30default_config_static_selectorELNS0_4arch9wavefront6targetE1EEEvSN_,comdat
.Lfunc_end2189:
	.size	_ZN7rocprim17ROCPRIM_400000_NS6detail17trampoline_kernelINS0_14default_configENS1_22reduce_config_selectorIiEEZNS1_11reduce_implILb1ES3_N6thrust23THRUST_200600_302600_NS11hip_rocprim35transform_pair_of_input_iterators_tIiPN3c104HalfESD_NS8_12not_equal_toISC_EEEEPiiNS8_4plusIiEEEE10hipError_tPvRmT1_T2_T3_mT4_P12ihipStream_tbEUlT_E1_NS1_11comp_targetILNS1_3genE0ELNS1_11target_archE4294967295ELNS1_3gpuE0ELNS1_3repE0EEENS1_30default_config_static_selectorELNS0_4arch9wavefront6targetE1EEEvSN_, .Lfunc_end2189-_ZN7rocprim17ROCPRIM_400000_NS6detail17trampoline_kernelINS0_14default_configENS1_22reduce_config_selectorIiEEZNS1_11reduce_implILb1ES3_N6thrust23THRUST_200600_302600_NS11hip_rocprim35transform_pair_of_input_iterators_tIiPN3c104HalfESD_NS8_12not_equal_toISC_EEEEPiiNS8_4plusIiEEEE10hipError_tPvRmT1_T2_T3_mT4_P12ihipStream_tbEUlT_E1_NS1_11comp_targetILNS1_3genE0ELNS1_11target_archE4294967295ELNS1_3gpuE0ELNS1_3repE0EEENS1_30default_config_static_selectorELNS0_4arch9wavefront6targetE1EEEvSN_
                                        ; -- End function
	.set _ZN7rocprim17ROCPRIM_400000_NS6detail17trampoline_kernelINS0_14default_configENS1_22reduce_config_selectorIiEEZNS1_11reduce_implILb1ES3_N6thrust23THRUST_200600_302600_NS11hip_rocprim35transform_pair_of_input_iterators_tIiPN3c104HalfESD_NS8_12not_equal_toISC_EEEEPiiNS8_4plusIiEEEE10hipError_tPvRmT1_T2_T3_mT4_P12ihipStream_tbEUlT_E1_NS1_11comp_targetILNS1_3genE0ELNS1_11target_archE4294967295ELNS1_3gpuE0ELNS1_3repE0EEENS1_30default_config_static_selectorELNS0_4arch9wavefront6targetE1EEEvSN_.num_vgpr, 0
	.set _ZN7rocprim17ROCPRIM_400000_NS6detail17trampoline_kernelINS0_14default_configENS1_22reduce_config_selectorIiEEZNS1_11reduce_implILb1ES3_N6thrust23THRUST_200600_302600_NS11hip_rocprim35transform_pair_of_input_iterators_tIiPN3c104HalfESD_NS8_12not_equal_toISC_EEEEPiiNS8_4plusIiEEEE10hipError_tPvRmT1_T2_T3_mT4_P12ihipStream_tbEUlT_E1_NS1_11comp_targetILNS1_3genE0ELNS1_11target_archE4294967295ELNS1_3gpuE0ELNS1_3repE0EEENS1_30default_config_static_selectorELNS0_4arch9wavefront6targetE1EEEvSN_.num_agpr, 0
	.set _ZN7rocprim17ROCPRIM_400000_NS6detail17trampoline_kernelINS0_14default_configENS1_22reduce_config_selectorIiEEZNS1_11reduce_implILb1ES3_N6thrust23THRUST_200600_302600_NS11hip_rocprim35transform_pair_of_input_iterators_tIiPN3c104HalfESD_NS8_12not_equal_toISC_EEEEPiiNS8_4plusIiEEEE10hipError_tPvRmT1_T2_T3_mT4_P12ihipStream_tbEUlT_E1_NS1_11comp_targetILNS1_3genE0ELNS1_11target_archE4294967295ELNS1_3gpuE0ELNS1_3repE0EEENS1_30default_config_static_selectorELNS0_4arch9wavefront6targetE1EEEvSN_.numbered_sgpr, 0
	.set _ZN7rocprim17ROCPRIM_400000_NS6detail17trampoline_kernelINS0_14default_configENS1_22reduce_config_selectorIiEEZNS1_11reduce_implILb1ES3_N6thrust23THRUST_200600_302600_NS11hip_rocprim35transform_pair_of_input_iterators_tIiPN3c104HalfESD_NS8_12not_equal_toISC_EEEEPiiNS8_4plusIiEEEE10hipError_tPvRmT1_T2_T3_mT4_P12ihipStream_tbEUlT_E1_NS1_11comp_targetILNS1_3genE0ELNS1_11target_archE4294967295ELNS1_3gpuE0ELNS1_3repE0EEENS1_30default_config_static_selectorELNS0_4arch9wavefront6targetE1EEEvSN_.num_named_barrier, 0
	.set _ZN7rocprim17ROCPRIM_400000_NS6detail17trampoline_kernelINS0_14default_configENS1_22reduce_config_selectorIiEEZNS1_11reduce_implILb1ES3_N6thrust23THRUST_200600_302600_NS11hip_rocprim35transform_pair_of_input_iterators_tIiPN3c104HalfESD_NS8_12not_equal_toISC_EEEEPiiNS8_4plusIiEEEE10hipError_tPvRmT1_T2_T3_mT4_P12ihipStream_tbEUlT_E1_NS1_11comp_targetILNS1_3genE0ELNS1_11target_archE4294967295ELNS1_3gpuE0ELNS1_3repE0EEENS1_30default_config_static_selectorELNS0_4arch9wavefront6targetE1EEEvSN_.private_seg_size, 0
	.set _ZN7rocprim17ROCPRIM_400000_NS6detail17trampoline_kernelINS0_14default_configENS1_22reduce_config_selectorIiEEZNS1_11reduce_implILb1ES3_N6thrust23THRUST_200600_302600_NS11hip_rocprim35transform_pair_of_input_iterators_tIiPN3c104HalfESD_NS8_12not_equal_toISC_EEEEPiiNS8_4plusIiEEEE10hipError_tPvRmT1_T2_T3_mT4_P12ihipStream_tbEUlT_E1_NS1_11comp_targetILNS1_3genE0ELNS1_11target_archE4294967295ELNS1_3gpuE0ELNS1_3repE0EEENS1_30default_config_static_selectorELNS0_4arch9wavefront6targetE1EEEvSN_.uses_vcc, 0
	.set _ZN7rocprim17ROCPRIM_400000_NS6detail17trampoline_kernelINS0_14default_configENS1_22reduce_config_selectorIiEEZNS1_11reduce_implILb1ES3_N6thrust23THRUST_200600_302600_NS11hip_rocprim35transform_pair_of_input_iterators_tIiPN3c104HalfESD_NS8_12not_equal_toISC_EEEEPiiNS8_4plusIiEEEE10hipError_tPvRmT1_T2_T3_mT4_P12ihipStream_tbEUlT_E1_NS1_11comp_targetILNS1_3genE0ELNS1_11target_archE4294967295ELNS1_3gpuE0ELNS1_3repE0EEENS1_30default_config_static_selectorELNS0_4arch9wavefront6targetE1EEEvSN_.uses_flat_scratch, 0
	.set _ZN7rocprim17ROCPRIM_400000_NS6detail17trampoline_kernelINS0_14default_configENS1_22reduce_config_selectorIiEEZNS1_11reduce_implILb1ES3_N6thrust23THRUST_200600_302600_NS11hip_rocprim35transform_pair_of_input_iterators_tIiPN3c104HalfESD_NS8_12not_equal_toISC_EEEEPiiNS8_4plusIiEEEE10hipError_tPvRmT1_T2_T3_mT4_P12ihipStream_tbEUlT_E1_NS1_11comp_targetILNS1_3genE0ELNS1_11target_archE4294967295ELNS1_3gpuE0ELNS1_3repE0EEENS1_30default_config_static_selectorELNS0_4arch9wavefront6targetE1EEEvSN_.has_dyn_sized_stack, 0
	.set _ZN7rocprim17ROCPRIM_400000_NS6detail17trampoline_kernelINS0_14default_configENS1_22reduce_config_selectorIiEEZNS1_11reduce_implILb1ES3_N6thrust23THRUST_200600_302600_NS11hip_rocprim35transform_pair_of_input_iterators_tIiPN3c104HalfESD_NS8_12not_equal_toISC_EEEEPiiNS8_4plusIiEEEE10hipError_tPvRmT1_T2_T3_mT4_P12ihipStream_tbEUlT_E1_NS1_11comp_targetILNS1_3genE0ELNS1_11target_archE4294967295ELNS1_3gpuE0ELNS1_3repE0EEENS1_30default_config_static_selectorELNS0_4arch9wavefront6targetE1EEEvSN_.has_recursion, 0
	.set _ZN7rocprim17ROCPRIM_400000_NS6detail17trampoline_kernelINS0_14default_configENS1_22reduce_config_selectorIiEEZNS1_11reduce_implILb1ES3_N6thrust23THRUST_200600_302600_NS11hip_rocprim35transform_pair_of_input_iterators_tIiPN3c104HalfESD_NS8_12not_equal_toISC_EEEEPiiNS8_4plusIiEEEE10hipError_tPvRmT1_T2_T3_mT4_P12ihipStream_tbEUlT_E1_NS1_11comp_targetILNS1_3genE0ELNS1_11target_archE4294967295ELNS1_3gpuE0ELNS1_3repE0EEENS1_30default_config_static_selectorELNS0_4arch9wavefront6targetE1EEEvSN_.has_indirect_call, 0
	.section	.AMDGPU.csdata,"",@progbits
; Kernel info:
; codeLenInByte = 0
; TotalNumSgprs: 4
; NumVgprs: 0
; ScratchSize: 0
; MemoryBound: 0
; FloatMode: 240
; IeeeMode: 1
; LDSByteSize: 0 bytes/workgroup (compile time only)
; SGPRBlocks: 0
; VGPRBlocks: 0
; NumSGPRsForWavesPerEU: 4
; NumVGPRsForWavesPerEU: 1
; Occupancy: 10
; WaveLimiterHint : 0
; COMPUTE_PGM_RSRC2:SCRATCH_EN: 0
; COMPUTE_PGM_RSRC2:USER_SGPR: 6
; COMPUTE_PGM_RSRC2:TRAP_HANDLER: 0
; COMPUTE_PGM_RSRC2:TGID_X_EN: 1
; COMPUTE_PGM_RSRC2:TGID_Y_EN: 0
; COMPUTE_PGM_RSRC2:TGID_Z_EN: 0
; COMPUTE_PGM_RSRC2:TIDIG_COMP_CNT: 0
	.section	.text._ZN7rocprim17ROCPRIM_400000_NS6detail17trampoline_kernelINS0_14default_configENS1_22reduce_config_selectorIiEEZNS1_11reduce_implILb1ES3_N6thrust23THRUST_200600_302600_NS11hip_rocprim35transform_pair_of_input_iterators_tIiPN3c104HalfESD_NS8_12not_equal_toISC_EEEEPiiNS8_4plusIiEEEE10hipError_tPvRmT1_T2_T3_mT4_P12ihipStream_tbEUlT_E1_NS1_11comp_targetILNS1_3genE5ELNS1_11target_archE942ELNS1_3gpuE9ELNS1_3repE0EEENS1_30default_config_static_selectorELNS0_4arch9wavefront6targetE1EEEvSN_,"axG",@progbits,_ZN7rocprim17ROCPRIM_400000_NS6detail17trampoline_kernelINS0_14default_configENS1_22reduce_config_selectorIiEEZNS1_11reduce_implILb1ES3_N6thrust23THRUST_200600_302600_NS11hip_rocprim35transform_pair_of_input_iterators_tIiPN3c104HalfESD_NS8_12not_equal_toISC_EEEEPiiNS8_4plusIiEEEE10hipError_tPvRmT1_T2_T3_mT4_P12ihipStream_tbEUlT_E1_NS1_11comp_targetILNS1_3genE5ELNS1_11target_archE942ELNS1_3gpuE9ELNS1_3repE0EEENS1_30default_config_static_selectorELNS0_4arch9wavefront6targetE1EEEvSN_,comdat
	.protected	_ZN7rocprim17ROCPRIM_400000_NS6detail17trampoline_kernelINS0_14default_configENS1_22reduce_config_selectorIiEEZNS1_11reduce_implILb1ES3_N6thrust23THRUST_200600_302600_NS11hip_rocprim35transform_pair_of_input_iterators_tIiPN3c104HalfESD_NS8_12not_equal_toISC_EEEEPiiNS8_4plusIiEEEE10hipError_tPvRmT1_T2_T3_mT4_P12ihipStream_tbEUlT_E1_NS1_11comp_targetILNS1_3genE5ELNS1_11target_archE942ELNS1_3gpuE9ELNS1_3repE0EEENS1_30default_config_static_selectorELNS0_4arch9wavefront6targetE1EEEvSN_ ; -- Begin function _ZN7rocprim17ROCPRIM_400000_NS6detail17trampoline_kernelINS0_14default_configENS1_22reduce_config_selectorIiEEZNS1_11reduce_implILb1ES3_N6thrust23THRUST_200600_302600_NS11hip_rocprim35transform_pair_of_input_iterators_tIiPN3c104HalfESD_NS8_12not_equal_toISC_EEEEPiiNS8_4plusIiEEEE10hipError_tPvRmT1_T2_T3_mT4_P12ihipStream_tbEUlT_E1_NS1_11comp_targetILNS1_3genE5ELNS1_11target_archE942ELNS1_3gpuE9ELNS1_3repE0EEENS1_30default_config_static_selectorELNS0_4arch9wavefront6targetE1EEEvSN_
	.globl	_ZN7rocprim17ROCPRIM_400000_NS6detail17trampoline_kernelINS0_14default_configENS1_22reduce_config_selectorIiEEZNS1_11reduce_implILb1ES3_N6thrust23THRUST_200600_302600_NS11hip_rocprim35transform_pair_of_input_iterators_tIiPN3c104HalfESD_NS8_12not_equal_toISC_EEEEPiiNS8_4plusIiEEEE10hipError_tPvRmT1_T2_T3_mT4_P12ihipStream_tbEUlT_E1_NS1_11comp_targetILNS1_3genE5ELNS1_11target_archE942ELNS1_3gpuE9ELNS1_3repE0EEENS1_30default_config_static_selectorELNS0_4arch9wavefront6targetE1EEEvSN_
	.p2align	8
	.type	_ZN7rocprim17ROCPRIM_400000_NS6detail17trampoline_kernelINS0_14default_configENS1_22reduce_config_selectorIiEEZNS1_11reduce_implILb1ES3_N6thrust23THRUST_200600_302600_NS11hip_rocprim35transform_pair_of_input_iterators_tIiPN3c104HalfESD_NS8_12not_equal_toISC_EEEEPiiNS8_4plusIiEEEE10hipError_tPvRmT1_T2_T3_mT4_P12ihipStream_tbEUlT_E1_NS1_11comp_targetILNS1_3genE5ELNS1_11target_archE942ELNS1_3gpuE9ELNS1_3repE0EEENS1_30default_config_static_selectorELNS0_4arch9wavefront6targetE1EEEvSN_,@function
_ZN7rocprim17ROCPRIM_400000_NS6detail17trampoline_kernelINS0_14default_configENS1_22reduce_config_selectorIiEEZNS1_11reduce_implILb1ES3_N6thrust23THRUST_200600_302600_NS11hip_rocprim35transform_pair_of_input_iterators_tIiPN3c104HalfESD_NS8_12not_equal_toISC_EEEEPiiNS8_4plusIiEEEE10hipError_tPvRmT1_T2_T3_mT4_P12ihipStream_tbEUlT_E1_NS1_11comp_targetILNS1_3genE5ELNS1_11target_archE942ELNS1_3gpuE9ELNS1_3repE0EEENS1_30default_config_static_selectorELNS0_4arch9wavefront6targetE1EEEvSN_: ; @_ZN7rocprim17ROCPRIM_400000_NS6detail17trampoline_kernelINS0_14default_configENS1_22reduce_config_selectorIiEEZNS1_11reduce_implILb1ES3_N6thrust23THRUST_200600_302600_NS11hip_rocprim35transform_pair_of_input_iterators_tIiPN3c104HalfESD_NS8_12not_equal_toISC_EEEEPiiNS8_4plusIiEEEE10hipError_tPvRmT1_T2_T3_mT4_P12ihipStream_tbEUlT_E1_NS1_11comp_targetILNS1_3genE5ELNS1_11target_archE942ELNS1_3gpuE9ELNS1_3repE0EEENS1_30default_config_static_selectorELNS0_4arch9wavefront6targetE1EEEvSN_
; %bb.0:
	.section	.rodata,"a",@progbits
	.p2align	6, 0x0
	.amdhsa_kernel _ZN7rocprim17ROCPRIM_400000_NS6detail17trampoline_kernelINS0_14default_configENS1_22reduce_config_selectorIiEEZNS1_11reduce_implILb1ES3_N6thrust23THRUST_200600_302600_NS11hip_rocprim35transform_pair_of_input_iterators_tIiPN3c104HalfESD_NS8_12not_equal_toISC_EEEEPiiNS8_4plusIiEEEE10hipError_tPvRmT1_T2_T3_mT4_P12ihipStream_tbEUlT_E1_NS1_11comp_targetILNS1_3genE5ELNS1_11target_archE942ELNS1_3gpuE9ELNS1_3repE0EEENS1_30default_config_static_selectorELNS0_4arch9wavefront6targetE1EEEvSN_
		.amdhsa_group_segment_fixed_size 0
		.amdhsa_private_segment_fixed_size 0
		.amdhsa_kernarg_size 56
		.amdhsa_user_sgpr_count 6
		.amdhsa_user_sgpr_private_segment_buffer 1
		.amdhsa_user_sgpr_dispatch_ptr 0
		.amdhsa_user_sgpr_queue_ptr 0
		.amdhsa_user_sgpr_kernarg_segment_ptr 1
		.amdhsa_user_sgpr_dispatch_id 0
		.amdhsa_user_sgpr_flat_scratch_init 0
		.amdhsa_user_sgpr_private_segment_size 0
		.amdhsa_uses_dynamic_stack 0
		.amdhsa_system_sgpr_private_segment_wavefront_offset 0
		.amdhsa_system_sgpr_workgroup_id_x 1
		.amdhsa_system_sgpr_workgroup_id_y 0
		.amdhsa_system_sgpr_workgroup_id_z 0
		.amdhsa_system_sgpr_workgroup_info 0
		.amdhsa_system_vgpr_workitem_id 0
		.amdhsa_next_free_vgpr 1
		.amdhsa_next_free_sgpr 0
		.amdhsa_reserve_vcc 0
		.amdhsa_reserve_flat_scratch 0
		.amdhsa_float_round_mode_32 0
		.amdhsa_float_round_mode_16_64 0
		.amdhsa_float_denorm_mode_32 3
		.amdhsa_float_denorm_mode_16_64 3
		.amdhsa_dx10_clamp 1
		.amdhsa_ieee_mode 1
		.amdhsa_fp16_overflow 0
		.amdhsa_exception_fp_ieee_invalid_op 0
		.amdhsa_exception_fp_denorm_src 0
		.amdhsa_exception_fp_ieee_div_zero 0
		.amdhsa_exception_fp_ieee_overflow 0
		.amdhsa_exception_fp_ieee_underflow 0
		.amdhsa_exception_fp_ieee_inexact 0
		.amdhsa_exception_int_div_zero 0
	.end_amdhsa_kernel
	.section	.text._ZN7rocprim17ROCPRIM_400000_NS6detail17trampoline_kernelINS0_14default_configENS1_22reduce_config_selectorIiEEZNS1_11reduce_implILb1ES3_N6thrust23THRUST_200600_302600_NS11hip_rocprim35transform_pair_of_input_iterators_tIiPN3c104HalfESD_NS8_12not_equal_toISC_EEEEPiiNS8_4plusIiEEEE10hipError_tPvRmT1_T2_T3_mT4_P12ihipStream_tbEUlT_E1_NS1_11comp_targetILNS1_3genE5ELNS1_11target_archE942ELNS1_3gpuE9ELNS1_3repE0EEENS1_30default_config_static_selectorELNS0_4arch9wavefront6targetE1EEEvSN_,"axG",@progbits,_ZN7rocprim17ROCPRIM_400000_NS6detail17trampoline_kernelINS0_14default_configENS1_22reduce_config_selectorIiEEZNS1_11reduce_implILb1ES3_N6thrust23THRUST_200600_302600_NS11hip_rocprim35transform_pair_of_input_iterators_tIiPN3c104HalfESD_NS8_12not_equal_toISC_EEEEPiiNS8_4plusIiEEEE10hipError_tPvRmT1_T2_T3_mT4_P12ihipStream_tbEUlT_E1_NS1_11comp_targetILNS1_3genE5ELNS1_11target_archE942ELNS1_3gpuE9ELNS1_3repE0EEENS1_30default_config_static_selectorELNS0_4arch9wavefront6targetE1EEEvSN_,comdat
.Lfunc_end2190:
	.size	_ZN7rocprim17ROCPRIM_400000_NS6detail17trampoline_kernelINS0_14default_configENS1_22reduce_config_selectorIiEEZNS1_11reduce_implILb1ES3_N6thrust23THRUST_200600_302600_NS11hip_rocprim35transform_pair_of_input_iterators_tIiPN3c104HalfESD_NS8_12not_equal_toISC_EEEEPiiNS8_4plusIiEEEE10hipError_tPvRmT1_T2_T3_mT4_P12ihipStream_tbEUlT_E1_NS1_11comp_targetILNS1_3genE5ELNS1_11target_archE942ELNS1_3gpuE9ELNS1_3repE0EEENS1_30default_config_static_selectorELNS0_4arch9wavefront6targetE1EEEvSN_, .Lfunc_end2190-_ZN7rocprim17ROCPRIM_400000_NS6detail17trampoline_kernelINS0_14default_configENS1_22reduce_config_selectorIiEEZNS1_11reduce_implILb1ES3_N6thrust23THRUST_200600_302600_NS11hip_rocprim35transform_pair_of_input_iterators_tIiPN3c104HalfESD_NS8_12not_equal_toISC_EEEEPiiNS8_4plusIiEEEE10hipError_tPvRmT1_T2_T3_mT4_P12ihipStream_tbEUlT_E1_NS1_11comp_targetILNS1_3genE5ELNS1_11target_archE942ELNS1_3gpuE9ELNS1_3repE0EEENS1_30default_config_static_selectorELNS0_4arch9wavefront6targetE1EEEvSN_
                                        ; -- End function
	.set _ZN7rocprim17ROCPRIM_400000_NS6detail17trampoline_kernelINS0_14default_configENS1_22reduce_config_selectorIiEEZNS1_11reduce_implILb1ES3_N6thrust23THRUST_200600_302600_NS11hip_rocprim35transform_pair_of_input_iterators_tIiPN3c104HalfESD_NS8_12not_equal_toISC_EEEEPiiNS8_4plusIiEEEE10hipError_tPvRmT1_T2_T3_mT4_P12ihipStream_tbEUlT_E1_NS1_11comp_targetILNS1_3genE5ELNS1_11target_archE942ELNS1_3gpuE9ELNS1_3repE0EEENS1_30default_config_static_selectorELNS0_4arch9wavefront6targetE1EEEvSN_.num_vgpr, 0
	.set _ZN7rocprim17ROCPRIM_400000_NS6detail17trampoline_kernelINS0_14default_configENS1_22reduce_config_selectorIiEEZNS1_11reduce_implILb1ES3_N6thrust23THRUST_200600_302600_NS11hip_rocprim35transform_pair_of_input_iterators_tIiPN3c104HalfESD_NS8_12not_equal_toISC_EEEEPiiNS8_4plusIiEEEE10hipError_tPvRmT1_T2_T3_mT4_P12ihipStream_tbEUlT_E1_NS1_11comp_targetILNS1_3genE5ELNS1_11target_archE942ELNS1_3gpuE9ELNS1_3repE0EEENS1_30default_config_static_selectorELNS0_4arch9wavefront6targetE1EEEvSN_.num_agpr, 0
	.set _ZN7rocprim17ROCPRIM_400000_NS6detail17trampoline_kernelINS0_14default_configENS1_22reduce_config_selectorIiEEZNS1_11reduce_implILb1ES3_N6thrust23THRUST_200600_302600_NS11hip_rocprim35transform_pair_of_input_iterators_tIiPN3c104HalfESD_NS8_12not_equal_toISC_EEEEPiiNS8_4plusIiEEEE10hipError_tPvRmT1_T2_T3_mT4_P12ihipStream_tbEUlT_E1_NS1_11comp_targetILNS1_3genE5ELNS1_11target_archE942ELNS1_3gpuE9ELNS1_3repE0EEENS1_30default_config_static_selectorELNS0_4arch9wavefront6targetE1EEEvSN_.numbered_sgpr, 0
	.set _ZN7rocprim17ROCPRIM_400000_NS6detail17trampoline_kernelINS0_14default_configENS1_22reduce_config_selectorIiEEZNS1_11reduce_implILb1ES3_N6thrust23THRUST_200600_302600_NS11hip_rocprim35transform_pair_of_input_iterators_tIiPN3c104HalfESD_NS8_12not_equal_toISC_EEEEPiiNS8_4plusIiEEEE10hipError_tPvRmT1_T2_T3_mT4_P12ihipStream_tbEUlT_E1_NS1_11comp_targetILNS1_3genE5ELNS1_11target_archE942ELNS1_3gpuE9ELNS1_3repE0EEENS1_30default_config_static_selectorELNS0_4arch9wavefront6targetE1EEEvSN_.num_named_barrier, 0
	.set _ZN7rocprim17ROCPRIM_400000_NS6detail17trampoline_kernelINS0_14default_configENS1_22reduce_config_selectorIiEEZNS1_11reduce_implILb1ES3_N6thrust23THRUST_200600_302600_NS11hip_rocprim35transform_pair_of_input_iterators_tIiPN3c104HalfESD_NS8_12not_equal_toISC_EEEEPiiNS8_4plusIiEEEE10hipError_tPvRmT1_T2_T3_mT4_P12ihipStream_tbEUlT_E1_NS1_11comp_targetILNS1_3genE5ELNS1_11target_archE942ELNS1_3gpuE9ELNS1_3repE0EEENS1_30default_config_static_selectorELNS0_4arch9wavefront6targetE1EEEvSN_.private_seg_size, 0
	.set _ZN7rocprim17ROCPRIM_400000_NS6detail17trampoline_kernelINS0_14default_configENS1_22reduce_config_selectorIiEEZNS1_11reduce_implILb1ES3_N6thrust23THRUST_200600_302600_NS11hip_rocprim35transform_pair_of_input_iterators_tIiPN3c104HalfESD_NS8_12not_equal_toISC_EEEEPiiNS8_4plusIiEEEE10hipError_tPvRmT1_T2_T3_mT4_P12ihipStream_tbEUlT_E1_NS1_11comp_targetILNS1_3genE5ELNS1_11target_archE942ELNS1_3gpuE9ELNS1_3repE0EEENS1_30default_config_static_selectorELNS0_4arch9wavefront6targetE1EEEvSN_.uses_vcc, 0
	.set _ZN7rocprim17ROCPRIM_400000_NS6detail17trampoline_kernelINS0_14default_configENS1_22reduce_config_selectorIiEEZNS1_11reduce_implILb1ES3_N6thrust23THRUST_200600_302600_NS11hip_rocprim35transform_pair_of_input_iterators_tIiPN3c104HalfESD_NS8_12not_equal_toISC_EEEEPiiNS8_4plusIiEEEE10hipError_tPvRmT1_T2_T3_mT4_P12ihipStream_tbEUlT_E1_NS1_11comp_targetILNS1_3genE5ELNS1_11target_archE942ELNS1_3gpuE9ELNS1_3repE0EEENS1_30default_config_static_selectorELNS0_4arch9wavefront6targetE1EEEvSN_.uses_flat_scratch, 0
	.set _ZN7rocprim17ROCPRIM_400000_NS6detail17trampoline_kernelINS0_14default_configENS1_22reduce_config_selectorIiEEZNS1_11reduce_implILb1ES3_N6thrust23THRUST_200600_302600_NS11hip_rocprim35transform_pair_of_input_iterators_tIiPN3c104HalfESD_NS8_12not_equal_toISC_EEEEPiiNS8_4plusIiEEEE10hipError_tPvRmT1_T2_T3_mT4_P12ihipStream_tbEUlT_E1_NS1_11comp_targetILNS1_3genE5ELNS1_11target_archE942ELNS1_3gpuE9ELNS1_3repE0EEENS1_30default_config_static_selectorELNS0_4arch9wavefront6targetE1EEEvSN_.has_dyn_sized_stack, 0
	.set _ZN7rocprim17ROCPRIM_400000_NS6detail17trampoline_kernelINS0_14default_configENS1_22reduce_config_selectorIiEEZNS1_11reduce_implILb1ES3_N6thrust23THRUST_200600_302600_NS11hip_rocprim35transform_pair_of_input_iterators_tIiPN3c104HalfESD_NS8_12not_equal_toISC_EEEEPiiNS8_4plusIiEEEE10hipError_tPvRmT1_T2_T3_mT4_P12ihipStream_tbEUlT_E1_NS1_11comp_targetILNS1_3genE5ELNS1_11target_archE942ELNS1_3gpuE9ELNS1_3repE0EEENS1_30default_config_static_selectorELNS0_4arch9wavefront6targetE1EEEvSN_.has_recursion, 0
	.set _ZN7rocprim17ROCPRIM_400000_NS6detail17trampoline_kernelINS0_14default_configENS1_22reduce_config_selectorIiEEZNS1_11reduce_implILb1ES3_N6thrust23THRUST_200600_302600_NS11hip_rocprim35transform_pair_of_input_iterators_tIiPN3c104HalfESD_NS8_12not_equal_toISC_EEEEPiiNS8_4plusIiEEEE10hipError_tPvRmT1_T2_T3_mT4_P12ihipStream_tbEUlT_E1_NS1_11comp_targetILNS1_3genE5ELNS1_11target_archE942ELNS1_3gpuE9ELNS1_3repE0EEENS1_30default_config_static_selectorELNS0_4arch9wavefront6targetE1EEEvSN_.has_indirect_call, 0
	.section	.AMDGPU.csdata,"",@progbits
; Kernel info:
; codeLenInByte = 0
; TotalNumSgprs: 4
; NumVgprs: 0
; ScratchSize: 0
; MemoryBound: 0
; FloatMode: 240
; IeeeMode: 1
; LDSByteSize: 0 bytes/workgroup (compile time only)
; SGPRBlocks: 0
; VGPRBlocks: 0
; NumSGPRsForWavesPerEU: 4
; NumVGPRsForWavesPerEU: 1
; Occupancy: 10
; WaveLimiterHint : 0
; COMPUTE_PGM_RSRC2:SCRATCH_EN: 0
; COMPUTE_PGM_RSRC2:USER_SGPR: 6
; COMPUTE_PGM_RSRC2:TRAP_HANDLER: 0
; COMPUTE_PGM_RSRC2:TGID_X_EN: 1
; COMPUTE_PGM_RSRC2:TGID_Y_EN: 0
; COMPUTE_PGM_RSRC2:TGID_Z_EN: 0
; COMPUTE_PGM_RSRC2:TIDIG_COMP_CNT: 0
	.section	.text._ZN7rocprim17ROCPRIM_400000_NS6detail17trampoline_kernelINS0_14default_configENS1_22reduce_config_selectorIiEEZNS1_11reduce_implILb1ES3_N6thrust23THRUST_200600_302600_NS11hip_rocprim35transform_pair_of_input_iterators_tIiPN3c104HalfESD_NS8_12not_equal_toISC_EEEEPiiNS8_4plusIiEEEE10hipError_tPvRmT1_T2_T3_mT4_P12ihipStream_tbEUlT_E1_NS1_11comp_targetILNS1_3genE4ELNS1_11target_archE910ELNS1_3gpuE8ELNS1_3repE0EEENS1_30default_config_static_selectorELNS0_4arch9wavefront6targetE1EEEvSN_,"axG",@progbits,_ZN7rocprim17ROCPRIM_400000_NS6detail17trampoline_kernelINS0_14default_configENS1_22reduce_config_selectorIiEEZNS1_11reduce_implILb1ES3_N6thrust23THRUST_200600_302600_NS11hip_rocprim35transform_pair_of_input_iterators_tIiPN3c104HalfESD_NS8_12not_equal_toISC_EEEEPiiNS8_4plusIiEEEE10hipError_tPvRmT1_T2_T3_mT4_P12ihipStream_tbEUlT_E1_NS1_11comp_targetILNS1_3genE4ELNS1_11target_archE910ELNS1_3gpuE8ELNS1_3repE0EEENS1_30default_config_static_selectorELNS0_4arch9wavefront6targetE1EEEvSN_,comdat
	.protected	_ZN7rocprim17ROCPRIM_400000_NS6detail17trampoline_kernelINS0_14default_configENS1_22reduce_config_selectorIiEEZNS1_11reduce_implILb1ES3_N6thrust23THRUST_200600_302600_NS11hip_rocprim35transform_pair_of_input_iterators_tIiPN3c104HalfESD_NS8_12not_equal_toISC_EEEEPiiNS8_4plusIiEEEE10hipError_tPvRmT1_T2_T3_mT4_P12ihipStream_tbEUlT_E1_NS1_11comp_targetILNS1_3genE4ELNS1_11target_archE910ELNS1_3gpuE8ELNS1_3repE0EEENS1_30default_config_static_selectorELNS0_4arch9wavefront6targetE1EEEvSN_ ; -- Begin function _ZN7rocprim17ROCPRIM_400000_NS6detail17trampoline_kernelINS0_14default_configENS1_22reduce_config_selectorIiEEZNS1_11reduce_implILb1ES3_N6thrust23THRUST_200600_302600_NS11hip_rocprim35transform_pair_of_input_iterators_tIiPN3c104HalfESD_NS8_12not_equal_toISC_EEEEPiiNS8_4plusIiEEEE10hipError_tPvRmT1_T2_T3_mT4_P12ihipStream_tbEUlT_E1_NS1_11comp_targetILNS1_3genE4ELNS1_11target_archE910ELNS1_3gpuE8ELNS1_3repE0EEENS1_30default_config_static_selectorELNS0_4arch9wavefront6targetE1EEEvSN_
	.globl	_ZN7rocprim17ROCPRIM_400000_NS6detail17trampoline_kernelINS0_14default_configENS1_22reduce_config_selectorIiEEZNS1_11reduce_implILb1ES3_N6thrust23THRUST_200600_302600_NS11hip_rocprim35transform_pair_of_input_iterators_tIiPN3c104HalfESD_NS8_12not_equal_toISC_EEEEPiiNS8_4plusIiEEEE10hipError_tPvRmT1_T2_T3_mT4_P12ihipStream_tbEUlT_E1_NS1_11comp_targetILNS1_3genE4ELNS1_11target_archE910ELNS1_3gpuE8ELNS1_3repE0EEENS1_30default_config_static_selectorELNS0_4arch9wavefront6targetE1EEEvSN_
	.p2align	8
	.type	_ZN7rocprim17ROCPRIM_400000_NS6detail17trampoline_kernelINS0_14default_configENS1_22reduce_config_selectorIiEEZNS1_11reduce_implILb1ES3_N6thrust23THRUST_200600_302600_NS11hip_rocprim35transform_pair_of_input_iterators_tIiPN3c104HalfESD_NS8_12not_equal_toISC_EEEEPiiNS8_4plusIiEEEE10hipError_tPvRmT1_T2_T3_mT4_P12ihipStream_tbEUlT_E1_NS1_11comp_targetILNS1_3genE4ELNS1_11target_archE910ELNS1_3gpuE8ELNS1_3repE0EEENS1_30default_config_static_selectorELNS0_4arch9wavefront6targetE1EEEvSN_,@function
_ZN7rocprim17ROCPRIM_400000_NS6detail17trampoline_kernelINS0_14default_configENS1_22reduce_config_selectorIiEEZNS1_11reduce_implILb1ES3_N6thrust23THRUST_200600_302600_NS11hip_rocprim35transform_pair_of_input_iterators_tIiPN3c104HalfESD_NS8_12not_equal_toISC_EEEEPiiNS8_4plusIiEEEE10hipError_tPvRmT1_T2_T3_mT4_P12ihipStream_tbEUlT_E1_NS1_11comp_targetILNS1_3genE4ELNS1_11target_archE910ELNS1_3gpuE8ELNS1_3repE0EEENS1_30default_config_static_selectorELNS0_4arch9wavefront6targetE1EEEvSN_: ; @_ZN7rocprim17ROCPRIM_400000_NS6detail17trampoline_kernelINS0_14default_configENS1_22reduce_config_selectorIiEEZNS1_11reduce_implILb1ES3_N6thrust23THRUST_200600_302600_NS11hip_rocprim35transform_pair_of_input_iterators_tIiPN3c104HalfESD_NS8_12not_equal_toISC_EEEEPiiNS8_4plusIiEEEE10hipError_tPvRmT1_T2_T3_mT4_P12ihipStream_tbEUlT_E1_NS1_11comp_targetILNS1_3genE4ELNS1_11target_archE910ELNS1_3gpuE8ELNS1_3repE0EEENS1_30default_config_static_selectorELNS0_4arch9wavefront6targetE1EEEvSN_
; %bb.0:
	.section	.rodata,"a",@progbits
	.p2align	6, 0x0
	.amdhsa_kernel _ZN7rocprim17ROCPRIM_400000_NS6detail17trampoline_kernelINS0_14default_configENS1_22reduce_config_selectorIiEEZNS1_11reduce_implILb1ES3_N6thrust23THRUST_200600_302600_NS11hip_rocprim35transform_pair_of_input_iterators_tIiPN3c104HalfESD_NS8_12not_equal_toISC_EEEEPiiNS8_4plusIiEEEE10hipError_tPvRmT1_T2_T3_mT4_P12ihipStream_tbEUlT_E1_NS1_11comp_targetILNS1_3genE4ELNS1_11target_archE910ELNS1_3gpuE8ELNS1_3repE0EEENS1_30default_config_static_selectorELNS0_4arch9wavefront6targetE1EEEvSN_
		.amdhsa_group_segment_fixed_size 0
		.amdhsa_private_segment_fixed_size 0
		.amdhsa_kernarg_size 56
		.amdhsa_user_sgpr_count 6
		.amdhsa_user_sgpr_private_segment_buffer 1
		.amdhsa_user_sgpr_dispatch_ptr 0
		.amdhsa_user_sgpr_queue_ptr 0
		.amdhsa_user_sgpr_kernarg_segment_ptr 1
		.amdhsa_user_sgpr_dispatch_id 0
		.amdhsa_user_sgpr_flat_scratch_init 0
		.amdhsa_user_sgpr_private_segment_size 0
		.amdhsa_uses_dynamic_stack 0
		.amdhsa_system_sgpr_private_segment_wavefront_offset 0
		.amdhsa_system_sgpr_workgroup_id_x 1
		.amdhsa_system_sgpr_workgroup_id_y 0
		.amdhsa_system_sgpr_workgroup_id_z 0
		.amdhsa_system_sgpr_workgroup_info 0
		.amdhsa_system_vgpr_workitem_id 0
		.amdhsa_next_free_vgpr 1
		.amdhsa_next_free_sgpr 0
		.amdhsa_reserve_vcc 0
		.amdhsa_reserve_flat_scratch 0
		.amdhsa_float_round_mode_32 0
		.amdhsa_float_round_mode_16_64 0
		.amdhsa_float_denorm_mode_32 3
		.amdhsa_float_denorm_mode_16_64 3
		.amdhsa_dx10_clamp 1
		.amdhsa_ieee_mode 1
		.amdhsa_fp16_overflow 0
		.amdhsa_exception_fp_ieee_invalid_op 0
		.amdhsa_exception_fp_denorm_src 0
		.amdhsa_exception_fp_ieee_div_zero 0
		.amdhsa_exception_fp_ieee_overflow 0
		.amdhsa_exception_fp_ieee_underflow 0
		.amdhsa_exception_fp_ieee_inexact 0
		.amdhsa_exception_int_div_zero 0
	.end_amdhsa_kernel
	.section	.text._ZN7rocprim17ROCPRIM_400000_NS6detail17trampoline_kernelINS0_14default_configENS1_22reduce_config_selectorIiEEZNS1_11reduce_implILb1ES3_N6thrust23THRUST_200600_302600_NS11hip_rocprim35transform_pair_of_input_iterators_tIiPN3c104HalfESD_NS8_12not_equal_toISC_EEEEPiiNS8_4plusIiEEEE10hipError_tPvRmT1_T2_T3_mT4_P12ihipStream_tbEUlT_E1_NS1_11comp_targetILNS1_3genE4ELNS1_11target_archE910ELNS1_3gpuE8ELNS1_3repE0EEENS1_30default_config_static_selectorELNS0_4arch9wavefront6targetE1EEEvSN_,"axG",@progbits,_ZN7rocprim17ROCPRIM_400000_NS6detail17trampoline_kernelINS0_14default_configENS1_22reduce_config_selectorIiEEZNS1_11reduce_implILb1ES3_N6thrust23THRUST_200600_302600_NS11hip_rocprim35transform_pair_of_input_iterators_tIiPN3c104HalfESD_NS8_12not_equal_toISC_EEEEPiiNS8_4plusIiEEEE10hipError_tPvRmT1_T2_T3_mT4_P12ihipStream_tbEUlT_E1_NS1_11comp_targetILNS1_3genE4ELNS1_11target_archE910ELNS1_3gpuE8ELNS1_3repE0EEENS1_30default_config_static_selectorELNS0_4arch9wavefront6targetE1EEEvSN_,comdat
.Lfunc_end2191:
	.size	_ZN7rocprim17ROCPRIM_400000_NS6detail17trampoline_kernelINS0_14default_configENS1_22reduce_config_selectorIiEEZNS1_11reduce_implILb1ES3_N6thrust23THRUST_200600_302600_NS11hip_rocprim35transform_pair_of_input_iterators_tIiPN3c104HalfESD_NS8_12not_equal_toISC_EEEEPiiNS8_4plusIiEEEE10hipError_tPvRmT1_T2_T3_mT4_P12ihipStream_tbEUlT_E1_NS1_11comp_targetILNS1_3genE4ELNS1_11target_archE910ELNS1_3gpuE8ELNS1_3repE0EEENS1_30default_config_static_selectorELNS0_4arch9wavefront6targetE1EEEvSN_, .Lfunc_end2191-_ZN7rocprim17ROCPRIM_400000_NS6detail17trampoline_kernelINS0_14default_configENS1_22reduce_config_selectorIiEEZNS1_11reduce_implILb1ES3_N6thrust23THRUST_200600_302600_NS11hip_rocprim35transform_pair_of_input_iterators_tIiPN3c104HalfESD_NS8_12not_equal_toISC_EEEEPiiNS8_4plusIiEEEE10hipError_tPvRmT1_T2_T3_mT4_P12ihipStream_tbEUlT_E1_NS1_11comp_targetILNS1_3genE4ELNS1_11target_archE910ELNS1_3gpuE8ELNS1_3repE0EEENS1_30default_config_static_selectorELNS0_4arch9wavefront6targetE1EEEvSN_
                                        ; -- End function
	.set _ZN7rocprim17ROCPRIM_400000_NS6detail17trampoline_kernelINS0_14default_configENS1_22reduce_config_selectorIiEEZNS1_11reduce_implILb1ES3_N6thrust23THRUST_200600_302600_NS11hip_rocprim35transform_pair_of_input_iterators_tIiPN3c104HalfESD_NS8_12not_equal_toISC_EEEEPiiNS8_4plusIiEEEE10hipError_tPvRmT1_T2_T3_mT4_P12ihipStream_tbEUlT_E1_NS1_11comp_targetILNS1_3genE4ELNS1_11target_archE910ELNS1_3gpuE8ELNS1_3repE0EEENS1_30default_config_static_selectorELNS0_4arch9wavefront6targetE1EEEvSN_.num_vgpr, 0
	.set _ZN7rocprim17ROCPRIM_400000_NS6detail17trampoline_kernelINS0_14default_configENS1_22reduce_config_selectorIiEEZNS1_11reduce_implILb1ES3_N6thrust23THRUST_200600_302600_NS11hip_rocprim35transform_pair_of_input_iterators_tIiPN3c104HalfESD_NS8_12not_equal_toISC_EEEEPiiNS8_4plusIiEEEE10hipError_tPvRmT1_T2_T3_mT4_P12ihipStream_tbEUlT_E1_NS1_11comp_targetILNS1_3genE4ELNS1_11target_archE910ELNS1_3gpuE8ELNS1_3repE0EEENS1_30default_config_static_selectorELNS0_4arch9wavefront6targetE1EEEvSN_.num_agpr, 0
	.set _ZN7rocprim17ROCPRIM_400000_NS6detail17trampoline_kernelINS0_14default_configENS1_22reduce_config_selectorIiEEZNS1_11reduce_implILb1ES3_N6thrust23THRUST_200600_302600_NS11hip_rocprim35transform_pair_of_input_iterators_tIiPN3c104HalfESD_NS8_12not_equal_toISC_EEEEPiiNS8_4plusIiEEEE10hipError_tPvRmT1_T2_T3_mT4_P12ihipStream_tbEUlT_E1_NS1_11comp_targetILNS1_3genE4ELNS1_11target_archE910ELNS1_3gpuE8ELNS1_3repE0EEENS1_30default_config_static_selectorELNS0_4arch9wavefront6targetE1EEEvSN_.numbered_sgpr, 0
	.set _ZN7rocprim17ROCPRIM_400000_NS6detail17trampoline_kernelINS0_14default_configENS1_22reduce_config_selectorIiEEZNS1_11reduce_implILb1ES3_N6thrust23THRUST_200600_302600_NS11hip_rocprim35transform_pair_of_input_iterators_tIiPN3c104HalfESD_NS8_12not_equal_toISC_EEEEPiiNS8_4plusIiEEEE10hipError_tPvRmT1_T2_T3_mT4_P12ihipStream_tbEUlT_E1_NS1_11comp_targetILNS1_3genE4ELNS1_11target_archE910ELNS1_3gpuE8ELNS1_3repE0EEENS1_30default_config_static_selectorELNS0_4arch9wavefront6targetE1EEEvSN_.num_named_barrier, 0
	.set _ZN7rocprim17ROCPRIM_400000_NS6detail17trampoline_kernelINS0_14default_configENS1_22reduce_config_selectorIiEEZNS1_11reduce_implILb1ES3_N6thrust23THRUST_200600_302600_NS11hip_rocprim35transform_pair_of_input_iterators_tIiPN3c104HalfESD_NS8_12not_equal_toISC_EEEEPiiNS8_4plusIiEEEE10hipError_tPvRmT1_T2_T3_mT4_P12ihipStream_tbEUlT_E1_NS1_11comp_targetILNS1_3genE4ELNS1_11target_archE910ELNS1_3gpuE8ELNS1_3repE0EEENS1_30default_config_static_selectorELNS0_4arch9wavefront6targetE1EEEvSN_.private_seg_size, 0
	.set _ZN7rocprim17ROCPRIM_400000_NS6detail17trampoline_kernelINS0_14default_configENS1_22reduce_config_selectorIiEEZNS1_11reduce_implILb1ES3_N6thrust23THRUST_200600_302600_NS11hip_rocprim35transform_pair_of_input_iterators_tIiPN3c104HalfESD_NS8_12not_equal_toISC_EEEEPiiNS8_4plusIiEEEE10hipError_tPvRmT1_T2_T3_mT4_P12ihipStream_tbEUlT_E1_NS1_11comp_targetILNS1_3genE4ELNS1_11target_archE910ELNS1_3gpuE8ELNS1_3repE0EEENS1_30default_config_static_selectorELNS0_4arch9wavefront6targetE1EEEvSN_.uses_vcc, 0
	.set _ZN7rocprim17ROCPRIM_400000_NS6detail17trampoline_kernelINS0_14default_configENS1_22reduce_config_selectorIiEEZNS1_11reduce_implILb1ES3_N6thrust23THRUST_200600_302600_NS11hip_rocprim35transform_pair_of_input_iterators_tIiPN3c104HalfESD_NS8_12not_equal_toISC_EEEEPiiNS8_4plusIiEEEE10hipError_tPvRmT1_T2_T3_mT4_P12ihipStream_tbEUlT_E1_NS1_11comp_targetILNS1_3genE4ELNS1_11target_archE910ELNS1_3gpuE8ELNS1_3repE0EEENS1_30default_config_static_selectorELNS0_4arch9wavefront6targetE1EEEvSN_.uses_flat_scratch, 0
	.set _ZN7rocprim17ROCPRIM_400000_NS6detail17trampoline_kernelINS0_14default_configENS1_22reduce_config_selectorIiEEZNS1_11reduce_implILb1ES3_N6thrust23THRUST_200600_302600_NS11hip_rocprim35transform_pair_of_input_iterators_tIiPN3c104HalfESD_NS8_12not_equal_toISC_EEEEPiiNS8_4plusIiEEEE10hipError_tPvRmT1_T2_T3_mT4_P12ihipStream_tbEUlT_E1_NS1_11comp_targetILNS1_3genE4ELNS1_11target_archE910ELNS1_3gpuE8ELNS1_3repE0EEENS1_30default_config_static_selectorELNS0_4arch9wavefront6targetE1EEEvSN_.has_dyn_sized_stack, 0
	.set _ZN7rocprim17ROCPRIM_400000_NS6detail17trampoline_kernelINS0_14default_configENS1_22reduce_config_selectorIiEEZNS1_11reduce_implILb1ES3_N6thrust23THRUST_200600_302600_NS11hip_rocprim35transform_pair_of_input_iterators_tIiPN3c104HalfESD_NS8_12not_equal_toISC_EEEEPiiNS8_4plusIiEEEE10hipError_tPvRmT1_T2_T3_mT4_P12ihipStream_tbEUlT_E1_NS1_11comp_targetILNS1_3genE4ELNS1_11target_archE910ELNS1_3gpuE8ELNS1_3repE0EEENS1_30default_config_static_selectorELNS0_4arch9wavefront6targetE1EEEvSN_.has_recursion, 0
	.set _ZN7rocprim17ROCPRIM_400000_NS6detail17trampoline_kernelINS0_14default_configENS1_22reduce_config_selectorIiEEZNS1_11reduce_implILb1ES3_N6thrust23THRUST_200600_302600_NS11hip_rocprim35transform_pair_of_input_iterators_tIiPN3c104HalfESD_NS8_12not_equal_toISC_EEEEPiiNS8_4plusIiEEEE10hipError_tPvRmT1_T2_T3_mT4_P12ihipStream_tbEUlT_E1_NS1_11comp_targetILNS1_3genE4ELNS1_11target_archE910ELNS1_3gpuE8ELNS1_3repE0EEENS1_30default_config_static_selectorELNS0_4arch9wavefront6targetE1EEEvSN_.has_indirect_call, 0
	.section	.AMDGPU.csdata,"",@progbits
; Kernel info:
; codeLenInByte = 0
; TotalNumSgprs: 4
; NumVgprs: 0
; ScratchSize: 0
; MemoryBound: 0
; FloatMode: 240
; IeeeMode: 1
; LDSByteSize: 0 bytes/workgroup (compile time only)
; SGPRBlocks: 0
; VGPRBlocks: 0
; NumSGPRsForWavesPerEU: 4
; NumVGPRsForWavesPerEU: 1
; Occupancy: 10
; WaveLimiterHint : 0
; COMPUTE_PGM_RSRC2:SCRATCH_EN: 0
; COMPUTE_PGM_RSRC2:USER_SGPR: 6
; COMPUTE_PGM_RSRC2:TRAP_HANDLER: 0
; COMPUTE_PGM_RSRC2:TGID_X_EN: 1
; COMPUTE_PGM_RSRC2:TGID_Y_EN: 0
; COMPUTE_PGM_RSRC2:TGID_Z_EN: 0
; COMPUTE_PGM_RSRC2:TIDIG_COMP_CNT: 0
	.section	.text._ZN7rocprim17ROCPRIM_400000_NS6detail17trampoline_kernelINS0_14default_configENS1_22reduce_config_selectorIiEEZNS1_11reduce_implILb1ES3_N6thrust23THRUST_200600_302600_NS11hip_rocprim35transform_pair_of_input_iterators_tIiPN3c104HalfESD_NS8_12not_equal_toISC_EEEEPiiNS8_4plusIiEEEE10hipError_tPvRmT1_T2_T3_mT4_P12ihipStream_tbEUlT_E1_NS1_11comp_targetILNS1_3genE3ELNS1_11target_archE908ELNS1_3gpuE7ELNS1_3repE0EEENS1_30default_config_static_selectorELNS0_4arch9wavefront6targetE1EEEvSN_,"axG",@progbits,_ZN7rocprim17ROCPRIM_400000_NS6detail17trampoline_kernelINS0_14default_configENS1_22reduce_config_selectorIiEEZNS1_11reduce_implILb1ES3_N6thrust23THRUST_200600_302600_NS11hip_rocprim35transform_pair_of_input_iterators_tIiPN3c104HalfESD_NS8_12not_equal_toISC_EEEEPiiNS8_4plusIiEEEE10hipError_tPvRmT1_T2_T3_mT4_P12ihipStream_tbEUlT_E1_NS1_11comp_targetILNS1_3genE3ELNS1_11target_archE908ELNS1_3gpuE7ELNS1_3repE0EEENS1_30default_config_static_selectorELNS0_4arch9wavefront6targetE1EEEvSN_,comdat
	.protected	_ZN7rocprim17ROCPRIM_400000_NS6detail17trampoline_kernelINS0_14default_configENS1_22reduce_config_selectorIiEEZNS1_11reduce_implILb1ES3_N6thrust23THRUST_200600_302600_NS11hip_rocprim35transform_pair_of_input_iterators_tIiPN3c104HalfESD_NS8_12not_equal_toISC_EEEEPiiNS8_4plusIiEEEE10hipError_tPvRmT1_T2_T3_mT4_P12ihipStream_tbEUlT_E1_NS1_11comp_targetILNS1_3genE3ELNS1_11target_archE908ELNS1_3gpuE7ELNS1_3repE0EEENS1_30default_config_static_selectorELNS0_4arch9wavefront6targetE1EEEvSN_ ; -- Begin function _ZN7rocprim17ROCPRIM_400000_NS6detail17trampoline_kernelINS0_14default_configENS1_22reduce_config_selectorIiEEZNS1_11reduce_implILb1ES3_N6thrust23THRUST_200600_302600_NS11hip_rocprim35transform_pair_of_input_iterators_tIiPN3c104HalfESD_NS8_12not_equal_toISC_EEEEPiiNS8_4plusIiEEEE10hipError_tPvRmT1_T2_T3_mT4_P12ihipStream_tbEUlT_E1_NS1_11comp_targetILNS1_3genE3ELNS1_11target_archE908ELNS1_3gpuE7ELNS1_3repE0EEENS1_30default_config_static_selectorELNS0_4arch9wavefront6targetE1EEEvSN_
	.globl	_ZN7rocprim17ROCPRIM_400000_NS6detail17trampoline_kernelINS0_14default_configENS1_22reduce_config_selectorIiEEZNS1_11reduce_implILb1ES3_N6thrust23THRUST_200600_302600_NS11hip_rocprim35transform_pair_of_input_iterators_tIiPN3c104HalfESD_NS8_12not_equal_toISC_EEEEPiiNS8_4plusIiEEEE10hipError_tPvRmT1_T2_T3_mT4_P12ihipStream_tbEUlT_E1_NS1_11comp_targetILNS1_3genE3ELNS1_11target_archE908ELNS1_3gpuE7ELNS1_3repE0EEENS1_30default_config_static_selectorELNS0_4arch9wavefront6targetE1EEEvSN_
	.p2align	8
	.type	_ZN7rocprim17ROCPRIM_400000_NS6detail17trampoline_kernelINS0_14default_configENS1_22reduce_config_selectorIiEEZNS1_11reduce_implILb1ES3_N6thrust23THRUST_200600_302600_NS11hip_rocprim35transform_pair_of_input_iterators_tIiPN3c104HalfESD_NS8_12not_equal_toISC_EEEEPiiNS8_4plusIiEEEE10hipError_tPvRmT1_T2_T3_mT4_P12ihipStream_tbEUlT_E1_NS1_11comp_targetILNS1_3genE3ELNS1_11target_archE908ELNS1_3gpuE7ELNS1_3repE0EEENS1_30default_config_static_selectorELNS0_4arch9wavefront6targetE1EEEvSN_,@function
_ZN7rocprim17ROCPRIM_400000_NS6detail17trampoline_kernelINS0_14default_configENS1_22reduce_config_selectorIiEEZNS1_11reduce_implILb1ES3_N6thrust23THRUST_200600_302600_NS11hip_rocprim35transform_pair_of_input_iterators_tIiPN3c104HalfESD_NS8_12not_equal_toISC_EEEEPiiNS8_4plusIiEEEE10hipError_tPvRmT1_T2_T3_mT4_P12ihipStream_tbEUlT_E1_NS1_11comp_targetILNS1_3genE3ELNS1_11target_archE908ELNS1_3gpuE7ELNS1_3repE0EEENS1_30default_config_static_selectorELNS0_4arch9wavefront6targetE1EEEvSN_: ; @_ZN7rocprim17ROCPRIM_400000_NS6detail17trampoline_kernelINS0_14default_configENS1_22reduce_config_selectorIiEEZNS1_11reduce_implILb1ES3_N6thrust23THRUST_200600_302600_NS11hip_rocprim35transform_pair_of_input_iterators_tIiPN3c104HalfESD_NS8_12not_equal_toISC_EEEEPiiNS8_4plusIiEEEE10hipError_tPvRmT1_T2_T3_mT4_P12ihipStream_tbEUlT_E1_NS1_11comp_targetILNS1_3genE3ELNS1_11target_archE908ELNS1_3gpuE7ELNS1_3repE0EEENS1_30default_config_static_selectorELNS0_4arch9wavefront6targetE1EEEvSN_
; %bb.0:
	.section	.rodata,"a",@progbits
	.p2align	6, 0x0
	.amdhsa_kernel _ZN7rocprim17ROCPRIM_400000_NS6detail17trampoline_kernelINS0_14default_configENS1_22reduce_config_selectorIiEEZNS1_11reduce_implILb1ES3_N6thrust23THRUST_200600_302600_NS11hip_rocprim35transform_pair_of_input_iterators_tIiPN3c104HalfESD_NS8_12not_equal_toISC_EEEEPiiNS8_4plusIiEEEE10hipError_tPvRmT1_T2_T3_mT4_P12ihipStream_tbEUlT_E1_NS1_11comp_targetILNS1_3genE3ELNS1_11target_archE908ELNS1_3gpuE7ELNS1_3repE0EEENS1_30default_config_static_selectorELNS0_4arch9wavefront6targetE1EEEvSN_
		.amdhsa_group_segment_fixed_size 0
		.amdhsa_private_segment_fixed_size 0
		.amdhsa_kernarg_size 56
		.amdhsa_user_sgpr_count 6
		.amdhsa_user_sgpr_private_segment_buffer 1
		.amdhsa_user_sgpr_dispatch_ptr 0
		.amdhsa_user_sgpr_queue_ptr 0
		.amdhsa_user_sgpr_kernarg_segment_ptr 1
		.amdhsa_user_sgpr_dispatch_id 0
		.amdhsa_user_sgpr_flat_scratch_init 0
		.amdhsa_user_sgpr_private_segment_size 0
		.amdhsa_uses_dynamic_stack 0
		.amdhsa_system_sgpr_private_segment_wavefront_offset 0
		.amdhsa_system_sgpr_workgroup_id_x 1
		.amdhsa_system_sgpr_workgroup_id_y 0
		.amdhsa_system_sgpr_workgroup_id_z 0
		.amdhsa_system_sgpr_workgroup_info 0
		.amdhsa_system_vgpr_workitem_id 0
		.amdhsa_next_free_vgpr 1
		.amdhsa_next_free_sgpr 0
		.amdhsa_reserve_vcc 0
		.amdhsa_reserve_flat_scratch 0
		.amdhsa_float_round_mode_32 0
		.amdhsa_float_round_mode_16_64 0
		.amdhsa_float_denorm_mode_32 3
		.amdhsa_float_denorm_mode_16_64 3
		.amdhsa_dx10_clamp 1
		.amdhsa_ieee_mode 1
		.amdhsa_fp16_overflow 0
		.amdhsa_exception_fp_ieee_invalid_op 0
		.amdhsa_exception_fp_denorm_src 0
		.amdhsa_exception_fp_ieee_div_zero 0
		.amdhsa_exception_fp_ieee_overflow 0
		.amdhsa_exception_fp_ieee_underflow 0
		.amdhsa_exception_fp_ieee_inexact 0
		.amdhsa_exception_int_div_zero 0
	.end_amdhsa_kernel
	.section	.text._ZN7rocprim17ROCPRIM_400000_NS6detail17trampoline_kernelINS0_14default_configENS1_22reduce_config_selectorIiEEZNS1_11reduce_implILb1ES3_N6thrust23THRUST_200600_302600_NS11hip_rocprim35transform_pair_of_input_iterators_tIiPN3c104HalfESD_NS8_12not_equal_toISC_EEEEPiiNS8_4plusIiEEEE10hipError_tPvRmT1_T2_T3_mT4_P12ihipStream_tbEUlT_E1_NS1_11comp_targetILNS1_3genE3ELNS1_11target_archE908ELNS1_3gpuE7ELNS1_3repE0EEENS1_30default_config_static_selectorELNS0_4arch9wavefront6targetE1EEEvSN_,"axG",@progbits,_ZN7rocprim17ROCPRIM_400000_NS6detail17trampoline_kernelINS0_14default_configENS1_22reduce_config_selectorIiEEZNS1_11reduce_implILb1ES3_N6thrust23THRUST_200600_302600_NS11hip_rocprim35transform_pair_of_input_iterators_tIiPN3c104HalfESD_NS8_12not_equal_toISC_EEEEPiiNS8_4plusIiEEEE10hipError_tPvRmT1_T2_T3_mT4_P12ihipStream_tbEUlT_E1_NS1_11comp_targetILNS1_3genE3ELNS1_11target_archE908ELNS1_3gpuE7ELNS1_3repE0EEENS1_30default_config_static_selectorELNS0_4arch9wavefront6targetE1EEEvSN_,comdat
.Lfunc_end2192:
	.size	_ZN7rocprim17ROCPRIM_400000_NS6detail17trampoline_kernelINS0_14default_configENS1_22reduce_config_selectorIiEEZNS1_11reduce_implILb1ES3_N6thrust23THRUST_200600_302600_NS11hip_rocprim35transform_pair_of_input_iterators_tIiPN3c104HalfESD_NS8_12not_equal_toISC_EEEEPiiNS8_4plusIiEEEE10hipError_tPvRmT1_T2_T3_mT4_P12ihipStream_tbEUlT_E1_NS1_11comp_targetILNS1_3genE3ELNS1_11target_archE908ELNS1_3gpuE7ELNS1_3repE0EEENS1_30default_config_static_selectorELNS0_4arch9wavefront6targetE1EEEvSN_, .Lfunc_end2192-_ZN7rocprim17ROCPRIM_400000_NS6detail17trampoline_kernelINS0_14default_configENS1_22reduce_config_selectorIiEEZNS1_11reduce_implILb1ES3_N6thrust23THRUST_200600_302600_NS11hip_rocprim35transform_pair_of_input_iterators_tIiPN3c104HalfESD_NS8_12not_equal_toISC_EEEEPiiNS8_4plusIiEEEE10hipError_tPvRmT1_T2_T3_mT4_P12ihipStream_tbEUlT_E1_NS1_11comp_targetILNS1_3genE3ELNS1_11target_archE908ELNS1_3gpuE7ELNS1_3repE0EEENS1_30default_config_static_selectorELNS0_4arch9wavefront6targetE1EEEvSN_
                                        ; -- End function
	.set _ZN7rocprim17ROCPRIM_400000_NS6detail17trampoline_kernelINS0_14default_configENS1_22reduce_config_selectorIiEEZNS1_11reduce_implILb1ES3_N6thrust23THRUST_200600_302600_NS11hip_rocprim35transform_pair_of_input_iterators_tIiPN3c104HalfESD_NS8_12not_equal_toISC_EEEEPiiNS8_4plusIiEEEE10hipError_tPvRmT1_T2_T3_mT4_P12ihipStream_tbEUlT_E1_NS1_11comp_targetILNS1_3genE3ELNS1_11target_archE908ELNS1_3gpuE7ELNS1_3repE0EEENS1_30default_config_static_selectorELNS0_4arch9wavefront6targetE1EEEvSN_.num_vgpr, 0
	.set _ZN7rocprim17ROCPRIM_400000_NS6detail17trampoline_kernelINS0_14default_configENS1_22reduce_config_selectorIiEEZNS1_11reduce_implILb1ES3_N6thrust23THRUST_200600_302600_NS11hip_rocprim35transform_pair_of_input_iterators_tIiPN3c104HalfESD_NS8_12not_equal_toISC_EEEEPiiNS8_4plusIiEEEE10hipError_tPvRmT1_T2_T3_mT4_P12ihipStream_tbEUlT_E1_NS1_11comp_targetILNS1_3genE3ELNS1_11target_archE908ELNS1_3gpuE7ELNS1_3repE0EEENS1_30default_config_static_selectorELNS0_4arch9wavefront6targetE1EEEvSN_.num_agpr, 0
	.set _ZN7rocprim17ROCPRIM_400000_NS6detail17trampoline_kernelINS0_14default_configENS1_22reduce_config_selectorIiEEZNS1_11reduce_implILb1ES3_N6thrust23THRUST_200600_302600_NS11hip_rocprim35transform_pair_of_input_iterators_tIiPN3c104HalfESD_NS8_12not_equal_toISC_EEEEPiiNS8_4plusIiEEEE10hipError_tPvRmT1_T2_T3_mT4_P12ihipStream_tbEUlT_E1_NS1_11comp_targetILNS1_3genE3ELNS1_11target_archE908ELNS1_3gpuE7ELNS1_3repE0EEENS1_30default_config_static_selectorELNS0_4arch9wavefront6targetE1EEEvSN_.numbered_sgpr, 0
	.set _ZN7rocprim17ROCPRIM_400000_NS6detail17trampoline_kernelINS0_14default_configENS1_22reduce_config_selectorIiEEZNS1_11reduce_implILb1ES3_N6thrust23THRUST_200600_302600_NS11hip_rocprim35transform_pair_of_input_iterators_tIiPN3c104HalfESD_NS8_12not_equal_toISC_EEEEPiiNS8_4plusIiEEEE10hipError_tPvRmT1_T2_T3_mT4_P12ihipStream_tbEUlT_E1_NS1_11comp_targetILNS1_3genE3ELNS1_11target_archE908ELNS1_3gpuE7ELNS1_3repE0EEENS1_30default_config_static_selectorELNS0_4arch9wavefront6targetE1EEEvSN_.num_named_barrier, 0
	.set _ZN7rocprim17ROCPRIM_400000_NS6detail17trampoline_kernelINS0_14default_configENS1_22reduce_config_selectorIiEEZNS1_11reduce_implILb1ES3_N6thrust23THRUST_200600_302600_NS11hip_rocprim35transform_pair_of_input_iterators_tIiPN3c104HalfESD_NS8_12not_equal_toISC_EEEEPiiNS8_4plusIiEEEE10hipError_tPvRmT1_T2_T3_mT4_P12ihipStream_tbEUlT_E1_NS1_11comp_targetILNS1_3genE3ELNS1_11target_archE908ELNS1_3gpuE7ELNS1_3repE0EEENS1_30default_config_static_selectorELNS0_4arch9wavefront6targetE1EEEvSN_.private_seg_size, 0
	.set _ZN7rocprim17ROCPRIM_400000_NS6detail17trampoline_kernelINS0_14default_configENS1_22reduce_config_selectorIiEEZNS1_11reduce_implILb1ES3_N6thrust23THRUST_200600_302600_NS11hip_rocprim35transform_pair_of_input_iterators_tIiPN3c104HalfESD_NS8_12not_equal_toISC_EEEEPiiNS8_4plusIiEEEE10hipError_tPvRmT1_T2_T3_mT4_P12ihipStream_tbEUlT_E1_NS1_11comp_targetILNS1_3genE3ELNS1_11target_archE908ELNS1_3gpuE7ELNS1_3repE0EEENS1_30default_config_static_selectorELNS0_4arch9wavefront6targetE1EEEvSN_.uses_vcc, 0
	.set _ZN7rocprim17ROCPRIM_400000_NS6detail17trampoline_kernelINS0_14default_configENS1_22reduce_config_selectorIiEEZNS1_11reduce_implILb1ES3_N6thrust23THRUST_200600_302600_NS11hip_rocprim35transform_pair_of_input_iterators_tIiPN3c104HalfESD_NS8_12not_equal_toISC_EEEEPiiNS8_4plusIiEEEE10hipError_tPvRmT1_T2_T3_mT4_P12ihipStream_tbEUlT_E1_NS1_11comp_targetILNS1_3genE3ELNS1_11target_archE908ELNS1_3gpuE7ELNS1_3repE0EEENS1_30default_config_static_selectorELNS0_4arch9wavefront6targetE1EEEvSN_.uses_flat_scratch, 0
	.set _ZN7rocprim17ROCPRIM_400000_NS6detail17trampoline_kernelINS0_14default_configENS1_22reduce_config_selectorIiEEZNS1_11reduce_implILb1ES3_N6thrust23THRUST_200600_302600_NS11hip_rocprim35transform_pair_of_input_iterators_tIiPN3c104HalfESD_NS8_12not_equal_toISC_EEEEPiiNS8_4plusIiEEEE10hipError_tPvRmT1_T2_T3_mT4_P12ihipStream_tbEUlT_E1_NS1_11comp_targetILNS1_3genE3ELNS1_11target_archE908ELNS1_3gpuE7ELNS1_3repE0EEENS1_30default_config_static_selectorELNS0_4arch9wavefront6targetE1EEEvSN_.has_dyn_sized_stack, 0
	.set _ZN7rocprim17ROCPRIM_400000_NS6detail17trampoline_kernelINS0_14default_configENS1_22reduce_config_selectorIiEEZNS1_11reduce_implILb1ES3_N6thrust23THRUST_200600_302600_NS11hip_rocprim35transform_pair_of_input_iterators_tIiPN3c104HalfESD_NS8_12not_equal_toISC_EEEEPiiNS8_4plusIiEEEE10hipError_tPvRmT1_T2_T3_mT4_P12ihipStream_tbEUlT_E1_NS1_11comp_targetILNS1_3genE3ELNS1_11target_archE908ELNS1_3gpuE7ELNS1_3repE0EEENS1_30default_config_static_selectorELNS0_4arch9wavefront6targetE1EEEvSN_.has_recursion, 0
	.set _ZN7rocprim17ROCPRIM_400000_NS6detail17trampoline_kernelINS0_14default_configENS1_22reduce_config_selectorIiEEZNS1_11reduce_implILb1ES3_N6thrust23THRUST_200600_302600_NS11hip_rocprim35transform_pair_of_input_iterators_tIiPN3c104HalfESD_NS8_12not_equal_toISC_EEEEPiiNS8_4plusIiEEEE10hipError_tPvRmT1_T2_T3_mT4_P12ihipStream_tbEUlT_E1_NS1_11comp_targetILNS1_3genE3ELNS1_11target_archE908ELNS1_3gpuE7ELNS1_3repE0EEENS1_30default_config_static_selectorELNS0_4arch9wavefront6targetE1EEEvSN_.has_indirect_call, 0
	.section	.AMDGPU.csdata,"",@progbits
; Kernel info:
; codeLenInByte = 0
; TotalNumSgprs: 4
; NumVgprs: 0
; ScratchSize: 0
; MemoryBound: 0
; FloatMode: 240
; IeeeMode: 1
; LDSByteSize: 0 bytes/workgroup (compile time only)
; SGPRBlocks: 0
; VGPRBlocks: 0
; NumSGPRsForWavesPerEU: 4
; NumVGPRsForWavesPerEU: 1
; Occupancy: 10
; WaveLimiterHint : 0
; COMPUTE_PGM_RSRC2:SCRATCH_EN: 0
; COMPUTE_PGM_RSRC2:USER_SGPR: 6
; COMPUTE_PGM_RSRC2:TRAP_HANDLER: 0
; COMPUTE_PGM_RSRC2:TGID_X_EN: 1
; COMPUTE_PGM_RSRC2:TGID_Y_EN: 0
; COMPUTE_PGM_RSRC2:TGID_Z_EN: 0
; COMPUTE_PGM_RSRC2:TIDIG_COMP_CNT: 0
	.section	.text._ZN7rocprim17ROCPRIM_400000_NS6detail17trampoline_kernelINS0_14default_configENS1_22reduce_config_selectorIiEEZNS1_11reduce_implILb1ES3_N6thrust23THRUST_200600_302600_NS11hip_rocprim35transform_pair_of_input_iterators_tIiPN3c104HalfESD_NS8_12not_equal_toISC_EEEEPiiNS8_4plusIiEEEE10hipError_tPvRmT1_T2_T3_mT4_P12ihipStream_tbEUlT_E1_NS1_11comp_targetILNS1_3genE2ELNS1_11target_archE906ELNS1_3gpuE6ELNS1_3repE0EEENS1_30default_config_static_selectorELNS0_4arch9wavefront6targetE1EEEvSN_,"axG",@progbits,_ZN7rocprim17ROCPRIM_400000_NS6detail17trampoline_kernelINS0_14default_configENS1_22reduce_config_selectorIiEEZNS1_11reduce_implILb1ES3_N6thrust23THRUST_200600_302600_NS11hip_rocprim35transform_pair_of_input_iterators_tIiPN3c104HalfESD_NS8_12not_equal_toISC_EEEEPiiNS8_4plusIiEEEE10hipError_tPvRmT1_T2_T3_mT4_P12ihipStream_tbEUlT_E1_NS1_11comp_targetILNS1_3genE2ELNS1_11target_archE906ELNS1_3gpuE6ELNS1_3repE0EEENS1_30default_config_static_selectorELNS0_4arch9wavefront6targetE1EEEvSN_,comdat
	.protected	_ZN7rocprim17ROCPRIM_400000_NS6detail17trampoline_kernelINS0_14default_configENS1_22reduce_config_selectorIiEEZNS1_11reduce_implILb1ES3_N6thrust23THRUST_200600_302600_NS11hip_rocprim35transform_pair_of_input_iterators_tIiPN3c104HalfESD_NS8_12not_equal_toISC_EEEEPiiNS8_4plusIiEEEE10hipError_tPvRmT1_T2_T3_mT4_P12ihipStream_tbEUlT_E1_NS1_11comp_targetILNS1_3genE2ELNS1_11target_archE906ELNS1_3gpuE6ELNS1_3repE0EEENS1_30default_config_static_selectorELNS0_4arch9wavefront6targetE1EEEvSN_ ; -- Begin function _ZN7rocprim17ROCPRIM_400000_NS6detail17trampoline_kernelINS0_14default_configENS1_22reduce_config_selectorIiEEZNS1_11reduce_implILb1ES3_N6thrust23THRUST_200600_302600_NS11hip_rocprim35transform_pair_of_input_iterators_tIiPN3c104HalfESD_NS8_12not_equal_toISC_EEEEPiiNS8_4plusIiEEEE10hipError_tPvRmT1_T2_T3_mT4_P12ihipStream_tbEUlT_E1_NS1_11comp_targetILNS1_3genE2ELNS1_11target_archE906ELNS1_3gpuE6ELNS1_3repE0EEENS1_30default_config_static_selectorELNS0_4arch9wavefront6targetE1EEEvSN_
	.globl	_ZN7rocprim17ROCPRIM_400000_NS6detail17trampoline_kernelINS0_14default_configENS1_22reduce_config_selectorIiEEZNS1_11reduce_implILb1ES3_N6thrust23THRUST_200600_302600_NS11hip_rocprim35transform_pair_of_input_iterators_tIiPN3c104HalfESD_NS8_12not_equal_toISC_EEEEPiiNS8_4plusIiEEEE10hipError_tPvRmT1_T2_T3_mT4_P12ihipStream_tbEUlT_E1_NS1_11comp_targetILNS1_3genE2ELNS1_11target_archE906ELNS1_3gpuE6ELNS1_3repE0EEENS1_30default_config_static_selectorELNS0_4arch9wavefront6targetE1EEEvSN_
	.p2align	8
	.type	_ZN7rocprim17ROCPRIM_400000_NS6detail17trampoline_kernelINS0_14default_configENS1_22reduce_config_selectorIiEEZNS1_11reduce_implILb1ES3_N6thrust23THRUST_200600_302600_NS11hip_rocprim35transform_pair_of_input_iterators_tIiPN3c104HalfESD_NS8_12not_equal_toISC_EEEEPiiNS8_4plusIiEEEE10hipError_tPvRmT1_T2_T3_mT4_P12ihipStream_tbEUlT_E1_NS1_11comp_targetILNS1_3genE2ELNS1_11target_archE906ELNS1_3gpuE6ELNS1_3repE0EEENS1_30default_config_static_selectorELNS0_4arch9wavefront6targetE1EEEvSN_,@function
_ZN7rocprim17ROCPRIM_400000_NS6detail17trampoline_kernelINS0_14default_configENS1_22reduce_config_selectorIiEEZNS1_11reduce_implILb1ES3_N6thrust23THRUST_200600_302600_NS11hip_rocprim35transform_pair_of_input_iterators_tIiPN3c104HalfESD_NS8_12not_equal_toISC_EEEEPiiNS8_4plusIiEEEE10hipError_tPvRmT1_T2_T3_mT4_P12ihipStream_tbEUlT_E1_NS1_11comp_targetILNS1_3genE2ELNS1_11target_archE906ELNS1_3gpuE6ELNS1_3repE0EEENS1_30default_config_static_selectorELNS0_4arch9wavefront6targetE1EEEvSN_: ; @_ZN7rocprim17ROCPRIM_400000_NS6detail17trampoline_kernelINS0_14default_configENS1_22reduce_config_selectorIiEEZNS1_11reduce_implILb1ES3_N6thrust23THRUST_200600_302600_NS11hip_rocprim35transform_pair_of_input_iterators_tIiPN3c104HalfESD_NS8_12not_equal_toISC_EEEEPiiNS8_4plusIiEEEE10hipError_tPvRmT1_T2_T3_mT4_P12ihipStream_tbEUlT_E1_NS1_11comp_targetILNS1_3genE2ELNS1_11target_archE906ELNS1_3gpuE6ELNS1_3repE0EEENS1_30default_config_static_selectorELNS0_4arch9wavefront6targetE1EEEvSN_
; %bb.0:
	s_load_dword s33, s[4:5], 0x4
	s_load_dwordx4 s[40:43], s[4:5], 0x8
	s_load_dwordx4 s[36:39], s[4:5], 0x20
	s_waitcnt lgkmcnt(0)
	s_cmp_lt_i32 s33, 8
	s_cbranch_scc1 .LBB2193_11
; %bb.1:
	s_cmp_gt_i32 s33, 15
	s_cbranch_scc0 .LBB2193_12
; %bb.2:
	s_cmp_gt_i32 s33, 31
	s_cbranch_scc0 .LBB2193_13
; %bb.3:
	s_cmp_eq_u32 s33, 32
	s_mov_b64 s[44:45], 0
	s_cbranch_scc0 .LBB2193_14
; %bb.4:
	s_mov_b32 s7, 0
	s_lshl_b32 s50, s6, 13
	s_mov_b32 s51, s7
	s_lshr_b64 s[0:1], s[36:37], 13
	s_lshl_b64 s[2:3], s[50:51], 1
	s_add_u32 s46, s40, s2
	s_addc_u32 s47, s41, s3
	s_add_u32 s48, s42, s2
	s_addc_u32 s49, s43, s3
	s_cmp_lg_u64 s[0:1], s[6:7]
	s_cbranch_scc0 .LBB2193_23
; %bb.5:
	v_lshlrev_b32_e32 v1, 1, v0
	v_add_co_u32_e32 v9, vcc, s46, v1
	v_mov_b32_e32 v2, s47
	v_addc_co_u32_e32 v10, vcc, 0, v2, vcc
	v_add_co_u32_e32 v11, vcc, s48, v1
	v_mov_b32_e32 v2, s49
	v_addc_co_u32_e32 v12, vcc, 0, v2, vcc
	global_load_ushort v2, v1, s[46:47]
	global_load_ushort v3, v1, s[48:49]
	s_movk_i32 s2, 0x1000
	s_movk_i32 s3, 0x2000
	;; [unrolled: 1-line block ×3, first 2 shown]
	s_waitcnt vmcnt(0)
	v_cmp_neq_f16_e32 vcc, v2, v3
	global_load_ushort v2, v1, s[46:47] offset:512
	global_load_ushort v3, v1, s[48:49] offset:512
	v_cndmask_b32_e64 v13, 0, 1, vcc
	s_waitcnt vmcnt(0)
	v_cmp_neq_f16_e32 vcc, v2, v3
	global_load_ushort v2, v1, s[46:47] offset:1024
	global_load_ushort v3, v1, s[48:49] offset:1024
	s_waitcnt vmcnt(0)
	v_cmp_neq_f16_e64 s[0:1], v2, v3
	global_load_ushort v2, v1, s[46:47] offset:1536
	global_load_ushort v3, v1, s[48:49] offset:1536
	v_cndmask_b32_e64 v14, 0, 1, s[0:1]
	s_waitcnt vmcnt(0)
	v_cmp_neq_f16_e64 s[14:15], v2, v3
	global_load_ushort v2, v1, s[46:47] offset:2048
	global_load_ushort v3, v1, s[48:49] offset:2048
	s_waitcnt vmcnt(0)
	v_cmp_neq_f16_e64 s[0:1], v2, v3
	global_load_ushort v2, v1, s[46:47] offset:2560
	global_load_ushort v3, v1, s[48:49] offset:2560
	v_cndmask_b32_e64 v15, 0, 1, s[0:1]
	s_waitcnt vmcnt(0)
	v_cmp_neq_f16_e64 s[8:9], v2, v3
	global_load_ushort v2, v1, s[46:47] offset:3072
	global_load_ushort v3, v1, s[48:49] offset:3072
	s_waitcnt vmcnt(0)
	v_cmp_neq_f16_e64 s[0:1], v2, v3
	global_load_ushort v2, v1, s[46:47] offset:3584
	global_load_ushort v3, v1, s[48:49] offset:3584
	v_cndmask_b32_e64 v16, 0, 1, s[0:1]
	v_add_co_u32_e64 v1, s[0:1], s2, v9
	s_waitcnt vmcnt(0)
	v_cmp_neq_f16_e64 s[10:11], v2, v3
	v_addc_co_u32_e64 v2, s[0:1], 0, v10, s[0:1]
	v_add_co_u32_e64 v3, s[0:1], s3, v9
	v_addc_co_u32_e64 v4, s[0:1], 0, v10, s[0:1]
	v_add_co_u32_e64 v5, s[0:1], s2, v11
	;; [unrolled: 2-line block ×3, first 2 shown]
	v_addc_co_u32_e64 v8, s[0:1], 0, v12, s[0:1]
	global_load_ushort v17, v[3:4], off offset:-4096
	global_load_ushort v18, v[7:8], off offset:-4096
	s_waitcnt vmcnt(0)
	v_cmp_neq_f16_e64 s[0:1], v17, v18
	global_load_ushort v18, v[1:2], off offset:512
	global_load_ushort v19, v[5:6], off offset:512
	v_cndmask_b32_e64 v17, 0, 1, s[0:1]
	s_waitcnt vmcnt(0)
	v_cmp_neq_f16_e64 s[16:17], v18, v19
	global_load_ushort v18, v[1:2], off offset:1024
	global_load_ushort v19, v[5:6], off offset:1024
	s_waitcnt vmcnt(0)
	v_cmp_neq_f16_e64 s[0:1], v18, v19
	global_load_ushort v19, v[1:2], off offset:1536
	global_load_ushort v20, v[5:6], off offset:1536
	v_cndmask_b32_e64 v18, 0, 1, s[0:1]
	s_waitcnt vmcnt(0)
	v_cmp_neq_f16_e64 s[0:1], v19, v20
	global_load_ushort v19, v[1:2], off offset:2048
	global_load_ushort v20, v[5:6], off offset:2048
	;; [unrolled: 9-line block ×3, first 2 shown]
	s_waitcnt vmcnt(0)
	v_cmp_neq_f16_e64 s[12:13], v20, v21
	global_load_ushort v21, v[1:2], off offset:3584
	global_load_ushort v22, v[5:6], off offset:3584
	s_nop 0
	global_load_ushort v1, v[3:4], off
	global_load_ushort v2, v[7:8], off
	v_cndmask_b32_e64 v20, 0, 1, s[12:13]
	s_waitcnt vmcnt(2)
	v_cmp_neq_f16_e64 s[12:13], v21, v22
	s_waitcnt vmcnt(0)
	v_cmp_neq_f16_e64 s[18:19], v1, v2
	global_load_ushort v1, v[3:4], off offset:512
	global_load_ushort v2, v[7:8], off offset:512
	v_cndmask_b32_e64 v5, 0, 1, s[18:19]
	s_waitcnt vmcnt(0)
	v_cmp_neq_f16_e64 s[18:19], v1, v2
	global_load_ushort v1, v[3:4], off offset:1024
	global_load_ushort v2, v[7:8], off offset:1024
	s_waitcnt vmcnt(0)
	v_cmp_neq_f16_e64 s[20:21], v1, v2
	global_load_ushort v1, v[3:4], off offset:1536
	global_load_ushort v2, v[7:8], off offset:1536
	v_cndmask_b32_e64 v6, 0, 1, s[20:21]
	s_waitcnt vmcnt(0)
	v_cmp_neq_f16_e64 s[20:21], v1, v2
	global_load_ushort v1, v[3:4], off offset:2048
	global_load_ushort v2, v[7:8], off offset:2048
	;; [unrolled: 9-line block ×3, first 2 shown]
	s_waitcnt vmcnt(0)
	v_cmp_neq_f16_e64 s[24:25], v1, v2
	global_load_ushort v1, v[3:4], off offset:3584
	global_load_ushort v2, v[7:8], off offset:3584
	v_cndmask_b32_e64 v22, 0, 1, s[24:25]
	s_waitcnt vmcnt(0)
	v_cmp_neq_f16_e64 s[24:25], v1, v2
	v_add_co_u32_e64 v1, s[26:27], s28, v9
	v_addc_co_u32_e64 v2, s[26:27], 0, v10, s[26:27]
	v_add_co_u32_e64 v3, s[26:27], s28, v11
	v_addc_co_u32_e64 v4, s[26:27], 0, v12, s[26:27]
	global_load_ushort v7, v[1:2], off
	global_load_ushort v8, v[3:4], off
	s_waitcnt vmcnt(0)
	v_cmp_neq_f16_e64 s[26:27], v7, v8
	global_load_ushort v8, v[1:2], off offset:512
	global_load_ushort v9, v[3:4], off offset:512
	v_cndmask_b32_e64 v7, 0, 1, s[26:27]
	s_waitcnt vmcnt(0)
	v_cmp_neq_f16_e64 s[26:27], v8, v9
	global_load_ushort v8, v[1:2], off offset:1024
	global_load_ushort v9, v[3:4], off offset:1024
	s_waitcnt vmcnt(0)
	v_cmp_neq_f16_e64 s[28:29], v8, v9
	global_load_ushort v9, v[1:2], off offset:1536
	global_load_ushort v10, v[3:4], off offset:1536
	v_cndmask_b32_e64 v8, 0, 1, s[28:29]
	s_waitcnt vmcnt(0)
	v_cmp_neq_f16_e64 s[28:29], v9, v10
	global_load_ushort v9, v[1:2], off offset:2048
	global_load_ushort v10, v[3:4], off offset:2048
	;; [unrolled: 9-line block ×3, first 2 shown]
	s_nop 0
	global_load_ushort v1, v[1:2], off offset:3584
	s_nop 0
	global_load_ushort v2, v[3:4], off offset:3584
	s_waitcnt vmcnt(2)
	v_cmp_neq_f16_e64 s[34:35], v10, v11
	v_cndmask_b32_e64 v10, 0, 1, s[34:35]
	s_waitcnt vmcnt(0)
	v_cmp_neq_f16_e64 s[34:35], v1, v2
	v_addc_co_u32_e32 v1, vcc, 0, v13, vcc
	v_addc_co_u32_e64 v1, vcc, v1, v14, s[14:15]
	v_addc_co_u32_e64 v1, vcc, v1, v15, s[8:9]
	;; [unrolled: 1-line block ×15, first 2 shown]
	v_mbcnt_lo_u32_b32 v2, -1, 0
	s_nop 0
	v_add_u32_dpp v1, v1, v1 quad_perm:[1,0,3,2] row_mask:0xf bank_mask:0xf bound_ctrl:1
	v_mbcnt_hi_u32_b32 v2, -1, v2
	v_lshlrev_b32_e32 v3, 2, v2
	v_add_u32_dpp v1, v1, v1 quad_perm:[2,3,0,1] row_mask:0xf bank_mask:0xf bound_ctrl:1
	v_or_b32_e32 v4, 0xfc, v3
	v_cmp_eq_u32_e32 vcc, 0, v2
	v_add_u32_dpp v1, v1, v1 row_ror:4 row_mask:0xf bank_mask:0xf bound_ctrl:1
	s_nop 1
	v_add_u32_dpp v1, v1, v1 row_ror:8 row_mask:0xf bank_mask:0xf bound_ctrl:1
	s_nop 1
	v_add_u32_dpp v1, v1, v1 row_bcast:15 row_mask:0xf bank_mask:0xf bound_ctrl:1
	s_nop 1
	v_add_u32_dpp v1, v1, v1 row_bcast:31 row_mask:0xf bank_mask:0xf bound_ctrl:1
	ds_bpermute_b32 v1, v4, v1
	s_and_saveexec_b64 s[0:1], vcc
	s_cbranch_execz .LBB2193_7
; %bb.6:
	v_lshrrev_b32_e32 v4, 4, v0
	v_and_b32_e32 v4, 12, v4
	s_waitcnt lgkmcnt(0)
	ds_write_b32 v4, v1 offset:48
.LBB2193_7:
	s_or_b64 exec, exec, s[0:1]
	v_cmp_gt_u32_e32 vcc, 64, v0
	s_waitcnt lgkmcnt(0)
	s_barrier
	s_and_saveexec_b64 s[0:1], vcc
	s_cbranch_execz .LBB2193_9
; %bb.8:
	v_and_b32_e32 v1, 3, v2
	v_lshlrev_b32_e32 v4, 2, v1
	ds_read_b32 v4, v4 offset:48
	v_cmp_ne_u32_e32 vcc, 3, v1
	v_addc_co_u32_e32 v1, vcc, 0, v2, vcc
	v_lshlrev_b32_e32 v1, 2, v1
	s_waitcnt lgkmcnt(0)
	ds_bpermute_b32 v1, v1, v4
	v_or_b32_e32 v2, 8, v3
	s_waitcnt lgkmcnt(0)
	v_add_u32_e32 v1, v1, v4
	ds_bpermute_b32 v2, v2, v1
	s_waitcnt lgkmcnt(0)
	v_add_u32_e32 v1, v2, v1
.LBB2193_9:
	s_or_b64 exec, exec, s[0:1]
.LBB2193_10:
	v_cmp_eq_u32_e64 s[0:1], 0, v0
	s_and_b64 vcc, exec, s[44:45]
	s_cbranch_vccnz .LBB2193_15
	s_branch .LBB2193_93
.LBB2193_11:
	s_mov_b64 s[0:1], 0
                                        ; implicit-def: $vgpr1
	s_cbranch_execnz .LBB2193_166
	s_branch .LBB2193_224
.LBB2193_12:
	s_mov_b64 s[0:1], 0
                                        ; implicit-def: $vgpr1
	s_cbranch_execnz .LBB2193_134
	s_branch .LBB2193_142
.LBB2193_13:
	s_mov_b64 s[44:45], -1
.LBB2193_14:
	s_mov_b64 s[0:1], 0
                                        ; implicit-def: $vgpr1
	s_and_b64 vcc, exec, s[44:45]
	s_cbranch_vccz .LBB2193_93
.LBB2193_15:
	s_cmp_eq_u32 s33, 16
	s_cbranch_scc0 .LBB2193_22
; %bb.16:
	s_mov_b32 s7, 0
	s_lshl_b32 s0, s6, 12
	s_mov_b32 s1, s7
	s_lshr_b64 s[2:3], s[36:37], 12
	s_lshl_b64 s[8:9], s[0:1], 1
	s_add_u32 s34, s40, s8
	s_addc_u32 s35, s41, s9
	s_add_u32 s44, s42, s8
	s_addc_u32 s45, s43, s9
	s_cmp_lg_u64 s[2:3], s[6:7]
	s_cbranch_scc0 .LBB2193_94
; %bb.17:
	v_lshlrev_b32_e32 v5, 1, v0
	global_load_ushort v6, v5, s[34:35]
	global_load_ushort v7, v5, s[44:45]
	v_mov_b32_e32 v1, s35
	v_add_co_u32_e32 v3, vcc, s34, v5
	global_load_ushort v10, v5, s[44:45] offset:512
	global_load_ushort v11, v5, s[44:45] offset:1024
	;; [unrolled: 1-line block ×11, first 2 shown]
	v_addc_co_u32_e32 v4, vcc, 0, v1, vcc
	v_mov_b32_e32 v2, s45
	v_add_co_u32_e32 v8, vcc, s44, v5
	s_movk_i32 s1, 0x1000
	v_addc_co_u32_e32 v9, vcc, 0, v2, vcc
	v_add_co_u32_e32 v1, vcc, s1, v3
	v_addc_co_u32_e32 v2, vcc, 0, v4, vcc
	v_add_co_u32_e32 v3, vcc, s1, v8
	v_addc_co_u32_e32 v4, vcc, 0, v9, vcc
	global_load_ushort v8, v[3:4], off
	global_load_ushort v9, v[3:4], off offset:1024
	global_load_ushort v21, v[1:2], off
	global_load_ushort v22, v[1:2], off offset:1024
	global_load_ushort v23, v[1:2], off offset:2048
	;; [unrolled: 1-line block ×5, first 2 shown]
	global_load_ushort v27, v5, s[44:45] offset:3584
	global_load_ushort v28, v5, s[44:45] offset:2560
	;; [unrolled: 1-line block ×3, first 2 shown]
	global_load_ushort v30, v[1:2], off offset:3584
	global_load_ushort v31, v[1:2], off offset:2560
	;; [unrolled: 1-line block ×4, first 2 shown]
	s_waitcnt vmcnt(26)
	v_cmp_neq_f16_e32 vcc, v6, v7
	global_load_ushort v1, v[3:4], off offset:3584
	global_load_ushort v2, v[3:4], off offset:2560
	;; [unrolled: 1-line block ×4, first 2 shown]
	v_cndmask_b32_e64 v3, 0, 1, vcc
	s_waitcnt vmcnt(24)
	v_cmp_neq_f16_e32 vcc, v15, v11
	v_cndmask_b32_e64 v4, 0, 1, vcc
	s_waitcnt vmcnt(23)
	v_cmp_neq_f16_e32 vcc, v16, v12
	;; [unrolled: 3-line block ×3, first 2 shown]
	v_cndmask_b32_e64 v11, 0, 1, vcc
	v_cmp_neq_f16_e32 vcc, v14, v10
	v_addc_co_u32_e32 v3, vcc, 0, v3, vcc
	s_waitcnt vmcnt(16)
	v_cmp_neq_f16_e32 vcc, v21, v8
	v_cndmask_b32_e64 v8, 0, 1, vcc
	s_waitcnt vmcnt(15)
	v_cmp_neq_f16_e32 vcc, v22, v9
	v_cndmask_b32_e64 v9, 0, 1, vcc
	;; [unrolled: 3-line block ×4, first 2 shown]
	s_waitcnt vmcnt(8)
	v_cmp_neq_f16_e32 vcc, v20, v29
	v_addc_co_u32_e32 v3, vcc, v3, v4, vcc
	v_cmp_neq_f16_e32 vcc, v19, v28
	v_addc_co_u32_e32 v3, vcc, v3, v7, vcc
	;; [unrolled: 2-line block ×3, first 2 shown]
	s_waitcnt vmcnt(0)
	v_cmp_neq_f16_e32 vcc, v33, v6
	v_addc_co_u32_e32 v3, vcc, v3, v8, vcc
	v_cmp_neq_f16_e32 vcc, v32, v5
	v_addc_co_u32_e32 v3, vcc, v3, v9, vcc
	;; [unrolled: 2-line block ×4, first 2 shown]
	v_mbcnt_lo_u32_b32 v2, -1, 0
	s_nop 0
	v_add_u32_dpp v1, v1, v1 quad_perm:[1,0,3,2] row_mask:0xf bank_mask:0xf bound_ctrl:1
	v_mbcnt_hi_u32_b32 v2, -1, v2
	v_lshlrev_b32_e32 v3, 2, v2
	v_add_u32_dpp v1, v1, v1 quad_perm:[2,3,0,1] row_mask:0xf bank_mask:0xf bound_ctrl:1
	v_or_b32_e32 v4, 0xfc, v3
	v_cmp_eq_u32_e32 vcc, 0, v2
	v_add_u32_dpp v1, v1, v1 row_ror:4 row_mask:0xf bank_mask:0xf bound_ctrl:1
	s_nop 1
	v_add_u32_dpp v1, v1, v1 row_ror:8 row_mask:0xf bank_mask:0xf bound_ctrl:1
	s_nop 1
	v_add_u32_dpp v1, v1, v1 row_bcast:15 row_mask:0xf bank_mask:0xf bound_ctrl:1
	s_nop 1
	v_add_u32_dpp v1, v1, v1 row_bcast:31 row_mask:0xf bank_mask:0xf bound_ctrl:1
	ds_bpermute_b32 v1, v4, v1
	s_and_saveexec_b64 s[2:3], vcc
	s_cbranch_execz .LBB2193_19
; %bb.18:
	v_lshrrev_b32_e32 v4, 4, v0
	v_and_b32_e32 v4, 12, v4
	s_waitcnt lgkmcnt(0)
	ds_write_b32 v4, v1
.LBB2193_19:
	s_or_b64 exec, exec, s[2:3]
	v_cmp_gt_u32_e32 vcc, 64, v0
	s_waitcnt lgkmcnt(0)
	s_barrier
	s_and_saveexec_b64 s[2:3], vcc
	s_cbranch_execz .LBB2193_21
; %bb.20:
	v_and_b32_e32 v1, 3, v2
	v_lshlrev_b32_e32 v4, 2, v1
	ds_read_b32 v4, v4
	v_cmp_ne_u32_e32 vcc, 3, v1
	v_addc_co_u32_e32 v1, vcc, 0, v2, vcc
	v_lshlrev_b32_e32 v1, 2, v1
	s_waitcnt lgkmcnt(0)
	ds_bpermute_b32 v1, v1, v4
	v_or_b32_e32 v2, 8, v3
	s_waitcnt lgkmcnt(0)
	v_add_u32_e32 v1, v1, v4
	ds_bpermute_b32 v2, v2, v1
	s_waitcnt lgkmcnt(0)
	v_add_u32_e32 v1, v2, v1
.LBB2193_21:
	s_or_b64 exec, exec, s[2:3]
	s_mov_b64 s[2:3], 0
	s_branch .LBB2193_95
.LBB2193_22:
                                        ; implicit-def: $vgpr1
	s_branch .LBB2193_142
.LBB2193_23:
                                        ; implicit-def: $vgpr1
	s_cbranch_execz .LBB2193_10
; %bb.24:
	s_sub_i32 s2, s36, s50
	v_cmp_gt_u32_e32 vcc, s2, v0
                                        ; implicit-def: $vgpr1
	s_and_saveexec_b64 s[0:1], vcc
	s_cbranch_execz .LBB2193_26
; %bb.25:
	v_lshlrev_b32_e32 v1, 1, v0
	global_load_ushort v2, v1, s[46:47]
	global_load_ushort v3, v1, s[48:49]
	s_waitcnt vmcnt(0)
	v_cmp_neq_f16_e32 vcc, v2, v3
	v_cndmask_b32_e64 v1, 0, 1, vcc
.LBB2193_26:
	s_or_b64 exec, exec, s[0:1]
	v_or_b32_e32 v2, 0x100, v0
	v_cmp_gt_u32_e32 vcc, s2, v2
	v_mov_b32_e32 v2, 0
	v_mov_b32_e32 v3, 0
	s_and_saveexec_b64 s[0:1], vcc
	s_cbranch_execz .LBB2193_28
; %bb.27:
	v_lshlrev_b32_e32 v3, 1, v0
	global_load_ushort v4, v3, s[46:47] offset:512
	global_load_ushort v5, v3, s[48:49] offset:512
	s_waitcnt vmcnt(0)
	v_cmp_neq_f16_e32 vcc, v4, v5
	v_cndmask_b32_e64 v3, 0, 1, vcc
.LBB2193_28:
	s_or_b64 exec, exec, s[0:1]
	v_or_b32_e32 v4, 0x200, v0
	v_cmp_gt_u32_e32 vcc, s2, v4
	s_and_saveexec_b64 s[0:1], vcc
	s_cbranch_execz .LBB2193_30
; %bb.29:
	v_lshlrev_b32_e32 v2, 1, v0
	global_load_ushort v4, v2, s[46:47] offset:1024
	global_load_ushort v5, v2, s[48:49] offset:1024
	s_waitcnt vmcnt(0)
	v_cmp_neq_f16_e32 vcc, v4, v5
	v_cndmask_b32_e64 v2, 0, 1, vcc
.LBB2193_30:
	s_or_b64 exec, exec, s[0:1]
	v_or_b32_e32 v4, 0x300, v0
	v_cmp_gt_u32_e32 vcc, s2, v4
	v_mov_b32_e32 v4, 0
	v_mov_b32_e32 v5, 0
	s_and_saveexec_b64 s[0:1], vcc
	s_cbranch_execz .LBB2193_32
; %bb.31:
	v_lshlrev_b32_e32 v5, 1, v0
	global_load_ushort v6, v5, s[46:47] offset:1536
	global_load_ushort v7, v5, s[48:49] offset:1536
	s_waitcnt vmcnt(0)
	v_cmp_neq_f16_e32 vcc, v6, v7
	v_cndmask_b32_e64 v5, 0, 1, vcc
.LBB2193_32:
	s_or_b64 exec, exec, s[0:1]
	v_or_b32_e32 v6, 0x400, v0
	v_cmp_gt_u32_e32 vcc, s2, v6
	s_and_saveexec_b64 s[0:1], vcc
	s_cbranch_execz .LBB2193_34
; %bb.33:
	v_lshlrev_b32_e32 v4, 1, v0
	global_load_ushort v6, v4, s[46:47] offset:2048
	global_load_ushort v7, v4, s[48:49] offset:2048
	s_waitcnt vmcnt(0)
	v_cmp_neq_f16_e32 vcc, v6, v7
	v_cndmask_b32_e64 v4, 0, 1, vcc
.LBB2193_34:
	;; [unrolled: 28-line block ×3, first 2 shown]
	s_or_b64 exec, exec, s[0:1]
	v_or_b32_e32 v8, 0x700, v0
	v_cmp_gt_u32_e32 vcc, s2, v8
	v_mov_b32_e32 v8, 0
	v_mov_b32_e32 v9, 0
	s_and_saveexec_b64 s[0:1], vcc
	s_cbranch_execz .LBB2193_40
; %bb.39:
	v_lshlrev_b32_e32 v9, 1, v0
	global_load_ushort v10, v9, s[46:47] offset:3584
	global_load_ushort v11, v9, s[48:49] offset:3584
	s_waitcnt vmcnt(0)
	v_cmp_neq_f16_e32 vcc, v10, v11
	v_cndmask_b32_e64 v9, 0, 1, vcc
.LBB2193_40:
	s_or_b64 exec, exec, s[0:1]
	v_or_b32_e32 v10, 0x800, v0
	v_cmp_gt_u32_e32 vcc, s2, v10
	s_and_saveexec_b64 s[0:1], vcc
	s_cbranch_execz .LBB2193_42
; %bb.41:
	v_lshlrev_b32_e32 v8, 1, v10
	global_load_ushort v10, v8, s[46:47]
	global_load_ushort v11, v8, s[48:49]
	s_waitcnt vmcnt(0)
	v_cmp_neq_f16_e32 vcc, v10, v11
	v_cndmask_b32_e64 v8, 0, 1, vcc
.LBB2193_42:
	s_or_b64 exec, exec, s[0:1]
	v_or_b32_e32 v12, 0x900, v0
	v_cmp_gt_u32_e32 vcc, s2, v12
	v_mov_b32_e32 v10, 0
	v_mov_b32_e32 v11, 0
	s_and_saveexec_b64 s[0:1], vcc
	s_cbranch_execz .LBB2193_44
; %bb.43:
	v_lshlrev_b32_e32 v11, 1, v12
	global_load_ushort v12, v11, s[46:47]
	global_load_ushort v13, v11, s[48:49]
	s_waitcnt vmcnt(0)
	v_cmp_neq_f16_e32 vcc, v12, v13
	v_cndmask_b32_e64 v11, 0, 1, vcc
.LBB2193_44:
	s_or_b64 exec, exec, s[0:1]
	v_or_b32_e32 v12, 0xa00, v0
	v_cmp_gt_u32_e32 vcc, s2, v12
	s_and_saveexec_b64 s[0:1], vcc
	s_cbranch_execz .LBB2193_46
; %bb.45:
	v_lshlrev_b32_e32 v10, 1, v12
	global_load_ushort v12, v10, s[46:47]
	global_load_ushort v13, v10, s[48:49]
	s_waitcnt vmcnt(0)
	v_cmp_neq_f16_e32 vcc, v12, v13
	v_cndmask_b32_e64 v10, 0, 1, vcc
.LBB2193_46:
	s_or_b64 exec, exec, s[0:1]
	v_or_b32_e32 v14, 0xb00, v0
	v_cmp_gt_u32_e32 vcc, s2, v14
	v_mov_b32_e32 v12, 0
	v_mov_b32_e32 v13, 0
	s_and_saveexec_b64 s[0:1], vcc
	s_cbranch_execz .LBB2193_48
; %bb.47:
	v_lshlrev_b32_e32 v13, 1, v14
	global_load_ushort v14, v13, s[46:47]
	global_load_ushort v15, v13, s[48:49]
	s_waitcnt vmcnt(0)
	v_cmp_neq_f16_e32 vcc, v14, v15
	v_cndmask_b32_e64 v13, 0, 1, vcc
.LBB2193_48:
	;; [unrolled: 28-line block ×11, first 2 shown]
	s_or_b64 exec, exec, s[0:1]
	v_or_b32_e32 v32, 0x1e00, v0
	v_cmp_gt_u32_e32 vcc, s2, v32
	s_and_saveexec_b64 s[0:1], vcc
	s_cbranch_execz .LBB2193_86
; %bb.85:
	v_lshlrev_b32_e32 v30, 1, v32
	global_load_ushort v32, v30, s[46:47]
	global_load_ushort v33, v30, s[48:49]
	s_waitcnt vmcnt(0)
	v_cmp_neq_f16_e32 vcc, v32, v33
	v_cndmask_b32_e64 v30, 0, 1, vcc
.LBB2193_86:
	s_or_b64 exec, exec, s[0:1]
	v_or_b32_e32 v33, 0x1f00, v0
	v_cmp_gt_u32_e32 vcc, s2, v33
	v_mov_b32_e32 v32, 0
	s_and_saveexec_b64 s[0:1], vcc
	s_cbranch_execz .LBB2193_88
; %bb.87:
	v_lshlrev_b32_e32 v32, 1, v33
	global_load_ushort v33, v32, s[46:47]
	global_load_ushort v34, v32, s[48:49]
	s_waitcnt vmcnt(0)
	v_cmp_neq_f16_e32 vcc, v33, v34
	v_cndmask_b32_e64 v32, 0, 1, vcc
.LBB2193_88:
	s_or_b64 exec, exec, s[0:1]
	v_add_u32_e32 v1, v3, v1
	v_add3_u32 v1, v1, v2, v5
	v_add3_u32 v1, v1, v4, v7
	;; [unrolled: 1-line block ×10, first 2 shown]
	v_mbcnt_lo_u32_b32 v2, -1, 0
	v_add3_u32 v1, v1, v22, v25
	v_mbcnt_hi_u32_b32 v2, -1, v2
	v_add3_u32 v1, v1, v24, v27
	v_and_b32_e32 v4, 63, v2
	v_add3_u32 v1, v1, v26, v29
	v_cmp_ne_u32_e32 vcc, 63, v4
	v_add3_u32 v1, v1, v28, v31
	v_addc_co_u32_e32 v3, vcc, 0, v2, vcc
	v_add3_u32 v1, v1, v30, v32
	v_lshlrev_b32_e32 v3, 2, v3
	ds_bpermute_b32 v3, v3, v1
	s_min_u32 s2, s2, 0x100
	v_and_b32_e32 v5, 0xc0, v0
	v_sub_u32_e64 v5, s2, v5 clamp
	v_add_u32_e32 v6, 1, v4
	v_cmp_lt_u32_e32 vcc, v6, v5
	s_waitcnt lgkmcnt(0)
	v_cndmask_b32_e32 v3, 0, v3, vcc
	v_cmp_gt_u32_e32 vcc, 62, v4
	v_add_u32_e32 v1, v3, v1
	v_cndmask_b32_e64 v3, 0, 2, vcc
	v_add_lshl_u32 v3, v3, v2, 2
	ds_bpermute_b32 v3, v3, v1
	v_add_u32_e32 v6, 2, v4
	v_cmp_lt_u32_e32 vcc, v6, v5
	v_add_u32_e32 v6, 4, v4
	s_waitcnt lgkmcnt(0)
	v_cndmask_b32_e32 v3, 0, v3, vcc
	v_cmp_gt_u32_e32 vcc, 60, v4
	v_add_u32_e32 v1, v1, v3
	v_cndmask_b32_e64 v3, 0, 4, vcc
	v_add_lshl_u32 v3, v3, v2, 2
	ds_bpermute_b32 v3, v3, v1
	v_cmp_lt_u32_e32 vcc, v6, v5
	v_add_u32_e32 v6, 8, v4
	s_waitcnt lgkmcnt(0)
	v_cndmask_b32_e32 v3, 0, v3, vcc
	v_cmp_gt_u32_e32 vcc, 56, v4
	v_add_u32_e32 v1, v1, v3
	v_cndmask_b32_e64 v3, 0, 8, vcc
	v_add_lshl_u32 v3, v3, v2, 2
	ds_bpermute_b32 v3, v3, v1
	v_cmp_lt_u32_e32 vcc, v6, v5
	v_add_u32_e32 v6, 16, v4
	s_waitcnt lgkmcnt(0)
	v_cndmask_b32_e32 v3, 0, v3, vcc
	v_cmp_gt_u32_e32 vcc, 48, v4
	v_add_u32_e32 v1, v1, v3
	v_cndmask_b32_e64 v3, 0, 16, vcc
	v_add_lshl_u32 v3, v3, v2, 2
	ds_bpermute_b32 v3, v3, v1
	v_cmp_lt_u32_e32 vcc, v6, v5
	v_add_u32_e32 v4, 32, v4
	s_waitcnt lgkmcnt(0)
	v_cndmask_b32_e32 v3, 0, v3, vcc
	v_add_u32_e32 v1, v1, v3
	v_lshlrev_b32_e32 v3, 2, v2
	v_or_b32_e32 v6, 0x80, v3
	ds_bpermute_b32 v6, v6, v1
	v_cmp_lt_u32_e32 vcc, v4, v5
	s_waitcnt lgkmcnt(0)
	v_cndmask_b32_e32 v4, 0, v6, vcc
	v_add_u32_e32 v1, v1, v4
	v_cmp_eq_u32_e32 vcc, 0, v2
	s_and_saveexec_b64 s[0:1], vcc
; %bb.89:
	v_lshrrev_b32_e32 v4, 4, v0
	v_and_b32_e32 v4, 12, v4
	ds_write_b32 v4, v1 offset:96
; %bb.90:
	s_or_b64 exec, exec, s[0:1]
	v_cmp_gt_u32_e32 vcc, 4, v0
	s_waitcnt lgkmcnt(0)
	s_barrier
	s_and_saveexec_b64 s[0:1], vcc
	s_cbranch_execz .LBB2193_92
; %bb.91:
	ds_read_b32 v1, v3 offset:96
	v_and_b32_e32 v4, 3, v2
	v_cmp_ne_u32_e32 vcc, 3, v4
	v_addc_co_u32_e32 v2, vcc, 0, v2, vcc
	v_lshlrev_b32_e32 v2, 2, v2
	s_waitcnt lgkmcnt(0)
	ds_bpermute_b32 v2, v2, v1
	s_add_i32 s2, s2, 63
	s_lshr_b32 s2, s2, 6
	v_add_u32_e32 v5, 1, v4
	v_cmp_gt_u32_e32 vcc, s2, v5
	s_waitcnt lgkmcnt(0)
	v_cndmask_b32_e32 v2, 0, v2, vcc
	v_add_u32_e32 v1, v2, v1
	v_or_b32_e32 v2, 8, v3
	ds_bpermute_b32 v2, v2, v1
	v_add_u32_e32 v3, 2, v4
	v_cmp_gt_u32_e32 vcc, s2, v3
	s_waitcnt lgkmcnt(0)
	v_cndmask_b32_e32 v2, 0, v2, vcc
	v_add_u32_e32 v1, v1, v2
.LBB2193_92:
	s_or_b64 exec, exec, s[0:1]
	v_cmp_eq_u32_e64 s[0:1], 0, v0
	s_and_b64 vcc, exec, s[44:45]
	s_cbranch_vccnz .LBB2193_15
.LBB2193_93:
	s_branch .LBB2193_142
.LBB2193_94:
	s_mov_b64 s[2:3], -1
                                        ; implicit-def: $vgpr1
.LBB2193_95:
	s_and_b64 vcc, exec, s[2:3]
	s_cbranch_vccz .LBB2193_133
; %bb.96:
	s_sub_i32 s48, s36, s0
	v_mov_b32_e32 v1, 0
	v_cmp_gt_u32_e32 vcc, s48, v0
	v_mov_b32_e32 v2, v1
	v_mov_b32_e32 v3, v1
	;; [unrolled: 1-line block ×15, first 2 shown]
	s_and_saveexec_b64 s[0:1], vcc
	s_cbranch_execz .LBB2193_98
; %bb.97:
	v_mov_b32_e32 v2, v1
	v_mov_b32_e32 v3, v1
	;; [unrolled: 1-line block ×15, first 2 shown]
	v_lshlrev_b32_e32 v1, 1, v0
	global_load_ushort v17, v1, s[34:35]
	global_load_ushort v18, v1, s[44:45]
	s_waitcnt vmcnt(0)
	v_cmp_neq_f16_e32 vcc, v17, v18
	v_cndmask_b32_e64 v1, 0, 1, vcc
	v_and_b32_e32 v1, 0xffff, v1
.LBB2193_98:
	s_or_b64 exec, exec, s[0:1]
	v_or_b32_e32 v17, 0x100, v0
	v_cmp_gt_u32_e32 vcc, s48, v17
	s_and_saveexec_b64 s[2:3], vcc
	s_cbranch_execz .LBB2193_100
; %bb.99:
	v_lshlrev_b32_e32 v2, 1, v0
	global_load_ushort v17, v2, s[34:35] offset:512
	global_load_ushort v18, v2, s[44:45] offset:512
	s_waitcnt vmcnt(0)
	v_cmp_neq_f16_e64 s[0:1], v17, v18
	v_cndmask_b32_e64 v2, 0, 1, s[0:1]
.LBB2193_100:
	s_or_b64 exec, exec, s[2:3]
	v_or_b32_e32 v17, 0x200, v0
	v_cmp_gt_u32_e64 s[0:1], s48, v17
	s_and_saveexec_b64 s[8:9], s[0:1]
	s_cbranch_execz .LBB2193_102
; %bb.101:
	v_lshlrev_b32_e32 v3, 1, v0
	global_load_ushort v17, v3, s[34:35] offset:1024
	global_load_ushort v18, v3, s[44:45] offset:1024
	s_waitcnt vmcnt(0)
	v_cmp_neq_f16_e64 s[2:3], v17, v18
	v_cndmask_b32_e64 v3, 0, 1, s[2:3]
.LBB2193_102:
	s_or_b64 exec, exec, s[8:9]
	v_or_b32_e32 v17, 0x300, v0
	v_cmp_gt_u32_e64 s[2:3], s48, v17
	s_and_saveexec_b64 s[10:11], s[2:3]
	;; [unrolled: 13-line block ×7, first 2 shown]
	s_cbranch_execz .LBB2193_114
; %bb.113:
	v_lshlrev_b32_e32 v9, 1, v17
	global_load_ushort v17, v9, s[34:35]
	global_load_ushort v18, v9, s[44:45]
	s_waitcnt vmcnt(0)
	v_cmp_neq_f16_e64 s[18:19], v17, v18
	v_cndmask_b32_e64 v9, 0, 1, s[18:19]
.LBB2193_114:
	s_or_b64 exec, exec, s[20:21]
	v_or_b32_e32 v17, 0x900, v0
	v_cmp_gt_u32_e64 s[18:19], s48, v17
	s_and_saveexec_b64 s[22:23], s[18:19]
	s_cbranch_execz .LBB2193_116
; %bb.115:
	v_lshlrev_b32_e32 v10, 1, v17
	global_load_ushort v17, v10, s[34:35]
	global_load_ushort v18, v10, s[44:45]
	s_waitcnt vmcnt(0)
	v_cmp_neq_f16_e64 s[20:21], v17, v18
	v_cndmask_b32_e64 v10, 0, 1, s[20:21]
.LBB2193_116:
	s_or_b64 exec, exec, s[22:23]
	v_or_b32_e32 v17, 0xa00, v0
	v_cmp_gt_u32_e64 s[20:21], s48, v17
	s_and_saveexec_b64 s[24:25], s[20:21]
	s_cbranch_execz .LBB2193_118
; %bb.117:
	v_lshlrev_b32_e32 v11, 1, v17
	global_load_ushort v17, v11, s[34:35]
	global_load_ushort v18, v11, s[44:45]
	s_waitcnt vmcnt(0)
	v_cmp_neq_f16_e64 s[22:23], v17, v18
	v_cndmask_b32_e64 v11, 0, 1, s[22:23]
.LBB2193_118:
	s_or_b64 exec, exec, s[24:25]
	v_or_b32_e32 v17, 0xb00, v0
	v_cmp_gt_u32_e64 s[22:23], s48, v17
	s_and_saveexec_b64 s[26:27], s[22:23]
	s_cbranch_execz .LBB2193_120
; %bb.119:
	v_lshlrev_b32_e32 v12, 1, v17
	global_load_ushort v17, v12, s[34:35]
	global_load_ushort v18, v12, s[44:45]
	s_waitcnt vmcnt(0)
	v_cmp_neq_f16_e64 s[24:25], v17, v18
	v_cndmask_b32_e64 v12, 0, 1, s[24:25]
.LBB2193_120:
	s_or_b64 exec, exec, s[26:27]
	v_or_b32_e32 v17, 0xc00, v0
	v_cmp_gt_u32_e64 s[24:25], s48, v17
	s_and_saveexec_b64 s[28:29], s[24:25]
	s_cbranch_execz .LBB2193_122
; %bb.121:
	v_lshlrev_b32_e32 v13, 1, v17
	global_load_ushort v17, v13, s[34:35]
	global_load_ushort v18, v13, s[44:45]
	s_waitcnt vmcnt(0)
	v_cmp_neq_f16_e64 s[26:27], v17, v18
	v_cndmask_b32_e64 v13, 0, 1, s[26:27]
.LBB2193_122:
	s_or_b64 exec, exec, s[28:29]
	v_or_b32_e32 v17, 0xd00, v0
	v_cmp_gt_u32_e64 s[26:27], s48, v17
	s_and_saveexec_b64 s[30:31], s[26:27]
	s_cbranch_execz .LBB2193_124
; %bb.123:
	v_lshlrev_b32_e32 v14, 1, v17
	global_load_ushort v17, v14, s[34:35]
	global_load_ushort v18, v14, s[44:45]
	s_waitcnt vmcnt(0)
	v_cmp_neq_f16_e64 s[28:29], v17, v18
	v_cndmask_b32_e64 v14, 0, 1, s[28:29]
.LBB2193_124:
	s_or_b64 exec, exec, s[30:31]
	v_or_b32_e32 v17, 0xe00, v0
	v_cmp_gt_u32_e64 s[28:29], s48, v17
	s_and_saveexec_b64 s[46:47], s[28:29]
	s_cbranch_execz .LBB2193_126
; %bb.125:
	v_lshlrev_b32_e32 v15, 1, v17
	global_load_ushort v17, v15, s[34:35]
	s_nop 0
	global_load_ushort v15, v15, s[44:45]
	s_waitcnt vmcnt(0)
	v_cmp_neq_f16_e64 s[30:31], v17, v15
	v_cndmask_b32_e64 v15, 0, 1, s[30:31]
.LBB2193_126:
	s_or_b64 exec, exec, s[46:47]
	v_or_b32_e32 v17, 0xf00, v0
	v_cmp_gt_u32_e64 s[30:31], s48, v17
	s_and_saveexec_b64 s[46:47], s[30:31]
	s_cbranch_execz .LBB2193_128
; %bb.127:
	v_lshlrev_b32_e32 v16, 1, v17
	global_load_ushort v17, v16, s[34:35]
	s_nop 0
	global_load_ushort v16, v16, s[44:45]
	s_waitcnt vmcnt(0)
	v_cmp_neq_f16_e64 s[34:35], v17, v16
	v_cndmask_b32_e64 v16, 0, 1, s[34:35]
.LBB2193_128:
	s_or_b64 exec, exec, s[46:47]
	v_cndmask_b32_e32 v2, 0, v2, vcc
	v_add_u32_e32 v1, v2, v1
	v_cndmask_b32_e64 v2, 0, v3, s[0:1]
	v_cndmask_b32_e64 v3, 0, v4, s[2:3]
	v_add3_u32 v1, v1, v2, v3
	v_cndmask_b32_e64 v2, 0, v5, s[8:9]
	v_cndmask_b32_e64 v3, 0, v6, s[10:11]
	v_add3_u32 v1, v1, v2, v3
	;; [unrolled: 3-line block ×7, first 2 shown]
	v_mbcnt_lo_u32_b32 v2, -1, 0
	v_mbcnt_hi_u32_b32 v2, -1, v2
	v_and_b32_e32 v4, 63, v2
	v_cmp_ne_u32_e32 vcc, 63, v4
	v_addc_co_u32_e32 v3, vcc, 0, v2, vcc
	v_lshlrev_b32_e32 v3, 2, v3
	ds_bpermute_b32 v3, v3, v1
	s_min_u32 s2, s48, 0x100
	v_and_b32_e32 v5, 0xc0, v0
	v_sub_u32_e64 v5, s2, v5 clamp
	v_add_u32_e32 v6, 1, v4
	v_cmp_lt_u32_e32 vcc, v6, v5
	s_waitcnt lgkmcnt(0)
	v_cndmask_b32_e32 v3, 0, v3, vcc
	v_cmp_gt_u32_e32 vcc, 62, v4
	v_add_u32_e32 v1, v1, v3
	v_cndmask_b32_e64 v3, 0, 2, vcc
	v_add_lshl_u32 v3, v3, v2, 2
	ds_bpermute_b32 v3, v3, v1
	v_add_u32_e32 v6, 2, v4
	v_cmp_lt_u32_e32 vcc, v6, v5
	v_add_u32_e32 v6, 4, v4
	s_waitcnt lgkmcnt(0)
	v_cndmask_b32_e32 v3, 0, v3, vcc
	v_cmp_gt_u32_e32 vcc, 60, v4
	v_add_u32_e32 v1, v1, v3
	v_cndmask_b32_e64 v3, 0, 4, vcc
	v_add_lshl_u32 v3, v3, v2, 2
	ds_bpermute_b32 v3, v3, v1
	v_cmp_lt_u32_e32 vcc, v6, v5
	v_add_u32_e32 v6, 8, v4
	s_waitcnt lgkmcnt(0)
	v_cndmask_b32_e32 v3, 0, v3, vcc
	v_cmp_gt_u32_e32 vcc, 56, v4
	v_add_u32_e32 v1, v1, v3
	v_cndmask_b32_e64 v3, 0, 8, vcc
	v_add_lshl_u32 v3, v3, v2, 2
	ds_bpermute_b32 v3, v3, v1
	;; [unrolled: 9-line block ×3, first 2 shown]
	v_cmp_lt_u32_e32 vcc, v6, v5
	v_add_u32_e32 v4, 32, v4
	s_waitcnt lgkmcnt(0)
	v_cndmask_b32_e32 v3, 0, v3, vcc
	v_add_u32_e32 v1, v1, v3
	v_lshlrev_b32_e32 v3, 2, v2
	v_or_b32_e32 v6, 0x80, v3
	ds_bpermute_b32 v6, v6, v1
	v_cmp_lt_u32_e32 vcc, v4, v5
	s_waitcnt lgkmcnt(0)
	v_cndmask_b32_e32 v4, 0, v6, vcc
	v_add_u32_e32 v1, v1, v4
	v_cmp_eq_u32_e32 vcc, 0, v2
	s_and_saveexec_b64 s[0:1], vcc
; %bb.129:
	v_lshrrev_b32_e32 v4, 4, v0
	v_and_b32_e32 v4, 12, v4
	ds_write_b32 v4, v1 offset:96
; %bb.130:
	s_or_b64 exec, exec, s[0:1]
	v_cmp_gt_u32_e32 vcc, 4, v0
	s_waitcnt lgkmcnt(0)
	s_barrier
	s_and_saveexec_b64 s[0:1], vcc
	s_cbranch_execz .LBB2193_132
; %bb.131:
	ds_read_b32 v1, v3 offset:96
	v_and_b32_e32 v4, 3, v2
	v_cmp_ne_u32_e32 vcc, 3, v4
	v_addc_co_u32_e32 v2, vcc, 0, v2, vcc
	v_lshlrev_b32_e32 v2, 2, v2
	s_waitcnt lgkmcnt(0)
	ds_bpermute_b32 v2, v2, v1
	s_add_i32 s2, s2, 63
	s_lshr_b32 s2, s2, 6
	v_add_u32_e32 v5, 1, v4
	v_cmp_gt_u32_e32 vcc, s2, v5
	s_waitcnt lgkmcnt(0)
	v_cndmask_b32_e32 v2, 0, v2, vcc
	v_add_u32_e32 v1, v2, v1
	v_or_b32_e32 v2, 8, v3
	ds_bpermute_b32 v2, v2, v1
	v_add_u32_e32 v3, 2, v4
	v_cmp_gt_u32_e32 vcc, s2, v3
	s_waitcnt lgkmcnt(0)
	v_cndmask_b32_e32 v2, 0, v2, vcc
	v_add_u32_e32 v1, v1, v2
.LBB2193_132:
	s_or_b64 exec, exec, s[0:1]
.LBB2193_133:
	v_cmp_eq_u32_e64 s[0:1], 0, v0
	s_branch .LBB2193_142
.LBB2193_134:
	s_cmp_eq_u32 s33, 8
	s_cbranch_scc0 .LBB2193_141
; %bb.135:
	s_mov_b32 s7, 0
	s_lshl_b32 s0, s6, 11
	s_mov_b32 s1, s7
	s_lshr_b64 s[2:3], s[36:37], 11
	s_lshl_b64 s[8:9], s[0:1], 1
	s_add_u32 s16, s40, s8
	s_addc_u32 s17, s41, s9
	s_add_u32 s18, s42, s8
	s_addc_u32 s19, s43, s9
	s_cmp_lg_u64 s[2:3], s[6:7]
	s_cbranch_scc0 .LBB2193_143
; %bb.136:
	v_lshlrev_b32_e32 v1, 1, v0
	global_load_ushort v4, v1, s[18:19]
	global_load_ushort v5, v1, s[16:17]
	global_load_ushort v6, v1, s[16:17] offset:1024
	global_load_ushort v7, v1, s[18:19] offset:1024
	;; [unrolled: 1-line block ×13, first 2 shown]
	s_nop 0
	global_load_ushort v1, v1, s[18:19] offset:3584
	v_mbcnt_lo_u32_b32 v2, -1, 0
	v_mbcnt_hi_u32_b32 v2, -1, v2
	v_lshlrev_b32_e32 v3, 2, v2
	s_waitcnt vmcnt(14)
	v_cmp_neq_f16_e32 vcc, v5, v4
	v_cndmask_b32_e64 v4, 0, 1, vcc
	s_waitcnt vmcnt(12)
	v_cmp_neq_f16_e32 vcc, v6, v7
	v_cndmask_b32_e64 v5, 0, 1, vcc
	;; [unrolled: 3-line block ×4, first 2 shown]
	s_waitcnt vmcnt(6)
	v_cmp_neq_f16_e32 vcc, v13, v12
	v_addc_co_u32_e32 v4, vcc, 0, v4, vcc
	s_waitcnt vmcnt(4)
	v_cmp_neq_f16_e32 vcc, v14, v15
	v_addc_co_u32_e32 v4, vcc, v4, v5, vcc
	;; [unrolled: 3-line block ×4, first 2 shown]
	v_or_b32_e32 v4, 0xfc, v3
	s_nop 0
	v_add_u32_dpp v1, v1, v1 quad_perm:[1,0,3,2] row_mask:0xf bank_mask:0xf bound_ctrl:1
	v_cmp_eq_u32_e32 vcc, 0, v2
	s_nop 0
	v_add_u32_dpp v1, v1, v1 quad_perm:[2,3,0,1] row_mask:0xf bank_mask:0xf bound_ctrl:1
	s_nop 1
	v_add_u32_dpp v1, v1, v1 row_ror:4 row_mask:0xf bank_mask:0xf bound_ctrl:1
	s_nop 1
	v_add_u32_dpp v1, v1, v1 row_ror:8 row_mask:0xf bank_mask:0xf bound_ctrl:1
	s_nop 1
	v_add_u32_dpp v1, v1, v1 row_bcast:15 row_mask:0xf bank_mask:0xf bound_ctrl:1
	s_nop 1
	v_add_u32_dpp v1, v1, v1 row_bcast:31 row_mask:0xf bank_mask:0xf bound_ctrl:1
	ds_bpermute_b32 v1, v4, v1
	s_and_saveexec_b64 s[2:3], vcc
	s_cbranch_execz .LBB2193_138
; %bb.137:
	v_lshrrev_b32_e32 v4, 4, v0
	v_and_b32_e32 v4, 12, v4
	s_waitcnt lgkmcnt(0)
	ds_write_b32 v4, v1 offset:80
.LBB2193_138:
	s_or_b64 exec, exec, s[2:3]
	v_cmp_gt_u32_e32 vcc, 64, v0
	s_waitcnt lgkmcnt(0)
	s_barrier
	s_and_saveexec_b64 s[2:3], vcc
	s_cbranch_execz .LBB2193_140
; %bb.139:
	v_and_b32_e32 v1, 3, v2
	v_lshlrev_b32_e32 v4, 2, v1
	ds_read_b32 v4, v4 offset:80
	v_cmp_ne_u32_e32 vcc, 3, v1
	v_addc_co_u32_e32 v1, vcc, 0, v2, vcc
	v_lshlrev_b32_e32 v1, 2, v1
	s_waitcnt lgkmcnt(0)
	ds_bpermute_b32 v1, v1, v4
	v_or_b32_e32 v2, 8, v3
	s_waitcnt lgkmcnt(0)
	v_add_u32_e32 v1, v1, v4
	ds_bpermute_b32 v2, v2, v1
	s_waitcnt lgkmcnt(0)
	v_add_u32_e32 v1, v2, v1
.LBB2193_140:
	s_or_b64 exec, exec, s[2:3]
	s_branch .LBB2193_165
.LBB2193_141:
                                        ; implicit-def: $vgpr1
.LBB2193_142:
	s_branch .LBB2193_224
.LBB2193_143:
                                        ; implicit-def: $vgpr1
	s_cbranch_execz .LBB2193_165
; %bb.144:
	s_sub_i32 s22, s36, s0
	v_mov_b32_e32 v1, 0
	v_cmp_gt_u32_e32 vcc, s22, v0
	v_mov_b32_e32 v2, v1
	v_mov_b32_e32 v3, v1
	;; [unrolled: 1-line block ×7, first 2 shown]
	s_and_saveexec_b64 s[0:1], vcc
	s_cbranch_execz .LBB2193_146
; %bb.145:
	v_lshlrev_b32_e32 v2, 1, v0
	global_load_ushort v9, v2, s[16:17]
	global_load_ushort v10, v2, s[18:19]
	v_mov_b32_e32 v3, v1
	v_mov_b32_e32 v4, v1
	;; [unrolled: 1-line block ×6, first 2 shown]
	s_waitcnt vmcnt(0)
	v_cmp_neq_f16_e32 vcc, v9, v10
	v_cndmask_b32_e64 v2, 0, 1, vcc
	v_and_b32_e32 v2, 0xffff, v2
	v_mov_b32_e32 v9, v1
	v_mov_b32_e32 v1, v2
	;; [unrolled: 1-line block ×9, first 2 shown]
.LBB2193_146:
	s_or_b64 exec, exec, s[0:1]
	v_or_b32_e32 v9, 0x100, v0
	v_cmp_gt_u32_e32 vcc, s22, v9
	s_and_saveexec_b64 s[2:3], vcc
	s_cbranch_execz .LBB2193_148
; %bb.147:
	v_lshlrev_b32_e32 v2, 1, v0
	global_load_ushort v9, v2, s[16:17] offset:512
	global_load_ushort v10, v2, s[18:19] offset:512
	s_waitcnt vmcnt(0)
	v_cmp_neq_f16_e64 s[0:1], v9, v10
	v_cndmask_b32_e64 v2, 0, 1, s[0:1]
.LBB2193_148:
	s_or_b64 exec, exec, s[2:3]
	v_or_b32_e32 v9, 0x200, v0
	v_cmp_gt_u32_e64 s[0:1], s22, v9
	s_and_saveexec_b64 s[8:9], s[0:1]
	s_cbranch_execz .LBB2193_150
; %bb.149:
	v_lshlrev_b32_e32 v3, 1, v0
	global_load_ushort v9, v3, s[16:17] offset:1024
	global_load_ushort v10, v3, s[18:19] offset:1024
	s_waitcnt vmcnt(0)
	v_cmp_neq_f16_e64 s[2:3], v9, v10
	v_cndmask_b32_e64 v3, 0, 1, s[2:3]
.LBB2193_150:
	s_or_b64 exec, exec, s[8:9]
	v_or_b32_e32 v9, 0x300, v0
	v_cmp_gt_u32_e64 s[2:3], s22, v9
	s_and_saveexec_b64 s[10:11], s[2:3]
	;; [unrolled: 13-line block ×6, first 2 shown]
	s_cbranch_execz .LBB2193_160
; %bb.159:
	v_lshlrev_b32_e32 v8, 1, v0
	global_load_ushort v9, v8, s[16:17] offset:3584
	global_load_ushort v10, v8, s[18:19] offset:3584
	s_waitcnt vmcnt(0)
	v_cmp_neq_f16_e64 s[16:17], v9, v10
	v_cndmask_b32_e64 v8, 0, 1, s[16:17]
.LBB2193_160:
	s_or_b64 exec, exec, s[20:21]
	v_cndmask_b32_e32 v2, 0, v2, vcc
	v_add_u32_e32 v1, v2, v1
	v_cndmask_b32_e64 v2, 0, v3, s[0:1]
	v_cndmask_b32_e64 v3, 0, v4, s[2:3]
	v_add3_u32 v1, v1, v2, v3
	v_cndmask_b32_e64 v2, 0, v5, s[8:9]
	v_cndmask_b32_e64 v3, 0, v6, s[10:11]
	v_add3_u32 v1, v1, v2, v3
	;; [unrolled: 3-line block ×3, first 2 shown]
	v_mbcnt_lo_u32_b32 v2, -1, 0
	v_mbcnt_hi_u32_b32 v2, -1, v2
	v_and_b32_e32 v4, 63, v2
	v_cmp_ne_u32_e32 vcc, 63, v4
	v_addc_co_u32_e32 v3, vcc, 0, v2, vcc
	v_lshlrev_b32_e32 v3, 2, v3
	ds_bpermute_b32 v3, v3, v1
	s_min_u32 s2, s22, 0x100
	v_and_b32_e32 v5, 0xc0, v0
	v_sub_u32_e64 v5, s2, v5 clamp
	v_add_u32_e32 v6, 1, v4
	v_cmp_lt_u32_e32 vcc, v6, v5
	s_waitcnt lgkmcnt(0)
	v_cndmask_b32_e32 v3, 0, v3, vcc
	v_cmp_gt_u32_e32 vcc, 62, v4
	v_add_u32_e32 v1, v1, v3
	v_cndmask_b32_e64 v3, 0, 2, vcc
	v_add_lshl_u32 v3, v3, v2, 2
	ds_bpermute_b32 v3, v3, v1
	v_add_u32_e32 v6, 2, v4
	v_cmp_lt_u32_e32 vcc, v6, v5
	v_add_u32_e32 v6, 4, v4
	s_waitcnt lgkmcnt(0)
	v_cndmask_b32_e32 v3, 0, v3, vcc
	v_cmp_gt_u32_e32 vcc, 60, v4
	v_add_u32_e32 v1, v1, v3
	v_cndmask_b32_e64 v3, 0, 4, vcc
	v_add_lshl_u32 v3, v3, v2, 2
	ds_bpermute_b32 v3, v3, v1
	v_cmp_lt_u32_e32 vcc, v6, v5
	v_add_u32_e32 v6, 8, v4
	s_waitcnt lgkmcnt(0)
	v_cndmask_b32_e32 v3, 0, v3, vcc
	v_cmp_gt_u32_e32 vcc, 56, v4
	v_add_u32_e32 v1, v1, v3
	v_cndmask_b32_e64 v3, 0, 8, vcc
	v_add_lshl_u32 v3, v3, v2, 2
	ds_bpermute_b32 v3, v3, v1
	;; [unrolled: 9-line block ×3, first 2 shown]
	v_cmp_lt_u32_e32 vcc, v6, v5
	v_add_u32_e32 v4, 32, v4
	s_waitcnt lgkmcnt(0)
	v_cndmask_b32_e32 v3, 0, v3, vcc
	v_add_u32_e32 v1, v1, v3
	v_lshlrev_b32_e32 v3, 2, v2
	v_or_b32_e32 v6, 0x80, v3
	ds_bpermute_b32 v6, v6, v1
	v_cmp_lt_u32_e32 vcc, v4, v5
	s_waitcnt lgkmcnt(0)
	v_cndmask_b32_e32 v4, 0, v6, vcc
	v_add_u32_e32 v1, v1, v4
	v_cmp_eq_u32_e32 vcc, 0, v2
	s_and_saveexec_b64 s[0:1], vcc
; %bb.161:
	v_lshrrev_b32_e32 v4, 4, v0
	v_and_b32_e32 v4, 12, v4
	ds_write_b32 v4, v1 offset:96
; %bb.162:
	s_or_b64 exec, exec, s[0:1]
	v_cmp_gt_u32_e32 vcc, 4, v0
	s_waitcnt lgkmcnt(0)
	s_barrier
	s_and_saveexec_b64 s[0:1], vcc
	s_cbranch_execz .LBB2193_164
; %bb.163:
	ds_read_b32 v1, v3 offset:96
	v_and_b32_e32 v4, 3, v2
	v_cmp_ne_u32_e32 vcc, 3, v4
	v_addc_co_u32_e32 v2, vcc, 0, v2, vcc
	v_lshlrev_b32_e32 v2, 2, v2
	s_waitcnt lgkmcnt(0)
	ds_bpermute_b32 v2, v2, v1
	s_add_i32 s2, s2, 63
	s_lshr_b32 s2, s2, 6
	v_add_u32_e32 v5, 1, v4
	v_cmp_gt_u32_e32 vcc, s2, v5
	s_waitcnt lgkmcnt(0)
	v_cndmask_b32_e32 v2, 0, v2, vcc
	v_add_u32_e32 v1, v2, v1
	v_or_b32_e32 v2, 8, v3
	ds_bpermute_b32 v2, v2, v1
	v_add_u32_e32 v3, 2, v4
	v_cmp_gt_u32_e32 vcc, s2, v3
	s_waitcnt lgkmcnt(0)
	v_cndmask_b32_e32 v2, 0, v2, vcc
	v_add_u32_e32 v1, v1, v2
.LBB2193_164:
	s_or_b64 exec, exec, s[0:1]
.LBB2193_165:
	v_cmp_eq_u32_e64 s[0:1], 0, v0
	s_branch .LBB2193_224
.LBB2193_166:
	s_cmp_gt_i32 s33, 1
	s_cbranch_scc0 .LBB2193_175
; %bb.167:
	s_cmp_gt_i32 s33, 3
	s_cbranch_scc0 .LBB2193_176
; %bb.168:
	s_cmp_eq_u32 s33, 4
	s_cbranch_scc0 .LBB2193_177
; %bb.169:
	s_mov_b32 s7, 0
	s_lshl_b32 s0, s6, 10
	s_mov_b32 s1, s7
	s_lshr_b64 s[2:3], s[36:37], 10
	s_lshl_b64 s[10:11], s[0:1], 1
	s_add_u32 s8, s40, s10
	s_addc_u32 s9, s41, s11
	s_add_u32 s10, s42, s10
	s_addc_u32 s11, s43, s11
	s_cmp_lg_u64 s[2:3], s[6:7]
	s_cbranch_scc0 .LBB2193_179
; %bb.170:
	v_lshlrev_b32_e32 v1, 1, v0
	global_load_ushort v4, v1, s[8:9]
	global_load_ushort v5, v1, s[10:11]
	global_load_ushort v6, v1, s[8:9] offset:1024
	global_load_ushort v7, v1, s[10:11] offset:1024
	;; [unrolled: 1-line block ×6, first 2 shown]
	v_mbcnt_lo_u32_b32 v1, -1, 0
	v_mbcnt_hi_u32_b32 v2, -1, v1
	v_lshlrev_b32_e32 v3, 2, v2
	s_waitcnt vmcnt(6)
	v_cmp_neq_f16_e32 vcc, v4, v5
	v_cndmask_b32_e64 v1, 0, 1, vcc
	s_waitcnt vmcnt(4)
	v_cmp_neq_f16_e32 vcc, v6, v7
	v_cndmask_b32_e64 v4, 0, 1, vcc
	s_waitcnt vmcnt(2)
	v_cmp_neq_f16_e32 vcc, v8, v9
	v_addc_co_u32_e32 v1, vcc, 0, v1, vcc
	s_waitcnt vmcnt(0)
	v_cmp_neq_f16_e32 vcc, v11, v10
	v_addc_co_u32_e32 v1, vcc, v1, v4, vcc
	v_or_b32_e32 v4, 0xfc, v3
	s_nop 0
	v_add_u32_dpp v1, v1, v1 quad_perm:[1,0,3,2] row_mask:0xf bank_mask:0xf bound_ctrl:1
	v_cmp_eq_u32_e32 vcc, 0, v2
	s_nop 0
	v_add_u32_dpp v1, v1, v1 quad_perm:[2,3,0,1] row_mask:0xf bank_mask:0xf bound_ctrl:1
	s_nop 1
	v_add_u32_dpp v1, v1, v1 row_ror:4 row_mask:0xf bank_mask:0xf bound_ctrl:1
	s_nop 1
	v_add_u32_dpp v1, v1, v1 row_ror:8 row_mask:0xf bank_mask:0xf bound_ctrl:1
	s_nop 1
	v_add_u32_dpp v1, v1, v1 row_bcast:15 row_mask:0xf bank_mask:0xf bound_ctrl:1
	s_nop 1
	v_add_u32_dpp v1, v1, v1 row_bcast:31 row_mask:0xf bank_mask:0xf bound_ctrl:1
	ds_bpermute_b32 v1, v4, v1
	s_and_saveexec_b64 s[2:3], vcc
	s_cbranch_execz .LBB2193_172
; %bb.171:
	v_lshrrev_b32_e32 v4, 4, v0
	v_and_b32_e32 v4, 12, v4
	s_waitcnt lgkmcnt(0)
	ds_write_b32 v4, v1 offset:64
.LBB2193_172:
	s_or_b64 exec, exec, s[2:3]
	v_cmp_gt_u32_e32 vcc, 64, v0
	s_waitcnt lgkmcnt(0)
	s_barrier
	s_and_saveexec_b64 s[2:3], vcc
	s_cbranch_execz .LBB2193_174
; %bb.173:
	v_and_b32_e32 v1, 3, v2
	v_lshlrev_b32_e32 v4, 2, v1
	ds_read_b32 v4, v4 offset:64
	v_cmp_ne_u32_e32 vcc, 3, v1
	v_addc_co_u32_e32 v1, vcc, 0, v2, vcc
	v_lshlrev_b32_e32 v1, 2, v1
	s_waitcnt lgkmcnt(0)
	ds_bpermute_b32 v1, v1, v4
	v_or_b32_e32 v2, 8, v3
	s_waitcnt lgkmcnt(0)
	v_add_u32_e32 v1, v1, v4
	ds_bpermute_b32 v2, v2, v1
	s_waitcnt lgkmcnt(0)
	v_add_u32_e32 v1, v2, v1
.LBB2193_174:
	s_or_b64 exec, exec, s[2:3]
	s_mov_b64 s[2:3], 0
	s_branch .LBB2193_180
.LBB2193_175:
                                        ; implicit-def: $vgpr1
	s_cbranch_execnz .LBB2193_215
	s_branch .LBB2193_224
.LBB2193_176:
                                        ; implicit-def: $vgpr1
	s_cbranch_execz .LBB2193_178
	s_branch .LBB2193_195
.LBB2193_177:
                                        ; implicit-def: $vgpr1
.LBB2193_178:
	s_branch .LBB2193_224
.LBB2193_179:
	s_mov_b64 s[2:3], -1
                                        ; implicit-def: $vgpr1
.LBB2193_180:
	s_and_b64 vcc, exec, s[2:3]
	s_cbranch_vccz .LBB2193_194
; %bb.181:
	s_sub_i32 s14, s36, s0
	v_mov_b32_e32 v1, 0
	v_cmp_gt_u32_e32 vcc, s14, v0
	v_mov_b32_e32 v2, v1
	v_mov_b32_e32 v3, v1
	v_mov_b32_e32 v4, v1
	s_and_saveexec_b64 s[0:1], vcc
	s_cbranch_execz .LBB2193_183
; %bb.182:
	v_lshlrev_b32_e32 v2, 1, v0
	global_load_ushort v5, v2, s[8:9]
	global_load_ushort v6, v2, s[10:11]
	v_mov_b32_e32 v3, v1
	v_mov_b32_e32 v4, v1
	s_waitcnt vmcnt(0)
	v_cmp_neq_f16_e32 vcc, v5, v6
	v_cndmask_b32_e64 v2, 0, 1, vcc
	v_and_b32_e32 v2, 0xffff, v2
	v_mov_b32_e32 v5, v1
	v_mov_b32_e32 v1, v2
	;; [unrolled: 1-line block ×5, first 2 shown]
.LBB2193_183:
	s_or_b64 exec, exec, s[0:1]
	v_or_b32_e32 v5, 0x100, v0
	v_cmp_gt_u32_e32 vcc, s14, v5
	s_and_saveexec_b64 s[2:3], vcc
	s_cbranch_execz .LBB2193_185
; %bb.184:
	v_lshlrev_b32_e32 v2, 1, v0
	global_load_ushort v5, v2, s[8:9] offset:512
	global_load_ushort v6, v2, s[10:11] offset:512
	s_waitcnt vmcnt(0)
	v_cmp_neq_f16_e64 s[0:1], v5, v6
	v_cndmask_b32_e64 v2, 0, 1, s[0:1]
.LBB2193_185:
	s_or_b64 exec, exec, s[2:3]
	v_or_b32_e32 v5, 0x200, v0
	v_cmp_gt_u32_e64 s[0:1], s14, v5
	s_and_saveexec_b64 s[12:13], s[0:1]
	s_cbranch_execz .LBB2193_187
; %bb.186:
	v_lshlrev_b32_e32 v3, 1, v0
	global_load_ushort v5, v3, s[8:9] offset:1024
	global_load_ushort v6, v3, s[10:11] offset:1024
	s_waitcnt vmcnt(0)
	v_cmp_neq_f16_e64 s[2:3], v5, v6
	v_cndmask_b32_e64 v3, 0, 1, s[2:3]
.LBB2193_187:
	s_or_b64 exec, exec, s[12:13]
	v_or_b32_e32 v5, 0x300, v0
	v_cmp_gt_u32_e64 s[2:3], s14, v5
	s_and_saveexec_b64 s[12:13], s[2:3]
	s_cbranch_execz .LBB2193_189
; %bb.188:
	v_lshlrev_b32_e32 v4, 1, v0
	global_load_ushort v5, v4, s[8:9] offset:1536
	global_load_ushort v6, v4, s[10:11] offset:1536
	s_waitcnt vmcnt(0)
	v_cmp_neq_f16_e64 s[8:9], v5, v6
	v_cndmask_b32_e64 v4, 0, 1, s[8:9]
.LBB2193_189:
	s_or_b64 exec, exec, s[12:13]
	v_cndmask_b32_e32 v2, 0, v2, vcc
	v_add_u32_e32 v1, v2, v1
	v_cndmask_b32_e64 v2, 0, v3, s[0:1]
	v_cndmask_b32_e64 v3, 0, v4, s[2:3]
	v_add3_u32 v1, v1, v2, v3
	v_mbcnt_lo_u32_b32 v2, -1, 0
	v_mbcnt_hi_u32_b32 v2, -1, v2
	v_and_b32_e32 v4, 63, v2
	v_cmp_ne_u32_e32 vcc, 63, v4
	v_addc_co_u32_e32 v3, vcc, 0, v2, vcc
	v_lshlrev_b32_e32 v3, 2, v3
	ds_bpermute_b32 v3, v3, v1
	s_min_u32 s2, s14, 0x100
	v_and_b32_e32 v5, 0xc0, v0
	v_sub_u32_e64 v5, s2, v5 clamp
	v_add_u32_e32 v6, 1, v4
	v_cmp_lt_u32_e32 vcc, v6, v5
	s_waitcnt lgkmcnt(0)
	v_cndmask_b32_e32 v3, 0, v3, vcc
	v_cmp_gt_u32_e32 vcc, 62, v4
	v_add_u32_e32 v1, v3, v1
	v_cndmask_b32_e64 v3, 0, 2, vcc
	v_add_lshl_u32 v3, v3, v2, 2
	ds_bpermute_b32 v3, v3, v1
	v_add_u32_e32 v6, 2, v4
	v_cmp_lt_u32_e32 vcc, v6, v5
	v_add_u32_e32 v6, 4, v4
	s_waitcnt lgkmcnt(0)
	v_cndmask_b32_e32 v3, 0, v3, vcc
	v_cmp_gt_u32_e32 vcc, 60, v4
	v_add_u32_e32 v1, v1, v3
	v_cndmask_b32_e64 v3, 0, 4, vcc
	v_add_lshl_u32 v3, v3, v2, 2
	ds_bpermute_b32 v3, v3, v1
	v_cmp_lt_u32_e32 vcc, v6, v5
	v_add_u32_e32 v6, 8, v4
	s_waitcnt lgkmcnt(0)
	v_cndmask_b32_e32 v3, 0, v3, vcc
	v_cmp_gt_u32_e32 vcc, 56, v4
	v_add_u32_e32 v1, v1, v3
	v_cndmask_b32_e64 v3, 0, 8, vcc
	v_add_lshl_u32 v3, v3, v2, 2
	ds_bpermute_b32 v3, v3, v1
	;; [unrolled: 9-line block ×3, first 2 shown]
	v_cmp_lt_u32_e32 vcc, v6, v5
	v_add_u32_e32 v4, 32, v4
	s_waitcnt lgkmcnt(0)
	v_cndmask_b32_e32 v3, 0, v3, vcc
	v_add_u32_e32 v1, v1, v3
	v_lshlrev_b32_e32 v3, 2, v2
	v_or_b32_e32 v6, 0x80, v3
	ds_bpermute_b32 v6, v6, v1
	v_cmp_lt_u32_e32 vcc, v4, v5
	s_waitcnt lgkmcnt(0)
	v_cndmask_b32_e32 v4, 0, v6, vcc
	v_add_u32_e32 v1, v1, v4
	v_cmp_eq_u32_e32 vcc, 0, v2
	s_and_saveexec_b64 s[0:1], vcc
; %bb.190:
	v_lshrrev_b32_e32 v4, 4, v0
	v_and_b32_e32 v4, 12, v4
	ds_write_b32 v4, v1 offset:96
; %bb.191:
	s_or_b64 exec, exec, s[0:1]
	v_cmp_gt_u32_e32 vcc, 4, v0
	s_waitcnt lgkmcnt(0)
	s_barrier
	s_and_saveexec_b64 s[0:1], vcc
	s_cbranch_execz .LBB2193_193
; %bb.192:
	ds_read_b32 v1, v3 offset:96
	v_and_b32_e32 v4, 3, v2
	v_cmp_ne_u32_e32 vcc, 3, v4
	v_addc_co_u32_e32 v2, vcc, 0, v2, vcc
	v_lshlrev_b32_e32 v2, 2, v2
	s_waitcnt lgkmcnt(0)
	ds_bpermute_b32 v2, v2, v1
	s_add_i32 s2, s2, 63
	s_lshr_b32 s2, s2, 6
	v_add_u32_e32 v5, 1, v4
	v_cmp_gt_u32_e32 vcc, s2, v5
	s_waitcnt lgkmcnt(0)
	v_cndmask_b32_e32 v2, 0, v2, vcc
	v_add_u32_e32 v1, v2, v1
	v_or_b32_e32 v2, 8, v3
	ds_bpermute_b32 v2, v2, v1
	v_add_u32_e32 v3, 2, v4
	v_cmp_gt_u32_e32 vcc, s2, v3
	s_waitcnt lgkmcnt(0)
	v_cndmask_b32_e32 v2, 0, v2, vcc
	v_add_u32_e32 v1, v1, v2
.LBB2193_193:
	s_or_b64 exec, exec, s[0:1]
.LBB2193_194:
	v_cmp_eq_u32_e64 s[0:1], 0, v0
	s_branch .LBB2193_178
.LBB2193_195:
	s_cmp_eq_u32 s33, 2
	s_cbranch_scc0 .LBB2193_202
; %bb.196:
	s_mov_b32 s7, 0
	s_lshl_b32 s10, s6, 9
	s_mov_b32 s11, s7
	s_lshr_b64 s[0:1], s[36:37], 9
	s_lshl_b64 s[8:9], s[10:11], 1
	s_add_u32 s2, s40, s8
	s_addc_u32 s3, s41, s9
	s_add_u32 s8, s42, s8
	s_addc_u32 s9, s43, s9
	s_cmp_lg_u64 s[0:1], s[6:7]
	s_cbranch_scc0 .LBB2193_203
; %bb.197:
	v_lshlrev_b32_e32 v1, 1, v0
	global_load_ushort v4, v1, s[2:3]
	global_load_ushort v5, v1, s[8:9]
	global_load_ushort v6, v1, s[8:9] offset:512
	global_load_ushort v7, v1, s[2:3] offset:512
	v_mbcnt_lo_u32_b32 v1, -1, 0
	v_mbcnt_hi_u32_b32 v2, -1, v1
	v_lshlrev_b32_e32 v3, 2, v2
	s_waitcnt vmcnt(2)
	v_cmp_neq_f16_e32 vcc, v4, v5
	v_cndmask_b32_e64 v1, 0, 1, vcc
	s_waitcnt vmcnt(0)
	v_cmp_neq_f16_e32 vcc, v7, v6
	v_addc_co_u32_e64 v4, s[0:1], 0, v1, vcc
	s_nop 1
	v_mov_b32_dpp v4, v4 quad_perm:[1,0,3,2] row_mask:0xf bank_mask:0xf bound_ctrl:1
	v_addc_co_u32_e32 v1, vcc, v4, v1, vcc
	v_or_b32_e32 v4, 0xfc, v3
	s_nop 0
	v_add_u32_dpp v1, v1, v1 quad_perm:[2,3,0,1] row_mask:0xf bank_mask:0xf bound_ctrl:1
	v_cmp_eq_u32_e32 vcc, 0, v2
	s_nop 0
	v_add_u32_dpp v1, v1, v1 row_ror:4 row_mask:0xf bank_mask:0xf bound_ctrl:1
	s_nop 1
	v_add_u32_dpp v1, v1, v1 row_ror:8 row_mask:0xf bank_mask:0xf bound_ctrl:1
	s_nop 1
	v_add_u32_dpp v1, v1, v1 row_bcast:15 row_mask:0xf bank_mask:0xf bound_ctrl:1
	s_nop 1
	v_add_u32_dpp v1, v1, v1 row_bcast:31 row_mask:0xf bank_mask:0xf bound_ctrl:1
	ds_bpermute_b32 v1, v4, v1
	s_and_saveexec_b64 s[0:1], vcc
	s_cbranch_execz .LBB2193_199
; %bb.198:
	v_lshrrev_b32_e32 v4, 4, v0
	v_and_b32_e32 v4, 12, v4
	s_waitcnt lgkmcnt(0)
	ds_write_b32 v4, v1 offset:32
.LBB2193_199:
	s_or_b64 exec, exec, s[0:1]
	v_cmp_gt_u32_e32 vcc, 64, v0
	s_waitcnt lgkmcnt(0)
	s_barrier
	s_and_saveexec_b64 s[0:1], vcc
	s_cbranch_execz .LBB2193_201
; %bb.200:
	v_and_b32_e32 v1, 3, v2
	v_lshlrev_b32_e32 v4, 2, v1
	ds_read_b32 v4, v4 offset:32
	v_cmp_ne_u32_e32 vcc, 3, v1
	v_addc_co_u32_e32 v1, vcc, 0, v2, vcc
	v_lshlrev_b32_e32 v1, 2, v1
	s_waitcnt lgkmcnt(0)
	ds_bpermute_b32 v1, v1, v4
	v_or_b32_e32 v2, 8, v3
	s_waitcnt lgkmcnt(0)
	v_add_u32_e32 v1, v1, v4
	ds_bpermute_b32 v2, v2, v1
	s_waitcnt lgkmcnt(0)
	v_add_u32_e32 v1, v2, v1
.LBB2193_201:
	s_or_b64 exec, exec, s[0:1]
	s_mov_b64 s[0:1], 0
	s_branch .LBB2193_204
.LBB2193_202:
                                        ; implicit-def: $vgpr1
	s_branch .LBB2193_224
.LBB2193_203:
	s_mov_b64 s[0:1], -1
                                        ; implicit-def: $vgpr1
.LBB2193_204:
	s_and_b64 vcc, exec, s[0:1]
	s_cbranch_vccz .LBB2193_214
; %bb.205:
	s_sub_i32 s12, s36, s10
	v_mov_b32_e32 v1, 0
	v_cmp_gt_u32_e32 vcc, s12, v0
	v_mov_b32_e32 v2, v1
	s_and_saveexec_b64 s[0:1], vcc
	s_cbranch_execz .LBB2193_207
; %bb.206:
	v_lshlrev_b32_e32 v2, 1, v0
	global_load_ushort v3, v2, s[2:3]
	global_load_ushort v4, v2, s[8:9]
	s_waitcnt vmcnt(0)
	v_cmp_neq_f16_e32 vcc, v3, v4
	v_cndmask_b32_e64 v2, 0, 1, vcc
	v_and_b32_e32 v2, 0xffff, v2
	v_mov_b32_e32 v3, v1
	v_mov_b32_e32 v1, v2
	v_mov_b32_e32 v2, v3
.LBB2193_207:
	s_or_b64 exec, exec, s[0:1]
	v_or_b32_e32 v3, 0x100, v0
	v_cmp_gt_u32_e32 vcc, s12, v3
	s_and_saveexec_b64 s[10:11], vcc
	s_cbranch_execz .LBB2193_209
; %bb.208:
	v_lshlrev_b32_e32 v2, 1, v0
	global_load_ushort v3, v2, s[2:3] offset:512
	global_load_ushort v4, v2, s[8:9] offset:512
	s_waitcnt vmcnt(0)
	v_cmp_neq_f16_e64 s[0:1], v3, v4
	v_cndmask_b32_e64 v2, 0, 1, s[0:1]
.LBB2193_209:
	s_or_b64 exec, exec, s[10:11]
	v_cndmask_b32_e32 v2, 0, v2, vcc
	v_add_u32_e32 v1, v2, v1
	v_mbcnt_lo_u32_b32 v2, -1, 0
	v_mbcnt_hi_u32_b32 v2, -1, v2
	v_and_b32_e32 v4, 63, v2
	v_cmp_ne_u32_e32 vcc, 63, v4
	v_addc_co_u32_e32 v3, vcc, 0, v2, vcc
	v_lshlrev_b32_e32 v3, 2, v3
	ds_bpermute_b32 v3, v3, v1
	s_min_u32 s2, s12, 0x100
	v_and_b32_e32 v5, 0xc0, v0
	v_sub_u32_e64 v5, s2, v5 clamp
	v_add_u32_e32 v6, 1, v4
	v_cmp_lt_u32_e32 vcc, v6, v5
	s_waitcnt lgkmcnt(0)
	v_cndmask_b32_e32 v3, 0, v3, vcc
	v_cmp_gt_u32_e32 vcc, 62, v4
	v_add_u32_e32 v1, v3, v1
	v_cndmask_b32_e64 v3, 0, 2, vcc
	v_add_lshl_u32 v3, v3, v2, 2
	ds_bpermute_b32 v3, v3, v1
	v_add_u32_e32 v6, 2, v4
	v_cmp_lt_u32_e32 vcc, v6, v5
	v_add_u32_e32 v6, 4, v4
	s_waitcnt lgkmcnt(0)
	v_cndmask_b32_e32 v3, 0, v3, vcc
	v_cmp_gt_u32_e32 vcc, 60, v4
	v_add_u32_e32 v1, v1, v3
	v_cndmask_b32_e64 v3, 0, 4, vcc
	v_add_lshl_u32 v3, v3, v2, 2
	ds_bpermute_b32 v3, v3, v1
	v_cmp_lt_u32_e32 vcc, v6, v5
	v_add_u32_e32 v6, 8, v4
	s_waitcnt lgkmcnt(0)
	v_cndmask_b32_e32 v3, 0, v3, vcc
	v_cmp_gt_u32_e32 vcc, 56, v4
	v_add_u32_e32 v1, v1, v3
	v_cndmask_b32_e64 v3, 0, 8, vcc
	v_add_lshl_u32 v3, v3, v2, 2
	ds_bpermute_b32 v3, v3, v1
	;; [unrolled: 9-line block ×3, first 2 shown]
	v_cmp_lt_u32_e32 vcc, v6, v5
	v_add_u32_e32 v4, 32, v4
	s_waitcnt lgkmcnt(0)
	v_cndmask_b32_e32 v3, 0, v3, vcc
	v_add_u32_e32 v1, v1, v3
	v_lshlrev_b32_e32 v3, 2, v2
	v_or_b32_e32 v6, 0x80, v3
	ds_bpermute_b32 v6, v6, v1
	v_cmp_lt_u32_e32 vcc, v4, v5
	s_waitcnt lgkmcnt(0)
	v_cndmask_b32_e32 v4, 0, v6, vcc
	v_add_u32_e32 v1, v1, v4
	v_cmp_eq_u32_e32 vcc, 0, v2
	s_and_saveexec_b64 s[0:1], vcc
; %bb.210:
	v_lshrrev_b32_e32 v4, 4, v0
	v_and_b32_e32 v4, 12, v4
	ds_write_b32 v4, v1 offset:96
; %bb.211:
	s_or_b64 exec, exec, s[0:1]
	v_cmp_gt_u32_e32 vcc, 4, v0
	s_waitcnt lgkmcnt(0)
	s_barrier
	s_and_saveexec_b64 s[0:1], vcc
	s_cbranch_execz .LBB2193_213
; %bb.212:
	ds_read_b32 v1, v3 offset:96
	v_and_b32_e32 v4, 3, v2
	v_cmp_ne_u32_e32 vcc, 3, v4
	v_addc_co_u32_e32 v2, vcc, 0, v2, vcc
	v_lshlrev_b32_e32 v2, 2, v2
	s_waitcnt lgkmcnt(0)
	ds_bpermute_b32 v2, v2, v1
	s_add_i32 s2, s2, 63
	s_lshr_b32 s2, s2, 6
	v_add_u32_e32 v5, 1, v4
	v_cmp_gt_u32_e32 vcc, s2, v5
	s_waitcnt lgkmcnt(0)
	v_cndmask_b32_e32 v2, 0, v2, vcc
	v_add_u32_e32 v1, v2, v1
	v_or_b32_e32 v2, 8, v3
	ds_bpermute_b32 v2, v2, v1
	v_add_u32_e32 v3, 2, v4
	v_cmp_gt_u32_e32 vcc, s2, v3
	s_waitcnt lgkmcnt(0)
	v_cndmask_b32_e32 v2, 0, v2, vcc
	v_add_u32_e32 v1, v1, v2
.LBB2193_213:
	s_or_b64 exec, exec, s[0:1]
.LBB2193_214:
	v_cmp_eq_u32_e64 s[0:1], 0, v0
	s_branch .LBB2193_224
.LBB2193_215:
	s_cmp_eq_u32 s33, 1
	s_cbranch_scc0 .LBB2193_223
; %bb.216:
	s_mov_b32 s3, 0
	s_lshl_b32 s2, s6, 8
	s_mov_b32 s7, s3
	s_lshr_b64 s[0:1], s[36:37], 8
	s_cmp_lg_u64 s[0:1], s[6:7]
	v_mbcnt_lo_u32_b32 v2, -1, 0
	s_cbranch_scc0 .LBB2193_227
; %bb.217:
	s_lshl_b64 s[0:1], s[2:3], 1
	s_add_u32 s8, s40, s0
	s_addc_u32 s9, s41, s1
	s_add_u32 s0, s42, s0
	v_lshlrev_b32_e32 v1, 1, v0
	s_addc_u32 s1, s43, s1
	global_load_ushort v5, v1, s[8:9]
	global_load_ushort v6, v1, s[0:1]
	v_mbcnt_hi_u32_b32 v3, -1, v2
	v_lshlrev_b32_e32 v4, 2, v3
	s_waitcnt vmcnt(0)
	v_cmp_neq_f16_e32 vcc, v5, v6
	v_cndmask_b32_e64 v1, 0, 1, vcc
	s_nop 1
	v_mov_b32_dpp v1, v1 quad_perm:[1,0,3,2] row_mask:0xf bank_mask:0xf bound_ctrl:1
	v_addc_co_u32_e64 v5, s[0:1], 0, v1, vcc
	s_nop 1
	v_mov_b32_dpp v5, v5 quad_perm:[2,3,0,1] row_mask:0xf bank_mask:0xf bound_ctrl:1
	v_addc_co_u32_e32 v1, vcc, v5, v1, vcc
	v_or_b32_e32 v5, 0xfc, v4
	s_nop 0
	v_add_u32_dpp v1, v1, v1 row_ror:4 row_mask:0xf bank_mask:0xf bound_ctrl:1
	v_cmp_eq_u32_e32 vcc, 0, v3
	s_nop 0
	v_add_u32_dpp v1, v1, v1 row_ror:8 row_mask:0xf bank_mask:0xf bound_ctrl:1
	s_nop 1
	v_add_u32_dpp v1, v1, v1 row_bcast:15 row_mask:0xf bank_mask:0xf bound_ctrl:1
	s_nop 1
	v_add_u32_dpp v1, v1, v1 row_bcast:31 row_mask:0xf bank_mask:0xf bound_ctrl:1
	ds_bpermute_b32 v1, v5, v1
	s_and_saveexec_b64 s[0:1], vcc
	s_cbranch_execz .LBB2193_219
; %bb.218:
	v_lshrrev_b32_e32 v5, 4, v0
	v_and_b32_e32 v5, 12, v5
	s_waitcnt lgkmcnt(0)
	ds_write_b32 v5, v1 offset:16
.LBB2193_219:
	s_or_b64 exec, exec, s[0:1]
	v_cmp_gt_u32_e32 vcc, 64, v0
	s_waitcnt lgkmcnt(0)
	s_barrier
	s_and_saveexec_b64 s[0:1], vcc
	s_cbranch_execz .LBB2193_221
; %bb.220:
	v_and_b32_e32 v1, 3, v3
	v_lshlrev_b32_e32 v5, 2, v1
	ds_read_b32 v5, v5 offset:16
	v_cmp_ne_u32_e32 vcc, 3, v1
	v_addc_co_u32_e32 v1, vcc, 0, v3, vcc
	v_lshlrev_b32_e32 v1, 2, v1
	s_waitcnt lgkmcnt(0)
	ds_bpermute_b32 v1, v1, v5
	v_or_b32_e32 v3, 8, v4
	s_waitcnt lgkmcnt(0)
	v_add_u32_e32 v1, v1, v5
	ds_bpermute_b32 v3, v3, v1
	s_waitcnt lgkmcnt(0)
	v_add_u32_e32 v1, v3, v1
.LBB2193_221:
	s_or_b64 exec, exec, s[0:1]
.LBB2193_222:
	v_cmp_eq_u32_e64 s[0:1], 0, v0
	s_and_saveexec_b64 s[2:3], s[0:1]
	s_cbranch_execnz .LBB2193_225
	s_branch .LBB2193_226
.LBB2193_223:
                                        ; implicit-def: $vgpr1
                                        ; implicit-def: $sgpr6_sgpr7
.LBB2193_224:
	s_and_saveexec_b64 s[2:3], s[0:1]
	s_cbranch_execz .LBB2193_226
.LBB2193_225:
	s_lshl_b64 s[0:1], s[6:7], 2
	s_load_dword s2, s[4:5], 0x30
	s_add_u32 s0, s38, s0
	s_addc_u32 s1, s39, s1
	s_cmp_lg_u64 s[36:37], 0
	s_cselect_b64 vcc, -1, 0
	v_cndmask_b32_e32 v1, 0, v1, vcc
	v_mov_b32_e32 v0, 0
	s_waitcnt lgkmcnt(0)
	v_add_u32_e32 v1, s2, v1
	global_store_dword v0, v1, s[0:1]
.LBB2193_226:
	s_endpgm
.LBB2193_227:
                                        ; implicit-def: $vgpr1
	s_cbranch_execz .LBB2193_222
; %bb.228:
	s_sub_i32 s8, s36, s2
	v_cmp_gt_u32_e32 vcc, s8, v0
                                        ; implicit-def: $vgpr1
	s_and_saveexec_b64 s[0:1], vcc
	s_cbranch_execz .LBB2193_230
; %bb.229:
	s_lshl_b64 s[2:3], s[2:3], 1
	s_add_u32 s10, s42, s2
	s_addc_u32 s11, s43, s3
	s_add_u32 s2, s40, s2
	v_lshlrev_b32_e32 v1, 1, v0
	s_addc_u32 s3, s41, s3
	global_load_ushort v3, v1, s[2:3]
	global_load_ushort v4, v1, s[10:11]
	s_waitcnt vmcnt(0)
	v_cmp_neq_f16_e32 vcc, v3, v4
	v_cndmask_b32_e64 v1, 0, 1, vcc
.LBB2193_230:
	s_or_b64 exec, exec, s[0:1]
	v_mbcnt_hi_u32_b32 v2, -1, v2
	v_and_b32_e32 v4, 63, v2
	v_cmp_ne_u32_e32 vcc, 63, v4
	v_addc_co_u32_e32 v3, vcc, 0, v2, vcc
	v_lshlrev_b32_e32 v3, 2, v3
	ds_bpermute_b32 v3, v3, v1
	s_min_u32 s2, s8, 0x100
	v_and_b32_e32 v5, 0xc0, v0
	v_sub_u32_e64 v5, s2, v5 clamp
	v_add_u32_e32 v6, 1, v4
	v_cmp_lt_u32_e32 vcc, v6, v5
	s_waitcnt lgkmcnt(0)
	v_cndmask_b32_e32 v3, 0, v3, vcc
	v_cmp_gt_u32_e32 vcc, 62, v4
	v_add_u32_e32 v1, v3, v1
	v_cndmask_b32_e64 v3, 0, 2, vcc
	v_add_lshl_u32 v3, v3, v2, 2
	ds_bpermute_b32 v3, v3, v1
	v_add_u32_e32 v6, 2, v4
	v_cmp_lt_u32_e32 vcc, v6, v5
	v_add_u32_e32 v6, 4, v4
	s_waitcnt lgkmcnt(0)
	v_cndmask_b32_e32 v3, 0, v3, vcc
	v_cmp_gt_u32_e32 vcc, 60, v4
	v_add_u32_e32 v1, v1, v3
	v_cndmask_b32_e64 v3, 0, 4, vcc
	v_add_lshl_u32 v3, v3, v2, 2
	ds_bpermute_b32 v3, v3, v1
	v_cmp_lt_u32_e32 vcc, v6, v5
	v_add_u32_e32 v6, 8, v4
	s_waitcnt lgkmcnt(0)
	v_cndmask_b32_e32 v3, 0, v3, vcc
	v_cmp_gt_u32_e32 vcc, 56, v4
	v_add_u32_e32 v1, v1, v3
	v_cndmask_b32_e64 v3, 0, 8, vcc
	v_add_lshl_u32 v3, v3, v2, 2
	ds_bpermute_b32 v3, v3, v1
	;; [unrolled: 9-line block ×3, first 2 shown]
	v_cmp_lt_u32_e32 vcc, v6, v5
	v_add_u32_e32 v4, 32, v4
	s_waitcnt lgkmcnt(0)
	v_cndmask_b32_e32 v3, 0, v3, vcc
	v_add_u32_e32 v1, v1, v3
	v_lshlrev_b32_e32 v3, 2, v2
	v_or_b32_e32 v6, 0x80, v3
	ds_bpermute_b32 v6, v6, v1
	v_cmp_lt_u32_e32 vcc, v4, v5
	s_waitcnt lgkmcnt(0)
	v_cndmask_b32_e32 v4, 0, v6, vcc
	v_add_u32_e32 v1, v1, v4
	v_cmp_eq_u32_e32 vcc, 0, v2
	s_and_saveexec_b64 s[0:1], vcc
; %bb.231:
	v_lshrrev_b32_e32 v4, 4, v0
	v_and_b32_e32 v4, 12, v4
	ds_write_b32 v4, v1 offset:96
; %bb.232:
	s_or_b64 exec, exec, s[0:1]
	v_cmp_gt_u32_e32 vcc, 4, v0
	s_waitcnt lgkmcnt(0)
	s_barrier
	s_and_saveexec_b64 s[0:1], vcc
	s_cbranch_execz .LBB2193_234
; %bb.233:
	ds_read_b32 v1, v3 offset:96
	v_and_b32_e32 v4, 3, v2
	v_cmp_ne_u32_e32 vcc, 3, v4
	v_addc_co_u32_e32 v2, vcc, 0, v2, vcc
	v_lshlrev_b32_e32 v2, 2, v2
	s_waitcnt lgkmcnt(0)
	ds_bpermute_b32 v2, v2, v1
	s_add_i32 s2, s2, 63
	s_lshr_b32 s2, s2, 6
	v_add_u32_e32 v5, 1, v4
	v_cmp_gt_u32_e32 vcc, s2, v5
	s_waitcnt lgkmcnt(0)
	v_cndmask_b32_e32 v2, 0, v2, vcc
	v_add_u32_e32 v1, v2, v1
	v_or_b32_e32 v2, 8, v3
	ds_bpermute_b32 v2, v2, v1
	v_add_u32_e32 v3, 2, v4
	v_cmp_gt_u32_e32 vcc, s2, v3
	s_waitcnt lgkmcnt(0)
	v_cndmask_b32_e32 v2, 0, v2, vcc
	v_add_u32_e32 v1, v1, v2
.LBB2193_234:
	s_or_b64 exec, exec, s[0:1]
	v_cmp_eq_u32_e64 s[0:1], 0, v0
	s_and_saveexec_b64 s[2:3], s[0:1]
	s_cbranch_execnz .LBB2193_225
	s_branch .LBB2193_226
	.section	.rodata,"a",@progbits
	.p2align	6, 0x0
	.amdhsa_kernel _ZN7rocprim17ROCPRIM_400000_NS6detail17trampoline_kernelINS0_14default_configENS1_22reduce_config_selectorIiEEZNS1_11reduce_implILb1ES3_N6thrust23THRUST_200600_302600_NS11hip_rocprim35transform_pair_of_input_iterators_tIiPN3c104HalfESD_NS8_12not_equal_toISC_EEEEPiiNS8_4plusIiEEEE10hipError_tPvRmT1_T2_T3_mT4_P12ihipStream_tbEUlT_E1_NS1_11comp_targetILNS1_3genE2ELNS1_11target_archE906ELNS1_3gpuE6ELNS1_3repE0EEENS1_30default_config_static_selectorELNS0_4arch9wavefront6targetE1EEEvSN_
		.amdhsa_group_segment_fixed_size 112
		.amdhsa_private_segment_fixed_size 0
		.amdhsa_kernarg_size 56
		.amdhsa_user_sgpr_count 6
		.amdhsa_user_sgpr_private_segment_buffer 1
		.amdhsa_user_sgpr_dispatch_ptr 0
		.amdhsa_user_sgpr_queue_ptr 0
		.amdhsa_user_sgpr_kernarg_segment_ptr 1
		.amdhsa_user_sgpr_dispatch_id 0
		.amdhsa_user_sgpr_flat_scratch_init 0
		.amdhsa_user_sgpr_private_segment_size 0
		.amdhsa_uses_dynamic_stack 0
		.amdhsa_system_sgpr_private_segment_wavefront_offset 0
		.amdhsa_system_sgpr_workgroup_id_x 1
		.amdhsa_system_sgpr_workgroup_id_y 0
		.amdhsa_system_sgpr_workgroup_id_z 0
		.amdhsa_system_sgpr_workgroup_info 0
		.amdhsa_system_vgpr_workitem_id 0
		.amdhsa_next_free_vgpr 35
		.amdhsa_next_free_sgpr 52
		.amdhsa_reserve_vcc 1
		.amdhsa_reserve_flat_scratch 0
		.amdhsa_float_round_mode_32 0
		.amdhsa_float_round_mode_16_64 0
		.amdhsa_float_denorm_mode_32 3
		.amdhsa_float_denorm_mode_16_64 3
		.amdhsa_dx10_clamp 1
		.amdhsa_ieee_mode 1
		.amdhsa_fp16_overflow 0
		.amdhsa_exception_fp_ieee_invalid_op 0
		.amdhsa_exception_fp_denorm_src 0
		.amdhsa_exception_fp_ieee_div_zero 0
		.amdhsa_exception_fp_ieee_overflow 0
		.amdhsa_exception_fp_ieee_underflow 0
		.amdhsa_exception_fp_ieee_inexact 0
		.amdhsa_exception_int_div_zero 0
	.end_amdhsa_kernel
	.section	.text._ZN7rocprim17ROCPRIM_400000_NS6detail17trampoline_kernelINS0_14default_configENS1_22reduce_config_selectorIiEEZNS1_11reduce_implILb1ES3_N6thrust23THRUST_200600_302600_NS11hip_rocprim35transform_pair_of_input_iterators_tIiPN3c104HalfESD_NS8_12not_equal_toISC_EEEEPiiNS8_4plusIiEEEE10hipError_tPvRmT1_T2_T3_mT4_P12ihipStream_tbEUlT_E1_NS1_11comp_targetILNS1_3genE2ELNS1_11target_archE906ELNS1_3gpuE6ELNS1_3repE0EEENS1_30default_config_static_selectorELNS0_4arch9wavefront6targetE1EEEvSN_,"axG",@progbits,_ZN7rocprim17ROCPRIM_400000_NS6detail17trampoline_kernelINS0_14default_configENS1_22reduce_config_selectorIiEEZNS1_11reduce_implILb1ES3_N6thrust23THRUST_200600_302600_NS11hip_rocprim35transform_pair_of_input_iterators_tIiPN3c104HalfESD_NS8_12not_equal_toISC_EEEEPiiNS8_4plusIiEEEE10hipError_tPvRmT1_T2_T3_mT4_P12ihipStream_tbEUlT_E1_NS1_11comp_targetILNS1_3genE2ELNS1_11target_archE906ELNS1_3gpuE6ELNS1_3repE0EEENS1_30default_config_static_selectorELNS0_4arch9wavefront6targetE1EEEvSN_,comdat
.Lfunc_end2193:
	.size	_ZN7rocprim17ROCPRIM_400000_NS6detail17trampoline_kernelINS0_14default_configENS1_22reduce_config_selectorIiEEZNS1_11reduce_implILb1ES3_N6thrust23THRUST_200600_302600_NS11hip_rocprim35transform_pair_of_input_iterators_tIiPN3c104HalfESD_NS8_12not_equal_toISC_EEEEPiiNS8_4plusIiEEEE10hipError_tPvRmT1_T2_T3_mT4_P12ihipStream_tbEUlT_E1_NS1_11comp_targetILNS1_3genE2ELNS1_11target_archE906ELNS1_3gpuE6ELNS1_3repE0EEENS1_30default_config_static_selectorELNS0_4arch9wavefront6targetE1EEEvSN_, .Lfunc_end2193-_ZN7rocprim17ROCPRIM_400000_NS6detail17trampoline_kernelINS0_14default_configENS1_22reduce_config_selectorIiEEZNS1_11reduce_implILb1ES3_N6thrust23THRUST_200600_302600_NS11hip_rocprim35transform_pair_of_input_iterators_tIiPN3c104HalfESD_NS8_12not_equal_toISC_EEEEPiiNS8_4plusIiEEEE10hipError_tPvRmT1_T2_T3_mT4_P12ihipStream_tbEUlT_E1_NS1_11comp_targetILNS1_3genE2ELNS1_11target_archE906ELNS1_3gpuE6ELNS1_3repE0EEENS1_30default_config_static_selectorELNS0_4arch9wavefront6targetE1EEEvSN_
                                        ; -- End function
	.set _ZN7rocprim17ROCPRIM_400000_NS6detail17trampoline_kernelINS0_14default_configENS1_22reduce_config_selectorIiEEZNS1_11reduce_implILb1ES3_N6thrust23THRUST_200600_302600_NS11hip_rocprim35transform_pair_of_input_iterators_tIiPN3c104HalfESD_NS8_12not_equal_toISC_EEEEPiiNS8_4plusIiEEEE10hipError_tPvRmT1_T2_T3_mT4_P12ihipStream_tbEUlT_E1_NS1_11comp_targetILNS1_3genE2ELNS1_11target_archE906ELNS1_3gpuE6ELNS1_3repE0EEENS1_30default_config_static_selectorELNS0_4arch9wavefront6targetE1EEEvSN_.num_vgpr, 35
	.set _ZN7rocprim17ROCPRIM_400000_NS6detail17trampoline_kernelINS0_14default_configENS1_22reduce_config_selectorIiEEZNS1_11reduce_implILb1ES3_N6thrust23THRUST_200600_302600_NS11hip_rocprim35transform_pair_of_input_iterators_tIiPN3c104HalfESD_NS8_12not_equal_toISC_EEEEPiiNS8_4plusIiEEEE10hipError_tPvRmT1_T2_T3_mT4_P12ihipStream_tbEUlT_E1_NS1_11comp_targetILNS1_3genE2ELNS1_11target_archE906ELNS1_3gpuE6ELNS1_3repE0EEENS1_30default_config_static_selectorELNS0_4arch9wavefront6targetE1EEEvSN_.num_agpr, 0
	.set _ZN7rocprim17ROCPRIM_400000_NS6detail17trampoline_kernelINS0_14default_configENS1_22reduce_config_selectorIiEEZNS1_11reduce_implILb1ES3_N6thrust23THRUST_200600_302600_NS11hip_rocprim35transform_pair_of_input_iterators_tIiPN3c104HalfESD_NS8_12not_equal_toISC_EEEEPiiNS8_4plusIiEEEE10hipError_tPvRmT1_T2_T3_mT4_P12ihipStream_tbEUlT_E1_NS1_11comp_targetILNS1_3genE2ELNS1_11target_archE906ELNS1_3gpuE6ELNS1_3repE0EEENS1_30default_config_static_selectorELNS0_4arch9wavefront6targetE1EEEvSN_.numbered_sgpr, 52
	.set _ZN7rocprim17ROCPRIM_400000_NS6detail17trampoline_kernelINS0_14default_configENS1_22reduce_config_selectorIiEEZNS1_11reduce_implILb1ES3_N6thrust23THRUST_200600_302600_NS11hip_rocprim35transform_pair_of_input_iterators_tIiPN3c104HalfESD_NS8_12not_equal_toISC_EEEEPiiNS8_4plusIiEEEE10hipError_tPvRmT1_T2_T3_mT4_P12ihipStream_tbEUlT_E1_NS1_11comp_targetILNS1_3genE2ELNS1_11target_archE906ELNS1_3gpuE6ELNS1_3repE0EEENS1_30default_config_static_selectorELNS0_4arch9wavefront6targetE1EEEvSN_.num_named_barrier, 0
	.set _ZN7rocprim17ROCPRIM_400000_NS6detail17trampoline_kernelINS0_14default_configENS1_22reduce_config_selectorIiEEZNS1_11reduce_implILb1ES3_N6thrust23THRUST_200600_302600_NS11hip_rocprim35transform_pair_of_input_iterators_tIiPN3c104HalfESD_NS8_12not_equal_toISC_EEEEPiiNS8_4plusIiEEEE10hipError_tPvRmT1_T2_T3_mT4_P12ihipStream_tbEUlT_E1_NS1_11comp_targetILNS1_3genE2ELNS1_11target_archE906ELNS1_3gpuE6ELNS1_3repE0EEENS1_30default_config_static_selectorELNS0_4arch9wavefront6targetE1EEEvSN_.private_seg_size, 0
	.set _ZN7rocprim17ROCPRIM_400000_NS6detail17trampoline_kernelINS0_14default_configENS1_22reduce_config_selectorIiEEZNS1_11reduce_implILb1ES3_N6thrust23THRUST_200600_302600_NS11hip_rocprim35transform_pair_of_input_iterators_tIiPN3c104HalfESD_NS8_12not_equal_toISC_EEEEPiiNS8_4plusIiEEEE10hipError_tPvRmT1_T2_T3_mT4_P12ihipStream_tbEUlT_E1_NS1_11comp_targetILNS1_3genE2ELNS1_11target_archE906ELNS1_3gpuE6ELNS1_3repE0EEENS1_30default_config_static_selectorELNS0_4arch9wavefront6targetE1EEEvSN_.uses_vcc, 1
	.set _ZN7rocprim17ROCPRIM_400000_NS6detail17trampoline_kernelINS0_14default_configENS1_22reduce_config_selectorIiEEZNS1_11reduce_implILb1ES3_N6thrust23THRUST_200600_302600_NS11hip_rocprim35transform_pair_of_input_iterators_tIiPN3c104HalfESD_NS8_12not_equal_toISC_EEEEPiiNS8_4plusIiEEEE10hipError_tPvRmT1_T2_T3_mT4_P12ihipStream_tbEUlT_E1_NS1_11comp_targetILNS1_3genE2ELNS1_11target_archE906ELNS1_3gpuE6ELNS1_3repE0EEENS1_30default_config_static_selectorELNS0_4arch9wavefront6targetE1EEEvSN_.uses_flat_scratch, 0
	.set _ZN7rocprim17ROCPRIM_400000_NS6detail17trampoline_kernelINS0_14default_configENS1_22reduce_config_selectorIiEEZNS1_11reduce_implILb1ES3_N6thrust23THRUST_200600_302600_NS11hip_rocprim35transform_pair_of_input_iterators_tIiPN3c104HalfESD_NS8_12not_equal_toISC_EEEEPiiNS8_4plusIiEEEE10hipError_tPvRmT1_T2_T3_mT4_P12ihipStream_tbEUlT_E1_NS1_11comp_targetILNS1_3genE2ELNS1_11target_archE906ELNS1_3gpuE6ELNS1_3repE0EEENS1_30default_config_static_selectorELNS0_4arch9wavefront6targetE1EEEvSN_.has_dyn_sized_stack, 0
	.set _ZN7rocprim17ROCPRIM_400000_NS6detail17trampoline_kernelINS0_14default_configENS1_22reduce_config_selectorIiEEZNS1_11reduce_implILb1ES3_N6thrust23THRUST_200600_302600_NS11hip_rocprim35transform_pair_of_input_iterators_tIiPN3c104HalfESD_NS8_12not_equal_toISC_EEEEPiiNS8_4plusIiEEEE10hipError_tPvRmT1_T2_T3_mT4_P12ihipStream_tbEUlT_E1_NS1_11comp_targetILNS1_3genE2ELNS1_11target_archE906ELNS1_3gpuE6ELNS1_3repE0EEENS1_30default_config_static_selectorELNS0_4arch9wavefront6targetE1EEEvSN_.has_recursion, 0
	.set _ZN7rocprim17ROCPRIM_400000_NS6detail17trampoline_kernelINS0_14default_configENS1_22reduce_config_selectorIiEEZNS1_11reduce_implILb1ES3_N6thrust23THRUST_200600_302600_NS11hip_rocprim35transform_pair_of_input_iterators_tIiPN3c104HalfESD_NS8_12not_equal_toISC_EEEEPiiNS8_4plusIiEEEE10hipError_tPvRmT1_T2_T3_mT4_P12ihipStream_tbEUlT_E1_NS1_11comp_targetILNS1_3genE2ELNS1_11target_archE906ELNS1_3gpuE6ELNS1_3repE0EEENS1_30default_config_static_selectorELNS0_4arch9wavefront6targetE1EEEvSN_.has_indirect_call, 0
	.section	.AMDGPU.csdata,"",@progbits
; Kernel info:
; codeLenInByte = 12016
; TotalNumSgprs: 56
; NumVgprs: 35
; ScratchSize: 0
; MemoryBound: 0
; FloatMode: 240
; IeeeMode: 1
; LDSByteSize: 112 bytes/workgroup (compile time only)
; SGPRBlocks: 6
; VGPRBlocks: 8
; NumSGPRsForWavesPerEU: 56
; NumVGPRsForWavesPerEU: 35
; Occupancy: 7
; WaveLimiterHint : 0
; COMPUTE_PGM_RSRC2:SCRATCH_EN: 0
; COMPUTE_PGM_RSRC2:USER_SGPR: 6
; COMPUTE_PGM_RSRC2:TRAP_HANDLER: 0
; COMPUTE_PGM_RSRC2:TGID_X_EN: 1
; COMPUTE_PGM_RSRC2:TGID_Y_EN: 0
; COMPUTE_PGM_RSRC2:TGID_Z_EN: 0
; COMPUTE_PGM_RSRC2:TIDIG_COMP_CNT: 0
	.section	.text._ZN7rocprim17ROCPRIM_400000_NS6detail17trampoline_kernelINS0_14default_configENS1_22reduce_config_selectorIiEEZNS1_11reduce_implILb1ES3_N6thrust23THRUST_200600_302600_NS11hip_rocprim35transform_pair_of_input_iterators_tIiPN3c104HalfESD_NS8_12not_equal_toISC_EEEEPiiNS8_4plusIiEEEE10hipError_tPvRmT1_T2_T3_mT4_P12ihipStream_tbEUlT_E1_NS1_11comp_targetILNS1_3genE10ELNS1_11target_archE1201ELNS1_3gpuE5ELNS1_3repE0EEENS1_30default_config_static_selectorELNS0_4arch9wavefront6targetE1EEEvSN_,"axG",@progbits,_ZN7rocprim17ROCPRIM_400000_NS6detail17trampoline_kernelINS0_14default_configENS1_22reduce_config_selectorIiEEZNS1_11reduce_implILb1ES3_N6thrust23THRUST_200600_302600_NS11hip_rocprim35transform_pair_of_input_iterators_tIiPN3c104HalfESD_NS8_12not_equal_toISC_EEEEPiiNS8_4plusIiEEEE10hipError_tPvRmT1_T2_T3_mT4_P12ihipStream_tbEUlT_E1_NS1_11comp_targetILNS1_3genE10ELNS1_11target_archE1201ELNS1_3gpuE5ELNS1_3repE0EEENS1_30default_config_static_selectorELNS0_4arch9wavefront6targetE1EEEvSN_,comdat
	.protected	_ZN7rocprim17ROCPRIM_400000_NS6detail17trampoline_kernelINS0_14default_configENS1_22reduce_config_selectorIiEEZNS1_11reduce_implILb1ES3_N6thrust23THRUST_200600_302600_NS11hip_rocprim35transform_pair_of_input_iterators_tIiPN3c104HalfESD_NS8_12not_equal_toISC_EEEEPiiNS8_4plusIiEEEE10hipError_tPvRmT1_T2_T3_mT4_P12ihipStream_tbEUlT_E1_NS1_11comp_targetILNS1_3genE10ELNS1_11target_archE1201ELNS1_3gpuE5ELNS1_3repE0EEENS1_30default_config_static_selectorELNS0_4arch9wavefront6targetE1EEEvSN_ ; -- Begin function _ZN7rocprim17ROCPRIM_400000_NS6detail17trampoline_kernelINS0_14default_configENS1_22reduce_config_selectorIiEEZNS1_11reduce_implILb1ES3_N6thrust23THRUST_200600_302600_NS11hip_rocprim35transform_pair_of_input_iterators_tIiPN3c104HalfESD_NS8_12not_equal_toISC_EEEEPiiNS8_4plusIiEEEE10hipError_tPvRmT1_T2_T3_mT4_P12ihipStream_tbEUlT_E1_NS1_11comp_targetILNS1_3genE10ELNS1_11target_archE1201ELNS1_3gpuE5ELNS1_3repE0EEENS1_30default_config_static_selectorELNS0_4arch9wavefront6targetE1EEEvSN_
	.globl	_ZN7rocprim17ROCPRIM_400000_NS6detail17trampoline_kernelINS0_14default_configENS1_22reduce_config_selectorIiEEZNS1_11reduce_implILb1ES3_N6thrust23THRUST_200600_302600_NS11hip_rocprim35transform_pair_of_input_iterators_tIiPN3c104HalfESD_NS8_12not_equal_toISC_EEEEPiiNS8_4plusIiEEEE10hipError_tPvRmT1_T2_T3_mT4_P12ihipStream_tbEUlT_E1_NS1_11comp_targetILNS1_3genE10ELNS1_11target_archE1201ELNS1_3gpuE5ELNS1_3repE0EEENS1_30default_config_static_selectorELNS0_4arch9wavefront6targetE1EEEvSN_
	.p2align	8
	.type	_ZN7rocprim17ROCPRIM_400000_NS6detail17trampoline_kernelINS0_14default_configENS1_22reduce_config_selectorIiEEZNS1_11reduce_implILb1ES3_N6thrust23THRUST_200600_302600_NS11hip_rocprim35transform_pair_of_input_iterators_tIiPN3c104HalfESD_NS8_12not_equal_toISC_EEEEPiiNS8_4plusIiEEEE10hipError_tPvRmT1_T2_T3_mT4_P12ihipStream_tbEUlT_E1_NS1_11comp_targetILNS1_3genE10ELNS1_11target_archE1201ELNS1_3gpuE5ELNS1_3repE0EEENS1_30default_config_static_selectorELNS0_4arch9wavefront6targetE1EEEvSN_,@function
_ZN7rocprim17ROCPRIM_400000_NS6detail17trampoline_kernelINS0_14default_configENS1_22reduce_config_selectorIiEEZNS1_11reduce_implILb1ES3_N6thrust23THRUST_200600_302600_NS11hip_rocprim35transform_pair_of_input_iterators_tIiPN3c104HalfESD_NS8_12not_equal_toISC_EEEEPiiNS8_4plusIiEEEE10hipError_tPvRmT1_T2_T3_mT4_P12ihipStream_tbEUlT_E1_NS1_11comp_targetILNS1_3genE10ELNS1_11target_archE1201ELNS1_3gpuE5ELNS1_3repE0EEENS1_30default_config_static_selectorELNS0_4arch9wavefront6targetE1EEEvSN_: ; @_ZN7rocprim17ROCPRIM_400000_NS6detail17trampoline_kernelINS0_14default_configENS1_22reduce_config_selectorIiEEZNS1_11reduce_implILb1ES3_N6thrust23THRUST_200600_302600_NS11hip_rocprim35transform_pair_of_input_iterators_tIiPN3c104HalfESD_NS8_12not_equal_toISC_EEEEPiiNS8_4plusIiEEEE10hipError_tPvRmT1_T2_T3_mT4_P12ihipStream_tbEUlT_E1_NS1_11comp_targetILNS1_3genE10ELNS1_11target_archE1201ELNS1_3gpuE5ELNS1_3repE0EEENS1_30default_config_static_selectorELNS0_4arch9wavefront6targetE1EEEvSN_
; %bb.0:
	.section	.rodata,"a",@progbits
	.p2align	6, 0x0
	.amdhsa_kernel _ZN7rocprim17ROCPRIM_400000_NS6detail17trampoline_kernelINS0_14default_configENS1_22reduce_config_selectorIiEEZNS1_11reduce_implILb1ES3_N6thrust23THRUST_200600_302600_NS11hip_rocprim35transform_pair_of_input_iterators_tIiPN3c104HalfESD_NS8_12not_equal_toISC_EEEEPiiNS8_4plusIiEEEE10hipError_tPvRmT1_T2_T3_mT4_P12ihipStream_tbEUlT_E1_NS1_11comp_targetILNS1_3genE10ELNS1_11target_archE1201ELNS1_3gpuE5ELNS1_3repE0EEENS1_30default_config_static_selectorELNS0_4arch9wavefront6targetE1EEEvSN_
		.amdhsa_group_segment_fixed_size 0
		.amdhsa_private_segment_fixed_size 0
		.amdhsa_kernarg_size 56
		.amdhsa_user_sgpr_count 6
		.amdhsa_user_sgpr_private_segment_buffer 1
		.amdhsa_user_sgpr_dispatch_ptr 0
		.amdhsa_user_sgpr_queue_ptr 0
		.amdhsa_user_sgpr_kernarg_segment_ptr 1
		.amdhsa_user_sgpr_dispatch_id 0
		.amdhsa_user_sgpr_flat_scratch_init 0
		.amdhsa_user_sgpr_private_segment_size 0
		.amdhsa_uses_dynamic_stack 0
		.amdhsa_system_sgpr_private_segment_wavefront_offset 0
		.amdhsa_system_sgpr_workgroup_id_x 1
		.amdhsa_system_sgpr_workgroup_id_y 0
		.amdhsa_system_sgpr_workgroup_id_z 0
		.amdhsa_system_sgpr_workgroup_info 0
		.amdhsa_system_vgpr_workitem_id 0
		.amdhsa_next_free_vgpr 1
		.amdhsa_next_free_sgpr 0
		.amdhsa_reserve_vcc 0
		.amdhsa_reserve_flat_scratch 0
		.amdhsa_float_round_mode_32 0
		.amdhsa_float_round_mode_16_64 0
		.amdhsa_float_denorm_mode_32 3
		.amdhsa_float_denorm_mode_16_64 3
		.amdhsa_dx10_clamp 1
		.amdhsa_ieee_mode 1
		.amdhsa_fp16_overflow 0
		.amdhsa_exception_fp_ieee_invalid_op 0
		.amdhsa_exception_fp_denorm_src 0
		.amdhsa_exception_fp_ieee_div_zero 0
		.amdhsa_exception_fp_ieee_overflow 0
		.amdhsa_exception_fp_ieee_underflow 0
		.amdhsa_exception_fp_ieee_inexact 0
		.amdhsa_exception_int_div_zero 0
	.end_amdhsa_kernel
	.section	.text._ZN7rocprim17ROCPRIM_400000_NS6detail17trampoline_kernelINS0_14default_configENS1_22reduce_config_selectorIiEEZNS1_11reduce_implILb1ES3_N6thrust23THRUST_200600_302600_NS11hip_rocprim35transform_pair_of_input_iterators_tIiPN3c104HalfESD_NS8_12not_equal_toISC_EEEEPiiNS8_4plusIiEEEE10hipError_tPvRmT1_T2_T3_mT4_P12ihipStream_tbEUlT_E1_NS1_11comp_targetILNS1_3genE10ELNS1_11target_archE1201ELNS1_3gpuE5ELNS1_3repE0EEENS1_30default_config_static_selectorELNS0_4arch9wavefront6targetE1EEEvSN_,"axG",@progbits,_ZN7rocprim17ROCPRIM_400000_NS6detail17trampoline_kernelINS0_14default_configENS1_22reduce_config_selectorIiEEZNS1_11reduce_implILb1ES3_N6thrust23THRUST_200600_302600_NS11hip_rocprim35transform_pair_of_input_iterators_tIiPN3c104HalfESD_NS8_12not_equal_toISC_EEEEPiiNS8_4plusIiEEEE10hipError_tPvRmT1_T2_T3_mT4_P12ihipStream_tbEUlT_E1_NS1_11comp_targetILNS1_3genE10ELNS1_11target_archE1201ELNS1_3gpuE5ELNS1_3repE0EEENS1_30default_config_static_selectorELNS0_4arch9wavefront6targetE1EEEvSN_,comdat
.Lfunc_end2194:
	.size	_ZN7rocprim17ROCPRIM_400000_NS6detail17trampoline_kernelINS0_14default_configENS1_22reduce_config_selectorIiEEZNS1_11reduce_implILb1ES3_N6thrust23THRUST_200600_302600_NS11hip_rocprim35transform_pair_of_input_iterators_tIiPN3c104HalfESD_NS8_12not_equal_toISC_EEEEPiiNS8_4plusIiEEEE10hipError_tPvRmT1_T2_T3_mT4_P12ihipStream_tbEUlT_E1_NS1_11comp_targetILNS1_3genE10ELNS1_11target_archE1201ELNS1_3gpuE5ELNS1_3repE0EEENS1_30default_config_static_selectorELNS0_4arch9wavefront6targetE1EEEvSN_, .Lfunc_end2194-_ZN7rocprim17ROCPRIM_400000_NS6detail17trampoline_kernelINS0_14default_configENS1_22reduce_config_selectorIiEEZNS1_11reduce_implILb1ES3_N6thrust23THRUST_200600_302600_NS11hip_rocprim35transform_pair_of_input_iterators_tIiPN3c104HalfESD_NS8_12not_equal_toISC_EEEEPiiNS8_4plusIiEEEE10hipError_tPvRmT1_T2_T3_mT4_P12ihipStream_tbEUlT_E1_NS1_11comp_targetILNS1_3genE10ELNS1_11target_archE1201ELNS1_3gpuE5ELNS1_3repE0EEENS1_30default_config_static_selectorELNS0_4arch9wavefront6targetE1EEEvSN_
                                        ; -- End function
	.set _ZN7rocprim17ROCPRIM_400000_NS6detail17trampoline_kernelINS0_14default_configENS1_22reduce_config_selectorIiEEZNS1_11reduce_implILb1ES3_N6thrust23THRUST_200600_302600_NS11hip_rocprim35transform_pair_of_input_iterators_tIiPN3c104HalfESD_NS8_12not_equal_toISC_EEEEPiiNS8_4plusIiEEEE10hipError_tPvRmT1_T2_T3_mT4_P12ihipStream_tbEUlT_E1_NS1_11comp_targetILNS1_3genE10ELNS1_11target_archE1201ELNS1_3gpuE5ELNS1_3repE0EEENS1_30default_config_static_selectorELNS0_4arch9wavefront6targetE1EEEvSN_.num_vgpr, 0
	.set _ZN7rocprim17ROCPRIM_400000_NS6detail17trampoline_kernelINS0_14default_configENS1_22reduce_config_selectorIiEEZNS1_11reduce_implILb1ES3_N6thrust23THRUST_200600_302600_NS11hip_rocprim35transform_pair_of_input_iterators_tIiPN3c104HalfESD_NS8_12not_equal_toISC_EEEEPiiNS8_4plusIiEEEE10hipError_tPvRmT1_T2_T3_mT4_P12ihipStream_tbEUlT_E1_NS1_11comp_targetILNS1_3genE10ELNS1_11target_archE1201ELNS1_3gpuE5ELNS1_3repE0EEENS1_30default_config_static_selectorELNS0_4arch9wavefront6targetE1EEEvSN_.num_agpr, 0
	.set _ZN7rocprim17ROCPRIM_400000_NS6detail17trampoline_kernelINS0_14default_configENS1_22reduce_config_selectorIiEEZNS1_11reduce_implILb1ES3_N6thrust23THRUST_200600_302600_NS11hip_rocprim35transform_pair_of_input_iterators_tIiPN3c104HalfESD_NS8_12not_equal_toISC_EEEEPiiNS8_4plusIiEEEE10hipError_tPvRmT1_T2_T3_mT4_P12ihipStream_tbEUlT_E1_NS1_11comp_targetILNS1_3genE10ELNS1_11target_archE1201ELNS1_3gpuE5ELNS1_3repE0EEENS1_30default_config_static_selectorELNS0_4arch9wavefront6targetE1EEEvSN_.numbered_sgpr, 0
	.set _ZN7rocprim17ROCPRIM_400000_NS6detail17trampoline_kernelINS0_14default_configENS1_22reduce_config_selectorIiEEZNS1_11reduce_implILb1ES3_N6thrust23THRUST_200600_302600_NS11hip_rocprim35transform_pair_of_input_iterators_tIiPN3c104HalfESD_NS8_12not_equal_toISC_EEEEPiiNS8_4plusIiEEEE10hipError_tPvRmT1_T2_T3_mT4_P12ihipStream_tbEUlT_E1_NS1_11comp_targetILNS1_3genE10ELNS1_11target_archE1201ELNS1_3gpuE5ELNS1_3repE0EEENS1_30default_config_static_selectorELNS0_4arch9wavefront6targetE1EEEvSN_.num_named_barrier, 0
	.set _ZN7rocprim17ROCPRIM_400000_NS6detail17trampoline_kernelINS0_14default_configENS1_22reduce_config_selectorIiEEZNS1_11reduce_implILb1ES3_N6thrust23THRUST_200600_302600_NS11hip_rocprim35transform_pair_of_input_iterators_tIiPN3c104HalfESD_NS8_12not_equal_toISC_EEEEPiiNS8_4plusIiEEEE10hipError_tPvRmT1_T2_T3_mT4_P12ihipStream_tbEUlT_E1_NS1_11comp_targetILNS1_3genE10ELNS1_11target_archE1201ELNS1_3gpuE5ELNS1_3repE0EEENS1_30default_config_static_selectorELNS0_4arch9wavefront6targetE1EEEvSN_.private_seg_size, 0
	.set _ZN7rocprim17ROCPRIM_400000_NS6detail17trampoline_kernelINS0_14default_configENS1_22reduce_config_selectorIiEEZNS1_11reduce_implILb1ES3_N6thrust23THRUST_200600_302600_NS11hip_rocprim35transform_pair_of_input_iterators_tIiPN3c104HalfESD_NS8_12not_equal_toISC_EEEEPiiNS8_4plusIiEEEE10hipError_tPvRmT1_T2_T3_mT4_P12ihipStream_tbEUlT_E1_NS1_11comp_targetILNS1_3genE10ELNS1_11target_archE1201ELNS1_3gpuE5ELNS1_3repE0EEENS1_30default_config_static_selectorELNS0_4arch9wavefront6targetE1EEEvSN_.uses_vcc, 0
	.set _ZN7rocprim17ROCPRIM_400000_NS6detail17trampoline_kernelINS0_14default_configENS1_22reduce_config_selectorIiEEZNS1_11reduce_implILb1ES3_N6thrust23THRUST_200600_302600_NS11hip_rocprim35transform_pair_of_input_iterators_tIiPN3c104HalfESD_NS8_12not_equal_toISC_EEEEPiiNS8_4plusIiEEEE10hipError_tPvRmT1_T2_T3_mT4_P12ihipStream_tbEUlT_E1_NS1_11comp_targetILNS1_3genE10ELNS1_11target_archE1201ELNS1_3gpuE5ELNS1_3repE0EEENS1_30default_config_static_selectorELNS0_4arch9wavefront6targetE1EEEvSN_.uses_flat_scratch, 0
	.set _ZN7rocprim17ROCPRIM_400000_NS6detail17trampoline_kernelINS0_14default_configENS1_22reduce_config_selectorIiEEZNS1_11reduce_implILb1ES3_N6thrust23THRUST_200600_302600_NS11hip_rocprim35transform_pair_of_input_iterators_tIiPN3c104HalfESD_NS8_12not_equal_toISC_EEEEPiiNS8_4plusIiEEEE10hipError_tPvRmT1_T2_T3_mT4_P12ihipStream_tbEUlT_E1_NS1_11comp_targetILNS1_3genE10ELNS1_11target_archE1201ELNS1_3gpuE5ELNS1_3repE0EEENS1_30default_config_static_selectorELNS0_4arch9wavefront6targetE1EEEvSN_.has_dyn_sized_stack, 0
	.set _ZN7rocprim17ROCPRIM_400000_NS6detail17trampoline_kernelINS0_14default_configENS1_22reduce_config_selectorIiEEZNS1_11reduce_implILb1ES3_N6thrust23THRUST_200600_302600_NS11hip_rocprim35transform_pair_of_input_iterators_tIiPN3c104HalfESD_NS8_12not_equal_toISC_EEEEPiiNS8_4plusIiEEEE10hipError_tPvRmT1_T2_T3_mT4_P12ihipStream_tbEUlT_E1_NS1_11comp_targetILNS1_3genE10ELNS1_11target_archE1201ELNS1_3gpuE5ELNS1_3repE0EEENS1_30default_config_static_selectorELNS0_4arch9wavefront6targetE1EEEvSN_.has_recursion, 0
	.set _ZN7rocprim17ROCPRIM_400000_NS6detail17trampoline_kernelINS0_14default_configENS1_22reduce_config_selectorIiEEZNS1_11reduce_implILb1ES3_N6thrust23THRUST_200600_302600_NS11hip_rocprim35transform_pair_of_input_iterators_tIiPN3c104HalfESD_NS8_12not_equal_toISC_EEEEPiiNS8_4plusIiEEEE10hipError_tPvRmT1_T2_T3_mT4_P12ihipStream_tbEUlT_E1_NS1_11comp_targetILNS1_3genE10ELNS1_11target_archE1201ELNS1_3gpuE5ELNS1_3repE0EEENS1_30default_config_static_selectorELNS0_4arch9wavefront6targetE1EEEvSN_.has_indirect_call, 0
	.section	.AMDGPU.csdata,"",@progbits
; Kernel info:
; codeLenInByte = 0
; TotalNumSgprs: 4
; NumVgprs: 0
; ScratchSize: 0
; MemoryBound: 0
; FloatMode: 240
; IeeeMode: 1
; LDSByteSize: 0 bytes/workgroup (compile time only)
; SGPRBlocks: 0
; VGPRBlocks: 0
; NumSGPRsForWavesPerEU: 4
; NumVGPRsForWavesPerEU: 1
; Occupancy: 10
; WaveLimiterHint : 0
; COMPUTE_PGM_RSRC2:SCRATCH_EN: 0
; COMPUTE_PGM_RSRC2:USER_SGPR: 6
; COMPUTE_PGM_RSRC2:TRAP_HANDLER: 0
; COMPUTE_PGM_RSRC2:TGID_X_EN: 1
; COMPUTE_PGM_RSRC2:TGID_Y_EN: 0
; COMPUTE_PGM_RSRC2:TGID_Z_EN: 0
; COMPUTE_PGM_RSRC2:TIDIG_COMP_CNT: 0
	.section	.text._ZN7rocprim17ROCPRIM_400000_NS6detail17trampoline_kernelINS0_14default_configENS1_22reduce_config_selectorIiEEZNS1_11reduce_implILb1ES3_N6thrust23THRUST_200600_302600_NS11hip_rocprim35transform_pair_of_input_iterators_tIiPN3c104HalfESD_NS8_12not_equal_toISC_EEEEPiiNS8_4plusIiEEEE10hipError_tPvRmT1_T2_T3_mT4_P12ihipStream_tbEUlT_E1_NS1_11comp_targetILNS1_3genE10ELNS1_11target_archE1200ELNS1_3gpuE4ELNS1_3repE0EEENS1_30default_config_static_selectorELNS0_4arch9wavefront6targetE1EEEvSN_,"axG",@progbits,_ZN7rocprim17ROCPRIM_400000_NS6detail17trampoline_kernelINS0_14default_configENS1_22reduce_config_selectorIiEEZNS1_11reduce_implILb1ES3_N6thrust23THRUST_200600_302600_NS11hip_rocprim35transform_pair_of_input_iterators_tIiPN3c104HalfESD_NS8_12not_equal_toISC_EEEEPiiNS8_4plusIiEEEE10hipError_tPvRmT1_T2_T3_mT4_P12ihipStream_tbEUlT_E1_NS1_11comp_targetILNS1_3genE10ELNS1_11target_archE1200ELNS1_3gpuE4ELNS1_3repE0EEENS1_30default_config_static_selectorELNS0_4arch9wavefront6targetE1EEEvSN_,comdat
	.protected	_ZN7rocprim17ROCPRIM_400000_NS6detail17trampoline_kernelINS0_14default_configENS1_22reduce_config_selectorIiEEZNS1_11reduce_implILb1ES3_N6thrust23THRUST_200600_302600_NS11hip_rocprim35transform_pair_of_input_iterators_tIiPN3c104HalfESD_NS8_12not_equal_toISC_EEEEPiiNS8_4plusIiEEEE10hipError_tPvRmT1_T2_T3_mT4_P12ihipStream_tbEUlT_E1_NS1_11comp_targetILNS1_3genE10ELNS1_11target_archE1200ELNS1_3gpuE4ELNS1_3repE0EEENS1_30default_config_static_selectorELNS0_4arch9wavefront6targetE1EEEvSN_ ; -- Begin function _ZN7rocprim17ROCPRIM_400000_NS6detail17trampoline_kernelINS0_14default_configENS1_22reduce_config_selectorIiEEZNS1_11reduce_implILb1ES3_N6thrust23THRUST_200600_302600_NS11hip_rocprim35transform_pair_of_input_iterators_tIiPN3c104HalfESD_NS8_12not_equal_toISC_EEEEPiiNS8_4plusIiEEEE10hipError_tPvRmT1_T2_T3_mT4_P12ihipStream_tbEUlT_E1_NS1_11comp_targetILNS1_3genE10ELNS1_11target_archE1200ELNS1_3gpuE4ELNS1_3repE0EEENS1_30default_config_static_selectorELNS0_4arch9wavefront6targetE1EEEvSN_
	.globl	_ZN7rocprim17ROCPRIM_400000_NS6detail17trampoline_kernelINS0_14default_configENS1_22reduce_config_selectorIiEEZNS1_11reduce_implILb1ES3_N6thrust23THRUST_200600_302600_NS11hip_rocprim35transform_pair_of_input_iterators_tIiPN3c104HalfESD_NS8_12not_equal_toISC_EEEEPiiNS8_4plusIiEEEE10hipError_tPvRmT1_T2_T3_mT4_P12ihipStream_tbEUlT_E1_NS1_11comp_targetILNS1_3genE10ELNS1_11target_archE1200ELNS1_3gpuE4ELNS1_3repE0EEENS1_30default_config_static_selectorELNS0_4arch9wavefront6targetE1EEEvSN_
	.p2align	8
	.type	_ZN7rocprim17ROCPRIM_400000_NS6detail17trampoline_kernelINS0_14default_configENS1_22reduce_config_selectorIiEEZNS1_11reduce_implILb1ES3_N6thrust23THRUST_200600_302600_NS11hip_rocprim35transform_pair_of_input_iterators_tIiPN3c104HalfESD_NS8_12not_equal_toISC_EEEEPiiNS8_4plusIiEEEE10hipError_tPvRmT1_T2_T3_mT4_P12ihipStream_tbEUlT_E1_NS1_11comp_targetILNS1_3genE10ELNS1_11target_archE1200ELNS1_3gpuE4ELNS1_3repE0EEENS1_30default_config_static_selectorELNS0_4arch9wavefront6targetE1EEEvSN_,@function
_ZN7rocprim17ROCPRIM_400000_NS6detail17trampoline_kernelINS0_14default_configENS1_22reduce_config_selectorIiEEZNS1_11reduce_implILb1ES3_N6thrust23THRUST_200600_302600_NS11hip_rocprim35transform_pair_of_input_iterators_tIiPN3c104HalfESD_NS8_12not_equal_toISC_EEEEPiiNS8_4plusIiEEEE10hipError_tPvRmT1_T2_T3_mT4_P12ihipStream_tbEUlT_E1_NS1_11comp_targetILNS1_3genE10ELNS1_11target_archE1200ELNS1_3gpuE4ELNS1_3repE0EEENS1_30default_config_static_selectorELNS0_4arch9wavefront6targetE1EEEvSN_: ; @_ZN7rocprim17ROCPRIM_400000_NS6detail17trampoline_kernelINS0_14default_configENS1_22reduce_config_selectorIiEEZNS1_11reduce_implILb1ES3_N6thrust23THRUST_200600_302600_NS11hip_rocprim35transform_pair_of_input_iterators_tIiPN3c104HalfESD_NS8_12not_equal_toISC_EEEEPiiNS8_4plusIiEEEE10hipError_tPvRmT1_T2_T3_mT4_P12ihipStream_tbEUlT_E1_NS1_11comp_targetILNS1_3genE10ELNS1_11target_archE1200ELNS1_3gpuE4ELNS1_3repE0EEENS1_30default_config_static_selectorELNS0_4arch9wavefront6targetE1EEEvSN_
; %bb.0:
	.section	.rodata,"a",@progbits
	.p2align	6, 0x0
	.amdhsa_kernel _ZN7rocprim17ROCPRIM_400000_NS6detail17trampoline_kernelINS0_14default_configENS1_22reduce_config_selectorIiEEZNS1_11reduce_implILb1ES3_N6thrust23THRUST_200600_302600_NS11hip_rocprim35transform_pair_of_input_iterators_tIiPN3c104HalfESD_NS8_12not_equal_toISC_EEEEPiiNS8_4plusIiEEEE10hipError_tPvRmT1_T2_T3_mT4_P12ihipStream_tbEUlT_E1_NS1_11comp_targetILNS1_3genE10ELNS1_11target_archE1200ELNS1_3gpuE4ELNS1_3repE0EEENS1_30default_config_static_selectorELNS0_4arch9wavefront6targetE1EEEvSN_
		.amdhsa_group_segment_fixed_size 0
		.amdhsa_private_segment_fixed_size 0
		.amdhsa_kernarg_size 56
		.amdhsa_user_sgpr_count 6
		.amdhsa_user_sgpr_private_segment_buffer 1
		.amdhsa_user_sgpr_dispatch_ptr 0
		.amdhsa_user_sgpr_queue_ptr 0
		.amdhsa_user_sgpr_kernarg_segment_ptr 1
		.amdhsa_user_sgpr_dispatch_id 0
		.amdhsa_user_sgpr_flat_scratch_init 0
		.amdhsa_user_sgpr_private_segment_size 0
		.amdhsa_uses_dynamic_stack 0
		.amdhsa_system_sgpr_private_segment_wavefront_offset 0
		.amdhsa_system_sgpr_workgroup_id_x 1
		.amdhsa_system_sgpr_workgroup_id_y 0
		.amdhsa_system_sgpr_workgroup_id_z 0
		.amdhsa_system_sgpr_workgroup_info 0
		.amdhsa_system_vgpr_workitem_id 0
		.amdhsa_next_free_vgpr 1
		.amdhsa_next_free_sgpr 0
		.amdhsa_reserve_vcc 0
		.amdhsa_reserve_flat_scratch 0
		.amdhsa_float_round_mode_32 0
		.amdhsa_float_round_mode_16_64 0
		.amdhsa_float_denorm_mode_32 3
		.amdhsa_float_denorm_mode_16_64 3
		.amdhsa_dx10_clamp 1
		.amdhsa_ieee_mode 1
		.amdhsa_fp16_overflow 0
		.amdhsa_exception_fp_ieee_invalid_op 0
		.amdhsa_exception_fp_denorm_src 0
		.amdhsa_exception_fp_ieee_div_zero 0
		.amdhsa_exception_fp_ieee_overflow 0
		.amdhsa_exception_fp_ieee_underflow 0
		.amdhsa_exception_fp_ieee_inexact 0
		.amdhsa_exception_int_div_zero 0
	.end_amdhsa_kernel
	.section	.text._ZN7rocprim17ROCPRIM_400000_NS6detail17trampoline_kernelINS0_14default_configENS1_22reduce_config_selectorIiEEZNS1_11reduce_implILb1ES3_N6thrust23THRUST_200600_302600_NS11hip_rocprim35transform_pair_of_input_iterators_tIiPN3c104HalfESD_NS8_12not_equal_toISC_EEEEPiiNS8_4plusIiEEEE10hipError_tPvRmT1_T2_T3_mT4_P12ihipStream_tbEUlT_E1_NS1_11comp_targetILNS1_3genE10ELNS1_11target_archE1200ELNS1_3gpuE4ELNS1_3repE0EEENS1_30default_config_static_selectorELNS0_4arch9wavefront6targetE1EEEvSN_,"axG",@progbits,_ZN7rocprim17ROCPRIM_400000_NS6detail17trampoline_kernelINS0_14default_configENS1_22reduce_config_selectorIiEEZNS1_11reduce_implILb1ES3_N6thrust23THRUST_200600_302600_NS11hip_rocprim35transform_pair_of_input_iterators_tIiPN3c104HalfESD_NS8_12not_equal_toISC_EEEEPiiNS8_4plusIiEEEE10hipError_tPvRmT1_T2_T3_mT4_P12ihipStream_tbEUlT_E1_NS1_11comp_targetILNS1_3genE10ELNS1_11target_archE1200ELNS1_3gpuE4ELNS1_3repE0EEENS1_30default_config_static_selectorELNS0_4arch9wavefront6targetE1EEEvSN_,comdat
.Lfunc_end2195:
	.size	_ZN7rocprim17ROCPRIM_400000_NS6detail17trampoline_kernelINS0_14default_configENS1_22reduce_config_selectorIiEEZNS1_11reduce_implILb1ES3_N6thrust23THRUST_200600_302600_NS11hip_rocprim35transform_pair_of_input_iterators_tIiPN3c104HalfESD_NS8_12not_equal_toISC_EEEEPiiNS8_4plusIiEEEE10hipError_tPvRmT1_T2_T3_mT4_P12ihipStream_tbEUlT_E1_NS1_11comp_targetILNS1_3genE10ELNS1_11target_archE1200ELNS1_3gpuE4ELNS1_3repE0EEENS1_30default_config_static_selectorELNS0_4arch9wavefront6targetE1EEEvSN_, .Lfunc_end2195-_ZN7rocprim17ROCPRIM_400000_NS6detail17trampoline_kernelINS0_14default_configENS1_22reduce_config_selectorIiEEZNS1_11reduce_implILb1ES3_N6thrust23THRUST_200600_302600_NS11hip_rocprim35transform_pair_of_input_iterators_tIiPN3c104HalfESD_NS8_12not_equal_toISC_EEEEPiiNS8_4plusIiEEEE10hipError_tPvRmT1_T2_T3_mT4_P12ihipStream_tbEUlT_E1_NS1_11comp_targetILNS1_3genE10ELNS1_11target_archE1200ELNS1_3gpuE4ELNS1_3repE0EEENS1_30default_config_static_selectorELNS0_4arch9wavefront6targetE1EEEvSN_
                                        ; -- End function
	.set _ZN7rocprim17ROCPRIM_400000_NS6detail17trampoline_kernelINS0_14default_configENS1_22reduce_config_selectorIiEEZNS1_11reduce_implILb1ES3_N6thrust23THRUST_200600_302600_NS11hip_rocprim35transform_pair_of_input_iterators_tIiPN3c104HalfESD_NS8_12not_equal_toISC_EEEEPiiNS8_4plusIiEEEE10hipError_tPvRmT1_T2_T3_mT4_P12ihipStream_tbEUlT_E1_NS1_11comp_targetILNS1_3genE10ELNS1_11target_archE1200ELNS1_3gpuE4ELNS1_3repE0EEENS1_30default_config_static_selectorELNS0_4arch9wavefront6targetE1EEEvSN_.num_vgpr, 0
	.set _ZN7rocprim17ROCPRIM_400000_NS6detail17trampoline_kernelINS0_14default_configENS1_22reduce_config_selectorIiEEZNS1_11reduce_implILb1ES3_N6thrust23THRUST_200600_302600_NS11hip_rocprim35transform_pair_of_input_iterators_tIiPN3c104HalfESD_NS8_12not_equal_toISC_EEEEPiiNS8_4plusIiEEEE10hipError_tPvRmT1_T2_T3_mT4_P12ihipStream_tbEUlT_E1_NS1_11comp_targetILNS1_3genE10ELNS1_11target_archE1200ELNS1_3gpuE4ELNS1_3repE0EEENS1_30default_config_static_selectorELNS0_4arch9wavefront6targetE1EEEvSN_.num_agpr, 0
	.set _ZN7rocprim17ROCPRIM_400000_NS6detail17trampoline_kernelINS0_14default_configENS1_22reduce_config_selectorIiEEZNS1_11reduce_implILb1ES3_N6thrust23THRUST_200600_302600_NS11hip_rocprim35transform_pair_of_input_iterators_tIiPN3c104HalfESD_NS8_12not_equal_toISC_EEEEPiiNS8_4plusIiEEEE10hipError_tPvRmT1_T2_T3_mT4_P12ihipStream_tbEUlT_E1_NS1_11comp_targetILNS1_3genE10ELNS1_11target_archE1200ELNS1_3gpuE4ELNS1_3repE0EEENS1_30default_config_static_selectorELNS0_4arch9wavefront6targetE1EEEvSN_.numbered_sgpr, 0
	.set _ZN7rocprim17ROCPRIM_400000_NS6detail17trampoline_kernelINS0_14default_configENS1_22reduce_config_selectorIiEEZNS1_11reduce_implILb1ES3_N6thrust23THRUST_200600_302600_NS11hip_rocprim35transform_pair_of_input_iterators_tIiPN3c104HalfESD_NS8_12not_equal_toISC_EEEEPiiNS8_4plusIiEEEE10hipError_tPvRmT1_T2_T3_mT4_P12ihipStream_tbEUlT_E1_NS1_11comp_targetILNS1_3genE10ELNS1_11target_archE1200ELNS1_3gpuE4ELNS1_3repE0EEENS1_30default_config_static_selectorELNS0_4arch9wavefront6targetE1EEEvSN_.num_named_barrier, 0
	.set _ZN7rocprim17ROCPRIM_400000_NS6detail17trampoline_kernelINS0_14default_configENS1_22reduce_config_selectorIiEEZNS1_11reduce_implILb1ES3_N6thrust23THRUST_200600_302600_NS11hip_rocprim35transform_pair_of_input_iterators_tIiPN3c104HalfESD_NS8_12not_equal_toISC_EEEEPiiNS8_4plusIiEEEE10hipError_tPvRmT1_T2_T3_mT4_P12ihipStream_tbEUlT_E1_NS1_11comp_targetILNS1_3genE10ELNS1_11target_archE1200ELNS1_3gpuE4ELNS1_3repE0EEENS1_30default_config_static_selectorELNS0_4arch9wavefront6targetE1EEEvSN_.private_seg_size, 0
	.set _ZN7rocprim17ROCPRIM_400000_NS6detail17trampoline_kernelINS0_14default_configENS1_22reduce_config_selectorIiEEZNS1_11reduce_implILb1ES3_N6thrust23THRUST_200600_302600_NS11hip_rocprim35transform_pair_of_input_iterators_tIiPN3c104HalfESD_NS8_12not_equal_toISC_EEEEPiiNS8_4plusIiEEEE10hipError_tPvRmT1_T2_T3_mT4_P12ihipStream_tbEUlT_E1_NS1_11comp_targetILNS1_3genE10ELNS1_11target_archE1200ELNS1_3gpuE4ELNS1_3repE0EEENS1_30default_config_static_selectorELNS0_4arch9wavefront6targetE1EEEvSN_.uses_vcc, 0
	.set _ZN7rocprim17ROCPRIM_400000_NS6detail17trampoline_kernelINS0_14default_configENS1_22reduce_config_selectorIiEEZNS1_11reduce_implILb1ES3_N6thrust23THRUST_200600_302600_NS11hip_rocprim35transform_pair_of_input_iterators_tIiPN3c104HalfESD_NS8_12not_equal_toISC_EEEEPiiNS8_4plusIiEEEE10hipError_tPvRmT1_T2_T3_mT4_P12ihipStream_tbEUlT_E1_NS1_11comp_targetILNS1_3genE10ELNS1_11target_archE1200ELNS1_3gpuE4ELNS1_3repE0EEENS1_30default_config_static_selectorELNS0_4arch9wavefront6targetE1EEEvSN_.uses_flat_scratch, 0
	.set _ZN7rocprim17ROCPRIM_400000_NS6detail17trampoline_kernelINS0_14default_configENS1_22reduce_config_selectorIiEEZNS1_11reduce_implILb1ES3_N6thrust23THRUST_200600_302600_NS11hip_rocprim35transform_pair_of_input_iterators_tIiPN3c104HalfESD_NS8_12not_equal_toISC_EEEEPiiNS8_4plusIiEEEE10hipError_tPvRmT1_T2_T3_mT4_P12ihipStream_tbEUlT_E1_NS1_11comp_targetILNS1_3genE10ELNS1_11target_archE1200ELNS1_3gpuE4ELNS1_3repE0EEENS1_30default_config_static_selectorELNS0_4arch9wavefront6targetE1EEEvSN_.has_dyn_sized_stack, 0
	.set _ZN7rocprim17ROCPRIM_400000_NS6detail17trampoline_kernelINS0_14default_configENS1_22reduce_config_selectorIiEEZNS1_11reduce_implILb1ES3_N6thrust23THRUST_200600_302600_NS11hip_rocprim35transform_pair_of_input_iterators_tIiPN3c104HalfESD_NS8_12not_equal_toISC_EEEEPiiNS8_4plusIiEEEE10hipError_tPvRmT1_T2_T3_mT4_P12ihipStream_tbEUlT_E1_NS1_11comp_targetILNS1_3genE10ELNS1_11target_archE1200ELNS1_3gpuE4ELNS1_3repE0EEENS1_30default_config_static_selectorELNS0_4arch9wavefront6targetE1EEEvSN_.has_recursion, 0
	.set _ZN7rocprim17ROCPRIM_400000_NS6detail17trampoline_kernelINS0_14default_configENS1_22reduce_config_selectorIiEEZNS1_11reduce_implILb1ES3_N6thrust23THRUST_200600_302600_NS11hip_rocprim35transform_pair_of_input_iterators_tIiPN3c104HalfESD_NS8_12not_equal_toISC_EEEEPiiNS8_4plusIiEEEE10hipError_tPvRmT1_T2_T3_mT4_P12ihipStream_tbEUlT_E1_NS1_11comp_targetILNS1_3genE10ELNS1_11target_archE1200ELNS1_3gpuE4ELNS1_3repE0EEENS1_30default_config_static_selectorELNS0_4arch9wavefront6targetE1EEEvSN_.has_indirect_call, 0
	.section	.AMDGPU.csdata,"",@progbits
; Kernel info:
; codeLenInByte = 0
; TotalNumSgprs: 4
; NumVgprs: 0
; ScratchSize: 0
; MemoryBound: 0
; FloatMode: 240
; IeeeMode: 1
; LDSByteSize: 0 bytes/workgroup (compile time only)
; SGPRBlocks: 0
; VGPRBlocks: 0
; NumSGPRsForWavesPerEU: 4
; NumVGPRsForWavesPerEU: 1
; Occupancy: 10
; WaveLimiterHint : 0
; COMPUTE_PGM_RSRC2:SCRATCH_EN: 0
; COMPUTE_PGM_RSRC2:USER_SGPR: 6
; COMPUTE_PGM_RSRC2:TRAP_HANDLER: 0
; COMPUTE_PGM_RSRC2:TGID_X_EN: 1
; COMPUTE_PGM_RSRC2:TGID_Y_EN: 0
; COMPUTE_PGM_RSRC2:TGID_Z_EN: 0
; COMPUTE_PGM_RSRC2:TIDIG_COMP_CNT: 0
	.section	.text._ZN7rocprim17ROCPRIM_400000_NS6detail17trampoline_kernelINS0_14default_configENS1_22reduce_config_selectorIiEEZNS1_11reduce_implILb1ES3_N6thrust23THRUST_200600_302600_NS11hip_rocprim35transform_pair_of_input_iterators_tIiPN3c104HalfESD_NS8_12not_equal_toISC_EEEEPiiNS8_4plusIiEEEE10hipError_tPvRmT1_T2_T3_mT4_P12ihipStream_tbEUlT_E1_NS1_11comp_targetILNS1_3genE9ELNS1_11target_archE1100ELNS1_3gpuE3ELNS1_3repE0EEENS1_30default_config_static_selectorELNS0_4arch9wavefront6targetE1EEEvSN_,"axG",@progbits,_ZN7rocprim17ROCPRIM_400000_NS6detail17trampoline_kernelINS0_14default_configENS1_22reduce_config_selectorIiEEZNS1_11reduce_implILb1ES3_N6thrust23THRUST_200600_302600_NS11hip_rocprim35transform_pair_of_input_iterators_tIiPN3c104HalfESD_NS8_12not_equal_toISC_EEEEPiiNS8_4plusIiEEEE10hipError_tPvRmT1_T2_T3_mT4_P12ihipStream_tbEUlT_E1_NS1_11comp_targetILNS1_3genE9ELNS1_11target_archE1100ELNS1_3gpuE3ELNS1_3repE0EEENS1_30default_config_static_selectorELNS0_4arch9wavefront6targetE1EEEvSN_,comdat
	.protected	_ZN7rocprim17ROCPRIM_400000_NS6detail17trampoline_kernelINS0_14default_configENS1_22reduce_config_selectorIiEEZNS1_11reduce_implILb1ES3_N6thrust23THRUST_200600_302600_NS11hip_rocprim35transform_pair_of_input_iterators_tIiPN3c104HalfESD_NS8_12not_equal_toISC_EEEEPiiNS8_4plusIiEEEE10hipError_tPvRmT1_T2_T3_mT4_P12ihipStream_tbEUlT_E1_NS1_11comp_targetILNS1_3genE9ELNS1_11target_archE1100ELNS1_3gpuE3ELNS1_3repE0EEENS1_30default_config_static_selectorELNS0_4arch9wavefront6targetE1EEEvSN_ ; -- Begin function _ZN7rocprim17ROCPRIM_400000_NS6detail17trampoline_kernelINS0_14default_configENS1_22reduce_config_selectorIiEEZNS1_11reduce_implILb1ES3_N6thrust23THRUST_200600_302600_NS11hip_rocprim35transform_pair_of_input_iterators_tIiPN3c104HalfESD_NS8_12not_equal_toISC_EEEEPiiNS8_4plusIiEEEE10hipError_tPvRmT1_T2_T3_mT4_P12ihipStream_tbEUlT_E1_NS1_11comp_targetILNS1_3genE9ELNS1_11target_archE1100ELNS1_3gpuE3ELNS1_3repE0EEENS1_30default_config_static_selectorELNS0_4arch9wavefront6targetE1EEEvSN_
	.globl	_ZN7rocprim17ROCPRIM_400000_NS6detail17trampoline_kernelINS0_14default_configENS1_22reduce_config_selectorIiEEZNS1_11reduce_implILb1ES3_N6thrust23THRUST_200600_302600_NS11hip_rocprim35transform_pair_of_input_iterators_tIiPN3c104HalfESD_NS8_12not_equal_toISC_EEEEPiiNS8_4plusIiEEEE10hipError_tPvRmT1_T2_T3_mT4_P12ihipStream_tbEUlT_E1_NS1_11comp_targetILNS1_3genE9ELNS1_11target_archE1100ELNS1_3gpuE3ELNS1_3repE0EEENS1_30default_config_static_selectorELNS0_4arch9wavefront6targetE1EEEvSN_
	.p2align	8
	.type	_ZN7rocprim17ROCPRIM_400000_NS6detail17trampoline_kernelINS0_14default_configENS1_22reduce_config_selectorIiEEZNS1_11reduce_implILb1ES3_N6thrust23THRUST_200600_302600_NS11hip_rocprim35transform_pair_of_input_iterators_tIiPN3c104HalfESD_NS8_12not_equal_toISC_EEEEPiiNS8_4plusIiEEEE10hipError_tPvRmT1_T2_T3_mT4_P12ihipStream_tbEUlT_E1_NS1_11comp_targetILNS1_3genE9ELNS1_11target_archE1100ELNS1_3gpuE3ELNS1_3repE0EEENS1_30default_config_static_selectorELNS0_4arch9wavefront6targetE1EEEvSN_,@function
_ZN7rocprim17ROCPRIM_400000_NS6detail17trampoline_kernelINS0_14default_configENS1_22reduce_config_selectorIiEEZNS1_11reduce_implILb1ES3_N6thrust23THRUST_200600_302600_NS11hip_rocprim35transform_pair_of_input_iterators_tIiPN3c104HalfESD_NS8_12not_equal_toISC_EEEEPiiNS8_4plusIiEEEE10hipError_tPvRmT1_T2_T3_mT4_P12ihipStream_tbEUlT_E1_NS1_11comp_targetILNS1_3genE9ELNS1_11target_archE1100ELNS1_3gpuE3ELNS1_3repE0EEENS1_30default_config_static_selectorELNS0_4arch9wavefront6targetE1EEEvSN_: ; @_ZN7rocprim17ROCPRIM_400000_NS6detail17trampoline_kernelINS0_14default_configENS1_22reduce_config_selectorIiEEZNS1_11reduce_implILb1ES3_N6thrust23THRUST_200600_302600_NS11hip_rocprim35transform_pair_of_input_iterators_tIiPN3c104HalfESD_NS8_12not_equal_toISC_EEEEPiiNS8_4plusIiEEEE10hipError_tPvRmT1_T2_T3_mT4_P12ihipStream_tbEUlT_E1_NS1_11comp_targetILNS1_3genE9ELNS1_11target_archE1100ELNS1_3gpuE3ELNS1_3repE0EEENS1_30default_config_static_selectorELNS0_4arch9wavefront6targetE1EEEvSN_
; %bb.0:
	.section	.rodata,"a",@progbits
	.p2align	6, 0x0
	.amdhsa_kernel _ZN7rocprim17ROCPRIM_400000_NS6detail17trampoline_kernelINS0_14default_configENS1_22reduce_config_selectorIiEEZNS1_11reduce_implILb1ES3_N6thrust23THRUST_200600_302600_NS11hip_rocprim35transform_pair_of_input_iterators_tIiPN3c104HalfESD_NS8_12not_equal_toISC_EEEEPiiNS8_4plusIiEEEE10hipError_tPvRmT1_T2_T3_mT4_P12ihipStream_tbEUlT_E1_NS1_11comp_targetILNS1_3genE9ELNS1_11target_archE1100ELNS1_3gpuE3ELNS1_3repE0EEENS1_30default_config_static_selectorELNS0_4arch9wavefront6targetE1EEEvSN_
		.amdhsa_group_segment_fixed_size 0
		.amdhsa_private_segment_fixed_size 0
		.amdhsa_kernarg_size 56
		.amdhsa_user_sgpr_count 6
		.amdhsa_user_sgpr_private_segment_buffer 1
		.amdhsa_user_sgpr_dispatch_ptr 0
		.amdhsa_user_sgpr_queue_ptr 0
		.amdhsa_user_sgpr_kernarg_segment_ptr 1
		.amdhsa_user_sgpr_dispatch_id 0
		.amdhsa_user_sgpr_flat_scratch_init 0
		.amdhsa_user_sgpr_private_segment_size 0
		.amdhsa_uses_dynamic_stack 0
		.amdhsa_system_sgpr_private_segment_wavefront_offset 0
		.amdhsa_system_sgpr_workgroup_id_x 1
		.amdhsa_system_sgpr_workgroup_id_y 0
		.amdhsa_system_sgpr_workgroup_id_z 0
		.amdhsa_system_sgpr_workgroup_info 0
		.amdhsa_system_vgpr_workitem_id 0
		.amdhsa_next_free_vgpr 1
		.amdhsa_next_free_sgpr 0
		.amdhsa_reserve_vcc 0
		.amdhsa_reserve_flat_scratch 0
		.amdhsa_float_round_mode_32 0
		.amdhsa_float_round_mode_16_64 0
		.amdhsa_float_denorm_mode_32 3
		.amdhsa_float_denorm_mode_16_64 3
		.amdhsa_dx10_clamp 1
		.amdhsa_ieee_mode 1
		.amdhsa_fp16_overflow 0
		.amdhsa_exception_fp_ieee_invalid_op 0
		.amdhsa_exception_fp_denorm_src 0
		.amdhsa_exception_fp_ieee_div_zero 0
		.amdhsa_exception_fp_ieee_overflow 0
		.amdhsa_exception_fp_ieee_underflow 0
		.amdhsa_exception_fp_ieee_inexact 0
		.amdhsa_exception_int_div_zero 0
	.end_amdhsa_kernel
	.section	.text._ZN7rocprim17ROCPRIM_400000_NS6detail17trampoline_kernelINS0_14default_configENS1_22reduce_config_selectorIiEEZNS1_11reduce_implILb1ES3_N6thrust23THRUST_200600_302600_NS11hip_rocprim35transform_pair_of_input_iterators_tIiPN3c104HalfESD_NS8_12not_equal_toISC_EEEEPiiNS8_4plusIiEEEE10hipError_tPvRmT1_T2_T3_mT4_P12ihipStream_tbEUlT_E1_NS1_11comp_targetILNS1_3genE9ELNS1_11target_archE1100ELNS1_3gpuE3ELNS1_3repE0EEENS1_30default_config_static_selectorELNS0_4arch9wavefront6targetE1EEEvSN_,"axG",@progbits,_ZN7rocprim17ROCPRIM_400000_NS6detail17trampoline_kernelINS0_14default_configENS1_22reduce_config_selectorIiEEZNS1_11reduce_implILb1ES3_N6thrust23THRUST_200600_302600_NS11hip_rocprim35transform_pair_of_input_iterators_tIiPN3c104HalfESD_NS8_12not_equal_toISC_EEEEPiiNS8_4plusIiEEEE10hipError_tPvRmT1_T2_T3_mT4_P12ihipStream_tbEUlT_E1_NS1_11comp_targetILNS1_3genE9ELNS1_11target_archE1100ELNS1_3gpuE3ELNS1_3repE0EEENS1_30default_config_static_selectorELNS0_4arch9wavefront6targetE1EEEvSN_,comdat
.Lfunc_end2196:
	.size	_ZN7rocprim17ROCPRIM_400000_NS6detail17trampoline_kernelINS0_14default_configENS1_22reduce_config_selectorIiEEZNS1_11reduce_implILb1ES3_N6thrust23THRUST_200600_302600_NS11hip_rocprim35transform_pair_of_input_iterators_tIiPN3c104HalfESD_NS8_12not_equal_toISC_EEEEPiiNS8_4plusIiEEEE10hipError_tPvRmT1_T2_T3_mT4_P12ihipStream_tbEUlT_E1_NS1_11comp_targetILNS1_3genE9ELNS1_11target_archE1100ELNS1_3gpuE3ELNS1_3repE0EEENS1_30default_config_static_selectorELNS0_4arch9wavefront6targetE1EEEvSN_, .Lfunc_end2196-_ZN7rocprim17ROCPRIM_400000_NS6detail17trampoline_kernelINS0_14default_configENS1_22reduce_config_selectorIiEEZNS1_11reduce_implILb1ES3_N6thrust23THRUST_200600_302600_NS11hip_rocprim35transform_pair_of_input_iterators_tIiPN3c104HalfESD_NS8_12not_equal_toISC_EEEEPiiNS8_4plusIiEEEE10hipError_tPvRmT1_T2_T3_mT4_P12ihipStream_tbEUlT_E1_NS1_11comp_targetILNS1_3genE9ELNS1_11target_archE1100ELNS1_3gpuE3ELNS1_3repE0EEENS1_30default_config_static_selectorELNS0_4arch9wavefront6targetE1EEEvSN_
                                        ; -- End function
	.set _ZN7rocprim17ROCPRIM_400000_NS6detail17trampoline_kernelINS0_14default_configENS1_22reduce_config_selectorIiEEZNS1_11reduce_implILb1ES3_N6thrust23THRUST_200600_302600_NS11hip_rocprim35transform_pair_of_input_iterators_tIiPN3c104HalfESD_NS8_12not_equal_toISC_EEEEPiiNS8_4plusIiEEEE10hipError_tPvRmT1_T2_T3_mT4_P12ihipStream_tbEUlT_E1_NS1_11comp_targetILNS1_3genE9ELNS1_11target_archE1100ELNS1_3gpuE3ELNS1_3repE0EEENS1_30default_config_static_selectorELNS0_4arch9wavefront6targetE1EEEvSN_.num_vgpr, 0
	.set _ZN7rocprim17ROCPRIM_400000_NS6detail17trampoline_kernelINS0_14default_configENS1_22reduce_config_selectorIiEEZNS1_11reduce_implILb1ES3_N6thrust23THRUST_200600_302600_NS11hip_rocprim35transform_pair_of_input_iterators_tIiPN3c104HalfESD_NS8_12not_equal_toISC_EEEEPiiNS8_4plusIiEEEE10hipError_tPvRmT1_T2_T3_mT4_P12ihipStream_tbEUlT_E1_NS1_11comp_targetILNS1_3genE9ELNS1_11target_archE1100ELNS1_3gpuE3ELNS1_3repE0EEENS1_30default_config_static_selectorELNS0_4arch9wavefront6targetE1EEEvSN_.num_agpr, 0
	.set _ZN7rocprim17ROCPRIM_400000_NS6detail17trampoline_kernelINS0_14default_configENS1_22reduce_config_selectorIiEEZNS1_11reduce_implILb1ES3_N6thrust23THRUST_200600_302600_NS11hip_rocprim35transform_pair_of_input_iterators_tIiPN3c104HalfESD_NS8_12not_equal_toISC_EEEEPiiNS8_4plusIiEEEE10hipError_tPvRmT1_T2_T3_mT4_P12ihipStream_tbEUlT_E1_NS1_11comp_targetILNS1_3genE9ELNS1_11target_archE1100ELNS1_3gpuE3ELNS1_3repE0EEENS1_30default_config_static_selectorELNS0_4arch9wavefront6targetE1EEEvSN_.numbered_sgpr, 0
	.set _ZN7rocprim17ROCPRIM_400000_NS6detail17trampoline_kernelINS0_14default_configENS1_22reduce_config_selectorIiEEZNS1_11reduce_implILb1ES3_N6thrust23THRUST_200600_302600_NS11hip_rocprim35transform_pair_of_input_iterators_tIiPN3c104HalfESD_NS8_12not_equal_toISC_EEEEPiiNS8_4plusIiEEEE10hipError_tPvRmT1_T2_T3_mT4_P12ihipStream_tbEUlT_E1_NS1_11comp_targetILNS1_3genE9ELNS1_11target_archE1100ELNS1_3gpuE3ELNS1_3repE0EEENS1_30default_config_static_selectorELNS0_4arch9wavefront6targetE1EEEvSN_.num_named_barrier, 0
	.set _ZN7rocprim17ROCPRIM_400000_NS6detail17trampoline_kernelINS0_14default_configENS1_22reduce_config_selectorIiEEZNS1_11reduce_implILb1ES3_N6thrust23THRUST_200600_302600_NS11hip_rocprim35transform_pair_of_input_iterators_tIiPN3c104HalfESD_NS8_12not_equal_toISC_EEEEPiiNS8_4plusIiEEEE10hipError_tPvRmT1_T2_T3_mT4_P12ihipStream_tbEUlT_E1_NS1_11comp_targetILNS1_3genE9ELNS1_11target_archE1100ELNS1_3gpuE3ELNS1_3repE0EEENS1_30default_config_static_selectorELNS0_4arch9wavefront6targetE1EEEvSN_.private_seg_size, 0
	.set _ZN7rocprim17ROCPRIM_400000_NS6detail17trampoline_kernelINS0_14default_configENS1_22reduce_config_selectorIiEEZNS1_11reduce_implILb1ES3_N6thrust23THRUST_200600_302600_NS11hip_rocprim35transform_pair_of_input_iterators_tIiPN3c104HalfESD_NS8_12not_equal_toISC_EEEEPiiNS8_4plusIiEEEE10hipError_tPvRmT1_T2_T3_mT4_P12ihipStream_tbEUlT_E1_NS1_11comp_targetILNS1_3genE9ELNS1_11target_archE1100ELNS1_3gpuE3ELNS1_3repE0EEENS1_30default_config_static_selectorELNS0_4arch9wavefront6targetE1EEEvSN_.uses_vcc, 0
	.set _ZN7rocprim17ROCPRIM_400000_NS6detail17trampoline_kernelINS0_14default_configENS1_22reduce_config_selectorIiEEZNS1_11reduce_implILb1ES3_N6thrust23THRUST_200600_302600_NS11hip_rocprim35transform_pair_of_input_iterators_tIiPN3c104HalfESD_NS8_12not_equal_toISC_EEEEPiiNS8_4plusIiEEEE10hipError_tPvRmT1_T2_T3_mT4_P12ihipStream_tbEUlT_E1_NS1_11comp_targetILNS1_3genE9ELNS1_11target_archE1100ELNS1_3gpuE3ELNS1_3repE0EEENS1_30default_config_static_selectorELNS0_4arch9wavefront6targetE1EEEvSN_.uses_flat_scratch, 0
	.set _ZN7rocprim17ROCPRIM_400000_NS6detail17trampoline_kernelINS0_14default_configENS1_22reduce_config_selectorIiEEZNS1_11reduce_implILb1ES3_N6thrust23THRUST_200600_302600_NS11hip_rocprim35transform_pair_of_input_iterators_tIiPN3c104HalfESD_NS8_12not_equal_toISC_EEEEPiiNS8_4plusIiEEEE10hipError_tPvRmT1_T2_T3_mT4_P12ihipStream_tbEUlT_E1_NS1_11comp_targetILNS1_3genE9ELNS1_11target_archE1100ELNS1_3gpuE3ELNS1_3repE0EEENS1_30default_config_static_selectorELNS0_4arch9wavefront6targetE1EEEvSN_.has_dyn_sized_stack, 0
	.set _ZN7rocprim17ROCPRIM_400000_NS6detail17trampoline_kernelINS0_14default_configENS1_22reduce_config_selectorIiEEZNS1_11reduce_implILb1ES3_N6thrust23THRUST_200600_302600_NS11hip_rocprim35transform_pair_of_input_iterators_tIiPN3c104HalfESD_NS8_12not_equal_toISC_EEEEPiiNS8_4plusIiEEEE10hipError_tPvRmT1_T2_T3_mT4_P12ihipStream_tbEUlT_E1_NS1_11comp_targetILNS1_3genE9ELNS1_11target_archE1100ELNS1_3gpuE3ELNS1_3repE0EEENS1_30default_config_static_selectorELNS0_4arch9wavefront6targetE1EEEvSN_.has_recursion, 0
	.set _ZN7rocprim17ROCPRIM_400000_NS6detail17trampoline_kernelINS0_14default_configENS1_22reduce_config_selectorIiEEZNS1_11reduce_implILb1ES3_N6thrust23THRUST_200600_302600_NS11hip_rocprim35transform_pair_of_input_iterators_tIiPN3c104HalfESD_NS8_12not_equal_toISC_EEEEPiiNS8_4plusIiEEEE10hipError_tPvRmT1_T2_T3_mT4_P12ihipStream_tbEUlT_E1_NS1_11comp_targetILNS1_3genE9ELNS1_11target_archE1100ELNS1_3gpuE3ELNS1_3repE0EEENS1_30default_config_static_selectorELNS0_4arch9wavefront6targetE1EEEvSN_.has_indirect_call, 0
	.section	.AMDGPU.csdata,"",@progbits
; Kernel info:
; codeLenInByte = 0
; TotalNumSgprs: 4
; NumVgprs: 0
; ScratchSize: 0
; MemoryBound: 0
; FloatMode: 240
; IeeeMode: 1
; LDSByteSize: 0 bytes/workgroup (compile time only)
; SGPRBlocks: 0
; VGPRBlocks: 0
; NumSGPRsForWavesPerEU: 4
; NumVGPRsForWavesPerEU: 1
; Occupancy: 10
; WaveLimiterHint : 0
; COMPUTE_PGM_RSRC2:SCRATCH_EN: 0
; COMPUTE_PGM_RSRC2:USER_SGPR: 6
; COMPUTE_PGM_RSRC2:TRAP_HANDLER: 0
; COMPUTE_PGM_RSRC2:TGID_X_EN: 1
; COMPUTE_PGM_RSRC2:TGID_Y_EN: 0
; COMPUTE_PGM_RSRC2:TGID_Z_EN: 0
; COMPUTE_PGM_RSRC2:TIDIG_COMP_CNT: 0
	.section	.text._ZN7rocprim17ROCPRIM_400000_NS6detail17trampoline_kernelINS0_14default_configENS1_22reduce_config_selectorIiEEZNS1_11reduce_implILb1ES3_N6thrust23THRUST_200600_302600_NS11hip_rocprim35transform_pair_of_input_iterators_tIiPN3c104HalfESD_NS8_12not_equal_toISC_EEEEPiiNS8_4plusIiEEEE10hipError_tPvRmT1_T2_T3_mT4_P12ihipStream_tbEUlT_E1_NS1_11comp_targetILNS1_3genE8ELNS1_11target_archE1030ELNS1_3gpuE2ELNS1_3repE0EEENS1_30default_config_static_selectorELNS0_4arch9wavefront6targetE1EEEvSN_,"axG",@progbits,_ZN7rocprim17ROCPRIM_400000_NS6detail17trampoline_kernelINS0_14default_configENS1_22reduce_config_selectorIiEEZNS1_11reduce_implILb1ES3_N6thrust23THRUST_200600_302600_NS11hip_rocprim35transform_pair_of_input_iterators_tIiPN3c104HalfESD_NS8_12not_equal_toISC_EEEEPiiNS8_4plusIiEEEE10hipError_tPvRmT1_T2_T3_mT4_P12ihipStream_tbEUlT_E1_NS1_11comp_targetILNS1_3genE8ELNS1_11target_archE1030ELNS1_3gpuE2ELNS1_3repE0EEENS1_30default_config_static_selectorELNS0_4arch9wavefront6targetE1EEEvSN_,comdat
	.protected	_ZN7rocprim17ROCPRIM_400000_NS6detail17trampoline_kernelINS0_14default_configENS1_22reduce_config_selectorIiEEZNS1_11reduce_implILb1ES3_N6thrust23THRUST_200600_302600_NS11hip_rocprim35transform_pair_of_input_iterators_tIiPN3c104HalfESD_NS8_12not_equal_toISC_EEEEPiiNS8_4plusIiEEEE10hipError_tPvRmT1_T2_T3_mT4_P12ihipStream_tbEUlT_E1_NS1_11comp_targetILNS1_3genE8ELNS1_11target_archE1030ELNS1_3gpuE2ELNS1_3repE0EEENS1_30default_config_static_selectorELNS0_4arch9wavefront6targetE1EEEvSN_ ; -- Begin function _ZN7rocprim17ROCPRIM_400000_NS6detail17trampoline_kernelINS0_14default_configENS1_22reduce_config_selectorIiEEZNS1_11reduce_implILb1ES3_N6thrust23THRUST_200600_302600_NS11hip_rocprim35transform_pair_of_input_iterators_tIiPN3c104HalfESD_NS8_12not_equal_toISC_EEEEPiiNS8_4plusIiEEEE10hipError_tPvRmT1_T2_T3_mT4_P12ihipStream_tbEUlT_E1_NS1_11comp_targetILNS1_3genE8ELNS1_11target_archE1030ELNS1_3gpuE2ELNS1_3repE0EEENS1_30default_config_static_selectorELNS0_4arch9wavefront6targetE1EEEvSN_
	.globl	_ZN7rocprim17ROCPRIM_400000_NS6detail17trampoline_kernelINS0_14default_configENS1_22reduce_config_selectorIiEEZNS1_11reduce_implILb1ES3_N6thrust23THRUST_200600_302600_NS11hip_rocprim35transform_pair_of_input_iterators_tIiPN3c104HalfESD_NS8_12not_equal_toISC_EEEEPiiNS8_4plusIiEEEE10hipError_tPvRmT1_T2_T3_mT4_P12ihipStream_tbEUlT_E1_NS1_11comp_targetILNS1_3genE8ELNS1_11target_archE1030ELNS1_3gpuE2ELNS1_3repE0EEENS1_30default_config_static_selectorELNS0_4arch9wavefront6targetE1EEEvSN_
	.p2align	8
	.type	_ZN7rocprim17ROCPRIM_400000_NS6detail17trampoline_kernelINS0_14default_configENS1_22reduce_config_selectorIiEEZNS1_11reduce_implILb1ES3_N6thrust23THRUST_200600_302600_NS11hip_rocprim35transform_pair_of_input_iterators_tIiPN3c104HalfESD_NS8_12not_equal_toISC_EEEEPiiNS8_4plusIiEEEE10hipError_tPvRmT1_T2_T3_mT4_P12ihipStream_tbEUlT_E1_NS1_11comp_targetILNS1_3genE8ELNS1_11target_archE1030ELNS1_3gpuE2ELNS1_3repE0EEENS1_30default_config_static_selectorELNS0_4arch9wavefront6targetE1EEEvSN_,@function
_ZN7rocprim17ROCPRIM_400000_NS6detail17trampoline_kernelINS0_14default_configENS1_22reduce_config_selectorIiEEZNS1_11reduce_implILb1ES3_N6thrust23THRUST_200600_302600_NS11hip_rocprim35transform_pair_of_input_iterators_tIiPN3c104HalfESD_NS8_12not_equal_toISC_EEEEPiiNS8_4plusIiEEEE10hipError_tPvRmT1_T2_T3_mT4_P12ihipStream_tbEUlT_E1_NS1_11comp_targetILNS1_3genE8ELNS1_11target_archE1030ELNS1_3gpuE2ELNS1_3repE0EEENS1_30default_config_static_selectorELNS0_4arch9wavefront6targetE1EEEvSN_: ; @_ZN7rocprim17ROCPRIM_400000_NS6detail17trampoline_kernelINS0_14default_configENS1_22reduce_config_selectorIiEEZNS1_11reduce_implILb1ES3_N6thrust23THRUST_200600_302600_NS11hip_rocprim35transform_pair_of_input_iterators_tIiPN3c104HalfESD_NS8_12not_equal_toISC_EEEEPiiNS8_4plusIiEEEE10hipError_tPvRmT1_T2_T3_mT4_P12ihipStream_tbEUlT_E1_NS1_11comp_targetILNS1_3genE8ELNS1_11target_archE1030ELNS1_3gpuE2ELNS1_3repE0EEENS1_30default_config_static_selectorELNS0_4arch9wavefront6targetE1EEEvSN_
; %bb.0:
	.section	.rodata,"a",@progbits
	.p2align	6, 0x0
	.amdhsa_kernel _ZN7rocprim17ROCPRIM_400000_NS6detail17trampoline_kernelINS0_14default_configENS1_22reduce_config_selectorIiEEZNS1_11reduce_implILb1ES3_N6thrust23THRUST_200600_302600_NS11hip_rocprim35transform_pair_of_input_iterators_tIiPN3c104HalfESD_NS8_12not_equal_toISC_EEEEPiiNS8_4plusIiEEEE10hipError_tPvRmT1_T2_T3_mT4_P12ihipStream_tbEUlT_E1_NS1_11comp_targetILNS1_3genE8ELNS1_11target_archE1030ELNS1_3gpuE2ELNS1_3repE0EEENS1_30default_config_static_selectorELNS0_4arch9wavefront6targetE1EEEvSN_
		.amdhsa_group_segment_fixed_size 0
		.amdhsa_private_segment_fixed_size 0
		.amdhsa_kernarg_size 56
		.amdhsa_user_sgpr_count 6
		.amdhsa_user_sgpr_private_segment_buffer 1
		.amdhsa_user_sgpr_dispatch_ptr 0
		.amdhsa_user_sgpr_queue_ptr 0
		.amdhsa_user_sgpr_kernarg_segment_ptr 1
		.amdhsa_user_sgpr_dispatch_id 0
		.amdhsa_user_sgpr_flat_scratch_init 0
		.amdhsa_user_sgpr_private_segment_size 0
		.amdhsa_uses_dynamic_stack 0
		.amdhsa_system_sgpr_private_segment_wavefront_offset 0
		.amdhsa_system_sgpr_workgroup_id_x 1
		.amdhsa_system_sgpr_workgroup_id_y 0
		.amdhsa_system_sgpr_workgroup_id_z 0
		.amdhsa_system_sgpr_workgroup_info 0
		.amdhsa_system_vgpr_workitem_id 0
		.amdhsa_next_free_vgpr 1
		.amdhsa_next_free_sgpr 0
		.amdhsa_reserve_vcc 0
		.amdhsa_reserve_flat_scratch 0
		.amdhsa_float_round_mode_32 0
		.amdhsa_float_round_mode_16_64 0
		.amdhsa_float_denorm_mode_32 3
		.amdhsa_float_denorm_mode_16_64 3
		.amdhsa_dx10_clamp 1
		.amdhsa_ieee_mode 1
		.amdhsa_fp16_overflow 0
		.amdhsa_exception_fp_ieee_invalid_op 0
		.amdhsa_exception_fp_denorm_src 0
		.amdhsa_exception_fp_ieee_div_zero 0
		.amdhsa_exception_fp_ieee_overflow 0
		.amdhsa_exception_fp_ieee_underflow 0
		.amdhsa_exception_fp_ieee_inexact 0
		.amdhsa_exception_int_div_zero 0
	.end_amdhsa_kernel
	.section	.text._ZN7rocprim17ROCPRIM_400000_NS6detail17trampoline_kernelINS0_14default_configENS1_22reduce_config_selectorIiEEZNS1_11reduce_implILb1ES3_N6thrust23THRUST_200600_302600_NS11hip_rocprim35transform_pair_of_input_iterators_tIiPN3c104HalfESD_NS8_12not_equal_toISC_EEEEPiiNS8_4plusIiEEEE10hipError_tPvRmT1_T2_T3_mT4_P12ihipStream_tbEUlT_E1_NS1_11comp_targetILNS1_3genE8ELNS1_11target_archE1030ELNS1_3gpuE2ELNS1_3repE0EEENS1_30default_config_static_selectorELNS0_4arch9wavefront6targetE1EEEvSN_,"axG",@progbits,_ZN7rocprim17ROCPRIM_400000_NS6detail17trampoline_kernelINS0_14default_configENS1_22reduce_config_selectorIiEEZNS1_11reduce_implILb1ES3_N6thrust23THRUST_200600_302600_NS11hip_rocprim35transform_pair_of_input_iterators_tIiPN3c104HalfESD_NS8_12not_equal_toISC_EEEEPiiNS8_4plusIiEEEE10hipError_tPvRmT1_T2_T3_mT4_P12ihipStream_tbEUlT_E1_NS1_11comp_targetILNS1_3genE8ELNS1_11target_archE1030ELNS1_3gpuE2ELNS1_3repE0EEENS1_30default_config_static_selectorELNS0_4arch9wavefront6targetE1EEEvSN_,comdat
.Lfunc_end2197:
	.size	_ZN7rocprim17ROCPRIM_400000_NS6detail17trampoline_kernelINS0_14default_configENS1_22reduce_config_selectorIiEEZNS1_11reduce_implILb1ES3_N6thrust23THRUST_200600_302600_NS11hip_rocprim35transform_pair_of_input_iterators_tIiPN3c104HalfESD_NS8_12not_equal_toISC_EEEEPiiNS8_4plusIiEEEE10hipError_tPvRmT1_T2_T3_mT4_P12ihipStream_tbEUlT_E1_NS1_11comp_targetILNS1_3genE8ELNS1_11target_archE1030ELNS1_3gpuE2ELNS1_3repE0EEENS1_30default_config_static_selectorELNS0_4arch9wavefront6targetE1EEEvSN_, .Lfunc_end2197-_ZN7rocprim17ROCPRIM_400000_NS6detail17trampoline_kernelINS0_14default_configENS1_22reduce_config_selectorIiEEZNS1_11reduce_implILb1ES3_N6thrust23THRUST_200600_302600_NS11hip_rocprim35transform_pair_of_input_iterators_tIiPN3c104HalfESD_NS8_12not_equal_toISC_EEEEPiiNS8_4plusIiEEEE10hipError_tPvRmT1_T2_T3_mT4_P12ihipStream_tbEUlT_E1_NS1_11comp_targetILNS1_3genE8ELNS1_11target_archE1030ELNS1_3gpuE2ELNS1_3repE0EEENS1_30default_config_static_selectorELNS0_4arch9wavefront6targetE1EEEvSN_
                                        ; -- End function
	.set _ZN7rocprim17ROCPRIM_400000_NS6detail17trampoline_kernelINS0_14default_configENS1_22reduce_config_selectorIiEEZNS1_11reduce_implILb1ES3_N6thrust23THRUST_200600_302600_NS11hip_rocprim35transform_pair_of_input_iterators_tIiPN3c104HalfESD_NS8_12not_equal_toISC_EEEEPiiNS8_4plusIiEEEE10hipError_tPvRmT1_T2_T3_mT4_P12ihipStream_tbEUlT_E1_NS1_11comp_targetILNS1_3genE8ELNS1_11target_archE1030ELNS1_3gpuE2ELNS1_3repE0EEENS1_30default_config_static_selectorELNS0_4arch9wavefront6targetE1EEEvSN_.num_vgpr, 0
	.set _ZN7rocprim17ROCPRIM_400000_NS6detail17trampoline_kernelINS0_14default_configENS1_22reduce_config_selectorIiEEZNS1_11reduce_implILb1ES3_N6thrust23THRUST_200600_302600_NS11hip_rocprim35transform_pair_of_input_iterators_tIiPN3c104HalfESD_NS8_12not_equal_toISC_EEEEPiiNS8_4plusIiEEEE10hipError_tPvRmT1_T2_T3_mT4_P12ihipStream_tbEUlT_E1_NS1_11comp_targetILNS1_3genE8ELNS1_11target_archE1030ELNS1_3gpuE2ELNS1_3repE0EEENS1_30default_config_static_selectorELNS0_4arch9wavefront6targetE1EEEvSN_.num_agpr, 0
	.set _ZN7rocprim17ROCPRIM_400000_NS6detail17trampoline_kernelINS0_14default_configENS1_22reduce_config_selectorIiEEZNS1_11reduce_implILb1ES3_N6thrust23THRUST_200600_302600_NS11hip_rocprim35transform_pair_of_input_iterators_tIiPN3c104HalfESD_NS8_12not_equal_toISC_EEEEPiiNS8_4plusIiEEEE10hipError_tPvRmT1_T2_T3_mT4_P12ihipStream_tbEUlT_E1_NS1_11comp_targetILNS1_3genE8ELNS1_11target_archE1030ELNS1_3gpuE2ELNS1_3repE0EEENS1_30default_config_static_selectorELNS0_4arch9wavefront6targetE1EEEvSN_.numbered_sgpr, 0
	.set _ZN7rocprim17ROCPRIM_400000_NS6detail17trampoline_kernelINS0_14default_configENS1_22reduce_config_selectorIiEEZNS1_11reduce_implILb1ES3_N6thrust23THRUST_200600_302600_NS11hip_rocprim35transform_pair_of_input_iterators_tIiPN3c104HalfESD_NS8_12not_equal_toISC_EEEEPiiNS8_4plusIiEEEE10hipError_tPvRmT1_T2_T3_mT4_P12ihipStream_tbEUlT_E1_NS1_11comp_targetILNS1_3genE8ELNS1_11target_archE1030ELNS1_3gpuE2ELNS1_3repE0EEENS1_30default_config_static_selectorELNS0_4arch9wavefront6targetE1EEEvSN_.num_named_barrier, 0
	.set _ZN7rocprim17ROCPRIM_400000_NS6detail17trampoline_kernelINS0_14default_configENS1_22reduce_config_selectorIiEEZNS1_11reduce_implILb1ES3_N6thrust23THRUST_200600_302600_NS11hip_rocprim35transform_pair_of_input_iterators_tIiPN3c104HalfESD_NS8_12not_equal_toISC_EEEEPiiNS8_4plusIiEEEE10hipError_tPvRmT1_T2_T3_mT4_P12ihipStream_tbEUlT_E1_NS1_11comp_targetILNS1_3genE8ELNS1_11target_archE1030ELNS1_3gpuE2ELNS1_3repE0EEENS1_30default_config_static_selectorELNS0_4arch9wavefront6targetE1EEEvSN_.private_seg_size, 0
	.set _ZN7rocprim17ROCPRIM_400000_NS6detail17trampoline_kernelINS0_14default_configENS1_22reduce_config_selectorIiEEZNS1_11reduce_implILb1ES3_N6thrust23THRUST_200600_302600_NS11hip_rocprim35transform_pair_of_input_iterators_tIiPN3c104HalfESD_NS8_12not_equal_toISC_EEEEPiiNS8_4plusIiEEEE10hipError_tPvRmT1_T2_T3_mT4_P12ihipStream_tbEUlT_E1_NS1_11comp_targetILNS1_3genE8ELNS1_11target_archE1030ELNS1_3gpuE2ELNS1_3repE0EEENS1_30default_config_static_selectorELNS0_4arch9wavefront6targetE1EEEvSN_.uses_vcc, 0
	.set _ZN7rocprim17ROCPRIM_400000_NS6detail17trampoline_kernelINS0_14default_configENS1_22reduce_config_selectorIiEEZNS1_11reduce_implILb1ES3_N6thrust23THRUST_200600_302600_NS11hip_rocprim35transform_pair_of_input_iterators_tIiPN3c104HalfESD_NS8_12not_equal_toISC_EEEEPiiNS8_4plusIiEEEE10hipError_tPvRmT1_T2_T3_mT4_P12ihipStream_tbEUlT_E1_NS1_11comp_targetILNS1_3genE8ELNS1_11target_archE1030ELNS1_3gpuE2ELNS1_3repE0EEENS1_30default_config_static_selectorELNS0_4arch9wavefront6targetE1EEEvSN_.uses_flat_scratch, 0
	.set _ZN7rocprim17ROCPRIM_400000_NS6detail17trampoline_kernelINS0_14default_configENS1_22reduce_config_selectorIiEEZNS1_11reduce_implILb1ES3_N6thrust23THRUST_200600_302600_NS11hip_rocprim35transform_pair_of_input_iterators_tIiPN3c104HalfESD_NS8_12not_equal_toISC_EEEEPiiNS8_4plusIiEEEE10hipError_tPvRmT1_T2_T3_mT4_P12ihipStream_tbEUlT_E1_NS1_11comp_targetILNS1_3genE8ELNS1_11target_archE1030ELNS1_3gpuE2ELNS1_3repE0EEENS1_30default_config_static_selectorELNS0_4arch9wavefront6targetE1EEEvSN_.has_dyn_sized_stack, 0
	.set _ZN7rocprim17ROCPRIM_400000_NS6detail17trampoline_kernelINS0_14default_configENS1_22reduce_config_selectorIiEEZNS1_11reduce_implILb1ES3_N6thrust23THRUST_200600_302600_NS11hip_rocprim35transform_pair_of_input_iterators_tIiPN3c104HalfESD_NS8_12not_equal_toISC_EEEEPiiNS8_4plusIiEEEE10hipError_tPvRmT1_T2_T3_mT4_P12ihipStream_tbEUlT_E1_NS1_11comp_targetILNS1_3genE8ELNS1_11target_archE1030ELNS1_3gpuE2ELNS1_3repE0EEENS1_30default_config_static_selectorELNS0_4arch9wavefront6targetE1EEEvSN_.has_recursion, 0
	.set _ZN7rocprim17ROCPRIM_400000_NS6detail17trampoline_kernelINS0_14default_configENS1_22reduce_config_selectorIiEEZNS1_11reduce_implILb1ES3_N6thrust23THRUST_200600_302600_NS11hip_rocprim35transform_pair_of_input_iterators_tIiPN3c104HalfESD_NS8_12not_equal_toISC_EEEEPiiNS8_4plusIiEEEE10hipError_tPvRmT1_T2_T3_mT4_P12ihipStream_tbEUlT_E1_NS1_11comp_targetILNS1_3genE8ELNS1_11target_archE1030ELNS1_3gpuE2ELNS1_3repE0EEENS1_30default_config_static_selectorELNS0_4arch9wavefront6targetE1EEEvSN_.has_indirect_call, 0
	.section	.AMDGPU.csdata,"",@progbits
; Kernel info:
; codeLenInByte = 0
; TotalNumSgprs: 4
; NumVgprs: 0
; ScratchSize: 0
; MemoryBound: 0
; FloatMode: 240
; IeeeMode: 1
; LDSByteSize: 0 bytes/workgroup (compile time only)
; SGPRBlocks: 0
; VGPRBlocks: 0
; NumSGPRsForWavesPerEU: 4
; NumVGPRsForWavesPerEU: 1
; Occupancy: 10
; WaveLimiterHint : 0
; COMPUTE_PGM_RSRC2:SCRATCH_EN: 0
; COMPUTE_PGM_RSRC2:USER_SGPR: 6
; COMPUTE_PGM_RSRC2:TRAP_HANDLER: 0
; COMPUTE_PGM_RSRC2:TGID_X_EN: 1
; COMPUTE_PGM_RSRC2:TGID_Y_EN: 0
; COMPUTE_PGM_RSRC2:TGID_Z_EN: 0
; COMPUTE_PGM_RSRC2:TIDIG_COMP_CNT: 0
	.section	.text._ZN7rocprim17ROCPRIM_400000_NS6detail17trampoline_kernelINS0_14default_configENS1_29reduce_by_key_config_selectorIN3c104HalfElN6thrust23THRUST_200600_302600_NS4plusIlEEEEZZNS1_33reduce_by_key_impl_wrapped_configILNS1_25lookback_scan_determinismE0ES3_SB_PS6_NS8_17constant_iteratorIiNS8_11use_defaultESG_EENS8_10device_ptrIS6_EENSI_IlEEPmSA_NS8_8equal_toIS6_EEEE10hipError_tPvRmT2_T3_mT4_T5_T6_T7_T8_P12ihipStream_tbENKUlT_T0_E_clISt17integral_constantIbLb0EES15_EEDaS10_S11_EUlS10_E_NS1_11comp_targetILNS1_3genE0ELNS1_11target_archE4294967295ELNS1_3gpuE0ELNS1_3repE0EEENS1_30default_config_static_selectorELNS0_4arch9wavefront6targetE1EEEvT1_,"axG",@progbits,_ZN7rocprim17ROCPRIM_400000_NS6detail17trampoline_kernelINS0_14default_configENS1_29reduce_by_key_config_selectorIN3c104HalfElN6thrust23THRUST_200600_302600_NS4plusIlEEEEZZNS1_33reduce_by_key_impl_wrapped_configILNS1_25lookback_scan_determinismE0ES3_SB_PS6_NS8_17constant_iteratorIiNS8_11use_defaultESG_EENS8_10device_ptrIS6_EENSI_IlEEPmSA_NS8_8equal_toIS6_EEEE10hipError_tPvRmT2_T3_mT4_T5_T6_T7_T8_P12ihipStream_tbENKUlT_T0_E_clISt17integral_constantIbLb0EES15_EEDaS10_S11_EUlS10_E_NS1_11comp_targetILNS1_3genE0ELNS1_11target_archE4294967295ELNS1_3gpuE0ELNS1_3repE0EEENS1_30default_config_static_selectorELNS0_4arch9wavefront6targetE1EEEvT1_,comdat
	.protected	_ZN7rocprim17ROCPRIM_400000_NS6detail17trampoline_kernelINS0_14default_configENS1_29reduce_by_key_config_selectorIN3c104HalfElN6thrust23THRUST_200600_302600_NS4plusIlEEEEZZNS1_33reduce_by_key_impl_wrapped_configILNS1_25lookback_scan_determinismE0ES3_SB_PS6_NS8_17constant_iteratorIiNS8_11use_defaultESG_EENS8_10device_ptrIS6_EENSI_IlEEPmSA_NS8_8equal_toIS6_EEEE10hipError_tPvRmT2_T3_mT4_T5_T6_T7_T8_P12ihipStream_tbENKUlT_T0_E_clISt17integral_constantIbLb0EES15_EEDaS10_S11_EUlS10_E_NS1_11comp_targetILNS1_3genE0ELNS1_11target_archE4294967295ELNS1_3gpuE0ELNS1_3repE0EEENS1_30default_config_static_selectorELNS0_4arch9wavefront6targetE1EEEvT1_ ; -- Begin function _ZN7rocprim17ROCPRIM_400000_NS6detail17trampoline_kernelINS0_14default_configENS1_29reduce_by_key_config_selectorIN3c104HalfElN6thrust23THRUST_200600_302600_NS4plusIlEEEEZZNS1_33reduce_by_key_impl_wrapped_configILNS1_25lookback_scan_determinismE0ES3_SB_PS6_NS8_17constant_iteratorIiNS8_11use_defaultESG_EENS8_10device_ptrIS6_EENSI_IlEEPmSA_NS8_8equal_toIS6_EEEE10hipError_tPvRmT2_T3_mT4_T5_T6_T7_T8_P12ihipStream_tbENKUlT_T0_E_clISt17integral_constantIbLb0EES15_EEDaS10_S11_EUlS10_E_NS1_11comp_targetILNS1_3genE0ELNS1_11target_archE4294967295ELNS1_3gpuE0ELNS1_3repE0EEENS1_30default_config_static_selectorELNS0_4arch9wavefront6targetE1EEEvT1_
	.globl	_ZN7rocprim17ROCPRIM_400000_NS6detail17trampoline_kernelINS0_14default_configENS1_29reduce_by_key_config_selectorIN3c104HalfElN6thrust23THRUST_200600_302600_NS4plusIlEEEEZZNS1_33reduce_by_key_impl_wrapped_configILNS1_25lookback_scan_determinismE0ES3_SB_PS6_NS8_17constant_iteratorIiNS8_11use_defaultESG_EENS8_10device_ptrIS6_EENSI_IlEEPmSA_NS8_8equal_toIS6_EEEE10hipError_tPvRmT2_T3_mT4_T5_T6_T7_T8_P12ihipStream_tbENKUlT_T0_E_clISt17integral_constantIbLb0EES15_EEDaS10_S11_EUlS10_E_NS1_11comp_targetILNS1_3genE0ELNS1_11target_archE4294967295ELNS1_3gpuE0ELNS1_3repE0EEENS1_30default_config_static_selectorELNS0_4arch9wavefront6targetE1EEEvT1_
	.p2align	8
	.type	_ZN7rocprim17ROCPRIM_400000_NS6detail17trampoline_kernelINS0_14default_configENS1_29reduce_by_key_config_selectorIN3c104HalfElN6thrust23THRUST_200600_302600_NS4plusIlEEEEZZNS1_33reduce_by_key_impl_wrapped_configILNS1_25lookback_scan_determinismE0ES3_SB_PS6_NS8_17constant_iteratorIiNS8_11use_defaultESG_EENS8_10device_ptrIS6_EENSI_IlEEPmSA_NS8_8equal_toIS6_EEEE10hipError_tPvRmT2_T3_mT4_T5_T6_T7_T8_P12ihipStream_tbENKUlT_T0_E_clISt17integral_constantIbLb0EES15_EEDaS10_S11_EUlS10_E_NS1_11comp_targetILNS1_3genE0ELNS1_11target_archE4294967295ELNS1_3gpuE0ELNS1_3repE0EEENS1_30default_config_static_selectorELNS0_4arch9wavefront6targetE1EEEvT1_,@function
_ZN7rocprim17ROCPRIM_400000_NS6detail17trampoline_kernelINS0_14default_configENS1_29reduce_by_key_config_selectorIN3c104HalfElN6thrust23THRUST_200600_302600_NS4plusIlEEEEZZNS1_33reduce_by_key_impl_wrapped_configILNS1_25lookback_scan_determinismE0ES3_SB_PS6_NS8_17constant_iteratorIiNS8_11use_defaultESG_EENS8_10device_ptrIS6_EENSI_IlEEPmSA_NS8_8equal_toIS6_EEEE10hipError_tPvRmT2_T3_mT4_T5_T6_T7_T8_P12ihipStream_tbENKUlT_T0_E_clISt17integral_constantIbLb0EES15_EEDaS10_S11_EUlS10_E_NS1_11comp_targetILNS1_3genE0ELNS1_11target_archE4294967295ELNS1_3gpuE0ELNS1_3repE0EEENS1_30default_config_static_selectorELNS0_4arch9wavefront6targetE1EEEvT1_: ; @_ZN7rocprim17ROCPRIM_400000_NS6detail17trampoline_kernelINS0_14default_configENS1_29reduce_by_key_config_selectorIN3c104HalfElN6thrust23THRUST_200600_302600_NS4plusIlEEEEZZNS1_33reduce_by_key_impl_wrapped_configILNS1_25lookback_scan_determinismE0ES3_SB_PS6_NS8_17constant_iteratorIiNS8_11use_defaultESG_EENS8_10device_ptrIS6_EENSI_IlEEPmSA_NS8_8equal_toIS6_EEEE10hipError_tPvRmT2_T3_mT4_T5_T6_T7_T8_P12ihipStream_tbENKUlT_T0_E_clISt17integral_constantIbLb0EES15_EEDaS10_S11_EUlS10_E_NS1_11comp_targetILNS1_3genE0ELNS1_11target_archE4294967295ELNS1_3gpuE0ELNS1_3repE0EEENS1_30default_config_static_selectorELNS0_4arch9wavefront6targetE1EEEvT1_
; %bb.0:
	.section	.rodata,"a",@progbits
	.p2align	6, 0x0
	.amdhsa_kernel _ZN7rocprim17ROCPRIM_400000_NS6detail17trampoline_kernelINS0_14default_configENS1_29reduce_by_key_config_selectorIN3c104HalfElN6thrust23THRUST_200600_302600_NS4plusIlEEEEZZNS1_33reduce_by_key_impl_wrapped_configILNS1_25lookback_scan_determinismE0ES3_SB_PS6_NS8_17constant_iteratorIiNS8_11use_defaultESG_EENS8_10device_ptrIS6_EENSI_IlEEPmSA_NS8_8equal_toIS6_EEEE10hipError_tPvRmT2_T3_mT4_T5_T6_T7_T8_P12ihipStream_tbENKUlT_T0_E_clISt17integral_constantIbLb0EES15_EEDaS10_S11_EUlS10_E_NS1_11comp_targetILNS1_3genE0ELNS1_11target_archE4294967295ELNS1_3gpuE0ELNS1_3repE0EEENS1_30default_config_static_selectorELNS0_4arch9wavefront6targetE1EEEvT1_
		.amdhsa_group_segment_fixed_size 0
		.amdhsa_private_segment_fixed_size 0
		.amdhsa_kernarg_size 144
		.amdhsa_user_sgpr_count 6
		.amdhsa_user_sgpr_private_segment_buffer 1
		.amdhsa_user_sgpr_dispatch_ptr 0
		.amdhsa_user_sgpr_queue_ptr 0
		.amdhsa_user_sgpr_kernarg_segment_ptr 1
		.amdhsa_user_sgpr_dispatch_id 0
		.amdhsa_user_sgpr_flat_scratch_init 0
		.amdhsa_user_sgpr_private_segment_size 0
		.amdhsa_uses_dynamic_stack 0
		.amdhsa_system_sgpr_private_segment_wavefront_offset 0
		.amdhsa_system_sgpr_workgroup_id_x 1
		.amdhsa_system_sgpr_workgroup_id_y 0
		.amdhsa_system_sgpr_workgroup_id_z 0
		.amdhsa_system_sgpr_workgroup_info 0
		.amdhsa_system_vgpr_workitem_id 0
		.amdhsa_next_free_vgpr 1
		.amdhsa_next_free_sgpr 0
		.amdhsa_reserve_vcc 0
		.amdhsa_reserve_flat_scratch 0
		.amdhsa_float_round_mode_32 0
		.amdhsa_float_round_mode_16_64 0
		.amdhsa_float_denorm_mode_32 3
		.amdhsa_float_denorm_mode_16_64 3
		.amdhsa_dx10_clamp 1
		.amdhsa_ieee_mode 1
		.amdhsa_fp16_overflow 0
		.amdhsa_exception_fp_ieee_invalid_op 0
		.amdhsa_exception_fp_denorm_src 0
		.amdhsa_exception_fp_ieee_div_zero 0
		.amdhsa_exception_fp_ieee_overflow 0
		.amdhsa_exception_fp_ieee_underflow 0
		.amdhsa_exception_fp_ieee_inexact 0
		.amdhsa_exception_int_div_zero 0
	.end_amdhsa_kernel
	.section	.text._ZN7rocprim17ROCPRIM_400000_NS6detail17trampoline_kernelINS0_14default_configENS1_29reduce_by_key_config_selectorIN3c104HalfElN6thrust23THRUST_200600_302600_NS4plusIlEEEEZZNS1_33reduce_by_key_impl_wrapped_configILNS1_25lookback_scan_determinismE0ES3_SB_PS6_NS8_17constant_iteratorIiNS8_11use_defaultESG_EENS8_10device_ptrIS6_EENSI_IlEEPmSA_NS8_8equal_toIS6_EEEE10hipError_tPvRmT2_T3_mT4_T5_T6_T7_T8_P12ihipStream_tbENKUlT_T0_E_clISt17integral_constantIbLb0EES15_EEDaS10_S11_EUlS10_E_NS1_11comp_targetILNS1_3genE0ELNS1_11target_archE4294967295ELNS1_3gpuE0ELNS1_3repE0EEENS1_30default_config_static_selectorELNS0_4arch9wavefront6targetE1EEEvT1_,"axG",@progbits,_ZN7rocprim17ROCPRIM_400000_NS6detail17trampoline_kernelINS0_14default_configENS1_29reduce_by_key_config_selectorIN3c104HalfElN6thrust23THRUST_200600_302600_NS4plusIlEEEEZZNS1_33reduce_by_key_impl_wrapped_configILNS1_25lookback_scan_determinismE0ES3_SB_PS6_NS8_17constant_iteratorIiNS8_11use_defaultESG_EENS8_10device_ptrIS6_EENSI_IlEEPmSA_NS8_8equal_toIS6_EEEE10hipError_tPvRmT2_T3_mT4_T5_T6_T7_T8_P12ihipStream_tbENKUlT_T0_E_clISt17integral_constantIbLb0EES15_EEDaS10_S11_EUlS10_E_NS1_11comp_targetILNS1_3genE0ELNS1_11target_archE4294967295ELNS1_3gpuE0ELNS1_3repE0EEENS1_30default_config_static_selectorELNS0_4arch9wavefront6targetE1EEEvT1_,comdat
.Lfunc_end2198:
	.size	_ZN7rocprim17ROCPRIM_400000_NS6detail17trampoline_kernelINS0_14default_configENS1_29reduce_by_key_config_selectorIN3c104HalfElN6thrust23THRUST_200600_302600_NS4plusIlEEEEZZNS1_33reduce_by_key_impl_wrapped_configILNS1_25lookback_scan_determinismE0ES3_SB_PS6_NS8_17constant_iteratorIiNS8_11use_defaultESG_EENS8_10device_ptrIS6_EENSI_IlEEPmSA_NS8_8equal_toIS6_EEEE10hipError_tPvRmT2_T3_mT4_T5_T6_T7_T8_P12ihipStream_tbENKUlT_T0_E_clISt17integral_constantIbLb0EES15_EEDaS10_S11_EUlS10_E_NS1_11comp_targetILNS1_3genE0ELNS1_11target_archE4294967295ELNS1_3gpuE0ELNS1_3repE0EEENS1_30default_config_static_selectorELNS0_4arch9wavefront6targetE1EEEvT1_, .Lfunc_end2198-_ZN7rocprim17ROCPRIM_400000_NS6detail17trampoline_kernelINS0_14default_configENS1_29reduce_by_key_config_selectorIN3c104HalfElN6thrust23THRUST_200600_302600_NS4plusIlEEEEZZNS1_33reduce_by_key_impl_wrapped_configILNS1_25lookback_scan_determinismE0ES3_SB_PS6_NS8_17constant_iteratorIiNS8_11use_defaultESG_EENS8_10device_ptrIS6_EENSI_IlEEPmSA_NS8_8equal_toIS6_EEEE10hipError_tPvRmT2_T3_mT4_T5_T6_T7_T8_P12ihipStream_tbENKUlT_T0_E_clISt17integral_constantIbLb0EES15_EEDaS10_S11_EUlS10_E_NS1_11comp_targetILNS1_3genE0ELNS1_11target_archE4294967295ELNS1_3gpuE0ELNS1_3repE0EEENS1_30default_config_static_selectorELNS0_4arch9wavefront6targetE1EEEvT1_
                                        ; -- End function
	.set _ZN7rocprim17ROCPRIM_400000_NS6detail17trampoline_kernelINS0_14default_configENS1_29reduce_by_key_config_selectorIN3c104HalfElN6thrust23THRUST_200600_302600_NS4plusIlEEEEZZNS1_33reduce_by_key_impl_wrapped_configILNS1_25lookback_scan_determinismE0ES3_SB_PS6_NS8_17constant_iteratorIiNS8_11use_defaultESG_EENS8_10device_ptrIS6_EENSI_IlEEPmSA_NS8_8equal_toIS6_EEEE10hipError_tPvRmT2_T3_mT4_T5_T6_T7_T8_P12ihipStream_tbENKUlT_T0_E_clISt17integral_constantIbLb0EES15_EEDaS10_S11_EUlS10_E_NS1_11comp_targetILNS1_3genE0ELNS1_11target_archE4294967295ELNS1_3gpuE0ELNS1_3repE0EEENS1_30default_config_static_selectorELNS0_4arch9wavefront6targetE1EEEvT1_.num_vgpr, 0
	.set _ZN7rocprim17ROCPRIM_400000_NS6detail17trampoline_kernelINS0_14default_configENS1_29reduce_by_key_config_selectorIN3c104HalfElN6thrust23THRUST_200600_302600_NS4plusIlEEEEZZNS1_33reduce_by_key_impl_wrapped_configILNS1_25lookback_scan_determinismE0ES3_SB_PS6_NS8_17constant_iteratorIiNS8_11use_defaultESG_EENS8_10device_ptrIS6_EENSI_IlEEPmSA_NS8_8equal_toIS6_EEEE10hipError_tPvRmT2_T3_mT4_T5_T6_T7_T8_P12ihipStream_tbENKUlT_T0_E_clISt17integral_constantIbLb0EES15_EEDaS10_S11_EUlS10_E_NS1_11comp_targetILNS1_3genE0ELNS1_11target_archE4294967295ELNS1_3gpuE0ELNS1_3repE0EEENS1_30default_config_static_selectorELNS0_4arch9wavefront6targetE1EEEvT1_.num_agpr, 0
	.set _ZN7rocprim17ROCPRIM_400000_NS6detail17trampoline_kernelINS0_14default_configENS1_29reduce_by_key_config_selectorIN3c104HalfElN6thrust23THRUST_200600_302600_NS4plusIlEEEEZZNS1_33reduce_by_key_impl_wrapped_configILNS1_25lookback_scan_determinismE0ES3_SB_PS6_NS8_17constant_iteratorIiNS8_11use_defaultESG_EENS8_10device_ptrIS6_EENSI_IlEEPmSA_NS8_8equal_toIS6_EEEE10hipError_tPvRmT2_T3_mT4_T5_T6_T7_T8_P12ihipStream_tbENKUlT_T0_E_clISt17integral_constantIbLb0EES15_EEDaS10_S11_EUlS10_E_NS1_11comp_targetILNS1_3genE0ELNS1_11target_archE4294967295ELNS1_3gpuE0ELNS1_3repE0EEENS1_30default_config_static_selectorELNS0_4arch9wavefront6targetE1EEEvT1_.numbered_sgpr, 0
	.set _ZN7rocprim17ROCPRIM_400000_NS6detail17trampoline_kernelINS0_14default_configENS1_29reduce_by_key_config_selectorIN3c104HalfElN6thrust23THRUST_200600_302600_NS4plusIlEEEEZZNS1_33reduce_by_key_impl_wrapped_configILNS1_25lookback_scan_determinismE0ES3_SB_PS6_NS8_17constant_iteratorIiNS8_11use_defaultESG_EENS8_10device_ptrIS6_EENSI_IlEEPmSA_NS8_8equal_toIS6_EEEE10hipError_tPvRmT2_T3_mT4_T5_T6_T7_T8_P12ihipStream_tbENKUlT_T0_E_clISt17integral_constantIbLb0EES15_EEDaS10_S11_EUlS10_E_NS1_11comp_targetILNS1_3genE0ELNS1_11target_archE4294967295ELNS1_3gpuE0ELNS1_3repE0EEENS1_30default_config_static_selectorELNS0_4arch9wavefront6targetE1EEEvT1_.num_named_barrier, 0
	.set _ZN7rocprim17ROCPRIM_400000_NS6detail17trampoline_kernelINS0_14default_configENS1_29reduce_by_key_config_selectorIN3c104HalfElN6thrust23THRUST_200600_302600_NS4plusIlEEEEZZNS1_33reduce_by_key_impl_wrapped_configILNS1_25lookback_scan_determinismE0ES3_SB_PS6_NS8_17constant_iteratorIiNS8_11use_defaultESG_EENS8_10device_ptrIS6_EENSI_IlEEPmSA_NS8_8equal_toIS6_EEEE10hipError_tPvRmT2_T3_mT4_T5_T6_T7_T8_P12ihipStream_tbENKUlT_T0_E_clISt17integral_constantIbLb0EES15_EEDaS10_S11_EUlS10_E_NS1_11comp_targetILNS1_3genE0ELNS1_11target_archE4294967295ELNS1_3gpuE0ELNS1_3repE0EEENS1_30default_config_static_selectorELNS0_4arch9wavefront6targetE1EEEvT1_.private_seg_size, 0
	.set _ZN7rocprim17ROCPRIM_400000_NS6detail17trampoline_kernelINS0_14default_configENS1_29reduce_by_key_config_selectorIN3c104HalfElN6thrust23THRUST_200600_302600_NS4plusIlEEEEZZNS1_33reduce_by_key_impl_wrapped_configILNS1_25lookback_scan_determinismE0ES3_SB_PS6_NS8_17constant_iteratorIiNS8_11use_defaultESG_EENS8_10device_ptrIS6_EENSI_IlEEPmSA_NS8_8equal_toIS6_EEEE10hipError_tPvRmT2_T3_mT4_T5_T6_T7_T8_P12ihipStream_tbENKUlT_T0_E_clISt17integral_constantIbLb0EES15_EEDaS10_S11_EUlS10_E_NS1_11comp_targetILNS1_3genE0ELNS1_11target_archE4294967295ELNS1_3gpuE0ELNS1_3repE0EEENS1_30default_config_static_selectorELNS0_4arch9wavefront6targetE1EEEvT1_.uses_vcc, 0
	.set _ZN7rocprim17ROCPRIM_400000_NS6detail17trampoline_kernelINS0_14default_configENS1_29reduce_by_key_config_selectorIN3c104HalfElN6thrust23THRUST_200600_302600_NS4plusIlEEEEZZNS1_33reduce_by_key_impl_wrapped_configILNS1_25lookback_scan_determinismE0ES3_SB_PS6_NS8_17constant_iteratorIiNS8_11use_defaultESG_EENS8_10device_ptrIS6_EENSI_IlEEPmSA_NS8_8equal_toIS6_EEEE10hipError_tPvRmT2_T3_mT4_T5_T6_T7_T8_P12ihipStream_tbENKUlT_T0_E_clISt17integral_constantIbLb0EES15_EEDaS10_S11_EUlS10_E_NS1_11comp_targetILNS1_3genE0ELNS1_11target_archE4294967295ELNS1_3gpuE0ELNS1_3repE0EEENS1_30default_config_static_selectorELNS0_4arch9wavefront6targetE1EEEvT1_.uses_flat_scratch, 0
	.set _ZN7rocprim17ROCPRIM_400000_NS6detail17trampoline_kernelINS0_14default_configENS1_29reduce_by_key_config_selectorIN3c104HalfElN6thrust23THRUST_200600_302600_NS4plusIlEEEEZZNS1_33reduce_by_key_impl_wrapped_configILNS1_25lookback_scan_determinismE0ES3_SB_PS6_NS8_17constant_iteratorIiNS8_11use_defaultESG_EENS8_10device_ptrIS6_EENSI_IlEEPmSA_NS8_8equal_toIS6_EEEE10hipError_tPvRmT2_T3_mT4_T5_T6_T7_T8_P12ihipStream_tbENKUlT_T0_E_clISt17integral_constantIbLb0EES15_EEDaS10_S11_EUlS10_E_NS1_11comp_targetILNS1_3genE0ELNS1_11target_archE4294967295ELNS1_3gpuE0ELNS1_3repE0EEENS1_30default_config_static_selectorELNS0_4arch9wavefront6targetE1EEEvT1_.has_dyn_sized_stack, 0
	.set _ZN7rocprim17ROCPRIM_400000_NS6detail17trampoline_kernelINS0_14default_configENS1_29reduce_by_key_config_selectorIN3c104HalfElN6thrust23THRUST_200600_302600_NS4plusIlEEEEZZNS1_33reduce_by_key_impl_wrapped_configILNS1_25lookback_scan_determinismE0ES3_SB_PS6_NS8_17constant_iteratorIiNS8_11use_defaultESG_EENS8_10device_ptrIS6_EENSI_IlEEPmSA_NS8_8equal_toIS6_EEEE10hipError_tPvRmT2_T3_mT4_T5_T6_T7_T8_P12ihipStream_tbENKUlT_T0_E_clISt17integral_constantIbLb0EES15_EEDaS10_S11_EUlS10_E_NS1_11comp_targetILNS1_3genE0ELNS1_11target_archE4294967295ELNS1_3gpuE0ELNS1_3repE0EEENS1_30default_config_static_selectorELNS0_4arch9wavefront6targetE1EEEvT1_.has_recursion, 0
	.set _ZN7rocprim17ROCPRIM_400000_NS6detail17trampoline_kernelINS0_14default_configENS1_29reduce_by_key_config_selectorIN3c104HalfElN6thrust23THRUST_200600_302600_NS4plusIlEEEEZZNS1_33reduce_by_key_impl_wrapped_configILNS1_25lookback_scan_determinismE0ES3_SB_PS6_NS8_17constant_iteratorIiNS8_11use_defaultESG_EENS8_10device_ptrIS6_EENSI_IlEEPmSA_NS8_8equal_toIS6_EEEE10hipError_tPvRmT2_T3_mT4_T5_T6_T7_T8_P12ihipStream_tbENKUlT_T0_E_clISt17integral_constantIbLb0EES15_EEDaS10_S11_EUlS10_E_NS1_11comp_targetILNS1_3genE0ELNS1_11target_archE4294967295ELNS1_3gpuE0ELNS1_3repE0EEENS1_30default_config_static_selectorELNS0_4arch9wavefront6targetE1EEEvT1_.has_indirect_call, 0
	.section	.AMDGPU.csdata,"",@progbits
; Kernel info:
; codeLenInByte = 0
; TotalNumSgprs: 4
; NumVgprs: 0
; ScratchSize: 0
; MemoryBound: 0
; FloatMode: 240
; IeeeMode: 1
; LDSByteSize: 0 bytes/workgroup (compile time only)
; SGPRBlocks: 0
; VGPRBlocks: 0
; NumSGPRsForWavesPerEU: 4
; NumVGPRsForWavesPerEU: 1
; Occupancy: 10
; WaveLimiterHint : 0
; COMPUTE_PGM_RSRC2:SCRATCH_EN: 0
; COMPUTE_PGM_RSRC2:USER_SGPR: 6
; COMPUTE_PGM_RSRC2:TRAP_HANDLER: 0
; COMPUTE_PGM_RSRC2:TGID_X_EN: 1
; COMPUTE_PGM_RSRC2:TGID_Y_EN: 0
; COMPUTE_PGM_RSRC2:TGID_Z_EN: 0
; COMPUTE_PGM_RSRC2:TIDIG_COMP_CNT: 0
	.section	.text._ZN7rocprim17ROCPRIM_400000_NS6detail17trampoline_kernelINS0_14default_configENS1_29reduce_by_key_config_selectorIN3c104HalfElN6thrust23THRUST_200600_302600_NS4plusIlEEEEZZNS1_33reduce_by_key_impl_wrapped_configILNS1_25lookback_scan_determinismE0ES3_SB_PS6_NS8_17constant_iteratorIiNS8_11use_defaultESG_EENS8_10device_ptrIS6_EENSI_IlEEPmSA_NS8_8equal_toIS6_EEEE10hipError_tPvRmT2_T3_mT4_T5_T6_T7_T8_P12ihipStream_tbENKUlT_T0_E_clISt17integral_constantIbLb0EES15_EEDaS10_S11_EUlS10_E_NS1_11comp_targetILNS1_3genE5ELNS1_11target_archE942ELNS1_3gpuE9ELNS1_3repE0EEENS1_30default_config_static_selectorELNS0_4arch9wavefront6targetE1EEEvT1_,"axG",@progbits,_ZN7rocprim17ROCPRIM_400000_NS6detail17trampoline_kernelINS0_14default_configENS1_29reduce_by_key_config_selectorIN3c104HalfElN6thrust23THRUST_200600_302600_NS4plusIlEEEEZZNS1_33reduce_by_key_impl_wrapped_configILNS1_25lookback_scan_determinismE0ES3_SB_PS6_NS8_17constant_iteratorIiNS8_11use_defaultESG_EENS8_10device_ptrIS6_EENSI_IlEEPmSA_NS8_8equal_toIS6_EEEE10hipError_tPvRmT2_T3_mT4_T5_T6_T7_T8_P12ihipStream_tbENKUlT_T0_E_clISt17integral_constantIbLb0EES15_EEDaS10_S11_EUlS10_E_NS1_11comp_targetILNS1_3genE5ELNS1_11target_archE942ELNS1_3gpuE9ELNS1_3repE0EEENS1_30default_config_static_selectorELNS0_4arch9wavefront6targetE1EEEvT1_,comdat
	.protected	_ZN7rocprim17ROCPRIM_400000_NS6detail17trampoline_kernelINS0_14default_configENS1_29reduce_by_key_config_selectorIN3c104HalfElN6thrust23THRUST_200600_302600_NS4plusIlEEEEZZNS1_33reduce_by_key_impl_wrapped_configILNS1_25lookback_scan_determinismE0ES3_SB_PS6_NS8_17constant_iteratorIiNS8_11use_defaultESG_EENS8_10device_ptrIS6_EENSI_IlEEPmSA_NS8_8equal_toIS6_EEEE10hipError_tPvRmT2_T3_mT4_T5_T6_T7_T8_P12ihipStream_tbENKUlT_T0_E_clISt17integral_constantIbLb0EES15_EEDaS10_S11_EUlS10_E_NS1_11comp_targetILNS1_3genE5ELNS1_11target_archE942ELNS1_3gpuE9ELNS1_3repE0EEENS1_30default_config_static_selectorELNS0_4arch9wavefront6targetE1EEEvT1_ ; -- Begin function _ZN7rocprim17ROCPRIM_400000_NS6detail17trampoline_kernelINS0_14default_configENS1_29reduce_by_key_config_selectorIN3c104HalfElN6thrust23THRUST_200600_302600_NS4plusIlEEEEZZNS1_33reduce_by_key_impl_wrapped_configILNS1_25lookback_scan_determinismE0ES3_SB_PS6_NS8_17constant_iteratorIiNS8_11use_defaultESG_EENS8_10device_ptrIS6_EENSI_IlEEPmSA_NS8_8equal_toIS6_EEEE10hipError_tPvRmT2_T3_mT4_T5_T6_T7_T8_P12ihipStream_tbENKUlT_T0_E_clISt17integral_constantIbLb0EES15_EEDaS10_S11_EUlS10_E_NS1_11comp_targetILNS1_3genE5ELNS1_11target_archE942ELNS1_3gpuE9ELNS1_3repE0EEENS1_30default_config_static_selectorELNS0_4arch9wavefront6targetE1EEEvT1_
	.globl	_ZN7rocprim17ROCPRIM_400000_NS6detail17trampoline_kernelINS0_14default_configENS1_29reduce_by_key_config_selectorIN3c104HalfElN6thrust23THRUST_200600_302600_NS4plusIlEEEEZZNS1_33reduce_by_key_impl_wrapped_configILNS1_25lookback_scan_determinismE0ES3_SB_PS6_NS8_17constant_iteratorIiNS8_11use_defaultESG_EENS8_10device_ptrIS6_EENSI_IlEEPmSA_NS8_8equal_toIS6_EEEE10hipError_tPvRmT2_T3_mT4_T5_T6_T7_T8_P12ihipStream_tbENKUlT_T0_E_clISt17integral_constantIbLb0EES15_EEDaS10_S11_EUlS10_E_NS1_11comp_targetILNS1_3genE5ELNS1_11target_archE942ELNS1_3gpuE9ELNS1_3repE0EEENS1_30default_config_static_selectorELNS0_4arch9wavefront6targetE1EEEvT1_
	.p2align	8
	.type	_ZN7rocprim17ROCPRIM_400000_NS6detail17trampoline_kernelINS0_14default_configENS1_29reduce_by_key_config_selectorIN3c104HalfElN6thrust23THRUST_200600_302600_NS4plusIlEEEEZZNS1_33reduce_by_key_impl_wrapped_configILNS1_25lookback_scan_determinismE0ES3_SB_PS6_NS8_17constant_iteratorIiNS8_11use_defaultESG_EENS8_10device_ptrIS6_EENSI_IlEEPmSA_NS8_8equal_toIS6_EEEE10hipError_tPvRmT2_T3_mT4_T5_T6_T7_T8_P12ihipStream_tbENKUlT_T0_E_clISt17integral_constantIbLb0EES15_EEDaS10_S11_EUlS10_E_NS1_11comp_targetILNS1_3genE5ELNS1_11target_archE942ELNS1_3gpuE9ELNS1_3repE0EEENS1_30default_config_static_selectorELNS0_4arch9wavefront6targetE1EEEvT1_,@function
_ZN7rocprim17ROCPRIM_400000_NS6detail17trampoline_kernelINS0_14default_configENS1_29reduce_by_key_config_selectorIN3c104HalfElN6thrust23THRUST_200600_302600_NS4plusIlEEEEZZNS1_33reduce_by_key_impl_wrapped_configILNS1_25lookback_scan_determinismE0ES3_SB_PS6_NS8_17constant_iteratorIiNS8_11use_defaultESG_EENS8_10device_ptrIS6_EENSI_IlEEPmSA_NS8_8equal_toIS6_EEEE10hipError_tPvRmT2_T3_mT4_T5_T6_T7_T8_P12ihipStream_tbENKUlT_T0_E_clISt17integral_constantIbLb0EES15_EEDaS10_S11_EUlS10_E_NS1_11comp_targetILNS1_3genE5ELNS1_11target_archE942ELNS1_3gpuE9ELNS1_3repE0EEENS1_30default_config_static_selectorELNS0_4arch9wavefront6targetE1EEEvT1_: ; @_ZN7rocprim17ROCPRIM_400000_NS6detail17trampoline_kernelINS0_14default_configENS1_29reduce_by_key_config_selectorIN3c104HalfElN6thrust23THRUST_200600_302600_NS4plusIlEEEEZZNS1_33reduce_by_key_impl_wrapped_configILNS1_25lookback_scan_determinismE0ES3_SB_PS6_NS8_17constant_iteratorIiNS8_11use_defaultESG_EENS8_10device_ptrIS6_EENSI_IlEEPmSA_NS8_8equal_toIS6_EEEE10hipError_tPvRmT2_T3_mT4_T5_T6_T7_T8_P12ihipStream_tbENKUlT_T0_E_clISt17integral_constantIbLb0EES15_EEDaS10_S11_EUlS10_E_NS1_11comp_targetILNS1_3genE5ELNS1_11target_archE942ELNS1_3gpuE9ELNS1_3repE0EEENS1_30default_config_static_selectorELNS0_4arch9wavefront6targetE1EEEvT1_
; %bb.0:
	.section	.rodata,"a",@progbits
	.p2align	6, 0x0
	.amdhsa_kernel _ZN7rocprim17ROCPRIM_400000_NS6detail17trampoline_kernelINS0_14default_configENS1_29reduce_by_key_config_selectorIN3c104HalfElN6thrust23THRUST_200600_302600_NS4plusIlEEEEZZNS1_33reduce_by_key_impl_wrapped_configILNS1_25lookback_scan_determinismE0ES3_SB_PS6_NS8_17constant_iteratorIiNS8_11use_defaultESG_EENS8_10device_ptrIS6_EENSI_IlEEPmSA_NS8_8equal_toIS6_EEEE10hipError_tPvRmT2_T3_mT4_T5_T6_T7_T8_P12ihipStream_tbENKUlT_T0_E_clISt17integral_constantIbLb0EES15_EEDaS10_S11_EUlS10_E_NS1_11comp_targetILNS1_3genE5ELNS1_11target_archE942ELNS1_3gpuE9ELNS1_3repE0EEENS1_30default_config_static_selectorELNS0_4arch9wavefront6targetE1EEEvT1_
		.amdhsa_group_segment_fixed_size 0
		.amdhsa_private_segment_fixed_size 0
		.amdhsa_kernarg_size 144
		.amdhsa_user_sgpr_count 6
		.amdhsa_user_sgpr_private_segment_buffer 1
		.amdhsa_user_sgpr_dispatch_ptr 0
		.amdhsa_user_sgpr_queue_ptr 0
		.amdhsa_user_sgpr_kernarg_segment_ptr 1
		.amdhsa_user_sgpr_dispatch_id 0
		.amdhsa_user_sgpr_flat_scratch_init 0
		.amdhsa_user_sgpr_private_segment_size 0
		.amdhsa_uses_dynamic_stack 0
		.amdhsa_system_sgpr_private_segment_wavefront_offset 0
		.amdhsa_system_sgpr_workgroup_id_x 1
		.amdhsa_system_sgpr_workgroup_id_y 0
		.amdhsa_system_sgpr_workgroup_id_z 0
		.amdhsa_system_sgpr_workgroup_info 0
		.amdhsa_system_vgpr_workitem_id 0
		.amdhsa_next_free_vgpr 1
		.amdhsa_next_free_sgpr 0
		.amdhsa_reserve_vcc 0
		.amdhsa_reserve_flat_scratch 0
		.amdhsa_float_round_mode_32 0
		.amdhsa_float_round_mode_16_64 0
		.amdhsa_float_denorm_mode_32 3
		.amdhsa_float_denorm_mode_16_64 3
		.amdhsa_dx10_clamp 1
		.amdhsa_ieee_mode 1
		.amdhsa_fp16_overflow 0
		.amdhsa_exception_fp_ieee_invalid_op 0
		.amdhsa_exception_fp_denorm_src 0
		.amdhsa_exception_fp_ieee_div_zero 0
		.amdhsa_exception_fp_ieee_overflow 0
		.amdhsa_exception_fp_ieee_underflow 0
		.amdhsa_exception_fp_ieee_inexact 0
		.amdhsa_exception_int_div_zero 0
	.end_amdhsa_kernel
	.section	.text._ZN7rocprim17ROCPRIM_400000_NS6detail17trampoline_kernelINS0_14default_configENS1_29reduce_by_key_config_selectorIN3c104HalfElN6thrust23THRUST_200600_302600_NS4plusIlEEEEZZNS1_33reduce_by_key_impl_wrapped_configILNS1_25lookback_scan_determinismE0ES3_SB_PS6_NS8_17constant_iteratorIiNS8_11use_defaultESG_EENS8_10device_ptrIS6_EENSI_IlEEPmSA_NS8_8equal_toIS6_EEEE10hipError_tPvRmT2_T3_mT4_T5_T6_T7_T8_P12ihipStream_tbENKUlT_T0_E_clISt17integral_constantIbLb0EES15_EEDaS10_S11_EUlS10_E_NS1_11comp_targetILNS1_3genE5ELNS1_11target_archE942ELNS1_3gpuE9ELNS1_3repE0EEENS1_30default_config_static_selectorELNS0_4arch9wavefront6targetE1EEEvT1_,"axG",@progbits,_ZN7rocprim17ROCPRIM_400000_NS6detail17trampoline_kernelINS0_14default_configENS1_29reduce_by_key_config_selectorIN3c104HalfElN6thrust23THRUST_200600_302600_NS4plusIlEEEEZZNS1_33reduce_by_key_impl_wrapped_configILNS1_25lookback_scan_determinismE0ES3_SB_PS6_NS8_17constant_iteratorIiNS8_11use_defaultESG_EENS8_10device_ptrIS6_EENSI_IlEEPmSA_NS8_8equal_toIS6_EEEE10hipError_tPvRmT2_T3_mT4_T5_T6_T7_T8_P12ihipStream_tbENKUlT_T0_E_clISt17integral_constantIbLb0EES15_EEDaS10_S11_EUlS10_E_NS1_11comp_targetILNS1_3genE5ELNS1_11target_archE942ELNS1_3gpuE9ELNS1_3repE0EEENS1_30default_config_static_selectorELNS0_4arch9wavefront6targetE1EEEvT1_,comdat
.Lfunc_end2199:
	.size	_ZN7rocprim17ROCPRIM_400000_NS6detail17trampoline_kernelINS0_14default_configENS1_29reduce_by_key_config_selectorIN3c104HalfElN6thrust23THRUST_200600_302600_NS4plusIlEEEEZZNS1_33reduce_by_key_impl_wrapped_configILNS1_25lookback_scan_determinismE0ES3_SB_PS6_NS8_17constant_iteratorIiNS8_11use_defaultESG_EENS8_10device_ptrIS6_EENSI_IlEEPmSA_NS8_8equal_toIS6_EEEE10hipError_tPvRmT2_T3_mT4_T5_T6_T7_T8_P12ihipStream_tbENKUlT_T0_E_clISt17integral_constantIbLb0EES15_EEDaS10_S11_EUlS10_E_NS1_11comp_targetILNS1_3genE5ELNS1_11target_archE942ELNS1_3gpuE9ELNS1_3repE0EEENS1_30default_config_static_selectorELNS0_4arch9wavefront6targetE1EEEvT1_, .Lfunc_end2199-_ZN7rocprim17ROCPRIM_400000_NS6detail17trampoline_kernelINS0_14default_configENS1_29reduce_by_key_config_selectorIN3c104HalfElN6thrust23THRUST_200600_302600_NS4plusIlEEEEZZNS1_33reduce_by_key_impl_wrapped_configILNS1_25lookback_scan_determinismE0ES3_SB_PS6_NS8_17constant_iteratorIiNS8_11use_defaultESG_EENS8_10device_ptrIS6_EENSI_IlEEPmSA_NS8_8equal_toIS6_EEEE10hipError_tPvRmT2_T3_mT4_T5_T6_T7_T8_P12ihipStream_tbENKUlT_T0_E_clISt17integral_constantIbLb0EES15_EEDaS10_S11_EUlS10_E_NS1_11comp_targetILNS1_3genE5ELNS1_11target_archE942ELNS1_3gpuE9ELNS1_3repE0EEENS1_30default_config_static_selectorELNS0_4arch9wavefront6targetE1EEEvT1_
                                        ; -- End function
	.set _ZN7rocprim17ROCPRIM_400000_NS6detail17trampoline_kernelINS0_14default_configENS1_29reduce_by_key_config_selectorIN3c104HalfElN6thrust23THRUST_200600_302600_NS4plusIlEEEEZZNS1_33reduce_by_key_impl_wrapped_configILNS1_25lookback_scan_determinismE0ES3_SB_PS6_NS8_17constant_iteratorIiNS8_11use_defaultESG_EENS8_10device_ptrIS6_EENSI_IlEEPmSA_NS8_8equal_toIS6_EEEE10hipError_tPvRmT2_T3_mT4_T5_T6_T7_T8_P12ihipStream_tbENKUlT_T0_E_clISt17integral_constantIbLb0EES15_EEDaS10_S11_EUlS10_E_NS1_11comp_targetILNS1_3genE5ELNS1_11target_archE942ELNS1_3gpuE9ELNS1_3repE0EEENS1_30default_config_static_selectorELNS0_4arch9wavefront6targetE1EEEvT1_.num_vgpr, 0
	.set _ZN7rocprim17ROCPRIM_400000_NS6detail17trampoline_kernelINS0_14default_configENS1_29reduce_by_key_config_selectorIN3c104HalfElN6thrust23THRUST_200600_302600_NS4plusIlEEEEZZNS1_33reduce_by_key_impl_wrapped_configILNS1_25lookback_scan_determinismE0ES3_SB_PS6_NS8_17constant_iteratorIiNS8_11use_defaultESG_EENS8_10device_ptrIS6_EENSI_IlEEPmSA_NS8_8equal_toIS6_EEEE10hipError_tPvRmT2_T3_mT4_T5_T6_T7_T8_P12ihipStream_tbENKUlT_T0_E_clISt17integral_constantIbLb0EES15_EEDaS10_S11_EUlS10_E_NS1_11comp_targetILNS1_3genE5ELNS1_11target_archE942ELNS1_3gpuE9ELNS1_3repE0EEENS1_30default_config_static_selectorELNS0_4arch9wavefront6targetE1EEEvT1_.num_agpr, 0
	.set _ZN7rocprim17ROCPRIM_400000_NS6detail17trampoline_kernelINS0_14default_configENS1_29reduce_by_key_config_selectorIN3c104HalfElN6thrust23THRUST_200600_302600_NS4plusIlEEEEZZNS1_33reduce_by_key_impl_wrapped_configILNS1_25lookback_scan_determinismE0ES3_SB_PS6_NS8_17constant_iteratorIiNS8_11use_defaultESG_EENS8_10device_ptrIS6_EENSI_IlEEPmSA_NS8_8equal_toIS6_EEEE10hipError_tPvRmT2_T3_mT4_T5_T6_T7_T8_P12ihipStream_tbENKUlT_T0_E_clISt17integral_constantIbLb0EES15_EEDaS10_S11_EUlS10_E_NS1_11comp_targetILNS1_3genE5ELNS1_11target_archE942ELNS1_3gpuE9ELNS1_3repE0EEENS1_30default_config_static_selectorELNS0_4arch9wavefront6targetE1EEEvT1_.numbered_sgpr, 0
	.set _ZN7rocprim17ROCPRIM_400000_NS6detail17trampoline_kernelINS0_14default_configENS1_29reduce_by_key_config_selectorIN3c104HalfElN6thrust23THRUST_200600_302600_NS4plusIlEEEEZZNS1_33reduce_by_key_impl_wrapped_configILNS1_25lookback_scan_determinismE0ES3_SB_PS6_NS8_17constant_iteratorIiNS8_11use_defaultESG_EENS8_10device_ptrIS6_EENSI_IlEEPmSA_NS8_8equal_toIS6_EEEE10hipError_tPvRmT2_T3_mT4_T5_T6_T7_T8_P12ihipStream_tbENKUlT_T0_E_clISt17integral_constantIbLb0EES15_EEDaS10_S11_EUlS10_E_NS1_11comp_targetILNS1_3genE5ELNS1_11target_archE942ELNS1_3gpuE9ELNS1_3repE0EEENS1_30default_config_static_selectorELNS0_4arch9wavefront6targetE1EEEvT1_.num_named_barrier, 0
	.set _ZN7rocprim17ROCPRIM_400000_NS6detail17trampoline_kernelINS0_14default_configENS1_29reduce_by_key_config_selectorIN3c104HalfElN6thrust23THRUST_200600_302600_NS4plusIlEEEEZZNS1_33reduce_by_key_impl_wrapped_configILNS1_25lookback_scan_determinismE0ES3_SB_PS6_NS8_17constant_iteratorIiNS8_11use_defaultESG_EENS8_10device_ptrIS6_EENSI_IlEEPmSA_NS8_8equal_toIS6_EEEE10hipError_tPvRmT2_T3_mT4_T5_T6_T7_T8_P12ihipStream_tbENKUlT_T0_E_clISt17integral_constantIbLb0EES15_EEDaS10_S11_EUlS10_E_NS1_11comp_targetILNS1_3genE5ELNS1_11target_archE942ELNS1_3gpuE9ELNS1_3repE0EEENS1_30default_config_static_selectorELNS0_4arch9wavefront6targetE1EEEvT1_.private_seg_size, 0
	.set _ZN7rocprim17ROCPRIM_400000_NS6detail17trampoline_kernelINS0_14default_configENS1_29reduce_by_key_config_selectorIN3c104HalfElN6thrust23THRUST_200600_302600_NS4plusIlEEEEZZNS1_33reduce_by_key_impl_wrapped_configILNS1_25lookback_scan_determinismE0ES3_SB_PS6_NS8_17constant_iteratorIiNS8_11use_defaultESG_EENS8_10device_ptrIS6_EENSI_IlEEPmSA_NS8_8equal_toIS6_EEEE10hipError_tPvRmT2_T3_mT4_T5_T6_T7_T8_P12ihipStream_tbENKUlT_T0_E_clISt17integral_constantIbLb0EES15_EEDaS10_S11_EUlS10_E_NS1_11comp_targetILNS1_3genE5ELNS1_11target_archE942ELNS1_3gpuE9ELNS1_3repE0EEENS1_30default_config_static_selectorELNS0_4arch9wavefront6targetE1EEEvT1_.uses_vcc, 0
	.set _ZN7rocprim17ROCPRIM_400000_NS6detail17trampoline_kernelINS0_14default_configENS1_29reduce_by_key_config_selectorIN3c104HalfElN6thrust23THRUST_200600_302600_NS4plusIlEEEEZZNS1_33reduce_by_key_impl_wrapped_configILNS1_25lookback_scan_determinismE0ES3_SB_PS6_NS8_17constant_iteratorIiNS8_11use_defaultESG_EENS8_10device_ptrIS6_EENSI_IlEEPmSA_NS8_8equal_toIS6_EEEE10hipError_tPvRmT2_T3_mT4_T5_T6_T7_T8_P12ihipStream_tbENKUlT_T0_E_clISt17integral_constantIbLb0EES15_EEDaS10_S11_EUlS10_E_NS1_11comp_targetILNS1_3genE5ELNS1_11target_archE942ELNS1_3gpuE9ELNS1_3repE0EEENS1_30default_config_static_selectorELNS0_4arch9wavefront6targetE1EEEvT1_.uses_flat_scratch, 0
	.set _ZN7rocprim17ROCPRIM_400000_NS6detail17trampoline_kernelINS0_14default_configENS1_29reduce_by_key_config_selectorIN3c104HalfElN6thrust23THRUST_200600_302600_NS4plusIlEEEEZZNS1_33reduce_by_key_impl_wrapped_configILNS1_25lookback_scan_determinismE0ES3_SB_PS6_NS8_17constant_iteratorIiNS8_11use_defaultESG_EENS8_10device_ptrIS6_EENSI_IlEEPmSA_NS8_8equal_toIS6_EEEE10hipError_tPvRmT2_T3_mT4_T5_T6_T7_T8_P12ihipStream_tbENKUlT_T0_E_clISt17integral_constantIbLb0EES15_EEDaS10_S11_EUlS10_E_NS1_11comp_targetILNS1_3genE5ELNS1_11target_archE942ELNS1_3gpuE9ELNS1_3repE0EEENS1_30default_config_static_selectorELNS0_4arch9wavefront6targetE1EEEvT1_.has_dyn_sized_stack, 0
	.set _ZN7rocprim17ROCPRIM_400000_NS6detail17trampoline_kernelINS0_14default_configENS1_29reduce_by_key_config_selectorIN3c104HalfElN6thrust23THRUST_200600_302600_NS4plusIlEEEEZZNS1_33reduce_by_key_impl_wrapped_configILNS1_25lookback_scan_determinismE0ES3_SB_PS6_NS8_17constant_iteratorIiNS8_11use_defaultESG_EENS8_10device_ptrIS6_EENSI_IlEEPmSA_NS8_8equal_toIS6_EEEE10hipError_tPvRmT2_T3_mT4_T5_T6_T7_T8_P12ihipStream_tbENKUlT_T0_E_clISt17integral_constantIbLb0EES15_EEDaS10_S11_EUlS10_E_NS1_11comp_targetILNS1_3genE5ELNS1_11target_archE942ELNS1_3gpuE9ELNS1_3repE0EEENS1_30default_config_static_selectorELNS0_4arch9wavefront6targetE1EEEvT1_.has_recursion, 0
	.set _ZN7rocprim17ROCPRIM_400000_NS6detail17trampoline_kernelINS0_14default_configENS1_29reduce_by_key_config_selectorIN3c104HalfElN6thrust23THRUST_200600_302600_NS4plusIlEEEEZZNS1_33reduce_by_key_impl_wrapped_configILNS1_25lookback_scan_determinismE0ES3_SB_PS6_NS8_17constant_iteratorIiNS8_11use_defaultESG_EENS8_10device_ptrIS6_EENSI_IlEEPmSA_NS8_8equal_toIS6_EEEE10hipError_tPvRmT2_T3_mT4_T5_T6_T7_T8_P12ihipStream_tbENKUlT_T0_E_clISt17integral_constantIbLb0EES15_EEDaS10_S11_EUlS10_E_NS1_11comp_targetILNS1_3genE5ELNS1_11target_archE942ELNS1_3gpuE9ELNS1_3repE0EEENS1_30default_config_static_selectorELNS0_4arch9wavefront6targetE1EEEvT1_.has_indirect_call, 0
	.section	.AMDGPU.csdata,"",@progbits
; Kernel info:
; codeLenInByte = 0
; TotalNumSgprs: 4
; NumVgprs: 0
; ScratchSize: 0
; MemoryBound: 0
; FloatMode: 240
; IeeeMode: 1
; LDSByteSize: 0 bytes/workgroup (compile time only)
; SGPRBlocks: 0
; VGPRBlocks: 0
; NumSGPRsForWavesPerEU: 4
; NumVGPRsForWavesPerEU: 1
; Occupancy: 10
; WaveLimiterHint : 0
; COMPUTE_PGM_RSRC2:SCRATCH_EN: 0
; COMPUTE_PGM_RSRC2:USER_SGPR: 6
; COMPUTE_PGM_RSRC2:TRAP_HANDLER: 0
; COMPUTE_PGM_RSRC2:TGID_X_EN: 1
; COMPUTE_PGM_RSRC2:TGID_Y_EN: 0
; COMPUTE_PGM_RSRC2:TGID_Z_EN: 0
; COMPUTE_PGM_RSRC2:TIDIG_COMP_CNT: 0
	.section	.text._ZN7rocprim17ROCPRIM_400000_NS6detail17trampoline_kernelINS0_14default_configENS1_29reduce_by_key_config_selectorIN3c104HalfElN6thrust23THRUST_200600_302600_NS4plusIlEEEEZZNS1_33reduce_by_key_impl_wrapped_configILNS1_25lookback_scan_determinismE0ES3_SB_PS6_NS8_17constant_iteratorIiNS8_11use_defaultESG_EENS8_10device_ptrIS6_EENSI_IlEEPmSA_NS8_8equal_toIS6_EEEE10hipError_tPvRmT2_T3_mT4_T5_T6_T7_T8_P12ihipStream_tbENKUlT_T0_E_clISt17integral_constantIbLb0EES15_EEDaS10_S11_EUlS10_E_NS1_11comp_targetILNS1_3genE4ELNS1_11target_archE910ELNS1_3gpuE8ELNS1_3repE0EEENS1_30default_config_static_selectorELNS0_4arch9wavefront6targetE1EEEvT1_,"axG",@progbits,_ZN7rocprim17ROCPRIM_400000_NS6detail17trampoline_kernelINS0_14default_configENS1_29reduce_by_key_config_selectorIN3c104HalfElN6thrust23THRUST_200600_302600_NS4plusIlEEEEZZNS1_33reduce_by_key_impl_wrapped_configILNS1_25lookback_scan_determinismE0ES3_SB_PS6_NS8_17constant_iteratorIiNS8_11use_defaultESG_EENS8_10device_ptrIS6_EENSI_IlEEPmSA_NS8_8equal_toIS6_EEEE10hipError_tPvRmT2_T3_mT4_T5_T6_T7_T8_P12ihipStream_tbENKUlT_T0_E_clISt17integral_constantIbLb0EES15_EEDaS10_S11_EUlS10_E_NS1_11comp_targetILNS1_3genE4ELNS1_11target_archE910ELNS1_3gpuE8ELNS1_3repE0EEENS1_30default_config_static_selectorELNS0_4arch9wavefront6targetE1EEEvT1_,comdat
	.protected	_ZN7rocprim17ROCPRIM_400000_NS6detail17trampoline_kernelINS0_14default_configENS1_29reduce_by_key_config_selectorIN3c104HalfElN6thrust23THRUST_200600_302600_NS4plusIlEEEEZZNS1_33reduce_by_key_impl_wrapped_configILNS1_25lookback_scan_determinismE0ES3_SB_PS6_NS8_17constant_iteratorIiNS8_11use_defaultESG_EENS8_10device_ptrIS6_EENSI_IlEEPmSA_NS8_8equal_toIS6_EEEE10hipError_tPvRmT2_T3_mT4_T5_T6_T7_T8_P12ihipStream_tbENKUlT_T0_E_clISt17integral_constantIbLb0EES15_EEDaS10_S11_EUlS10_E_NS1_11comp_targetILNS1_3genE4ELNS1_11target_archE910ELNS1_3gpuE8ELNS1_3repE0EEENS1_30default_config_static_selectorELNS0_4arch9wavefront6targetE1EEEvT1_ ; -- Begin function _ZN7rocprim17ROCPRIM_400000_NS6detail17trampoline_kernelINS0_14default_configENS1_29reduce_by_key_config_selectorIN3c104HalfElN6thrust23THRUST_200600_302600_NS4plusIlEEEEZZNS1_33reduce_by_key_impl_wrapped_configILNS1_25lookback_scan_determinismE0ES3_SB_PS6_NS8_17constant_iteratorIiNS8_11use_defaultESG_EENS8_10device_ptrIS6_EENSI_IlEEPmSA_NS8_8equal_toIS6_EEEE10hipError_tPvRmT2_T3_mT4_T5_T6_T7_T8_P12ihipStream_tbENKUlT_T0_E_clISt17integral_constantIbLb0EES15_EEDaS10_S11_EUlS10_E_NS1_11comp_targetILNS1_3genE4ELNS1_11target_archE910ELNS1_3gpuE8ELNS1_3repE0EEENS1_30default_config_static_selectorELNS0_4arch9wavefront6targetE1EEEvT1_
	.globl	_ZN7rocprim17ROCPRIM_400000_NS6detail17trampoline_kernelINS0_14default_configENS1_29reduce_by_key_config_selectorIN3c104HalfElN6thrust23THRUST_200600_302600_NS4plusIlEEEEZZNS1_33reduce_by_key_impl_wrapped_configILNS1_25lookback_scan_determinismE0ES3_SB_PS6_NS8_17constant_iteratorIiNS8_11use_defaultESG_EENS8_10device_ptrIS6_EENSI_IlEEPmSA_NS8_8equal_toIS6_EEEE10hipError_tPvRmT2_T3_mT4_T5_T6_T7_T8_P12ihipStream_tbENKUlT_T0_E_clISt17integral_constantIbLb0EES15_EEDaS10_S11_EUlS10_E_NS1_11comp_targetILNS1_3genE4ELNS1_11target_archE910ELNS1_3gpuE8ELNS1_3repE0EEENS1_30default_config_static_selectorELNS0_4arch9wavefront6targetE1EEEvT1_
	.p2align	8
	.type	_ZN7rocprim17ROCPRIM_400000_NS6detail17trampoline_kernelINS0_14default_configENS1_29reduce_by_key_config_selectorIN3c104HalfElN6thrust23THRUST_200600_302600_NS4plusIlEEEEZZNS1_33reduce_by_key_impl_wrapped_configILNS1_25lookback_scan_determinismE0ES3_SB_PS6_NS8_17constant_iteratorIiNS8_11use_defaultESG_EENS8_10device_ptrIS6_EENSI_IlEEPmSA_NS8_8equal_toIS6_EEEE10hipError_tPvRmT2_T3_mT4_T5_T6_T7_T8_P12ihipStream_tbENKUlT_T0_E_clISt17integral_constantIbLb0EES15_EEDaS10_S11_EUlS10_E_NS1_11comp_targetILNS1_3genE4ELNS1_11target_archE910ELNS1_3gpuE8ELNS1_3repE0EEENS1_30default_config_static_selectorELNS0_4arch9wavefront6targetE1EEEvT1_,@function
_ZN7rocprim17ROCPRIM_400000_NS6detail17trampoline_kernelINS0_14default_configENS1_29reduce_by_key_config_selectorIN3c104HalfElN6thrust23THRUST_200600_302600_NS4plusIlEEEEZZNS1_33reduce_by_key_impl_wrapped_configILNS1_25lookback_scan_determinismE0ES3_SB_PS6_NS8_17constant_iteratorIiNS8_11use_defaultESG_EENS8_10device_ptrIS6_EENSI_IlEEPmSA_NS8_8equal_toIS6_EEEE10hipError_tPvRmT2_T3_mT4_T5_T6_T7_T8_P12ihipStream_tbENKUlT_T0_E_clISt17integral_constantIbLb0EES15_EEDaS10_S11_EUlS10_E_NS1_11comp_targetILNS1_3genE4ELNS1_11target_archE910ELNS1_3gpuE8ELNS1_3repE0EEENS1_30default_config_static_selectorELNS0_4arch9wavefront6targetE1EEEvT1_: ; @_ZN7rocprim17ROCPRIM_400000_NS6detail17trampoline_kernelINS0_14default_configENS1_29reduce_by_key_config_selectorIN3c104HalfElN6thrust23THRUST_200600_302600_NS4plusIlEEEEZZNS1_33reduce_by_key_impl_wrapped_configILNS1_25lookback_scan_determinismE0ES3_SB_PS6_NS8_17constant_iteratorIiNS8_11use_defaultESG_EENS8_10device_ptrIS6_EENSI_IlEEPmSA_NS8_8equal_toIS6_EEEE10hipError_tPvRmT2_T3_mT4_T5_T6_T7_T8_P12ihipStream_tbENKUlT_T0_E_clISt17integral_constantIbLb0EES15_EEDaS10_S11_EUlS10_E_NS1_11comp_targetILNS1_3genE4ELNS1_11target_archE910ELNS1_3gpuE8ELNS1_3repE0EEENS1_30default_config_static_selectorELNS0_4arch9wavefront6targetE1EEEvT1_
; %bb.0:
	.section	.rodata,"a",@progbits
	.p2align	6, 0x0
	.amdhsa_kernel _ZN7rocprim17ROCPRIM_400000_NS6detail17trampoline_kernelINS0_14default_configENS1_29reduce_by_key_config_selectorIN3c104HalfElN6thrust23THRUST_200600_302600_NS4plusIlEEEEZZNS1_33reduce_by_key_impl_wrapped_configILNS1_25lookback_scan_determinismE0ES3_SB_PS6_NS8_17constant_iteratorIiNS8_11use_defaultESG_EENS8_10device_ptrIS6_EENSI_IlEEPmSA_NS8_8equal_toIS6_EEEE10hipError_tPvRmT2_T3_mT4_T5_T6_T7_T8_P12ihipStream_tbENKUlT_T0_E_clISt17integral_constantIbLb0EES15_EEDaS10_S11_EUlS10_E_NS1_11comp_targetILNS1_3genE4ELNS1_11target_archE910ELNS1_3gpuE8ELNS1_3repE0EEENS1_30default_config_static_selectorELNS0_4arch9wavefront6targetE1EEEvT1_
		.amdhsa_group_segment_fixed_size 0
		.amdhsa_private_segment_fixed_size 0
		.amdhsa_kernarg_size 144
		.amdhsa_user_sgpr_count 6
		.amdhsa_user_sgpr_private_segment_buffer 1
		.amdhsa_user_sgpr_dispatch_ptr 0
		.amdhsa_user_sgpr_queue_ptr 0
		.amdhsa_user_sgpr_kernarg_segment_ptr 1
		.amdhsa_user_sgpr_dispatch_id 0
		.amdhsa_user_sgpr_flat_scratch_init 0
		.amdhsa_user_sgpr_private_segment_size 0
		.amdhsa_uses_dynamic_stack 0
		.amdhsa_system_sgpr_private_segment_wavefront_offset 0
		.amdhsa_system_sgpr_workgroup_id_x 1
		.amdhsa_system_sgpr_workgroup_id_y 0
		.amdhsa_system_sgpr_workgroup_id_z 0
		.amdhsa_system_sgpr_workgroup_info 0
		.amdhsa_system_vgpr_workitem_id 0
		.amdhsa_next_free_vgpr 1
		.amdhsa_next_free_sgpr 0
		.amdhsa_reserve_vcc 0
		.amdhsa_reserve_flat_scratch 0
		.amdhsa_float_round_mode_32 0
		.amdhsa_float_round_mode_16_64 0
		.amdhsa_float_denorm_mode_32 3
		.amdhsa_float_denorm_mode_16_64 3
		.amdhsa_dx10_clamp 1
		.amdhsa_ieee_mode 1
		.amdhsa_fp16_overflow 0
		.amdhsa_exception_fp_ieee_invalid_op 0
		.amdhsa_exception_fp_denorm_src 0
		.amdhsa_exception_fp_ieee_div_zero 0
		.amdhsa_exception_fp_ieee_overflow 0
		.amdhsa_exception_fp_ieee_underflow 0
		.amdhsa_exception_fp_ieee_inexact 0
		.amdhsa_exception_int_div_zero 0
	.end_amdhsa_kernel
	.section	.text._ZN7rocprim17ROCPRIM_400000_NS6detail17trampoline_kernelINS0_14default_configENS1_29reduce_by_key_config_selectorIN3c104HalfElN6thrust23THRUST_200600_302600_NS4plusIlEEEEZZNS1_33reduce_by_key_impl_wrapped_configILNS1_25lookback_scan_determinismE0ES3_SB_PS6_NS8_17constant_iteratorIiNS8_11use_defaultESG_EENS8_10device_ptrIS6_EENSI_IlEEPmSA_NS8_8equal_toIS6_EEEE10hipError_tPvRmT2_T3_mT4_T5_T6_T7_T8_P12ihipStream_tbENKUlT_T0_E_clISt17integral_constantIbLb0EES15_EEDaS10_S11_EUlS10_E_NS1_11comp_targetILNS1_3genE4ELNS1_11target_archE910ELNS1_3gpuE8ELNS1_3repE0EEENS1_30default_config_static_selectorELNS0_4arch9wavefront6targetE1EEEvT1_,"axG",@progbits,_ZN7rocprim17ROCPRIM_400000_NS6detail17trampoline_kernelINS0_14default_configENS1_29reduce_by_key_config_selectorIN3c104HalfElN6thrust23THRUST_200600_302600_NS4plusIlEEEEZZNS1_33reduce_by_key_impl_wrapped_configILNS1_25lookback_scan_determinismE0ES3_SB_PS6_NS8_17constant_iteratorIiNS8_11use_defaultESG_EENS8_10device_ptrIS6_EENSI_IlEEPmSA_NS8_8equal_toIS6_EEEE10hipError_tPvRmT2_T3_mT4_T5_T6_T7_T8_P12ihipStream_tbENKUlT_T0_E_clISt17integral_constantIbLb0EES15_EEDaS10_S11_EUlS10_E_NS1_11comp_targetILNS1_3genE4ELNS1_11target_archE910ELNS1_3gpuE8ELNS1_3repE0EEENS1_30default_config_static_selectorELNS0_4arch9wavefront6targetE1EEEvT1_,comdat
.Lfunc_end2200:
	.size	_ZN7rocprim17ROCPRIM_400000_NS6detail17trampoline_kernelINS0_14default_configENS1_29reduce_by_key_config_selectorIN3c104HalfElN6thrust23THRUST_200600_302600_NS4plusIlEEEEZZNS1_33reduce_by_key_impl_wrapped_configILNS1_25lookback_scan_determinismE0ES3_SB_PS6_NS8_17constant_iteratorIiNS8_11use_defaultESG_EENS8_10device_ptrIS6_EENSI_IlEEPmSA_NS8_8equal_toIS6_EEEE10hipError_tPvRmT2_T3_mT4_T5_T6_T7_T8_P12ihipStream_tbENKUlT_T0_E_clISt17integral_constantIbLb0EES15_EEDaS10_S11_EUlS10_E_NS1_11comp_targetILNS1_3genE4ELNS1_11target_archE910ELNS1_3gpuE8ELNS1_3repE0EEENS1_30default_config_static_selectorELNS0_4arch9wavefront6targetE1EEEvT1_, .Lfunc_end2200-_ZN7rocprim17ROCPRIM_400000_NS6detail17trampoline_kernelINS0_14default_configENS1_29reduce_by_key_config_selectorIN3c104HalfElN6thrust23THRUST_200600_302600_NS4plusIlEEEEZZNS1_33reduce_by_key_impl_wrapped_configILNS1_25lookback_scan_determinismE0ES3_SB_PS6_NS8_17constant_iteratorIiNS8_11use_defaultESG_EENS8_10device_ptrIS6_EENSI_IlEEPmSA_NS8_8equal_toIS6_EEEE10hipError_tPvRmT2_T3_mT4_T5_T6_T7_T8_P12ihipStream_tbENKUlT_T0_E_clISt17integral_constantIbLb0EES15_EEDaS10_S11_EUlS10_E_NS1_11comp_targetILNS1_3genE4ELNS1_11target_archE910ELNS1_3gpuE8ELNS1_3repE0EEENS1_30default_config_static_selectorELNS0_4arch9wavefront6targetE1EEEvT1_
                                        ; -- End function
	.set _ZN7rocprim17ROCPRIM_400000_NS6detail17trampoline_kernelINS0_14default_configENS1_29reduce_by_key_config_selectorIN3c104HalfElN6thrust23THRUST_200600_302600_NS4plusIlEEEEZZNS1_33reduce_by_key_impl_wrapped_configILNS1_25lookback_scan_determinismE0ES3_SB_PS6_NS8_17constant_iteratorIiNS8_11use_defaultESG_EENS8_10device_ptrIS6_EENSI_IlEEPmSA_NS8_8equal_toIS6_EEEE10hipError_tPvRmT2_T3_mT4_T5_T6_T7_T8_P12ihipStream_tbENKUlT_T0_E_clISt17integral_constantIbLb0EES15_EEDaS10_S11_EUlS10_E_NS1_11comp_targetILNS1_3genE4ELNS1_11target_archE910ELNS1_3gpuE8ELNS1_3repE0EEENS1_30default_config_static_selectorELNS0_4arch9wavefront6targetE1EEEvT1_.num_vgpr, 0
	.set _ZN7rocprim17ROCPRIM_400000_NS6detail17trampoline_kernelINS0_14default_configENS1_29reduce_by_key_config_selectorIN3c104HalfElN6thrust23THRUST_200600_302600_NS4plusIlEEEEZZNS1_33reduce_by_key_impl_wrapped_configILNS1_25lookback_scan_determinismE0ES3_SB_PS6_NS8_17constant_iteratorIiNS8_11use_defaultESG_EENS8_10device_ptrIS6_EENSI_IlEEPmSA_NS8_8equal_toIS6_EEEE10hipError_tPvRmT2_T3_mT4_T5_T6_T7_T8_P12ihipStream_tbENKUlT_T0_E_clISt17integral_constantIbLb0EES15_EEDaS10_S11_EUlS10_E_NS1_11comp_targetILNS1_3genE4ELNS1_11target_archE910ELNS1_3gpuE8ELNS1_3repE0EEENS1_30default_config_static_selectorELNS0_4arch9wavefront6targetE1EEEvT1_.num_agpr, 0
	.set _ZN7rocprim17ROCPRIM_400000_NS6detail17trampoline_kernelINS0_14default_configENS1_29reduce_by_key_config_selectorIN3c104HalfElN6thrust23THRUST_200600_302600_NS4plusIlEEEEZZNS1_33reduce_by_key_impl_wrapped_configILNS1_25lookback_scan_determinismE0ES3_SB_PS6_NS8_17constant_iteratorIiNS8_11use_defaultESG_EENS8_10device_ptrIS6_EENSI_IlEEPmSA_NS8_8equal_toIS6_EEEE10hipError_tPvRmT2_T3_mT4_T5_T6_T7_T8_P12ihipStream_tbENKUlT_T0_E_clISt17integral_constantIbLb0EES15_EEDaS10_S11_EUlS10_E_NS1_11comp_targetILNS1_3genE4ELNS1_11target_archE910ELNS1_3gpuE8ELNS1_3repE0EEENS1_30default_config_static_selectorELNS0_4arch9wavefront6targetE1EEEvT1_.numbered_sgpr, 0
	.set _ZN7rocprim17ROCPRIM_400000_NS6detail17trampoline_kernelINS0_14default_configENS1_29reduce_by_key_config_selectorIN3c104HalfElN6thrust23THRUST_200600_302600_NS4plusIlEEEEZZNS1_33reduce_by_key_impl_wrapped_configILNS1_25lookback_scan_determinismE0ES3_SB_PS6_NS8_17constant_iteratorIiNS8_11use_defaultESG_EENS8_10device_ptrIS6_EENSI_IlEEPmSA_NS8_8equal_toIS6_EEEE10hipError_tPvRmT2_T3_mT4_T5_T6_T7_T8_P12ihipStream_tbENKUlT_T0_E_clISt17integral_constantIbLb0EES15_EEDaS10_S11_EUlS10_E_NS1_11comp_targetILNS1_3genE4ELNS1_11target_archE910ELNS1_3gpuE8ELNS1_3repE0EEENS1_30default_config_static_selectorELNS0_4arch9wavefront6targetE1EEEvT1_.num_named_barrier, 0
	.set _ZN7rocprim17ROCPRIM_400000_NS6detail17trampoline_kernelINS0_14default_configENS1_29reduce_by_key_config_selectorIN3c104HalfElN6thrust23THRUST_200600_302600_NS4plusIlEEEEZZNS1_33reduce_by_key_impl_wrapped_configILNS1_25lookback_scan_determinismE0ES3_SB_PS6_NS8_17constant_iteratorIiNS8_11use_defaultESG_EENS8_10device_ptrIS6_EENSI_IlEEPmSA_NS8_8equal_toIS6_EEEE10hipError_tPvRmT2_T3_mT4_T5_T6_T7_T8_P12ihipStream_tbENKUlT_T0_E_clISt17integral_constantIbLb0EES15_EEDaS10_S11_EUlS10_E_NS1_11comp_targetILNS1_3genE4ELNS1_11target_archE910ELNS1_3gpuE8ELNS1_3repE0EEENS1_30default_config_static_selectorELNS0_4arch9wavefront6targetE1EEEvT1_.private_seg_size, 0
	.set _ZN7rocprim17ROCPRIM_400000_NS6detail17trampoline_kernelINS0_14default_configENS1_29reduce_by_key_config_selectorIN3c104HalfElN6thrust23THRUST_200600_302600_NS4plusIlEEEEZZNS1_33reduce_by_key_impl_wrapped_configILNS1_25lookback_scan_determinismE0ES3_SB_PS6_NS8_17constant_iteratorIiNS8_11use_defaultESG_EENS8_10device_ptrIS6_EENSI_IlEEPmSA_NS8_8equal_toIS6_EEEE10hipError_tPvRmT2_T3_mT4_T5_T6_T7_T8_P12ihipStream_tbENKUlT_T0_E_clISt17integral_constantIbLb0EES15_EEDaS10_S11_EUlS10_E_NS1_11comp_targetILNS1_3genE4ELNS1_11target_archE910ELNS1_3gpuE8ELNS1_3repE0EEENS1_30default_config_static_selectorELNS0_4arch9wavefront6targetE1EEEvT1_.uses_vcc, 0
	.set _ZN7rocprim17ROCPRIM_400000_NS6detail17trampoline_kernelINS0_14default_configENS1_29reduce_by_key_config_selectorIN3c104HalfElN6thrust23THRUST_200600_302600_NS4plusIlEEEEZZNS1_33reduce_by_key_impl_wrapped_configILNS1_25lookback_scan_determinismE0ES3_SB_PS6_NS8_17constant_iteratorIiNS8_11use_defaultESG_EENS8_10device_ptrIS6_EENSI_IlEEPmSA_NS8_8equal_toIS6_EEEE10hipError_tPvRmT2_T3_mT4_T5_T6_T7_T8_P12ihipStream_tbENKUlT_T0_E_clISt17integral_constantIbLb0EES15_EEDaS10_S11_EUlS10_E_NS1_11comp_targetILNS1_3genE4ELNS1_11target_archE910ELNS1_3gpuE8ELNS1_3repE0EEENS1_30default_config_static_selectorELNS0_4arch9wavefront6targetE1EEEvT1_.uses_flat_scratch, 0
	.set _ZN7rocprim17ROCPRIM_400000_NS6detail17trampoline_kernelINS0_14default_configENS1_29reduce_by_key_config_selectorIN3c104HalfElN6thrust23THRUST_200600_302600_NS4plusIlEEEEZZNS1_33reduce_by_key_impl_wrapped_configILNS1_25lookback_scan_determinismE0ES3_SB_PS6_NS8_17constant_iteratorIiNS8_11use_defaultESG_EENS8_10device_ptrIS6_EENSI_IlEEPmSA_NS8_8equal_toIS6_EEEE10hipError_tPvRmT2_T3_mT4_T5_T6_T7_T8_P12ihipStream_tbENKUlT_T0_E_clISt17integral_constantIbLb0EES15_EEDaS10_S11_EUlS10_E_NS1_11comp_targetILNS1_3genE4ELNS1_11target_archE910ELNS1_3gpuE8ELNS1_3repE0EEENS1_30default_config_static_selectorELNS0_4arch9wavefront6targetE1EEEvT1_.has_dyn_sized_stack, 0
	.set _ZN7rocprim17ROCPRIM_400000_NS6detail17trampoline_kernelINS0_14default_configENS1_29reduce_by_key_config_selectorIN3c104HalfElN6thrust23THRUST_200600_302600_NS4plusIlEEEEZZNS1_33reduce_by_key_impl_wrapped_configILNS1_25lookback_scan_determinismE0ES3_SB_PS6_NS8_17constant_iteratorIiNS8_11use_defaultESG_EENS8_10device_ptrIS6_EENSI_IlEEPmSA_NS8_8equal_toIS6_EEEE10hipError_tPvRmT2_T3_mT4_T5_T6_T7_T8_P12ihipStream_tbENKUlT_T0_E_clISt17integral_constantIbLb0EES15_EEDaS10_S11_EUlS10_E_NS1_11comp_targetILNS1_3genE4ELNS1_11target_archE910ELNS1_3gpuE8ELNS1_3repE0EEENS1_30default_config_static_selectorELNS0_4arch9wavefront6targetE1EEEvT1_.has_recursion, 0
	.set _ZN7rocprim17ROCPRIM_400000_NS6detail17trampoline_kernelINS0_14default_configENS1_29reduce_by_key_config_selectorIN3c104HalfElN6thrust23THRUST_200600_302600_NS4plusIlEEEEZZNS1_33reduce_by_key_impl_wrapped_configILNS1_25lookback_scan_determinismE0ES3_SB_PS6_NS8_17constant_iteratorIiNS8_11use_defaultESG_EENS8_10device_ptrIS6_EENSI_IlEEPmSA_NS8_8equal_toIS6_EEEE10hipError_tPvRmT2_T3_mT4_T5_T6_T7_T8_P12ihipStream_tbENKUlT_T0_E_clISt17integral_constantIbLb0EES15_EEDaS10_S11_EUlS10_E_NS1_11comp_targetILNS1_3genE4ELNS1_11target_archE910ELNS1_3gpuE8ELNS1_3repE0EEENS1_30default_config_static_selectorELNS0_4arch9wavefront6targetE1EEEvT1_.has_indirect_call, 0
	.section	.AMDGPU.csdata,"",@progbits
; Kernel info:
; codeLenInByte = 0
; TotalNumSgprs: 4
; NumVgprs: 0
; ScratchSize: 0
; MemoryBound: 0
; FloatMode: 240
; IeeeMode: 1
; LDSByteSize: 0 bytes/workgroup (compile time only)
; SGPRBlocks: 0
; VGPRBlocks: 0
; NumSGPRsForWavesPerEU: 4
; NumVGPRsForWavesPerEU: 1
; Occupancy: 10
; WaveLimiterHint : 0
; COMPUTE_PGM_RSRC2:SCRATCH_EN: 0
; COMPUTE_PGM_RSRC2:USER_SGPR: 6
; COMPUTE_PGM_RSRC2:TRAP_HANDLER: 0
; COMPUTE_PGM_RSRC2:TGID_X_EN: 1
; COMPUTE_PGM_RSRC2:TGID_Y_EN: 0
; COMPUTE_PGM_RSRC2:TGID_Z_EN: 0
; COMPUTE_PGM_RSRC2:TIDIG_COMP_CNT: 0
	.section	.text._ZN7rocprim17ROCPRIM_400000_NS6detail17trampoline_kernelINS0_14default_configENS1_29reduce_by_key_config_selectorIN3c104HalfElN6thrust23THRUST_200600_302600_NS4plusIlEEEEZZNS1_33reduce_by_key_impl_wrapped_configILNS1_25lookback_scan_determinismE0ES3_SB_PS6_NS8_17constant_iteratorIiNS8_11use_defaultESG_EENS8_10device_ptrIS6_EENSI_IlEEPmSA_NS8_8equal_toIS6_EEEE10hipError_tPvRmT2_T3_mT4_T5_T6_T7_T8_P12ihipStream_tbENKUlT_T0_E_clISt17integral_constantIbLb0EES15_EEDaS10_S11_EUlS10_E_NS1_11comp_targetILNS1_3genE3ELNS1_11target_archE908ELNS1_3gpuE7ELNS1_3repE0EEENS1_30default_config_static_selectorELNS0_4arch9wavefront6targetE1EEEvT1_,"axG",@progbits,_ZN7rocprim17ROCPRIM_400000_NS6detail17trampoline_kernelINS0_14default_configENS1_29reduce_by_key_config_selectorIN3c104HalfElN6thrust23THRUST_200600_302600_NS4plusIlEEEEZZNS1_33reduce_by_key_impl_wrapped_configILNS1_25lookback_scan_determinismE0ES3_SB_PS6_NS8_17constant_iteratorIiNS8_11use_defaultESG_EENS8_10device_ptrIS6_EENSI_IlEEPmSA_NS8_8equal_toIS6_EEEE10hipError_tPvRmT2_T3_mT4_T5_T6_T7_T8_P12ihipStream_tbENKUlT_T0_E_clISt17integral_constantIbLb0EES15_EEDaS10_S11_EUlS10_E_NS1_11comp_targetILNS1_3genE3ELNS1_11target_archE908ELNS1_3gpuE7ELNS1_3repE0EEENS1_30default_config_static_selectorELNS0_4arch9wavefront6targetE1EEEvT1_,comdat
	.protected	_ZN7rocprim17ROCPRIM_400000_NS6detail17trampoline_kernelINS0_14default_configENS1_29reduce_by_key_config_selectorIN3c104HalfElN6thrust23THRUST_200600_302600_NS4plusIlEEEEZZNS1_33reduce_by_key_impl_wrapped_configILNS1_25lookback_scan_determinismE0ES3_SB_PS6_NS8_17constant_iteratorIiNS8_11use_defaultESG_EENS8_10device_ptrIS6_EENSI_IlEEPmSA_NS8_8equal_toIS6_EEEE10hipError_tPvRmT2_T3_mT4_T5_T6_T7_T8_P12ihipStream_tbENKUlT_T0_E_clISt17integral_constantIbLb0EES15_EEDaS10_S11_EUlS10_E_NS1_11comp_targetILNS1_3genE3ELNS1_11target_archE908ELNS1_3gpuE7ELNS1_3repE0EEENS1_30default_config_static_selectorELNS0_4arch9wavefront6targetE1EEEvT1_ ; -- Begin function _ZN7rocprim17ROCPRIM_400000_NS6detail17trampoline_kernelINS0_14default_configENS1_29reduce_by_key_config_selectorIN3c104HalfElN6thrust23THRUST_200600_302600_NS4plusIlEEEEZZNS1_33reduce_by_key_impl_wrapped_configILNS1_25lookback_scan_determinismE0ES3_SB_PS6_NS8_17constant_iteratorIiNS8_11use_defaultESG_EENS8_10device_ptrIS6_EENSI_IlEEPmSA_NS8_8equal_toIS6_EEEE10hipError_tPvRmT2_T3_mT4_T5_T6_T7_T8_P12ihipStream_tbENKUlT_T0_E_clISt17integral_constantIbLb0EES15_EEDaS10_S11_EUlS10_E_NS1_11comp_targetILNS1_3genE3ELNS1_11target_archE908ELNS1_3gpuE7ELNS1_3repE0EEENS1_30default_config_static_selectorELNS0_4arch9wavefront6targetE1EEEvT1_
	.globl	_ZN7rocprim17ROCPRIM_400000_NS6detail17trampoline_kernelINS0_14default_configENS1_29reduce_by_key_config_selectorIN3c104HalfElN6thrust23THRUST_200600_302600_NS4plusIlEEEEZZNS1_33reduce_by_key_impl_wrapped_configILNS1_25lookback_scan_determinismE0ES3_SB_PS6_NS8_17constant_iteratorIiNS8_11use_defaultESG_EENS8_10device_ptrIS6_EENSI_IlEEPmSA_NS8_8equal_toIS6_EEEE10hipError_tPvRmT2_T3_mT4_T5_T6_T7_T8_P12ihipStream_tbENKUlT_T0_E_clISt17integral_constantIbLb0EES15_EEDaS10_S11_EUlS10_E_NS1_11comp_targetILNS1_3genE3ELNS1_11target_archE908ELNS1_3gpuE7ELNS1_3repE0EEENS1_30default_config_static_selectorELNS0_4arch9wavefront6targetE1EEEvT1_
	.p2align	8
	.type	_ZN7rocprim17ROCPRIM_400000_NS6detail17trampoline_kernelINS0_14default_configENS1_29reduce_by_key_config_selectorIN3c104HalfElN6thrust23THRUST_200600_302600_NS4plusIlEEEEZZNS1_33reduce_by_key_impl_wrapped_configILNS1_25lookback_scan_determinismE0ES3_SB_PS6_NS8_17constant_iteratorIiNS8_11use_defaultESG_EENS8_10device_ptrIS6_EENSI_IlEEPmSA_NS8_8equal_toIS6_EEEE10hipError_tPvRmT2_T3_mT4_T5_T6_T7_T8_P12ihipStream_tbENKUlT_T0_E_clISt17integral_constantIbLb0EES15_EEDaS10_S11_EUlS10_E_NS1_11comp_targetILNS1_3genE3ELNS1_11target_archE908ELNS1_3gpuE7ELNS1_3repE0EEENS1_30default_config_static_selectorELNS0_4arch9wavefront6targetE1EEEvT1_,@function
_ZN7rocprim17ROCPRIM_400000_NS6detail17trampoline_kernelINS0_14default_configENS1_29reduce_by_key_config_selectorIN3c104HalfElN6thrust23THRUST_200600_302600_NS4plusIlEEEEZZNS1_33reduce_by_key_impl_wrapped_configILNS1_25lookback_scan_determinismE0ES3_SB_PS6_NS8_17constant_iteratorIiNS8_11use_defaultESG_EENS8_10device_ptrIS6_EENSI_IlEEPmSA_NS8_8equal_toIS6_EEEE10hipError_tPvRmT2_T3_mT4_T5_T6_T7_T8_P12ihipStream_tbENKUlT_T0_E_clISt17integral_constantIbLb0EES15_EEDaS10_S11_EUlS10_E_NS1_11comp_targetILNS1_3genE3ELNS1_11target_archE908ELNS1_3gpuE7ELNS1_3repE0EEENS1_30default_config_static_selectorELNS0_4arch9wavefront6targetE1EEEvT1_: ; @_ZN7rocprim17ROCPRIM_400000_NS6detail17trampoline_kernelINS0_14default_configENS1_29reduce_by_key_config_selectorIN3c104HalfElN6thrust23THRUST_200600_302600_NS4plusIlEEEEZZNS1_33reduce_by_key_impl_wrapped_configILNS1_25lookback_scan_determinismE0ES3_SB_PS6_NS8_17constant_iteratorIiNS8_11use_defaultESG_EENS8_10device_ptrIS6_EENSI_IlEEPmSA_NS8_8equal_toIS6_EEEE10hipError_tPvRmT2_T3_mT4_T5_T6_T7_T8_P12ihipStream_tbENKUlT_T0_E_clISt17integral_constantIbLb0EES15_EEDaS10_S11_EUlS10_E_NS1_11comp_targetILNS1_3genE3ELNS1_11target_archE908ELNS1_3gpuE7ELNS1_3repE0EEENS1_30default_config_static_selectorELNS0_4arch9wavefront6targetE1EEEvT1_
; %bb.0:
	.section	.rodata,"a",@progbits
	.p2align	6, 0x0
	.amdhsa_kernel _ZN7rocprim17ROCPRIM_400000_NS6detail17trampoline_kernelINS0_14default_configENS1_29reduce_by_key_config_selectorIN3c104HalfElN6thrust23THRUST_200600_302600_NS4plusIlEEEEZZNS1_33reduce_by_key_impl_wrapped_configILNS1_25lookback_scan_determinismE0ES3_SB_PS6_NS8_17constant_iteratorIiNS8_11use_defaultESG_EENS8_10device_ptrIS6_EENSI_IlEEPmSA_NS8_8equal_toIS6_EEEE10hipError_tPvRmT2_T3_mT4_T5_T6_T7_T8_P12ihipStream_tbENKUlT_T0_E_clISt17integral_constantIbLb0EES15_EEDaS10_S11_EUlS10_E_NS1_11comp_targetILNS1_3genE3ELNS1_11target_archE908ELNS1_3gpuE7ELNS1_3repE0EEENS1_30default_config_static_selectorELNS0_4arch9wavefront6targetE1EEEvT1_
		.amdhsa_group_segment_fixed_size 0
		.amdhsa_private_segment_fixed_size 0
		.amdhsa_kernarg_size 144
		.amdhsa_user_sgpr_count 6
		.amdhsa_user_sgpr_private_segment_buffer 1
		.amdhsa_user_sgpr_dispatch_ptr 0
		.amdhsa_user_sgpr_queue_ptr 0
		.amdhsa_user_sgpr_kernarg_segment_ptr 1
		.amdhsa_user_sgpr_dispatch_id 0
		.amdhsa_user_sgpr_flat_scratch_init 0
		.amdhsa_user_sgpr_private_segment_size 0
		.amdhsa_uses_dynamic_stack 0
		.amdhsa_system_sgpr_private_segment_wavefront_offset 0
		.amdhsa_system_sgpr_workgroup_id_x 1
		.amdhsa_system_sgpr_workgroup_id_y 0
		.amdhsa_system_sgpr_workgroup_id_z 0
		.amdhsa_system_sgpr_workgroup_info 0
		.amdhsa_system_vgpr_workitem_id 0
		.amdhsa_next_free_vgpr 1
		.amdhsa_next_free_sgpr 0
		.amdhsa_reserve_vcc 0
		.amdhsa_reserve_flat_scratch 0
		.amdhsa_float_round_mode_32 0
		.amdhsa_float_round_mode_16_64 0
		.amdhsa_float_denorm_mode_32 3
		.amdhsa_float_denorm_mode_16_64 3
		.amdhsa_dx10_clamp 1
		.amdhsa_ieee_mode 1
		.amdhsa_fp16_overflow 0
		.amdhsa_exception_fp_ieee_invalid_op 0
		.amdhsa_exception_fp_denorm_src 0
		.amdhsa_exception_fp_ieee_div_zero 0
		.amdhsa_exception_fp_ieee_overflow 0
		.amdhsa_exception_fp_ieee_underflow 0
		.amdhsa_exception_fp_ieee_inexact 0
		.amdhsa_exception_int_div_zero 0
	.end_amdhsa_kernel
	.section	.text._ZN7rocprim17ROCPRIM_400000_NS6detail17trampoline_kernelINS0_14default_configENS1_29reduce_by_key_config_selectorIN3c104HalfElN6thrust23THRUST_200600_302600_NS4plusIlEEEEZZNS1_33reduce_by_key_impl_wrapped_configILNS1_25lookback_scan_determinismE0ES3_SB_PS6_NS8_17constant_iteratorIiNS8_11use_defaultESG_EENS8_10device_ptrIS6_EENSI_IlEEPmSA_NS8_8equal_toIS6_EEEE10hipError_tPvRmT2_T3_mT4_T5_T6_T7_T8_P12ihipStream_tbENKUlT_T0_E_clISt17integral_constantIbLb0EES15_EEDaS10_S11_EUlS10_E_NS1_11comp_targetILNS1_3genE3ELNS1_11target_archE908ELNS1_3gpuE7ELNS1_3repE0EEENS1_30default_config_static_selectorELNS0_4arch9wavefront6targetE1EEEvT1_,"axG",@progbits,_ZN7rocprim17ROCPRIM_400000_NS6detail17trampoline_kernelINS0_14default_configENS1_29reduce_by_key_config_selectorIN3c104HalfElN6thrust23THRUST_200600_302600_NS4plusIlEEEEZZNS1_33reduce_by_key_impl_wrapped_configILNS1_25lookback_scan_determinismE0ES3_SB_PS6_NS8_17constant_iteratorIiNS8_11use_defaultESG_EENS8_10device_ptrIS6_EENSI_IlEEPmSA_NS8_8equal_toIS6_EEEE10hipError_tPvRmT2_T3_mT4_T5_T6_T7_T8_P12ihipStream_tbENKUlT_T0_E_clISt17integral_constantIbLb0EES15_EEDaS10_S11_EUlS10_E_NS1_11comp_targetILNS1_3genE3ELNS1_11target_archE908ELNS1_3gpuE7ELNS1_3repE0EEENS1_30default_config_static_selectorELNS0_4arch9wavefront6targetE1EEEvT1_,comdat
.Lfunc_end2201:
	.size	_ZN7rocprim17ROCPRIM_400000_NS6detail17trampoline_kernelINS0_14default_configENS1_29reduce_by_key_config_selectorIN3c104HalfElN6thrust23THRUST_200600_302600_NS4plusIlEEEEZZNS1_33reduce_by_key_impl_wrapped_configILNS1_25lookback_scan_determinismE0ES3_SB_PS6_NS8_17constant_iteratorIiNS8_11use_defaultESG_EENS8_10device_ptrIS6_EENSI_IlEEPmSA_NS8_8equal_toIS6_EEEE10hipError_tPvRmT2_T3_mT4_T5_T6_T7_T8_P12ihipStream_tbENKUlT_T0_E_clISt17integral_constantIbLb0EES15_EEDaS10_S11_EUlS10_E_NS1_11comp_targetILNS1_3genE3ELNS1_11target_archE908ELNS1_3gpuE7ELNS1_3repE0EEENS1_30default_config_static_selectorELNS0_4arch9wavefront6targetE1EEEvT1_, .Lfunc_end2201-_ZN7rocprim17ROCPRIM_400000_NS6detail17trampoline_kernelINS0_14default_configENS1_29reduce_by_key_config_selectorIN3c104HalfElN6thrust23THRUST_200600_302600_NS4plusIlEEEEZZNS1_33reduce_by_key_impl_wrapped_configILNS1_25lookback_scan_determinismE0ES3_SB_PS6_NS8_17constant_iteratorIiNS8_11use_defaultESG_EENS8_10device_ptrIS6_EENSI_IlEEPmSA_NS8_8equal_toIS6_EEEE10hipError_tPvRmT2_T3_mT4_T5_T6_T7_T8_P12ihipStream_tbENKUlT_T0_E_clISt17integral_constantIbLb0EES15_EEDaS10_S11_EUlS10_E_NS1_11comp_targetILNS1_3genE3ELNS1_11target_archE908ELNS1_3gpuE7ELNS1_3repE0EEENS1_30default_config_static_selectorELNS0_4arch9wavefront6targetE1EEEvT1_
                                        ; -- End function
	.set _ZN7rocprim17ROCPRIM_400000_NS6detail17trampoline_kernelINS0_14default_configENS1_29reduce_by_key_config_selectorIN3c104HalfElN6thrust23THRUST_200600_302600_NS4plusIlEEEEZZNS1_33reduce_by_key_impl_wrapped_configILNS1_25lookback_scan_determinismE0ES3_SB_PS6_NS8_17constant_iteratorIiNS8_11use_defaultESG_EENS8_10device_ptrIS6_EENSI_IlEEPmSA_NS8_8equal_toIS6_EEEE10hipError_tPvRmT2_T3_mT4_T5_T6_T7_T8_P12ihipStream_tbENKUlT_T0_E_clISt17integral_constantIbLb0EES15_EEDaS10_S11_EUlS10_E_NS1_11comp_targetILNS1_3genE3ELNS1_11target_archE908ELNS1_3gpuE7ELNS1_3repE0EEENS1_30default_config_static_selectorELNS0_4arch9wavefront6targetE1EEEvT1_.num_vgpr, 0
	.set _ZN7rocprim17ROCPRIM_400000_NS6detail17trampoline_kernelINS0_14default_configENS1_29reduce_by_key_config_selectorIN3c104HalfElN6thrust23THRUST_200600_302600_NS4plusIlEEEEZZNS1_33reduce_by_key_impl_wrapped_configILNS1_25lookback_scan_determinismE0ES3_SB_PS6_NS8_17constant_iteratorIiNS8_11use_defaultESG_EENS8_10device_ptrIS6_EENSI_IlEEPmSA_NS8_8equal_toIS6_EEEE10hipError_tPvRmT2_T3_mT4_T5_T6_T7_T8_P12ihipStream_tbENKUlT_T0_E_clISt17integral_constantIbLb0EES15_EEDaS10_S11_EUlS10_E_NS1_11comp_targetILNS1_3genE3ELNS1_11target_archE908ELNS1_3gpuE7ELNS1_3repE0EEENS1_30default_config_static_selectorELNS0_4arch9wavefront6targetE1EEEvT1_.num_agpr, 0
	.set _ZN7rocprim17ROCPRIM_400000_NS6detail17trampoline_kernelINS0_14default_configENS1_29reduce_by_key_config_selectorIN3c104HalfElN6thrust23THRUST_200600_302600_NS4plusIlEEEEZZNS1_33reduce_by_key_impl_wrapped_configILNS1_25lookback_scan_determinismE0ES3_SB_PS6_NS8_17constant_iteratorIiNS8_11use_defaultESG_EENS8_10device_ptrIS6_EENSI_IlEEPmSA_NS8_8equal_toIS6_EEEE10hipError_tPvRmT2_T3_mT4_T5_T6_T7_T8_P12ihipStream_tbENKUlT_T0_E_clISt17integral_constantIbLb0EES15_EEDaS10_S11_EUlS10_E_NS1_11comp_targetILNS1_3genE3ELNS1_11target_archE908ELNS1_3gpuE7ELNS1_3repE0EEENS1_30default_config_static_selectorELNS0_4arch9wavefront6targetE1EEEvT1_.numbered_sgpr, 0
	.set _ZN7rocprim17ROCPRIM_400000_NS6detail17trampoline_kernelINS0_14default_configENS1_29reduce_by_key_config_selectorIN3c104HalfElN6thrust23THRUST_200600_302600_NS4plusIlEEEEZZNS1_33reduce_by_key_impl_wrapped_configILNS1_25lookback_scan_determinismE0ES3_SB_PS6_NS8_17constant_iteratorIiNS8_11use_defaultESG_EENS8_10device_ptrIS6_EENSI_IlEEPmSA_NS8_8equal_toIS6_EEEE10hipError_tPvRmT2_T3_mT4_T5_T6_T7_T8_P12ihipStream_tbENKUlT_T0_E_clISt17integral_constantIbLb0EES15_EEDaS10_S11_EUlS10_E_NS1_11comp_targetILNS1_3genE3ELNS1_11target_archE908ELNS1_3gpuE7ELNS1_3repE0EEENS1_30default_config_static_selectorELNS0_4arch9wavefront6targetE1EEEvT1_.num_named_barrier, 0
	.set _ZN7rocprim17ROCPRIM_400000_NS6detail17trampoline_kernelINS0_14default_configENS1_29reduce_by_key_config_selectorIN3c104HalfElN6thrust23THRUST_200600_302600_NS4plusIlEEEEZZNS1_33reduce_by_key_impl_wrapped_configILNS1_25lookback_scan_determinismE0ES3_SB_PS6_NS8_17constant_iteratorIiNS8_11use_defaultESG_EENS8_10device_ptrIS6_EENSI_IlEEPmSA_NS8_8equal_toIS6_EEEE10hipError_tPvRmT2_T3_mT4_T5_T6_T7_T8_P12ihipStream_tbENKUlT_T0_E_clISt17integral_constantIbLb0EES15_EEDaS10_S11_EUlS10_E_NS1_11comp_targetILNS1_3genE3ELNS1_11target_archE908ELNS1_3gpuE7ELNS1_3repE0EEENS1_30default_config_static_selectorELNS0_4arch9wavefront6targetE1EEEvT1_.private_seg_size, 0
	.set _ZN7rocprim17ROCPRIM_400000_NS6detail17trampoline_kernelINS0_14default_configENS1_29reduce_by_key_config_selectorIN3c104HalfElN6thrust23THRUST_200600_302600_NS4plusIlEEEEZZNS1_33reduce_by_key_impl_wrapped_configILNS1_25lookback_scan_determinismE0ES3_SB_PS6_NS8_17constant_iteratorIiNS8_11use_defaultESG_EENS8_10device_ptrIS6_EENSI_IlEEPmSA_NS8_8equal_toIS6_EEEE10hipError_tPvRmT2_T3_mT4_T5_T6_T7_T8_P12ihipStream_tbENKUlT_T0_E_clISt17integral_constantIbLb0EES15_EEDaS10_S11_EUlS10_E_NS1_11comp_targetILNS1_3genE3ELNS1_11target_archE908ELNS1_3gpuE7ELNS1_3repE0EEENS1_30default_config_static_selectorELNS0_4arch9wavefront6targetE1EEEvT1_.uses_vcc, 0
	.set _ZN7rocprim17ROCPRIM_400000_NS6detail17trampoline_kernelINS0_14default_configENS1_29reduce_by_key_config_selectorIN3c104HalfElN6thrust23THRUST_200600_302600_NS4plusIlEEEEZZNS1_33reduce_by_key_impl_wrapped_configILNS1_25lookback_scan_determinismE0ES3_SB_PS6_NS8_17constant_iteratorIiNS8_11use_defaultESG_EENS8_10device_ptrIS6_EENSI_IlEEPmSA_NS8_8equal_toIS6_EEEE10hipError_tPvRmT2_T3_mT4_T5_T6_T7_T8_P12ihipStream_tbENKUlT_T0_E_clISt17integral_constantIbLb0EES15_EEDaS10_S11_EUlS10_E_NS1_11comp_targetILNS1_3genE3ELNS1_11target_archE908ELNS1_3gpuE7ELNS1_3repE0EEENS1_30default_config_static_selectorELNS0_4arch9wavefront6targetE1EEEvT1_.uses_flat_scratch, 0
	.set _ZN7rocprim17ROCPRIM_400000_NS6detail17trampoline_kernelINS0_14default_configENS1_29reduce_by_key_config_selectorIN3c104HalfElN6thrust23THRUST_200600_302600_NS4plusIlEEEEZZNS1_33reduce_by_key_impl_wrapped_configILNS1_25lookback_scan_determinismE0ES3_SB_PS6_NS8_17constant_iteratorIiNS8_11use_defaultESG_EENS8_10device_ptrIS6_EENSI_IlEEPmSA_NS8_8equal_toIS6_EEEE10hipError_tPvRmT2_T3_mT4_T5_T6_T7_T8_P12ihipStream_tbENKUlT_T0_E_clISt17integral_constantIbLb0EES15_EEDaS10_S11_EUlS10_E_NS1_11comp_targetILNS1_3genE3ELNS1_11target_archE908ELNS1_3gpuE7ELNS1_3repE0EEENS1_30default_config_static_selectorELNS0_4arch9wavefront6targetE1EEEvT1_.has_dyn_sized_stack, 0
	.set _ZN7rocprim17ROCPRIM_400000_NS6detail17trampoline_kernelINS0_14default_configENS1_29reduce_by_key_config_selectorIN3c104HalfElN6thrust23THRUST_200600_302600_NS4plusIlEEEEZZNS1_33reduce_by_key_impl_wrapped_configILNS1_25lookback_scan_determinismE0ES3_SB_PS6_NS8_17constant_iteratorIiNS8_11use_defaultESG_EENS8_10device_ptrIS6_EENSI_IlEEPmSA_NS8_8equal_toIS6_EEEE10hipError_tPvRmT2_T3_mT4_T5_T6_T7_T8_P12ihipStream_tbENKUlT_T0_E_clISt17integral_constantIbLb0EES15_EEDaS10_S11_EUlS10_E_NS1_11comp_targetILNS1_3genE3ELNS1_11target_archE908ELNS1_3gpuE7ELNS1_3repE0EEENS1_30default_config_static_selectorELNS0_4arch9wavefront6targetE1EEEvT1_.has_recursion, 0
	.set _ZN7rocprim17ROCPRIM_400000_NS6detail17trampoline_kernelINS0_14default_configENS1_29reduce_by_key_config_selectorIN3c104HalfElN6thrust23THRUST_200600_302600_NS4plusIlEEEEZZNS1_33reduce_by_key_impl_wrapped_configILNS1_25lookback_scan_determinismE0ES3_SB_PS6_NS8_17constant_iteratorIiNS8_11use_defaultESG_EENS8_10device_ptrIS6_EENSI_IlEEPmSA_NS8_8equal_toIS6_EEEE10hipError_tPvRmT2_T3_mT4_T5_T6_T7_T8_P12ihipStream_tbENKUlT_T0_E_clISt17integral_constantIbLb0EES15_EEDaS10_S11_EUlS10_E_NS1_11comp_targetILNS1_3genE3ELNS1_11target_archE908ELNS1_3gpuE7ELNS1_3repE0EEENS1_30default_config_static_selectorELNS0_4arch9wavefront6targetE1EEEvT1_.has_indirect_call, 0
	.section	.AMDGPU.csdata,"",@progbits
; Kernel info:
; codeLenInByte = 0
; TotalNumSgprs: 4
; NumVgprs: 0
; ScratchSize: 0
; MemoryBound: 0
; FloatMode: 240
; IeeeMode: 1
; LDSByteSize: 0 bytes/workgroup (compile time only)
; SGPRBlocks: 0
; VGPRBlocks: 0
; NumSGPRsForWavesPerEU: 4
; NumVGPRsForWavesPerEU: 1
; Occupancy: 10
; WaveLimiterHint : 0
; COMPUTE_PGM_RSRC2:SCRATCH_EN: 0
; COMPUTE_PGM_RSRC2:USER_SGPR: 6
; COMPUTE_PGM_RSRC2:TRAP_HANDLER: 0
; COMPUTE_PGM_RSRC2:TGID_X_EN: 1
; COMPUTE_PGM_RSRC2:TGID_Y_EN: 0
; COMPUTE_PGM_RSRC2:TGID_Z_EN: 0
; COMPUTE_PGM_RSRC2:TIDIG_COMP_CNT: 0
	.section	.text._ZN7rocprim17ROCPRIM_400000_NS6detail17trampoline_kernelINS0_14default_configENS1_29reduce_by_key_config_selectorIN3c104HalfElN6thrust23THRUST_200600_302600_NS4plusIlEEEEZZNS1_33reduce_by_key_impl_wrapped_configILNS1_25lookback_scan_determinismE0ES3_SB_PS6_NS8_17constant_iteratorIiNS8_11use_defaultESG_EENS8_10device_ptrIS6_EENSI_IlEEPmSA_NS8_8equal_toIS6_EEEE10hipError_tPvRmT2_T3_mT4_T5_T6_T7_T8_P12ihipStream_tbENKUlT_T0_E_clISt17integral_constantIbLb0EES15_EEDaS10_S11_EUlS10_E_NS1_11comp_targetILNS1_3genE2ELNS1_11target_archE906ELNS1_3gpuE6ELNS1_3repE0EEENS1_30default_config_static_selectorELNS0_4arch9wavefront6targetE1EEEvT1_,"axG",@progbits,_ZN7rocprim17ROCPRIM_400000_NS6detail17trampoline_kernelINS0_14default_configENS1_29reduce_by_key_config_selectorIN3c104HalfElN6thrust23THRUST_200600_302600_NS4plusIlEEEEZZNS1_33reduce_by_key_impl_wrapped_configILNS1_25lookback_scan_determinismE0ES3_SB_PS6_NS8_17constant_iteratorIiNS8_11use_defaultESG_EENS8_10device_ptrIS6_EENSI_IlEEPmSA_NS8_8equal_toIS6_EEEE10hipError_tPvRmT2_T3_mT4_T5_T6_T7_T8_P12ihipStream_tbENKUlT_T0_E_clISt17integral_constantIbLb0EES15_EEDaS10_S11_EUlS10_E_NS1_11comp_targetILNS1_3genE2ELNS1_11target_archE906ELNS1_3gpuE6ELNS1_3repE0EEENS1_30default_config_static_selectorELNS0_4arch9wavefront6targetE1EEEvT1_,comdat
	.protected	_ZN7rocprim17ROCPRIM_400000_NS6detail17trampoline_kernelINS0_14default_configENS1_29reduce_by_key_config_selectorIN3c104HalfElN6thrust23THRUST_200600_302600_NS4plusIlEEEEZZNS1_33reduce_by_key_impl_wrapped_configILNS1_25lookback_scan_determinismE0ES3_SB_PS6_NS8_17constant_iteratorIiNS8_11use_defaultESG_EENS8_10device_ptrIS6_EENSI_IlEEPmSA_NS8_8equal_toIS6_EEEE10hipError_tPvRmT2_T3_mT4_T5_T6_T7_T8_P12ihipStream_tbENKUlT_T0_E_clISt17integral_constantIbLb0EES15_EEDaS10_S11_EUlS10_E_NS1_11comp_targetILNS1_3genE2ELNS1_11target_archE906ELNS1_3gpuE6ELNS1_3repE0EEENS1_30default_config_static_selectorELNS0_4arch9wavefront6targetE1EEEvT1_ ; -- Begin function _ZN7rocprim17ROCPRIM_400000_NS6detail17trampoline_kernelINS0_14default_configENS1_29reduce_by_key_config_selectorIN3c104HalfElN6thrust23THRUST_200600_302600_NS4plusIlEEEEZZNS1_33reduce_by_key_impl_wrapped_configILNS1_25lookback_scan_determinismE0ES3_SB_PS6_NS8_17constant_iteratorIiNS8_11use_defaultESG_EENS8_10device_ptrIS6_EENSI_IlEEPmSA_NS8_8equal_toIS6_EEEE10hipError_tPvRmT2_T3_mT4_T5_T6_T7_T8_P12ihipStream_tbENKUlT_T0_E_clISt17integral_constantIbLb0EES15_EEDaS10_S11_EUlS10_E_NS1_11comp_targetILNS1_3genE2ELNS1_11target_archE906ELNS1_3gpuE6ELNS1_3repE0EEENS1_30default_config_static_selectorELNS0_4arch9wavefront6targetE1EEEvT1_
	.globl	_ZN7rocprim17ROCPRIM_400000_NS6detail17trampoline_kernelINS0_14default_configENS1_29reduce_by_key_config_selectorIN3c104HalfElN6thrust23THRUST_200600_302600_NS4plusIlEEEEZZNS1_33reduce_by_key_impl_wrapped_configILNS1_25lookback_scan_determinismE0ES3_SB_PS6_NS8_17constant_iteratorIiNS8_11use_defaultESG_EENS8_10device_ptrIS6_EENSI_IlEEPmSA_NS8_8equal_toIS6_EEEE10hipError_tPvRmT2_T3_mT4_T5_T6_T7_T8_P12ihipStream_tbENKUlT_T0_E_clISt17integral_constantIbLb0EES15_EEDaS10_S11_EUlS10_E_NS1_11comp_targetILNS1_3genE2ELNS1_11target_archE906ELNS1_3gpuE6ELNS1_3repE0EEENS1_30default_config_static_selectorELNS0_4arch9wavefront6targetE1EEEvT1_
	.p2align	8
	.type	_ZN7rocprim17ROCPRIM_400000_NS6detail17trampoline_kernelINS0_14default_configENS1_29reduce_by_key_config_selectorIN3c104HalfElN6thrust23THRUST_200600_302600_NS4plusIlEEEEZZNS1_33reduce_by_key_impl_wrapped_configILNS1_25lookback_scan_determinismE0ES3_SB_PS6_NS8_17constant_iteratorIiNS8_11use_defaultESG_EENS8_10device_ptrIS6_EENSI_IlEEPmSA_NS8_8equal_toIS6_EEEE10hipError_tPvRmT2_T3_mT4_T5_T6_T7_T8_P12ihipStream_tbENKUlT_T0_E_clISt17integral_constantIbLb0EES15_EEDaS10_S11_EUlS10_E_NS1_11comp_targetILNS1_3genE2ELNS1_11target_archE906ELNS1_3gpuE6ELNS1_3repE0EEENS1_30default_config_static_selectorELNS0_4arch9wavefront6targetE1EEEvT1_,@function
_ZN7rocprim17ROCPRIM_400000_NS6detail17trampoline_kernelINS0_14default_configENS1_29reduce_by_key_config_selectorIN3c104HalfElN6thrust23THRUST_200600_302600_NS4plusIlEEEEZZNS1_33reduce_by_key_impl_wrapped_configILNS1_25lookback_scan_determinismE0ES3_SB_PS6_NS8_17constant_iteratorIiNS8_11use_defaultESG_EENS8_10device_ptrIS6_EENSI_IlEEPmSA_NS8_8equal_toIS6_EEEE10hipError_tPvRmT2_T3_mT4_T5_T6_T7_T8_P12ihipStream_tbENKUlT_T0_E_clISt17integral_constantIbLb0EES15_EEDaS10_S11_EUlS10_E_NS1_11comp_targetILNS1_3genE2ELNS1_11target_archE906ELNS1_3gpuE6ELNS1_3repE0EEENS1_30default_config_static_selectorELNS0_4arch9wavefront6targetE1EEEvT1_: ; @_ZN7rocprim17ROCPRIM_400000_NS6detail17trampoline_kernelINS0_14default_configENS1_29reduce_by_key_config_selectorIN3c104HalfElN6thrust23THRUST_200600_302600_NS4plusIlEEEEZZNS1_33reduce_by_key_impl_wrapped_configILNS1_25lookback_scan_determinismE0ES3_SB_PS6_NS8_17constant_iteratorIiNS8_11use_defaultESG_EENS8_10device_ptrIS6_EENSI_IlEEPmSA_NS8_8equal_toIS6_EEEE10hipError_tPvRmT2_T3_mT4_T5_T6_T7_T8_P12ihipStream_tbENKUlT_T0_E_clISt17integral_constantIbLb0EES15_EEDaS10_S11_EUlS10_E_NS1_11comp_targetILNS1_3genE2ELNS1_11target_archE906ELNS1_3gpuE6ELNS1_3repE0EEENS1_30default_config_static_selectorELNS0_4arch9wavefront6targetE1EEEvT1_
; %bb.0:
	s_load_dwordx16 s[40:55], s[4:5], 0x40
	s_load_dwordx4 s[8:11], s[4:5], 0x0
	s_load_dword s12, s[4:5], 0x18
	s_load_dwordx4 s[56:59], s[4:5], 0x20
	s_load_dwordx2 s[38:39], s[4:5], 0x30
	s_add_u32 s0, s0, s7
	s_waitcnt lgkmcnt(0)
	s_mul_i32 s7, s48, s47
	s_mul_hi_u32 s13, s48, s46
	s_addc_u32 s1, s1, 0
	s_add_i32 s7, s13, s7
	s_mul_i32 s13, s49, s46
	s_add_i32 s7, s7, s13
	s_lshl_b64 s[10:11], s[10:11], 1
	s_add_u32 s10, s8, s10
	s_addc_u32 s11, s9, s11
	s_mul_i32 s8, s6, 0xf00
	s_mov_b32 s9, 0
	s_lshl_b64 s[8:9], s[8:9], 1
	s_add_u32 s62, s10, s8
	s_mul_i32 s13, s48, s46
	s_addc_u32 s63, s11, s9
	s_add_u32 s8, s13, s6
	s_addc_u32 s9, s7, 0
	s_add_u32 s16, s50, -1
	s_addc_u32 s17, s51, -1
	s_cmp_eq_u64 s[8:9], s[16:17]
	s_cselect_b64 s[48:49], -1, 0
	s_cmp_lg_u64 s[8:9], s[16:17]
	s_mov_b64 s[14:15], -1
	s_cselect_b64 s[10:11], -1, 0
	s_mul_i32 s33, s16, 0xfffff100
	s_and_b64 vcc, exec, s[48:49]
	s_cbranch_vccnz .LBB2202_2
; %bb.1:
	v_lshlrev_b32_e32 v4, 1, v0
	v_mov_b32_e32 v1, s63
	v_add_co_u32_e32 v2, vcc, s62, v4
	v_addc_co_u32_e32 v3, vcc, 0, v1, vcc
	v_add_co_u32_e32 v1, vcc, 0x1000, v2
	v_addc_co_u32_e32 v2, vcc, 0, v3, vcc
	global_load_ushort v5, v4, s[62:63]
	global_load_ushort v6, v4, s[62:63] offset:512
	global_load_ushort v7, v4, s[62:63] offset:1024
	;; [unrolled: 1-line block ×7, first 2 shown]
	global_load_ushort v13, v[1:2], off
	global_load_ushort v14, v[1:2], off offset:512
	global_load_ushort v15, v[1:2], off offset:1024
	;; [unrolled: 1-line block ×6, first 2 shown]
	v_mad_u32_u24 v20, v0, 28, v4
	s_ashr_i32 s13, s12, 31
	s_movk_i32 s7, 0xffea
	v_mov_b32_e32 v2, s12
	v_mul_u32_u24_e32 v1, 15, v0
	v_mov_b32_e32 v3, s13
	v_mad_i32_i24 v21, v0, s7, v20
	s_waitcnt vmcnt(14)
	ds_write_b16 v4, v5
	s_waitcnt vmcnt(13)
	ds_write_b16 v4, v6 offset:512
	s_waitcnt vmcnt(12)
	ds_write_b16 v4, v7 offset:1024
	;; [unrolled: 2-line block ×14, first 2 shown]
	s_waitcnt lgkmcnt(0)
	s_barrier
	ds_read_u16 v77, v20
	ds_read_b128 v[5:8], v20 offset:2
	ds_read_b96 v[33:35], v20 offset:18
	s_waitcnt lgkmcnt(0)
	s_barrier
	ds_write2st64_b64 v21, v[2:3], v[2:3] offset1:4
	ds_write2st64_b64 v21, v[2:3], v[2:3] offset0:8 offset1:12
	ds_write2st64_b64 v21, v[2:3], v[2:3] offset0:16 offset1:20
	;; [unrolled: 1-line block ×6, first 2 shown]
	ds_write_b64 v21, v[2:3] offset:28672
	s_waitcnt lgkmcnt(0)
	s_barrier
	s_load_dwordx2 s[60:61], s[4:5], 0x80
	s_add_i32 s33, s33, s52
	s_cbranch_execz .LBB2202_3
	s_branch .LBB2202_34
.LBB2202_2:
                                        ; implicit-def: $vgpr5
                                        ; implicit-def: $vgpr33
                                        ; implicit-def: $vgpr77
                                        ; implicit-def: $vgpr1
	s_load_dwordx2 s[60:61], s[4:5], 0x80
	s_andn2_b64 vcc, exec, s[14:15]
	s_add_i32 s33, s33, s52
	s_cbranch_vccnz .LBB2202_34
.LBB2202_3:
	v_cmp_gt_u32_e32 vcc, s33, v0
                                        ; implicit-def: $vgpr1
	s_and_saveexec_b64 s[4:5], vcc
	s_cbranch_execz .LBB2202_5
; %bb.4:
	v_lshlrev_b32_e32 v1, 1, v0
	global_load_ushort v1, v1, s[62:63]
.LBB2202_5:
	s_or_b64 exec, exec, s[4:5]
	v_or_b32_e32 v2, 0x100, v0
	v_cmp_gt_u32_e32 vcc, s33, v2
                                        ; implicit-def: $vgpr2
	s_and_saveexec_b64 s[4:5], vcc
	s_cbranch_execz .LBB2202_7
; %bb.6:
	v_lshlrev_b32_e32 v2, 1, v0
	global_load_ushort v2, v2, s[62:63] offset:512
.LBB2202_7:
	s_or_b64 exec, exec, s[4:5]
	v_or_b32_e32 v3, 0x200, v0
	v_cmp_gt_u32_e32 vcc, s33, v3
                                        ; implicit-def: $vgpr3
	s_and_saveexec_b64 s[4:5], vcc
	s_cbranch_execz .LBB2202_9
; %bb.8:
	v_lshlrev_b32_e32 v3, 1, v0
	global_load_ushort v3, v3, s[62:63] offset:1024
.LBB2202_9:
	s_or_b64 exec, exec, s[4:5]
	v_or_b32_e32 v4, 0x300, v0
	v_cmp_gt_u32_e32 vcc, s33, v4
                                        ; implicit-def: $vgpr4
	s_and_saveexec_b64 s[4:5], vcc
	s_cbranch_execz .LBB2202_11
; %bb.10:
	v_lshlrev_b32_e32 v4, 1, v0
	global_load_ushort v4, v4, s[62:63] offset:1536
.LBB2202_11:
	s_or_b64 exec, exec, s[4:5]
	v_or_b32_e32 v5, 0x400, v0
	v_cmp_gt_u32_e32 vcc, s33, v5
                                        ; implicit-def: $vgpr5
	s_and_saveexec_b64 s[4:5], vcc
	s_cbranch_execz .LBB2202_13
; %bb.12:
	v_lshlrev_b32_e32 v5, 1, v0
	global_load_ushort v5, v5, s[62:63] offset:2048
.LBB2202_13:
	s_or_b64 exec, exec, s[4:5]
	v_or_b32_e32 v6, 0x500, v0
	v_cmp_gt_u32_e32 vcc, s33, v6
                                        ; implicit-def: $vgpr6
	s_and_saveexec_b64 s[4:5], vcc
	s_cbranch_execz .LBB2202_15
; %bb.14:
	v_lshlrev_b32_e32 v6, 1, v0
	global_load_ushort v6, v6, s[62:63] offset:2560
.LBB2202_15:
	s_or_b64 exec, exec, s[4:5]
	v_or_b32_e32 v7, 0x600, v0
	v_cmp_gt_u32_e32 vcc, s33, v7
                                        ; implicit-def: $vgpr7
	s_and_saveexec_b64 s[4:5], vcc
	s_cbranch_execz .LBB2202_17
; %bb.16:
	v_lshlrev_b32_e32 v7, 1, v0
	global_load_ushort v7, v7, s[62:63] offset:3072
.LBB2202_17:
	s_or_b64 exec, exec, s[4:5]
	v_or_b32_e32 v8, 0x700, v0
	v_cmp_gt_u32_e32 vcc, s33, v8
                                        ; implicit-def: $vgpr8
	s_and_saveexec_b64 s[4:5], vcc
	s_cbranch_execz .LBB2202_19
; %bb.18:
	v_lshlrev_b32_e32 v8, 1, v0
	global_load_ushort v8, v8, s[62:63] offset:3584
.LBB2202_19:
	s_or_b64 exec, exec, s[4:5]
	v_or_b32_e32 v10, 0x800, v0
	v_cmp_gt_u32_e32 vcc, s33, v10
                                        ; implicit-def: $vgpr9
	s_and_saveexec_b64 s[4:5], vcc
	s_cbranch_execz .LBB2202_21
; %bb.20:
	v_lshlrev_b32_e32 v9, 1, v10
	global_load_ushort v9, v9, s[62:63]
.LBB2202_21:
	s_or_b64 exec, exec, s[4:5]
	v_or_b32_e32 v11, 0x900, v0
	v_cmp_gt_u32_e32 vcc, s33, v11
                                        ; implicit-def: $vgpr10
	s_and_saveexec_b64 s[4:5], vcc
	s_cbranch_execz .LBB2202_23
; %bb.22:
	v_lshlrev_b32_e32 v10, 1, v11
	global_load_ushort v10, v10, s[62:63]
.LBB2202_23:
	s_or_b64 exec, exec, s[4:5]
	v_or_b32_e32 v12, 0xa00, v0
	v_cmp_gt_u32_e32 vcc, s33, v12
                                        ; implicit-def: $vgpr11
	s_and_saveexec_b64 s[4:5], vcc
	s_cbranch_execz .LBB2202_25
; %bb.24:
	v_lshlrev_b32_e32 v11, 1, v12
	global_load_ushort v11, v11, s[62:63]
.LBB2202_25:
	s_or_b64 exec, exec, s[4:5]
	v_or_b32_e32 v13, 0xb00, v0
	v_cmp_gt_u32_e32 vcc, s33, v13
                                        ; implicit-def: $vgpr12
	s_and_saveexec_b64 s[4:5], vcc
	s_cbranch_execz .LBB2202_27
; %bb.26:
	v_lshlrev_b32_e32 v12, 1, v13
	global_load_ushort v12, v12, s[62:63]
.LBB2202_27:
	s_or_b64 exec, exec, s[4:5]
	v_or_b32_e32 v14, 0xc00, v0
	v_cmp_gt_u32_e32 vcc, s33, v14
                                        ; implicit-def: $vgpr13
	s_and_saveexec_b64 s[4:5], vcc
	s_cbranch_execz .LBB2202_29
; %bb.28:
	v_lshlrev_b32_e32 v13, 1, v14
	global_load_ushort v13, v13, s[62:63]
.LBB2202_29:
	s_or_b64 exec, exec, s[4:5]
	v_or_b32_e32 v15, 0xd00, v0
	v_cmp_gt_u32_e32 vcc, s33, v15
                                        ; implicit-def: $vgpr14
	s_and_saveexec_b64 s[4:5], vcc
	s_cbranch_execz .LBB2202_31
; %bb.30:
	v_lshlrev_b32_e32 v14, 1, v15
	global_load_ushort v14, v14, s[62:63]
.LBB2202_31:
	s_or_b64 exec, exec, s[4:5]
	v_or_b32_e32 v16, 0xe00, v0
	v_cmp_gt_u32_e32 vcc, s33, v16
                                        ; implicit-def: $vgpr15
	s_and_saveexec_b64 s[4:5], vcc
	s_cbranch_execz .LBB2202_33
; %bb.32:
	v_lshlrev_b32_e32 v15, 1, v16
	global_load_ushort v15, v15, s[62:63]
.LBB2202_33:
	s_or_b64 exec, exec, s[4:5]
	v_lshlrev_b32_e32 v16, 1, v0
	s_waitcnt vmcnt(0)
	ds_write_b16 v16, v1
	ds_write_b16 v16, v2 offset:512
	ds_write_b16 v16, v3 offset:1024
	;; [unrolled: 1-line block ×14, first 2 shown]
	v_mad_u32_u24 v2, v0, 28, v16
	s_waitcnt lgkmcnt(0)
	s_barrier
	ds_read_u16 v77, v2
	ds_read_b128 v[5:8], v2 offset:2
	ds_read_b96 v[33:35], v2 offset:18
	s_movk_i32 s4, 0xffea
	s_ashr_i32 s13, s12, 31
	v_mad_i32_i24 v4, v0, s4, v2
	v_mov_b32_e32 v2, s12
	v_mul_u32_u24_e32 v1, 15, v0
	v_mov_b32_e32 v3, s13
	s_waitcnt lgkmcnt(0)
	s_barrier
	ds_write2st64_b64 v4, v[2:3], v[2:3] offset1:4
	ds_write2st64_b64 v4, v[2:3], v[2:3] offset0:8 offset1:12
	ds_write2st64_b64 v4, v[2:3], v[2:3] offset0:16 offset1:20
	;; [unrolled: 1-line block ×6, first 2 shown]
	ds_write_b64 v4, v[2:3] offset:28672
	s_waitcnt lgkmcnt(0)
	s_barrier
.LBB2202_34:
	v_lshlrev_b32_e32 v29, 3, v1
	s_waitcnt lgkmcnt(0)
	ds_read_b64 v[70:71], v29 offset:112
	ds_read2_b64 v[1:4], v29 offset0:12 offset1:13
	ds_read2_b64 v[9:12], v29 offset0:10 offset1:11
	;; [unrolled: 1-line block ×6, first 2 shown]
	ds_read2_b64 v[29:32], v29 offset1:1
	s_cmp_eq_u64 s[8:9], 0
	s_cselect_b64 s[50:51], -1, 0
	s_cmp_lg_u64 s[8:9], 0
	s_mov_b64 s[64:65], 0
	s_cselect_b64 s[4:5], -1, 0
	v_lshrrev_b32_e32 v81, 16, v5
	v_lshrrev_b32_e32 v80, 16, v6
	;; [unrolled: 1-line block ×7, first 2 shown]
	s_and_b64 vcc, exec, s[10:11]
	s_waitcnt lgkmcnt(0)
	s_barrier
	s_cbranch_vccz .LBB2202_39
; %bb.35:
	s_and_b64 vcc, exec, s[4:5]
	s_cbranch_vccz .LBB2202_40
; %bb.36:
	v_mov_b32_e32 v36, 0
	global_load_ushort v36, v36, s[62:63] offset:-2
	v_cmp_neq_f16_e32 vcc, v35, v74
	v_cndmask_b32_e64 v38, 0, 1, vcc
	v_cmp_neq_f16_e32 vcc, v75, v35
	buffer_store_dword v38, off, s[0:3], 0 offset:56
	v_cndmask_b32_e64 v38, 0, 1, vcc
	v_cmp_neq_f16_e32 vcc, v34, v75
	buffer_store_dword v38, off, s[0:3], 0 offset:52
	;; [unrolled: 3-line block ×12, first 2 shown]
	v_cndmask_b32_e64 v38, 0, 1, vcc
	v_cmp_neq_f16_e32 vcc, v77, v5
	v_lshlrev_b32_e32 v37, 1, v0
	buffer_store_dword v38, off, s[0:3], 0 offset:8
	v_cndmask_b32_e64 v38, 0, 1, vcc
	v_cmp_ne_u32_e32 vcc, 0, v0
	ds_write_b16 v37, v74
	buffer_store_dword v38, off, s[0:3], 0 offset:4
	s_waitcnt vmcnt(0) lgkmcnt(0)
	s_barrier
	s_and_saveexec_b64 s[10:11], vcc
; %bb.37:
	v_add_u32_e32 v36, -2, v37
	ds_read_u16 v36, v36
; %bb.38:
	s_or_b64 exec, exec, s[10:11]
	s_waitcnt lgkmcnt(0)
	v_cmp_neq_f16_e64 s[10:11], v77, v36
	s_mov_b64 s[64:65], -1
	s_branch .LBB2202_44
.LBB2202_39:
                                        ; implicit-def: $sgpr10_sgpr11
	s_cbranch_execnz .LBB2202_45
	s_branch .LBB2202_53
.LBB2202_40:
                                        ; implicit-def: $sgpr10_sgpr11
	s_cbranch_execz .LBB2202_44
; %bb.41:
	v_cmp_neq_f16_e32 vcc, v35, v74
	v_cndmask_b32_e64 v38, 0, 1, vcc
	v_cmp_neq_f16_e32 vcc, v75, v35
	buffer_store_dword v38, off, s[0:3], 0 offset:56
	v_cndmask_b32_e64 v38, 0, 1, vcc
	v_cmp_neq_f16_e32 vcc, v34, v75
	buffer_store_dword v38, off, s[0:3], 0 offset:52
	;; [unrolled: 3-line block ×12, first 2 shown]
	v_cndmask_b32_e64 v38, 0, 1, vcc
	v_cmp_neq_f16_e32 vcc, v77, v5
	v_mov_b32_e32 v37, 1
	v_lshlrev_b32_e32 v36, 1, v0
	buffer_store_dword v38, off, s[0:3], 0 offset:8
	v_cndmask_b32_e64 v38, 0, 1, vcc
	v_cmp_ne_u32_e32 vcc, 0, v0
	ds_write_b16 v36, v74
	buffer_store_dword v38, off, s[0:3], 0 offset:4
	s_waitcnt vmcnt(0) lgkmcnt(0)
	s_barrier
	buffer_store_dword v37, off, s[0:3], 0
                                        ; implicit-def: $sgpr10_sgpr11
	s_and_saveexec_b64 s[12:13], vcc
	s_xor_b64 s[12:13], exec, s[12:13]
	s_cbranch_execz .LBB2202_43
; %bb.42:
	v_add_u32_e32 v36, -2, v36
	ds_read_u16 v36, v36
	s_or_b64 s[64:65], s[64:65], exec
	s_waitcnt lgkmcnt(0)
	v_cmp_neq_f16_e64 s[10:11], v36, v77
.LBB2202_43:
	s_or_b64 exec, exec, s[12:13]
.LBB2202_44:
	s_branch .LBB2202_53
.LBB2202_45:
	s_mul_i32 s7, s9, 0xfffff100
	s_mul_hi_u32 s9, s8, 0xfffff100
	s_sub_i32 s9, s9, s8
	s_add_i32 s9, s9, s7
	s_mul_i32 s7, s8, 0xfffff100
	s_add_u32 s52, s7, s52
	s_addc_u32 s53, s9, s53
	s_and_b64 vcc, exec, s[4:5]
	v_cmp_neq_f16_e64 s[34:35], v35, v74
	v_cmp_neq_f16_e64 s[30:31], v75, v35
	;; [unrolled: 1-line block ×14, first 2 shown]
	v_mad_u32_u24 v36, v0, 15, 14
	v_mad_u32_u24 v62, v0, 15, 13
	;; [unrolled: 1-line block ×14, first 2 shown]
	v_cmp_ne_u32_e64 s[8:9], 0, v0
	s_cbranch_vccz .LBB2202_49
; %bb.46:
	v_mov_b32_e32 v37, 0
	global_load_ushort v66, v37, s[62:63] offset:-2
	v_cmp_gt_u64_e32 vcc, s[52:53], v[36:37]
	v_mov_b32_e32 v63, v37
	s_and_b64 s[34:35], vcc, s[34:35]
	v_cmp_gt_u64_e32 vcc, s[52:53], v[62:63]
	v_mov_b32_e32 v61, v37
	s_and_b64 s[30:31], vcc, s[30:31]
	;; [unrolled: 3-line block ×6, first 2 shown]
	v_cmp_gt_u64_e32 vcc, s[52:53], v[52:53]
	v_mov_b32_e32 v51, v37
	v_cndmask_b32_e64 v39, 0, 1, s[34:35]
	s_and_b64 s[20:21], vcc, s[20:21]
	v_cmp_gt_u64_e32 vcc, s[52:53], v[50:51]
	buffer_store_dword v39, off, s[0:3], 0 offset:56
	v_cndmask_b32_e64 v39, 0, 1, s[30:31]
	v_mov_b32_e32 v49, v37
	buffer_store_dword v39, off, s[0:3], 0 offset:52
	v_cndmask_b32_e64 v39, 0, 1, s[28:29]
	s_and_b64 s[18:19], vcc, s[18:19]
	v_cmp_gt_u64_e32 vcc, s[52:53], v[48:49]
	buffer_store_dword v39, off, s[0:3], 0 offset:48
	v_cndmask_b32_e64 v39, 0, 1, s[26:27]
	v_mov_b32_e32 v47, v37
	buffer_store_dword v39, off, s[0:3], 0 offset:44
	;; [unrolled: 7-line block ×4, first 2 shown]
	v_cndmask_b32_e64 v39, 0, 1, s[16:17]
	s_and_b64 s[12:13], vcc, s[12:13]
	v_cmp_gt_u64_e32 vcc, s[52:53], v[42:43]
	buffer_store_dword v39, off, s[0:3], 0 offset:24
	v_cndmask_b32_e64 v39, 0, 1, s[14:15]
	buffer_store_dword v39, off, s[0:3], 0 offset:20
	v_cndmask_b32_e64 v39, 0, 1, s[12:13]
	s_and_b64 s[10:11], vcc, s[10:11]
	v_mov_b32_e32 v41, v37
	buffer_store_dword v39, off, s[0:3], 0 offset:16
	v_cndmask_b32_e64 v39, 0, 1, s[10:11]
	v_cmp_gt_u64_e32 vcc, s[52:53], v[40:41]
	buffer_store_dword v39, off, s[0:3], 0 offset:12
	v_mov_b32_e32 v39, v37
	s_and_b64 s[10:11], vcc, s[36:37]
	v_cmp_gt_u64_e32 vcc, s[52:53], v[38:39]
	v_lshlrev_b32_e32 v65, 1, v0
	s_and_b64 s[4:5], vcc, s[4:5]
	v_mul_u32_u24_e32 v64, 15, v0
	v_cndmask_b32_e64 v41, 0, 1, s[10:11]
	v_cndmask_b32_e64 v39, 0, 1, s[4:5]
	ds_write_b16 v65, v74
	buffer_store_dword v41, off, s[0:3], 0 offset:8
	buffer_store_dword v39, off, s[0:3], 0 offset:4
	s_waitcnt vmcnt(0) lgkmcnt(0)
	s_barrier
	s_and_saveexec_b64 s[4:5], s[8:9]
; %bb.47:
	v_add_u32_e32 v39, -2, v65
	ds_read_u16 v66, v39
; %bb.48:
	s_or_b64 exec, exec, s[4:5]
	v_mov_b32_e32 v65, v37
	v_cmp_gt_u64_e32 vcc, s[52:53], v[64:65]
	s_waitcnt lgkmcnt(0)
	v_cmp_neq_f16_e64 s[4:5], v77, v66
	s_and_b64 s[10:11], vcc, s[4:5]
	s_mov_b64 s[64:65], -1
	s_branch .LBB2202_53
.LBB2202_49:
                                        ; implicit-def: $sgpr10_sgpr11
	s_cbranch_execz .LBB2202_53
; %bb.50:
	v_mov_b32_e32 v37, 0
	v_cmp_gt_u64_e32 vcc, s[52:53], v[36:37]
	v_cmp_neq_f16_e64 s[4:5], v35, v74
	v_mov_b32_e32 v63, v37
	s_and_b64 s[4:5], vcc, s[4:5]
	v_cmp_gt_u64_e32 vcc, s[52:53], v[62:63]
	v_cndmask_b32_e64 v36, 0, 1, s[4:5]
	v_cmp_neq_f16_e64 s[4:5], v75, v35
	v_mov_b32_e32 v61, v37
	s_and_b64 s[4:5], vcc, s[4:5]
	v_cmp_gt_u64_e32 vcc, s[52:53], v[60:61]
	buffer_store_dword v36, off, s[0:3], 0 offset:56
	v_cndmask_b32_e64 v36, 0, 1, s[4:5]
	v_cmp_neq_f16_e64 s[4:5], v34, v75
	v_mov_b32_e32 v59, v37
	s_and_b64 s[4:5], vcc, s[4:5]
	v_cmp_gt_u64_e32 vcc, s[52:53], v[58:59]
	buffer_store_dword v36, off, s[0:3], 0 offset:52
	;; [unrolled: 6-line block ×12, first 2 shown]
	v_cndmask_b32_e64 v36, 0, 1, s[4:5]
	v_cmp_neq_f16_e64 s[4:5], v77, v5
	s_and_b64 s[4:5], vcc, s[4:5]
	v_mov_b32_e32 v65, 1
	v_lshlrev_b32_e32 v64, 1, v0
	buffer_store_dword v36, off, s[0:3], 0 offset:8
	v_cndmask_b32_e64 v36, 0, 1, s[4:5]
	v_cmp_ne_u32_e32 vcc, 0, v0
	ds_write_b16 v64, v74
	buffer_store_dword v36, off, s[0:3], 0 offset:4
	s_waitcnt vmcnt(0) lgkmcnt(0)
	s_barrier
	buffer_store_dword v65, off, s[0:3], 0
                                        ; implicit-def: $sgpr10_sgpr11
	s_and_saveexec_b64 s[8:9], vcc
	s_cbranch_execz .LBB2202_52
; %bb.51:
	v_add_u32_e32 v36, -2, v64
	ds_read_u16 v38, v36
	v_mul_u32_u24_e32 v36, 15, v0
	v_cmp_gt_u64_e32 vcc, s[52:53], v[36:37]
	s_or_b64 s[64:65], s[64:65], exec
	s_waitcnt lgkmcnt(0)
	v_cmp_neq_f16_e64 s[4:5], v38, v77
	s_and_b64 s[10:11], vcc, s[4:5]
.LBB2202_52:
	s_or_b64 exec, exec, s[8:9]
.LBB2202_53:
	v_mov_b32_e32 v82, 1
	s_and_saveexec_b64 s[4:5], s[64:65]
	s_cbranch_execz .LBB2202_55
; %bb.54:
	v_cndmask_b32_e64 v82, 0, 1, s[10:11]
	buffer_store_dword v82, off, s[0:3], 0
.LBB2202_55:
	s_or_b64 exec, exec, s[4:5]
	buffer_load_dword v95, off, s[0:3], 0 offset:4
	buffer_load_dword v94, off, s[0:3], 0 offset:8
	;; [unrolled: 1-line block ×14, first 2 shown]
	s_cmp_eq_u64 s[46:47], 0
	s_cselect_b64 s[46:47], -1, 0
	s_cmp_lg_u32 s6, 0
	v_mbcnt_lo_u32_b32 v97, -1, 0
	s_waitcnt vmcnt(13)
	v_cmp_eq_u32_e64 s[28:29], 0, v95
	s_waitcnt vmcnt(12)
	v_add3_u32 v36, v95, v82, v94
	v_cmp_eq_u32_e64 s[26:27], 0, v94
	s_waitcnt vmcnt(11)
	v_cmp_eq_u32_e64 s[24:25], 0, v93
	s_waitcnt vmcnt(10)
	;; [unrolled: 2-line block ×12, first 2 shown]
	v_cmp_eq_u32_e32 vcc, 0, v96
	v_add3_u32 v98, v36, v93, v83
	s_cbranch_scc0 .LBB2202_117
; %bb.56:
	v_cndmask_b32_e64 v37, 0, v29, s[28:29]
	v_cndmask_b32_e64 v36, 0, v30, s[28:29]
	v_add_co_u32_e64 v37, s[30:31], v37, v31
	v_addc_co_u32_e64 v36, s[30:31], v36, v32, s[30:31]
	v_cndmask_b32_e64 v37, 0, v37, s[26:27]
	v_cndmask_b32_e64 v36, 0, v36, s[26:27]
	v_add_co_u32_e64 v37, s[30:31], v37, v25
	v_addc_co_u32_e64 v36, s[30:31], v36, v26, s[30:31]
	;; [unrolled: 4-line block ×11, first 2 shown]
	v_cndmask_b32_e64 v37, 0, v37, s[34:35]
	v_add3_u32 v38, v98, v84, v85
	v_cndmask_b32_e64 v36, 0, v36, s[34:35]
	v_add_co_u32_e64 v37, s[30:31], v37, v1
	v_add3_u32 v38, v38, v86, v87
	v_addc_co_u32_e64 v36, s[30:31], v36, v2, s[30:31]
	v_cndmask_b32_e64 v37, 0, v37, s[4:5]
	v_add3_u32 v38, v38, v88, v89
	v_cndmask_b32_e64 v36, 0, v36, s[4:5]
	v_add_co_u32_e64 v37, s[30:31], v37, v3
	v_add3_u32 v38, v38, v90, v91
	v_addc_co_u32_e64 v36, s[30:31], v36, v4, s[30:31]
	v_cndmask_b32_e32 v37, 0, v37, vcc
	v_add3_u32 v40, v38, v92, v96
	v_cndmask_b32_e32 v36, 0, v36, vcc
	v_add_co_u32_e32 v38, vcc, v37, v70
	v_mbcnt_hi_u32_b32 v45, -1, v97
	v_addc_co_u32_e32 v39, vcc, v36, v71, vcc
	v_and_b32_e32 v36, 15, v45
	v_mov_b32_dpp v41, v40 row_shr:1 row_mask:0xf bank_mask:0xf
	v_mov_b32_dpp v37, v38 row_shr:1 row_mask:0xf bank_mask:0xf
	;; [unrolled: 1-line block ×3, first 2 shown]
	v_cmp_ne_u32_e32 vcc, 0, v36
	s_and_saveexec_b64 s[30:31], vcc
; %bb.57:
	v_cmp_eq_u32_e32 vcc, 0, v40
	v_cndmask_b32_e32 v37, 0, v37, vcc
	v_add_u32_e32 v41, v41, v40
	v_cndmask_b32_e32 v40, 0, v42, vcc
	v_add_co_u32_e32 v38, vcc, v37, v38
	v_addc_co_u32_e32 v39, vcc, v40, v39, vcc
	v_mov_b32_e32 v40, v41
; %bb.58:
	s_or_b64 exec, exec, s[30:31]
	s_nop 0
	v_mov_b32_dpp v41, v40 row_shr:2 row_mask:0xf bank_mask:0xf
	v_mov_b32_dpp v37, v38 row_shr:2 row_mask:0xf bank_mask:0xf
	v_mov_b32_dpp v42, v39 row_shr:2 row_mask:0xf bank_mask:0xf
	v_cmp_lt_u32_e32 vcc, 1, v36
	s_and_saveexec_b64 s[30:31], vcc
; %bb.59:
	v_cmp_eq_u32_e32 vcc, 0, v40
	v_cndmask_b32_e32 v37, 0, v37, vcc
	v_add_u32_e32 v41, v41, v40
	v_cndmask_b32_e32 v40, 0, v42, vcc
	v_add_co_u32_e32 v38, vcc, v37, v38
	v_addc_co_u32_e32 v39, vcc, v40, v39, vcc
	v_mov_b32_e32 v40, v41
; %bb.60:
	s_or_b64 exec, exec, s[30:31]
	s_nop 0
	v_mov_b32_dpp v41, v40 row_shr:4 row_mask:0xf bank_mask:0xf
	v_mov_b32_dpp v37, v38 row_shr:4 row_mask:0xf bank_mask:0xf
	v_mov_b32_dpp v42, v39 row_shr:4 row_mask:0xf bank_mask:0xf
	v_cmp_lt_u32_e32 vcc, 3, v36
	;; [unrolled: 16-line block ×3, first 2 shown]
	s_and_saveexec_b64 s[30:31], vcc
; %bb.63:
	v_cmp_eq_u32_e32 vcc, 0, v40
	v_cndmask_b32_e32 v37, 0, v37, vcc
	v_add_u32_e32 v36, v41, v40
	v_cndmask_b32_e32 v40, 0, v42, vcc
	v_add_co_u32_e32 v38, vcc, v37, v38
	v_addc_co_u32_e32 v39, vcc, v40, v39, vcc
	v_mov_b32_e32 v40, v36
; %bb.64:
	s_or_b64 exec, exec, s[30:31]
	v_and_b32_e32 v42, 16, v45
	v_mov_b32_dpp v37, v40 row_bcast:15 row_mask:0xf bank_mask:0xf
	v_mov_b32_dpp v36, v38 row_bcast:15 row_mask:0xf bank_mask:0xf
	;; [unrolled: 1-line block ×3, first 2 shown]
	v_cmp_ne_u32_e32 vcc, 0, v42
	s_and_saveexec_b64 s[30:31], vcc
; %bb.65:
	v_cmp_eq_u32_e32 vcc, 0, v40
	v_cndmask_b32_e32 v36, 0, v36, vcc
	v_add_u32_e32 v37, v37, v40
	v_cndmask_b32_e32 v40, 0, v41, vcc
	v_add_co_u32_e32 v38, vcc, v36, v38
	v_addc_co_u32_e32 v39, vcc, v40, v39, vcc
	v_mov_b32_e32 v40, v37
; %bb.66:
	s_or_b64 exec, exec, s[30:31]
	s_nop 0
	v_mov_b32_dpp v37, v40 row_bcast:31 row_mask:0xf bank_mask:0xf
	v_mov_b32_dpp v36, v38 row_bcast:31 row_mask:0xf bank_mask:0xf
	;; [unrolled: 1-line block ×3, first 2 shown]
	v_cmp_lt_u32_e32 vcc, 31, v45
	s_and_saveexec_b64 s[30:31], vcc
; %bb.67:
	v_cmp_eq_u32_e32 vcc, 0, v40
	v_cndmask_b32_e32 v36, 0, v36, vcc
	v_add_u32_e32 v37, v37, v40
	v_cndmask_b32_e32 v40, 0, v41, vcc
	v_add_co_u32_e32 v38, vcc, v36, v38
	v_addc_co_u32_e32 v39, vcc, v40, v39, vcc
	v_mov_b32_e32 v40, v37
; %bb.68:
	s_or_b64 exec, exec, s[30:31]
	v_lshrrev_b32_e32 v36, 6, v0
	v_or_b32_e32 v37, 63, v0
	v_cmp_eq_u32_e32 vcc, v0, v37
	v_lshlrev_b32_e32 v41, 4, v36
	s_and_saveexec_b64 s[30:31], vcc
	s_cbranch_execz .LBB2202_70
; %bb.69:
	ds_write_b32 v41, v40 offset:1056
	ds_write_b64 v41, v[38:39] offset:1064
.LBB2202_70:
	s_or_b64 exec, exec, s[30:31]
	v_cmp_gt_u32_e32 vcc, 4, v0
	s_waitcnt lgkmcnt(0)
	s_barrier
	s_and_saveexec_b64 s[30:31], vcc
	s_cbranch_execz .LBB2202_76
; %bb.71:
	v_lshlrev_b32_e32 v42, 4, v0
	ds_read_b32 v43, v42 offset:1056
	ds_read_b64 v[36:37], v42 offset:1064
	v_and_b32_e32 v44, 3, v45
	v_cmp_ne_u32_e32 vcc, 0, v44
	s_waitcnt lgkmcnt(1)
	v_mov_b32_dpp v47, v43 row_shr:1 row_mask:0xf bank_mask:0xf
	s_waitcnt lgkmcnt(0)
	v_mov_b32_dpp v46, v36 row_shr:1 row_mask:0xf bank_mask:0xf
	v_mov_b32_dpp v48, v37 row_shr:1 row_mask:0xf bank_mask:0xf
	s_and_saveexec_b64 s[36:37], vcc
; %bb.72:
	v_cmp_eq_u32_e32 vcc, 0, v43
	v_cndmask_b32_e32 v46, 0, v46, vcc
	v_add_u32_e32 v47, v47, v43
	v_cndmask_b32_e32 v43, 0, v48, vcc
	v_add_co_u32_e32 v36, vcc, v46, v36
	v_addc_co_u32_e32 v37, vcc, v43, v37, vcc
	v_mov_b32_e32 v43, v47
; %bb.73:
	s_or_b64 exec, exec, s[36:37]
	s_nop 0
	v_mov_b32_dpp v47, v43 row_shr:2 row_mask:0xf bank_mask:0xf
	v_mov_b32_dpp v46, v36 row_shr:2 row_mask:0xf bank_mask:0xf
	;; [unrolled: 1-line block ×3, first 2 shown]
	v_cmp_lt_u32_e32 vcc, 1, v44
	s_and_saveexec_b64 s[36:37], vcc
; %bb.74:
	v_cmp_eq_u32_e32 vcc, 0, v43
	v_cndmask_b32_e32 v46, 0, v46, vcc
	v_add_u32_e32 v44, v47, v43
	v_cndmask_b32_e32 v43, 0, v48, vcc
	v_add_co_u32_e32 v36, vcc, v46, v36
	v_addc_co_u32_e32 v37, vcc, v43, v37, vcc
	v_mov_b32_e32 v43, v44
; %bb.75:
	s_or_b64 exec, exec, s[36:37]
	ds_write_b32 v42, v43 offset:1056
	ds_write_b64 v42, v[36:37] offset:1064
.LBB2202_76:
	s_or_b64 exec, exec, s[30:31]
	v_mov_b32_e32 v36, 0
	v_cmp_gt_u32_e32 vcc, 64, v0
	v_cmp_lt_u32_e64 s[30:31], 63, v0
	v_mov_b32_e32 v37, 0
	v_mov_b32_e32 v48, 0
	s_waitcnt lgkmcnt(0)
	s_barrier
	s_and_saveexec_b64 s[36:37], s[30:31]
	s_cbranch_execz .LBB2202_78
; %bb.77:
	ds_read_b32 v48, v41 offset:1040
	ds_read_b64 v[36:37], v41 offset:1048
	v_cmp_eq_u32_e64 s[30:31], 0, v40
	s_waitcnt lgkmcnt(1)
	v_add_u32_e32 v41, v48, v40
	s_waitcnt lgkmcnt(0)
	v_cndmask_b32_e64 v42, 0, v36, s[30:31]
	v_cndmask_b32_e64 v40, 0, v37, s[30:31]
	v_add_co_u32_e64 v38, s[30:31], v42, v38
	v_addc_co_u32_e64 v39, s[30:31], v40, v39, s[30:31]
	v_mov_b32_e32 v40, v41
.LBB2202_78:
	s_or_b64 exec, exec, s[36:37]
	v_subrev_co_u32_e64 v41, s[30:31], 1, v45
	v_and_b32_e32 v42, 64, v45
	v_cmp_lt_i32_e64 s[36:37], v41, v42
	v_cndmask_b32_e64 v41, v41, v45, s[36:37]
	v_lshlrev_b32_e32 v41, 2, v41
	ds_bpermute_b32 v49, v41, v40
	ds_bpermute_b32 v50, v41, v38
	;; [unrolled: 1-line block ×3, first 2 shown]
	s_and_saveexec_b64 s[52:53], vcc
	s_cbranch_execz .LBB2202_122
; %bb.79:
	v_mov_b32_e32 v42, 0
	ds_read_b32 v52, v42 offset:1104
	ds_read_b64 v[38:39], v42 offset:1112
	s_and_saveexec_b64 s[36:37], s[30:31]
	s_cbranch_execz .LBB2202_81
; %bb.80:
	s_add_i32 s62, s6, 64
	s_mov_b32 s63, 0
	s_lshl_b64 s[64:65], s[62:63], 4
	s_add_u32 s64, s40, s64
	s_addc_u32 s65, s41, s65
	v_mov_b32_e32 v40, 1
	v_mov_b32_e32 v41, s62
	s_waitcnt lgkmcnt(1)
	global_store_dword v42, v52, s[64:65]
	s_waitcnt lgkmcnt(0)
	global_store_dwordx2 v42, v[38:39], s[64:65] offset:8
	s_waitcnt vmcnt(0)
	buffer_wbinvl1_vol
	global_store_byte v41, v40, s[44:45]
.LBB2202_81:
	s_or_b64 exec, exec, s[36:37]
	v_xad_u32 v40, v45, -1, s6
	v_add_u32_e32 v41, 64, v40
	global_load_ubyte v53, v41, s[44:45] glc
	s_waitcnt vmcnt(0)
	v_cmp_eq_u16_e32 vcc, 0, v53
	s_and_saveexec_b64 s[36:37], vcc
	s_cbranch_execz .LBB2202_85
; %bb.82:
	v_mov_b32_e32 v44, s45
	v_add_co_u32_e32 v43, vcc, s44, v41
	v_addc_co_u32_e32 v44, vcc, 0, v44, vcc
	s_mov_b64 s[62:63], 0
.LBB2202_83:                            ; =>This Inner Loop Header: Depth=1
	global_load_ubyte v53, v[43:44], off glc
	s_waitcnt vmcnt(0)
	v_cmp_ne_u16_e32 vcc, 0, v53
	s_or_b64 s[62:63], vcc, s[62:63]
	s_andn2_b64 exec, exec, s[62:63]
	s_cbranch_execnz .LBB2202_83
; %bb.84:
	s_or_b64 exec, exec, s[62:63]
.LBB2202_85:
	s_or_b64 exec, exec, s[36:37]
	v_mov_b32_e32 v43, s43
	v_mov_b32_e32 v44, s41
	v_cmp_eq_u16_e32 vcc, 1, v53
	v_cndmask_b32_e32 v43, v43, v44, vcc
	v_mov_b32_e32 v44, s42
	v_mov_b32_e32 v46, s40
	v_lshlrev_b64 v[41:42], 4, v[41:42]
	v_cndmask_b32_e32 v44, v44, v46, vcc
	v_add_co_u32_e32 v41, vcc, v44, v41
	v_addc_co_u32_e32 v42, vcc, v43, v42, vcc
	s_waitcnt lgkmcnt(0)
	buffer_wbinvl1_vol
	global_load_dword v68, v[41:42], off
	global_load_dwordx2 v[46:47], v[41:42], off offset:8
	v_and_b32_e32 v54, 63, v45
	v_lshlrev_b64 v[42:43], v45, -1
	v_cmp_ne_u32_e64 s[36:37], 63, v54
	v_cmp_eq_u16_e32 vcc, 2, v53
	v_addc_co_u32_e64 v41, s[36:37], 0, v45, s[36:37]
	v_and_b32_e32 v44, vcc_hi, v43
	v_lshlrev_b32_e32 v55, 2, v41
	v_or_b32_e32 v41, 0x80000000, v44
	v_and_b32_e32 v58, vcc_lo, v42
	v_ffbl_b32_e32 v41, v41
	v_add_u32_e32 v41, 32, v41
	v_ffbl_b32_e32 v58, v58
	v_min_u32_e32 v41, v58, v41
	v_cmp_lt_u32_e32 vcc, v54, v41
	s_waitcnt vmcnt(1)
	ds_bpermute_b32 v56, v55, v68
	s_waitcnt vmcnt(0)
	ds_bpermute_b32 v44, v55, v46
	ds_bpermute_b32 v57, v55, v47
	s_and_saveexec_b64 s[36:37], vcc
	s_cbranch_execz .LBB2202_87
; %bb.86:
	v_cmp_eq_u32_e32 vcc, 0, v68
	s_waitcnt lgkmcnt(1)
	v_cndmask_b32_e32 v44, 0, v44, vcc
	v_add_u32_e32 v56, v56, v68
	s_waitcnt lgkmcnt(0)
	v_cndmask_b32_e32 v57, 0, v57, vcc
	v_add_co_u32_e32 v46, vcc, v44, v46
	v_addc_co_u32_e32 v47, vcc, v57, v47, vcc
	v_mov_b32_e32 v68, v56
.LBB2202_87:
	s_or_b64 exec, exec, s[36:37]
	v_cmp_gt_u32_e32 vcc, 62, v54
	s_waitcnt lgkmcnt(1)
	v_cndmask_b32_e64 v44, 0, 2, vcc
	v_add_lshl_u32 v56, v44, v45, 2
	ds_bpermute_b32 v58, v56, v68
	ds_bpermute_b32 v44, v56, v46
	ds_bpermute_b32 v59, v56, v47
	s_waitcnt lgkmcnt(3)
	v_add_u32_e32 v57, 2, v54
	v_cmp_le_u32_e32 vcc, v57, v41
	s_and_saveexec_b64 s[36:37], vcc
	s_cbranch_execz .LBB2202_89
; %bb.88:
	v_cmp_eq_u32_e32 vcc, 0, v68
	s_waitcnt lgkmcnt(1)
	v_cndmask_b32_e32 v44, 0, v44, vcc
	v_add_u32_e32 v58, v58, v68
	s_waitcnt lgkmcnt(0)
	v_cndmask_b32_e32 v59, 0, v59, vcc
	v_add_co_u32_e32 v46, vcc, v44, v46
	v_addc_co_u32_e32 v47, vcc, v59, v47, vcc
	v_mov_b32_e32 v68, v58
.LBB2202_89:
	s_or_b64 exec, exec, s[36:37]
	v_cmp_gt_u32_e32 vcc, 60, v54
	s_waitcnt lgkmcnt(1)
	v_cndmask_b32_e64 v44, 0, 4, vcc
	v_add_lshl_u32 v58, v44, v45, 2
	ds_bpermute_b32 v60, v58, v68
	ds_bpermute_b32 v44, v58, v46
	ds_bpermute_b32 v61, v58, v47
	s_waitcnt lgkmcnt(3)
	v_add_u32_e32 v59, 4, v54
	v_cmp_le_u32_e32 vcc, v59, v41
	;; [unrolled: 24-line block ×4, first 2 shown]
	s_and_saveexec_b64 s[36:37], vcc
	s_cbranch_execz .LBB2202_95
; %bb.94:
	v_cmp_eq_u32_e32 vcc, 0, v68
	s_waitcnt lgkmcnt(1)
	v_cndmask_b32_e32 v44, 0, v44, vcc
	v_add_u32_e32 v64, v64, v68
	s_waitcnt lgkmcnt(0)
	v_cndmask_b32_e32 v65, 0, v65, vcc
	v_add_co_u32_e32 v46, vcc, v44, v46
	v_addc_co_u32_e32 v47, vcc, v65, v47, vcc
	v_mov_b32_e32 v68, v64
.LBB2202_95:
	s_or_b64 exec, exec, s[36:37]
	s_waitcnt lgkmcnt(1)
	v_mov_b32_e32 v44, 0x80
	s_waitcnt lgkmcnt(0)
	v_lshl_or_b32 v65, v45, 2, v44
	ds_bpermute_b32 v45, v65, v68
	ds_bpermute_b32 v44, v65, v46
	ds_bpermute_b32 v64, v65, v47
	v_add_u32_e32 v66, 32, v54
	v_cmp_le_u32_e32 vcc, v66, v41
	s_and_saveexec_b64 s[36:37], vcc
	s_cbranch_execz .LBB2202_97
; %bb.96:
	v_cmp_eq_u32_e32 vcc, 0, v68
	s_waitcnt lgkmcnt(1)
	v_cndmask_b32_e32 v44, 0, v44, vcc
	v_add_u32_e32 v41, v45, v68
	s_waitcnt lgkmcnt(0)
	v_cndmask_b32_e32 v45, 0, v64, vcc
	v_add_co_u32_e32 v46, vcc, v44, v46
	v_addc_co_u32_e32 v47, vcc, v45, v47, vcc
	v_mov_b32_e32 v68, v41
.LBB2202_97:
	s_or_b64 exec, exec, s[36:37]
	v_mov_b32_e32 v41, 0
	v_mov_b32_e32 v67, 2
	s_branch .LBB2202_100
.LBB2202_98:                            ;   in Loop: Header=BB2202_100 Depth=1
	s_or_b64 exec, exec, s[36:37]
	v_cmp_eq_u32_e32 vcc, 0, v64
	v_cndmask_b32_e32 v46, 0, v46, vcc
	v_cndmask_b32_e32 v47, 0, v47, vcc
	v_add_co_u32_e32 v46, vcc, v46, v44
	v_subrev_u32_e32 v40, 64, v40
	v_add_u32_e32 v68, v69, v64
	v_addc_co_u32_e32 v47, vcc, v47, v45, vcc
	s_mov_b64 s[36:37], 0
.LBB2202_99:                            ;   in Loop: Header=BB2202_100 Depth=1
	s_and_b64 vcc, exec, s[36:37]
	s_cbranch_vccnz .LBB2202_118
.LBB2202_100:                           ; =>This Loop Header: Depth=1
                                        ;     Child Loop BB2202_103 Depth 2
	s_waitcnt lgkmcnt(1)
	v_mov_b32_e32 v44, v46
	v_cmp_ne_u16_sdwa s[36:37], v53, v67 src0_sel:BYTE_0 src1_sel:DWORD
	v_mov_b32_e32 v45, v47
	s_waitcnt lgkmcnt(0)
	v_mov_b32_e32 v64, v68
	s_cmp_lg_u64 s[36:37], exec
	s_mov_b64 s[36:37], -1
                                        ; implicit-def: $vgpr46_vgpr47
                                        ; implicit-def: $vgpr68
                                        ; implicit-def: $vgpr53
	s_cbranch_scc1 .LBB2202_99
; %bb.101:                              ;   in Loop: Header=BB2202_100 Depth=1
	global_load_ubyte v53, v40, s[44:45] glc
	s_waitcnt vmcnt(0)
	v_cmp_eq_u16_e32 vcc, 0, v53
	s_and_saveexec_b64 s[36:37], vcc
	s_cbranch_execz .LBB2202_105
; %bb.102:                              ;   in Loop: Header=BB2202_100 Depth=1
	v_mov_b32_e32 v47, s45
	v_add_co_u32_e32 v46, vcc, s44, v40
	v_addc_co_u32_e32 v47, vcc, 0, v47, vcc
	s_mov_b64 s[62:63], 0
.LBB2202_103:                           ;   Parent Loop BB2202_100 Depth=1
                                        ; =>  This Inner Loop Header: Depth=2
	global_load_ubyte v53, v[46:47], off glc
	s_waitcnt vmcnt(0)
	v_cmp_ne_u16_e32 vcc, 0, v53
	s_or_b64 s[62:63], vcc, s[62:63]
	s_andn2_b64 exec, exec, s[62:63]
	s_cbranch_execnz .LBB2202_103
; %bb.104:                              ;   in Loop: Header=BB2202_100 Depth=1
	s_or_b64 exec, exec, s[62:63]
.LBB2202_105:                           ;   in Loop: Header=BB2202_100 Depth=1
	s_or_b64 exec, exec, s[36:37]
	v_mov_b32_e32 v46, s43
	v_mov_b32_e32 v47, s41
	v_cmp_eq_u16_e32 vcc, 1, v53
	v_cndmask_b32_e32 v68, v46, v47, vcc
	v_mov_b32_e32 v46, s42
	v_mov_b32_e32 v47, s40
	v_cndmask_b32_e32 v69, v46, v47, vcc
	v_lshlrev_b64 v[46:47], 4, v[40:41]
	buffer_wbinvl1_vol
	v_add_co_u32_e32 v46, vcc, v69, v46
	v_addc_co_u32_e32 v47, vcc, v68, v47, vcc
	global_load_dword v69, v[46:47], off
	s_nop 0
	global_load_dwordx2 v[46:47], v[46:47], off offset:8
	v_cmp_eq_u16_e32 vcc, 2, v53
	v_and_b32_e32 v68, vcc_hi, v43
	v_or_b32_e32 v68, 0x80000000, v68
	v_and_b32_e32 v100, vcc_lo, v42
	v_ffbl_b32_e32 v68, v68
	v_add_u32_e32 v68, 32, v68
	v_ffbl_b32_e32 v100, v100
	v_min_u32_e32 v68, v100, v68
	v_cmp_lt_u32_e32 vcc, v54, v68
	s_waitcnt vmcnt(1)
	ds_bpermute_b32 v73, v55, v69
	s_waitcnt vmcnt(0)
	ds_bpermute_b32 v72, v55, v46
	ds_bpermute_b32 v99, v55, v47
	s_and_saveexec_b64 s[36:37], vcc
	s_cbranch_execz .LBB2202_107
; %bb.106:                              ;   in Loop: Header=BB2202_100 Depth=1
	v_cmp_eq_u32_e32 vcc, 0, v69
	s_waitcnt lgkmcnt(1)
	v_cndmask_b32_e32 v72, 0, v72, vcc
	v_add_u32_e32 v73, v73, v69
	s_waitcnt lgkmcnt(0)
	v_cndmask_b32_e32 v69, 0, v99, vcc
	v_add_co_u32_e32 v46, vcc, v72, v46
	v_addc_co_u32_e32 v47, vcc, v69, v47, vcc
	v_mov_b32_e32 v69, v73
.LBB2202_107:                           ;   in Loop: Header=BB2202_100 Depth=1
	s_or_b64 exec, exec, s[36:37]
	s_waitcnt lgkmcnt(2)
	ds_bpermute_b32 v73, v56, v69
	s_waitcnt lgkmcnt(2)
	ds_bpermute_b32 v72, v56, v46
	s_waitcnt lgkmcnt(2)
	ds_bpermute_b32 v99, v56, v47
	v_cmp_le_u32_e32 vcc, v57, v68
	s_and_saveexec_b64 s[36:37], vcc
	s_cbranch_execz .LBB2202_109
; %bb.108:                              ;   in Loop: Header=BB2202_100 Depth=1
	v_cmp_eq_u32_e32 vcc, 0, v69
	s_waitcnt lgkmcnt(1)
	v_cndmask_b32_e32 v72, 0, v72, vcc
	v_add_u32_e32 v73, v73, v69
	s_waitcnt lgkmcnt(0)
	v_cndmask_b32_e32 v69, 0, v99, vcc
	v_add_co_u32_e32 v46, vcc, v72, v46
	v_addc_co_u32_e32 v47, vcc, v69, v47, vcc
	v_mov_b32_e32 v69, v73
.LBB2202_109:                           ;   in Loop: Header=BB2202_100 Depth=1
	s_or_b64 exec, exec, s[36:37]
	s_waitcnt lgkmcnt(2)
	ds_bpermute_b32 v73, v58, v69
	s_waitcnt lgkmcnt(2)
	ds_bpermute_b32 v72, v58, v46
	s_waitcnt lgkmcnt(2)
	ds_bpermute_b32 v99, v58, v47
	v_cmp_le_u32_e32 vcc, v59, v68
	;; [unrolled: 21-line block ×5, first 2 shown]
	s_and_saveexec_b64 s[36:37], vcc
	s_cbranch_execz .LBB2202_98
; %bb.116:                              ;   in Loop: Header=BB2202_100 Depth=1
	v_cmp_eq_u32_e32 vcc, 0, v69
	s_waitcnt lgkmcnt(1)
	v_cndmask_b32_e32 v72, 0, v72, vcc
	v_add_u32_e32 v68, v73, v69
	s_waitcnt lgkmcnt(0)
	v_cndmask_b32_e32 v69, 0, v99, vcc
	v_add_co_u32_e32 v46, vcc, v72, v46
	v_addc_co_u32_e32 v47, vcc, v69, v47, vcc
	v_mov_b32_e32 v69, v68
	s_branch .LBB2202_98
.LBB2202_117:
                                        ; implicit-def: $vgpr36
                                        ; implicit-def: $vgpr38_vgpr39
                                        ; implicit-def: $vgpr40
                                        ; implicit-def: $vgpr66_vgpr67
                                        ; implicit-def: $vgpr42_vgpr43
                                        ; implicit-def: $vgpr44_vgpr45
                                        ; implicit-def: $vgpr46_vgpr47
                                        ; implicit-def: $vgpr48_vgpr49
                                        ; implicit-def: $vgpr50_vgpr51
                                        ; implicit-def: $vgpr52_vgpr53
                                        ; implicit-def: $vgpr54_vgpr55
                                        ; implicit-def: $vgpr56_vgpr57
                                        ; implicit-def: $vgpr58_vgpr59
                                        ; implicit-def: $vgpr60_vgpr61
                                        ; implicit-def: $vgpr62_vgpr63
                                        ; implicit-def: $vgpr64_vgpr65
                                        ; implicit-def: $vgpr68_vgpr69
                                        ; implicit-def: $vgpr72_vgpr73
                                        ; implicit-def: $vgpr37
	s_cbranch_execnz .LBB2202_123
	s_branch .LBB2202_150
.LBB2202_118:
	s_and_saveexec_b64 s[36:37], s[30:31]
	s_cbranch_execz .LBB2202_120
; %bb.119:
	s_mov_b32 s7, 0
	v_cmp_eq_u32_e32 vcc, 0, v52
	s_add_i32 s6, s6, 64
	v_cndmask_b32_e32 v40, 0, v44, vcc
	s_lshl_b64 s[40:41], s[6:7], 4
	v_cndmask_b32_e32 v41, 0, v45, vcc
	v_add_co_u32_e32 v40, vcc, v40, v38
	s_add_u32 s40, s42, s40
	v_add_u32_e32 v42, v64, v52
	v_addc_co_u32_e32 v41, vcc, v41, v39, vcc
	s_addc_u32 s41, s43, s41
	v_mov_b32_e32 v43, 0
	global_store_dword v43, v42, s[40:41]
	global_store_dwordx2 v43, v[40:41], s[40:41] offset:8
	v_mov_b32_e32 v40, 2
	v_mov_b32_e32 v41, s6
	s_waitcnt vmcnt(0) lgkmcnt(0)
	buffer_wbinvl1_vol
	global_store_byte v41, v40, s[44:45]
	ds_write_b32 v43, v52 offset:1024
	ds_write_b64 v43, v[38:39] offset:1032
	ds_write_b32 v43, v64 offset:1040
	ds_write_b64 v43, v[44:45] offset:1048
.LBB2202_120:
	s_or_b64 exec, exec, s[36:37]
	v_cmp_eq_u32_e32 vcc, 0, v0
	s_and_b64 exec, exec, vcc
	s_cbranch_execz .LBB2202_122
; %bb.121:
	v_mov_b32_e32 v38, 0
	ds_write_b32 v38, v64 offset:1104
	ds_write_b64 v38, v[44:45] offset:1112
.LBB2202_122:
	s_or_b64 exec, exec, s[52:53]
	v_mov_b32_e32 v41, 0
	s_waitcnt vmcnt(0) lgkmcnt(0)
	s_barrier
	ds_read_b32 v40, v41 offset:1104
	ds_read_b64 v[38:39], v41 offset:1112
	v_cndmask_b32_e64 v42, v49, v48, s[30:31]
	v_cmp_eq_u32_e32 vcc, 0, v42
	v_cndmask_b32_e64 v36, v50, v36, s[30:31]
	v_cndmask_b32_e64 v37, v51, v37, s[30:31]
	s_waitcnt lgkmcnt(0)
	v_cndmask_b32_e32 v44, 0, v38, vcc
	v_cndmask_b32_e32 v43, 0, v39, vcc
	v_add_co_u32_e32 v36, vcc, v44, v36
	v_addc_co_u32_e32 v43, vcc, v43, v37, vcc
	v_cmp_eq_u32_e32 vcc, 0, v0
	v_cndmask_b32_e64 v37, v42, 0, vcc
	v_cndmask_b32_e32 v67, v43, v39, vcc
	v_cndmask_b32_e32 v66, v36, v38, vcc
	v_cmp_eq_u32_e32 vcc, 0, v82
	v_cndmask_b32_e32 v38, 0, v66, vcc
	v_cndmask_b32_e32 v36, 0, v67, vcc
	v_add_co_u32_e32 v42, vcc, v38, v29
	v_addc_co_u32_e32 v43, vcc, v36, v30, vcc
	v_cndmask_b32_e64 v38, 0, v42, s[28:29]
	v_cndmask_b32_e64 v36, 0, v43, s[28:29]
	v_add_co_u32_e32 v44, vcc, v38, v31
	v_addc_co_u32_e32 v45, vcc, v36, v32, vcc
	v_cndmask_b32_e64 v38, 0, v44, s[26:27]
	v_cndmask_b32_e64 v36, 0, v45, s[26:27]
	;; [unrolled: 4-line block ×11, first 2 shown]
	v_add_co_u32_e32 v64, vcc, v38, v11
	v_add_u32_e32 v37, v40, v37
	v_addc_co_u32_e32 v65, vcc, v36, v12, vcc
	s_barrier
	ds_read_b32 v36, v41 offset:1024
	ds_read_b64 v[38:39], v41 offset:1032
	ds_read_b32 v40, v41 offset:1040
	ds_read_b64 v[99:100], v41 offset:1048
	v_cndmask_b32_e64 v68, 0, v64, s[34:35]
	v_cndmask_b32_e64 v69, 0, v65, s[34:35]
	v_add_co_u32_e32 v68, vcc, v68, v1
	v_addc_co_u32_e32 v69, vcc, v69, v2, vcc
	s_waitcnt lgkmcnt(3)
	v_cmp_eq_u32_e32 vcc, 0, v36
	s_waitcnt lgkmcnt(0)
	v_cndmask_b32_e32 v99, 0, v99, vcc
	v_cndmask_b32_e32 v41, 0, v100, vcc
	v_add_co_u32_e32 v38, vcc, v99, v38
	v_cndmask_b32_e64 v73, 0, v69, s[4:5]
	v_cndmask_b32_e64 v72, 0, v68, s[4:5]
	v_addc_co_u32_e32 v39, vcc, v41, v39, vcc
	s_branch .LBB2202_150
.LBB2202_123:
	s_cmp_eq_u64 s[60:61], 0
	s_cselect_b64 s[4:5], -1, 0
	s_or_b64 s[4:5], s[46:47], s[4:5]
	v_mov_b32_e32 v41, v30
	s_and_b64 vcc, exec, s[4:5]
	v_mov_b32_e32 v40, v29
	s_cbranch_vccnz .LBB2202_125
; %bb.124:
	v_mov_b32_e32 v36, 0
	global_load_dwordx2 v[40:41], v36, s[60:61]
.LBB2202_125:
	v_cmp_eq_u32_e64 s[26:27], 0, v95
	v_cndmask_b32_e64 v37, 0, v29, s[26:27]
	v_cndmask_b32_e64 v36, 0, v30, s[26:27]
	v_add_co_u32_e32 v37, vcc, v37, v31
	v_cmp_eq_u32_e64 s[24:25], 0, v94
	v_addc_co_u32_e32 v36, vcc, v36, v32, vcc
	v_cndmask_b32_e64 v37, 0, v37, s[24:25]
	v_cndmask_b32_e64 v36, 0, v36, s[24:25]
	v_add_co_u32_e32 v37, vcc, v37, v25
	v_cmp_eq_u32_e64 s[22:23], 0, v93
	v_addc_co_u32_e32 v36, vcc, v36, v26, vcc
	;; [unrolled: 5-line block ×11, first 2 shown]
	v_cndmask_b32_e64 v37, 0, v37, s[6:7]
	v_cndmask_b32_e64 v36, 0, v36, s[6:7]
	v_add_co_u32_e32 v37, vcc, v37, v1
	v_addc_co_u32_e32 v36, vcc, v36, v2, vcc
	v_cmp_eq_u32_e32 vcc, 0, v92
	v_add3_u32 v38, v98, v84, v85
	v_cndmask_b32_e32 v37, 0, v37, vcc
	v_add3_u32 v38, v38, v86, v87
	v_cndmask_b32_e32 v36, 0, v36, vcc
	v_add_co_u32_e64 v37, s[28:29], v37, v3
	v_add3_u32 v38, v38, v88, v89
	v_addc_co_u32_e64 v36, s[28:29], v36, v4, s[28:29]
	v_add3_u32 v38, v38, v90, v91
	v_cmp_eq_u32_e64 s[28:29], 0, v96
	v_add3_u32 v43, v38, v92, v96
	v_cndmask_b32_e64 v38, 0, v36, s[28:29]
	v_cndmask_b32_e64 v36, 0, v37, s[28:29]
	v_add_co_u32_e64 v36, s[28:29], v36, v70
	v_mbcnt_hi_u32_b32 v42, -1, v97
	v_addc_co_u32_e64 v37, s[28:29], v38, v71, s[28:29]
	v_and_b32_e32 v38, 15, v42
	v_mov_b32_dpp v44, v43 row_shr:1 row_mask:0xf bank_mask:0xf
	v_mov_b32_dpp v39, v36 row_shr:1 row_mask:0xf bank_mask:0xf
	;; [unrolled: 1-line block ×3, first 2 shown]
	v_cmp_ne_u32_e64 s[28:29], 0, v38
	s_and_saveexec_b64 s[30:31], s[28:29]
; %bb.126:
	v_cmp_eq_u32_e64 s[28:29], 0, v43
	v_cndmask_b32_e64 v39, 0, v39, s[28:29]
	v_add_u32_e32 v44, v44, v43
	v_cndmask_b32_e64 v43, 0, v45, s[28:29]
	v_add_co_u32_e64 v36, s[28:29], v39, v36
	v_addc_co_u32_e64 v37, s[28:29], v43, v37, s[28:29]
	v_mov_b32_e32 v43, v44
; %bb.127:
	s_or_b64 exec, exec, s[30:31]
	s_nop 0
	v_mov_b32_dpp v44, v43 row_shr:2 row_mask:0xf bank_mask:0xf
	v_mov_b32_dpp v39, v36 row_shr:2 row_mask:0xf bank_mask:0xf
	v_mov_b32_dpp v45, v37 row_shr:2 row_mask:0xf bank_mask:0xf
	v_cmp_lt_u32_e64 s[28:29], 1, v38
	s_and_saveexec_b64 s[30:31], s[28:29]
; %bb.128:
	v_cmp_eq_u32_e64 s[28:29], 0, v43
	v_cndmask_b32_e64 v39, 0, v39, s[28:29]
	v_add_u32_e32 v44, v44, v43
	v_cndmask_b32_e64 v43, 0, v45, s[28:29]
	v_add_co_u32_e64 v36, s[28:29], v39, v36
	v_addc_co_u32_e64 v37, s[28:29], v43, v37, s[28:29]
	v_mov_b32_e32 v43, v44
; %bb.129:
	s_or_b64 exec, exec, s[30:31]
	s_nop 0
	v_mov_b32_dpp v44, v43 row_shr:4 row_mask:0xf bank_mask:0xf
	v_mov_b32_dpp v39, v36 row_shr:4 row_mask:0xf bank_mask:0xf
	v_mov_b32_dpp v45, v37 row_shr:4 row_mask:0xf bank_mask:0xf
	v_cmp_lt_u32_e64 s[28:29], 3, v38
	;; [unrolled: 16-line block ×3, first 2 shown]
	s_and_saveexec_b64 s[30:31], s[28:29]
; %bb.132:
	v_cmp_eq_u32_e64 s[28:29], 0, v43
	v_cndmask_b32_e64 v39, 0, v39, s[28:29]
	v_add_u32_e32 v38, v44, v43
	v_cndmask_b32_e64 v43, 0, v45, s[28:29]
	v_add_co_u32_e64 v36, s[28:29], v39, v36
	v_addc_co_u32_e64 v37, s[28:29], v43, v37, s[28:29]
	v_mov_b32_e32 v43, v38
; %bb.133:
	s_or_b64 exec, exec, s[30:31]
	v_and_b32_e32 v45, 16, v42
	v_mov_b32_dpp v39, v43 row_bcast:15 row_mask:0xf bank_mask:0xf
	v_mov_b32_dpp v38, v36 row_bcast:15 row_mask:0xf bank_mask:0xf
	;; [unrolled: 1-line block ×3, first 2 shown]
	v_cmp_ne_u32_e64 s[28:29], 0, v45
	s_and_saveexec_b64 s[30:31], s[28:29]
; %bb.134:
	v_cmp_eq_u32_e64 s[28:29], 0, v43
	v_cndmask_b32_e64 v38, 0, v38, s[28:29]
	v_add_u32_e32 v39, v39, v43
	v_cndmask_b32_e64 v43, 0, v44, s[28:29]
	v_add_co_u32_e64 v36, s[28:29], v38, v36
	v_addc_co_u32_e64 v37, s[28:29], v43, v37, s[28:29]
	v_mov_b32_e32 v43, v39
; %bb.135:
	s_or_b64 exec, exec, s[30:31]
	s_nop 0
	v_mov_b32_dpp v39, v43 row_bcast:31 row_mask:0xf bank_mask:0xf
	v_mov_b32_dpp v38, v36 row_bcast:31 row_mask:0xf bank_mask:0xf
	;; [unrolled: 1-line block ×3, first 2 shown]
	v_cmp_lt_u32_e64 s[28:29], 31, v42
	s_and_saveexec_b64 s[30:31], s[28:29]
; %bb.136:
	v_cmp_eq_u32_e64 s[28:29], 0, v43
	v_cndmask_b32_e64 v38, 0, v38, s[28:29]
	v_add_u32_e32 v39, v39, v43
	v_cndmask_b32_e64 v43, 0, v44, s[28:29]
	v_add_co_u32_e64 v36, s[28:29], v38, v36
	v_addc_co_u32_e64 v37, s[28:29], v43, v37, s[28:29]
	v_mov_b32_e32 v43, v39
; %bb.137:
	s_or_b64 exec, exec, s[30:31]
	v_lshrrev_b32_e32 v38, 6, v0
	v_or_b32_e32 v39, 63, v0
	v_cmp_eq_u32_e64 s[28:29], v0, v39
	v_lshlrev_b32_e32 v44, 4, v38
	s_and_saveexec_b64 s[30:31], s[28:29]
	s_cbranch_execz .LBB2202_139
; %bb.138:
	ds_write_b32 v44, v43 offset:1056
	ds_write_b64 v44, v[36:37] offset:1064
.LBB2202_139:
	s_or_b64 exec, exec, s[30:31]
	v_cmp_gt_u32_e64 s[28:29], 4, v0
	s_waitcnt vmcnt(0) lgkmcnt(0)
	s_barrier
	s_and_saveexec_b64 s[30:31], s[28:29]
	s_cbranch_execz .LBB2202_145
; %bb.140:
	v_lshlrev_b32_e32 v45, 4, v0
	ds_read_b32 v46, v45 offset:1056
	ds_read_b64 v[38:39], v45 offset:1064
	v_and_b32_e32 v47, 3, v42
	v_cmp_ne_u32_e64 s[28:29], 0, v47
	s_waitcnt lgkmcnt(1)
	v_mov_b32_dpp v49, v46 row_shr:1 row_mask:0xf bank_mask:0xf
	s_waitcnt lgkmcnt(0)
	v_mov_b32_dpp v48, v38 row_shr:1 row_mask:0xf bank_mask:0xf
	v_mov_b32_dpp v50, v39 row_shr:1 row_mask:0xf bank_mask:0xf
	s_and_saveexec_b64 s[34:35], s[28:29]
; %bb.141:
	v_cmp_eq_u32_e64 s[28:29], 0, v46
	v_cndmask_b32_e64 v48, 0, v48, s[28:29]
	v_add_u32_e32 v49, v49, v46
	v_cndmask_b32_e64 v46, 0, v50, s[28:29]
	v_add_co_u32_e64 v38, s[28:29], v48, v38
	v_addc_co_u32_e64 v39, s[28:29], v46, v39, s[28:29]
	v_mov_b32_e32 v46, v49
; %bb.142:
	s_or_b64 exec, exec, s[34:35]
	s_nop 0
	v_mov_b32_dpp v49, v46 row_shr:2 row_mask:0xf bank_mask:0xf
	v_mov_b32_dpp v48, v38 row_shr:2 row_mask:0xf bank_mask:0xf
	v_mov_b32_dpp v50, v39 row_shr:2 row_mask:0xf bank_mask:0xf
	v_cmp_lt_u32_e64 s[28:29], 1, v47
	s_and_saveexec_b64 s[34:35], s[28:29]
; %bb.143:
	v_cmp_eq_u32_e64 s[28:29], 0, v46
	v_cndmask_b32_e64 v48, 0, v48, s[28:29]
	v_add_u32_e32 v47, v49, v46
	v_cndmask_b32_e64 v46, 0, v50, s[28:29]
	v_add_co_u32_e64 v38, s[28:29], v48, v38
	v_addc_co_u32_e64 v39, s[28:29], v46, v39, s[28:29]
	v_mov_b32_e32 v46, v47
; %bb.144:
	s_or_b64 exec, exec, s[34:35]
	ds_write_b32 v45, v46 offset:1056
	ds_write_b64 v45, v[38:39] offset:1064
.LBB2202_145:
	s_or_b64 exec, exec, s[30:31]
	v_mov_b32_e32 v38, v40
	v_cmp_lt_u32_e64 s[28:29], 63, v0
	v_mov_b32_e32 v70, 0
	v_mov_b32_e32 v45, 0
	;; [unrolled: 1-line block ×3, first 2 shown]
	s_waitcnt lgkmcnt(0)
	s_barrier
	s_and_saveexec_b64 s[30:31], s[28:29]
	s_cbranch_execz .LBB2202_147
; %bb.146:
	ds_read_b32 v45, v44 offset:1040
	ds_read_b64 v[38:39], v44 offset:1048
	s_waitcnt lgkmcnt(1)
	v_cmp_eq_u32_e64 s[28:29], 0, v45
	v_cndmask_b32_e64 v46, 0, v40, s[28:29]
	v_cndmask_b32_e64 v44, 0, v41, s[28:29]
	s_waitcnt lgkmcnt(0)
	v_add_co_u32_e64 v38, s[28:29], v46, v38
	v_addc_co_u32_e64 v39, s[28:29], v44, v39, s[28:29]
.LBB2202_147:
	s_or_b64 exec, exec, s[30:31]
	v_cmp_eq_u32_e64 s[28:29], 0, v43
	v_cndmask_b32_e64 v46, 0, v38, s[28:29]
	v_add_u32_e32 v44, v45, v43
	v_cndmask_b32_e64 v43, 0, v39, s[28:29]
	v_add_co_u32_e64 v36, s[28:29], v46, v36
	v_addc_co_u32_e64 v37, s[28:29], v43, v37, s[28:29]
	v_subrev_co_u32_e64 v43, s[28:29], 1, v42
	v_and_b32_e32 v46, 64, v42
	v_cmp_lt_i32_e64 s[30:31], v43, v46
	v_cndmask_b32_e64 v42, v43, v42, s[30:31]
	v_lshlrev_b32_e32 v42, 2, v42
	ds_bpermute_b32 v43, v42, v44
	ds_bpermute_b32 v44, v42, v37
	;; [unrolled: 1-line block ×3, first 2 shown]
	v_cmp_eq_u32_e64 s[30:31], 0, v82
	s_waitcnt lgkmcnt(2)
	v_cndmask_b32_e64 v37, v43, v45, s[28:29]
	s_waitcnt lgkmcnt(1)
	v_cndmask_b32_e64 v67, v44, v39, s[28:29]
	;; [unrolled: 2-line block ×3, first 2 shown]
	v_cmp_eq_u32_e64 s[28:29], 0, v0
	v_cndmask_b32_e64 v36, v66, v40, s[28:29]
	v_cndmask_b32_e64 v38, v67, v41, s[28:29]
	;; [unrolled: 1-line block ×4, first 2 shown]
	v_add_co_u32_e64 v42, s[30:31], v36, v29
	v_addc_co_u32_e64 v43, s[30:31], v38, v30, s[30:31]
	v_cndmask_b32_e64 v30, 0, v42, s[26:27]
	v_cndmask_b32_e64 v29, 0, v43, s[26:27]
	v_add_co_u32_e64 v44, s[26:27], v30, v31
	v_addc_co_u32_e64 v45, s[26:27], v29, v32, s[26:27]
	v_cndmask_b32_e64 v30, 0, v44, s[24:25]
	v_cndmask_b32_e64 v29, 0, v45, s[24:25]
	;; [unrolled: 4-line block ×11, first 2 shown]
	v_add_co_u32_e64 v64, s[4:5], v10, v11
	v_addc_co_u32_e64 v65, s[4:5], v9, v12, s[4:5]
	v_cndmask_b32_e64 v10, 0, v64, s[6:7]
	ds_read_b32 v36, v70 offset:1104
	v_cndmask_b32_e64 v9, 0, v65, s[6:7]
	v_add_co_u32_e64 v68, s[4:5], v10, v1
	v_addc_co_u32_e64 v69, s[4:5], v9, v2, s[4:5]
	ds_read_b64 v[1:2], v70 offset:1112
	v_cndmask_b32_e32 v73, 0, v69, vcc
	v_cndmask_b32_e32 v72, 0, v68, vcc
	s_waitcnt lgkmcnt(1)
	v_cmp_eq_u32_e32 vcc, 0, v36
	v_cndmask_b32_e32 v10, 0, v40, vcc
	v_cndmask_b32_e32 v9, 0, v41, vcc
	s_waitcnt lgkmcnt(0)
	v_add_co_u32_e32 v38, vcc, v10, v1
	v_addc_co_u32_e32 v39, vcc, v9, v2, vcc
	s_and_saveexec_b64 s[4:5], s[28:29]
	s_cbranch_execz .LBB2202_149
; %bb.148:
	v_mov_b32_e32 v67, v41
	v_mov_b32_e32 v37, 0
	;; [unrolled: 1-line block ×4, first 2 shown]
	global_store_dword v37, v36, s[42:43] offset:1024
	global_store_dwordx2 v37, v[38:39], s[42:43] offset:1032
	s_waitcnt vmcnt(0)
	buffer_wbinvl1_vol
	global_store_byte v37, v1, s[44:45] offset:64
.LBB2202_149:
	s_or_b64 exec, exec, s[4:5]
	v_mov_b32_e32 v40, 0
.LBB2202_150:
	s_cmp_eq_u64 s[54:55], 0
	s_cselect_b64 s[4:5], -1, 0
	s_or_b64 s[4:5], s[46:47], s[4:5]
	v_mov_b32_e32 v9, 0
	s_and_b64 vcc, exec, s[4:5]
	v_mov_b32_e32 v10, 0
	s_waitcnt vmcnt(0)
	s_barrier
	s_cbranch_vccnz .LBB2202_152
; %bb.151:
	v_mov_b32_e32 v1, 0
	global_load_dwordx2 v[9:10], v1, s[54:55]
.LBB2202_152:
	buffer_load_dword v27, off, s[0:3], 0
	buffer_load_dword v28, off, s[0:3], 0 offset:4
	buffer_load_dword v29, off, s[0:3], 0 offset:8
	;; [unrolled: 1-line block ×13, first 2 shown]
	v_add_u32_e32 v24, v37, v82
	buffer_load_dword v82, off, s[0:3], 0 offset:56
	s_waitcnt vmcnt(15)
	v_lshlrev_b64 v[1:2], 1, v[9:10]
	v_mov_b32_e32 v41, 0
	v_mov_b32_e32 v13, s57
	v_lshlrev_b64 v[11:12], 1, v[40:41]
	v_add_co_u32_e32 v1, vcc, s56, v1
	v_addc_co_u32_e32 v2, vcc, v13, v2, vcc
	v_add_co_u32_e32 v25, vcc, v1, v11
	v_addc_co_u32_e32 v26, vcc, v2, v12, vcc
	v_add_u32_e32 v23, v24, v95
	v_add_u32_e32 v22, v23, v94
	;; [unrolled: 1-line block ×11, first 2 shown]
	s_movk_i32 s36, 0x100
	v_add_u32_e32 v12, v13, v91
	v_add_u32_e32 v11, v12, v92
	s_mov_b64 s[40:41], -1
	s_waitcnt vmcnt(14)
	v_cmp_eq_u32_e32 vcc, 0, v27
	v_cndmask_b32_e64 v1, 1, 2, vcc
	s_waitcnt vmcnt(13)
	v_cmp_eq_u32_e32 vcc, 0, v28
	v_cndmask_b32_e64 v2, 1, 2, vcc
	s_waitcnt vmcnt(12)
	v_cmp_eq_u32_e32 vcc, 0, v29
	v_cmp_ne_u32_e64 s[34:35], 0, v27
	v_cndmask_b32_e64 v27, 1, 2, vcc
	s_waitcnt vmcnt(11)
	v_cmp_eq_u32_e32 vcc, 0, v30
	v_and_b32_e32 v1, v2, v1
	v_cmp_ne_u32_e64 s[30:31], 0, v28
	v_cndmask_b32_e64 v28, 1, 2, vcc
	s_waitcnt vmcnt(10)
	v_cmp_eq_u32_e32 vcc, 0, v31
	v_and_b32_e32 v1, v1, v27
	;; [unrolled: 5-line block ×8, first 2 shown]
	v_cndmask_b32_e64 v83, 1, 2, vcc
	s_waitcnt vmcnt(3)
	v_cmp_eq_u32_e32 vcc, 0, v99
	v_and_b32_e32 v1, v1, v71
	v_cndmask_b32_e64 v84, 1, 2, vcc
	s_waitcnt vmcnt(2)
	v_cmp_eq_u32_e32 vcc, 0, v100
	v_and_b32_e32 v1, v1, v83
	v_cndmask_b32_e64 v85, 1, 2, vcc
	v_and_b32_e32 v1, v1, v84
	s_waitcnt vmcnt(1)
	v_cmp_eq_u32_e32 vcc, 0, v101
	v_and_b32_e32 v1, v1, v85
	v_cndmask_b32_e64 v2, 1, 2, vcc
	s_waitcnt vmcnt(0)
	v_cmp_eq_u32_e32 vcc, 0, v82
	v_and_b32_e32 v1, v1, v2
	v_cndmask_b32_e64 v2, 1, 2, vcc
	v_and_b32_e32 v1, v1, v2
	v_cmp_gt_u32_e32 vcc, s36, v36
	v_cmp_ne_u32_e64 s[16:17], 0, v96
	v_cmp_ne_u32_e64 s[14:15], 0, v97
	;; [unrolled: 1-line block ×7, first 2 shown]
	v_cmp_gt_i16_e64 s[36:37], 2, v1
	s_cbranch_vccz .LBB2202_159
; %bb.153:
	s_and_saveexec_b64 s[40:41], s[36:37]
	s_cbranch_execz .LBB2202_158
; %bb.154:
	v_cmp_ne_u16_e32 vcc, 1, v1
	s_mov_b64 s[42:43], 0
	s_and_saveexec_b64 s[36:37], vcc
	s_xor_b64 s[36:37], exec, s[36:37]
	s_cbranch_execnz .LBB2202_206
; %bb.155:
	s_andn2_saveexec_b64 s[36:37], s[36:37]
	s_cbranch_execnz .LBB2202_222
.LBB2202_156:
	s_or_b64 exec, exec, s[36:37]
	s_and_b64 exec, exec, s[42:43]
	s_cbranch_execz .LBB2202_158
.LBB2202_157:
	v_sub_u32_e32 v27, v11, v40
	v_mov_b32_e32 v28, 0
	v_lshlrev_b64 v[27:28], 1, v[27:28]
	v_add_co_u32_e32 v27, vcc, v25, v27
	v_addc_co_u32_e32 v28, vcc, v26, v28, vcc
	global_store_short v[27:28], v74, off
.LBB2202_158:
	s_or_b64 exec, exec, s[40:41]
	s_mov_b64 s[40:41], 0
.LBB2202_159:
	s_and_b64 vcc, exec, s[40:41]
	s_cbranch_vccz .LBB2202_181
; %bb.160:
	v_cmp_gt_i16_e32 vcc, 2, v1
	s_and_saveexec_b64 s[36:37], vcc
	s_cbranch_execz .LBB2202_165
; %bb.161:
	v_cmp_ne_u16_e32 vcc, 1, v1
	s_mov_b64 s[42:43], 0
	s_and_saveexec_b64 s[40:41], vcc
	s_xor_b64 s[40:41], exec, s[40:41]
	s_cbranch_execnz .LBB2202_223
; %bb.162:
	s_andn2_saveexec_b64 s[4:5], s[40:41]
	s_cbranch_execnz .LBB2202_239
.LBB2202_163:
	s_or_b64 exec, exec, s[4:5]
	s_and_b64 exec, exec, s[42:43]
.LBB2202_164:
	v_sub_u32_e32 v1, v11, v40
	v_lshlrev_b32_e32 v1, 1, v1
	ds_write_b16 v1, v74
.LBB2202_165:
	s_or_b64 exec, exec, s[36:37]
	v_cmp_lt_u32_e32 vcc, v0, v36
	s_waitcnt vmcnt(0) lgkmcnt(0)
	s_barrier
	s_and_saveexec_b64 s[6:7], vcc
	s_cbranch_execz .LBB2202_180
; %bb.166:
	v_xad_u32 v2, v0, -1, v36
	s_movk_i32 s4, 0x1900
	s_movk_i32 s8, 0x18ff
	v_cmp_gt_u32_e64 s[4:5], s4, v2
	v_cmp_lt_u32_e32 vcc, s8, v2
	v_mov_b32_e32 v1, v0
	s_and_saveexec_b64 s[8:9], vcc
	s_cbranch_execz .LBB2202_177
; %bb.167:
	v_sub_u32_e32 v1, v0, v36
	v_or_b32_e32 v1, 0xff, v1
	v_cmp_ge_u32_e32 vcc, v1, v0
	s_mov_b64 s[12:13], -1
	v_mov_b32_e32 v1, v0
	s_and_saveexec_b64 s[10:11], vcc
	s_cbranch_execz .LBB2202_176
; %bb.168:
	v_lshrrev_b32_e32 v7, 8, v2
	v_add_u32_e32 v2, -1, v7
	v_or_b32_e32 v1, 0x100, v0
	v_lshrrev_b32_e32 v5, 1, v2
	v_add_u32_e32 v27, 1, v5
	v_mov_b32_e32 v6, v1
	s_mov_b32 s16, 0
	v_cmp_lt_u32_e32 vcc, 13, v2
	v_mov_b32_e32 v30, 0
	v_lshlrev_b32_e32 v8, 1, v0
	v_mov_b32_e32 v5, v0
	s_and_saveexec_b64 s[12:13], vcc
	s_cbranch_execz .LBB2202_172
; %bb.169:
	v_mov_b32_e32 v6, v1
	v_and_b32_e32 v28, -8, v27
	s_mov_b64 s[14:15], 0
	v_mov_b32_e32 v2, 0
	v_mov_b32_e32 v29, v8
	;; [unrolled: 1-line block ×3, first 2 shown]
.LBB2202_170:                           ; =>This Inner Loop Header: Depth=1
	v_mov_b32_e32 v1, v5
	v_add_u32_e32 v28, -8, v28
	v_lshlrev_b64 v[80:81], 1, v[1:2]
	v_add_u32_e32 v30, 0x200, v6
	v_mov_b32_e32 v31, v2
	s_add_i32 s16, s16, 16
	v_cmp_eq_u32_e32 vcc, 0, v28
	v_lshlrev_b64 v[82:83], 1, v[30:31]
	s_or_b64 s[14:15], vcc, s[14:15]
	v_add_co_u32_e32 v80, vcc, v25, v80
	v_add_u32_e32 v32, 0x400, v6
	v_mov_b32_e32 v33, v2
	v_addc_co_u32_e32 v81, vcc, v26, v81, vcc
	v_lshlrev_b64 v[31:32], 1, v[32:33]
	v_add_co_u32_e32 v82, vcc, v25, v82
	v_add_u32_e32 v34, 0x600, v6
	v_mov_b32_e32 v35, v2
	v_addc_co_u32_e32 v83, vcc, v26, v83, vcc
	v_lshlrev_b64 v[33:34], 1, v[34:35]
	;; [unrolled: 5-line block ×6, first 2 shown]
	v_add_co_u32_e32 v76, vcc, v25, v76
	v_mov_b32_e32 v1, v6
	v_addc_co_u32_e32 v77, vcc, v26, v77, vcc
	v_lshlrev_b64 v[84:85], 1, v[1:2]
	v_add_co_u32_e32 v78, vcc, v25, v78
	v_add_u32_e32 v1, 0x200, v5
	v_addc_co_u32_e32 v79, vcc, v26, v79, vcc
	v_lshlrev_b64 v[86:87], 1, v[1:2]
	v_add_co_u32_e32 v84, vcc, v25, v84
	v_add_u32_e32 v1, 0x400, v5
	v_addc_co_u32_e32 v85, vcc, v26, v85, vcc
	ds_read_u16 v90, v29
	ds_read_u16 v91, v29 offset:512
	ds_read_u16 v92, v29 offset:1024
	ds_read_u16 v93, v29 offset:1536
	ds_read_u16 v94, v29 offset:2048
	ds_read_u16 v95, v29 offset:2560
	ds_read_u16 v96, v29 offset:3072
	ds_read_u16 v97, v29 offset:3584
	ds_read_u16 v98, v29 offset:4096
	ds_read_u16 v99, v29 offset:4608
	ds_read_u16 v100, v29 offset:5120
	ds_read_u16 v101, v29 offset:5632
	ds_read_u16 v102, v29 offset:6144
	ds_read_u16 v103, v29 offset:6656
	ds_read_u16 v104, v29 offset:7168
	ds_read_u16 v105, v29 offset:7680
	v_lshlrev_b64 v[88:89], 1, v[1:2]
	s_waitcnt lgkmcnt(14)
	global_store_short v[80:81], v90, off
	global_store_short v[84:85], v91, off
	v_add_co_u32_e32 v80, vcc, v25, v86
	v_add_u32_e32 v1, 0x600, v5
	v_addc_co_u32_e32 v81, vcc, v26, v87, vcc
	v_lshlrev_b64 v[84:85], 1, v[1:2]
	s_waitcnt lgkmcnt(13)
	global_store_short v[80:81], v92, off
	s_waitcnt lgkmcnt(12)
	global_store_short v[82:83], v93, off
	v_add_co_u32_e32 v80, vcc, v25, v88
	v_add_u32_e32 v1, 0x800, v5
	v_addc_co_u32_e32 v81, vcc, v26, v89, vcc
	v_lshlrev_b64 v[82:83], 1, v[1:2]
	s_waitcnt lgkmcnt(11)
	global_store_short v[80:81], v94, off
	s_waitcnt lgkmcnt(10)
	;; [unrolled: 8-line block ×5, first 2 shown]
	global_store_short v[74:75], v101, off
	v_add_co_u32_e32 v31, vcc, v25, v33
	v_addc_co_u32_e32 v32, vcc, v26, v34, vcc
	s_waitcnt lgkmcnt(3)
	global_store_short v[31:32], v102, off
	s_waitcnt lgkmcnt(2)
	global_store_short v[76:77], v103, off
	v_add_co_u32_e32 v31, vcc, v25, v70
	v_add_u32_e32 v29, 0x2000, v29
	v_add_u32_e32 v6, 0x1000, v6
	v_mov_b32_e32 v30, s16
	v_add_u32_e32 v5, 0x1000, v5
	v_addc_co_u32_e32 v32, vcc, v26, v71, vcc
	s_waitcnt lgkmcnt(1)
	global_store_short v[31:32], v104, off
	s_waitcnt lgkmcnt(0)
	global_store_short v[78:79], v105, off
	s_andn2_b64 exec, exec, s[14:15]
	s_cbranch_execnz .LBB2202_170
; %bb.171:
	s_or_b64 exec, exec, s[14:15]
.LBB2202_172:
	s_or_b64 exec, exec, s[12:13]
	v_and_b32_e32 v27, 7, v27
	v_cmp_ne_u32_e32 vcc, 0, v27
	s_and_saveexec_b64 s[12:13], vcc
	s_cbranch_execz .LBB2202_175
; %bb.173:
	v_lshl_or_b32 v8, v30, 9, v8
	s_mov_b64 s[14:15], 0
	v_mov_b32_e32 v2, 0
.LBB2202_174:                           ; =>This Inner Loop Header: Depth=1
	v_mov_b32_e32 v1, v5
	ds_read_u16 v32, v8
	ds_read_u16 v33, v8 offset:512
	v_add_u32_e32 v27, -1, v27
	v_lshlrev_b64 v[28:29], 1, v[1:2]
	v_mov_b32_e32 v1, v6
	v_cmp_eq_u32_e32 vcc, 0, v27
	v_lshlrev_b64 v[30:31], 1, v[1:2]
	s_or_b64 s[14:15], vcc, s[14:15]
	v_add_co_u32_e32 v28, vcc, v25, v28
	v_addc_co_u32_e32 v29, vcc, v26, v29, vcc
	v_add_u32_e32 v5, 0x200, v5
	v_add_u32_e32 v8, 0x400, v8
	;; [unrolled: 1-line block ×3, first 2 shown]
	v_add_co_u32_e32 v30, vcc, v25, v30
	v_addc_co_u32_e32 v31, vcc, v26, v31, vcc
	s_waitcnt lgkmcnt(1)
	global_store_short v[28:29], v32, off
	s_waitcnt lgkmcnt(0)
	global_store_short v[30:31], v33, off
	s_andn2_b64 exec, exec, s[14:15]
	s_cbranch_execnz .LBB2202_174
.LBB2202_175:
	s_or_b64 exec, exec, s[12:13]
	v_add_u32_e32 v2, 1, v7
	v_and_b32_e32 v5, 0x1fffffe, v2
	v_cmp_ne_u32_e32 vcc, v2, v5
	v_lshl_or_b32 v1, v5, 8, v0
	s_orn2_b64 s[12:13], vcc, exec
.LBB2202_176:
	s_or_b64 exec, exec, s[10:11]
	s_andn2_b64 s[4:5], s[4:5], exec
	s_and_b64 s[10:11], s[12:13], exec
	s_or_b64 s[4:5], s[4:5], s[10:11]
.LBB2202_177:
	s_or_b64 exec, exec, s[8:9]
	s_and_b64 exec, exec, s[4:5]
	s_cbranch_execz .LBB2202_180
; %bb.178:
	v_lshlrev_b32_e32 v5, 1, v1
	s_mov_b64 s[8:9], 0
	v_mov_b32_e32 v2, 0
.LBB2202_179:                           ; =>This Inner Loop Header: Depth=1
	ds_read_u16 v8, v5
	v_lshlrev_b64 v[6:7], 1, v[1:2]
	v_add_u32_e32 v1, 0x100, v1
	v_cmp_ge_u32_e32 vcc, v1, v36
	v_add_co_u32_e64 v6, s[4:5], v25, v6
	v_add_u32_e32 v5, 0x200, v5
	v_addc_co_u32_e64 v7, s[4:5], v26, v7, s[4:5]
	s_or_b64 s[8:9], vcc, s[8:9]
	s_waitcnt lgkmcnt(0)
	global_store_short v[6:7], v8, off
	s_andn2_b64 exec, exec, s[8:9]
	s_cbranch_execnz .LBB2202_179
.LBB2202_180:
	s_or_b64 exec, exec, s[6:7]
.LBB2202_181:
	v_cmp_eq_u32_e32 vcc, 0, v0
	s_and_b64 s[6:7], vcc, s[50:51]
	s_waitcnt vmcnt(0)
	s_barrier
	s_and_saveexec_b64 s[4:5], s[6:7]
	s_cbranch_execz .LBB2202_183
; %bb.182:
	v_mov_b32_e32 v1, 0
	buffer_store_dword v1, off, s[0:3], 0
.LBB2202_183:
	s_or_b64 exec, exec, s[4:5]
	s_mul_hi_u32 s4, s33, 0x88888889
	s_lshr_b32 s4, s4, 3
	v_cmp_eq_u32_e32 vcc, s4, v0
	s_and_b64 s[6:7], s[48:49], vcc
	s_and_saveexec_b64 s[4:5], s[6:7]
	s_cbranch_execz .LBB2202_185
; %bb.184:
	s_lshl_b32 s6, s33, 2
	v_mov_b32_e32 v1, s6
	s_movk_i32 s6, 0xffc4
	v_mad_i32_i24 v1, v0, s6, v1
	v_mov_b32_e32 v2, 1
	buffer_store_dword v2, v1, s[0:3], 0 offen
.LBB2202_185:
	s_or_b64 exec, exec, s[4:5]
	buffer_load_dword v25, off, s[0:3], 0
	buffer_load_dword v26, off, s[0:3], 0 offset:4
	buffer_load_dword v27, off, s[0:3], 0 offset:8
	;; [unrolled: 1-line block ×13, first 2 shown]
	v_add_co_u32_e32 v1, vcc, v72, v3
	v_addc_co_u32_e32 v2, vcc, v73, v4, vcc
	buffer_load_dword v73, off, s[0:3], 0 offset:56
	v_lshlrev_b64 v[3:4], 3, v[9:10]
	v_mov_b32_e32 v72, s59
	v_lshlrev_b64 v[6:7], 3, v[40:41]
	v_add_co_u32_e32 v3, vcc, s58, v3
	v_addc_co_u32_e32 v4, vcc, v72, v4, vcc
	v_cndmask_b32_e64 v5, 0, 1, s[50:51]
	v_add_co_u32_e32 v3, vcc, v3, v6
	v_lshlrev_b32_e32 v75, 3, v5
	v_addc_co_u32_e32 v4, vcc, v4, v7, vcc
	v_add_co_u32_e32 v6, vcc, v3, v75
	v_addc_co_u32_e32 v7, vcc, 0, v4, vcc
	v_add_co_u32_e32 v6, vcc, -8, v6
	v_addc_co_u32_e32 v7, vcc, -1, v7, vcc
	s_cmpk_lg_i32 s33, 0xf00
	s_cselect_b64 s[4:5], -1, 0
	s_and_b64 s[4:5], s[48:49], s[4:5]
	v_sub_u32_e32 v41, v36, v5
	v_add_u32_e32 v8, v40, v5
	v_cndmask_b32_e64 v5, 0, 1, s[4:5]
	v_add_u32_e32 v5, v41, v5
	s_movk_i32 s36, 0x100
	s_mov_b64 s[40:41], -1
	s_waitcnt vmcnt(14)
	v_cmp_eq_u32_e32 vcc, 0, v25
	v_cmp_ne_u32_e64 s[34:35], 0, v25
	v_cndmask_b32_e64 v25, 1, 2, vcc
	s_waitcnt vmcnt(13)
	v_cmp_eq_u32_e32 vcc, 0, v26
	v_cmp_ne_u32_e64 s[30:31], 0, v26
	v_cndmask_b32_e64 v26, 1, 2, vcc
	;; [unrolled: 4-line block ×3, first 2 shown]
	s_waitcnt vmcnt(11)
	v_cmp_eq_u32_e32 vcc, 0, v28
	v_and_b32_e32 v25, v26, v25
	v_cmp_ne_u32_e64 s[26:27], 0, v28
	v_cndmask_b32_e64 v28, 1, 2, vcc
	s_waitcnt vmcnt(10)
	v_cmp_eq_u32_e32 vcc, 0, v29
	v_and_b32_e32 v25, v25, v27
	v_cmp_ne_u32_e64 s[24:25], 0, v29
	v_cndmask_b32_e64 v29, 1, 2, vcc
	;; [unrolled: 5-line block ×8, first 2 shown]
	v_and_b32_e32 v25, v25, v34
	s_waitcnt vmcnt(3)
	v_cmp_eq_u32_e32 vcc, 0, v70
	v_and_b32_e32 v25, v25, v35
	v_cndmask_b32_e64 v26, 1, 2, vcc
	s_waitcnt vmcnt(2)
	v_cmp_eq_u32_e32 vcc, 0, v71
	v_and_b32_e32 v25, v25, v26
	v_cndmask_b32_e64 v26, 1, 2, vcc
	;; [unrolled: 4-line block ×4, first 2 shown]
	v_and_b32_e32 v25, v25, v26
	v_cmp_gt_u32_e32 vcc, s36, v5
	v_cmp_ne_u32_e64 s[8:9], 0, v70
	v_cmp_ne_u32_e64 s[10:11], 0, v71
	;; [unrolled: 1-line block ×4, first 2 shown]
	v_cmp_gt_i16_e64 s[36:37], 2, v25
	s_cbranch_vccz .LBB2202_192
; %bb.186:
	s_and_saveexec_b64 s[40:41], s[36:37]
	s_cbranch_execz .LBB2202_191
; %bb.187:
	v_cmp_ne_u16_e32 vcc, 1, v25
	s_mov_b64 s[42:43], 0
	s_and_saveexec_b64 s[36:37], vcc
	s_xor_b64 s[36:37], exec, s[36:37]
	s_cbranch_execnz .LBB2202_240
; %bb.188:
	s_andn2_saveexec_b64 s[36:37], s[36:37]
	s_cbranch_execnz .LBB2202_256
.LBB2202_189:
	s_or_b64 exec, exec, s[36:37]
	s_and_b64 exec, exec, s[42:43]
	s_cbranch_execz .LBB2202_191
.LBB2202_190:
	v_sub_u32_e32 v26, v11, v8
	v_mov_b32_e32 v27, 0
	v_lshlrev_b64 v[26:27], 3, v[26:27]
	v_add_co_u32_e32 v26, vcc, v6, v26
	v_addc_co_u32_e32 v27, vcc, v7, v27, vcc
	global_store_dwordx2 v[26:27], v[1:2], off
.LBB2202_191:
	s_or_b64 exec, exec, s[40:41]
	s_mov_b64 s[40:41], 0
.LBB2202_192:
	s_and_b64 vcc, exec, s[40:41]
	s_cbranch_vccz .LBB2202_202
; %bb.193:
	v_cmp_gt_i16_e32 vcc, 2, v25
	s_and_saveexec_b64 s[36:37], vcc
	s_cbranch_execz .LBB2202_198
; %bb.194:
	v_cmp_ne_u16_e32 vcc, 1, v25
	s_mov_b64 s[42:43], 0
	s_and_saveexec_b64 s[40:41], vcc
	s_xor_b64 s[40:41], exec, s[40:41]
	s_cbranch_execnz .LBB2202_257
; %bb.195:
	s_andn2_saveexec_b64 s[4:5], s[40:41]
	s_cbranch_execnz .LBB2202_273
.LBB2202_196:
	s_or_b64 exec, exec, s[4:5]
	s_and_b64 exec, exec, s[42:43]
.LBB2202_197:
	v_sub_u32_e32 v8, v11, v8
	v_lshlrev_b32_e32 v8, 3, v8
	ds_write_b64 v8, v[1:2]
.LBB2202_198:
	s_or_b64 exec, exec, s[36:37]
	v_cmp_lt_u32_e32 vcc, v0, v5
	s_waitcnt vmcnt(0) lgkmcnt(0)
	s_barrier
	s_and_saveexec_b64 s[6:7], vcc
	s_cbranch_execz .LBB2202_201
; %bb.199:
	v_lshlrev_b32_e32 v8, 3, v0
	s_mov_b64 s[8:9], 0
	v_mov_b32_e32 v2, 0
	v_mov_b32_e32 v1, v0
.LBB2202_200:                           ; =>This Inner Loop Header: Depth=1
	ds_read_b64 v[13:14], v8
	v_lshlrev_b64 v[11:12], 3, v[1:2]
	v_add_u32_e32 v1, 0x100, v1
	v_cmp_ge_u32_e32 vcc, v1, v5
	v_add_co_u32_e64 v11, s[4:5], v6, v11
	v_add_u32_e32 v8, 0x800, v8
	v_addc_co_u32_e64 v12, s[4:5], v7, v12, s[4:5]
	s_or_b64 s[8:9], vcc, s[8:9]
	s_waitcnt lgkmcnt(0)
	global_store_dwordx2 v[11:12], v[13:14], off
	s_andn2_b64 exec, exec, s[8:9]
	s_cbranch_execnz .LBB2202_200
.LBB2202_201:
	s_or_b64 exec, exec, s[6:7]
.LBB2202_202:
	s_movk_i32 s4, 0xff
	v_cmp_eq_u32_e32 vcc, s4, v0
	s_and_b64 s[4:5], vcc, s[48:49]
	s_and_saveexec_b64 s[6:7], s[4:5]
	s_cbranch_execz .LBB2202_205
; %bb.203:
	v_add_co_u32_e32 v0, vcc, v36, v40
	v_addc_co_u32_e64 v1, s[4:5], 0, 0, vcc
	v_add_co_u32_e32 v0, vcc, v0, v9
	v_mov_b32_e32 v37, 0
	v_addc_co_u32_e32 v1, vcc, v1, v10, vcc
	s_cmpk_lg_i32 s33, 0xf00
	global_store_dwordx2 v37, v[0:1], s[38:39]
	s_cbranch_scc1 .LBB2202_205
; %bb.204:
	v_lshlrev_b64 v[0:1], 3, v[36:37]
	v_add_co_u32_e32 v0, vcc, v3, v0
	v_addc_co_u32_e32 v1, vcc, v4, v1, vcc
	global_store_dwordx2 v[0:1], v[38:39], off offset:-8
.LBB2202_205:
	s_endpgm
.LBB2202_206:
	s_and_saveexec_b64 s[42:43], s[34:35]
	s_cbranch_execnz .LBB2202_274
; %bb.207:
	s_or_b64 exec, exec, s[42:43]
	s_and_saveexec_b64 s[42:43], s[30:31]
	s_cbranch_execnz .LBB2202_275
.LBB2202_208:
	s_or_b64 exec, exec, s[42:43]
	s_and_saveexec_b64 s[42:43], s[28:29]
	s_cbranch_execnz .LBB2202_276
.LBB2202_209:
	s_or_b64 exec, exec, s[42:43]
	s_and_saveexec_b64 s[42:43], s[26:27]
	s_cbranch_execnz .LBB2202_277
.LBB2202_210:
	s_or_b64 exec, exec, s[42:43]
	s_and_saveexec_b64 s[42:43], s[24:25]
	s_cbranch_execnz .LBB2202_278
.LBB2202_211:
	s_or_b64 exec, exec, s[42:43]
	s_and_saveexec_b64 s[42:43], s[22:23]
	s_cbranch_execnz .LBB2202_279
.LBB2202_212:
	s_or_b64 exec, exec, s[42:43]
	s_and_saveexec_b64 s[42:43], s[20:21]
	s_cbranch_execnz .LBB2202_280
.LBB2202_213:
	s_or_b64 exec, exec, s[42:43]
	s_and_saveexec_b64 s[42:43], s[18:19]
	s_cbranch_execnz .LBB2202_281
.LBB2202_214:
	s_or_b64 exec, exec, s[42:43]
	s_and_saveexec_b64 s[42:43], s[16:17]
	s_cbranch_execnz .LBB2202_282
.LBB2202_215:
	s_or_b64 exec, exec, s[42:43]
	s_and_saveexec_b64 s[42:43], s[14:15]
	s_cbranch_execnz .LBB2202_283
.LBB2202_216:
	s_or_b64 exec, exec, s[42:43]
	s_and_saveexec_b64 s[42:43], s[12:13]
	s_cbranch_execnz .LBB2202_284
.LBB2202_217:
	s_or_b64 exec, exec, s[42:43]
	s_and_saveexec_b64 s[42:43], s[10:11]
	s_cbranch_execnz .LBB2202_285
.LBB2202_218:
	s_or_b64 exec, exec, s[42:43]
	s_and_saveexec_b64 s[42:43], s[8:9]
	s_cbranch_execnz .LBB2202_286
.LBB2202_219:
	s_or_b64 exec, exec, s[42:43]
	s_and_saveexec_b64 s[42:43], s[4:5]
	s_cbranch_execz .LBB2202_221
.LBB2202_220:
	v_sub_u32_e32 v27, v12, v40
	v_mov_b32_e32 v28, 0
	v_lshlrev_b64 v[27:28], 1, v[27:28]
	v_add_co_u32_e32 v27, vcc, v25, v27
	v_addc_co_u32_e32 v28, vcc, v26, v28, vcc
	global_store_short v[27:28], v35, off
.LBB2202_221:
	s_or_b64 exec, exec, s[42:43]
	s_and_b64 s[42:43], s[6:7], exec
	s_andn2_saveexec_b64 s[36:37], s[36:37]
	s_cbranch_execz .LBB2202_156
.LBB2202_222:
	v_sub_u32_e32 v27, v37, v40
	v_mov_b32_e32 v28, 0
	v_lshlrev_b64 v[29:30], 1, v[27:28]
	v_sub_u32_e32 v27, v24, v40
	v_add_co_u32_e32 v29, vcc, v25, v29
	v_addc_co_u32_e32 v30, vcc, v26, v30, vcc
	global_store_short v[29:30], v77, off
	v_lshlrev_b64 v[29:30], 1, v[27:28]
	v_sub_u32_e32 v27, v23, v40
	v_add_co_u32_e32 v29, vcc, v25, v29
	v_addc_co_u32_e32 v30, vcc, v26, v30, vcc
	global_store_short v[29:30], v5, off
	;; [unrolled: 5-line block ×12, first 2 shown]
	v_lshlrev_b64 v[29:30], 1, v[27:28]
	v_sub_u32_e32 v27, v12, v40
	v_add_co_u32_e32 v29, vcc, v25, v29
	v_lshlrev_b64 v[27:28], 1, v[27:28]
	v_addc_co_u32_e32 v30, vcc, v26, v30, vcc
	v_add_co_u32_e32 v27, vcc, v25, v27
	v_addc_co_u32_e32 v28, vcc, v26, v28, vcc
	s_or_b64 s[42:43], s[42:43], exec
	global_store_short v[29:30], v75, off
	global_store_short v[27:28], v35, off
	s_or_b64 exec, exec, s[36:37]
	s_and_b64 exec, exec, s[42:43]
	s_cbranch_execnz .LBB2202_157
	s_branch .LBB2202_158
.LBB2202_223:
	s_and_saveexec_b64 s[42:43], s[34:35]
	s_cbranch_execnz .LBB2202_287
; %bb.224:
	s_or_b64 exec, exec, s[42:43]
	s_and_saveexec_b64 s[34:35], s[30:31]
	s_cbranch_execnz .LBB2202_288
.LBB2202_225:
	s_or_b64 exec, exec, s[34:35]
	s_and_saveexec_b64 s[30:31], s[28:29]
	s_cbranch_execnz .LBB2202_289
.LBB2202_226:
	s_or_b64 exec, exec, s[30:31]
	s_and_saveexec_b64 s[28:29], s[26:27]
	s_cbranch_execnz .LBB2202_290
.LBB2202_227:
	s_or_b64 exec, exec, s[28:29]
	s_and_saveexec_b64 s[26:27], s[24:25]
	s_cbranch_execnz .LBB2202_291
.LBB2202_228:
	s_or_b64 exec, exec, s[26:27]
	s_and_saveexec_b64 s[24:25], s[22:23]
	s_cbranch_execnz .LBB2202_292
.LBB2202_229:
	s_or_b64 exec, exec, s[24:25]
	s_and_saveexec_b64 s[22:23], s[20:21]
	s_cbranch_execnz .LBB2202_293
.LBB2202_230:
	s_or_b64 exec, exec, s[22:23]
	s_and_saveexec_b64 s[20:21], s[18:19]
	s_cbranch_execnz .LBB2202_294
.LBB2202_231:
	s_or_b64 exec, exec, s[20:21]
	s_and_saveexec_b64 s[18:19], s[16:17]
	s_cbranch_execnz .LBB2202_295
.LBB2202_232:
	s_or_b64 exec, exec, s[18:19]
	s_and_saveexec_b64 s[16:17], s[14:15]
	s_cbranch_execnz .LBB2202_296
.LBB2202_233:
	s_or_b64 exec, exec, s[16:17]
	s_and_saveexec_b64 s[14:15], s[12:13]
	s_cbranch_execnz .LBB2202_297
.LBB2202_234:
	s_or_b64 exec, exec, s[14:15]
	s_and_saveexec_b64 s[12:13], s[10:11]
	s_cbranch_execnz .LBB2202_298
.LBB2202_235:
	s_or_b64 exec, exec, s[12:13]
	s_and_saveexec_b64 s[10:11], s[8:9]
	s_cbranch_execnz .LBB2202_299
.LBB2202_236:
	s_or_b64 exec, exec, s[10:11]
	s_and_saveexec_b64 s[8:9], s[4:5]
.LBB2202_237:
	v_sub_u32_e32 v1, v12, v40
	v_lshlrev_b32_e32 v1, 1, v1
	ds_write_b16 v1, v35
.LBB2202_238:
	s_or_b64 exec, exec, s[8:9]
	s_and_b64 s[42:43], s[6:7], exec
                                        ; implicit-def: $vgpr5
                                        ; implicit-def: $vgpr33
                                        ; implicit-def: $vgpr77
                                        ; implicit-def: $vgpr81
                                        ; implicit-def: $vgpr80
                                        ; implicit-def: $vgpr79
                                        ; implicit-def: $vgpr78
                                        ; implicit-def: $vgpr76
                                        ; implicit-def: $vgpr75
	s_andn2_saveexec_b64 s[4:5], s[40:41]
	s_cbranch_execz .LBB2202_163
.LBB2202_239:
	v_sub_u32_e32 v1, v37, v40
	v_lshlrev_b32_e32 v1, 1, v1
	ds_write_b16 v1, v77
	v_sub_u32_e32 v1, v24, v40
	v_lshlrev_b32_e32 v1, 1, v1
	ds_write_b16 v1, v5
	;; [unrolled: 3-line block ×13, first 2 shown]
	v_sub_u32_e32 v1, v12, v40
	v_lshlrev_b32_e32 v1, 1, v1
	s_or_b64 s[42:43], s[42:43], exec
	ds_write_b16 v1, v35
	s_or_b64 exec, exec, s[4:5]
	s_and_b64 exec, exec, s[42:43]
	s_cbranch_execnz .LBB2202_164
	s_branch .LBB2202_165
.LBB2202_240:
	s_and_saveexec_b64 s[42:43], s[34:35]
	s_cbranch_execnz .LBB2202_300
; %bb.241:
	s_or_b64 exec, exec, s[42:43]
	s_and_saveexec_b64 s[42:43], s[30:31]
	s_cbranch_execnz .LBB2202_301
.LBB2202_242:
	s_or_b64 exec, exec, s[42:43]
	s_and_saveexec_b64 s[42:43], s[28:29]
	s_cbranch_execnz .LBB2202_302
.LBB2202_243:
	s_or_b64 exec, exec, s[42:43]
	s_and_saveexec_b64 s[42:43], s[26:27]
	s_cbranch_execnz .LBB2202_303
.LBB2202_244:
	s_or_b64 exec, exec, s[42:43]
	s_and_saveexec_b64 s[42:43], s[24:25]
	s_cbranch_execnz .LBB2202_304
.LBB2202_245:
	s_or_b64 exec, exec, s[42:43]
	s_and_saveexec_b64 s[42:43], s[22:23]
	s_cbranch_execnz .LBB2202_305
.LBB2202_246:
	s_or_b64 exec, exec, s[42:43]
	s_and_saveexec_b64 s[42:43], s[20:21]
	s_cbranch_execnz .LBB2202_306
.LBB2202_247:
	s_or_b64 exec, exec, s[42:43]
	s_and_saveexec_b64 s[42:43], s[18:19]
	s_cbranch_execnz .LBB2202_307
.LBB2202_248:
	s_or_b64 exec, exec, s[42:43]
	s_and_saveexec_b64 s[42:43], s[16:17]
	s_cbranch_execnz .LBB2202_308
.LBB2202_249:
	s_or_b64 exec, exec, s[42:43]
	s_and_saveexec_b64 s[42:43], s[14:15]
	s_cbranch_execnz .LBB2202_309
.LBB2202_250:
	s_or_b64 exec, exec, s[42:43]
	s_and_saveexec_b64 s[42:43], s[12:13]
	s_cbranch_execnz .LBB2202_310
.LBB2202_251:
	s_or_b64 exec, exec, s[42:43]
	s_and_saveexec_b64 s[42:43], s[8:9]
	s_cbranch_execnz .LBB2202_311
.LBB2202_252:
	s_or_b64 exec, exec, s[42:43]
	s_and_saveexec_b64 s[42:43], s[10:11]
	s_cbranch_execnz .LBB2202_312
.LBB2202_253:
	s_or_b64 exec, exec, s[42:43]
	s_and_saveexec_b64 s[42:43], s[6:7]
	s_cbranch_execz .LBB2202_255
.LBB2202_254:
	v_sub_u32_e32 v26, v12, v8
	v_mov_b32_e32 v27, 0
	v_lshlrev_b64 v[26:27], 3, v[26:27]
	v_add_co_u32_e32 v26, vcc, v6, v26
	v_addc_co_u32_e32 v27, vcc, v7, v27, vcc
	global_store_dwordx2 v[26:27], v[68:69], off
.LBB2202_255:
	s_or_b64 exec, exec, s[42:43]
	s_and_b64 s[42:43], s[4:5], exec
	s_andn2_saveexec_b64 s[36:37], s[36:37]
	s_cbranch_execz .LBB2202_189
.LBB2202_256:
	v_sub_u32_e32 v26, v37, v8
	v_mov_b32_e32 v27, 0
	v_lshlrev_b64 v[28:29], 3, v[26:27]
	v_sub_u32_e32 v26, v24, v8
	v_add_co_u32_e32 v28, vcc, v6, v28
	v_addc_co_u32_e32 v29, vcc, v7, v29, vcc
	global_store_dwordx2 v[28:29], v[66:67], off
	v_lshlrev_b64 v[28:29], 3, v[26:27]
	v_sub_u32_e32 v26, v23, v8
	v_add_co_u32_e32 v28, vcc, v6, v28
	v_addc_co_u32_e32 v29, vcc, v7, v29, vcc
	global_store_dwordx2 v[28:29], v[42:43], off
	;; [unrolled: 5-line block ×12, first 2 shown]
	v_lshlrev_b64 v[28:29], 3, v[26:27]
	v_sub_u32_e32 v26, v12, v8
	v_add_co_u32_e32 v28, vcc, v6, v28
	v_lshlrev_b64 v[26:27], 3, v[26:27]
	v_addc_co_u32_e32 v29, vcc, v7, v29, vcc
	v_add_co_u32_e32 v26, vcc, v6, v26
	v_addc_co_u32_e32 v27, vcc, v7, v27, vcc
	s_or_b64 s[42:43], s[42:43], exec
	global_store_dwordx2 v[28:29], v[64:65], off
	global_store_dwordx2 v[26:27], v[68:69], off
	s_or_b64 exec, exec, s[36:37]
	s_and_b64 exec, exec, s[42:43]
	s_cbranch_execnz .LBB2202_190
	s_branch .LBB2202_191
.LBB2202_257:
	s_and_saveexec_b64 s[42:43], s[34:35]
	s_cbranch_execnz .LBB2202_313
; %bb.258:
	s_or_b64 exec, exec, s[42:43]
	s_and_saveexec_b64 s[34:35], s[30:31]
	s_cbranch_execnz .LBB2202_314
.LBB2202_259:
	s_or_b64 exec, exec, s[34:35]
	s_and_saveexec_b64 s[30:31], s[28:29]
	s_cbranch_execnz .LBB2202_315
.LBB2202_260:
	s_or_b64 exec, exec, s[30:31]
	s_and_saveexec_b64 s[28:29], s[26:27]
	s_cbranch_execnz .LBB2202_316
.LBB2202_261:
	s_or_b64 exec, exec, s[28:29]
	s_and_saveexec_b64 s[26:27], s[24:25]
	s_cbranch_execnz .LBB2202_317
.LBB2202_262:
	s_or_b64 exec, exec, s[26:27]
	s_and_saveexec_b64 s[24:25], s[22:23]
	s_cbranch_execnz .LBB2202_318
.LBB2202_263:
	s_or_b64 exec, exec, s[24:25]
	s_and_saveexec_b64 s[22:23], s[20:21]
	s_cbranch_execnz .LBB2202_319
.LBB2202_264:
	s_or_b64 exec, exec, s[22:23]
	s_and_saveexec_b64 s[20:21], s[18:19]
	s_cbranch_execnz .LBB2202_320
.LBB2202_265:
	s_or_b64 exec, exec, s[20:21]
	s_and_saveexec_b64 s[18:19], s[16:17]
	s_cbranch_execnz .LBB2202_321
.LBB2202_266:
	s_or_b64 exec, exec, s[18:19]
	s_and_saveexec_b64 s[16:17], s[14:15]
	s_cbranch_execnz .LBB2202_322
.LBB2202_267:
	s_or_b64 exec, exec, s[16:17]
	s_and_saveexec_b64 s[14:15], s[12:13]
	s_cbranch_execnz .LBB2202_323
.LBB2202_268:
	s_or_b64 exec, exec, s[14:15]
	s_and_saveexec_b64 s[12:13], s[8:9]
	s_cbranch_execnz .LBB2202_324
.LBB2202_269:
	s_or_b64 exec, exec, s[12:13]
	s_and_saveexec_b64 s[8:9], s[10:11]
	s_cbranch_execnz .LBB2202_325
.LBB2202_270:
	s_or_b64 exec, exec, s[8:9]
	s_and_saveexec_b64 s[8:9], s[6:7]
.LBB2202_271:
	v_sub_u32_e32 v12, v12, v8
	v_lshlrev_b32_e32 v12, 3, v12
	ds_write_b64 v12, v[68:69]
.LBB2202_272:
	s_or_b64 exec, exec, s[8:9]
	s_and_b64 s[42:43], s[4:5], exec
                                        ; implicit-def: $vgpr66_vgpr67
                                        ; implicit-def: $vgpr42_vgpr43
                                        ; implicit-def: $vgpr44_vgpr45
                                        ; implicit-def: $vgpr46_vgpr47
                                        ; implicit-def: $vgpr48_vgpr49
                                        ; implicit-def: $vgpr50_vgpr51
                                        ; implicit-def: $vgpr52_vgpr53
                                        ; implicit-def: $vgpr54_vgpr55
                                        ; implicit-def: $vgpr56_vgpr57
                                        ; implicit-def: $vgpr58_vgpr59
                                        ; implicit-def: $vgpr60_vgpr61
                                        ; implicit-def: $vgpr62_vgpr63
                                        ; implicit-def: $vgpr64_vgpr65
                                        ; implicit-def: $vgpr68_vgpr69
                                        ; implicit-def: $vgpr37
                                        ; implicit-def: $vgpr24
                                        ; implicit-def: $vgpr23
                                        ; implicit-def: $vgpr22
                                        ; implicit-def: $vgpr21
                                        ; implicit-def: $vgpr20
                                        ; implicit-def: $vgpr19
                                        ; implicit-def: $vgpr18
                                        ; implicit-def: $vgpr17
                                        ; implicit-def: $vgpr16
                                        ; implicit-def: $vgpr15
                                        ; implicit-def: $vgpr14
                                        ; implicit-def: $vgpr13
                                        ; implicit-def: $vgpr12
	s_andn2_saveexec_b64 s[4:5], s[40:41]
	s_cbranch_execz .LBB2202_196
.LBB2202_273:
	v_sub_u32_e32 v25, v37, v8
	v_sub_u32_e32 v24, v24, v8
	;; [unrolled: 1-line block ×14, first 2 shown]
	v_lshlrev_b32_e32 v25, 3, v25
	v_lshlrev_b32_e32 v24, 3, v24
	;; [unrolled: 1-line block ×14, first 2 shown]
	s_or_b64 s[42:43], s[42:43], exec
	ds_write_b64 v25, v[66:67]
	ds_write_b64 v24, v[42:43]
	;; [unrolled: 1-line block ×14, first 2 shown]
	s_or_b64 exec, exec, s[4:5]
	s_and_b64 exec, exec, s[42:43]
	s_cbranch_execnz .LBB2202_197
	s_branch .LBB2202_198
.LBB2202_274:
	v_sub_u32_e32 v27, v37, v40
	v_mov_b32_e32 v28, 0
	v_lshlrev_b64 v[27:28], 1, v[27:28]
	v_add_co_u32_e32 v27, vcc, v25, v27
	v_addc_co_u32_e32 v28, vcc, v26, v28, vcc
	global_store_short v[27:28], v77, off
	s_or_b64 exec, exec, s[42:43]
	s_and_saveexec_b64 s[42:43], s[30:31]
	s_cbranch_execz .LBB2202_208
.LBB2202_275:
	v_sub_u32_e32 v27, v24, v40
	v_mov_b32_e32 v28, 0
	v_lshlrev_b64 v[27:28], 1, v[27:28]
	v_add_co_u32_e32 v27, vcc, v25, v27
	v_addc_co_u32_e32 v28, vcc, v26, v28, vcc
	global_store_short v[27:28], v5, off
	s_or_b64 exec, exec, s[42:43]
	s_and_saveexec_b64 s[42:43], s[28:29]
	s_cbranch_execz .LBB2202_209
.LBB2202_276:
	v_sub_u32_e32 v27, v23, v40
	v_mov_b32_e32 v28, 0
	v_lshlrev_b64 v[27:28], 1, v[27:28]
	v_add_co_u32_e32 v27, vcc, v25, v27
	v_addc_co_u32_e32 v28, vcc, v26, v28, vcc
	global_store_short v[27:28], v81, off
	s_or_b64 exec, exec, s[42:43]
	s_and_saveexec_b64 s[42:43], s[26:27]
	s_cbranch_execz .LBB2202_210
.LBB2202_277:
	v_sub_u32_e32 v27, v22, v40
	v_mov_b32_e32 v28, 0
	v_lshlrev_b64 v[27:28], 1, v[27:28]
	v_add_co_u32_e32 v27, vcc, v25, v27
	v_addc_co_u32_e32 v28, vcc, v26, v28, vcc
	global_store_short v[27:28], v6, off
	s_or_b64 exec, exec, s[42:43]
	s_and_saveexec_b64 s[42:43], s[24:25]
	s_cbranch_execz .LBB2202_211
.LBB2202_278:
	v_sub_u32_e32 v27, v21, v40
	v_mov_b32_e32 v28, 0
	v_lshlrev_b64 v[27:28], 1, v[27:28]
	v_add_co_u32_e32 v27, vcc, v25, v27
	v_addc_co_u32_e32 v28, vcc, v26, v28, vcc
	global_store_short v[27:28], v80, off
	s_or_b64 exec, exec, s[42:43]
	s_and_saveexec_b64 s[42:43], s[22:23]
	s_cbranch_execz .LBB2202_212
.LBB2202_279:
	v_sub_u32_e32 v27, v20, v40
	v_mov_b32_e32 v28, 0
	v_lshlrev_b64 v[27:28], 1, v[27:28]
	v_add_co_u32_e32 v27, vcc, v25, v27
	v_addc_co_u32_e32 v28, vcc, v26, v28, vcc
	global_store_short v[27:28], v7, off
	s_or_b64 exec, exec, s[42:43]
	s_and_saveexec_b64 s[42:43], s[20:21]
	s_cbranch_execz .LBB2202_213
.LBB2202_280:
	v_sub_u32_e32 v27, v19, v40
	v_mov_b32_e32 v28, 0
	v_lshlrev_b64 v[27:28], 1, v[27:28]
	v_add_co_u32_e32 v27, vcc, v25, v27
	v_addc_co_u32_e32 v28, vcc, v26, v28, vcc
	global_store_short v[27:28], v79, off
	s_or_b64 exec, exec, s[42:43]
	s_and_saveexec_b64 s[42:43], s[18:19]
	s_cbranch_execz .LBB2202_214
.LBB2202_281:
	v_sub_u32_e32 v27, v18, v40
	v_mov_b32_e32 v28, 0
	v_lshlrev_b64 v[27:28], 1, v[27:28]
	v_add_co_u32_e32 v27, vcc, v25, v27
	v_addc_co_u32_e32 v28, vcc, v26, v28, vcc
	global_store_short v[27:28], v8, off
	s_or_b64 exec, exec, s[42:43]
	s_and_saveexec_b64 s[42:43], s[16:17]
	s_cbranch_execz .LBB2202_215
.LBB2202_282:
	v_sub_u32_e32 v27, v17, v40
	v_mov_b32_e32 v28, 0
	v_lshlrev_b64 v[27:28], 1, v[27:28]
	v_add_co_u32_e32 v27, vcc, v25, v27
	v_addc_co_u32_e32 v28, vcc, v26, v28, vcc
	global_store_short v[27:28], v78, off
	s_or_b64 exec, exec, s[42:43]
	s_and_saveexec_b64 s[42:43], s[14:15]
	s_cbranch_execz .LBB2202_216
.LBB2202_283:
	v_sub_u32_e32 v27, v16, v40
	v_mov_b32_e32 v28, 0
	v_lshlrev_b64 v[27:28], 1, v[27:28]
	v_add_co_u32_e32 v27, vcc, v25, v27
	v_addc_co_u32_e32 v28, vcc, v26, v28, vcc
	global_store_short v[27:28], v33, off
	s_or_b64 exec, exec, s[42:43]
	s_and_saveexec_b64 s[42:43], s[12:13]
	s_cbranch_execz .LBB2202_217
.LBB2202_284:
	v_sub_u32_e32 v27, v15, v40
	v_mov_b32_e32 v28, 0
	v_lshlrev_b64 v[27:28], 1, v[27:28]
	v_add_co_u32_e32 v27, vcc, v25, v27
	v_addc_co_u32_e32 v28, vcc, v26, v28, vcc
	global_store_short v[27:28], v76, off
	s_or_b64 exec, exec, s[42:43]
	s_and_saveexec_b64 s[42:43], s[10:11]
	s_cbranch_execz .LBB2202_218
.LBB2202_285:
	v_sub_u32_e32 v27, v14, v40
	v_mov_b32_e32 v28, 0
	v_lshlrev_b64 v[27:28], 1, v[27:28]
	v_add_co_u32_e32 v27, vcc, v25, v27
	v_addc_co_u32_e32 v28, vcc, v26, v28, vcc
	global_store_short v[27:28], v34, off
	s_or_b64 exec, exec, s[42:43]
	s_and_saveexec_b64 s[42:43], s[8:9]
	s_cbranch_execz .LBB2202_219
.LBB2202_286:
	v_sub_u32_e32 v27, v13, v40
	v_mov_b32_e32 v28, 0
	v_lshlrev_b64 v[27:28], 1, v[27:28]
	v_add_co_u32_e32 v27, vcc, v25, v27
	v_addc_co_u32_e32 v28, vcc, v26, v28, vcc
	global_store_short v[27:28], v75, off
	s_or_b64 exec, exec, s[42:43]
	s_and_saveexec_b64 s[42:43], s[4:5]
	s_cbranch_execnz .LBB2202_220
	s_branch .LBB2202_221
.LBB2202_287:
	v_sub_u32_e32 v1, v37, v40
	v_lshlrev_b32_e32 v1, 1, v1
	ds_write_b16 v1, v77
	s_or_b64 exec, exec, s[42:43]
	s_and_saveexec_b64 s[34:35], s[30:31]
	s_cbranch_execz .LBB2202_225
.LBB2202_288:
	v_sub_u32_e32 v1, v24, v40
	v_lshlrev_b32_e32 v1, 1, v1
	ds_write_b16 v1, v5
	s_or_b64 exec, exec, s[34:35]
	s_and_saveexec_b64 s[30:31], s[28:29]
	s_cbranch_execz .LBB2202_226
.LBB2202_289:
	v_sub_u32_e32 v1, v23, v40
	v_lshlrev_b32_e32 v1, 1, v1
	ds_write_b16 v1, v81
	s_or_b64 exec, exec, s[30:31]
	s_and_saveexec_b64 s[28:29], s[26:27]
	s_cbranch_execz .LBB2202_227
.LBB2202_290:
	v_sub_u32_e32 v1, v22, v40
	v_lshlrev_b32_e32 v1, 1, v1
	ds_write_b16 v1, v6
	s_or_b64 exec, exec, s[28:29]
	s_and_saveexec_b64 s[26:27], s[24:25]
	s_cbranch_execz .LBB2202_228
.LBB2202_291:
	v_sub_u32_e32 v1, v21, v40
	v_lshlrev_b32_e32 v1, 1, v1
	ds_write_b16 v1, v80
	s_or_b64 exec, exec, s[26:27]
	s_and_saveexec_b64 s[24:25], s[22:23]
	s_cbranch_execz .LBB2202_229
.LBB2202_292:
	v_sub_u32_e32 v1, v20, v40
	v_lshlrev_b32_e32 v1, 1, v1
	ds_write_b16 v1, v7
	s_or_b64 exec, exec, s[24:25]
	s_and_saveexec_b64 s[22:23], s[20:21]
	s_cbranch_execz .LBB2202_230
.LBB2202_293:
	v_sub_u32_e32 v1, v19, v40
	v_lshlrev_b32_e32 v1, 1, v1
	ds_write_b16 v1, v79
	s_or_b64 exec, exec, s[22:23]
	s_and_saveexec_b64 s[20:21], s[18:19]
	s_cbranch_execz .LBB2202_231
.LBB2202_294:
	v_sub_u32_e32 v1, v18, v40
	v_lshlrev_b32_e32 v1, 1, v1
	ds_write_b16 v1, v8
	s_or_b64 exec, exec, s[20:21]
	s_and_saveexec_b64 s[18:19], s[16:17]
	s_cbranch_execz .LBB2202_232
.LBB2202_295:
	v_sub_u32_e32 v1, v17, v40
	v_lshlrev_b32_e32 v1, 1, v1
	ds_write_b16 v1, v78
	s_or_b64 exec, exec, s[18:19]
	s_and_saveexec_b64 s[16:17], s[14:15]
	s_cbranch_execz .LBB2202_233
.LBB2202_296:
	v_sub_u32_e32 v1, v16, v40
	v_lshlrev_b32_e32 v1, 1, v1
	ds_write_b16 v1, v33
	s_or_b64 exec, exec, s[16:17]
	s_and_saveexec_b64 s[14:15], s[12:13]
	s_cbranch_execz .LBB2202_234
.LBB2202_297:
	v_sub_u32_e32 v1, v15, v40
	v_lshlrev_b32_e32 v1, 1, v1
	ds_write_b16 v1, v76
	s_or_b64 exec, exec, s[14:15]
	s_and_saveexec_b64 s[12:13], s[10:11]
	s_cbranch_execz .LBB2202_235
.LBB2202_298:
	v_sub_u32_e32 v1, v14, v40
	v_lshlrev_b32_e32 v1, 1, v1
	ds_write_b16 v1, v34
	s_or_b64 exec, exec, s[12:13]
	s_and_saveexec_b64 s[10:11], s[8:9]
	s_cbranch_execz .LBB2202_236
.LBB2202_299:
	v_sub_u32_e32 v1, v13, v40
	v_lshlrev_b32_e32 v1, 1, v1
	ds_write_b16 v1, v75
	s_or_b64 exec, exec, s[10:11]
	s_and_saveexec_b64 s[8:9], s[4:5]
	s_cbranch_execnz .LBB2202_237
	s_branch .LBB2202_238
.LBB2202_300:
	v_sub_u32_e32 v26, v37, v8
	v_mov_b32_e32 v27, 0
	v_lshlrev_b64 v[26:27], 3, v[26:27]
	v_add_co_u32_e32 v26, vcc, v6, v26
	v_addc_co_u32_e32 v27, vcc, v7, v27, vcc
	global_store_dwordx2 v[26:27], v[66:67], off
	s_or_b64 exec, exec, s[42:43]
	s_and_saveexec_b64 s[42:43], s[30:31]
	s_cbranch_execz .LBB2202_242
.LBB2202_301:
	v_sub_u32_e32 v26, v24, v8
	v_mov_b32_e32 v27, 0
	v_lshlrev_b64 v[26:27], 3, v[26:27]
	v_add_co_u32_e32 v26, vcc, v6, v26
	v_addc_co_u32_e32 v27, vcc, v7, v27, vcc
	global_store_dwordx2 v[26:27], v[42:43], off
	s_or_b64 exec, exec, s[42:43]
	s_and_saveexec_b64 s[42:43], s[28:29]
	s_cbranch_execz .LBB2202_243
.LBB2202_302:
	v_sub_u32_e32 v26, v23, v8
	v_mov_b32_e32 v27, 0
	v_lshlrev_b64 v[26:27], 3, v[26:27]
	v_add_co_u32_e32 v26, vcc, v6, v26
	v_addc_co_u32_e32 v27, vcc, v7, v27, vcc
	global_store_dwordx2 v[26:27], v[44:45], off
	s_or_b64 exec, exec, s[42:43]
	s_and_saveexec_b64 s[42:43], s[26:27]
	s_cbranch_execz .LBB2202_244
.LBB2202_303:
	v_sub_u32_e32 v26, v22, v8
	v_mov_b32_e32 v27, 0
	v_lshlrev_b64 v[26:27], 3, v[26:27]
	v_add_co_u32_e32 v26, vcc, v6, v26
	v_addc_co_u32_e32 v27, vcc, v7, v27, vcc
	global_store_dwordx2 v[26:27], v[46:47], off
	s_or_b64 exec, exec, s[42:43]
	s_and_saveexec_b64 s[42:43], s[24:25]
	s_cbranch_execz .LBB2202_245
.LBB2202_304:
	v_sub_u32_e32 v26, v21, v8
	v_mov_b32_e32 v27, 0
	v_lshlrev_b64 v[26:27], 3, v[26:27]
	v_add_co_u32_e32 v26, vcc, v6, v26
	v_addc_co_u32_e32 v27, vcc, v7, v27, vcc
	global_store_dwordx2 v[26:27], v[48:49], off
	s_or_b64 exec, exec, s[42:43]
	s_and_saveexec_b64 s[42:43], s[22:23]
	s_cbranch_execz .LBB2202_246
.LBB2202_305:
	v_sub_u32_e32 v26, v20, v8
	v_mov_b32_e32 v27, 0
	v_lshlrev_b64 v[26:27], 3, v[26:27]
	v_add_co_u32_e32 v26, vcc, v6, v26
	v_addc_co_u32_e32 v27, vcc, v7, v27, vcc
	global_store_dwordx2 v[26:27], v[50:51], off
	s_or_b64 exec, exec, s[42:43]
	s_and_saveexec_b64 s[42:43], s[20:21]
	s_cbranch_execz .LBB2202_247
.LBB2202_306:
	v_sub_u32_e32 v26, v19, v8
	v_mov_b32_e32 v27, 0
	v_lshlrev_b64 v[26:27], 3, v[26:27]
	v_add_co_u32_e32 v26, vcc, v6, v26
	v_addc_co_u32_e32 v27, vcc, v7, v27, vcc
	global_store_dwordx2 v[26:27], v[52:53], off
	s_or_b64 exec, exec, s[42:43]
	s_and_saveexec_b64 s[42:43], s[18:19]
	s_cbranch_execz .LBB2202_248
.LBB2202_307:
	v_sub_u32_e32 v26, v18, v8
	v_mov_b32_e32 v27, 0
	v_lshlrev_b64 v[26:27], 3, v[26:27]
	v_add_co_u32_e32 v26, vcc, v6, v26
	v_addc_co_u32_e32 v27, vcc, v7, v27, vcc
	global_store_dwordx2 v[26:27], v[54:55], off
	s_or_b64 exec, exec, s[42:43]
	s_and_saveexec_b64 s[42:43], s[16:17]
	s_cbranch_execz .LBB2202_249
.LBB2202_308:
	v_sub_u32_e32 v26, v17, v8
	v_mov_b32_e32 v27, 0
	v_lshlrev_b64 v[26:27], 3, v[26:27]
	v_add_co_u32_e32 v26, vcc, v6, v26
	v_addc_co_u32_e32 v27, vcc, v7, v27, vcc
	global_store_dwordx2 v[26:27], v[56:57], off
	s_or_b64 exec, exec, s[42:43]
	s_and_saveexec_b64 s[42:43], s[14:15]
	s_cbranch_execz .LBB2202_250
.LBB2202_309:
	v_sub_u32_e32 v26, v16, v8
	v_mov_b32_e32 v27, 0
	v_lshlrev_b64 v[26:27], 3, v[26:27]
	v_add_co_u32_e32 v26, vcc, v6, v26
	v_addc_co_u32_e32 v27, vcc, v7, v27, vcc
	global_store_dwordx2 v[26:27], v[58:59], off
	s_or_b64 exec, exec, s[42:43]
	s_and_saveexec_b64 s[42:43], s[12:13]
	s_cbranch_execz .LBB2202_251
.LBB2202_310:
	v_sub_u32_e32 v26, v15, v8
	v_mov_b32_e32 v27, 0
	v_lshlrev_b64 v[26:27], 3, v[26:27]
	v_add_co_u32_e32 v26, vcc, v6, v26
	v_addc_co_u32_e32 v27, vcc, v7, v27, vcc
	global_store_dwordx2 v[26:27], v[60:61], off
	s_or_b64 exec, exec, s[42:43]
	s_and_saveexec_b64 s[42:43], s[8:9]
	s_cbranch_execz .LBB2202_252
.LBB2202_311:
	v_sub_u32_e32 v26, v14, v8
	v_mov_b32_e32 v27, 0
	v_lshlrev_b64 v[26:27], 3, v[26:27]
	v_add_co_u32_e32 v26, vcc, v6, v26
	v_addc_co_u32_e32 v27, vcc, v7, v27, vcc
	global_store_dwordx2 v[26:27], v[62:63], off
	s_or_b64 exec, exec, s[42:43]
	s_and_saveexec_b64 s[42:43], s[10:11]
	s_cbranch_execz .LBB2202_253
.LBB2202_312:
	v_sub_u32_e32 v26, v13, v8
	v_mov_b32_e32 v27, 0
	v_lshlrev_b64 v[26:27], 3, v[26:27]
	v_add_co_u32_e32 v26, vcc, v6, v26
	v_addc_co_u32_e32 v27, vcc, v7, v27, vcc
	global_store_dwordx2 v[26:27], v[64:65], off
	s_or_b64 exec, exec, s[42:43]
	s_and_saveexec_b64 s[42:43], s[6:7]
	s_cbranch_execnz .LBB2202_254
	s_branch .LBB2202_255
.LBB2202_313:
	v_sub_u32_e32 v25, v37, v8
	v_lshlrev_b32_e32 v25, 3, v25
	ds_write_b64 v25, v[66:67]
	s_or_b64 exec, exec, s[42:43]
	s_and_saveexec_b64 s[34:35], s[30:31]
	s_cbranch_execz .LBB2202_259
.LBB2202_314:
	v_sub_u32_e32 v24, v24, v8
	v_lshlrev_b32_e32 v24, 3, v24
	ds_write_b64 v24, v[42:43]
	s_or_b64 exec, exec, s[34:35]
	s_and_saveexec_b64 s[30:31], s[28:29]
	s_cbranch_execz .LBB2202_260
.LBB2202_315:
	v_sub_u32_e32 v23, v23, v8
	v_lshlrev_b32_e32 v23, 3, v23
	ds_write_b64 v23, v[44:45]
	s_or_b64 exec, exec, s[30:31]
	s_and_saveexec_b64 s[28:29], s[26:27]
	s_cbranch_execz .LBB2202_261
.LBB2202_316:
	v_sub_u32_e32 v22, v22, v8
	v_lshlrev_b32_e32 v22, 3, v22
	ds_write_b64 v22, v[46:47]
	s_or_b64 exec, exec, s[28:29]
	s_and_saveexec_b64 s[26:27], s[24:25]
	s_cbranch_execz .LBB2202_262
.LBB2202_317:
	v_sub_u32_e32 v21, v21, v8
	v_lshlrev_b32_e32 v21, 3, v21
	ds_write_b64 v21, v[48:49]
	s_or_b64 exec, exec, s[26:27]
	s_and_saveexec_b64 s[24:25], s[22:23]
	s_cbranch_execz .LBB2202_263
.LBB2202_318:
	v_sub_u32_e32 v20, v20, v8
	v_lshlrev_b32_e32 v20, 3, v20
	ds_write_b64 v20, v[50:51]
	s_or_b64 exec, exec, s[24:25]
	s_and_saveexec_b64 s[22:23], s[20:21]
	s_cbranch_execz .LBB2202_264
.LBB2202_319:
	v_sub_u32_e32 v19, v19, v8
	v_lshlrev_b32_e32 v19, 3, v19
	ds_write_b64 v19, v[52:53]
	s_or_b64 exec, exec, s[22:23]
	s_and_saveexec_b64 s[20:21], s[18:19]
	s_cbranch_execz .LBB2202_265
.LBB2202_320:
	v_sub_u32_e32 v18, v18, v8
	v_lshlrev_b32_e32 v18, 3, v18
	ds_write_b64 v18, v[54:55]
	s_or_b64 exec, exec, s[20:21]
	s_and_saveexec_b64 s[18:19], s[16:17]
	s_cbranch_execz .LBB2202_266
.LBB2202_321:
	v_sub_u32_e32 v17, v17, v8
	v_lshlrev_b32_e32 v17, 3, v17
	ds_write_b64 v17, v[56:57]
	s_or_b64 exec, exec, s[18:19]
	s_and_saveexec_b64 s[16:17], s[14:15]
	s_cbranch_execz .LBB2202_267
.LBB2202_322:
	v_sub_u32_e32 v16, v16, v8
	v_lshlrev_b32_e32 v16, 3, v16
	ds_write_b64 v16, v[58:59]
	s_or_b64 exec, exec, s[16:17]
	s_and_saveexec_b64 s[14:15], s[12:13]
	s_cbranch_execz .LBB2202_268
.LBB2202_323:
	v_sub_u32_e32 v15, v15, v8
	v_lshlrev_b32_e32 v15, 3, v15
	ds_write_b64 v15, v[60:61]
	s_or_b64 exec, exec, s[14:15]
	s_and_saveexec_b64 s[12:13], s[8:9]
	s_cbranch_execz .LBB2202_269
.LBB2202_324:
	v_sub_u32_e32 v14, v14, v8
	v_lshlrev_b32_e32 v14, 3, v14
	ds_write_b64 v14, v[62:63]
	s_or_b64 exec, exec, s[12:13]
	s_and_saveexec_b64 s[8:9], s[10:11]
	s_cbranch_execz .LBB2202_270
.LBB2202_325:
	v_sub_u32_e32 v13, v13, v8
	v_lshlrev_b32_e32 v13, 3, v13
	ds_write_b64 v13, v[64:65]
	s_or_b64 exec, exec, s[8:9]
	s_and_saveexec_b64 s[8:9], s[6:7]
	s_cbranch_execnz .LBB2202_271
	s_branch .LBB2202_272
	.section	.rodata,"a",@progbits
	.p2align	6, 0x0
	.amdhsa_kernel _ZN7rocprim17ROCPRIM_400000_NS6detail17trampoline_kernelINS0_14default_configENS1_29reduce_by_key_config_selectorIN3c104HalfElN6thrust23THRUST_200600_302600_NS4plusIlEEEEZZNS1_33reduce_by_key_impl_wrapped_configILNS1_25lookback_scan_determinismE0ES3_SB_PS6_NS8_17constant_iteratorIiNS8_11use_defaultESG_EENS8_10device_ptrIS6_EENSI_IlEEPmSA_NS8_8equal_toIS6_EEEE10hipError_tPvRmT2_T3_mT4_T5_T6_T7_T8_P12ihipStream_tbENKUlT_T0_E_clISt17integral_constantIbLb0EES15_EEDaS10_S11_EUlS10_E_NS1_11comp_targetILNS1_3genE2ELNS1_11target_archE906ELNS1_3gpuE6ELNS1_3repE0EEENS1_30default_config_static_selectorELNS0_4arch9wavefront6targetE1EEEvT1_
		.amdhsa_group_segment_fixed_size 30720
		.amdhsa_private_segment_fixed_size 64
		.amdhsa_kernarg_size 144
		.amdhsa_user_sgpr_count 6
		.amdhsa_user_sgpr_private_segment_buffer 1
		.amdhsa_user_sgpr_dispatch_ptr 0
		.amdhsa_user_sgpr_queue_ptr 0
		.amdhsa_user_sgpr_kernarg_segment_ptr 1
		.amdhsa_user_sgpr_dispatch_id 0
		.amdhsa_user_sgpr_flat_scratch_init 0
		.amdhsa_user_sgpr_private_segment_size 0
		.amdhsa_uses_dynamic_stack 0
		.amdhsa_system_sgpr_private_segment_wavefront_offset 1
		.amdhsa_system_sgpr_workgroup_id_x 1
		.amdhsa_system_sgpr_workgroup_id_y 0
		.amdhsa_system_sgpr_workgroup_id_z 0
		.amdhsa_system_sgpr_workgroup_info 0
		.amdhsa_system_vgpr_workitem_id 0
		.amdhsa_next_free_vgpr 106
		.amdhsa_next_free_sgpr 98
		.amdhsa_reserve_vcc 1
		.amdhsa_reserve_flat_scratch 0
		.amdhsa_float_round_mode_32 0
		.amdhsa_float_round_mode_16_64 0
		.amdhsa_float_denorm_mode_32 3
		.amdhsa_float_denorm_mode_16_64 3
		.amdhsa_dx10_clamp 1
		.amdhsa_ieee_mode 1
		.amdhsa_fp16_overflow 0
		.amdhsa_exception_fp_ieee_invalid_op 0
		.amdhsa_exception_fp_denorm_src 0
		.amdhsa_exception_fp_ieee_div_zero 0
		.amdhsa_exception_fp_ieee_overflow 0
		.amdhsa_exception_fp_ieee_underflow 0
		.amdhsa_exception_fp_ieee_inexact 0
		.amdhsa_exception_int_div_zero 0
	.end_amdhsa_kernel
	.section	.text._ZN7rocprim17ROCPRIM_400000_NS6detail17trampoline_kernelINS0_14default_configENS1_29reduce_by_key_config_selectorIN3c104HalfElN6thrust23THRUST_200600_302600_NS4plusIlEEEEZZNS1_33reduce_by_key_impl_wrapped_configILNS1_25lookback_scan_determinismE0ES3_SB_PS6_NS8_17constant_iteratorIiNS8_11use_defaultESG_EENS8_10device_ptrIS6_EENSI_IlEEPmSA_NS8_8equal_toIS6_EEEE10hipError_tPvRmT2_T3_mT4_T5_T6_T7_T8_P12ihipStream_tbENKUlT_T0_E_clISt17integral_constantIbLb0EES15_EEDaS10_S11_EUlS10_E_NS1_11comp_targetILNS1_3genE2ELNS1_11target_archE906ELNS1_3gpuE6ELNS1_3repE0EEENS1_30default_config_static_selectorELNS0_4arch9wavefront6targetE1EEEvT1_,"axG",@progbits,_ZN7rocprim17ROCPRIM_400000_NS6detail17trampoline_kernelINS0_14default_configENS1_29reduce_by_key_config_selectorIN3c104HalfElN6thrust23THRUST_200600_302600_NS4plusIlEEEEZZNS1_33reduce_by_key_impl_wrapped_configILNS1_25lookback_scan_determinismE0ES3_SB_PS6_NS8_17constant_iteratorIiNS8_11use_defaultESG_EENS8_10device_ptrIS6_EENSI_IlEEPmSA_NS8_8equal_toIS6_EEEE10hipError_tPvRmT2_T3_mT4_T5_T6_T7_T8_P12ihipStream_tbENKUlT_T0_E_clISt17integral_constantIbLb0EES15_EEDaS10_S11_EUlS10_E_NS1_11comp_targetILNS1_3genE2ELNS1_11target_archE906ELNS1_3gpuE6ELNS1_3repE0EEENS1_30default_config_static_selectorELNS0_4arch9wavefront6targetE1EEEvT1_,comdat
.Lfunc_end2202:
	.size	_ZN7rocprim17ROCPRIM_400000_NS6detail17trampoline_kernelINS0_14default_configENS1_29reduce_by_key_config_selectorIN3c104HalfElN6thrust23THRUST_200600_302600_NS4plusIlEEEEZZNS1_33reduce_by_key_impl_wrapped_configILNS1_25lookback_scan_determinismE0ES3_SB_PS6_NS8_17constant_iteratorIiNS8_11use_defaultESG_EENS8_10device_ptrIS6_EENSI_IlEEPmSA_NS8_8equal_toIS6_EEEE10hipError_tPvRmT2_T3_mT4_T5_T6_T7_T8_P12ihipStream_tbENKUlT_T0_E_clISt17integral_constantIbLb0EES15_EEDaS10_S11_EUlS10_E_NS1_11comp_targetILNS1_3genE2ELNS1_11target_archE906ELNS1_3gpuE6ELNS1_3repE0EEENS1_30default_config_static_selectorELNS0_4arch9wavefront6targetE1EEEvT1_, .Lfunc_end2202-_ZN7rocprim17ROCPRIM_400000_NS6detail17trampoline_kernelINS0_14default_configENS1_29reduce_by_key_config_selectorIN3c104HalfElN6thrust23THRUST_200600_302600_NS4plusIlEEEEZZNS1_33reduce_by_key_impl_wrapped_configILNS1_25lookback_scan_determinismE0ES3_SB_PS6_NS8_17constant_iteratorIiNS8_11use_defaultESG_EENS8_10device_ptrIS6_EENSI_IlEEPmSA_NS8_8equal_toIS6_EEEE10hipError_tPvRmT2_T3_mT4_T5_T6_T7_T8_P12ihipStream_tbENKUlT_T0_E_clISt17integral_constantIbLb0EES15_EEDaS10_S11_EUlS10_E_NS1_11comp_targetILNS1_3genE2ELNS1_11target_archE906ELNS1_3gpuE6ELNS1_3repE0EEENS1_30default_config_static_selectorELNS0_4arch9wavefront6targetE1EEEvT1_
                                        ; -- End function
	.set _ZN7rocprim17ROCPRIM_400000_NS6detail17trampoline_kernelINS0_14default_configENS1_29reduce_by_key_config_selectorIN3c104HalfElN6thrust23THRUST_200600_302600_NS4plusIlEEEEZZNS1_33reduce_by_key_impl_wrapped_configILNS1_25lookback_scan_determinismE0ES3_SB_PS6_NS8_17constant_iteratorIiNS8_11use_defaultESG_EENS8_10device_ptrIS6_EENSI_IlEEPmSA_NS8_8equal_toIS6_EEEE10hipError_tPvRmT2_T3_mT4_T5_T6_T7_T8_P12ihipStream_tbENKUlT_T0_E_clISt17integral_constantIbLb0EES15_EEDaS10_S11_EUlS10_E_NS1_11comp_targetILNS1_3genE2ELNS1_11target_archE906ELNS1_3gpuE6ELNS1_3repE0EEENS1_30default_config_static_selectorELNS0_4arch9wavefront6targetE1EEEvT1_.num_vgpr, 106
	.set _ZN7rocprim17ROCPRIM_400000_NS6detail17trampoline_kernelINS0_14default_configENS1_29reduce_by_key_config_selectorIN3c104HalfElN6thrust23THRUST_200600_302600_NS4plusIlEEEEZZNS1_33reduce_by_key_impl_wrapped_configILNS1_25lookback_scan_determinismE0ES3_SB_PS6_NS8_17constant_iteratorIiNS8_11use_defaultESG_EENS8_10device_ptrIS6_EENSI_IlEEPmSA_NS8_8equal_toIS6_EEEE10hipError_tPvRmT2_T3_mT4_T5_T6_T7_T8_P12ihipStream_tbENKUlT_T0_E_clISt17integral_constantIbLb0EES15_EEDaS10_S11_EUlS10_E_NS1_11comp_targetILNS1_3genE2ELNS1_11target_archE906ELNS1_3gpuE6ELNS1_3repE0EEENS1_30default_config_static_selectorELNS0_4arch9wavefront6targetE1EEEvT1_.num_agpr, 0
	.set _ZN7rocprim17ROCPRIM_400000_NS6detail17trampoline_kernelINS0_14default_configENS1_29reduce_by_key_config_selectorIN3c104HalfElN6thrust23THRUST_200600_302600_NS4plusIlEEEEZZNS1_33reduce_by_key_impl_wrapped_configILNS1_25lookback_scan_determinismE0ES3_SB_PS6_NS8_17constant_iteratorIiNS8_11use_defaultESG_EENS8_10device_ptrIS6_EENSI_IlEEPmSA_NS8_8equal_toIS6_EEEE10hipError_tPvRmT2_T3_mT4_T5_T6_T7_T8_P12ihipStream_tbENKUlT_T0_E_clISt17integral_constantIbLb0EES15_EEDaS10_S11_EUlS10_E_NS1_11comp_targetILNS1_3genE2ELNS1_11target_archE906ELNS1_3gpuE6ELNS1_3repE0EEENS1_30default_config_static_selectorELNS0_4arch9wavefront6targetE1EEEvT1_.numbered_sgpr, 66
	.set _ZN7rocprim17ROCPRIM_400000_NS6detail17trampoline_kernelINS0_14default_configENS1_29reduce_by_key_config_selectorIN3c104HalfElN6thrust23THRUST_200600_302600_NS4plusIlEEEEZZNS1_33reduce_by_key_impl_wrapped_configILNS1_25lookback_scan_determinismE0ES3_SB_PS6_NS8_17constant_iteratorIiNS8_11use_defaultESG_EENS8_10device_ptrIS6_EENSI_IlEEPmSA_NS8_8equal_toIS6_EEEE10hipError_tPvRmT2_T3_mT4_T5_T6_T7_T8_P12ihipStream_tbENKUlT_T0_E_clISt17integral_constantIbLb0EES15_EEDaS10_S11_EUlS10_E_NS1_11comp_targetILNS1_3genE2ELNS1_11target_archE906ELNS1_3gpuE6ELNS1_3repE0EEENS1_30default_config_static_selectorELNS0_4arch9wavefront6targetE1EEEvT1_.num_named_barrier, 0
	.set _ZN7rocprim17ROCPRIM_400000_NS6detail17trampoline_kernelINS0_14default_configENS1_29reduce_by_key_config_selectorIN3c104HalfElN6thrust23THRUST_200600_302600_NS4plusIlEEEEZZNS1_33reduce_by_key_impl_wrapped_configILNS1_25lookback_scan_determinismE0ES3_SB_PS6_NS8_17constant_iteratorIiNS8_11use_defaultESG_EENS8_10device_ptrIS6_EENSI_IlEEPmSA_NS8_8equal_toIS6_EEEE10hipError_tPvRmT2_T3_mT4_T5_T6_T7_T8_P12ihipStream_tbENKUlT_T0_E_clISt17integral_constantIbLb0EES15_EEDaS10_S11_EUlS10_E_NS1_11comp_targetILNS1_3genE2ELNS1_11target_archE906ELNS1_3gpuE6ELNS1_3repE0EEENS1_30default_config_static_selectorELNS0_4arch9wavefront6targetE1EEEvT1_.private_seg_size, 64
	.set _ZN7rocprim17ROCPRIM_400000_NS6detail17trampoline_kernelINS0_14default_configENS1_29reduce_by_key_config_selectorIN3c104HalfElN6thrust23THRUST_200600_302600_NS4plusIlEEEEZZNS1_33reduce_by_key_impl_wrapped_configILNS1_25lookback_scan_determinismE0ES3_SB_PS6_NS8_17constant_iteratorIiNS8_11use_defaultESG_EENS8_10device_ptrIS6_EENSI_IlEEPmSA_NS8_8equal_toIS6_EEEE10hipError_tPvRmT2_T3_mT4_T5_T6_T7_T8_P12ihipStream_tbENKUlT_T0_E_clISt17integral_constantIbLb0EES15_EEDaS10_S11_EUlS10_E_NS1_11comp_targetILNS1_3genE2ELNS1_11target_archE906ELNS1_3gpuE6ELNS1_3repE0EEENS1_30default_config_static_selectorELNS0_4arch9wavefront6targetE1EEEvT1_.uses_vcc, 1
	.set _ZN7rocprim17ROCPRIM_400000_NS6detail17trampoline_kernelINS0_14default_configENS1_29reduce_by_key_config_selectorIN3c104HalfElN6thrust23THRUST_200600_302600_NS4plusIlEEEEZZNS1_33reduce_by_key_impl_wrapped_configILNS1_25lookback_scan_determinismE0ES3_SB_PS6_NS8_17constant_iteratorIiNS8_11use_defaultESG_EENS8_10device_ptrIS6_EENSI_IlEEPmSA_NS8_8equal_toIS6_EEEE10hipError_tPvRmT2_T3_mT4_T5_T6_T7_T8_P12ihipStream_tbENKUlT_T0_E_clISt17integral_constantIbLb0EES15_EEDaS10_S11_EUlS10_E_NS1_11comp_targetILNS1_3genE2ELNS1_11target_archE906ELNS1_3gpuE6ELNS1_3repE0EEENS1_30default_config_static_selectorELNS0_4arch9wavefront6targetE1EEEvT1_.uses_flat_scratch, 0
	.set _ZN7rocprim17ROCPRIM_400000_NS6detail17trampoline_kernelINS0_14default_configENS1_29reduce_by_key_config_selectorIN3c104HalfElN6thrust23THRUST_200600_302600_NS4plusIlEEEEZZNS1_33reduce_by_key_impl_wrapped_configILNS1_25lookback_scan_determinismE0ES3_SB_PS6_NS8_17constant_iteratorIiNS8_11use_defaultESG_EENS8_10device_ptrIS6_EENSI_IlEEPmSA_NS8_8equal_toIS6_EEEE10hipError_tPvRmT2_T3_mT4_T5_T6_T7_T8_P12ihipStream_tbENKUlT_T0_E_clISt17integral_constantIbLb0EES15_EEDaS10_S11_EUlS10_E_NS1_11comp_targetILNS1_3genE2ELNS1_11target_archE906ELNS1_3gpuE6ELNS1_3repE0EEENS1_30default_config_static_selectorELNS0_4arch9wavefront6targetE1EEEvT1_.has_dyn_sized_stack, 0
	.set _ZN7rocprim17ROCPRIM_400000_NS6detail17trampoline_kernelINS0_14default_configENS1_29reduce_by_key_config_selectorIN3c104HalfElN6thrust23THRUST_200600_302600_NS4plusIlEEEEZZNS1_33reduce_by_key_impl_wrapped_configILNS1_25lookback_scan_determinismE0ES3_SB_PS6_NS8_17constant_iteratorIiNS8_11use_defaultESG_EENS8_10device_ptrIS6_EENSI_IlEEPmSA_NS8_8equal_toIS6_EEEE10hipError_tPvRmT2_T3_mT4_T5_T6_T7_T8_P12ihipStream_tbENKUlT_T0_E_clISt17integral_constantIbLb0EES15_EEDaS10_S11_EUlS10_E_NS1_11comp_targetILNS1_3genE2ELNS1_11target_archE906ELNS1_3gpuE6ELNS1_3repE0EEENS1_30default_config_static_selectorELNS0_4arch9wavefront6targetE1EEEvT1_.has_recursion, 0
	.set _ZN7rocprim17ROCPRIM_400000_NS6detail17trampoline_kernelINS0_14default_configENS1_29reduce_by_key_config_selectorIN3c104HalfElN6thrust23THRUST_200600_302600_NS4plusIlEEEEZZNS1_33reduce_by_key_impl_wrapped_configILNS1_25lookback_scan_determinismE0ES3_SB_PS6_NS8_17constant_iteratorIiNS8_11use_defaultESG_EENS8_10device_ptrIS6_EENSI_IlEEPmSA_NS8_8equal_toIS6_EEEE10hipError_tPvRmT2_T3_mT4_T5_T6_T7_T8_P12ihipStream_tbENKUlT_T0_E_clISt17integral_constantIbLb0EES15_EEDaS10_S11_EUlS10_E_NS1_11comp_targetILNS1_3genE2ELNS1_11target_archE906ELNS1_3gpuE6ELNS1_3repE0EEENS1_30default_config_static_selectorELNS0_4arch9wavefront6targetE1EEEvT1_.has_indirect_call, 0
	.section	.AMDGPU.csdata,"",@progbits
; Kernel info:
; codeLenInByte = 17300
; TotalNumSgprs: 70
; NumVgprs: 106
; ScratchSize: 64
; MemoryBound: 0
; FloatMode: 240
; IeeeMode: 1
; LDSByteSize: 30720 bytes/workgroup (compile time only)
; SGPRBlocks: 12
; VGPRBlocks: 26
; NumSGPRsForWavesPerEU: 102
; NumVGPRsForWavesPerEU: 106
; Occupancy: 2
; WaveLimiterHint : 1
; COMPUTE_PGM_RSRC2:SCRATCH_EN: 1
; COMPUTE_PGM_RSRC2:USER_SGPR: 6
; COMPUTE_PGM_RSRC2:TRAP_HANDLER: 0
; COMPUTE_PGM_RSRC2:TGID_X_EN: 1
; COMPUTE_PGM_RSRC2:TGID_Y_EN: 0
; COMPUTE_PGM_RSRC2:TGID_Z_EN: 0
; COMPUTE_PGM_RSRC2:TIDIG_COMP_CNT: 0
	.section	.text._ZN7rocprim17ROCPRIM_400000_NS6detail17trampoline_kernelINS0_14default_configENS1_29reduce_by_key_config_selectorIN3c104HalfElN6thrust23THRUST_200600_302600_NS4plusIlEEEEZZNS1_33reduce_by_key_impl_wrapped_configILNS1_25lookback_scan_determinismE0ES3_SB_PS6_NS8_17constant_iteratorIiNS8_11use_defaultESG_EENS8_10device_ptrIS6_EENSI_IlEEPmSA_NS8_8equal_toIS6_EEEE10hipError_tPvRmT2_T3_mT4_T5_T6_T7_T8_P12ihipStream_tbENKUlT_T0_E_clISt17integral_constantIbLb0EES15_EEDaS10_S11_EUlS10_E_NS1_11comp_targetILNS1_3genE10ELNS1_11target_archE1201ELNS1_3gpuE5ELNS1_3repE0EEENS1_30default_config_static_selectorELNS0_4arch9wavefront6targetE1EEEvT1_,"axG",@progbits,_ZN7rocprim17ROCPRIM_400000_NS6detail17trampoline_kernelINS0_14default_configENS1_29reduce_by_key_config_selectorIN3c104HalfElN6thrust23THRUST_200600_302600_NS4plusIlEEEEZZNS1_33reduce_by_key_impl_wrapped_configILNS1_25lookback_scan_determinismE0ES3_SB_PS6_NS8_17constant_iteratorIiNS8_11use_defaultESG_EENS8_10device_ptrIS6_EENSI_IlEEPmSA_NS8_8equal_toIS6_EEEE10hipError_tPvRmT2_T3_mT4_T5_T6_T7_T8_P12ihipStream_tbENKUlT_T0_E_clISt17integral_constantIbLb0EES15_EEDaS10_S11_EUlS10_E_NS1_11comp_targetILNS1_3genE10ELNS1_11target_archE1201ELNS1_3gpuE5ELNS1_3repE0EEENS1_30default_config_static_selectorELNS0_4arch9wavefront6targetE1EEEvT1_,comdat
	.protected	_ZN7rocprim17ROCPRIM_400000_NS6detail17trampoline_kernelINS0_14default_configENS1_29reduce_by_key_config_selectorIN3c104HalfElN6thrust23THRUST_200600_302600_NS4plusIlEEEEZZNS1_33reduce_by_key_impl_wrapped_configILNS1_25lookback_scan_determinismE0ES3_SB_PS6_NS8_17constant_iteratorIiNS8_11use_defaultESG_EENS8_10device_ptrIS6_EENSI_IlEEPmSA_NS8_8equal_toIS6_EEEE10hipError_tPvRmT2_T3_mT4_T5_T6_T7_T8_P12ihipStream_tbENKUlT_T0_E_clISt17integral_constantIbLb0EES15_EEDaS10_S11_EUlS10_E_NS1_11comp_targetILNS1_3genE10ELNS1_11target_archE1201ELNS1_3gpuE5ELNS1_3repE0EEENS1_30default_config_static_selectorELNS0_4arch9wavefront6targetE1EEEvT1_ ; -- Begin function _ZN7rocprim17ROCPRIM_400000_NS6detail17trampoline_kernelINS0_14default_configENS1_29reduce_by_key_config_selectorIN3c104HalfElN6thrust23THRUST_200600_302600_NS4plusIlEEEEZZNS1_33reduce_by_key_impl_wrapped_configILNS1_25lookback_scan_determinismE0ES3_SB_PS6_NS8_17constant_iteratorIiNS8_11use_defaultESG_EENS8_10device_ptrIS6_EENSI_IlEEPmSA_NS8_8equal_toIS6_EEEE10hipError_tPvRmT2_T3_mT4_T5_T6_T7_T8_P12ihipStream_tbENKUlT_T0_E_clISt17integral_constantIbLb0EES15_EEDaS10_S11_EUlS10_E_NS1_11comp_targetILNS1_3genE10ELNS1_11target_archE1201ELNS1_3gpuE5ELNS1_3repE0EEENS1_30default_config_static_selectorELNS0_4arch9wavefront6targetE1EEEvT1_
	.globl	_ZN7rocprim17ROCPRIM_400000_NS6detail17trampoline_kernelINS0_14default_configENS1_29reduce_by_key_config_selectorIN3c104HalfElN6thrust23THRUST_200600_302600_NS4plusIlEEEEZZNS1_33reduce_by_key_impl_wrapped_configILNS1_25lookback_scan_determinismE0ES3_SB_PS6_NS8_17constant_iteratorIiNS8_11use_defaultESG_EENS8_10device_ptrIS6_EENSI_IlEEPmSA_NS8_8equal_toIS6_EEEE10hipError_tPvRmT2_T3_mT4_T5_T6_T7_T8_P12ihipStream_tbENKUlT_T0_E_clISt17integral_constantIbLb0EES15_EEDaS10_S11_EUlS10_E_NS1_11comp_targetILNS1_3genE10ELNS1_11target_archE1201ELNS1_3gpuE5ELNS1_3repE0EEENS1_30default_config_static_selectorELNS0_4arch9wavefront6targetE1EEEvT1_
	.p2align	8
	.type	_ZN7rocprim17ROCPRIM_400000_NS6detail17trampoline_kernelINS0_14default_configENS1_29reduce_by_key_config_selectorIN3c104HalfElN6thrust23THRUST_200600_302600_NS4plusIlEEEEZZNS1_33reduce_by_key_impl_wrapped_configILNS1_25lookback_scan_determinismE0ES3_SB_PS6_NS8_17constant_iteratorIiNS8_11use_defaultESG_EENS8_10device_ptrIS6_EENSI_IlEEPmSA_NS8_8equal_toIS6_EEEE10hipError_tPvRmT2_T3_mT4_T5_T6_T7_T8_P12ihipStream_tbENKUlT_T0_E_clISt17integral_constantIbLb0EES15_EEDaS10_S11_EUlS10_E_NS1_11comp_targetILNS1_3genE10ELNS1_11target_archE1201ELNS1_3gpuE5ELNS1_3repE0EEENS1_30default_config_static_selectorELNS0_4arch9wavefront6targetE1EEEvT1_,@function
_ZN7rocprim17ROCPRIM_400000_NS6detail17trampoline_kernelINS0_14default_configENS1_29reduce_by_key_config_selectorIN3c104HalfElN6thrust23THRUST_200600_302600_NS4plusIlEEEEZZNS1_33reduce_by_key_impl_wrapped_configILNS1_25lookback_scan_determinismE0ES3_SB_PS6_NS8_17constant_iteratorIiNS8_11use_defaultESG_EENS8_10device_ptrIS6_EENSI_IlEEPmSA_NS8_8equal_toIS6_EEEE10hipError_tPvRmT2_T3_mT4_T5_T6_T7_T8_P12ihipStream_tbENKUlT_T0_E_clISt17integral_constantIbLb0EES15_EEDaS10_S11_EUlS10_E_NS1_11comp_targetILNS1_3genE10ELNS1_11target_archE1201ELNS1_3gpuE5ELNS1_3repE0EEENS1_30default_config_static_selectorELNS0_4arch9wavefront6targetE1EEEvT1_: ; @_ZN7rocprim17ROCPRIM_400000_NS6detail17trampoline_kernelINS0_14default_configENS1_29reduce_by_key_config_selectorIN3c104HalfElN6thrust23THRUST_200600_302600_NS4plusIlEEEEZZNS1_33reduce_by_key_impl_wrapped_configILNS1_25lookback_scan_determinismE0ES3_SB_PS6_NS8_17constant_iteratorIiNS8_11use_defaultESG_EENS8_10device_ptrIS6_EENSI_IlEEPmSA_NS8_8equal_toIS6_EEEE10hipError_tPvRmT2_T3_mT4_T5_T6_T7_T8_P12ihipStream_tbENKUlT_T0_E_clISt17integral_constantIbLb0EES15_EEDaS10_S11_EUlS10_E_NS1_11comp_targetILNS1_3genE10ELNS1_11target_archE1201ELNS1_3gpuE5ELNS1_3repE0EEENS1_30default_config_static_selectorELNS0_4arch9wavefront6targetE1EEEvT1_
; %bb.0:
	.section	.rodata,"a",@progbits
	.p2align	6, 0x0
	.amdhsa_kernel _ZN7rocprim17ROCPRIM_400000_NS6detail17trampoline_kernelINS0_14default_configENS1_29reduce_by_key_config_selectorIN3c104HalfElN6thrust23THRUST_200600_302600_NS4plusIlEEEEZZNS1_33reduce_by_key_impl_wrapped_configILNS1_25lookback_scan_determinismE0ES3_SB_PS6_NS8_17constant_iteratorIiNS8_11use_defaultESG_EENS8_10device_ptrIS6_EENSI_IlEEPmSA_NS8_8equal_toIS6_EEEE10hipError_tPvRmT2_T3_mT4_T5_T6_T7_T8_P12ihipStream_tbENKUlT_T0_E_clISt17integral_constantIbLb0EES15_EEDaS10_S11_EUlS10_E_NS1_11comp_targetILNS1_3genE10ELNS1_11target_archE1201ELNS1_3gpuE5ELNS1_3repE0EEENS1_30default_config_static_selectorELNS0_4arch9wavefront6targetE1EEEvT1_
		.amdhsa_group_segment_fixed_size 0
		.amdhsa_private_segment_fixed_size 0
		.amdhsa_kernarg_size 144
		.amdhsa_user_sgpr_count 6
		.amdhsa_user_sgpr_private_segment_buffer 1
		.amdhsa_user_sgpr_dispatch_ptr 0
		.amdhsa_user_sgpr_queue_ptr 0
		.amdhsa_user_sgpr_kernarg_segment_ptr 1
		.amdhsa_user_sgpr_dispatch_id 0
		.amdhsa_user_sgpr_flat_scratch_init 0
		.amdhsa_user_sgpr_private_segment_size 0
		.amdhsa_uses_dynamic_stack 0
		.amdhsa_system_sgpr_private_segment_wavefront_offset 0
		.amdhsa_system_sgpr_workgroup_id_x 1
		.amdhsa_system_sgpr_workgroup_id_y 0
		.amdhsa_system_sgpr_workgroup_id_z 0
		.amdhsa_system_sgpr_workgroup_info 0
		.amdhsa_system_vgpr_workitem_id 0
		.amdhsa_next_free_vgpr 1
		.amdhsa_next_free_sgpr 0
		.amdhsa_reserve_vcc 0
		.amdhsa_reserve_flat_scratch 0
		.amdhsa_float_round_mode_32 0
		.amdhsa_float_round_mode_16_64 0
		.amdhsa_float_denorm_mode_32 3
		.amdhsa_float_denorm_mode_16_64 3
		.amdhsa_dx10_clamp 1
		.amdhsa_ieee_mode 1
		.amdhsa_fp16_overflow 0
		.amdhsa_exception_fp_ieee_invalid_op 0
		.amdhsa_exception_fp_denorm_src 0
		.amdhsa_exception_fp_ieee_div_zero 0
		.amdhsa_exception_fp_ieee_overflow 0
		.amdhsa_exception_fp_ieee_underflow 0
		.amdhsa_exception_fp_ieee_inexact 0
		.amdhsa_exception_int_div_zero 0
	.end_amdhsa_kernel
	.section	.text._ZN7rocprim17ROCPRIM_400000_NS6detail17trampoline_kernelINS0_14default_configENS1_29reduce_by_key_config_selectorIN3c104HalfElN6thrust23THRUST_200600_302600_NS4plusIlEEEEZZNS1_33reduce_by_key_impl_wrapped_configILNS1_25lookback_scan_determinismE0ES3_SB_PS6_NS8_17constant_iteratorIiNS8_11use_defaultESG_EENS8_10device_ptrIS6_EENSI_IlEEPmSA_NS8_8equal_toIS6_EEEE10hipError_tPvRmT2_T3_mT4_T5_T6_T7_T8_P12ihipStream_tbENKUlT_T0_E_clISt17integral_constantIbLb0EES15_EEDaS10_S11_EUlS10_E_NS1_11comp_targetILNS1_3genE10ELNS1_11target_archE1201ELNS1_3gpuE5ELNS1_3repE0EEENS1_30default_config_static_selectorELNS0_4arch9wavefront6targetE1EEEvT1_,"axG",@progbits,_ZN7rocprim17ROCPRIM_400000_NS6detail17trampoline_kernelINS0_14default_configENS1_29reduce_by_key_config_selectorIN3c104HalfElN6thrust23THRUST_200600_302600_NS4plusIlEEEEZZNS1_33reduce_by_key_impl_wrapped_configILNS1_25lookback_scan_determinismE0ES3_SB_PS6_NS8_17constant_iteratorIiNS8_11use_defaultESG_EENS8_10device_ptrIS6_EENSI_IlEEPmSA_NS8_8equal_toIS6_EEEE10hipError_tPvRmT2_T3_mT4_T5_T6_T7_T8_P12ihipStream_tbENKUlT_T0_E_clISt17integral_constantIbLb0EES15_EEDaS10_S11_EUlS10_E_NS1_11comp_targetILNS1_3genE10ELNS1_11target_archE1201ELNS1_3gpuE5ELNS1_3repE0EEENS1_30default_config_static_selectorELNS0_4arch9wavefront6targetE1EEEvT1_,comdat
.Lfunc_end2203:
	.size	_ZN7rocprim17ROCPRIM_400000_NS6detail17trampoline_kernelINS0_14default_configENS1_29reduce_by_key_config_selectorIN3c104HalfElN6thrust23THRUST_200600_302600_NS4plusIlEEEEZZNS1_33reduce_by_key_impl_wrapped_configILNS1_25lookback_scan_determinismE0ES3_SB_PS6_NS8_17constant_iteratorIiNS8_11use_defaultESG_EENS8_10device_ptrIS6_EENSI_IlEEPmSA_NS8_8equal_toIS6_EEEE10hipError_tPvRmT2_T3_mT4_T5_T6_T7_T8_P12ihipStream_tbENKUlT_T0_E_clISt17integral_constantIbLb0EES15_EEDaS10_S11_EUlS10_E_NS1_11comp_targetILNS1_3genE10ELNS1_11target_archE1201ELNS1_3gpuE5ELNS1_3repE0EEENS1_30default_config_static_selectorELNS0_4arch9wavefront6targetE1EEEvT1_, .Lfunc_end2203-_ZN7rocprim17ROCPRIM_400000_NS6detail17trampoline_kernelINS0_14default_configENS1_29reduce_by_key_config_selectorIN3c104HalfElN6thrust23THRUST_200600_302600_NS4plusIlEEEEZZNS1_33reduce_by_key_impl_wrapped_configILNS1_25lookback_scan_determinismE0ES3_SB_PS6_NS8_17constant_iteratorIiNS8_11use_defaultESG_EENS8_10device_ptrIS6_EENSI_IlEEPmSA_NS8_8equal_toIS6_EEEE10hipError_tPvRmT2_T3_mT4_T5_T6_T7_T8_P12ihipStream_tbENKUlT_T0_E_clISt17integral_constantIbLb0EES15_EEDaS10_S11_EUlS10_E_NS1_11comp_targetILNS1_3genE10ELNS1_11target_archE1201ELNS1_3gpuE5ELNS1_3repE0EEENS1_30default_config_static_selectorELNS0_4arch9wavefront6targetE1EEEvT1_
                                        ; -- End function
	.set _ZN7rocprim17ROCPRIM_400000_NS6detail17trampoline_kernelINS0_14default_configENS1_29reduce_by_key_config_selectorIN3c104HalfElN6thrust23THRUST_200600_302600_NS4plusIlEEEEZZNS1_33reduce_by_key_impl_wrapped_configILNS1_25lookback_scan_determinismE0ES3_SB_PS6_NS8_17constant_iteratorIiNS8_11use_defaultESG_EENS8_10device_ptrIS6_EENSI_IlEEPmSA_NS8_8equal_toIS6_EEEE10hipError_tPvRmT2_T3_mT4_T5_T6_T7_T8_P12ihipStream_tbENKUlT_T0_E_clISt17integral_constantIbLb0EES15_EEDaS10_S11_EUlS10_E_NS1_11comp_targetILNS1_3genE10ELNS1_11target_archE1201ELNS1_3gpuE5ELNS1_3repE0EEENS1_30default_config_static_selectorELNS0_4arch9wavefront6targetE1EEEvT1_.num_vgpr, 0
	.set _ZN7rocprim17ROCPRIM_400000_NS6detail17trampoline_kernelINS0_14default_configENS1_29reduce_by_key_config_selectorIN3c104HalfElN6thrust23THRUST_200600_302600_NS4plusIlEEEEZZNS1_33reduce_by_key_impl_wrapped_configILNS1_25lookback_scan_determinismE0ES3_SB_PS6_NS8_17constant_iteratorIiNS8_11use_defaultESG_EENS8_10device_ptrIS6_EENSI_IlEEPmSA_NS8_8equal_toIS6_EEEE10hipError_tPvRmT2_T3_mT4_T5_T6_T7_T8_P12ihipStream_tbENKUlT_T0_E_clISt17integral_constantIbLb0EES15_EEDaS10_S11_EUlS10_E_NS1_11comp_targetILNS1_3genE10ELNS1_11target_archE1201ELNS1_3gpuE5ELNS1_3repE0EEENS1_30default_config_static_selectorELNS0_4arch9wavefront6targetE1EEEvT1_.num_agpr, 0
	.set _ZN7rocprim17ROCPRIM_400000_NS6detail17trampoline_kernelINS0_14default_configENS1_29reduce_by_key_config_selectorIN3c104HalfElN6thrust23THRUST_200600_302600_NS4plusIlEEEEZZNS1_33reduce_by_key_impl_wrapped_configILNS1_25lookback_scan_determinismE0ES3_SB_PS6_NS8_17constant_iteratorIiNS8_11use_defaultESG_EENS8_10device_ptrIS6_EENSI_IlEEPmSA_NS8_8equal_toIS6_EEEE10hipError_tPvRmT2_T3_mT4_T5_T6_T7_T8_P12ihipStream_tbENKUlT_T0_E_clISt17integral_constantIbLb0EES15_EEDaS10_S11_EUlS10_E_NS1_11comp_targetILNS1_3genE10ELNS1_11target_archE1201ELNS1_3gpuE5ELNS1_3repE0EEENS1_30default_config_static_selectorELNS0_4arch9wavefront6targetE1EEEvT1_.numbered_sgpr, 0
	.set _ZN7rocprim17ROCPRIM_400000_NS6detail17trampoline_kernelINS0_14default_configENS1_29reduce_by_key_config_selectorIN3c104HalfElN6thrust23THRUST_200600_302600_NS4plusIlEEEEZZNS1_33reduce_by_key_impl_wrapped_configILNS1_25lookback_scan_determinismE0ES3_SB_PS6_NS8_17constant_iteratorIiNS8_11use_defaultESG_EENS8_10device_ptrIS6_EENSI_IlEEPmSA_NS8_8equal_toIS6_EEEE10hipError_tPvRmT2_T3_mT4_T5_T6_T7_T8_P12ihipStream_tbENKUlT_T0_E_clISt17integral_constantIbLb0EES15_EEDaS10_S11_EUlS10_E_NS1_11comp_targetILNS1_3genE10ELNS1_11target_archE1201ELNS1_3gpuE5ELNS1_3repE0EEENS1_30default_config_static_selectorELNS0_4arch9wavefront6targetE1EEEvT1_.num_named_barrier, 0
	.set _ZN7rocprim17ROCPRIM_400000_NS6detail17trampoline_kernelINS0_14default_configENS1_29reduce_by_key_config_selectorIN3c104HalfElN6thrust23THRUST_200600_302600_NS4plusIlEEEEZZNS1_33reduce_by_key_impl_wrapped_configILNS1_25lookback_scan_determinismE0ES3_SB_PS6_NS8_17constant_iteratorIiNS8_11use_defaultESG_EENS8_10device_ptrIS6_EENSI_IlEEPmSA_NS8_8equal_toIS6_EEEE10hipError_tPvRmT2_T3_mT4_T5_T6_T7_T8_P12ihipStream_tbENKUlT_T0_E_clISt17integral_constantIbLb0EES15_EEDaS10_S11_EUlS10_E_NS1_11comp_targetILNS1_3genE10ELNS1_11target_archE1201ELNS1_3gpuE5ELNS1_3repE0EEENS1_30default_config_static_selectorELNS0_4arch9wavefront6targetE1EEEvT1_.private_seg_size, 0
	.set _ZN7rocprim17ROCPRIM_400000_NS6detail17trampoline_kernelINS0_14default_configENS1_29reduce_by_key_config_selectorIN3c104HalfElN6thrust23THRUST_200600_302600_NS4plusIlEEEEZZNS1_33reduce_by_key_impl_wrapped_configILNS1_25lookback_scan_determinismE0ES3_SB_PS6_NS8_17constant_iteratorIiNS8_11use_defaultESG_EENS8_10device_ptrIS6_EENSI_IlEEPmSA_NS8_8equal_toIS6_EEEE10hipError_tPvRmT2_T3_mT4_T5_T6_T7_T8_P12ihipStream_tbENKUlT_T0_E_clISt17integral_constantIbLb0EES15_EEDaS10_S11_EUlS10_E_NS1_11comp_targetILNS1_3genE10ELNS1_11target_archE1201ELNS1_3gpuE5ELNS1_3repE0EEENS1_30default_config_static_selectorELNS0_4arch9wavefront6targetE1EEEvT1_.uses_vcc, 0
	.set _ZN7rocprim17ROCPRIM_400000_NS6detail17trampoline_kernelINS0_14default_configENS1_29reduce_by_key_config_selectorIN3c104HalfElN6thrust23THRUST_200600_302600_NS4plusIlEEEEZZNS1_33reduce_by_key_impl_wrapped_configILNS1_25lookback_scan_determinismE0ES3_SB_PS6_NS8_17constant_iteratorIiNS8_11use_defaultESG_EENS8_10device_ptrIS6_EENSI_IlEEPmSA_NS8_8equal_toIS6_EEEE10hipError_tPvRmT2_T3_mT4_T5_T6_T7_T8_P12ihipStream_tbENKUlT_T0_E_clISt17integral_constantIbLb0EES15_EEDaS10_S11_EUlS10_E_NS1_11comp_targetILNS1_3genE10ELNS1_11target_archE1201ELNS1_3gpuE5ELNS1_3repE0EEENS1_30default_config_static_selectorELNS0_4arch9wavefront6targetE1EEEvT1_.uses_flat_scratch, 0
	.set _ZN7rocprim17ROCPRIM_400000_NS6detail17trampoline_kernelINS0_14default_configENS1_29reduce_by_key_config_selectorIN3c104HalfElN6thrust23THRUST_200600_302600_NS4plusIlEEEEZZNS1_33reduce_by_key_impl_wrapped_configILNS1_25lookback_scan_determinismE0ES3_SB_PS6_NS8_17constant_iteratorIiNS8_11use_defaultESG_EENS8_10device_ptrIS6_EENSI_IlEEPmSA_NS8_8equal_toIS6_EEEE10hipError_tPvRmT2_T3_mT4_T5_T6_T7_T8_P12ihipStream_tbENKUlT_T0_E_clISt17integral_constantIbLb0EES15_EEDaS10_S11_EUlS10_E_NS1_11comp_targetILNS1_3genE10ELNS1_11target_archE1201ELNS1_3gpuE5ELNS1_3repE0EEENS1_30default_config_static_selectorELNS0_4arch9wavefront6targetE1EEEvT1_.has_dyn_sized_stack, 0
	.set _ZN7rocprim17ROCPRIM_400000_NS6detail17trampoline_kernelINS0_14default_configENS1_29reduce_by_key_config_selectorIN3c104HalfElN6thrust23THRUST_200600_302600_NS4plusIlEEEEZZNS1_33reduce_by_key_impl_wrapped_configILNS1_25lookback_scan_determinismE0ES3_SB_PS6_NS8_17constant_iteratorIiNS8_11use_defaultESG_EENS8_10device_ptrIS6_EENSI_IlEEPmSA_NS8_8equal_toIS6_EEEE10hipError_tPvRmT2_T3_mT4_T5_T6_T7_T8_P12ihipStream_tbENKUlT_T0_E_clISt17integral_constantIbLb0EES15_EEDaS10_S11_EUlS10_E_NS1_11comp_targetILNS1_3genE10ELNS1_11target_archE1201ELNS1_3gpuE5ELNS1_3repE0EEENS1_30default_config_static_selectorELNS0_4arch9wavefront6targetE1EEEvT1_.has_recursion, 0
	.set _ZN7rocprim17ROCPRIM_400000_NS6detail17trampoline_kernelINS0_14default_configENS1_29reduce_by_key_config_selectorIN3c104HalfElN6thrust23THRUST_200600_302600_NS4plusIlEEEEZZNS1_33reduce_by_key_impl_wrapped_configILNS1_25lookback_scan_determinismE0ES3_SB_PS6_NS8_17constant_iteratorIiNS8_11use_defaultESG_EENS8_10device_ptrIS6_EENSI_IlEEPmSA_NS8_8equal_toIS6_EEEE10hipError_tPvRmT2_T3_mT4_T5_T6_T7_T8_P12ihipStream_tbENKUlT_T0_E_clISt17integral_constantIbLb0EES15_EEDaS10_S11_EUlS10_E_NS1_11comp_targetILNS1_3genE10ELNS1_11target_archE1201ELNS1_3gpuE5ELNS1_3repE0EEENS1_30default_config_static_selectorELNS0_4arch9wavefront6targetE1EEEvT1_.has_indirect_call, 0
	.section	.AMDGPU.csdata,"",@progbits
; Kernel info:
; codeLenInByte = 0
; TotalNumSgprs: 4
; NumVgprs: 0
; ScratchSize: 0
; MemoryBound: 0
; FloatMode: 240
; IeeeMode: 1
; LDSByteSize: 0 bytes/workgroup (compile time only)
; SGPRBlocks: 0
; VGPRBlocks: 0
; NumSGPRsForWavesPerEU: 4
; NumVGPRsForWavesPerEU: 1
; Occupancy: 10
; WaveLimiterHint : 0
; COMPUTE_PGM_RSRC2:SCRATCH_EN: 0
; COMPUTE_PGM_RSRC2:USER_SGPR: 6
; COMPUTE_PGM_RSRC2:TRAP_HANDLER: 0
; COMPUTE_PGM_RSRC2:TGID_X_EN: 1
; COMPUTE_PGM_RSRC2:TGID_Y_EN: 0
; COMPUTE_PGM_RSRC2:TGID_Z_EN: 0
; COMPUTE_PGM_RSRC2:TIDIG_COMP_CNT: 0
	.section	.text._ZN7rocprim17ROCPRIM_400000_NS6detail17trampoline_kernelINS0_14default_configENS1_29reduce_by_key_config_selectorIN3c104HalfElN6thrust23THRUST_200600_302600_NS4plusIlEEEEZZNS1_33reduce_by_key_impl_wrapped_configILNS1_25lookback_scan_determinismE0ES3_SB_PS6_NS8_17constant_iteratorIiNS8_11use_defaultESG_EENS8_10device_ptrIS6_EENSI_IlEEPmSA_NS8_8equal_toIS6_EEEE10hipError_tPvRmT2_T3_mT4_T5_T6_T7_T8_P12ihipStream_tbENKUlT_T0_E_clISt17integral_constantIbLb0EES15_EEDaS10_S11_EUlS10_E_NS1_11comp_targetILNS1_3genE10ELNS1_11target_archE1200ELNS1_3gpuE4ELNS1_3repE0EEENS1_30default_config_static_selectorELNS0_4arch9wavefront6targetE1EEEvT1_,"axG",@progbits,_ZN7rocprim17ROCPRIM_400000_NS6detail17trampoline_kernelINS0_14default_configENS1_29reduce_by_key_config_selectorIN3c104HalfElN6thrust23THRUST_200600_302600_NS4plusIlEEEEZZNS1_33reduce_by_key_impl_wrapped_configILNS1_25lookback_scan_determinismE0ES3_SB_PS6_NS8_17constant_iteratorIiNS8_11use_defaultESG_EENS8_10device_ptrIS6_EENSI_IlEEPmSA_NS8_8equal_toIS6_EEEE10hipError_tPvRmT2_T3_mT4_T5_T6_T7_T8_P12ihipStream_tbENKUlT_T0_E_clISt17integral_constantIbLb0EES15_EEDaS10_S11_EUlS10_E_NS1_11comp_targetILNS1_3genE10ELNS1_11target_archE1200ELNS1_3gpuE4ELNS1_3repE0EEENS1_30default_config_static_selectorELNS0_4arch9wavefront6targetE1EEEvT1_,comdat
	.protected	_ZN7rocprim17ROCPRIM_400000_NS6detail17trampoline_kernelINS0_14default_configENS1_29reduce_by_key_config_selectorIN3c104HalfElN6thrust23THRUST_200600_302600_NS4plusIlEEEEZZNS1_33reduce_by_key_impl_wrapped_configILNS1_25lookback_scan_determinismE0ES3_SB_PS6_NS8_17constant_iteratorIiNS8_11use_defaultESG_EENS8_10device_ptrIS6_EENSI_IlEEPmSA_NS8_8equal_toIS6_EEEE10hipError_tPvRmT2_T3_mT4_T5_T6_T7_T8_P12ihipStream_tbENKUlT_T0_E_clISt17integral_constantIbLb0EES15_EEDaS10_S11_EUlS10_E_NS1_11comp_targetILNS1_3genE10ELNS1_11target_archE1200ELNS1_3gpuE4ELNS1_3repE0EEENS1_30default_config_static_selectorELNS0_4arch9wavefront6targetE1EEEvT1_ ; -- Begin function _ZN7rocprim17ROCPRIM_400000_NS6detail17trampoline_kernelINS0_14default_configENS1_29reduce_by_key_config_selectorIN3c104HalfElN6thrust23THRUST_200600_302600_NS4plusIlEEEEZZNS1_33reduce_by_key_impl_wrapped_configILNS1_25lookback_scan_determinismE0ES3_SB_PS6_NS8_17constant_iteratorIiNS8_11use_defaultESG_EENS8_10device_ptrIS6_EENSI_IlEEPmSA_NS8_8equal_toIS6_EEEE10hipError_tPvRmT2_T3_mT4_T5_T6_T7_T8_P12ihipStream_tbENKUlT_T0_E_clISt17integral_constantIbLb0EES15_EEDaS10_S11_EUlS10_E_NS1_11comp_targetILNS1_3genE10ELNS1_11target_archE1200ELNS1_3gpuE4ELNS1_3repE0EEENS1_30default_config_static_selectorELNS0_4arch9wavefront6targetE1EEEvT1_
	.globl	_ZN7rocprim17ROCPRIM_400000_NS6detail17trampoline_kernelINS0_14default_configENS1_29reduce_by_key_config_selectorIN3c104HalfElN6thrust23THRUST_200600_302600_NS4plusIlEEEEZZNS1_33reduce_by_key_impl_wrapped_configILNS1_25lookback_scan_determinismE0ES3_SB_PS6_NS8_17constant_iteratorIiNS8_11use_defaultESG_EENS8_10device_ptrIS6_EENSI_IlEEPmSA_NS8_8equal_toIS6_EEEE10hipError_tPvRmT2_T3_mT4_T5_T6_T7_T8_P12ihipStream_tbENKUlT_T0_E_clISt17integral_constantIbLb0EES15_EEDaS10_S11_EUlS10_E_NS1_11comp_targetILNS1_3genE10ELNS1_11target_archE1200ELNS1_3gpuE4ELNS1_3repE0EEENS1_30default_config_static_selectorELNS0_4arch9wavefront6targetE1EEEvT1_
	.p2align	8
	.type	_ZN7rocprim17ROCPRIM_400000_NS6detail17trampoline_kernelINS0_14default_configENS1_29reduce_by_key_config_selectorIN3c104HalfElN6thrust23THRUST_200600_302600_NS4plusIlEEEEZZNS1_33reduce_by_key_impl_wrapped_configILNS1_25lookback_scan_determinismE0ES3_SB_PS6_NS8_17constant_iteratorIiNS8_11use_defaultESG_EENS8_10device_ptrIS6_EENSI_IlEEPmSA_NS8_8equal_toIS6_EEEE10hipError_tPvRmT2_T3_mT4_T5_T6_T7_T8_P12ihipStream_tbENKUlT_T0_E_clISt17integral_constantIbLb0EES15_EEDaS10_S11_EUlS10_E_NS1_11comp_targetILNS1_3genE10ELNS1_11target_archE1200ELNS1_3gpuE4ELNS1_3repE0EEENS1_30default_config_static_selectorELNS0_4arch9wavefront6targetE1EEEvT1_,@function
_ZN7rocprim17ROCPRIM_400000_NS6detail17trampoline_kernelINS0_14default_configENS1_29reduce_by_key_config_selectorIN3c104HalfElN6thrust23THRUST_200600_302600_NS4plusIlEEEEZZNS1_33reduce_by_key_impl_wrapped_configILNS1_25lookback_scan_determinismE0ES3_SB_PS6_NS8_17constant_iteratorIiNS8_11use_defaultESG_EENS8_10device_ptrIS6_EENSI_IlEEPmSA_NS8_8equal_toIS6_EEEE10hipError_tPvRmT2_T3_mT4_T5_T6_T7_T8_P12ihipStream_tbENKUlT_T0_E_clISt17integral_constantIbLb0EES15_EEDaS10_S11_EUlS10_E_NS1_11comp_targetILNS1_3genE10ELNS1_11target_archE1200ELNS1_3gpuE4ELNS1_3repE0EEENS1_30default_config_static_selectorELNS0_4arch9wavefront6targetE1EEEvT1_: ; @_ZN7rocprim17ROCPRIM_400000_NS6detail17trampoline_kernelINS0_14default_configENS1_29reduce_by_key_config_selectorIN3c104HalfElN6thrust23THRUST_200600_302600_NS4plusIlEEEEZZNS1_33reduce_by_key_impl_wrapped_configILNS1_25lookback_scan_determinismE0ES3_SB_PS6_NS8_17constant_iteratorIiNS8_11use_defaultESG_EENS8_10device_ptrIS6_EENSI_IlEEPmSA_NS8_8equal_toIS6_EEEE10hipError_tPvRmT2_T3_mT4_T5_T6_T7_T8_P12ihipStream_tbENKUlT_T0_E_clISt17integral_constantIbLb0EES15_EEDaS10_S11_EUlS10_E_NS1_11comp_targetILNS1_3genE10ELNS1_11target_archE1200ELNS1_3gpuE4ELNS1_3repE0EEENS1_30default_config_static_selectorELNS0_4arch9wavefront6targetE1EEEvT1_
; %bb.0:
	.section	.rodata,"a",@progbits
	.p2align	6, 0x0
	.amdhsa_kernel _ZN7rocprim17ROCPRIM_400000_NS6detail17trampoline_kernelINS0_14default_configENS1_29reduce_by_key_config_selectorIN3c104HalfElN6thrust23THRUST_200600_302600_NS4plusIlEEEEZZNS1_33reduce_by_key_impl_wrapped_configILNS1_25lookback_scan_determinismE0ES3_SB_PS6_NS8_17constant_iteratorIiNS8_11use_defaultESG_EENS8_10device_ptrIS6_EENSI_IlEEPmSA_NS8_8equal_toIS6_EEEE10hipError_tPvRmT2_T3_mT4_T5_T6_T7_T8_P12ihipStream_tbENKUlT_T0_E_clISt17integral_constantIbLb0EES15_EEDaS10_S11_EUlS10_E_NS1_11comp_targetILNS1_3genE10ELNS1_11target_archE1200ELNS1_3gpuE4ELNS1_3repE0EEENS1_30default_config_static_selectorELNS0_4arch9wavefront6targetE1EEEvT1_
		.amdhsa_group_segment_fixed_size 0
		.amdhsa_private_segment_fixed_size 0
		.amdhsa_kernarg_size 144
		.amdhsa_user_sgpr_count 6
		.amdhsa_user_sgpr_private_segment_buffer 1
		.amdhsa_user_sgpr_dispatch_ptr 0
		.amdhsa_user_sgpr_queue_ptr 0
		.amdhsa_user_sgpr_kernarg_segment_ptr 1
		.amdhsa_user_sgpr_dispatch_id 0
		.amdhsa_user_sgpr_flat_scratch_init 0
		.amdhsa_user_sgpr_private_segment_size 0
		.amdhsa_uses_dynamic_stack 0
		.amdhsa_system_sgpr_private_segment_wavefront_offset 0
		.amdhsa_system_sgpr_workgroup_id_x 1
		.amdhsa_system_sgpr_workgroup_id_y 0
		.amdhsa_system_sgpr_workgroup_id_z 0
		.amdhsa_system_sgpr_workgroup_info 0
		.amdhsa_system_vgpr_workitem_id 0
		.amdhsa_next_free_vgpr 1
		.amdhsa_next_free_sgpr 0
		.amdhsa_reserve_vcc 0
		.amdhsa_reserve_flat_scratch 0
		.amdhsa_float_round_mode_32 0
		.amdhsa_float_round_mode_16_64 0
		.amdhsa_float_denorm_mode_32 3
		.amdhsa_float_denorm_mode_16_64 3
		.amdhsa_dx10_clamp 1
		.amdhsa_ieee_mode 1
		.amdhsa_fp16_overflow 0
		.amdhsa_exception_fp_ieee_invalid_op 0
		.amdhsa_exception_fp_denorm_src 0
		.amdhsa_exception_fp_ieee_div_zero 0
		.amdhsa_exception_fp_ieee_overflow 0
		.amdhsa_exception_fp_ieee_underflow 0
		.amdhsa_exception_fp_ieee_inexact 0
		.amdhsa_exception_int_div_zero 0
	.end_amdhsa_kernel
	.section	.text._ZN7rocprim17ROCPRIM_400000_NS6detail17trampoline_kernelINS0_14default_configENS1_29reduce_by_key_config_selectorIN3c104HalfElN6thrust23THRUST_200600_302600_NS4plusIlEEEEZZNS1_33reduce_by_key_impl_wrapped_configILNS1_25lookback_scan_determinismE0ES3_SB_PS6_NS8_17constant_iteratorIiNS8_11use_defaultESG_EENS8_10device_ptrIS6_EENSI_IlEEPmSA_NS8_8equal_toIS6_EEEE10hipError_tPvRmT2_T3_mT4_T5_T6_T7_T8_P12ihipStream_tbENKUlT_T0_E_clISt17integral_constantIbLb0EES15_EEDaS10_S11_EUlS10_E_NS1_11comp_targetILNS1_3genE10ELNS1_11target_archE1200ELNS1_3gpuE4ELNS1_3repE0EEENS1_30default_config_static_selectorELNS0_4arch9wavefront6targetE1EEEvT1_,"axG",@progbits,_ZN7rocprim17ROCPRIM_400000_NS6detail17trampoline_kernelINS0_14default_configENS1_29reduce_by_key_config_selectorIN3c104HalfElN6thrust23THRUST_200600_302600_NS4plusIlEEEEZZNS1_33reduce_by_key_impl_wrapped_configILNS1_25lookback_scan_determinismE0ES3_SB_PS6_NS8_17constant_iteratorIiNS8_11use_defaultESG_EENS8_10device_ptrIS6_EENSI_IlEEPmSA_NS8_8equal_toIS6_EEEE10hipError_tPvRmT2_T3_mT4_T5_T6_T7_T8_P12ihipStream_tbENKUlT_T0_E_clISt17integral_constantIbLb0EES15_EEDaS10_S11_EUlS10_E_NS1_11comp_targetILNS1_3genE10ELNS1_11target_archE1200ELNS1_3gpuE4ELNS1_3repE0EEENS1_30default_config_static_selectorELNS0_4arch9wavefront6targetE1EEEvT1_,comdat
.Lfunc_end2204:
	.size	_ZN7rocprim17ROCPRIM_400000_NS6detail17trampoline_kernelINS0_14default_configENS1_29reduce_by_key_config_selectorIN3c104HalfElN6thrust23THRUST_200600_302600_NS4plusIlEEEEZZNS1_33reduce_by_key_impl_wrapped_configILNS1_25lookback_scan_determinismE0ES3_SB_PS6_NS8_17constant_iteratorIiNS8_11use_defaultESG_EENS8_10device_ptrIS6_EENSI_IlEEPmSA_NS8_8equal_toIS6_EEEE10hipError_tPvRmT2_T3_mT4_T5_T6_T7_T8_P12ihipStream_tbENKUlT_T0_E_clISt17integral_constantIbLb0EES15_EEDaS10_S11_EUlS10_E_NS1_11comp_targetILNS1_3genE10ELNS1_11target_archE1200ELNS1_3gpuE4ELNS1_3repE0EEENS1_30default_config_static_selectorELNS0_4arch9wavefront6targetE1EEEvT1_, .Lfunc_end2204-_ZN7rocprim17ROCPRIM_400000_NS6detail17trampoline_kernelINS0_14default_configENS1_29reduce_by_key_config_selectorIN3c104HalfElN6thrust23THRUST_200600_302600_NS4plusIlEEEEZZNS1_33reduce_by_key_impl_wrapped_configILNS1_25lookback_scan_determinismE0ES3_SB_PS6_NS8_17constant_iteratorIiNS8_11use_defaultESG_EENS8_10device_ptrIS6_EENSI_IlEEPmSA_NS8_8equal_toIS6_EEEE10hipError_tPvRmT2_T3_mT4_T5_T6_T7_T8_P12ihipStream_tbENKUlT_T0_E_clISt17integral_constantIbLb0EES15_EEDaS10_S11_EUlS10_E_NS1_11comp_targetILNS1_3genE10ELNS1_11target_archE1200ELNS1_3gpuE4ELNS1_3repE0EEENS1_30default_config_static_selectorELNS0_4arch9wavefront6targetE1EEEvT1_
                                        ; -- End function
	.set _ZN7rocprim17ROCPRIM_400000_NS6detail17trampoline_kernelINS0_14default_configENS1_29reduce_by_key_config_selectorIN3c104HalfElN6thrust23THRUST_200600_302600_NS4plusIlEEEEZZNS1_33reduce_by_key_impl_wrapped_configILNS1_25lookback_scan_determinismE0ES3_SB_PS6_NS8_17constant_iteratorIiNS8_11use_defaultESG_EENS8_10device_ptrIS6_EENSI_IlEEPmSA_NS8_8equal_toIS6_EEEE10hipError_tPvRmT2_T3_mT4_T5_T6_T7_T8_P12ihipStream_tbENKUlT_T0_E_clISt17integral_constantIbLb0EES15_EEDaS10_S11_EUlS10_E_NS1_11comp_targetILNS1_3genE10ELNS1_11target_archE1200ELNS1_3gpuE4ELNS1_3repE0EEENS1_30default_config_static_selectorELNS0_4arch9wavefront6targetE1EEEvT1_.num_vgpr, 0
	.set _ZN7rocprim17ROCPRIM_400000_NS6detail17trampoline_kernelINS0_14default_configENS1_29reduce_by_key_config_selectorIN3c104HalfElN6thrust23THRUST_200600_302600_NS4plusIlEEEEZZNS1_33reduce_by_key_impl_wrapped_configILNS1_25lookback_scan_determinismE0ES3_SB_PS6_NS8_17constant_iteratorIiNS8_11use_defaultESG_EENS8_10device_ptrIS6_EENSI_IlEEPmSA_NS8_8equal_toIS6_EEEE10hipError_tPvRmT2_T3_mT4_T5_T6_T7_T8_P12ihipStream_tbENKUlT_T0_E_clISt17integral_constantIbLb0EES15_EEDaS10_S11_EUlS10_E_NS1_11comp_targetILNS1_3genE10ELNS1_11target_archE1200ELNS1_3gpuE4ELNS1_3repE0EEENS1_30default_config_static_selectorELNS0_4arch9wavefront6targetE1EEEvT1_.num_agpr, 0
	.set _ZN7rocprim17ROCPRIM_400000_NS6detail17trampoline_kernelINS0_14default_configENS1_29reduce_by_key_config_selectorIN3c104HalfElN6thrust23THRUST_200600_302600_NS4plusIlEEEEZZNS1_33reduce_by_key_impl_wrapped_configILNS1_25lookback_scan_determinismE0ES3_SB_PS6_NS8_17constant_iteratorIiNS8_11use_defaultESG_EENS8_10device_ptrIS6_EENSI_IlEEPmSA_NS8_8equal_toIS6_EEEE10hipError_tPvRmT2_T3_mT4_T5_T6_T7_T8_P12ihipStream_tbENKUlT_T0_E_clISt17integral_constantIbLb0EES15_EEDaS10_S11_EUlS10_E_NS1_11comp_targetILNS1_3genE10ELNS1_11target_archE1200ELNS1_3gpuE4ELNS1_3repE0EEENS1_30default_config_static_selectorELNS0_4arch9wavefront6targetE1EEEvT1_.numbered_sgpr, 0
	.set _ZN7rocprim17ROCPRIM_400000_NS6detail17trampoline_kernelINS0_14default_configENS1_29reduce_by_key_config_selectorIN3c104HalfElN6thrust23THRUST_200600_302600_NS4plusIlEEEEZZNS1_33reduce_by_key_impl_wrapped_configILNS1_25lookback_scan_determinismE0ES3_SB_PS6_NS8_17constant_iteratorIiNS8_11use_defaultESG_EENS8_10device_ptrIS6_EENSI_IlEEPmSA_NS8_8equal_toIS6_EEEE10hipError_tPvRmT2_T3_mT4_T5_T6_T7_T8_P12ihipStream_tbENKUlT_T0_E_clISt17integral_constantIbLb0EES15_EEDaS10_S11_EUlS10_E_NS1_11comp_targetILNS1_3genE10ELNS1_11target_archE1200ELNS1_3gpuE4ELNS1_3repE0EEENS1_30default_config_static_selectorELNS0_4arch9wavefront6targetE1EEEvT1_.num_named_barrier, 0
	.set _ZN7rocprim17ROCPRIM_400000_NS6detail17trampoline_kernelINS0_14default_configENS1_29reduce_by_key_config_selectorIN3c104HalfElN6thrust23THRUST_200600_302600_NS4plusIlEEEEZZNS1_33reduce_by_key_impl_wrapped_configILNS1_25lookback_scan_determinismE0ES3_SB_PS6_NS8_17constant_iteratorIiNS8_11use_defaultESG_EENS8_10device_ptrIS6_EENSI_IlEEPmSA_NS8_8equal_toIS6_EEEE10hipError_tPvRmT2_T3_mT4_T5_T6_T7_T8_P12ihipStream_tbENKUlT_T0_E_clISt17integral_constantIbLb0EES15_EEDaS10_S11_EUlS10_E_NS1_11comp_targetILNS1_3genE10ELNS1_11target_archE1200ELNS1_3gpuE4ELNS1_3repE0EEENS1_30default_config_static_selectorELNS0_4arch9wavefront6targetE1EEEvT1_.private_seg_size, 0
	.set _ZN7rocprim17ROCPRIM_400000_NS6detail17trampoline_kernelINS0_14default_configENS1_29reduce_by_key_config_selectorIN3c104HalfElN6thrust23THRUST_200600_302600_NS4plusIlEEEEZZNS1_33reduce_by_key_impl_wrapped_configILNS1_25lookback_scan_determinismE0ES3_SB_PS6_NS8_17constant_iteratorIiNS8_11use_defaultESG_EENS8_10device_ptrIS6_EENSI_IlEEPmSA_NS8_8equal_toIS6_EEEE10hipError_tPvRmT2_T3_mT4_T5_T6_T7_T8_P12ihipStream_tbENKUlT_T0_E_clISt17integral_constantIbLb0EES15_EEDaS10_S11_EUlS10_E_NS1_11comp_targetILNS1_3genE10ELNS1_11target_archE1200ELNS1_3gpuE4ELNS1_3repE0EEENS1_30default_config_static_selectorELNS0_4arch9wavefront6targetE1EEEvT1_.uses_vcc, 0
	.set _ZN7rocprim17ROCPRIM_400000_NS6detail17trampoline_kernelINS0_14default_configENS1_29reduce_by_key_config_selectorIN3c104HalfElN6thrust23THRUST_200600_302600_NS4plusIlEEEEZZNS1_33reduce_by_key_impl_wrapped_configILNS1_25lookback_scan_determinismE0ES3_SB_PS6_NS8_17constant_iteratorIiNS8_11use_defaultESG_EENS8_10device_ptrIS6_EENSI_IlEEPmSA_NS8_8equal_toIS6_EEEE10hipError_tPvRmT2_T3_mT4_T5_T6_T7_T8_P12ihipStream_tbENKUlT_T0_E_clISt17integral_constantIbLb0EES15_EEDaS10_S11_EUlS10_E_NS1_11comp_targetILNS1_3genE10ELNS1_11target_archE1200ELNS1_3gpuE4ELNS1_3repE0EEENS1_30default_config_static_selectorELNS0_4arch9wavefront6targetE1EEEvT1_.uses_flat_scratch, 0
	.set _ZN7rocprim17ROCPRIM_400000_NS6detail17trampoline_kernelINS0_14default_configENS1_29reduce_by_key_config_selectorIN3c104HalfElN6thrust23THRUST_200600_302600_NS4plusIlEEEEZZNS1_33reduce_by_key_impl_wrapped_configILNS1_25lookback_scan_determinismE0ES3_SB_PS6_NS8_17constant_iteratorIiNS8_11use_defaultESG_EENS8_10device_ptrIS6_EENSI_IlEEPmSA_NS8_8equal_toIS6_EEEE10hipError_tPvRmT2_T3_mT4_T5_T6_T7_T8_P12ihipStream_tbENKUlT_T0_E_clISt17integral_constantIbLb0EES15_EEDaS10_S11_EUlS10_E_NS1_11comp_targetILNS1_3genE10ELNS1_11target_archE1200ELNS1_3gpuE4ELNS1_3repE0EEENS1_30default_config_static_selectorELNS0_4arch9wavefront6targetE1EEEvT1_.has_dyn_sized_stack, 0
	.set _ZN7rocprim17ROCPRIM_400000_NS6detail17trampoline_kernelINS0_14default_configENS1_29reduce_by_key_config_selectorIN3c104HalfElN6thrust23THRUST_200600_302600_NS4plusIlEEEEZZNS1_33reduce_by_key_impl_wrapped_configILNS1_25lookback_scan_determinismE0ES3_SB_PS6_NS8_17constant_iteratorIiNS8_11use_defaultESG_EENS8_10device_ptrIS6_EENSI_IlEEPmSA_NS8_8equal_toIS6_EEEE10hipError_tPvRmT2_T3_mT4_T5_T6_T7_T8_P12ihipStream_tbENKUlT_T0_E_clISt17integral_constantIbLb0EES15_EEDaS10_S11_EUlS10_E_NS1_11comp_targetILNS1_3genE10ELNS1_11target_archE1200ELNS1_3gpuE4ELNS1_3repE0EEENS1_30default_config_static_selectorELNS0_4arch9wavefront6targetE1EEEvT1_.has_recursion, 0
	.set _ZN7rocprim17ROCPRIM_400000_NS6detail17trampoline_kernelINS0_14default_configENS1_29reduce_by_key_config_selectorIN3c104HalfElN6thrust23THRUST_200600_302600_NS4plusIlEEEEZZNS1_33reduce_by_key_impl_wrapped_configILNS1_25lookback_scan_determinismE0ES3_SB_PS6_NS8_17constant_iteratorIiNS8_11use_defaultESG_EENS8_10device_ptrIS6_EENSI_IlEEPmSA_NS8_8equal_toIS6_EEEE10hipError_tPvRmT2_T3_mT4_T5_T6_T7_T8_P12ihipStream_tbENKUlT_T0_E_clISt17integral_constantIbLb0EES15_EEDaS10_S11_EUlS10_E_NS1_11comp_targetILNS1_3genE10ELNS1_11target_archE1200ELNS1_3gpuE4ELNS1_3repE0EEENS1_30default_config_static_selectorELNS0_4arch9wavefront6targetE1EEEvT1_.has_indirect_call, 0
	.section	.AMDGPU.csdata,"",@progbits
; Kernel info:
; codeLenInByte = 0
; TotalNumSgprs: 4
; NumVgprs: 0
; ScratchSize: 0
; MemoryBound: 0
; FloatMode: 240
; IeeeMode: 1
; LDSByteSize: 0 bytes/workgroup (compile time only)
; SGPRBlocks: 0
; VGPRBlocks: 0
; NumSGPRsForWavesPerEU: 4
; NumVGPRsForWavesPerEU: 1
; Occupancy: 10
; WaveLimiterHint : 0
; COMPUTE_PGM_RSRC2:SCRATCH_EN: 0
; COMPUTE_PGM_RSRC2:USER_SGPR: 6
; COMPUTE_PGM_RSRC2:TRAP_HANDLER: 0
; COMPUTE_PGM_RSRC2:TGID_X_EN: 1
; COMPUTE_PGM_RSRC2:TGID_Y_EN: 0
; COMPUTE_PGM_RSRC2:TGID_Z_EN: 0
; COMPUTE_PGM_RSRC2:TIDIG_COMP_CNT: 0
	.section	.text._ZN7rocprim17ROCPRIM_400000_NS6detail17trampoline_kernelINS0_14default_configENS1_29reduce_by_key_config_selectorIN3c104HalfElN6thrust23THRUST_200600_302600_NS4plusIlEEEEZZNS1_33reduce_by_key_impl_wrapped_configILNS1_25lookback_scan_determinismE0ES3_SB_PS6_NS8_17constant_iteratorIiNS8_11use_defaultESG_EENS8_10device_ptrIS6_EENSI_IlEEPmSA_NS8_8equal_toIS6_EEEE10hipError_tPvRmT2_T3_mT4_T5_T6_T7_T8_P12ihipStream_tbENKUlT_T0_E_clISt17integral_constantIbLb0EES15_EEDaS10_S11_EUlS10_E_NS1_11comp_targetILNS1_3genE9ELNS1_11target_archE1100ELNS1_3gpuE3ELNS1_3repE0EEENS1_30default_config_static_selectorELNS0_4arch9wavefront6targetE1EEEvT1_,"axG",@progbits,_ZN7rocprim17ROCPRIM_400000_NS6detail17trampoline_kernelINS0_14default_configENS1_29reduce_by_key_config_selectorIN3c104HalfElN6thrust23THRUST_200600_302600_NS4plusIlEEEEZZNS1_33reduce_by_key_impl_wrapped_configILNS1_25lookback_scan_determinismE0ES3_SB_PS6_NS8_17constant_iteratorIiNS8_11use_defaultESG_EENS8_10device_ptrIS6_EENSI_IlEEPmSA_NS8_8equal_toIS6_EEEE10hipError_tPvRmT2_T3_mT4_T5_T6_T7_T8_P12ihipStream_tbENKUlT_T0_E_clISt17integral_constantIbLb0EES15_EEDaS10_S11_EUlS10_E_NS1_11comp_targetILNS1_3genE9ELNS1_11target_archE1100ELNS1_3gpuE3ELNS1_3repE0EEENS1_30default_config_static_selectorELNS0_4arch9wavefront6targetE1EEEvT1_,comdat
	.protected	_ZN7rocprim17ROCPRIM_400000_NS6detail17trampoline_kernelINS0_14default_configENS1_29reduce_by_key_config_selectorIN3c104HalfElN6thrust23THRUST_200600_302600_NS4plusIlEEEEZZNS1_33reduce_by_key_impl_wrapped_configILNS1_25lookback_scan_determinismE0ES3_SB_PS6_NS8_17constant_iteratorIiNS8_11use_defaultESG_EENS8_10device_ptrIS6_EENSI_IlEEPmSA_NS8_8equal_toIS6_EEEE10hipError_tPvRmT2_T3_mT4_T5_T6_T7_T8_P12ihipStream_tbENKUlT_T0_E_clISt17integral_constantIbLb0EES15_EEDaS10_S11_EUlS10_E_NS1_11comp_targetILNS1_3genE9ELNS1_11target_archE1100ELNS1_3gpuE3ELNS1_3repE0EEENS1_30default_config_static_selectorELNS0_4arch9wavefront6targetE1EEEvT1_ ; -- Begin function _ZN7rocprim17ROCPRIM_400000_NS6detail17trampoline_kernelINS0_14default_configENS1_29reduce_by_key_config_selectorIN3c104HalfElN6thrust23THRUST_200600_302600_NS4plusIlEEEEZZNS1_33reduce_by_key_impl_wrapped_configILNS1_25lookback_scan_determinismE0ES3_SB_PS6_NS8_17constant_iteratorIiNS8_11use_defaultESG_EENS8_10device_ptrIS6_EENSI_IlEEPmSA_NS8_8equal_toIS6_EEEE10hipError_tPvRmT2_T3_mT4_T5_T6_T7_T8_P12ihipStream_tbENKUlT_T0_E_clISt17integral_constantIbLb0EES15_EEDaS10_S11_EUlS10_E_NS1_11comp_targetILNS1_3genE9ELNS1_11target_archE1100ELNS1_3gpuE3ELNS1_3repE0EEENS1_30default_config_static_selectorELNS0_4arch9wavefront6targetE1EEEvT1_
	.globl	_ZN7rocprim17ROCPRIM_400000_NS6detail17trampoline_kernelINS0_14default_configENS1_29reduce_by_key_config_selectorIN3c104HalfElN6thrust23THRUST_200600_302600_NS4plusIlEEEEZZNS1_33reduce_by_key_impl_wrapped_configILNS1_25lookback_scan_determinismE0ES3_SB_PS6_NS8_17constant_iteratorIiNS8_11use_defaultESG_EENS8_10device_ptrIS6_EENSI_IlEEPmSA_NS8_8equal_toIS6_EEEE10hipError_tPvRmT2_T3_mT4_T5_T6_T7_T8_P12ihipStream_tbENKUlT_T0_E_clISt17integral_constantIbLb0EES15_EEDaS10_S11_EUlS10_E_NS1_11comp_targetILNS1_3genE9ELNS1_11target_archE1100ELNS1_3gpuE3ELNS1_3repE0EEENS1_30default_config_static_selectorELNS0_4arch9wavefront6targetE1EEEvT1_
	.p2align	8
	.type	_ZN7rocprim17ROCPRIM_400000_NS6detail17trampoline_kernelINS0_14default_configENS1_29reduce_by_key_config_selectorIN3c104HalfElN6thrust23THRUST_200600_302600_NS4plusIlEEEEZZNS1_33reduce_by_key_impl_wrapped_configILNS1_25lookback_scan_determinismE0ES3_SB_PS6_NS8_17constant_iteratorIiNS8_11use_defaultESG_EENS8_10device_ptrIS6_EENSI_IlEEPmSA_NS8_8equal_toIS6_EEEE10hipError_tPvRmT2_T3_mT4_T5_T6_T7_T8_P12ihipStream_tbENKUlT_T0_E_clISt17integral_constantIbLb0EES15_EEDaS10_S11_EUlS10_E_NS1_11comp_targetILNS1_3genE9ELNS1_11target_archE1100ELNS1_3gpuE3ELNS1_3repE0EEENS1_30default_config_static_selectorELNS0_4arch9wavefront6targetE1EEEvT1_,@function
_ZN7rocprim17ROCPRIM_400000_NS6detail17trampoline_kernelINS0_14default_configENS1_29reduce_by_key_config_selectorIN3c104HalfElN6thrust23THRUST_200600_302600_NS4plusIlEEEEZZNS1_33reduce_by_key_impl_wrapped_configILNS1_25lookback_scan_determinismE0ES3_SB_PS6_NS8_17constant_iteratorIiNS8_11use_defaultESG_EENS8_10device_ptrIS6_EENSI_IlEEPmSA_NS8_8equal_toIS6_EEEE10hipError_tPvRmT2_T3_mT4_T5_T6_T7_T8_P12ihipStream_tbENKUlT_T0_E_clISt17integral_constantIbLb0EES15_EEDaS10_S11_EUlS10_E_NS1_11comp_targetILNS1_3genE9ELNS1_11target_archE1100ELNS1_3gpuE3ELNS1_3repE0EEENS1_30default_config_static_selectorELNS0_4arch9wavefront6targetE1EEEvT1_: ; @_ZN7rocprim17ROCPRIM_400000_NS6detail17trampoline_kernelINS0_14default_configENS1_29reduce_by_key_config_selectorIN3c104HalfElN6thrust23THRUST_200600_302600_NS4plusIlEEEEZZNS1_33reduce_by_key_impl_wrapped_configILNS1_25lookback_scan_determinismE0ES3_SB_PS6_NS8_17constant_iteratorIiNS8_11use_defaultESG_EENS8_10device_ptrIS6_EENSI_IlEEPmSA_NS8_8equal_toIS6_EEEE10hipError_tPvRmT2_T3_mT4_T5_T6_T7_T8_P12ihipStream_tbENKUlT_T0_E_clISt17integral_constantIbLb0EES15_EEDaS10_S11_EUlS10_E_NS1_11comp_targetILNS1_3genE9ELNS1_11target_archE1100ELNS1_3gpuE3ELNS1_3repE0EEENS1_30default_config_static_selectorELNS0_4arch9wavefront6targetE1EEEvT1_
; %bb.0:
	.section	.rodata,"a",@progbits
	.p2align	6, 0x0
	.amdhsa_kernel _ZN7rocprim17ROCPRIM_400000_NS6detail17trampoline_kernelINS0_14default_configENS1_29reduce_by_key_config_selectorIN3c104HalfElN6thrust23THRUST_200600_302600_NS4plusIlEEEEZZNS1_33reduce_by_key_impl_wrapped_configILNS1_25lookback_scan_determinismE0ES3_SB_PS6_NS8_17constant_iteratorIiNS8_11use_defaultESG_EENS8_10device_ptrIS6_EENSI_IlEEPmSA_NS8_8equal_toIS6_EEEE10hipError_tPvRmT2_T3_mT4_T5_T6_T7_T8_P12ihipStream_tbENKUlT_T0_E_clISt17integral_constantIbLb0EES15_EEDaS10_S11_EUlS10_E_NS1_11comp_targetILNS1_3genE9ELNS1_11target_archE1100ELNS1_3gpuE3ELNS1_3repE0EEENS1_30default_config_static_selectorELNS0_4arch9wavefront6targetE1EEEvT1_
		.amdhsa_group_segment_fixed_size 0
		.amdhsa_private_segment_fixed_size 0
		.amdhsa_kernarg_size 144
		.amdhsa_user_sgpr_count 6
		.amdhsa_user_sgpr_private_segment_buffer 1
		.amdhsa_user_sgpr_dispatch_ptr 0
		.amdhsa_user_sgpr_queue_ptr 0
		.amdhsa_user_sgpr_kernarg_segment_ptr 1
		.amdhsa_user_sgpr_dispatch_id 0
		.amdhsa_user_sgpr_flat_scratch_init 0
		.amdhsa_user_sgpr_private_segment_size 0
		.amdhsa_uses_dynamic_stack 0
		.amdhsa_system_sgpr_private_segment_wavefront_offset 0
		.amdhsa_system_sgpr_workgroup_id_x 1
		.amdhsa_system_sgpr_workgroup_id_y 0
		.amdhsa_system_sgpr_workgroup_id_z 0
		.amdhsa_system_sgpr_workgroup_info 0
		.amdhsa_system_vgpr_workitem_id 0
		.amdhsa_next_free_vgpr 1
		.amdhsa_next_free_sgpr 0
		.amdhsa_reserve_vcc 0
		.amdhsa_reserve_flat_scratch 0
		.amdhsa_float_round_mode_32 0
		.amdhsa_float_round_mode_16_64 0
		.amdhsa_float_denorm_mode_32 3
		.amdhsa_float_denorm_mode_16_64 3
		.amdhsa_dx10_clamp 1
		.amdhsa_ieee_mode 1
		.amdhsa_fp16_overflow 0
		.amdhsa_exception_fp_ieee_invalid_op 0
		.amdhsa_exception_fp_denorm_src 0
		.amdhsa_exception_fp_ieee_div_zero 0
		.amdhsa_exception_fp_ieee_overflow 0
		.amdhsa_exception_fp_ieee_underflow 0
		.amdhsa_exception_fp_ieee_inexact 0
		.amdhsa_exception_int_div_zero 0
	.end_amdhsa_kernel
	.section	.text._ZN7rocprim17ROCPRIM_400000_NS6detail17trampoline_kernelINS0_14default_configENS1_29reduce_by_key_config_selectorIN3c104HalfElN6thrust23THRUST_200600_302600_NS4plusIlEEEEZZNS1_33reduce_by_key_impl_wrapped_configILNS1_25lookback_scan_determinismE0ES3_SB_PS6_NS8_17constant_iteratorIiNS8_11use_defaultESG_EENS8_10device_ptrIS6_EENSI_IlEEPmSA_NS8_8equal_toIS6_EEEE10hipError_tPvRmT2_T3_mT4_T5_T6_T7_T8_P12ihipStream_tbENKUlT_T0_E_clISt17integral_constantIbLb0EES15_EEDaS10_S11_EUlS10_E_NS1_11comp_targetILNS1_3genE9ELNS1_11target_archE1100ELNS1_3gpuE3ELNS1_3repE0EEENS1_30default_config_static_selectorELNS0_4arch9wavefront6targetE1EEEvT1_,"axG",@progbits,_ZN7rocprim17ROCPRIM_400000_NS6detail17trampoline_kernelINS0_14default_configENS1_29reduce_by_key_config_selectorIN3c104HalfElN6thrust23THRUST_200600_302600_NS4plusIlEEEEZZNS1_33reduce_by_key_impl_wrapped_configILNS1_25lookback_scan_determinismE0ES3_SB_PS6_NS8_17constant_iteratorIiNS8_11use_defaultESG_EENS8_10device_ptrIS6_EENSI_IlEEPmSA_NS8_8equal_toIS6_EEEE10hipError_tPvRmT2_T3_mT4_T5_T6_T7_T8_P12ihipStream_tbENKUlT_T0_E_clISt17integral_constantIbLb0EES15_EEDaS10_S11_EUlS10_E_NS1_11comp_targetILNS1_3genE9ELNS1_11target_archE1100ELNS1_3gpuE3ELNS1_3repE0EEENS1_30default_config_static_selectorELNS0_4arch9wavefront6targetE1EEEvT1_,comdat
.Lfunc_end2205:
	.size	_ZN7rocprim17ROCPRIM_400000_NS6detail17trampoline_kernelINS0_14default_configENS1_29reduce_by_key_config_selectorIN3c104HalfElN6thrust23THRUST_200600_302600_NS4plusIlEEEEZZNS1_33reduce_by_key_impl_wrapped_configILNS1_25lookback_scan_determinismE0ES3_SB_PS6_NS8_17constant_iteratorIiNS8_11use_defaultESG_EENS8_10device_ptrIS6_EENSI_IlEEPmSA_NS8_8equal_toIS6_EEEE10hipError_tPvRmT2_T3_mT4_T5_T6_T7_T8_P12ihipStream_tbENKUlT_T0_E_clISt17integral_constantIbLb0EES15_EEDaS10_S11_EUlS10_E_NS1_11comp_targetILNS1_3genE9ELNS1_11target_archE1100ELNS1_3gpuE3ELNS1_3repE0EEENS1_30default_config_static_selectorELNS0_4arch9wavefront6targetE1EEEvT1_, .Lfunc_end2205-_ZN7rocprim17ROCPRIM_400000_NS6detail17trampoline_kernelINS0_14default_configENS1_29reduce_by_key_config_selectorIN3c104HalfElN6thrust23THRUST_200600_302600_NS4plusIlEEEEZZNS1_33reduce_by_key_impl_wrapped_configILNS1_25lookback_scan_determinismE0ES3_SB_PS6_NS8_17constant_iteratorIiNS8_11use_defaultESG_EENS8_10device_ptrIS6_EENSI_IlEEPmSA_NS8_8equal_toIS6_EEEE10hipError_tPvRmT2_T3_mT4_T5_T6_T7_T8_P12ihipStream_tbENKUlT_T0_E_clISt17integral_constantIbLb0EES15_EEDaS10_S11_EUlS10_E_NS1_11comp_targetILNS1_3genE9ELNS1_11target_archE1100ELNS1_3gpuE3ELNS1_3repE0EEENS1_30default_config_static_selectorELNS0_4arch9wavefront6targetE1EEEvT1_
                                        ; -- End function
	.set _ZN7rocprim17ROCPRIM_400000_NS6detail17trampoline_kernelINS0_14default_configENS1_29reduce_by_key_config_selectorIN3c104HalfElN6thrust23THRUST_200600_302600_NS4plusIlEEEEZZNS1_33reduce_by_key_impl_wrapped_configILNS1_25lookback_scan_determinismE0ES3_SB_PS6_NS8_17constant_iteratorIiNS8_11use_defaultESG_EENS8_10device_ptrIS6_EENSI_IlEEPmSA_NS8_8equal_toIS6_EEEE10hipError_tPvRmT2_T3_mT4_T5_T6_T7_T8_P12ihipStream_tbENKUlT_T0_E_clISt17integral_constantIbLb0EES15_EEDaS10_S11_EUlS10_E_NS1_11comp_targetILNS1_3genE9ELNS1_11target_archE1100ELNS1_3gpuE3ELNS1_3repE0EEENS1_30default_config_static_selectorELNS0_4arch9wavefront6targetE1EEEvT1_.num_vgpr, 0
	.set _ZN7rocprim17ROCPRIM_400000_NS6detail17trampoline_kernelINS0_14default_configENS1_29reduce_by_key_config_selectorIN3c104HalfElN6thrust23THRUST_200600_302600_NS4plusIlEEEEZZNS1_33reduce_by_key_impl_wrapped_configILNS1_25lookback_scan_determinismE0ES3_SB_PS6_NS8_17constant_iteratorIiNS8_11use_defaultESG_EENS8_10device_ptrIS6_EENSI_IlEEPmSA_NS8_8equal_toIS6_EEEE10hipError_tPvRmT2_T3_mT4_T5_T6_T7_T8_P12ihipStream_tbENKUlT_T0_E_clISt17integral_constantIbLb0EES15_EEDaS10_S11_EUlS10_E_NS1_11comp_targetILNS1_3genE9ELNS1_11target_archE1100ELNS1_3gpuE3ELNS1_3repE0EEENS1_30default_config_static_selectorELNS0_4arch9wavefront6targetE1EEEvT1_.num_agpr, 0
	.set _ZN7rocprim17ROCPRIM_400000_NS6detail17trampoline_kernelINS0_14default_configENS1_29reduce_by_key_config_selectorIN3c104HalfElN6thrust23THRUST_200600_302600_NS4plusIlEEEEZZNS1_33reduce_by_key_impl_wrapped_configILNS1_25lookback_scan_determinismE0ES3_SB_PS6_NS8_17constant_iteratorIiNS8_11use_defaultESG_EENS8_10device_ptrIS6_EENSI_IlEEPmSA_NS8_8equal_toIS6_EEEE10hipError_tPvRmT2_T3_mT4_T5_T6_T7_T8_P12ihipStream_tbENKUlT_T0_E_clISt17integral_constantIbLb0EES15_EEDaS10_S11_EUlS10_E_NS1_11comp_targetILNS1_3genE9ELNS1_11target_archE1100ELNS1_3gpuE3ELNS1_3repE0EEENS1_30default_config_static_selectorELNS0_4arch9wavefront6targetE1EEEvT1_.numbered_sgpr, 0
	.set _ZN7rocprim17ROCPRIM_400000_NS6detail17trampoline_kernelINS0_14default_configENS1_29reduce_by_key_config_selectorIN3c104HalfElN6thrust23THRUST_200600_302600_NS4plusIlEEEEZZNS1_33reduce_by_key_impl_wrapped_configILNS1_25lookback_scan_determinismE0ES3_SB_PS6_NS8_17constant_iteratorIiNS8_11use_defaultESG_EENS8_10device_ptrIS6_EENSI_IlEEPmSA_NS8_8equal_toIS6_EEEE10hipError_tPvRmT2_T3_mT4_T5_T6_T7_T8_P12ihipStream_tbENKUlT_T0_E_clISt17integral_constantIbLb0EES15_EEDaS10_S11_EUlS10_E_NS1_11comp_targetILNS1_3genE9ELNS1_11target_archE1100ELNS1_3gpuE3ELNS1_3repE0EEENS1_30default_config_static_selectorELNS0_4arch9wavefront6targetE1EEEvT1_.num_named_barrier, 0
	.set _ZN7rocprim17ROCPRIM_400000_NS6detail17trampoline_kernelINS0_14default_configENS1_29reduce_by_key_config_selectorIN3c104HalfElN6thrust23THRUST_200600_302600_NS4plusIlEEEEZZNS1_33reduce_by_key_impl_wrapped_configILNS1_25lookback_scan_determinismE0ES3_SB_PS6_NS8_17constant_iteratorIiNS8_11use_defaultESG_EENS8_10device_ptrIS6_EENSI_IlEEPmSA_NS8_8equal_toIS6_EEEE10hipError_tPvRmT2_T3_mT4_T5_T6_T7_T8_P12ihipStream_tbENKUlT_T0_E_clISt17integral_constantIbLb0EES15_EEDaS10_S11_EUlS10_E_NS1_11comp_targetILNS1_3genE9ELNS1_11target_archE1100ELNS1_3gpuE3ELNS1_3repE0EEENS1_30default_config_static_selectorELNS0_4arch9wavefront6targetE1EEEvT1_.private_seg_size, 0
	.set _ZN7rocprim17ROCPRIM_400000_NS6detail17trampoline_kernelINS0_14default_configENS1_29reduce_by_key_config_selectorIN3c104HalfElN6thrust23THRUST_200600_302600_NS4plusIlEEEEZZNS1_33reduce_by_key_impl_wrapped_configILNS1_25lookback_scan_determinismE0ES3_SB_PS6_NS8_17constant_iteratorIiNS8_11use_defaultESG_EENS8_10device_ptrIS6_EENSI_IlEEPmSA_NS8_8equal_toIS6_EEEE10hipError_tPvRmT2_T3_mT4_T5_T6_T7_T8_P12ihipStream_tbENKUlT_T0_E_clISt17integral_constantIbLb0EES15_EEDaS10_S11_EUlS10_E_NS1_11comp_targetILNS1_3genE9ELNS1_11target_archE1100ELNS1_3gpuE3ELNS1_3repE0EEENS1_30default_config_static_selectorELNS0_4arch9wavefront6targetE1EEEvT1_.uses_vcc, 0
	.set _ZN7rocprim17ROCPRIM_400000_NS6detail17trampoline_kernelINS0_14default_configENS1_29reduce_by_key_config_selectorIN3c104HalfElN6thrust23THRUST_200600_302600_NS4plusIlEEEEZZNS1_33reduce_by_key_impl_wrapped_configILNS1_25lookback_scan_determinismE0ES3_SB_PS6_NS8_17constant_iteratorIiNS8_11use_defaultESG_EENS8_10device_ptrIS6_EENSI_IlEEPmSA_NS8_8equal_toIS6_EEEE10hipError_tPvRmT2_T3_mT4_T5_T6_T7_T8_P12ihipStream_tbENKUlT_T0_E_clISt17integral_constantIbLb0EES15_EEDaS10_S11_EUlS10_E_NS1_11comp_targetILNS1_3genE9ELNS1_11target_archE1100ELNS1_3gpuE3ELNS1_3repE0EEENS1_30default_config_static_selectorELNS0_4arch9wavefront6targetE1EEEvT1_.uses_flat_scratch, 0
	.set _ZN7rocprim17ROCPRIM_400000_NS6detail17trampoline_kernelINS0_14default_configENS1_29reduce_by_key_config_selectorIN3c104HalfElN6thrust23THRUST_200600_302600_NS4plusIlEEEEZZNS1_33reduce_by_key_impl_wrapped_configILNS1_25lookback_scan_determinismE0ES3_SB_PS6_NS8_17constant_iteratorIiNS8_11use_defaultESG_EENS8_10device_ptrIS6_EENSI_IlEEPmSA_NS8_8equal_toIS6_EEEE10hipError_tPvRmT2_T3_mT4_T5_T6_T7_T8_P12ihipStream_tbENKUlT_T0_E_clISt17integral_constantIbLb0EES15_EEDaS10_S11_EUlS10_E_NS1_11comp_targetILNS1_3genE9ELNS1_11target_archE1100ELNS1_3gpuE3ELNS1_3repE0EEENS1_30default_config_static_selectorELNS0_4arch9wavefront6targetE1EEEvT1_.has_dyn_sized_stack, 0
	.set _ZN7rocprim17ROCPRIM_400000_NS6detail17trampoline_kernelINS0_14default_configENS1_29reduce_by_key_config_selectorIN3c104HalfElN6thrust23THRUST_200600_302600_NS4plusIlEEEEZZNS1_33reduce_by_key_impl_wrapped_configILNS1_25lookback_scan_determinismE0ES3_SB_PS6_NS8_17constant_iteratorIiNS8_11use_defaultESG_EENS8_10device_ptrIS6_EENSI_IlEEPmSA_NS8_8equal_toIS6_EEEE10hipError_tPvRmT2_T3_mT4_T5_T6_T7_T8_P12ihipStream_tbENKUlT_T0_E_clISt17integral_constantIbLb0EES15_EEDaS10_S11_EUlS10_E_NS1_11comp_targetILNS1_3genE9ELNS1_11target_archE1100ELNS1_3gpuE3ELNS1_3repE0EEENS1_30default_config_static_selectorELNS0_4arch9wavefront6targetE1EEEvT1_.has_recursion, 0
	.set _ZN7rocprim17ROCPRIM_400000_NS6detail17trampoline_kernelINS0_14default_configENS1_29reduce_by_key_config_selectorIN3c104HalfElN6thrust23THRUST_200600_302600_NS4plusIlEEEEZZNS1_33reduce_by_key_impl_wrapped_configILNS1_25lookback_scan_determinismE0ES3_SB_PS6_NS8_17constant_iteratorIiNS8_11use_defaultESG_EENS8_10device_ptrIS6_EENSI_IlEEPmSA_NS8_8equal_toIS6_EEEE10hipError_tPvRmT2_T3_mT4_T5_T6_T7_T8_P12ihipStream_tbENKUlT_T0_E_clISt17integral_constantIbLb0EES15_EEDaS10_S11_EUlS10_E_NS1_11comp_targetILNS1_3genE9ELNS1_11target_archE1100ELNS1_3gpuE3ELNS1_3repE0EEENS1_30default_config_static_selectorELNS0_4arch9wavefront6targetE1EEEvT1_.has_indirect_call, 0
	.section	.AMDGPU.csdata,"",@progbits
; Kernel info:
; codeLenInByte = 0
; TotalNumSgprs: 4
; NumVgprs: 0
; ScratchSize: 0
; MemoryBound: 0
; FloatMode: 240
; IeeeMode: 1
; LDSByteSize: 0 bytes/workgroup (compile time only)
; SGPRBlocks: 0
; VGPRBlocks: 0
; NumSGPRsForWavesPerEU: 4
; NumVGPRsForWavesPerEU: 1
; Occupancy: 10
; WaveLimiterHint : 0
; COMPUTE_PGM_RSRC2:SCRATCH_EN: 0
; COMPUTE_PGM_RSRC2:USER_SGPR: 6
; COMPUTE_PGM_RSRC2:TRAP_HANDLER: 0
; COMPUTE_PGM_RSRC2:TGID_X_EN: 1
; COMPUTE_PGM_RSRC2:TGID_Y_EN: 0
; COMPUTE_PGM_RSRC2:TGID_Z_EN: 0
; COMPUTE_PGM_RSRC2:TIDIG_COMP_CNT: 0
	.section	.text._ZN7rocprim17ROCPRIM_400000_NS6detail17trampoline_kernelINS0_14default_configENS1_29reduce_by_key_config_selectorIN3c104HalfElN6thrust23THRUST_200600_302600_NS4plusIlEEEEZZNS1_33reduce_by_key_impl_wrapped_configILNS1_25lookback_scan_determinismE0ES3_SB_PS6_NS8_17constant_iteratorIiNS8_11use_defaultESG_EENS8_10device_ptrIS6_EENSI_IlEEPmSA_NS8_8equal_toIS6_EEEE10hipError_tPvRmT2_T3_mT4_T5_T6_T7_T8_P12ihipStream_tbENKUlT_T0_E_clISt17integral_constantIbLb0EES15_EEDaS10_S11_EUlS10_E_NS1_11comp_targetILNS1_3genE8ELNS1_11target_archE1030ELNS1_3gpuE2ELNS1_3repE0EEENS1_30default_config_static_selectorELNS0_4arch9wavefront6targetE1EEEvT1_,"axG",@progbits,_ZN7rocprim17ROCPRIM_400000_NS6detail17trampoline_kernelINS0_14default_configENS1_29reduce_by_key_config_selectorIN3c104HalfElN6thrust23THRUST_200600_302600_NS4plusIlEEEEZZNS1_33reduce_by_key_impl_wrapped_configILNS1_25lookback_scan_determinismE0ES3_SB_PS6_NS8_17constant_iteratorIiNS8_11use_defaultESG_EENS8_10device_ptrIS6_EENSI_IlEEPmSA_NS8_8equal_toIS6_EEEE10hipError_tPvRmT2_T3_mT4_T5_T6_T7_T8_P12ihipStream_tbENKUlT_T0_E_clISt17integral_constantIbLb0EES15_EEDaS10_S11_EUlS10_E_NS1_11comp_targetILNS1_3genE8ELNS1_11target_archE1030ELNS1_3gpuE2ELNS1_3repE0EEENS1_30default_config_static_selectorELNS0_4arch9wavefront6targetE1EEEvT1_,comdat
	.protected	_ZN7rocprim17ROCPRIM_400000_NS6detail17trampoline_kernelINS0_14default_configENS1_29reduce_by_key_config_selectorIN3c104HalfElN6thrust23THRUST_200600_302600_NS4plusIlEEEEZZNS1_33reduce_by_key_impl_wrapped_configILNS1_25lookback_scan_determinismE0ES3_SB_PS6_NS8_17constant_iteratorIiNS8_11use_defaultESG_EENS8_10device_ptrIS6_EENSI_IlEEPmSA_NS8_8equal_toIS6_EEEE10hipError_tPvRmT2_T3_mT4_T5_T6_T7_T8_P12ihipStream_tbENKUlT_T0_E_clISt17integral_constantIbLb0EES15_EEDaS10_S11_EUlS10_E_NS1_11comp_targetILNS1_3genE8ELNS1_11target_archE1030ELNS1_3gpuE2ELNS1_3repE0EEENS1_30default_config_static_selectorELNS0_4arch9wavefront6targetE1EEEvT1_ ; -- Begin function _ZN7rocprim17ROCPRIM_400000_NS6detail17trampoline_kernelINS0_14default_configENS1_29reduce_by_key_config_selectorIN3c104HalfElN6thrust23THRUST_200600_302600_NS4plusIlEEEEZZNS1_33reduce_by_key_impl_wrapped_configILNS1_25lookback_scan_determinismE0ES3_SB_PS6_NS8_17constant_iteratorIiNS8_11use_defaultESG_EENS8_10device_ptrIS6_EENSI_IlEEPmSA_NS8_8equal_toIS6_EEEE10hipError_tPvRmT2_T3_mT4_T5_T6_T7_T8_P12ihipStream_tbENKUlT_T0_E_clISt17integral_constantIbLb0EES15_EEDaS10_S11_EUlS10_E_NS1_11comp_targetILNS1_3genE8ELNS1_11target_archE1030ELNS1_3gpuE2ELNS1_3repE0EEENS1_30default_config_static_selectorELNS0_4arch9wavefront6targetE1EEEvT1_
	.globl	_ZN7rocprim17ROCPRIM_400000_NS6detail17trampoline_kernelINS0_14default_configENS1_29reduce_by_key_config_selectorIN3c104HalfElN6thrust23THRUST_200600_302600_NS4plusIlEEEEZZNS1_33reduce_by_key_impl_wrapped_configILNS1_25lookback_scan_determinismE0ES3_SB_PS6_NS8_17constant_iteratorIiNS8_11use_defaultESG_EENS8_10device_ptrIS6_EENSI_IlEEPmSA_NS8_8equal_toIS6_EEEE10hipError_tPvRmT2_T3_mT4_T5_T6_T7_T8_P12ihipStream_tbENKUlT_T0_E_clISt17integral_constantIbLb0EES15_EEDaS10_S11_EUlS10_E_NS1_11comp_targetILNS1_3genE8ELNS1_11target_archE1030ELNS1_3gpuE2ELNS1_3repE0EEENS1_30default_config_static_selectorELNS0_4arch9wavefront6targetE1EEEvT1_
	.p2align	8
	.type	_ZN7rocprim17ROCPRIM_400000_NS6detail17trampoline_kernelINS0_14default_configENS1_29reduce_by_key_config_selectorIN3c104HalfElN6thrust23THRUST_200600_302600_NS4plusIlEEEEZZNS1_33reduce_by_key_impl_wrapped_configILNS1_25lookback_scan_determinismE0ES3_SB_PS6_NS8_17constant_iteratorIiNS8_11use_defaultESG_EENS8_10device_ptrIS6_EENSI_IlEEPmSA_NS8_8equal_toIS6_EEEE10hipError_tPvRmT2_T3_mT4_T5_T6_T7_T8_P12ihipStream_tbENKUlT_T0_E_clISt17integral_constantIbLb0EES15_EEDaS10_S11_EUlS10_E_NS1_11comp_targetILNS1_3genE8ELNS1_11target_archE1030ELNS1_3gpuE2ELNS1_3repE0EEENS1_30default_config_static_selectorELNS0_4arch9wavefront6targetE1EEEvT1_,@function
_ZN7rocprim17ROCPRIM_400000_NS6detail17trampoline_kernelINS0_14default_configENS1_29reduce_by_key_config_selectorIN3c104HalfElN6thrust23THRUST_200600_302600_NS4plusIlEEEEZZNS1_33reduce_by_key_impl_wrapped_configILNS1_25lookback_scan_determinismE0ES3_SB_PS6_NS8_17constant_iteratorIiNS8_11use_defaultESG_EENS8_10device_ptrIS6_EENSI_IlEEPmSA_NS8_8equal_toIS6_EEEE10hipError_tPvRmT2_T3_mT4_T5_T6_T7_T8_P12ihipStream_tbENKUlT_T0_E_clISt17integral_constantIbLb0EES15_EEDaS10_S11_EUlS10_E_NS1_11comp_targetILNS1_3genE8ELNS1_11target_archE1030ELNS1_3gpuE2ELNS1_3repE0EEENS1_30default_config_static_selectorELNS0_4arch9wavefront6targetE1EEEvT1_: ; @_ZN7rocprim17ROCPRIM_400000_NS6detail17trampoline_kernelINS0_14default_configENS1_29reduce_by_key_config_selectorIN3c104HalfElN6thrust23THRUST_200600_302600_NS4plusIlEEEEZZNS1_33reduce_by_key_impl_wrapped_configILNS1_25lookback_scan_determinismE0ES3_SB_PS6_NS8_17constant_iteratorIiNS8_11use_defaultESG_EENS8_10device_ptrIS6_EENSI_IlEEPmSA_NS8_8equal_toIS6_EEEE10hipError_tPvRmT2_T3_mT4_T5_T6_T7_T8_P12ihipStream_tbENKUlT_T0_E_clISt17integral_constantIbLb0EES15_EEDaS10_S11_EUlS10_E_NS1_11comp_targetILNS1_3genE8ELNS1_11target_archE1030ELNS1_3gpuE2ELNS1_3repE0EEENS1_30default_config_static_selectorELNS0_4arch9wavefront6targetE1EEEvT1_
; %bb.0:
	.section	.rodata,"a",@progbits
	.p2align	6, 0x0
	.amdhsa_kernel _ZN7rocprim17ROCPRIM_400000_NS6detail17trampoline_kernelINS0_14default_configENS1_29reduce_by_key_config_selectorIN3c104HalfElN6thrust23THRUST_200600_302600_NS4plusIlEEEEZZNS1_33reduce_by_key_impl_wrapped_configILNS1_25lookback_scan_determinismE0ES3_SB_PS6_NS8_17constant_iteratorIiNS8_11use_defaultESG_EENS8_10device_ptrIS6_EENSI_IlEEPmSA_NS8_8equal_toIS6_EEEE10hipError_tPvRmT2_T3_mT4_T5_T6_T7_T8_P12ihipStream_tbENKUlT_T0_E_clISt17integral_constantIbLb0EES15_EEDaS10_S11_EUlS10_E_NS1_11comp_targetILNS1_3genE8ELNS1_11target_archE1030ELNS1_3gpuE2ELNS1_3repE0EEENS1_30default_config_static_selectorELNS0_4arch9wavefront6targetE1EEEvT1_
		.amdhsa_group_segment_fixed_size 0
		.amdhsa_private_segment_fixed_size 0
		.amdhsa_kernarg_size 144
		.amdhsa_user_sgpr_count 6
		.amdhsa_user_sgpr_private_segment_buffer 1
		.amdhsa_user_sgpr_dispatch_ptr 0
		.amdhsa_user_sgpr_queue_ptr 0
		.amdhsa_user_sgpr_kernarg_segment_ptr 1
		.amdhsa_user_sgpr_dispatch_id 0
		.amdhsa_user_sgpr_flat_scratch_init 0
		.amdhsa_user_sgpr_private_segment_size 0
		.amdhsa_uses_dynamic_stack 0
		.amdhsa_system_sgpr_private_segment_wavefront_offset 0
		.amdhsa_system_sgpr_workgroup_id_x 1
		.amdhsa_system_sgpr_workgroup_id_y 0
		.amdhsa_system_sgpr_workgroup_id_z 0
		.amdhsa_system_sgpr_workgroup_info 0
		.amdhsa_system_vgpr_workitem_id 0
		.amdhsa_next_free_vgpr 1
		.amdhsa_next_free_sgpr 0
		.amdhsa_reserve_vcc 0
		.amdhsa_reserve_flat_scratch 0
		.amdhsa_float_round_mode_32 0
		.amdhsa_float_round_mode_16_64 0
		.amdhsa_float_denorm_mode_32 3
		.amdhsa_float_denorm_mode_16_64 3
		.amdhsa_dx10_clamp 1
		.amdhsa_ieee_mode 1
		.amdhsa_fp16_overflow 0
		.amdhsa_exception_fp_ieee_invalid_op 0
		.amdhsa_exception_fp_denorm_src 0
		.amdhsa_exception_fp_ieee_div_zero 0
		.amdhsa_exception_fp_ieee_overflow 0
		.amdhsa_exception_fp_ieee_underflow 0
		.amdhsa_exception_fp_ieee_inexact 0
		.amdhsa_exception_int_div_zero 0
	.end_amdhsa_kernel
	.section	.text._ZN7rocprim17ROCPRIM_400000_NS6detail17trampoline_kernelINS0_14default_configENS1_29reduce_by_key_config_selectorIN3c104HalfElN6thrust23THRUST_200600_302600_NS4plusIlEEEEZZNS1_33reduce_by_key_impl_wrapped_configILNS1_25lookback_scan_determinismE0ES3_SB_PS6_NS8_17constant_iteratorIiNS8_11use_defaultESG_EENS8_10device_ptrIS6_EENSI_IlEEPmSA_NS8_8equal_toIS6_EEEE10hipError_tPvRmT2_T3_mT4_T5_T6_T7_T8_P12ihipStream_tbENKUlT_T0_E_clISt17integral_constantIbLb0EES15_EEDaS10_S11_EUlS10_E_NS1_11comp_targetILNS1_3genE8ELNS1_11target_archE1030ELNS1_3gpuE2ELNS1_3repE0EEENS1_30default_config_static_selectorELNS0_4arch9wavefront6targetE1EEEvT1_,"axG",@progbits,_ZN7rocprim17ROCPRIM_400000_NS6detail17trampoline_kernelINS0_14default_configENS1_29reduce_by_key_config_selectorIN3c104HalfElN6thrust23THRUST_200600_302600_NS4plusIlEEEEZZNS1_33reduce_by_key_impl_wrapped_configILNS1_25lookback_scan_determinismE0ES3_SB_PS6_NS8_17constant_iteratorIiNS8_11use_defaultESG_EENS8_10device_ptrIS6_EENSI_IlEEPmSA_NS8_8equal_toIS6_EEEE10hipError_tPvRmT2_T3_mT4_T5_T6_T7_T8_P12ihipStream_tbENKUlT_T0_E_clISt17integral_constantIbLb0EES15_EEDaS10_S11_EUlS10_E_NS1_11comp_targetILNS1_3genE8ELNS1_11target_archE1030ELNS1_3gpuE2ELNS1_3repE0EEENS1_30default_config_static_selectorELNS0_4arch9wavefront6targetE1EEEvT1_,comdat
.Lfunc_end2206:
	.size	_ZN7rocprim17ROCPRIM_400000_NS6detail17trampoline_kernelINS0_14default_configENS1_29reduce_by_key_config_selectorIN3c104HalfElN6thrust23THRUST_200600_302600_NS4plusIlEEEEZZNS1_33reduce_by_key_impl_wrapped_configILNS1_25lookback_scan_determinismE0ES3_SB_PS6_NS8_17constant_iteratorIiNS8_11use_defaultESG_EENS8_10device_ptrIS6_EENSI_IlEEPmSA_NS8_8equal_toIS6_EEEE10hipError_tPvRmT2_T3_mT4_T5_T6_T7_T8_P12ihipStream_tbENKUlT_T0_E_clISt17integral_constantIbLb0EES15_EEDaS10_S11_EUlS10_E_NS1_11comp_targetILNS1_3genE8ELNS1_11target_archE1030ELNS1_3gpuE2ELNS1_3repE0EEENS1_30default_config_static_selectorELNS0_4arch9wavefront6targetE1EEEvT1_, .Lfunc_end2206-_ZN7rocprim17ROCPRIM_400000_NS6detail17trampoline_kernelINS0_14default_configENS1_29reduce_by_key_config_selectorIN3c104HalfElN6thrust23THRUST_200600_302600_NS4plusIlEEEEZZNS1_33reduce_by_key_impl_wrapped_configILNS1_25lookback_scan_determinismE0ES3_SB_PS6_NS8_17constant_iteratorIiNS8_11use_defaultESG_EENS8_10device_ptrIS6_EENSI_IlEEPmSA_NS8_8equal_toIS6_EEEE10hipError_tPvRmT2_T3_mT4_T5_T6_T7_T8_P12ihipStream_tbENKUlT_T0_E_clISt17integral_constantIbLb0EES15_EEDaS10_S11_EUlS10_E_NS1_11comp_targetILNS1_3genE8ELNS1_11target_archE1030ELNS1_3gpuE2ELNS1_3repE0EEENS1_30default_config_static_selectorELNS0_4arch9wavefront6targetE1EEEvT1_
                                        ; -- End function
	.set _ZN7rocprim17ROCPRIM_400000_NS6detail17trampoline_kernelINS0_14default_configENS1_29reduce_by_key_config_selectorIN3c104HalfElN6thrust23THRUST_200600_302600_NS4plusIlEEEEZZNS1_33reduce_by_key_impl_wrapped_configILNS1_25lookback_scan_determinismE0ES3_SB_PS6_NS8_17constant_iteratorIiNS8_11use_defaultESG_EENS8_10device_ptrIS6_EENSI_IlEEPmSA_NS8_8equal_toIS6_EEEE10hipError_tPvRmT2_T3_mT4_T5_T6_T7_T8_P12ihipStream_tbENKUlT_T0_E_clISt17integral_constantIbLb0EES15_EEDaS10_S11_EUlS10_E_NS1_11comp_targetILNS1_3genE8ELNS1_11target_archE1030ELNS1_3gpuE2ELNS1_3repE0EEENS1_30default_config_static_selectorELNS0_4arch9wavefront6targetE1EEEvT1_.num_vgpr, 0
	.set _ZN7rocprim17ROCPRIM_400000_NS6detail17trampoline_kernelINS0_14default_configENS1_29reduce_by_key_config_selectorIN3c104HalfElN6thrust23THRUST_200600_302600_NS4plusIlEEEEZZNS1_33reduce_by_key_impl_wrapped_configILNS1_25lookback_scan_determinismE0ES3_SB_PS6_NS8_17constant_iteratorIiNS8_11use_defaultESG_EENS8_10device_ptrIS6_EENSI_IlEEPmSA_NS8_8equal_toIS6_EEEE10hipError_tPvRmT2_T3_mT4_T5_T6_T7_T8_P12ihipStream_tbENKUlT_T0_E_clISt17integral_constantIbLb0EES15_EEDaS10_S11_EUlS10_E_NS1_11comp_targetILNS1_3genE8ELNS1_11target_archE1030ELNS1_3gpuE2ELNS1_3repE0EEENS1_30default_config_static_selectorELNS0_4arch9wavefront6targetE1EEEvT1_.num_agpr, 0
	.set _ZN7rocprim17ROCPRIM_400000_NS6detail17trampoline_kernelINS0_14default_configENS1_29reduce_by_key_config_selectorIN3c104HalfElN6thrust23THRUST_200600_302600_NS4plusIlEEEEZZNS1_33reduce_by_key_impl_wrapped_configILNS1_25lookback_scan_determinismE0ES3_SB_PS6_NS8_17constant_iteratorIiNS8_11use_defaultESG_EENS8_10device_ptrIS6_EENSI_IlEEPmSA_NS8_8equal_toIS6_EEEE10hipError_tPvRmT2_T3_mT4_T5_T6_T7_T8_P12ihipStream_tbENKUlT_T0_E_clISt17integral_constantIbLb0EES15_EEDaS10_S11_EUlS10_E_NS1_11comp_targetILNS1_3genE8ELNS1_11target_archE1030ELNS1_3gpuE2ELNS1_3repE0EEENS1_30default_config_static_selectorELNS0_4arch9wavefront6targetE1EEEvT1_.numbered_sgpr, 0
	.set _ZN7rocprim17ROCPRIM_400000_NS6detail17trampoline_kernelINS0_14default_configENS1_29reduce_by_key_config_selectorIN3c104HalfElN6thrust23THRUST_200600_302600_NS4plusIlEEEEZZNS1_33reduce_by_key_impl_wrapped_configILNS1_25lookback_scan_determinismE0ES3_SB_PS6_NS8_17constant_iteratorIiNS8_11use_defaultESG_EENS8_10device_ptrIS6_EENSI_IlEEPmSA_NS8_8equal_toIS6_EEEE10hipError_tPvRmT2_T3_mT4_T5_T6_T7_T8_P12ihipStream_tbENKUlT_T0_E_clISt17integral_constantIbLb0EES15_EEDaS10_S11_EUlS10_E_NS1_11comp_targetILNS1_3genE8ELNS1_11target_archE1030ELNS1_3gpuE2ELNS1_3repE0EEENS1_30default_config_static_selectorELNS0_4arch9wavefront6targetE1EEEvT1_.num_named_barrier, 0
	.set _ZN7rocprim17ROCPRIM_400000_NS6detail17trampoline_kernelINS0_14default_configENS1_29reduce_by_key_config_selectorIN3c104HalfElN6thrust23THRUST_200600_302600_NS4plusIlEEEEZZNS1_33reduce_by_key_impl_wrapped_configILNS1_25lookback_scan_determinismE0ES3_SB_PS6_NS8_17constant_iteratorIiNS8_11use_defaultESG_EENS8_10device_ptrIS6_EENSI_IlEEPmSA_NS8_8equal_toIS6_EEEE10hipError_tPvRmT2_T3_mT4_T5_T6_T7_T8_P12ihipStream_tbENKUlT_T0_E_clISt17integral_constantIbLb0EES15_EEDaS10_S11_EUlS10_E_NS1_11comp_targetILNS1_3genE8ELNS1_11target_archE1030ELNS1_3gpuE2ELNS1_3repE0EEENS1_30default_config_static_selectorELNS0_4arch9wavefront6targetE1EEEvT1_.private_seg_size, 0
	.set _ZN7rocprim17ROCPRIM_400000_NS6detail17trampoline_kernelINS0_14default_configENS1_29reduce_by_key_config_selectorIN3c104HalfElN6thrust23THRUST_200600_302600_NS4plusIlEEEEZZNS1_33reduce_by_key_impl_wrapped_configILNS1_25lookback_scan_determinismE0ES3_SB_PS6_NS8_17constant_iteratorIiNS8_11use_defaultESG_EENS8_10device_ptrIS6_EENSI_IlEEPmSA_NS8_8equal_toIS6_EEEE10hipError_tPvRmT2_T3_mT4_T5_T6_T7_T8_P12ihipStream_tbENKUlT_T0_E_clISt17integral_constantIbLb0EES15_EEDaS10_S11_EUlS10_E_NS1_11comp_targetILNS1_3genE8ELNS1_11target_archE1030ELNS1_3gpuE2ELNS1_3repE0EEENS1_30default_config_static_selectorELNS0_4arch9wavefront6targetE1EEEvT1_.uses_vcc, 0
	.set _ZN7rocprim17ROCPRIM_400000_NS6detail17trampoline_kernelINS0_14default_configENS1_29reduce_by_key_config_selectorIN3c104HalfElN6thrust23THRUST_200600_302600_NS4plusIlEEEEZZNS1_33reduce_by_key_impl_wrapped_configILNS1_25lookback_scan_determinismE0ES3_SB_PS6_NS8_17constant_iteratorIiNS8_11use_defaultESG_EENS8_10device_ptrIS6_EENSI_IlEEPmSA_NS8_8equal_toIS6_EEEE10hipError_tPvRmT2_T3_mT4_T5_T6_T7_T8_P12ihipStream_tbENKUlT_T0_E_clISt17integral_constantIbLb0EES15_EEDaS10_S11_EUlS10_E_NS1_11comp_targetILNS1_3genE8ELNS1_11target_archE1030ELNS1_3gpuE2ELNS1_3repE0EEENS1_30default_config_static_selectorELNS0_4arch9wavefront6targetE1EEEvT1_.uses_flat_scratch, 0
	.set _ZN7rocprim17ROCPRIM_400000_NS6detail17trampoline_kernelINS0_14default_configENS1_29reduce_by_key_config_selectorIN3c104HalfElN6thrust23THRUST_200600_302600_NS4plusIlEEEEZZNS1_33reduce_by_key_impl_wrapped_configILNS1_25lookback_scan_determinismE0ES3_SB_PS6_NS8_17constant_iteratorIiNS8_11use_defaultESG_EENS8_10device_ptrIS6_EENSI_IlEEPmSA_NS8_8equal_toIS6_EEEE10hipError_tPvRmT2_T3_mT4_T5_T6_T7_T8_P12ihipStream_tbENKUlT_T0_E_clISt17integral_constantIbLb0EES15_EEDaS10_S11_EUlS10_E_NS1_11comp_targetILNS1_3genE8ELNS1_11target_archE1030ELNS1_3gpuE2ELNS1_3repE0EEENS1_30default_config_static_selectorELNS0_4arch9wavefront6targetE1EEEvT1_.has_dyn_sized_stack, 0
	.set _ZN7rocprim17ROCPRIM_400000_NS6detail17trampoline_kernelINS0_14default_configENS1_29reduce_by_key_config_selectorIN3c104HalfElN6thrust23THRUST_200600_302600_NS4plusIlEEEEZZNS1_33reduce_by_key_impl_wrapped_configILNS1_25lookback_scan_determinismE0ES3_SB_PS6_NS8_17constant_iteratorIiNS8_11use_defaultESG_EENS8_10device_ptrIS6_EENSI_IlEEPmSA_NS8_8equal_toIS6_EEEE10hipError_tPvRmT2_T3_mT4_T5_T6_T7_T8_P12ihipStream_tbENKUlT_T0_E_clISt17integral_constantIbLb0EES15_EEDaS10_S11_EUlS10_E_NS1_11comp_targetILNS1_3genE8ELNS1_11target_archE1030ELNS1_3gpuE2ELNS1_3repE0EEENS1_30default_config_static_selectorELNS0_4arch9wavefront6targetE1EEEvT1_.has_recursion, 0
	.set _ZN7rocprim17ROCPRIM_400000_NS6detail17trampoline_kernelINS0_14default_configENS1_29reduce_by_key_config_selectorIN3c104HalfElN6thrust23THRUST_200600_302600_NS4plusIlEEEEZZNS1_33reduce_by_key_impl_wrapped_configILNS1_25lookback_scan_determinismE0ES3_SB_PS6_NS8_17constant_iteratorIiNS8_11use_defaultESG_EENS8_10device_ptrIS6_EENSI_IlEEPmSA_NS8_8equal_toIS6_EEEE10hipError_tPvRmT2_T3_mT4_T5_T6_T7_T8_P12ihipStream_tbENKUlT_T0_E_clISt17integral_constantIbLb0EES15_EEDaS10_S11_EUlS10_E_NS1_11comp_targetILNS1_3genE8ELNS1_11target_archE1030ELNS1_3gpuE2ELNS1_3repE0EEENS1_30default_config_static_selectorELNS0_4arch9wavefront6targetE1EEEvT1_.has_indirect_call, 0
	.section	.AMDGPU.csdata,"",@progbits
; Kernel info:
; codeLenInByte = 0
; TotalNumSgprs: 4
; NumVgprs: 0
; ScratchSize: 0
; MemoryBound: 0
; FloatMode: 240
; IeeeMode: 1
; LDSByteSize: 0 bytes/workgroup (compile time only)
; SGPRBlocks: 0
; VGPRBlocks: 0
; NumSGPRsForWavesPerEU: 4
; NumVGPRsForWavesPerEU: 1
; Occupancy: 10
; WaveLimiterHint : 0
; COMPUTE_PGM_RSRC2:SCRATCH_EN: 0
; COMPUTE_PGM_RSRC2:USER_SGPR: 6
; COMPUTE_PGM_RSRC2:TRAP_HANDLER: 0
; COMPUTE_PGM_RSRC2:TGID_X_EN: 1
; COMPUTE_PGM_RSRC2:TGID_Y_EN: 0
; COMPUTE_PGM_RSRC2:TGID_Z_EN: 0
; COMPUTE_PGM_RSRC2:TIDIG_COMP_CNT: 0
	.section	.text._ZN7rocprim17ROCPRIM_400000_NS6detail17trampoline_kernelINS0_14default_configENS1_29reduce_by_key_config_selectorIN3c104HalfElN6thrust23THRUST_200600_302600_NS4plusIlEEEEZZNS1_33reduce_by_key_impl_wrapped_configILNS1_25lookback_scan_determinismE0ES3_SB_PS6_NS8_17constant_iteratorIiNS8_11use_defaultESG_EENS8_10device_ptrIS6_EENSI_IlEEPmSA_NS8_8equal_toIS6_EEEE10hipError_tPvRmT2_T3_mT4_T5_T6_T7_T8_P12ihipStream_tbENKUlT_T0_E_clISt17integral_constantIbLb1EES15_EEDaS10_S11_EUlS10_E_NS1_11comp_targetILNS1_3genE0ELNS1_11target_archE4294967295ELNS1_3gpuE0ELNS1_3repE0EEENS1_30default_config_static_selectorELNS0_4arch9wavefront6targetE1EEEvT1_,"axG",@progbits,_ZN7rocprim17ROCPRIM_400000_NS6detail17trampoline_kernelINS0_14default_configENS1_29reduce_by_key_config_selectorIN3c104HalfElN6thrust23THRUST_200600_302600_NS4plusIlEEEEZZNS1_33reduce_by_key_impl_wrapped_configILNS1_25lookback_scan_determinismE0ES3_SB_PS6_NS8_17constant_iteratorIiNS8_11use_defaultESG_EENS8_10device_ptrIS6_EENSI_IlEEPmSA_NS8_8equal_toIS6_EEEE10hipError_tPvRmT2_T3_mT4_T5_T6_T7_T8_P12ihipStream_tbENKUlT_T0_E_clISt17integral_constantIbLb1EES15_EEDaS10_S11_EUlS10_E_NS1_11comp_targetILNS1_3genE0ELNS1_11target_archE4294967295ELNS1_3gpuE0ELNS1_3repE0EEENS1_30default_config_static_selectorELNS0_4arch9wavefront6targetE1EEEvT1_,comdat
	.protected	_ZN7rocprim17ROCPRIM_400000_NS6detail17trampoline_kernelINS0_14default_configENS1_29reduce_by_key_config_selectorIN3c104HalfElN6thrust23THRUST_200600_302600_NS4plusIlEEEEZZNS1_33reduce_by_key_impl_wrapped_configILNS1_25lookback_scan_determinismE0ES3_SB_PS6_NS8_17constant_iteratorIiNS8_11use_defaultESG_EENS8_10device_ptrIS6_EENSI_IlEEPmSA_NS8_8equal_toIS6_EEEE10hipError_tPvRmT2_T3_mT4_T5_T6_T7_T8_P12ihipStream_tbENKUlT_T0_E_clISt17integral_constantIbLb1EES15_EEDaS10_S11_EUlS10_E_NS1_11comp_targetILNS1_3genE0ELNS1_11target_archE4294967295ELNS1_3gpuE0ELNS1_3repE0EEENS1_30default_config_static_selectorELNS0_4arch9wavefront6targetE1EEEvT1_ ; -- Begin function _ZN7rocprim17ROCPRIM_400000_NS6detail17trampoline_kernelINS0_14default_configENS1_29reduce_by_key_config_selectorIN3c104HalfElN6thrust23THRUST_200600_302600_NS4plusIlEEEEZZNS1_33reduce_by_key_impl_wrapped_configILNS1_25lookback_scan_determinismE0ES3_SB_PS6_NS8_17constant_iteratorIiNS8_11use_defaultESG_EENS8_10device_ptrIS6_EENSI_IlEEPmSA_NS8_8equal_toIS6_EEEE10hipError_tPvRmT2_T3_mT4_T5_T6_T7_T8_P12ihipStream_tbENKUlT_T0_E_clISt17integral_constantIbLb1EES15_EEDaS10_S11_EUlS10_E_NS1_11comp_targetILNS1_3genE0ELNS1_11target_archE4294967295ELNS1_3gpuE0ELNS1_3repE0EEENS1_30default_config_static_selectorELNS0_4arch9wavefront6targetE1EEEvT1_
	.globl	_ZN7rocprim17ROCPRIM_400000_NS6detail17trampoline_kernelINS0_14default_configENS1_29reduce_by_key_config_selectorIN3c104HalfElN6thrust23THRUST_200600_302600_NS4plusIlEEEEZZNS1_33reduce_by_key_impl_wrapped_configILNS1_25lookback_scan_determinismE0ES3_SB_PS6_NS8_17constant_iteratorIiNS8_11use_defaultESG_EENS8_10device_ptrIS6_EENSI_IlEEPmSA_NS8_8equal_toIS6_EEEE10hipError_tPvRmT2_T3_mT4_T5_T6_T7_T8_P12ihipStream_tbENKUlT_T0_E_clISt17integral_constantIbLb1EES15_EEDaS10_S11_EUlS10_E_NS1_11comp_targetILNS1_3genE0ELNS1_11target_archE4294967295ELNS1_3gpuE0ELNS1_3repE0EEENS1_30default_config_static_selectorELNS0_4arch9wavefront6targetE1EEEvT1_
	.p2align	8
	.type	_ZN7rocprim17ROCPRIM_400000_NS6detail17trampoline_kernelINS0_14default_configENS1_29reduce_by_key_config_selectorIN3c104HalfElN6thrust23THRUST_200600_302600_NS4plusIlEEEEZZNS1_33reduce_by_key_impl_wrapped_configILNS1_25lookback_scan_determinismE0ES3_SB_PS6_NS8_17constant_iteratorIiNS8_11use_defaultESG_EENS8_10device_ptrIS6_EENSI_IlEEPmSA_NS8_8equal_toIS6_EEEE10hipError_tPvRmT2_T3_mT4_T5_T6_T7_T8_P12ihipStream_tbENKUlT_T0_E_clISt17integral_constantIbLb1EES15_EEDaS10_S11_EUlS10_E_NS1_11comp_targetILNS1_3genE0ELNS1_11target_archE4294967295ELNS1_3gpuE0ELNS1_3repE0EEENS1_30default_config_static_selectorELNS0_4arch9wavefront6targetE1EEEvT1_,@function
_ZN7rocprim17ROCPRIM_400000_NS6detail17trampoline_kernelINS0_14default_configENS1_29reduce_by_key_config_selectorIN3c104HalfElN6thrust23THRUST_200600_302600_NS4plusIlEEEEZZNS1_33reduce_by_key_impl_wrapped_configILNS1_25lookback_scan_determinismE0ES3_SB_PS6_NS8_17constant_iteratorIiNS8_11use_defaultESG_EENS8_10device_ptrIS6_EENSI_IlEEPmSA_NS8_8equal_toIS6_EEEE10hipError_tPvRmT2_T3_mT4_T5_T6_T7_T8_P12ihipStream_tbENKUlT_T0_E_clISt17integral_constantIbLb1EES15_EEDaS10_S11_EUlS10_E_NS1_11comp_targetILNS1_3genE0ELNS1_11target_archE4294967295ELNS1_3gpuE0ELNS1_3repE0EEENS1_30default_config_static_selectorELNS0_4arch9wavefront6targetE1EEEvT1_: ; @_ZN7rocprim17ROCPRIM_400000_NS6detail17trampoline_kernelINS0_14default_configENS1_29reduce_by_key_config_selectorIN3c104HalfElN6thrust23THRUST_200600_302600_NS4plusIlEEEEZZNS1_33reduce_by_key_impl_wrapped_configILNS1_25lookback_scan_determinismE0ES3_SB_PS6_NS8_17constant_iteratorIiNS8_11use_defaultESG_EENS8_10device_ptrIS6_EENSI_IlEEPmSA_NS8_8equal_toIS6_EEEE10hipError_tPvRmT2_T3_mT4_T5_T6_T7_T8_P12ihipStream_tbENKUlT_T0_E_clISt17integral_constantIbLb1EES15_EEDaS10_S11_EUlS10_E_NS1_11comp_targetILNS1_3genE0ELNS1_11target_archE4294967295ELNS1_3gpuE0ELNS1_3repE0EEENS1_30default_config_static_selectorELNS0_4arch9wavefront6targetE1EEEvT1_
; %bb.0:
	.section	.rodata,"a",@progbits
	.p2align	6, 0x0
	.amdhsa_kernel _ZN7rocprim17ROCPRIM_400000_NS6detail17trampoline_kernelINS0_14default_configENS1_29reduce_by_key_config_selectorIN3c104HalfElN6thrust23THRUST_200600_302600_NS4plusIlEEEEZZNS1_33reduce_by_key_impl_wrapped_configILNS1_25lookback_scan_determinismE0ES3_SB_PS6_NS8_17constant_iteratorIiNS8_11use_defaultESG_EENS8_10device_ptrIS6_EENSI_IlEEPmSA_NS8_8equal_toIS6_EEEE10hipError_tPvRmT2_T3_mT4_T5_T6_T7_T8_P12ihipStream_tbENKUlT_T0_E_clISt17integral_constantIbLb1EES15_EEDaS10_S11_EUlS10_E_NS1_11comp_targetILNS1_3genE0ELNS1_11target_archE4294967295ELNS1_3gpuE0ELNS1_3repE0EEENS1_30default_config_static_selectorELNS0_4arch9wavefront6targetE1EEEvT1_
		.amdhsa_group_segment_fixed_size 0
		.amdhsa_private_segment_fixed_size 0
		.amdhsa_kernarg_size 144
		.amdhsa_user_sgpr_count 6
		.amdhsa_user_sgpr_private_segment_buffer 1
		.amdhsa_user_sgpr_dispatch_ptr 0
		.amdhsa_user_sgpr_queue_ptr 0
		.amdhsa_user_sgpr_kernarg_segment_ptr 1
		.amdhsa_user_sgpr_dispatch_id 0
		.amdhsa_user_sgpr_flat_scratch_init 0
		.amdhsa_user_sgpr_private_segment_size 0
		.amdhsa_uses_dynamic_stack 0
		.amdhsa_system_sgpr_private_segment_wavefront_offset 0
		.amdhsa_system_sgpr_workgroup_id_x 1
		.amdhsa_system_sgpr_workgroup_id_y 0
		.amdhsa_system_sgpr_workgroup_id_z 0
		.amdhsa_system_sgpr_workgroup_info 0
		.amdhsa_system_vgpr_workitem_id 0
		.amdhsa_next_free_vgpr 1
		.amdhsa_next_free_sgpr 0
		.amdhsa_reserve_vcc 0
		.amdhsa_reserve_flat_scratch 0
		.amdhsa_float_round_mode_32 0
		.amdhsa_float_round_mode_16_64 0
		.amdhsa_float_denorm_mode_32 3
		.amdhsa_float_denorm_mode_16_64 3
		.amdhsa_dx10_clamp 1
		.amdhsa_ieee_mode 1
		.amdhsa_fp16_overflow 0
		.amdhsa_exception_fp_ieee_invalid_op 0
		.amdhsa_exception_fp_denorm_src 0
		.amdhsa_exception_fp_ieee_div_zero 0
		.amdhsa_exception_fp_ieee_overflow 0
		.amdhsa_exception_fp_ieee_underflow 0
		.amdhsa_exception_fp_ieee_inexact 0
		.amdhsa_exception_int_div_zero 0
	.end_amdhsa_kernel
	.section	.text._ZN7rocprim17ROCPRIM_400000_NS6detail17trampoline_kernelINS0_14default_configENS1_29reduce_by_key_config_selectorIN3c104HalfElN6thrust23THRUST_200600_302600_NS4plusIlEEEEZZNS1_33reduce_by_key_impl_wrapped_configILNS1_25lookback_scan_determinismE0ES3_SB_PS6_NS8_17constant_iteratorIiNS8_11use_defaultESG_EENS8_10device_ptrIS6_EENSI_IlEEPmSA_NS8_8equal_toIS6_EEEE10hipError_tPvRmT2_T3_mT4_T5_T6_T7_T8_P12ihipStream_tbENKUlT_T0_E_clISt17integral_constantIbLb1EES15_EEDaS10_S11_EUlS10_E_NS1_11comp_targetILNS1_3genE0ELNS1_11target_archE4294967295ELNS1_3gpuE0ELNS1_3repE0EEENS1_30default_config_static_selectorELNS0_4arch9wavefront6targetE1EEEvT1_,"axG",@progbits,_ZN7rocprim17ROCPRIM_400000_NS6detail17trampoline_kernelINS0_14default_configENS1_29reduce_by_key_config_selectorIN3c104HalfElN6thrust23THRUST_200600_302600_NS4plusIlEEEEZZNS1_33reduce_by_key_impl_wrapped_configILNS1_25lookback_scan_determinismE0ES3_SB_PS6_NS8_17constant_iteratorIiNS8_11use_defaultESG_EENS8_10device_ptrIS6_EENSI_IlEEPmSA_NS8_8equal_toIS6_EEEE10hipError_tPvRmT2_T3_mT4_T5_T6_T7_T8_P12ihipStream_tbENKUlT_T0_E_clISt17integral_constantIbLb1EES15_EEDaS10_S11_EUlS10_E_NS1_11comp_targetILNS1_3genE0ELNS1_11target_archE4294967295ELNS1_3gpuE0ELNS1_3repE0EEENS1_30default_config_static_selectorELNS0_4arch9wavefront6targetE1EEEvT1_,comdat
.Lfunc_end2207:
	.size	_ZN7rocprim17ROCPRIM_400000_NS6detail17trampoline_kernelINS0_14default_configENS1_29reduce_by_key_config_selectorIN3c104HalfElN6thrust23THRUST_200600_302600_NS4plusIlEEEEZZNS1_33reduce_by_key_impl_wrapped_configILNS1_25lookback_scan_determinismE0ES3_SB_PS6_NS8_17constant_iteratorIiNS8_11use_defaultESG_EENS8_10device_ptrIS6_EENSI_IlEEPmSA_NS8_8equal_toIS6_EEEE10hipError_tPvRmT2_T3_mT4_T5_T6_T7_T8_P12ihipStream_tbENKUlT_T0_E_clISt17integral_constantIbLb1EES15_EEDaS10_S11_EUlS10_E_NS1_11comp_targetILNS1_3genE0ELNS1_11target_archE4294967295ELNS1_3gpuE0ELNS1_3repE0EEENS1_30default_config_static_selectorELNS0_4arch9wavefront6targetE1EEEvT1_, .Lfunc_end2207-_ZN7rocprim17ROCPRIM_400000_NS6detail17trampoline_kernelINS0_14default_configENS1_29reduce_by_key_config_selectorIN3c104HalfElN6thrust23THRUST_200600_302600_NS4plusIlEEEEZZNS1_33reduce_by_key_impl_wrapped_configILNS1_25lookback_scan_determinismE0ES3_SB_PS6_NS8_17constant_iteratorIiNS8_11use_defaultESG_EENS8_10device_ptrIS6_EENSI_IlEEPmSA_NS8_8equal_toIS6_EEEE10hipError_tPvRmT2_T3_mT4_T5_T6_T7_T8_P12ihipStream_tbENKUlT_T0_E_clISt17integral_constantIbLb1EES15_EEDaS10_S11_EUlS10_E_NS1_11comp_targetILNS1_3genE0ELNS1_11target_archE4294967295ELNS1_3gpuE0ELNS1_3repE0EEENS1_30default_config_static_selectorELNS0_4arch9wavefront6targetE1EEEvT1_
                                        ; -- End function
	.set _ZN7rocprim17ROCPRIM_400000_NS6detail17trampoline_kernelINS0_14default_configENS1_29reduce_by_key_config_selectorIN3c104HalfElN6thrust23THRUST_200600_302600_NS4plusIlEEEEZZNS1_33reduce_by_key_impl_wrapped_configILNS1_25lookback_scan_determinismE0ES3_SB_PS6_NS8_17constant_iteratorIiNS8_11use_defaultESG_EENS8_10device_ptrIS6_EENSI_IlEEPmSA_NS8_8equal_toIS6_EEEE10hipError_tPvRmT2_T3_mT4_T5_T6_T7_T8_P12ihipStream_tbENKUlT_T0_E_clISt17integral_constantIbLb1EES15_EEDaS10_S11_EUlS10_E_NS1_11comp_targetILNS1_3genE0ELNS1_11target_archE4294967295ELNS1_3gpuE0ELNS1_3repE0EEENS1_30default_config_static_selectorELNS0_4arch9wavefront6targetE1EEEvT1_.num_vgpr, 0
	.set _ZN7rocprim17ROCPRIM_400000_NS6detail17trampoline_kernelINS0_14default_configENS1_29reduce_by_key_config_selectorIN3c104HalfElN6thrust23THRUST_200600_302600_NS4plusIlEEEEZZNS1_33reduce_by_key_impl_wrapped_configILNS1_25lookback_scan_determinismE0ES3_SB_PS6_NS8_17constant_iteratorIiNS8_11use_defaultESG_EENS8_10device_ptrIS6_EENSI_IlEEPmSA_NS8_8equal_toIS6_EEEE10hipError_tPvRmT2_T3_mT4_T5_T6_T7_T8_P12ihipStream_tbENKUlT_T0_E_clISt17integral_constantIbLb1EES15_EEDaS10_S11_EUlS10_E_NS1_11comp_targetILNS1_3genE0ELNS1_11target_archE4294967295ELNS1_3gpuE0ELNS1_3repE0EEENS1_30default_config_static_selectorELNS0_4arch9wavefront6targetE1EEEvT1_.num_agpr, 0
	.set _ZN7rocprim17ROCPRIM_400000_NS6detail17trampoline_kernelINS0_14default_configENS1_29reduce_by_key_config_selectorIN3c104HalfElN6thrust23THRUST_200600_302600_NS4plusIlEEEEZZNS1_33reduce_by_key_impl_wrapped_configILNS1_25lookback_scan_determinismE0ES3_SB_PS6_NS8_17constant_iteratorIiNS8_11use_defaultESG_EENS8_10device_ptrIS6_EENSI_IlEEPmSA_NS8_8equal_toIS6_EEEE10hipError_tPvRmT2_T3_mT4_T5_T6_T7_T8_P12ihipStream_tbENKUlT_T0_E_clISt17integral_constantIbLb1EES15_EEDaS10_S11_EUlS10_E_NS1_11comp_targetILNS1_3genE0ELNS1_11target_archE4294967295ELNS1_3gpuE0ELNS1_3repE0EEENS1_30default_config_static_selectorELNS0_4arch9wavefront6targetE1EEEvT1_.numbered_sgpr, 0
	.set _ZN7rocprim17ROCPRIM_400000_NS6detail17trampoline_kernelINS0_14default_configENS1_29reduce_by_key_config_selectorIN3c104HalfElN6thrust23THRUST_200600_302600_NS4plusIlEEEEZZNS1_33reduce_by_key_impl_wrapped_configILNS1_25lookback_scan_determinismE0ES3_SB_PS6_NS8_17constant_iteratorIiNS8_11use_defaultESG_EENS8_10device_ptrIS6_EENSI_IlEEPmSA_NS8_8equal_toIS6_EEEE10hipError_tPvRmT2_T3_mT4_T5_T6_T7_T8_P12ihipStream_tbENKUlT_T0_E_clISt17integral_constantIbLb1EES15_EEDaS10_S11_EUlS10_E_NS1_11comp_targetILNS1_3genE0ELNS1_11target_archE4294967295ELNS1_3gpuE0ELNS1_3repE0EEENS1_30default_config_static_selectorELNS0_4arch9wavefront6targetE1EEEvT1_.num_named_barrier, 0
	.set _ZN7rocprim17ROCPRIM_400000_NS6detail17trampoline_kernelINS0_14default_configENS1_29reduce_by_key_config_selectorIN3c104HalfElN6thrust23THRUST_200600_302600_NS4plusIlEEEEZZNS1_33reduce_by_key_impl_wrapped_configILNS1_25lookback_scan_determinismE0ES3_SB_PS6_NS8_17constant_iteratorIiNS8_11use_defaultESG_EENS8_10device_ptrIS6_EENSI_IlEEPmSA_NS8_8equal_toIS6_EEEE10hipError_tPvRmT2_T3_mT4_T5_T6_T7_T8_P12ihipStream_tbENKUlT_T0_E_clISt17integral_constantIbLb1EES15_EEDaS10_S11_EUlS10_E_NS1_11comp_targetILNS1_3genE0ELNS1_11target_archE4294967295ELNS1_3gpuE0ELNS1_3repE0EEENS1_30default_config_static_selectorELNS0_4arch9wavefront6targetE1EEEvT1_.private_seg_size, 0
	.set _ZN7rocprim17ROCPRIM_400000_NS6detail17trampoline_kernelINS0_14default_configENS1_29reduce_by_key_config_selectorIN3c104HalfElN6thrust23THRUST_200600_302600_NS4plusIlEEEEZZNS1_33reduce_by_key_impl_wrapped_configILNS1_25lookback_scan_determinismE0ES3_SB_PS6_NS8_17constant_iteratorIiNS8_11use_defaultESG_EENS8_10device_ptrIS6_EENSI_IlEEPmSA_NS8_8equal_toIS6_EEEE10hipError_tPvRmT2_T3_mT4_T5_T6_T7_T8_P12ihipStream_tbENKUlT_T0_E_clISt17integral_constantIbLb1EES15_EEDaS10_S11_EUlS10_E_NS1_11comp_targetILNS1_3genE0ELNS1_11target_archE4294967295ELNS1_3gpuE0ELNS1_3repE0EEENS1_30default_config_static_selectorELNS0_4arch9wavefront6targetE1EEEvT1_.uses_vcc, 0
	.set _ZN7rocprim17ROCPRIM_400000_NS6detail17trampoline_kernelINS0_14default_configENS1_29reduce_by_key_config_selectorIN3c104HalfElN6thrust23THRUST_200600_302600_NS4plusIlEEEEZZNS1_33reduce_by_key_impl_wrapped_configILNS1_25lookback_scan_determinismE0ES3_SB_PS6_NS8_17constant_iteratorIiNS8_11use_defaultESG_EENS8_10device_ptrIS6_EENSI_IlEEPmSA_NS8_8equal_toIS6_EEEE10hipError_tPvRmT2_T3_mT4_T5_T6_T7_T8_P12ihipStream_tbENKUlT_T0_E_clISt17integral_constantIbLb1EES15_EEDaS10_S11_EUlS10_E_NS1_11comp_targetILNS1_3genE0ELNS1_11target_archE4294967295ELNS1_3gpuE0ELNS1_3repE0EEENS1_30default_config_static_selectorELNS0_4arch9wavefront6targetE1EEEvT1_.uses_flat_scratch, 0
	.set _ZN7rocprim17ROCPRIM_400000_NS6detail17trampoline_kernelINS0_14default_configENS1_29reduce_by_key_config_selectorIN3c104HalfElN6thrust23THRUST_200600_302600_NS4plusIlEEEEZZNS1_33reduce_by_key_impl_wrapped_configILNS1_25lookback_scan_determinismE0ES3_SB_PS6_NS8_17constant_iteratorIiNS8_11use_defaultESG_EENS8_10device_ptrIS6_EENSI_IlEEPmSA_NS8_8equal_toIS6_EEEE10hipError_tPvRmT2_T3_mT4_T5_T6_T7_T8_P12ihipStream_tbENKUlT_T0_E_clISt17integral_constantIbLb1EES15_EEDaS10_S11_EUlS10_E_NS1_11comp_targetILNS1_3genE0ELNS1_11target_archE4294967295ELNS1_3gpuE0ELNS1_3repE0EEENS1_30default_config_static_selectorELNS0_4arch9wavefront6targetE1EEEvT1_.has_dyn_sized_stack, 0
	.set _ZN7rocprim17ROCPRIM_400000_NS6detail17trampoline_kernelINS0_14default_configENS1_29reduce_by_key_config_selectorIN3c104HalfElN6thrust23THRUST_200600_302600_NS4plusIlEEEEZZNS1_33reduce_by_key_impl_wrapped_configILNS1_25lookback_scan_determinismE0ES3_SB_PS6_NS8_17constant_iteratorIiNS8_11use_defaultESG_EENS8_10device_ptrIS6_EENSI_IlEEPmSA_NS8_8equal_toIS6_EEEE10hipError_tPvRmT2_T3_mT4_T5_T6_T7_T8_P12ihipStream_tbENKUlT_T0_E_clISt17integral_constantIbLb1EES15_EEDaS10_S11_EUlS10_E_NS1_11comp_targetILNS1_3genE0ELNS1_11target_archE4294967295ELNS1_3gpuE0ELNS1_3repE0EEENS1_30default_config_static_selectorELNS0_4arch9wavefront6targetE1EEEvT1_.has_recursion, 0
	.set _ZN7rocprim17ROCPRIM_400000_NS6detail17trampoline_kernelINS0_14default_configENS1_29reduce_by_key_config_selectorIN3c104HalfElN6thrust23THRUST_200600_302600_NS4plusIlEEEEZZNS1_33reduce_by_key_impl_wrapped_configILNS1_25lookback_scan_determinismE0ES3_SB_PS6_NS8_17constant_iteratorIiNS8_11use_defaultESG_EENS8_10device_ptrIS6_EENSI_IlEEPmSA_NS8_8equal_toIS6_EEEE10hipError_tPvRmT2_T3_mT4_T5_T6_T7_T8_P12ihipStream_tbENKUlT_T0_E_clISt17integral_constantIbLb1EES15_EEDaS10_S11_EUlS10_E_NS1_11comp_targetILNS1_3genE0ELNS1_11target_archE4294967295ELNS1_3gpuE0ELNS1_3repE0EEENS1_30default_config_static_selectorELNS0_4arch9wavefront6targetE1EEEvT1_.has_indirect_call, 0
	.section	.AMDGPU.csdata,"",@progbits
; Kernel info:
; codeLenInByte = 0
; TotalNumSgprs: 4
; NumVgprs: 0
; ScratchSize: 0
; MemoryBound: 0
; FloatMode: 240
; IeeeMode: 1
; LDSByteSize: 0 bytes/workgroup (compile time only)
; SGPRBlocks: 0
; VGPRBlocks: 0
; NumSGPRsForWavesPerEU: 4
; NumVGPRsForWavesPerEU: 1
; Occupancy: 10
; WaveLimiterHint : 0
; COMPUTE_PGM_RSRC2:SCRATCH_EN: 0
; COMPUTE_PGM_RSRC2:USER_SGPR: 6
; COMPUTE_PGM_RSRC2:TRAP_HANDLER: 0
; COMPUTE_PGM_RSRC2:TGID_X_EN: 1
; COMPUTE_PGM_RSRC2:TGID_Y_EN: 0
; COMPUTE_PGM_RSRC2:TGID_Z_EN: 0
; COMPUTE_PGM_RSRC2:TIDIG_COMP_CNT: 0
	.section	.text._ZN7rocprim17ROCPRIM_400000_NS6detail17trampoline_kernelINS0_14default_configENS1_29reduce_by_key_config_selectorIN3c104HalfElN6thrust23THRUST_200600_302600_NS4plusIlEEEEZZNS1_33reduce_by_key_impl_wrapped_configILNS1_25lookback_scan_determinismE0ES3_SB_PS6_NS8_17constant_iteratorIiNS8_11use_defaultESG_EENS8_10device_ptrIS6_EENSI_IlEEPmSA_NS8_8equal_toIS6_EEEE10hipError_tPvRmT2_T3_mT4_T5_T6_T7_T8_P12ihipStream_tbENKUlT_T0_E_clISt17integral_constantIbLb1EES15_EEDaS10_S11_EUlS10_E_NS1_11comp_targetILNS1_3genE5ELNS1_11target_archE942ELNS1_3gpuE9ELNS1_3repE0EEENS1_30default_config_static_selectorELNS0_4arch9wavefront6targetE1EEEvT1_,"axG",@progbits,_ZN7rocprim17ROCPRIM_400000_NS6detail17trampoline_kernelINS0_14default_configENS1_29reduce_by_key_config_selectorIN3c104HalfElN6thrust23THRUST_200600_302600_NS4plusIlEEEEZZNS1_33reduce_by_key_impl_wrapped_configILNS1_25lookback_scan_determinismE0ES3_SB_PS6_NS8_17constant_iteratorIiNS8_11use_defaultESG_EENS8_10device_ptrIS6_EENSI_IlEEPmSA_NS8_8equal_toIS6_EEEE10hipError_tPvRmT2_T3_mT4_T5_T6_T7_T8_P12ihipStream_tbENKUlT_T0_E_clISt17integral_constantIbLb1EES15_EEDaS10_S11_EUlS10_E_NS1_11comp_targetILNS1_3genE5ELNS1_11target_archE942ELNS1_3gpuE9ELNS1_3repE0EEENS1_30default_config_static_selectorELNS0_4arch9wavefront6targetE1EEEvT1_,comdat
	.protected	_ZN7rocprim17ROCPRIM_400000_NS6detail17trampoline_kernelINS0_14default_configENS1_29reduce_by_key_config_selectorIN3c104HalfElN6thrust23THRUST_200600_302600_NS4plusIlEEEEZZNS1_33reduce_by_key_impl_wrapped_configILNS1_25lookback_scan_determinismE0ES3_SB_PS6_NS8_17constant_iteratorIiNS8_11use_defaultESG_EENS8_10device_ptrIS6_EENSI_IlEEPmSA_NS8_8equal_toIS6_EEEE10hipError_tPvRmT2_T3_mT4_T5_T6_T7_T8_P12ihipStream_tbENKUlT_T0_E_clISt17integral_constantIbLb1EES15_EEDaS10_S11_EUlS10_E_NS1_11comp_targetILNS1_3genE5ELNS1_11target_archE942ELNS1_3gpuE9ELNS1_3repE0EEENS1_30default_config_static_selectorELNS0_4arch9wavefront6targetE1EEEvT1_ ; -- Begin function _ZN7rocprim17ROCPRIM_400000_NS6detail17trampoline_kernelINS0_14default_configENS1_29reduce_by_key_config_selectorIN3c104HalfElN6thrust23THRUST_200600_302600_NS4plusIlEEEEZZNS1_33reduce_by_key_impl_wrapped_configILNS1_25lookback_scan_determinismE0ES3_SB_PS6_NS8_17constant_iteratorIiNS8_11use_defaultESG_EENS8_10device_ptrIS6_EENSI_IlEEPmSA_NS8_8equal_toIS6_EEEE10hipError_tPvRmT2_T3_mT4_T5_T6_T7_T8_P12ihipStream_tbENKUlT_T0_E_clISt17integral_constantIbLb1EES15_EEDaS10_S11_EUlS10_E_NS1_11comp_targetILNS1_3genE5ELNS1_11target_archE942ELNS1_3gpuE9ELNS1_3repE0EEENS1_30default_config_static_selectorELNS0_4arch9wavefront6targetE1EEEvT1_
	.globl	_ZN7rocprim17ROCPRIM_400000_NS6detail17trampoline_kernelINS0_14default_configENS1_29reduce_by_key_config_selectorIN3c104HalfElN6thrust23THRUST_200600_302600_NS4plusIlEEEEZZNS1_33reduce_by_key_impl_wrapped_configILNS1_25lookback_scan_determinismE0ES3_SB_PS6_NS8_17constant_iteratorIiNS8_11use_defaultESG_EENS8_10device_ptrIS6_EENSI_IlEEPmSA_NS8_8equal_toIS6_EEEE10hipError_tPvRmT2_T3_mT4_T5_T6_T7_T8_P12ihipStream_tbENKUlT_T0_E_clISt17integral_constantIbLb1EES15_EEDaS10_S11_EUlS10_E_NS1_11comp_targetILNS1_3genE5ELNS1_11target_archE942ELNS1_3gpuE9ELNS1_3repE0EEENS1_30default_config_static_selectorELNS0_4arch9wavefront6targetE1EEEvT1_
	.p2align	8
	.type	_ZN7rocprim17ROCPRIM_400000_NS6detail17trampoline_kernelINS0_14default_configENS1_29reduce_by_key_config_selectorIN3c104HalfElN6thrust23THRUST_200600_302600_NS4plusIlEEEEZZNS1_33reduce_by_key_impl_wrapped_configILNS1_25lookback_scan_determinismE0ES3_SB_PS6_NS8_17constant_iteratorIiNS8_11use_defaultESG_EENS8_10device_ptrIS6_EENSI_IlEEPmSA_NS8_8equal_toIS6_EEEE10hipError_tPvRmT2_T3_mT4_T5_T6_T7_T8_P12ihipStream_tbENKUlT_T0_E_clISt17integral_constantIbLb1EES15_EEDaS10_S11_EUlS10_E_NS1_11comp_targetILNS1_3genE5ELNS1_11target_archE942ELNS1_3gpuE9ELNS1_3repE0EEENS1_30default_config_static_selectorELNS0_4arch9wavefront6targetE1EEEvT1_,@function
_ZN7rocprim17ROCPRIM_400000_NS6detail17trampoline_kernelINS0_14default_configENS1_29reduce_by_key_config_selectorIN3c104HalfElN6thrust23THRUST_200600_302600_NS4plusIlEEEEZZNS1_33reduce_by_key_impl_wrapped_configILNS1_25lookback_scan_determinismE0ES3_SB_PS6_NS8_17constant_iteratorIiNS8_11use_defaultESG_EENS8_10device_ptrIS6_EENSI_IlEEPmSA_NS8_8equal_toIS6_EEEE10hipError_tPvRmT2_T3_mT4_T5_T6_T7_T8_P12ihipStream_tbENKUlT_T0_E_clISt17integral_constantIbLb1EES15_EEDaS10_S11_EUlS10_E_NS1_11comp_targetILNS1_3genE5ELNS1_11target_archE942ELNS1_3gpuE9ELNS1_3repE0EEENS1_30default_config_static_selectorELNS0_4arch9wavefront6targetE1EEEvT1_: ; @_ZN7rocprim17ROCPRIM_400000_NS6detail17trampoline_kernelINS0_14default_configENS1_29reduce_by_key_config_selectorIN3c104HalfElN6thrust23THRUST_200600_302600_NS4plusIlEEEEZZNS1_33reduce_by_key_impl_wrapped_configILNS1_25lookback_scan_determinismE0ES3_SB_PS6_NS8_17constant_iteratorIiNS8_11use_defaultESG_EENS8_10device_ptrIS6_EENSI_IlEEPmSA_NS8_8equal_toIS6_EEEE10hipError_tPvRmT2_T3_mT4_T5_T6_T7_T8_P12ihipStream_tbENKUlT_T0_E_clISt17integral_constantIbLb1EES15_EEDaS10_S11_EUlS10_E_NS1_11comp_targetILNS1_3genE5ELNS1_11target_archE942ELNS1_3gpuE9ELNS1_3repE0EEENS1_30default_config_static_selectorELNS0_4arch9wavefront6targetE1EEEvT1_
; %bb.0:
	.section	.rodata,"a",@progbits
	.p2align	6, 0x0
	.amdhsa_kernel _ZN7rocprim17ROCPRIM_400000_NS6detail17trampoline_kernelINS0_14default_configENS1_29reduce_by_key_config_selectorIN3c104HalfElN6thrust23THRUST_200600_302600_NS4plusIlEEEEZZNS1_33reduce_by_key_impl_wrapped_configILNS1_25lookback_scan_determinismE0ES3_SB_PS6_NS8_17constant_iteratorIiNS8_11use_defaultESG_EENS8_10device_ptrIS6_EENSI_IlEEPmSA_NS8_8equal_toIS6_EEEE10hipError_tPvRmT2_T3_mT4_T5_T6_T7_T8_P12ihipStream_tbENKUlT_T0_E_clISt17integral_constantIbLb1EES15_EEDaS10_S11_EUlS10_E_NS1_11comp_targetILNS1_3genE5ELNS1_11target_archE942ELNS1_3gpuE9ELNS1_3repE0EEENS1_30default_config_static_selectorELNS0_4arch9wavefront6targetE1EEEvT1_
		.amdhsa_group_segment_fixed_size 0
		.amdhsa_private_segment_fixed_size 0
		.amdhsa_kernarg_size 144
		.amdhsa_user_sgpr_count 6
		.amdhsa_user_sgpr_private_segment_buffer 1
		.amdhsa_user_sgpr_dispatch_ptr 0
		.amdhsa_user_sgpr_queue_ptr 0
		.amdhsa_user_sgpr_kernarg_segment_ptr 1
		.amdhsa_user_sgpr_dispatch_id 0
		.amdhsa_user_sgpr_flat_scratch_init 0
		.amdhsa_user_sgpr_private_segment_size 0
		.amdhsa_uses_dynamic_stack 0
		.amdhsa_system_sgpr_private_segment_wavefront_offset 0
		.amdhsa_system_sgpr_workgroup_id_x 1
		.amdhsa_system_sgpr_workgroup_id_y 0
		.amdhsa_system_sgpr_workgroup_id_z 0
		.amdhsa_system_sgpr_workgroup_info 0
		.amdhsa_system_vgpr_workitem_id 0
		.amdhsa_next_free_vgpr 1
		.amdhsa_next_free_sgpr 0
		.amdhsa_reserve_vcc 0
		.amdhsa_reserve_flat_scratch 0
		.amdhsa_float_round_mode_32 0
		.amdhsa_float_round_mode_16_64 0
		.amdhsa_float_denorm_mode_32 3
		.amdhsa_float_denorm_mode_16_64 3
		.amdhsa_dx10_clamp 1
		.amdhsa_ieee_mode 1
		.amdhsa_fp16_overflow 0
		.amdhsa_exception_fp_ieee_invalid_op 0
		.amdhsa_exception_fp_denorm_src 0
		.amdhsa_exception_fp_ieee_div_zero 0
		.amdhsa_exception_fp_ieee_overflow 0
		.amdhsa_exception_fp_ieee_underflow 0
		.amdhsa_exception_fp_ieee_inexact 0
		.amdhsa_exception_int_div_zero 0
	.end_amdhsa_kernel
	.section	.text._ZN7rocprim17ROCPRIM_400000_NS6detail17trampoline_kernelINS0_14default_configENS1_29reduce_by_key_config_selectorIN3c104HalfElN6thrust23THRUST_200600_302600_NS4plusIlEEEEZZNS1_33reduce_by_key_impl_wrapped_configILNS1_25lookback_scan_determinismE0ES3_SB_PS6_NS8_17constant_iteratorIiNS8_11use_defaultESG_EENS8_10device_ptrIS6_EENSI_IlEEPmSA_NS8_8equal_toIS6_EEEE10hipError_tPvRmT2_T3_mT4_T5_T6_T7_T8_P12ihipStream_tbENKUlT_T0_E_clISt17integral_constantIbLb1EES15_EEDaS10_S11_EUlS10_E_NS1_11comp_targetILNS1_3genE5ELNS1_11target_archE942ELNS1_3gpuE9ELNS1_3repE0EEENS1_30default_config_static_selectorELNS0_4arch9wavefront6targetE1EEEvT1_,"axG",@progbits,_ZN7rocprim17ROCPRIM_400000_NS6detail17trampoline_kernelINS0_14default_configENS1_29reduce_by_key_config_selectorIN3c104HalfElN6thrust23THRUST_200600_302600_NS4plusIlEEEEZZNS1_33reduce_by_key_impl_wrapped_configILNS1_25lookback_scan_determinismE0ES3_SB_PS6_NS8_17constant_iteratorIiNS8_11use_defaultESG_EENS8_10device_ptrIS6_EENSI_IlEEPmSA_NS8_8equal_toIS6_EEEE10hipError_tPvRmT2_T3_mT4_T5_T6_T7_T8_P12ihipStream_tbENKUlT_T0_E_clISt17integral_constantIbLb1EES15_EEDaS10_S11_EUlS10_E_NS1_11comp_targetILNS1_3genE5ELNS1_11target_archE942ELNS1_3gpuE9ELNS1_3repE0EEENS1_30default_config_static_selectorELNS0_4arch9wavefront6targetE1EEEvT1_,comdat
.Lfunc_end2208:
	.size	_ZN7rocprim17ROCPRIM_400000_NS6detail17trampoline_kernelINS0_14default_configENS1_29reduce_by_key_config_selectorIN3c104HalfElN6thrust23THRUST_200600_302600_NS4plusIlEEEEZZNS1_33reduce_by_key_impl_wrapped_configILNS1_25lookback_scan_determinismE0ES3_SB_PS6_NS8_17constant_iteratorIiNS8_11use_defaultESG_EENS8_10device_ptrIS6_EENSI_IlEEPmSA_NS8_8equal_toIS6_EEEE10hipError_tPvRmT2_T3_mT4_T5_T6_T7_T8_P12ihipStream_tbENKUlT_T0_E_clISt17integral_constantIbLb1EES15_EEDaS10_S11_EUlS10_E_NS1_11comp_targetILNS1_3genE5ELNS1_11target_archE942ELNS1_3gpuE9ELNS1_3repE0EEENS1_30default_config_static_selectorELNS0_4arch9wavefront6targetE1EEEvT1_, .Lfunc_end2208-_ZN7rocprim17ROCPRIM_400000_NS6detail17trampoline_kernelINS0_14default_configENS1_29reduce_by_key_config_selectorIN3c104HalfElN6thrust23THRUST_200600_302600_NS4plusIlEEEEZZNS1_33reduce_by_key_impl_wrapped_configILNS1_25lookback_scan_determinismE0ES3_SB_PS6_NS8_17constant_iteratorIiNS8_11use_defaultESG_EENS8_10device_ptrIS6_EENSI_IlEEPmSA_NS8_8equal_toIS6_EEEE10hipError_tPvRmT2_T3_mT4_T5_T6_T7_T8_P12ihipStream_tbENKUlT_T0_E_clISt17integral_constantIbLb1EES15_EEDaS10_S11_EUlS10_E_NS1_11comp_targetILNS1_3genE5ELNS1_11target_archE942ELNS1_3gpuE9ELNS1_3repE0EEENS1_30default_config_static_selectorELNS0_4arch9wavefront6targetE1EEEvT1_
                                        ; -- End function
	.set _ZN7rocprim17ROCPRIM_400000_NS6detail17trampoline_kernelINS0_14default_configENS1_29reduce_by_key_config_selectorIN3c104HalfElN6thrust23THRUST_200600_302600_NS4plusIlEEEEZZNS1_33reduce_by_key_impl_wrapped_configILNS1_25lookback_scan_determinismE0ES3_SB_PS6_NS8_17constant_iteratorIiNS8_11use_defaultESG_EENS8_10device_ptrIS6_EENSI_IlEEPmSA_NS8_8equal_toIS6_EEEE10hipError_tPvRmT2_T3_mT4_T5_T6_T7_T8_P12ihipStream_tbENKUlT_T0_E_clISt17integral_constantIbLb1EES15_EEDaS10_S11_EUlS10_E_NS1_11comp_targetILNS1_3genE5ELNS1_11target_archE942ELNS1_3gpuE9ELNS1_3repE0EEENS1_30default_config_static_selectorELNS0_4arch9wavefront6targetE1EEEvT1_.num_vgpr, 0
	.set _ZN7rocprim17ROCPRIM_400000_NS6detail17trampoline_kernelINS0_14default_configENS1_29reduce_by_key_config_selectorIN3c104HalfElN6thrust23THRUST_200600_302600_NS4plusIlEEEEZZNS1_33reduce_by_key_impl_wrapped_configILNS1_25lookback_scan_determinismE0ES3_SB_PS6_NS8_17constant_iteratorIiNS8_11use_defaultESG_EENS8_10device_ptrIS6_EENSI_IlEEPmSA_NS8_8equal_toIS6_EEEE10hipError_tPvRmT2_T3_mT4_T5_T6_T7_T8_P12ihipStream_tbENKUlT_T0_E_clISt17integral_constantIbLb1EES15_EEDaS10_S11_EUlS10_E_NS1_11comp_targetILNS1_3genE5ELNS1_11target_archE942ELNS1_3gpuE9ELNS1_3repE0EEENS1_30default_config_static_selectorELNS0_4arch9wavefront6targetE1EEEvT1_.num_agpr, 0
	.set _ZN7rocprim17ROCPRIM_400000_NS6detail17trampoline_kernelINS0_14default_configENS1_29reduce_by_key_config_selectorIN3c104HalfElN6thrust23THRUST_200600_302600_NS4plusIlEEEEZZNS1_33reduce_by_key_impl_wrapped_configILNS1_25lookback_scan_determinismE0ES3_SB_PS6_NS8_17constant_iteratorIiNS8_11use_defaultESG_EENS8_10device_ptrIS6_EENSI_IlEEPmSA_NS8_8equal_toIS6_EEEE10hipError_tPvRmT2_T3_mT4_T5_T6_T7_T8_P12ihipStream_tbENKUlT_T0_E_clISt17integral_constantIbLb1EES15_EEDaS10_S11_EUlS10_E_NS1_11comp_targetILNS1_3genE5ELNS1_11target_archE942ELNS1_3gpuE9ELNS1_3repE0EEENS1_30default_config_static_selectorELNS0_4arch9wavefront6targetE1EEEvT1_.numbered_sgpr, 0
	.set _ZN7rocprim17ROCPRIM_400000_NS6detail17trampoline_kernelINS0_14default_configENS1_29reduce_by_key_config_selectorIN3c104HalfElN6thrust23THRUST_200600_302600_NS4plusIlEEEEZZNS1_33reduce_by_key_impl_wrapped_configILNS1_25lookback_scan_determinismE0ES3_SB_PS6_NS8_17constant_iteratorIiNS8_11use_defaultESG_EENS8_10device_ptrIS6_EENSI_IlEEPmSA_NS8_8equal_toIS6_EEEE10hipError_tPvRmT2_T3_mT4_T5_T6_T7_T8_P12ihipStream_tbENKUlT_T0_E_clISt17integral_constantIbLb1EES15_EEDaS10_S11_EUlS10_E_NS1_11comp_targetILNS1_3genE5ELNS1_11target_archE942ELNS1_3gpuE9ELNS1_3repE0EEENS1_30default_config_static_selectorELNS0_4arch9wavefront6targetE1EEEvT1_.num_named_barrier, 0
	.set _ZN7rocprim17ROCPRIM_400000_NS6detail17trampoline_kernelINS0_14default_configENS1_29reduce_by_key_config_selectorIN3c104HalfElN6thrust23THRUST_200600_302600_NS4plusIlEEEEZZNS1_33reduce_by_key_impl_wrapped_configILNS1_25lookback_scan_determinismE0ES3_SB_PS6_NS8_17constant_iteratorIiNS8_11use_defaultESG_EENS8_10device_ptrIS6_EENSI_IlEEPmSA_NS8_8equal_toIS6_EEEE10hipError_tPvRmT2_T3_mT4_T5_T6_T7_T8_P12ihipStream_tbENKUlT_T0_E_clISt17integral_constantIbLb1EES15_EEDaS10_S11_EUlS10_E_NS1_11comp_targetILNS1_3genE5ELNS1_11target_archE942ELNS1_3gpuE9ELNS1_3repE0EEENS1_30default_config_static_selectorELNS0_4arch9wavefront6targetE1EEEvT1_.private_seg_size, 0
	.set _ZN7rocprim17ROCPRIM_400000_NS6detail17trampoline_kernelINS0_14default_configENS1_29reduce_by_key_config_selectorIN3c104HalfElN6thrust23THRUST_200600_302600_NS4plusIlEEEEZZNS1_33reduce_by_key_impl_wrapped_configILNS1_25lookback_scan_determinismE0ES3_SB_PS6_NS8_17constant_iteratorIiNS8_11use_defaultESG_EENS8_10device_ptrIS6_EENSI_IlEEPmSA_NS8_8equal_toIS6_EEEE10hipError_tPvRmT2_T3_mT4_T5_T6_T7_T8_P12ihipStream_tbENKUlT_T0_E_clISt17integral_constantIbLb1EES15_EEDaS10_S11_EUlS10_E_NS1_11comp_targetILNS1_3genE5ELNS1_11target_archE942ELNS1_3gpuE9ELNS1_3repE0EEENS1_30default_config_static_selectorELNS0_4arch9wavefront6targetE1EEEvT1_.uses_vcc, 0
	.set _ZN7rocprim17ROCPRIM_400000_NS6detail17trampoline_kernelINS0_14default_configENS1_29reduce_by_key_config_selectorIN3c104HalfElN6thrust23THRUST_200600_302600_NS4plusIlEEEEZZNS1_33reduce_by_key_impl_wrapped_configILNS1_25lookback_scan_determinismE0ES3_SB_PS6_NS8_17constant_iteratorIiNS8_11use_defaultESG_EENS8_10device_ptrIS6_EENSI_IlEEPmSA_NS8_8equal_toIS6_EEEE10hipError_tPvRmT2_T3_mT4_T5_T6_T7_T8_P12ihipStream_tbENKUlT_T0_E_clISt17integral_constantIbLb1EES15_EEDaS10_S11_EUlS10_E_NS1_11comp_targetILNS1_3genE5ELNS1_11target_archE942ELNS1_3gpuE9ELNS1_3repE0EEENS1_30default_config_static_selectorELNS0_4arch9wavefront6targetE1EEEvT1_.uses_flat_scratch, 0
	.set _ZN7rocprim17ROCPRIM_400000_NS6detail17trampoline_kernelINS0_14default_configENS1_29reduce_by_key_config_selectorIN3c104HalfElN6thrust23THRUST_200600_302600_NS4plusIlEEEEZZNS1_33reduce_by_key_impl_wrapped_configILNS1_25lookback_scan_determinismE0ES3_SB_PS6_NS8_17constant_iteratorIiNS8_11use_defaultESG_EENS8_10device_ptrIS6_EENSI_IlEEPmSA_NS8_8equal_toIS6_EEEE10hipError_tPvRmT2_T3_mT4_T5_T6_T7_T8_P12ihipStream_tbENKUlT_T0_E_clISt17integral_constantIbLb1EES15_EEDaS10_S11_EUlS10_E_NS1_11comp_targetILNS1_3genE5ELNS1_11target_archE942ELNS1_3gpuE9ELNS1_3repE0EEENS1_30default_config_static_selectorELNS0_4arch9wavefront6targetE1EEEvT1_.has_dyn_sized_stack, 0
	.set _ZN7rocprim17ROCPRIM_400000_NS6detail17trampoline_kernelINS0_14default_configENS1_29reduce_by_key_config_selectorIN3c104HalfElN6thrust23THRUST_200600_302600_NS4plusIlEEEEZZNS1_33reduce_by_key_impl_wrapped_configILNS1_25lookback_scan_determinismE0ES3_SB_PS6_NS8_17constant_iteratorIiNS8_11use_defaultESG_EENS8_10device_ptrIS6_EENSI_IlEEPmSA_NS8_8equal_toIS6_EEEE10hipError_tPvRmT2_T3_mT4_T5_T6_T7_T8_P12ihipStream_tbENKUlT_T0_E_clISt17integral_constantIbLb1EES15_EEDaS10_S11_EUlS10_E_NS1_11comp_targetILNS1_3genE5ELNS1_11target_archE942ELNS1_3gpuE9ELNS1_3repE0EEENS1_30default_config_static_selectorELNS0_4arch9wavefront6targetE1EEEvT1_.has_recursion, 0
	.set _ZN7rocprim17ROCPRIM_400000_NS6detail17trampoline_kernelINS0_14default_configENS1_29reduce_by_key_config_selectorIN3c104HalfElN6thrust23THRUST_200600_302600_NS4plusIlEEEEZZNS1_33reduce_by_key_impl_wrapped_configILNS1_25lookback_scan_determinismE0ES3_SB_PS6_NS8_17constant_iteratorIiNS8_11use_defaultESG_EENS8_10device_ptrIS6_EENSI_IlEEPmSA_NS8_8equal_toIS6_EEEE10hipError_tPvRmT2_T3_mT4_T5_T6_T7_T8_P12ihipStream_tbENKUlT_T0_E_clISt17integral_constantIbLb1EES15_EEDaS10_S11_EUlS10_E_NS1_11comp_targetILNS1_3genE5ELNS1_11target_archE942ELNS1_3gpuE9ELNS1_3repE0EEENS1_30default_config_static_selectorELNS0_4arch9wavefront6targetE1EEEvT1_.has_indirect_call, 0
	.section	.AMDGPU.csdata,"",@progbits
; Kernel info:
; codeLenInByte = 0
; TotalNumSgprs: 4
; NumVgprs: 0
; ScratchSize: 0
; MemoryBound: 0
; FloatMode: 240
; IeeeMode: 1
; LDSByteSize: 0 bytes/workgroup (compile time only)
; SGPRBlocks: 0
; VGPRBlocks: 0
; NumSGPRsForWavesPerEU: 4
; NumVGPRsForWavesPerEU: 1
; Occupancy: 10
; WaveLimiterHint : 0
; COMPUTE_PGM_RSRC2:SCRATCH_EN: 0
; COMPUTE_PGM_RSRC2:USER_SGPR: 6
; COMPUTE_PGM_RSRC2:TRAP_HANDLER: 0
; COMPUTE_PGM_RSRC2:TGID_X_EN: 1
; COMPUTE_PGM_RSRC2:TGID_Y_EN: 0
; COMPUTE_PGM_RSRC2:TGID_Z_EN: 0
; COMPUTE_PGM_RSRC2:TIDIG_COMP_CNT: 0
	.section	.text._ZN7rocprim17ROCPRIM_400000_NS6detail17trampoline_kernelINS0_14default_configENS1_29reduce_by_key_config_selectorIN3c104HalfElN6thrust23THRUST_200600_302600_NS4plusIlEEEEZZNS1_33reduce_by_key_impl_wrapped_configILNS1_25lookback_scan_determinismE0ES3_SB_PS6_NS8_17constant_iteratorIiNS8_11use_defaultESG_EENS8_10device_ptrIS6_EENSI_IlEEPmSA_NS8_8equal_toIS6_EEEE10hipError_tPvRmT2_T3_mT4_T5_T6_T7_T8_P12ihipStream_tbENKUlT_T0_E_clISt17integral_constantIbLb1EES15_EEDaS10_S11_EUlS10_E_NS1_11comp_targetILNS1_3genE4ELNS1_11target_archE910ELNS1_3gpuE8ELNS1_3repE0EEENS1_30default_config_static_selectorELNS0_4arch9wavefront6targetE1EEEvT1_,"axG",@progbits,_ZN7rocprim17ROCPRIM_400000_NS6detail17trampoline_kernelINS0_14default_configENS1_29reduce_by_key_config_selectorIN3c104HalfElN6thrust23THRUST_200600_302600_NS4plusIlEEEEZZNS1_33reduce_by_key_impl_wrapped_configILNS1_25lookback_scan_determinismE0ES3_SB_PS6_NS8_17constant_iteratorIiNS8_11use_defaultESG_EENS8_10device_ptrIS6_EENSI_IlEEPmSA_NS8_8equal_toIS6_EEEE10hipError_tPvRmT2_T3_mT4_T5_T6_T7_T8_P12ihipStream_tbENKUlT_T0_E_clISt17integral_constantIbLb1EES15_EEDaS10_S11_EUlS10_E_NS1_11comp_targetILNS1_3genE4ELNS1_11target_archE910ELNS1_3gpuE8ELNS1_3repE0EEENS1_30default_config_static_selectorELNS0_4arch9wavefront6targetE1EEEvT1_,comdat
	.protected	_ZN7rocprim17ROCPRIM_400000_NS6detail17trampoline_kernelINS0_14default_configENS1_29reduce_by_key_config_selectorIN3c104HalfElN6thrust23THRUST_200600_302600_NS4plusIlEEEEZZNS1_33reduce_by_key_impl_wrapped_configILNS1_25lookback_scan_determinismE0ES3_SB_PS6_NS8_17constant_iteratorIiNS8_11use_defaultESG_EENS8_10device_ptrIS6_EENSI_IlEEPmSA_NS8_8equal_toIS6_EEEE10hipError_tPvRmT2_T3_mT4_T5_T6_T7_T8_P12ihipStream_tbENKUlT_T0_E_clISt17integral_constantIbLb1EES15_EEDaS10_S11_EUlS10_E_NS1_11comp_targetILNS1_3genE4ELNS1_11target_archE910ELNS1_3gpuE8ELNS1_3repE0EEENS1_30default_config_static_selectorELNS0_4arch9wavefront6targetE1EEEvT1_ ; -- Begin function _ZN7rocprim17ROCPRIM_400000_NS6detail17trampoline_kernelINS0_14default_configENS1_29reduce_by_key_config_selectorIN3c104HalfElN6thrust23THRUST_200600_302600_NS4plusIlEEEEZZNS1_33reduce_by_key_impl_wrapped_configILNS1_25lookback_scan_determinismE0ES3_SB_PS6_NS8_17constant_iteratorIiNS8_11use_defaultESG_EENS8_10device_ptrIS6_EENSI_IlEEPmSA_NS8_8equal_toIS6_EEEE10hipError_tPvRmT2_T3_mT4_T5_T6_T7_T8_P12ihipStream_tbENKUlT_T0_E_clISt17integral_constantIbLb1EES15_EEDaS10_S11_EUlS10_E_NS1_11comp_targetILNS1_3genE4ELNS1_11target_archE910ELNS1_3gpuE8ELNS1_3repE0EEENS1_30default_config_static_selectorELNS0_4arch9wavefront6targetE1EEEvT1_
	.globl	_ZN7rocprim17ROCPRIM_400000_NS6detail17trampoline_kernelINS0_14default_configENS1_29reduce_by_key_config_selectorIN3c104HalfElN6thrust23THRUST_200600_302600_NS4plusIlEEEEZZNS1_33reduce_by_key_impl_wrapped_configILNS1_25lookback_scan_determinismE0ES3_SB_PS6_NS8_17constant_iteratorIiNS8_11use_defaultESG_EENS8_10device_ptrIS6_EENSI_IlEEPmSA_NS8_8equal_toIS6_EEEE10hipError_tPvRmT2_T3_mT4_T5_T6_T7_T8_P12ihipStream_tbENKUlT_T0_E_clISt17integral_constantIbLb1EES15_EEDaS10_S11_EUlS10_E_NS1_11comp_targetILNS1_3genE4ELNS1_11target_archE910ELNS1_3gpuE8ELNS1_3repE0EEENS1_30default_config_static_selectorELNS0_4arch9wavefront6targetE1EEEvT1_
	.p2align	8
	.type	_ZN7rocprim17ROCPRIM_400000_NS6detail17trampoline_kernelINS0_14default_configENS1_29reduce_by_key_config_selectorIN3c104HalfElN6thrust23THRUST_200600_302600_NS4plusIlEEEEZZNS1_33reduce_by_key_impl_wrapped_configILNS1_25lookback_scan_determinismE0ES3_SB_PS6_NS8_17constant_iteratorIiNS8_11use_defaultESG_EENS8_10device_ptrIS6_EENSI_IlEEPmSA_NS8_8equal_toIS6_EEEE10hipError_tPvRmT2_T3_mT4_T5_T6_T7_T8_P12ihipStream_tbENKUlT_T0_E_clISt17integral_constantIbLb1EES15_EEDaS10_S11_EUlS10_E_NS1_11comp_targetILNS1_3genE4ELNS1_11target_archE910ELNS1_3gpuE8ELNS1_3repE0EEENS1_30default_config_static_selectorELNS0_4arch9wavefront6targetE1EEEvT1_,@function
_ZN7rocprim17ROCPRIM_400000_NS6detail17trampoline_kernelINS0_14default_configENS1_29reduce_by_key_config_selectorIN3c104HalfElN6thrust23THRUST_200600_302600_NS4plusIlEEEEZZNS1_33reduce_by_key_impl_wrapped_configILNS1_25lookback_scan_determinismE0ES3_SB_PS6_NS8_17constant_iteratorIiNS8_11use_defaultESG_EENS8_10device_ptrIS6_EENSI_IlEEPmSA_NS8_8equal_toIS6_EEEE10hipError_tPvRmT2_T3_mT4_T5_T6_T7_T8_P12ihipStream_tbENKUlT_T0_E_clISt17integral_constantIbLb1EES15_EEDaS10_S11_EUlS10_E_NS1_11comp_targetILNS1_3genE4ELNS1_11target_archE910ELNS1_3gpuE8ELNS1_3repE0EEENS1_30default_config_static_selectorELNS0_4arch9wavefront6targetE1EEEvT1_: ; @_ZN7rocprim17ROCPRIM_400000_NS6detail17trampoline_kernelINS0_14default_configENS1_29reduce_by_key_config_selectorIN3c104HalfElN6thrust23THRUST_200600_302600_NS4plusIlEEEEZZNS1_33reduce_by_key_impl_wrapped_configILNS1_25lookback_scan_determinismE0ES3_SB_PS6_NS8_17constant_iteratorIiNS8_11use_defaultESG_EENS8_10device_ptrIS6_EENSI_IlEEPmSA_NS8_8equal_toIS6_EEEE10hipError_tPvRmT2_T3_mT4_T5_T6_T7_T8_P12ihipStream_tbENKUlT_T0_E_clISt17integral_constantIbLb1EES15_EEDaS10_S11_EUlS10_E_NS1_11comp_targetILNS1_3genE4ELNS1_11target_archE910ELNS1_3gpuE8ELNS1_3repE0EEENS1_30default_config_static_selectorELNS0_4arch9wavefront6targetE1EEEvT1_
; %bb.0:
	.section	.rodata,"a",@progbits
	.p2align	6, 0x0
	.amdhsa_kernel _ZN7rocprim17ROCPRIM_400000_NS6detail17trampoline_kernelINS0_14default_configENS1_29reduce_by_key_config_selectorIN3c104HalfElN6thrust23THRUST_200600_302600_NS4plusIlEEEEZZNS1_33reduce_by_key_impl_wrapped_configILNS1_25lookback_scan_determinismE0ES3_SB_PS6_NS8_17constant_iteratorIiNS8_11use_defaultESG_EENS8_10device_ptrIS6_EENSI_IlEEPmSA_NS8_8equal_toIS6_EEEE10hipError_tPvRmT2_T3_mT4_T5_T6_T7_T8_P12ihipStream_tbENKUlT_T0_E_clISt17integral_constantIbLb1EES15_EEDaS10_S11_EUlS10_E_NS1_11comp_targetILNS1_3genE4ELNS1_11target_archE910ELNS1_3gpuE8ELNS1_3repE0EEENS1_30default_config_static_selectorELNS0_4arch9wavefront6targetE1EEEvT1_
		.amdhsa_group_segment_fixed_size 0
		.amdhsa_private_segment_fixed_size 0
		.amdhsa_kernarg_size 144
		.amdhsa_user_sgpr_count 6
		.amdhsa_user_sgpr_private_segment_buffer 1
		.amdhsa_user_sgpr_dispatch_ptr 0
		.amdhsa_user_sgpr_queue_ptr 0
		.amdhsa_user_sgpr_kernarg_segment_ptr 1
		.amdhsa_user_sgpr_dispatch_id 0
		.amdhsa_user_sgpr_flat_scratch_init 0
		.amdhsa_user_sgpr_private_segment_size 0
		.amdhsa_uses_dynamic_stack 0
		.amdhsa_system_sgpr_private_segment_wavefront_offset 0
		.amdhsa_system_sgpr_workgroup_id_x 1
		.amdhsa_system_sgpr_workgroup_id_y 0
		.amdhsa_system_sgpr_workgroup_id_z 0
		.amdhsa_system_sgpr_workgroup_info 0
		.amdhsa_system_vgpr_workitem_id 0
		.amdhsa_next_free_vgpr 1
		.amdhsa_next_free_sgpr 0
		.amdhsa_reserve_vcc 0
		.amdhsa_reserve_flat_scratch 0
		.amdhsa_float_round_mode_32 0
		.amdhsa_float_round_mode_16_64 0
		.amdhsa_float_denorm_mode_32 3
		.amdhsa_float_denorm_mode_16_64 3
		.amdhsa_dx10_clamp 1
		.amdhsa_ieee_mode 1
		.amdhsa_fp16_overflow 0
		.amdhsa_exception_fp_ieee_invalid_op 0
		.amdhsa_exception_fp_denorm_src 0
		.amdhsa_exception_fp_ieee_div_zero 0
		.amdhsa_exception_fp_ieee_overflow 0
		.amdhsa_exception_fp_ieee_underflow 0
		.amdhsa_exception_fp_ieee_inexact 0
		.amdhsa_exception_int_div_zero 0
	.end_amdhsa_kernel
	.section	.text._ZN7rocprim17ROCPRIM_400000_NS6detail17trampoline_kernelINS0_14default_configENS1_29reduce_by_key_config_selectorIN3c104HalfElN6thrust23THRUST_200600_302600_NS4plusIlEEEEZZNS1_33reduce_by_key_impl_wrapped_configILNS1_25lookback_scan_determinismE0ES3_SB_PS6_NS8_17constant_iteratorIiNS8_11use_defaultESG_EENS8_10device_ptrIS6_EENSI_IlEEPmSA_NS8_8equal_toIS6_EEEE10hipError_tPvRmT2_T3_mT4_T5_T6_T7_T8_P12ihipStream_tbENKUlT_T0_E_clISt17integral_constantIbLb1EES15_EEDaS10_S11_EUlS10_E_NS1_11comp_targetILNS1_3genE4ELNS1_11target_archE910ELNS1_3gpuE8ELNS1_3repE0EEENS1_30default_config_static_selectorELNS0_4arch9wavefront6targetE1EEEvT1_,"axG",@progbits,_ZN7rocprim17ROCPRIM_400000_NS6detail17trampoline_kernelINS0_14default_configENS1_29reduce_by_key_config_selectorIN3c104HalfElN6thrust23THRUST_200600_302600_NS4plusIlEEEEZZNS1_33reduce_by_key_impl_wrapped_configILNS1_25lookback_scan_determinismE0ES3_SB_PS6_NS8_17constant_iteratorIiNS8_11use_defaultESG_EENS8_10device_ptrIS6_EENSI_IlEEPmSA_NS8_8equal_toIS6_EEEE10hipError_tPvRmT2_T3_mT4_T5_T6_T7_T8_P12ihipStream_tbENKUlT_T0_E_clISt17integral_constantIbLb1EES15_EEDaS10_S11_EUlS10_E_NS1_11comp_targetILNS1_3genE4ELNS1_11target_archE910ELNS1_3gpuE8ELNS1_3repE0EEENS1_30default_config_static_selectorELNS0_4arch9wavefront6targetE1EEEvT1_,comdat
.Lfunc_end2209:
	.size	_ZN7rocprim17ROCPRIM_400000_NS6detail17trampoline_kernelINS0_14default_configENS1_29reduce_by_key_config_selectorIN3c104HalfElN6thrust23THRUST_200600_302600_NS4plusIlEEEEZZNS1_33reduce_by_key_impl_wrapped_configILNS1_25lookback_scan_determinismE0ES3_SB_PS6_NS8_17constant_iteratorIiNS8_11use_defaultESG_EENS8_10device_ptrIS6_EENSI_IlEEPmSA_NS8_8equal_toIS6_EEEE10hipError_tPvRmT2_T3_mT4_T5_T6_T7_T8_P12ihipStream_tbENKUlT_T0_E_clISt17integral_constantIbLb1EES15_EEDaS10_S11_EUlS10_E_NS1_11comp_targetILNS1_3genE4ELNS1_11target_archE910ELNS1_3gpuE8ELNS1_3repE0EEENS1_30default_config_static_selectorELNS0_4arch9wavefront6targetE1EEEvT1_, .Lfunc_end2209-_ZN7rocprim17ROCPRIM_400000_NS6detail17trampoline_kernelINS0_14default_configENS1_29reduce_by_key_config_selectorIN3c104HalfElN6thrust23THRUST_200600_302600_NS4plusIlEEEEZZNS1_33reduce_by_key_impl_wrapped_configILNS1_25lookback_scan_determinismE0ES3_SB_PS6_NS8_17constant_iteratorIiNS8_11use_defaultESG_EENS8_10device_ptrIS6_EENSI_IlEEPmSA_NS8_8equal_toIS6_EEEE10hipError_tPvRmT2_T3_mT4_T5_T6_T7_T8_P12ihipStream_tbENKUlT_T0_E_clISt17integral_constantIbLb1EES15_EEDaS10_S11_EUlS10_E_NS1_11comp_targetILNS1_3genE4ELNS1_11target_archE910ELNS1_3gpuE8ELNS1_3repE0EEENS1_30default_config_static_selectorELNS0_4arch9wavefront6targetE1EEEvT1_
                                        ; -- End function
	.set _ZN7rocprim17ROCPRIM_400000_NS6detail17trampoline_kernelINS0_14default_configENS1_29reduce_by_key_config_selectorIN3c104HalfElN6thrust23THRUST_200600_302600_NS4plusIlEEEEZZNS1_33reduce_by_key_impl_wrapped_configILNS1_25lookback_scan_determinismE0ES3_SB_PS6_NS8_17constant_iteratorIiNS8_11use_defaultESG_EENS8_10device_ptrIS6_EENSI_IlEEPmSA_NS8_8equal_toIS6_EEEE10hipError_tPvRmT2_T3_mT4_T5_T6_T7_T8_P12ihipStream_tbENKUlT_T0_E_clISt17integral_constantIbLb1EES15_EEDaS10_S11_EUlS10_E_NS1_11comp_targetILNS1_3genE4ELNS1_11target_archE910ELNS1_3gpuE8ELNS1_3repE0EEENS1_30default_config_static_selectorELNS0_4arch9wavefront6targetE1EEEvT1_.num_vgpr, 0
	.set _ZN7rocprim17ROCPRIM_400000_NS6detail17trampoline_kernelINS0_14default_configENS1_29reduce_by_key_config_selectorIN3c104HalfElN6thrust23THRUST_200600_302600_NS4plusIlEEEEZZNS1_33reduce_by_key_impl_wrapped_configILNS1_25lookback_scan_determinismE0ES3_SB_PS6_NS8_17constant_iteratorIiNS8_11use_defaultESG_EENS8_10device_ptrIS6_EENSI_IlEEPmSA_NS8_8equal_toIS6_EEEE10hipError_tPvRmT2_T3_mT4_T5_T6_T7_T8_P12ihipStream_tbENKUlT_T0_E_clISt17integral_constantIbLb1EES15_EEDaS10_S11_EUlS10_E_NS1_11comp_targetILNS1_3genE4ELNS1_11target_archE910ELNS1_3gpuE8ELNS1_3repE0EEENS1_30default_config_static_selectorELNS0_4arch9wavefront6targetE1EEEvT1_.num_agpr, 0
	.set _ZN7rocprim17ROCPRIM_400000_NS6detail17trampoline_kernelINS0_14default_configENS1_29reduce_by_key_config_selectorIN3c104HalfElN6thrust23THRUST_200600_302600_NS4plusIlEEEEZZNS1_33reduce_by_key_impl_wrapped_configILNS1_25lookback_scan_determinismE0ES3_SB_PS6_NS8_17constant_iteratorIiNS8_11use_defaultESG_EENS8_10device_ptrIS6_EENSI_IlEEPmSA_NS8_8equal_toIS6_EEEE10hipError_tPvRmT2_T3_mT4_T5_T6_T7_T8_P12ihipStream_tbENKUlT_T0_E_clISt17integral_constantIbLb1EES15_EEDaS10_S11_EUlS10_E_NS1_11comp_targetILNS1_3genE4ELNS1_11target_archE910ELNS1_3gpuE8ELNS1_3repE0EEENS1_30default_config_static_selectorELNS0_4arch9wavefront6targetE1EEEvT1_.numbered_sgpr, 0
	.set _ZN7rocprim17ROCPRIM_400000_NS6detail17trampoline_kernelINS0_14default_configENS1_29reduce_by_key_config_selectorIN3c104HalfElN6thrust23THRUST_200600_302600_NS4plusIlEEEEZZNS1_33reduce_by_key_impl_wrapped_configILNS1_25lookback_scan_determinismE0ES3_SB_PS6_NS8_17constant_iteratorIiNS8_11use_defaultESG_EENS8_10device_ptrIS6_EENSI_IlEEPmSA_NS8_8equal_toIS6_EEEE10hipError_tPvRmT2_T3_mT4_T5_T6_T7_T8_P12ihipStream_tbENKUlT_T0_E_clISt17integral_constantIbLb1EES15_EEDaS10_S11_EUlS10_E_NS1_11comp_targetILNS1_3genE4ELNS1_11target_archE910ELNS1_3gpuE8ELNS1_3repE0EEENS1_30default_config_static_selectorELNS0_4arch9wavefront6targetE1EEEvT1_.num_named_barrier, 0
	.set _ZN7rocprim17ROCPRIM_400000_NS6detail17trampoline_kernelINS0_14default_configENS1_29reduce_by_key_config_selectorIN3c104HalfElN6thrust23THRUST_200600_302600_NS4plusIlEEEEZZNS1_33reduce_by_key_impl_wrapped_configILNS1_25lookback_scan_determinismE0ES3_SB_PS6_NS8_17constant_iteratorIiNS8_11use_defaultESG_EENS8_10device_ptrIS6_EENSI_IlEEPmSA_NS8_8equal_toIS6_EEEE10hipError_tPvRmT2_T3_mT4_T5_T6_T7_T8_P12ihipStream_tbENKUlT_T0_E_clISt17integral_constantIbLb1EES15_EEDaS10_S11_EUlS10_E_NS1_11comp_targetILNS1_3genE4ELNS1_11target_archE910ELNS1_3gpuE8ELNS1_3repE0EEENS1_30default_config_static_selectorELNS0_4arch9wavefront6targetE1EEEvT1_.private_seg_size, 0
	.set _ZN7rocprim17ROCPRIM_400000_NS6detail17trampoline_kernelINS0_14default_configENS1_29reduce_by_key_config_selectorIN3c104HalfElN6thrust23THRUST_200600_302600_NS4plusIlEEEEZZNS1_33reduce_by_key_impl_wrapped_configILNS1_25lookback_scan_determinismE0ES3_SB_PS6_NS8_17constant_iteratorIiNS8_11use_defaultESG_EENS8_10device_ptrIS6_EENSI_IlEEPmSA_NS8_8equal_toIS6_EEEE10hipError_tPvRmT2_T3_mT4_T5_T6_T7_T8_P12ihipStream_tbENKUlT_T0_E_clISt17integral_constantIbLb1EES15_EEDaS10_S11_EUlS10_E_NS1_11comp_targetILNS1_3genE4ELNS1_11target_archE910ELNS1_3gpuE8ELNS1_3repE0EEENS1_30default_config_static_selectorELNS0_4arch9wavefront6targetE1EEEvT1_.uses_vcc, 0
	.set _ZN7rocprim17ROCPRIM_400000_NS6detail17trampoline_kernelINS0_14default_configENS1_29reduce_by_key_config_selectorIN3c104HalfElN6thrust23THRUST_200600_302600_NS4plusIlEEEEZZNS1_33reduce_by_key_impl_wrapped_configILNS1_25lookback_scan_determinismE0ES3_SB_PS6_NS8_17constant_iteratorIiNS8_11use_defaultESG_EENS8_10device_ptrIS6_EENSI_IlEEPmSA_NS8_8equal_toIS6_EEEE10hipError_tPvRmT2_T3_mT4_T5_T6_T7_T8_P12ihipStream_tbENKUlT_T0_E_clISt17integral_constantIbLb1EES15_EEDaS10_S11_EUlS10_E_NS1_11comp_targetILNS1_3genE4ELNS1_11target_archE910ELNS1_3gpuE8ELNS1_3repE0EEENS1_30default_config_static_selectorELNS0_4arch9wavefront6targetE1EEEvT1_.uses_flat_scratch, 0
	.set _ZN7rocprim17ROCPRIM_400000_NS6detail17trampoline_kernelINS0_14default_configENS1_29reduce_by_key_config_selectorIN3c104HalfElN6thrust23THRUST_200600_302600_NS4plusIlEEEEZZNS1_33reduce_by_key_impl_wrapped_configILNS1_25lookback_scan_determinismE0ES3_SB_PS6_NS8_17constant_iteratorIiNS8_11use_defaultESG_EENS8_10device_ptrIS6_EENSI_IlEEPmSA_NS8_8equal_toIS6_EEEE10hipError_tPvRmT2_T3_mT4_T5_T6_T7_T8_P12ihipStream_tbENKUlT_T0_E_clISt17integral_constantIbLb1EES15_EEDaS10_S11_EUlS10_E_NS1_11comp_targetILNS1_3genE4ELNS1_11target_archE910ELNS1_3gpuE8ELNS1_3repE0EEENS1_30default_config_static_selectorELNS0_4arch9wavefront6targetE1EEEvT1_.has_dyn_sized_stack, 0
	.set _ZN7rocprim17ROCPRIM_400000_NS6detail17trampoline_kernelINS0_14default_configENS1_29reduce_by_key_config_selectorIN3c104HalfElN6thrust23THRUST_200600_302600_NS4plusIlEEEEZZNS1_33reduce_by_key_impl_wrapped_configILNS1_25lookback_scan_determinismE0ES3_SB_PS6_NS8_17constant_iteratorIiNS8_11use_defaultESG_EENS8_10device_ptrIS6_EENSI_IlEEPmSA_NS8_8equal_toIS6_EEEE10hipError_tPvRmT2_T3_mT4_T5_T6_T7_T8_P12ihipStream_tbENKUlT_T0_E_clISt17integral_constantIbLb1EES15_EEDaS10_S11_EUlS10_E_NS1_11comp_targetILNS1_3genE4ELNS1_11target_archE910ELNS1_3gpuE8ELNS1_3repE0EEENS1_30default_config_static_selectorELNS0_4arch9wavefront6targetE1EEEvT1_.has_recursion, 0
	.set _ZN7rocprim17ROCPRIM_400000_NS6detail17trampoline_kernelINS0_14default_configENS1_29reduce_by_key_config_selectorIN3c104HalfElN6thrust23THRUST_200600_302600_NS4plusIlEEEEZZNS1_33reduce_by_key_impl_wrapped_configILNS1_25lookback_scan_determinismE0ES3_SB_PS6_NS8_17constant_iteratorIiNS8_11use_defaultESG_EENS8_10device_ptrIS6_EENSI_IlEEPmSA_NS8_8equal_toIS6_EEEE10hipError_tPvRmT2_T3_mT4_T5_T6_T7_T8_P12ihipStream_tbENKUlT_T0_E_clISt17integral_constantIbLb1EES15_EEDaS10_S11_EUlS10_E_NS1_11comp_targetILNS1_3genE4ELNS1_11target_archE910ELNS1_3gpuE8ELNS1_3repE0EEENS1_30default_config_static_selectorELNS0_4arch9wavefront6targetE1EEEvT1_.has_indirect_call, 0
	.section	.AMDGPU.csdata,"",@progbits
; Kernel info:
; codeLenInByte = 0
; TotalNumSgprs: 4
; NumVgprs: 0
; ScratchSize: 0
; MemoryBound: 0
; FloatMode: 240
; IeeeMode: 1
; LDSByteSize: 0 bytes/workgroup (compile time only)
; SGPRBlocks: 0
; VGPRBlocks: 0
; NumSGPRsForWavesPerEU: 4
; NumVGPRsForWavesPerEU: 1
; Occupancy: 10
; WaveLimiterHint : 0
; COMPUTE_PGM_RSRC2:SCRATCH_EN: 0
; COMPUTE_PGM_RSRC2:USER_SGPR: 6
; COMPUTE_PGM_RSRC2:TRAP_HANDLER: 0
; COMPUTE_PGM_RSRC2:TGID_X_EN: 1
; COMPUTE_PGM_RSRC2:TGID_Y_EN: 0
; COMPUTE_PGM_RSRC2:TGID_Z_EN: 0
; COMPUTE_PGM_RSRC2:TIDIG_COMP_CNT: 0
	.section	.text._ZN7rocprim17ROCPRIM_400000_NS6detail17trampoline_kernelINS0_14default_configENS1_29reduce_by_key_config_selectorIN3c104HalfElN6thrust23THRUST_200600_302600_NS4plusIlEEEEZZNS1_33reduce_by_key_impl_wrapped_configILNS1_25lookback_scan_determinismE0ES3_SB_PS6_NS8_17constant_iteratorIiNS8_11use_defaultESG_EENS8_10device_ptrIS6_EENSI_IlEEPmSA_NS8_8equal_toIS6_EEEE10hipError_tPvRmT2_T3_mT4_T5_T6_T7_T8_P12ihipStream_tbENKUlT_T0_E_clISt17integral_constantIbLb1EES15_EEDaS10_S11_EUlS10_E_NS1_11comp_targetILNS1_3genE3ELNS1_11target_archE908ELNS1_3gpuE7ELNS1_3repE0EEENS1_30default_config_static_selectorELNS0_4arch9wavefront6targetE1EEEvT1_,"axG",@progbits,_ZN7rocprim17ROCPRIM_400000_NS6detail17trampoline_kernelINS0_14default_configENS1_29reduce_by_key_config_selectorIN3c104HalfElN6thrust23THRUST_200600_302600_NS4plusIlEEEEZZNS1_33reduce_by_key_impl_wrapped_configILNS1_25lookback_scan_determinismE0ES3_SB_PS6_NS8_17constant_iteratorIiNS8_11use_defaultESG_EENS8_10device_ptrIS6_EENSI_IlEEPmSA_NS8_8equal_toIS6_EEEE10hipError_tPvRmT2_T3_mT4_T5_T6_T7_T8_P12ihipStream_tbENKUlT_T0_E_clISt17integral_constantIbLb1EES15_EEDaS10_S11_EUlS10_E_NS1_11comp_targetILNS1_3genE3ELNS1_11target_archE908ELNS1_3gpuE7ELNS1_3repE0EEENS1_30default_config_static_selectorELNS0_4arch9wavefront6targetE1EEEvT1_,comdat
	.protected	_ZN7rocprim17ROCPRIM_400000_NS6detail17trampoline_kernelINS0_14default_configENS1_29reduce_by_key_config_selectorIN3c104HalfElN6thrust23THRUST_200600_302600_NS4plusIlEEEEZZNS1_33reduce_by_key_impl_wrapped_configILNS1_25lookback_scan_determinismE0ES3_SB_PS6_NS8_17constant_iteratorIiNS8_11use_defaultESG_EENS8_10device_ptrIS6_EENSI_IlEEPmSA_NS8_8equal_toIS6_EEEE10hipError_tPvRmT2_T3_mT4_T5_T6_T7_T8_P12ihipStream_tbENKUlT_T0_E_clISt17integral_constantIbLb1EES15_EEDaS10_S11_EUlS10_E_NS1_11comp_targetILNS1_3genE3ELNS1_11target_archE908ELNS1_3gpuE7ELNS1_3repE0EEENS1_30default_config_static_selectorELNS0_4arch9wavefront6targetE1EEEvT1_ ; -- Begin function _ZN7rocprim17ROCPRIM_400000_NS6detail17trampoline_kernelINS0_14default_configENS1_29reduce_by_key_config_selectorIN3c104HalfElN6thrust23THRUST_200600_302600_NS4plusIlEEEEZZNS1_33reduce_by_key_impl_wrapped_configILNS1_25lookback_scan_determinismE0ES3_SB_PS6_NS8_17constant_iteratorIiNS8_11use_defaultESG_EENS8_10device_ptrIS6_EENSI_IlEEPmSA_NS8_8equal_toIS6_EEEE10hipError_tPvRmT2_T3_mT4_T5_T6_T7_T8_P12ihipStream_tbENKUlT_T0_E_clISt17integral_constantIbLb1EES15_EEDaS10_S11_EUlS10_E_NS1_11comp_targetILNS1_3genE3ELNS1_11target_archE908ELNS1_3gpuE7ELNS1_3repE0EEENS1_30default_config_static_selectorELNS0_4arch9wavefront6targetE1EEEvT1_
	.globl	_ZN7rocprim17ROCPRIM_400000_NS6detail17trampoline_kernelINS0_14default_configENS1_29reduce_by_key_config_selectorIN3c104HalfElN6thrust23THRUST_200600_302600_NS4plusIlEEEEZZNS1_33reduce_by_key_impl_wrapped_configILNS1_25lookback_scan_determinismE0ES3_SB_PS6_NS8_17constant_iteratorIiNS8_11use_defaultESG_EENS8_10device_ptrIS6_EENSI_IlEEPmSA_NS8_8equal_toIS6_EEEE10hipError_tPvRmT2_T3_mT4_T5_T6_T7_T8_P12ihipStream_tbENKUlT_T0_E_clISt17integral_constantIbLb1EES15_EEDaS10_S11_EUlS10_E_NS1_11comp_targetILNS1_3genE3ELNS1_11target_archE908ELNS1_3gpuE7ELNS1_3repE0EEENS1_30default_config_static_selectorELNS0_4arch9wavefront6targetE1EEEvT1_
	.p2align	8
	.type	_ZN7rocprim17ROCPRIM_400000_NS6detail17trampoline_kernelINS0_14default_configENS1_29reduce_by_key_config_selectorIN3c104HalfElN6thrust23THRUST_200600_302600_NS4plusIlEEEEZZNS1_33reduce_by_key_impl_wrapped_configILNS1_25lookback_scan_determinismE0ES3_SB_PS6_NS8_17constant_iteratorIiNS8_11use_defaultESG_EENS8_10device_ptrIS6_EENSI_IlEEPmSA_NS8_8equal_toIS6_EEEE10hipError_tPvRmT2_T3_mT4_T5_T6_T7_T8_P12ihipStream_tbENKUlT_T0_E_clISt17integral_constantIbLb1EES15_EEDaS10_S11_EUlS10_E_NS1_11comp_targetILNS1_3genE3ELNS1_11target_archE908ELNS1_3gpuE7ELNS1_3repE0EEENS1_30default_config_static_selectorELNS0_4arch9wavefront6targetE1EEEvT1_,@function
_ZN7rocprim17ROCPRIM_400000_NS6detail17trampoline_kernelINS0_14default_configENS1_29reduce_by_key_config_selectorIN3c104HalfElN6thrust23THRUST_200600_302600_NS4plusIlEEEEZZNS1_33reduce_by_key_impl_wrapped_configILNS1_25lookback_scan_determinismE0ES3_SB_PS6_NS8_17constant_iteratorIiNS8_11use_defaultESG_EENS8_10device_ptrIS6_EENSI_IlEEPmSA_NS8_8equal_toIS6_EEEE10hipError_tPvRmT2_T3_mT4_T5_T6_T7_T8_P12ihipStream_tbENKUlT_T0_E_clISt17integral_constantIbLb1EES15_EEDaS10_S11_EUlS10_E_NS1_11comp_targetILNS1_3genE3ELNS1_11target_archE908ELNS1_3gpuE7ELNS1_3repE0EEENS1_30default_config_static_selectorELNS0_4arch9wavefront6targetE1EEEvT1_: ; @_ZN7rocprim17ROCPRIM_400000_NS6detail17trampoline_kernelINS0_14default_configENS1_29reduce_by_key_config_selectorIN3c104HalfElN6thrust23THRUST_200600_302600_NS4plusIlEEEEZZNS1_33reduce_by_key_impl_wrapped_configILNS1_25lookback_scan_determinismE0ES3_SB_PS6_NS8_17constant_iteratorIiNS8_11use_defaultESG_EENS8_10device_ptrIS6_EENSI_IlEEPmSA_NS8_8equal_toIS6_EEEE10hipError_tPvRmT2_T3_mT4_T5_T6_T7_T8_P12ihipStream_tbENKUlT_T0_E_clISt17integral_constantIbLb1EES15_EEDaS10_S11_EUlS10_E_NS1_11comp_targetILNS1_3genE3ELNS1_11target_archE908ELNS1_3gpuE7ELNS1_3repE0EEENS1_30default_config_static_selectorELNS0_4arch9wavefront6targetE1EEEvT1_
; %bb.0:
	.section	.rodata,"a",@progbits
	.p2align	6, 0x0
	.amdhsa_kernel _ZN7rocprim17ROCPRIM_400000_NS6detail17trampoline_kernelINS0_14default_configENS1_29reduce_by_key_config_selectorIN3c104HalfElN6thrust23THRUST_200600_302600_NS4plusIlEEEEZZNS1_33reduce_by_key_impl_wrapped_configILNS1_25lookback_scan_determinismE0ES3_SB_PS6_NS8_17constant_iteratorIiNS8_11use_defaultESG_EENS8_10device_ptrIS6_EENSI_IlEEPmSA_NS8_8equal_toIS6_EEEE10hipError_tPvRmT2_T3_mT4_T5_T6_T7_T8_P12ihipStream_tbENKUlT_T0_E_clISt17integral_constantIbLb1EES15_EEDaS10_S11_EUlS10_E_NS1_11comp_targetILNS1_3genE3ELNS1_11target_archE908ELNS1_3gpuE7ELNS1_3repE0EEENS1_30default_config_static_selectorELNS0_4arch9wavefront6targetE1EEEvT1_
		.amdhsa_group_segment_fixed_size 0
		.amdhsa_private_segment_fixed_size 0
		.amdhsa_kernarg_size 144
		.amdhsa_user_sgpr_count 6
		.amdhsa_user_sgpr_private_segment_buffer 1
		.amdhsa_user_sgpr_dispatch_ptr 0
		.amdhsa_user_sgpr_queue_ptr 0
		.amdhsa_user_sgpr_kernarg_segment_ptr 1
		.amdhsa_user_sgpr_dispatch_id 0
		.amdhsa_user_sgpr_flat_scratch_init 0
		.amdhsa_user_sgpr_private_segment_size 0
		.amdhsa_uses_dynamic_stack 0
		.amdhsa_system_sgpr_private_segment_wavefront_offset 0
		.amdhsa_system_sgpr_workgroup_id_x 1
		.amdhsa_system_sgpr_workgroup_id_y 0
		.amdhsa_system_sgpr_workgroup_id_z 0
		.amdhsa_system_sgpr_workgroup_info 0
		.amdhsa_system_vgpr_workitem_id 0
		.amdhsa_next_free_vgpr 1
		.amdhsa_next_free_sgpr 0
		.amdhsa_reserve_vcc 0
		.amdhsa_reserve_flat_scratch 0
		.amdhsa_float_round_mode_32 0
		.amdhsa_float_round_mode_16_64 0
		.amdhsa_float_denorm_mode_32 3
		.amdhsa_float_denorm_mode_16_64 3
		.amdhsa_dx10_clamp 1
		.amdhsa_ieee_mode 1
		.amdhsa_fp16_overflow 0
		.amdhsa_exception_fp_ieee_invalid_op 0
		.amdhsa_exception_fp_denorm_src 0
		.amdhsa_exception_fp_ieee_div_zero 0
		.amdhsa_exception_fp_ieee_overflow 0
		.amdhsa_exception_fp_ieee_underflow 0
		.amdhsa_exception_fp_ieee_inexact 0
		.amdhsa_exception_int_div_zero 0
	.end_amdhsa_kernel
	.section	.text._ZN7rocprim17ROCPRIM_400000_NS6detail17trampoline_kernelINS0_14default_configENS1_29reduce_by_key_config_selectorIN3c104HalfElN6thrust23THRUST_200600_302600_NS4plusIlEEEEZZNS1_33reduce_by_key_impl_wrapped_configILNS1_25lookback_scan_determinismE0ES3_SB_PS6_NS8_17constant_iteratorIiNS8_11use_defaultESG_EENS8_10device_ptrIS6_EENSI_IlEEPmSA_NS8_8equal_toIS6_EEEE10hipError_tPvRmT2_T3_mT4_T5_T6_T7_T8_P12ihipStream_tbENKUlT_T0_E_clISt17integral_constantIbLb1EES15_EEDaS10_S11_EUlS10_E_NS1_11comp_targetILNS1_3genE3ELNS1_11target_archE908ELNS1_3gpuE7ELNS1_3repE0EEENS1_30default_config_static_selectorELNS0_4arch9wavefront6targetE1EEEvT1_,"axG",@progbits,_ZN7rocprim17ROCPRIM_400000_NS6detail17trampoline_kernelINS0_14default_configENS1_29reduce_by_key_config_selectorIN3c104HalfElN6thrust23THRUST_200600_302600_NS4plusIlEEEEZZNS1_33reduce_by_key_impl_wrapped_configILNS1_25lookback_scan_determinismE0ES3_SB_PS6_NS8_17constant_iteratorIiNS8_11use_defaultESG_EENS8_10device_ptrIS6_EENSI_IlEEPmSA_NS8_8equal_toIS6_EEEE10hipError_tPvRmT2_T3_mT4_T5_T6_T7_T8_P12ihipStream_tbENKUlT_T0_E_clISt17integral_constantIbLb1EES15_EEDaS10_S11_EUlS10_E_NS1_11comp_targetILNS1_3genE3ELNS1_11target_archE908ELNS1_3gpuE7ELNS1_3repE0EEENS1_30default_config_static_selectorELNS0_4arch9wavefront6targetE1EEEvT1_,comdat
.Lfunc_end2210:
	.size	_ZN7rocprim17ROCPRIM_400000_NS6detail17trampoline_kernelINS0_14default_configENS1_29reduce_by_key_config_selectorIN3c104HalfElN6thrust23THRUST_200600_302600_NS4plusIlEEEEZZNS1_33reduce_by_key_impl_wrapped_configILNS1_25lookback_scan_determinismE0ES3_SB_PS6_NS8_17constant_iteratorIiNS8_11use_defaultESG_EENS8_10device_ptrIS6_EENSI_IlEEPmSA_NS8_8equal_toIS6_EEEE10hipError_tPvRmT2_T3_mT4_T5_T6_T7_T8_P12ihipStream_tbENKUlT_T0_E_clISt17integral_constantIbLb1EES15_EEDaS10_S11_EUlS10_E_NS1_11comp_targetILNS1_3genE3ELNS1_11target_archE908ELNS1_3gpuE7ELNS1_3repE0EEENS1_30default_config_static_selectorELNS0_4arch9wavefront6targetE1EEEvT1_, .Lfunc_end2210-_ZN7rocprim17ROCPRIM_400000_NS6detail17trampoline_kernelINS0_14default_configENS1_29reduce_by_key_config_selectorIN3c104HalfElN6thrust23THRUST_200600_302600_NS4plusIlEEEEZZNS1_33reduce_by_key_impl_wrapped_configILNS1_25lookback_scan_determinismE0ES3_SB_PS6_NS8_17constant_iteratorIiNS8_11use_defaultESG_EENS8_10device_ptrIS6_EENSI_IlEEPmSA_NS8_8equal_toIS6_EEEE10hipError_tPvRmT2_T3_mT4_T5_T6_T7_T8_P12ihipStream_tbENKUlT_T0_E_clISt17integral_constantIbLb1EES15_EEDaS10_S11_EUlS10_E_NS1_11comp_targetILNS1_3genE3ELNS1_11target_archE908ELNS1_3gpuE7ELNS1_3repE0EEENS1_30default_config_static_selectorELNS0_4arch9wavefront6targetE1EEEvT1_
                                        ; -- End function
	.set _ZN7rocprim17ROCPRIM_400000_NS6detail17trampoline_kernelINS0_14default_configENS1_29reduce_by_key_config_selectorIN3c104HalfElN6thrust23THRUST_200600_302600_NS4plusIlEEEEZZNS1_33reduce_by_key_impl_wrapped_configILNS1_25lookback_scan_determinismE0ES3_SB_PS6_NS8_17constant_iteratorIiNS8_11use_defaultESG_EENS8_10device_ptrIS6_EENSI_IlEEPmSA_NS8_8equal_toIS6_EEEE10hipError_tPvRmT2_T3_mT4_T5_T6_T7_T8_P12ihipStream_tbENKUlT_T0_E_clISt17integral_constantIbLb1EES15_EEDaS10_S11_EUlS10_E_NS1_11comp_targetILNS1_3genE3ELNS1_11target_archE908ELNS1_3gpuE7ELNS1_3repE0EEENS1_30default_config_static_selectorELNS0_4arch9wavefront6targetE1EEEvT1_.num_vgpr, 0
	.set _ZN7rocprim17ROCPRIM_400000_NS6detail17trampoline_kernelINS0_14default_configENS1_29reduce_by_key_config_selectorIN3c104HalfElN6thrust23THRUST_200600_302600_NS4plusIlEEEEZZNS1_33reduce_by_key_impl_wrapped_configILNS1_25lookback_scan_determinismE0ES3_SB_PS6_NS8_17constant_iteratorIiNS8_11use_defaultESG_EENS8_10device_ptrIS6_EENSI_IlEEPmSA_NS8_8equal_toIS6_EEEE10hipError_tPvRmT2_T3_mT4_T5_T6_T7_T8_P12ihipStream_tbENKUlT_T0_E_clISt17integral_constantIbLb1EES15_EEDaS10_S11_EUlS10_E_NS1_11comp_targetILNS1_3genE3ELNS1_11target_archE908ELNS1_3gpuE7ELNS1_3repE0EEENS1_30default_config_static_selectorELNS0_4arch9wavefront6targetE1EEEvT1_.num_agpr, 0
	.set _ZN7rocprim17ROCPRIM_400000_NS6detail17trampoline_kernelINS0_14default_configENS1_29reduce_by_key_config_selectorIN3c104HalfElN6thrust23THRUST_200600_302600_NS4plusIlEEEEZZNS1_33reduce_by_key_impl_wrapped_configILNS1_25lookback_scan_determinismE0ES3_SB_PS6_NS8_17constant_iteratorIiNS8_11use_defaultESG_EENS8_10device_ptrIS6_EENSI_IlEEPmSA_NS8_8equal_toIS6_EEEE10hipError_tPvRmT2_T3_mT4_T5_T6_T7_T8_P12ihipStream_tbENKUlT_T0_E_clISt17integral_constantIbLb1EES15_EEDaS10_S11_EUlS10_E_NS1_11comp_targetILNS1_3genE3ELNS1_11target_archE908ELNS1_3gpuE7ELNS1_3repE0EEENS1_30default_config_static_selectorELNS0_4arch9wavefront6targetE1EEEvT1_.numbered_sgpr, 0
	.set _ZN7rocprim17ROCPRIM_400000_NS6detail17trampoline_kernelINS0_14default_configENS1_29reduce_by_key_config_selectorIN3c104HalfElN6thrust23THRUST_200600_302600_NS4plusIlEEEEZZNS1_33reduce_by_key_impl_wrapped_configILNS1_25lookback_scan_determinismE0ES3_SB_PS6_NS8_17constant_iteratorIiNS8_11use_defaultESG_EENS8_10device_ptrIS6_EENSI_IlEEPmSA_NS8_8equal_toIS6_EEEE10hipError_tPvRmT2_T3_mT4_T5_T6_T7_T8_P12ihipStream_tbENKUlT_T0_E_clISt17integral_constantIbLb1EES15_EEDaS10_S11_EUlS10_E_NS1_11comp_targetILNS1_3genE3ELNS1_11target_archE908ELNS1_3gpuE7ELNS1_3repE0EEENS1_30default_config_static_selectorELNS0_4arch9wavefront6targetE1EEEvT1_.num_named_barrier, 0
	.set _ZN7rocprim17ROCPRIM_400000_NS6detail17trampoline_kernelINS0_14default_configENS1_29reduce_by_key_config_selectorIN3c104HalfElN6thrust23THRUST_200600_302600_NS4plusIlEEEEZZNS1_33reduce_by_key_impl_wrapped_configILNS1_25lookback_scan_determinismE0ES3_SB_PS6_NS8_17constant_iteratorIiNS8_11use_defaultESG_EENS8_10device_ptrIS6_EENSI_IlEEPmSA_NS8_8equal_toIS6_EEEE10hipError_tPvRmT2_T3_mT4_T5_T6_T7_T8_P12ihipStream_tbENKUlT_T0_E_clISt17integral_constantIbLb1EES15_EEDaS10_S11_EUlS10_E_NS1_11comp_targetILNS1_3genE3ELNS1_11target_archE908ELNS1_3gpuE7ELNS1_3repE0EEENS1_30default_config_static_selectorELNS0_4arch9wavefront6targetE1EEEvT1_.private_seg_size, 0
	.set _ZN7rocprim17ROCPRIM_400000_NS6detail17trampoline_kernelINS0_14default_configENS1_29reduce_by_key_config_selectorIN3c104HalfElN6thrust23THRUST_200600_302600_NS4plusIlEEEEZZNS1_33reduce_by_key_impl_wrapped_configILNS1_25lookback_scan_determinismE0ES3_SB_PS6_NS8_17constant_iteratorIiNS8_11use_defaultESG_EENS8_10device_ptrIS6_EENSI_IlEEPmSA_NS8_8equal_toIS6_EEEE10hipError_tPvRmT2_T3_mT4_T5_T6_T7_T8_P12ihipStream_tbENKUlT_T0_E_clISt17integral_constantIbLb1EES15_EEDaS10_S11_EUlS10_E_NS1_11comp_targetILNS1_3genE3ELNS1_11target_archE908ELNS1_3gpuE7ELNS1_3repE0EEENS1_30default_config_static_selectorELNS0_4arch9wavefront6targetE1EEEvT1_.uses_vcc, 0
	.set _ZN7rocprim17ROCPRIM_400000_NS6detail17trampoline_kernelINS0_14default_configENS1_29reduce_by_key_config_selectorIN3c104HalfElN6thrust23THRUST_200600_302600_NS4plusIlEEEEZZNS1_33reduce_by_key_impl_wrapped_configILNS1_25lookback_scan_determinismE0ES3_SB_PS6_NS8_17constant_iteratorIiNS8_11use_defaultESG_EENS8_10device_ptrIS6_EENSI_IlEEPmSA_NS8_8equal_toIS6_EEEE10hipError_tPvRmT2_T3_mT4_T5_T6_T7_T8_P12ihipStream_tbENKUlT_T0_E_clISt17integral_constantIbLb1EES15_EEDaS10_S11_EUlS10_E_NS1_11comp_targetILNS1_3genE3ELNS1_11target_archE908ELNS1_3gpuE7ELNS1_3repE0EEENS1_30default_config_static_selectorELNS0_4arch9wavefront6targetE1EEEvT1_.uses_flat_scratch, 0
	.set _ZN7rocprim17ROCPRIM_400000_NS6detail17trampoline_kernelINS0_14default_configENS1_29reduce_by_key_config_selectorIN3c104HalfElN6thrust23THRUST_200600_302600_NS4plusIlEEEEZZNS1_33reduce_by_key_impl_wrapped_configILNS1_25lookback_scan_determinismE0ES3_SB_PS6_NS8_17constant_iteratorIiNS8_11use_defaultESG_EENS8_10device_ptrIS6_EENSI_IlEEPmSA_NS8_8equal_toIS6_EEEE10hipError_tPvRmT2_T3_mT4_T5_T6_T7_T8_P12ihipStream_tbENKUlT_T0_E_clISt17integral_constantIbLb1EES15_EEDaS10_S11_EUlS10_E_NS1_11comp_targetILNS1_3genE3ELNS1_11target_archE908ELNS1_3gpuE7ELNS1_3repE0EEENS1_30default_config_static_selectorELNS0_4arch9wavefront6targetE1EEEvT1_.has_dyn_sized_stack, 0
	.set _ZN7rocprim17ROCPRIM_400000_NS6detail17trampoline_kernelINS0_14default_configENS1_29reduce_by_key_config_selectorIN3c104HalfElN6thrust23THRUST_200600_302600_NS4plusIlEEEEZZNS1_33reduce_by_key_impl_wrapped_configILNS1_25lookback_scan_determinismE0ES3_SB_PS6_NS8_17constant_iteratorIiNS8_11use_defaultESG_EENS8_10device_ptrIS6_EENSI_IlEEPmSA_NS8_8equal_toIS6_EEEE10hipError_tPvRmT2_T3_mT4_T5_T6_T7_T8_P12ihipStream_tbENKUlT_T0_E_clISt17integral_constantIbLb1EES15_EEDaS10_S11_EUlS10_E_NS1_11comp_targetILNS1_3genE3ELNS1_11target_archE908ELNS1_3gpuE7ELNS1_3repE0EEENS1_30default_config_static_selectorELNS0_4arch9wavefront6targetE1EEEvT1_.has_recursion, 0
	.set _ZN7rocprim17ROCPRIM_400000_NS6detail17trampoline_kernelINS0_14default_configENS1_29reduce_by_key_config_selectorIN3c104HalfElN6thrust23THRUST_200600_302600_NS4plusIlEEEEZZNS1_33reduce_by_key_impl_wrapped_configILNS1_25lookback_scan_determinismE0ES3_SB_PS6_NS8_17constant_iteratorIiNS8_11use_defaultESG_EENS8_10device_ptrIS6_EENSI_IlEEPmSA_NS8_8equal_toIS6_EEEE10hipError_tPvRmT2_T3_mT4_T5_T6_T7_T8_P12ihipStream_tbENKUlT_T0_E_clISt17integral_constantIbLb1EES15_EEDaS10_S11_EUlS10_E_NS1_11comp_targetILNS1_3genE3ELNS1_11target_archE908ELNS1_3gpuE7ELNS1_3repE0EEENS1_30default_config_static_selectorELNS0_4arch9wavefront6targetE1EEEvT1_.has_indirect_call, 0
	.section	.AMDGPU.csdata,"",@progbits
; Kernel info:
; codeLenInByte = 0
; TotalNumSgprs: 4
; NumVgprs: 0
; ScratchSize: 0
; MemoryBound: 0
; FloatMode: 240
; IeeeMode: 1
; LDSByteSize: 0 bytes/workgroup (compile time only)
; SGPRBlocks: 0
; VGPRBlocks: 0
; NumSGPRsForWavesPerEU: 4
; NumVGPRsForWavesPerEU: 1
; Occupancy: 10
; WaveLimiterHint : 0
; COMPUTE_PGM_RSRC2:SCRATCH_EN: 0
; COMPUTE_PGM_RSRC2:USER_SGPR: 6
; COMPUTE_PGM_RSRC2:TRAP_HANDLER: 0
; COMPUTE_PGM_RSRC2:TGID_X_EN: 1
; COMPUTE_PGM_RSRC2:TGID_Y_EN: 0
; COMPUTE_PGM_RSRC2:TGID_Z_EN: 0
; COMPUTE_PGM_RSRC2:TIDIG_COMP_CNT: 0
	.section	.text._ZN7rocprim17ROCPRIM_400000_NS6detail17trampoline_kernelINS0_14default_configENS1_29reduce_by_key_config_selectorIN3c104HalfElN6thrust23THRUST_200600_302600_NS4plusIlEEEEZZNS1_33reduce_by_key_impl_wrapped_configILNS1_25lookback_scan_determinismE0ES3_SB_PS6_NS8_17constant_iteratorIiNS8_11use_defaultESG_EENS8_10device_ptrIS6_EENSI_IlEEPmSA_NS8_8equal_toIS6_EEEE10hipError_tPvRmT2_T3_mT4_T5_T6_T7_T8_P12ihipStream_tbENKUlT_T0_E_clISt17integral_constantIbLb1EES15_EEDaS10_S11_EUlS10_E_NS1_11comp_targetILNS1_3genE2ELNS1_11target_archE906ELNS1_3gpuE6ELNS1_3repE0EEENS1_30default_config_static_selectorELNS0_4arch9wavefront6targetE1EEEvT1_,"axG",@progbits,_ZN7rocprim17ROCPRIM_400000_NS6detail17trampoline_kernelINS0_14default_configENS1_29reduce_by_key_config_selectorIN3c104HalfElN6thrust23THRUST_200600_302600_NS4plusIlEEEEZZNS1_33reduce_by_key_impl_wrapped_configILNS1_25lookback_scan_determinismE0ES3_SB_PS6_NS8_17constant_iteratorIiNS8_11use_defaultESG_EENS8_10device_ptrIS6_EENSI_IlEEPmSA_NS8_8equal_toIS6_EEEE10hipError_tPvRmT2_T3_mT4_T5_T6_T7_T8_P12ihipStream_tbENKUlT_T0_E_clISt17integral_constantIbLb1EES15_EEDaS10_S11_EUlS10_E_NS1_11comp_targetILNS1_3genE2ELNS1_11target_archE906ELNS1_3gpuE6ELNS1_3repE0EEENS1_30default_config_static_selectorELNS0_4arch9wavefront6targetE1EEEvT1_,comdat
	.protected	_ZN7rocprim17ROCPRIM_400000_NS6detail17trampoline_kernelINS0_14default_configENS1_29reduce_by_key_config_selectorIN3c104HalfElN6thrust23THRUST_200600_302600_NS4plusIlEEEEZZNS1_33reduce_by_key_impl_wrapped_configILNS1_25lookback_scan_determinismE0ES3_SB_PS6_NS8_17constant_iteratorIiNS8_11use_defaultESG_EENS8_10device_ptrIS6_EENSI_IlEEPmSA_NS8_8equal_toIS6_EEEE10hipError_tPvRmT2_T3_mT4_T5_T6_T7_T8_P12ihipStream_tbENKUlT_T0_E_clISt17integral_constantIbLb1EES15_EEDaS10_S11_EUlS10_E_NS1_11comp_targetILNS1_3genE2ELNS1_11target_archE906ELNS1_3gpuE6ELNS1_3repE0EEENS1_30default_config_static_selectorELNS0_4arch9wavefront6targetE1EEEvT1_ ; -- Begin function _ZN7rocprim17ROCPRIM_400000_NS6detail17trampoline_kernelINS0_14default_configENS1_29reduce_by_key_config_selectorIN3c104HalfElN6thrust23THRUST_200600_302600_NS4plusIlEEEEZZNS1_33reduce_by_key_impl_wrapped_configILNS1_25lookback_scan_determinismE0ES3_SB_PS6_NS8_17constant_iteratorIiNS8_11use_defaultESG_EENS8_10device_ptrIS6_EENSI_IlEEPmSA_NS8_8equal_toIS6_EEEE10hipError_tPvRmT2_T3_mT4_T5_T6_T7_T8_P12ihipStream_tbENKUlT_T0_E_clISt17integral_constantIbLb1EES15_EEDaS10_S11_EUlS10_E_NS1_11comp_targetILNS1_3genE2ELNS1_11target_archE906ELNS1_3gpuE6ELNS1_3repE0EEENS1_30default_config_static_selectorELNS0_4arch9wavefront6targetE1EEEvT1_
	.globl	_ZN7rocprim17ROCPRIM_400000_NS6detail17trampoline_kernelINS0_14default_configENS1_29reduce_by_key_config_selectorIN3c104HalfElN6thrust23THRUST_200600_302600_NS4plusIlEEEEZZNS1_33reduce_by_key_impl_wrapped_configILNS1_25lookback_scan_determinismE0ES3_SB_PS6_NS8_17constant_iteratorIiNS8_11use_defaultESG_EENS8_10device_ptrIS6_EENSI_IlEEPmSA_NS8_8equal_toIS6_EEEE10hipError_tPvRmT2_T3_mT4_T5_T6_T7_T8_P12ihipStream_tbENKUlT_T0_E_clISt17integral_constantIbLb1EES15_EEDaS10_S11_EUlS10_E_NS1_11comp_targetILNS1_3genE2ELNS1_11target_archE906ELNS1_3gpuE6ELNS1_3repE0EEENS1_30default_config_static_selectorELNS0_4arch9wavefront6targetE1EEEvT1_
	.p2align	8
	.type	_ZN7rocprim17ROCPRIM_400000_NS6detail17trampoline_kernelINS0_14default_configENS1_29reduce_by_key_config_selectorIN3c104HalfElN6thrust23THRUST_200600_302600_NS4plusIlEEEEZZNS1_33reduce_by_key_impl_wrapped_configILNS1_25lookback_scan_determinismE0ES3_SB_PS6_NS8_17constant_iteratorIiNS8_11use_defaultESG_EENS8_10device_ptrIS6_EENSI_IlEEPmSA_NS8_8equal_toIS6_EEEE10hipError_tPvRmT2_T3_mT4_T5_T6_T7_T8_P12ihipStream_tbENKUlT_T0_E_clISt17integral_constantIbLb1EES15_EEDaS10_S11_EUlS10_E_NS1_11comp_targetILNS1_3genE2ELNS1_11target_archE906ELNS1_3gpuE6ELNS1_3repE0EEENS1_30default_config_static_selectorELNS0_4arch9wavefront6targetE1EEEvT1_,@function
_ZN7rocprim17ROCPRIM_400000_NS6detail17trampoline_kernelINS0_14default_configENS1_29reduce_by_key_config_selectorIN3c104HalfElN6thrust23THRUST_200600_302600_NS4plusIlEEEEZZNS1_33reduce_by_key_impl_wrapped_configILNS1_25lookback_scan_determinismE0ES3_SB_PS6_NS8_17constant_iteratorIiNS8_11use_defaultESG_EENS8_10device_ptrIS6_EENSI_IlEEPmSA_NS8_8equal_toIS6_EEEE10hipError_tPvRmT2_T3_mT4_T5_T6_T7_T8_P12ihipStream_tbENKUlT_T0_E_clISt17integral_constantIbLb1EES15_EEDaS10_S11_EUlS10_E_NS1_11comp_targetILNS1_3genE2ELNS1_11target_archE906ELNS1_3gpuE6ELNS1_3repE0EEENS1_30default_config_static_selectorELNS0_4arch9wavefront6targetE1EEEvT1_: ; @_ZN7rocprim17ROCPRIM_400000_NS6detail17trampoline_kernelINS0_14default_configENS1_29reduce_by_key_config_selectorIN3c104HalfElN6thrust23THRUST_200600_302600_NS4plusIlEEEEZZNS1_33reduce_by_key_impl_wrapped_configILNS1_25lookback_scan_determinismE0ES3_SB_PS6_NS8_17constant_iteratorIiNS8_11use_defaultESG_EENS8_10device_ptrIS6_EENSI_IlEEPmSA_NS8_8equal_toIS6_EEEE10hipError_tPvRmT2_T3_mT4_T5_T6_T7_T8_P12ihipStream_tbENKUlT_T0_E_clISt17integral_constantIbLb1EES15_EEDaS10_S11_EUlS10_E_NS1_11comp_targetILNS1_3genE2ELNS1_11target_archE906ELNS1_3gpuE6ELNS1_3repE0EEENS1_30default_config_static_selectorELNS0_4arch9wavefront6targetE1EEEvT1_
; %bb.0:
	s_endpgm
	.section	.rodata,"a",@progbits
	.p2align	6, 0x0
	.amdhsa_kernel _ZN7rocprim17ROCPRIM_400000_NS6detail17trampoline_kernelINS0_14default_configENS1_29reduce_by_key_config_selectorIN3c104HalfElN6thrust23THRUST_200600_302600_NS4plusIlEEEEZZNS1_33reduce_by_key_impl_wrapped_configILNS1_25lookback_scan_determinismE0ES3_SB_PS6_NS8_17constant_iteratorIiNS8_11use_defaultESG_EENS8_10device_ptrIS6_EENSI_IlEEPmSA_NS8_8equal_toIS6_EEEE10hipError_tPvRmT2_T3_mT4_T5_T6_T7_T8_P12ihipStream_tbENKUlT_T0_E_clISt17integral_constantIbLb1EES15_EEDaS10_S11_EUlS10_E_NS1_11comp_targetILNS1_3genE2ELNS1_11target_archE906ELNS1_3gpuE6ELNS1_3repE0EEENS1_30default_config_static_selectorELNS0_4arch9wavefront6targetE1EEEvT1_
		.amdhsa_group_segment_fixed_size 0
		.amdhsa_private_segment_fixed_size 0
		.amdhsa_kernarg_size 144
		.amdhsa_user_sgpr_count 6
		.amdhsa_user_sgpr_private_segment_buffer 1
		.amdhsa_user_sgpr_dispatch_ptr 0
		.amdhsa_user_sgpr_queue_ptr 0
		.amdhsa_user_sgpr_kernarg_segment_ptr 1
		.amdhsa_user_sgpr_dispatch_id 0
		.amdhsa_user_sgpr_flat_scratch_init 0
		.amdhsa_user_sgpr_private_segment_size 0
		.amdhsa_uses_dynamic_stack 0
		.amdhsa_system_sgpr_private_segment_wavefront_offset 0
		.amdhsa_system_sgpr_workgroup_id_x 1
		.amdhsa_system_sgpr_workgroup_id_y 0
		.amdhsa_system_sgpr_workgroup_id_z 0
		.amdhsa_system_sgpr_workgroup_info 0
		.amdhsa_system_vgpr_workitem_id 0
		.amdhsa_next_free_vgpr 1
		.amdhsa_next_free_sgpr 0
		.amdhsa_reserve_vcc 0
		.amdhsa_reserve_flat_scratch 0
		.amdhsa_float_round_mode_32 0
		.amdhsa_float_round_mode_16_64 0
		.amdhsa_float_denorm_mode_32 3
		.amdhsa_float_denorm_mode_16_64 3
		.amdhsa_dx10_clamp 1
		.amdhsa_ieee_mode 1
		.amdhsa_fp16_overflow 0
		.amdhsa_exception_fp_ieee_invalid_op 0
		.amdhsa_exception_fp_denorm_src 0
		.amdhsa_exception_fp_ieee_div_zero 0
		.amdhsa_exception_fp_ieee_overflow 0
		.amdhsa_exception_fp_ieee_underflow 0
		.amdhsa_exception_fp_ieee_inexact 0
		.amdhsa_exception_int_div_zero 0
	.end_amdhsa_kernel
	.section	.text._ZN7rocprim17ROCPRIM_400000_NS6detail17trampoline_kernelINS0_14default_configENS1_29reduce_by_key_config_selectorIN3c104HalfElN6thrust23THRUST_200600_302600_NS4plusIlEEEEZZNS1_33reduce_by_key_impl_wrapped_configILNS1_25lookback_scan_determinismE0ES3_SB_PS6_NS8_17constant_iteratorIiNS8_11use_defaultESG_EENS8_10device_ptrIS6_EENSI_IlEEPmSA_NS8_8equal_toIS6_EEEE10hipError_tPvRmT2_T3_mT4_T5_T6_T7_T8_P12ihipStream_tbENKUlT_T0_E_clISt17integral_constantIbLb1EES15_EEDaS10_S11_EUlS10_E_NS1_11comp_targetILNS1_3genE2ELNS1_11target_archE906ELNS1_3gpuE6ELNS1_3repE0EEENS1_30default_config_static_selectorELNS0_4arch9wavefront6targetE1EEEvT1_,"axG",@progbits,_ZN7rocprim17ROCPRIM_400000_NS6detail17trampoline_kernelINS0_14default_configENS1_29reduce_by_key_config_selectorIN3c104HalfElN6thrust23THRUST_200600_302600_NS4plusIlEEEEZZNS1_33reduce_by_key_impl_wrapped_configILNS1_25lookback_scan_determinismE0ES3_SB_PS6_NS8_17constant_iteratorIiNS8_11use_defaultESG_EENS8_10device_ptrIS6_EENSI_IlEEPmSA_NS8_8equal_toIS6_EEEE10hipError_tPvRmT2_T3_mT4_T5_T6_T7_T8_P12ihipStream_tbENKUlT_T0_E_clISt17integral_constantIbLb1EES15_EEDaS10_S11_EUlS10_E_NS1_11comp_targetILNS1_3genE2ELNS1_11target_archE906ELNS1_3gpuE6ELNS1_3repE0EEENS1_30default_config_static_selectorELNS0_4arch9wavefront6targetE1EEEvT1_,comdat
.Lfunc_end2211:
	.size	_ZN7rocprim17ROCPRIM_400000_NS6detail17trampoline_kernelINS0_14default_configENS1_29reduce_by_key_config_selectorIN3c104HalfElN6thrust23THRUST_200600_302600_NS4plusIlEEEEZZNS1_33reduce_by_key_impl_wrapped_configILNS1_25lookback_scan_determinismE0ES3_SB_PS6_NS8_17constant_iteratorIiNS8_11use_defaultESG_EENS8_10device_ptrIS6_EENSI_IlEEPmSA_NS8_8equal_toIS6_EEEE10hipError_tPvRmT2_T3_mT4_T5_T6_T7_T8_P12ihipStream_tbENKUlT_T0_E_clISt17integral_constantIbLb1EES15_EEDaS10_S11_EUlS10_E_NS1_11comp_targetILNS1_3genE2ELNS1_11target_archE906ELNS1_3gpuE6ELNS1_3repE0EEENS1_30default_config_static_selectorELNS0_4arch9wavefront6targetE1EEEvT1_, .Lfunc_end2211-_ZN7rocprim17ROCPRIM_400000_NS6detail17trampoline_kernelINS0_14default_configENS1_29reduce_by_key_config_selectorIN3c104HalfElN6thrust23THRUST_200600_302600_NS4plusIlEEEEZZNS1_33reduce_by_key_impl_wrapped_configILNS1_25lookback_scan_determinismE0ES3_SB_PS6_NS8_17constant_iteratorIiNS8_11use_defaultESG_EENS8_10device_ptrIS6_EENSI_IlEEPmSA_NS8_8equal_toIS6_EEEE10hipError_tPvRmT2_T3_mT4_T5_T6_T7_T8_P12ihipStream_tbENKUlT_T0_E_clISt17integral_constantIbLb1EES15_EEDaS10_S11_EUlS10_E_NS1_11comp_targetILNS1_3genE2ELNS1_11target_archE906ELNS1_3gpuE6ELNS1_3repE0EEENS1_30default_config_static_selectorELNS0_4arch9wavefront6targetE1EEEvT1_
                                        ; -- End function
	.set _ZN7rocprim17ROCPRIM_400000_NS6detail17trampoline_kernelINS0_14default_configENS1_29reduce_by_key_config_selectorIN3c104HalfElN6thrust23THRUST_200600_302600_NS4plusIlEEEEZZNS1_33reduce_by_key_impl_wrapped_configILNS1_25lookback_scan_determinismE0ES3_SB_PS6_NS8_17constant_iteratorIiNS8_11use_defaultESG_EENS8_10device_ptrIS6_EENSI_IlEEPmSA_NS8_8equal_toIS6_EEEE10hipError_tPvRmT2_T3_mT4_T5_T6_T7_T8_P12ihipStream_tbENKUlT_T0_E_clISt17integral_constantIbLb1EES15_EEDaS10_S11_EUlS10_E_NS1_11comp_targetILNS1_3genE2ELNS1_11target_archE906ELNS1_3gpuE6ELNS1_3repE0EEENS1_30default_config_static_selectorELNS0_4arch9wavefront6targetE1EEEvT1_.num_vgpr, 0
	.set _ZN7rocprim17ROCPRIM_400000_NS6detail17trampoline_kernelINS0_14default_configENS1_29reduce_by_key_config_selectorIN3c104HalfElN6thrust23THRUST_200600_302600_NS4plusIlEEEEZZNS1_33reduce_by_key_impl_wrapped_configILNS1_25lookback_scan_determinismE0ES3_SB_PS6_NS8_17constant_iteratorIiNS8_11use_defaultESG_EENS8_10device_ptrIS6_EENSI_IlEEPmSA_NS8_8equal_toIS6_EEEE10hipError_tPvRmT2_T3_mT4_T5_T6_T7_T8_P12ihipStream_tbENKUlT_T0_E_clISt17integral_constantIbLb1EES15_EEDaS10_S11_EUlS10_E_NS1_11comp_targetILNS1_3genE2ELNS1_11target_archE906ELNS1_3gpuE6ELNS1_3repE0EEENS1_30default_config_static_selectorELNS0_4arch9wavefront6targetE1EEEvT1_.num_agpr, 0
	.set _ZN7rocprim17ROCPRIM_400000_NS6detail17trampoline_kernelINS0_14default_configENS1_29reduce_by_key_config_selectorIN3c104HalfElN6thrust23THRUST_200600_302600_NS4plusIlEEEEZZNS1_33reduce_by_key_impl_wrapped_configILNS1_25lookback_scan_determinismE0ES3_SB_PS6_NS8_17constant_iteratorIiNS8_11use_defaultESG_EENS8_10device_ptrIS6_EENSI_IlEEPmSA_NS8_8equal_toIS6_EEEE10hipError_tPvRmT2_T3_mT4_T5_T6_T7_T8_P12ihipStream_tbENKUlT_T0_E_clISt17integral_constantIbLb1EES15_EEDaS10_S11_EUlS10_E_NS1_11comp_targetILNS1_3genE2ELNS1_11target_archE906ELNS1_3gpuE6ELNS1_3repE0EEENS1_30default_config_static_selectorELNS0_4arch9wavefront6targetE1EEEvT1_.numbered_sgpr, 0
	.set _ZN7rocprim17ROCPRIM_400000_NS6detail17trampoline_kernelINS0_14default_configENS1_29reduce_by_key_config_selectorIN3c104HalfElN6thrust23THRUST_200600_302600_NS4plusIlEEEEZZNS1_33reduce_by_key_impl_wrapped_configILNS1_25lookback_scan_determinismE0ES3_SB_PS6_NS8_17constant_iteratorIiNS8_11use_defaultESG_EENS8_10device_ptrIS6_EENSI_IlEEPmSA_NS8_8equal_toIS6_EEEE10hipError_tPvRmT2_T3_mT4_T5_T6_T7_T8_P12ihipStream_tbENKUlT_T0_E_clISt17integral_constantIbLb1EES15_EEDaS10_S11_EUlS10_E_NS1_11comp_targetILNS1_3genE2ELNS1_11target_archE906ELNS1_3gpuE6ELNS1_3repE0EEENS1_30default_config_static_selectorELNS0_4arch9wavefront6targetE1EEEvT1_.num_named_barrier, 0
	.set _ZN7rocprim17ROCPRIM_400000_NS6detail17trampoline_kernelINS0_14default_configENS1_29reduce_by_key_config_selectorIN3c104HalfElN6thrust23THRUST_200600_302600_NS4plusIlEEEEZZNS1_33reduce_by_key_impl_wrapped_configILNS1_25lookback_scan_determinismE0ES3_SB_PS6_NS8_17constant_iteratorIiNS8_11use_defaultESG_EENS8_10device_ptrIS6_EENSI_IlEEPmSA_NS8_8equal_toIS6_EEEE10hipError_tPvRmT2_T3_mT4_T5_T6_T7_T8_P12ihipStream_tbENKUlT_T0_E_clISt17integral_constantIbLb1EES15_EEDaS10_S11_EUlS10_E_NS1_11comp_targetILNS1_3genE2ELNS1_11target_archE906ELNS1_3gpuE6ELNS1_3repE0EEENS1_30default_config_static_selectorELNS0_4arch9wavefront6targetE1EEEvT1_.private_seg_size, 0
	.set _ZN7rocprim17ROCPRIM_400000_NS6detail17trampoline_kernelINS0_14default_configENS1_29reduce_by_key_config_selectorIN3c104HalfElN6thrust23THRUST_200600_302600_NS4plusIlEEEEZZNS1_33reduce_by_key_impl_wrapped_configILNS1_25lookback_scan_determinismE0ES3_SB_PS6_NS8_17constant_iteratorIiNS8_11use_defaultESG_EENS8_10device_ptrIS6_EENSI_IlEEPmSA_NS8_8equal_toIS6_EEEE10hipError_tPvRmT2_T3_mT4_T5_T6_T7_T8_P12ihipStream_tbENKUlT_T0_E_clISt17integral_constantIbLb1EES15_EEDaS10_S11_EUlS10_E_NS1_11comp_targetILNS1_3genE2ELNS1_11target_archE906ELNS1_3gpuE6ELNS1_3repE0EEENS1_30default_config_static_selectorELNS0_4arch9wavefront6targetE1EEEvT1_.uses_vcc, 0
	.set _ZN7rocprim17ROCPRIM_400000_NS6detail17trampoline_kernelINS0_14default_configENS1_29reduce_by_key_config_selectorIN3c104HalfElN6thrust23THRUST_200600_302600_NS4plusIlEEEEZZNS1_33reduce_by_key_impl_wrapped_configILNS1_25lookback_scan_determinismE0ES3_SB_PS6_NS8_17constant_iteratorIiNS8_11use_defaultESG_EENS8_10device_ptrIS6_EENSI_IlEEPmSA_NS8_8equal_toIS6_EEEE10hipError_tPvRmT2_T3_mT4_T5_T6_T7_T8_P12ihipStream_tbENKUlT_T0_E_clISt17integral_constantIbLb1EES15_EEDaS10_S11_EUlS10_E_NS1_11comp_targetILNS1_3genE2ELNS1_11target_archE906ELNS1_3gpuE6ELNS1_3repE0EEENS1_30default_config_static_selectorELNS0_4arch9wavefront6targetE1EEEvT1_.uses_flat_scratch, 0
	.set _ZN7rocprim17ROCPRIM_400000_NS6detail17trampoline_kernelINS0_14default_configENS1_29reduce_by_key_config_selectorIN3c104HalfElN6thrust23THRUST_200600_302600_NS4plusIlEEEEZZNS1_33reduce_by_key_impl_wrapped_configILNS1_25lookback_scan_determinismE0ES3_SB_PS6_NS8_17constant_iteratorIiNS8_11use_defaultESG_EENS8_10device_ptrIS6_EENSI_IlEEPmSA_NS8_8equal_toIS6_EEEE10hipError_tPvRmT2_T3_mT4_T5_T6_T7_T8_P12ihipStream_tbENKUlT_T0_E_clISt17integral_constantIbLb1EES15_EEDaS10_S11_EUlS10_E_NS1_11comp_targetILNS1_3genE2ELNS1_11target_archE906ELNS1_3gpuE6ELNS1_3repE0EEENS1_30default_config_static_selectorELNS0_4arch9wavefront6targetE1EEEvT1_.has_dyn_sized_stack, 0
	.set _ZN7rocprim17ROCPRIM_400000_NS6detail17trampoline_kernelINS0_14default_configENS1_29reduce_by_key_config_selectorIN3c104HalfElN6thrust23THRUST_200600_302600_NS4plusIlEEEEZZNS1_33reduce_by_key_impl_wrapped_configILNS1_25lookback_scan_determinismE0ES3_SB_PS6_NS8_17constant_iteratorIiNS8_11use_defaultESG_EENS8_10device_ptrIS6_EENSI_IlEEPmSA_NS8_8equal_toIS6_EEEE10hipError_tPvRmT2_T3_mT4_T5_T6_T7_T8_P12ihipStream_tbENKUlT_T0_E_clISt17integral_constantIbLb1EES15_EEDaS10_S11_EUlS10_E_NS1_11comp_targetILNS1_3genE2ELNS1_11target_archE906ELNS1_3gpuE6ELNS1_3repE0EEENS1_30default_config_static_selectorELNS0_4arch9wavefront6targetE1EEEvT1_.has_recursion, 0
	.set _ZN7rocprim17ROCPRIM_400000_NS6detail17trampoline_kernelINS0_14default_configENS1_29reduce_by_key_config_selectorIN3c104HalfElN6thrust23THRUST_200600_302600_NS4plusIlEEEEZZNS1_33reduce_by_key_impl_wrapped_configILNS1_25lookback_scan_determinismE0ES3_SB_PS6_NS8_17constant_iteratorIiNS8_11use_defaultESG_EENS8_10device_ptrIS6_EENSI_IlEEPmSA_NS8_8equal_toIS6_EEEE10hipError_tPvRmT2_T3_mT4_T5_T6_T7_T8_P12ihipStream_tbENKUlT_T0_E_clISt17integral_constantIbLb1EES15_EEDaS10_S11_EUlS10_E_NS1_11comp_targetILNS1_3genE2ELNS1_11target_archE906ELNS1_3gpuE6ELNS1_3repE0EEENS1_30default_config_static_selectorELNS0_4arch9wavefront6targetE1EEEvT1_.has_indirect_call, 0
	.section	.AMDGPU.csdata,"",@progbits
; Kernel info:
; codeLenInByte = 4
; TotalNumSgprs: 4
; NumVgprs: 0
; ScratchSize: 0
; MemoryBound: 0
; FloatMode: 240
; IeeeMode: 1
; LDSByteSize: 0 bytes/workgroup (compile time only)
; SGPRBlocks: 0
; VGPRBlocks: 0
; NumSGPRsForWavesPerEU: 4
; NumVGPRsForWavesPerEU: 1
; Occupancy: 10
; WaveLimiterHint : 0
; COMPUTE_PGM_RSRC2:SCRATCH_EN: 0
; COMPUTE_PGM_RSRC2:USER_SGPR: 6
; COMPUTE_PGM_RSRC2:TRAP_HANDLER: 0
; COMPUTE_PGM_RSRC2:TGID_X_EN: 1
; COMPUTE_PGM_RSRC2:TGID_Y_EN: 0
; COMPUTE_PGM_RSRC2:TGID_Z_EN: 0
; COMPUTE_PGM_RSRC2:TIDIG_COMP_CNT: 0
	.section	.text._ZN7rocprim17ROCPRIM_400000_NS6detail17trampoline_kernelINS0_14default_configENS1_29reduce_by_key_config_selectorIN3c104HalfElN6thrust23THRUST_200600_302600_NS4plusIlEEEEZZNS1_33reduce_by_key_impl_wrapped_configILNS1_25lookback_scan_determinismE0ES3_SB_PS6_NS8_17constant_iteratorIiNS8_11use_defaultESG_EENS8_10device_ptrIS6_EENSI_IlEEPmSA_NS8_8equal_toIS6_EEEE10hipError_tPvRmT2_T3_mT4_T5_T6_T7_T8_P12ihipStream_tbENKUlT_T0_E_clISt17integral_constantIbLb1EES15_EEDaS10_S11_EUlS10_E_NS1_11comp_targetILNS1_3genE10ELNS1_11target_archE1201ELNS1_3gpuE5ELNS1_3repE0EEENS1_30default_config_static_selectorELNS0_4arch9wavefront6targetE1EEEvT1_,"axG",@progbits,_ZN7rocprim17ROCPRIM_400000_NS6detail17trampoline_kernelINS0_14default_configENS1_29reduce_by_key_config_selectorIN3c104HalfElN6thrust23THRUST_200600_302600_NS4plusIlEEEEZZNS1_33reduce_by_key_impl_wrapped_configILNS1_25lookback_scan_determinismE0ES3_SB_PS6_NS8_17constant_iteratorIiNS8_11use_defaultESG_EENS8_10device_ptrIS6_EENSI_IlEEPmSA_NS8_8equal_toIS6_EEEE10hipError_tPvRmT2_T3_mT4_T5_T6_T7_T8_P12ihipStream_tbENKUlT_T0_E_clISt17integral_constantIbLb1EES15_EEDaS10_S11_EUlS10_E_NS1_11comp_targetILNS1_3genE10ELNS1_11target_archE1201ELNS1_3gpuE5ELNS1_3repE0EEENS1_30default_config_static_selectorELNS0_4arch9wavefront6targetE1EEEvT1_,comdat
	.protected	_ZN7rocprim17ROCPRIM_400000_NS6detail17trampoline_kernelINS0_14default_configENS1_29reduce_by_key_config_selectorIN3c104HalfElN6thrust23THRUST_200600_302600_NS4plusIlEEEEZZNS1_33reduce_by_key_impl_wrapped_configILNS1_25lookback_scan_determinismE0ES3_SB_PS6_NS8_17constant_iteratorIiNS8_11use_defaultESG_EENS8_10device_ptrIS6_EENSI_IlEEPmSA_NS8_8equal_toIS6_EEEE10hipError_tPvRmT2_T3_mT4_T5_T6_T7_T8_P12ihipStream_tbENKUlT_T0_E_clISt17integral_constantIbLb1EES15_EEDaS10_S11_EUlS10_E_NS1_11comp_targetILNS1_3genE10ELNS1_11target_archE1201ELNS1_3gpuE5ELNS1_3repE0EEENS1_30default_config_static_selectorELNS0_4arch9wavefront6targetE1EEEvT1_ ; -- Begin function _ZN7rocprim17ROCPRIM_400000_NS6detail17trampoline_kernelINS0_14default_configENS1_29reduce_by_key_config_selectorIN3c104HalfElN6thrust23THRUST_200600_302600_NS4plusIlEEEEZZNS1_33reduce_by_key_impl_wrapped_configILNS1_25lookback_scan_determinismE0ES3_SB_PS6_NS8_17constant_iteratorIiNS8_11use_defaultESG_EENS8_10device_ptrIS6_EENSI_IlEEPmSA_NS8_8equal_toIS6_EEEE10hipError_tPvRmT2_T3_mT4_T5_T6_T7_T8_P12ihipStream_tbENKUlT_T0_E_clISt17integral_constantIbLb1EES15_EEDaS10_S11_EUlS10_E_NS1_11comp_targetILNS1_3genE10ELNS1_11target_archE1201ELNS1_3gpuE5ELNS1_3repE0EEENS1_30default_config_static_selectorELNS0_4arch9wavefront6targetE1EEEvT1_
	.globl	_ZN7rocprim17ROCPRIM_400000_NS6detail17trampoline_kernelINS0_14default_configENS1_29reduce_by_key_config_selectorIN3c104HalfElN6thrust23THRUST_200600_302600_NS4plusIlEEEEZZNS1_33reduce_by_key_impl_wrapped_configILNS1_25lookback_scan_determinismE0ES3_SB_PS6_NS8_17constant_iteratorIiNS8_11use_defaultESG_EENS8_10device_ptrIS6_EENSI_IlEEPmSA_NS8_8equal_toIS6_EEEE10hipError_tPvRmT2_T3_mT4_T5_T6_T7_T8_P12ihipStream_tbENKUlT_T0_E_clISt17integral_constantIbLb1EES15_EEDaS10_S11_EUlS10_E_NS1_11comp_targetILNS1_3genE10ELNS1_11target_archE1201ELNS1_3gpuE5ELNS1_3repE0EEENS1_30default_config_static_selectorELNS0_4arch9wavefront6targetE1EEEvT1_
	.p2align	8
	.type	_ZN7rocprim17ROCPRIM_400000_NS6detail17trampoline_kernelINS0_14default_configENS1_29reduce_by_key_config_selectorIN3c104HalfElN6thrust23THRUST_200600_302600_NS4plusIlEEEEZZNS1_33reduce_by_key_impl_wrapped_configILNS1_25lookback_scan_determinismE0ES3_SB_PS6_NS8_17constant_iteratorIiNS8_11use_defaultESG_EENS8_10device_ptrIS6_EENSI_IlEEPmSA_NS8_8equal_toIS6_EEEE10hipError_tPvRmT2_T3_mT4_T5_T6_T7_T8_P12ihipStream_tbENKUlT_T0_E_clISt17integral_constantIbLb1EES15_EEDaS10_S11_EUlS10_E_NS1_11comp_targetILNS1_3genE10ELNS1_11target_archE1201ELNS1_3gpuE5ELNS1_3repE0EEENS1_30default_config_static_selectorELNS0_4arch9wavefront6targetE1EEEvT1_,@function
_ZN7rocprim17ROCPRIM_400000_NS6detail17trampoline_kernelINS0_14default_configENS1_29reduce_by_key_config_selectorIN3c104HalfElN6thrust23THRUST_200600_302600_NS4plusIlEEEEZZNS1_33reduce_by_key_impl_wrapped_configILNS1_25lookback_scan_determinismE0ES3_SB_PS6_NS8_17constant_iteratorIiNS8_11use_defaultESG_EENS8_10device_ptrIS6_EENSI_IlEEPmSA_NS8_8equal_toIS6_EEEE10hipError_tPvRmT2_T3_mT4_T5_T6_T7_T8_P12ihipStream_tbENKUlT_T0_E_clISt17integral_constantIbLb1EES15_EEDaS10_S11_EUlS10_E_NS1_11comp_targetILNS1_3genE10ELNS1_11target_archE1201ELNS1_3gpuE5ELNS1_3repE0EEENS1_30default_config_static_selectorELNS0_4arch9wavefront6targetE1EEEvT1_: ; @_ZN7rocprim17ROCPRIM_400000_NS6detail17trampoline_kernelINS0_14default_configENS1_29reduce_by_key_config_selectorIN3c104HalfElN6thrust23THRUST_200600_302600_NS4plusIlEEEEZZNS1_33reduce_by_key_impl_wrapped_configILNS1_25lookback_scan_determinismE0ES3_SB_PS6_NS8_17constant_iteratorIiNS8_11use_defaultESG_EENS8_10device_ptrIS6_EENSI_IlEEPmSA_NS8_8equal_toIS6_EEEE10hipError_tPvRmT2_T3_mT4_T5_T6_T7_T8_P12ihipStream_tbENKUlT_T0_E_clISt17integral_constantIbLb1EES15_EEDaS10_S11_EUlS10_E_NS1_11comp_targetILNS1_3genE10ELNS1_11target_archE1201ELNS1_3gpuE5ELNS1_3repE0EEENS1_30default_config_static_selectorELNS0_4arch9wavefront6targetE1EEEvT1_
; %bb.0:
	.section	.rodata,"a",@progbits
	.p2align	6, 0x0
	.amdhsa_kernel _ZN7rocprim17ROCPRIM_400000_NS6detail17trampoline_kernelINS0_14default_configENS1_29reduce_by_key_config_selectorIN3c104HalfElN6thrust23THRUST_200600_302600_NS4plusIlEEEEZZNS1_33reduce_by_key_impl_wrapped_configILNS1_25lookback_scan_determinismE0ES3_SB_PS6_NS8_17constant_iteratorIiNS8_11use_defaultESG_EENS8_10device_ptrIS6_EENSI_IlEEPmSA_NS8_8equal_toIS6_EEEE10hipError_tPvRmT2_T3_mT4_T5_T6_T7_T8_P12ihipStream_tbENKUlT_T0_E_clISt17integral_constantIbLb1EES15_EEDaS10_S11_EUlS10_E_NS1_11comp_targetILNS1_3genE10ELNS1_11target_archE1201ELNS1_3gpuE5ELNS1_3repE0EEENS1_30default_config_static_selectorELNS0_4arch9wavefront6targetE1EEEvT1_
		.amdhsa_group_segment_fixed_size 0
		.amdhsa_private_segment_fixed_size 0
		.amdhsa_kernarg_size 144
		.amdhsa_user_sgpr_count 6
		.amdhsa_user_sgpr_private_segment_buffer 1
		.amdhsa_user_sgpr_dispatch_ptr 0
		.amdhsa_user_sgpr_queue_ptr 0
		.amdhsa_user_sgpr_kernarg_segment_ptr 1
		.amdhsa_user_sgpr_dispatch_id 0
		.amdhsa_user_sgpr_flat_scratch_init 0
		.amdhsa_user_sgpr_private_segment_size 0
		.amdhsa_uses_dynamic_stack 0
		.amdhsa_system_sgpr_private_segment_wavefront_offset 0
		.amdhsa_system_sgpr_workgroup_id_x 1
		.amdhsa_system_sgpr_workgroup_id_y 0
		.amdhsa_system_sgpr_workgroup_id_z 0
		.amdhsa_system_sgpr_workgroup_info 0
		.amdhsa_system_vgpr_workitem_id 0
		.amdhsa_next_free_vgpr 1
		.amdhsa_next_free_sgpr 0
		.amdhsa_reserve_vcc 0
		.amdhsa_reserve_flat_scratch 0
		.amdhsa_float_round_mode_32 0
		.amdhsa_float_round_mode_16_64 0
		.amdhsa_float_denorm_mode_32 3
		.amdhsa_float_denorm_mode_16_64 3
		.amdhsa_dx10_clamp 1
		.amdhsa_ieee_mode 1
		.amdhsa_fp16_overflow 0
		.amdhsa_exception_fp_ieee_invalid_op 0
		.amdhsa_exception_fp_denorm_src 0
		.amdhsa_exception_fp_ieee_div_zero 0
		.amdhsa_exception_fp_ieee_overflow 0
		.amdhsa_exception_fp_ieee_underflow 0
		.amdhsa_exception_fp_ieee_inexact 0
		.amdhsa_exception_int_div_zero 0
	.end_amdhsa_kernel
	.section	.text._ZN7rocprim17ROCPRIM_400000_NS6detail17trampoline_kernelINS0_14default_configENS1_29reduce_by_key_config_selectorIN3c104HalfElN6thrust23THRUST_200600_302600_NS4plusIlEEEEZZNS1_33reduce_by_key_impl_wrapped_configILNS1_25lookback_scan_determinismE0ES3_SB_PS6_NS8_17constant_iteratorIiNS8_11use_defaultESG_EENS8_10device_ptrIS6_EENSI_IlEEPmSA_NS8_8equal_toIS6_EEEE10hipError_tPvRmT2_T3_mT4_T5_T6_T7_T8_P12ihipStream_tbENKUlT_T0_E_clISt17integral_constantIbLb1EES15_EEDaS10_S11_EUlS10_E_NS1_11comp_targetILNS1_3genE10ELNS1_11target_archE1201ELNS1_3gpuE5ELNS1_3repE0EEENS1_30default_config_static_selectorELNS0_4arch9wavefront6targetE1EEEvT1_,"axG",@progbits,_ZN7rocprim17ROCPRIM_400000_NS6detail17trampoline_kernelINS0_14default_configENS1_29reduce_by_key_config_selectorIN3c104HalfElN6thrust23THRUST_200600_302600_NS4plusIlEEEEZZNS1_33reduce_by_key_impl_wrapped_configILNS1_25lookback_scan_determinismE0ES3_SB_PS6_NS8_17constant_iteratorIiNS8_11use_defaultESG_EENS8_10device_ptrIS6_EENSI_IlEEPmSA_NS8_8equal_toIS6_EEEE10hipError_tPvRmT2_T3_mT4_T5_T6_T7_T8_P12ihipStream_tbENKUlT_T0_E_clISt17integral_constantIbLb1EES15_EEDaS10_S11_EUlS10_E_NS1_11comp_targetILNS1_3genE10ELNS1_11target_archE1201ELNS1_3gpuE5ELNS1_3repE0EEENS1_30default_config_static_selectorELNS0_4arch9wavefront6targetE1EEEvT1_,comdat
.Lfunc_end2212:
	.size	_ZN7rocprim17ROCPRIM_400000_NS6detail17trampoline_kernelINS0_14default_configENS1_29reduce_by_key_config_selectorIN3c104HalfElN6thrust23THRUST_200600_302600_NS4plusIlEEEEZZNS1_33reduce_by_key_impl_wrapped_configILNS1_25lookback_scan_determinismE0ES3_SB_PS6_NS8_17constant_iteratorIiNS8_11use_defaultESG_EENS8_10device_ptrIS6_EENSI_IlEEPmSA_NS8_8equal_toIS6_EEEE10hipError_tPvRmT2_T3_mT4_T5_T6_T7_T8_P12ihipStream_tbENKUlT_T0_E_clISt17integral_constantIbLb1EES15_EEDaS10_S11_EUlS10_E_NS1_11comp_targetILNS1_3genE10ELNS1_11target_archE1201ELNS1_3gpuE5ELNS1_3repE0EEENS1_30default_config_static_selectorELNS0_4arch9wavefront6targetE1EEEvT1_, .Lfunc_end2212-_ZN7rocprim17ROCPRIM_400000_NS6detail17trampoline_kernelINS0_14default_configENS1_29reduce_by_key_config_selectorIN3c104HalfElN6thrust23THRUST_200600_302600_NS4plusIlEEEEZZNS1_33reduce_by_key_impl_wrapped_configILNS1_25lookback_scan_determinismE0ES3_SB_PS6_NS8_17constant_iteratorIiNS8_11use_defaultESG_EENS8_10device_ptrIS6_EENSI_IlEEPmSA_NS8_8equal_toIS6_EEEE10hipError_tPvRmT2_T3_mT4_T5_T6_T7_T8_P12ihipStream_tbENKUlT_T0_E_clISt17integral_constantIbLb1EES15_EEDaS10_S11_EUlS10_E_NS1_11comp_targetILNS1_3genE10ELNS1_11target_archE1201ELNS1_3gpuE5ELNS1_3repE0EEENS1_30default_config_static_selectorELNS0_4arch9wavefront6targetE1EEEvT1_
                                        ; -- End function
	.set _ZN7rocprim17ROCPRIM_400000_NS6detail17trampoline_kernelINS0_14default_configENS1_29reduce_by_key_config_selectorIN3c104HalfElN6thrust23THRUST_200600_302600_NS4plusIlEEEEZZNS1_33reduce_by_key_impl_wrapped_configILNS1_25lookback_scan_determinismE0ES3_SB_PS6_NS8_17constant_iteratorIiNS8_11use_defaultESG_EENS8_10device_ptrIS6_EENSI_IlEEPmSA_NS8_8equal_toIS6_EEEE10hipError_tPvRmT2_T3_mT4_T5_T6_T7_T8_P12ihipStream_tbENKUlT_T0_E_clISt17integral_constantIbLb1EES15_EEDaS10_S11_EUlS10_E_NS1_11comp_targetILNS1_3genE10ELNS1_11target_archE1201ELNS1_3gpuE5ELNS1_3repE0EEENS1_30default_config_static_selectorELNS0_4arch9wavefront6targetE1EEEvT1_.num_vgpr, 0
	.set _ZN7rocprim17ROCPRIM_400000_NS6detail17trampoline_kernelINS0_14default_configENS1_29reduce_by_key_config_selectorIN3c104HalfElN6thrust23THRUST_200600_302600_NS4plusIlEEEEZZNS1_33reduce_by_key_impl_wrapped_configILNS1_25lookback_scan_determinismE0ES3_SB_PS6_NS8_17constant_iteratorIiNS8_11use_defaultESG_EENS8_10device_ptrIS6_EENSI_IlEEPmSA_NS8_8equal_toIS6_EEEE10hipError_tPvRmT2_T3_mT4_T5_T6_T7_T8_P12ihipStream_tbENKUlT_T0_E_clISt17integral_constantIbLb1EES15_EEDaS10_S11_EUlS10_E_NS1_11comp_targetILNS1_3genE10ELNS1_11target_archE1201ELNS1_3gpuE5ELNS1_3repE0EEENS1_30default_config_static_selectorELNS0_4arch9wavefront6targetE1EEEvT1_.num_agpr, 0
	.set _ZN7rocprim17ROCPRIM_400000_NS6detail17trampoline_kernelINS0_14default_configENS1_29reduce_by_key_config_selectorIN3c104HalfElN6thrust23THRUST_200600_302600_NS4plusIlEEEEZZNS1_33reduce_by_key_impl_wrapped_configILNS1_25lookback_scan_determinismE0ES3_SB_PS6_NS8_17constant_iteratorIiNS8_11use_defaultESG_EENS8_10device_ptrIS6_EENSI_IlEEPmSA_NS8_8equal_toIS6_EEEE10hipError_tPvRmT2_T3_mT4_T5_T6_T7_T8_P12ihipStream_tbENKUlT_T0_E_clISt17integral_constantIbLb1EES15_EEDaS10_S11_EUlS10_E_NS1_11comp_targetILNS1_3genE10ELNS1_11target_archE1201ELNS1_3gpuE5ELNS1_3repE0EEENS1_30default_config_static_selectorELNS0_4arch9wavefront6targetE1EEEvT1_.numbered_sgpr, 0
	.set _ZN7rocprim17ROCPRIM_400000_NS6detail17trampoline_kernelINS0_14default_configENS1_29reduce_by_key_config_selectorIN3c104HalfElN6thrust23THRUST_200600_302600_NS4plusIlEEEEZZNS1_33reduce_by_key_impl_wrapped_configILNS1_25lookback_scan_determinismE0ES3_SB_PS6_NS8_17constant_iteratorIiNS8_11use_defaultESG_EENS8_10device_ptrIS6_EENSI_IlEEPmSA_NS8_8equal_toIS6_EEEE10hipError_tPvRmT2_T3_mT4_T5_T6_T7_T8_P12ihipStream_tbENKUlT_T0_E_clISt17integral_constantIbLb1EES15_EEDaS10_S11_EUlS10_E_NS1_11comp_targetILNS1_3genE10ELNS1_11target_archE1201ELNS1_3gpuE5ELNS1_3repE0EEENS1_30default_config_static_selectorELNS0_4arch9wavefront6targetE1EEEvT1_.num_named_barrier, 0
	.set _ZN7rocprim17ROCPRIM_400000_NS6detail17trampoline_kernelINS0_14default_configENS1_29reduce_by_key_config_selectorIN3c104HalfElN6thrust23THRUST_200600_302600_NS4plusIlEEEEZZNS1_33reduce_by_key_impl_wrapped_configILNS1_25lookback_scan_determinismE0ES3_SB_PS6_NS8_17constant_iteratorIiNS8_11use_defaultESG_EENS8_10device_ptrIS6_EENSI_IlEEPmSA_NS8_8equal_toIS6_EEEE10hipError_tPvRmT2_T3_mT4_T5_T6_T7_T8_P12ihipStream_tbENKUlT_T0_E_clISt17integral_constantIbLb1EES15_EEDaS10_S11_EUlS10_E_NS1_11comp_targetILNS1_3genE10ELNS1_11target_archE1201ELNS1_3gpuE5ELNS1_3repE0EEENS1_30default_config_static_selectorELNS0_4arch9wavefront6targetE1EEEvT1_.private_seg_size, 0
	.set _ZN7rocprim17ROCPRIM_400000_NS6detail17trampoline_kernelINS0_14default_configENS1_29reduce_by_key_config_selectorIN3c104HalfElN6thrust23THRUST_200600_302600_NS4plusIlEEEEZZNS1_33reduce_by_key_impl_wrapped_configILNS1_25lookback_scan_determinismE0ES3_SB_PS6_NS8_17constant_iteratorIiNS8_11use_defaultESG_EENS8_10device_ptrIS6_EENSI_IlEEPmSA_NS8_8equal_toIS6_EEEE10hipError_tPvRmT2_T3_mT4_T5_T6_T7_T8_P12ihipStream_tbENKUlT_T0_E_clISt17integral_constantIbLb1EES15_EEDaS10_S11_EUlS10_E_NS1_11comp_targetILNS1_3genE10ELNS1_11target_archE1201ELNS1_3gpuE5ELNS1_3repE0EEENS1_30default_config_static_selectorELNS0_4arch9wavefront6targetE1EEEvT1_.uses_vcc, 0
	.set _ZN7rocprim17ROCPRIM_400000_NS6detail17trampoline_kernelINS0_14default_configENS1_29reduce_by_key_config_selectorIN3c104HalfElN6thrust23THRUST_200600_302600_NS4plusIlEEEEZZNS1_33reduce_by_key_impl_wrapped_configILNS1_25lookback_scan_determinismE0ES3_SB_PS6_NS8_17constant_iteratorIiNS8_11use_defaultESG_EENS8_10device_ptrIS6_EENSI_IlEEPmSA_NS8_8equal_toIS6_EEEE10hipError_tPvRmT2_T3_mT4_T5_T6_T7_T8_P12ihipStream_tbENKUlT_T0_E_clISt17integral_constantIbLb1EES15_EEDaS10_S11_EUlS10_E_NS1_11comp_targetILNS1_3genE10ELNS1_11target_archE1201ELNS1_3gpuE5ELNS1_3repE0EEENS1_30default_config_static_selectorELNS0_4arch9wavefront6targetE1EEEvT1_.uses_flat_scratch, 0
	.set _ZN7rocprim17ROCPRIM_400000_NS6detail17trampoline_kernelINS0_14default_configENS1_29reduce_by_key_config_selectorIN3c104HalfElN6thrust23THRUST_200600_302600_NS4plusIlEEEEZZNS1_33reduce_by_key_impl_wrapped_configILNS1_25lookback_scan_determinismE0ES3_SB_PS6_NS8_17constant_iteratorIiNS8_11use_defaultESG_EENS8_10device_ptrIS6_EENSI_IlEEPmSA_NS8_8equal_toIS6_EEEE10hipError_tPvRmT2_T3_mT4_T5_T6_T7_T8_P12ihipStream_tbENKUlT_T0_E_clISt17integral_constantIbLb1EES15_EEDaS10_S11_EUlS10_E_NS1_11comp_targetILNS1_3genE10ELNS1_11target_archE1201ELNS1_3gpuE5ELNS1_3repE0EEENS1_30default_config_static_selectorELNS0_4arch9wavefront6targetE1EEEvT1_.has_dyn_sized_stack, 0
	.set _ZN7rocprim17ROCPRIM_400000_NS6detail17trampoline_kernelINS0_14default_configENS1_29reduce_by_key_config_selectorIN3c104HalfElN6thrust23THRUST_200600_302600_NS4plusIlEEEEZZNS1_33reduce_by_key_impl_wrapped_configILNS1_25lookback_scan_determinismE0ES3_SB_PS6_NS8_17constant_iteratorIiNS8_11use_defaultESG_EENS8_10device_ptrIS6_EENSI_IlEEPmSA_NS8_8equal_toIS6_EEEE10hipError_tPvRmT2_T3_mT4_T5_T6_T7_T8_P12ihipStream_tbENKUlT_T0_E_clISt17integral_constantIbLb1EES15_EEDaS10_S11_EUlS10_E_NS1_11comp_targetILNS1_3genE10ELNS1_11target_archE1201ELNS1_3gpuE5ELNS1_3repE0EEENS1_30default_config_static_selectorELNS0_4arch9wavefront6targetE1EEEvT1_.has_recursion, 0
	.set _ZN7rocprim17ROCPRIM_400000_NS6detail17trampoline_kernelINS0_14default_configENS1_29reduce_by_key_config_selectorIN3c104HalfElN6thrust23THRUST_200600_302600_NS4plusIlEEEEZZNS1_33reduce_by_key_impl_wrapped_configILNS1_25lookback_scan_determinismE0ES3_SB_PS6_NS8_17constant_iteratorIiNS8_11use_defaultESG_EENS8_10device_ptrIS6_EENSI_IlEEPmSA_NS8_8equal_toIS6_EEEE10hipError_tPvRmT2_T3_mT4_T5_T6_T7_T8_P12ihipStream_tbENKUlT_T0_E_clISt17integral_constantIbLb1EES15_EEDaS10_S11_EUlS10_E_NS1_11comp_targetILNS1_3genE10ELNS1_11target_archE1201ELNS1_3gpuE5ELNS1_3repE0EEENS1_30default_config_static_selectorELNS0_4arch9wavefront6targetE1EEEvT1_.has_indirect_call, 0
	.section	.AMDGPU.csdata,"",@progbits
; Kernel info:
; codeLenInByte = 0
; TotalNumSgprs: 4
; NumVgprs: 0
; ScratchSize: 0
; MemoryBound: 0
; FloatMode: 240
; IeeeMode: 1
; LDSByteSize: 0 bytes/workgroup (compile time only)
; SGPRBlocks: 0
; VGPRBlocks: 0
; NumSGPRsForWavesPerEU: 4
; NumVGPRsForWavesPerEU: 1
; Occupancy: 10
; WaveLimiterHint : 0
; COMPUTE_PGM_RSRC2:SCRATCH_EN: 0
; COMPUTE_PGM_RSRC2:USER_SGPR: 6
; COMPUTE_PGM_RSRC2:TRAP_HANDLER: 0
; COMPUTE_PGM_RSRC2:TGID_X_EN: 1
; COMPUTE_PGM_RSRC2:TGID_Y_EN: 0
; COMPUTE_PGM_RSRC2:TGID_Z_EN: 0
; COMPUTE_PGM_RSRC2:TIDIG_COMP_CNT: 0
	.section	.text._ZN7rocprim17ROCPRIM_400000_NS6detail17trampoline_kernelINS0_14default_configENS1_29reduce_by_key_config_selectorIN3c104HalfElN6thrust23THRUST_200600_302600_NS4plusIlEEEEZZNS1_33reduce_by_key_impl_wrapped_configILNS1_25lookback_scan_determinismE0ES3_SB_PS6_NS8_17constant_iteratorIiNS8_11use_defaultESG_EENS8_10device_ptrIS6_EENSI_IlEEPmSA_NS8_8equal_toIS6_EEEE10hipError_tPvRmT2_T3_mT4_T5_T6_T7_T8_P12ihipStream_tbENKUlT_T0_E_clISt17integral_constantIbLb1EES15_EEDaS10_S11_EUlS10_E_NS1_11comp_targetILNS1_3genE10ELNS1_11target_archE1200ELNS1_3gpuE4ELNS1_3repE0EEENS1_30default_config_static_selectorELNS0_4arch9wavefront6targetE1EEEvT1_,"axG",@progbits,_ZN7rocprim17ROCPRIM_400000_NS6detail17trampoline_kernelINS0_14default_configENS1_29reduce_by_key_config_selectorIN3c104HalfElN6thrust23THRUST_200600_302600_NS4plusIlEEEEZZNS1_33reduce_by_key_impl_wrapped_configILNS1_25lookback_scan_determinismE0ES3_SB_PS6_NS8_17constant_iteratorIiNS8_11use_defaultESG_EENS8_10device_ptrIS6_EENSI_IlEEPmSA_NS8_8equal_toIS6_EEEE10hipError_tPvRmT2_T3_mT4_T5_T6_T7_T8_P12ihipStream_tbENKUlT_T0_E_clISt17integral_constantIbLb1EES15_EEDaS10_S11_EUlS10_E_NS1_11comp_targetILNS1_3genE10ELNS1_11target_archE1200ELNS1_3gpuE4ELNS1_3repE0EEENS1_30default_config_static_selectorELNS0_4arch9wavefront6targetE1EEEvT1_,comdat
	.protected	_ZN7rocprim17ROCPRIM_400000_NS6detail17trampoline_kernelINS0_14default_configENS1_29reduce_by_key_config_selectorIN3c104HalfElN6thrust23THRUST_200600_302600_NS4plusIlEEEEZZNS1_33reduce_by_key_impl_wrapped_configILNS1_25lookback_scan_determinismE0ES3_SB_PS6_NS8_17constant_iteratorIiNS8_11use_defaultESG_EENS8_10device_ptrIS6_EENSI_IlEEPmSA_NS8_8equal_toIS6_EEEE10hipError_tPvRmT2_T3_mT4_T5_T6_T7_T8_P12ihipStream_tbENKUlT_T0_E_clISt17integral_constantIbLb1EES15_EEDaS10_S11_EUlS10_E_NS1_11comp_targetILNS1_3genE10ELNS1_11target_archE1200ELNS1_3gpuE4ELNS1_3repE0EEENS1_30default_config_static_selectorELNS0_4arch9wavefront6targetE1EEEvT1_ ; -- Begin function _ZN7rocprim17ROCPRIM_400000_NS6detail17trampoline_kernelINS0_14default_configENS1_29reduce_by_key_config_selectorIN3c104HalfElN6thrust23THRUST_200600_302600_NS4plusIlEEEEZZNS1_33reduce_by_key_impl_wrapped_configILNS1_25lookback_scan_determinismE0ES3_SB_PS6_NS8_17constant_iteratorIiNS8_11use_defaultESG_EENS8_10device_ptrIS6_EENSI_IlEEPmSA_NS8_8equal_toIS6_EEEE10hipError_tPvRmT2_T3_mT4_T5_T6_T7_T8_P12ihipStream_tbENKUlT_T0_E_clISt17integral_constantIbLb1EES15_EEDaS10_S11_EUlS10_E_NS1_11comp_targetILNS1_3genE10ELNS1_11target_archE1200ELNS1_3gpuE4ELNS1_3repE0EEENS1_30default_config_static_selectorELNS0_4arch9wavefront6targetE1EEEvT1_
	.globl	_ZN7rocprim17ROCPRIM_400000_NS6detail17trampoline_kernelINS0_14default_configENS1_29reduce_by_key_config_selectorIN3c104HalfElN6thrust23THRUST_200600_302600_NS4plusIlEEEEZZNS1_33reduce_by_key_impl_wrapped_configILNS1_25lookback_scan_determinismE0ES3_SB_PS6_NS8_17constant_iteratorIiNS8_11use_defaultESG_EENS8_10device_ptrIS6_EENSI_IlEEPmSA_NS8_8equal_toIS6_EEEE10hipError_tPvRmT2_T3_mT4_T5_T6_T7_T8_P12ihipStream_tbENKUlT_T0_E_clISt17integral_constantIbLb1EES15_EEDaS10_S11_EUlS10_E_NS1_11comp_targetILNS1_3genE10ELNS1_11target_archE1200ELNS1_3gpuE4ELNS1_3repE0EEENS1_30default_config_static_selectorELNS0_4arch9wavefront6targetE1EEEvT1_
	.p2align	8
	.type	_ZN7rocprim17ROCPRIM_400000_NS6detail17trampoline_kernelINS0_14default_configENS1_29reduce_by_key_config_selectorIN3c104HalfElN6thrust23THRUST_200600_302600_NS4plusIlEEEEZZNS1_33reduce_by_key_impl_wrapped_configILNS1_25lookback_scan_determinismE0ES3_SB_PS6_NS8_17constant_iteratorIiNS8_11use_defaultESG_EENS8_10device_ptrIS6_EENSI_IlEEPmSA_NS8_8equal_toIS6_EEEE10hipError_tPvRmT2_T3_mT4_T5_T6_T7_T8_P12ihipStream_tbENKUlT_T0_E_clISt17integral_constantIbLb1EES15_EEDaS10_S11_EUlS10_E_NS1_11comp_targetILNS1_3genE10ELNS1_11target_archE1200ELNS1_3gpuE4ELNS1_3repE0EEENS1_30default_config_static_selectorELNS0_4arch9wavefront6targetE1EEEvT1_,@function
_ZN7rocprim17ROCPRIM_400000_NS6detail17trampoline_kernelINS0_14default_configENS1_29reduce_by_key_config_selectorIN3c104HalfElN6thrust23THRUST_200600_302600_NS4plusIlEEEEZZNS1_33reduce_by_key_impl_wrapped_configILNS1_25lookback_scan_determinismE0ES3_SB_PS6_NS8_17constant_iteratorIiNS8_11use_defaultESG_EENS8_10device_ptrIS6_EENSI_IlEEPmSA_NS8_8equal_toIS6_EEEE10hipError_tPvRmT2_T3_mT4_T5_T6_T7_T8_P12ihipStream_tbENKUlT_T0_E_clISt17integral_constantIbLb1EES15_EEDaS10_S11_EUlS10_E_NS1_11comp_targetILNS1_3genE10ELNS1_11target_archE1200ELNS1_3gpuE4ELNS1_3repE0EEENS1_30default_config_static_selectorELNS0_4arch9wavefront6targetE1EEEvT1_: ; @_ZN7rocprim17ROCPRIM_400000_NS6detail17trampoline_kernelINS0_14default_configENS1_29reduce_by_key_config_selectorIN3c104HalfElN6thrust23THRUST_200600_302600_NS4plusIlEEEEZZNS1_33reduce_by_key_impl_wrapped_configILNS1_25lookback_scan_determinismE0ES3_SB_PS6_NS8_17constant_iteratorIiNS8_11use_defaultESG_EENS8_10device_ptrIS6_EENSI_IlEEPmSA_NS8_8equal_toIS6_EEEE10hipError_tPvRmT2_T3_mT4_T5_T6_T7_T8_P12ihipStream_tbENKUlT_T0_E_clISt17integral_constantIbLb1EES15_EEDaS10_S11_EUlS10_E_NS1_11comp_targetILNS1_3genE10ELNS1_11target_archE1200ELNS1_3gpuE4ELNS1_3repE0EEENS1_30default_config_static_selectorELNS0_4arch9wavefront6targetE1EEEvT1_
; %bb.0:
	.section	.rodata,"a",@progbits
	.p2align	6, 0x0
	.amdhsa_kernel _ZN7rocprim17ROCPRIM_400000_NS6detail17trampoline_kernelINS0_14default_configENS1_29reduce_by_key_config_selectorIN3c104HalfElN6thrust23THRUST_200600_302600_NS4plusIlEEEEZZNS1_33reduce_by_key_impl_wrapped_configILNS1_25lookback_scan_determinismE0ES3_SB_PS6_NS8_17constant_iteratorIiNS8_11use_defaultESG_EENS8_10device_ptrIS6_EENSI_IlEEPmSA_NS8_8equal_toIS6_EEEE10hipError_tPvRmT2_T3_mT4_T5_T6_T7_T8_P12ihipStream_tbENKUlT_T0_E_clISt17integral_constantIbLb1EES15_EEDaS10_S11_EUlS10_E_NS1_11comp_targetILNS1_3genE10ELNS1_11target_archE1200ELNS1_3gpuE4ELNS1_3repE0EEENS1_30default_config_static_selectorELNS0_4arch9wavefront6targetE1EEEvT1_
		.amdhsa_group_segment_fixed_size 0
		.amdhsa_private_segment_fixed_size 0
		.amdhsa_kernarg_size 144
		.amdhsa_user_sgpr_count 6
		.amdhsa_user_sgpr_private_segment_buffer 1
		.amdhsa_user_sgpr_dispatch_ptr 0
		.amdhsa_user_sgpr_queue_ptr 0
		.amdhsa_user_sgpr_kernarg_segment_ptr 1
		.amdhsa_user_sgpr_dispatch_id 0
		.amdhsa_user_sgpr_flat_scratch_init 0
		.amdhsa_user_sgpr_private_segment_size 0
		.amdhsa_uses_dynamic_stack 0
		.amdhsa_system_sgpr_private_segment_wavefront_offset 0
		.amdhsa_system_sgpr_workgroup_id_x 1
		.amdhsa_system_sgpr_workgroup_id_y 0
		.amdhsa_system_sgpr_workgroup_id_z 0
		.amdhsa_system_sgpr_workgroup_info 0
		.amdhsa_system_vgpr_workitem_id 0
		.amdhsa_next_free_vgpr 1
		.amdhsa_next_free_sgpr 0
		.amdhsa_reserve_vcc 0
		.amdhsa_reserve_flat_scratch 0
		.amdhsa_float_round_mode_32 0
		.amdhsa_float_round_mode_16_64 0
		.amdhsa_float_denorm_mode_32 3
		.amdhsa_float_denorm_mode_16_64 3
		.amdhsa_dx10_clamp 1
		.amdhsa_ieee_mode 1
		.amdhsa_fp16_overflow 0
		.amdhsa_exception_fp_ieee_invalid_op 0
		.amdhsa_exception_fp_denorm_src 0
		.amdhsa_exception_fp_ieee_div_zero 0
		.amdhsa_exception_fp_ieee_overflow 0
		.amdhsa_exception_fp_ieee_underflow 0
		.amdhsa_exception_fp_ieee_inexact 0
		.amdhsa_exception_int_div_zero 0
	.end_amdhsa_kernel
	.section	.text._ZN7rocprim17ROCPRIM_400000_NS6detail17trampoline_kernelINS0_14default_configENS1_29reduce_by_key_config_selectorIN3c104HalfElN6thrust23THRUST_200600_302600_NS4plusIlEEEEZZNS1_33reduce_by_key_impl_wrapped_configILNS1_25lookback_scan_determinismE0ES3_SB_PS6_NS8_17constant_iteratorIiNS8_11use_defaultESG_EENS8_10device_ptrIS6_EENSI_IlEEPmSA_NS8_8equal_toIS6_EEEE10hipError_tPvRmT2_T3_mT4_T5_T6_T7_T8_P12ihipStream_tbENKUlT_T0_E_clISt17integral_constantIbLb1EES15_EEDaS10_S11_EUlS10_E_NS1_11comp_targetILNS1_3genE10ELNS1_11target_archE1200ELNS1_3gpuE4ELNS1_3repE0EEENS1_30default_config_static_selectorELNS0_4arch9wavefront6targetE1EEEvT1_,"axG",@progbits,_ZN7rocprim17ROCPRIM_400000_NS6detail17trampoline_kernelINS0_14default_configENS1_29reduce_by_key_config_selectorIN3c104HalfElN6thrust23THRUST_200600_302600_NS4plusIlEEEEZZNS1_33reduce_by_key_impl_wrapped_configILNS1_25lookback_scan_determinismE0ES3_SB_PS6_NS8_17constant_iteratorIiNS8_11use_defaultESG_EENS8_10device_ptrIS6_EENSI_IlEEPmSA_NS8_8equal_toIS6_EEEE10hipError_tPvRmT2_T3_mT4_T5_T6_T7_T8_P12ihipStream_tbENKUlT_T0_E_clISt17integral_constantIbLb1EES15_EEDaS10_S11_EUlS10_E_NS1_11comp_targetILNS1_3genE10ELNS1_11target_archE1200ELNS1_3gpuE4ELNS1_3repE0EEENS1_30default_config_static_selectorELNS0_4arch9wavefront6targetE1EEEvT1_,comdat
.Lfunc_end2213:
	.size	_ZN7rocprim17ROCPRIM_400000_NS6detail17trampoline_kernelINS0_14default_configENS1_29reduce_by_key_config_selectorIN3c104HalfElN6thrust23THRUST_200600_302600_NS4plusIlEEEEZZNS1_33reduce_by_key_impl_wrapped_configILNS1_25lookback_scan_determinismE0ES3_SB_PS6_NS8_17constant_iteratorIiNS8_11use_defaultESG_EENS8_10device_ptrIS6_EENSI_IlEEPmSA_NS8_8equal_toIS6_EEEE10hipError_tPvRmT2_T3_mT4_T5_T6_T7_T8_P12ihipStream_tbENKUlT_T0_E_clISt17integral_constantIbLb1EES15_EEDaS10_S11_EUlS10_E_NS1_11comp_targetILNS1_3genE10ELNS1_11target_archE1200ELNS1_3gpuE4ELNS1_3repE0EEENS1_30default_config_static_selectorELNS0_4arch9wavefront6targetE1EEEvT1_, .Lfunc_end2213-_ZN7rocprim17ROCPRIM_400000_NS6detail17trampoline_kernelINS0_14default_configENS1_29reduce_by_key_config_selectorIN3c104HalfElN6thrust23THRUST_200600_302600_NS4plusIlEEEEZZNS1_33reduce_by_key_impl_wrapped_configILNS1_25lookback_scan_determinismE0ES3_SB_PS6_NS8_17constant_iteratorIiNS8_11use_defaultESG_EENS8_10device_ptrIS6_EENSI_IlEEPmSA_NS8_8equal_toIS6_EEEE10hipError_tPvRmT2_T3_mT4_T5_T6_T7_T8_P12ihipStream_tbENKUlT_T0_E_clISt17integral_constantIbLb1EES15_EEDaS10_S11_EUlS10_E_NS1_11comp_targetILNS1_3genE10ELNS1_11target_archE1200ELNS1_3gpuE4ELNS1_3repE0EEENS1_30default_config_static_selectorELNS0_4arch9wavefront6targetE1EEEvT1_
                                        ; -- End function
	.set _ZN7rocprim17ROCPRIM_400000_NS6detail17trampoline_kernelINS0_14default_configENS1_29reduce_by_key_config_selectorIN3c104HalfElN6thrust23THRUST_200600_302600_NS4plusIlEEEEZZNS1_33reduce_by_key_impl_wrapped_configILNS1_25lookback_scan_determinismE0ES3_SB_PS6_NS8_17constant_iteratorIiNS8_11use_defaultESG_EENS8_10device_ptrIS6_EENSI_IlEEPmSA_NS8_8equal_toIS6_EEEE10hipError_tPvRmT2_T3_mT4_T5_T6_T7_T8_P12ihipStream_tbENKUlT_T0_E_clISt17integral_constantIbLb1EES15_EEDaS10_S11_EUlS10_E_NS1_11comp_targetILNS1_3genE10ELNS1_11target_archE1200ELNS1_3gpuE4ELNS1_3repE0EEENS1_30default_config_static_selectorELNS0_4arch9wavefront6targetE1EEEvT1_.num_vgpr, 0
	.set _ZN7rocprim17ROCPRIM_400000_NS6detail17trampoline_kernelINS0_14default_configENS1_29reduce_by_key_config_selectorIN3c104HalfElN6thrust23THRUST_200600_302600_NS4plusIlEEEEZZNS1_33reduce_by_key_impl_wrapped_configILNS1_25lookback_scan_determinismE0ES3_SB_PS6_NS8_17constant_iteratorIiNS8_11use_defaultESG_EENS8_10device_ptrIS6_EENSI_IlEEPmSA_NS8_8equal_toIS6_EEEE10hipError_tPvRmT2_T3_mT4_T5_T6_T7_T8_P12ihipStream_tbENKUlT_T0_E_clISt17integral_constantIbLb1EES15_EEDaS10_S11_EUlS10_E_NS1_11comp_targetILNS1_3genE10ELNS1_11target_archE1200ELNS1_3gpuE4ELNS1_3repE0EEENS1_30default_config_static_selectorELNS0_4arch9wavefront6targetE1EEEvT1_.num_agpr, 0
	.set _ZN7rocprim17ROCPRIM_400000_NS6detail17trampoline_kernelINS0_14default_configENS1_29reduce_by_key_config_selectorIN3c104HalfElN6thrust23THRUST_200600_302600_NS4plusIlEEEEZZNS1_33reduce_by_key_impl_wrapped_configILNS1_25lookback_scan_determinismE0ES3_SB_PS6_NS8_17constant_iteratorIiNS8_11use_defaultESG_EENS8_10device_ptrIS6_EENSI_IlEEPmSA_NS8_8equal_toIS6_EEEE10hipError_tPvRmT2_T3_mT4_T5_T6_T7_T8_P12ihipStream_tbENKUlT_T0_E_clISt17integral_constantIbLb1EES15_EEDaS10_S11_EUlS10_E_NS1_11comp_targetILNS1_3genE10ELNS1_11target_archE1200ELNS1_3gpuE4ELNS1_3repE0EEENS1_30default_config_static_selectorELNS0_4arch9wavefront6targetE1EEEvT1_.numbered_sgpr, 0
	.set _ZN7rocprim17ROCPRIM_400000_NS6detail17trampoline_kernelINS0_14default_configENS1_29reduce_by_key_config_selectorIN3c104HalfElN6thrust23THRUST_200600_302600_NS4plusIlEEEEZZNS1_33reduce_by_key_impl_wrapped_configILNS1_25lookback_scan_determinismE0ES3_SB_PS6_NS8_17constant_iteratorIiNS8_11use_defaultESG_EENS8_10device_ptrIS6_EENSI_IlEEPmSA_NS8_8equal_toIS6_EEEE10hipError_tPvRmT2_T3_mT4_T5_T6_T7_T8_P12ihipStream_tbENKUlT_T0_E_clISt17integral_constantIbLb1EES15_EEDaS10_S11_EUlS10_E_NS1_11comp_targetILNS1_3genE10ELNS1_11target_archE1200ELNS1_3gpuE4ELNS1_3repE0EEENS1_30default_config_static_selectorELNS0_4arch9wavefront6targetE1EEEvT1_.num_named_barrier, 0
	.set _ZN7rocprim17ROCPRIM_400000_NS6detail17trampoline_kernelINS0_14default_configENS1_29reduce_by_key_config_selectorIN3c104HalfElN6thrust23THRUST_200600_302600_NS4plusIlEEEEZZNS1_33reduce_by_key_impl_wrapped_configILNS1_25lookback_scan_determinismE0ES3_SB_PS6_NS8_17constant_iteratorIiNS8_11use_defaultESG_EENS8_10device_ptrIS6_EENSI_IlEEPmSA_NS8_8equal_toIS6_EEEE10hipError_tPvRmT2_T3_mT4_T5_T6_T7_T8_P12ihipStream_tbENKUlT_T0_E_clISt17integral_constantIbLb1EES15_EEDaS10_S11_EUlS10_E_NS1_11comp_targetILNS1_3genE10ELNS1_11target_archE1200ELNS1_3gpuE4ELNS1_3repE0EEENS1_30default_config_static_selectorELNS0_4arch9wavefront6targetE1EEEvT1_.private_seg_size, 0
	.set _ZN7rocprim17ROCPRIM_400000_NS6detail17trampoline_kernelINS0_14default_configENS1_29reduce_by_key_config_selectorIN3c104HalfElN6thrust23THRUST_200600_302600_NS4plusIlEEEEZZNS1_33reduce_by_key_impl_wrapped_configILNS1_25lookback_scan_determinismE0ES3_SB_PS6_NS8_17constant_iteratorIiNS8_11use_defaultESG_EENS8_10device_ptrIS6_EENSI_IlEEPmSA_NS8_8equal_toIS6_EEEE10hipError_tPvRmT2_T3_mT4_T5_T6_T7_T8_P12ihipStream_tbENKUlT_T0_E_clISt17integral_constantIbLb1EES15_EEDaS10_S11_EUlS10_E_NS1_11comp_targetILNS1_3genE10ELNS1_11target_archE1200ELNS1_3gpuE4ELNS1_3repE0EEENS1_30default_config_static_selectorELNS0_4arch9wavefront6targetE1EEEvT1_.uses_vcc, 0
	.set _ZN7rocprim17ROCPRIM_400000_NS6detail17trampoline_kernelINS0_14default_configENS1_29reduce_by_key_config_selectorIN3c104HalfElN6thrust23THRUST_200600_302600_NS4plusIlEEEEZZNS1_33reduce_by_key_impl_wrapped_configILNS1_25lookback_scan_determinismE0ES3_SB_PS6_NS8_17constant_iteratorIiNS8_11use_defaultESG_EENS8_10device_ptrIS6_EENSI_IlEEPmSA_NS8_8equal_toIS6_EEEE10hipError_tPvRmT2_T3_mT4_T5_T6_T7_T8_P12ihipStream_tbENKUlT_T0_E_clISt17integral_constantIbLb1EES15_EEDaS10_S11_EUlS10_E_NS1_11comp_targetILNS1_3genE10ELNS1_11target_archE1200ELNS1_3gpuE4ELNS1_3repE0EEENS1_30default_config_static_selectorELNS0_4arch9wavefront6targetE1EEEvT1_.uses_flat_scratch, 0
	.set _ZN7rocprim17ROCPRIM_400000_NS6detail17trampoline_kernelINS0_14default_configENS1_29reduce_by_key_config_selectorIN3c104HalfElN6thrust23THRUST_200600_302600_NS4plusIlEEEEZZNS1_33reduce_by_key_impl_wrapped_configILNS1_25lookback_scan_determinismE0ES3_SB_PS6_NS8_17constant_iteratorIiNS8_11use_defaultESG_EENS8_10device_ptrIS6_EENSI_IlEEPmSA_NS8_8equal_toIS6_EEEE10hipError_tPvRmT2_T3_mT4_T5_T6_T7_T8_P12ihipStream_tbENKUlT_T0_E_clISt17integral_constantIbLb1EES15_EEDaS10_S11_EUlS10_E_NS1_11comp_targetILNS1_3genE10ELNS1_11target_archE1200ELNS1_3gpuE4ELNS1_3repE0EEENS1_30default_config_static_selectorELNS0_4arch9wavefront6targetE1EEEvT1_.has_dyn_sized_stack, 0
	.set _ZN7rocprim17ROCPRIM_400000_NS6detail17trampoline_kernelINS0_14default_configENS1_29reduce_by_key_config_selectorIN3c104HalfElN6thrust23THRUST_200600_302600_NS4plusIlEEEEZZNS1_33reduce_by_key_impl_wrapped_configILNS1_25lookback_scan_determinismE0ES3_SB_PS6_NS8_17constant_iteratorIiNS8_11use_defaultESG_EENS8_10device_ptrIS6_EENSI_IlEEPmSA_NS8_8equal_toIS6_EEEE10hipError_tPvRmT2_T3_mT4_T5_T6_T7_T8_P12ihipStream_tbENKUlT_T0_E_clISt17integral_constantIbLb1EES15_EEDaS10_S11_EUlS10_E_NS1_11comp_targetILNS1_3genE10ELNS1_11target_archE1200ELNS1_3gpuE4ELNS1_3repE0EEENS1_30default_config_static_selectorELNS0_4arch9wavefront6targetE1EEEvT1_.has_recursion, 0
	.set _ZN7rocprim17ROCPRIM_400000_NS6detail17trampoline_kernelINS0_14default_configENS1_29reduce_by_key_config_selectorIN3c104HalfElN6thrust23THRUST_200600_302600_NS4plusIlEEEEZZNS1_33reduce_by_key_impl_wrapped_configILNS1_25lookback_scan_determinismE0ES3_SB_PS6_NS8_17constant_iteratorIiNS8_11use_defaultESG_EENS8_10device_ptrIS6_EENSI_IlEEPmSA_NS8_8equal_toIS6_EEEE10hipError_tPvRmT2_T3_mT4_T5_T6_T7_T8_P12ihipStream_tbENKUlT_T0_E_clISt17integral_constantIbLb1EES15_EEDaS10_S11_EUlS10_E_NS1_11comp_targetILNS1_3genE10ELNS1_11target_archE1200ELNS1_3gpuE4ELNS1_3repE0EEENS1_30default_config_static_selectorELNS0_4arch9wavefront6targetE1EEEvT1_.has_indirect_call, 0
	.section	.AMDGPU.csdata,"",@progbits
; Kernel info:
; codeLenInByte = 0
; TotalNumSgprs: 4
; NumVgprs: 0
; ScratchSize: 0
; MemoryBound: 0
; FloatMode: 240
; IeeeMode: 1
; LDSByteSize: 0 bytes/workgroup (compile time only)
; SGPRBlocks: 0
; VGPRBlocks: 0
; NumSGPRsForWavesPerEU: 4
; NumVGPRsForWavesPerEU: 1
; Occupancy: 10
; WaveLimiterHint : 0
; COMPUTE_PGM_RSRC2:SCRATCH_EN: 0
; COMPUTE_PGM_RSRC2:USER_SGPR: 6
; COMPUTE_PGM_RSRC2:TRAP_HANDLER: 0
; COMPUTE_PGM_RSRC2:TGID_X_EN: 1
; COMPUTE_PGM_RSRC2:TGID_Y_EN: 0
; COMPUTE_PGM_RSRC2:TGID_Z_EN: 0
; COMPUTE_PGM_RSRC2:TIDIG_COMP_CNT: 0
	.section	.text._ZN7rocprim17ROCPRIM_400000_NS6detail17trampoline_kernelINS0_14default_configENS1_29reduce_by_key_config_selectorIN3c104HalfElN6thrust23THRUST_200600_302600_NS4plusIlEEEEZZNS1_33reduce_by_key_impl_wrapped_configILNS1_25lookback_scan_determinismE0ES3_SB_PS6_NS8_17constant_iteratorIiNS8_11use_defaultESG_EENS8_10device_ptrIS6_EENSI_IlEEPmSA_NS8_8equal_toIS6_EEEE10hipError_tPvRmT2_T3_mT4_T5_T6_T7_T8_P12ihipStream_tbENKUlT_T0_E_clISt17integral_constantIbLb1EES15_EEDaS10_S11_EUlS10_E_NS1_11comp_targetILNS1_3genE9ELNS1_11target_archE1100ELNS1_3gpuE3ELNS1_3repE0EEENS1_30default_config_static_selectorELNS0_4arch9wavefront6targetE1EEEvT1_,"axG",@progbits,_ZN7rocprim17ROCPRIM_400000_NS6detail17trampoline_kernelINS0_14default_configENS1_29reduce_by_key_config_selectorIN3c104HalfElN6thrust23THRUST_200600_302600_NS4plusIlEEEEZZNS1_33reduce_by_key_impl_wrapped_configILNS1_25lookback_scan_determinismE0ES3_SB_PS6_NS8_17constant_iteratorIiNS8_11use_defaultESG_EENS8_10device_ptrIS6_EENSI_IlEEPmSA_NS8_8equal_toIS6_EEEE10hipError_tPvRmT2_T3_mT4_T5_T6_T7_T8_P12ihipStream_tbENKUlT_T0_E_clISt17integral_constantIbLb1EES15_EEDaS10_S11_EUlS10_E_NS1_11comp_targetILNS1_3genE9ELNS1_11target_archE1100ELNS1_3gpuE3ELNS1_3repE0EEENS1_30default_config_static_selectorELNS0_4arch9wavefront6targetE1EEEvT1_,comdat
	.protected	_ZN7rocprim17ROCPRIM_400000_NS6detail17trampoline_kernelINS0_14default_configENS1_29reduce_by_key_config_selectorIN3c104HalfElN6thrust23THRUST_200600_302600_NS4plusIlEEEEZZNS1_33reduce_by_key_impl_wrapped_configILNS1_25lookback_scan_determinismE0ES3_SB_PS6_NS8_17constant_iteratorIiNS8_11use_defaultESG_EENS8_10device_ptrIS6_EENSI_IlEEPmSA_NS8_8equal_toIS6_EEEE10hipError_tPvRmT2_T3_mT4_T5_T6_T7_T8_P12ihipStream_tbENKUlT_T0_E_clISt17integral_constantIbLb1EES15_EEDaS10_S11_EUlS10_E_NS1_11comp_targetILNS1_3genE9ELNS1_11target_archE1100ELNS1_3gpuE3ELNS1_3repE0EEENS1_30default_config_static_selectorELNS0_4arch9wavefront6targetE1EEEvT1_ ; -- Begin function _ZN7rocprim17ROCPRIM_400000_NS6detail17trampoline_kernelINS0_14default_configENS1_29reduce_by_key_config_selectorIN3c104HalfElN6thrust23THRUST_200600_302600_NS4plusIlEEEEZZNS1_33reduce_by_key_impl_wrapped_configILNS1_25lookback_scan_determinismE0ES3_SB_PS6_NS8_17constant_iteratorIiNS8_11use_defaultESG_EENS8_10device_ptrIS6_EENSI_IlEEPmSA_NS8_8equal_toIS6_EEEE10hipError_tPvRmT2_T3_mT4_T5_T6_T7_T8_P12ihipStream_tbENKUlT_T0_E_clISt17integral_constantIbLb1EES15_EEDaS10_S11_EUlS10_E_NS1_11comp_targetILNS1_3genE9ELNS1_11target_archE1100ELNS1_3gpuE3ELNS1_3repE0EEENS1_30default_config_static_selectorELNS0_4arch9wavefront6targetE1EEEvT1_
	.globl	_ZN7rocprim17ROCPRIM_400000_NS6detail17trampoline_kernelINS0_14default_configENS1_29reduce_by_key_config_selectorIN3c104HalfElN6thrust23THRUST_200600_302600_NS4plusIlEEEEZZNS1_33reduce_by_key_impl_wrapped_configILNS1_25lookback_scan_determinismE0ES3_SB_PS6_NS8_17constant_iteratorIiNS8_11use_defaultESG_EENS8_10device_ptrIS6_EENSI_IlEEPmSA_NS8_8equal_toIS6_EEEE10hipError_tPvRmT2_T3_mT4_T5_T6_T7_T8_P12ihipStream_tbENKUlT_T0_E_clISt17integral_constantIbLb1EES15_EEDaS10_S11_EUlS10_E_NS1_11comp_targetILNS1_3genE9ELNS1_11target_archE1100ELNS1_3gpuE3ELNS1_3repE0EEENS1_30default_config_static_selectorELNS0_4arch9wavefront6targetE1EEEvT1_
	.p2align	8
	.type	_ZN7rocprim17ROCPRIM_400000_NS6detail17trampoline_kernelINS0_14default_configENS1_29reduce_by_key_config_selectorIN3c104HalfElN6thrust23THRUST_200600_302600_NS4plusIlEEEEZZNS1_33reduce_by_key_impl_wrapped_configILNS1_25lookback_scan_determinismE0ES3_SB_PS6_NS8_17constant_iteratorIiNS8_11use_defaultESG_EENS8_10device_ptrIS6_EENSI_IlEEPmSA_NS8_8equal_toIS6_EEEE10hipError_tPvRmT2_T3_mT4_T5_T6_T7_T8_P12ihipStream_tbENKUlT_T0_E_clISt17integral_constantIbLb1EES15_EEDaS10_S11_EUlS10_E_NS1_11comp_targetILNS1_3genE9ELNS1_11target_archE1100ELNS1_3gpuE3ELNS1_3repE0EEENS1_30default_config_static_selectorELNS0_4arch9wavefront6targetE1EEEvT1_,@function
_ZN7rocprim17ROCPRIM_400000_NS6detail17trampoline_kernelINS0_14default_configENS1_29reduce_by_key_config_selectorIN3c104HalfElN6thrust23THRUST_200600_302600_NS4plusIlEEEEZZNS1_33reduce_by_key_impl_wrapped_configILNS1_25lookback_scan_determinismE0ES3_SB_PS6_NS8_17constant_iteratorIiNS8_11use_defaultESG_EENS8_10device_ptrIS6_EENSI_IlEEPmSA_NS8_8equal_toIS6_EEEE10hipError_tPvRmT2_T3_mT4_T5_T6_T7_T8_P12ihipStream_tbENKUlT_T0_E_clISt17integral_constantIbLb1EES15_EEDaS10_S11_EUlS10_E_NS1_11comp_targetILNS1_3genE9ELNS1_11target_archE1100ELNS1_3gpuE3ELNS1_3repE0EEENS1_30default_config_static_selectorELNS0_4arch9wavefront6targetE1EEEvT1_: ; @_ZN7rocprim17ROCPRIM_400000_NS6detail17trampoline_kernelINS0_14default_configENS1_29reduce_by_key_config_selectorIN3c104HalfElN6thrust23THRUST_200600_302600_NS4plusIlEEEEZZNS1_33reduce_by_key_impl_wrapped_configILNS1_25lookback_scan_determinismE0ES3_SB_PS6_NS8_17constant_iteratorIiNS8_11use_defaultESG_EENS8_10device_ptrIS6_EENSI_IlEEPmSA_NS8_8equal_toIS6_EEEE10hipError_tPvRmT2_T3_mT4_T5_T6_T7_T8_P12ihipStream_tbENKUlT_T0_E_clISt17integral_constantIbLb1EES15_EEDaS10_S11_EUlS10_E_NS1_11comp_targetILNS1_3genE9ELNS1_11target_archE1100ELNS1_3gpuE3ELNS1_3repE0EEENS1_30default_config_static_selectorELNS0_4arch9wavefront6targetE1EEEvT1_
; %bb.0:
	.section	.rodata,"a",@progbits
	.p2align	6, 0x0
	.amdhsa_kernel _ZN7rocprim17ROCPRIM_400000_NS6detail17trampoline_kernelINS0_14default_configENS1_29reduce_by_key_config_selectorIN3c104HalfElN6thrust23THRUST_200600_302600_NS4plusIlEEEEZZNS1_33reduce_by_key_impl_wrapped_configILNS1_25lookback_scan_determinismE0ES3_SB_PS6_NS8_17constant_iteratorIiNS8_11use_defaultESG_EENS8_10device_ptrIS6_EENSI_IlEEPmSA_NS8_8equal_toIS6_EEEE10hipError_tPvRmT2_T3_mT4_T5_T6_T7_T8_P12ihipStream_tbENKUlT_T0_E_clISt17integral_constantIbLb1EES15_EEDaS10_S11_EUlS10_E_NS1_11comp_targetILNS1_3genE9ELNS1_11target_archE1100ELNS1_3gpuE3ELNS1_3repE0EEENS1_30default_config_static_selectorELNS0_4arch9wavefront6targetE1EEEvT1_
		.amdhsa_group_segment_fixed_size 0
		.amdhsa_private_segment_fixed_size 0
		.amdhsa_kernarg_size 144
		.amdhsa_user_sgpr_count 6
		.amdhsa_user_sgpr_private_segment_buffer 1
		.amdhsa_user_sgpr_dispatch_ptr 0
		.amdhsa_user_sgpr_queue_ptr 0
		.amdhsa_user_sgpr_kernarg_segment_ptr 1
		.amdhsa_user_sgpr_dispatch_id 0
		.amdhsa_user_sgpr_flat_scratch_init 0
		.amdhsa_user_sgpr_private_segment_size 0
		.amdhsa_uses_dynamic_stack 0
		.amdhsa_system_sgpr_private_segment_wavefront_offset 0
		.amdhsa_system_sgpr_workgroup_id_x 1
		.amdhsa_system_sgpr_workgroup_id_y 0
		.amdhsa_system_sgpr_workgroup_id_z 0
		.amdhsa_system_sgpr_workgroup_info 0
		.amdhsa_system_vgpr_workitem_id 0
		.amdhsa_next_free_vgpr 1
		.amdhsa_next_free_sgpr 0
		.amdhsa_reserve_vcc 0
		.amdhsa_reserve_flat_scratch 0
		.amdhsa_float_round_mode_32 0
		.amdhsa_float_round_mode_16_64 0
		.amdhsa_float_denorm_mode_32 3
		.amdhsa_float_denorm_mode_16_64 3
		.amdhsa_dx10_clamp 1
		.amdhsa_ieee_mode 1
		.amdhsa_fp16_overflow 0
		.amdhsa_exception_fp_ieee_invalid_op 0
		.amdhsa_exception_fp_denorm_src 0
		.amdhsa_exception_fp_ieee_div_zero 0
		.amdhsa_exception_fp_ieee_overflow 0
		.amdhsa_exception_fp_ieee_underflow 0
		.amdhsa_exception_fp_ieee_inexact 0
		.amdhsa_exception_int_div_zero 0
	.end_amdhsa_kernel
	.section	.text._ZN7rocprim17ROCPRIM_400000_NS6detail17trampoline_kernelINS0_14default_configENS1_29reduce_by_key_config_selectorIN3c104HalfElN6thrust23THRUST_200600_302600_NS4plusIlEEEEZZNS1_33reduce_by_key_impl_wrapped_configILNS1_25lookback_scan_determinismE0ES3_SB_PS6_NS8_17constant_iteratorIiNS8_11use_defaultESG_EENS8_10device_ptrIS6_EENSI_IlEEPmSA_NS8_8equal_toIS6_EEEE10hipError_tPvRmT2_T3_mT4_T5_T6_T7_T8_P12ihipStream_tbENKUlT_T0_E_clISt17integral_constantIbLb1EES15_EEDaS10_S11_EUlS10_E_NS1_11comp_targetILNS1_3genE9ELNS1_11target_archE1100ELNS1_3gpuE3ELNS1_3repE0EEENS1_30default_config_static_selectorELNS0_4arch9wavefront6targetE1EEEvT1_,"axG",@progbits,_ZN7rocprim17ROCPRIM_400000_NS6detail17trampoline_kernelINS0_14default_configENS1_29reduce_by_key_config_selectorIN3c104HalfElN6thrust23THRUST_200600_302600_NS4plusIlEEEEZZNS1_33reduce_by_key_impl_wrapped_configILNS1_25lookback_scan_determinismE0ES3_SB_PS6_NS8_17constant_iteratorIiNS8_11use_defaultESG_EENS8_10device_ptrIS6_EENSI_IlEEPmSA_NS8_8equal_toIS6_EEEE10hipError_tPvRmT2_T3_mT4_T5_T6_T7_T8_P12ihipStream_tbENKUlT_T0_E_clISt17integral_constantIbLb1EES15_EEDaS10_S11_EUlS10_E_NS1_11comp_targetILNS1_3genE9ELNS1_11target_archE1100ELNS1_3gpuE3ELNS1_3repE0EEENS1_30default_config_static_selectorELNS0_4arch9wavefront6targetE1EEEvT1_,comdat
.Lfunc_end2214:
	.size	_ZN7rocprim17ROCPRIM_400000_NS6detail17trampoline_kernelINS0_14default_configENS1_29reduce_by_key_config_selectorIN3c104HalfElN6thrust23THRUST_200600_302600_NS4plusIlEEEEZZNS1_33reduce_by_key_impl_wrapped_configILNS1_25lookback_scan_determinismE0ES3_SB_PS6_NS8_17constant_iteratorIiNS8_11use_defaultESG_EENS8_10device_ptrIS6_EENSI_IlEEPmSA_NS8_8equal_toIS6_EEEE10hipError_tPvRmT2_T3_mT4_T5_T6_T7_T8_P12ihipStream_tbENKUlT_T0_E_clISt17integral_constantIbLb1EES15_EEDaS10_S11_EUlS10_E_NS1_11comp_targetILNS1_3genE9ELNS1_11target_archE1100ELNS1_3gpuE3ELNS1_3repE0EEENS1_30default_config_static_selectorELNS0_4arch9wavefront6targetE1EEEvT1_, .Lfunc_end2214-_ZN7rocprim17ROCPRIM_400000_NS6detail17trampoline_kernelINS0_14default_configENS1_29reduce_by_key_config_selectorIN3c104HalfElN6thrust23THRUST_200600_302600_NS4plusIlEEEEZZNS1_33reduce_by_key_impl_wrapped_configILNS1_25lookback_scan_determinismE0ES3_SB_PS6_NS8_17constant_iteratorIiNS8_11use_defaultESG_EENS8_10device_ptrIS6_EENSI_IlEEPmSA_NS8_8equal_toIS6_EEEE10hipError_tPvRmT2_T3_mT4_T5_T6_T7_T8_P12ihipStream_tbENKUlT_T0_E_clISt17integral_constantIbLb1EES15_EEDaS10_S11_EUlS10_E_NS1_11comp_targetILNS1_3genE9ELNS1_11target_archE1100ELNS1_3gpuE3ELNS1_3repE0EEENS1_30default_config_static_selectorELNS0_4arch9wavefront6targetE1EEEvT1_
                                        ; -- End function
	.set _ZN7rocprim17ROCPRIM_400000_NS6detail17trampoline_kernelINS0_14default_configENS1_29reduce_by_key_config_selectorIN3c104HalfElN6thrust23THRUST_200600_302600_NS4plusIlEEEEZZNS1_33reduce_by_key_impl_wrapped_configILNS1_25lookback_scan_determinismE0ES3_SB_PS6_NS8_17constant_iteratorIiNS8_11use_defaultESG_EENS8_10device_ptrIS6_EENSI_IlEEPmSA_NS8_8equal_toIS6_EEEE10hipError_tPvRmT2_T3_mT4_T5_T6_T7_T8_P12ihipStream_tbENKUlT_T0_E_clISt17integral_constantIbLb1EES15_EEDaS10_S11_EUlS10_E_NS1_11comp_targetILNS1_3genE9ELNS1_11target_archE1100ELNS1_3gpuE3ELNS1_3repE0EEENS1_30default_config_static_selectorELNS0_4arch9wavefront6targetE1EEEvT1_.num_vgpr, 0
	.set _ZN7rocprim17ROCPRIM_400000_NS6detail17trampoline_kernelINS0_14default_configENS1_29reduce_by_key_config_selectorIN3c104HalfElN6thrust23THRUST_200600_302600_NS4plusIlEEEEZZNS1_33reduce_by_key_impl_wrapped_configILNS1_25lookback_scan_determinismE0ES3_SB_PS6_NS8_17constant_iteratorIiNS8_11use_defaultESG_EENS8_10device_ptrIS6_EENSI_IlEEPmSA_NS8_8equal_toIS6_EEEE10hipError_tPvRmT2_T3_mT4_T5_T6_T7_T8_P12ihipStream_tbENKUlT_T0_E_clISt17integral_constantIbLb1EES15_EEDaS10_S11_EUlS10_E_NS1_11comp_targetILNS1_3genE9ELNS1_11target_archE1100ELNS1_3gpuE3ELNS1_3repE0EEENS1_30default_config_static_selectorELNS0_4arch9wavefront6targetE1EEEvT1_.num_agpr, 0
	.set _ZN7rocprim17ROCPRIM_400000_NS6detail17trampoline_kernelINS0_14default_configENS1_29reduce_by_key_config_selectorIN3c104HalfElN6thrust23THRUST_200600_302600_NS4plusIlEEEEZZNS1_33reduce_by_key_impl_wrapped_configILNS1_25lookback_scan_determinismE0ES3_SB_PS6_NS8_17constant_iteratorIiNS8_11use_defaultESG_EENS8_10device_ptrIS6_EENSI_IlEEPmSA_NS8_8equal_toIS6_EEEE10hipError_tPvRmT2_T3_mT4_T5_T6_T7_T8_P12ihipStream_tbENKUlT_T0_E_clISt17integral_constantIbLb1EES15_EEDaS10_S11_EUlS10_E_NS1_11comp_targetILNS1_3genE9ELNS1_11target_archE1100ELNS1_3gpuE3ELNS1_3repE0EEENS1_30default_config_static_selectorELNS0_4arch9wavefront6targetE1EEEvT1_.numbered_sgpr, 0
	.set _ZN7rocprim17ROCPRIM_400000_NS6detail17trampoline_kernelINS0_14default_configENS1_29reduce_by_key_config_selectorIN3c104HalfElN6thrust23THRUST_200600_302600_NS4plusIlEEEEZZNS1_33reduce_by_key_impl_wrapped_configILNS1_25lookback_scan_determinismE0ES3_SB_PS6_NS8_17constant_iteratorIiNS8_11use_defaultESG_EENS8_10device_ptrIS6_EENSI_IlEEPmSA_NS8_8equal_toIS6_EEEE10hipError_tPvRmT2_T3_mT4_T5_T6_T7_T8_P12ihipStream_tbENKUlT_T0_E_clISt17integral_constantIbLb1EES15_EEDaS10_S11_EUlS10_E_NS1_11comp_targetILNS1_3genE9ELNS1_11target_archE1100ELNS1_3gpuE3ELNS1_3repE0EEENS1_30default_config_static_selectorELNS0_4arch9wavefront6targetE1EEEvT1_.num_named_barrier, 0
	.set _ZN7rocprim17ROCPRIM_400000_NS6detail17trampoline_kernelINS0_14default_configENS1_29reduce_by_key_config_selectorIN3c104HalfElN6thrust23THRUST_200600_302600_NS4plusIlEEEEZZNS1_33reduce_by_key_impl_wrapped_configILNS1_25lookback_scan_determinismE0ES3_SB_PS6_NS8_17constant_iteratorIiNS8_11use_defaultESG_EENS8_10device_ptrIS6_EENSI_IlEEPmSA_NS8_8equal_toIS6_EEEE10hipError_tPvRmT2_T3_mT4_T5_T6_T7_T8_P12ihipStream_tbENKUlT_T0_E_clISt17integral_constantIbLb1EES15_EEDaS10_S11_EUlS10_E_NS1_11comp_targetILNS1_3genE9ELNS1_11target_archE1100ELNS1_3gpuE3ELNS1_3repE0EEENS1_30default_config_static_selectorELNS0_4arch9wavefront6targetE1EEEvT1_.private_seg_size, 0
	.set _ZN7rocprim17ROCPRIM_400000_NS6detail17trampoline_kernelINS0_14default_configENS1_29reduce_by_key_config_selectorIN3c104HalfElN6thrust23THRUST_200600_302600_NS4plusIlEEEEZZNS1_33reduce_by_key_impl_wrapped_configILNS1_25lookback_scan_determinismE0ES3_SB_PS6_NS8_17constant_iteratorIiNS8_11use_defaultESG_EENS8_10device_ptrIS6_EENSI_IlEEPmSA_NS8_8equal_toIS6_EEEE10hipError_tPvRmT2_T3_mT4_T5_T6_T7_T8_P12ihipStream_tbENKUlT_T0_E_clISt17integral_constantIbLb1EES15_EEDaS10_S11_EUlS10_E_NS1_11comp_targetILNS1_3genE9ELNS1_11target_archE1100ELNS1_3gpuE3ELNS1_3repE0EEENS1_30default_config_static_selectorELNS0_4arch9wavefront6targetE1EEEvT1_.uses_vcc, 0
	.set _ZN7rocprim17ROCPRIM_400000_NS6detail17trampoline_kernelINS0_14default_configENS1_29reduce_by_key_config_selectorIN3c104HalfElN6thrust23THRUST_200600_302600_NS4plusIlEEEEZZNS1_33reduce_by_key_impl_wrapped_configILNS1_25lookback_scan_determinismE0ES3_SB_PS6_NS8_17constant_iteratorIiNS8_11use_defaultESG_EENS8_10device_ptrIS6_EENSI_IlEEPmSA_NS8_8equal_toIS6_EEEE10hipError_tPvRmT2_T3_mT4_T5_T6_T7_T8_P12ihipStream_tbENKUlT_T0_E_clISt17integral_constantIbLb1EES15_EEDaS10_S11_EUlS10_E_NS1_11comp_targetILNS1_3genE9ELNS1_11target_archE1100ELNS1_3gpuE3ELNS1_3repE0EEENS1_30default_config_static_selectorELNS0_4arch9wavefront6targetE1EEEvT1_.uses_flat_scratch, 0
	.set _ZN7rocprim17ROCPRIM_400000_NS6detail17trampoline_kernelINS0_14default_configENS1_29reduce_by_key_config_selectorIN3c104HalfElN6thrust23THRUST_200600_302600_NS4plusIlEEEEZZNS1_33reduce_by_key_impl_wrapped_configILNS1_25lookback_scan_determinismE0ES3_SB_PS6_NS8_17constant_iteratorIiNS8_11use_defaultESG_EENS8_10device_ptrIS6_EENSI_IlEEPmSA_NS8_8equal_toIS6_EEEE10hipError_tPvRmT2_T3_mT4_T5_T6_T7_T8_P12ihipStream_tbENKUlT_T0_E_clISt17integral_constantIbLb1EES15_EEDaS10_S11_EUlS10_E_NS1_11comp_targetILNS1_3genE9ELNS1_11target_archE1100ELNS1_3gpuE3ELNS1_3repE0EEENS1_30default_config_static_selectorELNS0_4arch9wavefront6targetE1EEEvT1_.has_dyn_sized_stack, 0
	.set _ZN7rocprim17ROCPRIM_400000_NS6detail17trampoline_kernelINS0_14default_configENS1_29reduce_by_key_config_selectorIN3c104HalfElN6thrust23THRUST_200600_302600_NS4plusIlEEEEZZNS1_33reduce_by_key_impl_wrapped_configILNS1_25lookback_scan_determinismE0ES3_SB_PS6_NS8_17constant_iteratorIiNS8_11use_defaultESG_EENS8_10device_ptrIS6_EENSI_IlEEPmSA_NS8_8equal_toIS6_EEEE10hipError_tPvRmT2_T3_mT4_T5_T6_T7_T8_P12ihipStream_tbENKUlT_T0_E_clISt17integral_constantIbLb1EES15_EEDaS10_S11_EUlS10_E_NS1_11comp_targetILNS1_3genE9ELNS1_11target_archE1100ELNS1_3gpuE3ELNS1_3repE0EEENS1_30default_config_static_selectorELNS0_4arch9wavefront6targetE1EEEvT1_.has_recursion, 0
	.set _ZN7rocprim17ROCPRIM_400000_NS6detail17trampoline_kernelINS0_14default_configENS1_29reduce_by_key_config_selectorIN3c104HalfElN6thrust23THRUST_200600_302600_NS4plusIlEEEEZZNS1_33reduce_by_key_impl_wrapped_configILNS1_25lookback_scan_determinismE0ES3_SB_PS6_NS8_17constant_iteratorIiNS8_11use_defaultESG_EENS8_10device_ptrIS6_EENSI_IlEEPmSA_NS8_8equal_toIS6_EEEE10hipError_tPvRmT2_T3_mT4_T5_T6_T7_T8_P12ihipStream_tbENKUlT_T0_E_clISt17integral_constantIbLb1EES15_EEDaS10_S11_EUlS10_E_NS1_11comp_targetILNS1_3genE9ELNS1_11target_archE1100ELNS1_3gpuE3ELNS1_3repE0EEENS1_30default_config_static_selectorELNS0_4arch9wavefront6targetE1EEEvT1_.has_indirect_call, 0
	.section	.AMDGPU.csdata,"",@progbits
; Kernel info:
; codeLenInByte = 0
; TotalNumSgprs: 4
; NumVgprs: 0
; ScratchSize: 0
; MemoryBound: 0
; FloatMode: 240
; IeeeMode: 1
; LDSByteSize: 0 bytes/workgroup (compile time only)
; SGPRBlocks: 0
; VGPRBlocks: 0
; NumSGPRsForWavesPerEU: 4
; NumVGPRsForWavesPerEU: 1
; Occupancy: 10
; WaveLimiterHint : 0
; COMPUTE_PGM_RSRC2:SCRATCH_EN: 0
; COMPUTE_PGM_RSRC2:USER_SGPR: 6
; COMPUTE_PGM_RSRC2:TRAP_HANDLER: 0
; COMPUTE_PGM_RSRC2:TGID_X_EN: 1
; COMPUTE_PGM_RSRC2:TGID_Y_EN: 0
; COMPUTE_PGM_RSRC2:TGID_Z_EN: 0
; COMPUTE_PGM_RSRC2:TIDIG_COMP_CNT: 0
	.section	.text._ZN7rocprim17ROCPRIM_400000_NS6detail17trampoline_kernelINS0_14default_configENS1_29reduce_by_key_config_selectorIN3c104HalfElN6thrust23THRUST_200600_302600_NS4plusIlEEEEZZNS1_33reduce_by_key_impl_wrapped_configILNS1_25lookback_scan_determinismE0ES3_SB_PS6_NS8_17constant_iteratorIiNS8_11use_defaultESG_EENS8_10device_ptrIS6_EENSI_IlEEPmSA_NS8_8equal_toIS6_EEEE10hipError_tPvRmT2_T3_mT4_T5_T6_T7_T8_P12ihipStream_tbENKUlT_T0_E_clISt17integral_constantIbLb1EES15_EEDaS10_S11_EUlS10_E_NS1_11comp_targetILNS1_3genE8ELNS1_11target_archE1030ELNS1_3gpuE2ELNS1_3repE0EEENS1_30default_config_static_selectorELNS0_4arch9wavefront6targetE1EEEvT1_,"axG",@progbits,_ZN7rocprim17ROCPRIM_400000_NS6detail17trampoline_kernelINS0_14default_configENS1_29reduce_by_key_config_selectorIN3c104HalfElN6thrust23THRUST_200600_302600_NS4plusIlEEEEZZNS1_33reduce_by_key_impl_wrapped_configILNS1_25lookback_scan_determinismE0ES3_SB_PS6_NS8_17constant_iteratorIiNS8_11use_defaultESG_EENS8_10device_ptrIS6_EENSI_IlEEPmSA_NS8_8equal_toIS6_EEEE10hipError_tPvRmT2_T3_mT4_T5_T6_T7_T8_P12ihipStream_tbENKUlT_T0_E_clISt17integral_constantIbLb1EES15_EEDaS10_S11_EUlS10_E_NS1_11comp_targetILNS1_3genE8ELNS1_11target_archE1030ELNS1_3gpuE2ELNS1_3repE0EEENS1_30default_config_static_selectorELNS0_4arch9wavefront6targetE1EEEvT1_,comdat
	.protected	_ZN7rocprim17ROCPRIM_400000_NS6detail17trampoline_kernelINS0_14default_configENS1_29reduce_by_key_config_selectorIN3c104HalfElN6thrust23THRUST_200600_302600_NS4plusIlEEEEZZNS1_33reduce_by_key_impl_wrapped_configILNS1_25lookback_scan_determinismE0ES3_SB_PS6_NS8_17constant_iteratorIiNS8_11use_defaultESG_EENS8_10device_ptrIS6_EENSI_IlEEPmSA_NS8_8equal_toIS6_EEEE10hipError_tPvRmT2_T3_mT4_T5_T6_T7_T8_P12ihipStream_tbENKUlT_T0_E_clISt17integral_constantIbLb1EES15_EEDaS10_S11_EUlS10_E_NS1_11comp_targetILNS1_3genE8ELNS1_11target_archE1030ELNS1_3gpuE2ELNS1_3repE0EEENS1_30default_config_static_selectorELNS0_4arch9wavefront6targetE1EEEvT1_ ; -- Begin function _ZN7rocprim17ROCPRIM_400000_NS6detail17trampoline_kernelINS0_14default_configENS1_29reduce_by_key_config_selectorIN3c104HalfElN6thrust23THRUST_200600_302600_NS4plusIlEEEEZZNS1_33reduce_by_key_impl_wrapped_configILNS1_25lookback_scan_determinismE0ES3_SB_PS6_NS8_17constant_iteratorIiNS8_11use_defaultESG_EENS8_10device_ptrIS6_EENSI_IlEEPmSA_NS8_8equal_toIS6_EEEE10hipError_tPvRmT2_T3_mT4_T5_T6_T7_T8_P12ihipStream_tbENKUlT_T0_E_clISt17integral_constantIbLb1EES15_EEDaS10_S11_EUlS10_E_NS1_11comp_targetILNS1_3genE8ELNS1_11target_archE1030ELNS1_3gpuE2ELNS1_3repE0EEENS1_30default_config_static_selectorELNS0_4arch9wavefront6targetE1EEEvT1_
	.globl	_ZN7rocprim17ROCPRIM_400000_NS6detail17trampoline_kernelINS0_14default_configENS1_29reduce_by_key_config_selectorIN3c104HalfElN6thrust23THRUST_200600_302600_NS4plusIlEEEEZZNS1_33reduce_by_key_impl_wrapped_configILNS1_25lookback_scan_determinismE0ES3_SB_PS6_NS8_17constant_iteratorIiNS8_11use_defaultESG_EENS8_10device_ptrIS6_EENSI_IlEEPmSA_NS8_8equal_toIS6_EEEE10hipError_tPvRmT2_T3_mT4_T5_T6_T7_T8_P12ihipStream_tbENKUlT_T0_E_clISt17integral_constantIbLb1EES15_EEDaS10_S11_EUlS10_E_NS1_11comp_targetILNS1_3genE8ELNS1_11target_archE1030ELNS1_3gpuE2ELNS1_3repE0EEENS1_30default_config_static_selectorELNS0_4arch9wavefront6targetE1EEEvT1_
	.p2align	8
	.type	_ZN7rocprim17ROCPRIM_400000_NS6detail17trampoline_kernelINS0_14default_configENS1_29reduce_by_key_config_selectorIN3c104HalfElN6thrust23THRUST_200600_302600_NS4plusIlEEEEZZNS1_33reduce_by_key_impl_wrapped_configILNS1_25lookback_scan_determinismE0ES3_SB_PS6_NS8_17constant_iteratorIiNS8_11use_defaultESG_EENS8_10device_ptrIS6_EENSI_IlEEPmSA_NS8_8equal_toIS6_EEEE10hipError_tPvRmT2_T3_mT4_T5_T6_T7_T8_P12ihipStream_tbENKUlT_T0_E_clISt17integral_constantIbLb1EES15_EEDaS10_S11_EUlS10_E_NS1_11comp_targetILNS1_3genE8ELNS1_11target_archE1030ELNS1_3gpuE2ELNS1_3repE0EEENS1_30default_config_static_selectorELNS0_4arch9wavefront6targetE1EEEvT1_,@function
_ZN7rocprim17ROCPRIM_400000_NS6detail17trampoline_kernelINS0_14default_configENS1_29reduce_by_key_config_selectorIN3c104HalfElN6thrust23THRUST_200600_302600_NS4plusIlEEEEZZNS1_33reduce_by_key_impl_wrapped_configILNS1_25lookback_scan_determinismE0ES3_SB_PS6_NS8_17constant_iteratorIiNS8_11use_defaultESG_EENS8_10device_ptrIS6_EENSI_IlEEPmSA_NS8_8equal_toIS6_EEEE10hipError_tPvRmT2_T3_mT4_T5_T6_T7_T8_P12ihipStream_tbENKUlT_T0_E_clISt17integral_constantIbLb1EES15_EEDaS10_S11_EUlS10_E_NS1_11comp_targetILNS1_3genE8ELNS1_11target_archE1030ELNS1_3gpuE2ELNS1_3repE0EEENS1_30default_config_static_selectorELNS0_4arch9wavefront6targetE1EEEvT1_: ; @_ZN7rocprim17ROCPRIM_400000_NS6detail17trampoline_kernelINS0_14default_configENS1_29reduce_by_key_config_selectorIN3c104HalfElN6thrust23THRUST_200600_302600_NS4plusIlEEEEZZNS1_33reduce_by_key_impl_wrapped_configILNS1_25lookback_scan_determinismE0ES3_SB_PS6_NS8_17constant_iteratorIiNS8_11use_defaultESG_EENS8_10device_ptrIS6_EENSI_IlEEPmSA_NS8_8equal_toIS6_EEEE10hipError_tPvRmT2_T3_mT4_T5_T6_T7_T8_P12ihipStream_tbENKUlT_T0_E_clISt17integral_constantIbLb1EES15_EEDaS10_S11_EUlS10_E_NS1_11comp_targetILNS1_3genE8ELNS1_11target_archE1030ELNS1_3gpuE2ELNS1_3repE0EEENS1_30default_config_static_selectorELNS0_4arch9wavefront6targetE1EEEvT1_
; %bb.0:
	.section	.rodata,"a",@progbits
	.p2align	6, 0x0
	.amdhsa_kernel _ZN7rocprim17ROCPRIM_400000_NS6detail17trampoline_kernelINS0_14default_configENS1_29reduce_by_key_config_selectorIN3c104HalfElN6thrust23THRUST_200600_302600_NS4plusIlEEEEZZNS1_33reduce_by_key_impl_wrapped_configILNS1_25lookback_scan_determinismE0ES3_SB_PS6_NS8_17constant_iteratorIiNS8_11use_defaultESG_EENS8_10device_ptrIS6_EENSI_IlEEPmSA_NS8_8equal_toIS6_EEEE10hipError_tPvRmT2_T3_mT4_T5_T6_T7_T8_P12ihipStream_tbENKUlT_T0_E_clISt17integral_constantIbLb1EES15_EEDaS10_S11_EUlS10_E_NS1_11comp_targetILNS1_3genE8ELNS1_11target_archE1030ELNS1_3gpuE2ELNS1_3repE0EEENS1_30default_config_static_selectorELNS0_4arch9wavefront6targetE1EEEvT1_
		.amdhsa_group_segment_fixed_size 0
		.amdhsa_private_segment_fixed_size 0
		.amdhsa_kernarg_size 144
		.amdhsa_user_sgpr_count 6
		.amdhsa_user_sgpr_private_segment_buffer 1
		.amdhsa_user_sgpr_dispatch_ptr 0
		.amdhsa_user_sgpr_queue_ptr 0
		.amdhsa_user_sgpr_kernarg_segment_ptr 1
		.amdhsa_user_sgpr_dispatch_id 0
		.amdhsa_user_sgpr_flat_scratch_init 0
		.amdhsa_user_sgpr_private_segment_size 0
		.amdhsa_uses_dynamic_stack 0
		.amdhsa_system_sgpr_private_segment_wavefront_offset 0
		.amdhsa_system_sgpr_workgroup_id_x 1
		.amdhsa_system_sgpr_workgroup_id_y 0
		.amdhsa_system_sgpr_workgroup_id_z 0
		.amdhsa_system_sgpr_workgroup_info 0
		.amdhsa_system_vgpr_workitem_id 0
		.amdhsa_next_free_vgpr 1
		.amdhsa_next_free_sgpr 0
		.amdhsa_reserve_vcc 0
		.amdhsa_reserve_flat_scratch 0
		.amdhsa_float_round_mode_32 0
		.amdhsa_float_round_mode_16_64 0
		.amdhsa_float_denorm_mode_32 3
		.amdhsa_float_denorm_mode_16_64 3
		.amdhsa_dx10_clamp 1
		.amdhsa_ieee_mode 1
		.amdhsa_fp16_overflow 0
		.amdhsa_exception_fp_ieee_invalid_op 0
		.amdhsa_exception_fp_denorm_src 0
		.amdhsa_exception_fp_ieee_div_zero 0
		.amdhsa_exception_fp_ieee_overflow 0
		.amdhsa_exception_fp_ieee_underflow 0
		.amdhsa_exception_fp_ieee_inexact 0
		.amdhsa_exception_int_div_zero 0
	.end_amdhsa_kernel
	.section	.text._ZN7rocprim17ROCPRIM_400000_NS6detail17trampoline_kernelINS0_14default_configENS1_29reduce_by_key_config_selectorIN3c104HalfElN6thrust23THRUST_200600_302600_NS4plusIlEEEEZZNS1_33reduce_by_key_impl_wrapped_configILNS1_25lookback_scan_determinismE0ES3_SB_PS6_NS8_17constant_iteratorIiNS8_11use_defaultESG_EENS8_10device_ptrIS6_EENSI_IlEEPmSA_NS8_8equal_toIS6_EEEE10hipError_tPvRmT2_T3_mT4_T5_T6_T7_T8_P12ihipStream_tbENKUlT_T0_E_clISt17integral_constantIbLb1EES15_EEDaS10_S11_EUlS10_E_NS1_11comp_targetILNS1_3genE8ELNS1_11target_archE1030ELNS1_3gpuE2ELNS1_3repE0EEENS1_30default_config_static_selectorELNS0_4arch9wavefront6targetE1EEEvT1_,"axG",@progbits,_ZN7rocprim17ROCPRIM_400000_NS6detail17trampoline_kernelINS0_14default_configENS1_29reduce_by_key_config_selectorIN3c104HalfElN6thrust23THRUST_200600_302600_NS4plusIlEEEEZZNS1_33reduce_by_key_impl_wrapped_configILNS1_25lookback_scan_determinismE0ES3_SB_PS6_NS8_17constant_iteratorIiNS8_11use_defaultESG_EENS8_10device_ptrIS6_EENSI_IlEEPmSA_NS8_8equal_toIS6_EEEE10hipError_tPvRmT2_T3_mT4_T5_T6_T7_T8_P12ihipStream_tbENKUlT_T0_E_clISt17integral_constantIbLb1EES15_EEDaS10_S11_EUlS10_E_NS1_11comp_targetILNS1_3genE8ELNS1_11target_archE1030ELNS1_3gpuE2ELNS1_3repE0EEENS1_30default_config_static_selectorELNS0_4arch9wavefront6targetE1EEEvT1_,comdat
.Lfunc_end2215:
	.size	_ZN7rocprim17ROCPRIM_400000_NS6detail17trampoline_kernelINS0_14default_configENS1_29reduce_by_key_config_selectorIN3c104HalfElN6thrust23THRUST_200600_302600_NS4plusIlEEEEZZNS1_33reduce_by_key_impl_wrapped_configILNS1_25lookback_scan_determinismE0ES3_SB_PS6_NS8_17constant_iteratorIiNS8_11use_defaultESG_EENS8_10device_ptrIS6_EENSI_IlEEPmSA_NS8_8equal_toIS6_EEEE10hipError_tPvRmT2_T3_mT4_T5_T6_T7_T8_P12ihipStream_tbENKUlT_T0_E_clISt17integral_constantIbLb1EES15_EEDaS10_S11_EUlS10_E_NS1_11comp_targetILNS1_3genE8ELNS1_11target_archE1030ELNS1_3gpuE2ELNS1_3repE0EEENS1_30default_config_static_selectorELNS0_4arch9wavefront6targetE1EEEvT1_, .Lfunc_end2215-_ZN7rocprim17ROCPRIM_400000_NS6detail17trampoline_kernelINS0_14default_configENS1_29reduce_by_key_config_selectorIN3c104HalfElN6thrust23THRUST_200600_302600_NS4plusIlEEEEZZNS1_33reduce_by_key_impl_wrapped_configILNS1_25lookback_scan_determinismE0ES3_SB_PS6_NS8_17constant_iteratorIiNS8_11use_defaultESG_EENS8_10device_ptrIS6_EENSI_IlEEPmSA_NS8_8equal_toIS6_EEEE10hipError_tPvRmT2_T3_mT4_T5_T6_T7_T8_P12ihipStream_tbENKUlT_T0_E_clISt17integral_constantIbLb1EES15_EEDaS10_S11_EUlS10_E_NS1_11comp_targetILNS1_3genE8ELNS1_11target_archE1030ELNS1_3gpuE2ELNS1_3repE0EEENS1_30default_config_static_selectorELNS0_4arch9wavefront6targetE1EEEvT1_
                                        ; -- End function
	.set _ZN7rocprim17ROCPRIM_400000_NS6detail17trampoline_kernelINS0_14default_configENS1_29reduce_by_key_config_selectorIN3c104HalfElN6thrust23THRUST_200600_302600_NS4plusIlEEEEZZNS1_33reduce_by_key_impl_wrapped_configILNS1_25lookback_scan_determinismE0ES3_SB_PS6_NS8_17constant_iteratorIiNS8_11use_defaultESG_EENS8_10device_ptrIS6_EENSI_IlEEPmSA_NS8_8equal_toIS6_EEEE10hipError_tPvRmT2_T3_mT4_T5_T6_T7_T8_P12ihipStream_tbENKUlT_T0_E_clISt17integral_constantIbLb1EES15_EEDaS10_S11_EUlS10_E_NS1_11comp_targetILNS1_3genE8ELNS1_11target_archE1030ELNS1_3gpuE2ELNS1_3repE0EEENS1_30default_config_static_selectorELNS0_4arch9wavefront6targetE1EEEvT1_.num_vgpr, 0
	.set _ZN7rocprim17ROCPRIM_400000_NS6detail17trampoline_kernelINS0_14default_configENS1_29reduce_by_key_config_selectorIN3c104HalfElN6thrust23THRUST_200600_302600_NS4plusIlEEEEZZNS1_33reduce_by_key_impl_wrapped_configILNS1_25lookback_scan_determinismE0ES3_SB_PS6_NS8_17constant_iteratorIiNS8_11use_defaultESG_EENS8_10device_ptrIS6_EENSI_IlEEPmSA_NS8_8equal_toIS6_EEEE10hipError_tPvRmT2_T3_mT4_T5_T6_T7_T8_P12ihipStream_tbENKUlT_T0_E_clISt17integral_constantIbLb1EES15_EEDaS10_S11_EUlS10_E_NS1_11comp_targetILNS1_3genE8ELNS1_11target_archE1030ELNS1_3gpuE2ELNS1_3repE0EEENS1_30default_config_static_selectorELNS0_4arch9wavefront6targetE1EEEvT1_.num_agpr, 0
	.set _ZN7rocprim17ROCPRIM_400000_NS6detail17trampoline_kernelINS0_14default_configENS1_29reduce_by_key_config_selectorIN3c104HalfElN6thrust23THRUST_200600_302600_NS4plusIlEEEEZZNS1_33reduce_by_key_impl_wrapped_configILNS1_25lookback_scan_determinismE0ES3_SB_PS6_NS8_17constant_iteratorIiNS8_11use_defaultESG_EENS8_10device_ptrIS6_EENSI_IlEEPmSA_NS8_8equal_toIS6_EEEE10hipError_tPvRmT2_T3_mT4_T5_T6_T7_T8_P12ihipStream_tbENKUlT_T0_E_clISt17integral_constantIbLb1EES15_EEDaS10_S11_EUlS10_E_NS1_11comp_targetILNS1_3genE8ELNS1_11target_archE1030ELNS1_3gpuE2ELNS1_3repE0EEENS1_30default_config_static_selectorELNS0_4arch9wavefront6targetE1EEEvT1_.numbered_sgpr, 0
	.set _ZN7rocprim17ROCPRIM_400000_NS6detail17trampoline_kernelINS0_14default_configENS1_29reduce_by_key_config_selectorIN3c104HalfElN6thrust23THRUST_200600_302600_NS4plusIlEEEEZZNS1_33reduce_by_key_impl_wrapped_configILNS1_25lookback_scan_determinismE0ES3_SB_PS6_NS8_17constant_iteratorIiNS8_11use_defaultESG_EENS8_10device_ptrIS6_EENSI_IlEEPmSA_NS8_8equal_toIS6_EEEE10hipError_tPvRmT2_T3_mT4_T5_T6_T7_T8_P12ihipStream_tbENKUlT_T0_E_clISt17integral_constantIbLb1EES15_EEDaS10_S11_EUlS10_E_NS1_11comp_targetILNS1_3genE8ELNS1_11target_archE1030ELNS1_3gpuE2ELNS1_3repE0EEENS1_30default_config_static_selectorELNS0_4arch9wavefront6targetE1EEEvT1_.num_named_barrier, 0
	.set _ZN7rocprim17ROCPRIM_400000_NS6detail17trampoline_kernelINS0_14default_configENS1_29reduce_by_key_config_selectorIN3c104HalfElN6thrust23THRUST_200600_302600_NS4plusIlEEEEZZNS1_33reduce_by_key_impl_wrapped_configILNS1_25lookback_scan_determinismE0ES3_SB_PS6_NS8_17constant_iteratorIiNS8_11use_defaultESG_EENS8_10device_ptrIS6_EENSI_IlEEPmSA_NS8_8equal_toIS6_EEEE10hipError_tPvRmT2_T3_mT4_T5_T6_T7_T8_P12ihipStream_tbENKUlT_T0_E_clISt17integral_constantIbLb1EES15_EEDaS10_S11_EUlS10_E_NS1_11comp_targetILNS1_3genE8ELNS1_11target_archE1030ELNS1_3gpuE2ELNS1_3repE0EEENS1_30default_config_static_selectorELNS0_4arch9wavefront6targetE1EEEvT1_.private_seg_size, 0
	.set _ZN7rocprim17ROCPRIM_400000_NS6detail17trampoline_kernelINS0_14default_configENS1_29reduce_by_key_config_selectorIN3c104HalfElN6thrust23THRUST_200600_302600_NS4plusIlEEEEZZNS1_33reduce_by_key_impl_wrapped_configILNS1_25lookback_scan_determinismE0ES3_SB_PS6_NS8_17constant_iteratorIiNS8_11use_defaultESG_EENS8_10device_ptrIS6_EENSI_IlEEPmSA_NS8_8equal_toIS6_EEEE10hipError_tPvRmT2_T3_mT4_T5_T6_T7_T8_P12ihipStream_tbENKUlT_T0_E_clISt17integral_constantIbLb1EES15_EEDaS10_S11_EUlS10_E_NS1_11comp_targetILNS1_3genE8ELNS1_11target_archE1030ELNS1_3gpuE2ELNS1_3repE0EEENS1_30default_config_static_selectorELNS0_4arch9wavefront6targetE1EEEvT1_.uses_vcc, 0
	.set _ZN7rocprim17ROCPRIM_400000_NS6detail17trampoline_kernelINS0_14default_configENS1_29reduce_by_key_config_selectorIN3c104HalfElN6thrust23THRUST_200600_302600_NS4plusIlEEEEZZNS1_33reduce_by_key_impl_wrapped_configILNS1_25lookback_scan_determinismE0ES3_SB_PS6_NS8_17constant_iteratorIiNS8_11use_defaultESG_EENS8_10device_ptrIS6_EENSI_IlEEPmSA_NS8_8equal_toIS6_EEEE10hipError_tPvRmT2_T3_mT4_T5_T6_T7_T8_P12ihipStream_tbENKUlT_T0_E_clISt17integral_constantIbLb1EES15_EEDaS10_S11_EUlS10_E_NS1_11comp_targetILNS1_3genE8ELNS1_11target_archE1030ELNS1_3gpuE2ELNS1_3repE0EEENS1_30default_config_static_selectorELNS0_4arch9wavefront6targetE1EEEvT1_.uses_flat_scratch, 0
	.set _ZN7rocprim17ROCPRIM_400000_NS6detail17trampoline_kernelINS0_14default_configENS1_29reduce_by_key_config_selectorIN3c104HalfElN6thrust23THRUST_200600_302600_NS4plusIlEEEEZZNS1_33reduce_by_key_impl_wrapped_configILNS1_25lookback_scan_determinismE0ES3_SB_PS6_NS8_17constant_iteratorIiNS8_11use_defaultESG_EENS8_10device_ptrIS6_EENSI_IlEEPmSA_NS8_8equal_toIS6_EEEE10hipError_tPvRmT2_T3_mT4_T5_T6_T7_T8_P12ihipStream_tbENKUlT_T0_E_clISt17integral_constantIbLb1EES15_EEDaS10_S11_EUlS10_E_NS1_11comp_targetILNS1_3genE8ELNS1_11target_archE1030ELNS1_3gpuE2ELNS1_3repE0EEENS1_30default_config_static_selectorELNS0_4arch9wavefront6targetE1EEEvT1_.has_dyn_sized_stack, 0
	.set _ZN7rocprim17ROCPRIM_400000_NS6detail17trampoline_kernelINS0_14default_configENS1_29reduce_by_key_config_selectorIN3c104HalfElN6thrust23THRUST_200600_302600_NS4plusIlEEEEZZNS1_33reduce_by_key_impl_wrapped_configILNS1_25lookback_scan_determinismE0ES3_SB_PS6_NS8_17constant_iteratorIiNS8_11use_defaultESG_EENS8_10device_ptrIS6_EENSI_IlEEPmSA_NS8_8equal_toIS6_EEEE10hipError_tPvRmT2_T3_mT4_T5_T6_T7_T8_P12ihipStream_tbENKUlT_T0_E_clISt17integral_constantIbLb1EES15_EEDaS10_S11_EUlS10_E_NS1_11comp_targetILNS1_3genE8ELNS1_11target_archE1030ELNS1_3gpuE2ELNS1_3repE0EEENS1_30default_config_static_selectorELNS0_4arch9wavefront6targetE1EEEvT1_.has_recursion, 0
	.set _ZN7rocprim17ROCPRIM_400000_NS6detail17trampoline_kernelINS0_14default_configENS1_29reduce_by_key_config_selectorIN3c104HalfElN6thrust23THRUST_200600_302600_NS4plusIlEEEEZZNS1_33reduce_by_key_impl_wrapped_configILNS1_25lookback_scan_determinismE0ES3_SB_PS6_NS8_17constant_iteratorIiNS8_11use_defaultESG_EENS8_10device_ptrIS6_EENSI_IlEEPmSA_NS8_8equal_toIS6_EEEE10hipError_tPvRmT2_T3_mT4_T5_T6_T7_T8_P12ihipStream_tbENKUlT_T0_E_clISt17integral_constantIbLb1EES15_EEDaS10_S11_EUlS10_E_NS1_11comp_targetILNS1_3genE8ELNS1_11target_archE1030ELNS1_3gpuE2ELNS1_3repE0EEENS1_30default_config_static_selectorELNS0_4arch9wavefront6targetE1EEEvT1_.has_indirect_call, 0
	.section	.AMDGPU.csdata,"",@progbits
; Kernel info:
; codeLenInByte = 0
; TotalNumSgprs: 4
; NumVgprs: 0
; ScratchSize: 0
; MemoryBound: 0
; FloatMode: 240
; IeeeMode: 1
; LDSByteSize: 0 bytes/workgroup (compile time only)
; SGPRBlocks: 0
; VGPRBlocks: 0
; NumSGPRsForWavesPerEU: 4
; NumVGPRsForWavesPerEU: 1
; Occupancy: 10
; WaveLimiterHint : 0
; COMPUTE_PGM_RSRC2:SCRATCH_EN: 0
; COMPUTE_PGM_RSRC2:USER_SGPR: 6
; COMPUTE_PGM_RSRC2:TRAP_HANDLER: 0
; COMPUTE_PGM_RSRC2:TGID_X_EN: 1
; COMPUTE_PGM_RSRC2:TGID_Y_EN: 0
; COMPUTE_PGM_RSRC2:TGID_Z_EN: 0
; COMPUTE_PGM_RSRC2:TIDIG_COMP_CNT: 0
	.section	.text._ZN7rocprim17ROCPRIM_400000_NS6detail17trampoline_kernelINS0_14default_configENS1_29reduce_by_key_config_selectorIN3c104HalfElN6thrust23THRUST_200600_302600_NS4plusIlEEEEZZNS1_33reduce_by_key_impl_wrapped_configILNS1_25lookback_scan_determinismE0ES3_SB_PS6_NS8_17constant_iteratorIiNS8_11use_defaultESG_EENS8_10device_ptrIS6_EENSI_IlEEPmSA_NS8_8equal_toIS6_EEEE10hipError_tPvRmT2_T3_mT4_T5_T6_T7_T8_P12ihipStream_tbENKUlT_T0_E_clISt17integral_constantIbLb1EES14_IbLb0EEEEDaS10_S11_EUlS10_E_NS1_11comp_targetILNS1_3genE0ELNS1_11target_archE4294967295ELNS1_3gpuE0ELNS1_3repE0EEENS1_30default_config_static_selectorELNS0_4arch9wavefront6targetE1EEEvT1_,"axG",@progbits,_ZN7rocprim17ROCPRIM_400000_NS6detail17trampoline_kernelINS0_14default_configENS1_29reduce_by_key_config_selectorIN3c104HalfElN6thrust23THRUST_200600_302600_NS4plusIlEEEEZZNS1_33reduce_by_key_impl_wrapped_configILNS1_25lookback_scan_determinismE0ES3_SB_PS6_NS8_17constant_iteratorIiNS8_11use_defaultESG_EENS8_10device_ptrIS6_EENSI_IlEEPmSA_NS8_8equal_toIS6_EEEE10hipError_tPvRmT2_T3_mT4_T5_T6_T7_T8_P12ihipStream_tbENKUlT_T0_E_clISt17integral_constantIbLb1EES14_IbLb0EEEEDaS10_S11_EUlS10_E_NS1_11comp_targetILNS1_3genE0ELNS1_11target_archE4294967295ELNS1_3gpuE0ELNS1_3repE0EEENS1_30default_config_static_selectorELNS0_4arch9wavefront6targetE1EEEvT1_,comdat
	.protected	_ZN7rocprim17ROCPRIM_400000_NS6detail17trampoline_kernelINS0_14default_configENS1_29reduce_by_key_config_selectorIN3c104HalfElN6thrust23THRUST_200600_302600_NS4plusIlEEEEZZNS1_33reduce_by_key_impl_wrapped_configILNS1_25lookback_scan_determinismE0ES3_SB_PS6_NS8_17constant_iteratorIiNS8_11use_defaultESG_EENS8_10device_ptrIS6_EENSI_IlEEPmSA_NS8_8equal_toIS6_EEEE10hipError_tPvRmT2_T3_mT4_T5_T6_T7_T8_P12ihipStream_tbENKUlT_T0_E_clISt17integral_constantIbLb1EES14_IbLb0EEEEDaS10_S11_EUlS10_E_NS1_11comp_targetILNS1_3genE0ELNS1_11target_archE4294967295ELNS1_3gpuE0ELNS1_3repE0EEENS1_30default_config_static_selectorELNS0_4arch9wavefront6targetE1EEEvT1_ ; -- Begin function _ZN7rocprim17ROCPRIM_400000_NS6detail17trampoline_kernelINS0_14default_configENS1_29reduce_by_key_config_selectorIN3c104HalfElN6thrust23THRUST_200600_302600_NS4plusIlEEEEZZNS1_33reduce_by_key_impl_wrapped_configILNS1_25lookback_scan_determinismE0ES3_SB_PS6_NS8_17constant_iteratorIiNS8_11use_defaultESG_EENS8_10device_ptrIS6_EENSI_IlEEPmSA_NS8_8equal_toIS6_EEEE10hipError_tPvRmT2_T3_mT4_T5_T6_T7_T8_P12ihipStream_tbENKUlT_T0_E_clISt17integral_constantIbLb1EES14_IbLb0EEEEDaS10_S11_EUlS10_E_NS1_11comp_targetILNS1_3genE0ELNS1_11target_archE4294967295ELNS1_3gpuE0ELNS1_3repE0EEENS1_30default_config_static_selectorELNS0_4arch9wavefront6targetE1EEEvT1_
	.globl	_ZN7rocprim17ROCPRIM_400000_NS6detail17trampoline_kernelINS0_14default_configENS1_29reduce_by_key_config_selectorIN3c104HalfElN6thrust23THRUST_200600_302600_NS4plusIlEEEEZZNS1_33reduce_by_key_impl_wrapped_configILNS1_25lookback_scan_determinismE0ES3_SB_PS6_NS8_17constant_iteratorIiNS8_11use_defaultESG_EENS8_10device_ptrIS6_EENSI_IlEEPmSA_NS8_8equal_toIS6_EEEE10hipError_tPvRmT2_T3_mT4_T5_T6_T7_T8_P12ihipStream_tbENKUlT_T0_E_clISt17integral_constantIbLb1EES14_IbLb0EEEEDaS10_S11_EUlS10_E_NS1_11comp_targetILNS1_3genE0ELNS1_11target_archE4294967295ELNS1_3gpuE0ELNS1_3repE0EEENS1_30default_config_static_selectorELNS0_4arch9wavefront6targetE1EEEvT1_
	.p2align	8
	.type	_ZN7rocprim17ROCPRIM_400000_NS6detail17trampoline_kernelINS0_14default_configENS1_29reduce_by_key_config_selectorIN3c104HalfElN6thrust23THRUST_200600_302600_NS4plusIlEEEEZZNS1_33reduce_by_key_impl_wrapped_configILNS1_25lookback_scan_determinismE0ES3_SB_PS6_NS8_17constant_iteratorIiNS8_11use_defaultESG_EENS8_10device_ptrIS6_EENSI_IlEEPmSA_NS8_8equal_toIS6_EEEE10hipError_tPvRmT2_T3_mT4_T5_T6_T7_T8_P12ihipStream_tbENKUlT_T0_E_clISt17integral_constantIbLb1EES14_IbLb0EEEEDaS10_S11_EUlS10_E_NS1_11comp_targetILNS1_3genE0ELNS1_11target_archE4294967295ELNS1_3gpuE0ELNS1_3repE0EEENS1_30default_config_static_selectorELNS0_4arch9wavefront6targetE1EEEvT1_,@function
_ZN7rocprim17ROCPRIM_400000_NS6detail17trampoline_kernelINS0_14default_configENS1_29reduce_by_key_config_selectorIN3c104HalfElN6thrust23THRUST_200600_302600_NS4plusIlEEEEZZNS1_33reduce_by_key_impl_wrapped_configILNS1_25lookback_scan_determinismE0ES3_SB_PS6_NS8_17constant_iteratorIiNS8_11use_defaultESG_EENS8_10device_ptrIS6_EENSI_IlEEPmSA_NS8_8equal_toIS6_EEEE10hipError_tPvRmT2_T3_mT4_T5_T6_T7_T8_P12ihipStream_tbENKUlT_T0_E_clISt17integral_constantIbLb1EES14_IbLb0EEEEDaS10_S11_EUlS10_E_NS1_11comp_targetILNS1_3genE0ELNS1_11target_archE4294967295ELNS1_3gpuE0ELNS1_3repE0EEENS1_30default_config_static_selectorELNS0_4arch9wavefront6targetE1EEEvT1_: ; @_ZN7rocprim17ROCPRIM_400000_NS6detail17trampoline_kernelINS0_14default_configENS1_29reduce_by_key_config_selectorIN3c104HalfElN6thrust23THRUST_200600_302600_NS4plusIlEEEEZZNS1_33reduce_by_key_impl_wrapped_configILNS1_25lookback_scan_determinismE0ES3_SB_PS6_NS8_17constant_iteratorIiNS8_11use_defaultESG_EENS8_10device_ptrIS6_EENSI_IlEEPmSA_NS8_8equal_toIS6_EEEE10hipError_tPvRmT2_T3_mT4_T5_T6_T7_T8_P12ihipStream_tbENKUlT_T0_E_clISt17integral_constantIbLb1EES14_IbLb0EEEEDaS10_S11_EUlS10_E_NS1_11comp_targetILNS1_3genE0ELNS1_11target_archE4294967295ELNS1_3gpuE0ELNS1_3repE0EEENS1_30default_config_static_selectorELNS0_4arch9wavefront6targetE1EEEvT1_
; %bb.0:
	.section	.rodata,"a",@progbits
	.p2align	6, 0x0
	.amdhsa_kernel _ZN7rocprim17ROCPRIM_400000_NS6detail17trampoline_kernelINS0_14default_configENS1_29reduce_by_key_config_selectorIN3c104HalfElN6thrust23THRUST_200600_302600_NS4plusIlEEEEZZNS1_33reduce_by_key_impl_wrapped_configILNS1_25lookback_scan_determinismE0ES3_SB_PS6_NS8_17constant_iteratorIiNS8_11use_defaultESG_EENS8_10device_ptrIS6_EENSI_IlEEPmSA_NS8_8equal_toIS6_EEEE10hipError_tPvRmT2_T3_mT4_T5_T6_T7_T8_P12ihipStream_tbENKUlT_T0_E_clISt17integral_constantIbLb1EES14_IbLb0EEEEDaS10_S11_EUlS10_E_NS1_11comp_targetILNS1_3genE0ELNS1_11target_archE4294967295ELNS1_3gpuE0ELNS1_3repE0EEENS1_30default_config_static_selectorELNS0_4arch9wavefront6targetE1EEEvT1_
		.amdhsa_group_segment_fixed_size 0
		.amdhsa_private_segment_fixed_size 0
		.amdhsa_kernarg_size 144
		.amdhsa_user_sgpr_count 6
		.amdhsa_user_sgpr_private_segment_buffer 1
		.amdhsa_user_sgpr_dispatch_ptr 0
		.amdhsa_user_sgpr_queue_ptr 0
		.amdhsa_user_sgpr_kernarg_segment_ptr 1
		.amdhsa_user_sgpr_dispatch_id 0
		.amdhsa_user_sgpr_flat_scratch_init 0
		.amdhsa_user_sgpr_private_segment_size 0
		.amdhsa_uses_dynamic_stack 0
		.amdhsa_system_sgpr_private_segment_wavefront_offset 0
		.amdhsa_system_sgpr_workgroup_id_x 1
		.amdhsa_system_sgpr_workgroup_id_y 0
		.amdhsa_system_sgpr_workgroup_id_z 0
		.amdhsa_system_sgpr_workgroup_info 0
		.amdhsa_system_vgpr_workitem_id 0
		.amdhsa_next_free_vgpr 1
		.amdhsa_next_free_sgpr 0
		.amdhsa_reserve_vcc 0
		.amdhsa_reserve_flat_scratch 0
		.amdhsa_float_round_mode_32 0
		.amdhsa_float_round_mode_16_64 0
		.amdhsa_float_denorm_mode_32 3
		.amdhsa_float_denorm_mode_16_64 3
		.amdhsa_dx10_clamp 1
		.amdhsa_ieee_mode 1
		.amdhsa_fp16_overflow 0
		.amdhsa_exception_fp_ieee_invalid_op 0
		.amdhsa_exception_fp_denorm_src 0
		.amdhsa_exception_fp_ieee_div_zero 0
		.amdhsa_exception_fp_ieee_overflow 0
		.amdhsa_exception_fp_ieee_underflow 0
		.amdhsa_exception_fp_ieee_inexact 0
		.amdhsa_exception_int_div_zero 0
	.end_amdhsa_kernel
	.section	.text._ZN7rocprim17ROCPRIM_400000_NS6detail17trampoline_kernelINS0_14default_configENS1_29reduce_by_key_config_selectorIN3c104HalfElN6thrust23THRUST_200600_302600_NS4plusIlEEEEZZNS1_33reduce_by_key_impl_wrapped_configILNS1_25lookback_scan_determinismE0ES3_SB_PS6_NS8_17constant_iteratorIiNS8_11use_defaultESG_EENS8_10device_ptrIS6_EENSI_IlEEPmSA_NS8_8equal_toIS6_EEEE10hipError_tPvRmT2_T3_mT4_T5_T6_T7_T8_P12ihipStream_tbENKUlT_T0_E_clISt17integral_constantIbLb1EES14_IbLb0EEEEDaS10_S11_EUlS10_E_NS1_11comp_targetILNS1_3genE0ELNS1_11target_archE4294967295ELNS1_3gpuE0ELNS1_3repE0EEENS1_30default_config_static_selectorELNS0_4arch9wavefront6targetE1EEEvT1_,"axG",@progbits,_ZN7rocprim17ROCPRIM_400000_NS6detail17trampoline_kernelINS0_14default_configENS1_29reduce_by_key_config_selectorIN3c104HalfElN6thrust23THRUST_200600_302600_NS4plusIlEEEEZZNS1_33reduce_by_key_impl_wrapped_configILNS1_25lookback_scan_determinismE0ES3_SB_PS6_NS8_17constant_iteratorIiNS8_11use_defaultESG_EENS8_10device_ptrIS6_EENSI_IlEEPmSA_NS8_8equal_toIS6_EEEE10hipError_tPvRmT2_T3_mT4_T5_T6_T7_T8_P12ihipStream_tbENKUlT_T0_E_clISt17integral_constantIbLb1EES14_IbLb0EEEEDaS10_S11_EUlS10_E_NS1_11comp_targetILNS1_3genE0ELNS1_11target_archE4294967295ELNS1_3gpuE0ELNS1_3repE0EEENS1_30default_config_static_selectorELNS0_4arch9wavefront6targetE1EEEvT1_,comdat
.Lfunc_end2216:
	.size	_ZN7rocprim17ROCPRIM_400000_NS6detail17trampoline_kernelINS0_14default_configENS1_29reduce_by_key_config_selectorIN3c104HalfElN6thrust23THRUST_200600_302600_NS4plusIlEEEEZZNS1_33reduce_by_key_impl_wrapped_configILNS1_25lookback_scan_determinismE0ES3_SB_PS6_NS8_17constant_iteratorIiNS8_11use_defaultESG_EENS8_10device_ptrIS6_EENSI_IlEEPmSA_NS8_8equal_toIS6_EEEE10hipError_tPvRmT2_T3_mT4_T5_T6_T7_T8_P12ihipStream_tbENKUlT_T0_E_clISt17integral_constantIbLb1EES14_IbLb0EEEEDaS10_S11_EUlS10_E_NS1_11comp_targetILNS1_3genE0ELNS1_11target_archE4294967295ELNS1_3gpuE0ELNS1_3repE0EEENS1_30default_config_static_selectorELNS0_4arch9wavefront6targetE1EEEvT1_, .Lfunc_end2216-_ZN7rocprim17ROCPRIM_400000_NS6detail17trampoline_kernelINS0_14default_configENS1_29reduce_by_key_config_selectorIN3c104HalfElN6thrust23THRUST_200600_302600_NS4plusIlEEEEZZNS1_33reduce_by_key_impl_wrapped_configILNS1_25lookback_scan_determinismE0ES3_SB_PS6_NS8_17constant_iteratorIiNS8_11use_defaultESG_EENS8_10device_ptrIS6_EENSI_IlEEPmSA_NS8_8equal_toIS6_EEEE10hipError_tPvRmT2_T3_mT4_T5_T6_T7_T8_P12ihipStream_tbENKUlT_T0_E_clISt17integral_constantIbLb1EES14_IbLb0EEEEDaS10_S11_EUlS10_E_NS1_11comp_targetILNS1_3genE0ELNS1_11target_archE4294967295ELNS1_3gpuE0ELNS1_3repE0EEENS1_30default_config_static_selectorELNS0_4arch9wavefront6targetE1EEEvT1_
                                        ; -- End function
	.set _ZN7rocprim17ROCPRIM_400000_NS6detail17trampoline_kernelINS0_14default_configENS1_29reduce_by_key_config_selectorIN3c104HalfElN6thrust23THRUST_200600_302600_NS4plusIlEEEEZZNS1_33reduce_by_key_impl_wrapped_configILNS1_25lookback_scan_determinismE0ES3_SB_PS6_NS8_17constant_iteratorIiNS8_11use_defaultESG_EENS8_10device_ptrIS6_EENSI_IlEEPmSA_NS8_8equal_toIS6_EEEE10hipError_tPvRmT2_T3_mT4_T5_T6_T7_T8_P12ihipStream_tbENKUlT_T0_E_clISt17integral_constantIbLb1EES14_IbLb0EEEEDaS10_S11_EUlS10_E_NS1_11comp_targetILNS1_3genE0ELNS1_11target_archE4294967295ELNS1_3gpuE0ELNS1_3repE0EEENS1_30default_config_static_selectorELNS0_4arch9wavefront6targetE1EEEvT1_.num_vgpr, 0
	.set _ZN7rocprim17ROCPRIM_400000_NS6detail17trampoline_kernelINS0_14default_configENS1_29reduce_by_key_config_selectorIN3c104HalfElN6thrust23THRUST_200600_302600_NS4plusIlEEEEZZNS1_33reduce_by_key_impl_wrapped_configILNS1_25lookback_scan_determinismE0ES3_SB_PS6_NS8_17constant_iteratorIiNS8_11use_defaultESG_EENS8_10device_ptrIS6_EENSI_IlEEPmSA_NS8_8equal_toIS6_EEEE10hipError_tPvRmT2_T3_mT4_T5_T6_T7_T8_P12ihipStream_tbENKUlT_T0_E_clISt17integral_constantIbLb1EES14_IbLb0EEEEDaS10_S11_EUlS10_E_NS1_11comp_targetILNS1_3genE0ELNS1_11target_archE4294967295ELNS1_3gpuE0ELNS1_3repE0EEENS1_30default_config_static_selectorELNS0_4arch9wavefront6targetE1EEEvT1_.num_agpr, 0
	.set _ZN7rocprim17ROCPRIM_400000_NS6detail17trampoline_kernelINS0_14default_configENS1_29reduce_by_key_config_selectorIN3c104HalfElN6thrust23THRUST_200600_302600_NS4plusIlEEEEZZNS1_33reduce_by_key_impl_wrapped_configILNS1_25lookback_scan_determinismE0ES3_SB_PS6_NS8_17constant_iteratorIiNS8_11use_defaultESG_EENS8_10device_ptrIS6_EENSI_IlEEPmSA_NS8_8equal_toIS6_EEEE10hipError_tPvRmT2_T3_mT4_T5_T6_T7_T8_P12ihipStream_tbENKUlT_T0_E_clISt17integral_constantIbLb1EES14_IbLb0EEEEDaS10_S11_EUlS10_E_NS1_11comp_targetILNS1_3genE0ELNS1_11target_archE4294967295ELNS1_3gpuE0ELNS1_3repE0EEENS1_30default_config_static_selectorELNS0_4arch9wavefront6targetE1EEEvT1_.numbered_sgpr, 0
	.set _ZN7rocprim17ROCPRIM_400000_NS6detail17trampoline_kernelINS0_14default_configENS1_29reduce_by_key_config_selectorIN3c104HalfElN6thrust23THRUST_200600_302600_NS4plusIlEEEEZZNS1_33reduce_by_key_impl_wrapped_configILNS1_25lookback_scan_determinismE0ES3_SB_PS6_NS8_17constant_iteratorIiNS8_11use_defaultESG_EENS8_10device_ptrIS6_EENSI_IlEEPmSA_NS8_8equal_toIS6_EEEE10hipError_tPvRmT2_T3_mT4_T5_T6_T7_T8_P12ihipStream_tbENKUlT_T0_E_clISt17integral_constantIbLb1EES14_IbLb0EEEEDaS10_S11_EUlS10_E_NS1_11comp_targetILNS1_3genE0ELNS1_11target_archE4294967295ELNS1_3gpuE0ELNS1_3repE0EEENS1_30default_config_static_selectorELNS0_4arch9wavefront6targetE1EEEvT1_.num_named_barrier, 0
	.set _ZN7rocprim17ROCPRIM_400000_NS6detail17trampoline_kernelINS0_14default_configENS1_29reduce_by_key_config_selectorIN3c104HalfElN6thrust23THRUST_200600_302600_NS4plusIlEEEEZZNS1_33reduce_by_key_impl_wrapped_configILNS1_25lookback_scan_determinismE0ES3_SB_PS6_NS8_17constant_iteratorIiNS8_11use_defaultESG_EENS8_10device_ptrIS6_EENSI_IlEEPmSA_NS8_8equal_toIS6_EEEE10hipError_tPvRmT2_T3_mT4_T5_T6_T7_T8_P12ihipStream_tbENKUlT_T0_E_clISt17integral_constantIbLb1EES14_IbLb0EEEEDaS10_S11_EUlS10_E_NS1_11comp_targetILNS1_3genE0ELNS1_11target_archE4294967295ELNS1_3gpuE0ELNS1_3repE0EEENS1_30default_config_static_selectorELNS0_4arch9wavefront6targetE1EEEvT1_.private_seg_size, 0
	.set _ZN7rocprim17ROCPRIM_400000_NS6detail17trampoline_kernelINS0_14default_configENS1_29reduce_by_key_config_selectorIN3c104HalfElN6thrust23THRUST_200600_302600_NS4plusIlEEEEZZNS1_33reduce_by_key_impl_wrapped_configILNS1_25lookback_scan_determinismE0ES3_SB_PS6_NS8_17constant_iteratorIiNS8_11use_defaultESG_EENS8_10device_ptrIS6_EENSI_IlEEPmSA_NS8_8equal_toIS6_EEEE10hipError_tPvRmT2_T3_mT4_T5_T6_T7_T8_P12ihipStream_tbENKUlT_T0_E_clISt17integral_constantIbLb1EES14_IbLb0EEEEDaS10_S11_EUlS10_E_NS1_11comp_targetILNS1_3genE0ELNS1_11target_archE4294967295ELNS1_3gpuE0ELNS1_3repE0EEENS1_30default_config_static_selectorELNS0_4arch9wavefront6targetE1EEEvT1_.uses_vcc, 0
	.set _ZN7rocprim17ROCPRIM_400000_NS6detail17trampoline_kernelINS0_14default_configENS1_29reduce_by_key_config_selectorIN3c104HalfElN6thrust23THRUST_200600_302600_NS4plusIlEEEEZZNS1_33reduce_by_key_impl_wrapped_configILNS1_25lookback_scan_determinismE0ES3_SB_PS6_NS8_17constant_iteratorIiNS8_11use_defaultESG_EENS8_10device_ptrIS6_EENSI_IlEEPmSA_NS8_8equal_toIS6_EEEE10hipError_tPvRmT2_T3_mT4_T5_T6_T7_T8_P12ihipStream_tbENKUlT_T0_E_clISt17integral_constantIbLb1EES14_IbLb0EEEEDaS10_S11_EUlS10_E_NS1_11comp_targetILNS1_3genE0ELNS1_11target_archE4294967295ELNS1_3gpuE0ELNS1_3repE0EEENS1_30default_config_static_selectorELNS0_4arch9wavefront6targetE1EEEvT1_.uses_flat_scratch, 0
	.set _ZN7rocprim17ROCPRIM_400000_NS6detail17trampoline_kernelINS0_14default_configENS1_29reduce_by_key_config_selectorIN3c104HalfElN6thrust23THRUST_200600_302600_NS4plusIlEEEEZZNS1_33reduce_by_key_impl_wrapped_configILNS1_25lookback_scan_determinismE0ES3_SB_PS6_NS8_17constant_iteratorIiNS8_11use_defaultESG_EENS8_10device_ptrIS6_EENSI_IlEEPmSA_NS8_8equal_toIS6_EEEE10hipError_tPvRmT2_T3_mT4_T5_T6_T7_T8_P12ihipStream_tbENKUlT_T0_E_clISt17integral_constantIbLb1EES14_IbLb0EEEEDaS10_S11_EUlS10_E_NS1_11comp_targetILNS1_3genE0ELNS1_11target_archE4294967295ELNS1_3gpuE0ELNS1_3repE0EEENS1_30default_config_static_selectorELNS0_4arch9wavefront6targetE1EEEvT1_.has_dyn_sized_stack, 0
	.set _ZN7rocprim17ROCPRIM_400000_NS6detail17trampoline_kernelINS0_14default_configENS1_29reduce_by_key_config_selectorIN3c104HalfElN6thrust23THRUST_200600_302600_NS4plusIlEEEEZZNS1_33reduce_by_key_impl_wrapped_configILNS1_25lookback_scan_determinismE0ES3_SB_PS6_NS8_17constant_iteratorIiNS8_11use_defaultESG_EENS8_10device_ptrIS6_EENSI_IlEEPmSA_NS8_8equal_toIS6_EEEE10hipError_tPvRmT2_T3_mT4_T5_T6_T7_T8_P12ihipStream_tbENKUlT_T0_E_clISt17integral_constantIbLb1EES14_IbLb0EEEEDaS10_S11_EUlS10_E_NS1_11comp_targetILNS1_3genE0ELNS1_11target_archE4294967295ELNS1_3gpuE0ELNS1_3repE0EEENS1_30default_config_static_selectorELNS0_4arch9wavefront6targetE1EEEvT1_.has_recursion, 0
	.set _ZN7rocprim17ROCPRIM_400000_NS6detail17trampoline_kernelINS0_14default_configENS1_29reduce_by_key_config_selectorIN3c104HalfElN6thrust23THRUST_200600_302600_NS4plusIlEEEEZZNS1_33reduce_by_key_impl_wrapped_configILNS1_25lookback_scan_determinismE0ES3_SB_PS6_NS8_17constant_iteratorIiNS8_11use_defaultESG_EENS8_10device_ptrIS6_EENSI_IlEEPmSA_NS8_8equal_toIS6_EEEE10hipError_tPvRmT2_T3_mT4_T5_T6_T7_T8_P12ihipStream_tbENKUlT_T0_E_clISt17integral_constantIbLb1EES14_IbLb0EEEEDaS10_S11_EUlS10_E_NS1_11comp_targetILNS1_3genE0ELNS1_11target_archE4294967295ELNS1_3gpuE0ELNS1_3repE0EEENS1_30default_config_static_selectorELNS0_4arch9wavefront6targetE1EEEvT1_.has_indirect_call, 0
	.section	.AMDGPU.csdata,"",@progbits
; Kernel info:
; codeLenInByte = 0
; TotalNumSgprs: 4
; NumVgprs: 0
; ScratchSize: 0
; MemoryBound: 0
; FloatMode: 240
; IeeeMode: 1
; LDSByteSize: 0 bytes/workgroup (compile time only)
; SGPRBlocks: 0
; VGPRBlocks: 0
; NumSGPRsForWavesPerEU: 4
; NumVGPRsForWavesPerEU: 1
; Occupancy: 10
; WaveLimiterHint : 0
; COMPUTE_PGM_RSRC2:SCRATCH_EN: 0
; COMPUTE_PGM_RSRC2:USER_SGPR: 6
; COMPUTE_PGM_RSRC2:TRAP_HANDLER: 0
; COMPUTE_PGM_RSRC2:TGID_X_EN: 1
; COMPUTE_PGM_RSRC2:TGID_Y_EN: 0
; COMPUTE_PGM_RSRC2:TGID_Z_EN: 0
; COMPUTE_PGM_RSRC2:TIDIG_COMP_CNT: 0
	.section	.text._ZN7rocprim17ROCPRIM_400000_NS6detail17trampoline_kernelINS0_14default_configENS1_29reduce_by_key_config_selectorIN3c104HalfElN6thrust23THRUST_200600_302600_NS4plusIlEEEEZZNS1_33reduce_by_key_impl_wrapped_configILNS1_25lookback_scan_determinismE0ES3_SB_PS6_NS8_17constant_iteratorIiNS8_11use_defaultESG_EENS8_10device_ptrIS6_EENSI_IlEEPmSA_NS8_8equal_toIS6_EEEE10hipError_tPvRmT2_T3_mT4_T5_T6_T7_T8_P12ihipStream_tbENKUlT_T0_E_clISt17integral_constantIbLb1EES14_IbLb0EEEEDaS10_S11_EUlS10_E_NS1_11comp_targetILNS1_3genE5ELNS1_11target_archE942ELNS1_3gpuE9ELNS1_3repE0EEENS1_30default_config_static_selectorELNS0_4arch9wavefront6targetE1EEEvT1_,"axG",@progbits,_ZN7rocprim17ROCPRIM_400000_NS6detail17trampoline_kernelINS0_14default_configENS1_29reduce_by_key_config_selectorIN3c104HalfElN6thrust23THRUST_200600_302600_NS4plusIlEEEEZZNS1_33reduce_by_key_impl_wrapped_configILNS1_25lookback_scan_determinismE0ES3_SB_PS6_NS8_17constant_iteratorIiNS8_11use_defaultESG_EENS8_10device_ptrIS6_EENSI_IlEEPmSA_NS8_8equal_toIS6_EEEE10hipError_tPvRmT2_T3_mT4_T5_T6_T7_T8_P12ihipStream_tbENKUlT_T0_E_clISt17integral_constantIbLb1EES14_IbLb0EEEEDaS10_S11_EUlS10_E_NS1_11comp_targetILNS1_3genE5ELNS1_11target_archE942ELNS1_3gpuE9ELNS1_3repE0EEENS1_30default_config_static_selectorELNS0_4arch9wavefront6targetE1EEEvT1_,comdat
	.protected	_ZN7rocprim17ROCPRIM_400000_NS6detail17trampoline_kernelINS0_14default_configENS1_29reduce_by_key_config_selectorIN3c104HalfElN6thrust23THRUST_200600_302600_NS4plusIlEEEEZZNS1_33reduce_by_key_impl_wrapped_configILNS1_25lookback_scan_determinismE0ES3_SB_PS6_NS8_17constant_iteratorIiNS8_11use_defaultESG_EENS8_10device_ptrIS6_EENSI_IlEEPmSA_NS8_8equal_toIS6_EEEE10hipError_tPvRmT2_T3_mT4_T5_T6_T7_T8_P12ihipStream_tbENKUlT_T0_E_clISt17integral_constantIbLb1EES14_IbLb0EEEEDaS10_S11_EUlS10_E_NS1_11comp_targetILNS1_3genE5ELNS1_11target_archE942ELNS1_3gpuE9ELNS1_3repE0EEENS1_30default_config_static_selectorELNS0_4arch9wavefront6targetE1EEEvT1_ ; -- Begin function _ZN7rocprim17ROCPRIM_400000_NS6detail17trampoline_kernelINS0_14default_configENS1_29reduce_by_key_config_selectorIN3c104HalfElN6thrust23THRUST_200600_302600_NS4plusIlEEEEZZNS1_33reduce_by_key_impl_wrapped_configILNS1_25lookback_scan_determinismE0ES3_SB_PS6_NS8_17constant_iteratorIiNS8_11use_defaultESG_EENS8_10device_ptrIS6_EENSI_IlEEPmSA_NS8_8equal_toIS6_EEEE10hipError_tPvRmT2_T3_mT4_T5_T6_T7_T8_P12ihipStream_tbENKUlT_T0_E_clISt17integral_constantIbLb1EES14_IbLb0EEEEDaS10_S11_EUlS10_E_NS1_11comp_targetILNS1_3genE5ELNS1_11target_archE942ELNS1_3gpuE9ELNS1_3repE0EEENS1_30default_config_static_selectorELNS0_4arch9wavefront6targetE1EEEvT1_
	.globl	_ZN7rocprim17ROCPRIM_400000_NS6detail17trampoline_kernelINS0_14default_configENS1_29reduce_by_key_config_selectorIN3c104HalfElN6thrust23THRUST_200600_302600_NS4plusIlEEEEZZNS1_33reduce_by_key_impl_wrapped_configILNS1_25lookback_scan_determinismE0ES3_SB_PS6_NS8_17constant_iteratorIiNS8_11use_defaultESG_EENS8_10device_ptrIS6_EENSI_IlEEPmSA_NS8_8equal_toIS6_EEEE10hipError_tPvRmT2_T3_mT4_T5_T6_T7_T8_P12ihipStream_tbENKUlT_T0_E_clISt17integral_constantIbLb1EES14_IbLb0EEEEDaS10_S11_EUlS10_E_NS1_11comp_targetILNS1_3genE5ELNS1_11target_archE942ELNS1_3gpuE9ELNS1_3repE0EEENS1_30default_config_static_selectorELNS0_4arch9wavefront6targetE1EEEvT1_
	.p2align	8
	.type	_ZN7rocprim17ROCPRIM_400000_NS6detail17trampoline_kernelINS0_14default_configENS1_29reduce_by_key_config_selectorIN3c104HalfElN6thrust23THRUST_200600_302600_NS4plusIlEEEEZZNS1_33reduce_by_key_impl_wrapped_configILNS1_25lookback_scan_determinismE0ES3_SB_PS6_NS8_17constant_iteratorIiNS8_11use_defaultESG_EENS8_10device_ptrIS6_EENSI_IlEEPmSA_NS8_8equal_toIS6_EEEE10hipError_tPvRmT2_T3_mT4_T5_T6_T7_T8_P12ihipStream_tbENKUlT_T0_E_clISt17integral_constantIbLb1EES14_IbLb0EEEEDaS10_S11_EUlS10_E_NS1_11comp_targetILNS1_3genE5ELNS1_11target_archE942ELNS1_3gpuE9ELNS1_3repE0EEENS1_30default_config_static_selectorELNS0_4arch9wavefront6targetE1EEEvT1_,@function
_ZN7rocprim17ROCPRIM_400000_NS6detail17trampoline_kernelINS0_14default_configENS1_29reduce_by_key_config_selectorIN3c104HalfElN6thrust23THRUST_200600_302600_NS4plusIlEEEEZZNS1_33reduce_by_key_impl_wrapped_configILNS1_25lookback_scan_determinismE0ES3_SB_PS6_NS8_17constant_iteratorIiNS8_11use_defaultESG_EENS8_10device_ptrIS6_EENSI_IlEEPmSA_NS8_8equal_toIS6_EEEE10hipError_tPvRmT2_T3_mT4_T5_T6_T7_T8_P12ihipStream_tbENKUlT_T0_E_clISt17integral_constantIbLb1EES14_IbLb0EEEEDaS10_S11_EUlS10_E_NS1_11comp_targetILNS1_3genE5ELNS1_11target_archE942ELNS1_3gpuE9ELNS1_3repE0EEENS1_30default_config_static_selectorELNS0_4arch9wavefront6targetE1EEEvT1_: ; @_ZN7rocprim17ROCPRIM_400000_NS6detail17trampoline_kernelINS0_14default_configENS1_29reduce_by_key_config_selectorIN3c104HalfElN6thrust23THRUST_200600_302600_NS4plusIlEEEEZZNS1_33reduce_by_key_impl_wrapped_configILNS1_25lookback_scan_determinismE0ES3_SB_PS6_NS8_17constant_iteratorIiNS8_11use_defaultESG_EENS8_10device_ptrIS6_EENSI_IlEEPmSA_NS8_8equal_toIS6_EEEE10hipError_tPvRmT2_T3_mT4_T5_T6_T7_T8_P12ihipStream_tbENKUlT_T0_E_clISt17integral_constantIbLb1EES14_IbLb0EEEEDaS10_S11_EUlS10_E_NS1_11comp_targetILNS1_3genE5ELNS1_11target_archE942ELNS1_3gpuE9ELNS1_3repE0EEENS1_30default_config_static_selectorELNS0_4arch9wavefront6targetE1EEEvT1_
; %bb.0:
	.section	.rodata,"a",@progbits
	.p2align	6, 0x0
	.amdhsa_kernel _ZN7rocprim17ROCPRIM_400000_NS6detail17trampoline_kernelINS0_14default_configENS1_29reduce_by_key_config_selectorIN3c104HalfElN6thrust23THRUST_200600_302600_NS4plusIlEEEEZZNS1_33reduce_by_key_impl_wrapped_configILNS1_25lookback_scan_determinismE0ES3_SB_PS6_NS8_17constant_iteratorIiNS8_11use_defaultESG_EENS8_10device_ptrIS6_EENSI_IlEEPmSA_NS8_8equal_toIS6_EEEE10hipError_tPvRmT2_T3_mT4_T5_T6_T7_T8_P12ihipStream_tbENKUlT_T0_E_clISt17integral_constantIbLb1EES14_IbLb0EEEEDaS10_S11_EUlS10_E_NS1_11comp_targetILNS1_3genE5ELNS1_11target_archE942ELNS1_3gpuE9ELNS1_3repE0EEENS1_30default_config_static_selectorELNS0_4arch9wavefront6targetE1EEEvT1_
		.amdhsa_group_segment_fixed_size 0
		.amdhsa_private_segment_fixed_size 0
		.amdhsa_kernarg_size 144
		.amdhsa_user_sgpr_count 6
		.amdhsa_user_sgpr_private_segment_buffer 1
		.amdhsa_user_sgpr_dispatch_ptr 0
		.amdhsa_user_sgpr_queue_ptr 0
		.amdhsa_user_sgpr_kernarg_segment_ptr 1
		.amdhsa_user_sgpr_dispatch_id 0
		.amdhsa_user_sgpr_flat_scratch_init 0
		.amdhsa_user_sgpr_private_segment_size 0
		.amdhsa_uses_dynamic_stack 0
		.amdhsa_system_sgpr_private_segment_wavefront_offset 0
		.amdhsa_system_sgpr_workgroup_id_x 1
		.amdhsa_system_sgpr_workgroup_id_y 0
		.amdhsa_system_sgpr_workgroup_id_z 0
		.amdhsa_system_sgpr_workgroup_info 0
		.amdhsa_system_vgpr_workitem_id 0
		.amdhsa_next_free_vgpr 1
		.amdhsa_next_free_sgpr 0
		.amdhsa_reserve_vcc 0
		.amdhsa_reserve_flat_scratch 0
		.amdhsa_float_round_mode_32 0
		.amdhsa_float_round_mode_16_64 0
		.amdhsa_float_denorm_mode_32 3
		.amdhsa_float_denorm_mode_16_64 3
		.amdhsa_dx10_clamp 1
		.amdhsa_ieee_mode 1
		.amdhsa_fp16_overflow 0
		.amdhsa_exception_fp_ieee_invalid_op 0
		.amdhsa_exception_fp_denorm_src 0
		.amdhsa_exception_fp_ieee_div_zero 0
		.amdhsa_exception_fp_ieee_overflow 0
		.amdhsa_exception_fp_ieee_underflow 0
		.amdhsa_exception_fp_ieee_inexact 0
		.amdhsa_exception_int_div_zero 0
	.end_amdhsa_kernel
	.section	.text._ZN7rocprim17ROCPRIM_400000_NS6detail17trampoline_kernelINS0_14default_configENS1_29reduce_by_key_config_selectorIN3c104HalfElN6thrust23THRUST_200600_302600_NS4plusIlEEEEZZNS1_33reduce_by_key_impl_wrapped_configILNS1_25lookback_scan_determinismE0ES3_SB_PS6_NS8_17constant_iteratorIiNS8_11use_defaultESG_EENS8_10device_ptrIS6_EENSI_IlEEPmSA_NS8_8equal_toIS6_EEEE10hipError_tPvRmT2_T3_mT4_T5_T6_T7_T8_P12ihipStream_tbENKUlT_T0_E_clISt17integral_constantIbLb1EES14_IbLb0EEEEDaS10_S11_EUlS10_E_NS1_11comp_targetILNS1_3genE5ELNS1_11target_archE942ELNS1_3gpuE9ELNS1_3repE0EEENS1_30default_config_static_selectorELNS0_4arch9wavefront6targetE1EEEvT1_,"axG",@progbits,_ZN7rocprim17ROCPRIM_400000_NS6detail17trampoline_kernelINS0_14default_configENS1_29reduce_by_key_config_selectorIN3c104HalfElN6thrust23THRUST_200600_302600_NS4plusIlEEEEZZNS1_33reduce_by_key_impl_wrapped_configILNS1_25lookback_scan_determinismE0ES3_SB_PS6_NS8_17constant_iteratorIiNS8_11use_defaultESG_EENS8_10device_ptrIS6_EENSI_IlEEPmSA_NS8_8equal_toIS6_EEEE10hipError_tPvRmT2_T3_mT4_T5_T6_T7_T8_P12ihipStream_tbENKUlT_T0_E_clISt17integral_constantIbLb1EES14_IbLb0EEEEDaS10_S11_EUlS10_E_NS1_11comp_targetILNS1_3genE5ELNS1_11target_archE942ELNS1_3gpuE9ELNS1_3repE0EEENS1_30default_config_static_selectorELNS0_4arch9wavefront6targetE1EEEvT1_,comdat
.Lfunc_end2217:
	.size	_ZN7rocprim17ROCPRIM_400000_NS6detail17trampoline_kernelINS0_14default_configENS1_29reduce_by_key_config_selectorIN3c104HalfElN6thrust23THRUST_200600_302600_NS4plusIlEEEEZZNS1_33reduce_by_key_impl_wrapped_configILNS1_25lookback_scan_determinismE0ES3_SB_PS6_NS8_17constant_iteratorIiNS8_11use_defaultESG_EENS8_10device_ptrIS6_EENSI_IlEEPmSA_NS8_8equal_toIS6_EEEE10hipError_tPvRmT2_T3_mT4_T5_T6_T7_T8_P12ihipStream_tbENKUlT_T0_E_clISt17integral_constantIbLb1EES14_IbLb0EEEEDaS10_S11_EUlS10_E_NS1_11comp_targetILNS1_3genE5ELNS1_11target_archE942ELNS1_3gpuE9ELNS1_3repE0EEENS1_30default_config_static_selectorELNS0_4arch9wavefront6targetE1EEEvT1_, .Lfunc_end2217-_ZN7rocprim17ROCPRIM_400000_NS6detail17trampoline_kernelINS0_14default_configENS1_29reduce_by_key_config_selectorIN3c104HalfElN6thrust23THRUST_200600_302600_NS4plusIlEEEEZZNS1_33reduce_by_key_impl_wrapped_configILNS1_25lookback_scan_determinismE0ES3_SB_PS6_NS8_17constant_iteratorIiNS8_11use_defaultESG_EENS8_10device_ptrIS6_EENSI_IlEEPmSA_NS8_8equal_toIS6_EEEE10hipError_tPvRmT2_T3_mT4_T5_T6_T7_T8_P12ihipStream_tbENKUlT_T0_E_clISt17integral_constantIbLb1EES14_IbLb0EEEEDaS10_S11_EUlS10_E_NS1_11comp_targetILNS1_3genE5ELNS1_11target_archE942ELNS1_3gpuE9ELNS1_3repE0EEENS1_30default_config_static_selectorELNS0_4arch9wavefront6targetE1EEEvT1_
                                        ; -- End function
	.set _ZN7rocprim17ROCPRIM_400000_NS6detail17trampoline_kernelINS0_14default_configENS1_29reduce_by_key_config_selectorIN3c104HalfElN6thrust23THRUST_200600_302600_NS4plusIlEEEEZZNS1_33reduce_by_key_impl_wrapped_configILNS1_25lookback_scan_determinismE0ES3_SB_PS6_NS8_17constant_iteratorIiNS8_11use_defaultESG_EENS8_10device_ptrIS6_EENSI_IlEEPmSA_NS8_8equal_toIS6_EEEE10hipError_tPvRmT2_T3_mT4_T5_T6_T7_T8_P12ihipStream_tbENKUlT_T0_E_clISt17integral_constantIbLb1EES14_IbLb0EEEEDaS10_S11_EUlS10_E_NS1_11comp_targetILNS1_3genE5ELNS1_11target_archE942ELNS1_3gpuE9ELNS1_3repE0EEENS1_30default_config_static_selectorELNS0_4arch9wavefront6targetE1EEEvT1_.num_vgpr, 0
	.set _ZN7rocprim17ROCPRIM_400000_NS6detail17trampoline_kernelINS0_14default_configENS1_29reduce_by_key_config_selectorIN3c104HalfElN6thrust23THRUST_200600_302600_NS4plusIlEEEEZZNS1_33reduce_by_key_impl_wrapped_configILNS1_25lookback_scan_determinismE0ES3_SB_PS6_NS8_17constant_iteratorIiNS8_11use_defaultESG_EENS8_10device_ptrIS6_EENSI_IlEEPmSA_NS8_8equal_toIS6_EEEE10hipError_tPvRmT2_T3_mT4_T5_T6_T7_T8_P12ihipStream_tbENKUlT_T0_E_clISt17integral_constantIbLb1EES14_IbLb0EEEEDaS10_S11_EUlS10_E_NS1_11comp_targetILNS1_3genE5ELNS1_11target_archE942ELNS1_3gpuE9ELNS1_3repE0EEENS1_30default_config_static_selectorELNS0_4arch9wavefront6targetE1EEEvT1_.num_agpr, 0
	.set _ZN7rocprim17ROCPRIM_400000_NS6detail17trampoline_kernelINS0_14default_configENS1_29reduce_by_key_config_selectorIN3c104HalfElN6thrust23THRUST_200600_302600_NS4plusIlEEEEZZNS1_33reduce_by_key_impl_wrapped_configILNS1_25lookback_scan_determinismE0ES3_SB_PS6_NS8_17constant_iteratorIiNS8_11use_defaultESG_EENS8_10device_ptrIS6_EENSI_IlEEPmSA_NS8_8equal_toIS6_EEEE10hipError_tPvRmT2_T3_mT4_T5_T6_T7_T8_P12ihipStream_tbENKUlT_T0_E_clISt17integral_constantIbLb1EES14_IbLb0EEEEDaS10_S11_EUlS10_E_NS1_11comp_targetILNS1_3genE5ELNS1_11target_archE942ELNS1_3gpuE9ELNS1_3repE0EEENS1_30default_config_static_selectorELNS0_4arch9wavefront6targetE1EEEvT1_.numbered_sgpr, 0
	.set _ZN7rocprim17ROCPRIM_400000_NS6detail17trampoline_kernelINS0_14default_configENS1_29reduce_by_key_config_selectorIN3c104HalfElN6thrust23THRUST_200600_302600_NS4plusIlEEEEZZNS1_33reduce_by_key_impl_wrapped_configILNS1_25lookback_scan_determinismE0ES3_SB_PS6_NS8_17constant_iteratorIiNS8_11use_defaultESG_EENS8_10device_ptrIS6_EENSI_IlEEPmSA_NS8_8equal_toIS6_EEEE10hipError_tPvRmT2_T3_mT4_T5_T6_T7_T8_P12ihipStream_tbENKUlT_T0_E_clISt17integral_constantIbLb1EES14_IbLb0EEEEDaS10_S11_EUlS10_E_NS1_11comp_targetILNS1_3genE5ELNS1_11target_archE942ELNS1_3gpuE9ELNS1_3repE0EEENS1_30default_config_static_selectorELNS0_4arch9wavefront6targetE1EEEvT1_.num_named_barrier, 0
	.set _ZN7rocprim17ROCPRIM_400000_NS6detail17trampoline_kernelINS0_14default_configENS1_29reduce_by_key_config_selectorIN3c104HalfElN6thrust23THRUST_200600_302600_NS4plusIlEEEEZZNS1_33reduce_by_key_impl_wrapped_configILNS1_25lookback_scan_determinismE0ES3_SB_PS6_NS8_17constant_iteratorIiNS8_11use_defaultESG_EENS8_10device_ptrIS6_EENSI_IlEEPmSA_NS8_8equal_toIS6_EEEE10hipError_tPvRmT2_T3_mT4_T5_T6_T7_T8_P12ihipStream_tbENKUlT_T0_E_clISt17integral_constantIbLb1EES14_IbLb0EEEEDaS10_S11_EUlS10_E_NS1_11comp_targetILNS1_3genE5ELNS1_11target_archE942ELNS1_3gpuE9ELNS1_3repE0EEENS1_30default_config_static_selectorELNS0_4arch9wavefront6targetE1EEEvT1_.private_seg_size, 0
	.set _ZN7rocprim17ROCPRIM_400000_NS6detail17trampoline_kernelINS0_14default_configENS1_29reduce_by_key_config_selectorIN3c104HalfElN6thrust23THRUST_200600_302600_NS4plusIlEEEEZZNS1_33reduce_by_key_impl_wrapped_configILNS1_25lookback_scan_determinismE0ES3_SB_PS6_NS8_17constant_iteratorIiNS8_11use_defaultESG_EENS8_10device_ptrIS6_EENSI_IlEEPmSA_NS8_8equal_toIS6_EEEE10hipError_tPvRmT2_T3_mT4_T5_T6_T7_T8_P12ihipStream_tbENKUlT_T0_E_clISt17integral_constantIbLb1EES14_IbLb0EEEEDaS10_S11_EUlS10_E_NS1_11comp_targetILNS1_3genE5ELNS1_11target_archE942ELNS1_3gpuE9ELNS1_3repE0EEENS1_30default_config_static_selectorELNS0_4arch9wavefront6targetE1EEEvT1_.uses_vcc, 0
	.set _ZN7rocprim17ROCPRIM_400000_NS6detail17trampoline_kernelINS0_14default_configENS1_29reduce_by_key_config_selectorIN3c104HalfElN6thrust23THRUST_200600_302600_NS4plusIlEEEEZZNS1_33reduce_by_key_impl_wrapped_configILNS1_25lookback_scan_determinismE0ES3_SB_PS6_NS8_17constant_iteratorIiNS8_11use_defaultESG_EENS8_10device_ptrIS6_EENSI_IlEEPmSA_NS8_8equal_toIS6_EEEE10hipError_tPvRmT2_T3_mT4_T5_T6_T7_T8_P12ihipStream_tbENKUlT_T0_E_clISt17integral_constantIbLb1EES14_IbLb0EEEEDaS10_S11_EUlS10_E_NS1_11comp_targetILNS1_3genE5ELNS1_11target_archE942ELNS1_3gpuE9ELNS1_3repE0EEENS1_30default_config_static_selectorELNS0_4arch9wavefront6targetE1EEEvT1_.uses_flat_scratch, 0
	.set _ZN7rocprim17ROCPRIM_400000_NS6detail17trampoline_kernelINS0_14default_configENS1_29reduce_by_key_config_selectorIN3c104HalfElN6thrust23THRUST_200600_302600_NS4plusIlEEEEZZNS1_33reduce_by_key_impl_wrapped_configILNS1_25lookback_scan_determinismE0ES3_SB_PS6_NS8_17constant_iteratorIiNS8_11use_defaultESG_EENS8_10device_ptrIS6_EENSI_IlEEPmSA_NS8_8equal_toIS6_EEEE10hipError_tPvRmT2_T3_mT4_T5_T6_T7_T8_P12ihipStream_tbENKUlT_T0_E_clISt17integral_constantIbLb1EES14_IbLb0EEEEDaS10_S11_EUlS10_E_NS1_11comp_targetILNS1_3genE5ELNS1_11target_archE942ELNS1_3gpuE9ELNS1_3repE0EEENS1_30default_config_static_selectorELNS0_4arch9wavefront6targetE1EEEvT1_.has_dyn_sized_stack, 0
	.set _ZN7rocprim17ROCPRIM_400000_NS6detail17trampoline_kernelINS0_14default_configENS1_29reduce_by_key_config_selectorIN3c104HalfElN6thrust23THRUST_200600_302600_NS4plusIlEEEEZZNS1_33reduce_by_key_impl_wrapped_configILNS1_25lookback_scan_determinismE0ES3_SB_PS6_NS8_17constant_iteratorIiNS8_11use_defaultESG_EENS8_10device_ptrIS6_EENSI_IlEEPmSA_NS8_8equal_toIS6_EEEE10hipError_tPvRmT2_T3_mT4_T5_T6_T7_T8_P12ihipStream_tbENKUlT_T0_E_clISt17integral_constantIbLb1EES14_IbLb0EEEEDaS10_S11_EUlS10_E_NS1_11comp_targetILNS1_3genE5ELNS1_11target_archE942ELNS1_3gpuE9ELNS1_3repE0EEENS1_30default_config_static_selectorELNS0_4arch9wavefront6targetE1EEEvT1_.has_recursion, 0
	.set _ZN7rocprim17ROCPRIM_400000_NS6detail17trampoline_kernelINS0_14default_configENS1_29reduce_by_key_config_selectorIN3c104HalfElN6thrust23THRUST_200600_302600_NS4plusIlEEEEZZNS1_33reduce_by_key_impl_wrapped_configILNS1_25lookback_scan_determinismE0ES3_SB_PS6_NS8_17constant_iteratorIiNS8_11use_defaultESG_EENS8_10device_ptrIS6_EENSI_IlEEPmSA_NS8_8equal_toIS6_EEEE10hipError_tPvRmT2_T3_mT4_T5_T6_T7_T8_P12ihipStream_tbENKUlT_T0_E_clISt17integral_constantIbLb1EES14_IbLb0EEEEDaS10_S11_EUlS10_E_NS1_11comp_targetILNS1_3genE5ELNS1_11target_archE942ELNS1_3gpuE9ELNS1_3repE0EEENS1_30default_config_static_selectorELNS0_4arch9wavefront6targetE1EEEvT1_.has_indirect_call, 0
	.section	.AMDGPU.csdata,"",@progbits
; Kernel info:
; codeLenInByte = 0
; TotalNumSgprs: 4
; NumVgprs: 0
; ScratchSize: 0
; MemoryBound: 0
; FloatMode: 240
; IeeeMode: 1
; LDSByteSize: 0 bytes/workgroup (compile time only)
; SGPRBlocks: 0
; VGPRBlocks: 0
; NumSGPRsForWavesPerEU: 4
; NumVGPRsForWavesPerEU: 1
; Occupancy: 10
; WaveLimiterHint : 0
; COMPUTE_PGM_RSRC2:SCRATCH_EN: 0
; COMPUTE_PGM_RSRC2:USER_SGPR: 6
; COMPUTE_PGM_RSRC2:TRAP_HANDLER: 0
; COMPUTE_PGM_RSRC2:TGID_X_EN: 1
; COMPUTE_PGM_RSRC2:TGID_Y_EN: 0
; COMPUTE_PGM_RSRC2:TGID_Z_EN: 0
; COMPUTE_PGM_RSRC2:TIDIG_COMP_CNT: 0
	.section	.text._ZN7rocprim17ROCPRIM_400000_NS6detail17trampoline_kernelINS0_14default_configENS1_29reduce_by_key_config_selectorIN3c104HalfElN6thrust23THRUST_200600_302600_NS4plusIlEEEEZZNS1_33reduce_by_key_impl_wrapped_configILNS1_25lookback_scan_determinismE0ES3_SB_PS6_NS8_17constant_iteratorIiNS8_11use_defaultESG_EENS8_10device_ptrIS6_EENSI_IlEEPmSA_NS8_8equal_toIS6_EEEE10hipError_tPvRmT2_T3_mT4_T5_T6_T7_T8_P12ihipStream_tbENKUlT_T0_E_clISt17integral_constantIbLb1EES14_IbLb0EEEEDaS10_S11_EUlS10_E_NS1_11comp_targetILNS1_3genE4ELNS1_11target_archE910ELNS1_3gpuE8ELNS1_3repE0EEENS1_30default_config_static_selectorELNS0_4arch9wavefront6targetE1EEEvT1_,"axG",@progbits,_ZN7rocprim17ROCPRIM_400000_NS6detail17trampoline_kernelINS0_14default_configENS1_29reduce_by_key_config_selectorIN3c104HalfElN6thrust23THRUST_200600_302600_NS4plusIlEEEEZZNS1_33reduce_by_key_impl_wrapped_configILNS1_25lookback_scan_determinismE0ES3_SB_PS6_NS8_17constant_iteratorIiNS8_11use_defaultESG_EENS8_10device_ptrIS6_EENSI_IlEEPmSA_NS8_8equal_toIS6_EEEE10hipError_tPvRmT2_T3_mT4_T5_T6_T7_T8_P12ihipStream_tbENKUlT_T0_E_clISt17integral_constantIbLb1EES14_IbLb0EEEEDaS10_S11_EUlS10_E_NS1_11comp_targetILNS1_3genE4ELNS1_11target_archE910ELNS1_3gpuE8ELNS1_3repE0EEENS1_30default_config_static_selectorELNS0_4arch9wavefront6targetE1EEEvT1_,comdat
	.protected	_ZN7rocprim17ROCPRIM_400000_NS6detail17trampoline_kernelINS0_14default_configENS1_29reduce_by_key_config_selectorIN3c104HalfElN6thrust23THRUST_200600_302600_NS4plusIlEEEEZZNS1_33reduce_by_key_impl_wrapped_configILNS1_25lookback_scan_determinismE0ES3_SB_PS6_NS8_17constant_iteratorIiNS8_11use_defaultESG_EENS8_10device_ptrIS6_EENSI_IlEEPmSA_NS8_8equal_toIS6_EEEE10hipError_tPvRmT2_T3_mT4_T5_T6_T7_T8_P12ihipStream_tbENKUlT_T0_E_clISt17integral_constantIbLb1EES14_IbLb0EEEEDaS10_S11_EUlS10_E_NS1_11comp_targetILNS1_3genE4ELNS1_11target_archE910ELNS1_3gpuE8ELNS1_3repE0EEENS1_30default_config_static_selectorELNS0_4arch9wavefront6targetE1EEEvT1_ ; -- Begin function _ZN7rocprim17ROCPRIM_400000_NS6detail17trampoline_kernelINS0_14default_configENS1_29reduce_by_key_config_selectorIN3c104HalfElN6thrust23THRUST_200600_302600_NS4plusIlEEEEZZNS1_33reduce_by_key_impl_wrapped_configILNS1_25lookback_scan_determinismE0ES3_SB_PS6_NS8_17constant_iteratorIiNS8_11use_defaultESG_EENS8_10device_ptrIS6_EENSI_IlEEPmSA_NS8_8equal_toIS6_EEEE10hipError_tPvRmT2_T3_mT4_T5_T6_T7_T8_P12ihipStream_tbENKUlT_T0_E_clISt17integral_constantIbLb1EES14_IbLb0EEEEDaS10_S11_EUlS10_E_NS1_11comp_targetILNS1_3genE4ELNS1_11target_archE910ELNS1_3gpuE8ELNS1_3repE0EEENS1_30default_config_static_selectorELNS0_4arch9wavefront6targetE1EEEvT1_
	.globl	_ZN7rocprim17ROCPRIM_400000_NS6detail17trampoline_kernelINS0_14default_configENS1_29reduce_by_key_config_selectorIN3c104HalfElN6thrust23THRUST_200600_302600_NS4plusIlEEEEZZNS1_33reduce_by_key_impl_wrapped_configILNS1_25lookback_scan_determinismE0ES3_SB_PS6_NS8_17constant_iteratorIiNS8_11use_defaultESG_EENS8_10device_ptrIS6_EENSI_IlEEPmSA_NS8_8equal_toIS6_EEEE10hipError_tPvRmT2_T3_mT4_T5_T6_T7_T8_P12ihipStream_tbENKUlT_T0_E_clISt17integral_constantIbLb1EES14_IbLb0EEEEDaS10_S11_EUlS10_E_NS1_11comp_targetILNS1_3genE4ELNS1_11target_archE910ELNS1_3gpuE8ELNS1_3repE0EEENS1_30default_config_static_selectorELNS0_4arch9wavefront6targetE1EEEvT1_
	.p2align	8
	.type	_ZN7rocprim17ROCPRIM_400000_NS6detail17trampoline_kernelINS0_14default_configENS1_29reduce_by_key_config_selectorIN3c104HalfElN6thrust23THRUST_200600_302600_NS4plusIlEEEEZZNS1_33reduce_by_key_impl_wrapped_configILNS1_25lookback_scan_determinismE0ES3_SB_PS6_NS8_17constant_iteratorIiNS8_11use_defaultESG_EENS8_10device_ptrIS6_EENSI_IlEEPmSA_NS8_8equal_toIS6_EEEE10hipError_tPvRmT2_T3_mT4_T5_T6_T7_T8_P12ihipStream_tbENKUlT_T0_E_clISt17integral_constantIbLb1EES14_IbLb0EEEEDaS10_S11_EUlS10_E_NS1_11comp_targetILNS1_3genE4ELNS1_11target_archE910ELNS1_3gpuE8ELNS1_3repE0EEENS1_30default_config_static_selectorELNS0_4arch9wavefront6targetE1EEEvT1_,@function
_ZN7rocprim17ROCPRIM_400000_NS6detail17trampoline_kernelINS0_14default_configENS1_29reduce_by_key_config_selectorIN3c104HalfElN6thrust23THRUST_200600_302600_NS4plusIlEEEEZZNS1_33reduce_by_key_impl_wrapped_configILNS1_25lookback_scan_determinismE0ES3_SB_PS6_NS8_17constant_iteratorIiNS8_11use_defaultESG_EENS8_10device_ptrIS6_EENSI_IlEEPmSA_NS8_8equal_toIS6_EEEE10hipError_tPvRmT2_T3_mT4_T5_T6_T7_T8_P12ihipStream_tbENKUlT_T0_E_clISt17integral_constantIbLb1EES14_IbLb0EEEEDaS10_S11_EUlS10_E_NS1_11comp_targetILNS1_3genE4ELNS1_11target_archE910ELNS1_3gpuE8ELNS1_3repE0EEENS1_30default_config_static_selectorELNS0_4arch9wavefront6targetE1EEEvT1_: ; @_ZN7rocprim17ROCPRIM_400000_NS6detail17trampoline_kernelINS0_14default_configENS1_29reduce_by_key_config_selectorIN3c104HalfElN6thrust23THRUST_200600_302600_NS4plusIlEEEEZZNS1_33reduce_by_key_impl_wrapped_configILNS1_25lookback_scan_determinismE0ES3_SB_PS6_NS8_17constant_iteratorIiNS8_11use_defaultESG_EENS8_10device_ptrIS6_EENSI_IlEEPmSA_NS8_8equal_toIS6_EEEE10hipError_tPvRmT2_T3_mT4_T5_T6_T7_T8_P12ihipStream_tbENKUlT_T0_E_clISt17integral_constantIbLb1EES14_IbLb0EEEEDaS10_S11_EUlS10_E_NS1_11comp_targetILNS1_3genE4ELNS1_11target_archE910ELNS1_3gpuE8ELNS1_3repE0EEENS1_30default_config_static_selectorELNS0_4arch9wavefront6targetE1EEEvT1_
; %bb.0:
	.section	.rodata,"a",@progbits
	.p2align	6, 0x0
	.amdhsa_kernel _ZN7rocprim17ROCPRIM_400000_NS6detail17trampoline_kernelINS0_14default_configENS1_29reduce_by_key_config_selectorIN3c104HalfElN6thrust23THRUST_200600_302600_NS4plusIlEEEEZZNS1_33reduce_by_key_impl_wrapped_configILNS1_25lookback_scan_determinismE0ES3_SB_PS6_NS8_17constant_iteratorIiNS8_11use_defaultESG_EENS8_10device_ptrIS6_EENSI_IlEEPmSA_NS8_8equal_toIS6_EEEE10hipError_tPvRmT2_T3_mT4_T5_T6_T7_T8_P12ihipStream_tbENKUlT_T0_E_clISt17integral_constantIbLb1EES14_IbLb0EEEEDaS10_S11_EUlS10_E_NS1_11comp_targetILNS1_3genE4ELNS1_11target_archE910ELNS1_3gpuE8ELNS1_3repE0EEENS1_30default_config_static_selectorELNS0_4arch9wavefront6targetE1EEEvT1_
		.amdhsa_group_segment_fixed_size 0
		.amdhsa_private_segment_fixed_size 0
		.amdhsa_kernarg_size 144
		.amdhsa_user_sgpr_count 6
		.amdhsa_user_sgpr_private_segment_buffer 1
		.amdhsa_user_sgpr_dispatch_ptr 0
		.amdhsa_user_sgpr_queue_ptr 0
		.amdhsa_user_sgpr_kernarg_segment_ptr 1
		.amdhsa_user_sgpr_dispatch_id 0
		.amdhsa_user_sgpr_flat_scratch_init 0
		.amdhsa_user_sgpr_private_segment_size 0
		.amdhsa_uses_dynamic_stack 0
		.amdhsa_system_sgpr_private_segment_wavefront_offset 0
		.amdhsa_system_sgpr_workgroup_id_x 1
		.amdhsa_system_sgpr_workgroup_id_y 0
		.amdhsa_system_sgpr_workgroup_id_z 0
		.amdhsa_system_sgpr_workgroup_info 0
		.amdhsa_system_vgpr_workitem_id 0
		.amdhsa_next_free_vgpr 1
		.amdhsa_next_free_sgpr 0
		.amdhsa_reserve_vcc 0
		.amdhsa_reserve_flat_scratch 0
		.amdhsa_float_round_mode_32 0
		.amdhsa_float_round_mode_16_64 0
		.amdhsa_float_denorm_mode_32 3
		.amdhsa_float_denorm_mode_16_64 3
		.amdhsa_dx10_clamp 1
		.amdhsa_ieee_mode 1
		.amdhsa_fp16_overflow 0
		.amdhsa_exception_fp_ieee_invalid_op 0
		.amdhsa_exception_fp_denorm_src 0
		.amdhsa_exception_fp_ieee_div_zero 0
		.amdhsa_exception_fp_ieee_overflow 0
		.amdhsa_exception_fp_ieee_underflow 0
		.amdhsa_exception_fp_ieee_inexact 0
		.amdhsa_exception_int_div_zero 0
	.end_amdhsa_kernel
	.section	.text._ZN7rocprim17ROCPRIM_400000_NS6detail17trampoline_kernelINS0_14default_configENS1_29reduce_by_key_config_selectorIN3c104HalfElN6thrust23THRUST_200600_302600_NS4plusIlEEEEZZNS1_33reduce_by_key_impl_wrapped_configILNS1_25lookback_scan_determinismE0ES3_SB_PS6_NS8_17constant_iteratorIiNS8_11use_defaultESG_EENS8_10device_ptrIS6_EENSI_IlEEPmSA_NS8_8equal_toIS6_EEEE10hipError_tPvRmT2_T3_mT4_T5_T6_T7_T8_P12ihipStream_tbENKUlT_T0_E_clISt17integral_constantIbLb1EES14_IbLb0EEEEDaS10_S11_EUlS10_E_NS1_11comp_targetILNS1_3genE4ELNS1_11target_archE910ELNS1_3gpuE8ELNS1_3repE0EEENS1_30default_config_static_selectorELNS0_4arch9wavefront6targetE1EEEvT1_,"axG",@progbits,_ZN7rocprim17ROCPRIM_400000_NS6detail17trampoline_kernelINS0_14default_configENS1_29reduce_by_key_config_selectorIN3c104HalfElN6thrust23THRUST_200600_302600_NS4plusIlEEEEZZNS1_33reduce_by_key_impl_wrapped_configILNS1_25lookback_scan_determinismE0ES3_SB_PS6_NS8_17constant_iteratorIiNS8_11use_defaultESG_EENS8_10device_ptrIS6_EENSI_IlEEPmSA_NS8_8equal_toIS6_EEEE10hipError_tPvRmT2_T3_mT4_T5_T6_T7_T8_P12ihipStream_tbENKUlT_T0_E_clISt17integral_constantIbLb1EES14_IbLb0EEEEDaS10_S11_EUlS10_E_NS1_11comp_targetILNS1_3genE4ELNS1_11target_archE910ELNS1_3gpuE8ELNS1_3repE0EEENS1_30default_config_static_selectorELNS0_4arch9wavefront6targetE1EEEvT1_,comdat
.Lfunc_end2218:
	.size	_ZN7rocprim17ROCPRIM_400000_NS6detail17trampoline_kernelINS0_14default_configENS1_29reduce_by_key_config_selectorIN3c104HalfElN6thrust23THRUST_200600_302600_NS4plusIlEEEEZZNS1_33reduce_by_key_impl_wrapped_configILNS1_25lookback_scan_determinismE0ES3_SB_PS6_NS8_17constant_iteratorIiNS8_11use_defaultESG_EENS8_10device_ptrIS6_EENSI_IlEEPmSA_NS8_8equal_toIS6_EEEE10hipError_tPvRmT2_T3_mT4_T5_T6_T7_T8_P12ihipStream_tbENKUlT_T0_E_clISt17integral_constantIbLb1EES14_IbLb0EEEEDaS10_S11_EUlS10_E_NS1_11comp_targetILNS1_3genE4ELNS1_11target_archE910ELNS1_3gpuE8ELNS1_3repE0EEENS1_30default_config_static_selectorELNS0_4arch9wavefront6targetE1EEEvT1_, .Lfunc_end2218-_ZN7rocprim17ROCPRIM_400000_NS6detail17trampoline_kernelINS0_14default_configENS1_29reduce_by_key_config_selectorIN3c104HalfElN6thrust23THRUST_200600_302600_NS4plusIlEEEEZZNS1_33reduce_by_key_impl_wrapped_configILNS1_25lookback_scan_determinismE0ES3_SB_PS6_NS8_17constant_iteratorIiNS8_11use_defaultESG_EENS8_10device_ptrIS6_EENSI_IlEEPmSA_NS8_8equal_toIS6_EEEE10hipError_tPvRmT2_T3_mT4_T5_T6_T7_T8_P12ihipStream_tbENKUlT_T0_E_clISt17integral_constantIbLb1EES14_IbLb0EEEEDaS10_S11_EUlS10_E_NS1_11comp_targetILNS1_3genE4ELNS1_11target_archE910ELNS1_3gpuE8ELNS1_3repE0EEENS1_30default_config_static_selectorELNS0_4arch9wavefront6targetE1EEEvT1_
                                        ; -- End function
	.set _ZN7rocprim17ROCPRIM_400000_NS6detail17trampoline_kernelINS0_14default_configENS1_29reduce_by_key_config_selectorIN3c104HalfElN6thrust23THRUST_200600_302600_NS4plusIlEEEEZZNS1_33reduce_by_key_impl_wrapped_configILNS1_25lookback_scan_determinismE0ES3_SB_PS6_NS8_17constant_iteratorIiNS8_11use_defaultESG_EENS8_10device_ptrIS6_EENSI_IlEEPmSA_NS8_8equal_toIS6_EEEE10hipError_tPvRmT2_T3_mT4_T5_T6_T7_T8_P12ihipStream_tbENKUlT_T0_E_clISt17integral_constantIbLb1EES14_IbLb0EEEEDaS10_S11_EUlS10_E_NS1_11comp_targetILNS1_3genE4ELNS1_11target_archE910ELNS1_3gpuE8ELNS1_3repE0EEENS1_30default_config_static_selectorELNS0_4arch9wavefront6targetE1EEEvT1_.num_vgpr, 0
	.set _ZN7rocprim17ROCPRIM_400000_NS6detail17trampoline_kernelINS0_14default_configENS1_29reduce_by_key_config_selectorIN3c104HalfElN6thrust23THRUST_200600_302600_NS4plusIlEEEEZZNS1_33reduce_by_key_impl_wrapped_configILNS1_25lookback_scan_determinismE0ES3_SB_PS6_NS8_17constant_iteratorIiNS8_11use_defaultESG_EENS8_10device_ptrIS6_EENSI_IlEEPmSA_NS8_8equal_toIS6_EEEE10hipError_tPvRmT2_T3_mT4_T5_T6_T7_T8_P12ihipStream_tbENKUlT_T0_E_clISt17integral_constantIbLb1EES14_IbLb0EEEEDaS10_S11_EUlS10_E_NS1_11comp_targetILNS1_3genE4ELNS1_11target_archE910ELNS1_3gpuE8ELNS1_3repE0EEENS1_30default_config_static_selectorELNS0_4arch9wavefront6targetE1EEEvT1_.num_agpr, 0
	.set _ZN7rocprim17ROCPRIM_400000_NS6detail17trampoline_kernelINS0_14default_configENS1_29reduce_by_key_config_selectorIN3c104HalfElN6thrust23THRUST_200600_302600_NS4plusIlEEEEZZNS1_33reduce_by_key_impl_wrapped_configILNS1_25lookback_scan_determinismE0ES3_SB_PS6_NS8_17constant_iteratorIiNS8_11use_defaultESG_EENS8_10device_ptrIS6_EENSI_IlEEPmSA_NS8_8equal_toIS6_EEEE10hipError_tPvRmT2_T3_mT4_T5_T6_T7_T8_P12ihipStream_tbENKUlT_T0_E_clISt17integral_constantIbLb1EES14_IbLb0EEEEDaS10_S11_EUlS10_E_NS1_11comp_targetILNS1_3genE4ELNS1_11target_archE910ELNS1_3gpuE8ELNS1_3repE0EEENS1_30default_config_static_selectorELNS0_4arch9wavefront6targetE1EEEvT1_.numbered_sgpr, 0
	.set _ZN7rocprim17ROCPRIM_400000_NS6detail17trampoline_kernelINS0_14default_configENS1_29reduce_by_key_config_selectorIN3c104HalfElN6thrust23THRUST_200600_302600_NS4plusIlEEEEZZNS1_33reduce_by_key_impl_wrapped_configILNS1_25lookback_scan_determinismE0ES3_SB_PS6_NS8_17constant_iteratorIiNS8_11use_defaultESG_EENS8_10device_ptrIS6_EENSI_IlEEPmSA_NS8_8equal_toIS6_EEEE10hipError_tPvRmT2_T3_mT4_T5_T6_T7_T8_P12ihipStream_tbENKUlT_T0_E_clISt17integral_constantIbLb1EES14_IbLb0EEEEDaS10_S11_EUlS10_E_NS1_11comp_targetILNS1_3genE4ELNS1_11target_archE910ELNS1_3gpuE8ELNS1_3repE0EEENS1_30default_config_static_selectorELNS0_4arch9wavefront6targetE1EEEvT1_.num_named_barrier, 0
	.set _ZN7rocprim17ROCPRIM_400000_NS6detail17trampoline_kernelINS0_14default_configENS1_29reduce_by_key_config_selectorIN3c104HalfElN6thrust23THRUST_200600_302600_NS4plusIlEEEEZZNS1_33reduce_by_key_impl_wrapped_configILNS1_25lookback_scan_determinismE0ES3_SB_PS6_NS8_17constant_iteratorIiNS8_11use_defaultESG_EENS8_10device_ptrIS6_EENSI_IlEEPmSA_NS8_8equal_toIS6_EEEE10hipError_tPvRmT2_T3_mT4_T5_T6_T7_T8_P12ihipStream_tbENKUlT_T0_E_clISt17integral_constantIbLb1EES14_IbLb0EEEEDaS10_S11_EUlS10_E_NS1_11comp_targetILNS1_3genE4ELNS1_11target_archE910ELNS1_3gpuE8ELNS1_3repE0EEENS1_30default_config_static_selectorELNS0_4arch9wavefront6targetE1EEEvT1_.private_seg_size, 0
	.set _ZN7rocprim17ROCPRIM_400000_NS6detail17trampoline_kernelINS0_14default_configENS1_29reduce_by_key_config_selectorIN3c104HalfElN6thrust23THRUST_200600_302600_NS4plusIlEEEEZZNS1_33reduce_by_key_impl_wrapped_configILNS1_25lookback_scan_determinismE0ES3_SB_PS6_NS8_17constant_iteratorIiNS8_11use_defaultESG_EENS8_10device_ptrIS6_EENSI_IlEEPmSA_NS8_8equal_toIS6_EEEE10hipError_tPvRmT2_T3_mT4_T5_T6_T7_T8_P12ihipStream_tbENKUlT_T0_E_clISt17integral_constantIbLb1EES14_IbLb0EEEEDaS10_S11_EUlS10_E_NS1_11comp_targetILNS1_3genE4ELNS1_11target_archE910ELNS1_3gpuE8ELNS1_3repE0EEENS1_30default_config_static_selectorELNS0_4arch9wavefront6targetE1EEEvT1_.uses_vcc, 0
	.set _ZN7rocprim17ROCPRIM_400000_NS6detail17trampoline_kernelINS0_14default_configENS1_29reduce_by_key_config_selectorIN3c104HalfElN6thrust23THRUST_200600_302600_NS4plusIlEEEEZZNS1_33reduce_by_key_impl_wrapped_configILNS1_25lookback_scan_determinismE0ES3_SB_PS6_NS8_17constant_iteratorIiNS8_11use_defaultESG_EENS8_10device_ptrIS6_EENSI_IlEEPmSA_NS8_8equal_toIS6_EEEE10hipError_tPvRmT2_T3_mT4_T5_T6_T7_T8_P12ihipStream_tbENKUlT_T0_E_clISt17integral_constantIbLb1EES14_IbLb0EEEEDaS10_S11_EUlS10_E_NS1_11comp_targetILNS1_3genE4ELNS1_11target_archE910ELNS1_3gpuE8ELNS1_3repE0EEENS1_30default_config_static_selectorELNS0_4arch9wavefront6targetE1EEEvT1_.uses_flat_scratch, 0
	.set _ZN7rocprim17ROCPRIM_400000_NS6detail17trampoline_kernelINS0_14default_configENS1_29reduce_by_key_config_selectorIN3c104HalfElN6thrust23THRUST_200600_302600_NS4plusIlEEEEZZNS1_33reduce_by_key_impl_wrapped_configILNS1_25lookback_scan_determinismE0ES3_SB_PS6_NS8_17constant_iteratorIiNS8_11use_defaultESG_EENS8_10device_ptrIS6_EENSI_IlEEPmSA_NS8_8equal_toIS6_EEEE10hipError_tPvRmT2_T3_mT4_T5_T6_T7_T8_P12ihipStream_tbENKUlT_T0_E_clISt17integral_constantIbLb1EES14_IbLb0EEEEDaS10_S11_EUlS10_E_NS1_11comp_targetILNS1_3genE4ELNS1_11target_archE910ELNS1_3gpuE8ELNS1_3repE0EEENS1_30default_config_static_selectorELNS0_4arch9wavefront6targetE1EEEvT1_.has_dyn_sized_stack, 0
	.set _ZN7rocprim17ROCPRIM_400000_NS6detail17trampoline_kernelINS0_14default_configENS1_29reduce_by_key_config_selectorIN3c104HalfElN6thrust23THRUST_200600_302600_NS4plusIlEEEEZZNS1_33reduce_by_key_impl_wrapped_configILNS1_25lookback_scan_determinismE0ES3_SB_PS6_NS8_17constant_iteratorIiNS8_11use_defaultESG_EENS8_10device_ptrIS6_EENSI_IlEEPmSA_NS8_8equal_toIS6_EEEE10hipError_tPvRmT2_T3_mT4_T5_T6_T7_T8_P12ihipStream_tbENKUlT_T0_E_clISt17integral_constantIbLb1EES14_IbLb0EEEEDaS10_S11_EUlS10_E_NS1_11comp_targetILNS1_3genE4ELNS1_11target_archE910ELNS1_3gpuE8ELNS1_3repE0EEENS1_30default_config_static_selectorELNS0_4arch9wavefront6targetE1EEEvT1_.has_recursion, 0
	.set _ZN7rocprim17ROCPRIM_400000_NS6detail17trampoline_kernelINS0_14default_configENS1_29reduce_by_key_config_selectorIN3c104HalfElN6thrust23THRUST_200600_302600_NS4plusIlEEEEZZNS1_33reduce_by_key_impl_wrapped_configILNS1_25lookback_scan_determinismE0ES3_SB_PS6_NS8_17constant_iteratorIiNS8_11use_defaultESG_EENS8_10device_ptrIS6_EENSI_IlEEPmSA_NS8_8equal_toIS6_EEEE10hipError_tPvRmT2_T3_mT4_T5_T6_T7_T8_P12ihipStream_tbENKUlT_T0_E_clISt17integral_constantIbLb1EES14_IbLb0EEEEDaS10_S11_EUlS10_E_NS1_11comp_targetILNS1_3genE4ELNS1_11target_archE910ELNS1_3gpuE8ELNS1_3repE0EEENS1_30default_config_static_selectorELNS0_4arch9wavefront6targetE1EEEvT1_.has_indirect_call, 0
	.section	.AMDGPU.csdata,"",@progbits
; Kernel info:
; codeLenInByte = 0
; TotalNumSgprs: 4
; NumVgprs: 0
; ScratchSize: 0
; MemoryBound: 0
; FloatMode: 240
; IeeeMode: 1
; LDSByteSize: 0 bytes/workgroup (compile time only)
; SGPRBlocks: 0
; VGPRBlocks: 0
; NumSGPRsForWavesPerEU: 4
; NumVGPRsForWavesPerEU: 1
; Occupancy: 10
; WaveLimiterHint : 0
; COMPUTE_PGM_RSRC2:SCRATCH_EN: 0
; COMPUTE_PGM_RSRC2:USER_SGPR: 6
; COMPUTE_PGM_RSRC2:TRAP_HANDLER: 0
; COMPUTE_PGM_RSRC2:TGID_X_EN: 1
; COMPUTE_PGM_RSRC2:TGID_Y_EN: 0
; COMPUTE_PGM_RSRC2:TGID_Z_EN: 0
; COMPUTE_PGM_RSRC2:TIDIG_COMP_CNT: 0
	.section	.text._ZN7rocprim17ROCPRIM_400000_NS6detail17trampoline_kernelINS0_14default_configENS1_29reduce_by_key_config_selectorIN3c104HalfElN6thrust23THRUST_200600_302600_NS4plusIlEEEEZZNS1_33reduce_by_key_impl_wrapped_configILNS1_25lookback_scan_determinismE0ES3_SB_PS6_NS8_17constant_iteratorIiNS8_11use_defaultESG_EENS8_10device_ptrIS6_EENSI_IlEEPmSA_NS8_8equal_toIS6_EEEE10hipError_tPvRmT2_T3_mT4_T5_T6_T7_T8_P12ihipStream_tbENKUlT_T0_E_clISt17integral_constantIbLb1EES14_IbLb0EEEEDaS10_S11_EUlS10_E_NS1_11comp_targetILNS1_3genE3ELNS1_11target_archE908ELNS1_3gpuE7ELNS1_3repE0EEENS1_30default_config_static_selectorELNS0_4arch9wavefront6targetE1EEEvT1_,"axG",@progbits,_ZN7rocprim17ROCPRIM_400000_NS6detail17trampoline_kernelINS0_14default_configENS1_29reduce_by_key_config_selectorIN3c104HalfElN6thrust23THRUST_200600_302600_NS4plusIlEEEEZZNS1_33reduce_by_key_impl_wrapped_configILNS1_25lookback_scan_determinismE0ES3_SB_PS6_NS8_17constant_iteratorIiNS8_11use_defaultESG_EENS8_10device_ptrIS6_EENSI_IlEEPmSA_NS8_8equal_toIS6_EEEE10hipError_tPvRmT2_T3_mT4_T5_T6_T7_T8_P12ihipStream_tbENKUlT_T0_E_clISt17integral_constantIbLb1EES14_IbLb0EEEEDaS10_S11_EUlS10_E_NS1_11comp_targetILNS1_3genE3ELNS1_11target_archE908ELNS1_3gpuE7ELNS1_3repE0EEENS1_30default_config_static_selectorELNS0_4arch9wavefront6targetE1EEEvT1_,comdat
	.protected	_ZN7rocprim17ROCPRIM_400000_NS6detail17trampoline_kernelINS0_14default_configENS1_29reduce_by_key_config_selectorIN3c104HalfElN6thrust23THRUST_200600_302600_NS4plusIlEEEEZZNS1_33reduce_by_key_impl_wrapped_configILNS1_25lookback_scan_determinismE0ES3_SB_PS6_NS8_17constant_iteratorIiNS8_11use_defaultESG_EENS8_10device_ptrIS6_EENSI_IlEEPmSA_NS8_8equal_toIS6_EEEE10hipError_tPvRmT2_T3_mT4_T5_T6_T7_T8_P12ihipStream_tbENKUlT_T0_E_clISt17integral_constantIbLb1EES14_IbLb0EEEEDaS10_S11_EUlS10_E_NS1_11comp_targetILNS1_3genE3ELNS1_11target_archE908ELNS1_3gpuE7ELNS1_3repE0EEENS1_30default_config_static_selectorELNS0_4arch9wavefront6targetE1EEEvT1_ ; -- Begin function _ZN7rocprim17ROCPRIM_400000_NS6detail17trampoline_kernelINS0_14default_configENS1_29reduce_by_key_config_selectorIN3c104HalfElN6thrust23THRUST_200600_302600_NS4plusIlEEEEZZNS1_33reduce_by_key_impl_wrapped_configILNS1_25lookback_scan_determinismE0ES3_SB_PS6_NS8_17constant_iteratorIiNS8_11use_defaultESG_EENS8_10device_ptrIS6_EENSI_IlEEPmSA_NS8_8equal_toIS6_EEEE10hipError_tPvRmT2_T3_mT4_T5_T6_T7_T8_P12ihipStream_tbENKUlT_T0_E_clISt17integral_constantIbLb1EES14_IbLb0EEEEDaS10_S11_EUlS10_E_NS1_11comp_targetILNS1_3genE3ELNS1_11target_archE908ELNS1_3gpuE7ELNS1_3repE0EEENS1_30default_config_static_selectorELNS0_4arch9wavefront6targetE1EEEvT1_
	.globl	_ZN7rocprim17ROCPRIM_400000_NS6detail17trampoline_kernelINS0_14default_configENS1_29reduce_by_key_config_selectorIN3c104HalfElN6thrust23THRUST_200600_302600_NS4plusIlEEEEZZNS1_33reduce_by_key_impl_wrapped_configILNS1_25lookback_scan_determinismE0ES3_SB_PS6_NS8_17constant_iteratorIiNS8_11use_defaultESG_EENS8_10device_ptrIS6_EENSI_IlEEPmSA_NS8_8equal_toIS6_EEEE10hipError_tPvRmT2_T3_mT4_T5_T6_T7_T8_P12ihipStream_tbENKUlT_T0_E_clISt17integral_constantIbLb1EES14_IbLb0EEEEDaS10_S11_EUlS10_E_NS1_11comp_targetILNS1_3genE3ELNS1_11target_archE908ELNS1_3gpuE7ELNS1_3repE0EEENS1_30default_config_static_selectorELNS0_4arch9wavefront6targetE1EEEvT1_
	.p2align	8
	.type	_ZN7rocprim17ROCPRIM_400000_NS6detail17trampoline_kernelINS0_14default_configENS1_29reduce_by_key_config_selectorIN3c104HalfElN6thrust23THRUST_200600_302600_NS4plusIlEEEEZZNS1_33reduce_by_key_impl_wrapped_configILNS1_25lookback_scan_determinismE0ES3_SB_PS6_NS8_17constant_iteratorIiNS8_11use_defaultESG_EENS8_10device_ptrIS6_EENSI_IlEEPmSA_NS8_8equal_toIS6_EEEE10hipError_tPvRmT2_T3_mT4_T5_T6_T7_T8_P12ihipStream_tbENKUlT_T0_E_clISt17integral_constantIbLb1EES14_IbLb0EEEEDaS10_S11_EUlS10_E_NS1_11comp_targetILNS1_3genE3ELNS1_11target_archE908ELNS1_3gpuE7ELNS1_3repE0EEENS1_30default_config_static_selectorELNS0_4arch9wavefront6targetE1EEEvT1_,@function
_ZN7rocprim17ROCPRIM_400000_NS6detail17trampoline_kernelINS0_14default_configENS1_29reduce_by_key_config_selectorIN3c104HalfElN6thrust23THRUST_200600_302600_NS4plusIlEEEEZZNS1_33reduce_by_key_impl_wrapped_configILNS1_25lookback_scan_determinismE0ES3_SB_PS6_NS8_17constant_iteratorIiNS8_11use_defaultESG_EENS8_10device_ptrIS6_EENSI_IlEEPmSA_NS8_8equal_toIS6_EEEE10hipError_tPvRmT2_T3_mT4_T5_T6_T7_T8_P12ihipStream_tbENKUlT_T0_E_clISt17integral_constantIbLb1EES14_IbLb0EEEEDaS10_S11_EUlS10_E_NS1_11comp_targetILNS1_3genE3ELNS1_11target_archE908ELNS1_3gpuE7ELNS1_3repE0EEENS1_30default_config_static_selectorELNS0_4arch9wavefront6targetE1EEEvT1_: ; @_ZN7rocprim17ROCPRIM_400000_NS6detail17trampoline_kernelINS0_14default_configENS1_29reduce_by_key_config_selectorIN3c104HalfElN6thrust23THRUST_200600_302600_NS4plusIlEEEEZZNS1_33reduce_by_key_impl_wrapped_configILNS1_25lookback_scan_determinismE0ES3_SB_PS6_NS8_17constant_iteratorIiNS8_11use_defaultESG_EENS8_10device_ptrIS6_EENSI_IlEEPmSA_NS8_8equal_toIS6_EEEE10hipError_tPvRmT2_T3_mT4_T5_T6_T7_T8_P12ihipStream_tbENKUlT_T0_E_clISt17integral_constantIbLb1EES14_IbLb0EEEEDaS10_S11_EUlS10_E_NS1_11comp_targetILNS1_3genE3ELNS1_11target_archE908ELNS1_3gpuE7ELNS1_3repE0EEENS1_30default_config_static_selectorELNS0_4arch9wavefront6targetE1EEEvT1_
; %bb.0:
	.section	.rodata,"a",@progbits
	.p2align	6, 0x0
	.amdhsa_kernel _ZN7rocprim17ROCPRIM_400000_NS6detail17trampoline_kernelINS0_14default_configENS1_29reduce_by_key_config_selectorIN3c104HalfElN6thrust23THRUST_200600_302600_NS4plusIlEEEEZZNS1_33reduce_by_key_impl_wrapped_configILNS1_25lookback_scan_determinismE0ES3_SB_PS6_NS8_17constant_iteratorIiNS8_11use_defaultESG_EENS8_10device_ptrIS6_EENSI_IlEEPmSA_NS8_8equal_toIS6_EEEE10hipError_tPvRmT2_T3_mT4_T5_T6_T7_T8_P12ihipStream_tbENKUlT_T0_E_clISt17integral_constantIbLb1EES14_IbLb0EEEEDaS10_S11_EUlS10_E_NS1_11comp_targetILNS1_3genE3ELNS1_11target_archE908ELNS1_3gpuE7ELNS1_3repE0EEENS1_30default_config_static_selectorELNS0_4arch9wavefront6targetE1EEEvT1_
		.amdhsa_group_segment_fixed_size 0
		.amdhsa_private_segment_fixed_size 0
		.amdhsa_kernarg_size 144
		.amdhsa_user_sgpr_count 6
		.amdhsa_user_sgpr_private_segment_buffer 1
		.amdhsa_user_sgpr_dispatch_ptr 0
		.amdhsa_user_sgpr_queue_ptr 0
		.amdhsa_user_sgpr_kernarg_segment_ptr 1
		.amdhsa_user_sgpr_dispatch_id 0
		.amdhsa_user_sgpr_flat_scratch_init 0
		.amdhsa_user_sgpr_private_segment_size 0
		.amdhsa_uses_dynamic_stack 0
		.amdhsa_system_sgpr_private_segment_wavefront_offset 0
		.amdhsa_system_sgpr_workgroup_id_x 1
		.amdhsa_system_sgpr_workgroup_id_y 0
		.amdhsa_system_sgpr_workgroup_id_z 0
		.amdhsa_system_sgpr_workgroup_info 0
		.amdhsa_system_vgpr_workitem_id 0
		.amdhsa_next_free_vgpr 1
		.amdhsa_next_free_sgpr 0
		.amdhsa_reserve_vcc 0
		.amdhsa_reserve_flat_scratch 0
		.amdhsa_float_round_mode_32 0
		.amdhsa_float_round_mode_16_64 0
		.amdhsa_float_denorm_mode_32 3
		.amdhsa_float_denorm_mode_16_64 3
		.amdhsa_dx10_clamp 1
		.amdhsa_ieee_mode 1
		.amdhsa_fp16_overflow 0
		.amdhsa_exception_fp_ieee_invalid_op 0
		.amdhsa_exception_fp_denorm_src 0
		.amdhsa_exception_fp_ieee_div_zero 0
		.amdhsa_exception_fp_ieee_overflow 0
		.amdhsa_exception_fp_ieee_underflow 0
		.amdhsa_exception_fp_ieee_inexact 0
		.amdhsa_exception_int_div_zero 0
	.end_amdhsa_kernel
	.section	.text._ZN7rocprim17ROCPRIM_400000_NS6detail17trampoline_kernelINS0_14default_configENS1_29reduce_by_key_config_selectorIN3c104HalfElN6thrust23THRUST_200600_302600_NS4plusIlEEEEZZNS1_33reduce_by_key_impl_wrapped_configILNS1_25lookback_scan_determinismE0ES3_SB_PS6_NS8_17constant_iteratorIiNS8_11use_defaultESG_EENS8_10device_ptrIS6_EENSI_IlEEPmSA_NS8_8equal_toIS6_EEEE10hipError_tPvRmT2_T3_mT4_T5_T6_T7_T8_P12ihipStream_tbENKUlT_T0_E_clISt17integral_constantIbLb1EES14_IbLb0EEEEDaS10_S11_EUlS10_E_NS1_11comp_targetILNS1_3genE3ELNS1_11target_archE908ELNS1_3gpuE7ELNS1_3repE0EEENS1_30default_config_static_selectorELNS0_4arch9wavefront6targetE1EEEvT1_,"axG",@progbits,_ZN7rocprim17ROCPRIM_400000_NS6detail17trampoline_kernelINS0_14default_configENS1_29reduce_by_key_config_selectorIN3c104HalfElN6thrust23THRUST_200600_302600_NS4plusIlEEEEZZNS1_33reduce_by_key_impl_wrapped_configILNS1_25lookback_scan_determinismE0ES3_SB_PS6_NS8_17constant_iteratorIiNS8_11use_defaultESG_EENS8_10device_ptrIS6_EENSI_IlEEPmSA_NS8_8equal_toIS6_EEEE10hipError_tPvRmT2_T3_mT4_T5_T6_T7_T8_P12ihipStream_tbENKUlT_T0_E_clISt17integral_constantIbLb1EES14_IbLb0EEEEDaS10_S11_EUlS10_E_NS1_11comp_targetILNS1_3genE3ELNS1_11target_archE908ELNS1_3gpuE7ELNS1_3repE0EEENS1_30default_config_static_selectorELNS0_4arch9wavefront6targetE1EEEvT1_,comdat
.Lfunc_end2219:
	.size	_ZN7rocprim17ROCPRIM_400000_NS6detail17trampoline_kernelINS0_14default_configENS1_29reduce_by_key_config_selectorIN3c104HalfElN6thrust23THRUST_200600_302600_NS4plusIlEEEEZZNS1_33reduce_by_key_impl_wrapped_configILNS1_25lookback_scan_determinismE0ES3_SB_PS6_NS8_17constant_iteratorIiNS8_11use_defaultESG_EENS8_10device_ptrIS6_EENSI_IlEEPmSA_NS8_8equal_toIS6_EEEE10hipError_tPvRmT2_T3_mT4_T5_T6_T7_T8_P12ihipStream_tbENKUlT_T0_E_clISt17integral_constantIbLb1EES14_IbLb0EEEEDaS10_S11_EUlS10_E_NS1_11comp_targetILNS1_3genE3ELNS1_11target_archE908ELNS1_3gpuE7ELNS1_3repE0EEENS1_30default_config_static_selectorELNS0_4arch9wavefront6targetE1EEEvT1_, .Lfunc_end2219-_ZN7rocprim17ROCPRIM_400000_NS6detail17trampoline_kernelINS0_14default_configENS1_29reduce_by_key_config_selectorIN3c104HalfElN6thrust23THRUST_200600_302600_NS4plusIlEEEEZZNS1_33reduce_by_key_impl_wrapped_configILNS1_25lookback_scan_determinismE0ES3_SB_PS6_NS8_17constant_iteratorIiNS8_11use_defaultESG_EENS8_10device_ptrIS6_EENSI_IlEEPmSA_NS8_8equal_toIS6_EEEE10hipError_tPvRmT2_T3_mT4_T5_T6_T7_T8_P12ihipStream_tbENKUlT_T0_E_clISt17integral_constantIbLb1EES14_IbLb0EEEEDaS10_S11_EUlS10_E_NS1_11comp_targetILNS1_3genE3ELNS1_11target_archE908ELNS1_3gpuE7ELNS1_3repE0EEENS1_30default_config_static_selectorELNS0_4arch9wavefront6targetE1EEEvT1_
                                        ; -- End function
	.set _ZN7rocprim17ROCPRIM_400000_NS6detail17trampoline_kernelINS0_14default_configENS1_29reduce_by_key_config_selectorIN3c104HalfElN6thrust23THRUST_200600_302600_NS4plusIlEEEEZZNS1_33reduce_by_key_impl_wrapped_configILNS1_25lookback_scan_determinismE0ES3_SB_PS6_NS8_17constant_iteratorIiNS8_11use_defaultESG_EENS8_10device_ptrIS6_EENSI_IlEEPmSA_NS8_8equal_toIS6_EEEE10hipError_tPvRmT2_T3_mT4_T5_T6_T7_T8_P12ihipStream_tbENKUlT_T0_E_clISt17integral_constantIbLb1EES14_IbLb0EEEEDaS10_S11_EUlS10_E_NS1_11comp_targetILNS1_3genE3ELNS1_11target_archE908ELNS1_3gpuE7ELNS1_3repE0EEENS1_30default_config_static_selectorELNS0_4arch9wavefront6targetE1EEEvT1_.num_vgpr, 0
	.set _ZN7rocprim17ROCPRIM_400000_NS6detail17trampoline_kernelINS0_14default_configENS1_29reduce_by_key_config_selectorIN3c104HalfElN6thrust23THRUST_200600_302600_NS4plusIlEEEEZZNS1_33reduce_by_key_impl_wrapped_configILNS1_25lookback_scan_determinismE0ES3_SB_PS6_NS8_17constant_iteratorIiNS8_11use_defaultESG_EENS8_10device_ptrIS6_EENSI_IlEEPmSA_NS8_8equal_toIS6_EEEE10hipError_tPvRmT2_T3_mT4_T5_T6_T7_T8_P12ihipStream_tbENKUlT_T0_E_clISt17integral_constantIbLb1EES14_IbLb0EEEEDaS10_S11_EUlS10_E_NS1_11comp_targetILNS1_3genE3ELNS1_11target_archE908ELNS1_3gpuE7ELNS1_3repE0EEENS1_30default_config_static_selectorELNS0_4arch9wavefront6targetE1EEEvT1_.num_agpr, 0
	.set _ZN7rocprim17ROCPRIM_400000_NS6detail17trampoline_kernelINS0_14default_configENS1_29reduce_by_key_config_selectorIN3c104HalfElN6thrust23THRUST_200600_302600_NS4plusIlEEEEZZNS1_33reduce_by_key_impl_wrapped_configILNS1_25lookback_scan_determinismE0ES3_SB_PS6_NS8_17constant_iteratorIiNS8_11use_defaultESG_EENS8_10device_ptrIS6_EENSI_IlEEPmSA_NS8_8equal_toIS6_EEEE10hipError_tPvRmT2_T3_mT4_T5_T6_T7_T8_P12ihipStream_tbENKUlT_T0_E_clISt17integral_constantIbLb1EES14_IbLb0EEEEDaS10_S11_EUlS10_E_NS1_11comp_targetILNS1_3genE3ELNS1_11target_archE908ELNS1_3gpuE7ELNS1_3repE0EEENS1_30default_config_static_selectorELNS0_4arch9wavefront6targetE1EEEvT1_.numbered_sgpr, 0
	.set _ZN7rocprim17ROCPRIM_400000_NS6detail17trampoline_kernelINS0_14default_configENS1_29reduce_by_key_config_selectorIN3c104HalfElN6thrust23THRUST_200600_302600_NS4plusIlEEEEZZNS1_33reduce_by_key_impl_wrapped_configILNS1_25lookback_scan_determinismE0ES3_SB_PS6_NS8_17constant_iteratorIiNS8_11use_defaultESG_EENS8_10device_ptrIS6_EENSI_IlEEPmSA_NS8_8equal_toIS6_EEEE10hipError_tPvRmT2_T3_mT4_T5_T6_T7_T8_P12ihipStream_tbENKUlT_T0_E_clISt17integral_constantIbLb1EES14_IbLb0EEEEDaS10_S11_EUlS10_E_NS1_11comp_targetILNS1_3genE3ELNS1_11target_archE908ELNS1_3gpuE7ELNS1_3repE0EEENS1_30default_config_static_selectorELNS0_4arch9wavefront6targetE1EEEvT1_.num_named_barrier, 0
	.set _ZN7rocprim17ROCPRIM_400000_NS6detail17trampoline_kernelINS0_14default_configENS1_29reduce_by_key_config_selectorIN3c104HalfElN6thrust23THRUST_200600_302600_NS4plusIlEEEEZZNS1_33reduce_by_key_impl_wrapped_configILNS1_25lookback_scan_determinismE0ES3_SB_PS6_NS8_17constant_iteratorIiNS8_11use_defaultESG_EENS8_10device_ptrIS6_EENSI_IlEEPmSA_NS8_8equal_toIS6_EEEE10hipError_tPvRmT2_T3_mT4_T5_T6_T7_T8_P12ihipStream_tbENKUlT_T0_E_clISt17integral_constantIbLb1EES14_IbLb0EEEEDaS10_S11_EUlS10_E_NS1_11comp_targetILNS1_3genE3ELNS1_11target_archE908ELNS1_3gpuE7ELNS1_3repE0EEENS1_30default_config_static_selectorELNS0_4arch9wavefront6targetE1EEEvT1_.private_seg_size, 0
	.set _ZN7rocprim17ROCPRIM_400000_NS6detail17trampoline_kernelINS0_14default_configENS1_29reduce_by_key_config_selectorIN3c104HalfElN6thrust23THRUST_200600_302600_NS4plusIlEEEEZZNS1_33reduce_by_key_impl_wrapped_configILNS1_25lookback_scan_determinismE0ES3_SB_PS6_NS8_17constant_iteratorIiNS8_11use_defaultESG_EENS8_10device_ptrIS6_EENSI_IlEEPmSA_NS8_8equal_toIS6_EEEE10hipError_tPvRmT2_T3_mT4_T5_T6_T7_T8_P12ihipStream_tbENKUlT_T0_E_clISt17integral_constantIbLb1EES14_IbLb0EEEEDaS10_S11_EUlS10_E_NS1_11comp_targetILNS1_3genE3ELNS1_11target_archE908ELNS1_3gpuE7ELNS1_3repE0EEENS1_30default_config_static_selectorELNS0_4arch9wavefront6targetE1EEEvT1_.uses_vcc, 0
	.set _ZN7rocprim17ROCPRIM_400000_NS6detail17trampoline_kernelINS0_14default_configENS1_29reduce_by_key_config_selectorIN3c104HalfElN6thrust23THRUST_200600_302600_NS4plusIlEEEEZZNS1_33reduce_by_key_impl_wrapped_configILNS1_25lookback_scan_determinismE0ES3_SB_PS6_NS8_17constant_iteratorIiNS8_11use_defaultESG_EENS8_10device_ptrIS6_EENSI_IlEEPmSA_NS8_8equal_toIS6_EEEE10hipError_tPvRmT2_T3_mT4_T5_T6_T7_T8_P12ihipStream_tbENKUlT_T0_E_clISt17integral_constantIbLb1EES14_IbLb0EEEEDaS10_S11_EUlS10_E_NS1_11comp_targetILNS1_3genE3ELNS1_11target_archE908ELNS1_3gpuE7ELNS1_3repE0EEENS1_30default_config_static_selectorELNS0_4arch9wavefront6targetE1EEEvT1_.uses_flat_scratch, 0
	.set _ZN7rocprim17ROCPRIM_400000_NS6detail17trampoline_kernelINS0_14default_configENS1_29reduce_by_key_config_selectorIN3c104HalfElN6thrust23THRUST_200600_302600_NS4plusIlEEEEZZNS1_33reduce_by_key_impl_wrapped_configILNS1_25lookback_scan_determinismE0ES3_SB_PS6_NS8_17constant_iteratorIiNS8_11use_defaultESG_EENS8_10device_ptrIS6_EENSI_IlEEPmSA_NS8_8equal_toIS6_EEEE10hipError_tPvRmT2_T3_mT4_T5_T6_T7_T8_P12ihipStream_tbENKUlT_T0_E_clISt17integral_constantIbLb1EES14_IbLb0EEEEDaS10_S11_EUlS10_E_NS1_11comp_targetILNS1_3genE3ELNS1_11target_archE908ELNS1_3gpuE7ELNS1_3repE0EEENS1_30default_config_static_selectorELNS0_4arch9wavefront6targetE1EEEvT1_.has_dyn_sized_stack, 0
	.set _ZN7rocprim17ROCPRIM_400000_NS6detail17trampoline_kernelINS0_14default_configENS1_29reduce_by_key_config_selectorIN3c104HalfElN6thrust23THRUST_200600_302600_NS4plusIlEEEEZZNS1_33reduce_by_key_impl_wrapped_configILNS1_25lookback_scan_determinismE0ES3_SB_PS6_NS8_17constant_iteratorIiNS8_11use_defaultESG_EENS8_10device_ptrIS6_EENSI_IlEEPmSA_NS8_8equal_toIS6_EEEE10hipError_tPvRmT2_T3_mT4_T5_T6_T7_T8_P12ihipStream_tbENKUlT_T0_E_clISt17integral_constantIbLb1EES14_IbLb0EEEEDaS10_S11_EUlS10_E_NS1_11comp_targetILNS1_3genE3ELNS1_11target_archE908ELNS1_3gpuE7ELNS1_3repE0EEENS1_30default_config_static_selectorELNS0_4arch9wavefront6targetE1EEEvT1_.has_recursion, 0
	.set _ZN7rocprim17ROCPRIM_400000_NS6detail17trampoline_kernelINS0_14default_configENS1_29reduce_by_key_config_selectorIN3c104HalfElN6thrust23THRUST_200600_302600_NS4plusIlEEEEZZNS1_33reduce_by_key_impl_wrapped_configILNS1_25lookback_scan_determinismE0ES3_SB_PS6_NS8_17constant_iteratorIiNS8_11use_defaultESG_EENS8_10device_ptrIS6_EENSI_IlEEPmSA_NS8_8equal_toIS6_EEEE10hipError_tPvRmT2_T3_mT4_T5_T6_T7_T8_P12ihipStream_tbENKUlT_T0_E_clISt17integral_constantIbLb1EES14_IbLb0EEEEDaS10_S11_EUlS10_E_NS1_11comp_targetILNS1_3genE3ELNS1_11target_archE908ELNS1_3gpuE7ELNS1_3repE0EEENS1_30default_config_static_selectorELNS0_4arch9wavefront6targetE1EEEvT1_.has_indirect_call, 0
	.section	.AMDGPU.csdata,"",@progbits
; Kernel info:
; codeLenInByte = 0
; TotalNumSgprs: 4
; NumVgprs: 0
; ScratchSize: 0
; MemoryBound: 0
; FloatMode: 240
; IeeeMode: 1
; LDSByteSize: 0 bytes/workgroup (compile time only)
; SGPRBlocks: 0
; VGPRBlocks: 0
; NumSGPRsForWavesPerEU: 4
; NumVGPRsForWavesPerEU: 1
; Occupancy: 10
; WaveLimiterHint : 0
; COMPUTE_PGM_RSRC2:SCRATCH_EN: 0
; COMPUTE_PGM_RSRC2:USER_SGPR: 6
; COMPUTE_PGM_RSRC2:TRAP_HANDLER: 0
; COMPUTE_PGM_RSRC2:TGID_X_EN: 1
; COMPUTE_PGM_RSRC2:TGID_Y_EN: 0
; COMPUTE_PGM_RSRC2:TGID_Z_EN: 0
; COMPUTE_PGM_RSRC2:TIDIG_COMP_CNT: 0
	.section	.text._ZN7rocprim17ROCPRIM_400000_NS6detail17trampoline_kernelINS0_14default_configENS1_29reduce_by_key_config_selectorIN3c104HalfElN6thrust23THRUST_200600_302600_NS4plusIlEEEEZZNS1_33reduce_by_key_impl_wrapped_configILNS1_25lookback_scan_determinismE0ES3_SB_PS6_NS8_17constant_iteratorIiNS8_11use_defaultESG_EENS8_10device_ptrIS6_EENSI_IlEEPmSA_NS8_8equal_toIS6_EEEE10hipError_tPvRmT2_T3_mT4_T5_T6_T7_T8_P12ihipStream_tbENKUlT_T0_E_clISt17integral_constantIbLb1EES14_IbLb0EEEEDaS10_S11_EUlS10_E_NS1_11comp_targetILNS1_3genE2ELNS1_11target_archE906ELNS1_3gpuE6ELNS1_3repE0EEENS1_30default_config_static_selectorELNS0_4arch9wavefront6targetE1EEEvT1_,"axG",@progbits,_ZN7rocprim17ROCPRIM_400000_NS6detail17trampoline_kernelINS0_14default_configENS1_29reduce_by_key_config_selectorIN3c104HalfElN6thrust23THRUST_200600_302600_NS4plusIlEEEEZZNS1_33reduce_by_key_impl_wrapped_configILNS1_25lookback_scan_determinismE0ES3_SB_PS6_NS8_17constant_iteratorIiNS8_11use_defaultESG_EENS8_10device_ptrIS6_EENSI_IlEEPmSA_NS8_8equal_toIS6_EEEE10hipError_tPvRmT2_T3_mT4_T5_T6_T7_T8_P12ihipStream_tbENKUlT_T0_E_clISt17integral_constantIbLb1EES14_IbLb0EEEEDaS10_S11_EUlS10_E_NS1_11comp_targetILNS1_3genE2ELNS1_11target_archE906ELNS1_3gpuE6ELNS1_3repE0EEENS1_30default_config_static_selectorELNS0_4arch9wavefront6targetE1EEEvT1_,comdat
	.protected	_ZN7rocprim17ROCPRIM_400000_NS6detail17trampoline_kernelINS0_14default_configENS1_29reduce_by_key_config_selectorIN3c104HalfElN6thrust23THRUST_200600_302600_NS4plusIlEEEEZZNS1_33reduce_by_key_impl_wrapped_configILNS1_25lookback_scan_determinismE0ES3_SB_PS6_NS8_17constant_iteratorIiNS8_11use_defaultESG_EENS8_10device_ptrIS6_EENSI_IlEEPmSA_NS8_8equal_toIS6_EEEE10hipError_tPvRmT2_T3_mT4_T5_T6_T7_T8_P12ihipStream_tbENKUlT_T0_E_clISt17integral_constantIbLb1EES14_IbLb0EEEEDaS10_S11_EUlS10_E_NS1_11comp_targetILNS1_3genE2ELNS1_11target_archE906ELNS1_3gpuE6ELNS1_3repE0EEENS1_30default_config_static_selectorELNS0_4arch9wavefront6targetE1EEEvT1_ ; -- Begin function _ZN7rocprim17ROCPRIM_400000_NS6detail17trampoline_kernelINS0_14default_configENS1_29reduce_by_key_config_selectorIN3c104HalfElN6thrust23THRUST_200600_302600_NS4plusIlEEEEZZNS1_33reduce_by_key_impl_wrapped_configILNS1_25lookback_scan_determinismE0ES3_SB_PS6_NS8_17constant_iteratorIiNS8_11use_defaultESG_EENS8_10device_ptrIS6_EENSI_IlEEPmSA_NS8_8equal_toIS6_EEEE10hipError_tPvRmT2_T3_mT4_T5_T6_T7_T8_P12ihipStream_tbENKUlT_T0_E_clISt17integral_constantIbLb1EES14_IbLb0EEEEDaS10_S11_EUlS10_E_NS1_11comp_targetILNS1_3genE2ELNS1_11target_archE906ELNS1_3gpuE6ELNS1_3repE0EEENS1_30default_config_static_selectorELNS0_4arch9wavefront6targetE1EEEvT1_
	.globl	_ZN7rocprim17ROCPRIM_400000_NS6detail17trampoline_kernelINS0_14default_configENS1_29reduce_by_key_config_selectorIN3c104HalfElN6thrust23THRUST_200600_302600_NS4plusIlEEEEZZNS1_33reduce_by_key_impl_wrapped_configILNS1_25lookback_scan_determinismE0ES3_SB_PS6_NS8_17constant_iteratorIiNS8_11use_defaultESG_EENS8_10device_ptrIS6_EENSI_IlEEPmSA_NS8_8equal_toIS6_EEEE10hipError_tPvRmT2_T3_mT4_T5_T6_T7_T8_P12ihipStream_tbENKUlT_T0_E_clISt17integral_constantIbLb1EES14_IbLb0EEEEDaS10_S11_EUlS10_E_NS1_11comp_targetILNS1_3genE2ELNS1_11target_archE906ELNS1_3gpuE6ELNS1_3repE0EEENS1_30default_config_static_selectorELNS0_4arch9wavefront6targetE1EEEvT1_
	.p2align	8
	.type	_ZN7rocprim17ROCPRIM_400000_NS6detail17trampoline_kernelINS0_14default_configENS1_29reduce_by_key_config_selectorIN3c104HalfElN6thrust23THRUST_200600_302600_NS4plusIlEEEEZZNS1_33reduce_by_key_impl_wrapped_configILNS1_25lookback_scan_determinismE0ES3_SB_PS6_NS8_17constant_iteratorIiNS8_11use_defaultESG_EENS8_10device_ptrIS6_EENSI_IlEEPmSA_NS8_8equal_toIS6_EEEE10hipError_tPvRmT2_T3_mT4_T5_T6_T7_T8_P12ihipStream_tbENKUlT_T0_E_clISt17integral_constantIbLb1EES14_IbLb0EEEEDaS10_S11_EUlS10_E_NS1_11comp_targetILNS1_3genE2ELNS1_11target_archE906ELNS1_3gpuE6ELNS1_3repE0EEENS1_30default_config_static_selectorELNS0_4arch9wavefront6targetE1EEEvT1_,@function
_ZN7rocprim17ROCPRIM_400000_NS6detail17trampoline_kernelINS0_14default_configENS1_29reduce_by_key_config_selectorIN3c104HalfElN6thrust23THRUST_200600_302600_NS4plusIlEEEEZZNS1_33reduce_by_key_impl_wrapped_configILNS1_25lookback_scan_determinismE0ES3_SB_PS6_NS8_17constant_iteratorIiNS8_11use_defaultESG_EENS8_10device_ptrIS6_EENSI_IlEEPmSA_NS8_8equal_toIS6_EEEE10hipError_tPvRmT2_T3_mT4_T5_T6_T7_T8_P12ihipStream_tbENKUlT_T0_E_clISt17integral_constantIbLb1EES14_IbLb0EEEEDaS10_S11_EUlS10_E_NS1_11comp_targetILNS1_3genE2ELNS1_11target_archE906ELNS1_3gpuE6ELNS1_3repE0EEENS1_30default_config_static_selectorELNS0_4arch9wavefront6targetE1EEEvT1_: ; @_ZN7rocprim17ROCPRIM_400000_NS6detail17trampoline_kernelINS0_14default_configENS1_29reduce_by_key_config_selectorIN3c104HalfElN6thrust23THRUST_200600_302600_NS4plusIlEEEEZZNS1_33reduce_by_key_impl_wrapped_configILNS1_25lookback_scan_determinismE0ES3_SB_PS6_NS8_17constant_iteratorIiNS8_11use_defaultESG_EENS8_10device_ptrIS6_EENSI_IlEEPmSA_NS8_8equal_toIS6_EEEE10hipError_tPvRmT2_T3_mT4_T5_T6_T7_T8_P12ihipStream_tbENKUlT_T0_E_clISt17integral_constantIbLb1EES14_IbLb0EEEEDaS10_S11_EUlS10_E_NS1_11comp_targetILNS1_3genE2ELNS1_11target_archE906ELNS1_3gpuE6ELNS1_3repE0EEENS1_30default_config_static_selectorELNS0_4arch9wavefront6targetE1EEEvT1_
; %bb.0:
	s_endpgm
	.section	.rodata,"a",@progbits
	.p2align	6, 0x0
	.amdhsa_kernel _ZN7rocprim17ROCPRIM_400000_NS6detail17trampoline_kernelINS0_14default_configENS1_29reduce_by_key_config_selectorIN3c104HalfElN6thrust23THRUST_200600_302600_NS4plusIlEEEEZZNS1_33reduce_by_key_impl_wrapped_configILNS1_25lookback_scan_determinismE0ES3_SB_PS6_NS8_17constant_iteratorIiNS8_11use_defaultESG_EENS8_10device_ptrIS6_EENSI_IlEEPmSA_NS8_8equal_toIS6_EEEE10hipError_tPvRmT2_T3_mT4_T5_T6_T7_T8_P12ihipStream_tbENKUlT_T0_E_clISt17integral_constantIbLb1EES14_IbLb0EEEEDaS10_S11_EUlS10_E_NS1_11comp_targetILNS1_3genE2ELNS1_11target_archE906ELNS1_3gpuE6ELNS1_3repE0EEENS1_30default_config_static_selectorELNS0_4arch9wavefront6targetE1EEEvT1_
		.amdhsa_group_segment_fixed_size 0
		.amdhsa_private_segment_fixed_size 0
		.amdhsa_kernarg_size 144
		.amdhsa_user_sgpr_count 6
		.amdhsa_user_sgpr_private_segment_buffer 1
		.amdhsa_user_sgpr_dispatch_ptr 0
		.amdhsa_user_sgpr_queue_ptr 0
		.amdhsa_user_sgpr_kernarg_segment_ptr 1
		.amdhsa_user_sgpr_dispatch_id 0
		.amdhsa_user_sgpr_flat_scratch_init 0
		.amdhsa_user_sgpr_private_segment_size 0
		.amdhsa_uses_dynamic_stack 0
		.amdhsa_system_sgpr_private_segment_wavefront_offset 0
		.amdhsa_system_sgpr_workgroup_id_x 1
		.amdhsa_system_sgpr_workgroup_id_y 0
		.amdhsa_system_sgpr_workgroup_id_z 0
		.amdhsa_system_sgpr_workgroup_info 0
		.amdhsa_system_vgpr_workitem_id 0
		.amdhsa_next_free_vgpr 1
		.amdhsa_next_free_sgpr 0
		.amdhsa_reserve_vcc 0
		.amdhsa_reserve_flat_scratch 0
		.amdhsa_float_round_mode_32 0
		.amdhsa_float_round_mode_16_64 0
		.amdhsa_float_denorm_mode_32 3
		.amdhsa_float_denorm_mode_16_64 3
		.amdhsa_dx10_clamp 1
		.amdhsa_ieee_mode 1
		.amdhsa_fp16_overflow 0
		.amdhsa_exception_fp_ieee_invalid_op 0
		.amdhsa_exception_fp_denorm_src 0
		.amdhsa_exception_fp_ieee_div_zero 0
		.amdhsa_exception_fp_ieee_overflow 0
		.amdhsa_exception_fp_ieee_underflow 0
		.amdhsa_exception_fp_ieee_inexact 0
		.amdhsa_exception_int_div_zero 0
	.end_amdhsa_kernel
	.section	.text._ZN7rocprim17ROCPRIM_400000_NS6detail17trampoline_kernelINS0_14default_configENS1_29reduce_by_key_config_selectorIN3c104HalfElN6thrust23THRUST_200600_302600_NS4plusIlEEEEZZNS1_33reduce_by_key_impl_wrapped_configILNS1_25lookback_scan_determinismE0ES3_SB_PS6_NS8_17constant_iteratorIiNS8_11use_defaultESG_EENS8_10device_ptrIS6_EENSI_IlEEPmSA_NS8_8equal_toIS6_EEEE10hipError_tPvRmT2_T3_mT4_T5_T6_T7_T8_P12ihipStream_tbENKUlT_T0_E_clISt17integral_constantIbLb1EES14_IbLb0EEEEDaS10_S11_EUlS10_E_NS1_11comp_targetILNS1_3genE2ELNS1_11target_archE906ELNS1_3gpuE6ELNS1_3repE0EEENS1_30default_config_static_selectorELNS0_4arch9wavefront6targetE1EEEvT1_,"axG",@progbits,_ZN7rocprim17ROCPRIM_400000_NS6detail17trampoline_kernelINS0_14default_configENS1_29reduce_by_key_config_selectorIN3c104HalfElN6thrust23THRUST_200600_302600_NS4plusIlEEEEZZNS1_33reduce_by_key_impl_wrapped_configILNS1_25lookback_scan_determinismE0ES3_SB_PS6_NS8_17constant_iteratorIiNS8_11use_defaultESG_EENS8_10device_ptrIS6_EENSI_IlEEPmSA_NS8_8equal_toIS6_EEEE10hipError_tPvRmT2_T3_mT4_T5_T6_T7_T8_P12ihipStream_tbENKUlT_T0_E_clISt17integral_constantIbLb1EES14_IbLb0EEEEDaS10_S11_EUlS10_E_NS1_11comp_targetILNS1_3genE2ELNS1_11target_archE906ELNS1_3gpuE6ELNS1_3repE0EEENS1_30default_config_static_selectorELNS0_4arch9wavefront6targetE1EEEvT1_,comdat
.Lfunc_end2220:
	.size	_ZN7rocprim17ROCPRIM_400000_NS6detail17trampoline_kernelINS0_14default_configENS1_29reduce_by_key_config_selectorIN3c104HalfElN6thrust23THRUST_200600_302600_NS4plusIlEEEEZZNS1_33reduce_by_key_impl_wrapped_configILNS1_25lookback_scan_determinismE0ES3_SB_PS6_NS8_17constant_iteratorIiNS8_11use_defaultESG_EENS8_10device_ptrIS6_EENSI_IlEEPmSA_NS8_8equal_toIS6_EEEE10hipError_tPvRmT2_T3_mT4_T5_T6_T7_T8_P12ihipStream_tbENKUlT_T0_E_clISt17integral_constantIbLb1EES14_IbLb0EEEEDaS10_S11_EUlS10_E_NS1_11comp_targetILNS1_3genE2ELNS1_11target_archE906ELNS1_3gpuE6ELNS1_3repE0EEENS1_30default_config_static_selectorELNS0_4arch9wavefront6targetE1EEEvT1_, .Lfunc_end2220-_ZN7rocprim17ROCPRIM_400000_NS6detail17trampoline_kernelINS0_14default_configENS1_29reduce_by_key_config_selectorIN3c104HalfElN6thrust23THRUST_200600_302600_NS4plusIlEEEEZZNS1_33reduce_by_key_impl_wrapped_configILNS1_25lookback_scan_determinismE0ES3_SB_PS6_NS8_17constant_iteratorIiNS8_11use_defaultESG_EENS8_10device_ptrIS6_EENSI_IlEEPmSA_NS8_8equal_toIS6_EEEE10hipError_tPvRmT2_T3_mT4_T5_T6_T7_T8_P12ihipStream_tbENKUlT_T0_E_clISt17integral_constantIbLb1EES14_IbLb0EEEEDaS10_S11_EUlS10_E_NS1_11comp_targetILNS1_3genE2ELNS1_11target_archE906ELNS1_3gpuE6ELNS1_3repE0EEENS1_30default_config_static_selectorELNS0_4arch9wavefront6targetE1EEEvT1_
                                        ; -- End function
	.set _ZN7rocprim17ROCPRIM_400000_NS6detail17trampoline_kernelINS0_14default_configENS1_29reduce_by_key_config_selectorIN3c104HalfElN6thrust23THRUST_200600_302600_NS4plusIlEEEEZZNS1_33reduce_by_key_impl_wrapped_configILNS1_25lookback_scan_determinismE0ES3_SB_PS6_NS8_17constant_iteratorIiNS8_11use_defaultESG_EENS8_10device_ptrIS6_EENSI_IlEEPmSA_NS8_8equal_toIS6_EEEE10hipError_tPvRmT2_T3_mT4_T5_T6_T7_T8_P12ihipStream_tbENKUlT_T0_E_clISt17integral_constantIbLb1EES14_IbLb0EEEEDaS10_S11_EUlS10_E_NS1_11comp_targetILNS1_3genE2ELNS1_11target_archE906ELNS1_3gpuE6ELNS1_3repE0EEENS1_30default_config_static_selectorELNS0_4arch9wavefront6targetE1EEEvT1_.num_vgpr, 0
	.set _ZN7rocprim17ROCPRIM_400000_NS6detail17trampoline_kernelINS0_14default_configENS1_29reduce_by_key_config_selectorIN3c104HalfElN6thrust23THRUST_200600_302600_NS4plusIlEEEEZZNS1_33reduce_by_key_impl_wrapped_configILNS1_25lookback_scan_determinismE0ES3_SB_PS6_NS8_17constant_iteratorIiNS8_11use_defaultESG_EENS8_10device_ptrIS6_EENSI_IlEEPmSA_NS8_8equal_toIS6_EEEE10hipError_tPvRmT2_T3_mT4_T5_T6_T7_T8_P12ihipStream_tbENKUlT_T0_E_clISt17integral_constantIbLb1EES14_IbLb0EEEEDaS10_S11_EUlS10_E_NS1_11comp_targetILNS1_3genE2ELNS1_11target_archE906ELNS1_3gpuE6ELNS1_3repE0EEENS1_30default_config_static_selectorELNS0_4arch9wavefront6targetE1EEEvT1_.num_agpr, 0
	.set _ZN7rocprim17ROCPRIM_400000_NS6detail17trampoline_kernelINS0_14default_configENS1_29reduce_by_key_config_selectorIN3c104HalfElN6thrust23THRUST_200600_302600_NS4plusIlEEEEZZNS1_33reduce_by_key_impl_wrapped_configILNS1_25lookback_scan_determinismE0ES3_SB_PS6_NS8_17constant_iteratorIiNS8_11use_defaultESG_EENS8_10device_ptrIS6_EENSI_IlEEPmSA_NS8_8equal_toIS6_EEEE10hipError_tPvRmT2_T3_mT4_T5_T6_T7_T8_P12ihipStream_tbENKUlT_T0_E_clISt17integral_constantIbLb1EES14_IbLb0EEEEDaS10_S11_EUlS10_E_NS1_11comp_targetILNS1_3genE2ELNS1_11target_archE906ELNS1_3gpuE6ELNS1_3repE0EEENS1_30default_config_static_selectorELNS0_4arch9wavefront6targetE1EEEvT1_.numbered_sgpr, 0
	.set _ZN7rocprim17ROCPRIM_400000_NS6detail17trampoline_kernelINS0_14default_configENS1_29reduce_by_key_config_selectorIN3c104HalfElN6thrust23THRUST_200600_302600_NS4plusIlEEEEZZNS1_33reduce_by_key_impl_wrapped_configILNS1_25lookback_scan_determinismE0ES3_SB_PS6_NS8_17constant_iteratorIiNS8_11use_defaultESG_EENS8_10device_ptrIS6_EENSI_IlEEPmSA_NS8_8equal_toIS6_EEEE10hipError_tPvRmT2_T3_mT4_T5_T6_T7_T8_P12ihipStream_tbENKUlT_T0_E_clISt17integral_constantIbLb1EES14_IbLb0EEEEDaS10_S11_EUlS10_E_NS1_11comp_targetILNS1_3genE2ELNS1_11target_archE906ELNS1_3gpuE6ELNS1_3repE0EEENS1_30default_config_static_selectorELNS0_4arch9wavefront6targetE1EEEvT1_.num_named_barrier, 0
	.set _ZN7rocprim17ROCPRIM_400000_NS6detail17trampoline_kernelINS0_14default_configENS1_29reduce_by_key_config_selectorIN3c104HalfElN6thrust23THRUST_200600_302600_NS4plusIlEEEEZZNS1_33reduce_by_key_impl_wrapped_configILNS1_25lookback_scan_determinismE0ES3_SB_PS6_NS8_17constant_iteratorIiNS8_11use_defaultESG_EENS8_10device_ptrIS6_EENSI_IlEEPmSA_NS8_8equal_toIS6_EEEE10hipError_tPvRmT2_T3_mT4_T5_T6_T7_T8_P12ihipStream_tbENKUlT_T0_E_clISt17integral_constantIbLb1EES14_IbLb0EEEEDaS10_S11_EUlS10_E_NS1_11comp_targetILNS1_3genE2ELNS1_11target_archE906ELNS1_3gpuE6ELNS1_3repE0EEENS1_30default_config_static_selectorELNS0_4arch9wavefront6targetE1EEEvT1_.private_seg_size, 0
	.set _ZN7rocprim17ROCPRIM_400000_NS6detail17trampoline_kernelINS0_14default_configENS1_29reduce_by_key_config_selectorIN3c104HalfElN6thrust23THRUST_200600_302600_NS4plusIlEEEEZZNS1_33reduce_by_key_impl_wrapped_configILNS1_25lookback_scan_determinismE0ES3_SB_PS6_NS8_17constant_iteratorIiNS8_11use_defaultESG_EENS8_10device_ptrIS6_EENSI_IlEEPmSA_NS8_8equal_toIS6_EEEE10hipError_tPvRmT2_T3_mT4_T5_T6_T7_T8_P12ihipStream_tbENKUlT_T0_E_clISt17integral_constantIbLb1EES14_IbLb0EEEEDaS10_S11_EUlS10_E_NS1_11comp_targetILNS1_3genE2ELNS1_11target_archE906ELNS1_3gpuE6ELNS1_3repE0EEENS1_30default_config_static_selectorELNS0_4arch9wavefront6targetE1EEEvT1_.uses_vcc, 0
	.set _ZN7rocprim17ROCPRIM_400000_NS6detail17trampoline_kernelINS0_14default_configENS1_29reduce_by_key_config_selectorIN3c104HalfElN6thrust23THRUST_200600_302600_NS4plusIlEEEEZZNS1_33reduce_by_key_impl_wrapped_configILNS1_25lookback_scan_determinismE0ES3_SB_PS6_NS8_17constant_iteratorIiNS8_11use_defaultESG_EENS8_10device_ptrIS6_EENSI_IlEEPmSA_NS8_8equal_toIS6_EEEE10hipError_tPvRmT2_T3_mT4_T5_T6_T7_T8_P12ihipStream_tbENKUlT_T0_E_clISt17integral_constantIbLb1EES14_IbLb0EEEEDaS10_S11_EUlS10_E_NS1_11comp_targetILNS1_3genE2ELNS1_11target_archE906ELNS1_3gpuE6ELNS1_3repE0EEENS1_30default_config_static_selectorELNS0_4arch9wavefront6targetE1EEEvT1_.uses_flat_scratch, 0
	.set _ZN7rocprim17ROCPRIM_400000_NS6detail17trampoline_kernelINS0_14default_configENS1_29reduce_by_key_config_selectorIN3c104HalfElN6thrust23THRUST_200600_302600_NS4plusIlEEEEZZNS1_33reduce_by_key_impl_wrapped_configILNS1_25lookback_scan_determinismE0ES3_SB_PS6_NS8_17constant_iteratorIiNS8_11use_defaultESG_EENS8_10device_ptrIS6_EENSI_IlEEPmSA_NS8_8equal_toIS6_EEEE10hipError_tPvRmT2_T3_mT4_T5_T6_T7_T8_P12ihipStream_tbENKUlT_T0_E_clISt17integral_constantIbLb1EES14_IbLb0EEEEDaS10_S11_EUlS10_E_NS1_11comp_targetILNS1_3genE2ELNS1_11target_archE906ELNS1_3gpuE6ELNS1_3repE0EEENS1_30default_config_static_selectorELNS0_4arch9wavefront6targetE1EEEvT1_.has_dyn_sized_stack, 0
	.set _ZN7rocprim17ROCPRIM_400000_NS6detail17trampoline_kernelINS0_14default_configENS1_29reduce_by_key_config_selectorIN3c104HalfElN6thrust23THRUST_200600_302600_NS4plusIlEEEEZZNS1_33reduce_by_key_impl_wrapped_configILNS1_25lookback_scan_determinismE0ES3_SB_PS6_NS8_17constant_iteratorIiNS8_11use_defaultESG_EENS8_10device_ptrIS6_EENSI_IlEEPmSA_NS8_8equal_toIS6_EEEE10hipError_tPvRmT2_T3_mT4_T5_T6_T7_T8_P12ihipStream_tbENKUlT_T0_E_clISt17integral_constantIbLb1EES14_IbLb0EEEEDaS10_S11_EUlS10_E_NS1_11comp_targetILNS1_3genE2ELNS1_11target_archE906ELNS1_3gpuE6ELNS1_3repE0EEENS1_30default_config_static_selectorELNS0_4arch9wavefront6targetE1EEEvT1_.has_recursion, 0
	.set _ZN7rocprim17ROCPRIM_400000_NS6detail17trampoline_kernelINS0_14default_configENS1_29reduce_by_key_config_selectorIN3c104HalfElN6thrust23THRUST_200600_302600_NS4plusIlEEEEZZNS1_33reduce_by_key_impl_wrapped_configILNS1_25lookback_scan_determinismE0ES3_SB_PS6_NS8_17constant_iteratorIiNS8_11use_defaultESG_EENS8_10device_ptrIS6_EENSI_IlEEPmSA_NS8_8equal_toIS6_EEEE10hipError_tPvRmT2_T3_mT4_T5_T6_T7_T8_P12ihipStream_tbENKUlT_T0_E_clISt17integral_constantIbLb1EES14_IbLb0EEEEDaS10_S11_EUlS10_E_NS1_11comp_targetILNS1_3genE2ELNS1_11target_archE906ELNS1_3gpuE6ELNS1_3repE0EEENS1_30default_config_static_selectorELNS0_4arch9wavefront6targetE1EEEvT1_.has_indirect_call, 0
	.section	.AMDGPU.csdata,"",@progbits
; Kernel info:
; codeLenInByte = 4
; TotalNumSgprs: 4
; NumVgprs: 0
; ScratchSize: 0
; MemoryBound: 0
; FloatMode: 240
; IeeeMode: 1
; LDSByteSize: 0 bytes/workgroup (compile time only)
; SGPRBlocks: 0
; VGPRBlocks: 0
; NumSGPRsForWavesPerEU: 4
; NumVGPRsForWavesPerEU: 1
; Occupancy: 10
; WaveLimiterHint : 0
; COMPUTE_PGM_RSRC2:SCRATCH_EN: 0
; COMPUTE_PGM_RSRC2:USER_SGPR: 6
; COMPUTE_PGM_RSRC2:TRAP_HANDLER: 0
; COMPUTE_PGM_RSRC2:TGID_X_EN: 1
; COMPUTE_PGM_RSRC2:TGID_Y_EN: 0
; COMPUTE_PGM_RSRC2:TGID_Z_EN: 0
; COMPUTE_PGM_RSRC2:TIDIG_COMP_CNT: 0
	.section	.text._ZN7rocprim17ROCPRIM_400000_NS6detail17trampoline_kernelINS0_14default_configENS1_29reduce_by_key_config_selectorIN3c104HalfElN6thrust23THRUST_200600_302600_NS4plusIlEEEEZZNS1_33reduce_by_key_impl_wrapped_configILNS1_25lookback_scan_determinismE0ES3_SB_PS6_NS8_17constant_iteratorIiNS8_11use_defaultESG_EENS8_10device_ptrIS6_EENSI_IlEEPmSA_NS8_8equal_toIS6_EEEE10hipError_tPvRmT2_T3_mT4_T5_T6_T7_T8_P12ihipStream_tbENKUlT_T0_E_clISt17integral_constantIbLb1EES14_IbLb0EEEEDaS10_S11_EUlS10_E_NS1_11comp_targetILNS1_3genE10ELNS1_11target_archE1201ELNS1_3gpuE5ELNS1_3repE0EEENS1_30default_config_static_selectorELNS0_4arch9wavefront6targetE1EEEvT1_,"axG",@progbits,_ZN7rocprim17ROCPRIM_400000_NS6detail17trampoline_kernelINS0_14default_configENS1_29reduce_by_key_config_selectorIN3c104HalfElN6thrust23THRUST_200600_302600_NS4plusIlEEEEZZNS1_33reduce_by_key_impl_wrapped_configILNS1_25lookback_scan_determinismE0ES3_SB_PS6_NS8_17constant_iteratorIiNS8_11use_defaultESG_EENS8_10device_ptrIS6_EENSI_IlEEPmSA_NS8_8equal_toIS6_EEEE10hipError_tPvRmT2_T3_mT4_T5_T6_T7_T8_P12ihipStream_tbENKUlT_T0_E_clISt17integral_constantIbLb1EES14_IbLb0EEEEDaS10_S11_EUlS10_E_NS1_11comp_targetILNS1_3genE10ELNS1_11target_archE1201ELNS1_3gpuE5ELNS1_3repE0EEENS1_30default_config_static_selectorELNS0_4arch9wavefront6targetE1EEEvT1_,comdat
	.protected	_ZN7rocprim17ROCPRIM_400000_NS6detail17trampoline_kernelINS0_14default_configENS1_29reduce_by_key_config_selectorIN3c104HalfElN6thrust23THRUST_200600_302600_NS4plusIlEEEEZZNS1_33reduce_by_key_impl_wrapped_configILNS1_25lookback_scan_determinismE0ES3_SB_PS6_NS8_17constant_iteratorIiNS8_11use_defaultESG_EENS8_10device_ptrIS6_EENSI_IlEEPmSA_NS8_8equal_toIS6_EEEE10hipError_tPvRmT2_T3_mT4_T5_T6_T7_T8_P12ihipStream_tbENKUlT_T0_E_clISt17integral_constantIbLb1EES14_IbLb0EEEEDaS10_S11_EUlS10_E_NS1_11comp_targetILNS1_3genE10ELNS1_11target_archE1201ELNS1_3gpuE5ELNS1_3repE0EEENS1_30default_config_static_selectorELNS0_4arch9wavefront6targetE1EEEvT1_ ; -- Begin function _ZN7rocprim17ROCPRIM_400000_NS6detail17trampoline_kernelINS0_14default_configENS1_29reduce_by_key_config_selectorIN3c104HalfElN6thrust23THRUST_200600_302600_NS4plusIlEEEEZZNS1_33reduce_by_key_impl_wrapped_configILNS1_25lookback_scan_determinismE0ES3_SB_PS6_NS8_17constant_iteratorIiNS8_11use_defaultESG_EENS8_10device_ptrIS6_EENSI_IlEEPmSA_NS8_8equal_toIS6_EEEE10hipError_tPvRmT2_T3_mT4_T5_T6_T7_T8_P12ihipStream_tbENKUlT_T0_E_clISt17integral_constantIbLb1EES14_IbLb0EEEEDaS10_S11_EUlS10_E_NS1_11comp_targetILNS1_3genE10ELNS1_11target_archE1201ELNS1_3gpuE5ELNS1_3repE0EEENS1_30default_config_static_selectorELNS0_4arch9wavefront6targetE1EEEvT1_
	.globl	_ZN7rocprim17ROCPRIM_400000_NS6detail17trampoline_kernelINS0_14default_configENS1_29reduce_by_key_config_selectorIN3c104HalfElN6thrust23THRUST_200600_302600_NS4plusIlEEEEZZNS1_33reduce_by_key_impl_wrapped_configILNS1_25lookback_scan_determinismE0ES3_SB_PS6_NS8_17constant_iteratorIiNS8_11use_defaultESG_EENS8_10device_ptrIS6_EENSI_IlEEPmSA_NS8_8equal_toIS6_EEEE10hipError_tPvRmT2_T3_mT4_T5_T6_T7_T8_P12ihipStream_tbENKUlT_T0_E_clISt17integral_constantIbLb1EES14_IbLb0EEEEDaS10_S11_EUlS10_E_NS1_11comp_targetILNS1_3genE10ELNS1_11target_archE1201ELNS1_3gpuE5ELNS1_3repE0EEENS1_30default_config_static_selectorELNS0_4arch9wavefront6targetE1EEEvT1_
	.p2align	8
	.type	_ZN7rocprim17ROCPRIM_400000_NS6detail17trampoline_kernelINS0_14default_configENS1_29reduce_by_key_config_selectorIN3c104HalfElN6thrust23THRUST_200600_302600_NS4plusIlEEEEZZNS1_33reduce_by_key_impl_wrapped_configILNS1_25lookback_scan_determinismE0ES3_SB_PS6_NS8_17constant_iteratorIiNS8_11use_defaultESG_EENS8_10device_ptrIS6_EENSI_IlEEPmSA_NS8_8equal_toIS6_EEEE10hipError_tPvRmT2_T3_mT4_T5_T6_T7_T8_P12ihipStream_tbENKUlT_T0_E_clISt17integral_constantIbLb1EES14_IbLb0EEEEDaS10_S11_EUlS10_E_NS1_11comp_targetILNS1_3genE10ELNS1_11target_archE1201ELNS1_3gpuE5ELNS1_3repE0EEENS1_30default_config_static_selectorELNS0_4arch9wavefront6targetE1EEEvT1_,@function
_ZN7rocprim17ROCPRIM_400000_NS6detail17trampoline_kernelINS0_14default_configENS1_29reduce_by_key_config_selectorIN3c104HalfElN6thrust23THRUST_200600_302600_NS4plusIlEEEEZZNS1_33reduce_by_key_impl_wrapped_configILNS1_25lookback_scan_determinismE0ES3_SB_PS6_NS8_17constant_iteratorIiNS8_11use_defaultESG_EENS8_10device_ptrIS6_EENSI_IlEEPmSA_NS8_8equal_toIS6_EEEE10hipError_tPvRmT2_T3_mT4_T5_T6_T7_T8_P12ihipStream_tbENKUlT_T0_E_clISt17integral_constantIbLb1EES14_IbLb0EEEEDaS10_S11_EUlS10_E_NS1_11comp_targetILNS1_3genE10ELNS1_11target_archE1201ELNS1_3gpuE5ELNS1_3repE0EEENS1_30default_config_static_selectorELNS0_4arch9wavefront6targetE1EEEvT1_: ; @_ZN7rocprim17ROCPRIM_400000_NS6detail17trampoline_kernelINS0_14default_configENS1_29reduce_by_key_config_selectorIN3c104HalfElN6thrust23THRUST_200600_302600_NS4plusIlEEEEZZNS1_33reduce_by_key_impl_wrapped_configILNS1_25lookback_scan_determinismE0ES3_SB_PS6_NS8_17constant_iteratorIiNS8_11use_defaultESG_EENS8_10device_ptrIS6_EENSI_IlEEPmSA_NS8_8equal_toIS6_EEEE10hipError_tPvRmT2_T3_mT4_T5_T6_T7_T8_P12ihipStream_tbENKUlT_T0_E_clISt17integral_constantIbLb1EES14_IbLb0EEEEDaS10_S11_EUlS10_E_NS1_11comp_targetILNS1_3genE10ELNS1_11target_archE1201ELNS1_3gpuE5ELNS1_3repE0EEENS1_30default_config_static_selectorELNS0_4arch9wavefront6targetE1EEEvT1_
; %bb.0:
	.section	.rodata,"a",@progbits
	.p2align	6, 0x0
	.amdhsa_kernel _ZN7rocprim17ROCPRIM_400000_NS6detail17trampoline_kernelINS0_14default_configENS1_29reduce_by_key_config_selectorIN3c104HalfElN6thrust23THRUST_200600_302600_NS4plusIlEEEEZZNS1_33reduce_by_key_impl_wrapped_configILNS1_25lookback_scan_determinismE0ES3_SB_PS6_NS8_17constant_iteratorIiNS8_11use_defaultESG_EENS8_10device_ptrIS6_EENSI_IlEEPmSA_NS8_8equal_toIS6_EEEE10hipError_tPvRmT2_T3_mT4_T5_T6_T7_T8_P12ihipStream_tbENKUlT_T0_E_clISt17integral_constantIbLb1EES14_IbLb0EEEEDaS10_S11_EUlS10_E_NS1_11comp_targetILNS1_3genE10ELNS1_11target_archE1201ELNS1_3gpuE5ELNS1_3repE0EEENS1_30default_config_static_selectorELNS0_4arch9wavefront6targetE1EEEvT1_
		.amdhsa_group_segment_fixed_size 0
		.amdhsa_private_segment_fixed_size 0
		.amdhsa_kernarg_size 144
		.amdhsa_user_sgpr_count 6
		.amdhsa_user_sgpr_private_segment_buffer 1
		.amdhsa_user_sgpr_dispatch_ptr 0
		.amdhsa_user_sgpr_queue_ptr 0
		.amdhsa_user_sgpr_kernarg_segment_ptr 1
		.amdhsa_user_sgpr_dispatch_id 0
		.amdhsa_user_sgpr_flat_scratch_init 0
		.amdhsa_user_sgpr_private_segment_size 0
		.amdhsa_uses_dynamic_stack 0
		.amdhsa_system_sgpr_private_segment_wavefront_offset 0
		.amdhsa_system_sgpr_workgroup_id_x 1
		.amdhsa_system_sgpr_workgroup_id_y 0
		.amdhsa_system_sgpr_workgroup_id_z 0
		.amdhsa_system_sgpr_workgroup_info 0
		.amdhsa_system_vgpr_workitem_id 0
		.amdhsa_next_free_vgpr 1
		.amdhsa_next_free_sgpr 0
		.amdhsa_reserve_vcc 0
		.amdhsa_reserve_flat_scratch 0
		.amdhsa_float_round_mode_32 0
		.amdhsa_float_round_mode_16_64 0
		.amdhsa_float_denorm_mode_32 3
		.amdhsa_float_denorm_mode_16_64 3
		.amdhsa_dx10_clamp 1
		.amdhsa_ieee_mode 1
		.amdhsa_fp16_overflow 0
		.amdhsa_exception_fp_ieee_invalid_op 0
		.amdhsa_exception_fp_denorm_src 0
		.amdhsa_exception_fp_ieee_div_zero 0
		.amdhsa_exception_fp_ieee_overflow 0
		.amdhsa_exception_fp_ieee_underflow 0
		.amdhsa_exception_fp_ieee_inexact 0
		.amdhsa_exception_int_div_zero 0
	.end_amdhsa_kernel
	.section	.text._ZN7rocprim17ROCPRIM_400000_NS6detail17trampoline_kernelINS0_14default_configENS1_29reduce_by_key_config_selectorIN3c104HalfElN6thrust23THRUST_200600_302600_NS4plusIlEEEEZZNS1_33reduce_by_key_impl_wrapped_configILNS1_25lookback_scan_determinismE0ES3_SB_PS6_NS8_17constant_iteratorIiNS8_11use_defaultESG_EENS8_10device_ptrIS6_EENSI_IlEEPmSA_NS8_8equal_toIS6_EEEE10hipError_tPvRmT2_T3_mT4_T5_T6_T7_T8_P12ihipStream_tbENKUlT_T0_E_clISt17integral_constantIbLb1EES14_IbLb0EEEEDaS10_S11_EUlS10_E_NS1_11comp_targetILNS1_3genE10ELNS1_11target_archE1201ELNS1_3gpuE5ELNS1_3repE0EEENS1_30default_config_static_selectorELNS0_4arch9wavefront6targetE1EEEvT1_,"axG",@progbits,_ZN7rocprim17ROCPRIM_400000_NS6detail17trampoline_kernelINS0_14default_configENS1_29reduce_by_key_config_selectorIN3c104HalfElN6thrust23THRUST_200600_302600_NS4plusIlEEEEZZNS1_33reduce_by_key_impl_wrapped_configILNS1_25lookback_scan_determinismE0ES3_SB_PS6_NS8_17constant_iteratorIiNS8_11use_defaultESG_EENS8_10device_ptrIS6_EENSI_IlEEPmSA_NS8_8equal_toIS6_EEEE10hipError_tPvRmT2_T3_mT4_T5_T6_T7_T8_P12ihipStream_tbENKUlT_T0_E_clISt17integral_constantIbLb1EES14_IbLb0EEEEDaS10_S11_EUlS10_E_NS1_11comp_targetILNS1_3genE10ELNS1_11target_archE1201ELNS1_3gpuE5ELNS1_3repE0EEENS1_30default_config_static_selectorELNS0_4arch9wavefront6targetE1EEEvT1_,comdat
.Lfunc_end2221:
	.size	_ZN7rocprim17ROCPRIM_400000_NS6detail17trampoline_kernelINS0_14default_configENS1_29reduce_by_key_config_selectorIN3c104HalfElN6thrust23THRUST_200600_302600_NS4plusIlEEEEZZNS1_33reduce_by_key_impl_wrapped_configILNS1_25lookback_scan_determinismE0ES3_SB_PS6_NS8_17constant_iteratorIiNS8_11use_defaultESG_EENS8_10device_ptrIS6_EENSI_IlEEPmSA_NS8_8equal_toIS6_EEEE10hipError_tPvRmT2_T3_mT4_T5_T6_T7_T8_P12ihipStream_tbENKUlT_T0_E_clISt17integral_constantIbLb1EES14_IbLb0EEEEDaS10_S11_EUlS10_E_NS1_11comp_targetILNS1_3genE10ELNS1_11target_archE1201ELNS1_3gpuE5ELNS1_3repE0EEENS1_30default_config_static_selectorELNS0_4arch9wavefront6targetE1EEEvT1_, .Lfunc_end2221-_ZN7rocprim17ROCPRIM_400000_NS6detail17trampoline_kernelINS0_14default_configENS1_29reduce_by_key_config_selectorIN3c104HalfElN6thrust23THRUST_200600_302600_NS4plusIlEEEEZZNS1_33reduce_by_key_impl_wrapped_configILNS1_25lookback_scan_determinismE0ES3_SB_PS6_NS8_17constant_iteratorIiNS8_11use_defaultESG_EENS8_10device_ptrIS6_EENSI_IlEEPmSA_NS8_8equal_toIS6_EEEE10hipError_tPvRmT2_T3_mT4_T5_T6_T7_T8_P12ihipStream_tbENKUlT_T0_E_clISt17integral_constantIbLb1EES14_IbLb0EEEEDaS10_S11_EUlS10_E_NS1_11comp_targetILNS1_3genE10ELNS1_11target_archE1201ELNS1_3gpuE5ELNS1_3repE0EEENS1_30default_config_static_selectorELNS0_4arch9wavefront6targetE1EEEvT1_
                                        ; -- End function
	.set _ZN7rocprim17ROCPRIM_400000_NS6detail17trampoline_kernelINS0_14default_configENS1_29reduce_by_key_config_selectorIN3c104HalfElN6thrust23THRUST_200600_302600_NS4plusIlEEEEZZNS1_33reduce_by_key_impl_wrapped_configILNS1_25lookback_scan_determinismE0ES3_SB_PS6_NS8_17constant_iteratorIiNS8_11use_defaultESG_EENS8_10device_ptrIS6_EENSI_IlEEPmSA_NS8_8equal_toIS6_EEEE10hipError_tPvRmT2_T3_mT4_T5_T6_T7_T8_P12ihipStream_tbENKUlT_T0_E_clISt17integral_constantIbLb1EES14_IbLb0EEEEDaS10_S11_EUlS10_E_NS1_11comp_targetILNS1_3genE10ELNS1_11target_archE1201ELNS1_3gpuE5ELNS1_3repE0EEENS1_30default_config_static_selectorELNS0_4arch9wavefront6targetE1EEEvT1_.num_vgpr, 0
	.set _ZN7rocprim17ROCPRIM_400000_NS6detail17trampoline_kernelINS0_14default_configENS1_29reduce_by_key_config_selectorIN3c104HalfElN6thrust23THRUST_200600_302600_NS4plusIlEEEEZZNS1_33reduce_by_key_impl_wrapped_configILNS1_25lookback_scan_determinismE0ES3_SB_PS6_NS8_17constant_iteratorIiNS8_11use_defaultESG_EENS8_10device_ptrIS6_EENSI_IlEEPmSA_NS8_8equal_toIS6_EEEE10hipError_tPvRmT2_T3_mT4_T5_T6_T7_T8_P12ihipStream_tbENKUlT_T0_E_clISt17integral_constantIbLb1EES14_IbLb0EEEEDaS10_S11_EUlS10_E_NS1_11comp_targetILNS1_3genE10ELNS1_11target_archE1201ELNS1_3gpuE5ELNS1_3repE0EEENS1_30default_config_static_selectorELNS0_4arch9wavefront6targetE1EEEvT1_.num_agpr, 0
	.set _ZN7rocprim17ROCPRIM_400000_NS6detail17trampoline_kernelINS0_14default_configENS1_29reduce_by_key_config_selectorIN3c104HalfElN6thrust23THRUST_200600_302600_NS4plusIlEEEEZZNS1_33reduce_by_key_impl_wrapped_configILNS1_25lookback_scan_determinismE0ES3_SB_PS6_NS8_17constant_iteratorIiNS8_11use_defaultESG_EENS8_10device_ptrIS6_EENSI_IlEEPmSA_NS8_8equal_toIS6_EEEE10hipError_tPvRmT2_T3_mT4_T5_T6_T7_T8_P12ihipStream_tbENKUlT_T0_E_clISt17integral_constantIbLb1EES14_IbLb0EEEEDaS10_S11_EUlS10_E_NS1_11comp_targetILNS1_3genE10ELNS1_11target_archE1201ELNS1_3gpuE5ELNS1_3repE0EEENS1_30default_config_static_selectorELNS0_4arch9wavefront6targetE1EEEvT1_.numbered_sgpr, 0
	.set _ZN7rocprim17ROCPRIM_400000_NS6detail17trampoline_kernelINS0_14default_configENS1_29reduce_by_key_config_selectorIN3c104HalfElN6thrust23THRUST_200600_302600_NS4plusIlEEEEZZNS1_33reduce_by_key_impl_wrapped_configILNS1_25lookback_scan_determinismE0ES3_SB_PS6_NS8_17constant_iteratorIiNS8_11use_defaultESG_EENS8_10device_ptrIS6_EENSI_IlEEPmSA_NS8_8equal_toIS6_EEEE10hipError_tPvRmT2_T3_mT4_T5_T6_T7_T8_P12ihipStream_tbENKUlT_T0_E_clISt17integral_constantIbLb1EES14_IbLb0EEEEDaS10_S11_EUlS10_E_NS1_11comp_targetILNS1_3genE10ELNS1_11target_archE1201ELNS1_3gpuE5ELNS1_3repE0EEENS1_30default_config_static_selectorELNS0_4arch9wavefront6targetE1EEEvT1_.num_named_barrier, 0
	.set _ZN7rocprim17ROCPRIM_400000_NS6detail17trampoline_kernelINS0_14default_configENS1_29reduce_by_key_config_selectorIN3c104HalfElN6thrust23THRUST_200600_302600_NS4plusIlEEEEZZNS1_33reduce_by_key_impl_wrapped_configILNS1_25lookback_scan_determinismE0ES3_SB_PS6_NS8_17constant_iteratorIiNS8_11use_defaultESG_EENS8_10device_ptrIS6_EENSI_IlEEPmSA_NS8_8equal_toIS6_EEEE10hipError_tPvRmT2_T3_mT4_T5_T6_T7_T8_P12ihipStream_tbENKUlT_T0_E_clISt17integral_constantIbLb1EES14_IbLb0EEEEDaS10_S11_EUlS10_E_NS1_11comp_targetILNS1_3genE10ELNS1_11target_archE1201ELNS1_3gpuE5ELNS1_3repE0EEENS1_30default_config_static_selectorELNS0_4arch9wavefront6targetE1EEEvT1_.private_seg_size, 0
	.set _ZN7rocprim17ROCPRIM_400000_NS6detail17trampoline_kernelINS0_14default_configENS1_29reduce_by_key_config_selectorIN3c104HalfElN6thrust23THRUST_200600_302600_NS4plusIlEEEEZZNS1_33reduce_by_key_impl_wrapped_configILNS1_25lookback_scan_determinismE0ES3_SB_PS6_NS8_17constant_iteratorIiNS8_11use_defaultESG_EENS8_10device_ptrIS6_EENSI_IlEEPmSA_NS8_8equal_toIS6_EEEE10hipError_tPvRmT2_T3_mT4_T5_T6_T7_T8_P12ihipStream_tbENKUlT_T0_E_clISt17integral_constantIbLb1EES14_IbLb0EEEEDaS10_S11_EUlS10_E_NS1_11comp_targetILNS1_3genE10ELNS1_11target_archE1201ELNS1_3gpuE5ELNS1_3repE0EEENS1_30default_config_static_selectorELNS0_4arch9wavefront6targetE1EEEvT1_.uses_vcc, 0
	.set _ZN7rocprim17ROCPRIM_400000_NS6detail17trampoline_kernelINS0_14default_configENS1_29reduce_by_key_config_selectorIN3c104HalfElN6thrust23THRUST_200600_302600_NS4plusIlEEEEZZNS1_33reduce_by_key_impl_wrapped_configILNS1_25lookback_scan_determinismE0ES3_SB_PS6_NS8_17constant_iteratorIiNS8_11use_defaultESG_EENS8_10device_ptrIS6_EENSI_IlEEPmSA_NS8_8equal_toIS6_EEEE10hipError_tPvRmT2_T3_mT4_T5_T6_T7_T8_P12ihipStream_tbENKUlT_T0_E_clISt17integral_constantIbLb1EES14_IbLb0EEEEDaS10_S11_EUlS10_E_NS1_11comp_targetILNS1_3genE10ELNS1_11target_archE1201ELNS1_3gpuE5ELNS1_3repE0EEENS1_30default_config_static_selectorELNS0_4arch9wavefront6targetE1EEEvT1_.uses_flat_scratch, 0
	.set _ZN7rocprim17ROCPRIM_400000_NS6detail17trampoline_kernelINS0_14default_configENS1_29reduce_by_key_config_selectorIN3c104HalfElN6thrust23THRUST_200600_302600_NS4plusIlEEEEZZNS1_33reduce_by_key_impl_wrapped_configILNS1_25lookback_scan_determinismE0ES3_SB_PS6_NS8_17constant_iteratorIiNS8_11use_defaultESG_EENS8_10device_ptrIS6_EENSI_IlEEPmSA_NS8_8equal_toIS6_EEEE10hipError_tPvRmT2_T3_mT4_T5_T6_T7_T8_P12ihipStream_tbENKUlT_T0_E_clISt17integral_constantIbLb1EES14_IbLb0EEEEDaS10_S11_EUlS10_E_NS1_11comp_targetILNS1_3genE10ELNS1_11target_archE1201ELNS1_3gpuE5ELNS1_3repE0EEENS1_30default_config_static_selectorELNS0_4arch9wavefront6targetE1EEEvT1_.has_dyn_sized_stack, 0
	.set _ZN7rocprim17ROCPRIM_400000_NS6detail17trampoline_kernelINS0_14default_configENS1_29reduce_by_key_config_selectorIN3c104HalfElN6thrust23THRUST_200600_302600_NS4plusIlEEEEZZNS1_33reduce_by_key_impl_wrapped_configILNS1_25lookback_scan_determinismE0ES3_SB_PS6_NS8_17constant_iteratorIiNS8_11use_defaultESG_EENS8_10device_ptrIS6_EENSI_IlEEPmSA_NS8_8equal_toIS6_EEEE10hipError_tPvRmT2_T3_mT4_T5_T6_T7_T8_P12ihipStream_tbENKUlT_T0_E_clISt17integral_constantIbLb1EES14_IbLb0EEEEDaS10_S11_EUlS10_E_NS1_11comp_targetILNS1_3genE10ELNS1_11target_archE1201ELNS1_3gpuE5ELNS1_3repE0EEENS1_30default_config_static_selectorELNS0_4arch9wavefront6targetE1EEEvT1_.has_recursion, 0
	.set _ZN7rocprim17ROCPRIM_400000_NS6detail17trampoline_kernelINS0_14default_configENS1_29reduce_by_key_config_selectorIN3c104HalfElN6thrust23THRUST_200600_302600_NS4plusIlEEEEZZNS1_33reduce_by_key_impl_wrapped_configILNS1_25lookback_scan_determinismE0ES3_SB_PS6_NS8_17constant_iteratorIiNS8_11use_defaultESG_EENS8_10device_ptrIS6_EENSI_IlEEPmSA_NS8_8equal_toIS6_EEEE10hipError_tPvRmT2_T3_mT4_T5_T6_T7_T8_P12ihipStream_tbENKUlT_T0_E_clISt17integral_constantIbLb1EES14_IbLb0EEEEDaS10_S11_EUlS10_E_NS1_11comp_targetILNS1_3genE10ELNS1_11target_archE1201ELNS1_3gpuE5ELNS1_3repE0EEENS1_30default_config_static_selectorELNS0_4arch9wavefront6targetE1EEEvT1_.has_indirect_call, 0
	.section	.AMDGPU.csdata,"",@progbits
; Kernel info:
; codeLenInByte = 0
; TotalNumSgprs: 4
; NumVgprs: 0
; ScratchSize: 0
; MemoryBound: 0
; FloatMode: 240
; IeeeMode: 1
; LDSByteSize: 0 bytes/workgroup (compile time only)
; SGPRBlocks: 0
; VGPRBlocks: 0
; NumSGPRsForWavesPerEU: 4
; NumVGPRsForWavesPerEU: 1
; Occupancy: 10
; WaveLimiterHint : 0
; COMPUTE_PGM_RSRC2:SCRATCH_EN: 0
; COMPUTE_PGM_RSRC2:USER_SGPR: 6
; COMPUTE_PGM_RSRC2:TRAP_HANDLER: 0
; COMPUTE_PGM_RSRC2:TGID_X_EN: 1
; COMPUTE_PGM_RSRC2:TGID_Y_EN: 0
; COMPUTE_PGM_RSRC2:TGID_Z_EN: 0
; COMPUTE_PGM_RSRC2:TIDIG_COMP_CNT: 0
	.section	.text._ZN7rocprim17ROCPRIM_400000_NS6detail17trampoline_kernelINS0_14default_configENS1_29reduce_by_key_config_selectorIN3c104HalfElN6thrust23THRUST_200600_302600_NS4plusIlEEEEZZNS1_33reduce_by_key_impl_wrapped_configILNS1_25lookback_scan_determinismE0ES3_SB_PS6_NS8_17constant_iteratorIiNS8_11use_defaultESG_EENS8_10device_ptrIS6_EENSI_IlEEPmSA_NS8_8equal_toIS6_EEEE10hipError_tPvRmT2_T3_mT4_T5_T6_T7_T8_P12ihipStream_tbENKUlT_T0_E_clISt17integral_constantIbLb1EES14_IbLb0EEEEDaS10_S11_EUlS10_E_NS1_11comp_targetILNS1_3genE10ELNS1_11target_archE1200ELNS1_3gpuE4ELNS1_3repE0EEENS1_30default_config_static_selectorELNS0_4arch9wavefront6targetE1EEEvT1_,"axG",@progbits,_ZN7rocprim17ROCPRIM_400000_NS6detail17trampoline_kernelINS0_14default_configENS1_29reduce_by_key_config_selectorIN3c104HalfElN6thrust23THRUST_200600_302600_NS4plusIlEEEEZZNS1_33reduce_by_key_impl_wrapped_configILNS1_25lookback_scan_determinismE0ES3_SB_PS6_NS8_17constant_iteratorIiNS8_11use_defaultESG_EENS8_10device_ptrIS6_EENSI_IlEEPmSA_NS8_8equal_toIS6_EEEE10hipError_tPvRmT2_T3_mT4_T5_T6_T7_T8_P12ihipStream_tbENKUlT_T0_E_clISt17integral_constantIbLb1EES14_IbLb0EEEEDaS10_S11_EUlS10_E_NS1_11comp_targetILNS1_3genE10ELNS1_11target_archE1200ELNS1_3gpuE4ELNS1_3repE0EEENS1_30default_config_static_selectorELNS0_4arch9wavefront6targetE1EEEvT1_,comdat
	.protected	_ZN7rocprim17ROCPRIM_400000_NS6detail17trampoline_kernelINS0_14default_configENS1_29reduce_by_key_config_selectorIN3c104HalfElN6thrust23THRUST_200600_302600_NS4plusIlEEEEZZNS1_33reduce_by_key_impl_wrapped_configILNS1_25lookback_scan_determinismE0ES3_SB_PS6_NS8_17constant_iteratorIiNS8_11use_defaultESG_EENS8_10device_ptrIS6_EENSI_IlEEPmSA_NS8_8equal_toIS6_EEEE10hipError_tPvRmT2_T3_mT4_T5_T6_T7_T8_P12ihipStream_tbENKUlT_T0_E_clISt17integral_constantIbLb1EES14_IbLb0EEEEDaS10_S11_EUlS10_E_NS1_11comp_targetILNS1_3genE10ELNS1_11target_archE1200ELNS1_3gpuE4ELNS1_3repE0EEENS1_30default_config_static_selectorELNS0_4arch9wavefront6targetE1EEEvT1_ ; -- Begin function _ZN7rocprim17ROCPRIM_400000_NS6detail17trampoline_kernelINS0_14default_configENS1_29reduce_by_key_config_selectorIN3c104HalfElN6thrust23THRUST_200600_302600_NS4plusIlEEEEZZNS1_33reduce_by_key_impl_wrapped_configILNS1_25lookback_scan_determinismE0ES3_SB_PS6_NS8_17constant_iteratorIiNS8_11use_defaultESG_EENS8_10device_ptrIS6_EENSI_IlEEPmSA_NS8_8equal_toIS6_EEEE10hipError_tPvRmT2_T3_mT4_T5_T6_T7_T8_P12ihipStream_tbENKUlT_T0_E_clISt17integral_constantIbLb1EES14_IbLb0EEEEDaS10_S11_EUlS10_E_NS1_11comp_targetILNS1_3genE10ELNS1_11target_archE1200ELNS1_3gpuE4ELNS1_3repE0EEENS1_30default_config_static_selectorELNS0_4arch9wavefront6targetE1EEEvT1_
	.globl	_ZN7rocprim17ROCPRIM_400000_NS6detail17trampoline_kernelINS0_14default_configENS1_29reduce_by_key_config_selectorIN3c104HalfElN6thrust23THRUST_200600_302600_NS4plusIlEEEEZZNS1_33reduce_by_key_impl_wrapped_configILNS1_25lookback_scan_determinismE0ES3_SB_PS6_NS8_17constant_iteratorIiNS8_11use_defaultESG_EENS8_10device_ptrIS6_EENSI_IlEEPmSA_NS8_8equal_toIS6_EEEE10hipError_tPvRmT2_T3_mT4_T5_T6_T7_T8_P12ihipStream_tbENKUlT_T0_E_clISt17integral_constantIbLb1EES14_IbLb0EEEEDaS10_S11_EUlS10_E_NS1_11comp_targetILNS1_3genE10ELNS1_11target_archE1200ELNS1_3gpuE4ELNS1_3repE0EEENS1_30default_config_static_selectorELNS0_4arch9wavefront6targetE1EEEvT1_
	.p2align	8
	.type	_ZN7rocprim17ROCPRIM_400000_NS6detail17trampoline_kernelINS0_14default_configENS1_29reduce_by_key_config_selectorIN3c104HalfElN6thrust23THRUST_200600_302600_NS4plusIlEEEEZZNS1_33reduce_by_key_impl_wrapped_configILNS1_25lookback_scan_determinismE0ES3_SB_PS6_NS8_17constant_iteratorIiNS8_11use_defaultESG_EENS8_10device_ptrIS6_EENSI_IlEEPmSA_NS8_8equal_toIS6_EEEE10hipError_tPvRmT2_T3_mT4_T5_T6_T7_T8_P12ihipStream_tbENKUlT_T0_E_clISt17integral_constantIbLb1EES14_IbLb0EEEEDaS10_S11_EUlS10_E_NS1_11comp_targetILNS1_3genE10ELNS1_11target_archE1200ELNS1_3gpuE4ELNS1_3repE0EEENS1_30default_config_static_selectorELNS0_4arch9wavefront6targetE1EEEvT1_,@function
_ZN7rocprim17ROCPRIM_400000_NS6detail17trampoline_kernelINS0_14default_configENS1_29reduce_by_key_config_selectorIN3c104HalfElN6thrust23THRUST_200600_302600_NS4plusIlEEEEZZNS1_33reduce_by_key_impl_wrapped_configILNS1_25lookback_scan_determinismE0ES3_SB_PS6_NS8_17constant_iteratorIiNS8_11use_defaultESG_EENS8_10device_ptrIS6_EENSI_IlEEPmSA_NS8_8equal_toIS6_EEEE10hipError_tPvRmT2_T3_mT4_T5_T6_T7_T8_P12ihipStream_tbENKUlT_T0_E_clISt17integral_constantIbLb1EES14_IbLb0EEEEDaS10_S11_EUlS10_E_NS1_11comp_targetILNS1_3genE10ELNS1_11target_archE1200ELNS1_3gpuE4ELNS1_3repE0EEENS1_30default_config_static_selectorELNS0_4arch9wavefront6targetE1EEEvT1_: ; @_ZN7rocprim17ROCPRIM_400000_NS6detail17trampoline_kernelINS0_14default_configENS1_29reduce_by_key_config_selectorIN3c104HalfElN6thrust23THRUST_200600_302600_NS4plusIlEEEEZZNS1_33reduce_by_key_impl_wrapped_configILNS1_25lookback_scan_determinismE0ES3_SB_PS6_NS8_17constant_iteratorIiNS8_11use_defaultESG_EENS8_10device_ptrIS6_EENSI_IlEEPmSA_NS8_8equal_toIS6_EEEE10hipError_tPvRmT2_T3_mT4_T5_T6_T7_T8_P12ihipStream_tbENKUlT_T0_E_clISt17integral_constantIbLb1EES14_IbLb0EEEEDaS10_S11_EUlS10_E_NS1_11comp_targetILNS1_3genE10ELNS1_11target_archE1200ELNS1_3gpuE4ELNS1_3repE0EEENS1_30default_config_static_selectorELNS0_4arch9wavefront6targetE1EEEvT1_
; %bb.0:
	.section	.rodata,"a",@progbits
	.p2align	6, 0x0
	.amdhsa_kernel _ZN7rocprim17ROCPRIM_400000_NS6detail17trampoline_kernelINS0_14default_configENS1_29reduce_by_key_config_selectorIN3c104HalfElN6thrust23THRUST_200600_302600_NS4plusIlEEEEZZNS1_33reduce_by_key_impl_wrapped_configILNS1_25lookback_scan_determinismE0ES3_SB_PS6_NS8_17constant_iteratorIiNS8_11use_defaultESG_EENS8_10device_ptrIS6_EENSI_IlEEPmSA_NS8_8equal_toIS6_EEEE10hipError_tPvRmT2_T3_mT4_T5_T6_T7_T8_P12ihipStream_tbENKUlT_T0_E_clISt17integral_constantIbLb1EES14_IbLb0EEEEDaS10_S11_EUlS10_E_NS1_11comp_targetILNS1_3genE10ELNS1_11target_archE1200ELNS1_3gpuE4ELNS1_3repE0EEENS1_30default_config_static_selectorELNS0_4arch9wavefront6targetE1EEEvT1_
		.amdhsa_group_segment_fixed_size 0
		.amdhsa_private_segment_fixed_size 0
		.amdhsa_kernarg_size 144
		.amdhsa_user_sgpr_count 6
		.amdhsa_user_sgpr_private_segment_buffer 1
		.amdhsa_user_sgpr_dispatch_ptr 0
		.amdhsa_user_sgpr_queue_ptr 0
		.amdhsa_user_sgpr_kernarg_segment_ptr 1
		.amdhsa_user_sgpr_dispatch_id 0
		.amdhsa_user_sgpr_flat_scratch_init 0
		.amdhsa_user_sgpr_private_segment_size 0
		.amdhsa_uses_dynamic_stack 0
		.amdhsa_system_sgpr_private_segment_wavefront_offset 0
		.amdhsa_system_sgpr_workgroup_id_x 1
		.amdhsa_system_sgpr_workgroup_id_y 0
		.amdhsa_system_sgpr_workgroup_id_z 0
		.amdhsa_system_sgpr_workgroup_info 0
		.amdhsa_system_vgpr_workitem_id 0
		.amdhsa_next_free_vgpr 1
		.amdhsa_next_free_sgpr 0
		.amdhsa_reserve_vcc 0
		.amdhsa_reserve_flat_scratch 0
		.amdhsa_float_round_mode_32 0
		.amdhsa_float_round_mode_16_64 0
		.amdhsa_float_denorm_mode_32 3
		.amdhsa_float_denorm_mode_16_64 3
		.amdhsa_dx10_clamp 1
		.amdhsa_ieee_mode 1
		.amdhsa_fp16_overflow 0
		.amdhsa_exception_fp_ieee_invalid_op 0
		.amdhsa_exception_fp_denorm_src 0
		.amdhsa_exception_fp_ieee_div_zero 0
		.amdhsa_exception_fp_ieee_overflow 0
		.amdhsa_exception_fp_ieee_underflow 0
		.amdhsa_exception_fp_ieee_inexact 0
		.amdhsa_exception_int_div_zero 0
	.end_amdhsa_kernel
	.section	.text._ZN7rocprim17ROCPRIM_400000_NS6detail17trampoline_kernelINS0_14default_configENS1_29reduce_by_key_config_selectorIN3c104HalfElN6thrust23THRUST_200600_302600_NS4plusIlEEEEZZNS1_33reduce_by_key_impl_wrapped_configILNS1_25lookback_scan_determinismE0ES3_SB_PS6_NS8_17constant_iteratorIiNS8_11use_defaultESG_EENS8_10device_ptrIS6_EENSI_IlEEPmSA_NS8_8equal_toIS6_EEEE10hipError_tPvRmT2_T3_mT4_T5_T6_T7_T8_P12ihipStream_tbENKUlT_T0_E_clISt17integral_constantIbLb1EES14_IbLb0EEEEDaS10_S11_EUlS10_E_NS1_11comp_targetILNS1_3genE10ELNS1_11target_archE1200ELNS1_3gpuE4ELNS1_3repE0EEENS1_30default_config_static_selectorELNS0_4arch9wavefront6targetE1EEEvT1_,"axG",@progbits,_ZN7rocprim17ROCPRIM_400000_NS6detail17trampoline_kernelINS0_14default_configENS1_29reduce_by_key_config_selectorIN3c104HalfElN6thrust23THRUST_200600_302600_NS4plusIlEEEEZZNS1_33reduce_by_key_impl_wrapped_configILNS1_25lookback_scan_determinismE0ES3_SB_PS6_NS8_17constant_iteratorIiNS8_11use_defaultESG_EENS8_10device_ptrIS6_EENSI_IlEEPmSA_NS8_8equal_toIS6_EEEE10hipError_tPvRmT2_T3_mT4_T5_T6_T7_T8_P12ihipStream_tbENKUlT_T0_E_clISt17integral_constantIbLb1EES14_IbLb0EEEEDaS10_S11_EUlS10_E_NS1_11comp_targetILNS1_3genE10ELNS1_11target_archE1200ELNS1_3gpuE4ELNS1_3repE0EEENS1_30default_config_static_selectorELNS0_4arch9wavefront6targetE1EEEvT1_,comdat
.Lfunc_end2222:
	.size	_ZN7rocprim17ROCPRIM_400000_NS6detail17trampoline_kernelINS0_14default_configENS1_29reduce_by_key_config_selectorIN3c104HalfElN6thrust23THRUST_200600_302600_NS4plusIlEEEEZZNS1_33reduce_by_key_impl_wrapped_configILNS1_25lookback_scan_determinismE0ES3_SB_PS6_NS8_17constant_iteratorIiNS8_11use_defaultESG_EENS8_10device_ptrIS6_EENSI_IlEEPmSA_NS8_8equal_toIS6_EEEE10hipError_tPvRmT2_T3_mT4_T5_T6_T7_T8_P12ihipStream_tbENKUlT_T0_E_clISt17integral_constantIbLb1EES14_IbLb0EEEEDaS10_S11_EUlS10_E_NS1_11comp_targetILNS1_3genE10ELNS1_11target_archE1200ELNS1_3gpuE4ELNS1_3repE0EEENS1_30default_config_static_selectorELNS0_4arch9wavefront6targetE1EEEvT1_, .Lfunc_end2222-_ZN7rocprim17ROCPRIM_400000_NS6detail17trampoline_kernelINS0_14default_configENS1_29reduce_by_key_config_selectorIN3c104HalfElN6thrust23THRUST_200600_302600_NS4plusIlEEEEZZNS1_33reduce_by_key_impl_wrapped_configILNS1_25lookback_scan_determinismE0ES3_SB_PS6_NS8_17constant_iteratorIiNS8_11use_defaultESG_EENS8_10device_ptrIS6_EENSI_IlEEPmSA_NS8_8equal_toIS6_EEEE10hipError_tPvRmT2_T3_mT4_T5_T6_T7_T8_P12ihipStream_tbENKUlT_T0_E_clISt17integral_constantIbLb1EES14_IbLb0EEEEDaS10_S11_EUlS10_E_NS1_11comp_targetILNS1_3genE10ELNS1_11target_archE1200ELNS1_3gpuE4ELNS1_3repE0EEENS1_30default_config_static_selectorELNS0_4arch9wavefront6targetE1EEEvT1_
                                        ; -- End function
	.set _ZN7rocprim17ROCPRIM_400000_NS6detail17trampoline_kernelINS0_14default_configENS1_29reduce_by_key_config_selectorIN3c104HalfElN6thrust23THRUST_200600_302600_NS4plusIlEEEEZZNS1_33reduce_by_key_impl_wrapped_configILNS1_25lookback_scan_determinismE0ES3_SB_PS6_NS8_17constant_iteratorIiNS8_11use_defaultESG_EENS8_10device_ptrIS6_EENSI_IlEEPmSA_NS8_8equal_toIS6_EEEE10hipError_tPvRmT2_T3_mT4_T5_T6_T7_T8_P12ihipStream_tbENKUlT_T0_E_clISt17integral_constantIbLb1EES14_IbLb0EEEEDaS10_S11_EUlS10_E_NS1_11comp_targetILNS1_3genE10ELNS1_11target_archE1200ELNS1_3gpuE4ELNS1_3repE0EEENS1_30default_config_static_selectorELNS0_4arch9wavefront6targetE1EEEvT1_.num_vgpr, 0
	.set _ZN7rocprim17ROCPRIM_400000_NS6detail17trampoline_kernelINS0_14default_configENS1_29reduce_by_key_config_selectorIN3c104HalfElN6thrust23THRUST_200600_302600_NS4plusIlEEEEZZNS1_33reduce_by_key_impl_wrapped_configILNS1_25lookback_scan_determinismE0ES3_SB_PS6_NS8_17constant_iteratorIiNS8_11use_defaultESG_EENS8_10device_ptrIS6_EENSI_IlEEPmSA_NS8_8equal_toIS6_EEEE10hipError_tPvRmT2_T3_mT4_T5_T6_T7_T8_P12ihipStream_tbENKUlT_T0_E_clISt17integral_constantIbLb1EES14_IbLb0EEEEDaS10_S11_EUlS10_E_NS1_11comp_targetILNS1_3genE10ELNS1_11target_archE1200ELNS1_3gpuE4ELNS1_3repE0EEENS1_30default_config_static_selectorELNS0_4arch9wavefront6targetE1EEEvT1_.num_agpr, 0
	.set _ZN7rocprim17ROCPRIM_400000_NS6detail17trampoline_kernelINS0_14default_configENS1_29reduce_by_key_config_selectorIN3c104HalfElN6thrust23THRUST_200600_302600_NS4plusIlEEEEZZNS1_33reduce_by_key_impl_wrapped_configILNS1_25lookback_scan_determinismE0ES3_SB_PS6_NS8_17constant_iteratorIiNS8_11use_defaultESG_EENS8_10device_ptrIS6_EENSI_IlEEPmSA_NS8_8equal_toIS6_EEEE10hipError_tPvRmT2_T3_mT4_T5_T6_T7_T8_P12ihipStream_tbENKUlT_T0_E_clISt17integral_constantIbLb1EES14_IbLb0EEEEDaS10_S11_EUlS10_E_NS1_11comp_targetILNS1_3genE10ELNS1_11target_archE1200ELNS1_3gpuE4ELNS1_3repE0EEENS1_30default_config_static_selectorELNS0_4arch9wavefront6targetE1EEEvT1_.numbered_sgpr, 0
	.set _ZN7rocprim17ROCPRIM_400000_NS6detail17trampoline_kernelINS0_14default_configENS1_29reduce_by_key_config_selectorIN3c104HalfElN6thrust23THRUST_200600_302600_NS4plusIlEEEEZZNS1_33reduce_by_key_impl_wrapped_configILNS1_25lookback_scan_determinismE0ES3_SB_PS6_NS8_17constant_iteratorIiNS8_11use_defaultESG_EENS8_10device_ptrIS6_EENSI_IlEEPmSA_NS8_8equal_toIS6_EEEE10hipError_tPvRmT2_T3_mT4_T5_T6_T7_T8_P12ihipStream_tbENKUlT_T0_E_clISt17integral_constantIbLb1EES14_IbLb0EEEEDaS10_S11_EUlS10_E_NS1_11comp_targetILNS1_3genE10ELNS1_11target_archE1200ELNS1_3gpuE4ELNS1_3repE0EEENS1_30default_config_static_selectorELNS0_4arch9wavefront6targetE1EEEvT1_.num_named_barrier, 0
	.set _ZN7rocprim17ROCPRIM_400000_NS6detail17trampoline_kernelINS0_14default_configENS1_29reduce_by_key_config_selectorIN3c104HalfElN6thrust23THRUST_200600_302600_NS4plusIlEEEEZZNS1_33reduce_by_key_impl_wrapped_configILNS1_25lookback_scan_determinismE0ES3_SB_PS6_NS8_17constant_iteratorIiNS8_11use_defaultESG_EENS8_10device_ptrIS6_EENSI_IlEEPmSA_NS8_8equal_toIS6_EEEE10hipError_tPvRmT2_T3_mT4_T5_T6_T7_T8_P12ihipStream_tbENKUlT_T0_E_clISt17integral_constantIbLb1EES14_IbLb0EEEEDaS10_S11_EUlS10_E_NS1_11comp_targetILNS1_3genE10ELNS1_11target_archE1200ELNS1_3gpuE4ELNS1_3repE0EEENS1_30default_config_static_selectorELNS0_4arch9wavefront6targetE1EEEvT1_.private_seg_size, 0
	.set _ZN7rocprim17ROCPRIM_400000_NS6detail17trampoline_kernelINS0_14default_configENS1_29reduce_by_key_config_selectorIN3c104HalfElN6thrust23THRUST_200600_302600_NS4plusIlEEEEZZNS1_33reduce_by_key_impl_wrapped_configILNS1_25lookback_scan_determinismE0ES3_SB_PS6_NS8_17constant_iteratorIiNS8_11use_defaultESG_EENS8_10device_ptrIS6_EENSI_IlEEPmSA_NS8_8equal_toIS6_EEEE10hipError_tPvRmT2_T3_mT4_T5_T6_T7_T8_P12ihipStream_tbENKUlT_T0_E_clISt17integral_constantIbLb1EES14_IbLb0EEEEDaS10_S11_EUlS10_E_NS1_11comp_targetILNS1_3genE10ELNS1_11target_archE1200ELNS1_3gpuE4ELNS1_3repE0EEENS1_30default_config_static_selectorELNS0_4arch9wavefront6targetE1EEEvT1_.uses_vcc, 0
	.set _ZN7rocprim17ROCPRIM_400000_NS6detail17trampoline_kernelINS0_14default_configENS1_29reduce_by_key_config_selectorIN3c104HalfElN6thrust23THRUST_200600_302600_NS4plusIlEEEEZZNS1_33reduce_by_key_impl_wrapped_configILNS1_25lookback_scan_determinismE0ES3_SB_PS6_NS8_17constant_iteratorIiNS8_11use_defaultESG_EENS8_10device_ptrIS6_EENSI_IlEEPmSA_NS8_8equal_toIS6_EEEE10hipError_tPvRmT2_T3_mT4_T5_T6_T7_T8_P12ihipStream_tbENKUlT_T0_E_clISt17integral_constantIbLb1EES14_IbLb0EEEEDaS10_S11_EUlS10_E_NS1_11comp_targetILNS1_3genE10ELNS1_11target_archE1200ELNS1_3gpuE4ELNS1_3repE0EEENS1_30default_config_static_selectorELNS0_4arch9wavefront6targetE1EEEvT1_.uses_flat_scratch, 0
	.set _ZN7rocprim17ROCPRIM_400000_NS6detail17trampoline_kernelINS0_14default_configENS1_29reduce_by_key_config_selectorIN3c104HalfElN6thrust23THRUST_200600_302600_NS4plusIlEEEEZZNS1_33reduce_by_key_impl_wrapped_configILNS1_25lookback_scan_determinismE0ES3_SB_PS6_NS8_17constant_iteratorIiNS8_11use_defaultESG_EENS8_10device_ptrIS6_EENSI_IlEEPmSA_NS8_8equal_toIS6_EEEE10hipError_tPvRmT2_T3_mT4_T5_T6_T7_T8_P12ihipStream_tbENKUlT_T0_E_clISt17integral_constantIbLb1EES14_IbLb0EEEEDaS10_S11_EUlS10_E_NS1_11comp_targetILNS1_3genE10ELNS1_11target_archE1200ELNS1_3gpuE4ELNS1_3repE0EEENS1_30default_config_static_selectorELNS0_4arch9wavefront6targetE1EEEvT1_.has_dyn_sized_stack, 0
	.set _ZN7rocprim17ROCPRIM_400000_NS6detail17trampoline_kernelINS0_14default_configENS1_29reduce_by_key_config_selectorIN3c104HalfElN6thrust23THRUST_200600_302600_NS4plusIlEEEEZZNS1_33reduce_by_key_impl_wrapped_configILNS1_25lookback_scan_determinismE0ES3_SB_PS6_NS8_17constant_iteratorIiNS8_11use_defaultESG_EENS8_10device_ptrIS6_EENSI_IlEEPmSA_NS8_8equal_toIS6_EEEE10hipError_tPvRmT2_T3_mT4_T5_T6_T7_T8_P12ihipStream_tbENKUlT_T0_E_clISt17integral_constantIbLb1EES14_IbLb0EEEEDaS10_S11_EUlS10_E_NS1_11comp_targetILNS1_3genE10ELNS1_11target_archE1200ELNS1_3gpuE4ELNS1_3repE0EEENS1_30default_config_static_selectorELNS0_4arch9wavefront6targetE1EEEvT1_.has_recursion, 0
	.set _ZN7rocprim17ROCPRIM_400000_NS6detail17trampoline_kernelINS0_14default_configENS1_29reduce_by_key_config_selectorIN3c104HalfElN6thrust23THRUST_200600_302600_NS4plusIlEEEEZZNS1_33reduce_by_key_impl_wrapped_configILNS1_25lookback_scan_determinismE0ES3_SB_PS6_NS8_17constant_iteratorIiNS8_11use_defaultESG_EENS8_10device_ptrIS6_EENSI_IlEEPmSA_NS8_8equal_toIS6_EEEE10hipError_tPvRmT2_T3_mT4_T5_T6_T7_T8_P12ihipStream_tbENKUlT_T0_E_clISt17integral_constantIbLb1EES14_IbLb0EEEEDaS10_S11_EUlS10_E_NS1_11comp_targetILNS1_3genE10ELNS1_11target_archE1200ELNS1_3gpuE4ELNS1_3repE0EEENS1_30default_config_static_selectorELNS0_4arch9wavefront6targetE1EEEvT1_.has_indirect_call, 0
	.section	.AMDGPU.csdata,"",@progbits
; Kernel info:
; codeLenInByte = 0
; TotalNumSgprs: 4
; NumVgprs: 0
; ScratchSize: 0
; MemoryBound: 0
; FloatMode: 240
; IeeeMode: 1
; LDSByteSize: 0 bytes/workgroup (compile time only)
; SGPRBlocks: 0
; VGPRBlocks: 0
; NumSGPRsForWavesPerEU: 4
; NumVGPRsForWavesPerEU: 1
; Occupancy: 10
; WaveLimiterHint : 0
; COMPUTE_PGM_RSRC2:SCRATCH_EN: 0
; COMPUTE_PGM_RSRC2:USER_SGPR: 6
; COMPUTE_PGM_RSRC2:TRAP_HANDLER: 0
; COMPUTE_PGM_RSRC2:TGID_X_EN: 1
; COMPUTE_PGM_RSRC2:TGID_Y_EN: 0
; COMPUTE_PGM_RSRC2:TGID_Z_EN: 0
; COMPUTE_PGM_RSRC2:TIDIG_COMP_CNT: 0
	.section	.text._ZN7rocprim17ROCPRIM_400000_NS6detail17trampoline_kernelINS0_14default_configENS1_29reduce_by_key_config_selectorIN3c104HalfElN6thrust23THRUST_200600_302600_NS4plusIlEEEEZZNS1_33reduce_by_key_impl_wrapped_configILNS1_25lookback_scan_determinismE0ES3_SB_PS6_NS8_17constant_iteratorIiNS8_11use_defaultESG_EENS8_10device_ptrIS6_EENSI_IlEEPmSA_NS8_8equal_toIS6_EEEE10hipError_tPvRmT2_T3_mT4_T5_T6_T7_T8_P12ihipStream_tbENKUlT_T0_E_clISt17integral_constantIbLb1EES14_IbLb0EEEEDaS10_S11_EUlS10_E_NS1_11comp_targetILNS1_3genE9ELNS1_11target_archE1100ELNS1_3gpuE3ELNS1_3repE0EEENS1_30default_config_static_selectorELNS0_4arch9wavefront6targetE1EEEvT1_,"axG",@progbits,_ZN7rocprim17ROCPRIM_400000_NS6detail17trampoline_kernelINS0_14default_configENS1_29reduce_by_key_config_selectorIN3c104HalfElN6thrust23THRUST_200600_302600_NS4plusIlEEEEZZNS1_33reduce_by_key_impl_wrapped_configILNS1_25lookback_scan_determinismE0ES3_SB_PS6_NS8_17constant_iteratorIiNS8_11use_defaultESG_EENS8_10device_ptrIS6_EENSI_IlEEPmSA_NS8_8equal_toIS6_EEEE10hipError_tPvRmT2_T3_mT4_T5_T6_T7_T8_P12ihipStream_tbENKUlT_T0_E_clISt17integral_constantIbLb1EES14_IbLb0EEEEDaS10_S11_EUlS10_E_NS1_11comp_targetILNS1_3genE9ELNS1_11target_archE1100ELNS1_3gpuE3ELNS1_3repE0EEENS1_30default_config_static_selectorELNS0_4arch9wavefront6targetE1EEEvT1_,comdat
	.protected	_ZN7rocprim17ROCPRIM_400000_NS6detail17trampoline_kernelINS0_14default_configENS1_29reduce_by_key_config_selectorIN3c104HalfElN6thrust23THRUST_200600_302600_NS4plusIlEEEEZZNS1_33reduce_by_key_impl_wrapped_configILNS1_25lookback_scan_determinismE0ES3_SB_PS6_NS8_17constant_iteratorIiNS8_11use_defaultESG_EENS8_10device_ptrIS6_EENSI_IlEEPmSA_NS8_8equal_toIS6_EEEE10hipError_tPvRmT2_T3_mT4_T5_T6_T7_T8_P12ihipStream_tbENKUlT_T0_E_clISt17integral_constantIbLb1EES14_IbLb0EEEEDaS10_S11_EUlS10_E_NS1_11comp_targetILNS1_3genE9ELNS1_11target_archE1100ELNS1_3gpuE3ELNS1_3repE0EEENS1_30default_config_static_selectorELNS0_4arch9wavefront6targetE1EEEvT1_ ; -- Begin function _ZN7rocprim17ROCPRIM_400000_NS6detail17trampoline_kernelINS0_14default_configENS1_29reduce_by_key_config_selectorIN3c104HalfElN6thrust23THRUST_200600_302600_NS4plusIlEEEEZZNS1_33reduce_by_key_impl_wrapped_configILNS1_25lookback_scan_determinismE0ES3_SB_PS6_NS8_17constant_iteratorIiNS8_11use_defaultESG_EENS8_10device_ptrIS6_EENSI_IlEEPmSA_NS8_8equal_toIS6_EEEE10hipError_tPvRmT2_T3_mT4_T5_T6_T7_T8_P12ihipStream_tbENKUlT_T0_E_clISt17integral_constantIbLb1EES14_IbLb0EEEEDaS10_S11_EUlS10_E_NS1_11comp_targetILNS1_3genE9ELNS1_11target_archE1100ELNS1_3gpuE3ELNS1_3repE0EEENS1_30default_config_static_selectorELNS0_4arch9wavefront6targetE1EEEvT1_
	.globl	_ZN7rocprim17ROCPRIM_400000_NS6detail17trampoline_kernelINS0_14default_configENS1_29reduce_by_key_config_selectorIN3c104HalfElN6thrust23THRUST_200600_302600_NS4plusIlEEEEZZNS1_33reduce_by_key_impl_wrapped_configILNS1_25lookback_scan_determinismE0ES3_SB_PS6_NS8_17constant_iteratorIiNS8_11use_defaultESG_EENS8_10device_ptrIS6_EENSI_IlEEPmSA_NS8_8equal_toIS6_EEEE10hipError_tPvRmT2_T3_mT4_T5_T6_T7_T8_P12ihipStream_tbENKUlT_T0_E_clISt17integral_constantIbLb1EES14_IbLb0EEEEDaS10_S11_EUlS10_E_NS1_11comp_targetILNS1_3genE9ELNS1_11target_archE1100ELNS1_3gpuE3ELNS1_3repE0EEENS1_30default_config_static_selectorELNS0_4arch9wavefront6targetE1EEEvT1_
	.p2align	8
	.type	_ZN7rocprim17ROCPRIM_400000_NS6detail17trampoline_kernelINS0_14default_configENS1_29reduce_by_key_config_selectorIN3c104HalfElN6thrust23THRUST_200600_302600_NS4plusIlEEEEZZNS1_33reduce_by_key_impl_wrapped_configILNS1_25lookback_scan_determinismE0ES3_SB_PS6_NS8_17constant_iteratorIiNS8_11use_defaultESG_EENS8_10device_ptrIS6_EENSI_IlEEPmSA_NS8_8equal_toIS6_EEEE10hipError_tPvRmT2_T3_mT4_T5_T6_T7_T8_P12ihipStream_tbENKUlT_T0_E_clISt17integral_constantIbLb1EES14_IbLb0EEEEDaS10_S11_EUlS10_E_NS1_11comp_targetILNS1_3genE9ELNS1_11target_archE1100ELNS1_3gpuE3ELNS1_3repE0EEENS1_30default_config_static_selectorELNS0_4arch9wavefront6targetE1EEEvT1_,@function
_ZN7rocprim17ROCPRIM_400000_NS6detail17trampoline_kernelINS0_14default_configENS1_29reduce_by_key_config_selectorIN3c104HalfElN6thrust23THRUST_200600_302600_NS4plusIlEEEEZZNS1_33reduce_by_key_impl_wrapped_configILNS1_25lookback_scan_determinismE0ES3_SB_PS6_NS8_17constant_iteratorIiNS8_11use_defaultESG_EENS8_10device_ptrIS6_EENSI_IlEEPmSA_NS8_8equal_toIS6_EEEE10hipError_tPvRmT2_T3_mT4_T5_T6_T7_T8_P12ihipStream_tbENKUlT_T0_E_clISt17integral_constantIbLb1EES14_IbLb0EEEEDaS10_S11_EUlS10_E_NS1_11comp_targetILNS1_3genE9ELNS1_11target_archE1100ELNS1_3gpuE3ELNS1_3repE0EEENS1_30default_config_static_selectorELNS0_4arch9wavefront6targetE1EEEvT1_: ; @_ZN7rocprim17ROCPRIM_400000_NS6detail17trampoline_kernelINS0_14default_configENS1_29reduce_by_key_config_selectorIN3c104HalfElN6thrust23THRUST_200600_302600_NS4plusIlEEEEZZNS1_33reduce_by_key_impl_wrapped_configILNS1_25lookback_scan_determinismE0ES3_SB_PS6_NS8_17constant_iteratorIiNS8_11use_defaultESG_EENS8_10device_ptrIS6_EENSI_IlEEPmSA_NS8_8equal_toIS6_EEEE10hipError_tPvRmT2_T3_mT4_T5_T6_T7_T8_P12ihipStream_tbENKUlT_T0_E_clISt17integral_constantIbLb1EES14_IbLb0EEEEDaS10_S11_EUlS10_E_NS1_11comp_targetILNS1_3genE9ELNS1_11target_archE1100ELNS1_3gpuE3ELNS1_3repE0EEENS1_30default_config_static_selectorELNS0_4arch9wavefront6targetE1EEEvT1_
; %bb.0:
	.section	.rodata,"a",@progbits
	.p2align	6, 0x0
	.amdhsa_kernel _ZN7rocprim17ROCPRIM_400000_NS6detail17trampoline_kernelINS0_14default_configENS1_29reduce_by_key_config_selectorIN3c104HalfElN6thrust23THRUST_200600_302600_NS4plusIlEEEEZZNS1_33reduce_by_key_impl_wrapped_configILNS1_25lookback_scan_determinismE0ES3_SB_PS6_NS8_17constant_iteratorIiNS8_11use_defaultESG_EENS8_10device_ptrIS6_EENSI_IlEEPmSA_NS8_8equal_toIS6_EEEE10hipError_tPvRmT2_T3_mT4_T5_T6_T7_T8_P12ihipStream_tbENKUlT_T0_E_clISt17integral_constantIbLb1EES14_IbLb0EEEEDaS10_S11_EUlS10_E_NS1_11comp_targetILNS1_3genE9ELNS1_11target_archE1100ELNS1_3gpuE3ELNS1_3repE0EEENS1_30default_config_static_selectorELNS0_4arch9wavefront6targetE1EEEvT1_
		.amdhsa_group_segment_fixed_size 0
		.amdhsa_private_segment_fixed_size 0
		.amdhsa_kernarg_size 144
		.amdhsa_user_sgpr_count 6
		.amdhsa_user_sgpr_private_segment_buffer 1
		.amdhsa_user_sgpr_dispatch_ptr 0
		.amdhsa_user_sgpr_queue_ptr 0
		.amdhsa_user_sgpr_kernarg_segment_ptr 1
		.amdhsa_user_sgpr_dispatch_id 0
		.amdhsa_user_sgpr_flat_scratch_init 0
		.amdhsa_user_sgpr_private_segment_size 0
		.amdhsa_uses_dynamic_stack 0
		.amdhsa_system_sgpr_private_segment_wavefront_offset 0
		.amdhsa_system_sgpr_workgroup_id_x 1
		.amdhsa_system_sgpr_workgroup_id_y 0
		.amdhsa_system_sgpr_workgroup_id_z 0
		.amdhsa_system_sgpr_workgroup_info 0
		.amdhsa_system_vgpr_workitem_id 0
		.amdhsa_next_free_vgpr 1
		.amdhsa_next_free_sgpr 0
		.amdhsa_reserve_vcc 0
		.amdhsa_reserve_flat_scratch 0
		.amdhsa_float_round_mode_32 0
		.amdhsa_float_round_mode_16_64 0
		.amdhsa_float_denorm_mode_32 3
		.amdhsa_float_denorm_mode_16_64 3
		.amdhsa_dx10_clamp 1
		.amdhsa_ieee_mode 1
		.amdhsa_fp16_overflow 0
		.amdhsa_exception_fp_ieee_invalid_op 0
		.amdhsa_exception_fp_denorm_src 0
		.amdhsa_exception_fp_ieee_div_zero 0
		.amdhsa_exception_fp_ieee_overflow 0
		.amdhsa_exception_fp_ieee_underflow 0
		.amdhsa_exception_fp_ieee_inexact 0
		.amdhsa_exception_int_div_zero 0
	.end_amdhsa_kernel
	.section	.text._ZN7rocprim17ROCPRIM_400000_NS6detail17trampoline_kernelINS0_14default_configENS1_29reduce_by_key_config_selectorIN3c104HalfElN6thrust23THRUST_200600_302600_NS4plusIlEEEEZZNS1_33reduce_by_key_impl_wrapped_configILNS1_25lookback_scan_determinismE0ES3_SB_PS6_NS8_17constant_iteratorIiNS8_11use_defaultESG_EENS8_10device_ptrIS6_EENSI_IlEEPmSA_NS8_8equal_toIS6_EEEE10hipError_tPvRmT2_T3_mT4_T5_T6_T7_T8_P12ihipStream_tbENKUlT_T0_E_clISt17integral_constantIbLb1EES14_IbLb0EEEEDaS10_S11_EUlS10_E_NS1_11comp_targetILNS1_3genE9ELNS1_11target_archE1100ELNS1_3gpuE3ELNS1_3repE0EEENS1_30default_config_static_selectorELNS0_4arch9wavefront6targetE1EEEvT1_,"axG",@progbits,_ZN7rocprim17ROCPRIM_400000_NS6detail17trampoline_kernelINS0_14default_configENS1_29reduce_by_key_config_selectorIN3c104HalfElN6thrust23THRUST_200600_302600_NS4plusIlEEEEZZNS1_33reduce_by_key_impl_wrapped_configILNS1_25lookback_scan_determinismE0ES3_SB_PS6_NS8_17constant_iteratorIiNS8_11use_defaultESG_EENS8_10device_ptrIS6_EENSI_IlEEPmSA_NS8_8equal_toIS6_EEEE10hipError_tPvRmT2_T3_mT4_T5_T6_T7_T8_P12ihipStream_tbENKUlT_T0_E_clISt17integral_constantIbLb1EES14_IbLb0EEEEDaS10_S11_EUlS10_E_NS1_11comp_targetILNS1_3genE9ELNS1_11target_archE1100ELNS1_3gpuE3ELNS1_3repE0EEENS1_30default_config_static_selectorELNS0_4arch9wavefront6targetE1EEEvT1_,comdat
.Lfunc_end2223:
	.size	_ZN7rocprim17ROCPRIM_400000_NS6detail17trampoline_kernelINS0_14default_configENS1_29reduce_by_key_config_selectorIN3c104HalfElN6thrust23THRUST_200600_302600_NS4plusIlEEEEZZNS1_33reduce_by_key_impl_wrapped_configILNS1_25lookback_scan_determinismE0ES3_SB_PS6_NS8_17constant_iteratorIiNS8_11use_defaultESG_EENS8_10device_ptrIS6_EENSI_IlEEPmSA_NS8_8equal_toIS6_EEEE10hipError_tPvRmT2_T3_mT4_T5_T6_T7_T8_P12ihipStream_tbENKUlT_T0_E_clISt17integral_constantIbLb1EES14_IbLb0EEEEDaS10_S11_EUlS10_E_NS1_11comp_targetILNS1_3genE9ELNS1_11target_archE1100ELNS1_3gpuE3ELNS1_3repE0EEENS1_30default_config_static_selectorELNS0_4arch9wavefront6targetE1EEEvT1_, .Lfunc_end2223-_ZN7rocprim17ROCPRIM_400000_NS6detail17trampoline_kernelINS0_14default_configENS1_29reduce_by_key_config_selectorIN3c104HalfElN6thrust23THRUST_200600_302600_NS4plusIlEEEEZZNS1_33reduce_by_key_impl_wrapped_configILNS1_25lookback_scan_determinismE0ES3_SB_PS6_NS8_17constant_iteratorIiNS8_11use_defaultESG_EENS8_10device_ptrIS6_EENSI_IlEEPmSA_NS8_8equal_toIS6_EEEE10hipError_tPvRmT2_T3_mT4_T5_T6_T7_T8_P12ihipStream_tbENKUlT_T0_E_clISt17integral_constantIbLb1EES14_IbLb0EEEEDaS10_S11_EUlS10_E_NS1_11comp_targetILNS1_3genE9ELNS1_11target_archE1100ELNS1_3gpuE3ELNS1_3repE0EEENS1_30default_config_static_selectorELNS0_4arch9wavefront6targetE1EEEvT1_
                                        ; -- End function
	.set _ZN7rocprim17ROCPRIM_400000_NS6detail17trampoline_kernelINS0_14default_configENS1_29reduce_by_key_config_selectorIN3c104HalfElN6thrust23THRUST_200600_302600_NS4plusIlEEEEZZNS1_33reduce_by_key_impl_wrapped_configILNS1_25lookback_scan_determinismE0ES3_SB_PS6_NS8_17constant_iteratorIiNS8_11use_defaultESG_EENS8_10device_ptrIS6_EENSI_IlEEPmSA_NS8_8equal_toIS6_EEEE10hipError_tPvRmT2_T3_mT4_T5_T6_T7_T8_P12ihipStream_tbENKUlT_T0_E_clISt17integral_constantIbLb1EES14_IbLb0EEEEDaS10_S11_EUlS10_E_NS1_11comp_targetILNS1_3genE9ELNS1_11target_archE1100ELNS1_3gpuE3ELNS1_3repE0EEENS1_30default_config_static_selectorELNS0_4arch9wavefront6targetE1EEEvT1_.num_vgpr, 0
	.set _ZN7rocprim17ROCPRIM_400000_NS6detail17trampoline_kernelINS0_14default_configENS1_29reduce_by_key_config_selectorIN3c104HalfElN6thrust23THRUST_200600_302600_NS4plusIlEEEEZZNS1_33reduce_by_key_impl_wrapped_configILNS1_25lookback_scan_determinismE0ES3_SB_PS6_NS8_17constant_iteratorIiNS8_11use_defaultESG_EENS8_10device_ptrIS6_EENSI_IlEEPmSA_NS8_8equal_toIS6_EEEE10hipError_tPvRmT2_T3_mT4_T5_T6_T7_T8_P12ihipStream_tbENKUlT_T0_E_clISt17integral_constantIbLb1EES14_IbLb0EEEEDaS10_S11_EUlS10_E_NS1_11comp_targetILNS1_3genE9ELNS1_11target_archE1100ELNS1_3gpuE3ELNS1_3repE0EEENS1_30default_config_static_selectorELNS0_4arch9wavefront6targetE1EEEvT1_.num_agpr, 0
	.set _ZN7rocprim17ROCPRIM_400000_NS6detail17trampoline_kernelINS0_14default_configENS1_29reduce_by_key_config_selectorIN3c104HalfElN6thrust23THRUST_200600_302600_NS4plusIlEEEEZZNS1_33reduce_by_key_impl_wrapped_configILNS1_25lookback_scan_determinismE0ES3_SB_PS6_NS8_17constant_iteratorIiNS8_11use_defaultESG_EENS8_10device_ptrIS6_EENSI_IlEEPmSA_NS8_8equal_toIS6_EEEE10hipError_tPvRmT2_T3_mT4_T5_T6_T7_T8_P12ihipStream_tbENKUlT_T0_E_clISt17integral_constantIbLb1EES14_IbLb0EEEEDaS10_S11_EUlS10_E_NS1_11comp_targetILNS1_3genE9ELNS1_11target_archE1100ELNS1_3gpuE3ELNS1_3repE0EEENS1_30default_config_static_selectorELNS0_4arch9wavefront6targetE1EEEvT1_.numbered_sgpr, 0
	.set _ZN7rocprim17ROCPRIM_400000_NS6detail17trampoline_kernelINS0_14default_configENS1_29reduce_by_key_config_selectorIN3c104HalfElN6thrust23THRUST_200600_302600_NS4plusIlEEEEZZNS1_33reduce_by_key_impl_wrapped_configILNS1_25lookback_scan_determinismE0ES3_SB_PS6_NS8_17constant_iteratorIiNS8_11use_defaultESG_EENS8_10device_ptrIS6_EENSI_IlEEPmSA_NS8_8equal_toIS6_EEEE10hipError_tPvRmT2_T3_mT4_T5_T6_T7_T8_P12ihipStream_tbENKUlT_T0_E_clISt17integral_constantIbLb1EES14_IbLb0EEEEDaS10_S11_EUlS10_E_NS1_11comp_targetILNS1_3genE9ELNS1_11target_archE1100ELNS1_3gpuE3ELNS1_3repE0EEENS1_30default_config_static_selectorELNS0_4arch9wavefront6targetE1EEEvT1_.num_named_barrier, 0
	.set _ZN7rocprim17ROCPRIM_400000_NS6detail17trampoline_kernelINS0_14default_configENS1_29reduce_by_key_config_selectorIN3c104HalfElN6thrust23THRUST_200600_302600_NS4plusIlEEEEZZNS1_33reduce_by_key_impl_wrapped_configILNS1_25lookback_scan_determinismE0ES3_SB_PS6_NS8_17constant_iteratorIiNS8_11use_defaultESG_EENS8_10device_ptrIS6_EENSI_IlEEPmSA_NS8_8equal_toIS6_EEEE10hipError_tPvRmT2_T3_mT4_T5_T6_T7_T8_P12ihipStream_tbENKUlT_T0_E_clISt17integral_constantIbLb1EES14_IbLb0EEEEDaS10_S11_EUlS10_E_NS1_11comp_targetILNS1_3genE9ELNS1_11target_archE1100ELNS1_3gpuE3ELNS1_3repE0EEENS1_30default_config_static_selectorELNS0_4arch9wavefront6targetE1EEEvT1_.private_seg_size, 0
	.set _ZN7rocprim17ROCPRIM_400000_NS6detail17trampoline_kernelINS0_14default_configENS1_29reduce_by_key_config_selectorIN3c104HalfElN6thrust23THRUST_200600_302600_NS4plusIlEEEEZZNS1_33reduce_by_key_impl_wrapped_configILNS1_25lookback_scan_determinismE0ES3_SB_PS6_NS8_17constant_iteratorIiNS8_11use_defaultESG_EENS8_10device_ptrIS6_EENSI_IlEEPmSA_NS8_8equal_toIS6_EEEE10hipError_tPvRmT2_T3_mT4_T5_T6_T7_T8_P12ihipStream_tbENKUlT_T0_E_clISt17integral_constantIbLb1EES14_IbLb0EEEEDaS10_S11_EUlS10_E_NS1_11comp_targetILNS1_3genE9ELNS1_11target_archE1100ELNS1_3gpuE3ELNS1_3repE0EEENS1_30default_config_static_selectorELNS0_4arch9wavefront6targetE1EEEvT1_.uses_vcc, 0
	.set _ZN7rocprim17ROCPRIM_400000_NS6detail17trampoline_kernelINS0_14default_configENS1_29reduce_by_key_config_selectorIN3c104HalfElN6thrust23THRUST_200600_302600_NS4plusIlEEEEZZNS1_33reduce_by_key_impl_wrapped_configILNS1_25lookback_scan_determinismE0ES3_SB_PS6_NS8_17constant_iteratorIiNS8_11use_defaultESG_EENS8_10device_ptrIS6_EENSI_IlEEPmSA_NS8_8equal_toIS6_EEEE10hipError_tPvRmT2_T3_mT4_T5_T6_T7_T8_P12ihipStream_tbENKUlT_T0_E_clISt17integral_constantIbLb1EES14_IbLb0EEEEDaS10_S11_EUlS10_E_NS1_11comp_targetILNS1_3genE9ELNS1_11target_archE1100ELNS1_3gpuE3ELNS1_3repE0EEENS1_30default_config_static_selectorELNS0_4arch9wavefront6targetE1EEEvT1_.uses_flat_scratch, 0
	.set _ZN7rocprim17ROCPRIM_400000_NS6detail17trampoline_kernelINS0_14default_configENS1_29reduce_by_key_config_selectorIN3c104HalfElN6thrust23THRUST_200600_302600_NS4plusIlEEEEZZNS1_33reduce_by_key_impl_wrapped_configILNS1_25lookback_scan_determinismE0ES3_SB_PS6_NS8_17constant_iteratorIiNS8_11use_defaultESG_EENS8_10device_ptrIS6_EENSI_IlEEPmSA_NS8_8equal_toIS6_EEEE10hipError_tPvRmT2_T3_mT4_T5_T6_T7_T8_P12ihipStream_tbENKUlT_T0_E_clISt17integral_constantIbLb1EES14_IbLb0EEEEDaS10_S11_EUlS10_E_NS1_11comp_targetILNS1_3genE9ELNS1_11target_archE1100ELNS1_3gpuE3ELNS1_3repE0EEENS1_30default_config_static_selectorELNS0_4arch9wavefront6targetE1EEEvT1_.has_dyn_sized_stack, 0
	.set _ZN7rocprim17ROCPRIM_400000_NS6detail17trampoline_kernelINS0_14default_configENS1_29reduce_by_key_config_selectorIN3c104HalfElN6thrust23THRUST_200600_302600_NS4plusIlEEEEZZNS1_33reduce_by_key_impl_wrapped_configILNS1_25lookback_scan_determinismE0ES3_SB_PS6_NS8_17constant_iteratorIiNS8_11use_defaultESG_EENS8_10device_ptrIS6_EENSI_IlEEPmSA_NS8_8equal_toIS6_EEEE10hipError_tPvRmT2_T3_mT4_T5_T6_T7_T8_P12ihipStream_tbENKUlT_T0_E_clISt17integral_constantIbLb1EES14_IbLb0EEEEDaS10_S11_EUlS10_E_NS1_11comp_targetILNS1_3genE9ELNS1_11target_archE1100ELNS1_3gpuE3ELNS1_3repE0EEENS1_30default_config_static_selectorELNS0_4arch9wavefront6targetE1EEEvT1_.has_recursion, 0
	.set _ZN7rocprim17ROCPRIM_400000_NS6detail17trampoline_kernelINS0_14default_configENS1_29reduce_by_key_config_selectorIN3c104HalfElN6thrust23THRUST_200600_302600_NS4plusIlEEEEZZNS1_33reduce_by_key_impl_wrapped_configILNS1_25lookback_scan_determinismE0ES3_SB_PS6_NS8_17constant_iteratorIiNS8_11use_defaultESG_EENS8_10device_ptrIS6_EENSI_IlEEPmSA_NS8_8equal_toIS6_EEEE10hipError_tPvRmT2_T3_mT4_T5_T6_T7_T8_P12ihipStream_tbENKUlT_T0_E_clISt17integral_constantIbLb1EES14_IbLb0EEEEDaS10_S11_EUlS10_E_NS1_11comp_targetILNS1_3genE9ELNS1_11target_archE1100ELNS1_3gpuE3ELNS1_3repE0EEENS1_30default_config_static_selectorELNS0_4arch9wavefront6targetE1EEEvT1_.has_indirect_call, 0
	.section	.AMDGPU.csdata,"",@progbits
; Kernel info:
; codeLenInByte = 0
; TotalNumSgprs: 4
; NumVgprs: 0
; ScratchSize: 0
; MemoryBound: 0
; FloatMode: 240
; IeeeMode: 1
; LDSByteSize: 0 bytes/workgroup (compile time only)
; SGPRBlocks: 0
; VGPRBlocks: 0
; NumSGPRsForWavesPerEU: 4
; NumVGPRsForWavesPerEU: 1
; Occupancy: 10
; WaveLimiterHint : 0
; COMPUTE_PGM_RSRC2:SCRATCH_EN: 0
; COMPUTE_PGM_RSRC2:USER_SGPR: 6
; COMPUTE_PGM_RSRC2:TRAP_HANDLER: 0
; COMPUTE_PGM_RSRC2:TGID_X_EN: 1
; COMPUTE_PGM_RSRC2:TGID_Y_EN: 0
; COMPUTE_PGM_RSRC2:TGID_Z_EN: 0
; COMPUTE_PGM_RSRC2:TIDIG_COMP_CNT: 0
	.section	.text._ZN7rocprim17ROCPRIM_400000_NS6detail17trampoline_kernelINS0_14default_configENS1_29reduce_by_key_config_selectorIN3c104HalfElN6thrust23THRUST_200600_302600_NS4plusIlEEEEZZNS1_33reduce_by_key_impl_wrapped_configILNS1_25lookback_scan_determinismE0ES3_SB_PS6_NS8_17constant_iteratorIiNS8_11use_defaultESG_EENS8_10device_ptrIS6_EENSI_IlEEPmSA_NS8_8equal_toIS6_EEEE10hipError_tPvRmT2_T3_mT4_T5_T6_T7_T8_P12ihipStream_tbENKUlT_T0_E_clISt17integral_constantIbLb1EES14_IbLb0EEEEDaS10_S11_EUlS10_E_NS1_11comp_targetILNS1_3genE8ELNS1_11target_archE1030ELNS1_3gpuE2ELNS1_3repE0EEENS1_30default_config_static_selectorELNS0_4arch9wavefront6targetE1EEEvT1_,"axG",@progbits,_ZN7rocprim17ROCPRIM_400000_NS6detail17trampoline_kernelINS0_14default_configENS1_29reduce_by_key_config_selectorIN3c104HalfElN6thrust23THRUST_200600_302600_NS4plusIlEEEEZZNS1_33reduce_by_key_impl_wrapped_configILNS1_25lookback_scan_determinismE0ES3_SB_PS6_NS8_17constant_iteratorIiNS8_11use_defaultESG_EENS8_10device_ptrIS6_EENSI_IlEEPmSA_NS8_8equal_toIS6_EEEE10hipError_tPvRmT2_T3_mT4_T5_T6_T7_T8_P12ihipStream_tbENKUlT_T0_E_clISt17integral_constantIbLb1EES14_IbLb0EEEEDaS10_S11_EUlS10_E_NS1_11comp_targetILNS1_3genE8ELNS1_11target_archE1030ELNS1_3gpuE2ELNS1_3repE0EEENS1_30default_config_static_selectorELNS0_4arch9wavefront6targetE1EEEvT1_,comdat
	.protected	_ZN7rocprim17ROCPRIM_400000_NS6detail17trampoline_kernelINS0_14default_configENS1_29reduce_by_key_config_selectorIN3c104HalfElN6thrust23THRUST_200600_302600_NS4plusIlEEEEZZNS1_33reduce_by_key_impl_wrapped_configILNS1_25lookback_scan_determinismE0ES3_SB_PS6_NS8_17constant_iteratorIiNS8_11use_defaultESG_EENS8_10device_ptrIS6_EENSI_IlEEPmSA_NS8_8equal_toIS6_EEEE10hipError_tPvRmT2_T3_mT4_T5_T6_T7_T8_P12ihipStream_tbENKUlT_T0_E_clISt17integral_constantIbLb1EES14_IbLb0EEEEDaS10_S11_EUlS10_E_NS1_11comp_targetILNS1_3genE8ELNS1_11target_archE1030ELNS1_3gpuE2ELNS1_3repE0EEENS1_30default_config_static_selectorELNS0_4arch9wavefront6targetE1EEEvT1_ ; -- Begin function _ZN7rocprim17ROCPRIM_400000_NS6detail17trampoline_kernelINS0_14default_configENS1_29reduce_by_key_config_selectorIN3c104HalfElN6thrust23THRUST_200600_302600_NS4plusIlEEEEZZNS1_33reduce_by_key_impl_wrapped_configILNS1_25lookback_scan_determinismE0ES3_SB_PS6_NS8_17constant_iteratorIiNS8_11use_defaultESG_EENS8_10device_ptrIS6_EENSI_IlEEPmSA_NS8_8equal_toIS6_EEEE10hipError_tPvRmT2_T3_mT4_T5_T6_T7_T8_P12ihipStream_tbENKUlT_T0_E_clISt17integral_constantIbLb1EES14_IbLb0EEEEDaS10_S11_EUlS10_E_NS1_11comp_targetILNS1_3genE8ELNS1_11target_archE1030ELNS1_3gpuE2ELNS1_3repE0EEENS1_30default_config_static_selectorELNS0_4arch9wavefront6targetE1EEEvT1_
	.globl	_ZN7rocprim17ROCPRIM_400000_NS6detail17trampoline_kernelINS0_14default_configENS1_29reduce_by_key_config_selectorIN3c104HalfElN6thrust23THRUST_200600_302600_NS4plusIlEEEEZZNS1_33reduce_by_key_impl_wrapped_configILNS1_25lookback_scan_determinismE0ES3_SB_PS6_NS8_17constant_iteratorIiNS8_11use_defaultESG_EENS8_10device_ptrIS6_EENSI_IlEEPmSA_NS8_8equal_toIS6_EEEE10hipError_tPvRmT2_T3_mT4_T5_T6_T7_T8_P12ihipStream_tbENKUlT_T0_E_clISt17integral_constantIbLb1EES14_IbLb0EEEEDaS10_S11_EUlS10_E_NS1_11comp_targetILNS1_3genE8ELNS1_11target_archE1030ELNS1_3gpuE2ELNS1_3repE0EEENS1_30default_config_static_selectorELNS0_4arch9wavefront6targetE1EEEvT1_
	.p2align	8
	.type	_ZN7rocprim17ROCPRIM_400000_NS6detail17trampoline_kernelINS0_14default_configENS1_29reduce_by_key_config_selectorIN3c104HalfElN6thrust23THRUST_200600_302600_NS4plusIlEEEEZZNS1_33reduce_by_key_impl_wrapped_configILNS1_25lookback_scan_determinismE0ES3_SB_PS6_NS8_17constant_iteratorIiNS8_11use_defaultESG_EENS8_10device_ptrIS6_EENSI_IlEEPmSA_NS8_8equal_toIS6_EEEE10hipError_tPvRmT2_T3_mT4_T5_T6_T7_T8_P12ihipStream_tbENKUlT_T0_E_clISt17integral_constantIbLb1EES14_IbLb0EEEEDaS10_S11_EUlS10_E_NS1_11comp_targetILNS1_3genE8ELNS1_11target_archE1030ELNS1_3gpuE2ELNS1_3repE0EEENS1_30default_config_static_selectorELNS0_4arch9wavefront6targetE1EEEvT1_,@function
_ZN7rocprim17ROCPRIM_400000_NS6detail17trampoline_kernelINS0_14default_configENS1_29reduce_by_key_config_selectorIN3c104HalfElN6thrust23THRUST_200600_302600_NS4plusIlEEEEZZNS1_33reduce_by_key_impl_wrapped_configILNS1_25lookback_scan_determinismE0ES3_SB_PS6_NS8_17constant_iteratorIiNS8_11use_defaultESG_EENS8_10device_ptrIS6_EENSI_IlEEPmSA_NS8_8equal_toIS6_EEEE10hipError_tPvRmT2_T3_mT4_T5_T6_T7_T8_P12ihipStream_tbENKUlT_T0_E_clISt17integral_constantIbLb1EES14_IbLb0EEEEDaS10_S11_EUlS10_E_NS1_11comp_targetILNS1_3genE8ELNS1_11target_archE1030ELNS1_3gpuE2ELNS1_3repE0EEENS1_30default_config_static_selectorELNS0_4arch9wavefront6targetE1EEEvT1_: ; @_ZN7rocprim17ROCPRIM_400000_NS6detail17trampoline_kernelINS0_14default_configENS1_29reduce_by_key_config_selectorIN3c104HalfElN6thrust23THRUST_200600_302600_NS4plusIlEEEEZZNS1_33reduce_by_key_impl_wrapped_configILNS1_25lookback_scan_determinismE0ES3_SB_PS6_NS8_17constant_iteratorIiNS8_11use_defaultESG_EENS8_10device_ptrIS6_EENSI_IlEEPmSA_NS8_8equal_toIS6_EEEE10hipError_tPvRmT2_T3_mT4_T5_T6_T7_T8_P12ihipStream_tbENKUlT_T0_E_clISt17integral_constantIbLb1EES14_IbLb0EEEEDaS10_S11_EUlS10_E_NS1_11comp_targetILNS1_3genE8ELNS1_11target_archE1030ELNS1_3gpuE2ELNS1_3repE0EEENS1_30default_config_static_selectorELNS0_4arch9wavefront6targetE1EEEvT1_
; %bb.0:
	.section	.rodata,"a",@progbits
	.p2align	6, 0x0
	.amdhsa_kernel _ZN7rocprim17ROCPRIM_400000_NS6detail17trampoline_kernelINS0_14default_configENS1_29reduce_by_key_config_selectorIN3c104HalfElN6thrust23THRUST_200600_302600_NS4plusIlEEEEZZNS1_33reduce_by_key_impl_wrapped_configILNS1_25lookback_scan_determinismE0ES3_SB_PS6_NS8_17constant_iteratorIiNS8_11use_defaultESG_EENS8_10device_ptrIS6_EENSI_IlEEPmSA_NS8_8equal_toIS6_EEEE10hipError_tPvRmT2_T3_mT4_T5_T6_T7_T8_P12ihipStream_tbENKUlT_T0_E_clISt17integral_constantIbLb1EES14_IbLb0EEEEDaS10_S11_EUlS10_E_NS1_11comp_targetILNS1_3genE8ELNS1_11target_archE1030ELNS1_3gpuE2ELNS1_3repE0EEENS1_30default_config_static_selectorELNS0_4arch9wavefront6targetE1EEEvT1_
		.amdhsa_group_segment_fixed_size 0
		.amdhsa_private_segment_fixed_size 0
		.amdhsa_kernarg_size 144
		.amdhsa_user_sgpr_count 6
		.amdhsa_user_sgpr_private_segment_buffer 1
		.amdhsa_user_sgpr_dispatch_ptr 0
		.amdhsa_user_sgpr_queue_ptr 0
		.amdhsa_user_sgpr_kernarg_segment_ptr 1
		.amdhsa_user_sgpr_dispatch_id 0
		.amdhsa_user_sgpr_flat_scratch_init 0
		.amdhsa_user_sgpr_private_segment_size 0
		.amdhsa_uses_dynamic_stack 0
		.amdhsa_system_sgpr_private_segment_wavefront_offset 0
		.amdhsa_system_sgpr_workgroup_id_x 1
		.amdhsa_system_sgpr_workgroup_id_y 0
		.amdhsa_system_sgpr_workgroup_id_z 0
		.amdhsa_system_sgpr_workgroup_info 0
		.amdhsa_system_vgpr_workitem_id 0
		.amdhsa_next_free_vgpr 1
		.amdhsa_next_free_sgpr 0
		.amdhsa_reserve_vcc 0
		.amdhsa_reserve_flat_scratch 0
		.amdhsa_float_round_mode_32 0
		.amdhsa_float_round_mode_16_64 0
		.amdhsa_float_denorm_mode_32 3
		.amdhsa_float_denorm_mode_16_64 3
		.amdhsa_dx10_clamp 1
		.amdhsa_ieee_mode 1
		.amdhsa_fp16_overflow 0
		.amdhsa_exception_fp_ieee_invalid_op 0
		.amdhsa_exception_fp_denorm_src 0
		.amdhsa_exception_fp_ieee_div_zero 0
		.amdhsa_exception_fp_ieee_overflow 0
		.amdhsa_exception_fp_ieee_underflow 0
		.amdhsa_exception_fp_ieee_inexact 0
		.amdhsa_exception_int_div_zero 0
	.end_amdhsa_kernel
	.section	.text._ZN7rocprim17ROCPRIM_400000_NS6detail17trampoline_kernelINS0_14default_configENS1_29reduce_by_key_config_selectorIN3c104HalfElN6thrust23THRUST_200600_302600_NS4plusIlEEEEZZNS1_33reduce_by_key_impl_wrapped_configILNS1_25lookback_scan_determinismE0ES3_SB_PS6_NS8_17constant_iteratorIiNS8_11use_defaultESG_EENS8_10device_ptrIS6_EENSI_IlEEPmSA_NS8_8equal_toIS6_EEEE10hipError_tPvRmT2_T3_mT4_T5_T6_T7_T8_P12ihipStream_tbENKUlT_T0_E_clISt17integral_constantIbLb1EES14_IbLb0EEEEDaS10_S11_EUlS10_E_NS1_11comp_targetILNS1_3genE8ELNS1_11target_archE1030ELNS1_3gpuE2ELNS1_3repE0EEENS1_30default_config_static_selectorELNS0_4arch9wavefront6targetE1EEEvT1_,"axG",@progbits,_ZN7rocprim17ROCPRIM_400000_NS6detail17trampoline_kernelINS0_14default_configENS1_29reduce_by_key_config_selectorIN3c104HalfElN6thrust23THRUST_200600_302600_NS4plusIlEEEEZZNS1_33reduce_by_key_impl_wrapped_configILNS1_25lookback_scan_determinismE0ES3_SB_PS6_NS8_17constant_iteratorIiNS8_11use_defaultESG_EENS8_10device_ptrIS6_EENSI_IlEEPmSA_NS8_8equal_toIS6_EEEE10hipError_tPvRmT2_T3_mT4_T5_T6_T7_T8_P12ihipStream_tbENKUlT_T0_E_clISt17integral_constantIbLb1EES14_IbLb0EEEEDaS10_S11_EUlS10_E_NS1_11comp_targetILNS1_3genE8ELNS1_11target_archE1030ELNS1_3gpuE2ELNS1_3repE0EEENS1_30default_config_static_selectorELNS0_4arch9wavefront6targetE1EEEvT1_,comdat
.Lfunc_end2224:
	.size	_ZN7rocprim17ROCPRIM_400000_NS6detail17trampoline_kernelINS0_14default_configENS1_29reduce_by_key_config_selectorIN3c104HalfElN6thrust23THRUST_200600_302600_NS4plusIlEEEEZZNS1_33reduce_by_key_impl_wrapped_configILNS1_25lookback_scan_determinismE0ES3_SB_PS6_NS8_17constant_iteratorIiNS8_11use_defaultESG_EENS8_10device_ptrIS6_EENSI_IlEEPmSA_NS8_8equal_toIS6_EEEE10hipError_tPvRmT2_T3_mT4_T5_T6_T7_T8_P12ihipStream_tbENKUlT_T0_E_clISt17integral_constantIbLb1EES14_IbLb0EEEEDaS10_S11_EUlS10_E_NS1_11comp_targetILNS1_3genE8ELNS1_11target_archE1030ELNS1_3gpuE2ELNS1_3repE0EEENS1_30default_config_static_selectorELNS0_4arch9wavefront6targetE1EEEvT1_, .Lfunc_end2224-_ZN7rocprim17ROCPRIM_400000_NS6detail17trampoline_kernelINS0_14default_configENS1_29reduce_by_key_config_selectorIN3c104HalfElN6thrust23THRUST_200600_302600_NS4plusIlEEEEZZNS1_33reduce_by_key_impl_wrapped_configILNS1_25lookback_scan_determinismE0ES3_SB_PS6_NS8_17constant_iteratorIiNS8_11use_defaultESG_EENS8_10device_ptrIS6_EENSI_IlEEPmSA_NS8_8equal_toIS6_EEEE10hipError_tPvRmT2_T3_mT4_T5_T6_T7_T8_P12ihipStream_tbENKUlT_T0_E_clISt17integral_constantIbLb1EES14_IbLb0EEEEDaS10_S11_EUlS10_E_NS1_11comp_targetILNS1_3genE8ELNS1_11target_archE1030ELNS1_3gpuE2ELNS1_3repE0EEENS1_30default_config_static_selectorELNS0_4arch9wavefront6targetE1EEEvT1_
                                        ; -- End function
	.set _ZN7rocprim17ROCPRIM_400000_NS6detail17trampoline_kernelINS0_14default_configENS1_29reduce_by_key_config_selectorIN3c104HalfElN6thrust23THRUST_200600_302600_NS4plusIlEEEEZZNS1_33reduce_by_key_impl_wrapped_configILNS1_25lookback_scan_determinismE0ES3_SB_PS6_NS8_17constant_iteratorIiNS8_11use_defaultESG_EENS8_10device_ptrIS6_EENSI_IlEEPmSA_NS8_8equal_toIS6_EEEE10hipError_tPvRmT2_T3_mT4_T5_T6_T7_T8_P12ihipStream_tbENKUlT_T0_E_clISt17integral_constantIbLb1EES14_IbLb0EEEEDaS10_S11_EUlS10_E_NS1_11comp_targetILNS1_3genE8ELNS1_11target_archE1030ELNS1_3gpuE2ELNS1_3repE0EEENS1_30default_config_static_selectorELNS0_4arch9wavefront6targetE1EEEvT1_.num_vgpr, 0
	.set _ZN7rocprim17ROCPRIM_400000_NS6detail17trampoline_kernelINS0_14default_configENS1_29reduce_by_key_config_selectorIN3c104HalfElN6thrust23THRUST_200600_302600_NS4plusIlEEEEZZNS1_33reduce_by_key_impl_wrapped_configILNS1_25lookback_scan_determinismE0ES3_SB_PS6_NS8_17constant_iteratorIiNS8_11use_defaultESG_EENS8_10device_ptrIS6_EENSI_IlEEPmSA_NS8_8equal_toIS6_EEEE10hipError_tPvRmT2_T3_mT4_T5_T6_T7_T8_P12ihipStream_tbENKUlT_T0_E_clISt17integral_constantIbLb1EES14_IbLb0EEEEDaS10_S11_EUlS10_E_NS1_11comp_targetILNS1_3genE8ELNS1_11target_archE1030ELNS1_3gpuE2ELNS1_3repE0EEENS1_30default_config_static_selectorELNS0_4arch9wavefront6targetE1EEEvT1_.num_agpr, 0
	.set _ZN7rocprim17ROCPRIM_400000_NS6detail17trampoline_kernelINS0_14default_configENS1_29reduce_by_key_config_selectorIN3c104HalfElN6thrust23THRUST_200600_302600_NS4plusIlEEEEZZNS1_33reduce_by_key_impl_wrapped_configILNS1_25lookback_scan_determinismE0ES3_SB_PS6_NS8_17constant_iteratorIiNS8_11use_defaultESG_EENS8_10device_ptrIS6_EENSI_IlEEPmSA_NS8_8equal_toIS6_EEEE10hipError_tPvRmT2_T3_mT4_T5_T6_T7_T8_P12ihipStream_tbENKUlT_T0_E_clISt17integral_constantIbLb1EES14_IbLb0EEEEDaS10_S11_EUlS10_E_NS1_11comp_targetILNS1_3genE8ELNS1_11target_archE1030ELNS1_3gpuE2ELNS1_3repE0EEENS1_30default_config_static_selectorELNS0_4arch9wavefront6targetE1EEEvT1_.numbered_sgpr, 0
	.set _ZN7rocprim17ROCPRIM_400000_NS6detail17trampoline_kernelINS0_14default_configENS1_29reduce_by_key_config_selectorIN3c104HalfElN6thrust23THRUST_200600_302600_NS4plusIlEEEEZZNS1_33reduce_by_key_impl_wrapped_configILNS1_25lookback_scan_determinismE0ES3_SB_PS6_NS8_17constant_iteratorIiNS8_11use_defaultESG_EENS8_10device_ptrIS6_EENSI_IlEEPmSA_NS8_8equal_toIS6_EEEE10hipError_tPvRmT2_T3_mT4_T5_T6_T7_T8_P12ihipStream_tbENKUlT_T0_E_clISt17integral_constantIbLb1EES14_IbLb0EEEEDaS10_S11_EUlS10_E_NS1_11comp_targetILNS1_3genE8ELNS1_11target_archE1030ELNS1_3gpuE2ELNS1_3repE0EEENS1_30default_config_static_selectorELNS0_4arch9wavefront6targetE1EEEvT1_.num_named_barrier, 0
	.set _ZN7rocprim17ROCPRIM_400000_NS6detail17trampoline_kernelINS0_14default_configENS1_29reduce_by_key_config_selectorIN3c104HalfElN6thrust23THRUST_200600_302600_NS4plusIlEEEEZZNS1_33reduce_by_key_impl_wrapped_configILNS1_25lookback_scan_determinismE0ES3_SB_PS6_NS8_17constant_iteratorIiNS8_11use_defaultESG_EENS8_10device_ptrIS6_EENSI_IlEEPmSA_NS8_8equal_toIS6_EEEE10hipError_tPvRmT2_T3_mT4_T5_T6_T7_T8_P12ihipStream_tbENKUlT_T0_E_clISt17integral_constantIbLb1EES14_IbLb0EEEEDaS10_S11_EUlS10_E_NS1_11comp_targetILNS1_3genE8ELNS1_11target_archE1030ELNS1_3gpuE2ELNS1_3repE0EEENS1_30default_config_static_selectorELNS0_4arch9wavefront6targetE1EEEvT1_.private_seg_size, 0
	.set _ZN7rocprim17ROCPRIM_400000_NS6detail17trampoline_kernelINS0_14default_configENS1_29reduce_by_key_config_selectorIN3c104HalfElN6thrust23THRUST_200600_302600_NS4plusIlEEEEZZNS1_33reduce_by_key_impl_wrapped_configILNS1_25lookback_scan_determinismE0ES3_SB_PS6_NS8_17constant_iteratorIiNS8_11use_defaultESG_EENS8_10device_ptrIS6_EENSI_IlEEPmSA_NS8_8equal_toIS6_EEEE10hipError_tPvRmT2_T3_mT4_T5_T6_T7_T8_P12ihipStream_tbENKUlT_T0_E_clISt17integral_constantIbLb1EES14_IbLb0EEEEDaS10_S11_EUlS10_E_NS1_11comp_targetILNS1_3genE8ELNS1_11target_archE1030ELNS1_3gpuE2ELNS1_3repE0EEENS1_30default_config_static_selectorELNS0_4arch9wavefront6targetE1EEEvT1_.uses_vcc, 0
	.set _ZN7rocprim17ROCPRIM_400000_NS6detail17trampoline_kernelINS0_14default_configENS1_29reduce_by_key_config_selectorIN3c104HalfElN6thrust23THRUST_200600_302600_NS4plusIlEEEEZZNS1_33reduce_by_key_impl_wrapped_configILNS1_25lookback_scan_determinismE0ES3_SB_PS6_NS8_17constant_iteratorIiNS8_11use_defaultESG_EENS8_10device_ptrIS6_EENSI_IlEEPmSA_NS8_8equal_toIS6_EEEE10hipError_tPvRmT2_T3_mT4_T5_T6_T7_T8_P12ihipStream_tbENKUlT_T0_E_clISt17integral_constantIbLb1EES14_IbLb0EEEEDaS10_S11_EUlS10_E_NS1_11comp_targetILNS1_3genE8ELNS1_11target_archE1030ELNS1_3gpuE2ELNS1_3repE0EEENS1_30default_config_static_selectorELNS0_4arch9wavefront6targetE1EEEvT1_.uses_flat_scratch, 0
	.set _ZN7rocprim17ROCPRIM_400000_NS6detail17trampoline_kernelINS0_14default_configENS1_29reduce_by_key_config_selectorIN3c104HalfElN6thrust23THRUST_200600_302600_NS4plusIlEEEEZZNS1_33reduce_by_key_impl_wrapped_configILNS1_25lookback_scan_determinismE0ES3_SB_PS6_NS8_17constant_iteratorIiNS8_11use_defaultESG_EENS8_10device_ptrIS6_EENSI_IlEEPmSA_NS8_8equal_toIS6_EEEE10hipError_tPvRmT2_T3_mT4_T5_T6_T7_T8_P12ihipStream_tbENKUlT_T0_E_clISt17integral_constantIbLb1EES14_IbLb0EEEEDaS10_S11_EUlS10_E_NS1_11comp_targetILNS1_3genE8ELNS1_11target_archE1030ELNS1_3gpuE2ELNS1_3repE0EEENS1_30default_config_static_selectorELNS0_4arch9wavefront6targetE1EEEvT1_.has_dyn_sized_stack, 0
	.set _ZN7rocprim17ROCPRIM_400000_NS6detail17trampoline_kernelINS0_14default_configENS1_29reduce_by_key_config_selectorIN3c104HalfElN6thrust23THRUST_200600_302600_NS4plusIlEEEEZZNS1_33reduce_by_key_impl_wrapped_configILNS1_25lookback_scan_determinismE0ES3_SB_PS6_NS8_17constant_iteratorIiNS8_11use_defaultESG_EENS8_10device_ptrIS6_EENSI_IlEEPmSA_NS8_8equal_toIS6_EEEE10hipError_tPvRmT2_T3_mT4_T5_T6_T7_T8_P12ihipStream_tbENKUlT_T0_E_clISt17integral_constantIbLb1EES14_IbLb0EEEEDaS10_S11_EUlS10_E_NS1_11comp_targetILNS1_3genE8ELNS1_11target_archE1030ELNS1_3gpuE2ELNS1_3repE0EEENS1_30default_config_static_selectorELNS0_4arch9wavefront6targetE1EEEvT1_.has_recursion, 0
	.set _ZN7rocprim17ROCPRIM_400000_NS6detail17trampoline_kernelINS0_14default_configENS1_29reduce_by_key_config_selectorIN3c104HalfElN6thrust23THRUST_200600_302600_NS4plusIlEEEEZZNS1_33reduce_by_key_impl_wrapped_configILNS1_25lookback_scan_determinismE0ES3_SB_PS6_NS8_17constant_iteratorIiNS8_11use_defaultESG_EENS8_10device_ptrIS6_EENSI_IlEEPmSA_NS8_8equal_toIS6_EEEE10hipError_tPvRmT2_T3_mT4_T5_T6_T7_T8_P12ihipStream_tbENKUlT_T0_E_clISt17integral_constantIbLb1EES14_IbLb0EEEEDaS10_S11_EUlS10_E_NS1_11comp_targetILNS1_3genE8ELNS1_11target_archE1030ELNS1_3gpuE2ELNS1_3repE0EEENS1_30default_config_static_selectorELNS0_4arch9wavefront6targetE1EEEvT1_.has_indirect_call, 0
	.section	.AMDGPU.csdata,"",@progbits
; Kernel info:
; codeLenInByte = 0
; TotalNumSgprs: 4
; NumVgprs: 0
; ScratchSize: 0
; MemoryBound: 0
; FloatMode: 240
; IeeeMode: 1
; LDSByteSize: 0 bytes/workgroup (compile time only)
; SGPRBlocks: 0
; VGPRBlocks: 0
; NumSGPRsForWavesPerEU: 4
; NumVGPRsForWavesPerEU: 1
; Occupancy: 10
; WaveLimiterHint : 0
; COMPUTE_PGM_RSRC2:SCRATCH_EN: 0
; COMPUTE_PGM_RSRC2:USER_SGPR: 6
; COMPUTE_PGM_RSRC2:TRAP_HANDLER: 0
; COMPUTE_PGM_RSRC2:TGID_X_EN: 1
; COMPUTE_PGM_RSRC2:TGID_Y_EN: 0
; COMPUTE_PGM_RSRC2:TGID_Z_EN: 0
; COMPUTE_PGM_RSRC2:TIDIG_COMP_CNT: 0
	.section	.text._ZN7rocprim17ROCPRIM_400000_NS6detail17trampoline_kernelINS0_14default_configENS1_29reduce_by_key_config_selectorIN3c104HalfElN6thrust23THRUST_200600_302600_NS4plusIlEEEEZZNS1_33reduce_by_key_impl_wrapped_configILNS1_25lookback_scan_determinismE0ES3_SB_PS6_NS8_17constant_iteratorIiNS8_11use_defaultESG_EENS8_10device_ptrIS6_EENSI_IlEEPmSA_NS8_8equal_toIS6_EEEE10hipError_tPvRmT2_T3_mT4_T5_T6_T7_T8_P12ihipStream_tbENKUlT_T0_E_clISt17integral_constantIbLb0EES14_IbLb1EEEEDaS10_S11_EUlS10_E_NS1_11comp_targetILNS1_3genE0ELNS1_11target_archE4294967295ELNS1_3gpuE0ELNS1_3repE0EEENS1_30default_config_static_selectorELNS0_4arch9wavefront6targetE1EEEvT1_,"axG",@progbits,_ZN7rocprim17ROCPRIM_400000_NS6detail17trampoline_kernelINS0_14default_configENS1_29reduce_by_key_config_selectorIN3c104HalfElN6thrust23THRUST_200600_302600_NS4plusIlEEEEZZNS1_33reduce_by_key_impl_wrapped_configILNS1_25lookback_scan_determinismE0ES3_SB_PS6_NS8_17constant_iteratorIiNS8_11use_defaultESG_EENS8_10device_ptrIS6_EENSI_IlEEPmSA_NS8_8equal_toIS6_EEEE10hipError_tPvRmT2_T3_mT4_T5_T6_T7_T8_P12ihipStream_tbENKUlT_T0_E_clISt17integral_constantIbLb0EES14_IbLb1EEEEDaS10_S11_EUlS10_E_NS1_11comp_targetILNS1_3genE0ELNS1_11target_archE4294967295ELNS1_3gpuE0ELNS1_3repE0EEENS1_30default_config_static_selectorELNS0_4arch9wavefront6targetE1EEEvT1_,comdat
	.protected	_ZN7rocprim17ROCPRIM_400000_NS6detail17trampoline_kernelINS0_14default_configENS1_29reduce_by_key_config_selectorIN3c104HalfElN6thrust23THRUST_200600_302600_NS4plusIlEEEEZZNS1_33reduce_by_key_impl_wrapped_configILNS1_25lookback_scan_determinismE0ES3_SB_PS6_NS8_17constant_iteratorIiNS8_11use_defaultESG_EENS8_10device_ptrIS6_EENSI_IlEEPmSA_NS8_8equal_toIS6_EEEE10hipError_tPvRmT2_T3_mT4_T5_T6_T7_T8_P12ihipStream_tbENKUlT_T0_E_clISt17integral_constantIbLb0EES14_IbLb1EEEEDaS10_S11_EUlS10_E_NS1_11comp_targetILNS1_3genE0ELNS1_11target_archE4294967295ELNS1_3gpuE0ELNS1_3repE0EEENS1_30default_config_static_selectorELNS0_4arch9wavefront6targetE1EEEvT1_ ; -- Begin function _ZN7rocprim17ROCPRIM_400000_NS6detail17trampoline_kernelINS0_14default_configENS1_29reduce_by_key_config_selectorIN3c104HalfElN6thrust23THRUST_200600_302600_NS4plusIlEEEEZZNS1_33reduce_by_key_impl_wrapped_configILNS1_25lookback_scan_determinismE0ES3_SB_PS6_NS8_17constant_iteratorIiNS8_11use_defaultESG_EENS8_10device_ptrIS6_EENSI_IlEEPmSA_NS8_8equal_toIS6_EEEE10hipError_tPvRmT2_T3_mT4_T5_T6_T7_T8_P12ihipStream_tbENKUlT_T0_E_clISt17integral_constantIbLb0EES14_IbLb1EEEEDaS10_S11_EUlS10_E_NS1_11comp_targetILNS1_3genE0ELNS1_11target_archE4294967295ELNS1_3gpuE0ELNS1_3repE0EEENS1_30default_config_static_selectorELNS0_4arch9wavefront6targetE1EEEvT1_
	.globl	_ZN7rocprim17ROCPRIM_400000_NS6detail17trampoline_kernelINS0_14default_configENS1_29reduce_by_key_config_selectorIN3c104HalfElN6thrust23THRUST_200600_302600_NS4plusIlEEEEZZNS1_33reduce_by_key_impl_wrapped_configILNS1_25lookback_scan_determinismE0ES3_SB_PS6_NS8_17constant_iteratorIiNS8_11use_defaultESG_EENS8_10device_ptrIS6_EENSI_IlEEPmSA_NS8_8equal_toIS6_EEEE10hipError_tPvRmT2_T3_mT4_T5_T6_T7_T8_P12ihipStream_tbENKUlT_T0_E_clISt17integral_constantIbLb0EES14_IbLb1EEEEDaS10_S11_EUlS10_E_NS1_11comp_targetILNS1_3genE0ELNS1_11target_archE4294967295ELNS1_3gpuE0ELNS1_3repE0EEENS1_30default_config_static_selectorELNS0_4arch9wavefront6targetE1EEEvT1_
	.p2align	8
	.type	_ZN7rocprim17ROCPRIM_400000_NS6detail17trampoline_kernelINS0_14default_configENS1_29reduce_by_key_config_selectorIN3c104HalfElN6thrust23THRUST_200600_302600_NS4plusIlEEEEZZNS1_33reduce_by_key_impl_wrapped_configILNS1_25lookback_scan_determinismE0ES3_SB_PS6_NS8_17constant_iteratorIiNS8_11use_defaultESG_EENS8_10device_ptrIS6_EENSI_IlEEPmSA_NS8_8equal_toIS6_EEEE10hipError_tPvRmT2_T3_mT4_T5_T6_T7_T8_P12ihipStream_tbENKUlT_T0_E_clISt17integral_constantIbLb0EES14_IbLb1EEEEDaS10_S11_EUlS10_E_NS1_11comp_targetILNS1_3genE0ELNS1_11target_archE4294967295ELNS1_3gpuE0ELNS1_3repE0EEENS1_30default_config_static_selectorELNS0_4arch9wavefront6targetE1EEEvT1_,@function
_ZN7rocprim17ROCPRIM_400000_NS6detail17trampoline_kernelINS0_14default_configENS1_29reduce_by_key_config_selectorIN3c104HalfElN6thrust23THRUST_200600_302600_NS4plusIlEEEEZZNS1_33reduce_by_key_impl_wrapped_configILNS1_25lookback_scan_determinismE0ES3_SB_PS6_NS8_17constant_iteratorIiNS8_11use_defaultESG_EENS8_10device_ptrIS6_EENSI_IlEEPmSA_NS8_8equal_toIS6_EEEE10hipError_tPvRmT2_T3_mT4_T5_T6_T7_T8_P12ihipStream_tbENKUlT_T0_E_clISt17integral_constantIbLb0EES14_IbLb1EEEEDaS10_S11_EUlS10_E_NS1_11comp_targetILNS1_3genE0ELNS1_11target_archE4294967295ELNS1_3gpuE0ELNS1_3repE0EEENS1_30default_config_static_selectorELNS0_4arch9wavefront6targetE1EEEvT1_: ; @_ZN7rocprim17ROCPRIM_400000_NS6detail17trampoline_kernelINS0_14default_configENS1_29reduce_by_key_config_selectorIN3c104HalfElN6thrust23THRUST_200600_302600_NS4plusIlEEEEZZNS1_33reduce_by_key_impl_wrapped_configILNS1_25lookback_scan_determinismE0ES3_SB_PS6_NS8_17constant_iteratorIiNS8_11use_defaultESG_EENS8_10device_ptrIS6_EENSI_IlEEPmSA_NS8_8equal_toIS6_EEEE10hipError_tPvRmT2_T3_mT4_T5_T6_T7_T8_P12ihipStream_tbENKUlT_T0_E_clISt17integral_constantIbLb0EES14_IbLb1EEEEDaS10_S11_EUlS10_E_NS1_11comp_targetILNS1_3genE0ELNS1_11target_archE4294967295ELNS1_3gpuE0ELNS1_3repE0EEENS1_30default_config_static_selectorELNS0_4arch9wavefront6targetE1EEEvT1_
; %bb.0:
	.section	.rodata,"a",@progbits
	.p2align	6, 0x0
	.amdhsa_kernel _ZN7rocprim17ROCPRIM_400000_NS6detail17trampoline_kernelINS0_14default_configENS1_29reduce_by_key_config_selectorIN3c104HalfElN6thrust23THRUST_200600_302600_NS4plusIlEEEEZZNS1_33reduce_by_key_impl_wrapped_configILNS1_25lookback_scan_determinismE0ES3_SB_PS6_NS8_17constant_iteratorIiNS8_11use_defaultESG_EENS8_10device_ptrIS6_EENSI_IlEEPmSA_NS8_8equal_toIS6_EEEE10hipError_tPvRmT2_T3_mT4_T5_T6_T7_T8_P12ihipStream_tbENKUlT_T0_E_clISt17integral_constantIbLb0EES14_IbLb1EEEEDaS10_S11_EUlS10_E_NS1_11comp_targetILNS1_3genE0ELNS1_11target_archE4294967295ELNS1_3gpuE0ELNS1_3repE0EEENS1_30default_config_static_selectorELNS0_4arch9wavefront6targetE1EEEvT1_
		.amdhsa_group_segment_fixed_size 0
		.amdhsa_private_segment_fixed_size 0
		.amdhsa_kernarg_size 144
		.amdhsa_user_sgpr_count 6
		.amdhsa_user_sgpr_private_segment_buffer 1
		.amdhsa_user_sgpr_dispatch_ptr 0
		.amdhsa_user_sgpr_queue_ptr 0
		.amdhsa_user_sgpr_kernarg_segment_ptr 1
		.amdhsa_user_sgpr_dispatch_id 0
		.amdhsa_user_sgpr_flat_scratch_init 0
		.amdhsa_user_sgpr_private_segment_size 0
		.amdhsa_uses_dynamic_stack 0
		.amdhsa_system_sgpr_private_segment_wavefront_offset 0
		.amdhsa_system_sgpr_workgroup_id_x 1
		.amdhsa_system_sgpr_workgroup_id_y 0
		.amdhsa_system_sgpr_workgroup_id_z 0
		.amdhsa_system_sgpr_workgroup_info 0
		.amdhsa_system_vgpr_workitem_id 0
		.amdhsa_next_free_vgpr 1
		.amdhsa_next_free_sgpr 0
		.amdhsa_reserve_vcc 0
		.amdhsa_reserve_flat_scratch 0
		.amdhsa_float_round_mode_32 0
		.amdhsa_float_round_mode_16_64 0
		.amdhsa_float_denorm_mode_32 3
		.amdhsa_float_denorm_mode_16_64 3
		.amdhsa_dx10_clamp 1
		.amdhsa_ieee_mode 1
		.amdhsa_fp16_overflow 0
		.amdhsa_exception_fp_ieee_invalid_op 0
		.amdhsa_exception_fp_denorm_src 0
		.amdhsa_exception_fp_ieee_div_zero 0
		.amdhsa_exception_fp_ieee_overflow 0
		.amdhsa_exception_fp_ieee_underflow 0
		.amdhsa_exception_fp_ieee_inexact 0
		.amdhsa_exception_int_div_zero 0
	.end_amdhsa_kernel
	.section	.text._ZN7rocprim17ROCPRIM_400000_NS6detail17trampoline_kernelINS0_14default_configENS1_29reduce_by_key_config_selectorIN3c104HalfElN6thrust23THRUST_200600_302600_NS4plusIlEEEEZZNS1_33reduce_by_key_impl_wrapped_configILNS1_25lookback_scan_determinismE0ES3_SB_PS6_NS8_17constant_iteratorIiNS8_11use_defaultESG_EENS8_10device_ptrIS6_EENSI_IlEEPmSA_NS8_8equal_toIS6_EEEE10hipError_tPvRmT2_T3_mT4_T5_T6_T7_T8_P12ihipStream_tbENKUlT_T0_E_clISt17integral_constantIbLb0EES14_IbLb1EEEEDaS10_S11_EUlS10_E_NS1_11comp_targetILNS1_3genE0ELNS1_11target_archE4294967295ELNS1_3gpuE0ELNS1_3repE0EEENS1_30default_config_static_selectorELNS0_4arch9wavefront6targetE1EEEvT1_,"axG",@progbits,_ZN7rocprim17ROCPRIM_400000_NS6detail17trampoline_kernelINS0_14default_configENS1_29reduce_by_key_config_selectorIN3c104HalfElN6thrust23THRUST_200600_302600_NS4plusIlEEEEZZNS1_33reduce_by_key_impl_wrapped_configILNS1_25lookback_scan_determinismE0ES3_SB_PS6_NS8_17constant_iteratorIiNS8_11use_defaultESG_EENS8_10device_ptrIS6_EENSI_IlEEPmSA_NS8_8equal_toIS6_EEEE10hipError_tPvRmT2_T3_mT4_T5_T6_T7_T8_P12ihipStream_tbENKUlT_T0_E_clISt17integral_constantIbLb0EES14_IbLb1EEEEDaS10_S11_EUlS10_E_NS1_11comp_targetILNS1_3genE0ELNS1_11target_archE4294967295ELNS1_3gpuE0ELNS1_3repE0EEENS1_30default_config_static_selectorELNS0_4arch9wavefront6targetE1EEEvT1_,comdat
.Lfunc_end2225:
	.size	_ZN7rocprim17ROCPRIM_400000_NS6detail17trampoline_kernelINS0_14default_configENS1_29reduce_by_key_config_selectorIN3c104HalfElN6thrust23THRUST_200600_302600_NS4plusIlEEEEZZNS1_33reduce_by_key_impl_wrapped_configILNS1_25lookback_scan_determinismE0ES3_SB_PS6_NS8_17constant_iteratorIiNS8_11use_defaultESG_EENS8_10device_ptrIS6_EENSI_IlEEPmSA_NS8_8equal_toIS6_EEEE10hipError_tPvRmT2_T3_mT4_T5_T6_T7_T8_P12ihipStream_tbENKUlT_T0_E_clISt17integral_constantIbLb0EES14_IbLb1EEEEDaS10_S11_EUlS10_E_NS1_11comp_targetILNS1_3genE0ELNS1_11target_archE4294967295ELNS1_3gpuE0ELNS1_3repE0EEENS1_30default_config_static_selectorELNS0_4arch9wavefront6targetE1EEEvT1_, .Lfunc_end2225-_ZN7rocprim17ROCPRIM_400000_NS6detail17trampoline_kernelINS0_14default_configENS1_29reduce_by_key_config_selectorIN3c104HalfElN6thrust23THRUST_200600_302600_NS4plusIlEEEEZZNS1_33reduce_by_key_impl_wrapped_configILNS1_25lookback_scan_determinismE0ES3_SB_PS6_NS8_17constant_iteratorIiNS8_11use_defaultESG_EENS8_10device_ptrIS6_EENSI_IlEEPmSA_NS8_8equal_toIS6_EEEE10hipError_tPvRmT2_T3_mT4_T5_T6_T7_T8_P12ihipStream_tbENKUlT_T0_E_clISt17integral_constantIbLb0EES14_IbLb1EEEEDaS10_S11_EUlS10_E_NS1_11comp_targetILNS1_3genE0ELNS1_11target_archE4294967295ELNS1_3gpuE0ELNS1_3repE0EEENS1_30default_config_static_selectorELNS0_4arch9wavefront6targetE1EEEvT1_
                                        ; -- End function
	.set _ZN7rocprim17ROCPRIM_400000_NS6detail17trampoline_kernelINS0_14default_configENS1_29reduce_by_key_config_selectorIN3c104HalfElN6thrust23THRUST_200600_302600_NS4plusIlEEEEZZNS1_33reduce_by_key_impl_wrapped_configILNS1_25lookback_scan_determinismE0ES3_SB_PS6_NS8_17constant_iteratorIiNS8_11use_defaultESG_EENS8_10device_ptrIS6_EENSI_IlEEPmSA_NS8_8equal_toIS6_EEEE10hipError_tPvRmT2_T3_mT4_T5_T6_T7_T8_P12ihipStream_tbENKUlT_T0_E_clISt17integral_constantIbLb0EES14_IbLb1EEEEDaS10_S11_EUlS10_E_NS1_11comp_targetILNS1_3genE0ELNS1_11target_archE4294967295ELNS1_3gpuE0ELNS1_3repE0EEENS1_30default_config_static_selectorELNS0_4arch9wavefront6targetE1EEEvT1_.num_vgpr, 0
	.set _ZN7rocprim17ROCPRIM_400000_NS6detail17trampoline_kernelINS0_14default_configENS1_29reduce_by_key_config_selectorIN3c104HalfElN6thrust23THRUST_200600_302600_NS4plusIlEEEEZZNS1_33reduce_by_key_impl_wrapped_configILNS1_25lookback_scan_determinismE0ES3_SB_PS6_NS8_17constant_iteratorIiNS8_11use_defaultESG_EENS8_10device_ptrIS6_EENSI_IlEEPmSA_NS8_8equal_toIS6_EEEE10hipError_tPvRmT2_T3_mT4_T5_T6_T7_T8_P12ihipStream_tbENKUlT_T0_E_clISt17integral_constantIbLb0EES14_IbLb1EEEEDaS10_S11_EUlS10_E_NS1_11comp_targetILNS1_3genE0ELNS1_11target_archE4294967295ELNS1_3gpuE0ELNS1_3repE0EEENS1_30default_config_static_selectorELNS0_4arch9wavefront6targetE1EEEvT1_.num_agpr, 0
	.set _ZN7rocprim17ROCPRIM_400000_NS6detail17trampoline_kernelINS0_14default_configENS1_29reduce_by_key_config_selectorIN3c104HalfElN6thrust23THRUST_200600_302600_NS4plusIlEEEEZZNS1_33reduce_by_key_impl_wrapped_configILNS1_25lookback_scan_determinismE0ES3_SB_PS6_NS8_17constant_iteratorIiNS8_11use_defaultESG_EENS8_10device_ptrIS6_EENSI_IlEEPmSA_NS8_8equal_toIS6_EEEE10hipError_tPvRmT2_T3_mT4_T5_T6_T7_T8_P12ihipStream_tbENKUlT_T0_E_clISt17integral_constantIbLb0EES14_IbLb1EEEEDaS10_S11_EUlS10_E_NS1_11comp_targetILNS1_3genE0ELNS1_11target_archE4294967295ELNS1_3gpuE0ELNS1_3repE0EEENS1_30default_config_static_selectorELNS0_4arch9wavefront6targetE1EEEvT1_.numbered_sgpr, 0
	.set _ZN7rocprim17ROCPRIM_400000_NS6detail17trampoline_kernelINS0_14default_configENS1_29reduce_by_key_config_selectorIN3c104HalfElN6thrust23THRUST_200600_302600_NS4plusIlEEEEZZNS1_33reduce_by_key_impl_wrapped_configILNS1_25lookback_scan_determinismE0ES3_SB_PS6_NS8_17constant_iteratorIiNS8_11use_defaultESG_EENS8_10device_ptrIS6_EENSI_IlEEPmSA_NS8_8equal_toIS6_EEEE10hipError_tPvRmT2_T3_mT4_T5_T6_T7_T8_P12ihipStream_tbENKUlT_T0_E_clISt17integral_constantIbLb0EES14_IbLb1EEEEDaS10_S11_EUlS10_E_NS1_11comp_targetILNS1_3genE0ELNS1_11target_archE4294967295ELNS1_3gpuE0ELNS1_3repE0EEENS1_30default_config_static_selectorELNS0_4arch9wavefront6targetE1EEEvT1_.num_named_barrier, 0
	.set _ZN7rocprim17ROCPRIM_400000_NS6detail17trampoline_kernelINS0_14default_configENS1_29reduce_by_key_config_selectorIN3c104HalfElN6thrust23THRUST_200600_302600_NS4plusIlEEEEZZNS1_33reduce_by_key_impl_wrapped_configILNS1_25lookback_scan_determinismE0ES3_SB_PS6_NS8_17constant_iteratorIiNS8_11use_defaultESG_EENS8_10device_ptrIS6_EENSI_IlEEPmSA_NS8_8equal_toIS6_EEEE10hipError_tPvRmT2_T3_mT4_T5_T6_T7_T8_P12ihipStream_tbENKUlT_T0_E_clISt17integral_constantIbLb0EES14_IbLb1EEEEDaS10_S11_EUlS10_E_NS1_11comp_targetILNS1_3genE0ELNS1_11target_archE4294967295ELNS1_3gpuE0ELNS1_3repE0EEENS1_30default_config_static_selectorELNS0_4arch9wavefront6targetE1EEEvT1_.private_seg_size, 0
	.set _ZN7rocprim17ROCPRIM_400000_NS6detail17trampoline_kernelINS0_14default_configENS1_29reduce_by_key_config_selectorIN3c104HalfElN6thrust23THRUST_200600_302600_NS4plusIlEEEEZZNS1_33reduce_by_key_impl_wrapped_configILNS1_25lookback_scan_determinismE0ES3_SB_PS6_NS8_17constant_iteratorIiNS8_11use_defaultESG_EENS8_10device_ptrIS6_EENSI_IlEEPmSA_NS8_8equal_toIS6_EEEE10hipError_tPvRmT2_T3_mT4_T5_T6_T7_T8_P12ihipStream_tbENKUlT_T0_E_clISt17integral_constantIbLb0EES14_IbLb1EEEEDaS10_S11_EUlS10_E_NS1_11comp_targetILNS1_3genE0ELNS1_11target_archE4294967295ELNS1_3gpuE0ELNS1_3repE0EEENS1_30default_config_static_selectorELNS0_4arch9wavefront6targetE1EEEvT1_.uses_vcc, 0
	.set _ZN7rocprim17ROCPRIM_400000_NS6detail17trampoline_kernelINS0_14default_configENS1_29reduce_by_key_config_selectorIN3c104HalfElN6thrust23THRUST_200600_302600_NS4plusIlEEEEZZNS1_33reduce_by_key_impl_wrapped_configILNS1_25lookback_scan_determinismE0ES3_SB_PS6_NS8_17constant_iteratorIiNS8_11use_defaultESG_EENS8_10device_ptrIS6_EENSI_IlEEPmSA_NS8_8equal_toIS6_EEEE10hipError_tPvRmT2_T3_mT4_T5_T6_T7_T8_P12ihipStream_tbENKUlT_T0_E_clISt17integral_constantIbLb0EES14_IbLb1EEEEDaS10_S11_EUlS10_E_NS1_11comp_targetILNS1_3genE0ELNS1_11target_archE4294967295ELNS1_3gpuE0ELNS1_3repE0EEENS1_30default_config_static_selectorELNS0_4arch9wavefront6targetE1EEEvT1_.uses_flat_scratch, 0
	.set _ZN7rocprim17ROCPRIM_400000_NS6detail17trampoline_kernelINS0_14default_configENS1_29reduce_by_key_config_selectorIN3c104HalfElN6thrust23THRUST_200600_302600_NS4plusIlEEEEZZNS1_33reduce_by_key_impl_wrapped_configILNS1_25lookback_scan_determinismE0ES3_SB_PS6_NS8_17constant_iteratorIiNS8_11use_defaultESG_EENS8_10device_ptrIS6_EENSI_IlEEPmSA_NS8_8equal_toIS6_EEEE10hipError_tPvRmT2_T3_mT4_T5_T6_T7_T8_P12ihipStream_tbENKUlT_T0_E_clISt17integral_constantIbLb0EES14_IbLb1EEEEDaS10_S11_EUlS10_E_NS1_11comp_targetILNS1_3genE0ELNS1_11target_archE4294967295ELNS1_3gpuE0ELNS1_3repE0EEENS1_30default_config_static_selectorELNS0_4arch9wavefront6targetE1EEEvT1_.has_dyn_sized_stack, 0
	.set _ZN7rocprim17ROCPRIM_400000_NS6detail17trampoline_kernelINS0_14default_configENS1_29reduce_by_key_config_selectorIN3c104HalfElN6thrust23THRUST_200600_302600_NS4plusIlEEEEZZNS1_33reduce_by_key_impl_wrapped_configILNS1_25lookback_scan_determinismE0ES3_SB_PS6_NS8_17constant_iteratorIiNS8_11use_defaultESG_EENS8_10device_ptrIS6_EENSI_IlEEPmSA_NS8_8equal_toIS6_EEEE10hipError_tPvRmT2_T3_mT4_T5_T6_T7_T8_P12ihipStream_tbENKUlT_T0_E_clISt17integral_constantIbLb0EES14_IbLb1EEEEDaS10_S11_EUlS10_E_NS1_11comp_targetILNS1_3genE0ELNS1_11target_archE4294967295ELNS1_3gpuE0ELNS1_3repE0EEENS1_30default_config_static_selectorELNS0_4arch9wavefront6targetE1EEEvT1_.has_recursion, 0
	.set _ZN7rocprim17ROCPRIM_400000_NS6detail17trampoline_kernelINS0_14default_configENS1_29reduce_by_key_config_selectorIN3c104HalfElN6thrust23THRUST_200600_302600_NS4plusIlEEEEZZNS1_33reduce_by_key_impl_wrapped_configILNS1_25lookback_scan_determinismE0ES3_SB_PS6_NS8_17constant_iteratorIiNS8_11use_defaultESG_EENS8_10device_ptrIS6_EENSI_IlEEPmSA_NS8_8equal_toIS6_EEEE10hipError_tPvRmT2_T3_mT4_T5_T6_T7_T8_P12ihipStream_tbENKUlT_T0_E_clISt17integral_constantIbLb0EES14_IbLb1EEEEDaS10_S11_EUlS10_E_NS1_11comp_targetILNS1_3genE0ELNS1_11target_archE4294967295ELNS1_3gpuE0ELNS1_3repE0EEENS1_30default_config_static_selectorELNS0_4arch9wavefront6targetE1EEEvT1_.has_indirect_call, 0
	.section	.AMDGPU.csdata,"",@progbits
; Kernel info:
; codeLenInByte = 0
; TotalNumSgprs: 4
; NumVgprs: 0
; ScratchSize: 0
; MemoryBound: 0
; FloatMode: 240
; IeeeMode: 1
; LDSByteSize: 0 bytes/workgroup (compile time only)
; SGPRBlocks: 0
; VGPRBlocks: 0
; NumSGPRsForWavesPerEU: 4
; NumVGPRsForWavesPerEU: 1
; Occupancy: 10
; WaveLimiterHint : 0
; COMPUTE_PGM_RSRC2:SCRATCH_EN: 0
; COMPUTE_PGM_RSRC2:USER_SGPR: 6
; COMPUTE_PGM_RSRC2:TRAP_HANDLER: 0
; COMPUTE_PGM_RSRC2:TGID_X_EN: 1
; COMPUTE_PGM_RSRC2:TGID_Y_EN: 0
; COMPUTE_PGM_RSRC2:TGID_Z_EN: 0
; COMPUTE_PGM_RSRC2:TIDIG_COMP_CNT: 0
	.section	.text._ZN7rocprim17ROCPRIM_400000_NS6detail17trampoline_kernelINS0_14default_configENS1_29reduce_by_key_config_selectorIN3c104HalfElN6thrust23THRUST_200600_302600_NS4plusIlEEEEZZNS1_33reduce_by_key_impl_wrapped_configILNS1_25lookback_scan_determinismE0ES3_SB_PS6_NS8_17constant_iteratorIiNS8_11use_defaultESG_EENS8_10device_ptrIS6_EENSI_IlEEPmSA_NS8_8equal_toIS6_EEEE10hipError_tPvRmT2_T3_mT4_T5_T6_T7_T8_P12ihipStream_tbENKUlT_T0_E_clISt17integral_constantIbLb0EES14_IbLb1EEEEDaS10_S11_EUlS10_E_NS1_11comp_targetILNS1_3genE5ELNS1_11target_archE942ELNS1_3gpuE9ELNS1_3repE0EEENS1_30default_config_static_selectorELNS0_4arch9wavefront6targetE1EEEvT1_,"axG",@progbits,_ZN7rocprim17ROCPRIM_400000_NS6detail17trampoline_kernelINS0_14default_configENS1_29reduce_by_key_config_selectorIN3c104HalfElN6thrust23THRUST_200600_302600_NS4plusIlEEEEZZNS1_33reduce_by_key_impl_wrapped_configILNS1_25lookback_scan_determinismE0ES3_SB_PS6_NS8_17constant_iteratorIiNS8_11use_defaultESG_EENS8_10device_ptrIS6_EENSI_IlEEPmSA_NS8_8equal_toIS6_EEEE10hipError_tPvRmT2_T3_mT4_T5_T6_T7_T8_P12ihipStream_tbENKUlT_T0_E_clISt17integral_constantIbLb0EES14_IbLb1EEEEDaS10_S11_EUlS10_E_NS1_11comp_targetILNS1_3genE5ELNS1_11target_archE942ELNS1_3gpuE9ELNS1_3repE0EEENS1_30default_config_static_selectorELNS0_4arch9wavefront6targetE1EEEvT1_,comdat
	.protected	_ZN7rocprim17ROCPRIM_400000_NS6detail17trampoline_kernelINS0_14default_configENS1_29reduce_by_key_config_selectorIN3c104HalfElN6thrust23THRUST_200600_302600_NS4plusIlEEEEZZNS1_33reduce_by_key_impl_wrapped_configILNS1_25lookback_scan_determinismE0ES3_SB_PS6_NS8_17constant_iteratorIiNS8_11use_defaultESG_EENS8_10device_ptrIS6_EENSI_IlEEPmSA_NS8_8equal_toIS6_EEEE10hipError_tPvRmT2_T3_mT4_T5_T6_T7_T8_P12ihipStream_tbENKUlT_T0_E_clISt17integral_constantIbLb0EES14_IbLb1EEEEDaS10_S11_EUlS10_E_NS1_11comp_targetILNS1_3genE5ELNS1_11target_archE942ELNS1_3gpuE9ELNS1_3repE0EEENS1_30default_config_static_selectorELNS0_4arch9wavefront6targetE1EEEvT1_ ; -- Begin function _ZN7rocprim17ROCPRIM_400000_NS6detail17trampoline_kernelINS0_14default_configENS1_29reduce_by_key_config_selectorIN3c104HalfElN6thrust23THRUST_200600_302600_NS4plusIlEEEEZZNS1_33reduce_by_key_impl_wrapped_configILNS1_25lookback_scan_determinismE0ES3_SB_PS6_NS8_17constant_iteratorIiNS8_11use_defaultESG_EENS8_10device_ptrIS6_EENSI_IlEEPmSA_NS8_8equal_toIS6_EEEE10hipError_tPvRmT2_T3_mT4_T5_T6_T7_T8_P12ihipStream_tbENKUlT_T0_E_clISt17integral_constantIbLb0EES14_IbLb1EEEEDaS10_S11_EUlS10_E_NS1_11comp_targetILNS1_3genE5ELNS1_11target_archE942ELNS1_3gpuE9ELNS1_3repE0EEENS1_30default_config_static_selectorELNS0_4arch9wavefront6targetE1EEEvT1_
	.globl	_ZN7rocprim17ROCPRIM_400000_NS6detail17trampoline_kernelINS0_14default_configENS1_29reduce_by_key_config_selectorIN3c104HalfElN6thrust23THRUST_200600_302600_NS4plusIlEEEEZZNS1_33reduce_by_key_impl_wrapped_configILNS1_25lookback_scan_determinismE0ES3_SB_PS6_NS8_17constant_iteratorIiNS8_11use_defaultESG_EENS8_10device_ptrIS6_EENSI_IlEEPmSA_NS8_8equal_toIS6_EEEE10hipError_tPvRmT2_T3_mT4_T5_T6_T7_T8_P12ihipStream_tbENKUlT_T0_E_clISt17integral_constantIbLb0EES14_IbLb1EEEEDaS10_S11_EUlS10_E_NS1_11comp_targetILNS1_3genE5ELNS1_11target_archE942ELNS1_3gpuE9ELNS1_3repE0EEENS1_30default_config_static_selectorELNS0_4arch9wavefront6targetE1EEEvT1_
	.p2align	8
	.type	_ZN7rocprim17ROCPRIM_400000_NS6detail17trampoline_kernelINS0_14default_configENS1_29reduce_by_key_config_selectorIN3c104HalfElN6thrust23THRUST_200600_302600_NS4plusIlEEEEZZNS1_33reduce_by_key_impl_wrapped_configILNS1_25lookback_scan_determinismE0ES3_SB_PS6_NS8_17constant_iteratorIiNS8_11use_defaultESG_EENS8_10device_ptrIS6_EENSI_IlEEPmSA_NS8_8equal_toIS6_EEEE10hipError_tPvRmT2_T3_mT4_T5_T6_T7_T8_P12ihipStream_tbENKUlT_T0_E_clISt17integral_constantIbLb0EES14_IbLb1EEEEDaS10_S11_EUlS10_E_NS1_11comp_targetILNS1_3genE5ELNS1_11target_archE942ELNS1_3gpuE9ELNS1_3repE0EEENS1_30default_config_static_selectorELNS0_4arch9wavefront6targetE1EEEvT1_,@function
_ZN7rocprim17ROCPRIM_400000_NS6detail17trampoline_kernelINS0_14default_configENS1_29reduce_by_key_config_selectorIN3c104HalfElN6thrust23THRUST_200600_302600_NS4plusIlEEEEZZNS1_33reduce_by_key_impl_wrapped_configILNS1_25lookback_scan_determinismE0ES3_SB_PS6_NS8_17constant_iteratorIiNS8_11use_defaultESG_EENS8_10device_ptrIS6_EENSI_IlEEPmSA_NS8_8equal_toIS6_EEEE10hipError_tPvRmT2_T3_mT4_T5_T6_T7_T8_P12ihipStream_tbENKUlT_T0_E_clISt17integral_constantIbLb0EES14_IbLb1EEEEDaS10_S11_EUlS10_E_NS1_11comp_targetILNS1_3genE5ELNS1_11target_archE942ELNS1_3gpuE9ELNS1_3repE0EEENS1_30default_config_static_selectorELNS0_4arch9wavefront6targetE1EEEvT1_: ; @_ZN7rocprim17ROCPRIM_400000_NS6detail17trampoline_kernelINS0_14default_configENS1_29reduce_by_key_config_selectorIN3c104HalfElN6thrust23THRUST_200600_302600_NS4plusIlEEEEZZNS1_33reduce_by_key_impl_wrapped_configILNS1_25lookback_scan_determinismE0ES3_SB_PS6_NS8_17constant_iteratorIiNS8_11use_defaultESG_EENS8_10device_ptrIS6_EENSI_IlEEPmSA_NS8_8equal_toIS6_EEEE10hipError_tPvRmT2_T3_mT4_T5_T6_T7_T8_P12ihipStream_tbENKUlT_T0_E_clISt17integral_constantIbLb0EES14_IbLb1EEEEDaS10_S11_EUlS10_E_NS1_11comp_targetILNS1_3genE5ELNS1_11target_archE942ELNS1_3gpuE9ELNS1_3repE0EEENS1_30default_config_static_selectorELNS0_4arch9wavefront6targetE1EEEvT1_
; %bb.0:
	.section	.rodata,"a",@progbits
	.p2align	6, 0x0
	.amdhsa_kernel _ZN7rocprim17ROCPRIM_400000_NS6detail17trampoline_kernelINS0_14default_configENS1_29reduce_by_key_config_selectorIN3c104HalfElN6thrust23THRUST_200600_302600_NS4plusIlEEEEZZNS1_33reduce_by_key_impl_wrapped_configILNS1_25lookback_scan_determinismE0ES3_SB_PS6_NS8_17constant_iteratorIiNS8_11use_defaultESG_EENS8_10device_ptrIS6_EENSI_IlEEPmSA_NS8_8equal_toIS6_EEEE10hipError_tPvRmT2_T3_mT4_T5_T6_T7_T8_P12ihipStream_tbENKUlT_T0_E_clISt17integral_constantIbLb0EES14_IbLb1EEEEDaS10_S11_EUlS10_E_NS1_11comp_targetILNS1_3genE5ELNS1_11target_archE942ELNS1_3gpuE9ELNS1_3repE0EEENS1_30default_config_static_selectorELNS0_4arch9wavefront6targetE1EEEvT1_
		.amdhsa_group_segment_fixed_size 0
		.amdhsa_private_segment_fixed_size 0
		.amdhsa_kernarg_size 144
		.amdhsa_user_sgpr_count 6
		.amdhsa_user_sgpr_private_segment_buffer 1
		.amdhsa_user_sgpr_dispatch_ptr 0
		.amdhsa_user_sgpr_queue_ptr 0
		.amdhsa_user_sgpr_kernarg_segment_ptr 1
		.amdhsa_user_sgpr_dispatch_id 0
		.amdhsa_user_sgpr_flat_scratch_init 0
		.amdhsa_user_sgpr_private_segment_size 0
		.amdhsa_uses_dynamic_stack 0
		.amdhsa_system_sgpr_private_segment_wavefront_offset 0
		.amdhsa_system_sgpr_workgroup_id_x 1
		.amdhsa_system_sgpr_workgroup_id_y 0
		.amdhsa_system_sgpr_workgroup_id_z 0
		.amdhsa_system_sgpr_workgroup_info 0
		.amdhsa_system_vgpr_workitem_id 0
		.amdhsa_next_free_vgpr 1
		.amdhsa_next_free_sgpr 0
		.amdhsa_reserve_vcc 0
		.amdhsa_reserve_flat_scratch 0
		.amdhsa_float_round_mode_32 0
		.amdhsa_float_round_mode_16_64 0
		.amdhsa_float_denorm_mode_32 3
		.amdhsa_float_denorm_mode_16_64 3
		.amdhsa_dx10_clamp 1
		.amdhsa_ieee_mode 1
		.amdhsa_fp16_overflow 0
		.amdhsa_exception_fp_ieee_invalid_op 0
		.amdhsa_exception_fp_denorm_src 0
		.amdhsa_exception_fp_ieee_div_zero 0
		.amdhsa_exception_fp_ieee_overflow 0
		.amdhsa_exception_fp_ieee_underflow 0
		.amdhsa_exception_fp_ieee_inexact 0
		.amdhsa_exception_int_div_zero 0
	.end_amdhsa_kernel
	.section	.text._ZN7rocprim17ROCPRIM_400000_NS6detail17trampoline_kernelINS0_14default_configENS1_29reduce_by_key_config_selectorIN3c104HalfElN6thrust23THRUST_200600_302600_NS4plusIlEEEEZZNS1_33reduce_by_key_impl_wrapped_configILNS1_25lookback_scan_determinismE0ES3_SB_PS6_NS8_17constant_iteratorIiNS8_11use_defaultESG_EENS8_10device_ptrIS6_EENSI_IlEEPmSA_NS8_8equal_toIS6_EEEE10hipError_tPvRmT2_T3_mT4_T5_T6_T7_T8_P12ihipStream_tbENKUlT_T0_E_clISt17integral_constantIbLb0EES14_IbLb1EEEEDaS10_S11_EUlS10_E_NS1_11comp_targetILNS1_3genE5ELNS1_11target_archE942ELNS1_3gpuE9ELNS1_3repE0EEENS1_30default_config_static_selectorELNS0_4arch9wavefront6targetE1EEEvT1_,"axG",@progbits,_ZN7rocprim17ROCPRIM_400000_NS6detail17trampoline_kernelINS0_14default_configENS1_29reduce_by_key_config_selectorIN3c104HalfElN6thrust23THRUST_200600_302600_NS4plusIlEEEEZZNS1_33reduce_by_key_impl_wrapped_configILNS1_25lookback_scan_determinismE0ES3_SB_PS6_NS8_17constant_iteratorIiNS8_11use_defaultESG_EENS8_10device_ptrIS6_EENSI_IlEEPmSA_NS8_8equal_toIS6_EEEE10hipError_tPvRmT2_T3_mT4_T5_T6_T7_T8_P12ihipStream_tbENKUlT_T0_E_clISt17integral_constantIbLb0EES14_IbLb1EEEEDaS10_S11_EUlS10_E_NS1_11comp_targetILNS1_3genE5ELNS1_11target_archE942ELNS1_3gpuE9ELNS1_3repE0EEENS1_30default_config_static_selectorELNS0_4arch9wavefront6targetE1EEEvT1_,comdat
.Lfunc_end2226:
	.size	_ZN7rocprim17ROCPRIM_400000_NS6detail17trampoline_kernelINS0_14default_configENS1_29reduce_by_key_config_selectorIN3c104HalfElN6thrust23THRUST_200600_302600_NS4plusIlEEEEZZNS1_33reduce_by_key_impl_wrapped_configILNS1_25lookback_scan_determinismE0ES3_SB_PS6_NS8_17constant_iteratorIiNS8_11use_defaultESG_EENS8_10device_ptrIS6_EENSI_IlEEPmSA_NS8_8equal_toIS6_EEEE10hipError_tPvRmT2_T3_mT4_T5_T6_T7_T8_P12ihipStream_tbENKUlT_T0_E_clISt17integral_constantIbLb0EES14_IbLb1EEEEDaS10_S11_EUlS10_E_NS1_11comp_targetILNS1_3genE5ELNS1_11target_archE942ELNS1_3gpuE9ELNS1_3repE0EEENS1_30default_config_static_selectorELNS0_4arch9wavefront6targetE1EEEvT1_, .Lfunc_end2226-_ZN7rocprim17ROCPRIM_400000_NS6detail17trampoline_kernelINS0_14default_configENS1_29reduce_by_key_config_selectorIN3c104HalfElN6thrust23THRUST_200600_302600_NS4plusIlEEEEZZNS1_33reduce_by_key_impl_wrapped_configILNS1_25lookback_scan_determinismE0ES3_SB_PS6_NS8_17constant_iteratorIiNS8_11use_defaultESG_EENS8_10device_ptrIS6_EENSI_IlEEPmSA_NS8_8equal_toIS6_EEEE10hipError_tPvRmT2_T3_mT4_T5_T6_T7_T8_P12ihipStream_tbENKUlT_T0_E_clISt17integral_constantIbLb0EES14_IbLb1EEEEDaS10_S11_EUlS10_E_NS1_11comp_targetILNS1_3genE5ELNS1_11target_archE942ELNS1_3gpuE9ELNS1_3repE0EEENS1_30default_config_static_selectorELNS0_4arch9wavefront6targetE1EEEvT1_
                                        ; -- End function
	.set _ZN7rocprim17ROCPRIM_400000_NS6detail17trampoline_kernelINS0_14default_configENS1_29reduce_by_key_config_selectorIN3c104HalfElN6thrust23THRUST_200600_302600_NS4plusIlEEEEZZNS1_33reduce_by_key_impl_wrapped_configILNS1_25lookback_scan_determinismE0ES3_SB_PS6_NS8_17constant_iteratorIiNS8_11use_defaultESG_EENS8_10device_ptrIS6_EENSI_IlEEPmSA_NS8_8equal_toIS6_EEEE10hipError_tPvRmT2_T3_mT4_T5_T6_T7_T8_P12ihipStream_tbENKUlT_T0_E_clISt17integral_constantIbLb0EES14_IbLb1EEEEDaS10_S11_EUlS10_E_NS1_11comp_targetILNS1_3genE5ELNS1_11target_archE942ELNS1_3gpuE9ELNS1_3repE0EEENS1_30default_config_static_selectorELNS0_4arch9wavefront6targetE1EEEvT1_.num_vgpr, 0
	.set _ZN7rocprim17ROCPRIM_400000_NS6detail17trampoline_kernelINS0_14default_configENS1_29reduce_by_key_config_selectorIN3c104HalfElN6thrust23THRUST_200600_302600_NS4plusIlEEEEZZNS1_33reduce_by_key_impl_wrapped_configILNS1_25lookback_scan_determinismE0ES3_SB_PS6_NS8_17constant_iteratorIiNS8_11use_defaultESG_EENS8_10device_ptrIS6_EENSI_IlEEPmSA_NS8_8equal_toIS6_EEEE10hipError_tPvRmT2_T3_mT4_T5_T6_T7_T8_P12ihipStream_tbENKUlT_T0_E_clISt17integral_constantIbLb0EES14_IbLb1EEEEDaS10_S11_EUlS10_E_NS1_11comp_targetILNS1_3genE5ELNS1_11target_archE942ELNS1_3gpuE9ELNS1_3repE0EEENS1_30default_config_static_selectorELNS0_4arch9wavefront6targetE1EEEvT1_.num_agpr, 0
	.set _ZN7rocprim17ROCPRIM_400000_NS6detail17trampoline_kernelINS0_14default_configENS1_29reduce_by_key_config_selectorIN3c104HalfElN6thrust23THRUST_200600_302600_NS4plusIlEEEEZZNS1_33reduce_by_key_impl_wrapped_configILNS1_25lookback_scan_determinismE0ES3_SB_PS6_NS8_17constant_iteratorIiNS8_11use_defaultESG_EENS8_10device_ptrIS6_EENSI_IlEEPmSA_NS8_8equal_toIS6_EEEE10hipError_tPvRmT2_T3_mT4_T5_T6_T7_T8_P12ihipStream_tbENKUlT_T0_E_clISt17integral_constantIbLb0EES14_IbLb1EEEEDaS10_S11_EUlS10_E_NS1_11comp_targetILNS1_3genE5ELNS1_11target_archE942ELNS1_3gpuE9ELNS1_3repE0EEENS1_30default_config_static_selectorELNS0_4arch9wavefront6targetE1EEEvT1_.numbered_sgpr, 0
	.set _ZN7rocprim17ROCPRIM_400000_NS6detail17trampoline_kernelINS0_14default_configENS1_29reduce_by_key_config_selectorIN3c104HalfElN6thrust23THRUST_200600_302600_NS4plusIlEEEEZZNS1_33reduce_by_key_impl_wrapped_configILNS1_25lookback_scan_determinismE0ES3_SB_PS6_NS8_17constant_iteratorIiNS8_11use_defaultESG_EENS8_10device_ptrIS6_EENSI_IlEEPmSA_NS8_8equal_toIS6_EEEE10hipError_tPvRmT2_T3_mT4_T5_T6_T7_T8_P12ihipStream_tbENKUlT_T0_E_clISt17integral_constantIbLb0EES14_IbLb1EEEEDaS10_S11_EUlS10_E_NS1_11comp_targetILNS1_3genE5ELNS1_11target_archE942ELNS1_3gpuE9ELNS1_3repE0EEENS1_30default_config_static_selectorELNS0_4arch9wavefront6targetE1EEEvT1_.num_named_barrier, 0
	.set _ZN7rocprim17ROCPRIM_400000_NS6detail17trampoline_kernelINS0_14default_configENS1_29reduce_by_key_config_selectorIN3c104HalfElN6thrust23THRUST_200600_302600_NS4plusIlEEEEZZNS1_33reduce_by_key_impl_wrapped_configILNS1_25lookback_scan_determinismE0ES3_SB_PS6_NS8_17constant_iteratorIiNS8_11use_defaultESG_EENS8_10device_ptrIS6_EENSI_IlEEPmSA_NS8_8equal_toIS6_EEEE10hipError_tPvRmT2_T3_mT4_T5_T6_T7_T8_P12ihipStream_tbENKUlT_T0_E_clISt17integral_constantIbLb0EES14_IbLb1EEEEDaS10_S11_EUlS10_E_NS1_11comp_targetILNS1_3genE5ELNS1_11target_archE942ELNS1_3gpuE9ELNS1_3repE0EEENS1_30default_config_static_selectorELNS0_4arch9wavefront6targetE1EEEvT1_.private_seg_size, 0
	.set _ZN7rocprim17ROCPRIM_400000_NS6detail17trampoline_kernelINS0_14default_configENS1_29reduce_by_key_config_selectorIN3c104HalfElN6thrust23THRUST_200600_302600_NS4plusIlEEEEZZNS1_33reduce_by_key_impl_wrapped_configILNS1_25lookback_scan_determinismE0ES3_SB_PS6_NS8_17constant_iteratorIiNS8_11use_defaultESG_EENS8_10device_ptrIS6_EENSI_IlEEPmSA_NS8_8equal_toIS6_EEEE10hipError_tPvRmT2_T3_mT4_T5_T6_T7_T8_P12ihipStream_tbENKUlT_T0_E_clISt17integral_constantIbLb0EES14_IbLb1EEEEDaS10_S11_EUlS10_E_NS1_11comp_targetILNS1_3genE5ELNS1_11target_archE942ELNS1_3gpuE9ELNS1_3repE0EEENS1_30default_config_static_selectorELNS0_4arch9wavefront6targetE1EEEvT1_.uses_vcc, 0
	.set _ZN7rocprim17ROCPRIM_400000_NS6detail17trampoline_kernelINS0_14default_configENS1_29reduce_by_key_config_selectorIN3c104HalfElN6thrust23THRUST_200600_302600_NS4plusIlEEEEZZNS1_33reduce_by_key_impl_wrapped_configILNS1_25lookback_scan_determinismE0ES3_SB_PS6_NS8_17constant_iteratorIiNS8_11use_defaultESG_EENS8_10device_ptrIS6_EENSI_IlEEPmSA_NS8_8equal_toIS6_EEEE10hipError_tPvRmT2_T3_mT4_T5_T6_T7_T8_P12ihipStream_tbENKUlT_T0_E_clISt17integral_constantIbLb0EES14_IbLb1EEEEDaS10_S11_EUlS10_E_NS1_11comp_targetILNS1_3genE5ELNS1_11target_archE942ELNS1_3gpuE9ELNS1_3repE0EEENS1_30default_config_static_selectorELNS0_4arch9wavefront6targetE1EEEvT1_.uses_flat_scratch, 0
	.set _ZN7rocprim17ROCPRIM_400000_NS6detail17trampoline_kernelINS0_14default_configENS1_29reduce_by_key_config_selectorIN3c104HalfElN6thrust23THRUST_200600_302600_NS4plusIlEEEEZZNS1_33reduce_by_key_impl_wrapped_configILNS1_25lookback_scan_determinismE0ES3_SB_PS6_NS8_17constant_iteratorIiNS8_11use_defaultESG_EENS8_10device_ptrIS6_EENSI_IlEEPmSA_NS8_8equal_toIS6_EEEE10hipError_tPvRmT2_T3_mT4_T5_T6_T7_T8_P12ihipStream_tbENKUlT_T0_E_clISt17integral_constantIbLb0EES14_IbLb1EEEEDaS10_S11_EUlS10_E_NS1_11comp_targetILNS1_3genE5ELNS1_11target_archE942ELNS1_3gpuE9ELNS1_3repE0EEENS1_30default_config_static_selectorELNS0_4arch9wavefront6targetE1EEEvT1_.has_dyn_sized_stack, 0
	.set _ZN7rocprim17ROCPRIM_400000_NS6detail17trampoline_kernelINS0_14default_configENS1_29reduce_by_key_config_selectorIN3c104HalfElN6thrust23THRUST_200600_302600_NS4plusIlEEEEZZNS1_33reduce_by_key_impl_wrapped_configILNS1_25lookback_scan_determinismE0ES3_SB_PS6_NS8_17constant_iteratorIiNS8_11use_defaultESG_EENS8_10device_ptrIS6_EENSI_IlEEPmSA_NS8_8equal_toIS6_EEEE10hipError_tPvRmT2_T3_mT4_T5_T6_T7_T8_P12ihipStream_tbENKUlT_T0_E_clISt17integral_constantIbLb0EES14_IbLb1EEEEDaS10_S11_EUlS10_E_NS1_11comp_targetILNS1_3genE5ELNS1_11target_archE942ELNS1_3gpuE9ELNS1_3repE0EEENS1_30default_config_static_selectorELNS0_4arch9wavefront6targetE1EEEvT1_.has_recursion, 0
	.set _ZN7rocprim17ROCPRIM_400000_NS6detail17trampoline_kernelINS0_14default_configENS1_29reduce_by_key_config_selectorIN3c104HalfElN6thrust23THRUST_200600_302600_NS4plusIlEEEEZZNS1_33reduce_by_key_impl_wrapped_configILNS1_25lookback_scan_determinismE0ES3_SB_PS6_NS8_17constant_iteratorIiNS8_11use_defaultESG_EENS8_10device_ptrIS6_EENSI_IlEEPmSA_NS8_8equal_toIS6_EEEE10hipError_tPvRmT2_T3_mT4_T5_T6_T7_T8_P12ihipStream_tbENKUlT_T0_E_clISt17integral_constantIbLb0EES14_IbLb1EEEEDaS10_S11_EUlS10_E_NS1_11comp_targetILNS1_3genE5ELNS1_11target_archE942ELNS1_3gpuE9ELNS1_3repE0EEENS1_30default_config_static_selectorELNS0_4arch9wavefront6targetE1EEEvT1_.has_indirect_call, 0
	.section	.AMDGPU.csdata,"",@progbits
; Kernel info:
; codeLenInByte = 0
; TotalNumSgprs: 4
; NumVgprs: 0
; ScratchSize: 0
; MemoryBound: 0
; FloatMode: 240
; IeeeMode: 1
; LDSByteSize: 0 bytes/workgroup (compile time only)
; SGPRBlocks: 0
; VGPRBlocks: 0
; NumSGPRsForWavesPerEU: 4
; NumVGPRsForWavesPerEU: 1
; Occupancy: 10
; WaveLimiterHint : 0
; COMPUTE_PGM_RSRC2:SCRATCH_EN: 0
; COMPUTE_PGM_RSRC2:USER_SGPR: 6
; COMPUTE_PGM_RSRC2:TRAP_HANDLER: 0
; COMPUTE_PGM_RSRC2:TGID_X_EN: 1
; COMPUTE_PGM_RSRC2:TGID_Y_EN: 0
; COMPUTE_PGM_RSRC2:TGID_Z_EN: 0
; COMPUTE_PGM_RSRC2:TIDIG_COMP_CNT: 0
	.section	.text._ZN7rocprim17ROCPRIM_400000_NS6detail17trampoline_kernelINS0_14default_configENS1_29reduce_by_key_config_selectorIN3c104HalfElN6thrust23THRUST_200600_302600_NS4plusIlEEEEZZNS1_33reduce_by_key_impl_wrapped_configILNS1_25lookback_scan_determinismE0ES3_SB_PS6_NS8_17constant_iteratorIiNS8_11use_defaultESG_EENS8_10device_ptrIS6_EENSI_IlEEPmSA_NS8_8equal_toIS6_EEEE10hipError_tPvRmT2_T3_mT4_T5_T6_T7_T8_P12ihipStream_tbENKUlT_T0_E_clISt17integral_constantIbLb0EES14_IbLb1EEEEDaS10_S11_EUlS10_E_NS1_11comp_targetILNS1_3genE4ELNS1_11target_archE910ELNS1_3gpuE8ELNS1_3repE0EEENS1_30default_config_static_selectorELNS0_4arch9wavefront6targetE1EEEvT1_,"axG",@progbits,_ZN7rocprim17ROCPRIM_400000_NS6detail17trampoline_kernelINS0_14default_configENS1_29reduce_by_key_config_selectorIN3c104HalfElN6thrust23THRUST_200600_302600_NS4plusIlEEEEZZNS1_33reduce_by_key_impl_wrapped_configILNS1_25lookback_scan_determinismE0ES3_SB_PS6_NS8_17constant_iteratorIiNS8_11use_defaultESG_EENS8_10device_ptrIS6_EENSI_IlEEPmSA_NS8_8equal_toIS6_EEEE10hipError_tPvRmT2_T3_mT4_T5_T6_T7_T8_P12ihipStream_tbENKUlT_T0_E_clISt17integral_constantIbLb0EES14_IbLb1EEEEDaS10_S11_EUlS10_E_NS1_11comp_targetILNS1_3genE4ELNS1_11target_archE910ELNS1_3gpuE8ELNS1_3repE0EEENS1_30default_config_static_selectorELNS0_4arch9wavefront6targetE1EEEvT1_,comdat
	.protected	_ZN7rocprim17ROCPRIM_400000_NS6detail17trampoline_kernelINS0_14default_configENS1_29reduce_by_key_config_selectorIN3c104HalfElN6thrust23THRUST_200600_302600_NS4plusIlEEEEZZNS1_33reduce_by_key_impl_wrapped_configILNS1_25lookback_scan_determinismE0ES3_SB_PS6_NS8_17constant_iteratorIiNS8_11use_defaultESG_EENS8_10device_ptrIS6_EENSI_IlEEPmSA_NS8_8equal_toIS6_EEEE10hipError_tPvRmT2_T3_mT4_T5_T6_T7_T8_P12ihipStream_tbENKUlT_T0_E_clISt17integral_constantIbLb0EES14_IbLb1EEEEDaS10_S11_EUlS10_E_NS1_11comp_targetILNS1_3genE4ELNS1_11target_archE910ELNS1_3gpuE8ELNS1_3repE0EEENS1_30default_config_static_selectorELNS0_4arch9wavefront6targetE1EEEvT1_ ; -- Begin function _ZN7rocprim17ROCPRIM_400000_NS6detail17trampoline_kernelINS0_14default_configENS1_29reduce_by_key_config_selectorIN3c104HalfElN6thrust23THRUST_200600_302600_NS4plusIlEEEEZZNS1_33reduce_by_key_impl_wrapped_configILNS1_25lookback_scan_determinismE0ES3_SB_PS6_NS8_17constant_iteratorIiNS8_11use_defaultESG_EENS8_10device_ptrIS6_EENSI_IlEEPmSA_NS8_8equal_toIS6_EEEE10hipError_tPvRmT2_T3_mT4_T5_T6_T7_T8_P12ihipStream_tbENKUlT_T0_E_clISt17integral_constantIbLb0EES14_IbLb1EEEEDaS10_S11_EUlS10_E_NS1_11comp_targetILNS1_3genE4ELNS1_11target_archE910ELNS1_3gpuE8ELNS1_3repE0EEENS1_30default_config_static_selectorELNS0_4arch9wavefront6targetE1EEEvT1_
	.globl	_ZN7rocprim17ROCPRIM_400000_NS6detail17trampoline_kernelINS0_14default_configENS1_29reduce_by_key_config_selectorIN3c104HalfElN6thrust23THRUST_200600_302600_NS4plusIlEEEEZZNS1_33reduce_by_key_impl_wrapped_configILNS1_25lookback_scan_determinismE0ES3_SB_PS6_NS8_17constant_iteratorIiNS8_11use_defaultESG_EENS8_10device_ptrIS6_EENSI_IlEEPmSA_NS8_8equal_toIS6_EEEE10hipError_tPvRmT2_T3_mT4_T5_T6_T7_T8_P12ihipStream_tbENKUlT_T0_E_clISt17integral_constantIbLb0EES14_IbLb1EEEEDaS10_S11_EUlS10_E_NS1_11comp_targetILNS1_3genE4ELNS1_11target_archE910ELNS1_3gpuE8ELNS1_3repE0EEENS1_30default_config_static_selectorELNS0_4arch9wavefront6targetE1EEEvT1_
	.p2align	8
	.type	_ZN7rocprim17ROCPRIM_400000_NS6detail17trampoline_kernelINS0_14default_configENS1_29reduce_by_key_config_selectorIN3c104HalfElN6thrust23THRUST_200600_302600_NS4plusIlEEEEZZNS1_33reduce_by_key_impl_wrapped_configILNS1_25lookback_scan_determinismE0ES3_SB_PS6_NS8_17constant_iteratorIiNS8_11use_defaultESG_EENS8_10device_ptrIS6_EENSI_IlEEPmSA_NS8_8equal_toIS6_EEEE10hipError_tPvRmT2_T3_mT4_T5_T6_T7_T8_P12ihipStream_tbENKUlT_T0_E_clISt17integral_constantIbLb0EES14_IbLb1EEEEDaS10_S11_EUlS10_E_NS1_11comp_targetILNS1_3genE4ELNS1_11target_archE910ELNS1_3gpuE8ELNS1_3repE0EEENS1_30default_config_static_selectorELNS0_4arch9wavefront6targetE1EEEvT1_,@function
_ZN7rocprim17ROCPRIM_400000_NS6detail17trampoline_kernelINS0_14default_configENS1_29reduce_by_key_config_selectorIN3c104HalfElN6thrust23THRUST_200600_302600_NS4plusIlEEEEZZNS1_33reduce_by_key_impl_wrapped_configILNS1_25lookback_scan_determinismE0ES3_SB_PS6_NS8_17constant_iteratorIiNS8_11use_defaultESG_EENS8_10device_ptrIS6_EENSI_IlEEPmSA_NS8_8equal_toIS6_EEEE10hipError_tPvRmT2_T3_mT4_T5_T6_T7_T8_P12ihipStream_tbENKUlT_T0_E_clISt17integral_constantIbLb0EES14_IbLb1EEEEDaS10_S11_EUlS10_E_NS1_11comp_targetILNS1_3genE4ELNS1_11target_archE910ELNS1_3gpuE8ELNS1_3repE0EEENS1_30default_config_static_selectorELNS0_4arch9wavefront6targetE1EEEvT1_: ; @_ZN7rocprim17ROCPRIM_400000_NS6detail17trampoline_kernelINS0_14default_configENS1_29reduce_by_key_config_selectorIN3c104HalfElN6thrust23THRUST_200600_302600_NS4plusIlEEEEZZNS1_33reduce_by_key_impl_wrapped_configILNS1_25lookback_scan_determinismE0ES3_SB_PS6_NS8_17constant_iteratorIiNS8_11use_defaultESG_EENS8_10device_ptrIS6_EENSI_IlEEPmSA_NS8_8equal_toIS6_EEEE10hipError_tPvRmT2_T3_mT4_T5_T6_T7_T8_P12ihipStream_tbENKUlT_T0_E_clISt17integral_constantIbLb0EES14_IbLb1EEEEDaS10_S11_EUlS10_E_NS1_11comp_targetILNS1_3genE4ELNS1_11target_archE910ELNS1_3gpuE8ELNS1_3repE0EEENS1_30default_config_static_selectorELNS0_4arch9wavefront6targetE1EEEvT1_
; %bb.0:
	.section	.rodata,"a",@progbits
	.p2align	6, 0x0
	.amdhsa_kernel _ZN7rocprim17ROCPRIM_400000_NS6detail17trampoline_kernelINS0_14default_configENS1_29reduce_by_key_config_selectorIN3c104HalfElN6thrust23THRUST_200600_302600_NS4plusIlEEEEZZNS1_33reduce_by_key_impl_wrapped_configILNS1_25lookback_scan_determinismE0ES3_SB_PS6_NS8_17constant_iteratorIiNS8_11use_defaultESG_EENS8_10device_ptrIS6_EENSI_IlEEPmSA_NS8_8equal_toIS6_EEEE10hipError_tPvRmT2_T3_mT4_T5_T6_T7_T8_P12ihipStream_tbENKUlT_T0_E_clISt17integral_constantIbLb0EES14_IbLb1EEEEDaS10_S11_EUlS10_E_NS1_11comp_targetILNS1_3genE4ELNS1_11target_archE910ELNS1_3gpuE8ELNS1_3repE0EEENS1_30default_config_static_selectorELNS0_4arch9wavefront6targetE1EEEvT1_
		.amdhsa_group_segment_fixed_size 0
		.amdhsa_private_segment_fixed_size 0
		.amdhsa_kernarg_size 144
		.amdhsa_user_sgpr_count 6
		.amdhsa_user_sgpr_private_segment_buffer 1
		.amdhsa_user_sgpr_dispatch_ptr 0
		.amdhsa_user_sgpr_queue_ptr 0
		.amdhsa_user_sgpr_kernarg_segment_ptr 1
		.amdhsa_user_sgpr_dispatch_id 0
		.amdhsa_user_sgpr_flat_scratch_init 0
		.amdhsa_user_sgpr_private_segment_size 0
		.amdhsa_uses_dynamic_stack 0
		.amdhsa_system_sgpr_private_segment_wavefront_offset 0
		.amdhsa_system_sgpr_workgroup_id_x 1
		.amdhsa_system_sgpr_workgroup_id_y 0
		.amdhsa_system_sgpr_workgroup_id_z 0
		.amdhsa_system_sgpr_workgroup_info 0
		.amdhsa_system_vgpr_workitem_id 0
		.amdhsa_next_free_vgpr 1
		.amdhsa_next_free_sgpr 0
		.amdhsa_reserve_vcc 0
		.amdhsa_reserve_flat_scratch 0
		.amdhsa_float_round_mode_32 0
		.amdhsa_float_round_mode_16_64 0
		.amdhsa_float_denorm_mode_32 3
		.amdhsa_float_denorm_mode_16_64 3
		.amdhsa_dx10_clamp 1
		.amdhsa_ieee_mode 1
		.amdhsa_fp16_overflow 0
		.amdhsa_exception_fp_ieee_invalid_op 0
		.amdhsa_exception_fp_denorm_src 0
		.amdhsa_exception_fp_ieee_div_zero 0
		.amdhsa_exception_fp_ieee_overflow 0
		.amdhsa_exception_fp_ieee_underflow 0
		.amdhsa_exception_fp_ieee_inexact 0
		.amdhsa_exception_int_div_zero 0
	.end_amdhsa_kernel
	.section	.text._ZN7rocprim17ROCPRIM_400000_NS6detail17trampoline_kernelINS0_14default_configENS1_29reduce_by_key_config_selectorIN3c104HalfElN6thrust23THRUST_200600_302600_NS4plusIlEEEEZZNS1_33reduce_by_key_impl_wrapped_configILNS1_25lookback_scan_determinismE0ES3_SB_PS6_NS8_17constant_iteratorIiNS8_11use_defaultESG_EENS8_10device_ptrIS6_EENSI_IlEEPmSA_NS8_8equal_toIS6_EEEE10hipError_tPvRmT2_T3_mT4_T5_T6_T7_T8_P12ihipStream_tbENKUlT_T0_E_clISt17integral_constantIbLb0EES14_IbLb1EEEEDaS10_S11_EUlS10_E_NS1_11comp_targetILNS1_3genE4ELNS1_11target_archE910ELNS1_3gpuE8ELNS1_3repE0EEENS1_30default_config_static_selectorELNS0_4arch9wavefront6targetE1EEEvT1_,"axG",@progbits,_ZN7rocprim17ROCPRIM_400000_NS6detail17trampoline_kernelINS0_14default_configENS1_29reduce_by_key_config_selectorIN3c104HalfElN6thrust23THRUST_200600_302600_NS4plusIlEEEEZZNS1_33reduce_by_key_impl_wrapped_configILNS1_25lookback_scan_determinismE0ES3_SB_PS6_NS8_17constant_iteratorIiNS8_11use_defaultESG_EENS8_10device_ptrIS6_EENSI_IlEEPmSA_NS8_8equal_toIS6_EEEE10hipError_tPvRmT2_T3_mT4_T5_T6_T7_T8_P12ihipStream_tbENKUlT_T0_E_clISt17integral_constantIbLb0EES14_IbLb1EEEEDaS10_S11_EUlS10_E_NS1_11comp_targetILNS1_3genE4ELNS1_11target_archE910ELNS1_3gpuE8ELNS1_3repE0EEENS1_30default_config_static_selectorELNS0_4arch9wavefront6targetE1EEEvT1_,comdat
.Lfunc_end2227:
	.size	_ZN7rocprim17ROCPRIM_400000_NS6detail17trampoline_kernelINS0_14default_configENS1_29reduce_by_key_config_selectorIN3c104HalfElN6thrust23THRUST_200600_302600_NS4plusIlEEEEZZNS1_33reduce_by_key_impl_wrapped_configILNS1_25lookback_scan_determinismE0ES3_SB_PS6_NS8_17constant_iteratorIiNS8_11use_defaultESG_EENS8_10device_ptrIS6_EENSI_IlEEPmSA_NS8_8equal_toIS6_EEEE10hipError_tPvRmT2_T3_mT4_T5_T6_T7_T8_P12ihipStream_tbENKUlT_T0_E_clISt17integral_constantIbLb0EES14_IbLb1EEEEDaS10_S11_EUlS10_E_NS1_11comp_targetILNS1_3genE4ELNS1_11target_archE910ELNS1_3gpuE8ELNS1_3repE0EEENS1_30default_config_static_selectorELNS0_4arch9wavefront6targetE1EEEvT1_, .Lfunc_end2227-_ZN7rocprim17ROCPRIM_400000_NS6detail17trampoline_kernelINS0_14default_configENS1_29reduce_by_key_config_selectorIN3c104HalfElN6thrust23THRUST_200600_302600_NS4plusIlEEEEZZNS1_33reduce_by_key_impl_wrapped_configILNS1_25lookback_scan_determinismE0ES3_SB_PS6_NS8_17constant_iteratorIiNS8_11use_defaultESG_EENS8_10device_ptrIS6_EENSI_IlEEPmSA_NS8_8equal_toIS6_EEEE10hipError_tPvRmT2_T3_mT4_T5_T6_T7_T8_P12ihipStream_tbENKUlT_T0_E_clISt17integral_constantIbLb0EES14_IbLb1EEEEDaS10_S11_EUlS10_E_NS1_11comp_targetILNS1_3genE4ELNS1_11target_archE910ELNS1_3gpuE8ELNS1_3repE0EEENS1_30default_config_static_selectorELNS0_4arch9wavefront6targetE1EEEvT1_
                                        ; -- End function
	.set _ZN7rocprim17ROCPRIM_400000_NS6detail17trampoline_kernelINS0_14default_configENS1_29reduce_by_key_config_selectorIN3c104HalfElN6thrust23THRUST_200600_302600_NS4plusIlEEEEZZNS1_33reduce_by_key_impl_wrapped_configILNS1_25lookback_scan_determinismE0ES3_SB_PS6_NS8_17constant_iteratorIiNS8_11use_defaultESG_EENS8_10device_ptrIS6_EENSI_IlEEPmSA_NS8_8equal_toIS6_EEEE10hipError_tPvRmT2_T3_mT4_T5_T6_T7_T8_P12ihipStream_tbENKUlT_T0_E_clISt17integral_constantIbLb0EES14_IbLb1EEEEDaS10_S11_EUlS10_E_NS1_11comp_targetILNS1_3genE4ELNS1_11target_archE910ELNS1_3gpuE8ELNS1_3repE0EEENS1_30default_config_static_selectorELNS0_4arch9wavefront6targetE1EEEvT1_.num_vgpr, 0
	.set _ZN7rocprim17ROCPRIM_400000_NS6detail17trampoline_kernelINS0_14default_configENS1_29reduce_by_key_config_selectorIN3c104HalfElN6thrust23THRUST_200600_302600_NS4plusIlEEEEZZNS1_33reduce_by_key_impl_wrapped_configILNS1_25lookback_scan_determinismE0ES3_SB_PS6_NS8_17constant_iteratorIiNS8_11use_defaultESG_EENS8_10device_ptrIS6_EENSI_IlEEPmSA_NS8_8equal_toIS6_EEEE10hipError_tPvRmT2_T3_mT4_T5_T6_T7_T8_P12ihipStream_tbENKUlT_T0_E_clISt17integral_constantIbLb0EES14_IbLb1EEEEDaS10_S11_EUlS10_E_NS1_11comp_targetILNS1_3genE4ELNS1_11target_archE910ELNS1_3gpuE8ELNS1_3repE0EEENS1_30default_config_static_selectorELNS0_4arch9wavefront6targetE1EEEvT1_.num_agpr, 0
	.set _ZN7rocprim17ROCPRIM_400000_NS6detail17trampoline_kernelINS0_14default_configENS1_29reduce_by_key_config_selectorIN3c104HalfElN6thrust23THRUST_200600_302600_NS4plusIlEEEEZZNS1_33reduce_by_key_impl_wrapped_configILNS1_25lookback_scan_determinismE0ES3_SB_PS6_NS8_17constant_iteratorIiNS8_11use_defaultESG_EENS8_10device_ptrIS6_EENSI_IlEEPmSA_NS8_8equal_toIS6_EEEE10hipError_tPvRmT2_T3_mT4_T5_T6_T7_T8_P12ihipStream_tbENKUlT_T0_E_clISt17integral_constantIbLb0EES14_IbLb1EEEEDaS10_S11_EUlS10_E_NS1_11comp_targetILNS1_3genE4ELNS1_11target_archE910ELNS1_3gpuE8ELNS1_3repE0EEENS1_30default_config_static_selectorELNS0_4arch9wavefront6targetE1EEEvT1_.numbered_sgpr, 0
	.set _ZN7rocprim17ROCPRIM_400000_NS6detail17trampoline_kernelINS0_14default_configENS1_29reduce_by_key_config_selectorIN3c104HalfElN6thrust23THRUST_200600_302600_NS4plusIlEEEEZZNS1_33reduce_by_key_impl_wrapped_configILNS1_25lookback_scan_determinismE0ES3_SB_PS6_NS8_17constant_iteratorIiNS8_11use_defaultESG_EENS8_10device_ptrIS6_EENSI_IlEEPmSA_NS8_8equal_toIS6_EEEE10hipError_tPvRmT2_T3_mT4_T5_T6_T7_T8_P12ihipStream_tbENKUlT_T0_E_clISt17integral_constantIbLb0EES14_IbLb1EEEEDaS10_S11_EUlS10_E_NS1_11comp_targetILNS1_3genE4ELNS1_11target_archE910ELNS1_3gpuE8ELNS1_3repE0EEENS1_30default_config_static_selectorELNS0_4arch9wavefront6targetE1EEEvT1_.num_named_barrier, 0
	.set _ZN7rocprim17ROCPRIM_400000_NS6detail17trampoline_kernelINS0_14default_configENS1_29reduce_by_key_config_selectorIN3c104HalfElN6thrust23THRUST_200600_302600_NS4plusIlEEEEZZNS1_33reduce_by_key_impl_wrapped_configILNS1_25lookback_scan_determinismE0ES3_SB_PS6_NS8_17constant_iteratorIiNS8_11use_defaultESG_EENS8_10device_ptrIS6_EENSI_IlEEPmSA_NS8_8equal_toIS6_EEEE10hipError_tPvRmT2_T3_mT4_T5_T6_T7_T8_P12ihipStream_tbENKUlT_T0_E_clISt17integral_constantIbLb0EES14_IbLb1EEEEDaS10_S11_EUlS10_E_NS1_11comp_targetILNS1_3genE4ELNS1_11target_archE910ELNS1_3gpuE8ELNS1_3repE0EEENS1_30default_config_static_selectorELNS0_4arch9wavefront6targetE1EEEvT1_.private_seg_size, 0
	.set _ZN7rocprim17ROCPRIM_400000_NS6detail17trampoline_kernelINS0_14default_configENS1_29reduce_by_key_config_selectorIN3c104HalfElN6thrust23THRUST_200600_302600_NS4plusIlEEEEZZNS1_33reduce_by_key_impl_wrapped_configILNS1_25lookback_scan_determinismE0ES3_SB_PS6_NS8_17constant_iteratorIiNS8_11use_defaultESG_EENS8_10device_ptrIS6_EENSI_IlEEPmSA_NS8_8equal_toIS6_EEEE10hipError_tPvRmT2_T3_mT4_T5_T6_T7_T8_P12ihipStream_tbENKUlT_T0_E_clISt17integral_constantIbLb0EES14_IbLb1EEEEDaS10_S11_EUlS10_E_NS1_11comp_targetILNS1_3genE4ELNS1_11target_archE910ELNS1_3gpuE8ELNS1_3repE0EEENS1_30default_config_static_selectorELNS0_4arch9wavefront6targetE1EEEvT1_.uses_vcc, 0
	.set _ZN7rocprim17ROCPRIM_400000_NS6detail17trampoline_kernelINS0_14default_configENS1_29reduce_by_key_config_selectorIN3c104HalfElN6thrust23THRUST_200600_302600_NS4plusIlEEEEZZNS1_33reduce_by_key_impl_wrapped_configILNS1_25lookback_scan_determinismE0ES3_SB_PS6_NS8_17constant_iteratorIiNS8_11use_defaultESG_EENS8_10device_ptrIS6_EENSI_IlEEPmSA_NS8_8equal_toIS6_EEEE10hipError_tPvRmT2_T3_mT4_T5_T6_T7_T8_P12ihipStream_tbENKUlT_T0_E_clISt17integral_constantIbLb0EES14_IbLb1EEEEDaS10_S11_EUlS10_E_NS1_11comp_targetILNS1_3genE4ELNS1_11target_archE910ELNS1_3gpuE8ELNS1_3repE0EEENS1_30default_config_static_selectorELNS0_4arch9wavefront6targetE1EEEvT1_.uses_flat_scratch, 0
	.set _ZN7rocprim17ROCPRIM_400000_NS6detail17trampoline_kernelINS0_14default_configENS1_29reduce_by_key_config_selectorIN3c104HalfElN6thrust23THRUST_200600_302600_NS4plusIlEEEEZZNS1_33reduce_by_key_impl_wrapped_configILNS1_25lookback_scan_determinismE0ES3_SB_PS6_NS8_17constant_iteratorIiNS8_11use_defaultESG_EENS8_10device_ptrIS6_EENSI_IlEEPmSA_NS8_8equal_toIS6_EEEE10hipError_tPvRmT2_T3_mT4_T5_T6_T7_T8_P12ihipStream_tbENKUlT_T0_E_clISt17integral_constantIbLb0EES14_IbLb1EEEEDaS10_S11_EUlS10_E_NS1_11comp_targetILNS1_3genE4ELNS1_11target_archE910ELNS1_3gpuE8ELNS1_3repE0EEENS1_30default_config_static_selectorELNS0_4arch9wavefront6targetE1EEEvT1_.has_dyn_sized_stack, 0
	.set _ZN7rocprim17ROCPRIM_400000_NS6detail17trampoline_kernelINS0_14default_configENS1_29reduce_by_key_config_selectorIN3c104HalfElN6thrust23THRUST_200600_302600_NS4plusIlEEEEZZNS1_33reduce_by_key_impl_wrapped_configILNS1_25lookback_scan_determinismE0ES3_SB_PS6_NS8_17constant_iteratorIiNS8_11use_defaultESG_EENS8_10device_ptrIS6_EENSI_IlEEPmSA_NS8_8equal_toIS6_EEEE10hipError_tPvRmT2_T3_mT4_T5_T6_T7_T8_P12ihipStream_tbENKUlT_T0_E_clISt17integral_constantIbLb0EES14_IbLb1EEEEDaS10_S11_EUlS10_E_NS1_11comp_targetILNS1_3genE4ELNS1_11target_archE910ELNS1_3gpuE8ELNS1_3repE0EEENS1_30default_config_static_selectorELNS0_4arch9wavefront6targetE1EEEvT1_.has_recursion, 0
	.set _ZN7rocprim17ROCPRIM_400000_NS6detail17trampoline_kernelINS0_14default_configENS1_29reduce_by_key_config_selectorIN3c104HalfElN6thrust23THRUST_200600_302600_NS4plusIlEEEEZZNS1_33reduce_by_key_impl_wrapped_configILNS1_25lookback_scan_determinismE0ES3_SB_PS6_NS8_17constant_iteratorIiNS8_11use_defaultESG_EENS8_10device_ptrIS6_EENSI_IlEEPmSA_NS8_8equal_toIS6_EEEE10hipError_tPvRmT2_T3_mT4_T5_T6_T7_T8_P12ihipStream_tbENKUlT_T0_E_clISt17integral_constantIbLb0EES14_IbLb1EEEEDaS10_S11_EUlS10_E_NS1_11comp_targetILNS1_3genE4ELNS1_11target_archE910ELNS1_3gpuE8ELNS1_3repE0EEENS1_30default_config_static_selectorELNS0_4arch9wavefront6targetE1EEEvT1_.has_indirect_call, 0
	.section	.AMDGPU.csdata,"",@progbits
; Kernel info:
; codeLenInByte = 0
; TotalNumSgprs: 4
; NumVgprs: 0
; ScratchSize: 0
; MemoryBound: 0
; FloatMode: 240
; IeeeMode: 1
; LDSByteSize: 0 bytes/workgroup (compile time only)
; SGPRBlocks: 0
; VGPRBlocks: 0
; NumSGPRsForWavesPerEU: 4
; NumVGPRsForWavesPerEU: 1
; Occupancy: 10
; WaveLimiterHint : 0
; COMPUTE_PGM_RSRC2:SCRATCH_EN: 0
; COMPUTE_PGM_RSRC2:USER_SGPR: 6
; COMPUTE_PGM_RSRC2:TRAP_HANDLER: 0
; COMPUTE_PGM_RSRC2:TGID_X_EN: 1
; COMPUTE_PGM_RSRC2:TGID_Y_EN: 0
; COMPUTE_PGM_RSRC2:TGID_Z_EN: 0
; COMPUTE_PGM_RSRC2:TIDIG_COMP_CNT: 0
	.section	.text._ZN7rocprim17ROCPRIM_400000_NS6detail17trampoline_kernelINS0_14default_configENS1_29reduce_by_key_config_selectorIN3c104HalfElN6thrust23THRUST_200600_302600_NS4plusIlEEEEZZNS1_33reduce_by_key_impl_wrapped_configILNS1_25lookback_scan_determinismE0ES3_SB_PS6_NS8_17constant_iteratorIiNS8_11use_defaultESG_EENS8_10device_ptrIS6_EENSI_IlEEPmSA_NS8_8equal_toIS6_EEEE10hipError_tPvRmT2_T3_mT4_T5_T6_T7_T8_P12ihipStream_tbENKUlT_T0_E_clISt17integral_constantIbLb0EES14_IbLb1EEEEDaS10_S11_EUlS10_E_NS1_11comp_targetILNS1_3genE3ELNS1_11target_archE908ELNS1_3gpuE7ELNS1_3repE0EEENS1_30default_config_static_selectorELNS0_4arch9wavefront6targetE1EEEvT1_,"axG",@progbits,_ZN7rocprim17ROCPRIM_400000_NS6detail17trampoline_kernelINS0_14default_configENS1_29reduce_by_key_config_selectorIN3c104HalfElN6thrust23THRUST_200600_302600_NS4plusIlEEEEZZNS1_33reduce_by_key_impl_wrapped_configILNS1_25lookback_scan_determinismE0ES3_SB_PS6_NS8_17constant_iteratorIiNS8_11use_defaultESG_EENS8_10device_ptrIS6_EENSI_IlEEPmSA_NS8_8equal_toIS6_EEEE10hipError_tPvRmT2_T3_mT4_T5_T6_T7_T8_P12ihipStream_tbENKUlT_T0_E_clISt17integral_constantIbLb0EES14_IbLb1EEEEDaS10_S11_EUlS10_E_NS1_11comp_targetILNS1_3genE3ELNS1_11target_archE908ELNS1_3gpuE7ELNS1_3repE0EEENS1_30default_config_static_selectorELNS0_4arch9wavefront6targetE1EEEvT1_,comdat
	.protected	_ZN7rocprim17ROCPRIM_400000_NS6detail17trampoline_kernelINS0_14default_configENS1_29reduce_by_key_config_selectorIN3c104HalfElN6thrust23THRUST_200600_302600_NS4plusIlEEEEZZNS1_33reduce_by_key_impl_wrapped_configILNS1_25lookback_scan_determinismE0ES3_SB_PS6_NS8_17constant_iteratorIiNS8_11use_defaultESG_EENS8_10device_ptrIS6_EENSI_IlEEPmSA_NS8_8equal_toIS6_EEEE10hipError_tPvRmT2_T3_mT4_T5_T6_T7_T8_P12ihipStream_tbENKUlT_T0_E_clISt17integral_constantIbLb0EES14_IbLb1EEEEDaS10_S11_EUlS10_E_NS1_11comp_targetILNS1_3genE3ELNS1_11target_archE908ELNS1_3gpuE7ELNS1_3repE0EEENS1_30default_config_static_selectorELNS0_4arch9wavefront6targetE1EEEvT1_ ; -- Begin function _ZN7rocprim17ROCPRIM_400000_NS6detail17trampoline_kernelINS0_14default_configENS1_29reduce_by_key_config_selectorIN3c104HalfElN6thrust23THRUST_200600_302600_NS4plusIlEEEEZZNS1_33reduce_by_key_impl_wrapped_configILNS1_25lookback_scan_determinismE0ES3_SB_PS6_NS8_17constant_iteratorIiNS8_11use_defaultESG_EENS8_10device_ptrIS6_EENSI_IlEEPmSA_NS8_8equal_toIS6_EEEE10hipError_tPvRmT2_T3_mT4_T5_T6_T7_T8_P12ihipStream_tbENKUlT_T0_E_clISt17integral_constantIbLb0EES14_IbLb1EEEEDaS10_S11_EUlS10_E_NS1_11comp_targetILNS1_3genE3ELNS1_11target_archE908ELNS1_3gpuE7ELNS1_3repE0EEENS1_30default_config_static_selectorELNS0_4arch9wavefront6targetE1EEEvT1_
	.globl	_ZN7rocprim17ROCPRIM_400000_NS6detail17trampoline_kernelINS0_14default_configENS1_29reduce_by_key_config_selectorIN3c104HalfElN6thrust23THRUST_200600_302600_NS4plusIlEEEEZZNS1_33reduce_by_key_impl_wrapped_configILNS1_25lookback_scan_determinismE0ES3_SB_PS6_NS8_17constant_iteratorIiNS8_11use_defaultESG_EENS8_10device_ptrIS6_EENSI_IlEEPmSA_NS8_8equal_toIS6_EEEE10hipError_tPvRmT2_T3_mT4_T5_T6_T7_T8_P12ihipStream_tbENKUlT_T0_E_clISt17integral_constantIbLb0EES14_IbLb1EEEEDaS10_S11_EUlS10_E_NS1_11comp_targetILNS1_3genE3ELNS1_11target_archE908ELNS1_3gpuE7ELNS1_3repE0EEENS1_30default_config_static_selectorELNS0_4arch9wavefront6targetE1EEEvT1_
	.p2align	8
	.type	_ZN7rocprim17ROCPRIM_400000_NS6detail17trampoline_kernelINS0_14default_configENS1_29reduce_by_key_config_selectorIN3c104HalfElN6thrust23THRUST_200600_302600_NS4plusIlEEEEZZNS1_33reduce_by_key_impl_wrapped_configILNS1_25lookback_scan_determinismE0ES3_SB_PS6_NS8_17constant_iteratorIiNS8_11use_defaultESG_EENS8_10device_ptrIS6_EENSI_IlEEPmSA_NS8_8equal_toIS6_EEEE10hipError_tPvRmT2_T3_mT4_T5_T6_T7_T8_P12ihipStream_tbENKUlT_T0_E_clISt17integral_constantIbLb0EES14_IbLb1EEEEDaS10_S11_EUlS10_E_NS1_11comp_targetILNS1_3genE3ELNS1_11target_archE908ELNS1_3gpuE7ELNS1_3repE0EEENS1_30default_config_static_selectorELNS0_4arch9wavefront6targetE1EEEvT1_,@function
_ZN7rocprim17ROCPRIM_400000_NS6detail17trampoline_kernelINS0_14default_configENS1_29reduce_by_key_config_selectorIN3c104HalfElN6thrust23THRUST_200600_302600_NS4plusIlEEEEZZNS1_33reduce_by_key_impl_wrapped_configILNS1_25lookback_scan_determinismE0ES3_SB_PS6_NS8_17constant_iteratorIiNS8_11use_defaultESG_EENS8_10device_ptrIS6_EENSI_IlEEPmSA_NS8_8equal_toIS6_EEEE10hipError_tPvRmT2_T3_mT4_T5_T6_T7_T8_P12ihipStream_tbENKUlT_T0_E_clISt17integral_constantIbLb0EES14_IbLb1EEEEDaS10_S11_EUlS10_E_NS1_11comp_targetILNS1_3genE3ELNS1_11target_archE908ELNS1_3gpuE7ELNS1_3repE0EEENS1_30default_config_static_selectorELNS0_4arch9wavefront6targetE1EEEvT1_: ; @_ZN7rocprim17ROCPRIM_400000_NS6detail17trampoline_kernelINS0_14default_configENS1_29reduce_by_key_config_selectorIN3c104HalfElN6thrust23THRUST_200600_302600_NS4plusIlEEEEZZNS1_33reduce_by_key_impl_wrapped_configILNS1_25lookback_scan_determinismE0ES3_SB_PS6_NS8_17constant_iteratorIiNS8_11use_defaultESG_EENS8_10device_ptrIS6_EENSI_IlEEPmSA_NS8_8equal_toIS6_EEEE10hipError_tPvRmT2_T3_mT4_T5_T6_T7_T8_P12ihipStream_tbENKUlT_T0_E_clISt17integral_constantIbLb0EES14_IbLb1EEEEDaS10_S11_EUlS10_E_NS1_11comp_targetILNS1_3genE3ELNS1_11target_archE908ELNS1_3gpuE7ELNS1_3repE0EEENS1_30default_config_static_selectorELNS0_4arch9wavefront6targetE1EEEvT1_
; %bb.0:
	.section	.rodata,"a",@progbits
	.p2align	6, 0x0
	.amdhsa_kernel _ZN7rocprim17ROCPRIM_400000_NS6detail17trampoline_kernelINS0_14default_configENS1_29reduce_by_key_config_selectorIN3c104HalfElN6thrust23THRUST_200600_302600_NS4plusIlEEEEZZNS1_33reduce_by_key_impl_wrapped_configILNS1_25lookback_scan_determinismE0ES3_SB_PS6_NS8_17constant_iteratorIiNS8_11use_defaultESG_EENS8_10device_ptrIS6_EENSI_IlEEPmSA_NS8_8equal_toIS6_EEEE10hipError_tPvRmT2_T3_mT4_T5_T6_T7_T8_P12ihipStream_tbENKUlT_T0_E_clISt17integral_constantIbLb0EES14_IbLb1EEEEDaS10_S11_EUlS10_E_NS1_11comp_targetILNS1_3genE3ELNS1_11target_archE908ELNS1_3gpuE7ELNS1_3repE0EEENS1_30default_config_static_selectorELNS0_4arch9wavefront6targetE1EEEvT1_
		.amdhsa_group_segment_fixed_size 0
		.amdhsa_private_segment_fixed_size 0
		.amdhsa_kernarg_size 144
		.amdhsa_user_sgpr_count 6
		.amdhsa_user_sgpr_private_segment_buffer 1
		.amdhsa_user_sgpr_dispatch_ptr 0
		.amdhsa_user_sgpr_queue_ptr 0
		.amdhsa_user_sgpr_kernarg_segment_ptr 1
		.amdhsa_user_sgpr_dispatch_id 0
		.amdhsa_user_sgpr_flat_scratch_init 0
		.amdhsa_user_sgpr_private_segment_size 0
		.amdhsa_uses_dynamic_stack 0
		.amdhsa_system_sgpr_private_segment_wavefront_offset 0
		.amdhsa_system_sgpr_workgroup_id_x 1
		.amdhsa_system_sgpr_workgroup_id_y 0
		.amdhsa_system_sgpr_workgroup_id_z 0
		.amdhsa_system_sgpr_workgroup_info 0
		.amdhsa_system_vgpr_workitem_id 0
		.amdhsa_next_free_vgpr 1
		.amdhsa_next_free_sgpr 0
		.amdhsa_reserve_vcc 0
		.amdhsa_reserve_flat_scratch 0
		.amdhsa_float_round_mode_32 0
		.amdhsa_float_round_mode_16_64 0
		.amdhsa_float_denorm_mode_32 3
		.amdhsa_float_denorm_mode_16_64 3
		.amdhsa_dx10_clamp 1
		.amdhsa_ieee_mode 1
		.amdhsa_fp16_overflow 0
		.amdhsa_exception_fp_ieee_invalid_op 0
		.amdhsa_exception_fp_denorm_src 0
		.amdhsa_exception_fp_ieee_div_zero 0
		.amdhsa_exception_fp_ieee_overflow 0
		.amdhsa_exception_fp_ieee_underflow 0
		.amdhsa_exception_fp_ieee_inexact 0
		.amdhsa_exception_int_div_zero 0
	.end_amdhsa_kernel
	.section	.text._ZN7rocprim17ROCPRIM_400000_NS6detail17trampoline_kernelINS0_14default_configENS1_29reduce_by_key_config_selectorIN3c104HalfElN6thrust23THRUST_200600_302600_NS4plusIlEEEEZZNS1_33reduce_by_key_impl_wrapped_configILNS1_25lookback_scan_determinismE0ES3_SB_PS6_NS8_17constant_iteratorIiNS8_11use_defaultESG_EENS8_10device_ptrIS6_EENSI_IlEEPmSA_NS8_8equal_toIS6_EEEE10hipError_tPvRmT2_T3_mT4_T5_T6_T7_T8_P12ihipStream_tbENKUlT_T0_E_clISt17integral_constantIbLb0EES14_IbLb1EEEEDaS10_S11_EUlS10_E_NS1_11comp_targetILNS1_3genE3ELNS1_11target_archE908ELNS1_3gpuE7ELNS1_3repE0EEENS1_30default_config_static_selectorELNS0_4arch9wavefront6targetE1EEEvT1_,"axG",@progbits,_ZN7rocprim17ROCPRIM_400000_NS6detail17trampoline_kernelINS0_14default_configENS1_29reduce_by_key_config_selectorIN3c104HalfElN6thrust23THRUST_200600_302600_NS4plusIlEEEEZZNS1_33reduce_by_key_impl_wrapped_configILNS1_25lookback_scan_determinismE0ES3_SB_PS6_NS8_17constant_iteratorIiNS8_11use_defaultESG_EENS8_10device_ptrIS6_EENSI_IlEEPmSA_NS8_8equal_toIS6_EEEE10hipError_tPvRmT2_T3_mT4_T5_T6_T7_T8_P12ihipStream_tbENKUlT_T0_E_clISt17integral_constantIbLb0EES14_IbLb1EEEEDaS10_S11_EUlS10_E_NS1_11comp_targetILNS1_3genE3ELNS1_11target_archE908ELNS1_3gpuE7ELNS1_3repE0EEENS1_30default_config_static_selectorELNS0_4arch9wavefront6targetE1EEEvT1_,comdat
.Lfunc_end2228:
	.size	_ZN7rocprim17ROCPRIM_400000_NS6detail17trampoline_kernelINS0_14default_configENS1_29reduce_by_key_config_selectorIN3c104HalfElN6thrust23THRUST_200600_302600_NS4plusIlEEEEZZNS1_33reduce_by_key_impl_wrapped_configILNS1_25lookback_scan_determinismE0ES3_SB_PS6_NS8_17constant_iteratorIiNS8_11use_defaultESG_EENS8_10device_ptrIS6_EENSI_IlEEPmSA_NS8_8equal_toIS6_EEEE10hipError_tPvRmT2_T3_mT4_T5_T6_T7_T8_P12ihipStream_tbENKUlT_T0_E_clISt17integral_constantIbLb0EES14_IbLb1EEEEDaS10_S11_EUlS10_E_NS1_11comp_targetILNS1_3genE3ELNS1_11target_archE908ELNS1_3gpuE7ELNS1_3repE0EEENS1_30default_config_static_selectorELNS0_4arch9wavefront6targetE1EEEvT1_, .Lfunc_end2228-_ZN7rocprim17ROCPRIM_400000_NS6detail17trampoline_kernelINS0_14default_configENS1_29reduce_by_key_config_selectorIN3c104HalfElN6thrust23THRUST_200600_302600_NS4plusIlEEEEZZNS1_33reduce_by_key_impl_wrapped_configILNS1_25lookback_scan_determinismE0ES3_SB_PS6_NS8_17constant_iteratorIiNS8_11use_defaultESG_EENS8_10device_ptrIS6_EENSI_IlEEPmSA_NS8_8equal_toIS6_EEEE10hipError_tPvRmT2_T3_mT4_T5_T6_T7_T8_P12ihipStream_tbENKUlT_T0_E_clISt17integral_constantIbLb0EES14_IbLb1EEEEDaS10_S11_EUlS10_E_NS1_11comp_targetILNS1_3genE3ELNS1_11target_archE908ELNS1_3gpuE7ELNS1_3repE0EEENS1_30default_config_static_selectorELNS0_4arch9wavefront6targetE1EEEvT1_
                                        ; -- End function
	.set _ZN7rocprim17ROCPRIM_400000_NS6detail17trampoline_kernelINS0_14default_configENS1_29reduce_by_key_config_selectorIN3c104HalfElN6thrust23THRUST_200600_302600_NS4plusIlEEEEZZNS1_33reduce_by_key_impl_wrapped_configILNS1_25lookback_scan_determinismE0ES3_SB_PS6_NS8_17constant_iteratorIiNS8_11use_defaultESG_EENS8_10device_ptrIS6_EENSI_IlEEPmSA_NS8_8equal_toIS6_EEEE10hipError_tPvRmT2_T3_mT4_T5_T6_T7_T8_P12ihipStream_tbENKUlT_T0_E_clISt17integral_constantIbLb0EES14_IbLb1EEEEDaS10_S11_EUlS10_E_NS1_11comp_targetILNS1_3genE3ELNS1_11target_archE908ELNS1_3gpuE7ELNS1_3repE0EEENS1_30default_config_static_selectorELNS0_4arch9wavefront6targetE1EEEvT1_.num_vgpr, 0
	.set _ZN7rocprim17ROCPRIM_400000_NS6detail17trampoline_kernelINS0_14default_configENS1_29reduce_by_key_config_selectorIN3c104HalfElN6thrust23THRUST_200600_302600_NS4plusIlEEEEZZNS1_33reduce_by_key_impl_wrapped_configILNS1_25lookback_scan_determinismE0ES3_SB_PS6_NS8_17constant_iteratorIiNS8_11use_defaultESG_EENS8_10device_ptrIS6_EENSI_IlEEPmSA_NS8_8equal_toIS6_EEEE10hipError_tPvRmT2_T3_mT4_T5_T6_T7_T8_P12ihipStream_tbENKUlT_T0_E_clISt17integral_constantIbLb0EES14_IbLb1EEEEDaS10_S11_EUlS10_E_NS1_11comp_targetILNS1_3genE3ELNS1_11target_archE908ELNS1_3gpuE7ELNS1_3repE0EEENS1_30default_config_static_selectorELNS0_4arch9wavefront6targetE1EEEvT1_.num_agpr, 0
	.set _ZN7rocprim17ROCPRIM_400000_NS6detail17trampoline_kernelINS0_14default_configENS1_29reduce_by_key_config_selectorIN3c104HalfElN6thrust23THRUST_200600_302600_NS4plusIlEEEEZZNS1_33reduce_by_key_impl_wrapped_configILNS1_25lookback_scan_determinismE0ES3_SB_PS6_NS8_17constant_iteratorIiNS8_11use_defaultESG_EENS8_10device_ptrIS6_EENSI_IlEEPmSA_NS8_8equal_toIS6_EEEE10hipError_tPvRmT2_T3_mT4_T5_T6_T7_T8_P12ihipStream_tbENKUlT_T0_E_clISt17integral_constantIbLb0EES14_IbLb1EEEEDaS10_S11_EUlS10_E_NS1_11comp_targetILNS1_3genE3ELNS1_11target_archE908ELNS1_3gpuE7ELNS1_3repE0EEENS1_30default_config_static_selectorELNS0_4arch9wavefront6targetE1EEEvT1_.numbered_sgpr, 0
	.set _ZN7rocprim17ROCPRIM_400000_NS6detail17trampoline_kernelINS0_14default_configENS1_29reduce_by_key_config_selectorIN3c104HalfElN6thrust23THRUST_200600_302600_NS4plusIlEEEEZZNS1_33reduce_by_key_impl_wrapped_configILNS1_25lookback_scan_determinismE0ES3_SB_PS6_NS8_17constant_iteratorIiNS8_11use_defaultESG_EENS8_10device_ptrIS6_EENSI_IlEEPmSA_NS8_8equal_toIS6_EEEE10hipError_tPvRmT2_T3_mT4_T5_T6_T7_T8_P12ihipStream_tbENKUlT_T0_E_clISt17integral_constantIbLb0EES14_IbLb1EEEEDaS10_S11_EUlS10_E_NS1_11comp_targetILNS1_3genE3ELNS1_11target_archE908ELNS1_3gpuE7ELNS1_3repE0EEENS1_30default_config_static_selectorELNS0_4arch9wavefront6targetE1EEEvT1_.num_named_barrier, 0
	.set _ZN7rocprim17ROCPRIM_400000_NS6detail17trampoline_kernelINS0_14default_configENS1_29reduce_by_key_config_selectorIN3c104HalfElN6thrust23THRUST_200600_302600_NS4plusIlEEEEZZNS1_33reduce_by_key_impl_wrapped_configILNS1_25lookback_scan_determinismE0ES3_SB_PS6_NS8_17constant_iteratorIiNS8_11use_defaultESG_EENS8_10device_ptrIS6_EENSI_IlEEPmSA_NS8_8equal_toIS6_EEEE10hipError_tPvRmT2_T3_mT4_T5_T6_T7_T8_P12ihipStream_tbENKUlT_T0_E_clISt17integral_constantIbLb0EES14_IbLb1EEEEDaS10_S11_EUlS10_E_NS1_11comp_targetILNS1_3genE3ELNS1_11target_archE908ELNS1_3gpuE7ELNS1_3repE0EEENS1_30default_config_static_selectorELNS0_4arch9wavefront6targetE1EEEvT1_.private_seg_size, 0
	.set _ZN7rocprim17ROCPRIM_400000_NS6detail17trampoline_kernelINS0_14default_configENS1_29reduce_by_key_config_selectorIN3c104HalfElN6thrust23THRUST_200600_302600_NS4plusIlEEEEZZNS1_33reduce_by_key_impl_wrapped_configILNS1_25lookback_scan_determinismE0ES3_SB_PS6_NS8_17constant_iteratorIiNS8_11use_defaultESG_EENS8_10device_ptrIS6_EENSI_IlEEPmSA_NS8_8equal_toIS6_EEEE10hipError_tPvRmT2_T3_mT4_T5_T6_T7_T8_P12ihipStream_tbENKUlT_T0_E_clISt17integral_constantIbLb0EES14_IbLb1EEEEDaS10_S11_EUlS10_E_NS1_11comp_targetILNS1_3genE3ELNS1_11target_archE908ELNS1_3gpuE7ELNS1_3repE0EEENS1_30default_config_static_selectorELNS0_4arch9wavefront6targetE1EEEvT1_.uses_vcc, 0
	.set _ZN7rocprim17ROCPRIM_400000_NS6detail17trampoline_kernelINS0_14default_configENS1_29reduce_by_key_config_selectorIN3c104HalfElN6thrust23THRUST_200600_302600_NS4plusIlEEEEZZNS1_33reduce_by_key_impl_wrapped_configILNS1_25lookback_scan_determinismE0ES3_SB_PS6_NS8_17constant_iteratorIiNS8_11use_defaultESG_EENS8_10device_ptrIS6_EENSI_IlEEPmSA_NS8_8equal_toIS6_EEEE10hipError_tPvRmT2_T3_mT4_T5_T6_T7_T8_P12ihipStream_tbENKUlT_T0_E_clISt17integral_constantIbLb0EES14_IbLb1EEEEDaS10_S11_EUlS10_E_NS1_11comp_targetILNS1_3genE3ELNS1_11target_archE908ELNS1_3gpuE7ELNS1_3repE0EEENS1_30default_config_static_selectorELNS0_4arch9wavefront6targetE1EEEvT1_.uses_flat_scratch, 0
	.set _ZN7rocprim17ROCPRIM_400000_NS6detail17trampoline_kernelINS0_14default_configENS1_29reduce_by_key_config_selectorIN3c104HalfElN6thrust23THRUST_200600_302600_NS4plusIlEEEEZZNS1_33reduce_by_key_impl_wrapped_configILNS1_25lookback_scan_determinismE0ES3_SB_PS6_NS8_17constant_iteratorIiNS8_11use_defaultESG_EENS8_10device_ptrIS6_EENSI_IlEEPmSA_NS8_8equal_toIS6_EEEE10hipError_tPvRmT2_T3_mT4_T5_T6_T7_T8_P12ihipStream_tbENKUlT_T0_E_clISt17integral_constantIbLb0EES14_IbLb1EEEEDaS10_S11_EUlS10_E_NS1_11comp_targetILNS1_3genE3ELNS1_11target_archE908ELNS1_3gpuE7ELNS1_3repE0EEENS1_30default_config_static_selectorELNS0_4arch9wavefront6targetE1EEEvT1_.has_dyn_sized_stack, 0
	.set _ZN7rocprim17ROCPRIM_400000_NS6detail17trampoline_kernelINS0_14default_configENS1_29reduce_by_key_config_selectorIN3c104HalfElN6thrust23THRUST_200600_302600_NS4plusIlEEEEZZNS1_33reduce_by_key_impl_wrapped_configILNS1_25lookback_scan_determinismE0ES3_SB_PS6_NS8_17constant_iteratorIiNS8_11use_defaultESG_EENS8_10device_ptrIS6_EENSI_IlEEPmSA_NS8_8equal_toIS6_EEEE10hipError_tPvRmT2_T3_mT4_T5_T6_T7_T8_P12ihipStream_tbENKUlT_T0_E_clISt17integral_constantIbLb0EES14_IbLb1EEEEDaS10_S11_EUlS10_E_NS1_11comp_targetILNS1_3genE3ELNS1_11target_archE908ELNS1_3gpuE7ELNS1_3repE0EEENS1_30default_config_static_selectorELNS0_4arch9wavefront6targetE1EEEvT1_.has_recursion, 0
	.set _ZN7rocprim17ROCPRIM_400000_NS6detail17trampoline_kernelINS0_14default_configENS1_29reduce_by_key_config_selectorIN3c104HalfElN6thrust23THRUST_200600_302600_NS4plusIlEEEEZZNS1_33reduce_by_key_impl_wrapped_configILNS1_25lookback_scan_determinismE0ES3_SB_PS6_NS8_17constant_iteratorIiNS8_11use_defaultESG_EENS8_10device_ptrIS6_EENSI_IlEEPmSA_NS8_8equal_toIS6_EEEE10hipError_tPvRmT2_T3_mT4_T5_T6_T7_T8_P12ihipStream_tbENKUlT_T0_E_clISt17integral_constantIbLb0EES14_IbLb1EEEEDaS10_S11_EUlS10_E_NS1_11comp_targetILNS1_3genE3ELNS1_11target_archE908ELNS1_3gpuE7ELNS1_3repE0EEENS1_30default_config_static_selectorELNS0_4arch9wavefront6targetE1EEEvT1_.has_indirect_call, 0
	.section	.AMDGPU.csdata,"",@progbits
; Kernel info:
; codeLenInByte = 0
; TotalNumSgprs: 4
; NumVgprs: 0
; ScratchSize: 0
; MemoryBound: 0
; FloatMode: 240
; IeeeMode: 1
; LDSByteSize: 0 bytes/workgroup (compile time only)
; SGPRBlocks: 0
; VGPRBlocks: 0
; NumSGPRsForWavesPerEU: 4
; NumVGPRsForWavesPerEU: 1
; Occupancy: 10
; WaveLimiterHint : 0
; COMPUTE_PGM_RSRC2:SCRATCH_EN: 0
; COMPUTE_PGM_RSRC2:USER_SGPR: 6
; COMPUTE_PGM_RSRC2:TRAP_HANDLER: 0
; COMPUTE_PGM_RSRC2:TGID_X_EN: 1
; COMPUTE_PGM_RSRC2:TGID_Y_EN: 0
; COMPUTE_PGM_RSRC2:TGID_Z_EN: 0
; COMPUTE_PGM_RSRC2:TIDIG_COMP_CNT: 0
	.section	.text._ZN7rocprim17ROCPRIM_400000_NS6detail17trampoline_kernelINS0_14default_configENS1_29reduce_by_key_config_selectorIN3c104HalfElN6thrust23THRUST_200600_302600_NS4plusIlEEEEZZNS1_33reduce_by_key_impl_wrapped_configILNS1_25lookback_scan_determinismE0ES3_SB_PS6_NS8_17constant_iteratorIiNS8_11use_defaultESG_EENS8_10device_ptrIS6_EENSI_IlEEPmSA_NS8_8equal_toIS6_EEEE10hipError_tPvRmT2_T3_mT4_T5_T6_T7_T8_P12ihipStream_tbENKUlT_T0_E_clISt17integral_constantIbLb0EES14_IbLb1EEEEDaS10_S11_EUlS10_E_NS1_11comp_targetILNS1_3genE2ELNS1_11target_archE906ELNS1_3gpuE6ELNS1_3repE0EEENS1_30default_config_static_selectorELNS0_4arch9wavefront6targetE1EEEvT1_,"axG",@progbits,_ZN7rocprim17ROCPRIM_400000_NS6detail17trampoline_kernelINS0_14default_configENS1_29reduce_by_key_config_selectorIN3c104HalfElN6thrust23THRUST_200600_302600_NS4plusIlEEEEZZNS1_33reduce_by_key_impl_wrapped_configILNS1_25lookback_scan_determinismE0ES3_SB_PS6_NS8_17constant_iteratorIiNS8_11use_defaultESG_EENS8_10device_ptrIS6_EENSI_IlEEPmSA_NS8_8equal_toIS6_EEEE10hipError_tPvRmT2_T3_mT4_T5_T6_T7_T8_P12ihipStream_tbENKUlT_T0_E_clISt17integral_constantIbLb0EES14_IbLb1EEEEDaS10_S11_EUlS10_E_NS1_11comp_targetILNS1_3genE2ELNS1_11target_archE906ELNS1_3gpuE6ELNS1_3repE0EEENS1_30default_config_static_selectorELNS0_4arch9wavefront6targetE1EEEvT1_,comdat
	.protected	_ZN7rocprim17ROCPRIM_400000_NS6detail17trampoline_kernelINS0_14default_configENS1_29reduce_by_key_config_selectorIN3c104HalfElN6thrust23THRUST_200600_302600_NS4plusIlEEEEZZNS1_33reduce_by_key_impl_wrapped_configILNS1_25lookback_scan_determinismE0ES3_SB_PS6_NS8_17constant_iteratorIiNS8_11use_defaultESG_EENS8_10device_ptrIS6_EENSI_IlEEPmSA_NS8_8equal_toIS6_EEEE10hipError_tPvRmT2_T3_mT4_T5_T6_T7_T8_P12ihipStream_tbENKUlT_T0_E_clISt17integral_constantIbLb0EES14_IbLb1EEEEDaS10_S11_EUlS10_E_NS1_11comp_targetILNS1_3genE2ELNS1_11target_archE906ELNS1_3gpuE6ELNS1_3repE0EEENS1_30default_config_static_selectorELNS0_4arch9wavefront6targetE1EEEvT1_ ; -- Begin function _ZN7rocprim17ROCPRIM_400000_NS6detail17trampoline_kernelINS0_14default_configENS1_29reduce_by_key_config_selectorIN3c104HalfElN6thrust23THRUST_200600_302600_NS4plusIlEEEEZZNS1_33reduce_by_key_impl_wrapped_configILNS1_25lookback_scan_determinismE0ES3_SB_PS6_NS8_17constant_iteratorIiNS8_11use_defaultESG_EENS8_10device_ptrIS6_EENSI_IlEEPmSA_NS8_8equal_toIS6_EEEE10hipError_tPvRmT2_T3_mT4_T5_T6_T7_T8_P12ihipStream_tbENKUlT_T0_E_clISt17integral_constantIbLb0EES14_IbLb1EEEEDaS10_S11_EUlS10_E_NS1_11comp_targetILNS1_3genE2ELNS1_11target_archE906ELNS1_3gpuE6ELNS1_3repE0EEENS1_30default_config_static_selectorELNS0_4arch9wavefront6targetE1EEEvT1_
	.globl	_ZN7rocprim17ROCPRIM_400000_NS6detail17trampoline_kernelINS0_14default_configENS1_29reduce_by_key_config_selectorIN3c104HalfElN6thrust23THRUST_200600_302600_NS4plusIlEEEEZZNS1_33reduce_by_key_impl_wrapped_configILNS1_25lookback_scan_determinismE0ES3_SB_PS6_NS8_17constant_iteratorIiNS8_11use_defaultESG_EENS8_10device_ptrIS6_EENSI_IlEEPmSA_NS8_8equal_toIS6_EEEE10hipError_tPvRmT2_T3_mT4_T5_T6_T7_T8_P12ihipStream_tbENKUlT_T0_E_clISt17integral_constantIbLb0EES14_IbLb1EEEEDaS10_S11_EUlS10_E_NS1_11comp_targetILNS1_3genE2ELNS1_11target_archE906ELNS1_3gpuE6ELNS1_3repE0EEENS1_30default_config_static_selectorELNS0_4arch9wavefront6targetE1EEEvT1_
	.p2align	8
	.type	_ZN7rocprim17ROCPRIM_400000_NS6detail17trampoline_kernelINS0_14default_configENS1_29reduce_by_key_config_selectorIN3c104HalfElN6thrust23THRUST_200600_302600_NS4plusIlEEEEZZNS1_33reduce_by_key_impl_wrapped_configILNS1_25lookback_scan_determinismE0ES3_SB_PS6_NS8_17constant_iteratorIiNS8_11use_defaultESG_EENS8_10device_ptrIS6_EENSI_IlEEPmSA_NS8_8equal_toIS6_EEEE10hipError_tPvRmT2_T3_mT4_T5_T6_T7_T8_P12ihipStream_tbENKUlT_T0_E_clISt17integral_constantIbLb0EES14_IbLb1EEEEDaS10_S11_EUlS10_E_NS1_11comp_targetILNS1_3genE2ELNS1_11target_archE906ELNS1_3gpuE6ELNS1_3repE0EEENS1_30default_config_static_selectorELNS0_4arch9wavefront6targetE1EEEvT1_,@function
_ZN7rocprim17ROCPRIM_400000_NS6detail17trampoline_kernelINS0_14default_configENS1_29reduce_by_key_config_selectorIN3c104HalfElN6thrust23THRUST_200600_302600_NS4plusIlEEEEZZNS1_33reduce_by_key_impl_wrapped_configILNS1_25lookback_scan_determinismE0ES3_SB_PS6_NS8_17constant_iteratorIiNS8_11use_defaultESG_EENS8_10device_ptrIS6_EENSI_IlEEPmSA_NS8_8equal_toIS6_EEEE10hipError_tPvRmT2_T3_mT4_T5_T6_T7_T8_P12ihipStream_tbENKUlT_T0_E_clISt17integral_constantIbLb0EES14_IbLb1EEEEDaS10_S11_EUlS10_E_NS1_11comp_targetILNS1_3genE2ELNS1_11target_archE906ELNS1_3gpuE6ELNS1_3repE0EEENS1_30default_config_static_selectorELNS0_4arch9wavefront6targetE1EEEvT1_: ; @_ZN7rocprim17ROCPRIM_400000_NS6detail17trampoline_kernelINS0_14default_configENS1_29reduce_by_key_config_selectorIN3c104HalfElN6thrust23THRUST_200600_302600_NS4plusIlEEEEZZNS1_33reduce_by_key_impl_wrapped_configILNS1_25lookback_scan_determinismE0ES3_SB_PS6_NS8_17constant_iteratorIiNS8_11use_defaultESG_EENS8_10device_ptrIS6_EENSI_IlEEPmSA_NS8_8equal_toIS6_EEEE10hipError_tPvRmT2_T3_mT4_T5_T6_T7_T8_P12ihipStream_tbENKUlT_T0_E_clISt17integral_constantIbLb0EES14_IbLb1EEEEDaS10_S11_EUlS10_E_NS1_11comp_targetILNS1_3genE2ELNS1_11target_archE906ELNS1_3gpuE6ELNS1_3repE0EEENS1_30default_config_static_selectorELNS0_4arch9wavefront6targetE1EEEvT1_
; %bb.0:
	s_load_dwordx4 s[56:59], s[4:5], 0x20
	s_load_dwordx2 s[60:61], s[4:5], 0x30
	s_load_dwordx2 s[36:37], s[4:5], 0x80
	s_add_u32 s0, s0, s7
	s_addc_u32 s1, s1, 0
	v_cmp_ne_u32_e64 s[6:7], 0, v0
	v_cmp_eq_u32_e64 s[38:39], 0, v0
	s_and_saveexec_b64 s[8:9], s[38:39]
	s_cbranch_execz .LBB2229_4
; %bb.1:
	s_mov_b64 s[12:13], exec
	v_mbcnt_lo_u32_b32 v1, s12, 0
	v_mbcnt_hi_u32_b32 v1, s13, v1
	v_cmp_eq_u32_e32 vcc, 0, v1
                                        ; implicit-def: $vgpr2
	s_and_saveexec_b64 s[10:11], vcc
	s_cbranch_execz .LBB2229_3
; %bb.2:
	s_load_dwordx2 s[14:15], s[4:5], 0x88
	s_bcnt1_i32_b64 s12, s[12:13]
	v_mov_b32_e32 v2, 0
	v_mov_b32_e32 v3, s12
	s_waitcnt lgkmcnt(0)
	global_atomic_add v2, v2, v3, s[14:15] glc
.LBB2229_3:
	s_or_b64 exec, exec, s[10:11]
	s_waitcnt vmcnt(0)
	v_readfirstlane_b32 s10, v2
	v_add_u32_e32 v1, s10, v1
	v_mov_b32_e32 v2, 0
	ds_write_b32 v2, v1
.LBB2229_4:
	s_or_b64 exec, exec, s[8:9]
	s_load_dwordx4 s[8:11], s[4:5], 0x0
	s_load_dword s12, s[4:5], 0x18
	s_load_dwordx16 s[40:55], s[4:5], 0x40
	v_mov_b32_e32 v2, 0
	s_waitcnt lgkmcnt(0)
	s_barrier
	ds_read_b32 v1, v2
	s_mul_i32 s4, s48, s47
	s_mul_hi_u32 s5, s48, s46
	s_add_i32 s4, s5, s4
	s_mul_i32 s5, s49, s46
	s_add_i32 s13, s4, s5
	s_lshl_b64 s[4:5], s[10:11], 1
	s_add_u32 s4, s8, s4
	s_movk_i32 s8, 0xf00
	s_waitcnt lgkmcnt(0)
	v_readfirstlane_b32 s64, v1
	v_mul_lo_u32 v1, v1, s8
	s_mul_i32 s14, s48, s46
	s_addc_u32 s5, s9, s5
	v_mov_b32_e32 v3, s5
	v_lshlrev_b64 v[1:2], 1, v[1:2]
	s_mov_b64 s[10:11], -1
	v_add_co_u32_e32 v36, vcc, s4, v1
	s_add_u32 s4, s14, s64
	s_addc_u32 s5, s13, 0
	s_add_u32 s14, s50, -1
	s_addc_u32 s15, s51, -1
	s_cmp_eq_u64 s[4:5], s[14:15]
	v_addc_co_u32_e32 v37, vcc, v3, v2, vcc
	s_cselect_b64 s[48:49], -1, 0
	s_cmp_lg_u64 s[4:5], s[14:15]
	s_cselect_b64 s[8:9], -1, 0
	s_mul_i32 s33, s14, 0xfffff100
	s_and_b64 vcc, exec, s[48:49]
	s_barrier
	s_cbranch_vccnz .LBB2229_6
; %bb.5:
	v_lshlrev_b32_e32 v4, 1, v0
	v_add_co_u32_e32 v1, vcc, v36, v4
	v_addc_co_u32_e32 v2, vcc, 0, v37, vcc
	v_add_co_u32_e32 v1, vcc, 0x1000, v1
	v_readfirstlane_b32 s10, v36
	v_readfirstlane_b32 s11, v37
	v_addc_co_u32_e32 v2, vcc, 0, v2, vcc
	s_nop 3
	global_load_ushort v5, v4, s[10:11]
	global_load_ushort v6, v4, s[10:11] offset:512
	global_load_ushort v7, v4, s[10:11] offset:1024
	global_load_ushort v8, v4, s[10:11] offset:1536
	global_load_ushort v9, v4, s[10:11] offset:2048
	global_load_ushort v10, v4, s[10:11] offset:2560
	global_load_ushort v11, v4, s[10:11] offset:3072
	global_load_ushort v12, v4, s[10:11] offset:3584
	global_load_ushort v13, v[1:2], off
	global_load_ushort v14, v[1:2], off offset:512
	global_load_ushort v15, v[1:2], off offset:1024
	global_load_ushort v16, v[1:2], off offset:1536
	global_load_ushort v17, v[1:2], off offset:2048
	global_load_ushort v18, v[1:2], off offset:2560
	global_load_ushort v19, v[1:2], off offset:3072
	v_mad_u32_u24 v20, v0, 28, v4
	s_ashr_i32 s13, s12, 31
	s_movk_i32 s10, 0xffea
	v_mov_b32_e32 v2, s12
	v_mul_u32_u24_e32 v1, 15, v0
	v_mov_b32_e32 v3, s13
	v_mad_i32_i24 v21, v0, s10, v20
	s_waitcnt vmcnt(14)
	ds_write_b16 v4, v5
	s_waitcnt vmcnt(13)
	ds_write_b16 v4, v6 offset:512
	s_waitcnt vmcnt(12)
	ds_write_b16 v4, v7 offset:1024
	;; [unrolled: 2-line block ×14, first 2 shown]
	s_waitcnt lgkmcnt(0)
	s_barrier
	ds_read_u16 v77, v20
	ds_read_b128 v[5:8], v20 offset:2
	ds_read_b96 v[33:35], v20 offset:18
	s_waitcnt lgkmcnt(0)
	s_barrier
	ds_write2st64_b64 v21, v[2:3], v[2:3] offset1:4
	ds_write2st64_b64 v21, v[2:3], v[2:3] offset0:8 offset1:12
	ds_write2st64_b64 v21, v[2:3], v[2:3] offset0:16 offset1:20
	;; [unrolled: 1-line block ×6, first 2 shown]
	ds_write_b64 v21, v[2:3] offset:28672
	s_waitcnt lgkmcnt(0)
	s_barrier
	s_add_i32 s33, s33, s52
	s_cbranch_execz .LBB2229_7
	s_branch .LBB2229_38
.LBB2229_6:
                                        ; implicit-def: $vgpr5
                                        ; implicit-def: $vgpr33
                                        ; implicit-def: $vgpr77
                                        ; implicit-def: $vgpr1
	s_andn2_b64 vcc, exec, s[10:11]
	s_add_i32 s33, s33, s52
	s_cbranch_vccnz .LBB2229_38
.LBB2229_7:
	v_cmp_gt_u32_e32 vcc, s33, v0
                                        ; implicit-def: $vgpr1
	s_and_saveexec_b64 s[10:11], vcc
	s_cbranch_execz .LBB2229_9
; %bb.8:
	v_lshlrev_b32_e32 v1, 1, v0
	v_readfirstlane_b32 s14, v36
	v_readfirstlane_b32 s15, v37
	s_nop 4
	global_load_ushort v1, v1, s[14:15]
.LBB2229_9:
	s_or_b64 exec, exec, s[10:11]
	v_or_b32_e32 v2, 0x100, v0
	v_cmp_gt_u32_e32 vcc, s33, v2
                                        ; implicit-def: $vgpr2
	s_and_saveexec_b64 s[10:11], vcc
	s_cbranch_execz .LBB2229_11
; %bb.10:
	v_lshlrev_b32_e32 v2, 1, v0
	v_readfirstlane_b32 s14, v36
	v_readfirstlane_b32 s15, v37
	s_nop 4
	global_load_ushort v2, v2, s[14:15] offset:512
.LBB2229_11:
	s_or_b64 exec, exec, s[10:11]
	v_or_b32_e32 v3, 0x200, v0
	v_cmp_gt_u32_e32 vcc, s33, v3
                                        ; implicit-def: $vgpr3
	s_and_saveexec_b64 s[10:11], vcc
	s_cbranch_execz .LBB2229_13
; %bb.12:
	v_lshlrev_b32_e32 v3, 1, v0
	v_readfirstlane_b32 s14, v36
	v_readfirstlane_b32 s15, v37
	s_nop 4
	global_load_ushort v3, v3, s[14:15] offset:1024
.LBB2229_13:
	s_or_b64 exec, exec, s[10:11]
	v_or_b32_e32 v4, 0x300, v0
	v_cmp_gt_u32_e32 vcc, s33, v4
                                        ; implicit-def: $vgpr4
	s_and_saveexec_b64 s[10:11], vcc
	s_cbranch_execz .LBB2229_15
; %bb.14:
	v_lshlrev_b32_e32 v4, 1, v0
	v_readfirstlane_b32 s14, v36
	v_readfirstlane_b32 s15, v37
	s_nop 4
	global_load_ushort v4, v4, s[14:15] offset:1536
.LBB2229_15:
	s_or_b64 exec, exec, s[10:11]
	v_or_b32_e32 v5, 0x400, v0
	v_cmp_gt_u32_e32 vcc, s33, v5
                                        ; implicit-def: $vgpr5
	s_and_saveexec_b64 s[10:11], vcc
	s_cbranch_execz .LBB2229_17
; %bb.16:
	v_lshlrev_b32_e32 v5, 1, v0
	v_readfirstlane_b32 s14, v36
	v_readfirstlane_b32 s15, v37
	s_nop 4
	global_load_ushort v5, v5, s[14:15] offset:2048
.LBB2229_17:
	s_or_b64 exec, exec, s[10:11]
	v_or_b32_e32 v6, 0x500, v0
	v_cmp_gt_u32_e32 vcc, s33, v6
                                        ; implicit-def: $vgpr6
	s_and_saveexec_b64 s[10:11], vcc
	s_cbranch_execz .LBB2229_19
; %bb.18:
	v_lshlrev_b32_e32 v6, 1, v0
	v_readfirstlane_b32 s14, v36
	v_readfirstlane_b32 s15, v37
	s_nop 4
	global_load_ushort v6, v6, s[14:15] offset:2560
.LBB2229_19:
	s_or_b64 exec, exec, s[10:11]
	v_or_b32_e32 v7, 0x600, v0
	v_cmp_gt_u32_e32 vcc, s33, v7
                                        ; implicit-def: $vgpr7
	s_and_saveexec_b64 s[10:11], vcc
	s_cbranch_execz .LBB2229_21
; %bb.20:
	v_lshlrev_b32_e32 v7, 1, v0
	v_readfirstlane_b32 s14, v36
	v_readfirstlane_b32 s15, v37
	s_nop 4
	global_load_ushort v7, v7, s[14:15] offset:3072
.LBB2229_21:
	s_or_b64 exec, exec, s[10:11]
	v_or_b32_e32 v8, 0x700, v0
	v_cmp_gt_u32_e32 vcc, s33, v8
                                        ; implicit-def: $vgpr8
	s_and_saveexec_b64 s[10:11], vcc
	s_cbranch_execz .LBB2229_23
; %bb.22:
	v_lshlrev_b32_e32 v8, 1, v0
	v_readfirstlane_b32 s14, v36
	v_readfirstlane_b32 s15, v37
	s_nop 4
	global_load_ushort v8, v8, s[14:15] offset:3584
.LBB2229_23:
	s_or_b64 exec, exec, s[10:11]
	v_or_b32_e32 v10, 0x800, v0
	v_cmp_gt_u32_e32 vcc, s33, v10
                                        ; implicit-def: $vgpr9
	s_and_saveexec_b64 s[10:11], vcc
	s_cbranch_execz .LBB2229_25
; %bb.24:
	v_lshlrev_b32_e32 v9, 1, v10
	v_readfirstlane_b32 s14, v36
	v_readfirstlane_b32 s15, v37
	s_nop 4
	global_load_ushort v9, v9, s[14:15]
.LBB2229_25:
	s_or_b64 exec, exec, s[10:11]
	v_or_b32_e32 v11, 0x900, v0
	v_cmp_gt_u32_e32 vcc, s33, v11
                                        ; implicit-def: $vgpr10
	s_and_saveexec_b64 s[10:11], vcc
	s_cbranch_execz .LBB2229_27
; %bb.26:
	v_lshlrev_b32_e32 v10, 1, v11
	v_readfirstlane_b32 s14, v36
	v_readfirstlane_b32 s15, v37
	s_nop 4
	global_load_ushort v10, v10, s[14:15]
.LBB2229_27:
	s_or_b64 exec, exec, s[10:11]
	v_or_b32_e32 v12, 0xa00, v0
	v_cmp_gt_u32_e32 vcc, s33, v12
                                        ; implicit-def: $vgpr11
	s_and_saveexec_b64 s[10:11], vcc
	s_cbranch_execz .LBB2229_29
; %bb.28:
	v_lshlrev_b32_e32 v11, 1, v12
	v_readfirstlane_b32 s14, v36
	v_readfirstlane_b32 s15, v37
	s_nop 4
	global_load_ushort v11, v11, s[14:15]
.LBB2229_29:
	s_or_b64 exec, exec, s[10:11]
	v_or_b32_e32 v13, 0xb00, v0
	v_cmp_gt_u32_e32 vcc, s33, v13
                                        ; implicit-def: $vgpr12
	s_and_saveexec_b64 s[10:11], vcc
	s_cbranch_execz .LBB2229_31
; %bb.30:
	v_lshlrev_b32_e32 v12, 1, v13
	v_readfirstlane_b32 s14, v36
	v_readfirstlane_b32 s15, v37
	s_nop 4
	global_load_ushort v12, v12, s[14:15]
.LBB2229_31:
	s_or_b64 exec, exec, s[10:11]
	v_or_b32_e32 v14, 0xc00, v0
	v_cmp_gt_u32_e32 vcc, s33, v14
                                        ; implicit-def: $vgpr13
	s_and_saveexec_b64 s[10:11], vcc
	s_cbranch_execz .LBB2229_33
; %bb.32:
	v_lshlrev_b32_e32 v13, 1, v14
	v_readfirstlane_b32 s14, v36
	v_readfirstlane_b32 s15, v37
	s_nop 4
	global_load_ushort v13, v13, s[14:15]
.LBB2229_33:
	s_or_b64 exec, exec, s[10:11]
	v_or_b32_e32 v15, 0xd00, v0
	v_cmp_gt_u32_e32 vcc, s33, v15
                                        ; implicit-def: $vgpr14
	s_and_saveexec_b64 s[10:11], vcc
	s_cbranch_execz .LBB2229_35
; %bb.34:
	v_lshlrev_b32_e32 v14, 1, v15
	v_readfirstlane_b32 s14, v36
	v_readfirstlane_b32 s15, v37
	s_nop 4
	global_load_ushort v14, v14, s[14:15]
.LBB2229_35:
	s_or_b64 exec, exec, s[10:11]
	v_or_b32_e32 v16, 0xe00, v0
	v_cmp_gt_u32_e32 vcc, s33, v16
                                        ; implicit-def: $vgpr15
	s_and_saveexec_b64 s[10:11], vcc
	s_cbranch_execz .LBB2229_37
; %bb.36:
	v_lshlrev_b32_e32 v15, 1, v16
	v_readfirstlane_b32 s14, v36
	v_readfirstlane_b32 s15, v37
	s_nop 4
	global_load_ushort v15, v15, s[14:15]
.LBB2229_37:
	s_or_b64 exec, exec, s[10:11]
	v_lshlrev_b32_e32 v16, 1, v0
	s_waitcnt vmcnt(0)
	ds_write_b16 v16, v1
	ds_write_b16 v16, v2 offset:512
	ds_write_b16 v16, v3 offset:1024
	;; [unrolled: 1-line block ×14, first 2 shown]
	v_mad_u32_u24 v2, v0, 28, v16
	s_waitcnt lgkmcnt(0)
	s_barrier
	ds_read_u16 v77, v2
	ds_read_b128 v[5:8], v2 offset:2
	ds_read_b96 v[33:35], v2 offset:18
	s_movk_i32 s10, 0xffea
	s_ashr_i32 s13, s12, 31
	v_mad_i32_i24 v4, v0, s10, v2
	v_mov_b32_e32 v2, s12
	v_mul_u32_u24_e32 v1, 15, v0
	v_mov_b32_e32 v3, s13
	s_waitcnt lgkmcnt(0)
	s_barrier
	ds_write2st64_b64 v4, v[2:3], v[2:3] offset1:4
	ds_write2st64_b64 v4, v[2:3], v[2:3] offset0:8 offset1:12
	ds_write2st64_b64 v4, v[2:3], v[2:3] offset0:16 offset1:20
	;; [unrolled: 1-line block ×6, first 2 shown]
	ds_write_b64 v4, v[2:3] offset:28672
	s_waitcnt lgkmcnt(0)
	s_barrier
.LBB2229_38:
	v_lshlrev_b32_e32 v29, 3, v1
	ds_read_b64 v[70:71], v29 offset:112
	ds_read2_b64 v[1:4], v29 offset0:12 offset1:13
	ds_read2_b64 v[9:12], v29 offset0:10 offset1:11
	;; [unrolled: 1-line block ×6, first 2 shown]
	ds_read2_b64 v[29:32], v29 offset1:1
	s_cmp_eq_u64 s[4:5], 0
	s_cselect_b64 s[50:51], -1, 0
	s_cmp_lg_u64 s[4:5], 0
	s_mov_b64 s[62:63], 0
	s_cselect_b64 s[10:11], -1, 0
	v_lshrrev_b32_e32 v81, 16, v5
	v_lshrrev_b32_e32 v80, 16, v6
	;; [unrolled: 1-line block ×7, first 2 shown]
	s_and_b64 vcc, exec, s[8:9]
	s_waitcnt lgkmcnt(0)
	s_barrier
	s_cbranch_vccz .LBB2229_43
; %bb.39:
	s_and_b64 vcc, exec, s[10:11]
	s_cbranch_vccz .LBB2229_44
; %bb.40:
	global_load_ushort v38, v[36:37], off offset:-2
	v_cmp_neq_f16_e32 vcc, v35, v74
	v_cndmask_b32_e64 v40, 0, 1, vcc
	v_cmp_neq_f16_e32 vcc, v75, v35
	buffer_store_dword v40, off, s[0:3], 0 offset:56
	v_cndmask_b32_e64 v40, 0, 1, vcc
	v_cmp_neq_f16_e32 vcc, v34, v75
	buffer_store_dword v40, off, s[0:3], 0 offset:52
	;; [unrolled: 3-line block ×12, first 2 shown]
	v_cndmask_b32_e64 v40, 0, 1, vcc
	v_cmp_neq_f16_e32 vcc, v77, v5
	v_lshlrev_b32_e32 v39, 1, v0
	buffer_store_dword v40, off, s[0:3], 0 offset:8
	v_cndmask_b32_e64 v40, 0, 1, vcc
	ds_write_b16 v39, v74
	buffer_store_dword v40, off, s[0:3], 0 offset:4
	s_waitcnt vmcnt(0) lgkmcnt(0)
	s_barrier
	s_and_saveexec_b64 s[8:9], s[6:7]
; %bb.41:
	v_add_u32_e32 v38, -2, v39
	ds_read_u16 v38, v38
; %bb.42:
	s_or_b64 exec, exec, s[8:9]
	s_waitcnt lgkmcnt(0)
	v_cmp_neq_f16_e64 s[8:9], v77, v38
	s_mov_b64 s[62:63], -1
	s_branch .LBB2229_48
.LBB2229_43:
                                        ; implicit-def: $sgpr8_sgpr9
	s_cbranch_execnz .LBB2229_49
	s_branch .LBB2229_57
.LBB2229_44:
                                        ; implicit-def: $sgpr8_sgpr9
	s_cbranch_execz .LBB2229_48
; %bb.45:
	v_cmp_neq_f16_e32 vcc, v35, v74
	v_cndmask_b32_e64 v40, 0, 1, vcc
	v_cmp_neq_f16_e32 vcc, v75, v35
	buffer_store_dword v40, off, s[0:3], 0 offset:56
	v_cndmask_b32_e64 v40, 0, 1, vcc
	v_cmp_neq_f16_e32 vcc, v34, v75
	buffer_store_dword v40, off, s[0:3], 0 offset:52
	;; [unrolled: 3-line block ×12, first 2 shown]
	v_cndmask_b32_e64 v40, 0, 1, vcc
	v_cmp_neq_f16_e32 vcc, v77, v5
	v_mov_b32_e32 v39, 1
	v_lshlrev_b32_e32 v38, 1, v0
	buffer_store_dword v40, off, s[0:3], 0 offset:8
	v_cndmask_b32_e64 v40, 0, 1, vcc
	ds_write_b16 v38, v74
	buffer_store_dword v40, off, s[0:3], 0 offset:4
	s_waitcnt vmcnt(0) lgkmcnt(0)
	s_barrier
	buffer_store_dword v39, off, s[0:3], 0
                                        ; implicit-def: $sgpr8_sgpr9
	s_and_saveexec_b64 s[12:13], s[6:7]
	s_xor_b64 s[12:13], exec, s[12:13]
	s_cbranch_execz .LBB2229_47
; %bb.46:
	v_add_u32_e32 v38, -2, v38
	ds_read_u16 v38, v38
	s_or_b64 s[62:63], s[62:63], exec
	s_waitcnt lgkmcnt(0)
	v_cmp_neq_f16_e64 s[8:9], v38, v77
.LBB2229_47:
	s_or_b64 exec, exec, s[12:13]
.LBB2229_48:
	s_branch .LBB2229_57
.LBB2229_49:
	s_mul_hi_u32 s8, s4, 0xfffff100
	s_mulk_i32 s5, 0xf100
	s_sub_i32 s8, s8, s4
	s_add_i32 s8, s8, s5
	s_mulk_i32 s4, 0xf100
	s_add_u32 s52, s4, s52
	s_addc_u32 s53, s8, s53
	s_and_b64 vcc, exec, s[10:11]
	v_cmp_neq_f16_e64 s[4:5], v35, v74
	v_cmp_neq_f16_e64 s[34:35], v75, v35
	;; [unrolled: 1-line block ×14, first 2 shown]
	v_mad_u32_u24 v38, v0, 15, 14
	v_mad_u32_u24 v64, v0, 15, 13
	v_mad_u32_u24 v62, v0, 15, 12
	v_mad_u32_u24 v60, v0, 15, 11
	v_mad_u32_u24 v58, v0, 15, 10
	v_mad_u32_u24 v56, v0, 15, 9
	v_mad_u32_u24 v54, v0, 15, 8
	v_mad_u32_u24 v52, v0, 15, 7
	v_mad_u32_u24 v50, v0, 15, 6
	v_mad_u32_u24 v48, v0, 15, 5
	v_mad_u32_u24 v46, v0, 15, 4
	v_mad_u32_u24 v44, v0, 15, 3
	v_mad_u32_u24 v42, v0, 15, 2
	v_mad_u32_u24 v40, v0, 15, 1
	s_cbranch_vccz .LBB2229_53
; %bb.50:
	global_load_ushort v66, v[36:37], off offset:-2
	v_mov_b32_e32 v39, 0
	v_cmp_gt_u64_e32 vcc, s[52:53], v[38:39]
	v_mov_b32_e32 v65, v39
	s_and_b64 s[4:5], vcc, s[4:5]
	v_cmp_gt_u64_e32 vcc, s[52:53], v[64:65]
	v_mov_b32_e32 v63, v39
	v_cndmask_b32_e64 v41, 0, 1, s[4:5]
	s_and_b64 s[4:5], vcc, s[34:35]
	v_cmp_gt_u64_e32 vcc, s[52:53], v[62:63]
	v_mov_b32_e32 v61, v39
	buffer_store_dword v41, off, s[0:3], 0 offset:56
	v_cndmask_b32_e64 v41, 0, 1, s[4:5]
	s_and_b64 s[4:5], vcc, s[30:31]
	v_cmp_gt_u64_e32 vcc, s[52:53], v[60:61]
	v_mov_b32_e32 v59, v39
	buffer_store_dword v41, off, s[0:3], 0 offset:52
	;; [unrolled: 5-line block ×9, first 2 shown]
	v_cndmask_b32_e64 v41, 0, 1, s[4:5]
	s_and_b64 s[4:5], vcc, s[14:15]
	v_cmp_gt_u64_e32 vcc, s[52:53], v[44:45]
	buffer_store_dword v41, off, s[0:3], 0 offset:20
	v_cndmask_b32_e64 v41, 0, 1, s[4:5]
	s_and_b64 s[4:5], vcc, s[12:13]
	v_mov_b32_e32 v43, v39
	buffer_store_dword v41, off, s[0:3], 0 offset:16
	v_cndmask_b32_e64 v41, 0, 1, s[4:5]
	v_cmp_gt_u64_e32 vcc, s[52:53], v[42:43]
	buffer_store_dword v41, off, s[0:3], 0 offset:12
	v_mov_b32_e32 v41, v39
	s_and_b64 s[4:5], vcc, s[10:11]
	v_cmp_gt_u64_e32 vcc, s[52:53], v[40:41]
	v_cndmask_b32_e64 v43, 0, 1, s[4:5]
	s_and_b64 s[4:5], vcc, s[8:9]
	v_lshlrev_b32_e32 v37, 1, v0
	v_mul_u32_u24_e32 v36, 15, v0
	v_cndmask_b32_e64 v41, 0, 1, s[4:5]
	ds_write_b16 v37, v74
	buffer_store_dword v43, off, s[0:3], 0 offset:8
	buffer_store_dword v41, off, s[0:3], 0 offset:4
	s_waitcnt vmcnt(0) lgkmcnt(0)
	s_barrier
	s_and_saveexec_b64 s[4:5], s[6:7]
; %bb.51:
	v_add_u32_e32 v37, -2, v37
	ds_read_u16 v66, v37
; %bb.52:
	s_or_b64 exec, exec, s[4:5]
	v_mov_b32_e32 v37, v39
	v_cmp_gt_u64_e32 vcc, s[52:53], v[36:37]
	s_waitcnt lgkmcnt(0)
	v_cmp_neq_f16_e64 s[4:5], v77, v66
	s_and_b64 s[8:9], vcc, s[4:5]
	s_mov_b64 s[62:63], -1
	s_branch .LBB2229_57
.LBB2229_53:
                                        ; implicit-def: $sgpr8_sgpr9
	s_cbranch_execz .LBB2229_57
; %bb.54:
	v_mov_b32_e32 v39, 0
	v_cmp_gt_u64_e32 vcc, s[52:53], v[38:39]
	v_cmp_neq_f16_e64 s[4:5], v35, v74
	v_mov_b32_e32 v65, v39
	s_and_b64 s[4:5], vcc, s[4:5]
	v_cmp_gt_u64_e32 vcc, s[52:53], v[64:65]
	v_cndmask_b32_e64 v38, 0, 1, s[4:5]
	v_cmp_neq_f16_e64 s[4:5], v75, v35
	v_mov_b32_e32 v63, v39
	s_and_b64 s[4:5], vcc, s[4:5]
	v_cmp_gt_u64_e32 vcc, s[52:53], v[62:63]
	buffer_store_dword v38, off, s[0:3], 0 offset:56
	v_cndmask_b32_e64 v38, 0, 1, s[4:5]
	v_cmp_neq_f16_e64 s[4:5], v34, v75
	v_mov_b32_e32 v61, v39
	s_and_b64 s[4:5], vcc, s[4:5]
	v_cmp_gt_u64_e32 vcc, s[52:53], v[60:61]
	buffer_store_dword v38, off, s[0:3], 0 offset:52
	;; [unrolled: 6-line block ×12, first 2 shown]
	v_cndmask_b32_e64 v38, 0, 1, s[4:5]
	v_cmp_neq_f16_e64 s[4:5], v77, v5
	s_and_b64 s[4:5], vcc, s[4:5]
	v_mov_b32_e32 v37, 1
	v_lshlrev_b32_e32 v36, 1, v0
	buffer_store_dword v38, off, s[0:3], 0 offset:8
	v_cndmask_b32_e64 v38, 0, 1, s[4:5]
	ds_write_b16 v36, v74
	buffer_store_dword v38, off, s[0:3], 0 offset:4
	s_waitcnt vmcnt(0) lgkmcnt(0)
	s_barrier
	buffer_store_dword v37, off, s[0:3], 0
                                        ; implicit-def: $sgpr8_sgpr9
	s_and_saveexec_b64 s[10:11], s[6:7]
	s_cbranch_execz .LBB2229_56
; %bb.55:
	v_add_u32_e32 v36, -2, v36
	ds_read_u16 v36, v36
	v_mul_u32_u24_e32 v38, 15, v0
	v_cmp_gt_u64_e32 vcc, s[52:53], v[38:39]
	s_or_b64 s[62:63], s[62:63], exec
	s_waitcnt lgkmcnt(0)
	v_cmp_neq_f16_e64 s[4:5], v36, v77
	s_and_b64 s[8:9], vcc, s[4:5]
.LBB2229_56:
	s_or_b64 exec, exec, s[10:11]
.LBB2229_57:
	v_mov_b32_e32 v82, 1
	s_and_saveexec_b64 s[4:5], s[62:63]
	s_cbranch_execz .LBB2229_59
; %bb.58:
	v_cndmask_b32_e64 v82, 0, 1, s[8:9]
	buffer_store_dword v82, off, s[0:3], 0
.LBB2229_59:
	s_or_b64 exec, exec, s[4:5]
	buffer_load_dword v95, off, s[0:3], 0 offset:4
	buffer_load_dword v94, off, s[0:3], 0 offset:8
	;; [unrolled: 1-line block ×14, first 2 shown]
	s_cmp_eq_u64 s[46:47], 0
	s_cselect_b64 s[46:47], -1, 0
	s_cmp_lg_u32 s64, 0
	v_mbcnt_lo_u32_b32 v97, -1, 0
	s_waitcnt vmcnt(13)
	v_cmp_eq_u32_e64 s[30:31], 0, v95
	s_waitcnt vmcnt(12)
	v_add3_u32 v36, v95, v82, v94
	v_cmp_eq_u32_e64 s[28:29], 0, v94
	s_waitcnt vmcnt(11)
	v_cmp_eq_u32_e64 s[26:27], 0, v93
	s_waitcnt vmcnt(10)
	;; [unrolled: 2-line block ×12, first 2 shown]
	v_cmp_eq_u32_e32 vcc, 0, v96
	v_add3_u32 v98, v36, v93, v83
	s_cbranch_scc0 .LBB2229_121
; %bb.60:
	v_cndmask_b32_e64 v37, 0, v29, s[30:31]
	v_cndmask_b32_e64 v36, 0, v30, s[30:31]
	v_add_co_u32_e64 v37, s[4:5], v37, v31
	v_addc_co_u32_e64 v36, s[4:5], v36, v32, s[4:5]
	v_cndmask_b32_e64 v37, 0, v37, s[28:29]
	v_cndmask_b32_e64 v36, 0, v36, s[28:29]
	v_add_co_u32_e64 v37, s[4:5], v37, v25
	v_addc_co_u32_e64 v36, s[4:5], v36, v26, s[4:5]
	v_cndmask_b32_e64 v37, 0, v37, s[26:27]
	v_cndmask_b32_e64 v36, 0, v36, s[26:27]
	v_add_co_u32_e64 v37, s[4:5], v37, v27
	v_addc_co_u32_e64 v36, s[4:5], v36, v28, s[4:5]
	v_cndmask_b32_e64 v37, 0, v37, s[24:25]
	v_cndmask_b32_e64 v36, 0, v36, s[24:25]
	v_add_co_u32_e64 v37, s[4:5], v37, v21
	v_addc_co_u32_e64 v36, s[4:5], v36, v22, s[4:5]
	v_cndmask_b32_e64 v37, 0, v37, s[22:23]
	v_cndmask_b32_e64 v36, 0, v36, s[22:23]
	v_add_co_u32_e64 v37, s[4:5], v37, v23
	v_addc_co_u32_e64 v36, s[4:5], v36, v24, s[4:5]
	v_cndmask_b32_e64 v37, 0, v37, s[20:21]
	v_cndmask_b32_e64 v36, 0, v36, s[20:21]
	v_add_co_u32_e64 v37, s[4:5], v37, v17
	v_addc_co_u32_e64 v36, s[4:5], v36, v18, s[4:5]
	v_cndmask_b32_e64 v37, 0, v37, s[18:19]
	v_cndmask_b32_e64 v36, 0, v36, s[18:19]
	v_add_co_u32_e64 v37, s[4:5], v37, v19
	v_addc_co_u32_e64 v36, s[4:5], v36, v20, s[4:5]
	v_cndmask_b32_e64 v37, 0, v37, s[16:17]
	v_cndmask_b32_e64 v36, 0, v36, s[16:17]
	v_add_co_u32_e64 v37, s[4:5], v37, v13
	v_addc_co_u32_e64 v36, s[4:5], v36, v14, s[4:5]
	v_cndmask_b32_e64 v37, 0, v37, s[14:15]
	v_cndmask_b32_e64 v36, 0, v36, s[14:15]
	v_add_co_u32_e64 v37, s[4:5], v37, v15
	v_addc_co_u32_e64 v36, s[4:5], v36, v16, s[4:5]
	v_cndmask_b32_e64 v37, 0, v37, s[12:13]
	v_cndmask_b32_e64 v36, 0, v36, s[12:13]
	v_add_co_u32_e64 v37, s[4:5], v37, v9
	v_addc_co_u32_e64 v36, s[4:5], v36, v10, s[4:5]
	v_cndmask_b32_e64 v37, 0, v37, s[10:11]
	v_cndmask_b32_e64 v36, 0, v36, s[10:11]
	v_add_co_u32_e64 v37, s[4:5], v37, v11
	v_addc_co_u32_e64 v36, s[4:5], v36, v12, s[4:5]
	v_cndmask_b32_e64 v37, 0, v37, s[8:9]
	v_add3_u32 v38, v98, v84, v85
	v_cndmask_b32_e64 v36, 0, v36, s[8:9]
	v_add_co_u32_e64 v37, s[4:5], v37, v1
	v_add3_u32 v38, v38, v86, v87
	v_addc_co_u32_e64 v36, s[4:5], v36, v2, s[4:5]
	v_cndmask_b32_e64 v37, 0, v37, s[6:7]
	v_add3_u32 v38, v38, v88, v89
	v_cndmask_b32_e64 v36, 0, v36, s[6:7]
	v_add_co_u32_e64 v37, s[4:5], v37, v3
	v_add3_u32 v38, v38, v90, v91
	v_addc_co_u32_e64 v36, s[4:5], v36, v4, s[4:5]
	v_cndmask_b32_e32 v37, 0, v37, vcc
	v_add3_u32 v40, v38, v92, v96
	v_cndmask_b32_e32 v36, 0, v36, vcc
	v_add_co_u32_e32 v38, vcc, v37, v70
	v_mbcnt_hi_u32_b32 v45, -1, v97
	v_addc_co_u32_e32 v39, vcc, v36, v71, vcc
	v_and_b32_e32 v36, 15, v45
	v_mov_b32_dpp v41, v40 row_shr:1 row_mask:0xf bank_mask:0xf
	v_mov_b32_dpp v37, v38 row_shr:1 row_mask:0xf bank_mask:0xf
	v_mov_b32_dpp v42, v39 row_shr:1 row_mask:0xf bank_mask:0xf
	v_cmp_ne_u32_e32 vcc, 0, v36
	s_and_saveexec_b64 s[4:5], vcc
; %bb.61:
	v_cmp_eq_u32_e32 vcc, 0, v40
	v_cndmask_b32_e32 v37, 0, v37, vcc
	v_add_u32_e32 v41, v41, v40
	v_cndmask_b32_e32 v40, 0, v42, vcc
	v_add_co_u32_e32 v38, vcc, v37, v38
	v_addc_co_u32_e32 v39, vcc, v40, v39, vcc
	v_mov_b32_e32 v40, v41
; %bb.62:
	s_or_b64 exec, exec, s[4:5]
	s_nop 0
	v_mov_b32_dpp v41, v40 row_shr:2 row_mask:0xf bank_mask:0xf
	v_mov_b32_dpp v37, v38 row_shr:2 row_mask:0xf bank_mask:0xf
	v_mov_b32_dpp v42, v39 row_shr:2 row_mask:0xf bank_mask:0xf
	v_cmp_lt_u32_e32 vcc, 1, v36
	s_and_saveexec_b64 s[4:5], vcc
; %bb.63:
	v_cmp_eq_u32_e32 vcc, 0, v40
	v_cndmask_b32_e32 v37, 0, v37, vcc
	v_add_u32_e32 v41, v41, v40
	v_cndmask_b32_e32 v40, 0, v42, vcc
	v_add_co_u32_e32 v38, vcc, v37, v38
	v_addc_co_u32_e32 v39, vcc, v40, v39, vcc
	v_mov_b32_e32 v40, v41
; %bb.64:
	s_or_b64 exec, exec, s[4:5]
	s_nop 0
	v_mov_b32_dpp v41, v40 row_shr:4 row_mask:0xf bank_mask:0xf
	v_mov_b32_dpp v37, v38 row_shr:4 row_mask:0xf bank_mask:0xf
	v_mov_b32_dpp v42, v39 row_shr:4 row_mask:0xf bank_mask:0xf
	v_cmp_lt_u32_e32 vcc, 3, v36
	;; [unrolled: 16-line block ×3, first 2 shown]
	s_and_saveexec_b64 s[4:5], vcc
; %bb.67:
	v_cmp_eq_u32_e32 vcc, 0, v40
	v_cndmask_b32_e32 v37, 0, v37, vcc
	v_add_u32_e32 v36, v41, v40
	v_cndmask_b32_e32 v40, 0, v42, vcc
	v_add_co_u32_e32 v38, vcc, v37, v38
	v_addc_co_u32_e32 v39, vcc, v40, v39, vcc
	v_mov_b32_e32 v40, v36
; %bb.68:
	s_or_b64 exec, exec, s[4:5]
	v_and_b32_e32 v42, 16, v45
	v_mov_b32_dpp v37, v40 row_bcast:15 row_mask:0xf bank_mask:0xf
	v_mov_b32_dpp v36, v38 row_bcast:15 row_mask:0xf bank_mask:0xf
	;; [unrolled: 1-line block ×3, first 2 shown]
	v_cmp_ne_u32_e32 vcc, 0, v42
	s_and_saveexec_b64 s[4:5], vcc
; %bb.69:
	v_cmp_eq_u32_e32 vcc, 0, v40
	v_cndmask_b32_e32 v36, 0, v36, vcc
	v_add_u32_e32 v37, v37, v40
	v_cndmask_b32_e32 v40, 0, v41, vcc
	v_add_co_u32_e32 v38, vcc, v36, v38
	v_addc_co_u32_e32 v39, vcc, v40, v39, vcc
	v_mov_b32_e32 v40, v37
; %bb.70:
	s_or_b64 exec, exec, s[4:5]
	s_nop 0
	v_mov_b32_dpp v37, v40 row_bcast:31 row_mask:0xf bank_mask:0xf
	v_mov_b32_dpp v36, v38 row_bcast:31 row_mask:0xf bank_mask:0xf
	;; [unrolled: 1-line block ×3, first 2 shown]
	v_cmp_lt_u32_e32 vcc, 31, v45
	s_and_saveexec_b64 s[4:5], vcc
; %bb.71:
	v_cmp_eq_u32_e32 vcc, 0, v40
	v_cndmask_b32_e32 v36, 0, v36, vcc
	v_add_u32_e32 v37, v37, v40
	v_cndmask_b32_e32 v40, 0, v41, vcc
	v_add_co_u32_e32 v38, vcc, v36, v38
	v_addc_co_u32_e32 v39, vcc, v40, v39, vcc
	v_mov_b32_e32 v40, v37
; %bb.72:
	s_or_b64 exec, exec, s[4:5]
	v_lshrrev_b32_e32 v36, 6, v0
	v_or_b32_e32 v37, 63, v0
	v_cmp_eq_u32_e32 vcc, v0, v37
	v_lshlrev_b32_e32 v41, 4, v36
	s_and_saveexec_b64 s[4:5], vcc
	s_cbranch_execz .LBB2229_74
; %bb.73:
	ds_write_b32 v41, v40 offset:1056
	ds_write_b64 v41, v[38:39] offset:1064
.LBB2229_74:
	s_or_b64 exec, exec, s[4:5]
	v_cmp_gt_u32_e32 vcc, 4, v0
	s_waitcnt lgkmcnt(0)
	s_barrier
	s_and_saveexec_b64 s[4:5], vcc
	s_cbranch_execz .LBB2229_80
; %bb.75:
	v_lshlrev_b32_e32 v42, 4, v0
	ds_read_b32 v43, v42 offset:1056
	ds_read_b64 v[36:37], v42 offset:1064
	v_and_b32_e32 v44, 3, v45
	v_cmp_ne_u32_e32 vcc, 0, v44
	s_waitcnt lgkmcnt(1)
	v_mov_b32_dpp v47, v43 row_shr:1 row_mask:0xf bank_mask:0xf
	s_waitcnt lgkmcnt(0)
	v_mov_b32_dpp v46, v36 row_shr:1 row_mask:0xf bank_mask:0xf
	v_mov_b32_dpp v48, v37 row_shr:1 row_mask:0xf bank_mask:0xf
	s_and_saveexec_b64 s[34:35], vcc
; %bb.76:
	v_cmp_eq_u32_e32 vcc, 0, v43
	v_cndmask_b32_e32 v46, 0, v46, vcc
	v_add_u32_e32 v47, v47, v43
	v_cndmask_b32_e32 v43, 0, v48, vcc
	v_add_co_u32_e32 v36, vcc, v46, v36
	v_addc_co_u32_e32 v37, vcc, v43, v37, vcc
	v_mov_b32_e32 v43, v47
; %bb.77:
	s_or_b64 exec, exec, s[34:35]
	s_nop 0
	v_mov_b32_dpp v47, v43 row_shr:2 row_mask:0xf bank_mask:0xf
	v_mov_b32_dpp v46, v36 row_shr:2 row_mask:0xf bank_mask:0xf
	v_mov_b32_dpp v48, v37 row_shr:2 row_mask:0xf bank_mask:0xf
	v_cmp_lt_u32_e32 vcc, 1, v44
	s_and_saveexec_b64 s[34:35], vcc
; %bb.78:
	v_cmp_eq_u32_e32 vcc, 0, v43
	v_cndmask_b32_e32 v46, 0, v46, vcc
	v_add_u32_e32 v44, v47, v43
	v_cndmask_b32_e32 v43, 0, v48, vcc
	v_add_co_u32_e32 v36, vcc, v46, v36
	v_addc_co_u32_e32 v37, vcc, v43, v37, vcc
	v_mov_b32_e32 v43, v44
; %bb.79:
	s_or_b64 exec, exec, s[34:35]
	ds_write_b32 v42, v43 offset:1056
	ds_write_b64 v42, v[36:37] offset:1064
.LBB2229_80:
	s_or_b64 exec, exec, s[4:5]
	v_mov_b32_e32 v36, 0
	v_cmp_gt_u32_e32 vcc, 64, v0
	v_cmp_lt_u32_e64 s[4:5], 63, v0
	v_mov_b32_e32 v37, 0
	v_mov_b32_e32 v48, 0
	s_waitcnt lgkmcnt(0)
	s_barrier
	s_and_saveexec_b64 s[34:35], s[4:5]
	s_cbranch_execz .LBB2229_82
; %bb.81:
	ds_read_b32 v48, v41 offset:1040
	ds_read_b64 v[36:37], v41 offset:1048
	v_cmp_eq_u32_e64 s[4:5], 0, v40
	s_waitcnt lgkmcnt(1)
	v_add_u32_e32 v41, v48, v40
	s_waitcnt lgkmcnt(0)
	v_cndmask_b32_e64 v42, 0, v36, s[4:5]
	v_cndmask_b32_e64 v40, 0, v37, s[4:5]
	v_add_co_u32_e64 v38, s[4:5], v42, v38
	v_addc_co_u32_e64 v39, s[4:5], v40, v39, s[4:5]
	v_mov_b32_e32 v40, v41
.LBB2229_82:
	s_or_b64 exec, exec, s[34:35]
	v_subrev_co_u32_e64 v41, s[34:35], 1, v45
	v_and_b32_e32 v42, 64, v45
	v_cmp_lt_i32_e64 s[4:5], v41, v42
	v_cndmask_b32_e64 v41, v41, v45, s[4:5]
	v_lshlrev_b32_e32 v41, 2, v41
	ds_bpermute_b32 v49, v41, v40
	ds_bpermute_b32 v50, v41, v38
	;; [unrolled: 1-line block ×3, first 2 shown]
	s_and_saveexec_b64 s[52:53], vcc
	s_cbranch_execz .LBB2229_126
; %bb.83:
	v_mov_b32_e32 v42, 0
	ds_read_b32 v52, v42 offset:1104
	ds_read_b64 v[38:39], v42 offset:1112
	s_and_saveexec_b64 s[4:5], s[34:35]
	s_cbranch_execz .LBB2229_85
; %bb.84:
	s_add_i32 s62, s64, 64
	s_mov_b32 s63, 0
	s_lshl_b64 s[66:67], s[62:63], 4
	s_add_u32 s66, s40, s66
	s_addc_u32 s67, s41, s67
	v_mov_b32_e32 v40, 1
	v_mov_b32_e32 v41, s62
	s_waitcnt lgkmcnt(1)
	global_store_dword v42, v52, s[66:67]
	s_waitcnt lgkmcnt(0)
	global_store_dwordx2 v42, v[38:39], s[66:67] offset:8
	s_waitcnt vmcnt(0)
	buffer_wbinvl1_vol
	global_store_byte v41, v40, s[44:45]
.LBB2229_85:
	s_or_b64 exec, exec, s[4:5]
	v_xad_u32 v40, v45, -1, s64
	v_add_u32_e32 v41, 64, v40
	global_load_ubyte v53, v41, s[44:45] glc
	s_waitcnt vmcnt(0)
	v_cmp_eq_u16_e32 vcc, 0, v53
	s_and_saveexec_b64 s[4:5], vcc
	s_cbranch_execz .LBB2229_89
; %bb.86:
	v_mov_b32_e32 v44, s45
	v_add_co_u32_e32 v43, vcc, s44, v41
	v_addc_co_u32_e32 v44, vcc, 0, v44, vcc
	s_mov_b64 s[62:63], 0
.LBB2229_87:                            ; =>This Inner Loop Header: Depth=1
	global_load_ubyte v53, v[43:44], off glc
	s_waitcnt vmcnt(0)
	v_cmp_ne_u16_e32 vcc, 0, v53
	s_or_b64 s[62:63], vcc, s[62:63]
	s_andn2_b64 exec, exec, s[62:63]
	s_cbranch_execnz .LBB2229_87
; %bb.88:
	s_or_b64 exec, exec, s[62:63]
.LBB2229_89:
	s_or_b64 exec, exec, s[4:5]
	v_mov_b32_e32 v43, s43
	v_mov_b32_e32 v44, s41
	v_cmp_eq_u16_e32 vcc, 1, v53
	v_cndmask_b32_e32 v43, v43, v44, vcc
	v_mov_b32_e32 v44, s42
	v_mov_b32_e32 v46, s40
	v_lshlrev_b64 v[41:42], 4, v[41:42]
	v_cndmask_b32_e32 v44, v44, v46, vcc
	v_add_co_u32_e32 v41, vcc, v44, v41
	v_addc_co_u32_e32 v42, vcc, v43, v42, vcc
	s_waitcnt lgkmcnt(0)
	buffer_wbinvl1_vol
	global_load_dword v68, v[41:42], off
	global_load_dwordx2 v[46:47], v[41:42], off offset:8
	v_and_b32_e32 v54, 63, v45
	v_lshlrev_b64 v[42:43], v45, -1
	v_cmp_ne_u32_e64 s[4:5], 63, v54
	v_cmp_eq_u16_e32 vcc, 2, v53
	v_addc_co_u32_e64 v41, s[4:5], 0, v45, s[4:5]
	v_and_b32_e32 v44, vcc_hi, v43
	v_lshlrev_b32_e32 v55, 2, v41
	v_or_b32_e32 v41, 0x80000000, v44
	v_and_b32_e32 v58, vcc_lo, v42
	v_ffbl_b32_e32 v41, v41
	v_add_u32_e32 v41, 32, v41
	v_ffbl_b32_e32 v58, v58
	v_min_u32_e32 v41, v58, v41
	v_cmp_lt_u32_e32 vcc, v54, v41
	s_waitcnt vmcnt(1)
	ds_bpermute_b32 v56, v55, v68
	s_waitcnt vmcnt(0)
	ds_bpermute_b32 v44, v55, v46
	ds_bpermute_b32 v57, v55, v47
	s_and_saveexec_b64 s[4:5], vcc
	s_cbranch_execz .LBB2229_91
; %bb.90:
	v_cmp_eq_u32_e32 vcc, 0, v68
	s_waitcnt lgkmcnt(1)
	v_cndmask_b32_e32 v44, 0, v44, vcc
	v_add_u32_e32 v56, v56, v68
	s_waitcnt lgkmcnt(0)
	v_cndmask_b32_e32 v57, 0, v57, vcc
	v_add_co_u32_e32 v46, vcc, v44, v46
	v_addc_co_u32_e32 v47, vcc, v57, v47, vcc
	v_mov_b32_e32 v68, v56
.LBB2229_91:
	s_or_b64 exec, exec, s[4:5]
	v_cmp_gt_u32_e32 vcc, 62, v54
	s_waitcnt lgkmcnt(1)
	v_cndmask_b32_e64 v44, 0, 2, vcc
	v_add_lshl_u32 v56, v44, v45, 2
	ds_bpermute_b32 v58, v56, v68
	ds_bpermute_b32 v44, v56, v46
	ds_bpermute_b32 v59, v56, v47
	s_waitcnt lgkmcnt(3)
	v_add_u32_e32 v57, 2, v54
	v_cmp_le_u32_e32 vcc, v57, v41
	s_and_saveexec_b64 s[4:5], vcc
	s_cbranch_execz .LBB2229_93
; %bb.92:
	v_cmp_eq_u32_e32 vcc, 0, v68
	s_waitcnt lgkmcnt(1)
	v_cndmask_b32_e32 v44, 0, v44, vcc
	v_add_u32_e32 v58, v58, v68
	s_waitcnt lgkmcnt(0)
	v_cndmask_b32_e32 v59, 0, v59, vcc
	v_add_co_u32_e32 v46, vcc, v44, v46
	v_addc_co_u32_e32 v47, vcc, v59, v47, vcc
	v_mov_b32_e32 v68, v58
.LBB2229_93:
	s_or_b64 exec, exec, s[4:5]
	v_cmp_gt_u32_e32 vcc, 60, v54
	s_waitcnt lgkmcnt(1)
	v_cndmask_b32_e64 v44, 0, 4, vcc
	v_add_lshl_u32 v58, v44, v45, 2
	ds_bpermute_b32 v60, v58, v68
	ds_bpermute_b32 v44, v58, v46
	ds_bpermute_b32 v61, v58, v47
	s_waitcnt lgkmcnt(3)
	v_add_u32_e32 v59, 4, v54
	v_cmp_le_u32_e32 vcc, v59, v41
	;; [unrolled: 24-line block ×4, first 2 shown]
	s_and_saveexec_b64 s[4:5], vcc
	s_cbranch_execz .LBB2229_99
; %bb.98:
	v_cmp_eq_u32_e32 vcc, 0, v68
	s_waitcnt lgkmcnt(1)
	v_cndmask_b32_e32 v44, 0, v44, vcc
	v_add_u32_e32 v64, v64, v68
	s_waitcnt lgkmcnt(0)
	v_cndmask_b32_e32 v65, 0, v65, vcc
	v_add_co_u32_e32 v46, vcc, v44, v46
	v_addc_co_u32_e32 v47, vcc, v65, v47, vcc
	v_mov_b32_e32 v68, v64
.LBB2229_99:
	s_or_b64 exec, exec, s[4:5]
	s_waitcnt lgkmcnt(1)
	v_mov_b32_e32 v44, 0x80
	s_waitcnt lgkmcnt(0)
	v_lshl_or_b32 v65, v45, 2, v44
	ds_bpermute_b32 v45, v65, v68
	ds_bpermute_b32 v44, v65, v46
	;; [unrolled: 1-line block ×3, first 2 shown]
	v_add_u32_e32 v66, 32, v54
	v_cmp_le_u32_e32 vcc, v66, v41
	s_and_saveexec_b64 s[4:5], vcc
	s_cbranch_execz .LBB2229_101
; %bb.100:
	v_cmp_eq_u32_e32 vcc, 0, v68
	s_waitcnt lgkmcnt(1)
	v_cndmask_b32_e32 v44, 0, v44, vcc
	v_add_u32_e32 v41, v45, v68
	s_waitcnt lgkmcnt(0)
	v_cndmask_b32_e32 v45, 0, v64, vcc
	v_add_co_u32_e32 v46, vcc, v44, v46
	v_addc_co_u32_e32 v47, vcc, v45, v47, vcc
	v_mov_b32_e32 v68, v41
.LBB2229_101:
	s_or_b64 exec, exec, s[4:5]
	v_mov_b32_e32 v41, 0
	v_mov_b32_e32 v67, 2
	s_branch .LBB2229_104
.LBB2229_102:                           ;   in Loop: Header=BB2229_104 Depth=1
	s_or_b64 exec, exec, s[4:5]
	v_cmp_eq_u32_e32 vcc, 0, v64
	v_cndmask_b32_e32 v46, 0, v46, vcc
	v_cndmask_b32_e32 v47, 0, v47, vcc
	v_add_co_u32_e32 v46, vcc, v46, v44
	v_subrev_u32_e32 v40, 64, v40
	v_add_u32_e32 v68, v69, v64
	v_addc_co_u32_e32 v47, vcc, v47, v45, vcc
	s_mov_b64 s[4:5], 0
.LBB2229_103:                           ;   in Loop: Header=BB2229_104 Depth=1
	s_and_b64 vcc, exec, s[4:5]
	s_cbranch_vccnz .LBB2229_122
.LBB2229_104:                           ; =>This Loop Header: Depth=1
                                        ;     Child Loop BB2229_107 Depth 2
	s_waitcnt lgkmcnt(1)
	v_mov_b32_e32 v44, v46
	v_cmp_ne_u16_sdwa s[4:5], v53, v67 src0_sel:BYTE_0 src1_sel:DWORD
	v_mov_b32_e32 v45, v47
	s_waitcnt lgkmcnt(0)
	v_mov_b32_e32 v64, v68
	s_cmp_lg_u64 s[4:5], exec
	s_mov_b64 s[4:5], -1
                                        ; implicit-def: $vgpr46_vgpr47
                                        ; implicit-def: $vgpr68
                                        ; implicit-def: $vgpr53
	s_cbranch_scc1 .LBB2229_103
; %bb.105:                              ;   in Loop: Header=BB2229_104 Depth=1
	global_load_ubyte v53, v40, s[44:45] glc
	s_waitcnt vmcnt(0)
	v_cmp_eq_u16_e32 vcc, 0, v53
	s_and_saveexec_b64 s[4:5], vcc
	s_cbranch_execz .LBB2229_109
; %bb.106:                              ;   in Loop: Header=BB2229_104 Depth=1
	v_mov_b32_e32 v47, s45
	v_add_co_u32_e32 v46, vcc, s44, v40
	v_addc_co_u32_e32 v47, vcc, 0, v47, vcc
	s_mov_b64 s[62:63], 0
.LBB2229_107:                           ;   Parent Loop BB2229_104 Depth=1
                                        ; =>  This Inner Loop Header: Depth=2
	global_load_ubyte v53, v[46:47], off glc
	s_waitcnt vmcnt(0)
	v_cmp_ne_u16_e32 vcc, 0, v53
	s_or_b64 s[62:63], vcc, s[62:63]
	s_andn2_b64 exec, exec, s[62:63]
	s_cbranch_execnz .LBB2229_107
; %bb.108:                              ;   in Loop: Header=BB2229_104 Depth=1
	s_or_b64 exec, exec, s[62:63]
.LBB2229_109:                           ;   in Loop: Header=BB2229_104 Depth=1
	s_or_b64 exec, exec, s[4:5]
	v_mov_b32_e32 v46, s43
	v_mov_b32_e32 v47, s41
	v_cmp_eq_u16_e32 vcc, 1, v53
	v_cndmask_b32_e32 v68, v46, v47, vcc
	v_mov_b32_e32 v46, s42
	v_mov_b32_e32 v47, s40
	v_cndmask_b32_e32 v69, v46, v47, vcc
	v_lshlrev_b64 v[46:47], 4, v[40:41]
	buffer_wbinvl1_vol
	v_add_co_u32_e32 v46, vcc, v69, v46
	v_addc_co_u32_e32 v47, vcc, v68, v47, vcc
	global_load_dword v69, v[46:47], off
	s_nop 0
	global_load_dwordx2 v[46:47], v[46:47], off offset:8
	v_cmp_eq_u16_e32 vcc, 2, v53
	v_and_b32_e32 v68, vcc_hi, v43
	v_or_b32_e32 v68, 0x80000000, v68
	v_and_b32_e32 v100, vcc_lo, v42
	v_ffbl_b32_e32 v68, v68
	v_add_u32_e32 v68, 32, v68
	v_ffbl_b32_e32 v100, v100
	v_min_u32_e32 v68, v100, v68
	v_cmp_lt_u32_e32 vcc, v54, v68
	s_waitcnt vmcnt(1)
	ds_bpermute_b32 v73, v55, v69
	s_waitcnt vmcnt(0)
	ds_bpermute_b32 v72, v55, v46
	ds_bpermute_b32 v99, v55, v47
	s_and_saveexec_b64 s[4:5], vcc
	s_cbranch_execz .LBB2229_111
; %bb.110:                              ;   in Loop: Header=BB2229_104 Depth=1
	v_cmp_eq_u32_e32 vcc, 0, v69
	s_waitcnt lgkmcnt(1)
	v_cndmask_b32_e32 v72, 0, v72, vcc
	v_add_u32_e32 v73, v73, v69
	s_waitcnt lgkmcnt(0)
	v_cndmask_b32_e32 v69, 0, v99, vcc
	v_add_co_u32_e32 v46, vcc, v72, v46
	v_addc_co_u32_e32 v47, vcc, v69, v47, vcc
	v_mov_b32_e32 v69, v73
.LBB2229_111:                           ;   in Loop: Header=BB2229_104 Depth=1
	s_or_b64 exec, exec, s[4:5]
	s_waitcnt lgkmcnt(2)
	ds_bpermute_b32 v73, v56, v69
	s_waitcnt lgkmcnt(2)
	ds_bpermute_b32 v72, v56, v46
	s_waitcnt lgkmcnt(2)
	ds_bpermute_b32 v99, v56, v47
	v_cmp_le_u32_e32 vcc, v57, v68
	s_and_saveexec_b64 s[4:5], vcc
	s_cbranch_execz .LBB2229_113
; %bb.112:                              ;   in Loop: Header=BB2229_104 Depth=1
	v_cmp_eq_u32_e32 vcc, 0, v69
	s_waitcnt lgkmcnt(1)
	v_cndmask_b32_e32 v72, 0, v72, vcc
	v_add_u32_e32 v73, v73, v69
	s_waitcnt lgkmcnt(0)
	v_cndmask_b32_e32 v69, 0, v99, vcc
	v_add_co_u32_e32 v46, vcc, v72, v46
	v_addc_co_u32_e32 v47, vcc, v69, v47, vcc
	v_mov_b32_e32 v69, v73
.LBB2229_113:                           ;   in Loop: Header=BB2229_104 Depth=1
	s_or_b64 exec, exec, s[4:5]
	s_waitcnt lgkmcnt(2)
	ds_bpermute_b32 v73, v58, v69
	s_waitcnt lgkmcnt(2)
	ds_bpermute_b32 v72, v58, v46
	s_waitcnt lgkmcnt(2)
	ds_bpermute_b32 v99, v58, v47
	v_cmp_le_u32_e32 vcc, v59, v68
	;; [unrolled: 21-line block ×5, first 2 shown]
	s_and_saveexec_b64 s[4:5], vcc
	s_cbranch_execz .LBB2229_102
; %bb.120:                              ;   in Loop: Header=BB2229_104 Depth=1
	v_cmp_eq_u32_e32 vcc, 0, v69
	s_waitcnt lgkmcnt(1)
	v_cndmask_b32_e32 v72, 0, v72, vcc
	v_add_u32_e32 v68, v73, v69
	s_waitcnt lgkmcnt(0)
	v_cndmask_b32_e32 v69, 0, v99, vcc
	v_add_co_u32_e32 v46, vcc, v72, v46
	v_addc_co_u32_e32 v47, vcc, v69, v47, vcc
	v_mov_b32_e32 v69, v68
	s_branch .LBB2229_102
.LBB2229_121:
                                        ; implicit-def: $vgpr36
                                        ; implicit-def: $vgpr38_vgpr39
                                        ; implicit-def: $vgpr40
                                        ; implicit-def: $vgpr66_vgpr67
                                        ; implicit-def: $vgpr42_vgpr43
                                        ; implicit-def: $vgpr44_vgpr45
                                        ; implicit-def: $vgpr46_vgpr47
                                        ; implicit-def: $vgpr48_vgpr49
                                        ; implicit-def: $vgpr50_vgpr51
                                        ; implicit-def: $vgpr52_vgpr53
                                        ; implicit-def: $vgpr54_vgpr55
                                        ; implicit-def: $vgpr56_vgpr57
                                        ; implicit-def: $vgpr58_vgpr59
                                        ; implicit-def: $vgpr60_vgpr61
                                        ; implicit-def: $vgpr62_vgpr63
                                        ; implicit-def: $vgpr64_vgpr65
                                        ; implicit-def: $vgpr68_vgpr69
                                        ; implicit-def: $vgpr72_vgpr73
                                        ; implicit-def: $vgpr37
	s_cbranch_execnz .LBB2229_127
	s_branch .LBB2229_154
.LBB2229_122:
	s_and_saveexec_b64 s[4:5], s[34:35]
	s_cbranch_execz .LBB2229_124
; %bb.123:
	s_mov_b32 s41, 0
	v_cmp_eq_u32_e32 vcc, 0, v52
	s_add_i32 s40, s64, 64
	v_cndmask_b32_e32 v40, 0, v44, vcc
	s_lshl_b64 s[62:63], s[40:41], 4
	v_cndmask_b32_e32 v41, 0, v45, vcc
	v_add_co_u32_e32 v40, vcc, v40, v38
	s_add_u32 s62, s42, s62
	v_add_u32_e32 v42, v64, v52
	v_addc_co_u32_e32 v41, vcc, v41, v39, vcc
	s_addc_u32 s63, s43, s63
	v_mov_b32_e32 v43, 0
	global_store_dword v43, v42, s[62:63]
	global_store_dwordx2 v43, v[40:41], s[62:63] offset:8
	v_mov_b32_e32 v40, 2
	v_mov_b32_e32 v41, s40
	s_waitcnt vmcnt(0) lgkmcnt(0)
	buffer_wbinvl1_vol
	global_store_byte v41, v40, s[44:45]
	ds_write_b32 v43, v52 offset:1024
	ds_write_b64 v43, v[38:39] offset:1032
	ds_write_b32 v43, v64 offset:1040
	ds_write_b64 v43, v[44:45] offset:1048
.LBB2229_124:
	s_or_b64 exec, exec, s[4:5]
	s_and_b64 exec, exec, s[38:39]
	s_cbranch_execz .LBB2229_126
; %bb.125:
	v_mov_b32_e32 v38, 0
	ds_write_b32 v38, v64 offset:1104
	ds_write_b64 v38, v[44:45] offset:1112
.LBB2229_126:
	s_or_b64 exec, exec, s[52:53]
	v_mov_b32_e32 v41, 0
	s_waitcnt vmcnt(0) lgkmcnt(0)
	s_barrier
	ds_read_b32 v40, v41 offset:1104
	ds_read_b64 v[38:39], v41 offset:1112
	v_cndmask_b32_e64 v42, v49, v48, s[34:35]
	v_cmp_eq_u32_e32 vcc, 0, v42
	v_cndmask_b32_e64 v36, v50, v36, s[34:35]
	v_cndmask_b32_e64 v37, v51, v37, s[34:35]
	s_waitcnt lgkmcnt(0)
	v_cndmask_b32_e32 v44, 0, v38, vcc
	v_cndmask_b32_e32 v43, 0, v39, vcc
	v_add_co_u32_e32 v36, vcc, v44, v36
	v_addc_co_u32_e32 v43, vcc, v43, v37, vcc
	v_cndmask_b32_e64 v66, v36, v38, s[38:39]
	v_cmp_eq_u32_e32 vcc, 0, v82
	v_cndmask_b32_e64 v67, v43, v39, s[38:39]
	v_cndmask_b32_e32 v38, 0, v66, vcc
	v_cndmask_b32_e64 v37, v42, 0, s[38:39]
	v_cndmask_b32_e32 v36, 0, v67, vcc
	v_add_co_u32_e32 v42, vcc, v38, v29
	v_addc_co_u32_e32 v43, vcc, v36, v30, vcc
	v_cndmask_b32_e64 v38, 0, v42, s[30:31]
	v_cndmask_b32_e64 v36, 0, v43, s[30:31]
	v_add_co_u32_e32 v44, vcc, v38, v31
	v_addc_co_u32_e32 v45, vcc, v36, v32, vcc
	v_cndmask_b32_e64 v38, 0, v44, s[28:29]
	v_cndmask_b32_e64 v36, 0, v45, s[28:29]
	v_add_co_u32_e32 v46, vcc, v38, v25
	v_addc_co_u32_e32 v47, vcc, v36, v26, vcc
	v_cndmask_b32_e64 v38, 0, v46, s[26:27]
	v_cndmask_b32_e64 v36, 0, v47, s[26:27]
	v_add_co_u32_e32 v48, vcc, v38, v27
	v_addc_co_u32_e32 v49, vcc, v36, v28, vcc
	v_cndmask_b32_e64 v38, 0, v48, s[24:25]
	v_cndmask_b32_e64 v36, 0, v49, s[24:25]
	v_add_co_u32_e32 v50, vcc, v38, v21
	v_addc_co_u32_e32 v51, vcc, v36, v22, vcc
	v_cndmask_b32_e64 v38, 0, v50, s[22:23]
	v_cndmask_b32_e64 v36, 0, v51, s[22:23]
	v_add_co_u32_e32 v52, vcc, v38, v23
	v_addc_co_u32_e32 v53, vcc, v36, v24, vcc
	v_cndmask_b32_e64 v38, 0, v52, s[20:21]
	v_cndmask_b32_e64 v36, 0, v53, s[20:21]
	v_add_co_u32_e32 v54, vcc, v38, v17
	v_addc_co_u32_e32 v55, vcc, v36, v18, vcc
	v_cndmask_b32_e64 v38, 0, v54, s[18:19]
	v_cndmask_b32_e64 v36, 0, v55, s[18:19]
	v_add_co_u32_e32 v56, vcc, v38, v19
	v_addc_co_u32_e32 v57, vcc, v36, v20, vcc
	v_cndmask_b32_e64 v38, 0, v56, s[16:17]
	v_cndmask_b32_e64 v36, 0, v57, s[16:17]
	v_add_co_u32_e32 v58, vcc, v38, v13
	v_addc_co_u32_e32 v59, vcc, v36, v14, vcc
	v_cndmask_b32_e64 v38, 0, v58, s[14:15]
	v_cndmask_b32_e64 v36, 0, v59, s[14:15]
	v_add_co_u32_e32 v60, vcc, v38, v15
	v_addc_co_u32_e32 v61, vcc, v36, v16, vcc
	v_cndmask_b32_e64 v38, 0, v60, s[12:13]
	v_cndmask_b32_e64 v36, 0, v61, s[12:13]
	v_add_co_u32_e32 v62, vcc, v38, v9
	v_addc_co_u32_e32 v63, vcc, v36, v10, vcc
	v_cndmask_b32_e64 v38, 0, v62, s[10:11]
	v_cndmask_b32_e64 v36, 0, v63, s[10:11]
	v_add_co_u32_e32 v64, vcc, v38, v11
	v_add_u32_e32 v37, v40, v37
	v_addc_co_u32_e32 v65, vcc, v36, v12, vcc
	s_barrier
	ds_read_b32 v36, v41 offset:1024
	ds_read_b64 v[38:39], v41 offset:1032
	ds_read_b32 v40, v41 offset:1040
	ds_read_b64 v[99:100], v41 offset:1048
	v_cndmask_b32_e64 v68, 0, v64, s[8:9]
	v_cndmask_b32_e64 v69, 0, v65, s[8:9]
	v_add_co_u32_e32 v68, vcc, v68, v1
	v_addc_co_u32_e32 v69, vcc, v69, v2, vcc
	s_waitcnt lgkmcnt(3)
	v_cmp_eq_u32_e32 vcc, 0, v36
	s_waitcnt lgkmcnt(0)
	v_cndmask_b32_e32 v99, 0, v99, vcc
	v_cndmask_b32_e32 v41, 0, v100, vcc
	v_add_co_u32_e32 v38, vcc, v99, v38
	v_cndmask_b32_e64 v73, 0, v69, s[6:7]
	v_cndmask_b32_e64 v72, 0, v68, s[6:7]
	v_addc_co_u32_e32 v39, vcc, v41, v39, vcc
	s_branch .LBB2229_154
.LBB2229_127:
	s_cmp_eq_u64 s[36:37], 0
	s_cselect_b64 s[4:5], -1, 0
	s_or_b64 s[4:5], s[46:47], s[4:5]
	v_mov_b32_e32 v41, v30
	s_and_b64 vcc, exec, s[4:5]
	v_mov_b32_e32 v40, v29
	s_cbranch_vccnz .LBB2229_129
; %bb.128:
	v_mov_b32_e32 v36, 0
	global_load_dwordx2 v[40:41], v36, s[36:37]
.LBB2229_129:
	v_cmp_eq_u32_e64 s[28:29], 0, v95
	v_cndmask_b32_e64 v37, 0, v29, s[28:29]
	v_cndmask_b32_e64 v36, 0, v30, s[28:29]
	v_add_co_u32_e32 v37, vcc, v37, v31
	v_cmp_eq_u32_e64 s[26:27], 0, v94
	v_addc_co_u32_e32 v36, vcc, v36, v32, vcc
	v_cndmask_b32_e64 v37, 0, v37, s[26:27]
	v_cndmask_b32_e64 v36, 0, v36, s[26:27]
	v_add_co_u32_e32 v37, vcc, v37, v25
	v_cmp_eq_u32_e64 s[24:25], 0, v93
	v_addc_co_u32_e32 v36, vcc, v36, v26, vcc
	;; [unrolled: 5-line block ×11, first 2 shown]
	v_cndmask_b32_e64 v37, 0, v37, s[8:9]
	v_cndmask_b32_e64 v36, 0, v36, s[8:9]
	v_add_co_u32_e32 v37, vcc, v37, v1
	v_addc_co_u32_e32 v36, vcc, v36, v2, vcc
	v_cmp_eq_u32_e32 vcc, 0, v92
	v_add3_u32 v38, v98, v84, v85
	v_cndmask_b32_e32 v37, 0, v37, vcc
	v_add3_u32 v38, v38, v86, v87
	v_cndmask_b32_e32 v36, 0, v36, vcc
	v_add_co_u32_e64 v37, s[4:5], v37, v3
	v_add3_u32 v38, v38, v88, v89
	v_addc_co_u32_e64 v36, s[4:5], v36, v4, s[4:5]
	v_add3_u32 v38, v38, v90, v91
	v_cmp_eq_u32_e64 s[4:5], 0, v96
	v_add3_u32 v43, v38, v92, v96
	v_cndmask_b32_e64 v38, 0, v36, s[4:5]
	v_cndmask_b32_e64 v36, 0, v37, s[4:5]
	v_add_co_u32_e64 v36, s[4:5], v36, v70
	v_mbcnt_hi_u32_b32 v42, -1, v97
	v_addc_co_u32_e64 v37, s[4:5], v38, v71, s[4:5]
	v_and_b32_e32 v38, 15, v42
	v_mov_b32_dpp v44, v43 row_shr:1 row_mask:0xf bank_mask:0xf
	v_mov_b32_dpp v39, v36 row_shr:1 row_mask:0xf bank_mask:0xf
	;; [unrolled: 1-line block ×3, first 2 shown]
	v_cmp_ne_u32_e64 s[4:5], 0, v38
	s_and_saveexec_b64 s[30:31], s[4:5]
; %bb.130:
	v_cmp_eq_u32_e64 s[4:5], 0, v43
	v_cndmask_b32_e64 v39, 0, v39, s[4:5]
	v_add_u32_e32 v44, v44, v43
	v_cndmask_b32_e64 v43, 0, v45, s[4:5]
	v_add_co_u32_e64 v36, s[4:5], v39, v36
	v_addc_co_u32_e64 v37, s[4:5], v43, v37, s[4:5]
	v_mov_b32_e32 v43, v44
; %bb.131:
	s_or_b64 exec, exec, s[30:31]
	s_nop 0
	v_mov_b32_dpp v44, v43 row_shr:2 row_mask:0xf bank_mask:0xf
	v_mov_b32_dpp v39, v36 row_shr:2 row_mask:0xf bank_mask:0xf
	v_mov_b32_dpp v45, v37 row_shr:2 row_mask:0xf bank_mask:0xf
	v_cmp_lt_u32_e64 s[4:5], 1, v38
	s_and_saveexec_b64 s[30:31], s[4:5]
; %bb.132:
	v_cmp_eq_u32_e64 s[4:5], 0, v43
	v_cndmask_b32_e64 v39, 0, v39, s[4:5]
	v_add_u32_e32 v44, v44, v43
	v_cndmask_b32_e64 v43, 0, v45, s[4:5]
	v_add_co_u32_e64 v36, s[4:5], v39, v36
	v_addc_co_u32_e64 v37, s[4:5], v43, v37, s[4:5]
	v_mov_b32_e32 v43, v44
; %bb.133:
	s_or_b64 exec, exec, s[30:31]
	s_nop 0
	v_mov_b32_dpp v44, v43 row_shr:4 row_mask:0xf bank_mask:0xf
	v_mov_b32_dpp v39, v36 row_shr:4 row_mask:0xf bank_mask:0xf
	v_mov_b32_dpp v45, v37 row_shr:4 row_mask:0xf bank_mask:0xf
	v_cmp_lt_u32_e64 s[4:5], 3, v38
	;; [unrolled: 16-line block ×3, first 2 shown]
	s_and_saveexec_b64 s[30:31], s[4:5]
; %bb.136:
	v_cmp_eq_u32_e64 s[4:5], 0, v43
	v_cndmask_b32_e64 v39, 0, v39, s[4:5]
	v_add_u32_e32 v38, v44, v43
	v_cndmask_b32_e64 v43, 0, v45, s[4:5]
	v_add_co_u32_e64 v36, s[4:5], v39, v36
	v_addc_co_u32_e64 v37, s[4:5], v43, v37, s[4:5]
	v_mov_b32_e32 v43, v38
; %bb.137:
	s_or_b64 exec, exec, s[30:31]
	v_and_b32_e32 v45, 16, v42
	v_mov_b32_dpp v39, v43 row_bcast:15 row_mask:0xf bank_mask:0xf
	v_mov_b32_dpp v38, v36 row_bcast:15 row_mask:0xf bank_mask:0xf
	;; [unrolled: 1-line block ×3, first 2 shown]
	v_cmp_ne_u32_e64 s[4:5], 0, v45
	s_and_saveexec_b64 s[30:31], s[4:5]
; %bb.138:
	v_cmp_eq_u32_e64 s[4:5], 0, v43
	v_cndmask_b32_e64 v38, 0, v38, s[4:5]
	v_add_u32_e32 v39, v39, v43
	v_cndmask_b32_e64 v43, 0, v44, s[4:5]
	v_add_co_u32_e64 v36, s[4:5], v38, v36
	v_addc_co_u32_e64 v37, s[4:5], v43, v37, s[4:5]
	v_mov_b32_e32 v43, v39
; %bb.139:
	s_or_b64 exec, exec, s[30:31]
	s_nop 0
	v_mov_b32_dpp v39, v43 row_bcast:31 row_mask:0xf bank_mask:0xf
	v_mov_b32_dpp v38, v36 row_bcast:31 row_mask:0xf bank_mask:0xf
	v_mov_b32_dpp v44, v37 row_bcast:31 row_mask:0xf bank_mask:0xf
	v_cmp_lt_u32_e64 s[4:5], 31, v42
	s_and_saveexec_b64 s[30:31], s[4:5]
; %bb.140:
	v_cmp_eq_u32_e64 s[4:5], 0, v43
	v_cndmask_b32_e64 v38, 0, v38, s[4:5]
	v_add_u32_e32 v39, v39, v43
	v_cndmask_b32_e64 v43, 0, v44, s[4:5]
	v_add_co_u32_e64 v36, s[4:5], v38, v36
	v_addc_co_u32_e64 v37, s[4:5], v43, v37, s[4:5]
	v_mov_b32_e32 v43, v39
; %bb.141:
	s_or_b64 exec, exec, s[30:31]
	v_lshrrev_b32_e32 v38, 6, v0
	v_or_b32_e32 v39, 63, v0
	v_cmp_eq_u32_e64 s[4:5], v0, v39
	v_lshlrev_b32_e32 v44, 4, v38
	s_and_saveexec_b64 s[30:31], s[4:5]
	s_cbranch_execz .LBB2229_143
; %bb.142:
	ds_write_b32 v44, v43 offset:1056
	ds_write_b64 v44, v[36:37] offset:1064
.LBB2229_143:
	s_or_b64 exec, exec, s[30:31]
	v_cmp_gt_u32_e64 s[4:5], 4, v0
	s_waitcnt vmcnt(0) lgkmcnt(0)
	s_barrier
	s_and_saveexec_b64 s[30:31], s[4:5]
	s_cbranch_execz .LBB2229_149
; %bb.144:
	v_lshlrev_b32_e32 v45, 4, v0
	ds_read_b32 v46, v45 offset:1056
	ds_read_b64 v[38:39], v45 offset:1064
	v_and_b32_e32 v47, 3, v42
	v_cmp_ne_u32_e64 s[4:5], 0, v47
	s_waitcnt lgkmcnt(1)
	v_mov_b32_dpp v49, v46 row_shr:1 row_mask:0xf bank_mask:0xf
	s_waitcnt lgkmcnt(0)
	v_mov_b32_dpp v48, v38 row_shr:1 row_mask:0xf bank_mask:0xf
	v_mov_b32_dpp v50, v39 row_shr:1 row_mask:0xf bank_mask:0xf
	s_and_saveexec_b64 s[34:35], s[4:5]
; %bb.145:
	v_cmp_eq_u32_e64 s[4:5], 0, v46
	v_cndmask_b32_e64 v48, 0, v48, s[4:5]
	v_add_u32_e32 v49, v49, v46
	v_cndmask_b32_e64 v46, 0, v50, s[4:5]
	v_add_co_u32_e64 v38, s[4:5], v48, v38
	v_addc_co_u32_e64 v39, s[4:5], v46, v39, s[4:5]
	v_mov_b32_e32 v46, v49
; %bb.146:
	s_or_b64 exec, exec, s[34:35]
	s_nop 0
	v_mov_b32_dpp v49, v46 row_shr:2 row_mask:0xf bank_mask:0xf
	v_mov_b32_dpp v48, v38 row_shr:2 row_mask:0xf bank_mask:0xf
	;; [unrolled: 1-line block ×3, first 2 shown]
	v_cmp_lt_u32_e64 s[4:5], 1, v47
	s_and_saveexec_b64 s[34:35], s[4:5]
; %bb.147:
	v_cmp_eq_u32_e64 s[4:5], 0, v46
	v_cndmask_b32_e64 v48, 0, v48, s[4:5]
	v_add_u32_e32 v47, v49, v46
	v_cndmask_b32_e64 v46, 0, v50, s[4:5]
	v_add_co_u32_e64 v38, s[4:5], v48, v38
	v_addc_co_u32_e64 v39, s[4:5], v46, v39, s[4:5]
	v_mov_b32_e32 v46, v47
; %bb.148:
	s_or_b64 exec, exec, s[34:35]
	ds_write_b32 v45, v46 offset:1056
	ds_write_b64 v45, v[38:39] offset:1064
.LBB2229_149:
	s_or_b64 exec, exec, s[30:31]
	v_mov_b32_e32 v38, v40
	v_cmp_lt_u32_e64 s[4:5], 63, v0
	v_mov_b32_e32 v70, 0
	v_mov_b32_e32 v45, 0
	;; [unrolled: 1-line block ×3, first 2 shown]
	s_waitcnt lgkmcnt(0)
	s_barrier
	s_and_saveexec_b64 s[30:31], s[4:5]
	s_cbranch_execz .LBB2229_151
; %bb.150:
	ds_read_b32 v45, v44 offset:1040
	ds_read_b64 v[38:39], v44 offset:1048
	s_waitcnt lgkmcnt(1)
	v_cmp_eq_u32_e64 s[4:5], 0, v45
	v_cndmask_b32_e64 v46, 0, v40, s[4:5]
	v_cndmask_b32_e64 v44, 0, v41, s[4:5]
	s_waitcnt lgkmcnt(0)
	v_add_co_u32_e64 v38, s[4:5], v46, v38
	v_addc_co_u32_e64 v39, s[4:5], v44, v39, s[4:5]
.LBB2229_151:
	s_or_b64 exec, exec, s[30:31]
	v_cmp_eq_u32_e64 s[4:5], 0, v43
	v_cndmask_b32_e64 v46, 0, v38, s[4:5]
	v_add_u32_e32 v44, v45, v43
	v_cndmask_b32_e64 v43, 0, v39, s[4:5]
	v_add_co_u32_e64 v36, s[4:5], v46, v36
	v_addc_co_u32_e64 v37, s[4:5], v43, v37, s[4:5]
	v_subrev_co_u32_e64 v43, s[4:5], 1, v42
	v_and_b32_e32 v46, 64, v42
	v_cmp_lt_i32_e64 s[30:31], v43, v46
	v_cndmask_b32_e64 v42, v43, v42, s[30:31]
	v_lshlrev_b32_e32 v42, 2, v42
	ds_bpermute_b32 v36, v42, v36
	ds_bpermute_b32 v43, v42, v44
	;; [unrolled: 1-line block ×3, first 2 shown]
	s_waitcnt lgkmcnt(2)
	v_cndmask_b32_e64 v66, v36, v38, s[4:5]
	s_waitcnt lgkmcnt(1)
	v_cndmask_b32_e64 v37, v43, v45, s[4:5]
	;; [unrolled: 2-line block ×3, first 2 shown]
	v_cndmask_b32_e64 v36, v66, v40, s[38:39]
	v_cmp_eq_u32_e64 s[4:5], 0, v82
	v_cndmask_b32_e64 v38, v67, v41, s[38:39]
	v_cndmask_b32_e64 v36, 0, v36, s[4:5]
	v_cndmask_b32_e64 v38, 0, v38, s[4:5]
	v_add_co_u32_e64 v42, s[4:5], v36, v29
	v_addc_co_u32_e64 v43, s[4:5], v38, v30, s[4:5]
	v_cndmask_b32_e64 v30, 0, v42, s[28:29]
	v_cndmask_b32_e64 v29, 0, v43, s[28:29]
	v_add_co_u32_e64 v44, s[4:5], v30, v31
	v_addc_co_u32_e64 v45, s[4:5], v29, v32, s[4:5]
	v_cndmask_b32_e64 v30, 0, v44, s[26:27]
	v_cndmask_b32_e64 v29, 0, v45, s[26:27]
	;; [unrolled: 4-line block ×11, first 2 shown]
	v_add_co_u32_e64 v64, s[4:5], v10, v11
	v_addc_co_u32_e64 v65, s[4:5], v9, v12, s[4:5]
	v_cndmask_b32_e64 v10, 0, v64, s[8:9]
	ds_read_b32 v36, v70 offset:1104
	v_cndmask_b32_e64 v9, 0, v65, s[8:9]
	v_add_co_u32_e64 v68, s[4:5], v10, v1
	v_addc_co_u32_e64 v69, s[4:5], v9, v2, s[4:5]
	ds_read_b64 v[1:2], v70 offset:1112
	v_cndmask_b32_e32 v73, 0, v69, vcc
	v_cndmask_b32_e32 v72, 0, v68, vcc
	s_waitcnt lgkmcnt(1)
	v_cmp_eq_u32_e32 vcc, 0, v36
	v_cndmask_b32_e32 v10, 0, v40, vcc
	v_cndmask_b32_e32 v9, 0, v41, vcc
	s_waitcnt lgkmcnt(0)
	v_add_co_u32_e32 v38, vcc, v10, v1
	v_addc_co_u32_e32 v39, vcc, v9, v2, vcc
	s_and_saveexec_b64 s[4:5], s[38:39]
	s_cbranch_execz .LBB2229_153
; %bb.152:
	v_mov_b32_e32 v67, v41
	v_mov_b32_e32 v37, 0
	;; [unrolled: 1-line block ×4, first 2 shown]
	global_store_dword v37, v36, s[42:43] offset:1024
	global_store_dwordx2 v37, v[38:39], s[42:43] offset:1032
	s_waitcnt vmcnt(0)
	buffer_wbinvl1_vol
	global_store_byte v37, v1, s[44:45] offset:64
.LBB2229_153:
	s_or_b64 exec, exec, s[4:5]
	v_mov_b32_e32 v40, 0
.LBB2229_154:
	s_cmp_eq_u64 s[54:55], 0
	s_cselect_b64 s[4:5], -1, 0
	s_or_b64 s[4:5], s[46:47], s[4:5]
	v_mov_b32_e32 v9, 0
	s_and_b64 vcc, exec, s[4:5]
	v_mov_b32_e32 v10, 0
	s_waitcnt vmcnt(0)
	s_barrier
	s_cbranch_vccnz .LBB2229_156
; %bb.155:
	v_mov_b32_e32 v1, 0
	global_load_dwordx2 v[9:10], v1, s[54:55]
.LBB2229_156:
	buffer_load_dword v27, off, s[0:3], 0
	buffer_load_dword v28, off, s[0:3], 0 offset:4
	buffer_load_dword v29, off, s[0:3], 0 offset:8
	;; [unrolled: 1-line block ×13, first 2 shown]
	v_add_u32_e32 v24, v37, v82
	buffer_load_dword v82, off, s[0:3], 0 offset:56
	s_waitcnt vmcnt(15)
	v_lshlrev_b64 v[1:2], 1, v[9:10]
	v_mov_b32_e32 v41, 0
	v_mov_b32_e32 v13, s57
	v_lshlrev_b64 v[11:12], 1, v[40:41]
	v_add_co_u32_e32 v1, vcc, s56, v1
	v_addc_co_u32_e32 v2, vcc, v13, v2, vcc
	v_add_co_u32_e32 v25, vcc, v1, v11
	v_addc_co_u32_e32 v26, vcc, v2, v12, vcc
	v_add_u32_e32 v23, v24, v95
	v_add_u32_e32 v22, v23, v94
	;; [unrolled: 1-line block ×11, first 2 shown]
	s_movk_i32 s4, 0x100
	v_add_u32_e32 v12, v13, v91
	v_add_u32_e32 v11, v12, v92
	s_mov_b64 s[40:41], -1
	s_waitcnt vmcnt(14)
	v_cmp_eq_u32_e32 vcc, 0, v27
	v_cndmask_b32_e64 v1, 1, 2, vcc
	s_waitcnt vmcnt(13)
	v_cmp_eq_u32_e32 vcc, 0, v28
	v_cndmask_b32_e64 v2, 1, 2, vcc
	s_waitcnt vmcnt(12)
	v_cmp_eq_u32_e32 vcc, 0, v29
	v_cmp_ne_u32_e64 s[36:37], 0, v27
	v_cndmask_b32_e64 v27, 1, 2, vcc
	s_waitcnt vmcnt(11)
	v_cmp_eq_u32_e32 vcc, 0, v30
	v_and_b32_e32 v1, v2, v1
	v_cmp_ne_u32_e64 s[34:35], 0, v28
	v_cndmask_b32_e64 v28, 1, 2, vcc
	s_waitcnt vmcnt(10)
	v_cmp_eq_u32_e32 vcc, 0, v31
	v_and_b32_e32 v1, v1, v27
	;; [unrolled: 5-line block ×8, first 2 shown]
	v_cndmask_b32_e64 v83, 1, 2, vcc
	s_waitcnt vmcnt(3)
	v_cmp_eq_u32_e32 vcc, 0, v99
	v_and_b32_e32 v1, v1, v71
	v_cndmask_b32_e64 v84, 1, 2, vcc
	s_waitcnt vmcnt(2)
	v_cmp_eq_u32_e32 vcc, 0, v100
	v_and_b32_e32 v1, v1, v83
	v_cndmask_b32_e64 v85, 1, 2, vcc
	v_and_b32_e32 v1, v1, v84
	s_waitcnt vmcnt(1)
	v_cmp_eq_u32_e32 vcc, 0, v101
	v_and_b32_e32 v1, v1, v85
	v_cndmask_b32_e64 v2, 1, 2, vcc
	s_waitcnt vmcnt(0)
	v_cmp_eq_u32_e32 vcc, 0, v82
	v_and_b32_e32 v1, v1, v2
	v_cndmask_b32_e64 v2, 1, 2, vcc
	v_and_b32_e32 v1, v1, v2
	v_cmp_gt_u32_e32 vcc, s4, v36
	v_cmp_ne_u32_e64 s[18:19], 0, v96
	v_cmp_ne_u32_e64 s[16:17], 0, v97
	;; [unrolled: 1-line block ×7, first 2 shown]
	v_cmp_gt_i16_e64 s[4:5], 2, v1
	s_cbranch_vccz .LBB2229_163
; %bb.157:
	s_and_saveexec_b64 s[40:41], s[4:5]
	s_cbranch_execz .LBB2229_162
; %bb.158:
	v_cmp_ne_u16_e32 vcc, 1, v1
	s_mov_b64 s[42:43], 0
	s_and_saveexec_b64 s[4:5], vcc
	s_xor_b64 s[4:5], exec, s[4:5]
	s_cbranch_execnz .LBB2229_210
; %bb.159:
	s_andn2_saveexec_b64 s[4:5], s[4:5]
	s_cbranch_execnz .LBB2229_226
.LBB2229_160:
	s_or_b64 exec, exec, s[4:5]
	s_and_b64 exec, exec, s[42:43]
	s_cbranch_execz .LBB2229_162
.LBB2229_161:
	v_sub_u32_e32 v27, v11, v40
	v_mov_b32_e32 v28, 0
	v_lshlrev_b64 v[27:28], 1, v[27:28]
	v_add_co_u32_e32 v27, vcc, v25, v27
	v_addc_co_u32_e32 v28, vcc, v26, v28, vcc
	global_store_short v[27:28], v74, off
.LBB2229_162:
	s_or_b64 exec, exec, s[40:41]
	s_mov_b64 s[40:41], 0
.LBB2229_163:
	s_and_b64 vcc, exec, s[40:41]
	s_cbranch_vccz .LBB2229_185
; %bb.164:
	v_cmp_gt_i16_e32 vcc, 2, v1
	s_and_saveexec_b64 s[4:5], vcc
	s_cbranch_execz .LBB2229_169
; %bb.165:
	v_cmp_ne_u16_e32 vcc, 1, v1
	s_mov_b64 s[42:43], 0
	s_and_saveexec_b64 s[40:41], vcc
	s_xor_b64 s[40:41], exec, s[40:41]
	s_cbranch_execnz .LBB2229_227
; %bb.166:
	s_andn2_saveexec_b64 s[6:7], s[40:41]
	s_cbranch_execnz .LBB2229_243
.LBB2229_167:
	s_or_b64 exec, exec, s[6:7]
	s_and_b64 exec, exec, s[42:43]
.LBB2229_168:
	v_sub_u32_e32 v1, v11, v40
	v_lshlrev_b32_e32 v1, 1, v1
	ds_write_b16 v1, v74
.LBB2229_169:
	s_or_b64 exec, exec, s[4:5]
	v_cmp_lt_u32_e32 vcc, v0, v36
	s_waitcnt vmcnt(0) lgkmcnt(0)
	s_barrier
	s_and_saveexec_b64 s[6:7], vcc
	s_cbranch_execz .LBB2229_184
; %bb.170:
	v_xad_u32 v2, v0, -1, v36
	s_movk_i32 s4, 0x1900
	s_movk_i32 s8, 0x18ff
	v_cmp_gt_u32_e64 s[4:5], s4, v2
	v_cmp_lt_u32_e32 vcc, s8, v2
	v_mov_b32_e32 v1, v0
	s_and_saveexec_b64 s[8:9], vcc
	s_cbranch_execz .LBB2229_181
; %bb.171:
	v_sub_u32_e32 v1, v0, v36
	v_or_b32_e32 v1, 0xff, v1
	v_cmp_ge_u32_e32 vcc, v1, v0
	s_mov_b64 s[12:13], -1
	v_mov_b32_e32 v1, v0
	s_and_saveexec_b64 s[10:11], vcc
	s_cbranch_execz .LBB2229_180
; %bb.172:
	v_lshrrev_b32_e32 v7, 8, v2
	v_add_u32_e32 v2, -1, v7
	v_or_b32_e32 v1, 0x100, v0
	v_lshrrev_b32_e32 v5, 1, v2
	v_add_u32_e32 v27, 1, v5
	v_mov_b32_e32 v6, v1
	s_mov_b32 s16, 0
	v_cmp_lt_u32_e32 vcc, 13, v2
	v_mov_b32_e32 v30, 0
	v_lshlrev_b32_e32 v8, 1, v0
	v_mov_b32_e32 v5, v0
	s_and_saveexec_b64 s[12:13], vcc
	s_cbranch_execz .LBB2229_176
; %bb.173:
	v_mov_b32_e32 v6, v1
	v_and_b32_e32 v28, -8, v27
	s_mov_b64 s[14:15], 0
	v_mov_b32_e32 v2, 0
	v_mov_b32_e32 v29, v8
	;; [unrolled: 1-line block ×3, first 2 shown]
.LBB2229_174:                           ; =>This Inner Loop Header: Depth=1
	v_mov_b32_e32 v1, v5
	v_add_u32_e32 v28, -8, v28
	v_lshlrev_b64 v[80:81], 1, v[1:2]
	v_add_u32_e32 v30, 0x200, v6
	v_mov_b32_e32 v31, v2
	s_add_i32 s16, s16, 16
	v_cmp_eq_u32_e32 vcc, 0, v28
	v_lshlrev_b64 v[82:83], 1, v[30:31]
	s_or_b64 s[14:15], vcc, s[14:15]
	v_add_co_u32_e32 v80, vcc, v25, v80
	v_add_u32_e32 v32, 0x400, v6
	v_mov_b32_e32 v33, v2
	v_addc_co_u32_e32 v81, vcc, v26, v81, vcc
	v_lshlrev_b64 v[31:32], 1, v[32:33]
	v_add_co_u32_e32 v82, vcc, v25, v82
	v_add_u32_e32 v34, 0x600, v6
	v_mov_b32_e32 v35, v2
	v_addc_co_u32_e32 v83, vcc, v26, v83, vcc
	v_lshlrev_b64 v[33:34], 1, v[34:35]
	;; [unrolled: 5-line block ×6, first 2 shown]
	v_add_co_u32_e32 v76, vcc, v25, v76
	v_mov_b32_e32 v1, v6
	v_addc_co_u32_e32 v77, vcc, v26, v77, vcc
	v_lshlrev_b64 v[84:85], 1, v[1:2]
	v_add_co_u32_e32 v78, vcc, v25, v78
	v_add_u32_e32 v1, 0x200, v5
	v_addc_co_u32_e32 v79, vcc, v26, v79, vcc
	v_lshlrev_b64 v[86:87], 1, v[1:2]
	v_add_co_u32_e32 v84, vcc, v25, v84
	v_add_u32_e32 v1, 0x400, v5
	v_addc_co_u32_e32 v85, vcc, v26, v85, vcc
	ds_read_u16 v90, v29
	ds_read_u16 v91, v29 offset:512
	ds_read_u16 v92, v29 offset:1024
	;; [unrolled: 1-line block ×15, first 2 shown]
	v_lshlrev_b64 v[88:89], 1, v[1:2]
	s_waitcnt lgkmcnt(14)
	global_store_short v[80:81], v90, off
	global_store_short v[84:85], v91, off
	v_add_co_u32_e32 v80, vcc, v25, v86
	v_add_u32_e32 v1, 0x600, v5
	v_addc_co_u32_e32 v81, vcc, v26, v87, vcc
	v_lshlrev_b64 v[84:85], 1, v[1:2]
	s_waitcnt lgkmcnt(13)
	global_store_short v[80:81], v92, off
	s_waitcnt lgkmcnt(12)
	global_store_short v[82:83], v93, off
	v_add_co_u32_e32 v80, vcc, v25, v88
	v_add_u32_e32 v1, 0x800, v5
	v_addc_co_u32_e32 v81, vcc, v26, v89, vcc
	v_lshlrev_b64 v[82:83], 1, v[1:2]
	s_waitcnt lgkmcnt(11)
	global_store_short v[80:81], v94, off
	s_waitcnt lgkmcnt(10)
	;; [unrolled: 8-line block ×5, first 2 shown]
	global_store_short v[74:75], v101, off
	v_add_co_u32_e32 v31, vcc, v25, v33
	v_addc_co_u32_e32 v32, vcc, v26, v34, vcc
	s_waitcnt lgkmcnt(3)
	global_store_short v[31:32], v102, off
	s_waitcnt lgkmcnt(2)
	global_store_short v[76:77], v103, off
	v_add_co_u32_e32 v31, vcc, v25, v70
	v_add_u32_e32 v29, 0x2000, v29
	v_add_u32_e32 v6, 0x1000, v6
	v_mov_b32_e32 v30, s16
	v_add_u32_e32 v5, 0x1000, v5
	v_addc_co_u32_e32 v32, vcc, v26, v71, vcc
	s_waitcnt lgkmcnt(1)
	global_store_short v[31:32], v104, off
	s_waitcnt lgkmcnt(0)
	global_store_short v[78:79], v105, off
	s_andn2_b64 exec, exec, s[14:15]
	s_cbranch_execnz .LBB2229_174
; %bb.175:
	s_or_b64 exec, exec, s[14:15]
.LBB2229_176:
	s_or_b64 exec, exec, s[12:13]
	v_and_b32_e32 v27, 7, v27
	v_cmp_ne_u32_e32 vcc, 0, v27
	s_and_saveexec_b64 s[12:13], vcc
	s_cbranch_execz .LBB2229_179
; %bb.177:
	v_lshl_or_b32 v8, v30, 9, v8
	s_mov_b64 s[14:15], 0
	v_mov_b32_e32 v2, 0
.LBB2229_178:                           ; =>This Inner Loop Header: Depth=1
	v_mov_b32_e32 v1, v5
	ds_read_u16 v32, v8
	ds_read_u16 v33, v8 offset:512
	v_add_u32_e32 v27, -1, v27
	v_lshlrev_b64 v[28:29], 1, v[1:2]
	v_mov_b32_e32 v1, v6
	v_cmp_eq_u32_e32 vcc, 0, v27
	v_lshlrev_b64 v[30:31], 1, v[1:2]
	s_or_b64 s[14:15], vcc, s[14:15]
	v_add_co_u32_e32 v28, vcc, v25, v28
	v_addc_co_u32_e32 v29, vcc, v26, v29, vcc
	v_add_u32_e32 v5, 0x200, v5
	v_add_u32_e32 v8, 0x400, v8
	;; [unrolled: 1-line block ×3, first 2 shown]
	v_add_co_u32_e32 v30, vcc, v25, v30
	v_addc_co_u32_e32 v31, vcc, v26, v31, vcc
	s_waitcnt lgkmcnt(1)
	global_store_short v[28:29], v32, off
	s_waitcnt lgkmcnt(0)
	global_store_short v[30:31], v33, off
	s_andn2_b64 exec, exec, s[14:15]
	s_cbranch_execnz .LBB2229_178
.LBB2229_179:
	s_or_b64 exec, exec, s[12:13]
	v_add_u32_e32 v2, 1, v7
	v_and_b32_e32 v5, 0x1fffffe, v2
	v_cmp_ne_u32_e32 vcc, v2, v5
	v_lshl_or_b32 v1, v5, 8, v0
	s_orn2_b64 s[12:13], vcc, exec
.LBB2229_180:
	s_or_b64 exec, exec, s[10:11]
	s_andn2_b64 s[4:5], s[4:5], exec
	s_and_b64 s[10:11], s[12:13], exec
	s_or_b64 s[4:5], s[4:5], s[10:11]
.LBB2229_181:
	s_or_b64 exec, exec, s[8:9]
	s_and_b64 exec, exec, s[4:5]
	s_cbranch_execz .LBB2229_184
; %bb.182:
	v_lshlrev_b32_e32 v5, 1, v1
	s_mov_b64 s[8:9], 0
	v_mov_b32_e32 v2, 0
.LBB2229_183:                           ; =>This Inner Loop Header: Depth=1
	ds_read_u16 v8, v5
	v_lshlrev_b64 v[6:7], 1, v[1:2]
	v_add_u32_e32 v1, 0x100, v1
	v_cmp_ge_u32_e32 vcc, v1, v36
	v_add_co_u32_e64 v6, s[4:5], v25, v6
	v_add_u32_e32 v5, 0x200, v5
	v_addc_co_u32_e64 v7, s[4:5], v26, v7, s[4:5]
	s_or_b64 s[8:9], vcc, s[8:9]
	s_waitcnt lgkmcnt(0)
	global_store_short v[6:7], v8, off
	s_andn2_b64 exec, exec, s[8:9]
	s_cbranch_execnz .LBB2229_183
.LBB2229_184:
	s_or_b64 exec, exec, s[6:7]
.LBB2229_185:
	s_and_b64 s[6:7], s[38:39], s[50:51]
	s_waitcnt vmcnt(0)
	s_barrier
	s_and_saveexec_b64 s[4:5], s[6:7]
	s_cbranch_execz .LBB2229_187
; %bb.186:
	v_mov_b32_e32 v1, 0
	buffer_store_dword v1, off, s[0:3], 0
.LBB2229_187:
	s_or_b64 exec, exec, s[4:5]
	s_mul_hi_u32 s4, s33, 0x88888889
	s_lshr_b32 s4, s4, 3
	v_cmp_eq_u32_e32 vcc, s4, v0
	s_and_b64 s[6:7], vcc, s[48:49]
	s_and_saveexec_b64 s[4:5], s[6:7]
	s_cbranch_execz .LBB2229_189
; %bb.188:
	s_lshl_b32 s6, s33, 2
	v_mov_b32_e32 v1, s6
	s_movk_i32 s6, 0xffc4
	v_mad_i32_i24 v1, v0, s6, v1
	v_mov_b32_e32 v2, 1
	buffer_store_dword v2, v1, s[0:3], 0 offen
.LBB2229_189:
	s_or_b64 exec, exec, s[4:5]
	buffer_load_dword v25, off, s[0:3], 0
	buffer_load_dword v26, off, s[0:3], 0 offset:4
	buffer_load_dword v27, off, s[0:3], 0 offset:8
	;; [unrolled: 1-line block ×13, first 2 shown]
	v_add_co_u32_e32 v1, vcc, v72, v3
	v_addc_co_u32_e32 v2, vcc, v73, v4, vcc
	buffer_load_dword v73, off, s[0:3], 0 offset:56
	v_lshlrev_b64 v[3:4], 3, v[9:10]
	v_mov_b32_e32 v72, s59
	v_lshlrev_b64 v[6:7], 3, v[40:41]
	v_add_co_u32_e32 v3, vcc, s58, v3
	v_addc_co_u32_e32 v4, vcc, v72, v4, vcc
	v_cndmask_b32_e64 v5, 0, 1, s[50:51]
	v_add_co_u32_e32 v3, vcc, v3, v6
	v_lshlrev_b32_e32 v75, 3, v5
	v_addc_co_u32_e32 v4, vcc, v4, v7, vcc
	v_add_co_u32_e32 v6, vcc, v3, v75
	v_addc_co_u32_e32 v7, vcc, 0, v4, vcc
	v_add_co_u32_e32 v6, vcc, -8, v6
	v_addc_co_u32_e32 v7, vcc, -1, v7, vcc
	s_cmpk_lg_i32 s33, 0xf00
	s_cselect_b64 s[4:5], -1, 0
	s_and_b64 s[4:5], s[4:5], s[48:49]
	v_sub_u32_e32 v41, v36, v5
	v_add_u32_e32 v8, v40, v5
	v_cndmask_b32_e64 v5, 0, 1, s[4:5]
	v_add_u32_e32 v5, v41, v5
	s_movk_i32 s36, 0x100
	s_mov_b64 s[38:39], -1
	s_waitcnt vmcnt(14)
	v_cmp_eq_u32_e32 vcc, 0, v25
	v_cmp_ne_u32_e64 s[34:35], 0, v25
	v_cndmask_b32_e64 v25, 1, 2, vcc
	s_waitcnt vmcnt(13)
	v_cmp_eq_u32_e32 vcc, 0, v26
	v_cmp_ne_u32_e64 s[30:31], 0, v26
	v_cndmask_b32_e64 v26, 1, 2, vcc
	;; [unrolled: 4-line block ×3, first 2 shown]
	s_waitcnt vmcnt(11)
	v_cmp_eq_u32_e32 vcc, 0, v28
	v_and_b32_e32 v25, v26, v25
	v_cmp_ne_u32_e64 s[26:27], 0, v28
	v_cndmask_b32_e64 v28, 1, 2, vcc
	s_waitcnt vmcnt(10)
	v_cmp_eq_u32_e32 vcc, 0, v29
	v_and_b32_e32 v25, v25, v27
	v_cmp_ne_u32_e64 s[24:25], 0, v29
	v_cndmask_b32_e64 v29, 1, 2, vcc
	;; [unrolled: 5-line block ×8, first 2 shown]
	v_and_b32_e32 v25, v25, v34
	s_waitcnt vmcnt(3)
	v_cmp_eq_u32_e32 vcc, 0, v70
	v_and_b32_e32 v25, v25, v35
	v_cndmask_b32_e64 v26, 1, 2, vcc
	s_waitcnt vmcnt(2)
	v_cmp_eq_u32_e32 vcc, 0, v71
	v_and_b32_e32 v25, v25, v26
	v_cndmask_b32_e64 v26, 1, 2, vcc
	;; [unrolled: 4-line block ×4, first 2 shown]
	v_and_b32_e32 v25, v25, v26
	v_cmp_gt_u32_e32 vcc, s36, v5
	v_cmp_ne_u32_e64 s[8:9], 0, v70
	v_cmp_ne_u32_e64 s[10:11], 0, v71
	;; [unrolled: 1-line block ×4, first 2 shown]
	v_cmp_gt_i16_e64 s[36:37], 2, v25
	s_cbranch_vccz .LBB2229_196
; %bb.190:
	s_and_saveexec_b64 s[38:39], s[36:37]
	s_cbranch_execz .LBB2229_195
; %bb.191:
	v_cmp_ne_u16_e32 vcc, 1, v25
	s_mov_b64 s[40:41], 0
	s_and_saveexec_b64 s[36:37], vcc
	s_xor_b64 s[36:37], exec, s[36:37]
	s_cbranch_execnz .LBB2229_244
; %bb.192:
	s_andn2_saveexec_b64 s[36:37], s[36:37]
	s_cbranch_execnz .LBB2229_260
.LBB2229_193:
	s_or_b64 exec, exec, s[36:37]
	s_and_b64 exec, exec, s[40:41]
	s_cbranch_execz .LBB2229_195
.LBB2229_194:
	v_sub_u32_e32 v26, v11, v8
	v_mov_b32_e32 v27, 0
	v_lshlrev_b64 v[26:27], 3, v[26:27]
	v_add_co_u32_e32 v26, vcc, v6, v26
	v_addc_co_u32_e32 v27, vcc, v7, v27, vcc
	global_store_dwordx2 v[26:27], v[1:2], off
.LBB2229_195:
	s_or_b64 exec, exec, s[38:39]
	s_mov_b64 s[38:39], 0
.LBB2229_196:
	s_and_b64 vcc, exec, s[38:39]
	s_cbranch_vccz .LBB2229_206
; %bb.197:
	v_cmp_gt_i16_e32 vcc, 2, v25
	s_and_saveexec_b64 s[36:37], vcc
	s_cbranch_execz .LBB2229_202
; %bb.198:
	v_cmp_ne_u16_e32 vcc, 1, v25
	s_mov_b64 s[40:41], 0
	s_and_saveexec_b64 s[38:39], vcc
	s_xor_b64 s[38:39], exec, s[38:39]
	s_cbranch_execnz .LBB2229_261
; %bb.199:
	s_andn2_saveexec_b64 s[4:5], s[38:39]
	s_cbranch_execnz .LBB2229_277
.LBB2229_200:
	s_or_b64 exec, exec, s[4:5]
	s_and_b64 exec, exec, s[40:41]
.LBB2229_201:
	v_sub_u32_e32 v8, v11, v8
	v_lshlrev_b32_e32 v8, 3, v8
	ds_write_b64 v8, v[1:2]
.LBB2229_202:
	s_or_b64 exec, exec, s[36:37]
	v_cmp_lt_u32_e32 vcc, v0, v5
	s_waitcnt vmcnt(0) lgkmcnt(0)
	s_barrier
	s_and_saveexec_b64 s[6:7], vcc
	s_cbranch_execz .LBB2229_205
; %bb.203:
	v_lshlrev_b32_e32 v8, 3, v0
	s_mov_b64 s[8:9], 0
	v_mov_b32_e32 v2, 0
	v_mov_b32_e32 v1, v0
.LBB2229_204:                           ; =>This Inner Loop Header: Depth=1
	ds_read_b64 v[13:14], v8
	v_lshlrev_b64 v[11:12], 3, v[1:2]
	v_add_u32_e32 v1, 0x100, v1
	v_cmp_ge_u32_e32 vcc, v1, v5
	v_add_co_u32_e64 v11, s[4:5], v6, v11
	v_add_u32_e32 v8, 0x800, v8
	v_addc_co_u32_e64 v12, s[4:5], v7, v12, s[4:5]
	s_or_b64 s[8:9], vcc, s[8:9]
	s_waitcnt lgkmcnt(0)
	global_store_dwordx2 v[11:12], v[13:14], off
	s_andn2_b64 exec, exec, s[8:9]
	s_cbranch_execnz .LBB2229_204
.LBB2229_205:
	s_or_b64 exec, exec, s[6:7]
.LBB2229_206:
	s_movk_i32 s4, 0xff
	v_cmp_eq_u32_e32 vcc, s4, v0
	s_and_b64 s[4:5], vcc, s[48:49]
	s_and_saveexec_b64 s[6:7], s[4:5]
	s_cbranch_execz .LBB2229_209
; %bb.207:
	v_add_co_u32_e32 v0, vcc, v36, v40
	v_addc_co_u32_e64 v1, s[4:5], 0, 0, vcc
	v_add_co_u32_e32 v0, vcc, v0, v9
	v_mov_b32_e32 v37, 0
	v_addc_co_u32_e32 v1, vcc, v1, v10, vcc
	s_cmpk_lg_i32 s33, 0xf00
	global_store_dwordx2 v37, v[0:1], s[60:61]
	s_cbranch_scc1 .LBB2229_209
; %bb.208:
	v_lshlrev_b64 v[0:1], 3, v[36:37]
	v_add_co_u32_e32 v0, vcc, v3, v0
	v_addc_co_u32_e32 v1, vcc, v4, v1, vcc
	global_store_dwordx2 v[0:1], v[38:39], off offset:-8
.LBB2229_209:
	s_endpgm
.LBB2229_210:
	s_and_saveexec_b64 s[42:43], s[36:37]
	s_cbranch_execnz .LBB2229_278
; %bb.211:
	s_or_b64 exec, exec, s[42:43]
	s_and_saveexec_b64 s[42:43], s[34:35]
	s_cbranch_execnz .LBB2229_279
.LBB2229_212:
	s_or_b64 exec, exec, s[42:43]
	s_and_saveexec_b64 s[42:43], s[30:31]
	s_cbranch_execnz .LBB2229_280
.LBB2229_213:
	s_or_b64 exec, exec, s[42:43]
	s_and_saveexec_b64 s[42:43], s[28:29]
	s_cbranch_execnz .LBB2229_281
.LBB2229_214:
	s_or_b64 exec, exec, s[42:43]
	s_and_saveexec_b64 s[42:43], s[26:27]
	s_cbranch_execnz .LBB2229_282
.LBB2229_215:
	s_or_b64 exec, exec, s[42:43]
	s_and_saveexec_b64 s[42:43], s[24:25]
	s_cbranch_execnz .LBB2229_283
.LBB2229_216:
	s_or_b64 exec, exec, s[42:43]
	s_and_saveexec_b64 s[42:43], s[22:23]
	s_cbranch_execnz .LBB2229_284
.LBB2229_217:
	s_or_b64 exec, exec, s[42:43]
	s_and_saveexec_b64 s[42:43], s[20:21]
	s_cbranch_execnz .LBB2229_285
.LBB2229_218:
	s_or_b64 exec, exec, s[42:43]
	s_and_saveexec_b64 s[42:43], s[18:19]
	s_cbranch_execnz .LBB2229_286
.LBB2229_219:
	s_or_b64 exec, exec, s[42:43]
	s_and_saveexec_b64 s[42:43], s[16:17]
	s_cbranch_execnz .LBB2229_287
.LBB2229_220:
	s_or_b64 exec, exec, s[42:43]
	s_and_saveexec_b64 s[42:43], s[14:15]
	s_cbranch_execnz .LBB2229_288
.LBB2229_221:
	s_or_b64 exec, exec, s[42:43]
	s_and_saveexec_b64 s[42:43], s[12:13]
	s_cbranch_execnz .LBB2229_289
.LBB2229_222:
	s_or_b64 exec, exec, s[42:43]
	s_and_saveexec_b64 s[42:43], s[10:11]
	s_cbranch_execnz .LBB2229_290
.LBB2229_223:
	s_or_b64 exec, exec, s[42:43]
	s_and_saveexec_b64 s[42:43], s[6:7]
	s_cbranch_execz .LBB2229_225
.LBB2229_224:
	v_sub_u32_e32 v27, v12, v40
	v_mov_b32_e32 v28, 0
	v_lshlrev_b64 v[27:28], 1, v[27:28]
	v_add_co_u32_e32 v27, vcc, v25, v27
	v_addc_co_u32_e32 v28, vcc, v26, v28, vcc
	global_store_short v[27:28], v35, off
.LBB2229_225:
	s_or_b64 exec, exec, s[42:43]
	s_and_b64 s[42:43], s[8:9], exec
	s_andn2_saveexec_b64 s[4:5], s[4:5]
	s_cbranch_execz .LBB2229_160
.LBB2229_226:
	v_sub_u32_e32 v27, v37, v40
	v_mov_b32_e32 v28, 0
	v_lshlrev_b64 v[29:30], 1, v[27:28]
	v_sub_u32_e32 v27, v24, v40
	v_add_co_u32_e32 v29, vcc, v25, v29
	v_addc_co_u32_e32 v30, vcc, v26, v30, vcc
	global_store_short v[29:30], v77, off
	v_lshlrev_b64 v[29:30], 1, v[27:28]
	v_sub_u32_e32 v27, v23, v40
	v_add_co_u32_e32 v29, vcc, v25, v29
	v_addc_co_u32_e32 v30, vcc, v26, v30, vcc
	global_store_short v[29:30], v5, off
	;; [unrolled: 5-line block ×12, first 2 shown]
	v_lshlrev_b64 v[29:30], 1, v[27:28]
	v_sub_u32_e32 v27, v12, v40
	v_add_co_u32_e32 v29, vcc, v25, v29
	v_lshlrev_b64 v[27:28], 1, v[27:28]
	v_addc_co_u32_e32 v30, vcc, v26, v30, vcc
	v_add_co_u32_e32 v27, vcc, v25, v27
	v_addc_co_u32_e32 v28, vcc, v26, v28, vcc
	s_or_b64 s[42:43], s[42:43], exec
	global_store_short v[29:30], v75, off
	global_store_short v[27:28], v35, off
	s_or_b64 exec, exec, s[4:5]
	s_and_b64 exec, exec, s[42:43]
	s_cbranch_execnz .LBB2229_161
	s_branch .LBB2229_162
.LBB2229_227:
	s_and_saveexec_b64 s[42:43], s[36:37]
	s_cbranch_execnz .LBB2229_291
; %bb.228:
	s_or_b64 exec, exec, s[42:43]
	s_and_saveexec_b64 s[36:37], s[34:35]
	s_cbranch_execnz .LBB2229_292
.LBB2229_229:
	s_or_b64 exec, exec, s[36:37]
	s_and_saveexec_b64 s[34:35], s[30:31]
	s_cbranch_execnz .LBB2229_293
.LBB2229_230:
	s_or_b64 exec, exec, s[34:35]
	s_and_saveexec_b64 s[30:31], s[28:29]
	s_cbranch_execnz .LBB2229_294
.LBB2229_231:
	s_or_b64 exec, exec, s[30:31]
	s_and_saveexec_b64 s[28:29], s[26:27]
	s_cbranch_execnz .LBB2229_295
.LBB2229_232:
	s_or_b64 exec, exec, s[28:29]
	s_and_saveexec_b64 s[26:27], s[24:25]
	s_cbranch_execnz .LBB2229_296
.LBB2229_233:
	s_or_b64 exec, exec, s[26:27]
	s_and_saveexec_b64 s[24:25], s[22:23]
	s_cbranch_execnz .LBB2229_297
.LBB2229_234:
	s_or_b64 exec, exec, s[24:25]
	s_and_saveexec_b64 s[22:23], s[20:21]
	s_cbranch_execnz .LBB2229_298
.LBB2229_235:
	s_or_b64 exec, exec, s[22:23]
	s_and_saveexec_b64 s[20:21], s[18:19]
	s_cbranch_execnz .LBB2229_299
.LBB2229_236:
	s_or_b64 exec, exec, s[20:21]
	s_and_saveexec_b64 s[18:19], s[16:17]
	s_cbranch_execnz .LBB2229_300
.LBB2229_237:
	s_or_b64 exec, exec, s[18:19]
	s_and_saveexec_b64 s[16:17], s[14:15]
	s_cbranch_execnz .LBB2229_301
.LBB2229_238:
	s_or_b64 exec, exec, s[16:17]
	s_and_saveexec_b64 s[14:15], s[12:13]
	s_cbranch_execnz .LBB2229_302
.LBB2229_239:
	s_or_b64 exec, exec, s[14:15]
	s_and_saveexec_b64 s[12:13], s[10:11]
	s_cbranch_execnz .LBB2229_303
.LBB2229_240:
	s_or_b64 exec, exec, s[12:13]
	s_and_saveexec_b64 s[10:11], s[6:7]
.LBB2229_241:
	v_sub_u32_e32 v1, v12, v40
	v_lshlrev_b32_e32 v1, 1, v1
	ds_write_b16 v1, v35
.LBB2229_242:
	s_or_b64 exec, exec, s[10:11]
	s_and_b64 s[42:43], s[8:9], exec
                                        ; implicit-def: $vgpr5
                                        ; implicit-def: $vgpr33
                                        ; implicit-def: $vgpr77
                                        ; implicit-def: $vgpr81
                                        ; implicit-def: $vgpr80
                                        ; implicit-def: $vgpr79
                                        ; implicit-def: $vgpr78
                                        ; implicit-def: $vgpr76
                                        ; implicit-def: $vgpr75
	s_andn2_saveexec_b64 s[6:7], s[40:41]
	s_cbranch_execz .LBB2229_167
.LBB2229_243:
	v_sub_u32_e32 v1, v37, v40
	v_lshlrev_b32_e32 v1, 1, v1
	ds_write_b16 v1, v77
	v_sub_u32_e32 v1, v24, v40
	v_lshlrev_b32_e32 v1, 1, v1
	ds_write_b16 v1, v5
	;; [unrolled: 3-line block ×13, first 2 shown]
	v_sub_u32_e32 v1, v12, v40
	v_lshlrev_b32_e32 v1, 1, v1
	s_or_b64 s[42:43], s[42:43], exec
	ds_write_b16 v1, v35
	s_or_b64 exec, exec, s[6:7]
	s_and_b64 exec, exec, s[42:43]
	s_cbranch_execnz .LBB2229_168
	s_branch .LBB2229_169
.LBB2229_244:
	s_and_saveexec_b64 s[40:41], s[34:35]
	s_cbranch_execnz .LBB2229_304
; %bb.245:
	s_or_b64 exec, exec, s[40:41]
	s_and_saveexec_b64 s[40:41], s[30:31]
	s_cbranch_execnz .LBB2229_305
.LBB2229_246:
	s_or_b64 exec, exec, s[40:41]
	s_and_saveexec_b64 s[40:41], s[28:29]
	s_cbranch_execnz .LBB2229_306
.LBB2229_247:
	s_or_b64 exec, exec, s[40:41]
	s_and_saveexec_b64 s[40:41], s[26:27]
	s_cbranch_execnz .LBB2229_307
.LBB2229_248:
	s_or_b64 exec, exec, s[40:41]
	s_and_saveexec_b64 s[40:41], s[24:25]
	s_cbranch_execnz .LBB2229_308
.LBB2229_249:
	s_or_b64 exec, exec, s[40:41]
	s_and_saveexec_b64 s[40:41], s[22:23]
	s_cbranch_execnz .LBB2229_309
.LBB2229_250:
	s_or_b64 exec, exec, s[40:41]
	s_and_saveexec_b64 s[40:41], s[20:21]
	s_cbranch_execnz .LBB2229_310
.LBB2229_251:
	s_or_b64 exec, exec, s[40:41]
	s_and_saveexec_b64 s[40:41], s[18:19]
	s_cbranch_execnz .LBB2229_311
.LBB2229_252:
	s_or_b64 exec, exec, s[40:41]
	s_and_saveexec_b64 s[40:41], s[16:17]
	s_cbranch_execnz .LBB2229_312
.LBB2229_253:
	s_or_b64 exec, exec, s[40:41]
	s_and_saveexec_b64 s[40:41], s[14:15]
	s_cbranch_execnz .LBB2229_313
.LBB2229_254:
	s_or_b64 exec, exec, s[40:41]
	s_and_saveexec_b64 s[40:41], s[12:13]
	s_cbranch_execnz .LBB2229_314
.LBB2229_255:
	s_or_b64 exec, exec, s[40:41]
	s_and_saveexec_b64 s[40:41], s[8:9]
	s_cbranch_execnz .LBB2229_315
.LBB2229_256:
	s_or_b64 exec, exec, s[40:41]
	s_and_saveexec_b64 s[40:41], s[10:11]
	s_cbranch_execnz .LBB2229_316
.LBB2229_257:
	s_or_b64 exec, exec, s[40:41]
	s_and_saveexec_b64 s[40:41], s[6:7]
	s_cbranch_execz .LBB2229_259
.LBB2229_258:
	v_sub_u32_e32 v26, v12, v8
	v_mov_b32_e32 v27, 0
	v_lshlrev_b64 v[26:27], 3, v[26:27]
	v_add_co_u32_e32 v26, vcc, v6, v26
	v_addc_co_u32_e32 v27, vcc, v7, v27, vcc
	global_store_dwordx2 v[26:27], v[68:69], off
.LBB2229_259:
	s_or_b64 exec, exec, s[40:41]
	s_and_b64 s[40:41], s[4:5], exec
	s_andn2_saveexec_b64 s[36:37], s[36:37]
	s_cbranch_execz .LBB2229_193
.LBB2229_260:
	v_sub_u32_e32 v26, v37, v8
	v_mov_b32_e32 v27, 0
	v_lshlrev_b64 v[28:29], 3, v[26:27]
	v_sub_u32_e32 v26, v24, v8
	v_add_co_u32_e32 v28, vcc, v6, v28
	v_addc_co_u32_e32 v29, vcc, v7, v29, vcc
	global_store_dwordx2 v[28:29], v[66:67], off
	v_lshlrev_b64 v[28:29], 3, v[26:27]
	v_sub_u32_e32 v26, v23, v8
	v_add_co_u32_e32 v28, vcc, v6, v28
	v_addc_co_u32_e32 v29, vcc, v7, v29, vcc
	global_store_dwordx2 v[28:29], v[42:43], off
	;; [unrolled: 5-line block ×12, first 2 shown]
	v_lshlrev_b64 v[28:29], 3, v[26:27]
	v_sub_u32_e32 v26, v12, v8
	v_add_co_u32_e32 v28, vcc, v6, v28
	v_lshlrev_b64 v[26:27], 3, v[26:27]
	v_addc_co_u32_e32 v29, vcc, v7, v29, vcc
	v_add_co_u32_e32 v26, vcc, v6, v26
	v_addc_co_u32_e32 v27, vcc, v7, v27, vcc
	s_or_b64 s[40:41], s[40:41], exec
	global_store_dwordx2 v[28:29], v[64:65], off
	global_store_dwordx2 v[26:27], v[68:69], off
	s_or_b64 exec, exec, s[36:37]
	s_and_b64 exec, exec, s[40:41]
	s_cbranch_execnz .LBB2229_194
	s_branch .LBB2229_195
.LBB2229_261:
	s_and_saveexec_b64 s[40:41], s[34:35]
	s_cbranch_execnz .LBB2229_317
; %bb.262:
	s_or_b64 exec, exec, s[40:41]
	s_and_saveexec_b64 s[34:35], s[30:31]
	s_cbranch_execnz .LBB2229_318
.LBB2229_263:
	s_or_b64 exec, exec, s[34:35]
	s_and_saveexec_b64 s[30:31], s[28:29]
	s_cbranch_execnz .LBB2229_319
.LBB2229_264:
	s_or_b64 exec, exec, s[30:31]
	s_and_saveexec_b64 s[28:29], s[26:27]
	s_cbranch_execnz .LBB2229_320
.LBB2229_265:
	s_or_b64 exec, exec, s[28:29]
	s_and_saveexec_b64 s[26:27], s[24:25]
	s_cbranch_execnz .LBB2229_321
.LBB2229_266:
	s_or_b64 exec, exec, s[26:27]
	s_and_saveexec_b64 s[24:25], s[22:23]
	s_cbranch_execnz .LBB2229_322
.LBB2229_267:
	s_or_b64 exec, exec, s[24:25]
	s_and_saveexec_b64 s[22:23], s[20:21]
	s_cbranch_execnz .LBB2229_323
.LBB2229_268:
	s_or_b64 exec, exec, s[22:23]
	s_and_saveexec_b64 s[20:21], s[18:19]
	s_cbranch_execnz .LBB2229_324
.LBB2229_269:
	s_or_b64 exec, exec, s[20:21]
	s_and_saveexec_b64 s[18:19], s[16:17]
	s_cbranch_execnz .LBB2229_325
.LBB2229_270:
	s_or_b64 exec, exec, s[18:19]
	s_and_saveexec_b64 s[16:17], s[14:15]
	s_cbranch_execnz .LBB2229_326
.LBB2229_271:
	s_or_b64 exec, exec, s[16:17]
	s_and_saveexec_b64 s[14:15], s[12:13]
	s_cbranch_execnz .LBB2229_327
.LBB2229_272:
	s_or_b64 exec, exec, s[14:15]
	s_and_saveexec_b64 s[12:13], s[8:9]
	s_cbranch_execnz .LBB2229_328
.LBB2229_273:
	s_or_b64 exec, exec, s[12:13]
	s_and_saveexec_b64 s[8:9], s[10:11]
	s_cbranch_execnz .LBB2229_329
.LBB2229_274:
	s_or_b64 exec, exec, s[8:9]
	s_and_saveexec_b64 s[8:9], s[6:7]
.LBB2229_275:
	v_sub_u32_e32 v12, v12, v8
	v_lshlrev_b32_e32 v12, 3, v12
	ds_write_b64 v12, v[68:69]
.LBB2229_276:
	s_or_b64 exec, exec, s[8:9]
	s_and_b64 s[40:41], s[4:5], exec
                                        ; implicit-def: $vgpr66_vgpr67
                                        ; implicit-def: $vgpr42_vgpr43
                                        ; implicit-def: $vgpr44_vgpr45
                                        ; implicit-def: $vgpr46_vgpr47
                                        ; implicit-def: $vgpr48_vgpr49
                                        ; implicit-def: $vgpr50_vgpr51
                                        ; implicit-def: $vgpr52_vgpr53
                                        ; implicit-def: $vgpr54_vgpr55
                                        ; implicit-def: $vgpr56_vgpr57
                                        ; implicit-def: $vgpr58_vgpr59
                                        ; implicit-def: $vgpr60_vgpr61
                                        ; implicit-def: $vgpr62_vgpr63
                                        ; implicit-def: $vgpr64_vgpr65
                                        ; implicit-def: $vgpr68_vgpr69
                                        ; implicit-def: $vgpr37
                                        ; implicit-def: $vgpr24
                                        ; implicit-def: $vgpr23
                                        ; implicit-def: $vgpr22
                                        ; implicit-def: $vgpr21
                                        ; implicit-def: $vgpr20
                                        ; implicit-def: $vgpr19
                                        ; implicit-def: $vgpr18
                                        ; implicit-def: $vgpr17
                                        ; implicit-def: $vgpr16
                                        ; implicit-def: $vgpr15
                                        ; implicit-def: $vgpr14
                                        ; implicit-def: $vgpr13
                                        ; implicit-def: $vgpr12
	s_andn2_saveexec_b64 s[4:5], s[38:39]
	s_cbranch_execz .LBB2229_200
.LBB2229_277:
	v_sub_u32_e32 v25, v37, v8
	v_sub_u32_e32 v24, v24, v8
	;; [unrolled: 1-line block ×14, first 2 shown]
	v_lshlrev_b32_e32 v25, 3, v25
	v_lshlrev_b32_e32 v24, 3, v24
	;; [unrolled: 1-line block ×14, first 2 shown]
	s_or_b64 s[40:41], s[40:41], exec
	ds_write_b64 v25, v[66:67]
	ds_write_b64 v24, v[42:43]
	;; [unrolled: 1-line block ×14, first 2 shown]
	s_or_b64 exec, exec, s[4:5]
	s_and_b64 exec, exec, s[40:41]
	s_cbranch_execnz .LBB2229_201
	s_branch .LBB2229_202
.LBB2229_278:
	v_sub_u32_e32 v27, v37, v40
	v_mov_b32_e32 v28, 0
	v_lshlrev_b64 v[27:28], 1, v[27:28]
	v_add_co_u32_e32 v27, vcc, v25, v27
	v_addc_co_u32_e32 v28, vcc, v26, v28, vcc
	global_store_short v[27:28], v77, off
	s_or_b64 exec, exec, s[42:43]
	s_and_saveexec_b64 s[42:43], s[34:35]
	s_cbranch_execz .LBB2229_212
.LBB2229_279:
	v_sub_u32_e32 v27, v24, v40
	v_mov_b32_e32 v28, 0
	v_lshlrev_b64 v[27:28], 1, v[27:28]
	v_add_co_u32_e32 v27, vcc, v25, v27
	v_addc_co_u32_e32 v28, vcc, v26, v28, vcc
	global_store_short v[27:28], v5, off
	s_or_b64 exec, exec, s[42:43]
	s_and_saveexec_b64 s[42:43], s[30:31]
	s_cbranch_execz .LBB2229_213
.LBB2229_280:
	v_sub_u32_e32 v27, v23, v40
	v_mov_b32_e32 v28, 0
	v_lshlrev_b64 v[27:28], 1, v[27:28]
	v_add_co_u32_e32 v27, vcc, v25, v27
	v_addc_co_u32_e32 v28, vcc, v26, v28, vcc
	global_store_short v[27:28], v81, off
	s_or_b64 exec, exec, s[42:43]
	s_and_saveexec_b64 s[42:43], s[28:29]
	s_cbranch_execz .LBB2229_214
.LBB2229_281:
	v_sub_u32_e32 v27, v22, v40
	v_mov_b32_e32 v28, 0
	v_lshlrev_b64 v[27:28], 1, v[27:28]
	v_add_co_u32_e32 v27, vcc, v25, v27
	v_addc_co_u32_e32 v28, vcc, v26, v28, vcc
	global_store_short v[27:28], v6, off
	s_or_b64 exec, exec, s[42:43]
	s_and_saveexec_b64 s[42:43], s[26:27]
	s_cbranch_execz .LBB2229_215
.LBB2229_282:
	v_sub_u32_e32 v27, v21, v40
	v_mov_b32_e32 v28, 0
	v_lshlrev_b64 v[27:28], 1, v[27:28]
	v_add_co_u32_e32 v27, vcc, v25, v27
	v_addc_co_u32_e32 v28, vcc, v26, v28, vcc
	global_store_short v[27:28], v80, off
	s_or_b64 exec, exec, s[42:43]
	s_and_saveexec_b64 s[42:43], s[24:25]
	s_cbranch_execz .LBB2229_216
.LBB2229_283:
	v_sub_u32_e32 v27, v20, v40
	v_mov_b32_e32 v28, 0
	v_lshlrev_b64 v[27:28], 1, v[27:28]
	v_add_co_u32_e32 v27, vcc, v25, v27
	v_addc_co_u32_e32 v28, vcc, v26, v28, vcc
	global_store_short v[27:28], v7, off
	s_or_b64 exec, exec, s[42:43]
	s_and_saveexec_b64 s[42:43], s[22:23]
	s_cbranch_execz .LBB2229_217
.LBB2229_284:
	v_sub_u32_e32 v27, v19, v40
	v_mov_b32_e32 v28, 0
	v_lshlrev_b64 v[27:28], 1, v[27:28]
	v_add_co_u32_e32 v27, vcc, v25, v27
	v_addc_co_u32_e32 v28, vcc, v26, v28, vcc
	global_store_short v[27:28], v79, off
	s_or_b64 exec, exec, s[42:43]
	s_and_saveexec_b64 s[42:43], s[20:21]
	s_cbranch_execz .LBB2229_218
.LBB2229_285:
	v_sub_u32_e32 v27, v18, v40
	v_mov_b32_e32 v28, 0
	v_lshlrev_b64 v[27:28], 1, v[27:28]
	v_add_co_u32_e32 v27, vcc, v25, v27
	v_addc_co_u32_e32 v28, vcc, v26, v28, vcc
	global_store_short v[27:28], v8, off
	s_or_b64 exec, exec, s[42:43]
	s_and_saveexec_b64 s[42:43], s[18:19]
	s_cbranch_execz .LBB2229_219
.LBB2229_286:
	v_sub_u32_e32 v27, v17, v40
	v_mov_b32_e32 v28, 0
	v_lshlrev_b64 v[27:28], 1, v[27:28]
	v_add_co_u32_e32 v27, vcc, v25, v27
	v_addc_co_u32_e32 v28, vcc, v26, v28, vcc
	global_store_short v[27:28], v78, off
	s_or_b64 exec, exec, s[42:43]
	s_and_saveexec_b64 s[42:43], s[16:17]
	s_cbranch_execz .LBB2229_220
.LBB2229_287:
	v_sub_u32_e32 v27, v16, v40
	v_mov_b32_e32 v28, 0
	v_lshlrev_b64 v[27:28], 1, v[27:28]
	v_add_co_u32_e32 v27, vcc, v25, v27
	v_addc_co_u32_e32 v28, vcc, v26, v28, vcc
	global_store_short v[27:28], v33, off
	s_or_b64 exec, exec, s[42:43]
	s_and_saveexec_b64 s[42:43], s[14:15]
	s_cbranch_execz .LBB2229_221
.LBB2229_288:
	v_sub_u32_e32 v27, v15, v40
	v_mov_b32_e32 v28, 0
	v_lshlrev_b64 v[27:28], 1, v[27:28]
	v_add_co_u32_e32 v27, vcc, v25, v27
	v_addc_co_u32_e32 v28, vcc, v26, v28, vcc
	global_store_short v[27:28], v76, off
	s_or_b64 exec, exec, s[42:43]
	s_and_saveexec_b64 s[42:43], s[12:13]
	s_cbranch_execz .LBB2229_222
.LBB2229_289:
	v_sub_u32_e32 v27, v14, v40
	v_mov_b32_e32 v28, 0
	v_lshlrev_b64 v[27:28], 1, v[27:28]
	v_add_co_u32_e32 v27, vcc, v25, v27
	v_addc_co_u32_e32 v28, vcc, v26, v28, vcc
	global_store_short v[27:28], v34, off
	s_or_b64 exec, exec, s[42:43]
	s_and_saveexec_b64 s[42:43], s[10:11]
	s_cbranch_execz .LBB2229_223
.LBB2229_290:
	v_sub_u32_e32 v27, v13, v40
	v_mov_b32_e32 v28, 0
	v_lshlrev_b64 v[27:28], 1, v[27:28]
	v_add_co_u32_e32 v27, vcc, v25, v27
	v_addc_co_u32_e32 v28, vcc, v26, v28, vcc
	global_store_short v[27:28], v75, off
	s_or_b64 exec, exec, s[42:43]
	s_and_saveexec_b64 s[42:43], s[6:7]
	s_cbranch_execnz .LBB2229_224
	s_branch .LBB2229_225
.LBB2229_291:
	v_sub_u32_e32 v1, v37, v40
	v_lshlrev_b32_e32 v1, 1, v1
	ds_write_b16 v1, v77
	s_or_b64 exec, exec, s[42:43]
	s_and_saveexec_b64 s[36:37], s[34:35]
	s_cbranch_execz .LBB2229_229
.LBB2229_292:
	v_sub_u32_e32 v1, v24, v40
	v_lshlrev_b32_e32 v1, 1, v1
	ds_write_b16 v1, v5
	s_or_b64 exec, exec, s[36:37]
	s_and_saveexec_b64 s[34:35], s[30:31]
	s_cbranch_execz .LBB2229_230
.LBB2229_293:
	v_sub_u32_e32 v1, v23, v40
	v_lshlrev_b32_e32 v1, 1, v1
	ds_write_b16 v1, v81
	s_or_b64 exec, exec, s[34:35]
	s_and_saveexec_b64 s[30:31], s[28:29]
	s_cbranch_execz .LBB2229_231
.LBB2229_294:
	v_sub_u32_e32 v1, v22, v40
	v_lshlrev_b32_e32 v1, 1, v1
	ds_write_b16 v1, v6
	s_or_b64 exec, exec, s[30:31]
	s_and_saveexec_b64 s[28:29], s[26:27]
	s_cbranch_execz .LBB2229_232
.LBB2229_295:
	v_sub_u32_e32 v1, v21, v40
	v_lshlrev_b32_e32 v1, 1, v1
	ds_write_b16 v1, v80
	s_or_b64 exec, exec, s[28:29]
	s_and_saveexec_b64 s[26:27], s[24:25]
	s_cbranch_execz .LBB2229_233
.LBB2229_296:
	v_sub_u32_e32 v1, v20, v40
	v_lshlrev_b32_e32 v1, 1, v1
	ds_write_b16 v1, v7
	s_or_b64 exec, exec, s[26:27]
	s_and_saveexec_b64 s[24:25], s[22:23]
	s_cbranch_execz .LBB2229_234
.LBB2229_297:
	v_sub_u32_e32 v1, v19, v40
	v_lshlrev_b32_e32 v1, 1, v1
	ds_write_b16 v1, v79
	s_or_b64 exec, exec, s[24:25]
	s_and_saveexec_b64 s[22:23], s[20:21]
	s_cbranch_execz .LBB2229_235
.LBB2229_298:
	v_sub_u32_e32 v1, v18, v40
	v_lshlrev_b32_e32 v1, 1, v1
	ds_write_b16 v1, v8
	s_or_b64 exec, exec, s[22:23]
	s_and_saveexec_b64 s[20:21], s[18:19]
	s_cbranch_execz .LBB2229_236
.LBB2229_299:
	v_sub_u32_e32 v1, v17, v40
	v_lshlrev_b32_e32 v1, 1, v1
	ds_write_b16 v1, v78
	s_or_b64 exec, exec, s[20:21]
	s_and_saveexec_b64 s[18:19], s[16:17]
	s_cbranch_execz .LBB2229_237
.LBB2229_300:
	v_sub_u32_e32 v1, v16, v40
	v_lshlrev_b32_e32 v1, 1, v1
	ds_write_b16 v1, v33
	s_or_b64 exec, exec, s[18:19]
	s_and_saveexec_b64 s[16:17], s[14:15]
	s_cbranch_execz .LBB2229_238
.LBB2229_301:
	v_sub_u32_e32 v1, v15, v40
	v_lshlrev_b32_e32 v1, 1, v1
	ds_write_b16 v1, v76
	s_or_b64 exec, exec, s[16:17]
	s_and_saveexec_b64 s[14:15], s[12:13]
	s_cbranch_execz .LBB2229_239
.LBB2229_302:
	v_sub_u32_e32 v1, v14, v40
	v_lshlrev_b32_e32 v1, 1, v1
	ds_write_b16 v1, v34
	s_or_b64 exec, exec, s[14:15]
	s_and_saveexec_b64 s[12:13], s[10:11]
	s_cbranch_execz .LBB2229_240
.LBB2229_303:
	v_sub_u32_e32 v1, v13, v40
	v_lshlrev_b32_e32 v1, 1, v1
	ds_write_b16 v1, v75
	s_or_b64 exec, exec, s[12:13]
	s_and_saveexec_b64 s[10:11], s[6:7]
	s_cbranch_execnz .LBB2229_241
	s_branch .LBB2229_242
.LBB2229_304:
	v_sub_u32_e32 v26, v37, v8
	v_mov_b32_e32 v27, 0
	v_lshlrev_b64 v[26:27], 3, v[26:27]
	v_add_co_u32_e32 v26, vcc, v6, v26
	v_addc_co_u32_e32 v27, vcc, v7, v27, vcc
	global_store_dwordx2 v[26:27], v[66:67], off
	s_or_b64 exec, exec, s[40:41]
	s_and_saveexec_b64 s[40:41], s[30:31]
	s_cbranch_execz .LBB2229_246
.LBB2229_305:
	v_sub_u32_e32 v26, v24, v8
	v_mov_b32_e32 v27, 0
	v_lshlrev_b64 v[26:27], 3, v[26:27]
	v_add_co_u32_e32 v26, vcc, v6, v26
	v_addc_co_u32_e32 v27, vcc, v7, v27, vcc
	global_store_dwordx2 v[26:27], v[42:43], off
	s_or_b64 exec, exec, s[40:41]
	s_and_saveexec_b64 s[40:41], s[28:29]
	s_cbranch_execz .LBB2229_247
.LBB2229_306:
	v_sub_u32_e32 v26, v23, v8
	v_mov_b32_e32 v27, 0
	v_lshlrev_b64 v[26:27], 3, v[26:27]
	v_add_co_u32_e32 v26, vcc, v6, v26
	v_addc_co_u32_e32 v27, vcc, v7, v27, vcc
	global_store_dwordx2 v[26:27], v[44:45], off
	s_or_b64 exec, exec, s[40:41]
	s_and_saveexec_b64 s[40:41], s[26:27]
	s_cbranch_execz .LBB2229_248
.LBB2229_307:
	v_sub_u32_e32 v26, v22, v8
	v_mov_b32_e32 v27, 0
	v_lshlrev_b64 v[26:27], 3, v[26:27]
	v_add_co_u32_e32 v26, vcc, v6, v26
	v_addc_co_u32_e32 v27, vcc, v7, v27, vcc
	global_store_dwordx2 v[26:27], v[46:47], off
	s_or_b64 exec, exec, s[40:41]
	s_and_saveexec_b64 s[40:41], s[24:25]
	s_cbranch_execz .LBB2229_249
.LBB2229_308:
	v_sub_u32_e32 v26, v21, v8
	v_mov_b32_e32 v27, 0
	v_lshlrev_b64 v[26:27], 3, v[26:27]
	v_add_co_u32_e32 v26, vcc, v6, v26
	v_addc_co_u32_e32 v27, vcc, v7, v27, vcc
	global_store_dwordx2 v[26:27], v[48:49], off
	s_or_b64 exec, exec, s[40:41]
	s_and_saveexec_b64 s[40:41], s[22:23]
	s_cbranch_execz .LBB2229_250
.LBB2229_309:
	v_sub_u32_e32 v26, v20, v8
	v_mov_b32_e32 v27, 0
	v_lshlrev_b64 v[26:27], 3, v[26:27]
	v_add_co_u32_e32 v26, vcc, v6, v26
	v_addc_co_u32_e32 v27, vcc, v7, v27, vcc
	global_store_dwordx2 v[26:27], v[50:51], off
	s_or_b64 exec, exec, s[40:41]
	s_and_saveexec_b64 s[40:41], s[20:21]
	s_cbranch_execz .LBB2229_251
.LBB2229_310:
	v_sub_u32_e32 v26, v19, v8
	v_mov_b32_e32 v27, 0
	v_lshlrev_b64 v[26:27], 3, v[26:27]
	v_add_co_u32_e32 v26, vcc, v6, v26
	v_addc_co_u32_e32 v27, vcc, v7, v27, vcc
	global_store_dwordx2 v[26:27], v[52:53], off
	s_or_b64 exec, exec, s[40:41]
	s_and_saveexec_b64 s[40:41], s[18:19]
	s_cbranch_execz .LBB2229_252
.LBB2229_311:
	v_sub_u32_e32 v26, v18, v8
	v_mov_b32_e32 v27, 0
	v_lshlrev_b64 v[26:27], 3, v[26:27]
	v_add_co_u32_e32 v26, vcc, v6, v26
	v_addc_co_u32_e32 v27, vcc, v7, v27, vcc
	global_store_dwordx2 v[26:27], v[54:55], off
	s_or_b64 exec, exec, s[40:41]
	s_and_saveexec_b64 s[40:41], s[16:17]
	s_cbranch_execz .LBB2229_253
.LBB2229_312:
	v_sub_u32_e32 v26, v17, v8
	v_mov_b32_e32 v27, 0
	v_lshlrev_b64 v[26:27], 3, v[26:27]
	v_add_co_u32_e32 v26, vcc, v6, v26
	v_addc_co_u32_e32 v27, vcc, v7, v27, vcc
	global_store_dwordx2 v[26:27], v[56:57], off
	s_or_b64 exec, exec, s[40:41]
	s_and_saveexec_b64 s[40:41], s[14:15]
	s_cbranch_execz .LBB2229_254
.LBB2229_313:
	v_sub_u32_e32 v26, v16, v8
	v_mov_b32_e32 v27, 0
	v_lshlrev_b64 v[26:27], 3, v[26:27]
	v_add_co_u32_e32 v26, vcc, v6, v26
	v_addc_co_u32_e32 v27, vcc, v7, v27, vcc
	global_store_dwordx2 v[26:27], v[58:59], off
	s_or_b64 exec, exec, s[40:41]
	s_and_saveexec_b64 s[40:41], s[12:13]
	s_cbranch_execz .LBB2229_255
.LBB2229_314:
	v_sub_u32_e32 v26, v15, v8
	v_mov_b32_e32 v27, 0
	v_lshlrev_b64 v[26:27], 3, v[26:27]
	v_add_co_u32_e32 v26, vcc, v6, v26
	v_addc_co_u32_e32 v27, vcc, v7, v27, vcc
	global_store_dwordx2 v[26:27], v[60:61], off
	s_or_b64 exec, exec, s[40:41]
	s_and_saveexec_b64 s[40:41], s[8:9]
	s_cbranch_execz .LBB2229_256
.LBB2229_315:
	v_sub_u32_e32 v26, v14, v8
	v_mov_b32_e32 v27, 0
	v_lshlrev_b64 v[26:27], 3, v[26:27]
	v_add_co_u32_e32 v26, vcc, v6, v26
	v_addc_co_u32_e32 v27, vcc, v7, v27, vcc
	global_store_dwordx2 v[26:27], v[62:63], off
	s_or_b64 exec, exec, s[40:41]
	s_and_saveexec_b64 s[40:41], s[10:11]
	s_cbranch_execz .LBB2229_257
.LBB2229_316:
	v_sub_u32_e32 v26, v13, v8
	v_mov_b32_e32 v27, 0
	v_lshlrev_b64 v[26:27], 3, v[26:27]
	v_add_co_u32_e32 v26, vcc, v6, v26
	v_addc_co_u32_e32 v27, vcc, v7, v27, vcc
	global_store_dwordx2 v[26:27], v[64:65], off
	s_or_b64 exec, exec, s[40:41]
	s_and_saveexec_b64 s[40:41], s[6:7]
	s_cbranch_execnz .LBB2229_258
	s_branch .LBB2229_259
.LBB2229_317:
	v_sub_u32_e32 v25, v37, v8
	v_lshlrev_b32_e32 v25, 3, v25
	ds_write_b64 v25, v[66:67]
	s_or_b64 exec, exec, s[40:41]
	s_and_saveexec_b64 s[34:35], s[30:31]
	s_cbranch_execz .LBB2229_263
.LBB2229_318:
	v_sub_u32_e32 v24, v24, v8
	v_lshlrev_b32_e32 v24, 3, v24
	ds_write_b64 v24, v[42:43]
	s_or_b64 exec, exec, s[34:35]
	s_and_saveexec_b64 s[30:31], s[28:29]
	s_cbranch_execz .LBB2229_264
.LBB2229_319:
	v_sub_u32_e32 v23, v23, v8
	v_lshlrev_b32_e32 v23, 3, v23
	ds_write_b64 v23, v[44:45]
	s_or_b64 exec, exec, s[30:31]
	s_and_saveexec_b64 s[28:29], s[26:27]
	s_cbranch_execz .LBB2229_265
.LBB2229_320:
	v_sub_u32_e32 v22, v22, v8
	v_lshlrev_b32_e32 v22, 3, v22
	ds_write_b64 v22, v[46:47]
	s_or_b64 exec, exec, s[28:29]
	s_and_saveexec_b64 s[26:27], s[24:25]
	s_cbranch_execz .LBB2229_266
.LBB2229_321:
	v_sub_u32_e32 v21, v21, v8
	v_lshlrev_b32_e32 v21, 3, v21
	ds_write_b64 v21, v[48:49]
	s_or_b64 exec, exec, s[26:27]
	s_and_saveexec_b64 s[24:25], s[22:23]
	s_cbranch_execz .LBB2229_267
.LBB2229_322:
	v_sub_u32_e32 v20, v20, v8
	v_lshlrev_b32_e32 v20, 3, v20
	ds_write_b64 v20, v[50:51]
	s_or_b64 exec, exec, s[24:25]
	s_and_saveexec_b64 s[22:23], s[20:21]
	s_cbranch_execz .LBB2229_268
.LBB2229_323:
	v_sub_u32_e32 v19, v19, v8
	v_lshlrev_b32_e32 v19, 3, v19
	ds_write_b64 v19, v[52:53]
	s_or_b64 exec, exec, s[22:23]
	s_and_saveexec_b64 s[20:21], s[18:19]
	s_cbranch_execz .LBB2229_269
.LBB2229_324:
	v_sub_u32_e32 v18, v18, v8
	v_lshlrev_b32_e32 v18, 3, v18
	ds_write_b64 v18, v[54:55]
	s_or_b64 exec, exec, s[20:21]
	s_and_saveexec_b64 s[18:19], s[16:17]
	s_cbranch_execz .LBB2229_270
.LBB2229_325:
	v_sub_u32_e32 v17, v17, v8
	v_lshlrev_b32_e32 v17, 3, v17
	ds_write_b64 v17, v[56:57]
	s_or_b64 exec, exec, s[18:19]
	s_and_saveexec_b64 s[16:17], s[14:15]
	s_cbranch_execz .LBB2229_271
.LBB2229_326:
	v_sub_u32_e32 v16, v16, v8
	v_lshlrev_b32_e32 v16, 3, v16
	ds_write_b64 v16, v[58:59]
	s_or_b64 exec, exec, s[16:17]
	s_and_saveexec_b64 s[14:15], s[12:13]
	s_cbranch_execz .LBB2229_272
.LBB2229_327:
	v_sub_u32_e32 v15, v15, v8
	v_lshlrev_b32_e32 v15, 3, v15
	ds_write_b64 v15, v[60:61]
	s_or_b64 exec, exec, s[14:15]
	s_and_saveexec_b64 s[12:13], s[8:9]
	s_cbranch_execz .LBB2229_273
.LBB2229_328:
	v_sub_u32_e32 v14, v14, v8
	v_lshlrev_b32_e32 v14, 3, v14
	ds_write_b64 v14, v[62:63]
	s_or_b64 exec, exec, s[12:13]
	s_and_saveexec_b64 s[8:9], s[10:11]
	s_cbranch_execz .LBB2229_274
.LBB2229_329:
	v_sub_u32_e32 v13, v13, v8
	v_lshlrev_b32_e32 v13, 3, v13
	ds_write_b64 v13, v[64:65]
	s_or_b64 exec, exec, s[8:9]
	s_and_saveexec_b64 s[8:9], s[6:7]
	s_cbranch_execnz .LBB2229_275
	s_branch .LBB2229_276
	.section	.rodata,"a",@progbits
	.p2align	6, 0x0
	.amdhsa_kernel _ZN7rocprim17ROCPRIM_400000_NS6detail17trampoline_kernelINS0_14default_configENS1_29reduce_by_key_config_selectorIN3c104HalfElN6thrust23THRUST_200600_302600_NS4plusIlEEEEZZNS1_33reduce_by_key_impl_wrapped_configILNS1_25lookback_scan_determinismE0ES3_SB_PS6_NS8_17constant_iteratorIiNS8_11use_defaultESG_EENS8_10device_ptrIS6_EENSI_IlEEPmSA_NS8_8equal_toIS6_EEEE10hipError_tPvRmT2_T3_mT4_T5_T6_T7_T8_P12ihipStream_tbENKUlT_T0_E_clISt17integral_constantIbLb0EES14_IbLb1EEEEDaS10_S11_EUlS10_E_NS1_11comp_targetILNS1_3genE2ELNS1_11target_archE906ELNS1_3gpuE6ELNS1_3repE0EEENS1_30default_config_static_selectorELNS0_4arch9wavefront6targetE1EEEvT1_
		.amdhsa_group_segment_fixed_size 30720
		.amdhsa_private_segment_fixed_size 64
		.amdhsa_kernarg_size 144
		.amdhsa_user_sgpr_count 6
		.amdhsa_user_sgpr_private_segment_buffer 1
		.amdhsa_user_sgpr_dispatch_ptr 0
		.amdhsa_user_sgpr_queue_ptr 0
		.amdhsa_user_sgpr_kernarg_segment_ptr 1
		.amdhsa_user_sgpr_dispatch_id 0
		.amdhsa_user_sgpr_flat_scratch_init 0
		.amdhsa_user_sgpr_private_segment_size 0
		.amdhsa_uses_dynamic_stack 0
		.amdhsa_system_sgpr_private_segment_wavefront_offset 1
		.amdhsa_system_sgpr_workgroup_id_x 1
		.amdhsa_system_sgpr_workgroup_id_y 0
		.amdhsa_system_sgpr_workgroup_id_z 0
		.amdhsa_system_sgpr_workgroup_info 0
		.amdhsa_system_vgpr_workitem_id 0
		.amdhsa_next_free_vgpr 106
		.amdhsa_next_free_sgpr 98
		.amdhsa_reserve_vcc 1
		.amdhsa_reserve_flat_scratch 0
		.amdhsa_float_round_mode_32 0
		.amdhsa_float_round_mode_16_64 0
		.amdhsa_float_denorm_mode_32 3
		.amdhsa_float_denorm_mode_16_64 3
		.amdhsa_dx10_clamp 1
		.amdhsa_ieee_mode 1
		.amdhsa_fp16_overflow 0
		.amdhsa_exception_fp_ieee_invalid_op 0
		.amdhsa_exception_fp_denorm_src 0
		.amdhsa_exception_fp_ieee_div_zero 0
		.amdhsa_exception_fp_ieee_overflow 0
		.amdhsa_exception_fp_ieee_underflow 0
		.amdhsa_exception_fp_ieee_inexact 0
		.amdhsa_exception_int_div_zero 0
	.end_amdhsa_kernel
	.section	.text._ZN7rocprim17ROCPRIM_400000_NS6detail17trampoline_kernelINS0_14default_configENS1_29reduce_by_key_config_selectorIN3c104HalfElN6thrust23THRUST_200600_302600_NS4plusIlEEEEZZNS1_33reduce_by_key_impl_wrapped_configILNS1_25lookback_scan_determinismE0ES3_SB_PS6_NS8_17constant_iteratorIiNS8_11use_defaultESG_EENS8_10device_ptrIS6_EENSI_IlEEPmSA_NS8_8equal_toIS6_EEEE10hipError_tPvRmT2_T3_mT4_T5_T6_T7_T8_P12ihipStream_tbENKUlT_T0_E_clISt17integral_constantIbLb0EES14_IbLb1EEEEDaS10_S11_EUlS10_E_NS1_11comp_targetILNS1_3genE2ELNS1_11target_archE906ELNS1_3gpuE6ELNS1_3repE0EEENS1_30default_config_static_selectorELNS0_4arch9wavefront6targetE1EEEvT1_,"axG",@progbits,_ZN7rocprim17ROCPRIM_400000_NS6detail17trampoline_kernelINS0_14default_configENS1_29reduce_by_key_config_selectorIN3c104HalfElN6thrust23THRUST_200600_302600_NS4plusIlEEEEZZNS1_33reduce_by_key_impl_wrapped_configILNS1_25lookback_scan_determinismE0ES3_SB_PS6_NS8_17constant_iteratorIiNS8_11use_defaultESG_EENS8_10device_ptrIS6_EENSI_IlEEPmSA_NS8_8equal_toIS6_EEEE10hipError_tPvRmT2_T3_mT4_T5_T6_T7_T8_P12ihipStream_tbENKUlT_T0_E_clISt17integral_constantIbLb0EES14_IbLb1EEEEDaS10_S11_EUlS10_E_NS1_11comp_targetILNS1_3genE2ELNS1_11target_archE906ELNS1_3gpuE6ELNS1_3repE0EEENS1_30default_config_static_selectorELNS0_4arch9wavefront6targetE1EEEvT1_,comdat
.Lfunc_end2229:
	.size	_ZN7rocprim17ROCPRIM_400000_NS6detail17trampoline_kernelINS0_14default_configENS1_29reduce_by_key_config_selectorIN3c104HalfElN6thrust23THRUST_200600_302600_NS4plusIlEEEEZZNS1_33reduce_by_key_impl_wrapped_configILNS1_25lookback_scan_determinismE0ES3_SB_PS6_NS8_17constant_iteratorIiNS8_11use_defaultESG_EENS8_10device_ptrIS6_EENSI_IlEEPmSA_NS8_8equal_toIS6_EEEE10hipError_tPvRmT2_T3_mT4_T5_T6_T7_T8_P12ihipStream_tbENKUlT_T0_E_clISt17integral_constantIbLb0EES14_IbLb1EEEEDaS10_S11_EUlS10_E_NS1_11comp_targetILNS1_3genE2ELNS1_11target_archE906ELNS1_3gpuE6ELNS1_3repE0EEENS1_30default_config_static_selectorELNS0_4arch9wavefront6targetE1EEEvT1_, .Lfunc_end2229-_ZN7rocprim17ROCPRIM_400000_NS6detail17trampoline_kernelINS0_14default_configENS1_29reduce_by_key_config_selectorIN3c104HalfElN6thrust23THRUST_200600_302600_NS4plusIlEEEEZZNS1_33reduce_by_key_impl_wrapped_configILNS1_25lookback_scan_determinismE0ES3_SB_PS6_NS8_17constant_iteratorIiNS8_11use_defaultESG_EENS8_10device_ptrIS6_EENSI_IlEEPmSA_NS8_8equal_toIS6_EEEE10hipError_tPvRmT2_T3_mT4_T5_T6_T7_T8_P12ihipStream_tbENKUlT_T0_E_clISt17integral_constantIbLb0EES14_IbLb1EEEEDaS10_S11_EUlS10_E_NS1_11comp_targetILNS1_3genE2ELNS1_11target_archE906ELNS1_3gpuE6ELNS1_3repE0EEENS1_30default_config_static_selectorELNS0_4arch9wavefront6targetE1EEEvT1_
                                        ; -- End function
	.set _ZN7rocprim17ROCPRIM_400000_NS6detail17trampoline_kernelINS0_14default_configENS1_29reduce_by_key_config_selectorIN3c104HalfElN6thrust23THRUST_200600_302600_NS4plusIlEEEEZZNS1_33reduce_by_key_impl_wrapped_configILNS1_25lookback_scan_determinismE0ES3_SB_PS6_NS8_17constant_iteratorIiNS8_11use_defaultESG_EENS8_10device_ptrIS6_EENSI_IlEEPmSA_NS8_8equal_toIS6_EEEE10hipError_tPvRmT2_T3_mT4_T5_T6_T7_T8_P12ihipStream_tbENKUlT_T0_E_clISt17integral_constantIbLb0EES14_IbLb1EEEEDaS10_S11_EUlS10_E_NS1_11comp_targetILNS1_3genE2ELNS1_11target_archE906ELNS1_3gpuE6ELNS1_3repE0EEENS1_30default_config_static_selectorELNS0_4arch9wavefront6targetE1EEEvT1_.num_vgpr, 106
	.set _ZN7rocprim17ROCPRIM_400000_NS6detail17trampoline_kernelINS0_14default_configENS1_29reduce_by_key_config_selectorIN3c104HalfElN6thrust23THRUST_200600_302600_NS4plusIlEEEEZZNS1_33reduce_by_key_impl_wrapped_configILNS1_25lookback_scan_determinismE0ES3_SB_PS6_NS8_17constant_iteratorIiNS8_11use_defaultESG_EENS8_10device_ptrIS6_EENSI_IlEEPmSA_NS8_8equal_toIS6_EEEE10hipError_tPvRmT2_T3_mT4_T5_T6_T7_T8_P12ihipStream_tbENKUlT_T0_E_clISt17integral_constantIbLb0EES14_IbLb1EEEEDaS10_S11_EUlS10_E_NS1_11comp_targetILNS1_3genE2ELNS1_11target_archE906ELNS1_3gpuE6ELNS1_3repE0EEENS1_30default_config_static_selectorELNS0_4arch9wavefront6targetE1EEEvT1_.num_agpr, 0
	.set _ZN7rocprim17ROCPRIM_400000_NS6detail17trampoline_kernelINS0_14default_configENS1_29reduce_by_key_config_selectorIN3c104HalfElN6thrust23THRUST_200600_302600_NS4plusIlEEEEZZNS1_33reduce_by_key_impl_wrapped_configILNS1_25lookback_scan_determinismE0ES3_SB_PS6_NS8_17constant_iteratorIiNS8_11use_defaultESG_EENS8_10device_ptrIS6_EENSI_IlEEPmSA_NS8_8equal_toIS6_EEEE10hipError_tPvRmT2_T3_mT4_T5_T6_T7_T8_P12ihipStream_tbENKUlT_T0_E_clISt17integral_constantIbLb0EES14_IbLb1EEEEDaS10_S11_EUlS10_E_NS1_11comp_targetILNS1_3genE2ELNS1_11target_archE906ELNS1_3gpuE6ELNS1_3repE0EEENS1_30default_config_static_selectorELNS0_4arch9wavefront6targetE1EEEvT1_.numbered_sgpr, 68
	.set _ZN7rocprim17ROCPRIM_400000_NS6detail17trampoline_kernelINS0_14default_configENS1_29reduce_by_key_config_selectorIN3c104HalfElN6thrust23THRUST_200600_302600_NS4plusIlEEEEZZNS1_33reduce_by_key_impl_wrapped_configILNS1_25lookback_scan_determinismE0ES3_SB_PS6_NS8_17constant_iteratorIiNS8_11use_defaultESG_EENS8_10device_ptrIS6_EENSI_IlEEPmSA_NS8_8equal_toIS6_EEEE10hipError_tPvRmT2_T3_mT4_T5_T6_T7_T8_P12ihipStream_tbENKUlT_T0_E_clISt17integral_constantIbLb0EES14_IbLb1EEEEDaS10_S11_EUlS10_E_NS1_11comp_targetILNS1_3genE2ELNS1_11target_archE906ELNS1_3gpuE6ELNS1_3repE0EEENS1_30default_config_static_selectorELNS0_4arch9wavefront6targetE1EEEvT1_.num_named_barrier, 0
	.set _ZN7rocprim17ROCPRIM_400000_NS6detail17trampoline_kernelINS0_14default_configENS1_29reduce_by_key_config_selectorIN3c104HalfElN6thrust23THRUST_200600_302600_NS4plusIlEEEEZZNS1_33reduce_by_key_impl_wrapped_configILNS1_25lookback_scan_determinismE0ES3_SB_PS6_NS8_17constant_iteratorIiNS8_11use_defaultESG_EENS8_10device_ptrIS6_EENSI_IlEEPmSA_NS8_8equal_toIS6_EEEE10hipError_tPvRmT2_T3_mT4_T5_T6_T7_T8_P12ihipStream_tbENKUlT_T0_E_clISt17integral_constantIbLb0EES14_IbLb1EEEEDaS10_S11_EUlS10_E_NS1_11comp_targetILNS1_3genE2ELNS1_11target_archE906ELNS1_3gpuE6ELNS1_3repE0EEENS1_30default_config_static_selectorELNS0_4arch9wavefront6targetE1EEEvT1_.private_seg_size, 64
	.set _ZN7rocprim17ROCPRIM_400000_NS6detail17trampoline_kernelINS0_14default_configENS1_29reduce_by_key_config_selectorIN3c104HalfElN6thrust23THRUST_200600_302600_NS4plusIlEEEEZZNS1_33reduce_by_key_impl_wrapped_configILNS1_25lookback_scan_determinismE0ES3_SB_PS6_NS8_17constant_iteratorIiNS8_11use_defaultESG_EENS8_10device_ptrIS6_EENSI_IlEEPmSA_NS8_8equal_toIS6_EEEE10hipError_tPvRmT2_T3_mT4_T5_T6_T7_T8_P12ihipStream_tbENKUlT_T0_E_clISt17integral_constantIbLb0EES14_IbLb1EEEEDaS10_S11_EUlS10_E_NS1_11comp_targetILNS1_3genE2ELNS1_11target_archE906ELNS1_3gpuE6ELNS1_3repE0EEENS1_30default_config_static_selectorELNS0_4arch9wavefront6targetE1EEEvT1_.uses_vcc, 1
	.set _ZN7rocprim17ROCPRIM_400000_NS6detail17trampoline_kernelINS0_14default_configENS1_29reduce_by_key_config_selectorIN3c104HalfElN6thrust23THRUST_200600_302600_NS4plusIlEEEEZZNS1_33reduce_by_key_impl_wrapped_configILNS1_25lookback_scan_determinismE0ES3_SB_PS6_NS8_17constant_iteratorIiNS8_11use_defaultESG_EENS8_10device_ptrIS6_EENSI_IlEEPmSA_NS8_8equal_toIS6_EEEE10hipError_tPvRmT2_T3_mT4_T5_T6_T7_T8_P12ihipStream_tbENKUlT_T0_E_clISt17integral_constantIbLb0EES14_IbLb1EEEEDaS10_S11_EUlS10_E_NS1_11comp_targetILNS1_3genE2ELNS1_11target_archE906ELNS1_3gpuE6ELNS1_3repE0EEENS1_30default_config_static_selectorELNS0_4arch9wavefront6targetE1EEEvT1_.uses_flat_scratch, 0
	.set _ZN7rocprim17ROCPRIM_400000_NS6detail17trampoline_kernelINS0_14default_configENS1_29reduce_by_key_config_selectorIN3c104HalfElN6thrust23THRUST_200600_302600_NS4plusIlEEEEZZNS1_33reduce_by_key_impl_wrapped_configILNS1_25lookback_scan_determinismE0ES3_SB_PS6_NS8_17constant_iteratorIiNS8_11use_defaultESG_EENS8_10device_ptrIS6_EENSI_IlEEPmSA_NS8_8equal_toIS6_EEEE10hipError_tPvRmT2_T3_mT4_T5_T6_T7_T8_P12ihipStream_tbENKUlT_T0_E_clISt17integral_constantIbLb0EES14_IbLb1EEEEDaS10_S11_EUlS10_E_NS1_11comp_targetILNS1_3genE2ELNS1_11target_archE906ELNS1_3gpuE6ELNS1_3repE0EEENS1_30default_config_static_selectorELNS0_4arch9wavefront6targetE1EEEvT1_.has_dyn_sized_stack, 0
	.set _ZN7rocprim17ROCPRIM_400000_NS6detail17trampoline_kernelINS0_14default_configENS1_29reduce_by_key_config_selectorIN3c104HalfElN6thrust23THRUST_200600_302600_NS4plusIlEEEEZZNS1_33reduce_by_key_impl_wrapped_configILNS1_25lookback_scan_determinismE0ES3_SB_PS6_NS8_17constant_iteratorIiNS8_11use_defaultESG_EENS8_10device_ptrIS6_EENSI_IlEEPmSA_NS8_8equal_toIS6_EEEE10hipError_tPvRmT2_T3_mT4_T5_T6_T7_T8_P12ihipStream_tbENKUlT_T0_E_clISt17integral_constantIbLb0EES14_IbLb1EEEEDaS10_S11_EUlS10_E_NS1_11comp_targetILNS1_3genE2ELNS1_11target_archE906ELNS1_3gpuE6ELNS1_3repE0EEENS1_30default_config_static_selectorELNS0_4arch9wavefront6targetE1EEEvT1_.has_recursion, 0
	.set _ZN7rocprim17ROCPRIM_400000_NS6detail17trampoline_kernelINS0_14default_configENS1_29reduce_by_key_config_selectorIN3c104HalfElN6thrust23THRUST_200600_302600_NS4plusIlEEEEZZNS1_33reduce_by_key_impl_wrapped_configILNS1_25lookback_scan_determinismE0ES3_SB_PS6_NS8_17constant_iteratorIiNS8_11use_defaultESG_EENS8_10device_ptrIS6_EENSI_IlEEPmSA_NS8_8equal_toIS6_EEEE10hipError_tPvRmT2_T3_mT4_T5_T6_T7_T8_P12ihipStream_tbENKUlT_T0_E_clISt17integral_constantIbLb0EES14_IbLb1EEEEDaS10_S11_EUlS10_E_NS1_11comp_targetILNS1_3genE2ELNS1_11target_archE906ELNS1_3gpuE6ELNS1_3repE0EEENS1_30default_config_static_selectorELNS0_4arch9wavefront6targetE1EEEvT1_.has_indirect_call, 0
	.section	.AMDGPU.csdata,"",@progbits
; Kernel info:
; codeLenInByte = 17588
; TotalNumSgprs: 72
; NumVgprs: 106
; ScratchSize: 64
; MemoryBound: 0
; FloatMode: 240
; IeeeMode: 1
; LDSByteSize: 30720 bytes/workgroup (compile time only)
; SGPRBlocks: 12
; VGPRBlocks: 26
; NumSGPRsForWavesPerEU: 102
; NumVGPRsForWavesPerEU: 106
; Occupancy: 2
; WaveLimiterHint : 1
; COMPUTE_PGM_RSRC2:SCRATCH_EN: 1
; COMPUTE_PGM_RSRC2:USER_SGPR: 6
; COMPUTE_PGM_RSRC2:TRAP_HANDLER: 0
; COMPUTE_PGM_RSRC2:TGID_X_EN: 1
; COMPUTE_PGM_RSRC2:TGID_Y_EN: 0
; COMPUTE_PGM_RSRC2:TGID_Z_EN: 0
; COMPUTE_PGM_RSRC2:TIDIG_COMP_CNT: 0
	.section	.text._ZN7rocprim17ROCPRIM_400000_NS6detail17trampoline_kernelINS0_14default_configENS1_29reduce_by_key_config_selectorIN3c104HalfElN6thrust23THRUST_200600_302600_NS4plusIlEEEEZZNS1_33reduce_by_key_impl_wrapped_configILNS1_25lookback_scan_determinismE0ES3_SB_PS6_NS8_17constant_iteratorIiNS8_11use_defaultESG_EENS8_10device_ptrIS6_EENSI_IlEEPmSA_NS8_8equal_toIS6_EEEE10hipError_tPvRmT2_T3_mT4_T5_T6_T7_T8_P12ihipStream_tbENKUlT_T0_E_clISt17integral_constantIbLb0EES14_IbLb1EEEEDaS10_S11_EUlS10_E_NS1_11comp_targetILNS1_3genE10ELNS1_11target_archE1201ELNS1_3gpuE5ELNS1_3repE0EEENS1_30default_config_static_selectorELNS0_4arch9wavefront6targetE1EEEvT1_,"axG",@progbits,_ZN7rocprim17ROCPRIM_400000_NS6detail17trampoline_kernelINS0_14default_configENS1_29reduce_by_key_config_selectorIN3c104HalfElN6thrust23THRUST_200600_302600_NS4plusIlEEEEZZNS1_33reduce_by_key_impl_wrapped_configILNS1_25lookback_scan_determinismE0ES3_SB_PS6_NS8_17constant_iteratorIiNS8_11use_defaultESG_EENS8_10device_ptrIS6_EENSI_IlEEPmSA_NS8_8equal_toIS6_EEEE10hipError_tPvRmT2_T3_mT4_T5_T6_T7_T8_P12ihipStream_tbENKUlT_T0_E_clISt17integral_constantIbLb0EES14_IbLb1EEEEDaS10_S11_EUlS10_E_NS1_11comp_targetILNS1_3genE10ELNS1_11target_archE1201ELNS1_3gpuE5ELNS1_3repE0EEENS1_30default_config_static_selectorELNS0_4arch9wavefront6targetE1EEEvT1_,comdat
	.protected	_ZN7rocprim17ROCPRIM_400000_NS6detail17trampoline_kernelINS0_14default_configENS1_29reduce_by_key_config_selectorIN3c104HalfElN6thrust23THRUST_200600_302600_NS4plusIlEEEEZZNS1_33reduce_by_key_impl_wrapped_configILNS1_25lookback_scan_determinismE0ES3_SB_PS6_NS8_17constant_iteratorIiNS8_11use_defaultESG_EENS8_10device_ptrIS6_EENSI_IlEEPmSA_NS8_8equal_toIS6_EEEE10hipError_tPvRmT2_T3_mT4_T5_T6_T7_T8_P12ihipStream_tbENKUlT_T0_E_clISt17integral_constantIbLb0EES14_IbLb1EEEEDaS10_S11_EUlS10_E_NS1_11comp_targetILNS1_3genE10ELNS1_11target_archE1201ELNS1_3gpuE5ELNS1_3repE0EEENS1_30default_config_static_selectorELNS0_4arch9wavefront6targetE1EEEvT1_ ; -- Begin function _ZN7rocprim17ROCPRIM_400000_NS6detail17trampoline_kernelINS0_14default_configENS1_29reduce_by_key_config_selectorIN3c104HalfElN6thrust23THRUST_200600_302600_NS4plusIlEEEEZZNS1_33reduce_by_key_impl_wrapped_configILNS1_25lookback_scan_determinismE0ES3_SB_PS6_NS8_17constant_iteratorIiNS8_11use_defaultESG_EENS8_10device_ptrIS6_EENSI_IlEEPmSA_NS8_8equal_toIS6_EEEE10hipError_tPvRmT2_T3_mT4_T5_T6_T7_T8_P12ihipStream_tbENKUlT_T0_E_clISt17integral_constantIbLb0EES14_IbLb1EEEEDaS10_S11_EUlS10_E_NS1_11comp_targetILNS1_3genE10ELNS1_11target_archE1201ELNS1_3gpuE5ELNS1_3repE0EEENS1_30default_config_static_selectorELNS0_4arch9wavefront6targetE1EEEvT1_
	.globl	_ZN7rocprim17ROCPRIM_400000_NS6detail17trampoline_kernelINS0_14default_configENS1_29reduce_by_key_config_selectorIN3c104HalfElN6thrust23THRUST_200600_302600_NS4plusIlEEEEZZNS1_33reduce_by_key_impl_wrapped_configILNS1_25lookback_scan_determinismE0ES3_SB_PS6_NS8_17constant_iteratorIiNS8_11use_defaultESG_EENS8_10device_ptrIS6_EENSI_IlEEPmSA_NS8_8equal_toIS6_EEEE10hipError_tPvRmT2_T3_mT4_T5_T6_T7_T8_P12ihipStream_tbENKUlT_T0_E_clISt17integral_constantIbLb0EES14_IbLb1EEEEDaS10_S11_EUlS10_E_NS1_11comp_targetILNS1_3genE10ELNS1_11target_archE1201ELNS1_3gpuE5ELNS1_3repE0EEENS1_30default_config_static_selectorELNS0_4arch9wavefront6targetE1EEEvT1_
	.p2align	8
	.type	_ZN7rocprim17ROCPRIM_400000_NS6detail17trampoline_kernelINS0_14default_configENS1_29reduce_by_key_config_selectorIN3c104HalfElN6thrust23THRUST_200600_302600_NS4plusIlEEEEZZNS1_33reduce_by_key_impl_wrapped_configILNS1_25lookback_scan_determinismE0ES3_SB_PS6_NS8_17constant_iteratorIiNS8_11use_defaultESG_EENS8_10device_ptrIS6_EENSI_IlEEPmSA_NS8_8equal_toIS6_EEEE10hipError_tPvRmT2_T3_mT4_T5_T6_T7_T8_P12ihipStream_tbENKUlT_T0_E_clISt17integral_constantIbLb0EES14_IbLb1EEEEDaS10_S11_EUlS10_E_NS1_11comp_targetILNS1_3genE10ELNS1_11target_archE1201ELNS1_3gpuE5ELNS1_3repE0EEENS1_30default_config_static_selectorELNS0_4arch9wavefront6targetE1EEEvT1_,@function
_ZN7rocprim17ROCPRIM_400000_NS6detail17trampoline_kernelINS0_14default_configENS1_29reduce_by_key_config_selectorIN3c104HalfElN6thrust23THRUST_200600_302600_NS4plusIlEEEEZZNS1_33reduce_by_key_impl_wrapped_configILNS1_25lookback_scan_determinismE0ES3_SB_PS6_NS8_17constant_iteratorIiNS8_11use_defaultESG_EENS8_10device_ptrIS6_EENSI_IlEEPmSA_NS8_8equal_toIS6_EEEE10hipError_tPvRmT2_T3_mT4_T5_T6_T7_T8_P12ihipStream_tbENKUlT_T0_E_clISt17integral_constantIbLb0EES14_IbLb1EEEEDaS10_S11_EUlS10_E_NS1_11comp_targetILNS1_3genE10ELNS1_11target_archE1201ELNS1_3gpuE5ELNS1_3repE0EEENS1_30default_config_static_selectorELNS0_4arch9wavefront6targetE1EEEvT1_: ; @_ZN7rocprim17ROCPRIM_400000_NS6detail17trampoline_kernelINS0_14default_configENS1_29reduce_by_key_config_selectorIN3c104HalfElN6thrust23THRUST_200600_302600_NS4plusIlEEEEZZNS1_33reduce_by_key_impl_wrapped_configILNS1_25lookback_scan_determinismE0ES3_SB_PS6_NS8_17constant_iteratorIiNS8_11use_defaultESG_EENS8_10device_ptrIS6_EENSI_IlEEPmSA_NS8_8equal_toIS6_EEEE10hipError_tPvRmT2_T3_mT4_T5_T6_T7_T8_P12ihipStream_tbENKUlT_T0_E_clISt17integral_constantIbLb0EES14_IbLb1EEEEDaS10_S11_EUlS10_E_NS1_11comp_targetILNS1_3genE10ELNS1_11target_archE1201ELNS1_3gpuE5ELNS1_3repE0EEENS1_30default_config_static_selectorELNS0_4arch9wavefront6targetE1EEEvT1_
; %bb.0:
	.section	.rodata,"a",@progbits
	.p2align	6, 0x0
	.amdhsa_kernel _ZN7rocprim17ROCPRIM_400000_NS6detail17trampoline_kernelINS0_14default_configENS1_29reduce_by_key_config_selectorIN3c104HalfElN6thrust23THRUST_200600_302600_NS4plusIlEEEEZZNS1_33reduce_by_key_impl_wrapped_configILNS1_25lookback_scan_determinismE0ES3_SB_PS6_NS8_17constant_iteratorIiNS8_11use_defaultESG_EENS8_10device_ptrIS6_EENSI_IlEEPmSA_NS8_8equal_toIS6_EEEE10hipError_tPvRmT2_T3_mT4_T5_T6_T7_T8_P12ihipStream_tbENKUlT_T0_E_clISt17integral_constantIbLb0EES14_IbLb1EEEEDaS10_S11_EUlS10_E_NS1_11comp_targetILNS1_3genE10ELNS1_11target_archE1201ELNS1_3gpuE5ELNS1_3repE0EEENS1_30default_config_static_selectorELNS0_4arch9wavefront6targetE1EEEvT1_
		.amdhsa_group_segment_fixed_size 0
		.amdhsa_private_segment_fixed_size 0
		.amdhsa_kernarg_size 144
		.amdhsa_user_sgpr_count 6
		.amdhsa_user_sgpr_private_segment_buffer 1
		.amdhsa_user_sgpr_dispatch_ptr 0
		.amdhsa_user_sgpr_queue_ptr 0
		.amdhsa_user_sgpr_kernarg_segment_ptr 1
		.amdhsa_user_sgpr_dispatch_id 0
		.amdhsa_user_sgpr_flat_scratch_init 0
		.amdhsa_user_sgpr_private_segment_size 0
		.amdhsa_uses_dynamic_stack 0
		.amdhsa_system_sgpr_private_segment_wavefront_offset 0
		.amdhsa_system_sgpr_workgroup_id_x 1
		.amdhsa_system_sgpr_workgroup_id_y 0
		.amdhsa_system_sgpr_workgroup_id_z 0
		.amdhsa_system_sgpr_workgroup_info 0
		.amdhsa_system_vgpr_workitem_id 0
		.amdhsa_next_free_vgpr 1
		.amdhsa_next_free_sgpr 0
		.amdhsa_reserve_vcc 0
		.amdhsa_reserve_flat_scratch 0
		.amdhsa_float_round_mode_32 0
		.amdhsa_float_round_mode_16_64 0
		.amdhsa_float_denorm_mode_32 3
		.amdhsa_float_denorm_mode_16_64 3
		.amdhsa_dx10_clamp 1
		.amdhsa_ieee_mode 1
		.amdhsa_fp16_overflow 0
		.amdhsa_exception_fp_ieee_invalid_op 0
		.amdhsa_exception_fp_denorm_src 0
		.amdhsa_exception_fp_ieee_div_zero 0
		.amdhsa_exception_fp_ieee_overflow 0
		.amdhsa_exception_fp_ieee_underflow 0
		.amdhsa_exception_fp_ieee_inexact 0
		.amdhsa_exception_int_div_zero 0
	.end_amdhsa_kernel
	.section	.text._ZN7rocprim17ROCPRIM_400000_NS6detail17trampoline_kernelINS0_14default_configENS1_29reduce_by_key_config_selectorIN3c104HalfElN6thrust23THRUST_200600_302600_NS4plusIlEEEEZZNS1_33reduce_by_key_impl_wrapped_configILNS1_25lookback_scan_determinismE0ES3_SB_PS6_NS8_17constant_iteratorIiNS8_11use_defaultESG_EENS8_10device_ptrIS6_EENSI_IlEEPmSA_NS8_8equal_toIS6_EEEE10hipError_tPvRmT2_T3_mT4_T5_T6_T7_T8_P12ihipStream_tbENKUlT_T0_E_clISt17integral_constantIbLb0EES14_IbLb1EEEEDaS10_S11_EUlS10_E_NS1_11comp_targetILNS1_3genE10ELNS1_11target_archE1201ELNS1_3gpuE5ELNS1_3repE0EEENS1_30default_config_static_selectorELNS0_4arch9wavefront6targetE1EEEvT1_,"axG",@progbits,_ZN7rocprim17ROCPRIM_400000_NS6detail17trampoline_kernelINS0_14default_configENS1_29reduce_by_key_config_selectorIN3c104HalfElN6thrust23THRUST_200600_302600_NS4plusIlEEEEZZNS1_33reduce_by_key_impl_wrapped_configILNS1_25lookback_scan_determinismE0ES3_SB_PS6_NS8_17constant_iteratorIiNS8_11use_defaultESG_EENS8_10device_ptrIS6_EENSI_IlEEPmSA_NS8_8equal_toIS6_EEEE10hipError_tPvRmT2_T3_mT4_T5_T6_T7_T8_P12ihipStream_tbENKUlT_T0_E_clISt17integral_constantIbLb0EES14_IbLb1EEEEDaS10_S11_EUlS10_E_NS1_11comp_targetILNS1_3genE10ELNS1_11target_archE1201ELNS1_3gpuE5ELNS1_3repE0EEENS1_30default_config_static_selectorELNS0_4arch9wavefront6targetE1EEEvT1_,comdat
.Lfunc_end2230:
	.size	_ZN7rocprim17ROCPRIM_400000_NS6detail17trampoline_kernelINS0_14default_configENS1_29reduce_by_key_config_selectorIN3c104HalfElN6thrust23THRUST_200600_302600_NS4plusIlEEEEZZNS1_33reduce_by_key_impl_wrapped_configILNS1_25lookback_scan_determinismE0ES3_SB_PS6_NS8_17constant_iteratorIiNS8_11use_defaultESG_EENS8_10device_ptrIS6_EENSI_IlEEPmSA_NS8_8equal_toIS6_EEEE10hipError_tPvRmT2_T3_mT4_T5_T6_T7_T8_P12ihipStream_tbENKUlT_T0_E_clISt17integral_constantIbLb0EES14_IbLb1EEEEDaS10_S11_EUlS10_E_NS1_11comp_targetILNS1_3genE10ELNS1_11target_archE1201ELNS1_3gpuE5ELNS1_3repE0EEENS1_30default_config_static_selectorELNS0_4arch9wavefront6targetE1EEEvT1_, .Lfunc_end2230-_ZN7rocprim17ROCPRIM_400000_NS6detail17trampoline_kernelINS0_14default_configENS1_29reduce_by_key_config_selectorIN3c104HalfElN6thrust23THRUST_200600_302600_NS4plusIlEEEEZZNS1_33reduce_by_key_impl_wrapped_configILNS1_25lookback_scan_determinismE0ES3_SB_PS6_NS8_17constant_iteratorIiNS8_11use_defaultESG_EENS8_10device_ptrIS6_EENSI_IlEEPmSA_NS8_8equal_toIS6_EEEE10hipError_tPvRmT2_T3_mT4_T5_T6_T7_T8_P12ihipStream_tbENKUlT_T0_E_clISt17integral_constantIbLb0EES14_IbLb1EEEEDaS10_S11_EUlS10_E_NS1_11comp_targetILNS1_3genE10ELNS1_11target_archE1201ELNS1_3gpuE5ELNS1_3repE0EEENS1_30default_config_static_selectorELNS0_4arch9wavefront6targetE1EEEvT1_
                                        ; -- End function
	.set _ZN7rocprim17ROCPRIM_400000_NS6detail17trampoline_kernelINS0_14default_configENS1_29reduce_by_key_config_selectorIN3c104HalfElN6thrust23THRUST_200600_302600_NS4plusIlEEEEZZNS1_33reduce_by_key_impl_wrapped_configILNS1_25lookback_scan_determinismE0ES3_SB_PS6_NS8_17constant_iteratorIiNS8_11use_defaultESG_EENS8_10device_ptrIS6_EENSI_IlEEPmSA_NS8_8equal_toIS6_EEEE10hipError_tPvRmT2_T3_mT4_T5_T6_T7_T8_P12ihipStream_tbENKUlT_T0_E_clISt17integral_constantIbLb0EES14_IbLb1EEEEDaS10_S11_EUlS10_E_NS1_11comp_targetILNS1_3genE10ELNS1_11target_archE1201ELNS1_3gpuE5ELNS1_3repE0EEENS1_30default_config_static_selectorELNS0_4arch9wavefront6targetE1EEEvT1_.num_vgpr, 0
	.set _ZN7rocprim17ROCPRIM_400000_NS6detail17trampoline_kernelINS0_14default_configENS1_29reduce_by_key_config_selectorIN3c104HalfElN6thrust23THRUST_200600_302600_NS4plusIlEEEEZZNS1_33reduce_by_key_impl_wrapped_configILNS1_25lookback_scan_determinismE0ES3_SB_PS6_NS8_17constant_iteratorIiNS8_11use_defaultESG_EENS8_10device_ptrIS6_EENSI_IlEEPmSA_NS8_8equal_toIS6_EEEE10hipError_tPvRmT2_T3_mT4_T5_T6_T7_T8_P12ihipStream_tbENKUlT_T0_E_clISt17integral_constantIbLb0EES14_IbLb1EEEEDaS10_S11_EUlS10_E_NS1_11comp_targetILNS1_3genE10ELNS1_11target_archE1201ELNS1_3gpuE5ELNS1_3repE0EEENS1_30default_config_static_selectorELNS0_4arch9wavefront6targetE1EEEvT1_.num_agpr, 0
	.set _ZN7rocprim17ROCPRIM_400000_NS6detail17trampoline_kernelINS0_14default_configENS1_29reduce_by_key_config_selectorIN3c104HalfElN6thrust23THRUST_200600_302600_NS4plusIlEEEEZZNS1_33reduce_by_key_impl_wrapped_configILNS1_25lookback_scan_determinismE0ES3_SB_PS6_NS8_17constant_iteratorIiNS8_11use_defaultESG_EENS8_10device_ptrIS6_EENSI_IlEEPmSA_NS8_8equal_toIS6_EEEE10hipError_tPvRmT2_T3_mT4_T5_T6_T7_T8_P12ihipStream_tbENKUlT_T0_E_clISt17integral_constantIbLb0EES14_IbLb1EEEEDaS10_S11_EUlS10_E_NS1_11comp_targetILNS1_3genE10ELNS1_11target_archE1201ELNS1_3gpuE5ELNS1_3repE0EEENS1_30default_config_static_selectorELNS0_4arch9wavefront6targetE1EEEvT1_.numbered_sgpr, 0
	.set _ZN7rocprim17ROCPRIM_400000_NS6detail17trampoline_kernelINS0_14default_configENS1_29reduce_by_key_config_selectorIN3c104HalfElN6thrust23THRUST_200600_302600_NS4plusIlEEEEZZNS1_33reduce_by_key_impl_wrapped_configILNS1_25lookback_scan_determinismE0ES3_SB_PS6_NS8_17constant_iteratorIiNS8_11use_defaultESG_EENS8_10device_ptrIS6_EENSI_IlEEPmSA_NS8_8equal_toIS6_EEEE10hipError_tPvRmT2_T3_mT4_T5_T6_T7_T8_P12ihipStream_tbENKUlT_T0_E_clISt17integral_constantIbLb0EES14_IbLb1EEEEDaS10_S11_EUlS10_E_NS1_11comp_targetILNS1_3genE10ELNS1_11target_archE1201ELNS1_3gpuE5ELNS1_3repE0EEENS1_30default_config_static_selectorELNS0_4arch9wavefront6targetE1EEEvT1_.num_named_barrier, 0
	.set _ZN7rocprim17ROCPRIM_400000_NS6detail17trampoline_kernelINS0_14default_configENS1_29reduce_by_key_config_selectorIN3c104HalfElN6thrust23THRUST_200600_302600_NS4plusIlEEEEZZNS1_33reduce_by_key_impl_wrapped_configILNS1_25lookback_scan_determinismE0ES3_SB_PS6_NS8_17constant_iteratorIiNS8_11use_defaultESG_EENS8_10device_ptrIS6_EENSI_IlEEPmSA_NS8_8equal_toIS6_EEEE10hipError_tPvRmT2_T3_mT4_T5_T6_T7_T8_P12ihipStream_tbENKUlT_T0_E_clISt17integral_constantIbLb0EES14_IbLb1EEEEDaS10_S11_EUlS10_E_NS1_11comp_targetILNS1_3genE10ELNS1_11target_archE1201ELNS1_3gpuE5ELNS1_3repE0EEENS1_30default_config_static_selectorELNS0_4arch9wavefront6targetE1EEEvT1_.private_seg_size, 0
	.set _ZN7rocprim17ROCPRIM_400000_NS6detail17trampoline_kernelINS0_14default_configENS1_29reduce_by_key_config_selectorIN3c104HalfElN6thrust23THRUST_200600_302600_NS4plusIlEEEEZZNS1_33reduce_by_key_impl_wrapped_configILNS1_25lookback_scan_determinismE0ES3_SB_PS6_NS8_17constant_iteratorIiNS8_11use_defaultESG_EENS8_10device_ptrIS6_EENSI_IlEEPmSA_NS8_8equal_toIS6_EEEE10hipError_tPvRmT2_T3_mT4_T5_T6_T7_T8_P12ihipStream_tbENKUlT_T0_E_clISt17integral_constantIbLb0EES14_IbLb1EEEEDaS10_S11_EUlS10_E_NS1_11comp_targetILNS1_3genE10ELNS1_11target_archE1201ELNS1_3gpuE5ELNS1_3repE0EEENS1_30default_config_static_selectorELNS0_4arch9wavefront6targetE1EEEvT1_.uses_vcc, 0
	.set _ZN7rocprim17ROCPRIM_400000_NS6detail17trampoline_kernelINS0_14default_configENS1_29reduce_by_key_config_selectorIN3c104HalfElN6thrust23THRUST_200600_302600_NS4plusIlEEEEZZNS1_33reduce_by_key_impl_wrapped_configILNS1_25lookback_scan_determinismE0ES3_SB_PS6_NS8_17constant_iteratorIiNS8_11use_defaultESG_EENS8_10device_ptrIS6_EENSI_IlEEPmSA_NS8_8equal_toIS6_EEEE10hipError_tPvRmT2_T3_mT4_T5_T6_T7_T8_P12ihipStream_tbENKUlT_T0_E_clISt17integral_constantIbLb0EES14_IbLb1EEEEDaS10_S11_EUlS10_E_NS1_11comp_targetILNS1_3genE10ELNS1_11target_archE1201ELNS1_3gpuE5ELNS1_3repE0EEENS1_30default_config_static_selectorELNS0_4arch9wavefront6targetE1EEEvT1_.uses_flat_scratch, 0
	.set _ZN7rocprim17ROCPRIM_400000_NS6detail17trampoline_kernelINS0_14default_configENS1_29reduce_by_key_config_selectorIN3c104HalfElN6thrust23THRUST_200600_302600_NS4plusIlEEEEZZNS1_33reduce_by_key_impl_wrapped_configILNS1_25lookback_scan_determinismE0ES3_SB_PS6_NS8_17constant_iteratorIiNS8_11use_defaultESG_EENS8_10device_ptrIS6_EENSI_IlEEPmSA_NS8_8equal_toIS6_EEEE10hipError_tPvRmT2_T3_mT4_T5_T6_T7_T8_P12ihipStream_tbENKUlT_T0_E_clISt17integral_constantIbLb0EES14_IbLb1EEEEDaS10_S11_EUlS10_E_NS1_11comp_targetILNS1_3genE10ELNS1_11target_archE1201ELNS1_3gpuE5ELNS1_3repE0EEENS1_30default_config_static_selectorELNS0_4arch9wavefront6targetE1EEEvT1_.has_dyn_sized_stack, 0
	.set _ZN7rocprim17ROCPRIM_400000_NS6detail17trampoline_kernelINS0_14default_configENS1_29reduce_by_key_config_selectorIN3c104HalfElN6thrust23THRUST_200600_302600_NS4plusIlEEEEZZNS1_33reduce_by_key_impl_wrapped_configILNS1_25lookback_scan_determinismE0ES3_SB_PS6_NS8_17constant_iteratorIiNS8_11use_defaultESG_EENS8_10device_ptrIS6_EENSI_IlEEPmSA_NS8_8equal_toIS6_EEEE10hipError_tPvRmT2_T3_mT4_T5_T6_T7_T8_P12ihipStream_tbENKUlT_T0_E_clISt17integral_constantIbLb0EES14_IbLb1EEEEDaS10_S11_EUlS10_E_NS1_11comp_targetILNS1_3genE10ELNS1_11target_archE1201ELNS1_3gpuE5ELNS1_3repE0EEENS1_30default_config_static_selectorELNS0_4arch9wavefront6targetE1EEEvT1_.has_recursion, 0
	.set _ZN7rocprim17ROCPRIM_400000_NS6detail17trampoline_kernelINS0_14default_configENS1_29reduce_by_key_config_selectorIN3c104HalfElN6thrust23THRUST_200600_302600_NS4plusIlEEEEZZNS1_33reduce_by_key_impl_wrapped_configILNS1_25lookback_scan_determinismE0ES3_SB_PS6_NS8_17constant_iteratorIiNS8_11use_defaultESG_EENS8_10device_ptrIS6_EENSI_IlEEPmSA_NS8_8equal_toIS6_EEEE10hipError_tPvRmT2_T3_mT4_T5_T6_T7_T8_P12ihipStream_tbENKUlT_T0_E_clISt17integral_constantIbLb0EES14_IbLb1EEEEDaS10_S11_EUlS10_E_NS1_11comp_targetILNS1_3genE10ELNS1_11target_archE1201ELNS1_3gpuE5ELNS1_3repE0EEENS1_30default_config_static_selectorELNS0_4arch9wavefront6targetE1EEEvT1_.has_indirect_call, 0
	.section	.AMDGPU.csdata,"",@progbits
; Kernel info:
; codeLenInByte = 0
; TotalNumSgprs: 4
; NumVgprs: 0
; ScratchSize: 0
; MemoryBound: 0
; FloatMode: 240
; IeeeMode: 1
; LDSByteSize: 0 bytes/workgroup (compile time only)
; SGPRBlocks: 0
; VGPRBlocks: 0
; NumSGPRsForWavesPerEU: 4
; NumVGPRsForWavesPerEU: 1
; Occupancy: 10
; WaveLimiterHint : 0
; COMPUTE_PGM_RSRC2:SCRATCH_EN: 0
; COMPUTE_PGM_RSRC2:USER_SGPR: 6
; COMPUTE_PGM_RSRC2:TRAP_HANDLER: 0
; COMPUTE_PGM_RSRC2:TGID_X_EN: 1
; COMPUTE_PGM_RSRC2:TGID_Y_EN: 0
; COMPUTE_PGM_RSRC2:TGID_Z_EN: 0
; COMPUTE_PGM_RSRC2:TIDIG_COMP_CNT: 0
	.section	.text._ZN7rocprim17ROCPRIM_400000_NS6detail17trampoline_kernelINS0_14default_configENS1_29reduce_by_key_config_selectorIN3c104HalfElN6thrust23THRUST_200600_302600_NS4plusIlEEEEZZNS1_33reduce_by_key_impl_wrapped_configILNS1_25lookback_scan_determinismE0ES3_SB_PS6_NS8_17constant_iteratorIiNS8_11use_defaultESG_EENS8_10device_ptrIS6_EENSI_IlEEPmSA_NS8_8equal_toIS6_EEEE10hipError_tPvRmT2_T3_mT4_T5_T6_T7_T8_P12ihipStream_tbENKUlT_T0_E_clISt17integral_constantIbLb0EES14_IbLb1EEEEDaS10_S11_EUlS10_E_NS1_11comp_targetILNS1_3genE10ELNS1_11target_archE1200ELNS1_3gpuE4ELNS1_3repE0EEENS1_30default_config_static_selectorELNS0_4arch9wavefront6targetE1EEEvT1_,"axG",@progbits,_ZN7rocprim17ROCPRIM_400000_NS6detail17trampoline_kernelINS0_14default_configENS1_29reduce_by_key_config_selectorIN3c104HalfElN6thrust23THRUST_200600_302600_NS4plusIlEEEEZZNS1_33reduce_by_key_impl_wrapped_configILNS1_25lookback_scan_determinismE0ES3_SB_PS6_NS8_17constant_iteratorIiNS8_11use_defaultESG_EENS8_10device_ptrIS6_EENSI_IlEEPmSA_NS8_8equal_toIS6_EEEE10hipError_tPvRmT2_T3_mT4_T5_T6_T7_T8_P12ihipStream_tbENKUlT_T0_E_clISt17integral_constantIbLb0EES14_IbLb1EEEEDaS10_S11_EUlS10_E_NS1_11comp_targetILNS1_3genE10ELNS1_11target_archE1200ELNS1_3gpuE4ELNS1_3repE0EEENS1_30default_config_static_selectorELNS0_4arch9wavefront6targetE1EEEvT1_,comdat
	.protected	_ZN7rocprim17ROCPRIM_400000_NS6detail17trampoline_kernelINS0_14default_configENS1_29reduce_by_key_config_selectorIN3c104HalfElN6thrust23THRUST_200600_302600_NS4plusIlEEEEZZNS1_33reduce_by_key_impl_wrapped_configILNS1_25lookback_scan_determinismE0ES3_SB_PS6_NS8_17constant_iteratorIiNS8_11use_defaultESG_EENS8_10device_ptrIS6_EENSI_IlEEPmSA_NS8_8equal_toIS6_EEEE10hipError_tPvRmT2_T3_mT4_T5_T6_T7_T8_P12ihipStream_tbENKUlT_T0_E_clISt17integral_constantIbLb0EES14_IbLb1EEEEDaS10_S11_EUlS10_E_NS1_11comp_targetILNS1_3genE10ELNS1_11target_archE1200ELNS1_3gpuE4ELNS1_3repE0EEENS1_30default_config_static_selectorELNS0_4arch9wavefront6targetE1EEEvT1_ ; -- Begin function _ZN7rocprim17ROCPRIM_400000_NS6detail17trampoline_kernelINS0_14default_configENS1_29reduce_by_key_config_selectorIN3c104HalfElN6thrust23THRUST_200600_302600_NS4plusIlEEEEZZNS1_33reduce_by_key_impl_wrapped_configILNS1_25lookback_scan_determinismE0ES3_SB_PS6_NS8_17constant_iteratorIiNS8_11use_defaultESG_EENS8_10device_ptrIS6_EENSI_IlEEPmSA_NS8_8equal_toIS6_EEEE10hipError_tPvRmT2_T3_mT4_T5_T6_T7_T8_P12ihipStream_tbENKUlT_T0_E_clISt17integral_constantIbLb0EES14_IbLb1EEEEDaS10_S11_EUlS10_E_NS1_11comp_targetILNS1_3genE10ELNS1_11target_archE1200ELNS1_3gpuE4ELNS1_3repE0EEENS1_30default_config_static_selectorELNS0_4arch9wavefront6targetE1EEEvT1_
	.globl	_ZN7rocprim17ROCPRIM_400000_NS6detail17trampoline_kernelINS0_14default_configENS1_29reduce_by_key_config_selectorIN3c104HalfElN6thrust23THRUST_200600_302600_NS4plusIlEEEEZZNS1_33reduce_by_key_impl_wrapped_configILNS1_25lookback_scan_determinismE0ES3_SB_PS6_NS8_17constant_iteratorIiNS8_11use_defaultESG_EENS8_10device_ptrIS6_EENSI_IlEEPmSA_NS8_8equal_toIS6_EEEE10hipError_tPvRmT2_T3_mT4_T5_T6_T7_T8_P12ihipStream_tbENKUlT_T0_E_clISt17integral_constantIbLb0EES14_IbLb1EEEEDaS10_S11_EUlS10_E_NS1_11comp_targetILNS1_3genE10ELNS1_11target_archE1200ELNS1_3gpuE4ELNS1_3repE0EEENS1_30default_config_static_selectorELNS0_4arch9wavefront6targetE1EEEvT1_
	.p2align	8
	.type	_ZN7rocprim17ROCPRIM_400000_NS6detail17trampoline_kernelINS0_14default_configENS1_29reduce_by_key_config_selectorIN3c104HalfElN6thrust23THRUST_200600_302600_NS4plusIlEEEEZZNS1_33reduce_by_key_impl_wrapped_configILNS1_25lookback_scan_determinismE0ES3_SB_PS6_NS8_17constant_iteratorIiNS8_11use_defaultESG_EENS8_10device_ptrIS6_EENSI_IlEEPmSA_NS8_8equal_toIS6_EEEE10hipError_tPvRmT2_T3_mT4_T5_T6_T7_T8_P12ihipStream_tbENKUlT_T0_E_clISt17integral_constantIbLb0EES14_IbLb1EEEEDaS10_S11_EUlS10_E_NS1_11comp_targetILNS1_3genE10ELNS1_11target_archE1200ELNS1_3gpuE4ELNS1_3repE0EEENS1_30default_config_static_selectorELNS0_4arch9wavefront6targetE1EEEvT1_,@function
_ZN7rocprim17ROCPRIM_400000_NS6detail17trampoline_kernelINS0_14default_configENS1_29reduce_by_key_config_selectorIN3c104HalfElN6thrust23THRUST_200600_302600_NS4plusIlEEEEZZNS1_33reduce_by_key_impl_wrapped_configILNS1_25lookback_scan_determinismE0ES3_SB_PS6_NS8_17constant_iteratorIiNS8_11use_defaultESG_EENS8_10device_ptrIS6_EENSI_IlEEPmSA_NS8_8equal_toIS6_EEEE10hipError_tPvRmT2_T3_mT4_T5_T6_T7_T8_P12ihipStream_tbENKUlT_T0_E_clISt17integral_constantIbLb0EES14_IbLb1EEEEDaS10_S11_EUlS10_E_NS1_11comp_targetILNS1_3genE10ELNS1_11target_archE1200ELNS1_3gpuE4ELNS1_3repE0EEENS1_30default_config_static_selectorELNS0_4arch9wavefront6targetE1EEEvT1_: ; @_ZN7rocprim17ROCPRIM_400000_NS6detail17trampoline_kernelINS0_14default_configENS1_29reduce_by_key_config_selectorIN3c104HalfElN6thrust23THRUST_200600_302600_NS4plusIlEEEEZZNS1_33reduce_by_key_impl_wrapped_configILNS1_25lookback_scan_determinismE0ES3_SB_PS6_NS8_17constant_iteratorIiNS8_11use_defaultESG_EENS8_10device_ptrIS6_EENSI_IlEEPmSA_NS8_8equal_toIS6_EEEE10hipError_tPvRmT2_T3_mT4_T5_T6_T7_T8_P12ihipStream_tbENKUlT_T0_E_clISt17integral_constantIbLb0EES14_IbLb1EEEEDaS10_S11_EUlS10_E_NS1_11comp_targetILNS1_3genE10ELNS1_11target_archE1200ELNS1_3gpuE4ELNS1_3repE0EEENS1_30default_config_static_selectorELNS0_4arch9wavefront6targetE1EEEvT1_
; %bb.0:
	.section	.rodata,"a",@progbits
	.p2align	6, 0x0
	.amdhsa_kernel _ZN7rocprim17ROCPRIM_400000_NS6detail17trampoline_kernelINS0_14default_configENS1_29reduce_by_key_config_selectorIN3c104HalfElN6thrust23THRUST_200600_302600_NS4plusIlEEEEZZNS1_33reduce_by_key_impl_wrapped_configILNS1_25lookback_scan_determinismE0ES3_SB_PS6_NS8_17constant_iteratorIiNS8_11use_defaultESG_EENS8_10device_ptrIS6_EENSI_IlEEPmSA_NS8_8equal_toIS6_EEEE10hipError_tPvRmT2_T3_mT4_T5_T6_T7_T8_P12ihipStream_tbENKUlT_T0_E_clISt17integral_constantIbLb0EES14_IbLb1EEEEDaS10_S11_EUlS10_E_NS1_11comp_targetILNS1_3genE10ELNS1_11target_archE1200ELNS1_3gpuE4ELNS1_3repE0EEENS1_30default_config_static_selectorELNS0_4arch9wavefront6targetE1EEEvT1_
		.amdhsa_group_segment_fixed_size 0
		.amdhsa_private_segment_fixed_size 0
		.amdhsa_kernarg_size 144
		.amdhsa_user_sgpr_count 6
		.amdhsa_user_sgpr_private_segment_buffer 1
		.amdhsa_user_sgpr_dispatch_ptr 0
		.amdhsa_user_sgpr_queue_ptr 0
		.amdhsa_user_sgpr_kernarg_segment_ptr 1
		.amdhsa_user_sgpr_dispatch_id 0
		.amdhsa_user_sgpr_flat_scratch_init 0
		.amdhsa_user_sgpr_private_segment_size 0
		.amdhsa_uses_dynamic_stack 0
		.amdhsa_system_sgpr_private_segment_wavefront_offset 0
		.amdhsa_system_sgpr_workgroup_id_x 1
		.amdhsa_system_sgpr_workgroup_id_y 0
		.amdhsa_system_sgpr_workgroup_id_z 0
		.amdhsa_system_sgpr_workgroup_info 0
		.amdhsa_system_vgpr_workitem_id 0
		.amdhsa_next_free_vgpr 1
		.amdhsa_next_free_sgpr 0
		.amdhsa_reserve_vcc 0
		.amdhsa_reserve_flat_scratch 0
		.amdhsa_float_round_mode_32 0
		.amdhsa_float_round_mode_16_64 0
		.amdhsa_float_denorm_mode_32 3
		.amdhsa_float_denorm_mode_16_64 3
		.amdhsa_dx10_clamp 1
		.amdhsa_ieee_mode 1
		.amdhsa_fp16_overflow 0
		.amdhsa_exception_fp_ieee_invalid_op 0
		.amdhsa_exception_fp_denorm_src 0
		.amdhsa_exception_fp_ieee_div_zero 0
		.amdhsa_exception_fp_ieee_overflow 0
		.amdhsa_exception_fp_ieee_underflow 0
		.amdhsa_exception_fp_ieee_inexact 0
		.amdhsa_exception_int_div_zero 0
	.end_amdhsa_kernel
	.section	.text._ZN7rocprim17ROCPRIM_400000_NS6detail17trampoline_kernelINS0_14default_configENS1_29reduce_by_key_config_selectorIN3c104HalfElN6thrust23THRUST_200600_302600_NS4plusIlEEEEZZNS1_33reduce_by_key_impl_wrapped_configILNS1_25lookback_scan_determinismE0ES3_SB_PS6_NS8_17constant_iteratorIiNS8_11use_defaultESG_EENS8_10device_ptrIS6_EENSI_IlEEPmSA_NS8_8equal_toIS6_EEEE10hipError_tPvRmT2_T3_mT4_T5_T6_T7_T8_P12ihipStream_tbENKUlT_T0_E_clISt17integral_constantIbLb0EES14_IbLb1EEEEDaS10_S11_EUlS10_E_NS1_11comp_targetILNS1_3genE10ELNS1_11target_archE1200ELNS1_3gpuE4ELNS1_3repE0EEENS1_30default_config_static_selectorELNS0_4arch9wavefront6targetE1EEEvT1_,"axG",@progbits,_ZN7rocprim17ROCPRIM_400000_NS6detail17trampoline_kernelINS0_14default_configENS1_29reduce_by_key_config_selectorIN3c104HalfElN6thrust23THRUST_200600_302600_NS4plusIlEEEEZZNS1_33reduce_by_key_impl_wrapped_configILNS1_25lookback_scan_determinismE0ES3_SB_PS6_NS8_17constant_iteratorIiNS8_11use_defaultESG_EENS8_10device_ptrIS6_EENSI_IlEEPmSA_NS8_8equal_toIS6_EEEE10hipError_tPvRmT2_T3_mT4_T5_T6_T7_T8_P12ihipStream_tbENKUlT_T0_E_clISt17integral_constantIbLb0EES14_IbLb1EEEEDaS10_S11_EUlS10_E_NS1_11comp_targetILNS1_3genE10ELNS1_11target_archE1200ELNS1_3gpuE4ELNS1_3repE0EEENS1_30default_config_static_selectorELNS0_4arch9wavefront6targetE1EEEvT1_,comdat
.Lfunc_end2231:
	.size	_ZN7rocprim17ROCPRIM_400000_NS6detail17trampoline_kernelINS0_14default_configENS1_29reduce_by_key_config_selectorIN3c104HalfElN6thrust23THRUST_200600_302600_NS4plusIlEEEEZZNS1_33reduce_by_key_impl_wrapped_configILNS1_25lookback_scan_determinismE0ES3_SB_PS6_NS8_17constant_iteratorIiNS8_11use_defaultESG_EENS8_10device_ptrIS6_EENSI_IlEEPmSA_NS8_8equal_toIS6_EEEE10hipError_tPvRmT2_T3_mT4_T5_T6_T7_T8_P12ihipStream_tbENKUlT_T0_E_clISt17integral_constantIbLb0EES14_IbLb1EEEEDaS10_S11_EUlS10_E_NS1_11comp_targetILNS1_3genE10ELNS1_11target_archE1200ELNS1_3gpuE4ELNS1_3repE0EEENS1_30default_config_static_selectorELNS0_4arch9wavefront6targetE1EEEvT1_, .Lfunc_end2231-_ZN7rocprim17ROCPRIM_400000_NS6detail17trampoline_kernelINS0_14default_configENS1_29reduce_by_key_config_selectorIN3c104HalfElN6thrust23THRUST_200600_302600_NS4plusIlEEEEZZNS1_33reduce_by_key_impl_wrapped_configILNS1_25lookback_scan_determinismE0ES3_SB_PS6_NS8_17constant_iteratorIiNS8_11use_defaultESG_EENS8_10device_ptrIS6_EENSI_IlEEPmSA_NS8_8equal_toIS6_EEEE10hipError_tPvRmT2_T3_mT4_T5_T6_T7_T8_P12ihipStream_tbENKUlT_T0_E_clISt17integral_constantIbLb0EES14_IbLb1EEEEDaS10_S11_EUlS10_E_NS1_11comp_targetILNS1_3genE10ELNS1_11target_archE1200ELNS1_3gpuE4ELNS1_3repE0EEENS1_30default_config_static_selectorELNS0_4arch9wavefront6targetE1EEEvT1_
                                        ; -- End function
	.set _ZN7rocprim17ROCPRIM_400000_NS6detail17trampoline_kernelINS0_14default_configENS1_29reduce_by_key_config_selectorIN3c104HalfElN6thrust23THRUST_200600_302600_NS4plusIlEEEEZZNS1_33reduce_by_key_impl_wrapped_configILNS1_25lookback_scan_determinismE0ES3_SB_PS6_NS8_17constant_iteratorIiNS8_11use_defaultESG_EENS8_10device_ptrIS6_EENSI_IlEEPmSA_NS8_8equal_toIS6_EEEE10hipError_tPvRmT2_T3_mT4_T5_T6_T7_T8_P12ihipStream_tbENKUlT_T0_E_clISt17integral_constantIbLb0EES14_IbLb1EEEEDaS10_S11_EUlS10_E_NS1_11comp_targetILNS1_3genE10ELNS1_11target_archE1200ELNS1_3gpuE4ELNS1_3repE0EEENS1_30default_config_static_selectorELNS0_4arch9wavefront6targetE1EEEvT1_.num_vgpr, 0
	.set _ZN7rocprim17ROCPRIM_400000_NS6detail17trampoline_kernelINS0_14default_configENS1_29reduce_by_key_config_selectorIN3c104HalfElN6thrust23THRUST_200600_302600_NS4plusIlEEEEZZNS1_33reduce_by_key_impl_wrapped_configILNS1_25lookback_scan_determinismE0ES3_SB_PS6_NS8_17constant_iteratorIiNS8_11use_defaultESG_EENS8_10device_ptrIS6_EENSI_IlEEPmSA_NS8_8equal_toIS6_EEEE10hipError_tPvRmT2_T3_mT4_T5_T6_T7_T8_P12ihipStream_tbENKUlT_T0_E_clISt17integral_constantIbLb0EES14_IbLb1EEEEDaS10_S11_EUlS10_E_NS1_11comp_targetILNS1_3genE10ELNS1_11target_archE1200ELNS1_3gpuE4ELNS1_3repE0EEENS1_30default_config_static_selectorELNS0_4arch9wavefront6targetE1EEEvT1_.num_agpr, 0
	.set _ZN7rocprim17ROCPRIM_400000_NS6detail17trampoline_kernelINS0_14default_configENS1_29reduce_by_key_config_selectorIN3c104HalfElN6thrust23THRUST_200600_302600_NS4plusIlEEEEZZNS1_33reduce_by_key_impl_wrapped_configILNS1_25lookback_scan_determinismE0ES3_SB_PS6_NS8_17constant_iteratorIiNS8_11use_defaultESG_EENS8_10device_ptrIS6_EENSI_IlEEPmSA_NS8_8equal_toIS6_EEEE10hipError_tPvRmT2_T3_mT4_T5_T6_T7_T8_P12ihipStream_tbENKUlT_T0_E_clISt17integral_constantIbLb0EES14_IbLb1EEEEDaS10_S11_EUlS10_E_NS1_11comp_targetILNS1_3genE10ELNS1_11target_archE1200ELNS1_3gpuE4ELNS1_3repE0EEENS1_30default_config_static_selectorELNS0_4arch9wavefront6targetE1EEEvT1_.numbered_sgpr, 0
	.set _ZN7rocprim17ROCPRIM_400000_NS6detail17trampoline_kernelINS0_14default_configENS1_29reduce_by_key_config_selectorIN3c104HalfElN6thrust23THRUST_200600_302600_NS4plusIlEEEEZZNS1_33reduce_by_key_impl_wrapped_configILNS1_25lookback_scan_determinismE0ES3_SB_PS6_NS8_17constant_iteratorIiNS8_11use_defaultESG_EENS8_10device_ptrIS6_EENSI_IlEEPmSA_NS8_8equal_toIS6_EEEE10hipError_tPvRmT2_T3_mT4_T5_T6_T7_T8_P12ihipStream_tbENKUlT_T0_E_clISt17integral_constantIbLb0EES14_IbLb1EEEEDaS10_S11_EUlS10_E_NS1_11comp_targetILNS1_3genE10ELNS1_11target_archE1200ELNS1_3gpuE4ELNS1_3repE0EEENS1_30default_config_static_selectorELNS0_4arch9wavefront6targetE1EEEvT1_.num_named_barrier, 0
	.set _ZN7rocprim17ROCPRIM_400000_NS6detail17trampoline_kernelINS0_14default_configENS1_29reduce_by_key_config_selectorIN3c104HalfElN6thrust23THRUST_200600_302600_NS4plusIlEEEEZZNS1_33reduce_by_key_impl_wrapped_configILNS1_25lookback_scan_determinismE0ES3_SB_PS6_NS8_17constant_iteratorIiNS8_11use_defaultESG_EENS8_10device_ptrIS6_EENSI_IlEEPmSA_NS8_8equal_toIS6_EEEE10hipError_tPvRmT2_T3_mT4_T5_T6_T7_T8_P12ihipStream_tbENKUlT_T0_E_clISt17integral_constantIbLb0EES14_IbLb1EEEEDaS10_S11_EUlS10_E_NS1_11comp_targetILNS1_3genE10ELNS1_11target_archE1200ELNS1_3gpuE4ELNS1_3repE0EEENS1_30default_config_static_selectorELNS0_4arch9wavefront6targetE1EEEvT1_.private_seg_size, 0
	.set _ZN7rocprim17ROCPRIM_400000_NS6detail17trampoline_kernelINS0_14default_configENS1_29reduce_by_key_config_selectorIN3c104HalfElN6thrust23THRUST_200600_302600_NS4plusIlEEEEZZNS1_33reduce_by_key_impl_wrapped_configILNS1_25lookback_scan_determinismE0ES3_SB_PS6_NS8_17constant_iteratorIiNS8_11use_defaultESG_EENS8_10device_ptrIS6_EENSI_IlEEPmSA_NS8_8equal_toIS6_EEEE10hipError_tPvRmT2_T3_mT4_T5_T6_T7_T8_P12ihipStream_tbENKUlT_T0_E_clISt17integral_constantIbLb0EES14_IbLb1EEEEDaS10_S11_EUlS10_E_NS1_11comp_targetILNS1_3genE10ELNS1_11target_archE1200ELNS1_3gpuE4ELNS1_3repE0EEENS1_30default_config_static_selectorELNS0_4arch9wavefront6targetE1EEEvT1_.uses_vcc, 0
	.set _ZN7rocprim17ROCPRIM_400000_NS6detail17trampoline_kernelINS0_14default_configENS1_29reduce_by_key_config_selectorIN3c104HalfElN6thrust23THRUST_200600_302600_NS4plusIlEEEEZZNS1_33reduce_by_key_impl_wrapped_configILNS1_25lookback_scan_determinismE0ES3_SB_PS6_NS8_17constant_iteratorIiNS8_11use_defaultESG_EENS8_10device_ptrIS6_EENSI_IlEEPmSA_NS8_8equal_toIS6_EEEE10hipError_tPvRmT2_T3_mT4_T5_T6_T7_T8_P12ihipStream_tbENKUlT_T0_E_clISt17integral_constantIbLb0EES14_IbLb1EEEEDaS10_S11_EUlS10_E_NS1_11comp_targetILNS1_3genE10ELNS1_11target_archE1200ELNS1_3gpuE4ELNS1_3repE0EEENS1_30default_config_static_selectorELNS0_4arch9wavefront6targetE1EEEvT1_.uses_flat_scratch, 0
	.set _ZN7rocprim17ROCPRIM_400000_NS6detail17trampoline_kernelINS0_14default_configENS1_29reduce_by_key_config_selectorIN3c104HalfElN6thrust23THRUST_200600_302600_NS4plusIlEEEEZZNS1_33reduce_by_key_impl_wrapped_configILNS1_25lookback_scan_determinismE0ES3_SB_PS6_NS8_17constant_iteratorIiNS8_11use_defaultESG_EENS8_10device_ptrIS6_EENSI_IlEEPmSA_NS8_8equal_toIS6_EEEE10hipError_tPvRmT2_T3_mT4_T5_T6_T7_T8_P12ihipStream_tbENKUlT_T0_E_clISt17integral_constantIbLb0EES14_IbLb1EEEEDaS10_S11_EUlS10_E_NS1_11comp_targetILNS1_3genE10ELNS1_11target_archE1200ELNS1_3gpuE4ELNS1_3repE0EEENS1_30default_config_static_selectorELNS0_4arch9wavefront6targetE1EEEvT1_.has_dyn_sized_stack, 0
	.set _ZN7rocprim17ROCPRIM_400000_NS6detail17trampoline_kernelINS0_14default_configENS1_29reduce_by_key_config_selectorIN3c104HalfElN6thrust23THRUST_200600_302600_NS4plusIlEEEEZZNS1_33reduce_by_key_impl_wrapped_configILNS1_25lookback_scan_determinismE0ES3_SB_PS6_NS8_17constant_iteratorIiNS8_11use_defaultESG_EENS8_10device_ptrIS6_EENSI_IlEEPmSA_NS8_8equal_toIS6_EEEE10hipError_tPvRmT2_T3_mT4_T5_T6_T7_T8_P12ihipStream_tbENKUlT_T0_E_clISt17integral_constantIbLb0EES14_IbLb1EEEEDaS10_S11_EUlS10_E_NS1_11comp_targetILNS1_3genE10ELNS1_11target_archE1200ELNS1_3gpuE4ELNS1_3repE0EEENS1_30default_config_static_selectorELNS0_4arch9wavefront6targetE1EEEvT1_.has_recursion, 0
	.set _ZN7rocprim17ROCPRIM_400000_NS6detail17trampoline_kernelINS0_14default_configENS1_29reduce_by_key_config_selectorIN3c104HalfElN6thrust23THRUST_200600_302600_NS4plusIlEEEEZZNS1_33reduce_by_key_impl_wrapped_configILNS1_25lookback_scan_determinismE0ES3_SB_PS6_NS8_17constant_iteratorIiNS8_11use_defaultESG_EENS8_10device_ptrIS6_EENSI_IlEEPmSA_NS8_8equal_toIS6_EEEE10hipError_tPvRmT2_T3_mT4_T5_T6_T7_T8_P12ihipStream_tbENKUlT_T0_E_clISt17integral_constantIbLb0EES14_IbLb1EEEEDaS10_S11_EUlS10_E_NS1_11comp_targetILNS1_3genE10ELNS1_11target_archE1200ELNS1_3gpuE4ELNS1_3repE0EEENS1_30default_config_static_selectorELNS0_4arch9wavefront6targetE1EEEvT1_.has_indirect_call, 0
	.section	.AMDGPU.csdata,"",@progbits
; Kernel info:
; codeLenInByte = 0
; TotalNumSgprs: 4
; NumVgprs: 0
; ScratchSize: 0
; MemoryBound: 0
; FloatMode: 240
; IeeeMode: 1
; LDSByteSize: 0 bytes/workgroup (compile time only)
; SGPRBlocks: 0
; VGPRBlocks: 0
; NumSGPRsForWavesPerEU: 4
; NumVGPRsForWavesPerEU: 1
; Occupancy: 10
; WaveLimiterHint : 0
; COMPUTE_PGM_RSRC2:SCRATCH_EN: 0
; COMPUTE_PGM_RSRC2:USER_SGPR: 6
; COMPUTE_PGM_RSRC2:TRAP_HANDLER: 0
; COMPUTE_PGM_RSRC2:TGID_X_EN: 1
; COMPUTE_PGM_RSRC2:TGID_Y_EN: 0
; COMPUTE_PGM_RSRC2:TGID_Z_EN: 0
; COMPUTE_PGM_RSRC2:TIDIG_COMP_CNT: 0
	.section	.text._ZN7rocprim17ROCPRIM_400000_NS6detail17trampoline_kernelINS0_14default_configENS1_29reduce_by_key_config_selectorIN3c104HalfElN6thrust23THRUST_200600_302600_NS4plusIlEEEEZZNS1_33reduce_by_key_impl_wrapped_configILNS1_25lookback_scan_determinismE0ES3_SB_PS6_NS8_17constant_iteratorIiNS8_11use_defaultESG_EENS8_10device_ptrIS6_EENSI_IlEEPmSA_NS8_8equal_toIS6_EEEE10hipError_tPvRmT2_T3_mT4_T5_T6_T7_T8_P12ihipStream_tbENKUlT_T0_E_clISt17integral_constantIbLb0EES14_IbLb1EEEEDaS10_S11_EUlS10_E_NS1_11comp_targetILNS1_3genE9ELNS1_11target_archE1100ELNS1_3gpuE3ELNS1_3repE0EEENS1_30default_config_static_selectorELNS0_4arch9wavefront6targetE1EEEvT1_,"axG",@progbits,_ZN7rocprim17ROCPRIM_400000_NS6detail17trampoline_kernelINS0_14default_configENS1_29reduce_by_key_config_selectorIN3c104HalfElN6thrust23THRUST_200600_302600_NS4plusIlEEEEZZNS1_33reduce_by_key_impl_wrapped_configILNS1_25lookback_scan_determinismE0ES3_SB_PS6_NS8_17constant_iteratorIiNS8_11use_defaultESG_EENS8_10device_ptrIS6_EENSI_IlEEPmSA_NS8_8equal_toIS6_EEEE10hipError_tPvRmT2_T3_mT4_T5_T6_T7_T8_P12ihipStream_tbENKUlT_T0_E_clISt17integral_constantIbLb0EES14_IbLb1EEEEDaS10_S11_EUlS10_E_NS1_11comp_targetILNS1_3genE9ELNS1_11target_archE1100ELNS1_3gpuE3ELNS1_3repE0EEENS1_30default_config_static_selectorELNS0_4arch9wavefront6targetE1EEEvT1_,comdat
	.protected	_ZN7rocprim17ROCPRIM_400000_NS6detail17trampoline_kernelINS0_14default_configENS1_29reduce_by_key_config_selectorIN3c104HalfElN6thrust23THRUST_200600_302600_NS4plusIlEEEEZZNS1_33reduce_by_key_impl_wrapped_configILNS1_25lookback_scan_determinismE0ES3_SB_PS6_NS8_17constant_iteratorIiNS8_11use_defaultESG_EENS8_10device_ptrIS6_EENSI_IlEEPmSA_NS8_8equal_toIS6_EEEE10hipError_tPvRmT2_T3_mT4_T5_T6_T7_T8_P12ihipStream_tbENKUlT_T0_E_clISt17integral_constantIbLb0EES14_IbLb1EEEEDaS10_S11_EUlS10_E_NS1_11comp_targetILNS1_3genE9ELNS1_11target_archE1100ELNS1_3gpuE3ELNS1_3repE0EEENS1_30default_config_static_selectorELNS0_4arch9wavefront6targetE1EEEvT1_ ; -- Begin function _ZN7rocprim17ROCPRIM_400000_NS6detail17trampoline_kernelINS0_14default_configENS1_29reduce_by_key_config_selectorIN3c104HalfElN6thrust23THRUST_200600_302600_NS4plusIlEEEEZZNS1_33reduce_by_key_impl_wrapped_configILNS1_25lookback_scan_determinismE0ES3_SB_PS6_NS8_17constant_iteratorIiNS8_11use_defaultESG_EENS8_10device_ptrIS6_EENSI_IlEEPmSA_NS8_8equal_toIS6_EEEE10hipError_tPvRmT2_T3_mT4_T5_T6_T7_T8_P12ihipStream_tbENKUlT_T0_E_clISt17integral_constantIbLb0EES14_IbLb1EEEEDaS10_S11_EUlS10_E_NS1_11comp_targetILNS1_3genE9ELNS1_11target_archE1100ELNS1_3gpuE3ELNS1_3repE0EEENS1_30default_config_static_selectorELNS0_4arch9wavefront6targetE1EEEvT1_
	.globl	_ZN7rocprim17ROCPRIM_400000_NS6detail17trampoline_kernelINS0_14default_configENS1_29reduce_by_key_config_selectorIN3c104HalfElN6thrust23THRUST_200600_302600_NS4plusIlEEEEZZNS1_33reduce_by_key_impl_wrapped_configILNS1_25lookback_scan_determinismE0ES3_SB_PS6_NS8_17constant_iteratorIiNS8_11use_defaultESG_EENS8_10device_ptrIS6_EENSI_IlEEPmSA_NS8_8equal_toIS6_EEEE10hipError_tPvRmT2_T3_mT4_T5_T6_T7_T8_P12ihipStream_tbENKUlT_T0_E_clISt17integral_constantIbLb0EES14_IbLb1EEEEDaS10_S11_EUlS10_E_NS1_11comp_targetILNS1_3genE9ELNS1_11target_archE1100ELNS1_3gpuE3ELNS1_3repE0EEENS1_30default_config_static_selectorELNS0_4arch9wavefront6targetE1EEEvT1_
	.p2align	8
	.type	_ZN7rocprim17ROCPRIM_400000_NS6detail17trampoline_kernelINS0_14default_configENS1_29reduce_by_key_config_selectorIN3c104HalfElN6thrust23THRUST_200600_302600_NS4plusIlEEEEZZNS1_33reduce_by_key_impl_wrapped_configILNS1_25lookback_scan_determinismE0ES3_SB_PS6_NS8_17constant_iteratorIiNS8_11use_defaultESG_EENS8_10device_ptrIS6_EENSI_IlEEPmSA_NS8_8equal_toIS6_EEEE10hipError_tPvRmT2_T3_mT4_T5_T6_T7_T8_P12ihipStream_tbENKUlT_T0_E_clISt17integral_constantIbLb0EES14_IbLb1EEEEDaS10_S11_EUlS10_E_NS1_11comp_targetILNS1_3genE9ELNS1_11target_archE1100ELNS1_3gpuE3ELNS1_3repE0EEENS1_30default_config_static_selectorELNS0_4arch9wavefront6targetE1EEEvT1_,@function
_ZN7rocprim17ROCPRIM_400000_NS6detail17trampoline_kernelINS0_14default_configENS1_29reduce_by_key_config_selectorIN3c104HalfElN6thrust23THRUST_200600_302600_NS4plusIlEEEEZZNS1_33reduce_by_key_impl_wrapped_configILNS1_25lookback_scan_determinismE0ES3_SB_PS6_NS8_17constant_iteratorIiNS8_11use_defaultESG_EENS8_10device_ptrIS6_EENSI_IlEEPmSA_NS8_8equal_toIS6_EEEE10hipError_tPvRmT2_T3_mT4_T5_T6_T7_T8_P12ihipStream_tbENKUlT_T0_E_clISt17integral_constantIbLb0EES14_IbLb1EEEEDaS10_S11_EUlS10_E_NS1_11comp_targetILNS1_3genE9ELNS1_11target_archE1100ELNS1_3gpuE3ELNS1_3repE0EEENS1_30default_config_static_selectorELNS0_4arch9wavefront6targetE1EEEvT1_: ; @_ZN7rocprim17ROCPRIM_400000_NS6detail17trampoline_kernelINS0_14default_configENS1_29reduce_by_key_config_selectorIN3c104HalfElN6thrust23THRUST_200600_302600_NS4plusIlEEEEZZNS1_33reduce_by_key_impl_wrapped_configILNS1_25lookback_scan_determinismE0ES3_SB_PS6_NS8_17constant_iteratorIiNS8_11use_defaultESG_EENS8_10device_ptrIS6_EENSI_IlEEPmSA_NS8_8equal_toIS6_EEEE10hipError_tPvRmT2_T3_mT4_T5_T6_T7_T8_P12ihipStream_tbENKUlT_T0_E_clISt17integral_constantIbLb0EES14_IbLb1EEEEDaS10_S11_EUlS10_E_NS1_11comp_targetILNS1_3genE9ELNS1_11target_archE1100ELNS1_3gpuE3ELNS1_3repE0EEENS1_30default_config_static_selectorELNS0_4arch9wavefront6targetE1EEEvT1_
; %bb.0:
	.section	.rodata,"a",@progbits
	.p2align	6, 0x0
	.amdhsa_kernel _ZN7rocprim17ROCPRIM_400000_NS6detail17trampoline_kernelINS0_14default_configENS1_29reduce_by_key_config_selectorIN3c104HalfElN6thrust23THRUST_200600_302600_NS4plusIlEEEEZZNS1_33reduce_by_key_impl_wrapped_configILNS1_25lookback_scan_determinismE0ES3_SB_PS6_NS8_17constant_iteratorIiNS8_11use_defaultESG_EENS8_10device_ptrIS6_EENSI_IlEEPmSA_NS8_8equal_toIS6_EEEE10hipError_tPvRmT2_T3_mT4_T5_T6_T7_T8_P12ihipStream_tbENKUlT_T0_E_clISt17integral_constantIbLb0EES14_IbLb1EEEEDaS10_S11_EUlS10_E_NS1_11comp_targetILNS1_3genE9ELNS1_11target_archE1100ELNS1_3gpuE3ELNS1_3repE0EEENS1_30default_config_static_selectorELNS0_4arch9wavefront6targetE1EEEvT1_
		.amdhsa_group_segment_fixed_size 0
		.amdhsa_private_segment_fixed_size 0
		.amdhsa_kernarg_size 144
		.amdhsa_user_sgpr_count 6
		.amdhsa_user_sgpr_private_segment_buffer 1
		.amdhsa_user_sgpr_dispatch_ptr 0
		.amdhsa_user_sgpr_queue_ptr 0
		.amdhsa_user_sgpr_kernarg_segment_ptr 1
		.amdhsa_user_sgpr_dispatch_id 0
		.amdhsa_user_sgpr_flat_scratch_init 0
		.amdhsa_user_sgpr_private_segment_size 0
		.amdhsa_uses_dynamic_stack 0
		.amdhsa_system_sgpr_private_segment_wavefront_offset 0
		.amdhsa_system_sgpr_workgroup_id_x 1
		.amdhsa_system_sgpr_workgroup_id_y 0
		.amdhsa_system_sgpr_workgroup_id_z 0
		.amdhsa_system_sgpr_workgroup_info 0
		.amdhsa_system_vgpr_workitem_id 0
		.amdhsa_next_free_vgpr 1
		.amdhsa_next_free_sgpr 0
		.amdhsa_reserve_vcc 0
		.amdhsa_reserve_flat_scratch 0
		.amdhsa_float_round_mode_32 0
		.amdhsa_float_round_mode_16_64 0
		.amdhsa_float_denorm_mode_32 3
		.amdhsa_float_denorm_mode_16_64 3
		.amdhsa_dx10_clamp 1
		.amdhsa_ieee_mode 1
		.amdhsa_fp16_overflow 0
		.amdhsa_exception_fp_ieee_invalid_op 0
		.amdhsa_exception_fp_denorm_src 0
		.amdhsa_exception_fp_ieee_div_zero 0
		.amdhsa_exception_fp_ieee_overflow 0
		.amdhsa_exception_fp_ieee_underflow 0
		.amdhsa_exception_fp_ieee_inexact 0
		.amdhsa_exception_int_div_zero 0
	.end_amdhsa_kernel
	.section	.text._ZN7rocprim17ROCPRIM_400000_NS6detail17trampoline_kernelINS0_14default_configENS1_29reduce_by_key_config_selectorIN3c104HalfElN6thrust23THRUST_200600_302600_NS4plusIlEEEEZZNS1_33reduce_by_key_impl_wrapped_configILNS1_25lookback_scan_determinismE0ES3_SB_PS6_NS8_17constant_iteratorIiNS8_11use_defaultESG_EENS8_10device_ptrIS6_EENSI_IlEEPmSA_NS8_8equal_toIS6_EEEE10hipError_tPvRmT2_T3_mT4_T5_T6_T7_T8_P12ihipStream_tbENKUlT_T0_E_clISt17integral_constantIbLb0EES14_IbLb1EEEEDaS10_S11_EUlS10_E_NS1_11comp_targetILNS1_3genE9ELNS1_11target_archE1100ELNS1_3gpuE3ELNS1_3repE0EEENS1_30default_config_static_selectorELNS0_4arch9wavefront6targetE1EEEvT1_,"axG",@progbits,_ZN7rocprim17ROCPRIM_400000_NS6detail17trampoline_kernelINS0_14default_configENS1_29reduce_by_key_config_selectorIN3c104HalfElN6thrust23THRUST_200600_302600_NS4plusIlEEEEZZNS1_33reduce_by_key_impl_wrapped_configILNS1_25lookback_scan_determinismE0ES3_SB_PS6_NS8_17constant_iteratorIiNS8_11use_defaultESG_EENS8_10device_ptrIS6_EENSI_IlEEPmSA_NS8_8equal_toIS6_EEEE10hipError_tPvRmT2_T3_mT4_T5_T6_T7_T8_P12ihipStream_tbENKUlT_T0_E_clISt17integral_constantIbLb0EES14_IbLb1EEEEDaS10_S11_EUlS10_E_NS1_11comp_targetILNS1_3genE9ELNS1_11target_archE1100ELNS1_3gpuE3ELNS1_3repE0EEENS1_30default_config_static_selectorELNS0_4arch9wavefront6targetE1EEEvT1_,comdat
.Lfunc_end2232:
	.size	_ZN7rocprim17ROCPRIM_400000_NS6detail17trampoline_kernelINS0_14default_configENS1_29reduce_by_key_config_selectorIN3c104HalfElN6thrust23THRUST_200600_302600_NS4plusIlEEEEZZNS1_33reduce_by_key_impl_wrapped_configILNS1_25lookback_scan_determinismE0ES3_SB_PS6_NS8_17constant_iteratorIiNS8_11use_defaultESG_EENS8_10device_ptrIS6_EENSI_IlEEPmSA_NS8_8equal_toIS6_EEEE10hipError_tPvRmT2_T3_mT4_T5_T6_T7_T8_P12ihipStream_tbENKUlT_T0_E_clISt17integral_constantIbLb0EES14_IbLb1EEEEDaS10_S11_EUlS10_E_NS1_11comp_targetILNS1_3genE9ELNS1_11target_archE1100ELNS1_3gpuE3ELNS1_3repE0EEENS1_30default_config_static_selectorELNS0_4arch9wavefront6targetE1EEEvT1_, .Lfunc_end2232-_ZN7rocprim17ROCPRIM_400000_NS6detail17trampoline_kernelINS0_14default_configENS1_29reduce_by_key_config_selectorIN3c104HalfElN6thrust23THRUST_200600_302600_NS4plusIlEEEEZZNS1_33reduce_by_key_impl_wrapped_configILNS1_25lookback_scan_determinismE0ES3_SB_PS6_NS8_17constant_iteratorIiNS8_11use_defaultESG_EENS8_10device_ptrIS6_EENSI_IlEEPmSA_NS8_8equal_toIS6_EEEE10hipError_tPvRmT2_T3_mT4_T5_T6_T7_T8_P12ihipStream_tbENKUlT_T0_E_clISt17integral_constantIbLb0EES14_IbLb1EEEEDaS10_S11_EUlS10_E_NS1_11comp_targetILNS1_3genE9ELNS1_11target_archE1100ELNS1_3gpuE3ELNS1_3repE0EEENS1_30default_config_static_selectorELNS0_4arch9wavefront6targetE1EEEvT1_
                                        ; -- End function
	.set _ZN7rocprim17ROCPRIM_400000_NS6detail17trampoline_kernelINS0_14default_configENS1_29reduce_by_key_config_selectorIN3c104HalfElN6thrust23THRUST_200600_302600_NS4plusIlEEEEZZNS1_33reduce_by_key_impl_wrapped_configILNS1_25lookback_scan_determinismE0ES3_SB_PS6_NS8_17constant_iteratorIiNS8_11use_defaultESG_EENS8_10device_ptrIS6_EENSI_IlEEPmSA_NS8_8equal_toIS6_EEEE10hipError_tPvRmT2_T3_mT4_T5_T6_T7_T8_P12ihipStream_tbENKUlT_T0_E_clISt17integral_constantIbLb0EES14_IbLb1EEEEDaS10_S11_EUlS10_E_NS1_11comp_targetILNS1_3genE9ELNS1_11target_archE1100ELNS1_3gpuE3ELNS1_3repE0EEENS1_30default_config_static_selectorELNS0_4arch9wavefront6targetE1EEEvT1_.num_vgpr, 0
	.set _ZN7rocprim17ROCPRIM_400000_NS6detail17trampoline_kernelINS0_14default_configENS1_29reduce_by_key_config_selectorIN3c104HalfElN6thrust23THRUST_200600_302600_NS4plusIlEEEEZZNS1_33reduce_by_key_impl_wrapped_configILNS1_25lookback_scan_determinismE0ES3_SB_PS6_NS8_17constant_iteratorIiNS8_11use_defaultESG_EENS8_10device_ptrIS6_EENSI_IlEEPmSA_NS8_8equal_toIS6_EEEE10hipError_tPvRmT2_T3_mT4_T5_T6_T7_T8_P12ihipStream_tbENKUlT_T0_E_clISt17integral_constantIbLb0EES14_IbLb1EEEEDaS10_S11_EUlS10_E_NS1_11comp_targetILNS1_3genE9ELNS1_11target_archE1100ELNS1_3gpuE3ELNS1_3repE0EEENS1_30default_config_static_selectorELNS0_4arch9wavefront6targetE1EEEvT1_.num_agpr, 0
	.set _ZN7rocprim17ROCPRIM_400000_NS6detail17trampoline_kernelINS0_14default_configENS1_29reduce_by_key_config_selectorIN3c104HalfElN6thrust23THRUST_200600_302600_NS4plusIlEEEEZZNS1_33reduce_by_key_impl_wrapped_configILNS1_25lookback_scan_determinismE0ES3_SB_PS6_NS8_17constant_iteratorIiNS8_11use_defaultESG_EENS8_10device_ptrIS6_EENSI_IlEEPmSA_NS8_8equal_toIS6_EEEE10hipError_tPvRmT2_T3_mT4_T5_T6_T7_T8_P12ihipStream_tbENKUlT_T0_E_clISt17integral_constantIbLb0EES14_IbLb1EEEEDaS10_S11_EUlS10_E_NS1_11comp_targetILNS1_3genE9ELNS1_11target_archE1100ELNS1_3gpuE3ELNS1_3repE0EEENS1_30default_config_static_selectorELNS0_4arch9wavefront6targetE1EEEvT1_.numbered_sgpr, 0
	.set _ZN7rocprim17ROCPRIM_400000_NS6detail17trampoline_kernelINS0_14default_configENS1_29reduce_by_key_config_selectorIN3c104HalfElN6thrust23THRUST_200600_302600_NS4plusIlEEEEZZNS1_33reduce_by_key_impl_wrapped_configILNS1_25lookback_scan_determinismE0ES3_SB_PS6_NS8_17constant_iteratorIiNS8_11use_defaultESG_EENS8_10device_ptrIS6_EENSI_IlEEPmSA_NS8_8equal_toIS6_EEEE10hipError_tPvRmT2_T3_mT4_T5_T6_T7_T8_P12ihipStream_tbENKUlT_T0_E_clISt17integral_constantIbLb0EES14_IbLb1EEEEDaS10_S11_EUlS10_E_NS1_11comp_targetILNS1_3genE9ELNS1_11target_archE1100ELNS1_3gpuE3ELNS1_3repE0EEENS1_30default_config_static_selectorELNS0_4arch9wavefront6targetE1EEEvT1_.num_named_barrier, 0
	.set _ZN7rocprim17ROCPRIM_400000_NS6detail17trampoline_kernelINS0_14default_configENS1_29reduce_by_key_config_selectorIN3c104HalfElN6thrust23THRUST_200600_302600_NS4plusIlEEEEZZNS1_33reduce_by_key_impl_wrapped_configILNS1_25lookback_scan_determinismE0ES3_SB_PS6_NS8_17constant_iteratorIiNS8_11use_defaultESG_EENS8_10device_ptrIS6_EENSI_IlEEPmSA_NS8_8equal_toIS6_EEEE10hipError_tPvRmT2_T3_mT4_T5_T6_T7_T8_P12ihipStream_tbENKUlT_T0_E_clISt17integral_constantIbLb0EES14_IbLb1EEEEDaS10_S11_EUlS10_E_NS1_11comp_targetILNS1_3genE9ELNS1_11target_archE1100ELNS1_3gpuE3ELNS1_3repE0EEENS1_30default_config_static_selectorELNS0_4arch9wavefront6targetE1EEEvT1_.private_seg_size, 0
	.set _ZN7rocprim17ROCPRIM_400000_NS6detail17trampoline_kernelINS0_14default_configENS1_29reduce_by_key_config_selectorIN3c104HalfElN6thrust23THRUST_200600_302600_NS4plusIlEEEEZZNS1_33reduce_by_key_impl_wrapped_configILNS1_25lookback_scan_determinismE0ES3_SB_PS6_NS8_17constant_iteratorIiNS8_11use_defaultESG_EENS8_10device_ptrIS6_EENSI_IlEEPmSA_NS8_8equal_toIS6_EEEE10hipError_tPvRmT2_T3_mT4_T5_T6_T7_T8_P12ihipStream_tbENKUlT_T0_E_clISt17integral_constantIbLb0EES14_IbLb1EEEEDaS10_S11_EUlS10_E_NS1_11comp_targetILNS1_3genE9ELNS1_11target_archE1100ELNS1_3gpuE3ELNS1_3repE0EEENS1_30default_config_static_selectorELNS0_4arch9wavefront6targetE1EEEvT1_.uses_vcc, 0
	.set _ZN7rocprim17ROCPRIM_400000_NS6detail17trampoline_kernelINS0_14default_configENS1_29reduce_by_key_config_selectorIN3c104HalfElN6thrust23THRUST_200600_302600_NS4plusIlEEEEZZNS1_33reduce_by_key_impl_wrapped_configILNS1_25lookback_scan_determinismE0ES3_SB_PS6_NS8_17constant_iteratorIiNS8_11use_defaultESG_EENS8_10device_ptrIS6_EENSI_IlEEPmSA_NS8_8equal_toIS6_EEEE10hipError_tPvRmT2_T3_mT4_T5_T6_T7_T8_P12ihipStream_tbENKUlT_T0_E_clISt17integral_constantIbLb0EES14_IbLb1EEEEDaS10_S11_EUlS10_E_NS1_11comp_targetILNS1_3genE9ELNS1_11target_archE1100ELNS1_3gpuE3ELNS1_3repE0EEENS1_30default_config_static_selectorELNS0_4arch9wavefront6targetE1EEEvT1_.uses_flat_scratch, 0
	.set _ZN7rocprim17ROCPRIM_400000_NS6detail17trampoline_kernelINS0_14default_configENS1_29reduce_by_key_config_selectorIN3c104HalfElN6thrust23THRUST_200600_302600_NS4plusIlEEEEZZNS1_33reduce_by_key_impl_wrapped_configILNS1_25lookback_scan_determinismE0ES3_SB_PS6_NS8_17constant_iteratorIiNS8_11use_defaultESG_EENS8_10device_ptrIS6_EENSI_IlEEPmSA_NS8_8equal_toIS6_EEEE10hipError_tPvRmT2_T3_mT4_T5_T6_T7_T8_P12ihipStream_tbENKUlT_T0_E_clISt17integral_constantIbLb0EES14_IbLb1EEEEDaS10_S11_EUlS10_E_NS1_11comp_targetILNS1_3genE9ELNS1_11target_archE1100ELNS1_3gpuE3ELNS1_3repE0EEENS1_30default_config_static_selectorELNS0_4arch9wavefront6targetE1EEEvT1_.has_dyn_sized_stack, 0
	.set _ZN7rocprim17ROCPRIM_400000_NS6detail17trampoline_kernelINS0_14default_configENS1_29reduce_by_key_config_selectorIN3c104HalfElN6thrust23THRUST_200600_302600_NS4plusIlEEEEZZNS1_33reduce_by_key_impl_wrapped_configILNS1_25lookback_scan_determinismE0ES3_SB_PS6_NS8_17constant_iteratorIiNS8_11use_defaultESG_EENS8_10device_ptrIS6_EENSI_IlEEPmSA_NS8_8equal_toIS6_EEEE10hipError_tPvRmT2_T3_mT4_T5_T6_T7_T8_P12ihipStream_tbENKUlT_T0_E_clISt17integral_constantIbLb0EES14_IbLb1EEEEDaS10_S11_EUlS10_E_NS1_11comp_targetILNS1_3genE9ELNS1_11target_archE1100ELNS1_3gpuE3ELNS1_3repE0EEENS1_30default_config_static_selectorELNS0_4arch9wavefront6targetE1EEEvT1_.has_recursion, 0
	.set _ZN7rocprim17ROCPRIM_400000_NS6detail17trampoline_kernelINS0_14default_configENS1_29reduce_by_key_config_selectorIN3c104HalfElN6thrust23THRUST_200600_302600_NS4plusIlEEEEZZNS1_33reduce_by_key_impl_wrapped_configILNS1_25lookback_scan_determinismE0ES3_SB_PS6_NS8_17constant_iteratorIiNS8_11use_defaultESG_EENS8_10device_ptrIS6_EENSI_IlEEPmSA_NS8_8equal_toIS6_EEEE10hipError_tPvRmT2_T3_mT4_T5_T6_T7_T8_P12ihipStream_tbENKUlT_T0_E_clISt17integral_constantIbLb0EES14_IbLb1EEEEDaS10_S11_EUlS10_E_NS1_11comp_targetILNS1_3genE9ELNS1_11target_archE1100ELNS1_3gpuE3ELNS1_3repE0EEENS1_30default_config_static_selectorELNS0_4arch9wavefront6targetE1EEEvT1_.has_indirect_call, 0
	.section	.AMDGPU.csdata,"",@progbits
; Kernel info:
; codeLenInByte = 0
; TotalNumSgprs: 4
; NumVgprs: 0
; ScratchSize: 0
; MemoryBound: 0
; FloatMode: 240
; IeeeMode: 1
; LDSByteSize: 0 bytes/workgroup (compile time only)
; SGPRBlocks: 0
; VGPRBlocks: 0
; NumSGPRsForWavesPerEU: 4
; NumVGPRsForWavesPerEU: 1
; Occupancy: 10
; WaveLimiterHint : 0
; COMPUTE_PGM_RSRC2:SCRATCH_EN: 0
; COMPUTE_PGM_RSRC2:USER_SGPR: 6
; COMPUTE_PGM_RSRC2:TRAP_HANDLER: 0
; COMPUTE_PGM_RSRC2:TGID_X_EN: 1
; COMPUTE_PGM_RSRC2:TGID_Y_EN: 0
; COMPUTE_PGM_RSRC2:TGID_Z_EN: 0
; COMPUTE_PGM_RSRC2:TIDIG_COMP_CNT: 0
	.section	.text._ZN7rocprim17ROCPRIM_400000_NS6detail17trampoline_kernelINS0_14default_configENS1_29reduce_by_key_config_selectorIN3c104HalfElN6thrust23THRUST_200600_302600_NS4plusIlEEEEZZNS1_33reduce_by_key_impl_wrapped_configILNS1_25lookback_scan_determinismE0ES3_SB_PS6_NS8_17constant_iteratorIiNS8_11use_defaultESG_EENS8_10device_ptrIS6_EENSI_IlEEPmSA_NS8_8equal_toIS6_EEEE10hipError_tPvRmT2_T3_mT4_T5_T6_T7_T8_P12ihipStream_tbENKUlT_T0_E_clISt17integral_constantIbLb0EES14_IbLb1EEEEDaS10_S11_EUlS10_E_NS1_11comp_targetILNS1_3genE8ELNS1_11target_archE1030ELNS1_3gpuE2ELNS1_3repE0EEENS1_30default_config_static_selectorELNS0_4arch9wavefront6targetE1EEEvT1_,"axG",@progbits,_ZN7rocprim17ROCPRIM_400000_NS6detail17trampoline_kernelINS0_14default_configENS1_29reduce_by_key_config_selectorIN3c104HalfElN6thrust23THRUST_200600_302600_NS4plusIlEEEEZZNS1_33reduce_by_key_impl_wrapped_configILNS1_25lookback_scan_determinismE0ES3_SB_PS6_NS8_17constant_iteratorIiNS8_11use_defaultESG_EENS8_10device_ptrIS6_EENSI_IlEEPmSA_NS8_8equal_toIS6_EEEE10hipError_tPvRmT2_T3_mT4_T5_T6_T7_T8_P12ihipStream_tbENKUlT_T0_E_clISt17integral_constantIbLb0EES14_IbLb1EEEEDaS10_S11_EUlS10_E_NS1_11comp_targetILNS1_3genE8ELNS1_11target_archE1030ELNS1_3gpuE2ELNS1_3repE0EEENS1_30default_config_static_selectorELNS0_4arch9wavefront6targetE1EEEvT1_,comdat
	.protected	_ZN7rocprim17ROCPRIM_400000_NS6detail17trampoline_kernelINS0_14default_configENS1_29reduce_by_key_config_selectorIN3c104HalfElN6thrust23THRUST_200600_302600_NS4plusIlEEEEZZNS1_33reduce_by_key_impl_wrapped_configILNS1_25lookback_scan_determinismE0ES3_SB_PS6_NS8_17constant_iteratorIiNS8_11use_defaultESG_EENS8_10device_ptrIS6_EENSI_IlEEPmSA_NS8_8equal_toIS6_EEEE10hipError_tPvRmT2_T3_mT4_T5_T6_T7_T8_P12ihipStream_tbENKUlT_T0_E_clISt17integral_constantIbLb0EES14_IbLb1EEEEDaS10_S11_EUlS10_E_NS1_11comp_targetILNS1_3genE8ELNS1_11target_archE1030ELNS1_3gpuE2ELNS1_3repE0EEENS1_30default_config_static_selectorELNS0_4arch9wavefront6targetE1EEEvT1_ ; -- Begin function _ZN7rocprim17ROCPRIM_400000_NS6detail17trampoline_kernelINS0_14default_configENS1_29reduce_by_key_config_selectorIN3c104HalfElN6thrust23THRUST_200600_302600_NS4plusIlEEEEZZNS1_33reduce_by_key_impl_wrapped_configILNS1_25lookback_scan_determinismE0ES3_SB_PS6_NS8_17constant_iteratorIiNS8_11use_defaultESG_EENS8_10device_ptrIS6_EENSI_IlEEPmSA_NS8_8equal_toIS6_EEEE10hipError_tPvRmT2_T3_mT4_T5_T6_T7_T8_P12ihipStream_tbENKUlT_T0_E_clISt17integral_constantIbLb0EES14_IbLb1EEEEDaS10_S11_EUlS10_E_NS1_11comp_targetILNS1_3genE8ELNS1_11target_archE1030ELNS1_3gpuE2ELNS1_3repE0EEENS1_30default_config_static_selectorELNS0_4arch9wavefront6targetE1EEEvT1_
	.globl	_ZN7rocprim17ROCPRIM_400000_NS6detail17trampoline_kernelINS0_14default_configENS1_29reduce_by_key_config_selectorIN3c104HalfElN6thrust23THRUST_200600_302600_NS4plusIlEEEEZZNS1_33reduce_by_key_impl_wrapped_configILNS1_25lookback_scan_determinismE0ES3_SB_PS6_NS8_17constant_iteratorIiNS8_11use_defaultESG_EENS8_10device_ptrIS6_EENSI_IlEEPmSA_NS8_8equal_toIS6_EEEE10hipError_tPvRmT2_T3_mT4_T5_T6_T7_T8_P12ihipStream_tbENKUlT_T0_E_clISt17integral_constantIbLb0EES14_IbLb1EEEEDaS10_S11_EUlS10_E_NS1_11comp_targetILNS1_3genE8ELNS1_11target_archE1030ELNS1_3gpuE2ELNS1_3repE0EEENS1_30default_config_static_selectorELNS0_4arch9wavefront6targetE1EEEvT1_
	.p2align	8
	.type	_ZN7rocprim17ROCPRIM_400000_NS6detail17trampoline_kernelINS0_14default_configENS1_29reduce_by_key_config_selectorIN3c104HalfElN6thrust23THRUST_200600_302600_NS4plusIlEEEEZZNS1_33reduce_by_key_impl_wrapped_configILNS1_25lookback_scan_determinismE0ES3_SB_PS6_NS8_17constant_iteratorIiNS8_11use_defaultESG_EENS8_10device_ptrIS6_EENSI_IlEEPmSA_NS8_8equal_toIS6_EEEE10hipError_tPvRmT2_T3_mT4_T5_T6_T7_T8_P12ihipStream_tbENKUlT_T0_E_clISt17integral_constantIbLb0EES14_IbLb1EEEEDaS10_S11_EUlS10_E_NS1_11comp_targetILNS1_3genE8ELNS1_11target_archE1030ELNS1_3gpuE2ELNS1_3repE0EEENS1_30default_config_static_selectorELNS0_4arch9wavefront6targetE1EEEvT1_,@function
_ZN7rocprim17ROCPRIM_400000_NS6detail17trampoline_kernelINS0_14default_configENS1_29reduce_by_key_config_selectorIN3c104HalfElN6thrust23THRUST_200600_302600_NS4plusIlEEEEZZNS1_33reduce_by_key_impl_wrapped_configILNS1_25lookback_scan_determinismE0ES3_SB_PS6_NS8_17constant_iteratorIiNS8_11use_defaultESG_EENS8_10device_ptrIS6_EENSI_IlEEPmSA_NS8_8equal_toIS6_EEEE10hipError_tPvRmT2_T3_mT4_T5_T6_T7_T8_P12ihipStream_tbENKUlT_T0_E_clISt17integral_constantIbLb0EES14_IbLb1EEEEDaS10_S11_EUlS10_E_NS1_11comp_targetILNS1_3genE8ELNS1_11target_archE1030ELNS1_3gpuE2ELNS1_3repE0EEENS1_30default_config_static_selectorELNS0_4arch9wavefront6targetE1EEEvT1_: ; @_ZN7rocprim17ROCPRIM_400000_NS6detail17trampoline_kernelINS0_14default_configENS1_29reduce_by_key_config_selectorIN3c104HalfElN6thrust23THRUST_200600_302600_NS4plusIlEEEEZZNS1_33reduce_by_key_impl_wrapped_configILNS1_25lookback_scan_determinismE0ES3_SB_PS6_NS8_17constant_iteratorIiNS8_11use_defaultESG_EENS8_10device_ptrIS6_EENSI_IlEEPmSA_NS8_8equal_toIS6_EEEE10hipError_tPvRmT2_T3_mT4_T5_T6_T7_T8_P12ihipStream_tbENKUlT_T0_E_clISt17integral_constantIbLb0EES14_IbLb1EEEEDaS10_S11_EUlS10_E_NS1_11comp_targetILNS1_3genE8ELNS1_11target_archE1030ELNS1_3gpuE2ELNS1_3repE0EEENS1_30default_config_static_selectorELNS0_4arch9wavefront6targetE1EEEvT1_
; %bb.0:
	.section	.rodata,"a",@progbits
	.p2align	6, 0x0
	.amdhsa_kernel _ZN7rocprim17ROCPRIM_400000_NS6detail17trampoline_kernelINS0_14default_configENS1_29reduce_by_key_config_selectorIN3c104HalfElN6thrust23THRUST_200600_302600_NS4plusIlEEEEZZNS1_33reduce_by_key_impl_wrapped_configILNS1_25lookback_scan_determinismE0ES3_SB_PS6_NS8_17constant_iteratorIiNS8_11use_defaultESG_EENS8_10device_ptrIS6_EENSI_IlEEPmSA_NS8_8equal_toIS6_EEEE10hipError_tPvRmT2_T3_mT4_T5_T6_T7_T8_P12ihipStream_tbENKUlT_T0_E_clISt17integral_constantIbLb0EES14_IbLb1EEEEDaS10_S11_EUlS10_E_NS1_11comp_targetILNS1_3genE8ELNS1_11target_archE1030ELNS1_3gpuE2ELNS1_3repE0EEENS1_30default_config_static_selectorELNS0_4arch9wavefront6targetE1EEEvT1_
		.amdhsa_group_segment_fixed_size 0
		.amdhsa_private_segment_fixed_size 0
		.amdhsa_kernarg_size 144
		.amdhsa_user_sgpr_count 6
		.amdhsa_user_sgpr_private_segment_buffer 1
		.amdhsa_user_sgpr_dispatch_ptr 0
		.amdhsa_user_sgpr_queue_ptr 0
		.amdhsa_user_sgpr_kernarg_segment_ptr 1
		.amdhsa_user_sgpr_dispatch_id 0
		.amdhsa_user_sgpr_flat_scratch_init 0
		.amdhsa_user_sgpr_private_segment_size 0
		.amdhsa_uses_dynamic_stack 0
		.amdhsa_system_sgpr_private_segment_wavefront_offset 0
		.amdhsa_system_sgpr_workgroup_id_x 1
		.amdhsa_system_sgpr_workgroup_id_y 0
		.amdhsa_system_sgpr_workgroup_id_z 0
		.amdhsa_system_sgpr_workgroup_info 0
		.amdhsa_system_vgpr_workitem_id 0
		.amdhsa_next_free_vgpr 1
		.amdhsa_next_free_sgpr 0
		.amdhsa_reserve_vcc 0
		.amdhsa_reserve_flat_scratch 0
		.amdhsa_float_round_mode_32 0
		.amdhsa_float_round_mode_16_64 0
		.amdhsa_float_denorm_mode_32 3
		.amdhsa_float_denorm_mode_16_64 3
		.amdhsa_dx10_clamp 1
		.amdhsa_ieee_mode 1
		.amdhsa_fp16_overflow 0
		.amdhsa_exception_fp_ieee_invalid_op 0
		.amdhsa_exception_fp_denorm_src 0
		.amdhsa_exception_fp_ieee_div_zero 0
		.amdhsa_exception_fp_ieee_overflow 0
		.amdhsa_exception_fp_ieee_underflow 0
		.amdhsa_exception_fp_ieee_inexact 0
		.amdhsa_exception_int_div_zero 0
	.end_amdhsa_kernel
	.section	.text._ZN7rocprim17ROCPRIM_400000_NS6detail17trampoline_kernelINS0_14default_configENS1_29reduce_by_key_config_selectorIN3c104HalfElN6thrust23THRUST_200600_302600_NS4plusIlEEEEZZNS1_33reduce_by_key_impl_wrapped_configILNS1_25lookback_scan_determinismE0ES3_SB_PS6_NS8_17constant_iteratorIiNS8_11use_defaultESG_EENS8_10device_ptrIS6_EENSI_IlEEPmSA_NS8_8equal_toIS6_EEEE10hipError_tPvRmT2_T3_mT4_T5_T6_T7_T8_P12ihipStream_tbENKUlT_T0_E_clISt17integral_constantIbLb0EES14_IbLb1EEEEDaS10_S11_EUlS10_E_NS1_11comp_targetILNS1_3genE8ELNS1_11target_archE1030ELNS1_3gpuE2ELNS1_3repE0EEENS1_30default_config_static_selectorELNS0_4arch9wavefront6targetE1EEEvT1_,"axG",@progbits,_ZN7rocprim17ROCPRIM_400000_NS6detail17trampoline_kernelINS0_14default_configENS1_29reduce_by_key_config_selectorIN3c104HalfElN6thrust23THRUST_200600_302600_NS4plusIlEEEEZZNS1_33reduce_by_key_impl_wrapped_configILNS1_25lookback_scan_determinismE0ES3_SB_PS6_NS8_17constant_iteratorIiNS8_11use_defaultESG_EENS8_10device_ptrIS6_EENSI_IlEEPmSA_NS8_8equal_toIS6_EEEE10hipError_tPvRmT2_T3_mT4_T5_T6_T7_T8_P12ihipStream_tbENKUlT_T0_E_clISt17integral_constantIbLb0EES14_IbLb1EEEEDaS10_S11_EUlS10_E_NS1_11comp_targetILNS1_3genE8ELNS1_11target_archE1030ELNS1_3gpuE2ELNS1_3repE0EEENS1_30default_config_static_selectorELNS0_4arch9wavefront6targetE1EEEvT1_,comdat
.Lfunc_end2233:
	.size	_ZN7rocprim17ROCPRIM_400000_NS6detail17trampoline_kernelINS0_14default_configENS1_29reduce_by_key_config_selectorIN3c104HalfElN6thrust23THRUST_200600_302600_NS4plusIlEEEEZZNS1_33reduce_by_key_impl_wrapped_configILNS1_25lookback_scan_determinismE0ES3_SB_PS6_NS8_17constant_iteratorIiNS8_11use_defaultESG_EENS8_10device_ptrIS6_EENSI_IlEEPmSA_NS8_8equal_toIS6_EEEE10hipError_tPvRmT2_T3_mT4_T5_T6_T7_T8_P12ihipStream_tbENKUlT_T0_E_clISt17integral_constantIbLb0EES14_IbLb1EEEEDaS10_S11_EUlS10_E_NS1_11comp_targetILNS1_3genE8ELNS1_11target_archE1030ELNS1_3gpuE2ELNS1_3repE0EEENS1_30default_config_static_selectorELNS0_4arch9wavefront6targetE1EEEvT1_, .Lfunc_end2233-_ZN7rocprim17ROCPRIM_400000_NS6detail17trampoline_kernelINS0_14default_configENS1_29reduce_by_key_config_selectorIN3c104HalfElN6thrust23THRUST_200600_302600_NS4plusIlEEEEZZNS1_33reduce_by_key_impl_wrapped_configILNS1_25lookback_scan_determinismE0ES3_SB_PS6_NS8_17constant_iteratorIiNS8_11use_defaultESG_EENS8_10device_ptrIS6_EENSI_IlEEPmSA_NS8_8equal_toIS6_EEEE10hipError_tPvRmT2_T3_mT4_T5_T6_T7_T8_P12ihipStream_tbENKUlT_T0_E_clISt17integral_constantIbLb0EES14_IbLb1EEEEDaS10_S11_EUlS10_E_NS1_11comp_targetILNS1_3genE8ELNS1_11target_archE1030ELNS1_3gpuE2ELNS1_3repE0EEENS1_30default_config_static_selectorELNS0_4arch9wavefront6targetE1EEEvT1_
                                        ; -- End function
	.set _ZN7rocprim17ROCPRIM_400000_NS6detail17trampoline_kernelINS0_14default_configENS1_29reduce_by_key_config_selectorIN3c104HalfElN6thrust23THRUST_200600_302600_NS4plusIlEEEEZZNS1_33reduce_by_key_impl_wrapped_configILNS1_25lookback_scan_determinismE0ES3_SB_PS6_NS8_17constant_iteratorIiNS8_11use_defaultESG_EENS8_10device_ptrIS6_EENSI_IlEEPmSA_NS8_8equal_toIS6_EEEE10hipError_tPvRmT2_T3_mT4_T5_T6_T7_T8_P12ihipStream_tbENKUlT_T0_E_clISt17integral_constantIbLb0EES14_IbLb1EEEEDaS10_S11_EUlS10_E_NS1_11comp_targetILNS1_3genE8ELNS1_11target_archE1030ELNS1_3gpuE2ELNS1_3repE0EEENS1_30default_config_static_selectorELNS0_4arch9wavefront6targetE1EEEvT1_.num_vgpr, 0
	.set _ZN7rocprim17ROCPRIM_400000_NS6detail17trampoline_kernelINS0_14default_configENS1_29reduce_by_key_config_selectorIN3c104HalfElN6thrust23THRUST_200600_302600_NS4plusIlEEEEZZNS1_33reduce_by_key_impl_wrapped_configILNS1_25lookback_scan_determinismE0ES3_SB_PS6_NS8_17constant_iteratorIiNS8_11use_defaultESG_EENS8_10device_ptrIS6_EENSI_IlEEPmSA_NS8_8equal_toIS6_EEEE10hipError_tPvRmT2_T3_mT4_T5_T6_T7_T8_P12ihipStream_tbENKUlT_T0_E_clISt17integral_constantIbLb0EES14_IbLb1EEEEDaS10_S11_EUlS10_E_NS1_11comp_targetILNS1_3genE8ELNS1_11target_archE1030ELNS1_3gpuE2ELNS1_3repE0EEENS1_30default_config_static_selectorELNS0_4arch9wavefront6targetE1EEEvT1_.num_agpr, 0
	.set _ZN7rocprim17ROCPRIM_400000_NS6detail17trampoline_kernelINS0_14default_configENS1_29reduce_by_key_config_selectorIN3c104HalfElN6thrust23THRUST_200600_302600_NS4plusIlEEEEZZNS1_33reduce_by_key_impl_wrapped_configILNS1_25lookback_scan_determinismE0ES3_SB_PS6_NS8_17constant_iteratorIiNS8_11use_defaultESG_EENS8_10device_ptrIS6_EENSI_IlEEPmSA_NS8_8equal_toIS6_EEEE10hipError_tPvRmT2_T3_mT4_T5_T6_T7_T8_P12ihipStream_tbENKUlT_T0_E_clISt17integral_constantIbLb0EES14_IbLb1EEEEDaS10_S11_EUlS10_E_NS1_11comp_targetILNS1_3genE8ELNS1_11target_archE1030ELNS1_3gpuE2ELNS1_3repE0EEENS1_30default_config_static_selectorELNS0_4arch9wavefront6targetE1EEEvT1_.numbered_sgpr, 0
	.set _ZN7rocprim17ROCPRIM_400000_NS6detail17trampoline_kernelINS0_14default_configENS1_29reduce_by_key_config_selectorIN3c104HalfElN6thrust23THRUST_200600_302600_NS4plusIlEEEEZZNS1_33reduce_by_key_impl_wrapped_configILNS1_25lookback_scan_determinismE0ES3_SB_PS6_NS8_17constant_iteratorIiNS8_11use_defaultESG_EENS8_10device_ptrIS6_EENSI_IlEEPmSA_NS8_8equal_toIS6_EEEE10hipError_tPvRmT2_T3_mT4_T5_T6_T7_T8_P12ihipStream_tbENKUlT_T0_E_clISt17integral_constantIbLb0EES14_IbLb1EEEEDaS10_S11_EUlS10_E_NS1_11comp_targetILNS1_3genE8ELNS1_11target_archE1030ELNS1_3gpuE2ELNS1_3repE0EEENS1_30default_config_static_selectorELNS0_4arch9wavefront6targetE1EEEvT1_.num_named_barrier, 0
	.set _ZN7rocprim17ROCPRIM_400000_NS6detail17trampoline_kernelINS0_14default_configENS1_29reduce_by_key_config_selectorIN3c104HalfElN6thrust23THRUST_200600_302600_NS4plusIlEEEEZZNS1_33reduce_by_key_impl_wrapped_configILNS1_25lookback_scan_determinismE0ES3_SB_PS6_NS8_17constant_iteratorIiNS8_11use_defaultESG_EENS8_10device_ptrIS6_EENSI_IlEEPmSA_NS8_8equal_toIS6_EEEE10hipError_tPvRmT2_T3_mT4_T5_T6_T7_T8_P12ihipStream_tbENKUlT_T0_E_clISt17integral_constantIbLb0EES14_IbLb1EEEEDaS10_S11_EUlS10_E_NS1_11comp_targetILNS1_3genE8ELNS1_11target_archE1030ELNS1_3gpuE2ELNS1_3repE0EEENS1_30default_config_static_selectorELNS0_4arch9wavefront6targetE1EEEvT1_.private_seg_size, 0
	.set _ZN7rocprim17ROCPRIM_400000_NS6detail17trampoline_kernelINS0_14default_configENS1_29reduce_by_key_config_selectorIN3c104HalfElN6thrust23THRUST_200600_302600_NS4plusIlEEEEZZNS1_33reduce_by_key_impl_wrapped_configILNS1_25lookback_scan_determinismE0ES3_SB_PS6_NS8_17constant_iteratorIiNS8_11use_defaultESG_EENS8_10device_ptrIS6_EENSI_IlEEPmSA_NS8_8equal_toIS6_EEEE10hipError_tPvRmT2_T3_mT4_T5_T6_T7_T8_P12ihipStream_tbENKUlT_T0_E_clISt17integral_constantIbLb0EES14_IbLb1EEEEDaS10_S11_EUlS10_E_NS1_11comp_targetILNS1_3genE8ELNS1_11target_archE1030ELNS1_3gpuE2ELNS1_3repE0EEENS1_30default_config_static_selectorELNS0_4arch9wavefront6targetE1EEEvT1_.uses_vcc, 0
	.set _ZN7rocprim17ROCPRIM_400000_NS6detail17trampoline_kernelINS0_14default_configENS1_29reduce_by_key_config_selectorIN3c104HalfElN6thrust23THRUST_200600_302600_NS4plusIlEEEEZZNS1_33reduce_by_key_impl_wrapped_configILNS1_25lookback_scan_determinismE0ES3_SB_PS6_NS8_17constant_iteratorIiNS8_11use_defaultESG_EENS8_10device_ptrIS6_EENSI_IlEEPmSA_NS8_8equal_toIS6_EEEE10hipError_tPvRmT2_T3_mT4_T5_T6_T7_T8_P12ihipStream_tbENKUlT_T0_E_clISt17integral_constantIbLb0EES14_IbLb1EEEEDaS10_S11_EUlS10_E_NS1_11comp_targetILNS1_3genE8ELNS1_11target_archE1030ELNS1_3gpuE2ELNS1_3repE0EEENS1_30default_config_static_selectorELNS0_4arch9wavefront6targetE1EEEvT1_.uses_flat_scratch, 0
	.set _ZN7rocprim17ROCPRIM_400000_NS6detail17trampoline_kernelINS0_14default_configENS1_29reduce_by_key_config_selectorIN3c104HalfElN6thrust23THRUST_200600_302600_NS4plusIlEEEEZZNS1_33reduce_by_key_impl_wrapped_configILNS1_25lookback_scan_determinismE0ES3_SB_PS6_NS8_17constant_iteratorIiNS8_11use_defaultESG_EENS8_10device_ptrIS6_EENSI_IlEEPmSA_NS8_8equal_toIS6_EEEE10hipError_tPvRmT2_T3_mT4_T5_T6_T7_T8_P12ihipStream_tbENKUlT_T0_E_clISt17integral_constantIbLb0EES14_IbLb1EEEEDaS10_S11_EUlS10_E_NS1_11comp_targetILNS1_3genE8ELNS1_11target_archE1030ELNS1_3gpuE2ELNS1_3repE0EEENS1_30default_config_static_selectorELNS0_4arch9wavefront6targetE1EEEvT1_.has_dyn_sized_stack, 0
	.set _ZN7rocprim17ROCPRIM_400000_NS6detail17trampoline_kernelINS0_14default_configENS1_29reduce_by_key_config_selectorIN3c104HalfElN6thrust23THRUST_200600_302600_NS4plusIlEEEEZZNS1_33reduce_by_key_impl_wrapped_configILNS1_25lookback_scan_determinismE0ES3_SB_PS6_NS8_17constant_iteratorIiNS8_11use_defaultESG_EENS8_10device_ptrIS6_EENSI_IlEEPmSA_NS8_8equal_toIS6_EEEE10hipError_tPvRmT2_T3_mT4_T5_T6_T7_T8_P12ihipStream_tbENKUlT_T0_E_clISt17integral_constantIbLb0EES14_IbLb1EEEEDaS10_S11_EUlS10_E_NS1_11comp_targetILNS1_3genE8ELNS1_11target_archE1030ELNS1_3gpuE2ELNS1_3repE0EEENS1_30default_config_static_selectorELNS0_4arch9wavefront6targetE1EEEvT1_.has_recursion, 0
	.set _ZN7rocprim17ROCPRIM_400000_NS6detail17trampoline_kernelINS0_14default_configENS1_29reduce_by_key_config_selectorIN3c104HalfElN6thrust23THRUST_200600_302600_NS4plusIlEEEEZZNS1_33reduce_by_key_impl_wrapped_configILNS1_25lookback_scan_determinismE0ES3_SB_PS6_NS8_17constant_iteratorIiNS8_11use_defaultESG_EENS8_10device_ptrIS6_EENSI_IlEEPmSA_NS8_8equal_toIS6_EEEE10hipError_tPvRmT2_T3_mT4_T5_T6_T7_T8_P12ihipStream_tbENKUlT_T0_E_clISt17integral_constantIbLb0EES14_IbLb1EEEEDaS10_S11_EUlS10_E_NS1_11comp_targetILNS1_3genE8ELNS1_11target_archE1030ELNS1_3gpuE2ELNS1_3repE0EEENS1_30default_config_static_selectorELNS0_4arch9wavefront6targetE1EEEvT1_.has_indirect_call, 0
	.section	.AMDGPU.csdata,"",@progbits
; Kernel info:
; codeLenInByte = 0
; TotalNumSgprs: 4
; NumVgprs: 0
; ScratchSize: 0
; MemoryBound: 0
; FloatMode: 240
; IeeeMode: 1
; LDSByteSize: 0 bytes/workgroup (compile time only)
; SGPRBlocks: 0
; VGPRBlocks: 0
; NumSGPRsForWavesPerEU: 4
; NumVGPRsForWavesPerEU: 1
; Occupancy: 10
; WaveLimiterHint : 0
; COMPUTE_PGM_RSRC2:SCRATCH_EN: 0
; COMPUTE_PGM_RSRC2:USER_SGPR: 6
; COMPUTE_PGM_RSRC2:TRAP_HANDLER: 0
; COMPUTE_PGM_RSRC2:TGID_X_EN: 1
; COMPUTE_PGM_RSRC2:TGID_Y_EN: 0
; COMPUTE_PGM_RSRC2:TGID_Z_EN: 0
; COMPUTE_PGM_RSRC2:TIDIG_COMP_CNT: 0
	.section	.text._ZN7rocprim17ROCPRIM_400000_NS6detail17trampoline_kernelINS0_14default_configENS1_22reduce_config_selectorIN6thrust23THRUST_200600_302600_NS5tupleIblNS6_9null_typeES8_S8_S8_S8_S8_S8_S8_EEEEZNS1_11reduce_implILb1ES3_NS6_12zip_iteratorINS7_INS6_11hip_rocprim26transform_input_iterator_tIbPN3c104HalfENS6_6detail10functional5actorINSJ_9compositeIJNSJ_27transparent_binary_operatorINS6_8equal_toIvEEEENSK_INSJ_8argumentILj0EEEEENSJ_5valueISG_EEEEEEEEENSD_19counting_iterator_tIlEES8_S8_S8_S8_S8_S8_S8_S8_EEEEPS9_S9_NSD_9__find_if7functorIS9_EEEE10hipError_tPvRmT1_T2_T3_mT4_P12ihipStream_tbEUlT_E0_NS1_11comp_targetILNS1_3genE0ELNS1_11target_archE4294967295ELNS1_3gpuE0ELNS1_3repE0EEENS1_30default_config_static_selectorELNS0_4arch9wavefront6targetE1EEEvS19_,"axG",@progbits,_ZN7rocprim17ROCPRIM_400000_NS6detail17trampoline_kernelINS0_14default_configENS1_22reduce_config_selectorIN6thrust23THRUST_200600_302600_NS5tupleIblNS6_9null_typeES8_S8_S8_S8_S8_S8_S8_EEEEZNS1_11reduce_implILb1ES3_NS6_12zip_iteratorINS7_INS6_11hip_rocprim26transform_input_iterator_tIbPN3c104HalfENS6_6detail10functional5actorINSJ_9compositeIJNSJ_27transparent_binary_operatorINS6_8equal_toIvEEEENSK_INSJ_8argumentILj0EEEEENSJ_5valueISG_EEEEEEEEENSD_19counting_iterator_tIlEES8_S8_S8_S8_S8_S8_S8_S8_EEEEPS9_S9_NSD_9__find_if7functorIS9_EEEE10hipError_tPvRmT1_T2_T3_mT4_P12ihipStream_tbEUlT_E0_NS1_11comp_targetILNS1_3genE0ELNS1_11target_archE4294967295ELNS1_3gpuE0ELNS1_3repE0EEENS1_30default_config_static_selectorELNS0_4arch9wavefront6targetE1EEEvS19_,comdat
	.protected	_ZN7rocprim17ROCPRIM_400000_NS6detail17trampoline_kernelINS0_14default_configENS1_22reduce_config_selectorIN6thrust23THRUST_200600_302600_NS5tupleIblNS6_9null_typeES8_S8_S8_S8_S8_S8_S8_EEEEZNS1_11reduce_implILb1ES3_NS6_12zip_iteratorINS7_INS6_11hip_rocprim26transform_input_iterator_tIbPN3c104HalfENS6_6detail10functional5actorINSJ_9compositeIJNSJ_27transparent_binary_operatorINS6_8equal_toIvEEEENSK_INSJ_8argumentILj0EEEEENSJ_5valueISG_EEEEEEEEENSD_19counting_iterator_tIlEES8_S8_S8_S8_S8_S8_S8_S8_EEEEPS9_S9_NSD_9__find_if7functorIS9_EEEE10hipError_tPvRmT1_T2_T3_mT4_P12ihipStream_tbEUlT_E0_NS1_11comp_targetILNS1_3genE0ELNS1_11target_archE4294967295ELNS1_3gpuE0ELNS1_3repE0EEENS1_30default_config_static_selectorELNS0_4arch9wavefront6targetE1EEEvS19_ ; -- Begin function _ZN7rocprim17ROCPRIM_400000_NS6detail17trampoline_kernelINS0_14default_configENS1_22reduce_config_selectorIN6thrust23THRUST_200600_302600_NS5tupleIblNS6_9null_typeES8_S8_S8_S8_S8_S8_S8_EEEEZNS1_11reduce_implILb1ES3_NS6_12zip_iteratorINS7_INS6_11hip_rocprim26transform_input_iterator_tIbPN3c104HalfENS6_6detail10functional5actorINSJ_9compositeIJNSJ_27transparent_binary_operatorINS6_8equal_toIvEEEENSK_INSJ_8argumentILj0EEEEENSJ_5valueISG_EEEEEEEEENSD_19counting_iterator_tIlEES8_S8_S8_S8_S8_S8_S8_S8_EEEEPS9_S9_NSD_9__find_if7functorIS9_EEEE10hipError_tPvRmT1_T2_T3_mT4_P12ihipStream_tbEUlT_E0_NS1_11comp_targetILNS1_3genE0ELNS1_11target_archE4294967295ELNS1_3gpuE0ELNS1_3repE0EEENS1_30default_config_static_selectorELNS0_4arch9wavefront6targetE1EEEvS19_
	.globl	_ZN7rocprim17ROCPRIM_400000_NS6detail17trampoline_kernelINS0_14default_configENS1_22reduce_config_selectorIN6thrust23THRUST_200600_302600_NS5tupleIblNS6_9null_typeES8_S8_S8_S8_S8_S8_S8_EEEEZNS1_11reduce_implILb1ES3_NS6_12zip_iteratorINS7_INS6_11hip_rocprim26transform_input_iterator_tIbPN3c104HalfENS6_6detail10functional5actorINSJ_9compositeIJNSJ_27transparent_binary_operatorINS6_8equal_toIvEEEENSK_INSJ_8argumentILj0EEEEENSJ_5valueISG_EEEEEEEEENSD_19counting_iterator_tIlEES8_S8_S8_S8_S8_S8_S8_S8_EEEEPS9_S9_NSD_9__find_if7functorIS9_EEEE10hipError_tPvRmT1_T2_T3_mT4_P12ihipStream_tbEUlT_E0_NS1_11comp_targetILNS1_3genE0ELNS1_11target_archE4294967295ELNS1_3gpuE0ELNS1_3repE0EEENS1_30default_config_static_selectorELNS0_4arch9wavefront6targetE1EEEvS19_
	.p2align	8
	.type	_ZN7rocprim17ROCPRIM_400000_NS6detail17trampoline_kernelINS0_14default_configENS1_22reduce_config_selectorIN6thrust23THRUST_200600_302600_NS5tupleIblNS6_9null_typeES8_S8_S8_S8_S8_S8_S8_EEEEZNS1_11reduce_implILb1ES3_NS6_12zip_iteratorINS7_INS6_11hip_rocprim26transform_input_iterator_tIbPN3c104HalfENS6_6detail10functional5actorINSJ_9compositeIJNSJ_27transparent_binary_operatorINS6_8equal_toIvEEEENSK_INSJ_8argumentILj0EEEEENSJ_5valueISG_EEEEEEEEENSD_19counting_iterator_tIlEES8_S8_S8_S8_S8_S8_S8_S8_EEEEPS9_S9_NSD_9__find_if7functorIS9_EEEE10hipError_tPvRmT1_T2_T3_mT4_P12ihipStream_tbEUlT_E0_NS1_11comp_targetILNS1_3genE0ELNS1_11target_archE4294967295ELNS1_3gpuE0ELNS1_3repE0EEENS1_30default_config_static_selectorELNS0_4arch9wavefront6targetE1EEEvS19_,@function
_ZN7rocprim17ROCPRIM_400000_NS6detail17trampoline_kernelINS0_14default_configENS1_22reduce_config_selectorIN6thrust23THRUST_200600_302600_NS5tupleIblNS6_9null_typeES8_S8_S8_S8_S8_S8_S8_EEEEZNS1_11reduce_implILb1ES3_NS6_12zip_iteratorINS7_INS6_11hip_rocprim26transform_input_iterator_tIbPN3c104HalfENS6_6detail10functional5actorINSJ_9compositeIJNSJ_27transparent_binary_operatorINS6_8equal_toIvEEEENSK_INSJ_8argumentILj0EEEEENSJ_5valueISG_EEEEEEEEENSD_19counting_iterator_tIlEES8_S8_S8_S8_S8_S8_S8_S8_EEEEPS9_S9_NSD_9__find_if7functorIS9_EEEE10hipError_tPvRmT1_T2_T3_mT4_P12ihipStream_tbEUlT_E0_NS1_11comp_targetILNS1_3genE0ELNS1_11target_archE4294967295ELNS1_3gpuE0ELNS1_3repE0EEENS1_30default_config_static_selectorELNS0_4arch9wavefront6targetE1EEEvS19_: ; @_ZN7rocprim17ROCPRIM_400000_NS6detail17trampoline_kernelINS0_14default_configENS1_22reduce_config_selectorIN6thrust23THRUST_200600_302600_NS5tupleIblNS6_9null_typeES8_S8_S8_S8_S8_S8_S8_EEEEZNS1_11reduce_implILb1ES3_NS6_12zip_iteratorINS7_INS6_11hip_rocprim26transform_input_iterator_tIbPN3c104HalfENS6_6detail10functional5actorINSJ_9compositeIJNSJ_27transparent_binary_operatorINS6_8equal_toIvEEEENSK_INSJ_8argumentILj0EEEEENSJ_5valueISG_EEEEEEEEENSD_19counting_iterator_tIlEES8_S8_S8_S8_S8_S8_S8_S8_EEEEPS9_S9_NSD_9__find_if7functorIS9_EEEE10hipError_tPvRmT1_T2_T3_mT4_P12ihipStream_tbEUlT_E0_NS1_11comp_targetILNS1_3genE0ELNS1_11target_archE4294967295ELNS1_3gpuE0ELNS1_3repE0EEENS1_30default_config_static_selectorELNS0_4arch9wavefront6targetE1EEEvS19_
; %bb.0:
	.section	.rodata,"a",@progbits
	.p2align	6, 0x0
	.amdhsa_kernel _ZN7rocprim17ROCPRIM_400000_NS6detail17trampoline_kernelINS0_14default_configENS1_22reduce_config_selectorIN6thrust23THRUST_200600_302600_NS5tupleIblNS6_9null_typeES8_S8_S8_S8_S8_S8_S8_EEEEZNS1_11reduce_implILb1ES3_NS6_12zip_iteratorINS7_INS6_11hip_rocprim26transform_input_iterator_tIbPN3c104HalfENS6_6detail10functional5actorINSJ_9compositeIJNSJ_27transparent_binary_operatorINS6_8equal_toIvEEEENSK_INSJ_8argumentILj0EEEEENSJ_5valueISG_EEEEEEEEENSD_19counting_iterator_tIlEES8_S8_S8_S8_S8_S8_S8_S8_EEEEPS9_S9_NSD_9__find_if7functorIS9_EEEE10hipError_tPvRmT1_T2_T3_mT4_P12ihipStream_tbEUlT_E0_NS1_11comp_targetILNS1_3genE0ELNS1_11target_archE4294967295ELNS1_3gpuE0ELNS1_3repE0EEENS1_30default_config_static_selectorELNS0_4arch9wavefront6targetE1EEEvS19_
		.amdhsa_group_segment_fixed_size 0
		.amdhsa_private_segment_fixed_size 0
		.amdhsa_kernarg_size 88
		.amdhsa_user_sgpr_count 6
		.amdhsa_user_sgpr_private_segment_buffer 1
		.amdhsa_user_sgpr_dispatch_ptr 0
		.amdhsa_user_sgpr_queue_ptr 0
		.amdhsa_user_sgpr_kernarg_segment_ptr 1
		.amdhsa_user_sgpr_dispatch_id 0
		.amdhsa_user_sgpr_flat_scratch_init 0
		.amdhsa_user_sgpr_private_segment_size 0
		.amdhsa_uses_dynamic_stack 0
		.amdhsa_system_sgpr_private_segment_wavefront_offset 0
		.amdhsa_system_sgpr_workgroup_id_x 1
		.amdhsa_system_sgpr_workgroup_id_y 0
		.amdhsa_system_sgpr_workgroup_id_z 0
		.amdhsa_system_sgpr_workgroup_info 0
		.amdhsa_system_vgpr_workitem_id 0
		.amdhsa_next_free_vgpr 1
		.amdhsa_next_free_sgpr 0
		.amdhsa_reserve_vcc 0
		.amdhsa_reserve_flat_scratch 0
		.amdhsa_float_round_mode_32 0
		.amdhsa_float_round_mode_16_64 0
		.amdhsa_float_denorm_mode_32 3
		.amdhsa_float_denorm_mode_16_64 3
		.amdhsa_dx10_clamp 1
		.amdhsa_ieee_mode 1
		.amdhsa_fp16_overflow 0
		.amdhsa_exception_fp_ieee_invalid_op 0
		.amdhsa_exception_fp_denorm_src 0
		.amdhsa_exception_fp_ieee_div_zero 0
		.amdhsa_exception_fp_ieee_overflow 0
		.amdhsa_exception_fp_ieee_underflow 0
		.amdhsa_exception_fp_ieee_inexact 0
		.amdhsa_exception_int_div_zero 0
	.end_amdhsa_kernel
	.section	.text._ZN7rocprim17ROCPRIM_400000_NS6detail17trampoline_kernelINS0_14default_configENS1_22reduce_config_selectorIN6thrust23THRUST_200600_302600_NS5tupleIblNS6_9null_typeES8_S8_S8_S8_S8_S8_S8_EEEEZNS1_11reduce_implILb1ES3_NS6_12zip_iteratorINS7_INS6_11hip_rocprim26transform_input_iterator_tIbPN3c104HalfENS6_6detail10functional5actorINSJ_9compositeIJNSJ_27transparent_binary_operatorINS6_8equal_toIvEEEENSK_INSJ_8argumentILj0EEEEENSJ_5valueISG_EEEEEEEEENSD_19counting_iterator_tIlEES8_S8_S8_S8_S8_S8_S8_S8_EEEEPS9_S9_NSD_9__find_if7functorIS9_EEEE10hipError_tPvRmT1_T2_T3_mT4_P12ihipStream_tbEUlT_E0_NS1_11comp_targetILNS1_3genE0ELNS1_11target_archE4294967295ELNS1_3gpuE0ELNS1_3repE0EEENS1_30default_config_static_selectorELNS0_4arch9wavefront6targetE1EEEvS19_,"axG",@progbits,_ZN7rocprim17ROCPRIM_400000_NS6detail17trampoline_kernelINS0_14default_configENS1_22reduce_config_selectorIN6thrust23THRUST_200600_302600_NS5tupleIblNS6_9null_typeES8_S8_S8_S8_S8_S8_S8_EEEEZNS1_11reduce_implILb1ES3_NS6_12zip_iteratorINS7_INS6_11hip_rocprim26transform_input_iterator_tIbPN3c104HalfENS6_6detail10functional5actorINSJ_9compositeIJNSJ_27transparent_binary_operatorINS6_8equal_toIvEEEENSK_INSJ_8argumentILj0EEEEENSJ_5valueISG_EEEEEEEEENSD_19counting_iterator_tIlEES8_S8_S8_S8_S8_S8_S8_S8_EEEEPS9_S9_NSD_9__find_if7functorIS9_EEEE10hipError_tPvRmT1_T2_T3_mT4_P12ihipStream_tbEUlT_E0_NS1_11comp_targetILNS1_3genE0ELNS1_11target_archE4294967295ELNS1_3gpuE0ELNS1_3repE0EEENS1_30default_config_static_selectorELNS0_4arch9wavefront6targetE1EEEvS19_,comdat
.Lfunc_end2234:
	.size	_ZN7rocprim17ROCPRIM_400000_NS6detail17trampoline_kernelINS0_14default_configENS1_22reduce_config_selectorIN6thrust23THRUST_200600_302600_NS5tupleIblNS6_9null_typeES8_S8_S8_S8_S8_S8_S8_EEEEZNS1_11reduce_implILb1ES3_NS6_12zip_iteratorINS7_INS6_11hip_rocprim26transform_input_iterator_tIbPN3c104HalfENS6_6detail10functional5actorINSJ_9compositeIJNSJ_27transparent_binary_operatorINS6_8equal_toIvEEEENSK_INSJ_8argumentILj0EEEEENSJ_5valueISG_EEEEEEEEENSD_19counting_iterator_tIlEES8_S8_S8_S8_S8_S8_S8_S8_EEEEPS9_S9_NSD_9__find_if7functorIS9_EEEE10hipError_tPvRmT1_T2_T3_mT4_P12ihipStream_tbEUlT_E0_NS1_11comp_targetILNS1_3genE0ELNS1_11target_archE4294967295ELNS1_3gpuE0ELNS1_3repE0EEENS1_30default_config_static_selectorELNS0_4arch9wavefront6targetE1EEEvS19_, .Lfunc_end2234-_ZN7rocprim17ROCPRIM_400000_NS6detail17trampoline_kernelINS0_14default_configENS1_22reduce_config_selectorIN6thrust23THRUST_200600_302600_NS5tupleIblNS6_9null_typeES8_S8_S8_S8_S8_S8_S8_EEEEZNS1_11reduce_implILb1ES3_NS6_12zip_iteratorINS7_INS6_11hip_rocprim26transform_input_iterator_tIbPN3c104HalfENS6_6detail10functional5actorINSJ_9compositeIJNSJ_27transparent_binary_operatorINS6_8equal_toIvEEEENSK_INSJ_8argumentILj0EEEEENSJ_5valueISG_EEEEEEEEENSD_19counting_iterator_tIlEES8_S8_S8_S8_S8_S8_S8_S8_EEEEPS9_S9_NSD_9__find_if7functorIS9_EEEE10hipError_tPvRmT1_T2_T3_mT4_P12ihipStream_tbEUlT_E0_NS1_11comp_targetILNS1_3genE0ELNS1_11target_archE4294967295ELNS1_3gpuE0ELNS1_3repE0EEENS1_30default_config_static_selectorELNS0_4arch9wavefront6targetE1EEEvS19_
                                        ; -- End function
	.set _ZN7rocprim17ROCPRIM_400000_NS6detail17trampoline_kernelINS0_14default_configENS1_22reduce_config_selectorIN6thrust23THRUST_200600_302600_NS5tupleIblNS6_9null_typeES8_S8_S8_S8_S8_S8_S8_EEEEZNS1_11reduce_implILb1ES3_NS6_12zip_iteratorINS7_INS6_11hip_rocprim26transform_input_iterator_tIbPN3c104HalfENS6_6detail10functional5actorINSJ_9compositeIJNSJ_27transparent_binary_operatorINS6_8equal_toIvEEEENSK_INSJ_8argumentILj0EEEEENSJ_5valueISG_EEEEEEEEENSD_19counting_iterator_tIlEES8_S8_S8_S8_S8_S8_S8_S8_EEEEPS9_S9_NSD_9__find_if7functorIS9_EEEE10hipError_tPvRmT1_T2_T3_mT4_P12ihipStream_tbEUlT_E0_NS1_11comp_targetILNS1_3genE0ELNS1_11target_archE4294967295ELNS1_3gpuE0ELNS1_3repE0EEENS1_30default_config_static_selectorELNS0_4arch9wavefront6targetE1EEEvS19_.num_vgpr, 0
	.set _ZN7rocprim17ROCPRIM_400000_NS6detail17trampoline_kernelINS0_14default_configENS1_22reduce_config_selectorIN6thrust23THRUST_200600_302600_NS5tupleIblNS6_9null_typeES8_S8_S8_S8_S8_S8_S8_EEEEZNS1_11reduce_implILb1ES3_NS6_12zip_iteratorINS7_INS6_11hip_rocprim26transform_input_iterator_tIbPN3c104HalfENS6_6detail10functional5actorINSJ_9compositeIJNSJ_27transparent_binary_operatorINS6_8equal_toIvEEEENSK_INSJ_8argumentILj0EEEEENSJ_5valueISG_EEEEEEEEENSD_19counting_iterator_tIlEES8_S8_S8_S8_S8_S8_S8_S8_EEEEPS9_S9_NSD_9__find_if7functorIS9_EEEE10hipError_tPvRmT1_T2_T3_mT4_P12ihipStream_tbEUlT_E0_NS1_11comp_targetILNS1_3genE0ELNS1_11target_archE4294967295ELNS1_3gpuE0ELNS1_3repE0EEENS1_30default_config_static_selectorELNS0_4arch9wavefront6targetE1EEEvS19_.num_agpr, 0
	.set _ZN7rocprim17ROCPRIM_400000_NS6detail17trampoline_kernelINS0_14default_configENS1_22reduce_config_selectorIN6thrust23THRUST_200600_302600_NS5tupleIblNS6_9null_typeES8_S8_S8_S8_S8_S8_S8_EEEEZNS1_11reduce_implILb1ES3_NS6_12zip_iteratorINS7_INS6_11hip_rocprim26transform_input_iterator_tIbPN3c104HalfENS6_6detail10functional5actorINSJ_9compositeIJNSJ_27transparent_binary_operatorINS6_8equal_toIvEEEENSK_INSJ_8argumentILj0EEEEENSJ_5valueISG_EEEEEEEEENSD_19counting_iterator_tIlEES8_S8_S8_S8_S8_S8_S8_S8_EEEEPS9_S9_NSD_9__find_if7functorIS9_EEEE10hipError_tPvRmT1_T2_T3_mT4_P12ihipStream_tbEUlT_E0_NS1_11comp_targetILNS1_3genE0ELNS1_11target_archE4294967295ELNS1_3gpuE0ELNS1_3repE0EEENS1_30default_config_static_selectorELNS0_4arch9wavefront6targetE1EEEvS19_.numbered_sgpr, 0
	.set _ZN7rocprim17ROCPRIM_400000_NS6detail17trampoline_kernelINS0_14default_configENS1_22reduce_config_selectorIN6thrust23THRUST_200600_302600_NS5tupleIblNS6_9null_typeES8_S8_S8_S8_S8_S8_S8_EEEEZNS1_11reduce_implILb1ES3_NS6_12zip_iteratorINS7_INS6_11hip_rocprim26transform_input_iterator_tIbPN3c104HalfENS6_6detail10functional5actorINSJ_9compositeIJNSJ_27transparent_binary_operatorINS6_8equal_toIvEEEENSK_INSJ_8argumentILj0EEEEENSJ_5valueISG_EEEEEEEEENSD_19counting_iterator_tIlEES8_S8_S8_S8_S8_S8_S8_S8_EEEEPS9_S9_NSD_9__find_if7functorIS9_EEEE10hipError_tPvRmT1_T2_T3_mT4_P12ihipStream_tbEUlT_E0_NS1_11comp_targetILNS1_3genE0ELNS1_11target_archE4294967295ELNS1_3gpuE0ELNS1_3repE0EEENS1_30default_config_static_selectorELNS0_4arch9wavefront6targetE1EEEvS19_.num_named_barrier, 0
	.set _ZN7rocprim17ROCPRIM_400000_NS6detail17trampoline_kernelINS0_14default_configENS1_22reduce_config_selectorIN6thrust23THRUST_200600_302600_NS5tupleIblNS6_9null_typeES8_S8_S8_S8_S8_S8_S8_EEEEZNS1_11reduce_implILb1ES3_NS6_12zip_iteratorINS7_INS6_11hip_rocprim26transform_input_iterator_tIbPN3c104HalfENS6_6detail10functional5actorINSJ_9compositeIJNSJ_27transparent_binary_operatorINS6_8equal_toIvEEEENSK_INSJ_8argumentILj0EEEEENSJ_5valueISG_EEEEEEEEENSD_19counting_iterator_tIlEES8_S8_S8_S8_S8_S8_S8_S8_EEEEPS9_S9_NSD_9__find_if7functorIS9_EEEE10hipError_tPvRmT1_T2_T3_mT4_P12ihipStream_tbEUlT_E0_NS1_11comp_targetILNS1_3genE0ELNS1_11target_archE4294967295ELNS1_3gpuE0ELNS1_3repE0EEENS1_30default_config_static_selectorELNS0_4arch9wavefront6targetE1EEEvS19_.private_seg_size, 0
	.set _ZN7rocprim17ROCPRIM_400000_NS6detail17trampoline_kernelINS0_14default_configENS1_22reduce_config_selectorIN6thrust23THRUST_200600_302600_NS5tupleIblNS6_9null_typeES8_S8_S8_S8_S8_S8_S8_EEEEZNS1_11reduce_implILb1ES3_NS6_12zip_iteratorINS7_INS6_11hip_rocprim26transform_input_iterator_tIbPN3c104HalfENS6_6detail10functional5actorINSJ_9compositeIJNSJ_27transparent_binary_operatorINS6_8equal_toIvEEEENSK_INSJ_8argumentILj0EEEEENSJ_5valueISG_EEEEEEEEENSD_19counting_iterator_tIlEES8_S8_S8_S8_S8_S8_S8_S8_EEEEPS9_S9_NSD_9__find_if7functorIS9_EEEE10hipError_tPvRmT1_T2_T3_mT4_P12ihipStream_tbEUlT_E0_NS1_11comp_targetILNS1_3genE0ELNS1_11target_archE4294967295ELNS1_3gpuE0ELNS1_3repE0EEENS1_30default_config_static_selectorELNS0_4arch9wavefront6targetE1EEEvS19_.uses_vcc, 0
	.set _ZN7rocprim17ROCPRIM_400000_NS6detail17trampoline_kernelINS0_14default_configENS1_22reduce_config_selectorIN6thrust23THRUST_200600_302600_NS5tupleIblNS6_9null_typeES8_S8_S8_S8_S8_S8_S8_EEEEZNS1_11reduce_implILb1ES3_NS6_12zip_iteratorINS7_INS6_11hip_rocprim26transform_input_iterator_tIbPN3c104HalfENS6_6detail10functional5actorINSJ_9compositeIJNSJ_27transparent_binary_operatorINS6_8equal_toIvEEEENSK_INSJ_8argumentILj0EEEEENSJ_5valueISG_EEEEEEEEENSD_19counting_iterator_tIlEES8_S8_S8_S8_S8_S8_S8_S8_EEEEPS9_S9_NSD_9__find_if7functorIS9_EEEE10hipError_tPvRmT1_T2_T3_mT4_P12ihipStream_tbEUlT_E0_NS1_11comp_targetILNS1_3genE0ELNS1_11target_archE4294967295ELNS1_3gpuE0ELNS1_3repE0EEENS1_30default_config_static_selectorELNS0_4arch9wavefront6targetE1EEEvS19_.uses_flat_scratch, 0
	.set _ZN7rocprim17ROCPRIM_400000_NS6detail17trampoline_kernelINS0_14default_configENS1_22reduce_config_selectorIN6thrust23THRUST_200600_302600_NS5tupleIblNS6_9null_typeES8_S8_S8_S8_S8_S8_S8_EEEEZNS1_11reduce_implILb1ES3_NS6_12zip_iteratorINS7_INS6_11hip_rocprim26transform_input_iterator_tIbPN3c104HalfENS6_6detail10functional5actorINSJ_9compositeIJNSJ_27transparent_binary_operatorINS6_8equal_toIvEEEENSK_INSJ_8argumentILj0EEEEENSJ_5valueISG_EEEEEEEEENSD_19counting_iterator_tIlEES8_S8_S8_S8_S8_S8_S8_S8_EEEEPS9_S9_NSD_9__find_if7functorIS9_EEEE10hipError_tPvRmT1_T2_T3_mT4_P12ihipStream_tbEUlT_E0_NS1_11comp_targetILNS1_3genE0ELNS1_11target_archE4294967295ELNS1_3gpuE0ELNS1_3repE0EEENS1_30default_config_static_selectorELNS0_4arch9wavefront6targetE1EEEvS19_.has_dyn_sized_stack, 0
	.set _ZN7rocprim17ROCPRIM_400000_NS6detail17trampoline_kernelINS0_14default_configENS1_22reduce_config_selectorIN6thrust23THRUST_200600_302600_NS5tupleIblNS6_9null_typeES8_S8_S8_S8_S8_S8_S8_EEEEZNS1_11reduce_implILb1ES3_NS6_12zip_iteratorINS7_INS6_11hip_rocprim26transform_input_iterator_tIbPN3c104HalfENS6_6detail10functional5actorINSJ_9compositeIJNSJ_27transparent_binary_operatorINS6_8equal_toIvEEEENSK_INSJ_8argumentILj0EEEEENSJ_5valueISG_EEEEEEEEENSD_19counting_iterator_tIlEES8_S8_S8_S8_S8_S8_S8_S8_EEEEPS9_S9_NSD_9__find_if7functorIS9_EEEE10hipError_tPvRmT1_T2_T3_mT4_P12ihipStream_tbEUlT_E0_NS1_11comp_targetILNS1_3genE0ELNS1_11target_archE4294967295ELNS1_3gpuE0ELNS1_3repE0EEENS1_30default_config_static_selectorELNS0_4arch9wavefront6targetE1EEEvS19_.has_recursion, 0
	.set _ZN7rocprim17ROCPRIM_400000_NS6detail17trampoline_kernelINS0_14default_configENS1_22reduce_config_selectorIN6thrust23THRUST_200600_302600_NS5tupleIblNS6_9null_typeES8_S8_S8_S8_S8_S8_S8_EEEEZNS1_11reduce_implILb1ES3_NS6_12zip_iteratorINS7_INS6_11hip_rocprim26transform_input_iterator_tIbPN3c104HalfENS6_6detail10functional5actorINSJ_9compositeIJNSJ_27transparent_binary_operatorINS6_8equal_toIvEEEENSK_INSJ_8argumentILj0EEEEENSJ_5valueISG_EEEEEEEEENSD_19counting_iterator_tIlEES8_S8_S8_S8_S8_S8_S8_S8_EEEEPS9_S9_NSD_9__find_if7functorIS9_EEEE10hipError_tPvRmT1_T2_T3_mT4_P12ihipStream_tbEUlT_E0_NS1_11comp_targetILNS1_3genE0ELNS1_11target_archE4294967295ELNS1_3gpuE0ELNS1_3repE0EEENS1_30default_config_static_selectorELNS0_4arch9wavefront6targetE1EEEvS19_.has_indirect_call, 0
	.section	.AMDGPU.csdata,"",@progbits
; Kernel info:
; codeLenInByte = 0
; TotalNumSgprs: 4
; NumVgprs: 0
; ScratchSize: 0
; MemoryBound: 0
; FloatMode: 240
; IeeeMode: 1
; LDSByteSize: 0 bytes/workgroup (compile time only)
; SGPRBlocks: 0
; VGPRBlocks: 0
; NumSGPRsForWavesPerEU: 4
; NumVGPRsForWavesPerEU: 1
; Occupancy: 10
; WaveLimiterHint : 0
; COMPUTE_PGM_RSRC2:SCRATCH_EN: 0
; COMPUTE_PGM_RSRC2:USER_SGPR: 6
; COMPUTE_PGM_RSRC2:TRAP_HANDLER: 0
; COMPUTE_PGM_RSRC2:TGID_X_EN: 1
; COMPUTE_PGM_RSRC2:TGID_Y_EN: 0
; COMPUTE_PGM_RSRC2:TGID_Z_EN: 0
; COMPUTE_PGM_RSRC2:TIDIG_COMP_CNT: 0
	.section	.text._ZN7rocprim17ROCPRIM_400000_NS6detail17trampoline_kernelINS0_14default_configENS1_22reduce_config_selectorIN6thrust23THRUST_200600_302600_NS5tupleIblNS6_9null_typeES8_S8_S8_S8_S8_S8_S8_EEEEZNS1_11reduce_implILb1ES3_NS6_12zip_iteratorINS7_INS6_11hip_rocprim26transform_input_iterator_tIbPN3c104HalfENS6_6detail10functional5actorINSJ_9compositeIJNSJ_27transparent_binary_operatorINS6_8equal_toIvEEEENSK_INSJ_8argumentILj0EEEEENSJ_5valueISG_EEEEEEEEENSD_19counting_iterator_tIlEES8_S8_S8_S8_S8_S8_S8_S8_EEEEPS9_S9_NSD_9__find_if7functorIS9_EEEE10hipError_tPvRmT1_T2_T3_mT4_P12ihipStream_tbEUlT_E0_NS1_11comp_targetILNS1_3genE5ELNS1_11target_archE942ELNS1_3gpuE9ELNS1_3repE0EEENS1_30default_config_static_selectorELNS0_4arch9wavefront6targetE1EEEvS19_,"axG",@progbits,_ZN7rocprim17ROCPRIM_400000_NS6detail17trampoline_kernelINS0_14default_configENS1_22reduce_config_selectorIN6thrust23THRUST_200600_302600_NS5tupleIblNS6_9null_typeES8_S8_S8_S8_S8_S8_S8_EEEEZNS1_11reduce_implILb1ES3_NS6_12zip_iteratorINS7_INS6_11hip_rocprim26transform_input_iterator_tIbPN3c104HalfENS6_6detail10functional5actorINSJ_9compositeIJNSJ_27transparent_binary_operatorINS6_8equal_toIvEEEENSK_INSJ_8argumentILj0EEEEENSJ_5valueISG_EEEEEEEEENSD_19counting_iterator_tIlEES8_S8_S8_S8_S8_S8_S8_S8_EEEEPS9_S9_NSD_9__find_if7functorIS9_EEEE10hipError_tPvRmT1_T2_T3_mT4_P12ihipStream_tbEUlT_E0_NS1_11comp_targetILNS1_3genE5ELNS1_11target_archE942ELNS1_3gpuE9ELNS1_3repE0EEENS1_30default_config_static_selectorELNS0_4arch9wavefront6targetE1EEEvS19_,comdat
	.protected	_ZN7rocprim17ROCPRIM_400000_NS6detail17trampoline_kernelINS0_14default_configENS1_22reduce_config_selectorIN6thrust23THRUST_200600_302600_NS5tupleIblNS6_9null_typeES8_S8_S8_S8_S8_S8_S8_EEEEZNS1_11reduce_implILb1ES3_NS6_12zip_iteratorINS7_INS6_11hip_rocprim26transform_input_iterator_tIbPN3c104HalfENS6_6detail10functional5actorINSJ_9compositeIJNSJ_27transparent_binary_operatorINS6_8equal_toIvEEEENSK_INSJ_8argumentILj0EEEEENSJ_5valueISG_EEEEEEEEENSD_19counting_iterator_tIlEES8_S8_S8_S8_S8_S8_S8_S8_EEEEPS9_S9_NSD_9__find_if7functorIS9_EEEE10hipError_tPvRmT1_T2_T3_mT4_P12ihipStream_tbEUlT_E0_NS1_11comp_targetILNS1_3genE5ELNS1_11target_archE942ELNS1_3gpuE9ELNS1_3repE0EEENS1_30default_config_static_selectorELNS0_4arch9wavefront6targetE1EEEvS19_ ; -- Begin function _ZN7rocprim17ROCPRIM_400000_NS6detail17trampoline_kernelINS0_14default_configENS1_22reduce_config_selectorIN6thrust23THRUST_200600_302600_NS5tupleIblNS6_9null_typeES8_S8_S8_S8_S8_S8_S8_EEEEZNS1_11reduce_implILb1ES3_NS6_12zip_iteratorINS7_INS6_11hip_rocprim26transform_input_iterator_tIbPN3c104HalfENS6_6detail10functional5actorINSJ_9compositeIJNSJ_27transparent_binary_operatorINS6_8equal_toIvEEEENSK_INSJ_8argumentILj0EEEEENSJ_5valueISG_EEEEEEEEENSD_19counting_iterator_tIlEES8_S8_S8_S8_S8_S8_S8_S8_EEEEPS9_S9_NSD_9__find_if7functorIS9_EEEE10hipError_tPvRmT1_T2_T3_mT4_P12ihipStream_tbEUlT_E0_NS1_11comp_targetILNS1_3genE5ELNS1_11target_archE942ELNS1_3gpuE9ELNS1_3repE0EEENS1_30default_config_static_selectorELNS0_4arch9wavefront6targetE1EEEvS19_
	.globl	_ZN7rocprim17ROCPRIM_400000_NS6detail17trampoline_kernelINS0_14default_configENS1_22reduce_config_selectorIN6thrust23THRUST_200600_302600_NS5tupleIblNS6_9null_typeES8_S8_S8_S8_S8_S8_S8_EEEEZNS1_11reduce_implILb1ES3_NS6_12zip_iteratorINS7_INS6_11hip_rocprim26transform_input_iterator_tIbPN3c104HalfENS6_6detail10functional5actorINSJ_9compositeIJNSJ_27transparent_binary_operatorINS6_8equal_toIvEEEENSK_INSJ_8argumentILj0EEEEENSJ_5valueISG_EEEEEEEEENSD_19counting_iterator_tIlEES8_S8_S8_S8_S8_S8_S8_S8_EEEEPS9_S9_NSD_9__find_if7functorIS9_EEEE10hipError_tPvRmT1_T2_T3_mT4_P12ihipStream_tbEUlT_E0_NS1_11comp_targetILNS1_3genE5ELNS1_11target_archE942ELNS1_3gpuE9ELNS1_3repE0EEENS1_30default_config_static_selectorELNS0_4arch9wavefront6targetE1EEEvS19_
	.p2align	8
	.type	_ZN7rocprim17ROCPRIM_400000_NS6detail17trampoline_kernelINS0_14default_configENS1_22reduce_config_selectorIN6thrust23THRUST_200600_302600_NS5tupleIblNS6_9null_typeES8_S8_S8_S8_S8_S8_S8_EEEEZNS1_11reduce_implILb1ES3_NS6_12zip_iteratorINS7_INS6_11hip_rocprim26transform_input_iterator_tIbPN3c104HalfENS6_6detail10functional5actorINSJ_9compositeIJNSJ_27transparent_binary_operatorINS6_8equal_toIvEEEENSK_INSJ_8argumentILj0EEEEENSJ_5valueISG_EEEEEEEEENSD_19counting_iterator_tIlEES8_S8_S8_S8_S8_S8_S8_S8_EEEEPS9_S9_NSD_9__find_if7functorIS9_EEEE10hipError_tPvRmT1_T2_T3_mT4_P12ihipStream_tbEUlT_E0_NS1_11comp_targetILNS1_3genE5ELNS1_11target_archE942ELNS1_3gpuE9ELNS1_3repE0EEENS1_30default_config_static_selectorELNS0_4arch9wavefront6targetE1EEEvS19_,@function
_ZN7rocprim17ROCPRIM_400000_NS6detail17trampoline_kernelINS0_14default_configENS1_22reduce_config_selectorIN6thrust23THRUST_200600_302600_NS5tupleIblNS6_9null_typeES8_S8_S8_S8_S8_S8_S8_EEEEZNS1_11reduce_implILb1ES3_NS6_12zip_iteratorINS7_INS6_11hip_rocprim26transform_input_iterator_tIbPN3c104HalfENS6_6detail10functional5actorINSJ_9compositeIJNSJ_27transparent_binary_operatorINS6_8equal_toIvEEEENSK_INSJ_8argumentILj0EEEEENSJ_5valueISG_EEEEEEEEENSD_19counting_iterator_tIlEES8_S8_S8_S8_S8_S8_S8_S8_EEEEPS9_S9_NSD_9__find_if7functorIS9_EEEE10hipError_tPvRmT1_T2_T3_mT4_P12ihipStream_tbEUlT_E0_NS1_11comp_targetILNS1_3genE5ELNS1_11target_archE942ELNS1_3gpuE9ELNS1_3repE0EEENS1_30default_config_static_selectorELNS0_4arch9wavefront6targetE1EEEvS19_: ; @_ZN7rocprim17ROCPRIM_400000_NS6detail17trampoline_kernelINS0_14default_configENS1_22reduce_config_selectorIN6thrust23THRUST_200600_302600_NS5tupleIblNS6_9null_typeES8_S8_S8_S8_S8_S8_S8_EEEEZNS1_11reduce_implILb1ES3_NS6_12zip_iteratorINS7_INS6_11hip_rocprim26transform_input_iterator_tIbPN3c104HalfENS6_6detail10functional5actorINSJ_9compositeIJNSJ_27transparent_binary_operatorINS6_8equal_toIvEEEENSK_INSJ_8argumentILj0EEEEENSJ_5valueISG_EEEEEEEEENSD_19counting_iterator_tIlEES8_S8_S8_S8_S8_S8_S8_S8_EEEEPS9_S9_NSD_9__find_if7functorIS9_EEEE10hipError_tPvRmT1_T2_T3_mT4_P12ihipStream_tbEUlT_E0_NS1_11comp_targetILNS1_3genE5ELNS1_11target_archE942ELNS1_3gpuE9ELNS1_3repE0EEENS1_30default_config_static_selectorELNS0_4arch9wavefront6targetE1EEEvS19_
; %bb.0:
	.section	.rodata,"a",@progbits
	.p2align	6, 0x0
	.amdhsa_kernel _ZN7rocprim17ROCPRIM_400000_NS6detail17trampoline_kernelINS0_14default_configENS1_22reduce_config_selectorIN6thrust23THRUST_200600_302600_NS5tupleIblNS6_9null_typeES8_S8_S8_S8_S8_S8_S8_EEEEZNS1_11reduce_implILb1ES3_NS6_12zip_iteratorINS7_INS6_11hip_rocprim26transform_input_iterator_tIbPN3c104HalfENS6_6detail10functional5actorINSJ_9compositeIJNSJ_27transparent_binary_operatorINS6_8equal_toIvEEEENSK_INSJ_8argumentILj0EEEEENSJ_5valueISG_EEEEEEEEENSD_19counting_iterator_tIlEES8_S8_S8_S8_S8_S8_S8_S8_EEEEPS9_S9_NSD_9__find_if7functorIS9_EEEE10hipError_tPvRmT1_T2_T3_mT4_P12ihipStream_tbEUlT_E0_NS1_11comp_targetILNS1_3genE5ELNS1_11target_archE942ELNS1_3gpuE9ELNS1_3repE0EEENS1_30default_config_static_selectorELNS0_4arch9wavefront6targetE1EEEvS19_
		.amdhsa_group_segment_fixed_size 0
		.amdhsa_private_segment_fixed_size 0
		.amdhsa_kernarg_size 88
		.amdhsa_user_sgpr_count 6
		.amdhsa_user_sgpr_private_segment_buffer 1
		.amdhsa_user_sgpr_dispatch_ptr 0
		.amdhsa_user_sgpr_queue_ptr 0
		.amdhsa_user_sgpr_kernarg_segment_ptr 1
		.amdhsa_user_sgpr_dispatch_id 0
		.amdhsa_user_sgpr_flat_scratch_init 0
		.amdhsa_user_sgpr_private_segment_size 0
		.amdhsa_uses_dynamic_stack 0
		.amdhsa_system_sgpr_private_segment_wavefront_offset 0
		.amdhsa_system_sgpr_workgroup_id_x 1
		.amdhsa_system_sgpr_workgroup_id_y 0
		.amdhsa_system_sgpr_workgroup_id_z 0
		.amdhsa_system_sgpr_workgroup_info 0
		.amdhsa_system_vgpr_workitem_id 0
		.amdhsa_next_free_vgpr 1
		.amdhsa_next_free_sgpr 0
		.amdhsa_reserve_vcc 0
		.amdhsa_reserve_flat_scratch 0
		.amdhsa_float_round_mode_32 0
		.amdhsa_float_round_mode_16_64 0
		.amdhsa_float_denorm_mode_32 3
		.amdhsa_float_denorm_mode_16_64 3
		.amdhsa_dx10_clamp 1
		.amdhsa_ieee_mode 1
		.amdhsa_fp16_overflow 0
		.amdhsa_exception_fp_ieee_invalid_op 0
		.amdhsa_exception_fp_denorm_src 0
		.amdhsa_exception_fp_ieee_div_zero 0
		.amdhsa_exception_fp_ieee_overflow 0
		.amdhsa_exception_fp_ieee_underflow 0
		.amdhsa_exception_fp_ieee_inexact 0
		.amdhsa_exception_int_div_zero 0
	.end_amdhsa_kernel
	.section	.text._ZN7rocprim17ROCPRIM_400000_NS6detail17trampoline_kernelINS0_14default_configENS1_22reduce_config_selectorIN6thrust23THRUST_200600_302600_NS5tupleIblNS6_9null_typeES8_S8_S8_S8_S8_S8_S8_EEEEZNS1_11reduce_implILb1ES3_NS6_12zip_iteratorINS7_INS6_11hip_rocprim26transform_input_iterator_tIbPN3c104HalfENS6_6detail10functional5actorINSJ_9compositeIJNSJ_27transparent_binary_operatorINS6_8equal_toIvEEEENSK_INSJ_8argumentILj0EEEEENSJ_5valueISG_EEEEEEEEENSD_19counting_iterator_tIlEES8_S8_S8_S8_S8_S8_S8_S8_EEEEPS9_S9_NSD_9__find_if7functorIS9_EEEE10hipError_tPvRmT1_T2_T3_mT4_P12ihipStream_tbEUlT_E0_NS1_11comp_targetILNS1_3genE5ELNS1_11target_archE942ELNS1_3gpuE9ELNS1_3repE0EEENS1_30default_config_static_selectorELNS0_4arch9wavefront6targetE1EEEvS19_,"axG",@progbits,_ZN7rocprim17ROCPRIM_400000_NS6detail17trampoline_kernelINS0_14default_configENS1_22reduce_config_selectorIN6thrust23THRUST_200600_302600_NS5tupleIblNS6_9null_typeES8_S8_S8_S8_S8_S8_S8_EEEEZNS1_11reduce_implILb1ES3_NS6_12zip_iteratorINS7_INS6_11hip_rocprim26transform_input_iterator_tIbPN3c104HalfENS6_6detail10functional5actorINSJ_9compositeIJNSJ_27transparent_binary_operatorINS6_8equal_toIvEEEENSK_INSJ_8argumentILj0EEEEENSJ_5valueISG_EEEEEEEEENSD_19counting_iterator_tIlEES8_S8_S8_S8_S8_S8_S8_S8_EEEEPS9_S9_NSD_9__find_if7functorIS9_EEEE10hipError_tPvRmT1_T2_T3_mT4_P12ihipStream_tbEUlT_E0_NS1_11comp_targetILNS1_3genE5ELNS1_11target_archE942ELNS1_3gpuE9ELNS1_3repE0EEENS1_30default_config_static_selectorELNS0_4arch9wavefront6targetE1EEEvS19_,comdat
.Lfunc_end2235:
	.size	_ZN7rocprim17ROCPRIM_400000_NS6detail17trampoline_kernelINS0_14default_configENS1_22reduce_config_selectorIN6thrust23THRUST_200600_302600_NS5tupleIblNS6_9null_typeES8_S8_S8_S8_S8_S8_S8_EEEEZNS1_11reduce_implILb1ES3_NS6_12zip_iteratorINS7_INS6_11hip_rocprim26transform_input_iterator_tIbPN3c104HalfENS6_6detail10functional5actorINSJ_9compositeIJNSJ_27transparent_binary_operatorINS6_8equal_toIvEEEENSK_INSJ_8argumentILj0EEEEENSJ_5valueISG_EEEEEEEEENSD_19counting_iterator_tIlEES8_S8_S8_S8_S8_S8_S8_S8_EEEEPS9_S9_NSD_9__find_if7functorIS9_EEEE10hipError_tPvRmT1_T2_T3_mT4_P12ihipStream_tbEUlT_E0_NS1_11comp_targetILNS1_3genE5ELNS1_11target_archE942ELNS1_3gpuE9ELNS1_3repE0EEENS1_30default_config_static_selectorELNS0_4arch9wavefront6targetE1EEEvS19_, .Lfunc_end2235-_ZN7rocprim17ROCPRIM_400000_NS6detail17trampoline_kernelINS0_14default_configENS1_22reduce_config_selectorIN6thrust23THRUST_200600_302600_NS5tupleIblNS6_9null_typeES8_S8_S8_S8_S8_S8_S8_EEEEZNS1_11reduce_implILb1ES3_NS6_12zip_iteratorINS7_INS6_11hip_rocprim26transform_input_iterator_tIbPN3c104HalfENS6_6detail10functional5actorINSJ_9compositeIJNSJ_27transparent_binary_operatorINS6_8equal_toIvEEEENSK_INSJ_8argumentILj0EEEEENSJ_5valueISG_EEEEEEEEENSD_19counting_iterator_tIlEES8_S8_S8_S8_S8_S8_S8_S8_EEEEPS9_S9_NSD_9__find_if7functorIS9_EEEE10hipError_tPvRmT1_T2_T3_mT4_P12ihipStream_tbEUlT_E0_NS1_11comp_targetILNS1_3genE5ELNS1_11target_archE942ELNS1_3gpuE9ELNS1_3repE0EEENS1_30default_config_static_selectorELNS0_4arch9wavefront6targetE1EEEvS19_
                                        ; -- End function
	.set _ZN7rocprim17ROCPRIM_400000_NS6detail17trampoline_kernelINS0_14default_configENS1_22reduce_config_selectorIN6thrust23THRUST_200600_302600_NS5tupleIblNS6_9null_typeES8_S8_S8_S8_S8_S8_S8_EEEEZNS1_11reduce_implILb1ES3_NS6_12zip_iteratorINS7_INS6_11hip_rocprim26transform_input_iterator_tIbPN3c104HalfENS6_6detail10functional5actorINSJ_9compositeIJNSJ_27transparent_binary_operatorINS6_8equal_toIvEEEENSK_INSJ_8argumentILj0EEEEENSJ_5valueISG_EEEEEEEEENSD_19counting_iterator_tIlEES8_S8_S8_S8_S8_S8_S8_S8_EEEEPS9_S9_NSD_9__find_if7functorIS9_EEEE10hipError_tPvRmT1_T2_T3_mT4_P12ihipStream_tbEUlT_E0_NS1_11comp_targetILNS1_3genE5ELNS1_11target_archE942ELNS1_3gpuE9ELNS1_3repE0EEENS1_30default_config_static_selectorELNS0_4arch9wavefront6targetE1EEEvS19_.num_vgpr, 0
	.set _ZN7rocprim17ROCPRIM_400000_NS6detail17trampoline_kernelINS0_14default_configENS1_22reduce_config_selectorIN6thrust23THRUST_200600_302600_NS5tupleIblNS6_9null_typeES8_S8_S8_S8_S8_S8_S8_EEEEZNS1_11reduce_implILb1ES3_NS6_12zip_iteratorINS7_INS6_11hip_rocprim26transform_input_iterator_tIbPN3c104HalfENS6_6detail10functional5actorINSJ_9compositeIJNSJ_27transparent_binary_operatorINS6_8equal_toIvEEEENSK_INSJ_8argumentILj0EEEEENSJ_5valueISG_EEEEEEEEENSD_19counting_iterator_tIlEES8_S8_S8_S8_S8_S8_S8_S8_EEEEPS9_S9_NSD_9__find_if7functorIS9_EEEE10hipError_tPvRmT1_T2_T3_mT4_P12ihipStream_tbEUlT_E0_NS1_11comp_targetILNS1_3genE5ELNS1_11target_archE942ELNS1_3gpuE9ELNS1_3repE0EEENS1_30default_config_static_selectorELNS0_4arch9wavefront6targetE1EEEvS19_.num_agpr, 0
	.set _ZN7rocprim17ROCPRIM_400000_NS6detail17trampoline_kernelINS0_14default_configENS1_22reduce_config_selectorIN6thrust23THRUST_200600_302600_NS5tupleIblNS6_9null_typeES8_S8_S8_S8_S8_S8_S8_EEEEZNS1_11reduce_implILb1ES3_NS6_12zip_iteratorINS7_INS6_11hip_rocprim26transform_input_iterator_tIbPN3c104HalfENS6_6detail10functional5actorINSJ_9compositeIJNSJ_27transparent_binary_operatorINS6_8equal_toIvEEEENSK_INSJ_8argumentILj0EEEEENSJ_5valueISG_EEEEEEEEENSD_19counting_iterator_tIlEES8_S8_S8_S8_S8_S8_S8_S8_EEEEPS9_S9_NSD_9__find_if7functorIS9_EEEE10hipError_tPvRmT1_T2_T3_mT4_P12ihipStream_tbEUlT_E0_NS1_11comp_targetILNS1_3genE5ELNS1_11target_archE942ELNS1_3gpuE9ELNS1_3repE0EEENS1_30default_config_static_selectorELNS0_4arch9wavefront6targetE1EEEvS19_.numbered_sgpr, 0
	.set _ZN7rocprim17ROCPRIM_400000_NS6detail17trampoline_kernelINS0_14default_configENS1_22reduce_config_selectorIN6thrust23THRUST_200600_302600_NS5tupleIblNS6_9null_typeES8_S8_S8_S8_S8_S8_S8_EEEEZNS1_11reduce_implILb1ES3_NS6_12zip_iteratorINS7_INS6_11hip_rocprim26transform_input_iterator_tIbPN3c104HalfENS6_6detail10functional5actorINSJ_9compositeIJNSJ_27transparent_binary_operatorINS6_8equal_toIvEEEENSK_INSJ_8argumentILj0EEEEENSJ_5valueISG_EEEEEEEEENSD_19counting_iterator_tIlEES8_S8_S8_S8_S8_S8_S8_S8_EEEEPS9_S9_NSD_9__find_if7functorIS9_EEEE10hipError_tPvRmT1_T2_T3_mT4_P12ihipStream_tbEUlT_E0_NS1_11comp_targetILNS1_3genE5ELNS1_11target_archE942ELNS1_3gpuE9ELNS1_3repE0EEENS1_30default_config_static_selectorELNS0_4arch9wavefront6targetE1EEEvS19_.num_named_barrier, 0
	.set _ZN7rocprim17ROCPRIM_400000_NS6detail17trampoline_kernelINS0_14default_configENS1_22reduce_config_selectorIN6thrust23THRUST_200600_302600_NS5tupleIblNS6_9null_typeES8_S8_S8_S8_S8_S8_S8_EEEEZNS1_11reduce_implILb1ES3_NS6_12zip_iteratorINS7_INS6_11hip_rocprim26transform_input_iterator_tIbPN3c104HalfENS6_6detail10functional5actorINSJ_9compositeIJNSJ_27transparent_binary_operatorINS6_8equal_toIvEEEENSK_INSJ_8argumentILj0EEEEENSJ_5valueISG_EEEEEEEEENSD_19counting_iterator_tIlEES8_S8_S8_S8_S8_S8_S8_S8_EEEEPS9_S9_NSD_9__find_if7functorIS9_EEEE10hipError_tPvRmT1_T2_T3_mT4_P12ihipStream_tbEUlT_E0_NS1_11comp_targetILNS1_3genE5ELNS1_11target_archE942ELNS1_3gpuE9ELNS1_3repE0EEENS1_30default_config_static_selectorELNS0_4arch9wavefront6targetE1EEEvS19_.private_seg_size, 0
	.set _ZN7rocprim17ROCPRIM_400000_NS6detail17trampoline_kernelINS0_14default_configENS1_22reduce_config_selectorIN6thrust23THRUST_200600_302600_NS5tupleIblNS6_9null_typeES8_S8_S8_S8_S8_S8_S8_EEEEZNS1_11reduce_implILb1ES3_NS6_12zip_iteratorINS7_INS6_11hip_rocprim26transform_input_iterator_tIbPN3c104HalfENS6_6detail10functional5actorINSJ_9compositeIJNSJ_27transparent_binary_operatorINS6_8equal_toIvEEEENSK_INSJ_8argumentILj0EEEEENSJ_5valueISG_EEEEEEEEENSD_19counting_iterator_tIlEES8_S8_S8_S8_S8_S8_S8_S8_EEEEPS9_S9_NSD_9__find_if7functorIS9_EEEE10hipError_tPvRmT1_T2_T3_mT4_P12ihipStream_tbEUlT_E0_NS1_11comp_targetILNS1_3genE5ELNS1_11target_archE942ELNS1_3gpuE9ELNS1_3repE0EEENS1_30default_config_static_selectorELNS0_4arch9wavefront6targetE1EEEvS19_.uses_vcc, 0
	.set _ZN7rocprim17ROCPRIM_400000_NS6detail17trampoline_kernelINS0_14default_configENS1_22reduce_config_selectorIN6thrust23THRUST_200600_302600_NS5tupleIblNS6_9null_typeES8_S8_S8_S8_S8_S8_S8_EEEEZNS1_11reduce_implILb1ES3_NS6_12zip_iteratorINS7_INS6_11hip_rocprim26transform_input_iterator_tIbPN3c104HalfENS6_6detail10functional5actorINSJ_9compositeIJNSJ_27transparent_binary_operatorINS6_8equal_toIvEEEENSK_INSJ_8argumentILj0EEEEENSJ_5valueISG_EEEEEEEEENSD_19counting_iterator_tIlEES8_S8_S8_S8_S8_S8_S8_S8_EEEEPS9_S9_NSD_9__find_if7functorIS9_EEEE10hipError_tPvRmT1_T2_T3_mT4_P12ihipStream_tbEUlT_E0_NS1_11comp_targetILNS1_3genE5ELNS1_11target_archE942ELNS1_3gpuE9ELNS1_3repE0EEENS1_30default_config_static_selectorELNS0_4arch9wavefront6targetE1EEEvS19_.uses_flat_scratch, 0
	.set _ZN7rocprim17ROCPRIM_400000_NS6detail17trampoline_kernelINS0_14default_configENS1_22reduce_config_selectorIN6thrust23THRUST_200600_302600_NS5tupleIblNS6_9null_typeES8_S8_S8_S8_S8_S8_S8_EEEEZNS1_11reduce_implILb1ES3_NS6_12zip_iteratorINS7_INS6_11hip_rocprim26transform_input_iterator_tIbPN3c104HalfENS6_6detail10functional5actorINSJ_9compositeIJNSJ_27transparent_binary_operatorINS6_8equal_toIvEEEENSK_INSJ_8argumentILj0EEEEENSJ_5valueISG_EEEEEEEEENSD_19counting_iterator_tIlEES8_S8_S8_S8_S8_S8_S8_S8_EEEEPS9_S9_NSD_9__find_if7functorIS9_EEEE10hipError_tPvRmT1_T2_T3_mT4_P12ihipStream_tbEUlT_E0_NS1_11comp_targetILNS1_3genE5ELNS1_11target_archE942ELNS1_3gpuE9ELNS1_3repE0EEENS1_30default_config_static_selectorELNS0_4arch9wavefront6targetE1EEEvS19_.has_dyn_sized_stack, 0
	.set _ZN7rocprim17ROCPRIM_400000_NS6detail17trampoline_kernelINS0_14default_configENS1_22reduce_config_selectorIN6thrust23THRUST_200600_302600_NS5tupleIblNS6_9null_typeES8_S8_S8_S8_S8_S8_S8_EEEEZNS1_11reduce_implILb1ES3_NS6_12zip_iteratorINS7_INS6_11hip_rocprim26transform_input_iterator_tIbPN3c104HalfENS6_6detail10functional5actorINSJ_9compositeIJNSJ_27transparent_binary_operatorINS6_8equal_toIvEEEENSK_INSJ_8argumentILj0EEEEENSJ_5valueISG_EEEEEEEEENSD_19counting_iterator_tIlEES8_S8_S8_S8_S8_S8_S8_S8_EEEEPS9_S9_NSD_9__find_if7functorIS9_EEEE10hipError_tPvRmT1_T2_T3_mT4_P12ihipStream_tbEUlT_E0_NS1_11comp_targetILNS1_3genE5ELNS1_11target_archE942ELNS1_3gpuE9ELNS1_3repE0EEENS1_30default_config_static_selectorELNS0_4arch9wavefront6targetE1EEEvS19_.has_recursion, 0
	.set _ZN7rocprim17ROCPRIM_400000_NS6detail17trampoline_kernelINS0_14default_configENS1_22reduce_config_selectorIN6thrust23THRUST_200600_302600_NS5tupleIblNS6_9null_typeES8_S8_S8_S8_S8_S8_S8_EEEEZNS1_11reduce_implILb1ES3_NS6_12zip_iteratorINS7_INS6_11hip_rocprim26transform_input_iterator_tIbPN3c104HalfENS6_6detail10functional5actorINSJ_9compositeIJNSJ_27transparent_binary_operatorINS6_8equal_toIvEEEENSK_INSJ_8argumentILj0EEEEENSJ_5valueISG_EEEEEEEEENSD_19counting_iterator_tIlEES8_S8_S8_S8_S8_S8_S8_S8_EEEEPS9_S9_NSD_9__find_if7functorIS9_EEEE10hipError_tPvRmT1_T2_T3_mT4_P12ihipStream_tbEUlT_E0_NS1_11comp_targetILNS1_3genE5ELNS1_11target_archE942ELNS1_3gpuE9ELNS1_3repE0EEENS1_30default_config_static_selectorELNS0_4arch9wavefront6targetE1EEEvS19_.has_indirect_call, 0
	.section	.AMDGPU.csdata,"",@progbits
; Kernel info:
; codeLenInByte = 0
; TotalNumSgprs: 4
; NumVgprs: 0
; ScratchSize: 0
; MemoryBound: 0
; FloatMode: 240
; IeeeMode: 1
; LDSByteSize: 0 bytes/workgroup (compile time only)
; SGPRBlocks: 0
; VGPRBlocks: 0
; NumSGPRsForWavesPerEU: 4
; NumVGPRsForWavesPerEU: 1
; Occupancy: 10
; WaveLimiterHint : 0
; COMPUTE_PGM_RSRC2:SCRATCH_EN: 0
; COMPUTE_PGM_RSRC2:USER_SGPR: 6
; COMPUTE_PGM_RSRC2:TRAP_HANDLER: 0
; COMPUTE_PGM_RSRC2:TGID_X_EN: 1
; COMPUTE_PGM_RSRC2:TGID_Y_EN: 0
; COMPUTE_PGM_RSRC2:TGID_Z_EN: 0
; COMPUTE_PGM_RSRC2:TIDIG_COMP_CNT: 0
	.section	.text._ZN7rocprim17ROCPRIM_400000_NS6detail17trampoline_kernelINS0_14default_configENS1_22reduce_config_selectorIN6thrust23THRUST_200600_302600_NS5tupleIblNS6_9null_typeES8_S8_S8_S8_S8_S8_S8_EEEEZNS1_11reduce_implILb1ES3_NS6_12zip_iteratorINS7_INS6_11hip_rocprim26transform_input_iterator_tIbPN3c104HalfENS6_6detail10functional5actorINSJ_9compositeIJNSJ_27transparent_binary_operatorINS6_8equal_toIvEEEENSK_INSJ_8argumentILj0EEEEENSJ_5valueISG_EEEEEEEEENSD_19counting_iterator_tIlEES8_S8_S8_S8_S8_S8_S8_S8_EEEEPS9_S9_NSD_9__find_if7functorIS9_EEEE10hipError_tPvRmT1_T2_T3_mT4_P12ihipStream_tbEUlT_E0_NS1_11comp_targetILNS1_3genE4ELNS1_11target_archE910ELNS1_3gpuE8ELNS1_3repE0EEENS1_30default_config_static_selectorELNS0_4arch9wavefront6targetE1EEEvS19_,"axG",@progbits,_ZN7rocprim17ROCPRIM_400000_NS6detail17trampoline_kernelINS0_14default_configENS1_22reduce_config_selectorIN6thrust23THRUST_200600_302600_NS5tupleIblNS6_9null_typeES8_S8_S8_S8_S8_S8_S8_EEEEZNS1_11reduce_implILb1ES3_NS6_12zip_iteratorINS7_INS6_11hip_rocprim26transform_input_iterator_tIbPN3c104HalfENS6_6detail10functional5actorINSJ_9compositeIJNSJ_27transparent_binary_operatorINS6_8equal_toIvEEEENSK_INSJ_8argumentILj0EEEEENSJ_5valueISG_EEEEEEEEENSD_19counting_iterator_tIlEES8_S8_S8_S8_S8_S8_S8_S8_EEEEPS9_S9_NSD_9__find_if7functorIS9_EEEE10hipError_tPvRmT1_T2_T3_mT4_P12ihipStream_tbEUlT_E0_NS1_11comp_targetILNS1_3genE4ELNS1_11target_archE910ELNS1_3gpuE8ELNS1_3repE0EEENS1_30default_config_static_selectorELNS0_4arch9wavefront6targetE1EEEvS19_,comdat
	.protected	_ZN7rocprim17ROCPRIM_400000_NS6detail17trampoline_kernelINS0_14default_configENS1_22reduce_config_selectorIN6thrust23THRUST_200600_302600_NS5tupleIblNS6_9null_typeES8_S8_S8_S8_S8_S8_S8_EEEEZNS1_11reduce_implILb1ES3_NS6_12zip_iteratorINS7_INS6_11hip_rocprim26transform_input_iterator_tIbPN3c104HalfENS6_6detail10functional5actorINSJ_9compositeIJNSJ_27transparent_binary_operatorINS6_8equal_toIvEEEENSK_INSJ_8argumentILj0EEEEENSJ_5valueISG_EEEEEEEEENSD_19counting_iterator_tIlEES8_S8_S8_S8_S8_S8_S8_S8_EEEEPS9_S9_NSD_9__find_if7functorIS9_EEEE10hipError_tPvRmT1_T2_T3_mT4_P12ihipStream_tbEUlT_E0_NS1_11comp_targetILNS1_3genE4ELNS1_11target_archE910ELNS1_3gpuE8ELNS1_3repE0EEENS1_30default_config_static_selectorELNS0_4arch9wavefront6targetE1EEEvS19_ ; -- Begin function _ZN7rocprim17ROCPRIM_400000_NS6detail17trampoline_kernelINS0_14default_configENS1_22reduce_config_selectorIN6thrust23THRUST_200600_302600_NS5tupleIblNS6_9null_typeES8_S8_S8_S8_S8_S8_S8_EEEEZNS1_11reduce_implILb1ES3_NS6_12zip_iteratorINS7_INS6_11hip_rocprim26transform_input_iterator_tIbPN3c104HalfENS6_6detail10functional5actorINSJ_9compositeIJNSJ_27transparent_binary_operatorINS6_8equal_toIvEEEENSK_INSJ_8argumentILj0EEEEENSJ_5valueISG_EEEEEEEEENSD_19counting_iterator_tIlEES8_S8_S8_S8_S8_S8_S8_S8_EEEEPS9_S9_NSD_9__find_if7functorIS9_EEEE10hipError_tPvRmT1_T2_T3_mT4_P12ihipStream_tbEUlT_E0_NS1_11comp_targetILNS1_3genE4ELNS1_11target_archE910ELNS1_3gpuE8ELNS1_3repE0EEENS1_30default_config_static_selectorELNS0_4arch9wavefront6targetE1EEEvS19_
	.globl	_ZN7rocprim17ROCPRIM_400000_NS6detail17trampoline_kernelINS0_14default_configENS1_22reduce_config_selectorIN6thrust23THRUST_200600_302600_NS5tupleIblNS6_9null_typeES8_S8_S8_S8_S8_S8_S8_EEEEZNS1_11reduce_implILb1ES3_NS6_12zip_iteratorINS7_INS6_11hip_rocprim26transform_input_iterator_tIbPN3c104HalfENS6_6detail10functional5actorINSJ_9compositeIJNSJ_27transparent_binary_operatorINS6_8equal_toIvEEEENSK_INSJ_8argumentILj0EEEEENSJ_5valueISG_EEEEEEEEENSD_19counting_iterator_tIlEES8_S8_S8_S8_S8_S8_S8_S8_EEEEPS9_S9_NSD_9__find_if7functorIS9_EEEE10hipError_tPvRmT1_T2_T3_mT4_P12ihipStream_tbEUlT_E0_NS1_11comp_targetILNS1_3genE4ELNS1_11target_archE910ELNS1_3gpuE8ELNS1_3repE0EEENS1_30default_config_static_selectorELNS0_4arch9wavefront6targetE1EEEvS19_
	.p2align	8
	.type	_ZN7rocprim17ROCPRIM_400000_NS6detail17trampoline_kernelINS0_14default_configENS1_22reduce_config_selectorIN6thrust23THRUST_200600_302600_NS5tupleIblNS6_9null_typeES8_S8_S8_S8_S8_S8_S8_EEEEZNS1_11reduce_implILb1ES3_NS6_12zip_iteratorINS7_INS6_11hip_rocprim26transform_input_iterator_tIbPN3c104HalfENS6_6detail10functional5actorINSJ_9compositeIJNSJ_27transparent_binary_operatorINS6_8equal_toIvEEEENSK_INSJ_8argumentILj0EEEEENSJ_5valueISG_EEEEEEEEENSD_19counting_iterator_tIlEES8_S8_S8_S8_S8_S8_S8_S8_EEEEPS9_S9_NSD_9__find_if7functorIS9_EEEE10hipError_tPvRmT1_T2_T3_mT4_P12ihipStream_tbEUlT_E0_NS1_11comp_targetILNS1_3genE4ELNS1_11target_archE910ELNS1_3gpuE8ELNS1_3repE0EEENS1_30default_config_static_selectorELNS0_4arch9wavefront6targetE1EEEvS19_,@function
_ZN7rocprim17ROCPRIM_400000_NS6detail17trampoline_kernelINS0_14default_configENS1_22reduce_config_selectorIN6thrust23THRUST_200600_302600_NS5tupleIblNS6_9null_typeES8_S8_S8_S8_S8_S8_S8_EEEEZNS1_11reduce_implILb1ES3_NS6_12zip_iteratorINS7_INS6_11hip_rocprim26transform_input_iterator_tIbPN3c104HalfENS6_6detail10functional5actorINSJ_9compositeIJNSJ_27transparent_binary_operatorINS6_8equal_toIvEEEENSK_INSJ_8argumentILj0EEEEENSJ_5valueISG_EEEEEEEEENSD_19counting_iterator_tIlEES8_S8_S8_S8_S8_S8_S8_S8_EEEEPS9_S9_NSD_9__find_if7functorIS9_EEEE10hipError_tPvRmT1_T2_T3_mT4_P12ihipStream_tbEUlT_E0_NS1_11comp_targetILNS1_3genE4ELNS1_11target_archE910ELNS1_3gpuE8ELNS1_3repE0EEENS1_30default_config_static_selectorELNS0_4arch9wavefront6targetE1EEEvS19_: ; @_ZN7rocprim17ROCPRIM_400000_NS6detail17trampoline_kernelINS0_14default_configENS1_22reduce_config_selectorIN6thrust23THRUST_200600_302600_NS5tupleIblNS6_9null_typeES8_S8_S8_S8_S8_S8_S8_EEEEZNS1_11reduce_implILb1ES3_NS6_12zip_iteratorINS7_INS6_11hip_rocprim26transform_input_iterator_tIbPN3c104HalfENS6_6detail10functional5actorINSJ_9compositeIJNSJ_27transparent_binary_operatorINS6_8equal_toIvEEEENSK_INSJ_8argumentILj0EEEEENSJ_5valueISG_EEEEEEEEENSD_19counting_iterator_tIlEES8_S8_S8_S8_S8_S8_S8_S8_EEEEPS9_S9_NSD_9__find_if7functorIS9_EEEE10hipError_tPvRmT1_T2_T3_mT4_P12ihipStream_tbEUlT_E0_NS1_11comp_targetILNS1_3genE4ELNS1_11target_archE910ELNS1_3gpuE8ELNS1_3repE0EEENS1_30default_config_static_selectorELNS0_4arch9wavefront6targetE1EEEvS19_
; %bb.0:
	.section	.rodata,"a",@progbits
	.p2align	6, 0x0
	.amdhsa_kernel _ZN7rocprim17ROCPRIM_400000_NS6detail17trampoline_kernelINS0_14default_configENS1_22reduce_config_selectorIN6thrust23THRUST_200600_302600_NS5tupleIblNS6_9null_typeES8_S8_S8_S8_S8_S8_S8_EEEEZNS1_11reduce_implILb1ES3_NS6_12zip_iteratorINS7_INS6_11hip_rocprim26transform_input_iterator_tIbPN3c104HalfENS6_6detail10functional5actorINSJ_9compositeIJNSJ_27transparent_binary_operatorINS6_8equal_toIvEEEENSK_INSJ_8argumentILj0EEEEENSJ_5valueISG_EEEEEEEEENSD_19counting_iterator_tIlEES8_S8_S8_S8_S8_S8_S8_S8_EEEEPS9_S9_NSD_9__find_if7functorIS9_EEEE10hipError_tPvRmT1_T2_T3_mT4_P12ihipStream_tbEUlT_E0_NS1_11comp_targetILNS1_3genE4ELNS1_11target_archE910ELNS1_3gpuE8ELNS1_3repE0EEENS1_30default_config_static_selectorELNS0_4arch9wavefront6targetE1EEEvS19_
		.amdhsa_group_segment_fixed_size 0
		.amdhsa_private_segment_fixed_size 0
		.amdhsa_kernarg_size 88
		.amdhsa_user_sgpr_count 6
		.amdhsa_user_sgpr_private_segment_buffer 1
		.amdhsa_user_sgpr_dispatch_ptr 0
		.amdhsa_user_sgpr_queue_ptr 0
		.amdhsa_user_sgpr_kernarg_segment_ptr 1
		.amdhsa_user_sgpr_dispatch_id 0
		.amdhsa_user_sgpr_flat_scratch_init 0
		.amdhsa_user_sgpr_private_segment_size 0
		.amdhsa_uses_dynamic_stack 0
		.amdhsa_system_sgpr_private_segment_wavefront_offset 0
		.amdhsa_system_sgpr_workgroup_id_x 1
		.amdhsa_system_sgpr_workgroup_id_y 0
		.amdhsa_system_sgpr_workgroup_id_z 0
		.amdhsa_system_sgpr_workgroup_info 0
		.amdhsa_system_vgpr_workitem_id 0
		.amdhsa_next_free_vgpr 1
		.amdhsa_next_free_sgpr 0
		.amdhsa_reserve_vcc 0
		.amdhsa_reserve_flat_scratch 0
		.amdhsa_float_round_mode_32 0
		.amdhsa_float_round_mode_16_64 0
		.amdhsa_float_denorm_mode_32 3
		.amdhsa_float_denorm_mode_16_64 3
		.amdhsa_dx10_clamp 1
		.amdhsa_ieee_mode 1
		.amdhsa_fp16_overflow 0
		.amdhsa_exception_fp_ieee_invalid_op 0
		.amdhsa_exception_fp_denorm_src 0
		.amdhsa_exception_fp_ieee_div_zero 0
		.amdhsa_exception_fp_ieee_overflow 0
		.amdhsa_exception_fp_ieee_underflow 0
		.amdhsa_exception_fp_ieee_inexact 0
		.amdhsa_exception_int_div_zero 0
	.end_amdhsa_kernel
	.section	.text._ZN7rocprim17ROCPRIM_400000_NS6detail17trampoline_kernelINS0_14default_configENS1_22reduce_config_selectorIN6thrust23THRUST_200600_302600_NS5tupleIblNS6_9null_typeES8_S8_S8_S8_S8_S8_S8_EEEEZNS1_11reduce_implILb1ES3_NS6_12zip_iteratorINS7_INS6_11hip_rocprim26transform_input_iterator_tIbPN3c104HalfENS6_6detail10functional5actorINSJ_9compositeIJNSJ_27transparent_binary_operatorINS6_8equal_toIvEEEENSK_INSJ_8argumentILj0EEEEENSJ_5valueISG_EEEEEEEEENSD_19counting_iterator_tIlEES8_S8_S8_S8_S8_S8_S8_S8_EEEEPS9_S9_NSD_9__find_if7functorIS9_EEEE10hipError_tPvRmT1_T2_T3_mT4_P12ihipStream_tbEUlT_E0_NS1_11comp_targetILNS1_3genE4ELNS1_11target_archE910ELNS1_3gpuE8ELNS1_3repE0EEENS1_30default_config_static_selectorELNS0_4arch9wavefront6targetE1EEEvS19_,"axG",@progbits,_ZN7rocprim17ROCPRIM_400000_NS6detail17trampoline_kernelINS0_14default_configENS1_22reduce_config_selectorIN6thrust23THRUST_200600_302600_NS5tupleIblNS6_9null_typeES8_S8_S8_S8_S8_S8_S8_EEEEZNS1_11reduce_implILb1ES3_NS6_12zip_iteratorINS7_INS6_11hip_rocprim26transform_input_iterator_tIbPN3c104HalfENS6_6detail10functional5actorINSJ_9compositeIJNSJ_27transparent_binary_operatorINS6_8equal_toIvEEEENSK_INSJ_8argumentILj0EEEEENSJ_5valueISG_EEEEEEEEENSD_19counting_iterator_tIlEES8_S8_S8_S8_S8_S8_S8_S8_EEEEPS9_S9_NSD_9__find_if7functorIS9_EEEE10hipError_tPvRmT1_T2_T3_mT4_P12ihipStream_tbEUlT_E0_NS1_11comp_targetILNS1_3genE4ELNS1_11target_archE910ELNS1_3gpuE8ELNS1_3repE0EEENS1_30default_config_static_selectorELNS0_4arch9wavefront6targetE1EEEvS19_,comdat
.Lfunc_end2236:
	.size	_ZN7rocprim17ROCPRIM_400000_NS6detail17trampoline_kernelINS0_14default_configENS1_22reduce_config_selectorIN6thrust23THRUST_200600_302600_NS5tupleIblNS6_9null_typeES8_S8_S8_S8_S8_S8_S8_EEEEZNS1_11reduce_implILb1ES3_NS6_12zip_iteratorINS7_INS6_11hip_rocprim26transform_input_iterator_tIbPN3c104HalfENS6_6detail10functional5actorINSJ_9compositeIJNSJ_27transparent_binary_operatorINS6_8equal_toIvEEEENSK_INSJ_8argumentILj0EEEEENSJ_5valueISG_EEEEEEEEENSD_19counting_iterator_tIlEES8_S8_S8_S8_S8_S8_S8_S8_EEEEPS9_S9_NSD_9__find_if7functorIS9_EEEE10hipError_tPvRmT1_T2_T3_mT4_P12ihipStream_tbEUlT_E0_NS1_11comp_targetILNS1_3genE4ELNS1_11target_archE910ELNS1_3gpuE8ELNS1_3repE0EEENS1_30default_config_static_selectorELNS0_4arch9wavefront6targetE1EEEvS19_, .Lfunc_end2236-_ZN7rocprim17ROCPRIM_400000_NS6detail17trampoline_kernelINS0_14default_configENS1_22reduce_config_selectorIN6thrust23THRUST_200600_302600_NS5tupleIblNS6_9null_typeES8_S8_S8_S8_S8_S8_S8_EEEEZNS1_11reduce_implILb1ES3_NS6_12zip_iteratorINS7_INS6_11hip_rocprim26transform_input_iterator_tIbPN3c104HalfENS6_6detail10functional5actorINSJ_9compositeIJNSJ_27transparent_binary_operatorINS6_8equal_toIvEEEENSK_INSJ_8argumentILj0EEEEENSJ_5valueISG_EEEEEEEEENSD_19counting_iterator_tIlEES8_S8_S8_S8_S8_S8_S8_S8_EEEEPS9_S9_NSD_9__find_if7functorIS9_EEEE10hipError_tPvRmT1_T2_T3_mT4_P12ihipStream_tbEUlT_E0_NS1_11comp_targetILNS1_3genE4ELNS1_11target_archE910ELNS1_3gpuE8ELNS1_3repE0EEENS1_30default_config_static_selectorELNS0_4arch9wavefront6targetE1EEEvS19_
                                        ; -- End function
	.set _ZN7rocprim17ROCPRIM_400000_NS6detail17trampoline_kernelINS0_14default_configENS1_22reduce_config_selectorIN6thrust23THRUST_200600_302600_NS5tupleIblNS6_9null_typeES8_S8_S8_S8_S8_S8_S8_EEEEZNS1_11reduce_implILb1ES3_NS6_12zip_iteratorINS7_INS6_11hip_rocprim26transform_input_iterator_tIbPN3c104HalfENS6_6detail10functional5actorINSJ_9compositeIJNSJ_27transparent_binary_operatorINS6_8equal_toIvEEEENSK_INSJ_8argumentILj0EEEEENSJ_5valueISG_EEEEEEEEENSD_19counting_iterator_tIlEES8_S8_S8_S8_S8_S8_S8_S8_EEEEPS9_S9_NSD_9__find_if7functorIS9_EEEE10hipError_tPvRmT1_T2_T3_mT4_P12ihipStream_tbEUlT_E0_NS1_11comp_targetILNS1_3genE4ELNS1_11target_archE910ELNS1_3gpuE8ELNS1_3repE0EEENS1_30default_config_static_selectorELNS0_4arch9wavefront6targetE1EEEvS19_.num_vgpr, 0
	.set _ZN7rocprim17ROCPRIM_400000_NS6detail17trampoline_kernelINS0_14default_configENS1_22reduce_config_selectorIN6thrust23THRUST_200600_302600_NS5tupleIblNS6_9null_typeES8_S8_S8_S8_S8_S8_S8_EEEEZNS1_11reduce_implILb1ES3_NS6_12zip_iteratorINS7_INS6_11hip_rocprim26transform_input_iterator_tIbPN3c104HalfENS6_6detail10functional5actorINSJ_9compositeIJNSJ_27transparent_binary_operatorINS6_8equal_toIvEEEENSK_INSJ_8argumentILj0EEEEENSJ_5valueISG_EEEEEEEEENSD_19counting_iterator_tIlEES8_S8_S8_S8_S8_S8_S8_S8_EEEEPS9_S9_NSD_9__find_if7functorIS9_EEEE10hipError_tPvRmT1_T2_T3_mT4_P12ihipStream_tbEUlT_E0_NS1_11comp_targetILNS1_3genE4ELNS1_11target_archE910ELNS1_3gpuE8ELNS1_3repE0EEENS1_30default_config_static_selectorELNS0_4arch9wavefront6targetE1EEEvS19_.num_agpr, 0
	.set _ZN7rocprim17ROCPRIM_400000_NS6detail17trampoline_kernelINS0_14default_configENS1_22reduce_config_selectorIN6thrust23THRUST_200600_302600_NS5tupleIblNS6_9null_typeES8_S8_S8_S8_S8_S8_S8_EEEEZNS1_11reduce_implILb1ES3_NS6_12zip_iteratorINS7_INS6_11hip_rocprim26transform_input_iterator_tIbPN3c104HalfENS6_6detail10functional5actorINSJ_9compositeIJNSJ_27transparent_binary_operatorINS6_8equal_toIvEEEENSK_INSJ_8argumentILj0EEEEENSJ_5valueISG_EEEEEEEEENSD_19counting_iterator_tIlEES8_S8_S8_S8_S8_S8_S8_S8_EEEEPS9_S9_NSD_9__find_if7functorIS9_EEEE10hipError_tPvRmT1_T2_T3_mT4_P12ihipStream_tbEUlT_E0_NS1_11comp_targetILNS1_3genE4ELNS1_11target_archE910ELNS1_3gpuE8ELNS1_3repE0EEENS1_30default_config_static_selectorELNS0_4arch9wavefront6targetE1EEEvS19_.numbered_sgpr, 0
	.set _ZN7rocprim17ROCPRIM_400000_NS6detail17trampoline_kernelINS0_14default_configENS1_22reduce_config_selectorIN6thrust23THRUST_200600_302600_NS5tupleIblNS6_9null_typeES8_S8_S8_S8_S8_S8_S8_EEEEZNS1_11reduce_implILb1ES3_NS6_12zip_iteratorINS7_INS6_11hip_rocprim26transform_input_iterator_tIbPN3c104HalfENS6_6detail10functional5actorINSJ_9compositeIJNSJ_27transparent_binary_operatorINS6_8equal_toIvEEEENSK_INSJ_8argumentILj0EEEEENSJ_5valueISG_EEEEEEEEENSD_19counting_iterator_tIlEES8_S8_S8_S8_S8_S8_S8_S8_EEEEPS9_S9_NSD_9__find_if7functorIS9_EEEE10hipError_tPvRmT1_T2_T3_mT4_P12ihipStream_tbEUlT_E0_NS1_11comp_targetILNS1_3genE4ELNS1_11target_archE910ELNS1_3gpuE8ELNS1_3repE0EEENS1_30default_config_static_selectorELNS0_4arch9wavefront6targetE1EEEvS19_.num_named_barrier, 0
	.set _ZN7rocprim17ROCPRIM_400000_NS6detail17trampoline_kernelINS0_14default_configENS1_22reduce_config_selectorIN6thrust23THRUST_200600_302600_NS5tupleIblNS6_9null_typeES8_S8_S8_S8_S8_S8_S8_EEEEZNS1_11reduce_implILb1ES3_NS6_12zip_iteratorINS7_INS6_11hip_rocprim26transform_input_iterator_tIbPN3c104HalfENS6_6detail10functional5actorINSJ_9compositeIJNSJ_27transparent_binary_operatorINS6_8equal_toIvEEEENSK_INSJ_8argumentILj0EEEEENSJ_5valueISG_EEEEEEEEENSD_19counting_iterator_tIlEES8_S8_S8_S8_S8_S8_S8_S8_EEEEPS9_S9_NSD_9__find_if7functorIS9_EEEE10hipError_tPvRmT1_T2_T3_mT4_P12ihipStream_tbEUlT_E0_NS1_11comp_targetILNS1_3genE4ELNS1_11target_archE910ELNS1_3gpuE8ELNS1_3repE0EEENS1_30default_config_static_selectorELNS0_4arch9wavefront6targetE1EEEvS19_.private_seg_size, 0
	.set _ZN7rocprim17ROCPRIM_400000_NS6detail17trampoline_kernelINS0_14default_configENS1_22reduce_config_selectorIN6thrust23THRUST_200600_302600_NS5tupleIblNS6_9null_typeES8_S8_S8_S8_S8_S8_S8_EEEEZNS1_11reduce_implILb1ES3_NS6_12zip_iteratorINS7_INS6_11hip_rocprim26transform_input_iterator_tIbPN3c104HalfENS6_6detail10functional5actorINSJ_9compositeIJNSJ_27transparent_binary_operatorINS6_8equal_toIvEEEENSK_INSJ_8argumentILj0EEEEENSJ_5valueISG_EEEEEEEEENSD_19counting_iterator_tIlEES8_S8_S8_S8_S8_S8_S8_S8_EEEEPS9_S9_NSD_9__find_if7functorIS9_EEEE10hipError_tPvRmT1_T2_T3_mT4_P12ihipStream_tbEUlT_E0_NS1_11comp_targetILNS1_3genE4ELNS1_11target_archE910ELNS1_3gpuE8ELNS1_3repE0EEENS1_30default_config_static_selectorELNS0_4arch9wavefront6targetE1EEEvS19_.uses_vcc, 0
	.set _ZN7rocprim17ROCPRIM_400000_NS6detail17trampoline_kernelINS0_14default_configENS1_22reduce_config_selectorIN6thrust23THRUST_200600_302600_NS5tupleIblNS6_9null_typeES8_S8_S8_S8_S8_S8_S8_EEEEZNS1_11reduce_implILb1ES3_NS6_12zip_iteratorINS7_INS6_11hip_rocprim26transform_input_iterator_tIbPN3c104HalfENS6_6detail10functional5actorINSJ_9compositeIJNSJ_27transparent_binary_operatorINS6_8equal_toIvEEEENSK_INSJ_8argumentILj0EEEEENSJ_5valueISG_EEEEEEEEENSD_19counting_iterator_tIlEES8_S8_S8_S8_S8_S8_S8_S8_EEEEPS9_S9_NSD_9__find_if7functorIS9_EEEE10hipError_tPvRmT1_T2_T3_mT4_P12ihipStream_tbEUlT_E0_NS1_11comp_targetILNS1_3genE4ELNS1_11target_archE910ELNS1_3gpuE8ELNS1_3repE0EEENS1_30default_config_static_selectorELNS0_4arch9wavefront6targetE1EEEvS19_.uses_flat_scratch, 0
	.set _ZN7rocprim17ROCPRIM_400000_NS6detail17trampoline_kernelINS0_14default_configENS1_22reduce_config_selectorIN6thrust23THRUST_200600_302600_NS5tupleIblNS6_9null_typeES8_S8_S8_S8_S8_S8_S8_EEEEZNS1_11reduce_implILb1ES3_NS6_12zip_iteratorINS7_INS6_11hip_rocprim26transform_input_iterator_tIbPN3c104HalfENS6_6detail10functional5actorINSJ_9compositeIJNSJ_27transparent_binary_operatorINS6_8equal_toIvEEEENSK_INSJ_8argumentILj0EEEEENSJ_5valueISG_EEEEEEEEENSD_19counting_iterator_tIlEES8_S8_S8_S8_S8_S8_S8_S8_EEEEPS9_S9_NSD_9__find_if7functorIS9_EEEE10hipError_tPvRmT1_T2_T3_mT4_P12ihipStream_tbEUlT_E0_NS1_11comp_targetILNS1_3genE4ELNS1_11target_archE910ELNS1_3gpuE8ELNS1_3repE0EEENS1_30default_config_static_selectorELNS0_4arch9wavefront6targetE1EEEvS19_.has_dyn_sized_stack, 0
	.set _ZN7rocprim17ROCPRIM_400000_NS6detail17trampoline_kernelINS0_14default_configENS1_22reduce_config_selectorIN6thrust23THRUST_200600_302600_NS5tupleIblNS6_9null_typeES8_S8_S8_S8_S8_S8_S8_EEEEZNS1_11reduce_implILb1ES3_NS6_12zip_iteratorINS7_INS6_11hip_rocprim26transform_input_iterator_tIbPN3c104HalfENS6_6detail10functional5actorINSJ_9compositeIJNSJ_27transparent_binary_operatorINS6_8equal_toIvEEEENSK_INSJ_8argumentILj0EEEEENSJ_5valueISG_EEEEEEEEENSD_19counting_iterator_tIlEES8_S8_S8_S8_S8_S8_S8_S8_EEEEPS9_S9_NSD_9__find_if7functorIS9_EEEE10hipError_tPvRmT1_T2_T3_mT4_P12ihipStream_tbEUlT_E0_NS1_11comp_targetILNS1_3genE4ELNS1_11target_archE910ELNS1_3gpuE8ELNS1_3repE0EEENS1_30default_config_static_selectorELNS0_4arch9wavefront6targetE1EEEvS19_.has_recursion, 0
	.set _ZN7rocprim17ROCPRIM_400000_NS6detail17trampoline_kernelINS0_14default_configENS1_22reduce_config_selectorIN6thrust23THRUST_200600_302600_NS5tupleIblNS6_9null_typeES8_S8_S8_S8_S8_S8_S8_EEEEZNS1_11reduce_implILb1ES3_NS6_12zip_iteratorINS7_INS6_11hip_rocprim26transform_input_iterator_tIbPN3c104HalfENS6_6detail10functional5actorINSJ_9compositeIJNSJ_27transparent_binary_operatorINS6_8equal_toIvEEEENSK_INSJ_8argumentILj0EEEEENSJ_5valueISG_EEEEEEEEENSD_19counting_iterator_tIlEES8_S8_S8_S8_S8_S8_S8_S8_EEEEPS9_S9_NSD_9__find_if7functorIS9_EEEE10hipError_tPvRmT1_T2_T3_mT4_P12ihipStream_tbEUlT_E0_NS1_11comp_targetILNS1_3genE4ELNS1_11target_archE910ELNS1_3gpuE8ELNS1_3repE0EEENS1_30default_config_static_selectorELNS0_4arch9wavefront6targetE1EEEvS19_.has_indirect_call, 0
	.section	.AMDGPU.csdata,"",@progbits
; Kernel info:
; codeLenInByte = 0
; TotalNumSgprs: 4
; NumVgprs: 0
; ScratchSize: 0
; MemoryBound: 0
; FloatMode: 240
; IeeeMode: 1
; LDSByteSize: 0 bytes/workgroup (compile time only)
; SGPRBlocks: 0
; VGPRBlocks: 0
; NumSGPRsForWavesPerEU: 4
; NumVGPRsForWavesPerEU: 1
; Occupancy: 10
; WaveLimiterHint : 0
; COMPUTE_PGM_RSRC2:SCRATCH_EN: 0
; COMPUTE_PGM_RSRC2:USER_SGPR: 6
; COMPUTE_PGM_RSRC2:TRAP_HANDLER: 0
; COMPUTE_PGM_RSRC2:TGID_X_EN: 1
; COMPUTE_PGM_RSRC2:TGID_Y_EN: 0
; COMPUTE_PGM_RSRC2:TGID_Z_EN: 0
; COMPUTE_PGM_RSRC2:TIDIG_COMP_CNT: 0
	.section	.text._ZN7rocprim17ROCPRIM_400000_NS6detail17trampoline_kernelINS0_14default_configENS1_22reduce_config_selectorIN6thrust23THRUST_200600_302600_NS5tupleIblNS6_9null_typeES8_S8_S8_S8_S8_S8_S8_EEEEZNS1_11reduce_implILb1ES3_NS6_12zip_iteratorINS7_INS6_11hip_rocprim26transform_input_iterator_tIbPN3c104HalfENS6_6detail10functional5actorINSJ_9compositeIJNSJ_27transparent_binary_operatorINS6_8equal_toIvEEEENSK_INSJ_8argumentILj0EEEEENSJ_5valueISG_EEEEEEEEENSD_19counting_iterator_tIlEES8_S8_S8_S8_S8_S8_S8_S8_EEEEPS9_S9_NSD_9__find_if7functorIS9_EEEE10hipError_tPvRmT1_T2_T3_mT4_P12ihipStream_tbEUlT_E0_NS1_11comp_targetILNS1_3genE3ELNS1_11target_archE908ELNS1_3gpuE7ELNS1_3repE0EEENS1_30default_config_static_selectorELNS0_4arch9wavefront6targetE1EEEvS19_,"axG",@progbits,_ZN7rocprim17ROCPRIM_400000_NS6detail17trampoline_kernelINS0_14default_configENS1_22reduce_config_selectorIN6thrust23THRUST_200600_302600_NS5tupleIblNS6_9null_typeES8_S8_S8_S8_S8_S8_S8_EEEEZNS1_11reduce_implILb1ES3_NS6_12zip_iteratorINS7_INS6_11hip_rocprim26transform_input_iterator_tIbPN3c104HalfENS6_6detail10functional5actorINSJ_9compositeIJNSJ_27transparent_binary_operatorINS6_8equal_toIvEEEENSK_INSJ_8argumentILj0EEEEENSJ_5valueISG_EEEEEEEEENSD_19counting_iterator_tIlEES8_S8_S8_S8_S8_S8_S8_S8_EEEEPS9_S9_NSD_9__find_if7functorIS9_EEEE10hipError_tPvRmT1_T2_T3_mT4_P12ihipStream_tbEUlT_E0_NS1_11comp_targetILNS1_3genE3ELNS1_11target_archE908ELNS1_3gpuE7ELNS1_3repE0EEENS1_30default_config_static_selectorELNS0_4arch9wavefront6targetE1EEEvS19_,comdat
	.protected	_ZN7rocprim17ROCPRIM_400000_NS6detail17trampoline_kernelINS0_14default_configENS1_22reduce_config_selectorIN6thrust23THRUST_200600_302600_NS5tupleIblNS6_9null_typeES8_S8_S8_S8_S8_S8_S8_EEEEZNS1_11reduce_implILb1ES3_NS6_12zip_iteratorINS7_INS6_11hip_rocprim26transform_input_iterator_tIbPN3c104HalfENS6_6detail10functional5actorINSJ_9compositeIJNSJ_27transparent_binary_operatorINS6_8equal_toIvEEEENSK_INSJ_8argumentILj0EEEEENSJ_5valueISG_EEEEEEEEENSD_19counting_iterator_tIlEES8_S8_S8_S8_S8_S8_S8_S8_EEEEPS9_S9_NSD_9__find_if7functorIS9_EEEE10hipError_tPvRmT1_T2_T3_mT4_P12ihipStream_tbEUlT_E0_NS1_11comp_targetILNS1_3genE3ELNS1_11target_archE908ELNS1_3gpuE7ELNS1_3repE0EEENS1_30default_config_static_selectorELNS0_4arch9wavefront6targetE1EEEvS19_ ; -- Begin function _ZN7rocprim17ROCPRIM_400000_NS6detail17trampoline_kernelINS0_14default_configENS1_22reduce_config_selectorIN6thrust23THRUST_200600_302600_NS5tupleIblNS6_9null_typeES8_S8_S8_S8_S8_S8_S8_EEEEZNS1_11reduce_implILb1ES3_NS6_12zip_iteratorINS7_INS6_11hip_rocprim26transform_input_iterator_tIbPN3c104HalfENS6_6detail10functional5actorINSJ_9compositeIJNSJ_27transparent_binary_operatorINS6_8equal_toIvEEEENSK_INSJ_8argumentILj0EEEEENSJ_5valueISG_EEEEEEEEENSD_19counting_iterator_tIlEES8_S8_S8_S8_S8_S8_S8_S8_EEEEPS9_S9_NSD_9__find_if7functorIS9_EEEE10hipError_tPvRmT1_T2_T3_mT4_P12ihipStream_tbEUlT_E0_NS1_11comp_targetILNS1_3genE3ELNS1_11target_archE908ELNS1_3gpuE7ELNS1_3repE0EEENS1_30default_config_static_selectorELNS0_4arch9wavefront6targetE1EEEvS19_
	.globl	_ZN7rocprim17ROCPRIM_400000_NS6detail17trampoline_kernelINS0_14default_configENS1_22reduce_config_selectorIN6thrust23THRUST_200600_302600_NS5tupleIblNS6_9null_typeES8_S8_S8_S8_S8_S8_S8_EEEEZNS1_11reduce_implILb1ES3_NS6_12zip_iteratorINS7_INS6_11hip_rocprim26transform_input_iterator_tIbPN3c104HalfENS6_6detail10functional5actorINSJ_9compositeIJNSJ_27transparent_binary_operatorINS6_8equal_toIvEEEENSK_INSJ_8argumentILj0EEEEENSJ_5valueISG_EEEEEEEEENSD_19counting_iterator_tIlEES8_S8_S8_S8_S8_S8_S8_S8_EEEEPS9_S9_NSD_9__find_if7functorIS9_EEEE10hipError_tPvRmT1_T2_T3_mT4_P12ihipStream_tbEUlT_E0_NS1_11comp_targetILNS1_3genE3ELNS1_11target_archE908ELNS1_3gpuE7ELNS1_3repE0EEENS1_30default_config_static_selectorELNS0_4arch9wavefront6targetE1EEEvS19_
	.p2align	8
	.type	_ZN7rocprim17ROCPRIM_400000_NS6detail17trampoline_kernelINS0_14default_configENS1_22reduce_config_selectorIN6thrust23THRUST_200600_302600_NS5tupleIblNS6_9null_typeES8_S8_S8_S8_S8_S8_S8_EEEEZNS1_11reduce_implILb1ES3_NS6_12zip_iteratorINS7_INS6_11hip_rocprim26transform_input_iterator_tIbPN3c104HalfENS6_6detail10functional5actorINSJ_9compositeIJNSJ_27transparent_binary_operatorINS6_8equal_toIvEEEENSK_INSJ_8argumentILj0EEEEENSJ_5valueISG_EEEEEEEEENSD_19counting_iterator_tIlEES8_S8_S8_S8_S8_S8_S8_S8_EEEEPS9_S9_NSD_9__find_if7functorIS9_EEEE10hipError_tPvRmT1_T2_T3_mT4_P12ihipStream_tbEUlT_E0_NS1_11comp_targetILNS1_3genE3ELNS1_11target_archE908ELNS1_3gpuE7ELNS1_3repE0EEENS1_30default_config_static_selectorELNS0_4arch9wavefront6targetE1EEEvS19_,@function
_ZN7rocprim17ROCPRIM_400000_NS6detail17trampoline_kernelINS0_14default_configENS1_22reduce_config_selectorIN6thrust23THRUST_200600_302600_NS5tupleIblNS6_9null_typeES8_S8_S8_S8_S8_S8_S8_EEEEZNS1_11reduce_implILb1ES3_NS6_12zip_iteratorINS7_INS6_11hip_rocprim26transform_input_iterator_tIbPN3c104HalfENS6_6detail10functional5actorINSJ_9compositeIJNSJ_27transparent_binary_operatorINS6_8equal_toIvEEEENSK_INSJ_8argumentILj0EEEEENSJ_5valueISG_EEEEEEEEENSD_19counting_iterator_tIlEES8_S8_S8_S8_S8_S8_S8_S8_EEEEPS9_S9_NSD_9__find_if7functorIS9_EEEE10hipError_tPvRmT1_T2_T3_mT4_P12ihipStream_tbEUlT_E0_NS1_11comp_targetILNS1_3genE3ELNS1_11target_archE908ELNS1_3gpuE7ELNS1_3repE0EEENS1_30default_config_static_selectorELNS0_4arch9wavefront6targetE1EEEvS19_: ; @_ZN7rocprim17ROCPRIM_400000_NS6detail17trampoline_kernelINS0_14default_configENS1_22reduce_config_selectorIN6thrust23THRUST_200600_302600_NS5tupleIblNS6_9null_typeES8_S8_S8_S8_S8_S8_S8_EEEEZNS1_11reduce_implILb1ES3_NS6_12zip_iteratorINS7_INS6_11hip_rocprim26transform_input_iterator_tIbPN3c104HalfENS6_6detail10functional5actorINSJ_9compositeIJNSJ_27transparent_binary_operatorINS6_8equal_toIvEEEENSK_INSJ_8argumentILj0EEEEENSJ_5valueISG_EEEEEEEEENSD_19counting_iterator_tIlEES8_S8_S8_S8_S8_S8_S8_S8_EEEEPS9_S9_NSD_9__find_if7functorIS9_EEEE10hipError_tPvRmT1_T2_T3_mT4_P12ihipStream_tbEUlT_E0_NS1_11comp_targetILNS1_3genE3ELNS1_11target_archE908ELNS1_3gpuE7ELNS1_3repE0EEENS1_30default_config_static_selectorELNS0_4arch9wavefront6targetE1EEEvS19_
; %bb.0:
	.section	.rodata,"a",@progbits
	.p2align	6, 0x0
	.amdhsa_kernel _ZN7rocprim17ROCPRIM_400000_NS6detail17trampoline_kernelINS0_14default_configENS1_22reduce_config_selectorIN6thrust23THRUST_200600_302600_NS5tupleIblNS6_9null_typeES8_S8_S8_S8_S8_S8_S8_EEEEZNS1_11reduce_implILb1ES3_NS6_12zip_iteratorINS7_INS6_11hip_rocprim26transform_input_iterator_tIbPN3c104HalfENS6_6detail10functional5actorINSJ_9compositeIJNSJ_27transparent_binary_operatorINS6_8equal_toIvEEEENSK_INSJ_8argumentILj0EEEEENSJ_5valueISG_EEEEEEEEENSD_19counting_iterator_tIlEES8_S8_S8_S8_S8_S8_S8_S8_EEEEPS9_S9_NSD_9__find_if7functorIS9_EEEE10hipError_tPvRmT1_T2_T3_mT4_P12ihipStream_tbEUlT_E0_NS1_11comp_targetILNS1_3genE3ELNS1_11target_archE908ELNS1_3gpuE7ELNS1_3repE0EEENS1_30default_config_static_selectorELNS0_4arch9wavefront6targetE1EEEvS19_
		.amdhsa_group_segment_fixed_size 0
		.amdhsa_private_segment_fixed_size 0
		.amdhsa_kernarg_size 88
		.amdhsa_user_sgpr_count 6
		.amdhsa_user_sgpr_private_segment_buffer 1
		.amdhsa_user_sgpr_dispatch_ptr 0
		.amdhsa_user_sgpr_queue_ptr 0
		.amdhsa_user_sgpr_kernarg_segment_ptr 1
		.amdhsa_user_sgpr_dispatch_id 0
		.amdhsa_user_sgpr_flat_scratch_init 0
		.amdhsa_user_sgpr_private_segment_size 0
		.amdhsa_uses_dynamic_stack 0
		.amdhsa_system_sgpr_private_segment_wavefront_offset 0
		.amdhsa_system_sgpr_workgroup_id_x 1
		.amdhsa_system_sgpr_workgroup_id_y 0
		.amdhsa_system_sgpr_workgroup_id_z 0
		.amdhsa_system_sgpr_workgroup_info 0
		.amdhsa_system_vgpr_workitem_id 0
		.amdhsa_next_free_vgpr 1
		.amdhsa_next_free_sgpr 0
		.amdhsa_reserve_vcc 0
		.amdhsa_reserve_flat_scratch 0
		.amdhsa_float_round_mode_32 0
		.amdhsa_float_round_mode_16_64 0
		.amdhsa_float_denorm_mode_32 3
		.amdhsa_float_denorm_mode_16_64 3
		.amdhsa_dx10_clamp 1
		.amdhsa_ieee_mode 1
		.amdhsa_fp16_overflow 0
		.amdhsa_exception_fp_ieee_invalid_op 0
		.amdhsa_exception_fp_denorm_src 0
		.amdhsa_exception_fp_ieee_div_zero 0
		.amdhsa_exception_fp_ieee_overflow 0
		.amdhsa_exception_fp_ieee_underflow 0
		.amdhsa_exception_fp_ieee_inexact 0
		.amdhsa_exception_int_div_zero 0
	.end_amdhsa_kernel
	.section	.text._ZN7rocprim17ROCPRIM_400000_NS6detail17trampoline_kernelINS0_14default_configENS1_22reduce_config_selectorIN6thrust23THRUST_200600_302600_NS5tupleIblNS6_9null_typeES8_S8_S8_S8_S8_S8_S8_EEEEZNS1_11reduce_implILb1ES3_NS6_12zip_iteratorINS7_INS6_11hip_rocprim26transform_input_iterator_tIbPN3c104HalfENS6_6detail10functional5actorINSJ_9compositeIJNSJ_27transparent_binary_operatorINS6_8equal_toIvEEEENSK_INSJ_8argumentILj0EEEEENSJ_5valueISG_EEEEEEEEENSD_19counting_iterator_tIlEES8_S8_S8_S8_S8_S8_S8_S8_EEEEPS9_S9_NSD_9__find_if7functorIS9_EEEE10hipError_tPvRmT1_T2_T3_mT4_P12ihipStream_tbEUlT_E0_NS1_11comp_targetILNS1_3genE3ELNS1_11target_archE908ELNS1_3gpuE7ELNS1_3repE0EEENS1_30default_config_static_selectorELNS0_4arch9wavefront6targetE1EEEvS19_,"axG",@progbits,_ZN7rocprim17ROCPRIM_400000_NS6detail17trampoline_kernelINS0_14default_configENS1_22reduce_config_selectorIN6thrust23THRUST_200600_302600_NS5tupleIblNS6_9null_typeES8_S8_S8_S8_S8_S8_S8_EEEEZNS1_11reduce_implILb1ES3_NS6_12zip_iteratorINS7_INS6_11hip_rocprim26transform_input_iterator_tIbPN3c104HalfENS6_6detail10functional5actorINSJ_9compositeIJNSJ_27transparent_binary_operatorINS6_8equal_toIvEEEENSK_INSJ_8argumentILj0EEEEENSJ_5valueISG_EEEEEEEEENSD_19counting_iterator_tIlEES8_S8_S8_S8_S8_S8_S8_S8_EEEEPS9_S9_NSD_9__find_if7functorIS9_EEEE10hipError_tPvRmT1_T2_T3_mT4_P12ihipStream_tbEUlT_E0_NS1_11comp_targetILNS1_3genE3ELNS1_11target_archE908ELNS1_3gpuE7ELNS1_3repE0EEENS1_30default_config_static_selectorELNS0_4arch9wavefront6targetE1EEEvS19_,comdat
.Lfunc_end2237:
	.size	_ZN7rocprim17ROCPRIM_400000_NS6detail17trampoline_kernelINS0_14default_configENS1_22reduce_config_selectorIN6thrust23THRUST_200600_302600_NS5tupleIblNS6_9null_typeES8_S8_S8_S8_S8_S8_S8_EEEEZNS1_11reduce_implILb1ES3_NS6_12zip_iteratorINS7_INS6_11hip_rocprim26transform_input_iterator_tIbPN3c104HalfENS6_6detail10functional5actorINSJ_9compositeIJNSJ_27transparent_binary_operatorINS6_8equal_toIvEEEENSK_INSJ_8argumentILj0EEEEENSJ_5valueISG_EEEEEEEEENSD_19counting_iterator_tIlEES8_S8_S8_S8_S8_S8_S8_S8_EEEEPS9_S9_NSD_9__find_if7functorIS9_EEEE10hipError_tPvRmT1_T2_T3_mT4_P12ihipStream_tbEUlT_E0_NS1_11comp_targetILNS1_3genE3ELNS1_11target_archE908ELNS1_3gpuE7ELNS1_3repE0EEENS1_30default_config_static_selectorELNS0_4arch9wavefront6targetE1EEEvS19_, .Lfunc_end2237-_ZN7rocprim17ROCPRIM_400000_NS6detail17trampoline_kernelINS0_14default_configENS1_22reduce_config_selectorIN6thrust23THRUST_200600_302600_NS5tupleIblNS6_9null_typeES8_S8_S8_S8_S8_S8_S8_EEEEZNS1_11reduce_implILb1ES3_NS6_12zip_iteratorINS7_INS6_11hip_rocprim26transform_input_iterator_tIbPN3c104HalfENS6_6detail10functional5actorINSJ_9compositeIJNSJ_27transparent_binary_operatorINS6_8equal_toIvEEEENSK_INSJ_8argumentILj0EEEEENSJ_5valueISG_EEEEEEEEENSD_19counting_iterator_tIlEES8_S8_S8_S8_S8_S8_S8_S8_EEEEPS9_S9_NSD_9__find_if7functorIS9_EEEE10hipError_tPvRmT1_T2_T3_mT4_P12ihipStream_tbEUlT_E0_NS1_11comp_targetILNS1_3genE3ELNS1_11target_archE908ELNS1_3gpuE7ELNS1_3repE0EEENS1_30default_config_static_selectorELNS0_4arch9wavefront6targetE1EEEvS19_
                                        ; -- End function
	.set _ZN7rocprim17ROCPRIM_400000_NS6detail17trampoline_kernelINS0_14default_configENS1_22reduce_config_selectorIN6thrust23THRUST_200600_302600_NS5tupleIblNS6_9null_typeES8_S8_S8_S8_S8_S8_S8_EEEEZNS1_11reduce_implILb1ES3_NS6_12zip_iteratorINS7_INS6_11hip_rocprim26transform_input_iterator_tIbPN3c104HalfENS6_6detail10functional5actorINSJ_9compositeIJNSJ_27transparent_binary_operatorINS6_8equal_toIvEEEENSK_INSJ_8argumentILj0EEEEENSJ_5valueISG_EEEEEEEEENSD_19counting_iterator_tIlEES8_S8_S8_S8_S8_S8_S8_S8_EEEEPS9_S9_NSD_9__find_if7functorIS9_EEEE10hipError_tPvRmT1_T2_T3_mT4_P12ihipStream_tbEUlT_E0_NS1_11comp_targetILNS1_3genE3ELNS1_11target_archE908ELNS1_3gpuE7ELNS1_3repE0EEENS1_30default_config_static_selectorELNS0_4arch9wavefront6targetE1EEEvS19_.num_vgpr, 0
	.set _ZN7rocprim17ROCPRIM_400000_NS6detail17trampoline_kernelINS0_14default_configENS1_22reduce_config_selectorIN6thrust23THRUST_200600_302600_NS5tupleIblNS6_9null_typeES8_S8_S8_S8_S8_S8_S8_EEEEZNS1_11reduce_implILb1ES3_NS6_12zip_iteratorINS7_INS6_11hip_rocprim26transform_input_iterator_tIbPN3c104HalfENS6_6detail10functional5actorINSJ_9compositeIJNSJ_27transparent_binary_operatorINS6_8equal_toIvEEEENSK_INSJ_8argumentILj0EEEEENSJ_5valueISG_EEEEEEEEENSD_19counting_iterator_tIlEES8_S8_S8_S8_S8_S8_S8_S8_EEEEPS9_S9_NSD_9__find_if7functorIS9_EEEE10hipError_tPvRmT1_T2_T3_mT4_P12ihipStream_tbEUlT_E0_NS1_11comp_targetILNS1_3genE3ELNS1_11target_archE908ELNS1_3gpuE7ELNS1_3repE0EEENS1_30default_config_static_selectorELNS0_4arch9wavefront6targetE1EEEvS19_.num_agpr, 0
	.set _ZN7rocprim17ROCPRIM_400000_NS6detail17trampoline_kernelINS0_14default_configENS1_22reduce_config_selectorIN6thrust23THRUST_200600_302600_NS5tupleIblNS6_9null_typeES8_S8_S8_S8_S8_S8_S8_EEEEZNS1_11reduce_implILb1ES3_NS6_12zip_iteratorINS7_INS6_11hip_rocprim26transform_input_iterator_tIbPN3c104HalfENS6_6detail10functional5actorINSJ_9compositeIJNSJ_27transparent_binary_operatorINS6_8equal_toIvEEEENSK_INSJ_8argumentILj0EEEEENSJ_5valueISG_EEEEEEEEENSD_19counting_iterator_tIlEES8_S8_S8_S8_S8_S8_S8_S8_EEEEPS9_S9_NSD_9__find_if7functorIS9_EEEE10hipError_tPvRmT1_T2_T3_mT4_P12ihipStream_tbEUlT_E0_NS1_11comp_targetILNS1_3genE3ELNS1_11target_archE908ELNS1_3gpuE7ELNS1_3repE0EEENS1_30default_config_static_selectorELNS0_4arch9wavefront6targetE1EEEvS19_.numbered_sgpr, 0
	.set _ZN7rocprim17ROCPRIM_400000_NS6detail17trampoline_kernelINS0_14default_configENS1_22reduce_config_selectorIN6thrust23THRUST_200600_302600_NS5tupleIblNS6_9null_typeES8_S8_S8_S8_S8_S8_S8_EEEEZNS1_11reduce_implILb1ES3_NS6_12zip_iteratorINS7_INS6_11hip_rocprim26transform_input_iterator_tIbPN3c104HalfENS6_6detail10functional5actorINSJ_9compositeIJNSJ_27transparent_binary_operatorINS6_8equal_toIvEEEENSK_INSJ_8argumentILj0EEEEENSJ_5valueISG_EEEEEEEEENSD_19counting_iterator_tIlEES8_S8_S8_S8_S8_S8_S8_S8_EEEEPS9_S9_NSD_9__find_if7functorIS9_EEEE10hipError_tPvRmT1_T2_T3_mT4_P12ihipStream_tbEUlT_E0_NS1_11comp_targetILNS1_3genE3ELNS1_11target_archE908ELNS1_3gpuE7ELNS1_3repE0EEENS1_30default_config_static_selectorELNS0_4arch9wavefront6targetE1EEEvS19_.num_named_barrier, 0
	.set _ZN7rocprim17ROCPRIM_400000_NS6detail17trampoline_kernelINS0_14default_configENS1_22reduce_config_selectorIN6thrust23THRUST_200600_302600_NS5tupleIblNS6_9null_typeES8_S8_S8_S8_S8_S8_S8_EEEEZNS1_11reduce_implILb1ES3_NS6_12zip_iteratorINS7_INS6_11hip_rocprim26transform_input_iterator_tIbPN3c104HalfENS6_6detail10functional5actorINSJ_9compositeIJNSJ_27transparent_binary_operatorINS6_8equal_toIvEEEENSK_INSJ_8argumentILj0EEEEENSJ_5valueISG_EEEEEEEEENSD_19counting_iterator_tIlEES8_S8_S8_S8_S8_S8_S8_S8_EEEEPS9_S9_NSD_9__find_if7functorIS9_EEEE10hipError_tPvRmT1_T2_T3_mT4_P12ihipStream_tbEUlT_E0_NS1_11comp_targetILNS1_3genE3ELNS1_11target_archE908ELNS1_3gpuE7ELNS1_3repE0EEENS1_30default_config_static_selectorELNS0_4arch9wavefront6targetE1EEEvS19_.private_seg_size, 0
	.set _ZN7rocprim17ROCPRIM_400000_NS6detail17trampoline_kernelINS0_14default_configENS1_22reduce_config_selectorIN6thrust23THRUST_200600_302600_NS5tupleIblNS6_9null_typeES8_S8_S8_S8_S8_S8_S8_EEEEZNS1_11reduce_implILb1ES3_NS6_12zip_iteratorINS7_INS6_11hip_rocprim26transform_input_iterator_tIbPN3c104HalfENS6_6detail10functional5actorINSJ_9compositeIJNSJ_27transparent_binary_operatorINS6_8equal_toIvEEEENSK_INSJ_8argumentILj0EEEEENSJ_5valueISG_EEEEEEEEENSD_19counting_iterator_tIlEES8_S8_S8_S8_S8_S8_S8_S8_EEEEPS9_S9_NSD_9__find_if7functorIS9_EEEE10hipError_tPvRmT1_T2_T3_mT4_P12ihipStream_tbEUlT_E0_NS1_11comp_targetILNS1_3genE3ELNS1_11target_archE908ELNS1_3gpuE7ELNS1_3repE0EEENS1_30default_config_static_selectorELNS0_4arch9wavefront6targetE1EEEvS19_.uses_vcc, 0
	.set _ZN7rocprim17ROCPRIM_400000_NS6detail17trampoline_kernelINS0_14default_configENS1_22reduce_config_selectorIN6thrust23THRUST_200600_302600_NS5tupleIblNS6_9null_typeES8_S8_S8_S8_S8_S8_S8_EEEEZNS1_11reduce_implILb1ES3_NS6_12zip_iteratorINS7_INS6_11hip_rocprim26transform_input_iterator_tIbPN3c104HalfENS6_6detail10functional5actorINSJ_9compositeIJNSJ_27transparent_binary_operatorINS6_8equal_toIvEEEENSK_INSJ_8argumentILj0EEEEENSJ_5valueISG_EEEEEEEEENSD_19counting_iterator_tIlEES8_S8_S8_S8_S8_S8_S8_S8_EEEEPS9_S9_NSD_9__find_if7functorIS9_EEEE10hipError_tPvRmT1_T2_T3_mT4_P12ihipStream_tbEUlT_E0_NS1_11comp_targetILNS1_3genE3ELNS1_11target_archE908ELNS1_3gpuE7ELNS1_3repE0EEENS1_30default_config_static_selectorELNS0_4arch9wavefront6targetE1EEEvS19_.uses_flat_scratch, 0
	.set _ZN7rocprim17ROCPRIM_400000_NS6detail17trampoline_kernelINS0_14default_configENS1_22reduce_config_selectorIN6thrust23THRUST_200600_302600_NS5tupleIblNS6_9null_typeES8_S8_S8_S8_S8_S8_S8_EEEEZNS1_11reduce_implILb1ES3_NS6_12zip_iteratorINS7_INS6_11hip_rocprim26transform_input_iterator_tIbPN3c104HalfENS6_6detail10functional5actorINSJ_9compositeIJNSJ_27transparent_binary_operatorINS6_8equal_toIvEEEENSK_INSJ_8argumentILj0EEEEENSJ_5valueISG_EEEEEEEEENSD_19counting_iterator_tIlEES8_S8_S8_S8_S8_S8_S8_S8_EEEEPS9_S9_NSD_9__find_if7functorIS9_EEEE10hipError_tPvRmT1_T2_T3_mT4_P12ihipStream_tbEUlT_E0_NS1_11comp_targetILNS1_3genE3ELNS1_11target_archE908ELNS1_3gpuE7ELNS1_3repE0EEENS1_30default_config_static_selectorELNS0_4arch9wavefront6targetE1EEEvS19_.has_dyn_sized_stack, 0
	.set _ZN7rocprim17ROCPRIM_400000_NS6detail17trampoline_kernelINS0_14default_configENS1_22reduce_config_selectorIN6thrust23THRUST_200600_302600_NS5tupleIblNS6_9null_typeES8_S8_S8_S8_S8_S8_S8_EEEEZNS1_11reduce_implILb1ES3_NS6_12zip_iteratorINS7_INS6_11hip_rocprim26transform_input_iterator_tIbPN3c104HalfENS6_6detail10functional5actorINSJ_9compositeIJNSJ_27transparent_binary_operatorINS6_8equal_toIvEEEENSK_INSJ_8argumentILj0EEEEENSJ_5valueISG_EEEEEEEEENSD_19counting_iterator_tIlEES8_S8_S8_S8_S8_S8_S8_S8_EEEEPS9_S9_NSD_9__find_if7functorIS9_EEEE10hipError_tPvRmT1_T2_T3_mT4_P12ihipStream_tbEUlT_E0_NS1_11comp_targetILNS1_3genE3ELNS1_11target_archE908ELNS1_3gpuE7ELNS1_3repE0EEENS1_30default_config_static_selectorELNS0_4arch9wavefront6targetE1EEEvS19_.has_recursion, 0
	.set _ZN7rocprim17ROCPRIM_400000_NS6detail17trampoline_kernelINS0_14default_configENS1_22reduce_config_selectorIN6thrust23THRUST_200600_302600_NS5tupleIblNS6_9null_typeES8_S8_S8_S8_S8_S8_S8_EEEEZNS1_11reduce_implILb1ES3_NS6_12zip_iteratorINS7_INS6_11hip_rocprim26transform_input_iterator_tIbPN3c104HalfENS6_6detail10functional5actorINSJ_9compositeIJNSJ_27transparent_binary_operatorINS6_8equal_toIvEEEENSK_INSJ_8argumentILj0EEEEENSJ_5valueISG_EEEEEEEEENSD_19counting_iterator_tIlEES8_S8_S8_S8_S8_S8_S8_S8_EEEEPS9_S9_NSD_9__find_if7functorIS9_EEEE10hipError_tPvRmT1_T2_T3_mT4_P12ihipStream_tbEUlT_E0_NS1_11comp_targetILNS1_3genE3ELNS1_11target_archE908ELNS1_3gpuE7ELNS1_3repE0EEENS1_30default_config_static_selectorELNS0_4arch9wavefront6targetE1EEEvS19_.has_indirect_call, 0
	.section	.AMDGPU.csdata,"",@progbits
; Kernel info:
; codeLenInByte = 0
; TotalNumSgprs: 4
; NumVgprs: 0
; ScratchSize: 0
; MemoryBound: 0
; FloatMode: 240
; IeeeMode: 1
; LDSByteSize: 0 bytes/workgroup (compile time only)
; SGPRBlocks: 0
; VGPRBlocks: 0
; NumSGPRsForWavesPerEU: 4
; NumVGPRsForWavesPerEU: 1
; Occupancy: 10
; WaveLimiterHint : 0
; COMPUTE_PGM_RSRC2:SCRATCH_EN: 0
; COMPUTE_PGM_RSRC2:USER_SGPR: 6
; COMPUTE_PGM_RSRC2:TRAP_HANDLER: 0
; COMPUTE_PGM_RSRC2:TGID_X_EN: 1
; COMPUTE_PGM_RSRC2:TGID_Y_EN: 0
; COMPUTE_PGM_RSRC2:TGID_Z_EN: 0
; COMPUTE_PGM_RSRC2:TIDIG_COMP_CNT: 0
	.section	.text._ZN7rocprim17ROCPRIM_400000_NS6detail17trampoline_kernelINS0_14default_configENS1_22reduce_config_selectorIN6thrust23THRUST_200600_302600_NS5tupleIblNS6_9null_typeES8_S8_S8_S8_S8_S8_S8_EEEEZNS1_11reduce_implILb1ES3_NS6_12zip_iteratorINS7_INS6_11hip_rocprim26transform_input_iterator_tIbPN3c104HalfENS6_6detail10functional5actorINSJ_9compositeIJNSJ_27transparent_binary_operatorINS6_8equal_toIvEEEENSK_INSJ_8argumentILj0EEEEENSJ_5valueISG_EEEEEEEEENSD_19counting_iterator_tIlEES8_S8_S8_S8_S8_S8_S8_S8_EEEEPS9_S9_NSD_9__find_if7functorIS9_EEEE10hipError_tPvRmT1_T2_T3_mT4_P12ihipStream_tbEUlT_E0_NS1_11comp_targetILNS1_3genE2ELNS1_11target_archE906ELNS1_3gpuE6ELNS1_3repE0EEENS1_30default_config_static_selectorELNS0_4arch9wavefront6targetE1EEEvS19_,"axG",@progbits,_ZN7rocprim17ROCPRIM_400000_NS6detail17trampoline_kernelINS0_14default_configENS1_22reduce_config_selectorIN6thrust23THRUST_200600_302600_NS5tupleIblNS6_9null_typeES8_S8_S8_S8_S8_S8_S8_EEEEZNS1_11reduce_implILb1ES3_NS6_12zip_iteratorINS7_INS6_11hip_rocprim26transform_input_iterator_tIbPN3c104HalfENS6_6detail10functional5actorINSJ_9compositeIJNSJ_27transparent_binary_operatorINS6_8equal_toIvEEEENSK_INSJ_8argumentILj0EEEEENSJ_5valueISG_EEEEEEEEENSD_19counting_iterator_tIlEES8_S8_S8_S8_S8_S8_S8_S8_EEEEPS9_S9_NSD_9__find_if7functorIS9_EEEE10hipError_tPvRmT1_T2_T3_mT4_P12ihipStream_tbEUlT_E0_NS1_11comp_targetILNS1_3genE2ELNS1_11target_archE906ELNS1_3gpuE6ELNS1_3repE0EEENS1_30default_config_static_selectorELNS0_4arch9wavefront6targetE1EEEvS19_,comdat
	.protected	_ZN7rocprim17ROCPRIM_400000_NS6detail17trampoline_kernelINS0_14default_configENS1_22reduce_config_selectorIN6thrust23THRUST_200600_302600_NS5tupleIblNS6_9null_typeES8_S8_S8_S8_S8_S8_S8_EEEEZNS1_11reduce_implILb1ES3_NS6_12zip_iteratorINS7_INS6_11hip_rocprim26transform_input_iterator_tIbPN3c104HalfENS6_6detail10functional5actorINSJ_9compositeIJNSJ_27transparent_binary_operatorINS6_8equal_toIvEEEENSK_INSJ_8argumentILj0EEEEENSJ_5valueISG_EEEEEEEEENSD_19counting_iterator_tIlEES8_S8_S8_S8_S8_S8_S8_S8_EEEEPS9_S9_NSD_9__find_if7functorIS9_EEEE10hipError_tPvRmT1_T2_T3_mT4_P12ihipStream_tbEUlT_E0_NS1_11comp_targetILNS1_3genE2ELNS1_11target_archE906ELNS1_3gpuE6ELNS1_3repE0EEENS1_30default_config_static_selectorELNS0_4arch9wavefront6targetE1EEEvS19_ ; -- Begin function _ZN7rocprim17ROCPRIM_400000_NS6detail17trampoline_kernelINS0_14default_configENS1_22reduce_config_selectorIN6thrust23THRUST_200600_302600_NS5tupleIblNS6_9null_typeES8_S8_S8_S8_S8_S8_S8_EEEEZNS1_11reduce_implILb1ES3_NS6_12zip_iteratorINS7_INS6_11hip_rocprim26transform_input_iterator_tIbPN3c104HalfENS6_6detail10functional5actorINSJ_9compositeIJNSJ_27transparent_binary_operatorINS6_8equal_toIvEEEENSK_INSJ_8argumentILj0EEEEENSJ_5valueISG_EEEEEEEEENSD_19counting_iterator_tIlEES8_S8_S8_S8_S8_S8_S8_S8_EEEEPS9_S9_NSD_9__find_if7functorIS9_EEEE10hipError_tPvRmT1_T2_T3_mT4_P12ihipStream_tbEUlT_E0_NS1_11comp_targetILNS1_3genE2ELNS1_11target_archE906ELNS1_3gpuE6ELNS1_3repE0EEENS1_30default_config_static_selectorELNS0_4arch9wavefront6targetE1EEEvS19_
	.globl	_ZN7rocprim17ROCPRIM_400000_NS6detail17trampoline_kernelINS0_14default_configENS1_22reduce_config_selectorIN6thrust23THRUST_200600_302600_NS5tupleIblNS6_9null_typeES8_S8_S8_S8_S8_S8_S8_EEEEZNS1_11reduce_implILb1ES3_NS6_12zip_iteratorINS7_INS6_11hip_rocprim26transform_input_iterator_tIbPN3c104HalfENS6_6detail10functional5actorINSJ_9compositeIJNSJ_27transparent_binary_operatorINS6_8equal_toIvEEEENSK_INSJ_8argumentILj0EEEEENSJ_5valueISG_EEEEEEEEENSD_19counting_iterator_tIlEES8_S8_S8_S8_S8_S8_S8_S8_EEEEPS9_S9_NSD_9__find_if7functorIS9_EEEE10hipError_tPvRmT1_T2_T3_mT4_P12ihipStream_tbEUlT_E0_NS1_11comp_targetILNS1_3genE2ELNS1_11target_archE906ELNS1_3gpuE6ELNS1_3repE0EEENS1_30default_config_static_selectorELNS0_4arch9wavefront6targetE1EEEvS19_
	.p2align	8
	.type	_ZN7rocprim17ROCPRIM_400000_NS6detail17trampoline_kernelINS0_14default_configENS1_22reduce_config_selectorIN6thrust23THRUST_200600_302600_NS5tupleIblNS6_9null_typeES8_S8_S8_S8_S8_S8_S8_EEEEZNS1_11reduce_implILb1ES3_NS6_12zip_iteratorINS7_INS6_11hip_rocprim26transform_input_iterator_tIbPN3c104HalfENS6_6detail10functional5actorINSJ_9compositeIJNSJ_27transparent_binary_operatorINS6_8equal_toIvEEEENSK_INSJ_8argumentILj0EEEEENSJ_5valueISG_EEEEEEEEENSD_19counting_iterator_tIlEES8_S8_S8_S8_S8_S8_S8_S8_EEEEPS9_S9_NSD_9__find_if7functorIS9_EEEE10hipError_tPvRmT1_T2_T3_mT4_P12ihipStream_tbEUlT_E0_NS1_11comp_targetILNS1_3genE2ELNS1_11target_archE906ELNS1_3gpuE6ELNS1_3repE0EEENS1_30default_config_static_selectorELNS0_4arch9wavefront6targetE1EEEvS19_,@function
_ZN7rocprim17ROCPRIM_400000_NS6detail17trampoline_kernelINS0_14default_configENS1_22reduce_config_selectorIN6thrust23THRUST_200600_302600_NS5tupleIblNS6_9null_typeES8_S8_S8_S8_S8_S8_S8_EEEEZNS1_11reduce_implILb1ES3_NS6_12zip_iteratorINS7_INS6_11hip_rocprim26transform_input_iterator_tIbPN3c104HalfENS6_6detail10functional5actorINSJ_9compositeIJNSJ_27transparent_binary_operatorINS6_8equal_toIvEEEENSK_INSJ_8argumentILj0EEEEENSJ_5valueISG_EEEEEEEEENSD_19counting_iterator_tIlEES8_S8_S8_S8_S8_S8_S8_S8_EEEEPS9_S9_NSD_9__find_if7functorIS9_EEEE10hipError_tPvRmT1_T2_T3_mT4_P12ihipStream_tbEUlT_E0_NS1_11comp_targetILNS1_3genE2ELNS1_11target_archE906ELNS1_3gpuE6ELNS1_3repE0EEENS1_30default_config_static_selectorELNS0_4arch9wavefront6targetE1EEEvS19_: ; @_ZN7rocprim17ROCPRIM_400000_NS6detail17trampoline_kernelINS0_14default_configENS1_22reduce_config_selectorIN6thrust23THRUST_200600_302600_NS5tupleIblNS6_9null_typeES8_S8_S8_S8_S8_S8_S8_EEEEZNS1_11reduce_implILb1ES3_NS6_12zip_iteratorINS7_INS6_11hip_rocprim26transform_input_iterator_tIbPN3c104HalfENS6_6detail10functional5actorINSJ_9compositeIJNSJ_27transparent_binary_operatorINS6_8equal_toIvEEEENSK_INSJ_8argumentILj0EEEEENSJ_5valueISG_EEEEEEEEENSD_19counting_iterator_tIlEES8_S8_S8_S8_S8_S8_S8_S8_EEEEPS9_S9_NSD_9__find_if7functorIS9_EEEE10hipError_tPvRmT1_T2_T3_mT4_P12ihipStream_tbEUlT_E0_NS1_11comp_targetILNS1_3genE2ELNS1_11target_archE906ELNS1_3gpuE6ELNS1_3repE0EEENS1_30default_config_static_selectorELNS0_4arch9wavefront6targetE1EEEvS19_
; %bb.0:
	s_load_dword s2, s[4:5], 0x8
	s_load_dwordx8 s[12:19], s[4:5], 0x10
	s_load_dwordx2 s[0:1], s[4:5], 0x0
	s_load_dwordx4 s[20:23], s[4:5], 0x30
	s_mov_b32 s27, 0
	s_waitcnt lgkmcnt(0)
	s_lshr_b32 s28, s2, 16
	s_lshl_b64 s[2:3], s[14:15], 1
	s_add_u32 s8, s0, s2
	s_addc_u32 s9, s1, s3
	s_lshl_b32 s26, s6, 8
	s_lshr_b64 s[0:1], s[16:17], 8
	s_lshl_b64 s[2:3], s[26:27], 1
	s_add_u32 s24, s8, s2
	s_addc_u32 s25, s9, s3
	s_add_u32 s2, s12, s26
	s_addc_u32 s3, s13, 0
	s_add_u32 s14, s2, s14
	s_mov_b32 s7, s27
	s_addc_u32 s15, s3, s15
	s_cmp_lg_u64 s[0:1], s[6:7]
	v_lshlrev_b32_e32 v9, 1, v0
	v_mbcnt_lo_u32_b32 v8, -1, 0
	s_cbranch_scc0 .LBB2238_10
; %bb.1:
	global_load_ushort v1, v9, s[24:25] offset:256
	global_load_ushort v2, v9, s[24:25]
	v_mov_b32_e32 v4, s15
	v_add_co_u32_e32 v6, vcc, s14, v0
	v_addc_co_u32_e32 v4, vcc, 0, v4, vcc
	v_add_co_u32_e32 v7, vcc, 0x80, v6
	v_addc_co_u32_e32 v10, vcc, 0, v4, vcc
	v_mbcnt_hi_u32_b32 v3, -1, v8
	v_lshlrev_b32_e32 v5, 2, v3
	v_or_b32_e32 v12, 0xfc, v5
	s_waitcnt vmcnt(1)
	v_cmp_eq_f16_e32 vcc, s28, v1
	s_waitcnt vmcnt(0)
	v_cmp_eq_f16_e64 s[0:1], s28, v2
	v_cndmask_b32_e64 v2, v10, v4, s[0:1]
	v_cndmask_b32_e64 v1, v7, v6, s[0:1]
	s_or_b64 s[0:1], s[0:1], vcc
	v_mov_b32_dpp v7, v2 quad_perm:[1,0,3,2] row_mask:0xf bank_mask:0xf bound_ctrl:1
	v_mov_b32_dpp v6, v1 quad_perm:[1,0,3,2] row_mask:0xf bank_mask:0xf bound_ctrl:1
	v_cndmask_b32_e64 v4, 0, 1, s[0:1]
	v_cmp_lt_i64_e32 vcc, v[1:2], v[6:7]
	s_and_b64 vcc, s[0:1], vcc
	v_mov_b32_dpp v10, v4 quad_perm:[1,0,3,2] row_mask:0xf bank_mask:0xf bound_ctrl:1
	v_and_b32_e32 v10, 1, v10
	v_cndmask_b32_e32 v6, v6, v1, vcc
	v_cndmask_b32_e32 v7, v7, v2, vcc
	v_cmp_eq_u32_e32 vcc, 1, v10
	v_cndmask_b32_e32 v2, v2, v7, vcc
	v_cndmask_b32_e32 v1, v1, v6, vcc
	v_cndmask_b32_e64 v4, v4, 1, vcc
	v_mov_b32_dpp v7, v2 quad_perm:[2,3,0,1] row_mask:0xf bank_mask:0xf bound_ctrl:1
	v_mov_b32_dpp v6, v1 quad_perm:[2,3,0,1] row_mask:0xf bank_mask:0xf bound_ctrl:1
	v_and_b32_e32 v11, 1, v4
	v_cmp_lt_i64_e64 s[0:1], v[1:2], v[6:7]
	v_mov_b32_dpp v10, v4 quad_perm:[2,3,0,1] row_mask:0xf bank_mask:0xf bound_ctrl:1
	v_cmp_eq_u32_e32 vcc, 1, v11
	v_and_b32_e32 v10, 1, v10
	s_and_b64 vcc, vcc, s[0:1]
	v_cmp_eq_u32_e64 s[2:3], 1, v10
	v_cndmask_b32_e32 v6, v6, v1, vcc
	v_cndmask_b32_e32 v7, v7, v2, vcc
	v_cndmask_b32_e64 v1, v1, v6, s[2:3]
	v_cndmask_b32_e64 v2, v2, v7, s[2:3]
	;; [unrolled: 1-line block ×3, first 2 shown]
	v_mov_b32_dpp v6, v1 row_ror:4 row_mask:0xf bank_mask:0xf bound_ctrl:1
	v_mov_b32_dpp v7, v2 row_ror:4 row_mask:0xf bank_mask:0xf bound_ctrl:1
	v_and_b32_e32 v11, 1, v4
	v_cmp_lt_i64_e64 s[2:3], v[1:2], v[6:7]
	v_mov_b32_dpp v10, v4 row_ror:4 row_mask:0xf bank_mask:0xf bound_ctrl:1
	v_cmp_eq_u32_e32 vcc, 1, v11
	v_and_b32_e32 v10, 1, v10
	s_and_b64 vcc, vcc, s[2:3]
	v_cmp_eq_u32_e64 s[0:1], 1, v10
	v_cndmask_b32_e32 v6, v6, v1, vcc
	v_cndmask_b32_e32 v7, v7, v2, vcc
	v_cndmask_b32_e64 v1, v1, v6, s[0:1]
	v_cndmask_b32_e64 v2, v2, v7, s[0:1]
	;; [unrolled: 1-line block ×3, first 2 shown]
	v_mov_b32_dpp v6, v1 row_ror:8 row_mask:0xf bank_mask:0xf bound_ctrl:1
	v_mov_b32_dpp v7, v2 row_ror:8 row_mask:0xf bank_mask:0xf bound_ctrl:1
	v_and_b32_e32 v11, 1, v4
	v_cmp_lt_i64_e64 s[2:3], v[1:2], v[6:7]
	v_mov_b32_dpp v10, v4 row_ror:8 row_mask:0xf bank_mask:0xf bound_ctrl:1
	v_cmp_eq_u32_e64 s[8:9], 1, v11
	v_and_b32_e32 v10, 1, v10
	s_and_b64 s[2:3], s[8:9], s[2:3]
	v_cmp_eq_u32_e64 s[10:11], 1, v10
	v_cndmask_b32_e64 v6, v6, v1, s[2:3]
	v_cndmask_b32_e64 v7, v7, v2, s[2:3]
	;; [unrolled: 1-line block ×5, first 2 shown]
	v_mov_b32_dpp v10, v4 row_bcast:15 row_mask:0xf bank_mask:0xf bound_ctrl:1
	v_mov_b32_dpp v6, v1 row_bcast:15 row_mask:0xf bank_mask:0xf bound_ctrl:1
	;; [unrolled: 1-line block ×3, first 2 shown]
	v_and_b32_e32 v11, 1, v4
	v_and_b32_e32 v10, 1, v10
	v_cmp_lt_i64_e64 s[2:3], v[1:2], v[6:7]
	v_cmp_eq_u32_e32 vcc, 1, v11
	v_cmp_eq_u32_e64 s[0:1], 1, v10
	v_cndmask_b32_e64 v4, v4, 1, s[0:1]
	s_and_b64 vcc, vcc, s[2:3]
	v_cndmask_b32_e32 v6, v6, v1, vcc
	v_mov_b32_dpp v10, v4 row_bcast:31 row_mask:0xf bank_mask:0xf bound_ctrl:1
	v_cndmask_b32_e32 v7, v7, v2, vcc
	v_and_b32_e32 v11, 1, v4
	v_and_b32_e32 v10, 1, v10
	v_cndmask_b32_e64 v1, v1, v6, s[0:1]
	v_cndmask_b32_e64 v2, v2, v7, s[0:1]
	v_cmp_eq_u32_e64 s[12:13], 1, v11
	v_cmp_eq_u32_e64 s[8:9], 1, v10
	v_mov_b32_dpp v10, v1 row_bcast:31 row_mask:0xf bank_mask:0xf bound_ctrl:1
	v_mov_b32_dpp v11, v2 row_bcast:31 row_mask:0xf bank_mask:0xf bound_ctrl:1
	v_cmp_lt_i64_e32 vcc, v[1:2], v[10:11]
	v_cndmask_b32_e64 v4, v4, 1, s[8:9]
	s_and_b64 vcc, s[12:13], vcc
	ds_bpermute_b32 v7, v12, v4
	v_cndmask_b32_e32 v4, v10, v1, vcc
	v_cndmask_b32_e32 v6, v11, v2, vcc
	v_cndmask_b32_e64 v1, v1, v4, s[8:9]
	v_cndmask_b32_e64 v2, v2, v6, s[8:9]
	ds_bpermute_b32 v1, v12, v1
	ds_bpermute_b32 v2, v12, v2
	v_cmp_eq_u32_e32 vcc, 0, v3
	s_and_saveexec_b64 s[0:1], vcc
	s_cbranch_execz .LBB2238_3
; %bb.2:
	v_lshrrev_b32_e32 v4, 2, v0
	v_and_b32_e32 v4, 16, v4
	s_waitcnt lgkmcnt(2)
	ds_write_b8 v4, v7
	s_waitcnt lgkmcnt(1)
	ds_write_b64 v4, v[1:2] offset:8
.LBB2238_3:
	s_or_b64 exec, exec, s[0:1]
	v_cmp_gt_u32_e32 vcc, 64, v0
	s_waitcnt lgkmcnt(0)
	s_barrier
	s_and_saveexec_b64 s[0:1], vcc
	s_cbranch_execz .LBB2238_9
; %bb.4:
	v_and_b32_e32 v1, 1, v3
	v_lshlrev_b32_e32 v1, 4, v1
	ds_read_u8 v10, v1
	ds_read_b64 v[3:4], v1 offset:8
	v_or_b32_e32 v2, 4, v5
	s_waitcnt lgkmcnt(1)
	v_and_b32_e32 v1, 0xff, v10
	ds_bpermute_b32 v11, v2, v1
	s_waitcnt lgkmcnt(1)
	ds_bpermute_b32 v5, v2, v3
	ds_bpermute_b32 v6, v2, v4
	s_waitcnt lgkmcnt(2)
	v_and_b32_e32 v1, v10, v11
	v_and_b32_e32 v1, 1, v1
	v_cmp_eq_u32_e32 vcc, 1, v1
                                        ; implicit-def: $vgpr1_vgpr2
	s_and_saveexec_b64 s[2:3], vcc
	s_xor_b64 s[2:3], exec, s[2:3]
	s_cbranch_execz .LBB2238_6
; %bb.5:
	s_waitcnt lgkmcnt(0)
	v_cmp_lt_i64_e32 vcc, v[5:6], v[3:4]
                                        ; implicit-def: $vgpr10
                                        ; implicit-def: $vgpr11
	v_cndmask_b32_e32 v2, v4, v6, vcc
	v_cndmask_b32_e32 v1, v3, v5, vcc
                                        ; implicit-def: $vgpr5_vgpr6
                                        ; implicit-def: $vgpr3_vgpr4
.LBB2238_6:
	s_or_saveexec_b64 s[2:3], s[2:3]
	v_mov_b32_e32 v7, 1
	s_xor_b64 exec, exec, s[2:3]
	s_cbranch_execz .LBB2238_8
; %bb.7:
	v_and_b32_e32 v1, 1, v10
	v_cmp_eq_u32_e32 vcc, 1, v1
	s_waitcnt lgkmcnt(0)
	v_cndmask_b32_e32 v2, v6, v4, vcc
	v_cndmask_b32_e32 v1, v5, v3, vcc
	v_cndmask_b32_e64 v7, v11, 1, vcc
.LBB2238_8:
	s_or_b64 exec, exec, s[2:3]
.LBB2238_9:
	s_or_b64 exec, exec, s[0:1]
	s_load_dword s10, s[4:5], 0x40
	s_load_dwordx2 s[8:9], s[4:5], 0x48
	s_branch .LBB2238_62
.LBB2238_10:
                                        ; implicit-def: $vgpr1_vgpr2
                                        ; implicit-def: $vgpr7
	s_load_dword s10, s[4:5], 0x40
	s_load_dwordx2 s[8:9], s[4:5], 0x48
	s_cbranch_execz .LBB2238_62
; %bb.11:
	s_sub_i32 s11, s16, s26
	v_mov_b32_e32 v3, 0
	v_mov_b32_e32 v1, 0
	v_cmp_gt_u32_e32 vcc, s11, v0
	s_waitcnt lgkmcnt(0)
	v_mov_b32_e32 v5, 0
	v_mov_b32_e32 v4, 0
	;; [unrolled: 1-line block ×4, first 2 shown]
	s_and_saveexec_b64 s[0:1], vcc
	s_cbranch_execz .LBB2238_13
; %bb.12:
	global_load_ushort v6, v9, s[24:25]
	v_mov_b32_e32 v2, s15
	v_add_co_u32_e32 v1, vcc, s14, v0
	v_addc_co_u32_e32 v2, vcc, 0, v2, vcc
	s_waitcnt vmcnt(0)
	v_cmp_eq_f16_e32 vcc, s28, v6
	v_cndmask_b32_e64 v6, 0, 1, vcc
.LBB2238_13:
	s_or_b64 exec, exec, s[0:1]
	v_or_b32_e32 v7, 0x80, v0
	v_cmp_gt_u32_e32 vcc, s11, v7
	s_and_saveexec_b64 s[2:3], vcc
	s_cbranch_execz .LBB2238_15
; %bb.14:
	global_load_ushort v5, v9, s[24:25] offset:256
	v_mov_b32_e32 v4, s15
	v_add_co_u32_e64 v3, s[0:1], s14, v7
	v_addc_co_u32_e64 v4, s[0:1], 0, v4, s[0:1]
	s_waitcnt vmcnt(0)
	v_cmp_eq_f16_e64 s[0:1], s28, v5
	v_cndmask_b32_e64 v5, 0, 1, s[0:1]
.LBB2238_15:
	s_or_b64 exec, exec, s[2:3]
	v_and_b32_e32 v9, 0xffff, v5
	v_and_b32_e32 v5, 1, v5
	v_cmp_eq_u32_e64 s[0:1], 1, v5
	v_and_b32_e32 v5, 1, v6
	v_cmp_lt_i64_e64 s[2:3], v[3:4], v[1:2]
	v_cmp_eq_u32_e64 s[4:5], 1, v5
	v_and_b32_e32 v7, 0xffff, v6
	v_cndmask_b32_e64 v5, v9, 1, s[4:5]
	s_and_b64 s[0:1], s[0:1], s[2:3]
	v_cndmask_b32_e64 v6, v2, v4, s[0:1]
	v_cndmask_b32_e64 v9, v1, v3, s[0:1]
	v_cndmask_b32_e32 v7, v7, v5, vcc
	v_mbcnt_hi_u32_b32 v5, -1, v8
	v_cndmask_b32_e64 v3, v3, v9, s[4:5]
	v_cndmask_b32_e64 v4, v4, v6, s[4:5]
	v_and_b32_e32 v6, 63, v5
	v_cndmask_b32_e32 v2, v2, v4, vcc
	v_cndmask_b32_e32 v1, v1, v3, vcc
	v_cmp_ne_u32_e32 vcc, 63, v6
	v_addc_co_u32_e32 v3, vcc, 0, v5, vcc
	v_lshlrev_b32_e32 v4, 2, v3
	ds_bpermute_b32 v9, v4, v7
	ds_bpermute_b32 v3, v4, v1
	;; [unrolled: 1-line block ×3, first 2 shown]
	s_min_u32 s4, s11, 0x80
	v_and_b32_e32 v8, 64, v0
	v_sub_u32_e64 v8, s4, v8 clamp
	v_add_u32_e32 v10, 1, v6
	v_cmp_lt_u32_e32 vcc, v10, v8
	s_and_saveexec_b64 s[0:1], vcc
	s_cbranch_execz .LBB2238_21
; %bb.16:
	s_waitcnt lgkmcnt(2)
	v_and_b32_e32 v10, v9, v7
	v_cmp_ne_u32_e32 vcc, 0, v10
	s_and_saveexec_b64 s[2:3], vcc
	s_xor_b64 s[2:3], exec, s[2:3]
	s_cbranch_execz .LBB2238_18
; %bb.17:
	s_waitcnt lgkmcnt(0)
	v_cmp_lt_i64_e32 vcc, v[3:4], v[1:2]
                                        ; implicit-def: $vgpr7
                                        ; implicit-def: $vgpr9
	v_cndmask_b32_e32 v2, v2, v4, vcc
	v_cndmask_b32_e32 v1, v1, v3, vcc
                                        ; implicit-def: $vgpr3_vgpr4
.LBB2238_18:
	s_or_saveexec_b64 s[2:3], s[2:3]
	v_mov_b32_e32 v10, 1
	s_xor_b64 exec, exec, s[2:3]
	s_cbranch_execz .LBB2238_20
; %bb.19:
	v_and_b32_e32 v7, 1, v7
	v_cmp_eq_u32_e32 vcc, 1, v7
	s_waitcnt lgkmcnt(1)
	v_cndmask_b32_e32 v1, v3, v1, vcc
	v_and_b32_e32 v3, 0xff, v9
	s_waitcnt lgkmcnt(0)
	v_cndmask_b32_e32 v2, v4, v2, vcc
	v_cndmask_b32_e64 v10, v3, 1, vcc
.LBB2238_20:
	s_or_b64 exec, exec, s[2:3]
	v_mov_b32_e32 v7, v10
.LBB2238_21:
	s_or_b64 exec, exec, s[0:1]
	v_cmp_gt_u32_e32 vcc, 62, v6
	s_waitcnt lgkmcnt(1)
	v_cndmask_b32_e64 v3, 0, 2, vcc
	s_waitcnt lgkmcnt(0)
	v_add_lshl_u32 v4, v3, v5, 2
	ds_bpermute_b32 v9, v4, v7
	ds_bpermute_b32 v3, v4, v1
	ds_bpermute_b32 v4, v4, v2
	v_add_u32_e32 v10, 2, v6
	v_cmp_lt_u32_e32 vcc, v10, v8
	s_and_saveexec_b64 s[0:1], vcc
	s_cbranch_execz .LBB2238_27
; %bb.22:
	s_waitcnt lgkmcnt(2)
	v_and_b32_e32 v10, v7, v9
	v_and_b32_e32 v10, 1, v10
	v_cmp_eq_u32_e32 vcc, 1, v10
	s_and_saveexec_b64 s[2:3], vcc
	s_xor_b64 s[2:3], exec, s[2:3]
	s_cbranch_execz .LBB2238_24
; %bb.23:
	s_waitcnt lgkmcnt(0)
	v_cmp_lt_i64_e32 vcc, v[3:4], v[1:2]
                                        ; implicit-def: $vgpr7
                                        ; implicit-def: $vgpr9
	v_cndmask_b32_e32 v2, v2, v4, vcc
	v_cndmask_b32_e32 v1, v1, v3, vcc
                                        ; implicit-def: $vgpr3_vgpr4
.LBB2238_24:
	s_or_saveexec_b64 s[2:3], s[2:3]
	v_mov_b32_e32 v10, 1
	s_xor_b64 exec, exec, s[2:3]
	s_cbranch_execz .LBB2238_26
; %bb.25:
	v_and_b32_e32 v7, 1, v7
	v_cmp_eq_u32_e32 vcc, 1, v7
	s_waitcnt lgkmcnt(1)
	v_cndmask_b32_e32 v1, v3, v1, vcc
	v_and_b32_e32 v3, 0xff, v9
	s_waitcnt lgkmcnt(0)
	v_cndmask_b32_e32 v2, v4, v2, vcc
	v_cndmask_b32_e64 v10, v3, 1, vcc
.LBB2238_26:
	s_or_b64 exec, exec, s[2:3]
	v_mov_b32_e32 v7, v10
.LBB2238_27:
	s_or_b64 exec, exec, s[0:1]
	v_cmp_gt_u32_e32 vcc, 60, v6
	s_waitcnt lgkmcnt(1)
	v_cndmask_b32_e64 v3, 0, 4, vcc
	s_waitcnt lgkmcnt(0)
	v_add_lshl_u32 v4, v3, v5, 2
	ds_bpermute_b32 v9, v4, v7
	ds_bpermute_b32 v3, v4, v1
	ds_bpermute_b32 v4, v4, v2
	v_add_u32_e32 v10, 4, v6
	v_cmp_lt_u32_e32 vcc, v10, v8
	s_and_saveexec_b64 s[0:1], vcc
	s_cbranch_execz .LBB2238_33
; %bb.28:
	s_waitcnt lgkmcnt(2)
	v_and_b32_e32 v10, v7, v9
	v_and_b32_e32 v10, 1, v10
	v_cmp_eq_u32_e32 vcc, 1, v10
	s_and_saveexec_b64 s[2:3], vcc
	s_xor_b64 s[2:3], exec, s[2:3]
	s_cbranch_execz .LBB2238_30
; %bb.29:
	s_waitcnt lgkmcnt(0)
	v_cmp_lt_i64_e32 vcc, v[3:4], v[1:2]
                                        ; implicit-def: $vgpr7
                                        ; implicit-def: $vgpr9
	v_cndmask_b32_e32 v2, v2, v4, vcc
	v_cndmask_b32_e32 v1, v1, v3, vcc
                                        ; implicit-def: $vgpr3_vgpr4
.LBB2238_30:
	s_or_saveexec_b64 s[2:3], s[2:3]
	v_mov_b32_e32 v10, 1
	s_xor_b64 exec, exec, s[2:3]
	s_cbranch_execz .LBB2238_32
; %bb.31:
	v_and_b32_e32 v7, 1, v7
	v_cmp_eq_u32_e32 vcc, 1, v7
	s_waitcnt lgkmcnt(1)
	v_cndmask_b32_e32 v1, v3, v1, vcc
	v_and_b32_e32 v3, 0xff, v9
	s_waitcnt lgkmcnt(0)
	v_cndmask_b32_e32 v2, v4, v2, vcc
	v_cndmask_b32_e64 v10, v3, 1, vcc
.LBB2238_32:
	s_or_b64 exec, exec, s[2:3]
	v_mov_b32_e32 v7, v10
.LBB2238_33:
	;; [unrolled: 47-line block ×4, first 2 shown]
	s_or_b64 exec, exec, s[0:1]
	s_waitcnt lgkmcnt(2)
	v_lshlrev_b32_e32 v9, 2, v5
	s_waitcnt lgkmcnt(0)
	v_or_b32_e32 v4, 0x80, v9
	ds_bpermute_b32 v10, v4, v7
	ds_bpermute_b32 v3, v4, v1
	;; [unrolled: 1-line block ×3, first 2 shown]
	v_add_u32_e32 v6, 32, v6
	v_cmp_lt_u32_e32 vcc, v6, v8
	v_mov_b32_e32 v6, v7
	s_and_saveexec_b64 s[0:1], vcc
	s_cbranch_execz .LBB2238_51
; %bb.46:
	s_waitcnt lgkmcnt(2)
	v_and_b32_e32 v6, v7, v10
	v_and_b32_e32 v6, 1, v6
	v_cmp_eq_u32_e32 vcc, 1, v6
	s_and_saveexec_b64 s[2:3], vcc
	s_xor_b64 s[2:3], exec, s[2:3]
	s_cbranch_execz .LBB2238_48
; %bb.47:
	s_waitcnt lgkmcnt(0)
	v_cmp_lt_i64_e32 vcc, v[3:4], v[1:2]
                                        ; implicit-def: $vgpr7
                                        ; implicit-def: $vgpr10
	v_cndmask_b32_e32 v2, v2, v4, vcc
	v_cndmask_b32_e32 v1, v1, v3, vcc
                                        ; implicit-def: $vgpr3_vgpr4
.LBB2238_48:
	s_or_saveexec_b64 s[2:3], s[2:3]
	v_mov_b32_e32 v6, 1
	s_xor_b64 exec, exec, s[2:3]
	s_cbranch_execz .LBB2238_50
; %bb.49:
	v_and_b32_e32 v6, 1, v7
	v_cmp_eq_u32_e32 vcc, 1, v6
	v_cndmask_b32_e64 v6, v10, 1, vcc
	s_waitcnt lgkmcnt(0)
	v_cndmask_b32_e32 v2, v4, v2, vcc
	v_cndmask_b32_e32 v1, v3, v1, vcc
.LBB2238_50:
	s_or_b64 exec, exec, s[2:3]
	v_and_b32_e32 v7, 0xff, v6
.LBB2238_51:
	s_or_b64 exec, exec, s[0:1]
	v_cmp_eq_u32_e32 vcc, 0, v5
	s_and_saveexec_b64 s[0:1], vcc
	s_cbranch_execz .LBB2238_53
; %bb.52:
	s_waitcnt lgkmcnt(1)
	v_lshrrev_b32_e32 v3, 2, v0
	v_and_b32_e32 v3, 16, v3
	ds_write_b8 v3, v6 offset:32
	ds_write_b64 v3, v[1:2] offset:40
.LBB2238_53:
	s_or_b64 exec, exec, s[0:1]
	v_cmp_gt_u32_e32 vcc, 2, v0
	s_waitcnt lgkmcnt(0)
	s_barrier
	s_and_saveexec_b64 s[0:1], vcc
	s_cbranch_execz .LBB2238_61
; %bb.54:
	v_lshlrev_b32_e32 v1, 4, v5
	ds_read_u8 v6, v1 offset:32
	ds_read_b64 v[1:2], v1 offset:40
	v_or_b32_e32 v4, 4, v9
	s_add_i32 s4, s4, 63
	v_and_b32_e32 v5, 1, v5
	s_waitcnt lgkmcnt(1)
	v_and_b32_e32 v7, 0xff, v6
	s_waitcnt lgkmcnt(0)
	ds_bpermute_b32 v3, v4, v1
	ds_bpermute_b32 v8, v4, v7
	;; [unrolled: 1-line block ×3, first 2 shown]
	s_lshr_b32 s2, s4, 6
	v_add_u32_e32 v5, 1, v5
	v_cmp_gt_u32_e32 vcc, s2, v5
	s_and_saveexec_b64 s[2:3], vcc
	s_cbranch_execz .LBB2238_60
; %bb.55:
	s_waitcnt lgkmcnt(1)
	v_and_b32_e32 v5, v7, v8
	v_and_b32_e32 v5, 1, v5
	v_cmp_eq_u32_e32 vcc, 1, v5
	s_and_saveexec_b64 s[4:5], vcc
	s_xor_b64 s[4:5], exec, s[4:5]
	s_cbranch_execz .LBB2238_57
; %bb.56:
	s_waitcnt lgkmcnt(0)
	v_cmp_lt_i64_e32 vcc, v[3:4], v[1:2]
                                        ; implicit-def: $vgpr6
                                        ; implicit-def: $vgpr8
	v_cndmask_b32_e32 v2, v2, v4, vcc
	v_cndmask_b32_e32 v1, v1, v3, vcc
                                        ; implicit-def: $vgpr3_vgpr4
.LBB2238_57:
	s_or_saveexec_b64 s[4:5], s[4:5]
	v_mov_b32_e32 v7, 1
	s_xor_b64 exec, exec, s[4:5]
	s_cbranch_execz .LBB2238_59
; %bb.58:
	v_and_b32_e32 v5, 1, v6
	v_cmp_eq_u32_e32 vcc, 1, v5
	s_waitcnt lgkmcnt(0)
	v_cndmask_b32_e32 v2, v4, v2, vcc
	v_cndmask_b32_e32 v1, v3, v1, vcc
	v_cndmask_b32_e64 v7, v8, 1, vcc
.LBB2238_59:
	s_or_b64 exec, exec, s[4:5]
.LBB2238_60:
	s_or_b64 exec, exec, s[2:3]
.LBB2238_61:
	s_or_b64 exec, exec, s[0:1]
.LBB2238_62:
	v_cmp_eq_u32_e32 vcc, 0, v0
	s_and_saveexec_b64 s[0:1], vcc
	s_cbranch_execnz .LBB2238_64
; %bb.63:
	s_endpgm
.LBB2238_64:
	s_mul_i32 s0, s22, s21
	s_mul_hi_u32 s1, s22, s20
	s_add_i32 s0, s1, s0
	s_mul_i32 s1, s23, s20
	s_add_i32 s1, s0, s1
	s_mul_i32 s0, s22, s20
	s_lshl_b64 s[0:1], s[0:1], 4
	s_add_u32 s2, s18, s0
	s_addc_u32 s3, s19, s1
	s_cmp_eq_u64 s[16:17], 0
	s_waitcnt lgkmcnt(0)
	v_mov_b32_e32 v0, s9
	s_cselect_b64 vcc, -1, 0
	v_cndmask_b32_e32 v2, v2, v0, vcc
	v_mov_b32_e32 v0, s8
	s_lshl_b64 s[0:1], s[6:7], 4
	v_cndmask_b32_e32 v1, v1, v0, vcc
	v_mov_b32_e32 v0, s10
	s_add_u32 s0, s2, s0
	v_cndmask_b32_e32 v0, v7, v0, vcc
	s_addc_u32 s1, s3, s1
	v_mov_b32_e32 v3, 0
	global_store_byte v3, v0, s[0:1]
	global_store_dwordx2 v3, v[1:2], s[0:1] offset:8
	s_endpgm
	.section	.rodata,"a",@progbits
	.p2align	6, 0x0
	.amdhsa_kernel _ZN7rocprim17ROCPRIM_400000_NS6detail17trampoline_kernelINS0_14default_configENS1_22reduce_config_selectorIN6thrust23THRUST_200600_302600_NS5tupleIblNS6_9null_typeES8_S8_S8_S8_S8_S8_S8_EEEEZNS1_11reduce_implILb1ES3_NS6_12zip_iteratorINS7_INS6_11hip_rocprim26transform_input_iterator_tIbPN3c104HalfENS6_6detail10functional5actorINSJ_9compositeIJNSJ_27transparent_binary_operatorINS6_8equal_toIvEEEENSK_INSJ_8argumentILj0EEEEENSJ_5valueISG_EEEEEEEEENSD_19counting_iterator_tIlEES8_S8_S8_S8_S8_S8_S8_S8_EEEEPS9_S9_NSD_9__find_if7functorIS9_EEEE10hipError_tPvRmT1_T2_T3_mT4_P12ihipStream_tbEUlT_E0_NS1_11comp_targetILNS1_3genE2ELNS1_11target_archE906ELNS1_3gpuE6ELNS1_3repE0EEENS1_30default_config_static_selectorELNS0_4arch9wavefront6targetE1EEEvS19_
		.amdhsa_group_segment_fixed_size 64
		.amdhsa_private_segment_fixed_size 0
		.amdhsa_kernarg_size 88
		.amdhsa_user_sgpr_count 6
		.amdhsa_user_sgpr_private_segment_buffer 1
		.amdhsa_user_sgpr_dispatch_ptr 0
		.amdhsa_user_sgpr_queue_ptr 0
		.amdhsa_user_sgpr_kernarg_segment_ptr 1
		.amdhsa_user_sgpr_dispatch_id 0
		.amdhsa_user_sgpr_flat_scratch_init 0
		.amdhsa_user_sgpr_private_segment_size 0
		.amdhsa_uses_dynamic_stack 0
		.amdhsa_system_sgpr_private_segment_wavefront_offset 0
		.amdhsa_system_sgpr_workgroup_id_x 1
		.amdhsa_system_sgpr_workgroup_id_y 0
		.amdhsa_system_sgpr_workgroup_id_z 0
		.amdhsa_system_sgpr_workgroup_info 0
		.amdhsa_system_vgpr_workitem_id 0
		.amdhsa_next_free_vgpr 13
		.amdhsa_next_free_sgpr 29
		.amdhsa_reserve_vcc 1
		.amdhsa_reserve_flat_scratch 0
		.amdhsa_float_round_mode_32 0
		.amdhsa_float_round_mode_16_64 0
		.amdhsa_float_denorm_mode_32 3
		.amdhsa_float_denorm_mode_16_64 3
		.amdhsa_dx10_clamp 1
		.amdhsa_ieee_mode 1
		.amdhsa_fp16_overflow 0
		.amdhsa_exception_fp_ieee_invalid_op 0
		.amdhsa_exception_fp_denorm_src 0
		.amdhsa_exception_fp_ieee_div_zero 0
		.amdhsa_exception_fp_ieee_overflow 0
		.amdhsa_exception_fp_ieee_underflow 0
		.amdhsa_exception_fp_ieee_inexact 0
		.amdhsa_exception_int_div_zero 0
	.end_amdhsa_kernel
	.section	.text._ZN7rocprim17ROCPRIM_400000_NS6detail17trampoline_kernelINS0_14default_configENS1_22reduce_config_selectorIN6thrust23THRUST_200600_302600_NS5tupleIblNS6_9null_typeES8_S8_S8_S8_S8_S8_S8_EEEEZNS1_11reduce_implILb1ES3_NS6_12zip_iteratorINS7_INS6_11hip_rocprim26transform_input_iterator_tIbPN3c104HalfENS6_6detail10functional5actorINSJ_9compositeIJNSJ_27transparent_binary_operatorINS6_8equal_toIvEEEENSK_INSJ_8argumentILj0EEEEENSJ_5valueISG_EEEEEEEEENSD_19counting_iterator_tIlEES8_S8_S8_S8_S8_S8_S8_S8_EEEEPS9_S9_NSD_9__find_if7functorIS9_EEEE10hipError_tPvRmT1_T2_T3_mT4_P12ihipStream_tbEUlT_E0_NS1_11comp_targetILNS1_3genE2ELNS1_11target_archE906ELNS1_3gpuE6ELNS1_3repE0EEENS1_30default_config_static_selectorELNS0_4arch9wavefront6targetE1EEEvS19_,"axG",@progbits,_ZN7rocprim17ROCPRIM_400000_NS6detail17trampoline_kernelINS0_14default_configENS1_22reduce_config_selectorIN6thrust23THRUST_200600_302600_NS5tupleIblNS6_9null_typeES8_S8_S8_S8_S8_S8_S8_EEEEZNS1_11reduce_implILb1ES3_NS6_12zip_iteratorINS7_INS6_11hip_rocprim26transform_input_iterator_tIbPN3c104HalfENS6_6detail10functional5actorINSJ_9compositeIJNSJ_27transparent_binary_operatorINS6_8equal_toIvEEEENSK_INSJ_8argumentILj0EEEEENSJ_5valueISG_EEEEEEEEENSD_19counting_iterator_tIlEES8_S8_S8_S8_S8_S8_S8_S8_EEEEPS9_S9_NSD_9__find_if7functorIS9_EEEE10hipError_tPvRmT1_T2_T3_mT4_P12ihipStream_tbEUlT_E0_NS1_11comp_targetILNS1_3genE2ELNS1_11target_archE906ELNS1_3gpuE6ELNS1_3repE0EEENS1_30default_config_static_selectorELNS0_4arch9wavefront6targetE1EEEvS19_,comdat
.Lfunc_end2238:
	.size	_ZN7rocprim17ROCPRIM_400000_NS6detail17trampoline_kernelINS0_14default_configENS1_22reduce_config_selectorIN6thrust23THRUST_200600_302600_NS5tupleIblNS6_9null_typeES8_S8_S8_S8_S8_S8_S8_EEEEZNS1_11reduce_implILb1ES3_NS6_12zip_iteratorINS7_INS6_11hip_rocprim26transform_input_iterator_tIbPN3c104HalfENS6_6detail10functional5actorINSJ_9compositeIJNSJ_27transparent_binary_operatorINS6_8equal_toIvEEEENSK_INSJ_8argumentILj0EEEEENSJ_5valueISG_EEEEEEEEENSD_19counting_iterator_tIlEES8_S8_S8_S8_S8_S8_S8_S8_EEEEPS9_S9_NSD_9__find_if7functorIS9_EEEE10hipError_tPvRmT1_T2_T3_mT4_P12ihipStream_tbEUlT_E0_NS1_11comp_targetILNS1_3genE2ELNS1_11target_archE906ELNS1_3gpuE6ELNS1_3repE0EEENS1_30default_config_static_selectorELNS0_4arch9wavefront6targetE1EEEvS19_, .Lfunc_end2238-_ZN7rocprim17ROCPRIM_400000_NS6detail17trampoline_kernelINS0_14default_configENS1_22reduce_config_selectorIN6thrust23THRUST_200600_302600_NS5tupleIblNS6_9null_typeES8_S8_S8_S8_S8_S8_S8_EEEEZNS1_11reduce_implILb1ES3_NS6_12zip_iteratorINS7_INS6_11hip_rocprim26transform_input_iterator_tIbPN3c104HalfENS6_6detail10functional5actorINSJ_9compositeIJNSJ_27transparent_binary_operatorINS6_8equal_toIvEEEENSK_INSJ_8argumentILj0EEEEENSJ_5valueISG_EEEEEEEEENSD_19counting_iterator_tIlEES8_S8_S8_S8_S8_S8_S8_S8_EEEEPS9_S9_NSD_9__find_if7functorIS9_EEEE10hipError_tPvRmT1_T2_T3_mT4_P12ihipStream_tbEUlT_E0_NS1_11comp_targetILNS1_3genE2ELNS1_11target_archE906ELNS1_3gpuE6ELNS1_3repE0EEENS1_30default_config_static_selectorELNS0_4arch9wavefront6targetE1EEEvS19_
                                        ; -- End function
	.set _ZN7rocprim17ROCPRIM_400000_NS6detail17trampoline_kernelINS0_14default_configENS1_22reduce_config_selectorIN6thrust23THRUST_200600_302600_NS5tupleIblNS6_9null_typeES8_S8_S8_S8_S8_S8_S8_EEEEZNS1_11reduce_implILb1ES3_NS6_12zip_iteratorINS7_INS6_11hip_rocprim26transform_input_iterator_tIbPN3c104HalfENS6_6detail10functional5actorINSJ_9compositeIJNSJ_27transparent_binary_operatorINS6_8equal_toIvEEEENSK_INSJ_8argumentILj0EEEEENSJ_5valueISG_EEEEEEEEENSD_19counting_iterator_tIlEES8_S8_S8_S8_S8_S8_S8_S8_EEEEPS9_S9_NSD_9__find_if7functorIS9_EEEE10hipError_tPvRmT1_T2_T3_mT4_P12ihipStream_tbEUlT_E0_NS1_11comp_targetILNS1_3genE2ELNS1_11target_archE906ELNS1_3gpuE6ELNS1_3repE0EEENS1_30default_config_static_selectorELNS0_4arch9wavefront6targetE1EEEvS19_.num_vgpr, 13
	.set _ZN7rocprim17ROCPRIM_400000_NS6detail17trampoline_kernelINS0_14default_configENS1_22reduce_config_selectorIN6thrust23THRUST_200600_302600_NS5tupleIblNS6_9null_typeES8_S8_S8_S8_S8_S8_S8_EEEEZNS1_11reduce_implILb1ES3_NS6_12zip_iteratorINS7_INS6_11hip_rocprim26transform_input_iterator_tIbPN3c104HalfENS6_6detail10functional5actorINSJ_9compositeIJNSJ_27transparent_binary_operatorINS6_8equal_toIvEEEENSK_INSJ_8argumentILj0EEEEENSJ_5valueISG_EEEEEEEEENSD_19counting_iterator_tIlEES8_S8_S8_S8_S8_S8_S8_S8_EEEEPS9_S9_NSD_9__find_if7functorIS9_EEEE10hipError_tPvRmT1_T2_T3_mT4_P12ihipStream_tbEUlT_E0_NS1_11comp_targetILNS1_3genE2ELNS1_11target_archE906ELNS1_3gpuE6ELNS1_3repE0EEENS1_30default_config_static_selectorELNS0_4arch9wavefront6targetE1EEEvS19_.num_agpr, 0
	.set _ZN7rocprim17ROCPRIM_400000_NS6detail17trampoline_kernelINS0_14default_configENS1_22reduce_config_selectorIN6thrust23THRUST_200600_302600_NS5tupleIblNS6_9null_typeES8_S8_S8_S8_S8_S8_S8_EEEEZNS1_11reduce_implILb1ES3_NS6_12zip_iteratorINS7_INS6_11hip_rocprim26transform_input_iterator_tIbPN3c104HalfENS6_6detail10functional5actorINSJ_9compositeIJNSJ_27transparent_binary_operatorINS6_8equal_toIvEEEENSK_INSJ_8argumentILj0EEEEENSJ_5valueISG_EEEEEEEEENSD_19counting_iterator_tIlEES8_S8_S8_S8_S8_S8_S8_S8_EEEEPS9_S9_NSD_9__find_if7functorIS9_EEEE10hipError_tPvRmT1_T2_T3_mT4_P12ihipStream_tbEUlT_E0_NS1_11comp_targetILNS1_3genE2ELNS1_11target_archE906ELNS1_3gpuE6ELNS1_3repE0EEENS1_30default_config_static_selectorELNS0_4arch9wavefront6targetE1EEEvS19_.numbered_sgpr, 29
	.set _ZN7rocprim17ROCPRIM_400000_NS6detail17trampoline_kernelINS0_14default_configENS1_22reduce_config_selectorIN6thrust23THRUST_200600_302600_NS5tupleIblNS6_9null_typeES8_S8_S8_S8_S8_S8_S8_EEEEZNS1_11reduce_implILb1ES3_NS6_12zip_iteratorINS7_INS6_11hip_rocprim26transform_input_iterator_tIbPN3c104HalfENS6_6detail10functional5actorINSJ_9compositeIJNSJ_27transparent_binary_operatorINS6_8equal_toIvEEEENSK_INSJ_8argumentILj0EEEEENSJ_5valueISG_EEEEEEEEENSD_19counting_iterator_tIlEES8_S8_S8_S8_S8_S8_S8_S8_EEEEPS9_S9_NSD_9__find_if7functorIS9_EEEE10hipError_tPvRmT1_T2_T3_mT4_P12ihipStream_tbEUlT_E0_NS1_11comp_targetILNS1_3genE2ELNS1_11target_archE906ELNS1_3gpuE6ELNS1_3repE0EEENS1_30default_config_static_selectorELNS0_4arch9wavefront6targetE1EEEvS19_.num_named_barrier, 0
	.set _ZN7rocprim17ROCPRIM_400000_NS6detail17trampoline_kernelINS0_14default_configENS1_22reduce_config_selectorIN6thrust23THRUST_200600_302600_NS5tupleIblNS6_9null_typeES8_S8_S8_S8_S8_S8_S8_EEEEZNS1_11reduce_implILb1ES3_NS6_12zip_iteratorINS7_INS6_11hip_rocprim26transform_input_iterator_tIbPN3c104HalfENS6_6detail10functional5actorINSJ_9compositeIJNSJ_27transparent_binary_operatorINS6_8equal_toIvEEEENSK_INSJ_8argumentILj0EEEEENSJ_5valueISG_EEEEEEEEENSD_19counting_iterator_tIlEES8_S8_S8_S8_S8_S8_S8_S8_EEEEPS9_S9_NSD_9__find_if7functorIS9_EEEE10hipError_tPvRmT1_T2_T3_mT4_P12ihipStream_tbEUlT_E0_NS1_11comp_targetILNS1_3genE2ELNS1_11target_archE906ELNS1_3gpuE6ELNS1_3repE0EEENS1_30default_config_static_selectorELNS0_4arch9wavefront6targetE1EEEvS19_.private_seg_size, 0
	.set _ZN7rocprim17ROCPRIM_400000_NS6detail17trampoline_kernelINS0_14default_configENS1_22reduce_config_selectorIN6thrust23THRUST_200600_302600_NS5tupleIblNS6_9null_typeES8_S8_S8_S8_S8_S8_S8_EEEEZNS1_11reduce_implILb1ES3_NS6_12zip_iteratorINS7_INS6_11hip_rocprim26transform_input_iterator_tIbPN3c104HalfENS6_6detail10functional5actorINSJ_9compositeIJNSJ_27transparent_binary_operatorINS6_8equal_toIvEEEENSK_INSJ_8argumentILj0EEEEENSJ_5valueISG_EEEEEEEEENSD_19counting_iterator_tIlEES8_S8_S8_S8_S8_S8_S8_S8_EEEEPS9_S9_NSD_9__find_if7functorIS9_EEEE10hipError_tPvRmT1_T2_T3_mT4_P12ihipStream_tbEUlT_E0_NS1_11comp_targetILNS1_3genE2ELNS1_11target_archE906ELNS1_3gpuE6ELNS1_3repE0EEENS1_30default_config_static_selectorELNS0_4arch9wavefront6targetE1EEEvS19_.uses_vcc, 1
	.set _ZN7rocprim17ROCPRIM_400000_NS6detail17trampoline_kernelINS0_14default_configENS1_22reduce_config_selectorIN6thrust23THRUST_200600_302600_NS5tupleIblNS6_9null_typeES8_S8_S8_S8_S8_S8_S8_EEEEZNS1_11reduce_implILb1ES3_NS6_12zip_iteratorINS7_INS6_11hip_rocprim26transform_input_iterator_tIbPN3c104HalfENS6_6detail10functional5actorINSJ_9compositeIJNSJ_27transparent_binary_operatorINS6_8equal_toIvEEEENSK_INSJ_8argumentILj0EEEEENSJ_5valueISG_EEEEEEEEENSD_19counting_iterator_tIlEES8_S8_S8_S8_S8_S8_S8_S8_EEEEPS9_S9_NSD_9__find_if7functorIS9_EEEE10hipError_tPvRmT1_T2_T3_mT4_P12ihipStream_tbEUlT_E0_NS1_11comp_targetILNS1_3genE2ELNS1_11target_archE906ELNS1_3gpuE6ELNS1_3repE0EEENS1_30default_config_static_selectorELNS0_4arch9wavefront6targetE1EEEvS19_.uses_flat_scratch, 0
	.set _ZN7rocprim17ROCPRIM_400000_NS6detail17trampoline_kernelINS0_14default_configENS1_22reduce_config_selectorIN6thrust23THRUST_200600_302600_NS5tupleIblNS6_9null_typeES8_S8_S8_S8_S8_S8_S8_EEEEZNS1_11reduce_implILb1ES3_NS6_12zip_iteratorINS7_INS6_11hip_rocprim26transform_input_iterator_tIbPN3c104HalfENS6_6detail10functional5actorINSJ_9compositeIJNSJ_27transparent_binary_operatorINS6_8equal_toIvEEEENSK_INSJ_8argumentILj0EEEEENSJ_5valueISG_EEEEEEEEENSD_19counting_iterator_tIlEES8_S8_S8_S8_S8_S8_S8_S8_EEEEPS9_S9_NSD_9__find_if7functorIS9_EEEE10hipError_tPvRmT1_T2_T3_mT4_P12ihipStream_tbEUlT_E0_NS1_11comp_targetILNS1_3genE2ELNS1_11target_archE906ELNS1_3gpuE6ELNS1_3repE0EEENS1_30default_config_static_selectorELNS0_4arch9wavefront6targetE1EEEvS19_.has_dyn_sized_stack, 0
	.set _ZN7rocprim17ROCPRIM_400000_NS6detail17trampoline_kernelINS0_14default_configENS1_22reduce_config_selectorIN6thrust23THRUST_200600_302600_NS5tupleIblNS6_9null_typeES8_S8_S8_S8_S8_S8_S8_EEEEZNS1_11reduce_implILb1ES3_NS6_12zip_iteratorINS7_INS6_11hip_rocprim26transform_input_iterator_tIbPN3c104HalfENS6_6detail10functional5actorINSJ_9compositeIJNSJ_27transparent_binary_operatorINS6_8equal_toIvEEEENSK_INSJ_8argumentILj0EEEEENSJ_5valueISG_EEEEEEEEENSD_19counting_iterator_tIlEES8_S8_S8_S8_S8_S8_S8_S8_EEEEPS9_S9_NSD_9__find_if7functorIS9_EEEE10hipError_tPvRmT1_T2_T3_mT4_P12ihipStream_tbEUlT_E0_NS1_11comp_targetILNS1_3genE2ELNS1_11target_archE906ELNS1_3gpuE6ELNS1_3repE0EEENS1_30default_config_static_selectorELNS0_4arch9wavefront6targetE1EEEvS19_.has_recursion, 0
	.set _ZN7rocprim17ROCPRIM_400000_NS6detail17trampoline_kernelINS0_14default_configENS1_22reduce_config_selectorIN6thrust23THRUST_200600_302600_NS5tupleIblNS6_9null_typeES8_S8_S8_S8_S8_S8_S8_EEEEZNS1_11reduce_implILb1ES3_NS6_12zip_iteratorINS7_INS6_11hip_rocprim26transform_input_iterator_tIbPN3c104HalfENS6_6detail10functional5actorINSJ_9compositeIJNSJ_27transparent_binary_operatorINS6_8equal_toIvEEEENSK_INSJ_8argumentILj0EEEEENSJ_5valueISG_EEEEEEEEENSD_19counting_iterator_tIlEES8_S8_S8_S8_S8_S8_S8_S8_EEEEPS9_S9_NSD_9__find_if7functorIS9_EEEE10hipError_tPvRmT1_T2_T3_mT4_P12ihipStream_tbEUlT_E0_NS1_11comp_targetILNS1_3genE2ELNS1_11target_archE906ELNS1_3gpuE6ELNS1_3repE0EEENS1_30default_config_static_selectorELNS0_4arch9wavefront6targetE1EEEvS19_.has_indirect_call, 0
	.section	.AMDGPU.csdata,"",@progbits
; Kernel info:
; codeLenInByte = 2756
; TotalNumSgprs: 33
; NumVgprs: 13
; ScratchSize: 0
; MemoryBound: 0
; FloatMode: 240
; IeeeMode: 1
; LDSByteSize: 64 bytes/workgroup (compile time only)
; SGPRBlocks: 4
; VGPRBlocks: 3
; NumSGPRsForWavesPerEU: 33
; NumVGPRsForWavesPerEU: 13
; Occupancy: 10
; WaveLimiterHint : 1
; COMPUTE_PGM_RSRC2:SCRATCH_EN: 0
; COMPUTE_PGM_RSRC2:USER_SGPR: 6
; COMPUTE_PGM_RSRC2:TRAP_HANDLER: 0
; COMPUTE_PGM_RSRC2:TGID_X_EN: 1
; COMPUTE_PGM_RSRC2:TGID_Y_EN: 0
; COMPUTE_PGM_RSRC2:TGID_Z_EN: 0
; COMPUTE_PGM_RSRC2:TIDIG_COMP_CNT: 0
	.section	.text._ZN7rocprim17ROCPRIM_400000_NS6detail17trampoline_kernelINS0_14default_configENS1_22reduce_config_selectorIN6thrust23THRUST_200600_302600_NS5tupleIblNS6_9null_typeES8_S8_S8_S8_S8_S8_S8_EEEEZNS1_11reduce_implILb1ES3_NS6_12zip_iteratorINS7_INS6_11hip_rocprim26transform_input_iterator_tIbPN3c104HalfENS6_6detail10functional5actorINSJ_9compositeIJNSJ_27transparent_binary_operatorINS6_8equal_toIvEEEENSK_INSJ_8argumentILj0EEEEENSJ_5valueISG_EEEEEEEEENSD_19counting_iterator_tIlEES8_S8_S8_S8_S8_S8_S8_S8_EEEEPS9_S9_NSD_9__find_if7functorIS9_EEEE10hipError_tPvRmT1_T2_T3_mT4_P12ihipStream_tbEUlT_E0_NS1_11comp_targetILNS1_3genE10ELNS1_11target_archE1201ELNS1_3gpuE5ELNS1_3repE0EEENS1_30default_config_static_selectorELNS0_4arch9wavefront6targetE1EEEvS19_,"axG",@progbits,_ZN7rocprim17ROCPRIM_400000_NS6detail17trampoline_kernelINS0_14default_configENS1_22reduce_config_selectorIN6thrust23THRUST_200600_302600_NS5tupleIblNS6_9null_typeES8_S8_S8_S8_S8_S8_S8_EEEEZNS1_11reduce_implILb1ES3_NS6_12zip_iteratorINS7_INS6_11hip_rocprim26transform_input_iterator_tIbPN3c104HalfENS6_6detail10functional5actorINSJ_9compositeIJNSJ_27transparent_binary_operatorINS6_8equal_toIvEEEENSK_INSJ_8argumentILj0EEEEENSJ_5valueISG_EEEEEEEEENSD_19counting_iterator_tIlEES8_S8_S8_S8_S8_S8_S8_S8_EEEEPS9_S9_NSD_9__find_if7functorIS9_EEEE10hipError_tPvRmT1_T2_T3_mT4_P12ihipStream_tbEUlT_E0_NS1_11comp_targetILNS1_3genE10ELNS1_11target_archE1201ELNS1_3gpuE5ELNS1_3repE0EEENS1_30default_config_static_selectorELNS0_4arch9wavefront6targetE1EEEvS19_,comdat
	.protected	_ZN7rocprim17ROCPRIM_400000_NS6detail17trampoline_kernelINS0_14default_configENS1_22reduce_config_selectorIN6thrust23THRUST_200600_302600_NS5tupleIblNS6_9null_typeES8_S8_S8_S8_S8_S8_S8_EEEEZNS1_11reduce_implILb1ES3_NS6_12zip_iteratorINS7_INS6_11hip_rocprim26transform_input_iterator_tIbPN3c104HalfENS6_6detail10functional5actorINSJ_9compositeIJNSJ_27transparent_binary_operatorINS6_8equal_toIvEEEENSK_INSJ_8argumentILj0EEEEENSJ_5valueISG_EEEEEEEEENSD_19counting_iterator_tIlEES8_S8_S8_S8_S8_S8_S8_S8_EEEEPS9_S9_NSD_9__find_if7functorIS9_EEEE10hipError_tPvRmT1_T2_T3_mT4_P12ihipStream_tbEUlT_E0_NS1_11comp_targetILNS1_3genE10ELNS1_11target_archE1201ELNS1_3gpuE5ELNS1_3repE0EEENS1_30default_config_static_selectorELNS0_4arch9wavefront6targetE1EEEvS19_ ; -- Begin function _ZN7rocprim17ROCPRIM_400000_NS6detail17trampoline_kernelINS0_14default_configENS1_22reduce_config_selectorIN6thrust23THRUST_200600_302600_NS5tupleIblNS6_9null_typeES8_S8_S8_S8_S8_S8_S8_EEEEZNS1_11reduce_implILb1ES3_NS6_12zip_iteratorINS7_INS6_11hip_rocprim26transform_input_iterator_tIbPN3c104HalfENS6_6detail10functional5actorINSJ_9compositeIJNSJ_27transparent_binary_operatorINS6_8equal_toIvEEEENSK_INSJ_8argumentILj0EEEEENSJ_5valueISG_EEEEEEEEENSD_19counting_iterator_tIlEES8_S8_S8_S8_S8_S8_S8_S8_EEEEPS9_S9_NSD_9__find_if7functorIS9_EEEE10hipError_tPvRmT1_T2_T3_mT4_P12ihipStream_tbEUlT_E0_NS1_11comp_targetILNS1_3genE10ELNS1_11target_archE1201ELNS1_3gpuE5ELNS1_3repE0EEENS1_30default_config_static_selectorELNS0_4arch9wavefront6targetE1EEEvS19_
	.globl	_ZN7rocprim17ROCPRIM_400000_NS6detail17trampoline_kernelINS0_14default_configENS1_22reduce_config_selectorIN6thrust23THRUST_200600_302600_NS5tupleIblNS6_9null_typeES8_S8_S8_S8_S8_S8_S8_EEEEZNS1_11reduce_implILb1ES3_NS6_12zip_iteratorINS7_INS6_11hip_rocprim26transform_input_iterator_tIbPN3c104HalfENS6_6detail10functional5actorINSJ_9compositeIJNSJ_27transparent_binary_operatorINS6_8equal_toIvEEEENSK_INSJ_8argumentILj0EEEEENSJ_5valueISG_EEEEEEEEENSD_19counting_iterator_tIlEES8_S8_S8_S8_S8_S8_S8_S8_EEEEPS9_S9_NSD_9__find_if7functorIS9_EEEE10hipError_tPvRmT1_T2_T3_mT4_P12ihipStream_tbEUlT_E0_NS1_11comp_targetILNS1_3genE10ELNS1_11target_archE1201ELNS1_3gpuE5ELNS1_3repE0EEENS1_30default_config_static_selectorELNS0_4arch9wavefront6targetE1EEEvS19_
	.p2align	8
	.type	_ZN7rocprim17ROCPRIM_400000_NS6detail17trampoline_kernelINS0_14default_configENS1_22reduce_config_selectorIN6thrust23THRUST_200600_302600_NS5tupleIblNS6_9null_typeES8_S8_S8_S8_S8_S8_S8_EEEEZNS1_11reduce_implILb1ES3_NS6_12zip_iteratorINS7_INS6_11hip_rocprim26transform_input_iterator_tIbPN3c104HalfENS6_6detail10functional5actorINSJ_9compositeIJNSJ_27transparent_binary_operatorINS6_8equal_toIvEEEENSK_INSJ_8argumentILj0EEEEENSJ_5valueISG_EEEEEEEEENSD_19counting_iterator_tIlEES8_S8_S8_S8_S8_S8_S8_S8_EEEEPS9_S9_NSD_9__find_if7functorIS9_EEEE10hipError_tPvRmT1_T2_T3_mT4_P12ihipStream_tbEUlT_E0_NS1_11comp_targetILNS1_3genE10ELNS1_11target_archE1201ELNS1_3gpuE5ELNS1_3repE0EEENS1_30default_config_static_selectorELNS0_4arch9wavefront6targetE1EEEvS19_,@function
_ZN7rocprim17ROCPRIM_400000_NS6detail17trampoline_kernelINS0_14default_configENS1_22reduce_config_selectorIN6thrust23THRUST_200600_302600_NS5tupleIblNS6_9null_typeES8_S8_S8_S8_S8_S8_S8_EEEEZNS1_11reduce_implILb1ES3_NS6_12zip_iteratorINS7_INS6_11hip_rocprim26transform_input_iterator_tIbPN3c104HalfENS6_6detail10functional5actorINSJ_9compositeIJNSJ_27transparent_binary_operatorINS6_8equal_toIvEEEENSK_INSJ_8argumentILj0EEEEENSJ_5valueISG_EEEEEEEEENSD_19counting_iterator_tIlEES8_S8_S8_S8_S8_S8_S8_S8_EEEEPS9_S9_NSD_9__find_if7functorIS9_EEEE10hipError_tPvRmT1_T2_T3_mT4_P12ihipStream_tbEUlT_E0_NS1_11comp_targetILNS1_3genE10ELNS1_11target_archE1201ELNS1_3gpuE5ELNS1_3repE0EEENS1_30default_config_static_selectorELNS0_4arch9wavefront6targetE1EEEvS19_: ; @_ZN7rocprim17ROCPRIM_400000_NS6detail17trampoline_kernelINS0_14default_configENS1_22reduce_config_selectorIN6thrust23THRUST_200600_302600_NS5tupleIblNS6_9null_typeES8_S8_S8_S8_S8_S8_S8_EEEEZNS1_11reduce_implILb1ES3_NS6_12zip_iteratorINS7_INS6_11hip_rocprim26transform_input_iterator_tIbPN3c104HalfENS6_6detail10functional5actorINSJ_9compositeIJNSJ_27transparent_binary_operatorINS6_8equal_toIvEEEENSK_INSJ_8argumentILj0EEEEENSJ_5valueISG_EEEEEEEEENSD_19counting_iterator_tIlEES8_S8_S8_S8_S8_S8_S8_S8_EEEEPS9_S9_NSD_9__find_if7functorIS9_EEEE10hipError_tPvRmT1_T2_T3_mT4_P12ihipStream_tbEUlT_E0_NS1_11comp_targetILNS1_3genE10ELNS1_11target_archE1201ELNS1_3gpuE5ELNS1_3repE0EEENS1_30default_config_static_selectorELNS0_4arch9wavefront6targetE1EEEvS19_
; %bb.0:
	.section	.rodata,"a",@progbits
	.p2align	6, 0x0
	.amdhsa_kernel _ZN7rocprim17ROCPRIM_400000_NS6detail17trampoline_kernelINS0_14default_configENS1_22reduce_config_selectorIN6thrust23THRUST_200600_302600_NS5tupleIblNS6_9null_typeES8_S8_S8_S8_S8_S8_S8_EEEEZNS1_11reduce_implILb1ES3_NS6_12zip_iteratorINS7_INS6_11hip_rocprim26transform_input_iterator_tIbPN3c104HalfENS6_6detail10functional5actorINSJ_9compositeIJNSJ_27transparent_binary_operatorINS6_8equal_toIvEEEENSK_INSJ_8argumentILj0EEEEENSJ_5valueISG_EEEEEEEEENSD_19counting_iterator_tIlEES8_S8_S8_S8_S8_S8_S8_S8_EEEEPS9_S9_NSD_9__find_if7functorIS9_EEEE10hipError_tPvRmT1_T2_T3_mT4_P12ihipStream_tbEUlT_E0_NS1_11comp_targetILNS1_3genE10ELNS1_11target_archE1201ELNS1_3gpuE5ELNS1_3repE0EEENS1_30default_config_static_selectorELNS0_4arch9wavefront6targetE1EEEvS19_
		.amdhsa_group_segment_fixed_size 0
		.amdhsa_private_segment_fixed_size 0
		.amdhsa_kernarg_size 88
		.amdhsa_user_sgpr_count 6
		.amdhsa_user_sgpr_private_segment_buffer 1
		.amdhsa_user_sgpr_dispatch_ptr 0
		.amdhsa_user_sgpr_queue_ptr 0
		.amdhsa_user_sgpr_kernarg_segment_ptr 1
		.amdhsa_user_sgpr_dispatch_id 0
		.amdhsa_user_sgpr_flat_scratch_init 0
		.amdhsa_user_sgpr_private_segment_size 0
		.amdhsa_uses_dynamic_stack 0
		.amdhsa_system_sgpr_private_segment_wavefront_offset 0
		.amdhsa_system_sgpr_workgroup_id_x 1
		.amdhsa_system_sgpr_workgroup_id_y 0
		.amdhsa_system_sgpr_workgroup_id_z 0
		.amdhsa_system_sgpr_workgroup_info 0
		.amdhsa_system_vgpr_workitem_id 0
		.amdhsa_next_free_vgpr 1
		.amdhsa_next_free_sgpr 0
		.amdhsa_reserve_vcc 0
		.amdhsa_reserve_flat_scratch 0
		.amdhsa_float_round_mode_32 0
		.amdhsa_float_round_mode_16_64 0
		.amdhsa_float_denorm_mode_32 3
		.amdhsa_float_denorm_mode_16_64 3
		.amdhsa_dx10_clamp 1
		.amdhsa_ieee_mode 1
		.amdhsa_fp16_overflow 0
		.amdhsa_exception_fp_ieee_invalid_op 0
		.amdhsa_exception_fp_denorm_src 0
		.amdhsa_exception_fp_ieee_div_zero 0
		.amdhsa_exception_fp_ieee_overflow 0
		.amdhsa_exception_fp_ieee_underflow 0
		.amdhsa_exception_fp_ieee_inexact 0
		.amdhsa_exception_int_div_zero 0
	.end_amdhsa_kernel
	.section	.text._ZN7rocprim17ROCPRIM_400000_NS6detail17trampoline_kernelINS0_14default_configENS1_22reduce_config_selectorIN6thrust23THRUST_200600_302600_NS5tupleIblNS6_9null_typeES8_S8_S8_S8_S8_S8_S8_EEEEZNS1_11reduce_implILb1ES3_NS6_12zip_iteratorINS7_INS6_11hip_rocprim26transform_input_iterator_tIbPN3c104HalfENS6_6detail10functional5actorINSJ_9compositeIJNSJ_27transparent_binary_operatorINS6_8equal_toIvEEEENSK_INSJ_8argumentILj0EEEEENSJ_5valueISG_EEEEEEEEENSD_19counting_iterator_tIlEES8_S8_S8_S8_S8_S8_S8_S8_EEEEPS9_S9_NSD_9__find_if7functorIS9_EEEE10hipError_tPvRmT1_T2_T3_mT4_P12ihipStream_tbEUlT_E0_NS1_11comp_targetILNS1_3genE10ELNS1_11target_archE1201ELNS1_3gpuE5ELNS1_3repE0EEENS1_30default_config_static_selectorELNS0_4arch9wavefront6targetE1EEEvS19_,"axG",@progbits,_ZN7rocprim17ROCPRIM_400000_NS6detail17trampoline_kernelINS0_14default_configENS1_22reduce_config_selectorIN6thrust23THRUST_200600_302600_NS5tupleIblNS6_9null_typeES8_S8_S8_S8_S8_S8_S8_EEEEZNS1_11reduce_implILb1ES3_NS6_12zip_iteratorINS7_INS6_11hip_rocprim26transform_input_iterator_tIbPN3c104HalfENS6_6detail10functional5actorINSJ_9compositeIJNSJ_27transparent_binary_operatorINS6_8equal_toIvEEEENSK_INSJ_8argumentILj0EEEEENSJ_5valueISG_EEEEEEEEENSD_19counting_iterator_tIlEES8_S8_S8_S8_S8_S8_S8_S8_EEEEPS9_S9_NSD_9__find_if7functorIS9_EEEE10hipError_tPvRmT1_T2_T3_mT4_P12ihipStream_tbEUlT_E0_NS1_11comp_targetILNS1_3genE10ELNS1_11target_archE1201ELNS1_3gpuE5ELNS1_3repE0EEENS1_30default_config_static_selectorELNS0_4arch9wavefront6targetE1EEEvS19_,comdat
.Lfunc_end2239:
	.size	_ZN7rocprim17ROCPRIM_400000_NS6detail17trampoline_kernelINS0_14default_configENS1_22reduce_config_selectorIN6thrust23THRUST_200600_302600_NS5tupleIblNS6_9null_typeES8_S8_S8_S8_S8_S8_S8_EEEEZNS1_11reduce_implILb1ES3_NS6_12zip_iteratorINS7_INS6_11hip_rocprim26transform_input_iterator_tIbPN3c104HalfENS6_6detail10functional5actorINSJ_9compositeIJNSJ_27transparent_binary_operatorINS6_8equal_toIvEEEENSK_INSJ_8argumentILj0EEEEENSJ_5valueISG_EEEEEEEEENSD_19counting_iterator_tIlEES8_S8_S8_S8_S8_S8_S8_S8_EEEEPS9_S9_NSD_9__find_if7functorIS9_EEEE10hipError_tPvRmT1_T2_T3_mT4_P12ihipStream_tbEUlT_E0_NS1_11comp_targetILNS1_3genE10ELNS1_11target_archE1201ELNS1_3gpuE5ELNS1_3repE0EEENS1_30default_config_static_selectorELNS0_4arch9wavefront6targetE1EEEvS19_, .Lfunc_end2239-_ZN7rocprim17ROCPRIM_400000_NS6detail17trampoline_kernelINS0_14default_configENS1_22reduce_config_selectorIN6thrust23THRUST_200600_302600_NS5tupleIblNS6_9null_typeES8_S8_S8_S8_S8_S8_S8_EEEEZNS1_11reduce_implILb1ES3_NS6_12zip_iteratorINS7_INS6_11hip_rocprim26transform_input_iterator_tIbPN3c104HalfENS6_6detail10functional5actorINSJ_9compositeIJNSJ_27transparent_binary_operatorINS6_8equal_toIvEEEENSK_INSJ_8argumentILj0EEEEENSJ_5valueISG_EEEEEEEEENSD_19counting_iterator_tIlEES8_S8_S8_S8_S8_S8_S8_S8_EEEEPS9_S9_NSD_9__find_if7functorIS9_EEEE10hipError_tPvRmT1_T2_T3_mT4_P12ihipStream_tbEUlT_E0_NS1_11comp_targetILNS1_3genE10ELNS1_11target_archE1201ELNS1_3gpuE5ELNS1_3repE0EEENS1_30default_config_static_selectorELNS0_4arch9wavefront6targetE1EEEvS19_
                                        ; -- End function
	.set _ZN7rocprim17ROCPRIM_400000_NS6detail17trampoline_kernelINS0_14default_configENS1_22reduce_config_selectorIN6thrust23THRUST_200600_302600_NS5tupleIblNS6_9null_typeES8_S8_S8_S8_S8_S8_S8_EEEEZNS1_11reduce_implILb1ES3_NS6_12zip_iteratorINS7_INS6_11hip_rocprim26transform_input_iterator_tIbPN3c104HalfENS6_6detail10functional5actorINSJ_9compositeIJNSJ_27transparent_binary_operatorINS6_8equal_toIvEEEENSK_INSJ_8argumentILj0EEEEENSJ_5valueISG_EEEEEEEEENSD_19counting_iterator_tIlEES8_S8_S8_S8_S8_S8_S8_S8_EEEEPS9_S9_NSD_9__find_if7functorIS9_EEEE10hipError_tPvRmT1_T2_T3_mT4_P12ihipStream_tbEUlT_E0_NS1_11comp_targetILNS1_3genE10ELNS1_11target_archE1201ELNS1_3gpuE5ELNS1_3repE0EEENS1_30default_config_static_selectorELNS0_4arch9wavefront6targetE1EEEvS19_.num_vgpr, 0
	.set _ZN7rocprim17ROCPRIM_400000_NS6detail17trampoline_kernelINS0_14default_configENS1_22reduce_config_selectorIN6thrust23THRUST_200600_302600_NS5tupleIblNS6_9null_typeES8_S8_S8_S8_S8_S8_S8_EEEEZNS1_11reduce_implILb1ES3_NS6_12zip_iteratorINS7_INS6_11hip_rocprim26transform_input_iterator_tIbPN3c104HalfENS6_6detail10functional5actorINSJ_9compositeIJNSJ_27transparent_binary_operatorINS6_8equal_toIvEEEENSK_INSJ_8argumentILj0EEEEENSJ_5valueISG_EEEEEEEEENSD_19counting_iterator_tIlEES8_S8_S8_S8_S8_S8_S8_S8_EEEEPS9_S9_NSD_9__find_if7functorIS9_EEEE10hipError_tPvRmT1_T2_T3_mT4_P12ihipStream_tbEUlT_E0_NS1_11comp_targetILNS1_3genE10ELNS1_11target_archE1201ELNS1_3gpuE5ELNS1_3repE0EEENS1_30default_config_static_selectorELNS0_4arch9wavefront6targetE1EEEvS19_.num_agpr, 0
	.set _ZN7rocprim17ROCPRIM_400000_NS6detail17trampoline_kernelINS0_14default_configENS1_22reduce_config_selectorIN6thrust23THRUST_200600_302600_NS5tupleIblNS6_9null_typeES8_S8_S8_S8_S8_S8_S8_EEEEZNS1_11reduce_implILb1ES3_NS6_12zip_iteratorINS7_INS6_11hip_rocprim26transform_input_iterator_tIbPN3c104HalfENS6_6detail10functional5actorINSJ_9compositeIJNSJ_27transparent_binary_operatorINS6_8equal_toIvEEEENSK_INSJ_8argumentILj0EEEEENSJ_5valueISG_EEEEEEEEENSD_19counting_iterator_tIlEES8_S8_S8_S8_S8_S8_S8_S8_EEEEPS9_S9_NSD_9__find_if7functorIS9_EEEE10hipError_tPvRmT1_T2_T3_mT4_P12ihipStream_tbEUlT_E0_NS1_11comp_targetILNS1_3genE10ELNS1_11target_archE1201ELNS1_3gpuE5ELNS1_3repE0EEENS1_30default_config_static_selectorELNS0_4arch9wavefront6targetE1EEEvS19_.numbered_sgpr, 0
	.set _ZN7rocprim17ROCPRIM_400000_NS6detail17trampoline_kernelINS0_14default_configENS1_22reduce_config_selectorIN6thrust23THRUST_200600_302600_NS5tupleIblNS6_9null_typeES8_S8_S8_S8_S8_S8_S8_EEEEZNS1_11reduce_implILb1ES3_NS6_12zip_iteratorINS7_INS6_11hip_rocprim26transform_input_iterator_tIbPN3c104HalfENS6_6detail10functional5actorINSJ_9compositeIJNSJ_27transparent_binary_operatorINS6_8equal_toIvEEEENSK_INSJ_8argumentILj0EEEEENSJ_5valueISG_EEEEEEEEENSD_19counting_iterator_tIlEES8_S8_S8_S8_S8_S8_S8_S8_EEEEPS9_S9_NSD_9__find_if7functorIS9_EEEE10hipError_tPvRmT1_T2_T3_mT4_P12ihipStream_tbEUlT_E0_NS1_11comp_targetILNS1_3genE10ELNS1_11target_archE1201ELNS1_3gpuE5ELNS1_3repE0EEENS1_30default_config_static_selectorELNS0_4arch9wavefront6targetE1EEEvS19_.num_named_barrier, 0
	.set _ZN7rocprim17ROCPRIM_400000_NS6detail17trampoline_kernelINS0_14default_configENS1_22reduce_config_selectorIN6thrust23THRUST_200600_302600_NS5tupleIblNS6_9null_typeES8_S8_S8_S8_S8_S8_S8_EEEEZNS1_11reduce_implILb1ES3_NS6_12zip_iteratorINS7_INS6_11hip_rocprim26transform_input_iterator_tIbPN3c104HalfENS6_6detail10functional5actorINSJ_9compositeIJNSJ_27transparent_binary_operatorINS6_8equal_toIvEEEENSK_INSJ_8argumentILj0EEEEENSJ_5valueISG_EEEEEEEEENSD_19counting_iterator_tIlEES8_S8_S8_S8_S8_S8_S8_S8_EEEEPS9_S9_NSD_9__find_if7functorIS9_EEEE10hipError_tPvRmT1_T2_T3_mT4_P12ihipStream_tbEUlT_E0_NS1_11comp_targetILNS1_3genE10ELNS1_11target_archE1201ELNS1_3gpuE5ELNS1_3repE0EEENS1_30default_config_static_selectorELNS0_4arch9wavefront6targetE1EEEvS19_.private_seg_size, 0
	.set _ZN7rocprim17ROCPRIM_400000_NS6detail17trampoline_kernelINS0_14default_configENS1_22reduce_config_selectorIN6thrust23THRUST_200600_302600_NS5tupleIblNS6_9null_typeES8_S8_S8_S8_S8_S8_S8_EEEEZNS1_11reduce_implILb1ES3_NS6_12zip_iteratorINS7_INS6_11hip_rocprim26transform_input_iterator_tIbPN3c104HalfENS6_6detail10functional5actorINSJ_9compositeIJNSJ_27transparent_binary_operatorINS6_8equal_toIvEEEENSK_INSJ_8argumentILj0EEEEENSJ_5valueISG_EEEEEEEEENSD_19counting_iterator_tIlEES8_S8_S8_S8_S8_S8_S8_S8_EEEEPS9_S9_NSD_9__find_if7functorIS9_EEEE10hipError_tPvRmT1_T2_T3_mT4_P12ihipStream_tbEUlT_E0_NS1_11comp_targetILNS1_3genE10ELNS1_11target_archE1201ELNS1_3gpuE5ELNS1_3repE0EEENS1_30default_config_static_selectorELNS0_4arch9wavefront6targetE1EEEvS19_.uses_vcc, 0
	.set _ZN7rocprim17ROCPRIM_400000_NS6detail17trampoline_kernelINS0_14default_configENS1_22reduce_config_selectorIN6thrust23THRUST_200600_302600_NS5tupleIblNS6_9null_typeES8_S8_S8_S8_S8_S8_S8_EEEEZNS1_11reduce_implILb1ES3_NS6_12zip_iteratorINS7_INS6_11hip_rocprim26transform_input_iterator_tIbPN3c104HalfENS6_6detail10functional5actorINSJ_9compositeIJNSJ_27transparent_binary_operatorINS6_8equal_toIvEEEENSK_INSJ_8argumentILj0EEEEENSJ_5valueISG_EEEEEEEEENSD_19counting_iterator_tIlEES8_S8_S8_S8_S8_S8_S8_S8_EEEEPS9_S9_NSD_9__find_if7functorIS9_EEEE10hipError_tPvRmT1_T2_T3_mT4_P12ihipStream_tbEUlT_E0_NS1_11comp_targetILNS1_3genE10ELNS1_11target_archE1201ELNS1_3gpuE5ELNS1_3repE0EEENS1_30default_config_static_selectorELNS0_4arch9wavefront6targetE1EEEvS19_.uses_flat_scratch, 0
	.set _ZN7rocprim17ROCPRIM_400000_NS6detail17trampoline_kernelINS0_14default_configENS1_22reduce_config_selectorIN6thrust23THRUST_200600_302600_NS5tupleIblNS6_9null_typeES8_S8_S8_S8_S8_S8_S8_EEEEZNS1_11reduce_implILb1ES3_NS6_12zip_iteratorINS7_INS6_11hip_rocprim26transform_input_iterator_tIbPN3c104HalfENS6_6detail10functional5actorINSJ_9compositeIJNSJ_27transparent_binary_operatorINS6_8equal_toIvEEEENSK_INSJ_8argumentILj0EEEEENSJ_5valueISG_EEEEEEEEENSD_19counting_iterator_tIlEES8_S8_S8_S8_S8_S8_S8_S8_EEEEPS9_S9_NSD_9__find_if7functorIS9_EEEE10hipError_tPvRmT1_T2_T3_mT4_P12ihipStream_tbEUlT_E0_NS1_11comp_targetILNS1_3genE10ELNS1_11target_archE1201ELNS1_3gpuE5ELNS1_3repE0EEENS1_30default_config_static_selectorELNS0_4arch9wavefront6targetE1EEEvS19_.has_dyn_sized_stack, 0
	.set _ZN7rocprim17ROCPRIM_400000_NS6detail17trampoline_kernelINS0_14default_configENS1_22reduce_config_selectorIN6thrust23THRUST_200600_302600_NS5tupleIblNS6_9null_typeES8_S8_S8_S8_S8_S8_S8_EEEEZNS1_11reduce_implILb1ES3_NS6_12zip_iteratorINS7_INS6_11hip_rocprim26transform_input_iterator_tIbPN3c104HalfENS6_6detail10functional5actorINSJ_9compositeIJNSJ_27transparent_binary_operatorINS6_8equal_toIvEEEENSK_INSJ_8argumentILj0EEEEENSJ_5valueISG_EEEEEEEEENSD_19counting_iterator_tIlEES8_S8_S8_S8_S8_S8_S8_S8_EEEEPS9_S9_NSD_9__find_if7functorIS9_EEEE10hipError_tPvRmT1_T2_T3_mT4_P12ihipStream_tbEUlT_E0_NS1_11comp_targetILNS1_3genE10ELNS1_11target_archE1201ELNS1_3gpuE5ELNS1_3repE0EEENS1_30default_config_static_selectorELNS0_4arch9wavefront6targetE1EEEvS19_.has_recursion, 0
	.set _ZN7rocprim17ROCPRIM_400000_NS6detail17trampoline_kernelINS0_14default_configENS1_22reduce_config_selectorIN6thrust23THRUST_200600_302600_NS5tupleIblNS6_9null_typeES8_S8_S8_S8_S8_S8_S8_EEEEZNS1_11reduce_implILb1ES3_NS6_12zip_iteratorINS7_INS6_11hip_rocprim26transform_input_iterator_tIbPN3c104HalfENS6_6detail10functional5actorINSJ_9compositeIJNSJ_27transparent_binary_operatorINS6_8equal_toIvEEEENSK_INSJ_8argumentILj0EEEEENSJ_5valueISG_EEEEEEEEENSD_19counting_iterator_tIlEES8_S8_S8_S8_S8_S8_S8_S8_EEEEPS9_S9_NSD_9__find_if7functorIS9_EEEE10hipError_tPvRmT1_T2_T3_mT4_P12ihipStream_tbEUlT_E0_NS1_11comp_targetILNS1_3genE10ELNS1_11target_archE1201ELNS1_3gpuE5ELNS1_3repE0EEENS1_30default_config_static_selectorELNS0_4arch9wavefront6targetE1EEEvS19_.has_indirect_call, 0
	.section	.AMDGPU.csdata,"",@progbits
; Kernel info:
; codeLenInByte = 0
; TotalNumSgprs: 4
; NumVgprs: 0
; ScratchSize: 0
; MemoryBound: 0
; FloatMode: 240
; IeeeMode: 1
; LDSByteSize: 0 bytes/workgroup (compile time only)
; SGPRBlocks: 0
; VGPRBlocks: 0
; NumSGPRsForWavesPerEU: 4
; NumVGPRsForWavesPerEU: 1
; Occupancy: 10
; WaveLimiterHint : 0
; COMPUTE_PGM_RSRC2:SCRATCH_EN: 0
; COMPUTE_PGM_RSRC2:USER_SGPR: 6
; COMPUTE_PGM_RSRC2:TRAP_HANDLER: 0
; COMPUTE_PGM_RSRC2:TGID_X_EN: 1
; COMPUTE_PGM_RSRC2:TGID_Y_EN: 0
; COMPUTE_PGM_RSRC2:TGID_Z_EN: 0
; COMPUTE_PGM_RSRC2:TIDIG_COMP_CNT: 0
	.section	.text._ZN7rocprim17ROCPRIM_400000_NS6detail17trampoline_kernelINS0_14default_configENS1_22reduce_config_selectorIN6thrust23THRUST_200600_302600_NS5tupleIblNS6_9null_typeES8_S8_S8_S8_S8_S8_S8_EEEEZNS1_11reduce_implILb1ES3_NS6_12zip_iteratorINS7_INS6_11hip_rocprim26transform_input_iterator_tIbPN3c104HalfENS6_6detail10functional5actorINSJ_9compositeIJNSJ_27transparent_binary_operatorINS6_8equal_toIvEEEENSK_INSJ_8argumentILj0EEEEENSJ_5valueISG_EEEEEEEEENSD_19counting_iterator_tIlEES8_S8_S8_S8_S8_S8_S8_S8_EEEEPS9_S9_NSD_9__find_if7functorIS9_EEEE10hipError_tPvRmT1_T2_T3_mT4_P12ihipStream_tbEUlT_E0_NS1_11comp_targetILNS1_3genE10ELNS1_11target_archE1200ELNS1_3gpuE4ELNS1_3repE0EEENS1_30default_config_static_selectorELNS0_4arch9wavefront6targetE1EEEvS19_,"axG",@progbits,_ZN7rocprim17ROCPRIM_400000_NS6detail17trampoline_kernelINS0_14default_configENS1_22reduce_config_selectorIN6thrust23THRUST_200600_302600_NS5tupleIblNS6_9null_typeES8_S8_S8_S8_S8_S8_S8_EEEEZNS1_11reduce_implILb1ES3_NS6_12zip_iteratorINS7_INS6_11hip_rocprim26transform_input_iterator_tIbPN3c104HalfENS6_6detail10functional5actorINSJ_9compositeIJNSJ_27transparent_binary_operatorINS6_8equal_toIvEEEENSK_INSJ_8argumentILj0EEEEENSJ_5valueISG_EEEEEEEEENSD_19counting_iterator_tIlEES8_S8_S8_S8_S8_S8_S8_S8_EEEEPS9_S9_NSD_9__find_if7functorIS9_EEEE10hipError_tPvRmT1_T2_T3_mT4_P12ihipStream_tbEUlT_E0_NS1_11comp_targetILNS1_3genE10ELNS1_11target_archE1200ELNS1_3gpuE4ELNS1_3repE0EEENS1_30default_config_static_selectorELNS0_4arch9wavefront6targetE1EEEvS19_,comdat
	.protected	_ZN7rocprim17ROCPRIM_400000_NS6detail17trampoline_kernelINS0_14default_configENS1_22reduce_config_selectorIN6thrust23THRUST_200600_302600_NS5tupleIblNS6_9null_typeES8_S8_S8_S8_S8_S8_S8_EEEEZNS1_11reduce_implILb1ES3_NS6_12zip_iteratorINS7_INS6_11hip_rocprim26transform_input_iterator_tIbPN3c104HalfENS6_6detail10functional5actorINSJ_9compositeIJNSJ_27transparent_binary_operatorINS6_8equal_toIvEEEENSK_INSJ_8argumentILj0EEEEENSJ_5valueISG_EEEEEEEEENSD_19counting_iterator_tIlEES8_S8_S8_S8_S8_S8_S8_S8_EEEEPS9_S9_NSD_9__find_if7functorIS9_EEEE10hipError_tPvRmT1_T2_T3_mT4_P12ihipStream_tbEUlT_E0_NS1_11comp_targetILNS1_3genE10ELNS1_11target_archE1200ELNS1_3gpuE4ELNS1_3repE0EEENS1_30default_config_static_selectorELNS0_4arch9wavefront6targetE1EEEvS19_ ; -- Begin function _ZN7rocprim17ROCPRIM_400000_NS6detail17trampoline_kernelINS0_14default_configENS1_22reduce_config_selectorIN6thrust23THRUST_200600_302600_NS5tupleIblNS6_9null_typeES8_S8_S8_S8_S8_S8_S8_EEEEZNS1_11reduce_implILb1ES3_NS6_12zip_iteratorINS7_INS6_11hip_rocprim26transform_input_iterator_tIbPN3c104HalfENS6_6detail10functional5actorINSJ_9compositeIJNSJ_27transparent_binary_operatorINS6_8equal_toIvEEEENSK_INSJ_8argumentILj0EEEEENSJ_5valueISG_EEEEEEEEENSD_19counting_iterator_tIlEES8_S8_S8_S8_S8_S8_S8_S8_EEEEPS9_S9_NSD_9__find_if7functorIS9_EEEE10hipError_tPvRmT1_T2_T3_mT4_P12ihipStream_tbEUlT_E0_NS1_11comp_targetILNS1_3genE10ELNS1_11target_archE1200ELNS1_3gpuE4ELNS1_3repE0EEENS1_30default_config_static_selectorELNS0_4arch9wavefront6targetE1EEEvS19_
	.globl	_ZN7rocprim17ROCPRIM_400000_NS6detail17trampoline_kernelINS0_14default_configENS1_22reduce_config_selectorIN6thrust23THRUST_200600_302600_NS5tupleIblNS6_9null_typeES8_S8_S8_S8_S8_S8_S8_EEEEZNS1_11reduce_implILb1ES3_NS6_12zip_iteratorINS7_INS6_11hip_rocprim26transform_input_iterator_tIbPN3c104HalfENS6_6detail10functional5actorINSJ_9compositeIJNSJ_27transparent_binary_operatorINS6_8equal_toIvEEEENSK_INSJ_8argumentILj0EEEEENSJ_5valueISG_EEEEEEEEENSD_19counting_iterator_tIlEES8_S8_S8_S8_S8_S8_S8_S8_EEEEPS9_S9_NSD_9__find_if7functorIS9_EEEE10hipError_tPvRmT1_T2_T3_mT4_P12ihipStream_tbEUlT_E0_NS1_11comp_targetILNS1_3genE10ELNS1_11target_archE1200ELNS1_3gpuE4ELNS1_3repE0EEENS1_30default_config_static_selectorELNS0_4arch9wavefront6targetE1EEEvS19_
	.p2align	8
	.type	_ZN7rocprim17ROCPRIM_400000_NS6detail17trampoline_kernelINS0_14default_configENS1_22reduce_config_selectorIN6thrust23THRUST_200600_302600_NS5tupleIblNS6_9null_typeES8_S8_S8_S8_S8_S8_S8_EEEEZNS1_11reduce_implILb1ES3_NS6_12zip_iteratorINS7_INS6_11hip_rocprim26transform_input_iterator_tIbPN3c104HalfENS6_6detail10functional5actorINSJ_9compositeIJNSJ_27transparent_binary_operatorINS6_8equal_toIvEEEENSK_INSJ_8argumentILj0EEEEENSJ_5valueISG_EEEEEEEEENSD_19counting_iterator_tIlEES8_S8_S8_S8_S8_S8_S8_S8_EEEEPS9_S9_NSD_9__find_if7functorIS9_EEEE10hipError_tPvRmT1_T2_T3_mT4_P12ihipStream_tbEUlT_E0_NS1_11comp_targetILNS1_3genE10ELNS1_11target_archE1200ELNS1_3gpuE4ELNS1_3repE0EEENS1_30default_config_static_selectorELNS0_4arch9wavefront6targetE1EEEvS19_,@function
_ZN7rocprim17ROCPRIM_400000_NS6detail17trampoline_kernelINS0_14default_configENS1_22reduce_config_selectorIN6thrust23THRUST_200600_302600_NS5tupleIblNS6_9null_typeES8_S8_S8_S8_S8_S8_S8_EEEEZNS1_11reduce_implILb1ES3_NS6_12zip_iteratorINS7_INS6_11hip_rocprim26transform_input_iterator_tIbPN3c104HalfENS6_6detail10functional5actorINSJ_9compositeIJNSJ_27transparent_binary_operatorINS6_8equal_toIvEEEENSK_INSJ_8argumentILj0EEEEENSJ_5valueISG_EEEEEEEEENSD_19counting_iterator_tIlEES8_S8_S8_S8_S8_S8_S8_S8_EEEEPS9_S9_NSD_9__find_if7functorIS9_EEEE10hipError_tPvRmT1_T2_T3_mT4_P12ihipStream_tbEUlT_E0_NS1_11comp_targetILNS1_3genE10ELNS1_11target_archE1200ELNS1_3gpuE4ELNS1_3repE0EEENS1_30default_config_static_selectorELNS0_4arch9wavefront6targetE1EEEvS19_: ; @_ZN7rocprim17ROCPRIM_400000_NS6detail17trampoline_kernelINS0_14default_configENS1_22reduce_config_selectorIN6thrust23THRUST_200600_302600_NS5tupleIblNS6_9null_typeES8_S8_S8_S8_S8_S8_S8_EEEEZNS1_11reduce_implILb1ES3_NS6_12zip_iteratorINS7_INS6_11hip_rocprim26transform_input_iterator_tIbPN3c104HalfENS6_6detail10functional5actorINSJ_9compositeIJNSJ_27transparent_binary_operatorINS6_8equal_toIvEEEENSK_INSJ_8argumentILj0EEEEENSJ_5valueISG_EEEEEEEEENSD_19counting_iterator_tIlEES8_S8_S8_S8_S8_S8_S8_S8_EEEEPS9_S9_NSD_9__find_if7functorIS9_EEEE10hipError_tPvRmT1_T2_T3_mT4_P12ihipStream_tbEUlT_E0_NS1_11comp_targetILNS1_3genE10ELNS1_11target_archE1200ELNS1_3gpuE4ELNS1_3repE0EEENS1_30default_config_static_selectorELNS0_4arch9wavefront6targetE1EEEvS19_
; %bb.0:
	.section	.rodata,"a",@progbits
	.p2align	6, 0x0
	.amdhsa_kernel _ZN7rocprim17ROCPRIM_400000_NS6detail17trampoline_kernelINS0_14default_configENS1_22reduce_config_selectorIN6thrust23THRUST_200600_302600_NS5tupleIblNS6_9null_typeES8_S8_S8_S8_S8_S8_S8_EEEEZNS1_11reduce_implILb1ES3_NS6_12zip_iteratorINS7_INS6_11hip_rocprim26transform_input_iterator_tIbPN3c104HalfENS6_6detail10functional5actorINSJ_9compositeIJNSJ_27transparent_binary_operatorINS6_8equal_toIvEEEENSK_INSJ_8argumentILj0EEEEENSJ_5valueISG_EEEEEEEEENSD_19counting_iterator_tIlEES8_S8_S8_S8_S8_S8_S8_S8_EEEEPS9_S9_NSD_9__find_if7functorIS9_EEEE10hipError_tPvRmT1_T2_T3_mT4_P12ihipStream_tbEUlT_E0_NS1_11comp_targetILNS1_3genE10ELNS1_11target_archE1200ELNS1_3gpuE4ELNS1_3repE0EEENS1_30default_config_static_selectorELNS0_4arch9wavefront6targetE1EEEvS19_
		.amdhsa_group_segment_fixed_size 0
		.amdhsa_private_segment_fixed_size 0
		.amdhsa_kernarg_size 88
		.amdhsa_user_sgpr_count 6
		.amdhsa_user_sgpr_private_segment_buffer 1
		.amdhsa_user_sgpr_dispatch_ptr 0
		.amdhsa_user_sgpr_queue_ptr 0
		.amdhsa_user_sgpr_kernarg_segment_ptr 1
		.amdhsa_user_sgpr_dispatch_id 0
		.amdhsa_user_sgpr_flat_scratch_init 0
		.amdhsa_user_sgpr_private_segment_size 0
		.amdhsa_uses_dynamic_stack 0
		.amdhsa_system_sgpr_private_segment_wavefront_offset 0
		.amdhsa_system_sgpr_workgroup_id_x 1
		.amdhsa_system_sgpr_workgroup_id_y 0
		.amdhsa_system_sgpr_workgroup_id_z 0
		.amdhsa_system_sgpr_workgroup_info 0
		.amdhsa_system_vgpr_workitem_id 0
		.amdhsa_next_free_vgpr 1
		.amdhsa_next_free_sgpr 0
		.amdhsa_reserve_vcc 0
		.amdhsa_reserve_flat_scratch 0
		.amdhsa_float_round_mode_32 0
		.amdhsa_float_round_mode_16_64 0
		.amdhsa_float_denorm_mode_32 3
		.amdhsa_float_denorm_mode_16_64 3
		.amdhsa_dx10_clamp 1
		.amdhsa_ieee_mode 1
		.amdhsa_fp16_overflow 0
		.amdhsa_exception_fp_ieee_invalid_op 0
		.amdhsa_exception_fp_denorm_src 0
		.amdhsa_exception_fp_ieee_div_zero 0
		.amdhsa_exception_fp_ieee_overflow 0
		.amdhsa_exception_fp_ieee_underflow 0
		.amdhsa_exception_fp_ieee_inexact 0
		.amdhsa_exception_int_div_zero 0
	.end_amdhsa_kernel
	.section	.text._ZN7rocprim17ROCPRIM_400000_NS6detail17trampoline_kernelINS0_14default_configENS1_22reduce_config_selectorIN6thrust23THRUST_200600_302600_NS5tupleIblNS6_9null_typeES8_S8_S8_S8_S8_S8_S8_EEEEZNS1_11reduce_implILb1ES3_NS6_12zip_iteratorINS7_INS6_11hip_rocprim26transform_input_iterator_tIbPN3c104HalfENS6_6detail10functional5actorINSJ_9compositeIJNSJ_27transparent_binary_operatorINS6_8equal_toIvEEEENSK_INSJ_8argumentILj0EEEEENSJ_5valueISG_EEEEEEEEENSD_19counting_iterator_tIlEES8_S8_S8_S8_S8_S8_S8_S8_EEEEPS9_S9_NSD_9__find_if7functorIS9_EEEE10hipError_tPvRmT1_T2_T3_mT4_P12ihipStream_tbEUlT_E0_NS1_11comp_targetILNS1_3genE10ELNS1_11target_archE1200ELNS1_3gpuE4ELNS1_3repE0EEENS1_30default_config_static_selectorELNS0_4arch9wavefront6targetE1EEEvS19_,"axG",@progbits,_ZN7rocprim17ROCPRIM_400000_NS6detail17trampoline_kernelINS0_14default_configENS1_22reduce_config_selectorIN6thrust23THRUST_200600_302600_NS5tupleIblNS6_9null_typeES8_S8_S8_S8_S8_S8_S8_EEEEZNS1_11reduce_implILb1ES3_NS6_12zip_iteratorINS7_INS6_11hip_rocprim26transform_input_iterator_tIbPN3c104HalfENS6_6detail10functional5actorINSJ_9compositeIJNSJ_27transparent_binary_operatorINS6_8equal_toIvEEEENSK_INSJ_8argumentILj0EEEEENSJ_5valueISG_EEEEEEEEENSD_19counting_iterator_tIlEES8_S8_S8_S8_S8_S8_S8_S8_EEEEPS9_S9_NSD_9__find_if7functorIS9_EEEE10hipError_tPvRmT1_T2_T3_mT4_P12ihipStream_tbEUlT_E0_NS1_11comp_targetILNS1_3genE10ELNS1_11target_archE1200ELNS1_3gpuE4ELNS1_3repE0EEENS1_30default_config_static_selectorELNS0_4arch9wavefront6targetE1EEEvS19_,comdat
.Lfunc_end2240:
	.size	_ZN7rocprim17ROCPRIM_400000_NS6detail17trampoline_kernelINS0_14default_configENS1_22reduce_config_selectorIN6thrust23THRUST_200600_302600_NS5tupleIblNS6_9null_typeES8_S8_S8_S8_S8_S8_S8_EEEEZNS1_11reduce_implILb1ES3_NS6_12zip_iteratorINS7_INS6_11hip_rocprim26transform_input_iterator_tIbPN3c104HalfENS6_6detail10functional5actorINSJ_9compositeIJNSJ_27transparent_binary_operatorINS6_8equal_toIvEEEENSK_INSJ_8argumentILj0EEEEENSJ_5valueISG_EEEEEEEEENSD_19counting_iterator_tIlEES8_S8_S8_S8_S8_S8_S8_S8_EEEEPS9_S9_NSD_9__find_if7functorIS9_EEEE10hipError_tPvRmT1_T2_T3_mT4_P12ihipStream_tbEUlT_E0_NS1_11comp_targetILNS1_3genE10ELNS1_11target_archE1200ELNS1_3gpuE4ELNS1_3repE0EEENS1_30default_config_static_selectorELNS0_4arch9wavefront6targetE1EEEvS19_, .Lfunc_end2240-_ZN7rocprim17ROCPRIM_400000_NS6detail17trampoline_kernelINS0_14default_configENS1_22reduce_config_selectorIN6thrust23THRUST_200600_302600_NS5tupleIblNS6_9null_typeES8_S8_S8_S8_S8_S8_S8_EEEEZNS1_11reduce_implILb1ES3_NS6_12zip_iteratorINS7_INS6_11hip_rocprim26transform_input_iterator_tIbPN3c104HalfENS6_6detail10functional5actorINSJ_9compositeIJNSJ_27transparent_binary_operatorINS6_8equal_toIvEEEENSK_INSJ_8argumentILj0EEEEENSJ_5valueISG_EEEEEEEEENSD_19counting_iterator_tIlEES8_S8_S8_S8_S8_S8_S8_S8_EEEEPS9_S9_NSD_9__find_if7functorIS9_EEEE10hipError_tPvRmT1_T2_T3_mT4_P12ihipStream_tbEUlT_E0_NS1_11comp_targetILNS1_3genE10ELNS1_11target_archE1200ELNS1_3gpuE4ELNS1_3repE0EEENS1_30default_config_static_selectorELNS0_4arch9wavefront6targetE1EEEvS19_
                                        ; -- End function
	.set _ZN7rocprim17ROCPRIM_400000_NS6detail17trampoline_kernelINS0_14default_configENS1_22reduce_config_selectorIN6thrust23THRUST_200600_302600_NS5tupleIblNS6_9null_typeES8_S8_S8_S8_S8_S8_S8_EEEEZNS1_11reduce_implILb1ES3_NS6_12zip_iteratorINS7_INS6_11hip_rocprim26transform_input_iterator_tIbPN3c104HalfENS6_6detail10functional5actorINSJ_9compositeIJNSJ_27transparent_binary_operatorINS6_8equal_toIvEEEENSK_INSJ_8argumentILj0EEEEENSJ_5valueISG_EEEEEEEEENSD_19counting_iterator_tIlEES8_S8_S8_S8_S8_S8_S8_S8_EEEEPS9_S9_NSD_9__find_if7functorIS9_EEEE10hipError_tPvRmT1_T2_T3_mT4_P12ihipStream_tbEUlT_E0_NS1_11comp_targetILNS1_3genE10ELNS1_11target_archE1200ELNS1_3gpuE4ELNS1_3repE0EEENS1_30default_config_static_selectorELNS0_4arch9wavefront6targetE1EEEvS19_.num_vgpr, 0
	.set _ZN7rocprim17ROCPRIM_400000_NS6detail17trampoline_kernelINS0_14default_configENS1_22reduce_config_selectorIN6thrust23THRUST_200600_302600_NS5tupleIblNS6_9null_typeES8_S8_S8_S8_S8_S8_S8_EEEEZNS1_11reduce_implILb1ES3_NS6_12zip_iteratorINS7_INS6_11hip_rocprim26transform_input_iterator_tIbPN3c104HalfENS6_6detail10functional5actorINSJ_9compositeIJNSJ_27transparent_binary_operatorINS6_8equal_toIvEEEENSK_INSJ_8argumentILj0EEEEENSJ_5valueISG_EEEEEEEEENSD_19counting_iterator_tIlEES8_S8_S8_S8_S8_S8_S8_S8_EEEEPS9_S9_NSD_9__find_if7functorIS9_EEEE10hipError_tPvRmT1_T2_T3_mT4_P12ihipStream_tbEUlT_E0_NS1_11comp_targetILNS1_3genE10ELNS1_11target_archE1200ELNS1_3gpuE4ELNS1_3repE0EEENS1_30default_config_static_selectorELNS0_4arch9wavefront6targetE1EEEvS19_.num_agpr, 0
	.set _ZN7rocprim17ROCPRIM_400000_NS6detail17trampoline_kernelINS0_14default_configENS1_22reduce_config_selectorIN6thrust23THRUST_200600_302600_NS5tupleIblNS6_9null_typeES8_S8_S8_S8_S8_S8_S8_EEEEZNS1_11reduce_implILb1ES3_NS6_12zip_iteratorINS7_INS6_11hip_rocprim26transform_input_iterator_tIbPN3c104HalfENS6_6detail10functional5actorINSJ_9compositeIJNSJ_27transparent_binary_operatorINS6_8equal_toIvEEEENSK_INSJ_8argumentILj0EEEEENSJ_5valueISG_EEEEEEEEENSD_19counting_iterator_tIlEES8_S8_S8_S8_S8_S8_S8_S8_EEEEPS9_S9_NSD_9__find_if7functorIS9_EEEE10hipError_tPvRmT1_T2_T3_mT4_P12ihipStream_tbEUlT_E0_NS1_11comp_targetILNS1_3genE10ELNS1_11target_archE1200ELNS1_3gpuE4ELNS1_3repE0EEENS1_30default_config_static_selectorELNS0_4arch9wavefront6targetE1EEEvS19_.numbered_sgpr, 0
	.set _ZN7rocprim17ROCPRIM_400000_NS6detail17trampoline_kernelINS0_14default_configENS1_22reduce_config_selectorIN6thrust23THRUST_200600_302600_NS5tupleIblNS6_9null_typeES8_S8_S8_S8_S8_S8_S8_EEEEZNS1_11reduce_implILb1ES3_NS6_12zip_iteratorINS7_INS6_11hip_rocprim26transform_input_iterator_tIbPN3c104HalfENS6_6detail10functional5actorINSJ_9compositeIJNSJ_27transparent_binary_operatorINS6_8equal_toIvEEEENSK_INSJ_8argumentILj0EEEEENSJ_5valueISG_EEEEEEEEENSD_19counting_iterator_tIlEES8_S8_S8_S8_S8_S8_S8_S8_EEEEPS9_S9_NSD_9__find_if7functorIS9_EEEE10hipError_tPvRmT1_T2_T3_mT4_P12ihipStream_tbEUlT_E0_NS1_11comp_targetILNS1_3genE10ELNS1_11target_archE1200ELNS1_3gpuE4ELNS1_3repE0EEENS1_30default_config_static_selectorELNS0_4arch9wavefront6targetE1EEEvS19_.num_named_barrier, 0
	.set _ZN7rocprim17ROCPRIM_400000_NS6detail17trampoline_kernelINS0_14default_configENS1_22reduce_config_selectorIN6thrust23THRUST_200600_302600_NS5tupleIblNS6_9null_typeES8_S8_S8_S8_S8_S8_S8_EEEEZNS1_11reduce_implILb1ES3_NS6_12zip_iteratorINS7_INS6_11hip_rocprim26transform_input_iterator_tIbPN3c104HalfENS6_6detail10functional5actorINSJ_9compositeIJNSJ_27transparent_binary_operatorINS6_8equal_toIvEEEENSK_INSJ_8argumentILj0EEEEENSJ_5valueISG_EEEEEEEEENSD_19counting_iterator_tIlEES8_S8_S8_S8_S8_S8_S8_S8_EEEEPS9_S9_NSD_9__find_if7functorIS9_EEEE10hipError_tPvRmT1_T2_T3_mT4_P12ihipStream_tbEUlT_E0_NS1_11comp_targetILNS1_3genE10ELNS1_11target_archE1200ELNS1_3gpuE4ELNS1_3repE0EEENS1_30default_config_static_selectorELNS0_4arch9wavefront6targetE1EEEvS19_.private_seg_size, 0
	.set _ZN7rocprim17ROCPRIM_400000_NS6detail17trampoline_kernelINS0_14default_configENS1_22reduce_config_selectorIN6thrust23THRUST_200600_302600_NS5tupleIblNS6_9null_typeES8_S8_S8_S8_S8_S8_S8_EEEEZNS1_11reduce_implILb1ES3_NS6_12zip_iteratorINS7_INS6_11hip_rocprim26transform_input_iterator_tIbPN3c104HalfENS6_6detail10functional5actorINSJ_9compositeIJNSJ_27transparent_binary_operatorINS6_8equal_toIvEEEENSK_INSJ_8argumentILj0EEEEENSJ_5valueISG_EEEEEEEEENSD_19counting_iterator_tIlEES8_S8_S8_S8_S8_S8_S8_S8_EEEEPS9_S9_NSD_9__find_if7functorIS9_EEEE10hipError_tPvRmT1_T2_T3_mT4_P12ihipStream_tbEUlT_E0_NS1_11comp_targetILNS1_3genE10ELNS1_11target_archE1200ELNS1_3gpuE4ELNS1_3repE0EEENS1_30default_config_static_selectorELNS0_4arch9wavefront6targetE1EEEvS19_.uses_vcc, 0
	.set _ZN7rocprim17ROCPRIM_400000_NS6detail17trampoline_kernelINS0_14default_configENS1_22reduce_config_selectorIN6thrust23THRUST_200600_302600_NS5tupleIblNS6_9null_typeES8_S8_S8_S8_S8_S8_S8_EEEEZNS1_11reduce_implILb1ES3_NS6_12zip_iteratorINS7_INS6_11hip_rocprim26transform_input_iterator_tIbPN3c104HalfENS6_6detail10functional5actorINSJ_9compositeIJNSJ_27transparent_binary_operatorINS6_8equal_toIvEEEENSK_INSJ_8argumentILj0EEEEENSJ_5valueISG_EEEEEEEEENSD_19counting_iterator_tIlEES8_S8_S8_S8_S8_S8_S8_S8_EEEEPS9_S9_NSD_9__find_if7functorIS9_EEEE10hipError_tPvRmT1_T2_T3_mT4_P12ihipStream_tbEUlT_E0_NS1_11comp_targetILNS1_3genE10ELNS1_11target_archE1200ELNS1_3gpuE4ELNS1_3repE0EEENS1_30default_config_static_selectorELNS0_4arch9wavefront6targetE1EEEvS19_.uses_flat_scratch, 0
	.set _ZN7rocprim17ROCPRIM_400000_NS6detail17trampoline_kernelINS0_14default_configENS1_22reduce_config_selectorIN6thrust23THRUST_200600_302600_NS5tupleIblNS6_9null_typeES8_S8_S8_S8_S8_S8_S8_EEEEZNS1_11reduce_implILb1ES3_NS6_12zip_iteratorINS7_INS6_11hip_rocprim26transform_input_iterator_tIbPN3c104HalfENS6_6detail10functional5actorINSJ_9compositeIJNSJ_27transparent_binary_operatorINS6_8equal_toIvEEEENSK_INSJ_8argumentILj0EEEEENSJ_5valueISG_EEEEEEEEENSD_19counting_iterator_tIlEES8_S8_S8_S8_S8_S8_S8_S8_EEEEPS9_S9_NSD_9__find_if7functorIS9_EEEE10hipError_tPvRmT1_T2_T3_mT4_P12ihipStream_tbEUlT_E0_NS1_11comp_targetILNS1_3genE10ELNS1_11target_archE1200ELNS1_3gpuE4ELNS1_3repE0EEENS1_30default_config_static_selectorELNS0_4arch9wavefront6targetE1EEEvS19_.has_dyn_sized_stack, 0
	.set _ZN7rocprim17ROCPRIM_400000_NS6detail17trampoline_kernelINS0_14default_configENS1_22reduce_config_selectorIN6thrust23THRUST_200600_302600_NS5tupleIblNS6_9null_typeES8_S8_S8_S8_S8_S8_S8_EEEEZNS1_11reduce_implILb1ES3_NS6_12zip_iteratorINS7_INS6_11hip_rocprim26transform_input_iterator_tIbPN3c104HalfENS6_6detail10functional5actorINSJ_9compositeIJNSJ_27transparent_binary_operatorINS6_8equal_toIvEEEENSK_INSJ_8argumentILj0EEEEENSJ_5valueISG_EEEEEEEEENSD_19counting_iterator_tIlEES8_S8_S8_S8_S8_S8_S8_S8_EEEEPS9_S9_NSD_9__find_if7functorIS9_EEEE10hipError_tPvRmT1_T2_T3_mT4_P12ihipStream_tbEUlT_E0_NS1_11comp_targetILNS1_3genE10ELNS1_11target_archE1200ELNS1_3gpuE4ELNS1_3repE0EEENS1_30default_config_static_selectorELNS0_4arch9wavefront6targetE1EEEvS19_.has_recursion, 0
	.set _ZN7rocprim17ROCPRIM_400000_NS6detail17trampoline_kernelINS0_14default_configENS1_22reduce_config_selectorIN6thrust23THRUST_200600_302600_NS5tupleIblNS6_9null_typeES8_S8_S8_S8_S8_S8_S8_EEEEZNS1_11reduce_implILb1ES3_NS6_12zip_iteratorINS7_INS6_11hip_rocprim26transform_input_iterator_tIbPN3c104HalfENS6_6detail10functional5actorINSJ_9compositeIJNSJ_27transparent_binary_operatorINS6_8equal_toIvEEEENSK_INSJ_8argumentILj0EEEEENSJ_5valueISG_EEEEEEEEENSD_19counting_iterator_tIlEES8_S8_S8_S8_S8_S8_S8_S8_EEEEPS9_S9_NSD_9__find_if7functorIS9_EEEE10hipError_tPvRmT1_T2_T3_mT4_P12ihipStream_tbEUlT_E0_NS1_11comp_targetILNS1_3genE10ELNS1_11target_archE1200ELNS1_3gpuE4ELNS1_3repE0EEENS1_30default_config_static_selectorELNS0_4arch9wavefront6targetE1EEEvS19_.has_indirect_call, 0
	.section	.AMDGPU.csdata,"",@progbits
; Kernel info:
; codeLenInByte = 0
; TotalNumSgprs: 4
; NumVgprs: 0
; ScratchSize: 0
; MemoryBound: 0
; FloatMode: 240
; IeeeMode: 1
; LDSByteSize: 0 bytes/workgroup (compile time only)
; SGPRBlocks: 0
; VGPRBlocks: 0
; NumSGPRsForWavesPerEU: 4
; NumVGPRsForWavesPerEU: 1
; Occupancy: 10
; WaveLimiterHint : 0
; COMPUTE_PGM_RSRC2:SCRATCH_EN: 0
; COMPUTE_PGM_RSRC2:USER_SGPR: 6
; COMPUTE_PGM_RSRC2:TRAP_HANDLER: 0
; COMPUTE_PGM_RSRC2:TGID_X_EN: 1
; COMPUTE_PGM_RSRC2:TGID_Y_EN: 0
; COMPUTE_PGM_RSRC2:TGID_Z_EN: 0
; COMPUTE_PGM_RSRC2:TIDIG_COMP_CNT: 0
	.section	.text._ZN7rocprim17ROCPRIM_400000_NS6detail17trampoline_kernelINS0_14default_configENS1_22reduce_config_selectorIN6thrust23THRUST_200600_302600_NS5tupleIblNS6_9null_typeES8_S8_S8_S8_S8_S8_S8_EEEEZNS1_11reduce_implILb1ES3_NS6_12zip_iteratorINS7_INS6_11hip_rocprim26transform_input_iterator_tIbPN3c104HalfENS6_6detail10functional5actorINSJ_9compositeIJNSJ_27transparent_binary_operatorINS6_8equal_toIvEEEENSK_INSJ_8argumentILj0EEEEENSJ_5valueISG_EEEEEEEEENSD_19counting_iterator_tIlEES8_S8_S8_S8_S8_S8_S8_S8_EEEEPS9_S9_NSD_9__find_if7functorIS9_EEEE10hipError_tPvRmT1_T2_T3_mT4_P12ihipStream_tbEUlT_E0_NS1_11comp_targetILNS1_3genE9ELNS1_11target_archE1100ELNS1_3gpuE3ELNS1_3repE0EEENS1_30default_config_static_selectorELNS0_4arch9wavefront6targetE1EEEvS19_,"axG",@progbits,_ZN7rocprim17ROCPRIM_400000_NS6detail17trampoline_kernelINS0_14default_configENS1_22reduce_config_selectorIN6thrust23THRUST_200600_302600_NS5tupleIblNS6_9null_typeES8_S8_S8_S8_S8_S8_S8_EEEEZNS1_11reduce_implILb1ES3_NS6_12zip_iteratorINS7_INS6_11hip_rocprim26transform_input_iterator_tIbPN3c104HalfENS6_6detail10functional5actorINSJ_9compositeIJNSJ_27transparent_binary_operatorINS6_8equal_toIvEEEENSK_INSJ_8argumentILj0EEEEENSJ_5valueISG_EEEEEEEEENSD_19counting_iterator_tIlEES8_S8_S8_S8_S8_S8_S8_S8_EEEEPS9_S9_NSD_9__find_if7functorIS9_EEEE10hipError_tPvRmT1_T2_T3_mT4_P12ihipStream_tbEUlT_E0_NS1_11comp_targetILNS1_3genE9ELNS1_11target_archE1100ELNS1_3gpuE3ELNS1_3repE0EEENS1_30default_config_static_selectorELNS0_4arch9wavefront6targetE1EEEvS19_,comdat
	.protected	_ZN7rocprim17ROCPRIM_400000_NS6detail17trampoline_kernelINS0_14default_configENS1_22reduce_config_selectorIN6thrust23THRUST_200600_302600_NS5tupleIblNS6_9null_typeES8_S8_S8_S8_S8_S8_S8_EEEEZNS1_11reduce_implILb1ES3_NS6_12zip_iteratorINS7_INS6_11hip_rocprim26transform_input_iterator_tIbPN3c104HalfENS6_6detail10functional5actorINSJ_9compositeIJNSJ_27transparent_binary_operatorINS6_8equal_toIvEEEENSK_INSJ_8argumentILj0EEEEENSJ_5valueISG_EEEEEEEEENSD_19counting_iterator_tIlEES8_S8_S8_S8_S8_S8_S8_S8_EEEEPS9_S9_NSD_9__find_if7functorIS9_EEEE10hipError_tPvRmT1_T2_T3_mT4_P12ihipStream_tbEUlT_E0_NS1_11comp_targetILNS1_3genE9ELNS1_11target_archE1100ELNS1_3gpuE3ELNS1_3repE0EEENS1_30default_config_static_selectorELNS0_4arch9wavefront6targetE1EEEvS19_ ; -- Begin function _ZN7rocprim17ROCPRIM_400000_NS6detail17trampoline_kernelINS0_14default_configENS1_22reduce_config_selectorIN6thrust23THRUST_200600_302600_NS5tupleIblNS6_9null_typeES8_S8_S8_S8_S8_S8_S8_EEEEZNS1_11reduce_implILb1ES3_NS6_12zip_iteratorINS7_INS6_11hip_rocprim26transform_input_iterator_tIbPN3c104HalfENS6_6detail10functional5actorINSJ_9compositeIJNSJ_27transparent_binary_operatorINS6_8equal_toIvEEEENSK_INSJ_8argumentILj0EEEEENSJ_5valueISG_EEEEEEEEENSD_19counting_iterator_tIlEES8_S8_S8_S8_S8_S8_S8_S8_EEEEPS9_S9_NSD_9__find_if7functorIS9_EEEE10hipError_tPvRmT1_T2_T3_mT4_P12ihipStream_tbEUlT_E0_NS1_11comp_targetILNS1_3genE9ELNS1_11target_archE1100ELNS1_3gpuE3ELNS1_3repE0EEENS1_30default_config_static_selectorELNS0_4arch9wavefront6targetE1EEEvS19_
	.globl	_ZN7rocprim17ROCPRIM_400000_NS6detail17trampoline_kernelINS0_14default_configENS1_22reduce_config_selectorIN6thrust23THRUST_200600_302600_NS5tupleIblNS6_9null_typeES8_S8_S8_S8_S8_S8_S8_EEEEZNS1_11reduce_implILb1ES3_NS6_12zip_iteratorINS7_INS6_11hip_rocprim26transform_input_iterator_tIbPN3c104HalfENS6_6detail10functional5actorINSJ_9compositeIJNSJ_27transparent_binary_operatorINS6_8equal_toIvEEEENSK_INSJ_8argumentILj0EEEEENSJ_5valueISG_EEEEEEEEENSD_19counting_iterator_tIlEES8_S8_S8_S8_S8_S8_S8_S8_EEEEPS9_S9_NSD_9__find_if7functorIS9_EEEE10hipError_tPvRmT1_T2_T3_mT4_P12ihipStream_tbEUlT_E0_NS1_11comp_targetILNS1_3genE9ELNS1_11target_archE1100ELNS1_3gpuE3ELNS1_3repE0EEENS1_30default_config_static_selectorELNS0_4arch9wavefront6targetE1EEEvS19_
	.p2align	8
	.type	_ZN7rocprim17ROCPRIM_400000_NS6detail17trampoline_kernelINS0_14default_configENS1_22reduce_config_selectorIN6thrust23THRUST_200600_302600_NS5tupleIblNS6_9null_typeES8_S8_S8_S8_S8_S8_S8_EEEEZNS1_11reduce_implILb1ES3_NS6_12zip_iteratorINS7_INS6_11hip_rocprim26transform_input_iterator_tIbPN3c104HalfENS6_6detail10functional5actorINSJ_9compositeIJNSJ_27transparent_binary_operatorINS6_8equal_toIvEEEENSK_INSJ_8argumentILj0EEEEENSJ_5valueISG_EEEEEEEEENSD_19counting_iterator_tIlEES8_S8_S8_S8_S8_S8_S8_S8_EEEEPS9_S9_NSD_9__find_if7functorIS9_EEEE10hipError_tPvRmT1_T2_T3_mT4_P12ihipStream_tbEUlT_E0_NS1_11comp_targetILNS1_3genE9ELNS1_11target_archE1100ELNS1_3gpuE3ELNS1_3repE0EEENS1_30default_config_static_selectorELNS0_4arch9wavefront6targetE1EEEvS19_,@function
_ZN7rocprim17ROCPRIM_400000_NS6detail17trampoline_kernelINS0_14default_configENS1_22reduce_config_selectorIN6thrust23THRUST_200600_302600_NS5tupleIblNS6_9null_typeES8_S8_S8_S8_S8_S8_S8_EEEEZNS1_11reduce_implILb1ES3_NS6_12zip_iteratorINS7_INS6_11hip_rocprim26transform_input_iterator_tIbPN3c104HalfENS6_6detail10functional5actorINSJ_9compositeIJNSJ_27transparent_binary_operatorINS6_8equal_toIvEEEENSK_INSJ_8argumentILj0EEEEENSJ_5valueISG_EEEEEEEEENSD_19counting_iterator_tIlEES8_S8_S8_S8_S8_S8_S8_S8_EEEEPS9_S9_NSD_9__find_if7functorIS9_EEEE10hipError_tPvRmT1_T2_T3_mT4_P12ihipStream_tbEUlT_E0_NS1_11comp_targetILNS1_3genE9ELNS1_11target_archE1100ELNS1_3gpuE3ELNS1_3repE0EEENS1_30default_config_static_selectorELNS0_4arch9wavefront6targetE1EEEvS19_: ; @_ZN7rocprim17ROCPRIM_400000_NS6detail17trampoline_kernelINS0_14default_configENS1_22reduce_config_selectorIN6thrust23THRUST_200600_302600_NS5tupleIblNS6_9null_typeES8_S8_S8_S8_S8_S8_S8_EEEEZNS1_11reduce_implILb1ES3_NS6_12zip_iteratorINS7_INS6_11hip_rocprim26transform_input_iterator_tIbPN3c104HalfENS6_6detail10functional5actorINSJ_9compositeIJNSJ_27transparent_binary_operatorINS6_8equal_toIvEEEENSK_INSJ_8argumentILj0EEEEENSJ_5valueISG_EEEEEEEEENSD_19counting_iterator_tIlEES8_S8_S8_S8_S8_S8_S8_S8_EEEEPS9_S9_NSD_9__find_if7functorIS9_EEEE10hipError_tPvRmT1_T2_T3_mT4_P12ihipStream_tbEUlT_E0_NS1_11comp_targetILNS1_3genE9ELNS1_11target_archE1100ELNS1_3gpuE3ELNS1_3repE0EEENS1_30default_config_static_selectorELNS0_4arch9wavefront6targetE1EEEvS19_
; %bb.0:
	.section	.rodata,"a",@progbits
	.p2align	6, 0x0
	.amdhsa_kernel _ZN7rocprim17ROCPRIM_400000_NS6detail17trampoline_kernelINS0_14default_configENS1_22reduce_config_selectorIN6thrust23THRUST_200600_302600_NS5tupleIblNS6_9null_typeES8_S8_S8_S8_S8_S8_S8_EEEEZNS1_11reduce_implILb1ES3_NS6_12zip_iteratorINS7_INS6_11hip_rocprim26transform_input_iterator_tIbPN3c104HalfENS6_6detail10functional5actorINSJ_9compositeIJNSJ_27transparent_binary_operatorINS6_8equal_toIvEEEENSK_INSJ_8argumentILj0EEEEENSJ_5valueISG_EEEEEEEEENSD_19counting_iterator_tIlEES8_S8_S8_S8_S8_S8_S8_S8_EEEEPS9_S9_NSD_9__find_if7functorIS9_EEEE10hipError_tPvRmT1_T2_T3_mT4_P12ihipStream_tbEUlT_E0_NS1_11comp_targetILNS1_3genE9ELNS1_11target_archE1100ELNS1_3gpuE3ELNS1_3repE0EEENS1_30default_config_static_selectorELNS0_4arch9wavefront6targetE1EEEvS19_
		.amdhsa_group_segment_fixed_size 0
		.amdhsa_private_segment_fixed_size 0
		.amdhsa_kernarg_size 88
		.amdhsa_user_sgpr_count 6
		.amdhsa_user_sgpr_private_segment_buffer 1
		.amdhsa_user_sgpr_dispatch_ptr 0
		.amdhsa_user_sgpr_queue_ptr 0
		.amdhsa_user_sgpr_kernarg_segment_ptr 1
		.amdhsa_user_sgpr_dispatch_id 0
		.amdhsa_user_sgpr_flat_scratch_init 0
		.amdhsa_user_sgpr_private_segment_size 0
		.amdhsa_uses_dynamic_stack 0
		.amdhsa_system_sgpr_private_segment_wavefront_offset 0
		.amdhsa_system_sgpr_workgroup_id_x 1
		.amdhsa_system_sgpr_workgroup_id_y 0
		.amdhsa_system_sgpr_workgroup_id_z 0
		.amdhsa_system_sgpr_workgroup_info 0
		.amdhsa_system_vgpr_workitem_id 0
		.amdhsa_next_free_vgpr 1
		.amdhsa_next_free_sgpr 0
		.amdhsa_reserve_vcc 0
		.amdhsa_reserve_flat_scratch 0
		.amdhsa_float_round_mode_32 0
		.amdhsa_float_round_mode_16_64 0
		.amdhsa_float_denorm_mode_32 3
		.amdhsa_float_denorm_mode_16_64 3
		.amdhsa_dx10_clamp 1
		.amdhsa_ieee_mode 1
		.amdhsa_fp16_overflow 0
		.amdhsa_exception_fp_ieee_invalid_op 0
		.amdhsa_exception_fp_denorm_src 0
		.amdhsa_exception_fp_ieee_div_zero 0
		.amdhsa_exception_fp_ieee_overflow 0
		.amdhsa_exception_fp_ieee_underflow 0
		.amdhsa_exception_fp_ieee_inexact 0
		.amdhsa_exception_int_div_zero 0
	.end_amdhsa_kernel
	.section	.text._ZN7rocprim17ROCPRIM_400000_NS6detail17trampoline_kernelINS0_14default_configENS1_22reduce_config_selectorIN6thrust23THRUST_200600_302600_NS5tupleIblNS6_9null_typeES8_S8_S8_S8_S8_S8_S8_EEEEZNS1_11reduce_implILb1ES3_NS6_12zip_iteratorINS7_INS6_11hip_rocprim26transform_input_iterator_tIbPN3c104HalfENS6_6detail10functional5actorINSJ_9compositeIJNSJ_27transparent_binary_operatorINS6_8equal_toIvEEEENSK_INSJ_8argumentILj0EEEEENSJ_5valueISG_EEEEEEEEENSD_19counting_iterator_tIlEES8_S8_S8_S8_S8_S8_S8_S8_EEEEPS9_S9_NSD_9__find_if7functorIS9_EEEE10hipError_tPvRmT1_T2_T3_mT4_P12ihipStream_tbEUlT_E0_NS1_11comp_targetILNS1_3genE9ELNS1_11target_archE1100ELNS1_3gpuE3ELNS1_3repE0EEENS1_30default_config_static_selectorELNS0_4arch9wavefront6targetE1EEEvS19_,"axG",@progbits,_ZN7rocprim17ROCPRIM_400000_NS6detail17trampoline_kernelINS0_14default_configENS1_22reduce_config_selectorIN6thrust23THRUST_200600_302600_NS5tupleIblNS6_9null_typeES8_S8_S8_S8_S8_S8_S8_EEEEZNS1_11reduce_implILb1ES3_NS6_12zip_iteratorINS7_INS6_11hip_rocprim26transform_input_iterator_tIbPN3c104HalfENS6_6detail10functional5actorINSJ_9compositeIJNSJ_27transparent_binary_operatorINS6_8equal_toIvEEEENSK_INSJ_8argumentILj0EEEEENSJ_5valueISG_EEEEEEEEENSD_19counting_iterator_tIlEES8_S8_S8_S8_S8_S8_S8_S8_EEEEPS9_S9_NSD_9__find_if7functorIS9_EEEE10hipError_tPvRmT1_T2_T3_mT4_P12ihipStream_tbEUlT_E0_NS1_11comp_targetILNS1_3genE9ELNS1_11target_archE1100ELNS1_3gpuE3ELNS1_3repE0EEENS1_30default_config_static_selectorELNS0_4arch9wavefront6targetE1EEEvS19_,comdat
.Lfunc_end2241:
	.size	_ZN7rocprim17ROCPRIM_400000_NS6detail17trampoline_kernelINS0_14default_configENS1_22reduce_config_selectorIN6thrust23THRUST_200600_302600_NS5tupleIblNS6_9null_typeES8_S8_S8_S8_S8_S8_S8_EEEEZNS1_11reduce_implILb1ES3_NS6_12zip_iteratorINS7_INS6_11hip_rocprim26transform_input_iterator_tIbPN3c104HalfENS6_6detail10functional5actorINSJ_9compositeIJNSJ_27transparent_binary_operatorINS6_8equal_toIvEEEENSK_INSJ_8argumentILj0EEEEENSJ_5valueISG_EEEEEEEEENSD_19counting_iterator_tIlEES8_S8_S8_S8_S8_S8_S8_S8_EEEEPS9_S9_NSD_9__find_if7functorIS9_EEEE10hipError_tPvRmT1_T2_T3_mT4_P12ihipStream_tbEUlT_E0_NS1_11comp_targetILNS1_3genE9ELNS1_11target_archE1100ELNS1_3gpuE3ELNS1_3repE0EEENS1_30default_config_static_selectorELNS0_4arch9wavefront6targetE1EEEvS19_, .Lfunc_end2241-_ZN7rocprim17ROCPRIM_400000_NS6detail17trampoline_kernelINS0_14default_configENS1_22reduce_config_selectorIN6thrust23THRUST_200600_302600_NS5tupleIblNS6_9null_typeES8_S8_S8_S8_S8_S8_S8_EEEEZNS1_11reduce_implILb1ES3_NS6_12zip_iteratorINS7_INS6_11hip_rocprim26transform_input_iterator_tIbPN3c104HalfENS6_6detail10functional5actorINSJ_9compositeIJNSJ_27transparent_binary_operatorINS6_8equal_toIvEEEENSK_INSJ_8argumentILj0EEEEENSJ_5valueISG_EEEEEEEEENSD_19counting_iterator_tIlEES8_S8_S8_S8_S8_S8_S8_S8_EEEEPS9_S9_NSD_9__find_if7functorIS9_EEEE10hipError_tPvRmT1_T2_T3_mT4_P12ihipStream_tbEUlT_E0_NS1_11comp_targetILNS1_3genE9ELNS1_11target_archE1100ELNS1_3gpuE3ELNS1_3repE0EEENS1_30default_config_static_selectorELNS0_4arch9wavefront6targetE1EEEvS19_
                                        ; -- End function
	.set _ZN7rocprim17ROCPRIM_400000_NS6detail17trampoline_kernelINS0_14default_configENS1_22reduce_config_selectorIN6thrust23THRUST_200600_302600_NS5tupleIblNS6_9null_typeES8_S8_S8_S8_S8_S8_S8_EEEEZNS1_11reduce_implILb1ES3_NS6_12zip_iteratorINS7_INS6_11hip_rocprim26transform_input_iterator_tIbPN3c104HalfENS6_6detail10functional5actorINSJ_9compositeIJNSJ_27transparent_binary_operatorINS6_8equal_toIvEEEENSK_INSJ_8argumentILj0EEEEENSJ_5valueISG_EEEEEEEEENSD_19counting_iterator_tIlEES8_S8_S8_S8_S8_S8_S8_S8_EEEEPS9_S9_NSD_9__find_if7functorIS9_EEEE10hipError_tPvRmT1_T2_T3_mT4_P12ihipStream_tbEUlT_E0_NS1_11comp_targetILNS1_3genE9ELNS1_11target_archE1100ELNS1_3gpuE3ELNS1_3repE0EEENS1_30default_config_static_selectorELNS0_4arch9wavefront6targetE1EEEvS19_.num_vgpr, 0
	.set _ZN7rocprim17ROCPRIM_400000_NS6detail17trampoline_kernelINS0_14default_configENS1_22reduce_config_selectorIN6thrust23THRUST_200600_302600_NS5tupleIblNS6_9null_typeES8_S8_S8_S8_S8_S8_S8_EEEEZNS1_11reduce_implILb1ES3_NS6_12zip_iteratorINS7_INS6_11hip_rocprim26transform_input_iterator_tIbPN3c104HalfENS6_6detail10functional5actorINSJ_9compositeIJNSJ_27transparent_binary_operatorINS6_8equal_toIvEEEENSK_INSJ_8argumentILj0EEEEENSJ_5valueISG_EEEEEEEEENSD_19counting_iterator_tIlEES8_S8_S8_S8_S8_S8_S8_S8_EEEEPS9_S9_NSD_9__find_if7functorIS9_EEEE10hipError_tPvRmT1_T2_T3_mT4_P12ihipStream_tbEUlT_E0_NS1_11comp_targetILNS1_3genE9ELNS1_11target_archE1100ELNS1_3gpuE3ELNS1_3repE0EEENS1_30default_config_static_selectorELNS0_4arch9wavefront6targetE1EEEvS19_.num_agpr, 0
	.set _ZN7rocprim17ROCPRIM_400000_NS6detail17trampoline_kernelINS0_14default_configENS1_22reduce_config_selectorIN6thrust23THRUST_200600_302600_NS5tupleIblNS6_9null_typeES8_S8_S8_S8_S8_S8_S8_EEEEZNS1_11reduce_implILb1ES3_NS6_12zip_iteratorINS7_INS6_11hip_rocprim26transform_input_iterator_tIbPN3c104HalfENS6_6detail10functional5actorINSJ_9compositeIJNSJ_27transparent_binary_operatorINS6_8equal_toIvEEEENSK_INSJ_8argumentILj0EEEEENSJ_5valueISG_EEEEEEEEENSD_19counting_iterator_tIlEES8_S8_S8_S8_S8_S8_S8_S8_EEEEPS9_S9_NSD_9__find_if7functorIS9_EEEE10hipError_tPvRmT1_T2_T3_mT4_P12ihipStream_tbEUlT_E0_NS1_11comp_targetILNS1_3genE9ELNS1_11target_archE1100ELNS1_3gpuE3ELNS1_3repE0EEENS1_30default_config_static_selectorELNS0_4arch9wavefront6targetE1EEEvS19_.numbered_sgpr, 0
	.set _ZN7rocprim17ROCPRIM_400000_NS6detail17trampoline_kernelINS0_14default_configENS1_22reduce_config_selectorIN6thrust23THRUST_200600_302600_NS5tupleIblNS6_9null_typeES8_S8_S8_S8_S8_S8_S8_EEEEZNS1_11reduce_implILb1ES3_NS6_12zip_iteratorINS7_INS6_11hip_rocprim26transform_input_iterator_tIbPN3c104HalfENS6_6detail10functional5actorINSJ_9compositeIJNSJ_27transparent_binary_operatorINS6_8equal_toIvEEEENSK_INSJ_8argumentILj0EEEEENSJ_5valueISG_EEEEEEEEENSD_19counting_iterator_tIlEES8_S8_S8_S8_S8_S8_S8_S8_EEEEPS9_S9_NSD_9__find_if7functorIS9_EEEE10hipError_tPvRmT1_T2_T3_mT4_P12ihipStream_tbEUlT_E0_NS1_11comp_targetILNS1_3genE9ELNS1_11target_archE1100ELNS1_3gpuE3ELNS1_3repE0EEENS1_30default_config_static_selectorELNS0_4arch9wavefront6targetE1EEEvS19_.num_named_barrier, 0
	.set _ZN7rocprim17ROCPRIM_400000_NS6detail17trampoline_kernelINS0_14default_configENS1_22reduce_config_selectorIN6thrust23THRUST_200600_302600_NS5tupleIblNS6_9null_typeES8_S8_S8_S8_S8_S8_S8_EEEEZNS1_11reduce_implILb1ES3_NS6_12zip_iteratorINS7_INS6_11hip_rocprim26transform_input_iterator_tIbPN3c104HalfENS6_6detail10functional5actorINSJ_9compositeIJNSJ_27transparent_binary_operatorINS6_8equal_toIvEEEENSK_INSJ_8argumentILj0EEEEENSJ_5valueISG_EEEEEEEEENSD_19counting_iterator_tIlEES8_S8_S8_S8_S8_S8_S8_S8_EEEEPS9_S9_NSD_9__find_if7functorIS9_EEEE10hipError_tPvRmT1_T2_T3_mT4_P12ihipStream_tbEUlT_E0_NS1_11comp_targetILNS1_3genE9ELNS1_11target_archE1100ELNS1_3gpuE3ELNS1_3repE0EEENS1_30default_config_static_selectorELNS0_4arch9wavefront6targetE1EEEvS19_.private_seg_size, 0
	.set _ZN7rocprim17ROCPRIM_400000_NS6detail17trampoline_kernelINS0_14default_configENS1_22reduce_config_selectorIN6thrust23THRUST_200600_302600_NS5tupleIblNS6_9null_typeES8_S8_S8_S8_S8_S8_S8_EEEEZNS1_11reduce_implILb1ES3_NS6_12zip_iteratorINS7_INS6_11hip_rocprim26transform_input_iterator_tIbPN3c104HalfENS6_6detail10functional5actorINSJ_9compositeIJNSJ_27transparent_binary_operatorINS6_8equal_toIvEEEENSK_INSJ_8argumentILj0EEEEENSJ_5valueISG_EEEEEEEEENSD_19counting_iterator_tIlEES8_S8_S8_S8_S8_S8_S8_S8_EEEEPS9_S9_NSD_9__find_if7functorIS9_EEEE10hipError_tPvRmT1_T2_T3_mT4_P12ihipStream_tbEUlT_E0_NS1_11comp_targetILNS1_3genE9ELNS1_11target_archE1100ELNS1_3gpuE3ELNS1_3repE0EEENS1_30default_config_static_selectorELNS0_4arch9wavefront6targetE1EEEvS19_.uses_vcc, 0
	.set _ZN7rocprim17ROCPRIM_400000_NS6detail17trampoline_kernelINS0_14default_configENS1_22reduce_config_selectorIN6thrust23THRUST_200600_302600_NS5tupleIblNS6_9null_typeES8_S8_S8_S8_S8_S8_S8_EEEEZNS1_11reduce_implILb1ES3_NS6_12zip_iteratorINS7_INS6_11hip_rocprim26transform_input_iterator_tIbPN3c104HalfENS6_6detail10functional5actorINSJ_9compositeIJNSJ_27transparent_binary_operatorINS6_8equal_toIvEEEENSK_INSJ_8argumentILj0EEEEENSJ_5valueISG_EEEEEEEEENSD_19counting_iterator_tIlEES8_S8_S8_S8_S8_S8_S8_S8_EEEEPS9_S9_NSD_9__find_if7functorIS9_EEEE10hipError_tPvRmT1_T2_T3_mT4_P12ihipStream_tbEUlT_E0_NS1_11comp_targetILNS1_3genE9ELNS1_11target_archE1100ELNS1_3gpuE3ELNS1_3repE0EEENS1_30default_config_static_selectorELNS0_4arch9wavefront6targetE1EEEvS19_.uses_flat_scratch, 0
	.set _ZN7rocprim17ROCPRIM_400000_NS6detail17trampoline_kernelINS0_14default_configENS1_22reduce_config_selectorIN6thrust23THRUST_200600_302600_NS5tupleIblNS6_9null_typeES8_S8_S8_S8_S8_S8_S8_EEEEZNS1_11reduce_implILb1ES3_NS6_12zip_iteratorINS7_INS6_11hip_rocprim26transform_input_iterator_tIbPN3c104HalfENS6_6detail10functional5actorINSJ_9compositeIJNSJ_27transparent_binary_operatorINS6_8equal_toIvEEEENSK_INSJ_8argumentILj0EEEEENSJ_5valueISG_EEEEEEEEENSD_19counting_iterator_tIlEES8_S8_S8_S8_S8_S8_S8_S8_EEEEPS9_S9_NSD_9__find_if7functorIS9_EEEE10hipError_tPvRmT1_T2_T3_mT4_P12ihipStream_tbEUlT_E0_NS1_11comp_targetILNS1_3genE9ELNS1_11target_archE1100ELNS1_3gpuE3ELNS1_3repE0EEENS1_30default_config_static_selectorELNS0_4arch9wavefront6targetE1EEEvS19_.has_dyn_sized_stack, 0
	.set _ZN7rocprim17ROCPRIM_400000_NS6detail17trampoline_kernelINS0_14default_configENS1_22reduce_config_selectorIN6thrust23THRUST_200600_302600_NS5tupleIblNS6_9null_typeES8_S8_S8_S8_S8_S8_S8_EEEEZNS1_11reduce_implILb1ES3_NS6_12zip_iteratorINS7_INS6_11hip_rocprim26transform_input_iterator_tIbPN3c104HalfENS6_6detail10functional5actorINSJ_9compositeIJNSJ_27transparent_binary_operatorINS6_8equal_toIvEEEENSK_INSJ_8argumentILj0EEEEENSJ_5valueISG_EEEEEEEEENSD_19counting_iterator_tIlEES8_S8_S8_S8_S8_S8_S8_S8_EEEEPS9_S9_NSD_9__find_if7functorIS9_EEEE10hipError_tPvRmT1_T2_T3_mT4_P12ihipStream_tbEUlT_E0_NS1_11comp_targetILNS1_3genE9ELNS1_11target_archE1100ELNS1_3gpuE3ELNS1_3repE0EEENS1_30default_config_static_selectorELNS0_4arch9wavefront6targetE1EEEvS19_.has_recursion, 0
	.set _ZN7rocprim17ROCPRIM_400000_NS6detail17trampoline_kernelINS0_14default_configENS1_22reduce_config_selectorIN6thrust23THRUST_200600_302600_NS5tupleIblNS6_9null_typeES8_S8_S8_S8_S8_S8_S8_EEEEZNS1_11reduce_implILb1ES3_NS6_12zip_iteratorINS7_INS6_11hip_rocprim26transform_input_iterator_tIbPN3c104HalfENS6_6detail10functional5actorINSJ_9compositeIJNSJ_27transparent_binary_operatorINS6_8equal_toIvEEEENSK_INSJ_8argumentILj0EEEEENSJ_5valueISG_EEEEEEEEENSD_19counting_iterator_tIlEES8_S8_S8_S8_S8_S8_S8_S8_EEEEPS9_S9_NSD_9__find_if7functorIS9_EEEE10hipError_tPvRmT1_T2_T3_mT4_P12ihipStream_tbEUlT_E0_NS1_11comp_targetILNS1_3genE9ELNS1_11target_archE1100ELNS1_3gpuE3ELNS1_3repE0EEENS1_30default_config_static_selectorELNS0_4arch9wavefront6targetE1EEEvS19_.has_indirect_call, 0
	.section	.AMDGPU.csdata,"",@progbits
; Kernel info:
; codeLenInByte = 0
; TotalNumSgprs: 4
; NumVgprs: 0
; ScratchSize: 0
; MemoryBound: 0
; FloatMode: 240
; IeeeMode: 1
; LDSByteSize: 0 bytes/workgroup (compile time only)
; SGPRBlocks: 0
; VGPRBlocks: 0
; NumSGPRsForWavesPerEU: 4
; NumVGPRsForWavesPerEU: 1
; Occupancy: 10
; WaveLimiterHint : 0
; COMPUTE_PGM_RSRC2:SCRATCH_EN: 0
; COMPUTE_PGM_RSRC2:USER_SGPR: 6
; COMPUTE_PGM_RSRC2:TRAP_HANDLER: 0
; COMPUTE_PGM_RSRC2:TGID_X_EN: 1
; COMPUTE_PGM_RSRC2:TGID_Y_EN: 0
; COMPUTE_PGM_RSRC2:TGID_Z_EN: 0
; COMPUTE_PGM_RSRC2:TIDIG_COMP_CNT: 0
	.section	.text._ZN7rocprim17ROCPRIM_400000_NS6detail17trampoline_kernelINS0_14default_configENS1_22reduce_config_selectorIN6thrust23THRUST_200600_302600_NS5tupleIblNS6_9null_typeES8_S8_S8_S8_S8_S8_S8_EEEEZNS1_11reduce_implILb1ES3_NS6_12zip_iteratorINS7_INS6_11hip_rocprim26transform_input_iterator_tIbPN3c104HalfENS6_6detail10functional5actorINSJ_9compositeIJNSJ_27transparent_binary_operatorINS6_8equal_toIvEEEENSK_INSJ_8argumentILj0EEEEENSJ_5valueISG_EEEEEEEEENSD_19counting_iterator_tIlEES8_S8_S8_S8_S8_S8_S8_S8_EEEEPS9_S9_NSD_9__find_if7functorIS9_EEEE10hipError_tPvRmT1_T2_T3_mT4_P12ihipStream_tbEUlT_E0_NS1_11comp_targetILNS1_3genE8ELNS1_11target_archE1030ELNS1_3gpuE2ELNS1_3repE0EEENS1_30default_config_static_selectorELNS0_4arch9wavefront6targetE1EEEvS19_,"axG",@progbits,_ZN7rocprim17ROCPRIM_400000_NS6detail17trampoline_kernelINS0_14default_configENS1_22reduce_config_selectorIN6thrust23THRUST_200600_302600_NS5tupleIblNS6_9null_typeES8_S8_S8_S8_S8_S8_S8_EEEEZNS1_11reduce_implILb1ES3_NS6_12zip_iteratorINS7_INS6_11hip_rocprim26transform_input_iterator_tIbPN3c104HalfENS6_6detail10functional5actorINSJ_9compositeIJNSJ_27transparent_binary_operatorINS6_8equal_toIvEEEENSK_INSJ_8argumentILj0EEEEENSJ_5valueISG_EEEEEEEEENSD_19counting_iterator_tIlEES8_S8_S8_S8_S8_S8_S8_S8_EEEEPS9_S9_NSD_9__find_if7functorIS9_EEEE10hipError_tPvRmT1_T2_T3_mT4_P12ihipStream_tbEUlT_E0_NS1_11comp_targetILNS1_3genE8ELNS1_11target_archE1030ELNS1_3gpuE2ELNS1_3repE0EEENS1_30default_config_static_selectorELNS0_4arch9wavefront6targetE1EEEvS19_,comdat
	.protected	_ZN7rocprim17ROCPRIM_400000_NS6detail17trampoline_kernelINS0_14default_configENS1_22reduce_config_selectorIN6thrust23THRUST_200600_302600_NS5tupleIblNS6_9null_typeES8_S8_S8_S8_S8_S8_S8_EEEEZNS1_11reduce_implILb1ES3_NS6_12zip_iteratorINS7_INS6_11hip_rocprim26transform_input_iterator_tIbPN3c104HalfENS6_6detail10functional5actorINSJ_9compositeIJNSJ_27transparent_binary_operatorINS6_8equal_toIvEEEENSK_INSJ_8argumentILj0EEEEENSJ_5valueISG_EEEEEEEEENSD_19counting_iterator_tIlEES8_S8_S8_S8_S8_S8_S8_S8_EEEEPS9_S9_NSD_9__find_if7functorIS9_EEEE10hipError_tPvRmT1_T2_T3_mT4_P12ihipStream_tbEUlT_E0_NS1_11comp_targetILNS1_3genE8ELNS1_11target_archE1030ELNS1_3gpuE2ELNS1_3repE0EEENS1_30default_config_static_selectorELNS0_4arch9wavefront6targetE1EEEvS19_ ; -- Begin function _ZN7rocprim17ROCPRIM_400000_NS6detail17trampoline_kernelINS0_14default_configENS1_22reduce_config_selectorIN6thrust23THRUST_200600_302600_NS5tupleIblNS6_9null_typeES8_S8_S8_S8_S8_S8_S8_EEEEZNS1_11reduce_implILb1ES3_NS6_12zip_iteratorINS7_INS6_11hip_rocprim26transform_input_iterator_tIbPN3c104HalfENS6_6detail10functional5actorINSJ_9compositeIJNSJ_27transparent_binary_operatorINS6_8equal_toIvEEEENSK_INSJ_8argumentILj0EEEEENSJ_5valueISG_EEEEEEEEENSD_19counting_iterator_tIlEES8_S8_S8_S8_S8_S8_S8_S8_EEEEPS9_S9_NSD_9__find_if7functorIS9_EEEE10hipError_tPvRmT1_T2_T3_mT4_P12ihipStream_tbEUlT_E0_NS1_11comp_targetILNS1_3genE8ELNS1_11target_archE1030ELNS1_3gpuE2ELNS1_3repE0EEENS1_30default_config_static_selectorELNS0_4arch9wavefront6targetE1EEEvS19_
	.globl	_ZN7rocprim17ROCPRIM_400000_NS6detail17trampoline_kernelINS0_14default_configENS1_22reduce_config_selectorIN6thrust23THRUST_200600_302600_NS5tupleIblNS6_9null_typeES8_S8_S8_S8_S8_S8_S8_EEEEZNS1_11reduce_implILb1ES3_NS6_12zip_iteratorINS7_INS6_11hip_rocprim26transform_input_iterator_tIbPN3c104HalfENS6_6detail10functional5actorINSJ_9compositeIJNSJ_27transparent_binary_operatorINS6_8equal_toIvEEEENSK_INSJ_8argumentILj0EEEEENSJ_5valueISG_EEEEEEEEENSD_19counting_iterator_tIlEES8_S8_S8_S8_S8_S8_S8_S8_EEEEPS9_S9_NSD_9__find_if7functorIS9_EEEE10hipError_tPvRmT1_T2_T3_mT4_P12ihipStream_tbEUlT_E0_NS1_11comp_targetILNS1_3genE8ELNS1_11target_archE1030ELNS1_3gpuE2ELNS1_3repE0EEENS1_30default_config_static_selectorELNS0_4arch9wavefront6targetE1EEEvS19_
	.p2align	8
	.type	_ZN7rocprim17ROCPRIM_400000_NS6detail17trampoline_kernelINS0_14default_configENS1_22reduce_config_selectorIN6thrust23THRUST_200600_302600_NS5tupleIblNS6_9null_typeES8_S8_S8_S8_S8_S8_S8_EEEEZNS1_11reduce_implILb1ES3_NS6_12zip_iteratorINS7_INS6_11hip_rocprim26transform_input_iterator_tIbPN3c104HalfENS6_6detail10functional5actorINSJ_9compositeIJNSJ_27transparent_binary_operatorINS6_8equal_toIvEEEENSK_INSJ_8argumentILj0EEEEENSJ_5valueISG_EEEEEEEEENSD_19counting_iterator_tIlEES8_S8_S8_S8_S8_S8_S8_S8_EEEEPS9_S9_NSD_9__find_if7functorIS9_EEEE10hipError_tPvRmT1_T2_T3_mT4_P12ihipStream_tbEUlT_E0_NS1_11comp_targetILNS1_3genE8ELNS1_11target_archE1030ELNS1_3gpuE2ELNS1_3repE0EEENS1_30default_config_static_selectorELNS0_4arch9wavefront6targetE1EEEvS19_,@function
_ZN7rocprim17ROCPRIM_400000_NS6detail17trampoline_kernelINS0_14default_configENS1_22reduce_config_selectorIN6thrust23THRUST_200600_302600_NS5tupleIblNS6_9null_typeES8_S8_S8_S8_S8_S8_S8_EEEEZNS1_11reduce_implILb1ES3_NS6_12zip_iteratorINS7_INS6_11hip_rocprim26transform_input_iterator_tIbPN3c104HalfENS6_6detail10functional5actorINSJ_9compositeIJNSJ_27transparent_binary_operatorINS6_8equal_toIvEEEENSK_INSJ_8argumentILj0EEEEENSJ_5valueISG_EEEEEEEEENSD_19counting_iterator_tIlEES8_S8_S8_S8_S8_S8_S8_S8_EEEEPS9_S9_NSD_9__find_if7functorIS9_EEEE10hipError_tPvRmT1_T2_T3_mT4_P12ihipStream_tbEUlT_E0_NS1_11comp_targetILNS1_3genE8ELNS1_11target_archE1030ELNS1_3gpuE2ELNS1_3repE0EEENS1_30default_config_static_selectorELNS0_4arch9wavefront6targetE1EEEvS19_: ; @_ZN7rocprim17ROCPRIM_400000_NS6detail17trampoline_kernelINS0_14default_configENS1_22reduce_config_selectorIN6thrust23THRUST_200600_302600_NS5tupleIblNS6_9null_typeES8_S8_S8_S8_S8_S8_S8_EEEEZNS1_11reduce_implILb1ES3_NS6_12zip_iteratorINS7_INS6_11hip_rocprim26transform_input_iterator_tIbPN3c104HalfENS6_6detail10functional5actorINSJ_9compositeIJNSJ_27transparent_binary_operatorINS6_8equal_toIvEEEENSK_INSJ_8argumentILj0EEEEENSJ_5valueISG_EEEEEEEEENSD_19counting_iterator_tIlEES8_S8_S8_S8_S8_S8_S8_S8_EEEEPS9_S9_NSD_9__find_if7functorIS9_EEEE10hipError_tPvRmT1_T2_T3_mT4_P12ihipStream_tbEUlT_E0_NS1_11comp_targetILNS1_3genE8ELNS1_11target_archE1030ELNS1_3gpuE2ELNS1_3repE0EEENS1_30default_config_static_selectorELNS0_4arch9wavefront6targetE1EEEvS19_
; %bb.0:
	.section	.rodata,"a",@progbits
	.p2align	6, 0x0
	.amdhsa_kernel _ZN7rocprim17ROCPRIM_400000_NS6detail17trampoline_kernelINS0_14default_configENS1_22reduce_config_selectorIN6thrust23THRUST_200600_302600_NS5tupleIblNS6_9null_typeES8_S8_S8_S8_S8_S8_S8_EEEEZNS1_11reduce_implILb1ES3_NS6_12zip_iteratorINS7_INS6_11hip_rocprim26transform_input_iterator_tIbPN3c104HalfENS6_6detail10functional5actorINSJ_9compositeIJNSJ_27transparent_binary_operatorINS6_8equal_toIvEEEENSK_INSJ_8argumentILj0EEEEENSJ_5valueISG_EEEEEEEEENSD_19counting_iterator_tIlEES8_S8_S8_S8_S8_S8_S8_S8_EEEEPS9_S9_NSD_9__find_if7functorIS9_EEEE10hipError_tPvRmT1_T2_T3_mT4_P12ihipStream_tbEUlT_E0_NS1_11comp_targetILNS1_3genE8ELNS1_11target_archE1030ELNS1_3gpuE2ELNS1_3repE0EEENS1_30default_config_static_selectorELNS0_4arch9wavefront6targetE1EEEvS19_
		.amdhsa_group_segment_fixed_size 0
		.amdhsa_private_segment_fixed_size 0
		.amdhsa_kernarg_size 88
		.amdhsa_user_sgpr_count 6
		.amdhsa_user_sgpr_private_segment_buffer 1
		.amdhsa_user_sgpr_dispatch_ptr 0
		.amdhsa_user_sgpr_queue_ptr 0
		.amdhsa_user_sgpr_kernarg_segment_ptr 1
		.amdhsa_user_sgpr_dispatch_id 0
		.amdhsa_user_sgpr_flat_scratch_init 0
		.amdhsa_user_sgpr_private_segment_size 0
		.amdhsa_uses_dynamic_stack 0
		.amdhsa_system_sgpr_private_segment_wavefront_offset 0
		.amdhsa_system_sgpr_workgroup_id_x 1
		.amdhsa_system_sgpr_workgroup_id_y 0
		.amdhsa_system_sgpr_workgroup_id_z 0
		.amdhsa_system_sgpr_workgroup_info 0
		.amdhsa_system_vgpr_workitem_id 0
		.amdhsa_next_free_vgpr 1
		.amdhsa_next_free_sgpr 0
		.amdhsa_reserve_vcc 0
		.amdhsa_reserve_flat_scratch 0
		.amdhsa_float_round_mode_32 0
		.amdhsa_float_round_mode_16_64 0
		.amdhsa_float_denorm_mode_32 3
		.amdhsa_float_denorm_mode_16_64 3
		.amdhsa_dx10_clamp 1
		.amdhsa_ieee_mode 1
		.amdhsa_fp16_overflow 0
		.amdhsa_exception_fp_ieee_invalid_op 0
		.amdhsa_exception_fp_denorm_src 0
		.amdhsa_exception_fp_ieee_div_zero 0
		.amdhsa_exception_fp_ieee_overflow 0
		.amdhsa_exception_fp_ieee_underflow 0
		.amdhsa_exception_fp_ieee_inexact 0
		.amdhsa_exception_int_div_zero 0
	.end_amdhsa_kernel
	.section	.text._ZN7rocprim17ROCPRIM_400000_NS6detail17trampoline_kernelINS0_14default_configENS1_22reduce_config_selectorIN6thrust23THRUST_200600_302600_NS5tupleIblNS6_9null_typeES8_S8_S8_S8_S8_S8_S8_EEEEZNS1_11reduce_implILb1ES3_NS6_12zip_iteratorINS7_INS6_11hip_rocprim26transform_input_iterator_tIbPN3c104HalfENS6_6detail10functional5actorINSJ_9compositeIJNSJ_27transparent_binary_operatorINS6_8equal_toIvEEEENSK_INSJ_8argumentILj0EEEEENSJ_5valueISG_EEEEEEEEENSD_19counting_iterator_tIlEES8_S8_S8_S8_S8_S8_S8_S8_EEEEPS9_S9_NSD_9__find_if7functorIS9_EEEE10hipError_tPvRmT1_T2_T3_mT4_P12ihipStream_tbEUlT_E0_NS1_11comp_targetILNS1_3genE8ELNS1_11target_archE1030ELNS1_3gpuE2ELNS1_3repE0EEENS1_30default_config_static_selectorELNS0_4arch9wavefront6targetE1EEEvS19_,"axG",@progbits,_ZN7rocprim17ROCPRIM_400000_NS6detail17trampoline_kernelINS0_14default_configENS1_22reduce_config_selectorIN6thrust23THRUST_200600_302600_NS5tupleIblNS6_9null_typeES8_S8_S8_S8_S8_S8_S8_EEEEZNS1_11reduce_implILb1ES3_NS6_12zip_iteratorINS7_INS6_11hip_rocprim26transform_input_iterator_tIbPN3c104HalfENS6_6detail10functional5actorINSJ_9compositeIJNSJ_27transparent_binary_operatorINS6_8equal_toIvEEEENSK_INSJ_8argumentILj0EEEEENSJ_5valueISG_EEEEEEEEENSD_19counting_iterator_tIlEES8_S8_S8_S8_S8_S8_S8_S8_EEEEPS9_S9_NSD_9__find_if7functorIS9_EEEE10hipError_tPvRmT1_T2_T3_mT4_P12ihipStream_tbEUlT_E0_NS1_11comp_targetILNS1_3genE8ELNS1_11target_archE1030ELNS1_3gpuE2ELNS1_3repE0EEENS1_30default_config_static_selectorELNS0_4arch9wavefront6targetE1EEEvS19_,comdat
.Lfunc_end2242:
	.size	_ZN7rocprim17ROCPRIM_400000_NS6detail17trampoline_kernelINS0_14default_configENS1_22reduce_config_selectorIN6thrust23THRUST_200600_302600_NS5tupleIblNS6_9null_typeES8_S8_S8_S8_S8_S8_S8_EEEEZNS1_11reduce_implILb1ES3_NS6_12zip_iteratorINS7_INS6_11hip_rocprim26transform_input_iterator_tIbPN3c104HalfENS6_6detail10functional5actorINSJ_9compositeIJNSJ_27transparent_binary_operatorINS6_8equal_toIvEEEENSK_INSJ_8argumentILj0EEEEENSJ_5valueISG_EEEEEEEEENSD_19counting_iterator_tIlEES8_S8_S8_S8_S8_S8_S8_S8_EEEEPS9_S9_NSD_9__find_if7functorIS9_EEEE10hipError_tPvRmT1_T2_T3_mT4_P12ihipStream_tbEUlT_E0_NS1_11comp_targetILNS1_3genE8ELNS1_11target_archE1030ELNS1_3gpuE2ELNS1_3repE0EEENS1_30default_config_static_selectorELNS0_4arch9wavefront6targetE1EEEvS19_, .Lfunc_end2242-_ZN7rocprim17ROCPRIM_400000_NS6detail17trampoline_kernelINS0_14default_configENS1_22reduce_config_selectorIN6thrust23THRUST_200600_302600_NS5tupleIblNS6_9null_typeES8_S8_S8_S8_S8_S8_S8_EEEEZNS1_11reduce_implILb1ES3_NS6_12zip_iteratorINS7_INS6_11hip_rocprim26transform_input_iterator_tIbPN3c104HalfENS6_6detail10functional5actorINSJ_9compositeIJNSJ_27transparent_binary_operatorINS6_8equal_toIvEEEENSK_INSJ_8argumentILj0EEEEENSJ_5valueISG_EEEEEEEEENSD_19counting_iterator_tIlEES8_S8_S8_S8_S8_S8_S8_S8_EEEEPS9_S9_NSD_9__find_if7functorIS9_EEEE10hipError_tPvRmT1_T2_T3_mT4_P12ihipStream_tbEUlT_E0_NS1_11comp_targetILNS1_3genE8ELNS1_11target_archE1030ELNS1_3gpuE2ELNS1_3repE0EEENS1_30default_config_static_selectorELNS0_4arch9wavefront6targetE1EEEvS19_
                                        ; -- End function
	.set _ZN7rocprim17ROCPRIM_400000_NS6detail17trampoline_kernelINS0_14default_configENS1_22reduce_config_selectorIN6thrust23THRUST_200600_302600_NS5tupleIblNS6_9null_typeES8_S8_S8_S8_S8_S8_S8_EEEEZNS1_11reduce_implILb1ES3_NS6_12zip_iteratorINS7_INS6_11hip_rocprim26transform_input_iterator_tIbPN3c104HalfENS6_6detail10functional5actorINSJ_9compositeIJNSJ_27transparent_binary_operatorINS6_8equal_toIvEEEENSK_INSJ_8argumentILj0EEEEENSJ_5valueISG_EEEEEEEEENSD_19counting_iterator_tIlEES8_S8_S8_S8_S8_S8_S8_S8_EEEEPS9_S9_NSD_9__find_if7functorIS9_EEEE10hipError_tPvRmT1_T2_T3_mT4_P12ihipStream_tbEUlT_E0_NS1_11comp_targetILNS1_3genE8ELNS1_11target_archE1030ELNS1_3gpuE2ELNS1_3repE0EEENS1_30default_config_static_selectorELNS0_4arch9wavefront6targetE1EEEvS19_.num_vgpr, 0
	.set _ZN7rocprim17ROCPRIM_400000_NS6detail17trampoline_kernelINS0_14default_configENS1_22reduce_config_selectorIN6thrust23THRUST_200600_302600_NS5tupleIblNS6_9null_typeES8_S8_S8_S8_S8_S8_S8_EEEEZNS1_11reduce_implILb1ES3_NS6_12zip_iteratorINS7_INS6_11hip_rocprim26transform_input_iterator_tIbPN3c104HalfENS6_6detail10functional5actorINSJ_9compositeIJNSJ_27transparent_binary_operatorINS6_8equal_toIvEEEENSK_INSJ_8argumentILj0EEEEENSJ_5valueISG_EEEEEEEEENSD_19counting_iterator_tIlEES8_S8_S8_S8_S8_S8_S8_S8_EEEEPS9_S9_NSD_9__find_if7functorIS9_EEEE10hipError_tPvRmT1_T2_T3_mT4_P12ihipStream_tbEUlT_E0_NS1_11comp_targetILNS1_3genE8ELNS1_11target_archE1030ELNS1_3gpuE2ELNS1_3repE0EEENS1_30default_config_static_selectorELNS0_4arch9wavefront6targetE1EEEvS19_.num_agpr, 0
	.set _ZN7rocprim17ROCPRIM_400000_NS6detail17trampoline_kernelINS0_14default_configENS1_22reduce_config_selectorIN6thrust23THRUST_200600_302600_NS5tupleIblNS6_9null_typeES8_S8_S8_S8_S8_S8_S8_EEEEZNS1_11reduce_implILb1ES3_NS6_12zip_iteratorINS7_INS6_11hip_rocprim26transform_input_iterator_tIbPN3c104HalfENS6_6detail10functional5actorINSJ_9compositeIJNSJ_27transparent_binary_operatorINS6_8equal_toIvEEEENSK_INSJ_8argumentILj0EEEEENSJ_5valueISG_EEEEEEEEENSD_19counting_iterator_tIlEES8_S8_S8_S8_S8_S8_S8_S8_EEEEPS9_S9_NSD_9__find_if7functorIS9_EEEE10hipError_tPvRmT1_T2_T3_mT4_P12ihipStream_tbEUlT_E0_NS1_11comp_targetILNS1_3genE8ELNS1_11target_archE1030ELNS1_3gpuE2ELNS1_3repE0EEENS1_30default_config_static_selectorELNS0_4arch9wavefront6targetE1EEEvS19_.numbered_sgpr, 0
	.set _ZN7rocprim17ROCPRIM_400000_NS6detail17trampoline_kernelINS0_14default_configENS1_22reduce_config_selectorIN6thrust23THRUST_200600_302600_NS5tupleIblNS6_9null_typeES8_S8_S8_S8_S8_S8_S8_EEEEZNS1_11reduce_implILb1ES3_NS6_12zip_iteratorINS7_INS6_11hip_rocprim26transform_input_iterator_tIbPN3c104HalfENS6_6detail10functional5actorINSJ_9compositeIJNSJ_27transparent_binary_operatorINS6_8equal_toIvEEEENSK_INSJ_8argumentILj0EEEEENSJ_5valueISG_EEEEEEEEENSD_19counting_iterator_tIlEES8_S8_S8_S8_S8_S8_S8_S8_EEEEPS9_S9_NSD_9__find_if7functorIS9_EEEE10hipError_tPvRmT1_T2_T3_mT4_P12ihipStream_tbEUlT_E0_NS1_11comp_targetILNS1_3genE8ELNS1_11target_archE1030ELNS1_3gpuE2ELNS1_3repE0EEENS1_30default_config_static_selectorELNS0_4arch9wavefront6targetE1EEEvS19_.num_named_barrier, 0
	.set _ZN7rocprim17ROCPRIM_400000_NS6detail17trampoline_kernelINS0_14default_configENS1_22reduce_config_selectorIN6thrust23THRUST_200600_302600_NS5tupleIblNS6_9null_typeES8_S8_S8_S8_S8_S8_S8_EEEEZNS1_11reduce_implILb1ES3_NS6_12zip_iteratorINS7_INS6_11hip_rocprim26transform_input_iterator_tIbPN3c104HalfENS6_6detail10functional5actorINSJ_9compositeIJNSJ_27transparent_binary_operatorINS6_8equal_toIvEEEENSK_INSJ_8argumentILj0EEEEENSJ_5valueISG_EEEEEEEEENSD_19counting_iterator_tIlEES8_S8_S8_S8_S8_S8_S8_S8_EEEEPS9_S9_NSD_9__find_if7functorIS9_EEEE10hipError_tPvRmT1_T2_T3_mT4_P12ihipStream_tbEUlT_E0_NS1_11comp_targetILNS1_3genE8ELNS1_11target_archE1030ELNS1_3gpuE2ELNS1_3repE0EEENS1_30default_config_static_selectorELNS0_4arch9wavefront6targetE1EEEvS19_.private_seg_size, 0
	.set _ZN7rocprim17ROCPRIM_400000_NS6detail17trampoline_kernelINS0_14default_configENS1_22reduce_config_selectorIN6thrust23THRUST_200600_302600_NS5tupleIblNS6_9null_typeES8_S8_S8_S8_S8_S8_S8_EEEEZNS1_11reduce_implILb1ES3_NS6_12zip_iteratorINS7_INS6_11hip_rocprim26transform_input_iterator_tIbPN3c104HalfENS6_6detail10functional5actorINSJ_9compositeIJNSJ_27transparent_binary_operatorINS6_8equal_toIvEEEENSK_INSJ_8argumentILj0EEEEENSJ_5valueISG_EEEEEEEEENSD_19counting_iterator_tIlEES8_S8_S8_S8_S8_S8_S8_S8_EEEEPS9_S9_NSD_9__find_if7functorIS9_EEEE10hipError_tPvRmT1_T2_T3_mT4_P12ihipStream_tbEUlT_E0_NS1_11comp_targetILNS1_3genE8ELNS1_11target_archE1030ELNS1_3gpuE2ELNS1_3repE0EEENS1_30default_config_static_selectorELNS0_4arch9wavefront6targetE1EEEvS19_.uses_vcc, 0
	.set _ZN7rocprim17ROCPRIM_400000_NS6detail17trampoline_kernelINS0_14default_configENS1_22reduce_config_selectorIN6thrust23THRUST_200600_302600_NS5tupleIblNS6_9null_typeES8_S8_S8_S8_S8_S8_S8_EEEEZNS1_11reduce_implILb1ES3_NS6_12zip_iteratorINS7_INS6_11hip_rocprim26transform_input_iterator_tIbPN3c104HalfENS6_6detail10functional5actorINSJ_9compositeIJNSJ_27transparent_binary_operatorINS6_8equal_toIvEEEENSK_INSJ_8argumentILj0EEEEENSJ_5valueISG_EEEEEEEEENSD_19counting_iterator_tIlEES8_S8_S8_S8_S8_S8_S8_S8_EEEEPS9_S9_NSD_9__find_if7functorIS9_EEEE10hipError_tPvRmT1_T2_T3_mT4_P12ihipStream_tbEUlT_E0_NS1_11comp_targetILNS1_3genE8ELNS1_11target_archE1030ELNS1_3gpuE2ELNS1_3repE0EEENS1_30default_config_static_selectorELNS0_4arch9wavefront6targetE1EEEvS19_.uses_flat_scratch, 0
	.set _ZN7rocprim17ROCPRIM_400000_NS6detail17trampoline_kernelINS0_14default_configENS1_22reduce_config_selectorIN6thrust23THRUST_200600_302600_NS5tupleIblNS6_9null_typeES8_S8_S8_S8_S8_S8_S8_EEEEZNS1_11reduce_implILb1ES3_NS6_12zip_iteratorINS7_INS6_11hip_rocprim26transform_input_iterator_tIbPN3c104HalfENS6_6detail10functional5actorINSJ_9compositeIJNSJ_27transparent_binary_operatorINS6_8equal_toIvEEEENSK_INSJ_8argumentILj0EEEEENSJ_5valueISG_EEEEEEEEENSD_19counting_iterator_tIlEES8_S8_S8_S8_S8_S8_S8_S8_EEEEPS9_S9_NSD_9__find_if7functorIS9_EEEE10hipError_tPvRmT1_T2_T3_mT4_P12ihipStream_tbEUlT_E0_NS1_11comp_targetILNS1_3genE8ELNS1_11target_archE1030ELNS1_3gpuE2ELNS1_3repE0EEENS1_30default_config_static_selectorELNS0_4arch9wavefront6targetE1EEEvS19_.has_dyn_sized_stack, 0
	.set _ZN7rocprim17ROCPRIM_400000_NS6detail17trampoline_kernelINS0_14default_configENS1_22reduce_config_selectorIN6thrust23THRUST_200600_302600_NS5tupleIblNS6_9null_typeES8_S8_S8_S8_S8_S8_S8_EEEEZNS1_11reduce_implILb1ES3_NS6_12zip_iteratorINS7_INS6_11hip_rocprim26transform_input_iterator_tIbPN3c104HalfENS6_6detail10functional5actorINSJ_9compositeIJNSJ_27transparent_binary_operatorINS6_8equal_toIvEEEENSK_INSJ_8argumentILj0EEEEENSJ_5valueISG_EEEEEEEEENSD_19counting_iterator_tIlEES8_S8_S8_S8_S8_S8_S8_S8_EEEEPS9_S9_NSD_9__find_if7functorIS9_EEEE10hipError_tPvRmT1_T2_T3_mT4_P12ihipStream_tbEUlT_E0_NS1_11comp_targetILNS1_3genE8ELNS1_11target_archE1030ELNS1_3gpuE2ELNS1_3repE0EEENS1_30default_config_static_selectorELNS0_4arch9wavefront6targetE1EEEvS19_.has_recursion, 0
	.set _ZN7rocprim17ROCPRIM_400000_NS6detail17trampoline_kernelINS0_14default_configENS1_22reduce_config_selectorIN6thrust23THRUST_200600_302600_NS5tupleIblNS6_9null_typeES8_S8_S8_S8_S8_S8_S8_EEEEZNS1_11reduce_implILb1ES3_NS6_12zip_iteratorINS7_INS6_11hip_rocprim26transform_input_iterator_tIbPN3c104HalfENS6_6detail10functional5actorINSJ_9compositeIJNSJ_27transparent_binary_operatorINS6_8equal_toIvEEEENSK_INSJ_8argumentILj0EEEEENSJ_5valueISG_EEEEEEEEENSD_19counting_iterator_tIlEES8_S8_S8_S8_S8_S8_S8_S8_EEEEPS9_S9_NSD_9__find_if7functorIS9_EEEE10hipError_tPvRmT1_T2_T3_mT4_P12ihipStream_tbEUlT_E0_NS1_11comp_targetILNS1_3genE8ELNS1_11target_archE1030ELNS1_3gpuE2ELNS1_3repE0EEENS1_30default_config_static_selectorELNS0_4arch9wavefront6targetE1EEEvS19_.has_indirect_call, 0
	.section	.AMDGPU.csdata,"",@progbits
; Kernel info:
; codeLenInByte = 0
; TotalNumSgprs: 4
; NumVgprs: 0
; ScratchSize: 0
; MemoryBound: 0
; FloatMode: 240
; IeeeMode: 1
; LDSByteSize: 0 bytes/workgroup (compile time only)
; SGPRBlocks: 0
; VGPRBlocks: 0
; NumSGPRsForWavesPerEU: 4
; NumVGPRsForWavesPerEU: 1
; Occupancy: 10
; WaveLimiterHint : 0
; COMPUTE_PGM_RSRC2:SCRATCH_EN: 0
; COMPUTE_PGM_RSRC2:USER_SGPR: 6
; COMPUTE_PGM_RSRC2:TRAP_HANDLER: 0
; COMPUTE_PGM_RSRC2:TGID_X_EN: 1
; COMPUTE_PGM_RSRC2:TGID_Y_EN: 0
; COMPUTE_PGM_RSRC2:TGID_Z_EN: 0
; COMPUTE_PGM_RSRC2:TIDIG_COMP_CNT: 0
	.section	.text._ZN7rocprim17ROCPRIM_400000_NS6detail17trampoline_kernelINS0_14default_configENS1_22reduce_config_selectorIN6thrust23THRUST_200600_302600_NS5tupleIblNS6_9null_typeES8_S8_S8_S8_S8_S8_S8_EEEEZNS1_11reduce_implILb1ES3_NS6_12zip_iteratorINS7_INS6_11hip_rocprim26transform_input_iterator_tIbPN3c104HalfENS6_6detail10functional5actorINSJ_9compositeIJNSJ_27transparent_binary_operatorINS6_8equal_toIvEEEENSK_INSJ_8argumentILj0EEEEENSJ_5valueISG_EEEEEEEEENSD_19counting_iterator_tIlEES8_S8_S8_S8_S8_S8_S8_S8_EEEEPS9_S9_NSD_9__find_if7functorIS9_EEEE10hipError_tPvRmT1_T2_T3_mT4_P12ihipStream_tbEUlT_E1_NS1_11comp_targetILNS1_3genE0ELNS1_11target_archE4294967295ELNS1_3gpuE0ELNS1_3repE0EEENS1_30default_config_static_selectorELNS0_4arch9wavefront6targetE1EEEvS19_,"axG",@progbits,_ZN7rocprim17ROCPRIM_400000_NS6detail17trampoline_kernelINS0_14default_configENS1_22reduce_config_selectorIN6thrust23THRUST_200600_302600_NS5tupleIblNS6_9null_typeES8_S8_S8_S8_S8_S8_S8_EEEEZNS1_11reduce_implILb1ES3_NS6_12zip_iteratorINS7_INS6_11hip_rocprim26transform_input_iterator_tIbPN3c104HalfENS6_6detail10functional5actorINSJ_9compositeIJNSJ_27transparent_binary_operatorINS6_8equal_toIvEEEENSK_INSJ_8argumentILj0EEEEENSJ_5valueISG_EEEEEEEEENSD_19counting_iterator_tIlEES8_S8_S8_S8_S8_S8_S8_S8_EEEEPS9_S9_NSD_9__find_if7functorIS9_EEEE10hipError_tPvRmT1_T2_T3_mT4_P12ihipStream_tbEUlT_E1_NS1_11comp_targetILNS1_3genE0ELNS1_11target_archE4294967295ELNS1_3gpuE0ELNS1_3repE0EEENS1_30default_config_static_selectorELNS0_4arch9wavefront6targetE1EEEvS19_,comdat
	.protected	_ZN7rocprim17ROCPRIM_400000_NS6detail17trampoline_kernelINS0_14default_configENS1_22reduce_config_selectorIN6thrust23THRUST_200600_302600_NS5tupleIblNS6_9null_typeES8_S8_S8_S8_S8_S8_S8_EEEEZNS1_11reduce_implILb1ES3_NS6_12zip_iteratorINS7_INS6_11hip_rocprim26transform_input_iterator_tIbPN3c104HalfENS6_6detail10functional5actorINSJ_9compositeIJNSJ_27transparent_binary_operatorINS6_8equal_toIvEEEENSK_INSJ_8argumentILj0EEEEENSJ_5valueISG_EEEEEEEEENSD_19counting_iterator_tIlEES8_S8_S8_S8_S8_S8_S8_S8_EEEEPS9_S9_NSD_9__find_if7functorIS9_EEEE10hipError_tPvRmT1_T2_T3_mT4_P12ihipStream_tbEUlT_E1_NS1_11comp_targetILNS1_3genE0ELNS1_11target_archE4294967295ELNS1_3gpuE0ELNS1_3repE0EEENS1_30default_config_static_selectorELNS0_4arch9wavefront6targetE1EEEvS19_ ; -- Begin function _ZN7rocprim17ROCPRIM_400000_NS6detail17trampoline_kernelINS0_14default_configENS1_22reduce_config_selectorIN6thrust23THRUST_200600_302600_NS5tupleIblNS6_9null_typeES8_S8_S8_S8_S8_S8_S8_EEEEZNS1_11reduce_implILb1ES3_NS6_12zip_iteratorINS7_INS6_11hip_rocprim26transform_input_iterator_tIbPN3c104HalfENS6_6detail10functional5actorINSJ_9compositeIJNSJ_27transparent_binary_operatorINS6_8equal_toIvEEEENSK_INSJ_8argumentILj0EEEEENSJ_5valueISG_EEEEEEEEENSD_19counting_iterator_tIlEES8_S8_S8_S8_S8_S8_S8_S8_EEEEPS9_S9_NSD_9__find_if7functorIS9_EEEE10hipError_tPvRmT1_T2_T3_mT4_P12ihipStream_tbEUlT_E1_NS1_11comp_targetILNS1_3genE0ELNS1_11target_archE4294967295ELNS1_3gpuE0ELNS1_3repE0EEENS1_30default_config_static_selectorELNS0_4arch9wavefront6targetE1EEEvS19_
	.globl	_ZN7rocprim17ROCPRIM_400000_NS6detail17trampoline_kernelINS0_14default_configENS1_22reduce_config_selectorIN6thrust23THRUST_200600_302600_NS5tupleIblNS6_9null_typeES8_S8_S8_S8_S8_S8_S8_EEEEZNS1_11reduce_implILb1ES3_NS6_12zip_iteratorINS7_INS6_11hip_rocprim26transform_input_iterator_tIbPN3c104HalfENS6_6detail10functional5actorINSJ_9compositeIJNSJ_27transparent_binary_operatorINS6_8equal_toIvEEEENSK_INSJ_8argumentILj0EEEEENSJ_5valueISG_EEEEEEEEENSD_19counting_iterator_tIlEES8_S8_S8_S8_S8_S8_S8_S8_EEEEPS9_S9_NSD_9__find_if7functorIS9_EEEE10hipError_tPvRmT1_T2_T3_mT4_P12ihipStream_tbEUlT_E1_NS1_11comp_targetILNS1_3genE0ELNS1_11target_archE4294967295ELNS1_3gpuE0ELNS1_3repE0EEENS1_30default_config_static_selectorELNS0_4arch9wavefront6targetE1EEEvS19_
	.p2align	8
	.type	_ZN7rocprim17ROCPRIM_400000_NS6detail17trampoline_kernelINS0_14default_configENS1_22reduce_config_selectorIN6thrust23THRUST_200600_302600_NS5tupleIblNS6_9null_typeES8_S8_S8_S8_S8_S8_S8_EEEEZNS1_11reduce_implILb1ES3_NS6_12zip_iteratorINS7_INS6_11hip_rocprim26transform_input_iterator_tIbPN3c104HalfENS6_6detail10functional5actorINSJ_9compositeIJNSJ_27transparent_binary_operatorINS6_8equal_toIvEEEENSK_INSJ_8argumentILj0EEEEENSJ_5valueISG_EEEEEEEEENSD_19counting_iterator_tIlEES8_S8_S8_S8_S8_S8_S8_S8_EEEEPS9_S9_NSD_9__find_if7functorIS9_EEEE10hipError_tPvRmT1_T2_T3_mT4_P12ihipStream_tbEUlT_E1_NS1_11comp_targetILNS1_3genE0ELNS1_11target_archE4294967295ELNS1_3gpuE0ELNS1_3repE0EEENS1_30default_config_static_selectorELNS0_4arch9wavefront6targetE1EEEvS19_,@function
_ZN7rocprim17ROCPRIM_400000_NS6detail17trampoline_kernelINS0_14default_configENS1_22reduce_config_selectorIN6thrust23THRUST_200600_302600_NS5tupleIblNS6_9null_typeES8_S8_S8_S8_S8_S8_S8_EEEEZNS1_11reduce_implILb1ES3_NS6_12zip_iteratorINS7_INS6_11hip_rocprim26transform_input_iterator_tIbPN3c104HalfENS6_6detail10functional5actorINSJ_9compositeIJNSJ_27transparent_binary_operatorINS6_8equal_toIvEEEENSK_INSJ_8argumentILj0EEEEENSJ_5valueISG_EEEEEEEEENSD_19counting_iterator_tIlEES8_S8_S8_S8_S8_S8_S8_S8_EEEEPS9_S9_NSD_9__find_if7functorIS9_EEEE10hipError_tPvRmT1_T2_T3_mT4_P12ihipStream_tbEUlT_E1_NS1_11comp_targetILNS1_3genE0ELNS1_11target_archE4294967295ELNS1_3gpuE0ELNS1_3repE0EEENS1_30default_config_static_selectorELNS0_4arch9wavefront6targetE1EEEvS19_: ; @_ZN7rocprim17ROCPRIM_400000_NS6detail17trampoline_kernelINS0_14default_configENS1_22reduce_config_selectorIN6thrust23THRUST_200600_302600_NS5tupleIblNS6_9null_typeES8_S8_S8_S8_S8_S8_S8_EEEEZNS1_11reduce_implILb1ES3_NS6_12zip_iteratorINS7_INS6_11hip_rocprim26transform_input_iterator_tIbPN3c104HalfENS6_6detail10functional5actorINSJ_9compositeIJNSJ_27transparent_binary_operatorINS6_8equal_toIvEEEENSK_INSJ_8argumentILj0EEEEENSJ_5valueISG_EEEEEEEEENSD_19counting_iterator_tIlEES8_S8_S8_S8_S8_S8_S8_S8_EEEEPS9_S9_NSD_9__find_if7functorIS9_EEEE10hipError_tPvRmT1_T2_T3_mT4_P12ihipStream_tbEUlT_E1_NS1_11comp_targetILNS1_3genE0ELNS1_11target_archE4294967295ELNS1_3gpuE0ELNS1_3repE0EEENS1_30default_config_static_selectorELNS0_4arch9wavefront6targetE1EEEvS19_
; %bb.0:
	.section	.rodata,"a",@progbits
	.p2align	6, 0x0
	.amdhsa_kernel _ZN7rocprim17ROCPRIM_400000_NS6detail17trampoline_kernelINS0_14default_configENS1_22reduce_config_selectorIN6thrust23THRUST_200600_302600_NS5tupleIblNS6_9null_typeES8_S8_S8_S8_S8_S8_S8_EEEEZNS1_11reduce_implILb1ES3_NS6_12zip_iteratorINS7_INS6_11hip_rocprim26transform_input_iterator_tIbPN3c104HalfENS6_6detail10functional5actorINSJ_9compositeIJNSJ_27transparent_binary_operatorINS6_8equal_toIvEEEENSK_INSJ_8argumentILj0EEEEENSJ_5valueISG_EEEEEEEEENSD_19counting_iterator_tIlEES8_S8_S8_S8_S8_S8_S8_S8_EEEEPS9_S9_NSD_9__find_if7functorIS9_EEEE10hipError_tPvRmT1_T2_T3_mT4_P12ihipStream_tbEUlT_E1_NS1_11comp_targetILNS1_3genE0ELNS1_11target_archE4294967295ELNS1_3gpuE0ELNS1_3repE0EEENS1_30default_config_static_selectorELNS0_4arch9wavefront6targetE1EEEvS19_
		.amdhsa_group_segment_fixed_size 0
		.amdhsa_private_segment_fixed_size 0
		.amdhsa_kernarg_size 72
		.amdhsa_user_sgpr_count 6
		.amdhsa_user_sgpr_private_segment_buffer 1
		.amdhsa_user_sgpr_dispatch_ptr 0
		.amdhsa_user_sgpr_queue_ptr 0
		.amdhsa_user_sgpr_kernarg_segment_ptr 1
		.amdhsa_user_sgpr_dispatch_id 0
		.amdhsa_user_sgpr_flat_scratch_init 0
		.amdhsa_user_sgpr_private_segment_size 0
		.amdhsa_uses_dynamic_stack 0
		.amdhsa_system_sgpr_private_segment_wavefront_offset 0
		.amdhsa_system_sgpr_workgroup_id_x 1
		.amdhsa_system_sgpr_workgroup_id_y 0
		.amdhsa_system_sgpr_workgroup_id_z 0
		.amdhsa_system_sgpr_workgroup_info 0
		.amdhsa_system_vgpr_workitem_id 0
		.amdhsa_next_free_vgpr 1
		.amdhsa_next_free_sgpr 0
		.amdhsa_reserve_vcc 0
		.amdhsa_reserve_flat_scratch 0
		.amdhsa_float_round_mode_32 0
		.amdhsa_float_round_mode_16_64 0
		.amdhsa_float_denorm_mode_32 3
		.amdhsa_float_denorm_mode_16_64 3
		.amdhsa_dx10_clamp 1
		.amdhsa_ieee_mode 1
		.amdhsa_fp16_overflow 0
		.amdhsa_exception_fp_ieee_invalid_op 0
		.amdhsa_exception_fp_denorm_src 0
		.amdhsa_exception_fp_ieee_div_zero 0
		.amdhsa_exception_fp_ieee_overflow 0
		.amdhsa_exception_fp_ieee_underflow 0
		.amdhsa_exception_fp_ieee_inexact 0
		.amdhsa_exception_int_div_zero 0
	.end_amdhsa_kernel
	.section	.text._ZN7rocprim17ROCPRIM_400000_NS6detail17trampoline_kernelINS0_14default_configENS1_22reduce_config_selectorIN6thrust23THRUST_200600_302600_NS5tupleIblNS6_9null_typeES8_S8_S8_S8_S8_S8_S8_EEEEZNS1_11reduce_implILb1ES3_NS6_12zip_iteratorINS7_INS6_11hip_rocprim26transform_input_iterator_tIbPN3c104HalfENS6_6detail10functional5actorINSJ_9compositeIJNSJ_27transparent_binary_operatorINS6_8equal_toIvEEEENSK_INSJ_8argumentILj0EEEEENSJ_5valueISG_EEEEEEEEENSD_19counting_iterator_tIlEES8_S8_S8_S8_S8_S8_S8_S8_EEEEPS9_S9_NSD_9__find_if7functorIS9_EEEE10hipError_tPvRmT1_T2_T3_mT4_P12ihipStream_tbEUlT_E1_NS1_11comp_targetILNS1_3genE0ELNS1_11target_archE4294967295ELNS1_3gpuE0ELNS1_3repE0EEENS1_30default_config_static_selectorELNS0_4arch9wavefront6targetE1EEEvS19_,"axG",@progbits,_ZN7rocprim17ROCPRIM_400000_NS6detail17trampoline_kernelINS0_14default_configENS1_22reduce_config_selectorIN6thrust23THRUST_200600_302600_NS5tupleIblNS6_9null_typeES8_S8_S8_S8_S8_S8_S8_EEEEZNS1_11reduce_implILb1ES3_NS6_12zip_iteratorINS7_INS6_11hip_rocprim26transform_input_iterator_tIbPN3c104HalfENS6_6detail10functional5actorINSJ_9compositeIJNSJ_27transparent_binary_operatorINS6_8equal_toIvEEEENSK_INSJ_8argumentILj0EEEEENSJ_5valueISG_EEEEEEEEENSD_19counting_iterator_tIlEES8_S8_S8_S8_S8_S8_S8_S8_EEEEPS9_S9_NSD_9__find_if7functorIS9_EEEE10hipError_tPvRmT1_T2_T3_mT4_P12ihipStream_tbEUlT_E1_NS1_11comp_targetILNS1_3genE0ELNS1_11target_archE4294967295ELNS1_3gpuE0ELNS1_3repE0EEENS1_30default_config_static_selectorELNS0_4arch9wavefront6targetE1EEEvS19_,comdat
.Lfunc_end2243:
	.size	_ZN7rocprim17ROCPRIM_400000_NS6detail17trampoline_kernelINS0_14default_configENS1_22reduce_config_selectorIN6thrust23THRUST_200600_302600_NS5tupleIblNS6_9null_typeES8_S8_S8_S8_S8_S8_S8_EEEEZNS1_11reduce_implILb1ES3_NS6_12zip_iteratorINS7_INS6_11hip_rocprim26transform_input_iterator_tIbPN3c104HalfENS6_6detail10functional5actorINSJ_9compositeIJNSJ_27transparent_binary_operatorINS6_8equal_toIvEEEENSK_INSJ_8argumentILj0EEEEENSJ_5valueISG_EEEEEEEEENSD_19counting_iterator_tIlEES8_S8_S8_S8_S8_S8_S8_S8_EEEEPS9_S9_NSD_9__find_if7functorIS9_EEEE10hipError_tPvRmT1_T2_T3_mT4_P12ihipStream_tbEUlT_E1_NS1_11comp_targetILNS1_3genE0ELNS1_11target_archE4294967295ELNS1_3gpuE0ELNS1_3repE0EEENS1_30default_config_static_selectorELNS0_4arch9wavefront6targetE1EEEvS19_, .Lfunc_end2243-_ZN7rocprim17ROCPRIM_400000_NS6detail17trampoline_kernelINS0_14default_configENS1_22reduce_config_selectorIN6thrust23THRUST_200600_302600_NS5tupleIblNS6_9null_typeES8_S8_S8_S8_S8_S8_S8_EEEEZNS1_11reduce_implILb1ES3_NS6_12zip_iteratorINS7_INS6_11hip_rocprim26transform_input_iterator_tIbPN3c104HalfENS6_6detail10functional5actorINSJ_9compositeIJNSJ_27transparent_binary_operatorINS6_8equal_toIvEEEENSK_INSJ_8argumentILj0EEEEENSJ_5valueISG_EEEEEEEEENSD_19counting_iterator_tIlEES8_S8_S8_S8_S8_S8_S8_S8_EEEEPS9_S9_NSD_9__find_if7functorIS9_EEEE10hipError_tPvRmT1_T2_T3_mT4_P12ihipStream_tbEUlT_E1_NS1_11comp_targetILNS1_3genE0ELNS1_11target_archE4294967295ELNS1_3gpuE0ELNS1_3repE0EEENS1_30default_config_static_selectorELNS0_4arch9wavefront6targetE1EEEvS19_
                                        ; -- End function
	.set _ZN7rocprim17ROCPRIM_400000_NS6detail17trampoline_kernelINS0_14default_configENS1_22reduce_config_selectorIN6thrust23THRUST_200600_302600_NS5tupleIblNS6_9null_typeES8_S8_S8_S8_S8_S8_S8_EEEEZNS1_11reduce_implILb1ES3_NS6_12zip_iteratorINS7_INS6_11hip_rocprim26transform_input_iterator_tIbPN3c104HalfENS6_6detail10functional5actorINSJ_9compositeIJNSJ_27transparent_binary_operatorINS6_8equal_toIvEEEENSK_INSJ_8argumentILj0EEEEENSJ_5valueISG_EEEEEEEEENSD_19counting_iterator_tIlEES8_S8_S8_S8_S8_S8_S8_S8_EEEEPS9_S9_NSD_9__find_if7functorIS9_EEEE10hipError_tPvRmT1_T2_T3_mT4_P12ihipStream_tbEUlT_E1_NS1_11comp_targetILNS1_3genE0ELNS1_11target_archE4294967295ELNS1_3gpuE0ELNS1_3repE0EEENS1_30default_config_static_selectorELNS0_4arch9wavefront6targetE1EEEvS19_.num_vgpr, 0
	.set _ZN7rocprim17ROCPRIM_400000_NS6detail17trampoline_kernelINS0_14default_configENS1_22reduce_config_selectorIN6thrust23THRUST_200600_302600_NS5tupleIblNS6_9null_typeES8_S8_S8_S8_S8_S8_S8_EEEEZNS1_11reduce_implILb1ES3_NS6_12zip_iteratorINS7_INS6_11hip_rocprim26transform_input_iterator_tIbPN3c104HalfENS6_6detail10functional5actorINSJ_9compositeIJNSJ_27transparent_binary_operatorINS6_8equal_toIvEEEENSK_INSJ_8argumentILj0EEEEENSJ_5valueISG_EEEEEEEEENSD_19counting_iterator_tIlEES8_S8_S8_S8_S8_S8_S8_S8_EEEEPS9_S9_NSD_9__find_if7functorIS9_EEEE10hipError_tPvRmT1_T2_T3_mT4_P12ihipStream_tbEUlT_E1_NS1_11comp_targetILNS1_3genE0ELNS1_11target_archE4294967295ELNS1_3gpuE0ELNS1_3repE0EEENS1_30default_config_static_selectorELNS0_4arch9wavefront6targetE1EEEvS19_.num_agpr, 0
	.set _ZN7rocprim17ROCPRIM_400000_NS6detail17trampoline_kernelINS0_14default_configENS1_22reduce_config_selectorIN6thrust23THRUST_200600_302600_NS5tupleIblNS6_9null_typeES8_S8_S8_S8_S8_S8_S8_EEEEZNS1_11reduce_implILb1ES3_NS6_12zip_iteratorINS7_INS6_11hip_rocprim26transform_input_iterator_tIbPN3c104HalfENS6_6detail10functional5actorINSJ_9compositeIJNSJ_27transparent_binary_operatorINS6_8equal_toIvEEEENSK_INSJ_8argumentILj0EEEEENSJ_5valueISG_EEEEEEEEENSD_19counting_iterator_tIlEES8_S8_S8_S8_S8_S8_S8_S8_EEEEPS9_S9_NSD_9__find_if7functorIS9_EEEE10hipError_tPvRmT1_T2_T3_mT4_P12ihipStream_tbEUlT_E1_NS1_11comp_targetILNS1_3genE0ELNS1_11target_archE4294967295ELNS1_3gpuE0ELNS1_3repE0EEENS1_30default_config_static_selectorELNS0_4arch9wavefront6targetE1EEEvS19_.numbered_sgpr, 0
	.set _ZN7rocprim17ROCPRIM_400000_NS6detail17trampoline_kernelINS0_14default_configENS1_22reduce_config_selectorIN6thrust23THRUST_200600_302600_NS5tupleIblNS6_9null_typeES8_S8_S8_S8_S8_S8_S8_EEEEZNS1_11reduce_implILb1ES3_NS6_12zip_iteratorINS7_INS6_11hip_rocprim26transform_input_iterator_tIbPN3c104HalfENS6_6detail10functional5actorINSJ_9compositeIJNSJ_27transparent_binary_operatorINS6_8equal_toIvEEEENSK_INSJ_8argumentILj0EEEEENSJ_5valueISG_EEEEEEEEENSD_19counting_iterator_tIlEES8_S8_S8_S8_S8_S8_S8_S8_EEEEPS9_S9_NSD_9__find_if7functorIS9_EEEE10hipError_tPvRmT1_T2_T3_mT4_P12ihipStream_tbEUlT_E1_NS1_11comp_targetILNS1_3genE0ELNS1_11target_archE4294967295ELNS1_3gpuE0ELNS1_3repE0EEENS1_30default_config_static_selectorELNS0_4arch9wavefront6targetE1EEEvS19_.num_named_barrier, 0
	.set _ZN7rocprim17ROCPRIM_400000_NS6detail17trampoline_kernelINS0_14default_configENS1_22reduce_config_selectorIN6thrust23THRUST_200600_302600_NS5tupleIblNS6_9null_typeES8_S8_S8_S8_S8_S8_S8_EEEEZNS1_11reduce_implILb1ES3_NS6_12zip_iteratorINS7_INS6_11hip_rocprim26transform_input_iterator_tIbPN3c104HalfENS6_6detail10functional5actorINSJ_9compositeIJNSJ_27transparent_binary_operatorINS6_8equal_toIvEEEENSK_INSJ_8argumentILj0EEEEENSJ_5valueISG_EEEEEEEEENSD_19counting_iterator_tIlEES8_S8_S8_S8_S8_S8_S8_S8_EEEEPS9_S9_NSD_9__find_if7functorIS9_EEEE10hipError_tPvRmT1_T2_T3_mT4_P12ihipStream_tbEUlT_E1_NS1_11comp_targetILNS1_3genE0ELNS1_11target_archE4294967295ELNS1_3gpuE0ELNS1_3repE0EEENS1_30default_config_static_selectorELNS0_4arch9wavefront6targetE1EEEvS19_.private_seg_size, 0
	.set _ZN7rocprim17ROCPRIM_400000_NS6detail17trampoline_kernelINS0_14default_configENS1_22reduce_config_selectorIN6thrust23THRUST_200600_302600_NS5tupleIblNS6_9null_typeES8_S8_S8_S8_S8_S8_S8_EEEEZNS1_11reduce_implILb1ES3_NS6_12zip_iteratorINS7_INS6_11hip_rocprim26transform_input_iterator_tIbPN3c104HalfENS6_6detail10functional5actorINSJ_9compositeIJNSJ_27transparent_binary_operatorINS6_8equal_toIvEEEENSK_INSJ_8argumentILj0EEEEENSJ_5valueISG_EEEEEEEEENSD_19counting_iterator_tIlEES8_S8_S8_S8_S8_S8_S8_S8_EEEEPS9_S9_NSD_9__find_if7functorIS9_EEEE10hipError_tPvRmT1_T2_T3_mT4_P12ihipStream_tbEUlT_E1_NS1_11comp_targetILNS1_3genE0ELNS1_11target_archE4294967295ELNS1_3gpuE0ELNS1_3repE0EEENS1_30default_config_static_selectorELNS0_4arch9wavefront6targetE1EEEvS19_.uses_vcc, 0
	.set _ZN7rocprim17ROCPRIM_400000_NS6detail17trampoline_kernelINS0_14default_configENS1_22reduce_config_selectorIN6thrust23THRUST_200600_302600_NS5tupleIblNS6_9null_typeES8_S8_S8_S8_S8_S8_S8_EEEEZNS1_11reduce_implILb1ES3_NS6_12zip_iteratorINS7_INS6_11hip_rocprim26transform_input_iterator_tIbPN3c104HalfENS6_6detail10functional5actorINSJ_9compositeIJNSJ_27transparent_binary_operatorINS6_8equal_toIvEEEENSK_INSJ_8argumentILj0EEEEENSJ_5valueISG_EEEEEEEEENSD_19counting_iterator_tIlEES8_S8_S8_S8_S8_S8_S8_S8_EEEEPS9_S9_NSD_9__find_if7functorIS9_EEEE10hipError_tPvRmT1_T2_T3_mT4_P12ihipStream_tbEUlT_E1_NS1_11comp_targetILNS1_3genE0ELNS1_11target_archE4294967295ELNS1_3gpuE0ELNS1_3repE0EEENS1_30default_config_static_selectorELNS0_4arch9wavefront6targetE1EEEvS19_.uses_flat_scratch, 0
	.set _ZN7rocprim17ROCPRIM_400000_NS6detail17trampoline_kernelINS0_14default_configENS1_22reduce_config_selectorIN6thrust23THRUST_200600_302600_NS5tupleIblNS6_9null_typeES8_S8_S8_S8_S8_S8_S8_EEEEZNS1_11reduce_implILb1ES3_NS6_12zip_iteratorINS7_INS6_11hip_rocprim26transform_input_iterator_tIbPN3c104HalfENS6_6detail10functional5actorINSJ_9compositeIJNSJ_27transparent_binary_operatorINS6_8equal_toIvEEEENSK_INSJ_8argumentILj0EEEEENSJ_5valueISG_EEEEEEEEENSD_19counting_iterator_tIlEES8_S8_S8_S8_S8_S8_S8_S8_EEEEPS9_S9_NSD_9__find_if7functorIS9_EEEE10hipError_tPvRmT1_T2_T3_mT4_P12ihipStream_tbEUlT_E1_NS1_11comp_targetILNS1_3genE0ELNS1_11target_archE4294967295ELNS1_3gpuE0ELNS1_3repE0EEENS1_30default_config_static_selectorELNS0_4arch9wavefront6targetE1EEEvS19_.has_dyn_sized_stack, 0
	.set _ZN7rocprim17ROCPRIM_400000_NS6detail17trampoline_kernelINS0_14default_configENS1_22reduce_config_selectorIN6thrust23THRUST_200600_302600_NS5tupleIblNS6_9null_typeES8_S8_S8_S8_S8_S8_S8_EEEEZNS1_11reduce_implILb1ES3_NS6_12zip_iteratorINS7_INS6_11hip_rocprim26transform_input_iterator_tIbPN3c104HalfENS6_6detail10functional5actorINSJ_9compositeIJNSJ_27transparent_binary_operatorINS6_8equal_toIvEEEENSK_INSJ_8argumentILj0EEEEENSJ_5valueISG_EEEEEEEEENSD_19counting_iterator_tIlEES8_S8_S8_S8_S8_S8_S8_S8_EEEEPS9_S9_NSD_9__find_if7functorIS9_EEEE10hipError_tPvRmT1_T2_T3_mT4_P12ihipStream_tbEUlT_E1_NS1_11comp_targetILNS1_3genE0ELNS1_11target_archE4294967295ELNS1_3gpuE0ELNS1_3repE0EEENS1_30default_config_static_selectorELNS0_4arch9wavefront6targetE1EEEvS19_.has_recursion, 0
	.set _ZN7rocprim17ROCPRIM_400000_NS6detail17trampoline_kernelINS0_14default_configENS1_22reduce_config_selectorIN6thrust23THRUST_200600_302600_NS5tupleIblNS6_9null_typeES8_S8_S8_S8_S8_S8_S8_EEEEZNS1_11reduce_implILb1ES3_NS6_12zip_iteratorINS7_INS6_11hip_rocprim26transform_input_iterator_tIbPN3c104HalfENS6_6detail10functional5actorINSJ_9compositeIJNSJ_27transparent_binary_operatorINS6_8equal_toIvEEEENSK_INSJ_8argumentILj0EEEEENSJ_5valueISG_EEEEEEEEENSD_19counting_iterator_tIlEES8_S8_S8_S8_S8_S8_S8_S8_EEEEPS9_S9_NSD_9__find_if7functorIS9_EEEE10hipError_tPvRmT1_T2_T3_mT4_P12ihipStream_tbEUlT_E1_NS1_11comp_targetILNS1_3genE0ELNS1_11target_archE4294967295ELNS1_3gpuE0ELNS1_3repE0EEENS1_30default_config_static_selectorELNS0_4arch9wavefront6targetE1EEEvS19_.has_indirect_call, 0
	.section	.AMDGPU.csdata,"",@progbits
; Kernel info:
; codeLenInByte = 0
; TotalNumSgprs: 4
; NumVgprs: 0
; ScratchSize: 0
; MemoryBound: 0
; FloatMode: 240
; IeeeMode: 1
; LDSByteSize: 0 bytes/workgroup (compile time only)
; SGPRBlocks: 0
; VGPRBlocks: 0
; NumSGPRsForWavesPerEU: 4
; NumVGPRsForWavesPerEU: 1
; Occupancy: 10
; WaveLimiterHint : 0
; COMPUTE_PGM_RSRC2:SCRATCH_EN: 0
; COMPUTE_PGM_RSRC2:USER_SGPR: 6
; COMPUTE_PGM_RSRC2:TRAP_HANDLER: 0
; COMPUTE_PGM_RSRC2:TGID_X_EN: 1
; COMPUTE_PGM_RSRC2:TGID_Y_EN: 0
; COMPUTE_PGM_RSRC2:TGID_Z_EN: 0
; COMPUTE_PGM_RSRC2:TIDIG_COMP_CNT: 0
	.section	.text._ZN7rocprim17ROCPRIM_400000_NS6detail17trampoline_kernelINS0_14default_configENS1_22reduce_config_selectorIN6thrust23THRUST_200600_302600_NS5tupleIblNS6_9null_typeES8_S8_S8_S8_S8_S8_S8_EEEEZNS1_11reduce_implILb1ES3_NS6_12zip_iteratorINS7_INS6_11hip_rocprim26transform_input_iterator_tIbPN3c104HalfENS6_6detail10functional5actorINSJ_9compositeIJNSJ_27transparent_binary_operatorINS6_8equal_toIvEEEENSK_INSJ_8argumentILj0EEEEENSJ_5valueISG_EEEEEEEEENSD_19counting_iterator_tIlEES8_S8_S8_S8_S8_S8_S8_S8_EEEEPS9_S9_NSD_9__find_if7functorIS9_EEEE10hipError_tPvRmT1_T2_T3_mT4_P12ihipStream_tbEUlT_E1_NS1_11comp_targetILNS1_3genE5ELNS1_11target_archE942ELNS1_3gpuE9ELNS1_3repE0EEENS1_30default_config_static_selectorELNS0_4arch9wavefront6targetE1EEEvS19_,"axG",@progbits,_ZN7rocprim17ROCPRIM_400000_NS6detail17trampoline_kernelINS0_14default_configENS1_22reduce_config_selectorIN6thrust23THRUST_200600_302600_NS5tupleIblNS6_9null_typeES8_S8_S8_S8_S8_S8_S8_EEEEZNS1_11reduce_implILb1ES3_NS6_12zip_iteratorINS7_INS6_11hip_rocprim26transform_input_iterator_tIbPN3c104HalfENS6_6detail10functional5actorINSJ_9compositeIJNSJ_27transparent_binary_operatorINS6_8equal_toIvEEEENSK_INSJ_8argumentILj0EEEEENSJ_5valueISG_EEEEEEEEENSD_19counting_iterator_tIlEES8_S8_S8_S8_S8_S8_S8_S8_EEEEPS9_S9_NSD_9__find_if7functorIS9_EEEE10hipError_tPvRmT1_T2_T3_mT4_P12ihipStream_tbEUlT_E1_NS1_11comp_targetILNS1_3genE5ELNS1_11target_archE942ELNS1_3gpuE9ELNS1_3repE0EEENS1_30default_config_static_selectorELNS0_4arch9wavefront6targetE1EEEvS19_,comdat
	.protected	_ZN7rocprim17ROCPRIM_400000_NS6detail17trampoline_kernelINS0_14default_configENS1_22reduce_config_selectorIN6thrust23THRUST_200600_302600_NS5tupleIblNS6_9null_typeES8_S8_S8_S8_S8_S8_S8_EEEEZNS1_11reduce_implILb1ES3_NS6_12zip_iteratorINS7_INS6_11hip_rocprim26transform_input_iterator_tIbPN3c104HalfENS6_6detail10functional5actorINSJ_9compositeIJNSJ_27transparent_binary_operatorINS6_8equal_toIvEEEENSK_INSJ_8argumentILj0EEEEENSJ_5valueISG_EEEEEEEEENSD_19counting_iterator_tIlEES8_S8_S8_S8_S8_S8_S8_S8_EEEEPS9_S9_NSD_9__find_if7functorIS9_EEEE10hipError_tPvRmT1_T2_T3_mT4_P12ihipStream_tbEUlT_E1_NS1_11comp_targetILNS1_3genE5ELNS1_11target_archE942ELNS1_3gpuE9ELNS1_3repE0EEENS1_30default_config_static_selectorELNS0_4arch9wavefront6targetE1EEEvS19_ ; -- Begin function _ZN7rocprim17ROCPRIM_400000_NS6detail17trampoline_kernelINS0_14default_configENS1_22reduce_config_selectorIN6thrust23THRUST_200600_302600_NS5tupleIblNS6_9null_typeES8_S8_S8_S8_S8_S8_S8_EEEEZNS1_11reduce_implILb1ES3_NS6_12zip_iteratorINS7_INS6_11hip_rocprim26transform_input_iterator_tIbPN3c104HalfENS6_6detail10functional5actorINSJ_9compositeIJNSJ_27transparent_binary_operatorINS6_8equal_toIvEEEENSK_INSJ_8argumentILj0EEEEENSJ_5valueISG_EEEEEEEEENSD_19counting_iterator_tIlEES8_S8_S8_S8_S8_S8_S8_S8_EEEEPS9_S9_NSD_9__find_if7functorIS9_EEEE10hipError_tPvRmT1_T2_T3_mT4_P12ihipStream_tbEUlT_E1_NS1_11comp_targetILNS1_3genE5ELNS1_11target_archE942ELNS1_3gpuE9ELNS1_3repE0EEENS1_30default_config_static_selectorELNS0_4arch9wavefront6targetE1EEEvS19_
	.globl	_ZN7rocprim17ROCPRIM_400000_NS6detail17trampoline_kernelINS0_14default_configENS1_22reduce_config_selectorIN6thrust23THRUST_200600_302600_NS5tupleIblNS6_9null_typeES8_S8_S8_S8_S8_S8_S8_EEEEZNS1_11reduce_implILb1ES3_NS6_12zip_iteratorINS7_INS6_11hip_rocprim26transform_input_iterator_tIbPN3c104HalfENS6_6detail10functional5actorINSJ_9compositeIJNSJ_27transparent_binary_operatorINS6_8equal_toIvEEEENSK_INSJ_8argumentILj0EEEEENSJ_5valueISG_EEEEEEEEENSD_19counting_iterator_tIlEES8_S8_S8_S8_S8_S8_S8_S8_EEEEPS9_S9_NSD_9__find_if7functorIS9_EEEE10hipError_tPvRmT1_T2_T3_mT4_P12ihipStream_tbEUlT_E1_NS1_11comp_targetILNS1_3genE5ELNS1_11target_archE942ELNS1_3gpuE9ELNS1_3repE0EEENS1_30default_config_static_selectorELNS0_4arch9wavefront6targetE1EEEvS19_
	.p2align	8
	.type	_ZN7rocprim17ROCPRIM_400000_NS6detail17trampoline_kernelINS0_14default_configENS1_22reduce_config_selectorIN6thrust23THRUST_200600_302600_NS5tupleIblNS6_9null_typeES8_S8_S8_S8_S8_S8_S8_EEEEZNS1_11reduce_implILb1ES3_NS6_12zip_iteratorINS7_INS6_11hip_rocprim26transform_input_iterator_tIbPN3c104HalfENS6_6detail10functional5actorINSJ_9compositeIJNSJ_27transparent_binary_operatorINS6_8equal_toIvEEEENSK_INSJ_8argumentILj0EEEEENSJ_5valueISG_EEEEEEEEENSD_19counting_iterator_tIlEES8_S8_S8_S8_S8_S8_S8_S8_EEEEPS9_S9_NSD_9__find_if7functorIS9_EEEE10hipError_tPvRmT1_T2_T3_mT4_P12ihipStream_tbEUlT_E1_NS1_11comp_targetILNS1_3genE5ELNS1_11target_archE942ELNS1_3gpuE9ELNS1_3repE0EEENS1_30default_config_static_selectorELNS0_4arch9wavefront6targetE1EEEvS19_,@function
_ZN7rocprim17ROCPRIM_400000_NS6detail17trampoline_kernelINS0_14default_configENS1_22reduce_config_selectorIN6thrust23THRUST_200600_302600_NS5tupleIblNS6_9null_typeES8_S8_S8_S8_S8_S8_S8_EEEEZNS1_11reduce_implILb1ES3_NS6_12zip_iteratorINS7_INS6_11hip_rocprim26transform_input_iterator_tIbPN3c104HalfENS6_6detail10functional5actorINSJ_9compositeIJNSJ_27transparent_binary_operatorINS6_8equal_toIvEEEENSK_INSJ_8argumentILj0EEEEENSJ_5valueISG_EEEEEEEEENSD_19counting_iterator_tIlEES8_S8_S8_S8_S8_S8_S8_S8_EEEEPS9_S9_NSD_9__find_if7functorIS9_EEEE10hipError_tPvRmT1_T2_T3_mT4_P12ihipStream_tbEUlT_E1_NS1_11comp_targetILNS1_3genE5ELNS1_11target_archE942ELNS1_3gpuE9ELNS1_3repE0EEENS1_30default_config_static_selectorELNS0_4arch9wavefront6targetE1EEEvS19_: ; @_ZN7rocprim17ROCPRIM_400000_NS6detail17trampoline_kernelINS0_14default_configENS1_22reduce_config_selectorIN6thrust23THRUST_200600_302600_NS5tupleIblNS6_9null_typeES8_S8_S8_S8_S8_S8_S8_EEEEZNS1_11reduce_implILb1ES3_NS6_12zip_iteratorINS7_INS6_11hip_rocprim26transform_input_iterator_tIbPN3c104HalfENS6_6detail10functional5actorINSJ_9compositeIJNSJ_27transparent_binary_operatorINS6_8equal_toIvEEEENSK_INSJ_8argumentILj0EEEEENSJ_5valueISG_EEEEEEEEENSD_19counting_iterator_tIlEES8_S8_S8_S8_S8_S8_S8_S8_EEEEPS9_S9_NSD_9__find_if7functorIS9_EEEE10hipError_tPvRmT1_T2_T3_mT4_P12ihipStream_tbEUlT_E1_NS1_11comp_targetILNS1_3genE5ELNS1_11target_archE942ELNS1_3gpuE9ELNS1_3repE0EEENS1_30default_config_static_selectorELNS0_4arch9wavefront6targetE1EEEvS19_
; %bb.0:
	.section	.rodata,"a",@progbits
	.p2align	6, 0x0
	.amdhsa_kernel _ZN7rocprim17ROCPRIM_400000_NS6detail17trampoline_kernelINS0_14default_configENS1_22reduce_config_selectorIN6thrust23THRUST_200600_302600_NS5tupleIblNS6_9null_typeES8_S8_S8_S8_S8_S8_S8_EEEEZNS1_11reduce_implILb1ES3_NS6_12zip_iteratorINS7_INS6_11hip_rocprim26transform_input_iterator_tIbPN3c104HalfENS6_6detail10functional5actorINSJ_9compositeIJNSJ_27transparent_binary_operatorINS6_8equal_toIvEEEENSK_INSJ_8argumentILj0EEEEENSJ_5valueISG_EEEEEEEEENSD_19counting_iterator_tIlEES8_S8_S8_S8_S8_S8_S8_S8_EEEEPS9_S9_NSD_9__find_if7functorIS9_EEEE10hipError_tPvRmT1_T2_T3_mT4_P12ihipStream_tbEUlT_E1_NS1_11comp_targetILNS1_3genE5ELNS1_11target_archE942ELNS1_3gpuE9ELNS1_3repE0EEENS1_30default_config_static_selectorELNS0_4arch9wavefront6targetE1EEEvS19_
		.amdhsa_group_segment_fixed_size 0
		.amdhsa_private_segment_fixed_size 0
		.amdhsa_kernarg_size 72
		.amdhsa_user_sgpr_count 6
		.amdhsa_user_sgpr_private_segment_buffer 1
		.amdhsa_user_sgpr_dispatch_ptr 0
		.amdhsa_user_sgpr_queue_ptr 0
		.amdhsa_user_sgpr_kernarg_segment_ptr 1
		.amdhsa_user_sgpr_dispatch_id 0
		.amdhsa_user_sgpr_flat_scratch_init 0
		.amdhsa_user_sgpr_private_segment_size 0
		.amdhsa_uses_dynamic_stack 0
		.amdhsa_system_sgpr_private_segment_wavefront_offset 0
		.amdhsa_system_sgpr_workgroup_id_x 1
		.amdhsa_system_sgpr_workgroup_id_y 0
		.amdhsa_system_sgpr_workgroup_id_z 0
		.amdhsa_system_sgpr_workgroup_info 0
		.amdhsa_system_vgpr_workitem_id 0
		.amdhsa_next_free_vgpr 1
		.amdhsa_next_free_sgpr 0
		.amdhsa_reserve_vcc 0
		.amdhsa_reserve_flat_scratch 0
		.amdhsa_float_round_mode_32 0
		.amdhsa_float_round_mode_16_64 0
		.amdhsa_float_denorm_mode_32 3
		.amdhsa_float_denorm_mode_16_64 3
		.amdhsa_dx10_clamp 1
		.amdhsa_ieee_mode 1
		.amdhsa_fp16_overflow 0
		.amdhsa_exception_fp_ieee_invalid_op 0
		.amdhsa_exception_fp_denorm_src 0
		.amdhsa_exception_fp_ieee_div_zero 0
		.amdhsa_exception_fp_ieee_overflow 0
		.amdhsa_exception_fp_ieee_underflow 0
		.amdhsa_exception_fp_ieee_inexact 0
		.amdhsa_exception_int_div_zero 0
	.end_amdhsa_kernel
	.section	.text._ZN7rocprim17ROCPRIM_400000_NS6detail17trampoline_kernelINS0_14default_configENS1_22reduce_config_selectorIN6thrust23THRUST_200600_302600_NS5tupleIblNS6_9null_typeES8_S8_S8_S8_S8_S8_S8_EEEEZNS1_11reduce_implILb1ES3_NS6_12zip_iteratorINS7_INS6_11hip_rocprim26transform_input_iterator_tIbPN3c104HalfENS6_6detail10functional5actorINSJ_9compositeIJNSJ_27transparent_binary_operatorINS6_8equal_toIvEEEENSK_INSJ_8argumentILj0EEEEENSJ_5valueISG_EEEEEEEEENSD_19counting_iterator_tIlEES8_S8_S8_S8_S8_S8_S8_S8_EEEEPS9_S9_NSD_9__find_if7functorIS9_EEEE10hipError_tPvRmT1_T2_T3_mT4_P12ihipStream_tbEUlT_E1_NS1_11comp_targetILNS1_3genE5ELNS1_11target_archE942ELNS1_3gpuE9ELNS1_3repE0EEENS1_30default_config_static_selectorELNS0_4arch9wavefront6targetE1EEEvS19_,"axG",@progbits,_ZN7rocprim17ROCPRIM_400000_NS6detail17trampoline_kernelINS0_14default_configENS1_22reduce_config_selectorIN6thrust23THRUST_200600_302600_NS5tupleIblNS6_9null_typeES8_S8_S8_S8_S8_S8_S8_EEEEZNS1_11reduce_implILb1ES3_NS6_12zip_iteratorINS7_INS6_11hip_rocprim26transform_input_iterator_tIbPN3c104HalfENS6_6detail10functional5actorINSJ_9compositeIJNSJ_27transparent_binary_operatorINS6_8equal_toIvEEEENSK_INSJ_8argumentILj0EEEEENSJ_5valueISG_EEEEEEEEENSD_19counting_iterator_tIlEES8_S8_S8_S8_S8_S8_S8_S8_EEEEPS9_S9_NSD_9__find_if7functorIS9_EEEE10hipError_tPvRmT1_T2_T3_mT4_P12ihipStream_tbEUlT_E1_NS1_11comp_targetILNS1_3genE5ELNS1_11target_archE942ELNS1_3gpuE9ELNS1_3repE0EEENS1_30default_config_static_selectorELNS0_4arch9wavefront6targetE1EEEvS19_,comdat
.Lfunc_end2244:
	.size	_ZN7rocprim17ROCPRIM_400000_NS6detail17trampoline_kernelINS0_14default_configENS1_22reduce_config_selectorIN6thrust23THRUST_200600_302600_NS5tupleIblNS6_9null_typeES8_S8_S8_S8_S8_S8_S8_EEEEZNS1_11reduce_implILb1ES3_NS6_12zip_iteratorINS7_INS6_11hip_rocprim26transform_input_iterator_tIbPN3c104HalfENS6_6detail10functional5actorINSJ_9compositeIJNSJ_27transparent_binary_operatorINS6_8equal_toIvEEEENSK_INSJ_8argumentILj0EEEEENSJ_5valueISG_EEEEEEEEENSD_19counting_iterator_tIlEES8_S8_S8_S8_S8_S8_S8_S8_EEEEPS9_S9_NSD_9__find_if7functorIS9_EEEE10hipError_tPvRmT1_T2_T3_mT4_P12ihipStream_tbEUlT_E1_NS1_11comp_targetILNS1_3genE5ELNS1_11target_archE942ELNS1_3gpuE9ELNS1_3repE0EEENS1_30default_config_static_selectorELNS0_4arch9wavefront6targetE1EEEvS19_, .Lfunc_end2244-_ZN7rocprim17ROCPRIM_400000_NS6detail17trampoline_kernelINS0_14default_configENS1_22reduce_config_selectorIN6thrust23THRUST_200600_302600_NS5tupleIblNS6_9null_typeES8_S8_S8_S8_S8_S8_S8_EEEEZNS1_11reduce_implILb1ES3_NS6_12zip_iteratorINS7_INS6_11hip_rocprim26transform_input_iterator_tIbPN3c104HalfENS6_6detail10functional5actorINSJ_9compositeIJNSJ_27transparent_binary_operatorINS6_8equal_toIvEEEENSK_INSJ_8argumentILj0EEEEENSJ_5valueISG_EEEEEEEEENSD_19counting_iterator_tIlEES8_S8_S8_S8_S8_S8_S8_S8_EEEEPS9_S9_NSD_9__find_if7functorIS9_EEEE10hipError_tPvRmT1_T2_T3_mT4_P12ihipStream_tbEUlT_E1_NS1_11comp_targetILNS1_3genE5ELNS1_11target_archE942ELNS1_3gpuE9ELNS1_3repE0EEENS1_30default_config_static_selectorELNS0_4arch9wavefront6targetE1EEEvS19_
                                        ; -- End function
	.set _ZN7rocprim17ROCPRIM_400000_NS6detail17trampoline_kernelINS0_14default_configENS1_22reduce_config_selectorIN6thrust23THRUST_200600_302600_NS5tupleIblNS6_9null_typeES8_S8_S8_S8_S8_S8_S8_EEEEZNS1_11reduce_implILb1ES3_NS6_12zip_iteratorINS7_INS6_11hip_rocprim26transform_input_iterator_tIbPN3c104HalfENS6_6detail10functional5actorINSJ_9compositeIJNSJ_27transparent_binary_operatorINS6_8equal_toIvEEEENSK_INSJ_8argumentILj0EEEEENSJ_5valueISG_EEEEEEEEENSD_19counting_iterator_tIlEES8_S8_S8_S8_S8_S8_S8_S8_EEEEPS9_S9_NSD_9__find_if7functorIS9_EEEE10hipError_tPvRmT1_T2_T3_mT4_P12ihipStream_tbEUlT_E1_NS1_11comp_targetILNS1_3genE5ELNS1_11target_archE942ELNS1_3gpuE9ELNS1_3repE0EEENS1_30default_config_static_selectorELNS0_4arch9wavefront6targetE1EEEvS19_.num_vgpr, 0
	.set _ZN7rocprim17ROCPRIM_400000_NS6detail17trampoline_kernelINS0_14default_configENS1_22reduce_config_selectorIN6thrust23THRUST_200600_302600_NS5tupleIblNS6_9null_typeES8_S8_S8_S8_S8_S8_S8_EEEEZNS1_11reduce_implILb1ES3_NS6_12zip_iteratorINS7_INS6_11hip_rocprim26transform_input_iterator_tIbPN3c104HalfENS6_6detail10functional5actorINSJ_9compositeIJNSJ_27transparent_binary_operatorINS6_8equal_toIvEEEENSK_INSJ_8argumentILj0EEEEENSJ_5valueISG_EEEEEEEEENSD_19counting_iterator_tIlEES8_S8_S8_S8_S8_S8_S8_S8_EEEEPS9_S9_NSD_9__find_if7functorIS9_EEEE10hipError_tPvRmT1_T2_T3_mT4_P12ihipStream_tbEUlT_E1_NS1_11comp_targetILNS1_3genE5ELNS1_11target_archE942ELNS1_3gpuE9ELNS1_3repE0EEENS1_30default_config_static_selectorELNS0_4arch9wavefront6targetE1EEEvS19_.num_agpr, 0
	.set _ZN7rocprim17ROCPRIM_400000_NS6detail17trampoline_kernelINS0_14default_configENS1_22reduce_config_selectorIN6thrust23THRUST_200600_302600_NS5tupleIblNS6_9null_typeES8_S8_S8_S8_S8_S8_S8_EEEEZNS1_11reduce_implILb1ES3_NS6_12zip_iteratorINS7_INS6_11hip_rocprim26transform_input_iterator_tIbPN3c104HalfENS6_6detail10functional5actorINSJ_9compositeIJNSJ_27transparent_binary_operatorINS6_8equal_toIvEEEENSK_INSJ_8argumentILj0EEEEENSJ_5valueISG_EEEEEEEEENSD_19counting_iterator_tIlEES8_S8_S8_S8_S8_S8_S8_S8_EEEEPS9_S9_NSD_9__find_if7functorIS9_EEEE10hipError_tPvRmT1_T2_T3_mT4_P12ihipStream_tbEUlT_E1_NS1_11comp_targetILNS1_3genE5ELNS1_11target_archE942ELNS1_3gpuE9ELNS1_3repE0EEENS1_30default_config_static_selectorELNS0_4arch9wavefront6targetE1EEEvS19_.numbered_sgpr, 0
	.set _ZN7rocprim17ROCPRIM_400000_NS6detail17trampoline_kernelINS0_14default_configENS1_22reduce_config_selectorIN6thrust23THRUST_200600_302600_NS5tupleIblNS6_9null_typeES8_S8_S8_S8_S8_S8_S8_EEEEZNS1_11reduce_implILb1ES3_NS6_12zip_iteratorINS7_INS6_11hip_rocprim26transform_input_iterator_tIbPN3c104HalfENS6_6detail10functional5actorINSJ_9compositeIJNSJ_27transparent_binary_operatorINS6_8equal_toIvEEEENSK_INSJ_8argumentILj0EEEEENSJ_5valueISG_EEEEEEEEENSD_19counting_iterator_tIlEES8_S8_S8_S8_S8_S8_S8_S8_EEEEPS9_S9_NSD_9__find_if7functorIS9_EEEE10hipError_tPvRmT1_T2_T3_mT4_P12ihipStream_tbEUlT_E1_NS1_11comp_targetILNS1_3genE5ELNS1_11target_archE942ELNS1_3gpuE9ELNS1_3repE0EEENS1_30default_config_static_selectorELNS0_4arch9wavefront6targetE1EEEvS19_.num_named_barrier, 0
	.set _ZN7rocprim17ROCPRIM_400000_NS6detail17trampoline_kernelINS0_14default_configENS1_22reduce_config_selectorIN6thrust23THRUST_200600_302600_NS5tupleIblNS6_9null_typeES8_S8_S8_S8_S8_S8_S8_EEEEZNS1_11reduce_implILb1ES3_NS6_12zip_iteratorINS7_INS6_11hip_rocprim26transform_input_iterator_tIbPN3c104HalfENS6_6detail10functional5actorINSJ_9compositeIJNSJ_27transparent_binary_operatorINS6_8equal_toIvEEEENSK_INSJ_8argumentILj0EEEEENSJ_5valueISG_EEEEEEEEENSD_19counting_iterator_tIlEES8_S8_S8_S8_S8_S8_S8_S8_EEEEPS9_S9_NSD_9__find_if7functorIS9_EEEE10hipError_tPvRmT1_T2_T3_mT4_P12ihipStream_tbEUlT_E1_NS1_11comp_targetILNS1_3genE5ELNS1_11target_archE942ELNS1_3gpuE9ELNS1_3repE0EEENS1_30default_config_static_selectorELNS0_4arch9wavefront6targetE1EEEvS19_.private_seg_size, 0
	.set _ZN7rocprim17ROCPRIM_400000_NS6detail17trampoline_kernelINS0_14default_configENS1_22reduce_config_selectorIN6thrust23THRUST_200600_302600_NS5tupleIblNS6_9null_typeES8_S8_S8_S8_S8_S8_S8_EEEEZNS1_11reduce_implILb1ES3_NS6_12zip_iteratorINS7_INS6_11hip_rocprim26transform_input_iterator_tIbPN3c104HalfENS6_6detail10functional5actorINSJ_9compositeIJNSJ_27transparent_binary_operatorINS6_8equal_toIvEEEENSK_INSJ_8argumentILj0EEEEENSJ_5valueISG_EEEEEEEEENSD_19counting_iterator_tIlEES8_S8_S8_S8_S8_S8_S8_S8_EEEEPS9_S9_NSD_9__find_if7functorIS9_EEEE10hipError_tPvRmT1_T2_T3_mT4_P12ihipStream_tbEUlT_E1_NS1_11comp_targetILNS1_3genE5ELNS1_11target_archE942ELNS1_3gpuE9ELNS1_3repE0EEENS1_30default_config_static_selectorELNS0_4arch9wavefront6targetE1EEEvS19_.uses_vcc, 0
	.set _ZN7rocprim17ROCPRIM_400000_NS6detail17trampoline_kernelINS0_14default_configENS1_22reduce_config_selectorIN6thrust23THRUST_200600_302600_NS5tupleIblNS6_9null_typeES8_S8_S8_S8_S8_S8_S8_EEEEZNS1_11reduce_implILb1ES3_NS6_12zip_iteratorINS7_INS6_11hip_rocprim26transform_input_iterator_tIbPN3c104HalfENS6_6detail10functional5actorINSJ_9compositeIJNSJ_27transparent_binary_operatorINS6_8equal_toIvEEEENSK_INSJ_8argumentILj0EEEEENSJ_5valueISG_EEEEEEEEENSD_19counting_iterator_tIlEES8_S8_S8_S8_S8_S8_S8_S8_EEEEPS9_S9_NSD_9__find_if7functorIS9_EEEE10hipError_tPvRmT1_T2_T3_mT4_P12ihipStream_tbEUlT_E1_NS1_11comp_targetILNS1_3genE5ELNS1_11target_archE942ELNS1_3gpuE9ELNS1_3repE0EEENS1_30default_config_static_selectorELNS0_4arch9wavefront6targetE1EEEvS19_.uses_flat_scratch, 0
	.set _ZN7rocprim17ROCPRIM_400000_NS6detail17trampoline_kernelINS0_14default_configENS1_22reduce_config_selectorIN6thrust23THRUST_200600_302600_NS5tupleIblNS6_9null_typeES8_S8_S8_S8_S8_S8_S8_EEEEZNS1_11reduce_implILb1ES3_NS6_12zip_iteratorINS7_INS6_11hip_rocprim26transform_input_iterator_tIbPN3c104HalfENS6_6detail10functional5actorINSJ_9compositeIJNSJ_27transparent_binary_operatorINS6_8equal_toIvEEEENSK_INSJ_8argumentILj0EEEEENSJ_5valueISG_EEEEEEEEENSD_19counting_iterator_tIlEES8_S8_S8_S8_S8_S8_S8_S8_EEEEPS9_S9_NSD_9__find_if7functorIS9_EEEE10hipError_tPvRmT1_T2_T3_mT4_P12ihipStream_tbEUlT_E1_NS1_11comp_targetILNS1_3genE5ELNS1_11target_archE942ELNS1_3gpuE9ELNS1_3repE0EEENS1_30default_config_static_selectorELNS0_4arch9wavefront6targetE1EEEvS19_.has_dyn_sized_stack, 0
	.set _ZN7rocprim17ROCPRIM_400000_NS6detail17trampoline_kernelINS0_14default_configENS1_22reduce_config_selectorIN6thrust23THRUST_200600_302600_NS5tupleIblNS6_9null_typeES8_S8_S8_S8_S8_S8_S8_EEEEZNS1_11reduce_implILb1ES3_NS6_12zip_iteratorINS7_INS6_11hip_rocprim26transform_input_iterator_tIbPN3c104HalfENS6_6detail10functional5actorINSJ_9compositeIJNSJ_27transparent_binary_operatorINS6_8equal_toIvEEEENSK_INSJ_8argumentILj0EEEEENSJ_5valueISG_EEEEEEEEENSD_19counting_iterator_tIlEES8_S8_S8_S8_S8_S8_S8_S8_EEEEPS9_S9_NSD_9__find_if7functorIS9_EEEE10hipError_tPvRmT1_T2_T3_mT4_P12ihipStream_tbEUlT_E1_NS1_11comp_targetILNS1_3genE5ELNS1_11target_archE942ELNS1_3gpuE9ELNS1_3repE0EEENS1_30default_config_static_selectorELNS0_4arch9wavefront6targetE1EEEvS19_.has_recursion, 0
	.set _ZN7rocprim17ROCPRIM_400000_NS6detail17trampoline_kernelINS0_14default_configENS1_22reduce_config_selectorIN6thrust23THRUST_200600_302600_NS5tupleIblNS6_9null_typeES8_S8_S8_S8_S8_S8_S8_EEEEZNS1_11reduce_implILb1ES3_NS6_12zip_iteratorINS7_INS6_11hip_rocprim26transform_input_iterator_tIbPN3c104HalfENS6_6detail10functional5actorINSJ_9compositeIJNSJ_27transparent_binary_operatorINS6_8equal_toIvEEEENSK_INSJ_8argumentILj0EEEEENSJ_5valueISG_EEEEEEEEENSD_19counting_iterator_tIlEES8_S8_S8_S8_S8_S8_S8_S8_EEEEPS9_S9_NSD_9__find_if7functorIS9_EEEE10hipError_tPvRmT1_T2_T3_mT4_P12ihipStream_tbEUlT_E1_NS1_11comp_targetILNS1_3genE5ELNS1_11target_archE942ELNS1_3gpuE9ELNS1_3repE0EEENS1_30default_config_static_selectorELNS0_4arch9wavefront6targetE1EEEvS19_.has_indirect_call, 0
	.section	.AMDGPU.csdata,"",@progbits
; Kernel info:
; codeLenInByte = 0
; TotalNumSgprs: 4
; NumVgprs: 0
; ScratchSize: 0
; MemoryBound: 0
; FloatMode: 240
; IeeeMode: 1
; LDSByteSize: 0 bytes/workgroup (compile time only)
; SGPRBlocks: 0
; VGPRBlocks: 0
; NumSGPRsForWavesPerEU: 4
; NumVGPRsForWavesPerEU: 1
; Occupancy: 10
; WaveLimiterHint : 0
; COMPUTE_PGM_RSRC2:SCRATCH_EN: 0
; COMPUTE_PGM_RSRC2:USER_SGPR: 6
; COMPUTE_PGM_RSRC2:TRAP_HANDLER: 0
; COMPUTE_PGM_RSRC2:TGID_X_EN: 1
; COMPUTE_PGM_RSRC2:TGID_Y_EN: 0
; COMPUTE_PGM_RSRC2:TGID_Z_EN: 0
; COMPUTE_PGM_RSRC2:TIDIG_COMP_CNT: 0
	.section	.text._ZN7rocprim17ROCPRIM_400000_NS6detail17trampoline_kernelINS0_14default_configENS1_22reduce_config_selectorIN6thrust23THRUST_200600_302600_NS5tupleIblNS6_9null_typeES8_S8_S8_S8_S8_S8_S8_EEEEZNS1_11reduce_implILb1ES3_NS6_12zip_iteratorINS7_INS6_11hip_rocprim26transform_input_iterator_tIbPN3c104HalfENS6_6detail10functional5actorINSJ_9compositeIJNSJ_27transparent_binary_operatorINS6_8equal_toIvEEEENSK_INSJ_8argumentILj0EEEEENSJ_5valueISG_EEEEEEEEENSD_19counting_iterator_tIlEES8_S8_S8_S8_S8_S8_S8_S8_EEEEPS9_S9_NSD_9__find_if7functorIS9_EEEE10hipError_tPvRmT1_T2_T3_mT4_P12ihipStream_tbEUlT_E1_NS1_11comp_targetILNS1_3genE4ELNS1_11target_archE910ELNS1_3gpuE8ELNS1_3repE0EEENS1_30default_config_static_selectorELNS0_4arch9wavefront6targetE1EEEvS19_,"axG",@progbits,_ZN7rocprim17ROCPRIM_400000_NS6detail17trampoline_kernelINS0_14default_configENS1_22reduce_config_selectorIN6thrust23THRUST_200600_302600_NS5tupleIblNS6_9null_typeES8_S8_S8_S8_S8_S8_S8_EEEEZNS1_11reduce_implILb1ES3_NS6_12zip_iteratorINS7_INS6_11hip_rocprim26transform_input_iterator_tIbPN3c104HalfENS6_6detail10functional5actorINSJ_9compositeIJNSJ_27transparent_binary_operatorINS6_8equal_toIvEEEENSK_INSJ_8argumentILj0EEEEENSJ_5valueISG_EEEEEEEEENSD_19counting_iterator_tIlEES8_S8_S8_S8_S8_S8_S8_S8_EEEEPS9_S9_NSD_9__find_if7functorIS9_EEEE10hipError_tPvRmT1_T2_T3_mT4_P12ihipStream_tbEUlT_E1_NS1_11comp_targetILNS1_3genE4ELNS1_11target_archE910ELNS1_3gpuE8ELNS1_3repE0EEENS1_30default_config_static_selectorELNS0_4arch9wavefront6targetE1EEEvS19_,comdat
	.protected	_ZN7rocprim17ROCPRIM_400000_NS6detail17trampoline_kernelINS0_14default_configENS1_22reduce_config_selectorIN6thrust23THRUST_200600_302600_NS5tupleIblNS6_9null_typeES8_S8_S8_S8_S8_S8_S8_EEEEZNS1_11reduce_implILb1ES3_NS6_12zip_iteratorINS7_INS6_11hip_rocprim26transform_input_iterator_tIbPN3c104HalfENS6_6detail10functional5actorINSJ_9compositeIJNSJ_27transparent_binary_operatorINS6_8equal_toIvEEEENSK_INSJ_8argumentILj0EEEEENSJ_5valueISG_EEEEEEEEENSD_19counting_iterator_tIlEES8_S8_S8_S8_S8_S8_S8_S8_EEEEPS9_S9_NSD_9__find_if7functorIS9_EEEE10hipError_tPvRmT1_T2_T3_mT4_P12ihipStream_tbEUlT_E1_NS1_11comp_targetILNS1_3genE4ELNS1_11target_archE910ELNS1_3gpuE8ELNS1_3repE0EEENS1_30default_config_static_selectorELNS0_4arch9wavefront6targetE1EEEvS19_ ; -- Begin function _ZN7rocprim17ROCPRIM_400000_NS6detail17trampoline_kernelINS0_14default_configENS1_22reduce_config_selectorIN6thrust23THRUST_200600_302600_NS5tupleIblNS6_9null_typeES8_S8_S8_S8_S8_S8_S8_EEEEZNS1_11reduce_implILb1ES3_NS6_12zip_iteratorINS7_INS6_11hip_rocprim26transform_input_iterator_tIbPN3c104HalfENS6_6detail10functional5actorINSJ_9compositeIJNSJ_27transparent_binary_operatorINS6_8equal_toIvEEEENSK_INSJ_8argumentILj0EEEEENSJ_5valueISG_EEEEEEEEENSD_19counting_iterator_tIlEES8_S8_S8_S8_S8_S8_S8_S8_EEEEPS9_S9_NSD_9__find_if7functorIS9_EEEE10hipError_tPvRmT1_T2_T3_mT4_P12ihipStream_tbEUlT_E1_NS1_11comp_targetILNS1_3genE4ELNS1_11target_archE910ELNS1_3gpuE8ELNS1_3repE0EEENS1_30default_config_static_selectorELNS0_4arch9wavefront6targetE1EEEvS19_
	.globl	_ZN7rocprim17ROCPRIM_400000_NS6detail17trampoline_kernelINS0_14default_configENS1_22reduce_config_selectorIN6thrust23THRUST_200600_302600_NS5tupleIblNS6_9null_typeES8_S8_S8_S8_S8_S8_S8_EEEEZNS1_11reduce_implILb1ES3_NS6_12zip_iteratorINS7_INS6_11hip_rocprim26transform_input_iterator_tIbPN3c104HalfENS6_6detail10functional5actorINSJ_9compositeIJNSJ_27transparent_binary_operatorINS6_8equal_toIvEEEENSK_INSJ_8argumentILj0EEEEENSJ_5valueISG_EEEEEEEEENSD_19counting_iterator_tIlEES8_S8_S8_S8_S8_S8_S8_S8_EEEEPS9_S9_NSD_9__find_if7functorIS9_EEEE10hipError_tPvRmT1_T2_T3_mT4_P12ihipStream_tbEUlT_E1_NS1_11comp_targetILNS1_3genE4ELNS1_11target_archE910ELNS1_3gpuE8ELNS1_3repE0EEENS1_30default_config_static_selectorELNS0_4arch9wavefront6targetE1EEEvS19_
	.p2align	8
	.type	_ZN7rocprim17ROCPRIM_400000_NS6detail17trampoline_kernelINS0_14default_configENS1_22reduce_config_selectorIN6thrust23THRUST_200600_302600_NS5tupleIblNS6_9null_typeES8_S8_S8_S8_S8_S8_S8_EEEEZNS1_11reduce_implILb1ES3_NS6_12zip_iteratorINS7_INS6_11hip_rocprim26transform_input_iterator_tIbPN3c104HalfENS6_6detail10functional5actorINSJ_9compositeIJNSJ_27transparent_binary_operatorINS6_8equal_toIvEEEENSK_INSJ_8argumentILj0EEEEENSJ_5valueISG_EEEEEEEEENSD_19counting_iterator_tIlEES8_S8_S8_S8_S8_S8_S8_S8_EEEEPS9_S9_NSD_9__find_if7functorIS9_EEEE10hipError_tPvRmT1_T2_T3_mT4_P12ihipStream_tbEUlT_E1_NS1_11comp_targetILNS1_3genE4ELNS1_11target_archE910ELNS1_3gpuE8ELNS1_3repE0EEENS1_30default_config_static_selectorELNS0_4arch9wavefront6targetE1EEEvS19_,@function
_ZN7rocprim17ROCPRIM_400000_NS6detail17trampoline_kernelINS0_14default_configENS1_22reduce_config_selectorIN6thrust23THRUST_200600_302600_NS5tupleIblNS6_9null_typeES8_S8_S8_S8_S8_S8_S8_EEEEZNS1_11reduce_implILb1ES3_NS6_12zip_iteratorINS7_INS6_11hip_rocprim26transform_input_iterator_tIbPN3c104HalfENS6_6detail10functional5actorINSJ_9compositeIJNSJ_27transparent_binary_operatorINS6_8equal_toIvEEEENSK_INSJ_8argumentILj0EEEEENSJ_5valueISG_EEEEEEEEENSD_19counting_iterator_tIlEES8_S8_S8_S8_S8_S8_S8_S8_EEEEPS9_S9_NSD_9__find_if7functorIS9_EEEE10hipError_tPvRmT1_T2_T3_mT4_P12ihipStream_tbEUlT_E1_NS1_11comp_targetILNS1_3genE4ELNS1_11target_archE910ELNS1_3gpuE8ELNS1_3repE0EEENS1_30default_config_static_selectorELNS0_4arch9wavefront6targetE1EEEvS19_: ; @_ZN7rocprim17ROCPRIM_400000_NS6detail17trampoline_kernelINS0_14default_configENS1_22reduce_config_selectorIN6thrust23THRUST_200600_302600_NS5tupleIblNS6_9null_typeES8_S8_S8_S8_S8_S8_S8_EEEEZNS1_11reduce_implILb1ES3_NS6_12zip_iteratorINS7_INS6_11hip_rocprim26transform_input_iterator_tIbPN3c104HalfENS6_6detail10functional5actorINSJ_9compositeIJNSJ_27transparent_binary_operatorINS6_8equal_toIvEEEENSK_INSJ_8argumentILj0EEEEENSJ_5valueISG_EEEEEEEEENSD_19counting_iterator_tIlEES8_S8_S8_S8_S8_S8_S8_S8_EEEEPS9_S9_NSD_9__find_if7functorIS9_EEEE10hipError_tPvRmT1_T2_T3_mT4_P12ihipStream_tbEUlT_E1_NS1_11comp_targetILNS1_3genE4ELNS1_11target_archE910ELNS1_3gpuE8ELNS1_3repE0EEENS1_30default_config_static_selectorELNS0_4arch9wavefront6targetE1EEEvS19_
; %bb.0:
	.section	.rodata,"a",@progbits
	.p2align	6, 0x0
	.amdhsa_kernel _ZN7rocprim17ROCPRIM_400000_NS6detail17trampoline_kernelINS0_14default_configENS1_22reduce_config_selectorIN6thrust23THRUST_200600_302600_NS5tupleIblNS6_9null_typeES8_S8_S8_S8_S8_S8_S8_EEEEZNS1_11reduce_implILb1ES3_NS6_12zip_iteratorINS7_INS6_11hip_rocprim26transform_input_iterator_tIbPN3c104HalfENS6_6detail10functional5actorINSJ_9compositeIJNSJ_27transparent_binary_operatorINS6_8equal_toIvEEEENSK_INSJ_8argumentILj0EEEEENSJ_5valueISG_EEEEEEEEENSD_19counting_iterator_tIlEES8_S8_S8_S8_S8_S8_S8_S8_EEEEPS9_S9_NSD_9__find_if7functorIS9_EEEE10hipError_tPvRmT1_T2_T3_mT4_P12ihipStream_tbEUlT_E1_NS1_11comp_targetILNS1_3genE4ELNS1_11target_archE910ELNS1_3gpuE8ELNS1_3repE0EEENS1_30default_config_static_selectorELNS0_4arch9wavefront6targetE1EEEvS19_
		.amdhsa_group_segment_fixed_size 0
		.amdhsa_private_segment_fixed_size 0
		.amdhsa_kernarg_size 72
		.amdhsa_user_sgpr_count 6
		.amdhsa_user_sgpr_private_segment_buffer 1
		.amdhsa_user_sgpr_dispatch_ptr 0
		.amdhsa_user_sgpr_queue_ptr 0
		.amdhsa_user_sgpr_kernarg_segment_ptr 1
		.amdhsa_user_sgpr_dispatch_id 0
		.amdhsa_user_sgpr_flat_scratch_init 0
		.amdhsa_user_sgpr_private_segment_size 0
		.amdhsa_uses_dynamic_stack 0
		.amdhsa_system_sgpr_private_segment_wavefront_offset 0
		.amdhsa_system_sgpr_workgroup_id_x 1
		.amdhsa_system_sgpr_workgroup_id_y 0
		.amdhsa_system_sgpr_workgroup_id_z 0
		.amdhsa_system_sgpr_workgroup_info 0
		.amdhsa_system_vgpr_workitem_id 0
		.amdhsa_next_free_vgpr 1
		.amdhsa_next_free_sgpr 0
		.amdhsa_reserve_vcc 0
		.amdhsa_reserve_flat_scratch 0
		.amdhsa_float_round_mode_32 0
		.amdhsa_float_round_mode_16_64 0
		.amdhsa_float_denorm_mode_32 3
		.amdhsa_float_denorm_mode_16_64 3
		.amdhsa_dx10_clamp 1
		.amdhsa_ieee_mode 1
		.amdhsa_fp16_overflow 0
		.amdhsa_exception_fp_ieee_invalid_op 0
		.amdhsa_exception_fp_denorm_src 0
		.amdhsa_exception_fp_ieee_div_zero 0
		.amdhsa_exception_fp_ieee_overflow 0
		.amdhsa_exception_fp_ieee_underflow 0
		.amdhsa_exception_fp_ieee_inexact 0
		.amdhsa_exception_int_div_zero 0
	.end_amdhsa_kernel
	.section	.text._ZN7rocprim17ROCPRIM_400000_NS6detail17trampoline_kernelINS0_14default_configENS1_22reduce_config_selectorIN6thrust23THRUST_200600_302600_NS5tupleIblNS6_9null_typeES8_S8_S8_S8_S8_S8_S8_EEEEZNS1_11reduce_implILb1ES3_NS6_12zip_iteratorINS7_INS6_11hip_rocprim26transform_input_iterator_tIbPN3c104HalfENS6_6detail10functional5actorINSJ_9compositeIJNSJ_27transparent_binary_operatorINS6_8equal_toIvEEEENSK_INSJ_8argumentILj0EEEEENSJ_5valueISG_EEEEEEEEENSD_19counting_iterator_tIlEES8_S8_S8_S8_S8_S8_S8_S8_EEEEPS9_S9_NSD_9__find_if7functorIS9_EEEE10hipError_tPvRmT1_T2_T3_mT4_P12ihipStream_tbEUlT_E1_NS1_11comp_targetILNS1_3genE4ELNS1_11target_archE910ELNS1_3gpuE8ELNS1_3repE0EEENS1_30default_config_static_selectorELNS0_4arch9wavefront6targetE1EEEvS19_,"axG",@progbits,_ZN7rocprim17ROCPRIM_400000_NS6detail17trampoline_kernelINS0_14default_configENS1_22reduce_config_selectorIN6thrust23THRUST_200600_302600_NS5tupleIblNS6_9null_typeES8_S8_S8_S8_S8_S8_S8_EEEEZNS1_11reduce_implILb1ES3_NS6_12zip_iteratorINS7_INS6_11hip_rocprim26transform_input_iterator_tIbPN3c104HalfENS6_6detail10functional5actorINSJ_9compositeIJNSJ_27transparent_binary_operatorINS6_8equal_toIvEEEENSK_INSJ_8argumentILj0EEEEENSJ_5valueISG_EEEEEEEEENSD_19counting_iterator_tIlEES8_S8_S8_S8_S8_S8_S8_S8_EEEEPS9_S9_NSD_9__find_if7functorIS9_EEEE10hipError_tPvRmT1_T2_T3_mT4_P12ihipStream_tbEUlT_E1_NS1_11comp_targetILNS1_3genE4ELNS1_11target_archE910ELNS1_3gpuE8ELNS1_3repE0EEENS1_30default_config_static_selectorELNS0_4arch9wavefront6targetE1EEEvS19_,comdat
.Lfunc_end2245:
	.size	_ZN7rocprim17ROCPRIM_400000_NS6detail17trampoline_kernelINS0_14default_configENS1_22reduce_config_selectorIN6thrust23THRUST_200600_302600_NS5tupleIblNS6_9null_typeES8_S8_S8_S8_S8_S8_S8_EEEEZNS1_11reduce_implILb1ES3_NS6_12zip_iteratorINS7_INS6_11hip_rocprim26transform_input_iterator_tIbPN3c104HalfENS6_6detail10functional5actorINSJ_9compositeIJNSJ_27transparent_binary_operatorINS6_8equal_toIvEEEENSK_INSJ_8argumentILj0EEEEENSJ_5valueISG_EEEEEEEEENSD_19counting_iterator_tIlEES8_S8_S8_S8_S8_S8_S8_S8_EEEEPS9_S9_NSD_9__find_if7functorIS9_EEEE10hipError_tPvRmT1_T2_T3_mT4_P12ihipStream_tbEUlT_E1_NS1_11comp_targetILNS1_3genE4ELNS1_11target_archE910ELNS1_3gpuE8ELNS1_3repE0EEENS1_30default_config_static_selectorELNS0_4arch9wavefront6targetE1EEEvS19_, .Lfunc_end2245-_ZN7rocprim17ROCPRIM_400000_NS6detail17trampoline_kernelINS0_14default_configENS1_22reduce_config_selectorIN6thrust23THRUST_200600_302600_NS5tupleIblNS6_9null_typeES8_S8_S8_S8_S8_S8_S8_EEEEZNS1_11reduce_implILb1ES3_NS6_12zip_iteratorINS7_INS6_11hip_rocprim26transform_input_iterator_tIbPN3c104HalfENS6_6detail10functional5actorINSJ_9compositeIJNSJ_27transparent_binary_operatorINS6_8equal_toIvEEEENSK_INSJ_8argumentILj0EEEEENSJ_5valueISG_EEEEEEEEENSD_19counting_iterator_tIlEES8_S8_S8_S8_S8_S8_S8_S8_EEEEPS9_S9_NSD_9__find_if7functorIS9_EEEE10hipError_tPvRmT1_T2_T3_mT4_P12ihipStream_tbEUlT_E1_NS1_11comp_targetILNS1_3genE4ELNS1_11target_archE910ELNS1_3gpuE8ELNS1_3repE0EEENS1_30default_config_static_selectorELNS0_4arch9wavefront6targetE1EEEvS19_
                                        ; -- End function
	.set _ZN7rocprim17ROCPRIM_400000_NS6detail17trampoline_kernelINS0_14default_configENS1_22reduce_config_selectorIN6thrust23THRUST_200600_302600_NS5tupleIblNS6_9null_typeES8_S8_S8_S8_S8_S8_S8_EEEEZNS1_11reduce_implILb1ES3_NS6_12zip_iteratorINS7_INS6_11hip_rocprim26transform_input_iterator_tIbPN3c104HalfENS6_6detail10functional5actorINSJ_9compositeIJNSJ_27transparent_binary_operatorINS6_8equal_toIvEEEENSK_INSJ_8argumentILj0EEEEENSJ_5valueISG_EEEEEEEEENSD_19counting_iterator_tIlEES8_S8_S8_S8_S8_S8_S8_S8_EEEEPS9_S9_NSD_9__find_if7functorIS9_EEEE10hipError_tPvRmT1_T2_T3_mT4_P12ihipStream_tbEUlT_E1_NS1_11comp_targetILNS1_3genE4ELNS1_11target_archE910ELNS1_3gpuE8ELNS1_3repE0EEENS1_30default_config_static_selectorELNS0_4arch9wavefront6targetE1EEEvS19_.num_vgpr, 0
	.set _ZN7rocprim17ROCPRIM_400000_NS6detail17trampoline_kernelINS0_14default_configENS1_22reduce_config_selectorIN6thrust23THRUST_200600_302600_NS5tupleIblNS6_9null_typeES8_S8_S8_S8_S8_S8_S8_EEEEZNS1_11reduce_implILb1ES3_NS6_12zip_iteratorINS7_INS6_11hip_rocprim26transform_input_iterator_tIbPN3c104HalfENS6_6detail10functional5actorINSJ_9compositeIJNSJ_27transparent_binary_operatorINS6_8equal_toIvEEEENSK_INSJ_8argumentILj0EEEEENSJ_5valueISG_EEEEEEEEENSD_19counting_iterator_tIlEES8_S8_S8_S8_S8_S8_S8_S8_EEEEPS9_S9_NSD_9__find_if7functorIS9_EEEE10hipError_tPvRmT1_T2_T3_mT4_P12ihipStream_tbEUlT_E1_NS1_11comp_targetILNS1_3genE4ELNS1_11target_archE910ELNS1_3gpuE8ELNS1_3repE0EEENS1_30default_config_static_selectorELNS0_4arch9wavefront6targetE1EEEvS19_.num_agpr, 0
	.set _ZN7rocprim17ROCPRIM_400000_NS6detail17trampoline_kernelINS0_14default_configENS1_22reduce_config_selectorIN6thrust23THRUST_200600_302600_NS5tupleIblNS6_9null_typeES8_S8_S8_S8_S8_S8_S8_EEEEZNS1_11reduce_implILb1ES3_NS6_12zip_iteratorINS7_INS6_11hip_rocprim26transform_input_iterator_tIbPN3c104HalfENS6_6detail10functional5actorINSJ_9compositeIJNSJ_27transparent_binary_operatorINS6_8equal_toIvEEEENSK_INSJ_8argumentILj0EEEEENSJ_5valueISG_EEEEEEEEENSD_19counting_iterator_tIlEES8_S8_S8_S8_S8_S8_S8_S8_EEEEPS9_S9_NSD_9__find_if7functorIS9_EEEE10hipError_tPvRmT1_T2_T3_mT4_P12ihipStream_tbEUlT_E1_NS1_11comp_targetILNS1_3genE4ELNS1_11target_archE910ELNS1_3gpuE8ELNS1_3repE0EEENS1_30default_config_static_selectorELNS0_4arch9wavefront6targetE1EEEvS19_.numbered_sgpr, 0
	.set _ZN7rocprim17ROCPRIM_400000_NS6detail17trampoline_kernelINS0_14default_configENS1_22reduce_config_selectorIN6thrust23THRUST_200600_302600_NS5tupleIblNS6_9null_typeES8_S8_S8_S8_S8_S8_S8_EEEEZNS1_11reduce_implILb1ES3_NS6_12zip_iteratorINS7_INS6_11hip_rocprim26transform_input_iterator_tIbPN3c104HalfENS6_6detail10functional5actorINSJ_9compositeIJNSJ_27transparent_binary_operatorINS6_8equal_toIvEEEENSK_INSJ_8argumentILj0EEEEENSJ_5valueISG_EEEEEEEEENSD_19counting_iterator_tIlEES8_S8_S8_S8_S8_S8_S8_S8_EEEEPS9_S9_NSD_9__find_if7functorIS9_EEEE10hipError_tPvRmT1_T2_T3_mT4_P12ihipStream_tbEUlT_E1_NS1_11comp_targetILNS1_3genE4ELNS1_11target_archE910ELNS1_3gpuE8ELNS1_3repE0EEENS1_30default_config_static_selectorELNS0_4arch9wavefront6targetE1EEEvS19_.num_named_barrier, 0
	.set _ZN7rocprim17ROCPRIM_400000_NS6detail17trampoline_kernelINS0_14default_configENS1_22reduce_config_selectorIN6thrust23THRUST_200600_302600_NS5tupleIblNS6_9null_typeES8_S8_S8_S8_S8_S8_S8_EEEEZNS1_11reduce_implILb1ES3_NS6_12zip_iteratorINS7_INS6_11hip_rocprim26transform_input_iterator_tIbPN3c104HalfENS6_6detail10functional5actorINSJ_9compositeIJNSJ_27transparent_binary_operatorINS6_8equal_toIvEEEENSK_INSJ_8argumentILj0EEEEENSJ_5valueISG_EEEEEEEEENSD_19counting_iterator_tIlEES8_S8_S8_S8_S8_S8_S8_S8_EEEEPS9_S9_NSD_9__find_if7functorIS9_EEEE10hipError_tPvRmT1_T2_T3_mT4_P12ihipStream_tbEUlT_E1_NS1_11comp_targetILNS1_3genE4ELNS1_11target_archE910ELNS1_3gpuE8ELNS1_3repE0EEENS1_30default_config_static_selectorELNS0_4arch9wavefront6targetE1EEEvS19_.private_seg_size, 0
	.set _ZN7rocprim17ROCPRIM_400000_NS6detail17trampoline_kernelINS0_14default_configENS1_22reduce_config_selectorIN6thrust23THRUST_200600_302600_NS5tupleIblNS6_9null_typeES8_S8_S8_S8_S8_S8_S8_EEEEZNS1_11reduce_implILb1ES3_NS6_12zip_iteratorINS7_INS6_11hip_rocprim26transform_input_iterator_tIbPN3c104HalfENS6_6detail10functional5actorINSJ_9compositeIJNSJ_27transparent_binary_operatorINS6_8equal_toIvEEEENSK_INSJ_8argumentILj0EEEEENSJ_5valueISG_EEEEEEEEENSD_19counting_iterator_tIlEES8_S8_S8_S8_S8_S8_S8_S8_EEEEPS9_S9_NSD_9__find_if7functorIS9_EEEE10hipError_tPvRmT1_T2_T3_mT4_P12ihipStream_tbEUlT_E1_NS1_11comp_targetILNS1_3genE4ELNS1_11target_archE910ELNS1_3gpuE8ELNS1_3repE0EEENS1_30default_config_static_selectorELNS0_4arch9wavefront6targetE1EEEvS19_.uses_vcc, 0
	.set _ZN7rocprim17ROCPRIM_400000_NS6detail17trampoline_kernelINS0_14default_configENS1_22reduce_config_selectorIN6thrust23THRUST_200600_302600_NS5tupleIblNS6_9null_typeES8_S8_S8_S8_S8_S8_S8_EEEEZNS1_11reduce_implILb1ES3_NS6_12zip_iteratorINS7_INS6_11hip_rocprim26transform_input_iterator_tIbPN3c104HalfENS6_6detail10functional5actorINSJ_9compositeIJNSJ_27transparent_binary_operatorINS6_8equal_toIvEEEENSK_INSJ_8argumentILj0EEEEENSJ_5valueISG_EEEEEEEEENSD_19counting_iterator_tIlEES8_S8_S8_S8_S8_S8_S8_S8_EEEEPS9_S9_NSD_9__find_if7functorIS9_EEEE10hipError_tPvRmT1_T2_T3_mT4_P12ihipStream_tbEUlT_E1_NS1_11comp_targetILNS1_3genE4ELNS1_11target_archE910ELNS1_3gpuE8ELNS1_3repE0EEENS1_30default_config_static_selectorELNS0_4arch9wavefront6targetE1EEEvS19_.uses_flat_scratch, 0
	.set _ZN7rocprim17ROCPRIM_400000_NS6detail17trampoline_kernelINS0_14default_configENS1_22reduce_config_selectorIN6thrust23THRUST_200600_302600_NS5tupleIblNS6_9null_typeES8_S8_S8_S8_S8_S8_S8_EEEEZNS1_11reduce_implILb1ES3_NS6_12zip_iteratorINS7_INS6_11hip_rocprim26transform_input_iterator_tIbPN3c104HalfENS6_6detail10functional5actorINSJ_9compositeIJNSJ_27transparent_binary_operatorINS6_8equal_toIvEEEENSK_INSJ_8argumentILj0EEEEENSJ_5valueISG_EEEEEEEEENSD_19counting_iterator_tIlEES8_S8_S8_S8_S8_S8_S8_S8_EEEEPS9_S9_NSD_9__find_if7functorIS9_EEEE10hipError_tPvRmT1_T2_T3_mT4_P12ihipStream_tbEUlT_E1_NS1_11comp_targetILNS1_3genE4ELNS1_11target_archE910ELNS1_3gpuE8ELNS1_3repE0EEENS1_30default_config_static_selectorELNS0_4arch9wavefront6targetE1EEEvS19_.has_dyn_sized_stack, 0
	.set _ZN7rocprim17ROCPRIM_400000_NS6detail17trampoline_kernelINS0_14default_configENS1_22reduce_config_selectorIN6thrust23THRUST_200600_302600_NS5tupleIblNS6_9null_typeES8_S8_S8_S8_S8_S8_S8_EEEEZNS1_11reduce_implILb1ES3_NS6_12zip_iteratorINS7_INS6_11hip_rocprim26transform_input_iterator_tIbPN3c104HalfENS6_6detail10functional5actorINSJ_9compositeIJNSJ_27transparent_binary_operatorINS6_8equal_toIvEEEENSK_INSJ_8argumentILj0EEEEENSJ_5valueISG_EEEEEEEEENSD_19counting_iterator_tIlEES8_S8_S8_S8_S8_S8_S8_S8_EEEEPS9_S9_NSD_9__find_if7functorIS9_EEEE10hipError_tPvRmT1_T2_T3_mT4_P12ihipStream_tbEUlT_E1_NS1_11comp_targetILNS1_3genE4ELNS1_11target_archE910ELNS1_3gpuE8ELNS1_3repE0EEENS1_30default_config_static_selectorELNS0_4arch9wavefront6targetE1EEEvS19_.has_recursion, 0
	.set _ZN7rocprim17ROCPRIM_400000_NS6detail17trampoline_kernelINS0_14default_configENS1_22reduce_config_selectorIN6thrust23THRUST_200600_302600_NS5tupleIblNS6_9null_typeES8_S8_S8_S8_S8_S8_S8_EEEEZNS1_11reduce_implILb1ES3_NS6_12zip_iteratorINS7_INS6_11hip_rocprim26transform_input_iterator_tIbPN3c104HalfENS6_6detail10functional5actorINSJ_9compositeIJNSJ_27transparent_binary_operatorINS6_8equal_toIvEEEENSK_INSJ_8argumentILj0EEEEENSJ_5valueISG_EEEEEEEEENSD_19counting_iterator_tIlEES8_S8_S8_S8_S8_S8_S8_S8_EEEEPS9_S9_NSD_9__find_if7functorIS9_EEEE10hipError_tPvRmT1_T2_T3_mT4_P12ihipStream_tbEUlT_E1_NS1_11comp_targetILNS1_3genE4ELNS1_11target_archE910ELNS1_3gpuE8ELNS1_3repE0EEENS1_30default_config_static_selectorELNS0_4arch9wavefront6targetE1EEEvS19_.has_indirect_call, 0
	.section	.AMDGPU.csdata,"",@progbits
; Kernel info:
; codeLenInByte = 0
; TotalNumSgprs: 4
; NumVgprs: 0
; ScratchSize: 0
; MemoryBound: 0
; FloatMode: 240
; IeeeMode: 1
; LDSByteSize: 0 bytes/workgroup (compile time only)
; SGPRBlocks: 0
; VGPRBlocks: 0
; NumSGPRsForWavesPerEU: 4
; NumVGPRsForWavesPerEU: 1
; Occupancy: 10
; WaveLimiterHint : 0
; COMPUTE_PGM_RSRC2:SCRATCH_EN: 0
; COMPUTE_PGM_RSRC2:USER_SGPR: 6
; COMPUTE_PGM_RSRC2:TRAP_HANDLER: 0
; COMPUTE_PGM_RSRC2:TGID_X_EN: 1
; COMPUTE_PGM_RSRC2:TGID_Y_EN: 0
; COMPUTE_PGM_RSRC2:TGID_Z_EN: 0
; COMPUTE_PGM_RSRC2:TIDIG_COMP_CNT: 0
	.section	.text._ZN7rocprim17ROCPRIM_400000_NS6detail17trampoline_kernelINS0_14default_configENS1_22reduce_config_selectorIN6thrust23THRUST_200600_302600_NS5tupleIblNS6_9null_typeES8_S8_S8_S8_S8_S8_S8_EEEEZNS1_11reduce_implILb1ES3_NS6_12zip_iteratorINS7_INS6_11hip_rocprim26transform_input_iterator_tIbPN3c104HalfENS6_6detail10functional5actorINSJ_9compositeIJNSJ_27transparent_binary_operatorINS6_8equal_toIvEEEENSK_INSJ_8argumentILj0EEEEENSJ_5valueISG_EEEEEEEEENSD_19counting_iterator_tIlEES8_S8_S8_S8_S8_S8_S8_S8_EEEEPS9_S9_NSD_9__find_if7functorIS9_EEEE10hipError_tPvRmT1_T2_T3_mT4_P12ihipStream_tbEUlT_E1_NS1_11comp_targetILNS1_3genE3ELNS1_11target_archE908ELNS1_3gpuE7ELNS1_3repE0EEENS1_30default_config_static_selectorELNS0_4arch9wavefront6targetE1EEEvS19_,"axG",@progbits,_ZN7rocprim17ROCPRIM_400000_NS6detail17trampoline_kernelINS0_14default_configENS1_22reduce_config_selectorIN6thrust23THRUST_200600_302600_NS5tupleIblNS6_9null_typeES8_S8_S8_S8_S8_S8_S8_EEEEZNS1_11reduce_implILb1ES3_NS6_12zip_iteratorINS7_INS6_11hip_rocprim26transform_input_iterator_tIbPN3c104HalfENS6_6detail10functional5actorINSJ_9compositeIJNSJ_27transparent_binary_operatorINS6_8equal_toIvEEEENSK_INSJ_8argumentILj0EEEEENSJ_5valueISG_EEEEEEEEENSD_19counting_iterator_tIlEES8_S8_S8_S8_S8_S8_S8_S8_EEEEPS9_S9_NSD_9__find_if7functorIS9_EEEE10hipError_tPvRmT1_T2_T3_mT4_P12ihipStream_tbEUlT_E1_NS1_11comp_targetILNS1_3genE3ELNS1_11target_archE908ELNS1_3gpuE7ELNS1_3repE0EEENS1_30default_config_static_selectorELNS0_4arch9wavefront6targetE1EEEvS19_,comdat
	.protected	_ZN7rocprim17ROCPRIM_400000_NS6detail17trampoline_kernelINS0_14default_configENS1_22reduce_config_selectorIN6thrust23THRUST_200600_302600_NS5tupleIblNS6_9null_typeES8_S8_S8_S8_S8_S8_S8_EEEEZNS1_11reduce_implILb1ES3_NS6_12zip_iteratorINS7_INS6_11hip_rocprim26transform_input_iterator_tIbPN3c104HalfENS6_6detail10functional5actorINSJ_9compositeIJNSJ_27transparent_binary_operatorINS6_8equal_toIvEEEENSK_INSJ_8argumentILj0EEEEENSJ_5valueISG_EEEEEEEEENSD_19counting_iterator_tIlEES8_S8_S8_S8_S8_S8_S8_S8_EEEEPS9_S9_NSD_9__find_if7functorIS9_EEEE10hipError_tPvRmT1_T2_T3_mT4_P12ihipStream_tbEUlT_E1_NS1_11comp_targetILNS1_3genE3ELNS1_11target_archE908ELNS1_3gpuE7ELNS1_3repE0EEENS1_30default_config_static_selectorELNS0_4arch9wavefront6targetE1EEEvS19_ ; -- Begin function _ZN7rocprim17ROCPRIM_400000_NS6detail17trampoline_kernelINS0_14default_configENS1_22reduce_config_selectorIN6thrust23THRUST_200600_302600_NS5tupleIblNS6_9null_typeES8_S8_S8_S8_S8_S8_S8_EEEEZNS1_11reduce_implILb1ES3_NS6_12zip_iteratorINS7_INS6_11hip_rocprim26transform_input_iterator_tIbPN3c104HalfENS6_6detail10functional5actorINSJ_9compositeIJNSJ_27transparent_binary_operatorINS6_8equal_toIvEEEENSK_INSJ_8argumentILj0EEEEENSJ_5valueISG_EEEEEEEEENSD_19counting_iterator_tIlEES8_S8_S8_S8_S8_S8_S8_S8_EEEEPS9_S9_NSD_9__find_if7functorIS9_EEEE10hipError_tPvRmT1_T2_T3_mT4_P12ihipStream_tbEUlT_E1_NS1_11comp_targetILNS1_3genE3ELNS1_11target_archE908ELNS1_3gpuE7ELNS1_3repE0EEENS1_30default_config_static_selectorELNS0_4arch9wavefront6targetE1EEEvS19_
	.globl	_ZN7rocprim17ROCPRIM_400000_NS6detail17trampoline_kernelINS0_14default_configENS1_22reduce_config_selectorIN6thrust23THRUST_200600_302600_NS5tupleIblNS6_9null_typeES8_S8_S8_S8_S8_S8_S8_EEEEZNS1_11reduce_implILb1ES3_NS6_12zip_iteratorINS7_INS6_11hip_rocprim26transform_input_iterator_tIbPN3c104HalfENS6_6detail10functional5actorINSJ_9compositeIJNSJ_27transparent_binary_operatorINS6_8equal_toIvEEEENSK_INSJ_8argumentILj0EEEEENSJ_5valueISG_EEEEEEEEENSD_19counting_iterator_tIlEES8_S8_S8_S8_S8_S8_S8_S8_EEEEPS9_S9_NSD_9__find_if7functorIS9_EEEE10hipError_tPvRmT1_T2_T3_mT4_P12ihipStream_tbEUlT_E1_NS1_11comp_targetILNS1_3genE3ELNS1_11target_archE908ELNS1_3gpuE7ELNS1_3repE0EEENS1_30default_config_static_selectorELNS0_4arch9wavefront6targetE1EEEvS19_
	.p2align	8
	.type	_ZN7rocprim17ROCPRIM_400000_NS6detail17trampoline_kernelINS0_14default_configENS1_22reduce_config_selectorIN6thrust23THRUST_200600_302600_NS5tupleIblNS6_9null_typeES8_S8_S8_S8_S8_S8_S8_EEEEZNS1_11reduce_implILb1ES3_NS6_12zip_iteratorINS7_INS6_11hip_rocprim26transform_input_iterator_tIbPN3c104HalfENS6_6detail10functional5actorINSJ_9compositeIJNSJ_27transparent_binary_operatorINS6_8equal_toIvEEEENSK_INSJ_8argumentILj0EEEEENSJ_5valueISG_EEEEEEEEENSD_19counting_iterator_tIlEES8_S8_S8_S8_S8_S8_S8_S8_EEEEPS9_S9_NSD_9__find_if7functorIS9_EEEE10hipError_tPvRmT1_T2_T3_mT4_P12ihipStream_tbEUlT_E1_NS1_11comp_targetILNS1_3genE3ELNS1_11target_archE908ELNS1_3gpuE7ELNS1_3repE0EEENS1_30default_config_static_selectorELNS0_4arch9wavefront6targetE1EEEvS19_,@function
_ZN7rocprim17ROCPRIM_400000_NS6detail17trampoline_kernelINS0_14default_configENS1_22reduce_config_selectorIN6thrust23THRUST_200600_302600_NS5tupleIblNS6_9null_typeES8_S8_S8_S8_S8_S8_S8_EEEEZNS1_11reduce_implILb1ES3_NS6_12zip_iteratorINS7_INS6_11hip_rocprim26transform_input_iterator_tIbPN3c104HalfENS6_6detail10functional5actorINSJ_9compositeIJNSJ_27transparent_binary_operatorINS6_8equal_toIvEEEENSK_INSJ_8argumentILj0EEEEENSJ_5valueISG_EEEEEEEEENSD_19counting_iterator_tIlEES8_S8_S8_S8_S8_S8_S8_S8_EEEEPS9_S9_NSD_9__find_if7functorIS9_EEEE10hipError_tPvRmT1_T2_T3_mT4_P12ihipStream_tbEUlT_E1_NS1_11comp_targetILNS1_3genE3ELNS1_11target_archE908ELNS1_3gpuE7ELNS1_3repE0EEENS1_30default_config_static_selectorELNS0_4arch9wavefront6targetE1EEEvS19_: ; @_ZN7rocprim17ROCPRIM_400000_NS6detail17trampoline_kernelINS0_14default_configENS1_22reduce_config_selectorIN6thrust23THRUST_200600_302600_NS5tupleIblNS6_9null_typeES8_S8_S8_S8_S8_S8_S8_EEEEZNS1_11reduce_implILb1ES3_NS6_12zip_iteratorINS7_INS6_11hip_rocprim26transform_input_iterator_tIbPN3c104HalfENS6_6detail10functional5actorINSJ_9compositeIJNSJ_27transparent_binary_operatorINS6_8equal_toIvEEEENSK_INSJ_8argumentILj0EEEEENSJ_5valueISG_EEEEEEEEENSD_19counting_iterator_tIlEES8_S8_S8_S8_S8_S8_S8_S8_EEEEPS9_S9_NSD_9__find_if7functorIS9_EEEE10hipError_tPvRmT1_T2_T3_mT4_P12ihipStream_tbEUlT_E1_NS1_11comp_targetILNS1_3genE3ELNS1_11target_archE908ELNS1_3gpuE7ELNS1_3repE0EEENS1_30default_config_static_selectorELNS0_4arch9wavefront6targetE1EEEvS19_
; %bb.0:
	.section	.rodata,"a",@progbits
	.p2align	6, 0x0
	.amdhsa_kernel _ZN7rocprim17ROCPRIM_400000_NS6detail17trampoline_kernelINS0_14default_configENS1_22reduce_config_selectorIN6thrust23THRUST_200600_302600_NS5tupleIblNS6_9null_typeES8_S8_S8_S8_S8_S8_S8_EEEEZNS1_11reduce_implILb1ES3_NS6_12zip_iteratorINS7_INS6_11hip_rocprim26transform_input_iterator_tIbPN3c104HalfENS6_6detail10functional5actorINSJ_9compositeIJNSJ_27transparent_binary_operatorINS6_8equal_toIvEEEENSK_INSJ_8argumentILj0EEEEENSJ_5valueISG_EEEEEEEEENSD_19counting_iterator_tIlEES8_S8_S8_S8_S8_S8_S8_S8_EEEEPS9_S9_NSD_9__find_if7functorIS9_EEEE10hipError_tPvRmT1_T2_T3_mT4_P12ihipStream_tbEUlT_E1_NS1_11comp_targetILNS1_3genE3ELNS1_11target_archE908ELNS1_3gpuE7ELNS1_3repE0EEENS1_30default_config_static_selectorELNS0_4arch9wavefront6targetE1EEEvS19_
		.amdhsa_group_segment_fixed_size 0
		.amdhsa_private_segment_fixed_size 0
		.amdhsa_kernarg_size 72
		.amdhsa_user_sgpr_count 6
		.amdhsa_user_sgpr_private_segment_buffer 1
		.amdhsa_user_sgpr_dispatch_ptr 0
		.amdhsa_user_sgpr_queue_ptr 0
		.amdhsa_user_sgpr_kernarg_segment_ptr 1
		.amdhsa_user_sgpr_dispatch_id 0
		.amdhsa_user_sgpr_flat_scratch_init 0
		.amdhsa_user_sgpr_private_segment_size 0
		.amdhsa_uses_dynamic_stack 0
		.amdhsa_system_sgpr_private_segment_wavefront_offset 0
		.amdhsa_system_sgpr_workgroup_id_x 1
		.amdhsa_system_sgpr_workgroup_id_y 0
		.amdhsa_system_sgpr_workgroup_id_z 0
		.amdhsa_system_sgpr_workgroup_info 0
		.amdhsa_system_vgpr_workitem_id 0
		.amdhsa_next_free_vgpr 1
		.amdhsa_next_free_sgpr 0
		.amdhsa_reserve_vcc 0
		.amdhsa_reserve_flat_scratch 0
		.amdhsa_float_round_mode_32 0
		.amdhsa_float_round_mode_16_64 0
		.amdhsa_float_denorm_mode_32 3
		.amdhsa_float_denorm_mode_16_64 3
		.amdhsa_dx10_clamp 1
		.amdhsa_ieee_mode 1
		.amdhsa_fp16_overflow 0
		.amdhsa_exception_fp_ieee_invalid_op 0
		.amdhsa_exception_fp_denorm_src 0
		.amdhsa_exception_fp_ieee_div_zero 0
		.amdhsa_exception_fp_ieee_overflow 0
		.amdhsa_exception_fp_ieee_underflow 0
		.amdhsa_exception_fp_ieee_inexact 0
		.amdhsa_exception_int_div_zero 0
	.end_amdhsa_kernel
	.section	.text._ZN7rocprim17ROCPRIM_400000_NS6detail17trampoline_kernelINS0_14default_configENS1_22reduce_config_selectorIN6thrust23THRUST_200600_302600_NS5tupleIblNS6_9null_typeES8_S8_S8_S8_S8_S8_S8_EEEEZNS1_11reduce_implILb1ES3_NS6_12zip_iteratorINS7_INS6_11hip_rocprim26transform_input_iterator_tIbPN3c104HalfENS6_6detail10functional5actorINSJ_9compositeIJNSJ_27transparent_binary_operatorINS6_8equal_toIvEEEENSK_INSJ_8argumentILj0EEEEENSJ_5valueISG_EEEEEEEEENSD_19counting_iterator_tIlEES8_S8_S8_S8_S8_S8_S8_S8_EEEEPS9_S9_NSD_9__find_if7functorIS9_EEEE10hipError_tPvRmT1_T2_T3_mT4_P12ihipStream_tbEUlT_E1_NS1_11comp_targetILNS1_3genE3ELNS1_11target_archE908ELNS1_3gpuE7ELNS1_3repE0EEENS1_30default_config_static_selectorELNS0_4arch9wavefront6targetE1EEEvS19_,"axG",@progbits,_ZN7rocprim17ROCPRIM_400000_NS6detail17trampoline_kernelINS0_14default_configENS1_22reduce_config_selectorIN6thrust23THRUST_200600_302600_NS5tupleIblNS6_9null_typeES8_S8_S8_S8_S8_S8_S8_EEEEZNS1_11reduce_implILb1ES3_NS6_12zip_iteratorINS7_INS6_11hip_rocprim26transform_input_iterator_tIbPN3c104HalfENS6_6detail10functional5actorINSJ_9compositeIJNSJ_27transparent_binary_operatorINS6_8equal_toIvEEEENSK_INSJ_8argumentILj0EEEEENSJ_5valueISG_EEEEEEEEENSD_19counting_iterator_tIlEES8_S8_S8_S8_S8_S8_S8_S8_EEEEPS9_S9_NSD_9__find_if7functorIS9_EEEE10hipError_tPvRmT1_T2_T3_mT4_P12ihipStream_tbEUlT_E1_NS1_11comp_targetILNS1_3genE3ELNS1_11target_archE908ELNS1_3gpuE7ELNS1_3repE0EEENS1_30default_config_static_selectorELNS0_4arch9wavefront6targetE1EEEvS19_,comdat
.Lfunc_end2246:
	.size	_ZN7rocprim17ROCPRIM_400000_NS6detail17trampoline_kernelINS0_14default_configENS1_22reduce_config_selectorIN6thrust23THRUST_200600_302600_NS5tupleIblNS6_9null_typeES8_S8_S8_S8_S8_S8_S8_EEEEZNS1_11reduce_implILb1ES3_NS6_12zip_iteratorINS7_INS6_11hip_rocprim26transform_input_iterator_tIbPN3c104HalfENS6_6detail10functional5actorINSJ_9compositeIJNSJ_27transparent_binary_operatorINS6_8equal_toIvEEEENSK_INSJ_8argumentILj0EEEEENSJ_5valueISG_EEEEEEEEENSD_19counting_iterator_tIlEES8_S8_S8_S8_S8_S8_S8_S8_EEEEPS9_S9_NSD_9__find_if7functorIS9_EEEE10hipError_tPvRmT1_T2_T3_mT4_P12ihipStream_tbEUlT_E1_NS1_11comp_targetILNS1_3genE3ELNS1_11target_archE908ELNS1_3gpuE7ELNS1_3repE0EEENS1_30default_config_static_selectorELNS0_4arch9wavefront6targetE1EEEvS19_, .Lfunc_end2246-_ZN7rocprim17ROCPRIM_400000_NS6detail17trampoline_kernelINS0_14default_configENS1_22reduce_config_selectorIN6thrust23THRUST_200600_302600_NS5tupleIblNS6_9null_typeES8_S8_S8_S8_S8_S8_S8_EEEEZNS1_11reduce_implILb1ES3_NS6_12zip_iteratorINS7_INS6_11hip_rocprim26transform_input_iterator_tIbPN3c104HalfENS6_6detail10functional5actorINSJ_9compositeIJNSJ_27transparent_binary_operatorINS6_8equal_toIvEEEENSK_INSJ_8argumentILj0EEEEENSJ_5valueISG_EEEEEEEEENSD_19counting_iterator_tIlEES8_S8_S8_S8_S8_S8_S8_S8_EEEEPS9_S9_NSD_9__find_if7functorIS9_EEEE10hipError_tPvRmT1_T2_T3_mT4_P12ihipStream_tbEUlT_E1_NS1_11comp_targetILNS1_3genE3ELNS1_11target_archE908ELNS1_3gpuE7ELNS1_3repE0EEENS1_30default_config_static_selectorELNS0_4arch9wavefront6targetE1EEEvS19_
                                        ; -- End function
	.set _ZN7rocprim17ROCPRIM_400000_NS6detail17trampoline_kernelINS0_14default_configENS1_22reduce_config_selectorIN6thrust23THRUST_200600_302600_NS5tupleIblNS6_9null_typeES8_S8_S8_S8_S8_S8_S8_EEEEZNS1_11reduce_implILb1ES3_NS6_12zip_iteratorINS7_INS6_11hip_rocprim26transform_input_iterator_tIbPN3c104HalfENS6_6detail10functional5actorINSJ_9compositeIJNSJ_27transparent_binary_operatorINS6_8equal_toIvEEEENSK_INSJ_8argumentILj0EEEEENSJ_5valueISG_EEEEEEEEENSD_19counting_iterator_tIlEES8_S8_S8_S8_S8_S8_S8_S8_EEEEPS9_S9_NSD_9__find_if7functorIS9_EEEE10hipError_tPvRmT1_T2_T3_mT4_P12ihipStream_tbEUlT_E1_NS1_11comp_targetILNS1_3genE3ELNS1_11target_archE908ELNS1_3gpuE7ELNS1_3repE0EEENS1_30default_config_static_selectorELNS0_4arch9wavefront6targetE1EEEvS19_.num_vgpr, 0
	.set _ZN7rocprim17ROCPRIM_400000_NS6detail17trampoline_kernelINS0_14default_configENS1_22reduce_config_selectorIN6thrust23THRUST_200600_302600_NS5tupleIblNS6_9null_typeES8_S8_S8_S8_S8_S8_S8_EEEEZNS1_11reduce_implILb1ES3_NS6_12zip_iteratorINS7_INS6_11hip_rocprim26transform_input_iterator_tIbPN3c104HalfENS6_6detail10functional5actorINSJ_9compositeIJNSJ_27transparent_binary_operatorINS6_8equal_toIvEEEENSK_INSJ_8argumentILj0EEEEENSJ_5valueISG_EEEEEEEEENSD_19counting_iterator_tIlEES8_S8_S8_S8_S8_S8_S8_S8_EEEEPS9_S9_NSD_9__find_if7functorIS9_EEEE10hipError_tPvRmT1_T2_T3_mT4_P12ihipStream_tbEUlT_E1_NS1_11comp_targetILNS1_3genE3ELNS1_11target_archE908ELNS1_3gpuE7ELNS1_3repE0EEENS1_30default_config_static_selectorELNS0_4arch9wavefront6targetE1EEEvS19_.num_agpr, 0
	.set _ZN7rocprim17ROCPRIM_400000_NS6detail17trampoline_kernelINS0_14default_configENS1_22reduce_config_selectorIN6thrust23THRUST_200600_302600_NS5tupleIblNS6_9null_typeES8_S8_S8_S8_S8_S8_S8_EEEEZNS1_11reduce_implILb1ES3_NS6_12zip_iteratorINS7_INS6_11hip_rocprim26transform_input_iterator_tIbPN3c104HalfENS6_6detail10functional5actorINSJ_9compositeIJNSJ_27transparent_binary_operatorINS6_8equal_toIvEEEENSK_INSJ_8argumentILj0EEEEENSJ_5valueISG_EEEEEEEEENSD_19counting_iterator_tIlEES8_S8_S8_S8_S8_S8_S8_S8_EEEEPS9_S9_NSD_9__find_if7functorIS9_EEEE10hipError_tPvRmT1_T2_T3_mT4_P12ihipStream_tbEUlT_E1_NS1_11comp_targetILNS1_3genE3ELNS1_11target_archE908ELNS1_3gpuE7ELNS1_3repE0EEENS1_30default_config_static_selectorELNS0_4arch9wavefront6targetE1EEEvS19_.numbered_sgpr, 0
	.set _ZN7rocprim17ROCPRIM_400000_NS6detail17trampoline_kernelINS0_14default_configENS1_22reduce_config_selectorIN6thrust23THRUST_200600_302600_NS5tupleIblNS6_9null_typeES8_S8_S8_S8_S8_S8_S8_EEEEZNS1_11reduce_implILb1ES3_NS6_12zip_iteratorINS7_INS6_11hip_rocprim26transform_input_iterator_tIbPN3c104HalfENS6_6detail10functional5actorINSJ_9compositeIJNSJ_27transparent_binary_operatorINS6_8equal_toIvEEEENSK_INSJ_8argumentILj0EEEEENSJ_5valueISG_EEEEEEEEENSD_19counting_iterator_tIlEES8_S8_S8_S8_S8_S8_S8_S8_EEEEPS9_S9_NSD_9__find_if7functorIS9_EEEE10hipError_tPvRmT1_T2_T3_mT4_P12ihipStream_tbEUlT_E1_NS1_11comp_targetILNS1_3genE3ELNS1_11target_archE908ELNS1_3gpuE7ELNS1_3repE0EEENS1_30default_config_static_selectorELNS0_4arch9wavefront6targetE1EEEvS19_.num_named_barrier, 0
	.set _ZN7rocprim17ROCPRIM_400000_NS6detail17trampoline_kernelINS0_14default_configENS1_22reduce_config_selectorIN6thrust23THRUST_200600_302600_NS5tupleIblNS6_9null_typeES8_S8_S8_S8_S8_S8_S8_EEEEZNS1_11reduce_implILb1ES3_NS6_12zip_iteratorINS7_INS6_11hip_rocprim26transform_input_iterator_tIbPN3c104HalfENS6_6detail10functional5actorINSJ_9compositeIJNSJ_27transparent_binary_operatorINS6_8equal_toIvEEEENSK_INSJ_8argumentILj0EEEEENSJ_5valueISG_EEEEEEEEENSD_19counting_iterator_tIlEES8_S8_S8_S8_S8_S8_S8_S8_EEEEPS9_S9_NSD_9__find_if7functorIS9_EEEE10hipError_tPvRmT1_T2_T3_mT4_P12ihipStream_tbEUlT_E1_NS1_11comp_targetILNS1_3genE3ELNS1_11target_archE908ELNS1_3gpuE7ELNS1_3repE0EEENS1_30default_config_static_selectorELNS0_4arch9wavefront6targetE1EEEvS19_.private_seg_size, 0
	.set _ZN7rocprim17ROCPRIM_400000_NS6detail17trampoline_kernelINS0_14default_configENS1_22reduce_config_selectorIN6thrust23THRUST_200600_302600_NS5tupleIblNS6_9null_typeES8_S8_S8_S8_S8_S8_S8_EEEEZNS1_11reduce_implILb1ES3_NS6_12zip_iteratorINS7_INS6_11hip_rocprim26transform_input_iterator_tIbPN3c104HalfENS6_6detail10functional5actorINSJ_9compositeIJNSJ_27transparent_binary_operatorINS6_8equal_toIvEEEENSK_INSJ_8argumentILj0EEEEENSJ_5valueISG_EEEEEEEEENSD_19counting_iterator_tIlEES8_S8_S8_S8_S8_S8_S8_S8_EEEEPS9_S9_NSD_9__find_if7functorIS9_EEEE10hipError_tPvRmT1_T2_T3_mT4_P12ihipStream_tbEUlT_E1_NS1_11comp_targetILNS1_3genE3ELNS1_11target_archE908ELNS1_3gpuE7ELNS1_3repE0EEENS1_30default_config_static_selectorELNS0_4arch9wavefront6targetE1EEEvS19_.uses_vcc, 0
	.set _ZN7rocprim17ROCPRIM_400000_NS6detail17trampoline_kernelINS0_14default_configENS1_22reduce_config_selectorIN6thrust23THRUST_200600_302600_NS5tupleIblNS6_9null_typeES8_S8_S8_S8_S8_S8_S8_EEEEZNS1_11reduce_implILb1ES3_NS6_12zip_iteratorINS7_INS6_11hip_rocprim26transform_input_iterator_tIbPN3c104HalfENS6_6detail10functional5actorINSJ_9compositeIJNSJ_27transparent_binary_operatorINS6_8equal_toIvEEEENSK_INSJ_8argumentILj0EEEEENSJ_5valueISG_EEEEEEEEENSD_19counting_iterator_tIlEES8_S8_S8_S8_S8_S8_S8_S8_EEEEPS9_S9_NSD_9__find_if7functorIS9_EEEE10hipError_tPvRmT1_T2_T3_mT4_P12ihipStream_tbEUlT_E1_NS1_11comp_targetILNS1_3genE3ELNS1_11target_archE908ELNS1_3gpuE7ELNS1_3repE0EEENS1_30default_config_static_selectorELNS0_4arch9wavefront6targetE1EEEvS19_.uses_flat_scratch, 0
	.set _ZN7rocprim17ROCPRIM_400000_NS6detail17trampoline_kernelINS0_14default_configENS1_22reduce_config_selectorIN6thrust23THRUST_200600_302600_NS5tupleIblNS6_9null_typeES8_S8_S8_S8_S8_S8_S8_EEEEZNS1_11reduce_implILb1ES3_NS6_12zip_iteratorINS7_INS6_11hip_rocprim26transform_input_iterator_tIbPN3c104HalfENS6_6detail10functional5actorINSJ_9compositeIJNSJ_27transparent_binary_operatorINS6_8equal_toIvEEEENSK_INSJ_8argumentILj0EEEEENSJ_5valueISG_EEEEEEEEENSD_19counting_iterator_tIlEES8_S8_S8_S8_S8_S8_S8_S8_EEEEPS9_S9_NSD_9__find_if7functorIS9_EEEE10hipError_tPvRmT1_T2_T3_mT4_P12ihipStream_tbEUlT_E1_NS1_11comp_targetILNS1_3genE3ELNS1_11target_archE908ELNS1_3gpuE7ELNS1_3repE0EEENS1_30default_config_static_selectorELNS0_4arch9wavefront6targetE1EEEvS19_.has_dyn_sized_stack, 0
	.set _ZN7rocprim17ROCPRIM_400000_NS6detail17trampoline_kernelINS0_14default_configENS1_22reduce_config_selectorIN6thrust23THRUST_200600_302600_NS5tupleIblNS6_9null_typeES8_S8_S8_S8_S8_S8_S8_EEEEZNS1_11reduce_implILb1ES3_NS6_12zip_iteratorINS7_INS6_11hip_rocprim26transform_input_iterator_tIbPN3c104HalfENS6_6detail10functional5actorINSJ_9compositeIJNSJ_27transparent_binary_operatorINS6_8equal_toIvEEEENSK_INSJ_8argumentILj0EEEEENSJ_5valueISG_EEEEEEEEENSD_19counting_iterator_tIlEES8_S8_S8_S8_S8_S8_S8_S8_EEEEPS9_S9_NSD_9__find_if7functorIS9_EEEE10hipError_tPvRmT1_T2_T3_mT4_P12ihipStream_tbEUlT_E1_NS1_11comp_targetILNS1_3genE3ELNS1_11target_archE908ELNS1_3gpuE7ELNS1_3repE0EEENS1_30default_config_static_selectorELNS0_4arch9wavefront6targetE1EEEvS19_.has_recursion, 0
	.set _ZN7rocprim17ROCPRIM_400000_NS6detail17trampoline_kernelINS0_14default_configENS1_22reduce_config_selectorIN6thrust23THRUST_200600_302600_NS5tupleIblNS6_9null_typeES8_S8_S8_S8_S8_S8_S8_EEEEZNS1_11reduce_implILb1ES3_NS6_12zip_iteratorINS7_INS6_11hip_rocprim26transform_input_iterator_tIbPN3c104HalfENS6_6detail10functional5actorINSJ_9compositeIJNSJ_27transparent_binary_operatorINS6_8equal_toIvEEEENSK_INSJ_8argumentILj0EEEEENSJ_5valueISG_EEEEEEEEENSD_19counting_iterator_tIlEES8_S8_S8_S8_S8_S8_S8_S8_EEEEPS9_S9_NSD_9__find_if7functorIS9_EEEE10hipError_tPvRmT1_T2_T3_mT4_P12ihipStream_tbEUlT_E1_NS1_11comp_targetILNS1_3genE3ELNS1_11target_archE908ELNS1_3gpuE7ELNS1_3repE0EEENS1_30default_config_static_selectorELNS0_4arch9wavefront6targetE1EEEvS19_.has_indirect_call, 0
	.section	.AMDGPU.csdata,"",@progbits
; Kernel info:
; codeLenInByte = 0
; TotalNumSgprs: 4
; NumVgprs: 0
; ScratchSize: 0
; MemoryBound: 0
; FloatMode: 240
; IeeeMode: 1
; LDSByteSize: 0 bytes/workgroup (compile time only)
; SGPRBlocks: 0
; VGPRBlocks: 0
; NumSGPRsForWavesPerEU: 4
; NumVGPRsForWavesPerEU: 1
; Occupancy: 10
; WaveLimiterHint : 0
; COMPUTE_PGM_RSRC2:SCRATCH_EN: 0
; COMPUTE_PGM_RSRC2:USER_SGPR: 6
; COMPUTE_PGM_RSRC2:TRAP_HANDLER: 0
; COMPUTE_PGM_RSRC2:TGID_X_EN: 1
; COMPUTE_PGM_RSRC2:TGID_Y_EN: 0
; COMPUTE_PGM_RSRC2:TGID_Z_EN: 0
; COMPUTE_PGM_RSRC2:TIDIG_COMP_CNT: 0
	.section	.text._ZN7rocprim17ROCPRIM_400000_NS6detail17trampoline_kernelINS0_14default_configENS1_22reduce_config_selectorIN6thrust23THRUST_200600_302600_NS5tupleIblNS6_9null_typeES8_S8_S8_S8_S8_S8_S8_EEEEZNS1_11reduce_implILb1ES3_NS6_12zip_iteratorINS7_INS6_11hip_rocprim26transform_input_iterator_tIbPN3c104HalfENS6_6detail10functional5actorINSJ_9compositeIJNSJ_27transparent_binary_operatorINS6_8equal_toIvEEEENSK_INSJ_8argumentILj0EEEEENSJ_5valueISG_EEEEEEEEENSD_19counting_iterator_tIlEES8_S8_S8_S8_S8_S8_S8_S8_EEEEPS9_S9_NSD_9__find_if7functorIS9_EEEE10hipError_tPvRmT1_T2_T3_mT4_P12ihipStream_tbEUlT_E1_NS1_11comp_targetILNS1_3genE2ELNS1_11target_archE906ELNS1_3gpuE6ELNS1_3repE0EEENS1_30default_config_static_selectorELNS0_4arch9wavefront6targetE1EEEvS19_,"axG",@progbits,_ZN7rocprim17ROCPRIM_400000_NS6detail17trampoline_kernelINS0_14default_configENS1_22reduce_config_selectorIN6thrust23THRUST_200600_302600_NS5tupleIblNS6_9null_typeES8_S8_S8_S8_S8_S8_S8_EEEEZNS1_11reduce_implILb1ES3_NS6_12zip_iteratorINS7_INS6_11hip_rocprim26transform_input_iterator_tIbPN3c104HalfENS6_6detail10functional5actorINSJ_9compositeIJNSJ_27transparent_binary_operatorINS6_8equal_toIvEEEENSK_INSJ_8argumentILj0EEEEENSJ_5valueISG_EEEEEEEEENSD_19counting_iterator_tIlEES8_S8_S8_S8_S8_S8_S8_S8_EEEEPS9_S9_NSD_9__find_if7functorIS9_EEEE10hipError_tPvRmT1_T2_T3_mT4_P12ihipStream_tbEUlT_E1_NS1_11comp_targetILNS1_3genE2ELNS1_11target_archE906ELNS1_3gpuE6ELNS1_3repE0EEENS1_30default_config_static_selectorELNS0_4arch9wavefront6targetE1EEEvS19_,comdat
	.protected	_ZN7rocprim17ROCPRIM_400000_NS6detail17trampoline_kernelINS0_14default_configENS1_22reduce_config_selectorIN6thrust23THRUST_200600_302600_NS5tupleIblNS6_9null_typeES8_S8_S8_S8_S8_S8_S8_EEEEZNS1_11reduce_implILb1ES3_NS6_12zip_iteratorINS7_INS6_11hip_rocprim26transform_input_iterator_tIbPN3c104HalfENS6_6detail10functional5actorINSJ_9compositeIJNSJ_27transparent_binary_operatorINS6_8equal_toIvEEEENSK_INSJ_8argumentILj0EEEEENSJ_5valueISG_EEEEEEEEENSD_19counting_iterator_tIlEES8_S8_S8_S8_S8_S8_S8_S8_EEEEPS9_S9_NSD_9__find_if7functorIS9_EEEE10hipError_tPvRmT1_T2_T3_mT4_P12ihipStream_tbEUlT_E1_NS1_11comp_targetILNS1_3genE2ELNS1_11target_archE906ELNS1_3gpuE6ELNS1_3repE0EEENS1_30default_config_static_selectorELNS0_4arch9wavefront6targetE1EEEvS19_ ; -- Begin function _ZN7rocprim17ROCPRIM_400000_NS6detail17trampoline_kernelINS0_14default_configENS1_22reduce_config_selectorIN6thrust23THRUST_200600_302600_NS5tupleIblNS6_9null_typeES8_S8_S8_S8_S8_S8_S8_EEEEZNS1_11reduce_implILb1ES3_NS6_12zip_iteratorINS7_INS6_11hip_rocprim26transform_input_iterator_tIbPN3c104HalfENS6_6detail10functional5actorINSJ_9compositeIJNSJ_27transparent_binary_operatorINS6_8equal_toIvEEEENSK_INSJ_8argumentILj0EEEEENSJ_5valueISG_EEEEEEEEENSD_19counting_iterator_tIlEES8_S8_S8_S8_S8_S8_S8_S8_EEEEPS9_S9_NSD_9__find_if7functorIS9_EEEE10hipError_tPvRmT1_T2_T3_mT4_P12ihipStream_tbEUlT_E1_NS1_11comp_targetILNS1_3genE2ELNS1_11target_archE906ELNS1_3gpuE6ELNS1_3repE0EEENS1_30default_config_static_selectorELNS0_4arch9wavefront6targetE1EEEvS19_
	.globl	_ZN7rocprim17ROCPRIM_400000_NS6detail17trampoline_kernelINS0_14default_configENS1_22reduce_config_selectorIN6thrust23THRUST_200600_302600_NS5tupleIblNS6_9null_typeES8_S8_S8_S8_S8_S8_S8_EEEEZNS1_11reduce_implILb1ES3_NS6_12zip_iteratorINS7_INS6_11hip_rocprim26transform_input_iterator_tIbPN3c104HalfENS6_6detail10functional5actorINSJ_9compositeIJNSJ_27transparent_binary_operatorINS6_8equal_toIvEEEENSK_INSJ_8argumentILj0EEEEENSJ_5valueISG_EEEEEEEEENSD_19counting_iterator_tIlEES8_S8_S8_S8_S8_S8_S8_S8_EEEEPS9_S9_NSD_9__find_if7functorIS9_EEEE10hipError_tPvRmT1_T2_T3_mT4_P12ihipStream_tbEUlT_E1_NS1_11comp_targetILNS1_3genE2ELNS1_11target_archE906ELNS1_3gpuE6ELNS1_3repE0EEENS1_30default_config_static_selectorELNS0_4arch9wavefront6targetE1EEEvS19_
	.p2align	8
	.type	_ZN7rocprim17ROCPRIM_400000_NS6detail17trampoline_kernelINS0_14default_configENS1_22reduce_config_selectorIN6thrust23THRUST_200600_302600_NS5tupleIblNS6_9null_typeES8_S8_S8_S8_S8_S8_S8_EEEEZNS1_11reduce_implILb1ES3_NS6_12zip_iteratorINS7_INS6_11hip_rocprim26transform_input_iterator_tIbPN3c104HalfENS6_6detail10functional5actorINSJ_9compositeIJNSJ_27transparent_binary_operatorINS6_8equal_toIvEEEENSK_INSJ_8argumentILj0EEEEENSJ_5valueISG_EEEEEEEEENSD_19counting_iterator_tIlEES8_S8_S8_S8_S8_S8_S8_S8_EEEEPS9_S9_NSD_9__find_if7functorIS9_EEEE10hipError_tPvRmT1_T2_T3_mT4_P12ihipStream_tbEUlT_E1_NS1_11comp_targetILNS1_3genE2ELNS1_11target_archE906ELNS1_3gpuE6ELNS1_3repE0EEENS1_30default_config_static_selectorELNS0_4arch9wavefront6targetE1EEEvS19_,@function
_ZN7rocprim17ROCPRIM_400000_NS6detail17trampoline_kernelINS0_14default_configENS1_22reduce_config_selectorIN6thrust23THRUST_200600_302600_NS5tupleIblNS6_9null_typeES8_S8_S8_S8_S8_S8_S8_EEEEZNS1_11reduce_implILb1ES3_NS6_12zip_iteratorINS7_INS6_11hip_rocprim26transform_input_iterator_tIbPN3c104HalfENS6_6detail10functional5actorINSJ_9compositeIJNSJ_27transparent_binary_operatorINS6_8equal_toIvEEEENSK_INSJ_8argumentILj0EEEEENSJ_5valueISG_EEEEEEEEENSD_19counting_iterator_tIlEES8_S8_S8_S8_S8_S8_S8_S8_EEEEPS9_S9_NSD_9__find_if7functorIS9_EEEE10hipError_tPvRmT1_T2_T3_mT4_P12ihipStream_tbEUlT_E1_NS1_11comp_targetILNS1_3genE2ELNS1_11target_archE906ELNS1_3gpuE6ELNS1_3repE0EEENS1_30default_config_static_selectorELNS0_4arch9wavefront6targetE1EEEvS19_: ; @_ZN7rocprim17ROCPRIM_400000_NS6detail17trampoline_kernelINS0_14default_configENS1_22reduce_config_selectorIN6thrust23THRUST_200600_302600_NS5tupleIblNS6_9null_typeES8_S8_S8_S8_S8_S8_S8_EEEEZNS1_11reduce_implILb1ES3_NS6_12zip_iteratorINS7_INS6_11hip_rocprim26transform_input_iterator_tIbPN3c104HalfENS6_6detail10functional5actorINSJ_9compositeIJNSJ_27transparent_binary_operatorINS6_8equal_toIvEEEENSK_INSJ_8argumentILj0EEEEENSJ_5valueISG_EEEEEEEEENSD_19counting_iterator_tIlEES8_S8_S8_S8_S8_S8_S8_S8_EEEEPS9_S9_NSD_9__find_if7functorIS9_EEEE10hipError_tPvRmT1_T2_T3_mT4_P12ihipStream_tbEUlT_E1_NS1_11comp_targetILNS1_3genE2ELNS1_11target_archE906ELNS1_3gpuE6ELNS1_3repE0EEENS1_30default_config_static_selectorELNS0_4arch9wavefront6targetE1EEEvS19_
; %bb.0:
	s_load_dword s35, s[4:5], 0x4
	s_load_dwordx2 s[24:25], s[4:5], 0x8
	s_load_dword s0, s[4:5], 0x10
	s_load_dwordx4 s[20:23], s[4:5], 0x18
	s_load_dword s33, s[4:5], 0x30
	s_load_dwordx2 s[18:19], s[4:5], 0x38
	s_waitcnt lgkmcnt(0)
	s_lshr_b32 s34, s0, 16
	s_cmp_lt_i32 s35, 4
	s_cbranch_scc1 .LBB2247_13
; %bb.1:
	s_cmp_gt_i32 s35, 7
	s_cbranch_scc0 .LBB2247_14
; %bb.2:
	s_cmp_eq_u32 s35, 8
	s_mov_b64 s[26:27], 0
	s_cbranch_scc0 .LBB2247_15
; %bb.3:
	s_mov_b32 s7, 0
	s_lshl_b32 s30, s6, 10
	s_mov_b32 s31, s7
	s_lshr_b64 s[0:1], s[22:23], 10
	s_lshl_b64 s[2:3], s[30:31], 1
	s_add_u32 s28, s24, s2
	s_addc_u32 s29, s25, s3
	s_add_u32 s37, s20, s30
	s_addc_u32 s38, s21, 0
	s_cmp_lg_u64 s[0:1], s[6:7]
	s_cbranch_scc0 .LBB2247_28
; %bb.4:
	v_lshlrev_b32_e32 v1, 1, v0
	global_load_ushort v2, v1, s[28:29] offset:512
	global_load_ushort v4, v1, s[28:29] offset:1024
	;; [unrolled: 1-line block ×7, first 2 shown]
	global_load_ushort v10, v1, s[28:29]
	v_mov_b32_e32 v1, s38
	v_add_co_u32_e32 v18, vcc, s37, v0
	v_mov_b32_e32 v11, 0x100
	v_mov_b32_e32 v12, 0x80
	v_addc_co_u32_e32 v19, vcc, 0, v1, vcc
	v_mov_b32_e32 v13, 0x200
	v_mov_b32_e32 v14, 0x180
	;; [unrolled: 1-line block ×5, first 2 shown]
	v_mbcnt_lo_u32_b32 v3, -1, 0
	v_mbcnt_hi_u32_b32 v3, -1, v3
	s_waitcnt vmcnt(7)
	v_cmp_eq_f16_e32 vcc, s34, v2
	s_waitcnt vmcnt(6)
	v_cmp_eq_f16_e64 s[0:1], s34, v4
	s_waitcnt vmcnt(5)
	v_cmp_eq_f16_e64 s[2:3], s34, v5
	;; [unrolled: 2-line block ×4, first 2 shown]
	v_cndmask_b32_e64 v1, v11, v12, s[10:11]
	s_waitcnt vmcnt(2)
	v_cmp_eq_f16_e64 s[12:13], s34, v8
	s_waitcnt vmcnt(0)
	v_cmp_eq_f16_e64 s[16:17], s34, v10
	s_or_b64 s[10:11], s[16:17], s[10:11]
	s_or_b64 vcc, s[10:11], vcc
	v_cndmask_b32_e64 v2, v13, v14, s[12:13]
	v_cndmask_b32_e64 v1, v1, 0, s[16:17]
	s_or_b64 s[10:11], vcc, s[12:13]
	v_cmp_eq_f16_e64 s[14:15], s34, v9
	v_cndmask_b32_e32 v1, v2, v1, vcc
	s_or_b64 vcc, s[10:11], s[0:1]
	v_cndmask_b32_e64 v4, v15, v16, s[14:15]
	s_or_b64 s[0:1], vcc, s[14:15]
	v_cndmask_b32_e32 v1, v4, v1, vcc
	s_or_b64 vcc, s[0:1], s[2:3]
	v_cndmask_b32_e32 v1, v17, v1, vcc
	v_add_co_u32_e64 v1, s[0:1], v18, v1
	v_addc_co_u32_e64 v2, s[0:1], 0, v19, s[0:1]
	s_or_b64 s[0:1], vcc, s[8:9]
	v_mov_b32_dpp v4, v1 quad_perm:[1,0,3,2] row_mask:0xf bank_mask:0xf bound_ctrl:1
	v_mov_b32_dpp v5, v2 quad_perm:[1,0,3,2] row_mask:0xf bank_mask:0xf bound_ctrl:1
	v_cndmask_b32_e64 v6, 0, 1, s[0:1]
	v_cmp_lt_i64_e32 vcc, v[1:2], v[4:5]
	s_and_b64 vcc, s[0:1], vcc
	v_mov_b32_dpp v7, v6 quad_perm:[1,0,3,2] row_mask:0xf bank_mask:0xf bound_ctrl:1
	v_and_b32_e32 v7, 1, v7
	v_cndmask_b32_e32 v4, v4, v1, vcc
	v_cndmask_b32_e32 v5, v5, v2, vcc
	v_cmp_eq_u32_e32 vcc, 1, v7
	v_cndmask_b32_e32 v2, v2, v5, vcc
	v_cndmask_b32_e32 v1, v1, v4, vcc
	v_cndmask_b32_e64 v6, v6, 1, vcc
	v_mov_b32_dpp v5, v2 quad_perm:[2,3,0,1] row_mask:0xf bank_mask:0xf bound_ctrl:1
	v_mov_b32_dpp v4, v1 quad_perm:[2,3,0,1] row_mask:0xf bank_mask:0xf bound_ctrl:1
	v_and_b32_e32 v8, 1, v6
	v_cmp_lt_i64_e64 s[0:1], v[1:2], v[4:5]
	v_mov_b32_dpp v7, v6 quad_perm:[2,3,0,1] row_mask:0xf bank_mask:0xf bound_ctrl:1
	v_cmp_eq_u32_e32 vcc, 1, v8
	v_and_b32_e32 v7, 1, v7
	s_and_b64 vcc, vcc, s[0:1]
	v_cmp_eq_u32_e64 s[2:3], 1, v7
	v_cndmask_b32_e32 v4, v4, v1, vcc
	v_cndmask_b32_e32 v5, v5, v2, vcc
	v_cndmask_b32_e64 v1, v1, v4, s[2:3]
	v_cndmask_b32_e64 v2, v2, v5, s[2:3]
	;; [unrolled: 1-line block ×3, first 2 shown]
	v_mov_b32_dpp v4, v1 row_ror:4 row_mask:0xf bank_mask:0xf bound_ctrl:1
	v_mov_b32_dpp v5, v2 row_ror:4 row_mask:0xf bank_mask:0xf bound_ctrl:1
	v_and_b32_e32 v8, 1, v6
	v_cmp_lt_i64_e64 s[2:3], v[1:2], v[4:5]
	v_mov_b32_dpp v7, v6 row_ror:4 row_mask:0xf bank_mask:0xf bound_ctrl:1
	v_cmp_eq_u32_e32 vcc, 1, v8
	v_and_b32_e32 v7, 1, v7
	s_and_b64 vcc, vcc, s[2:3]
	v_cmp_eq_u32_e64 s[0:1], 1, v7
	v_cndmask_b32_e32 v4, v4, v1, vcc
	v_cndmask_b32_e32 v5, v5, v2, vcc
	v_cndmask_b32_e64 v1, v1, v4, s[0:1]
	v_cndmask_b32_e64 v2, v2, v5, s[0:1]
	;; [unrolled: 1-line block ×3, first 2 shown]
	v_mov_b32_dpp v4, v1 row_ror:8 row_mask:0xf bank_mask:0xf bound_ctrl:1
	v_mov_b32_dpp v5, v2 row_ror:8 row_mask:0xf bank_mask:0xf bound_ctrl:1
	v_and_b32_e32 v8, 1, v6
	v_cmp_lt_i64_e64 s[0:1], v[1:2], v[4:5]
	v_mov_b32_dpp v7, v6 row_ror:8 row_mask:0xf bank_mask:0xf bound_ctrl:1
	v_cmp_eq_u32_e64 s[8:9], 1, v8
	v_and_b32_e32 v7, 1, v7
	s_and_b64 s[0:1], s[8:9], s[0:1]
	v_cmp_eq_u32_e64 s[10:11], 1, v7
	v_cndmask_b32_e64 v4, v4, v1, s[0:1]
	v_cndmask_b32_e64 v5, v5, v2, s[0:1]
	;; [unrolled: 1-line block ×5, first 2 shown]
	v_mov_b32_dpp v4, v1 row_bcast:15 row_mask:0xf bank_mask:0xf bound_ctrl:1
	v_mov_b32_dpp v5, v2 row_bcast:15 row_mask:0xf bank_mask:0xf bound_ctrl:1
	v_and_b32_e32 v8, 1, v6
	v_cmp_lt_i64_e64 s[0:1], v[1:2], v[4:5]
	v_mov_b32_dpp v7, v6 row_bcast:15 row_mask:0xf bank_mask:0xf bound_ctrl:1
	v_cmp_eq_u32_e32 vcc, 1, v8
	v_and_b32_e32 v7, 1, v7
	s_and_b64 vcc, vcc, s[0:1]
	v_cmp_eq_u32_e64 s[2:3], 1, v7
	v_cndmask_b32_e32 v4, v4, v1, vcc
	v_cndmask_b32_e32 v5, v5, v2, vcc
	v_cndmask_b32_e64 v1, v1, v4, s[2:3]
	v_cndmask_b32_e64 v2, v2, v5, s[2:3]
	;; [unrolled: 1-line block ×3, first 2 shown]
	v_mov_b32_dpp v4, v1 row_bcast:31 row_mask:0xf bank_mask:0xf bound_ctrl:1
	v_mov_b32_dpp v5, v2 row_bcast:31 row_mask:0xf bank_mask:0xf bound_ctrl:1
	v_and_b32_e32 v8, 1, v6
	v_cmp_lt_i64_e64 s[0:1], v[1:2], v[4:5]
	v_mov_b32_dpp v7, v6 row_bcast:31 row_mask:0xf bank_mask:0xf bound_ctrl:1
	v_cmp_eq_u32_e32 vcc, 1, v8
	v_and_b32_e32 v7, 1, v7
	s_and_b64 vcc, vcc, s[0:1]
	v_cmp_eq_u32_e64 s[2:3], 1, v7
	v_cndmask_b32_e32 v5, v5, v2, vcc
	v_cndmask_b32_e32 v4, v4, v1, vcc
	v_cndmask_b32_e64 v2, v2, v5, s[2:3]
	v_lshlrev_b32_e32 v5, 2, v3
	v_cndmask_b32_e64 v6, v6, 1, s[2:3]
	v_cndmask_b32_e64 v1, v1, v4, s[2:3]
	v_or_b32_e32 v4, 0xfc, v5
	ds_bpermute_b32 v17, v4, v6
	ds_bpermute_b32 v1, v4, v1
	;; [unrolled: 1-line block ×3, first 2 shown]
	v_cmp_eq_u32_e32 vcc, 0, v3
	s_and_saveexec_b64 s[0:1], vcc
	s_cbranch_execz .LBB2247_6
; %bb.5:
	v_lshrrev_b32_e32 v4, 2, v0
	v_and_b32_e32 v4, 16, v4
	s_waitcnt lgkmcnt(2)
	ds_write_b8 v4, v17 offset:96
	s_waitcnt lgkmcnt(1)
	ds_write_b64 v4, v[1:2] offset:104
.LBB2247_6:
	s_or_b64 exec, exec, s[0:1]
	v_cmp_gt_u32_e32 vcc, 64, v0
	s_waitcnt lgkmcnt(0)
	s_barrier
	s_and_saveexec_b64 s[0:1], vcc
	s_cbranch_execz .LBB2247_12
; %bb.7:
	v_and_b32_e32 v1, 1, v3
	v_lshlrev_b32_e32 v1, 4, v1
	ds_read_u8 v7, v1 offset:96
	ds_read_b64 v[3:4], v1 offset:104
	v_or_b32_e32 v2, 4, v5
	s_waitcnt lgkmcnt(1)
	v_and_b32_e32 v1, 0xff, v7
	ds_bpermute_b32 v8, v2, v1
	s_waitcnt lgkmcnt(1)
	ds_bpermute_b32 v5, v2, v3
	ds_bpermute_b32 v6, v2, v4
	s_waitcnt lgkmcnt(2)
	v_and_b32_e32 v1, v7, v8
	v_and_b32_e32 v1, 1, v1
	v_cmp_eq_u32_e32 vcc, 1, v1
                                        ; implicit-def: $vgpr1_vgpr2
	s_and_saveexec_b64 s[2:3], vcc
	s_xor_b64 s[2:3], exec, s[2:3]
	s_cbranch_execz .LBB2247_9
; %bb.8:
	s_waitcnt lgkmcnt(0)
	v_cmp_lt_i64_e32 vcc, v[5:6], v[3:4]
                                        ; implicit-def: $vgpr7
                                        ; implicit-def: $vgpr8
	v_cndmask_b32_e32 v2, v4, v6, vcc
	v_cndmask_b32_e32 v1, v3, v5, vcc
                                        ; implicit-def: $vgpr5_vgpr6
                                        ; implicit-def: $vgpr3_vgpr4
.LBB2247_9:
	s_or_saveexec_b64 s[2:3], s[2:3]
	v_mov_b32_e32 v17, 1
	s_xor_b64 exec, exec, s[2:3]
	s_cbranch_execz .LBB2247_11
; %bb.10:
	v_and_b32_e32 v1, 1, v7
	v_cmp_eq_u32_e32 vcc, 1, v1
	s_waitcnt lgkmcnt(0)
	v_cndmask_b32_e32 v2, v6, v4, vcc
	v_cndmask_b32_e32 v1, v5, v3, vcc
	v_cndmask_b32_e64 v17, v8, 1, vcc
.LBB2247_11:
	s_or_b64 exec, exec, s[2:3]
.LBB2247_12:
	s_or_b64 exec, exec, s[0:1]
	s_branch .LBB2247_145
.LBB2247_13:
	s_mov_b64 s[14:15], 0
                                        ; implicit-def: $vgpr3_vgpr4
                                        ; implicit-def: $vgpr5
                                        ; implicit-def: $vgpr1_vgpr2
	s_cbranch_execnz .LBB2247_219
	s_branch .LBB2247_306
.LBB2247_14:
	s_mov_b64 s[26:27], -1
.LBB2247_15:
	s_mov_b64 s[14:15], 0
                                        ; implicit-def: $vgpr3_vgpr4
                                        ; implicit-def: $vgpr5
                                        ; implicit-def: $vgpr1_vgpr2
	s_and_b64 vcc, exec, s[26:27]
	s_cbranch_vccz .LBB2247_150
.LBB2247_16:
	s_cmp_eq_u32 s35, 4
	s_cbranch_scc0 .LBB2247_27
; %bb.17:
	s_mov_b32 s7, 0
	s_lshl_b32 s26, s6, 9
	s_mov_b32 s27, s7
	s_lshr_b64 s[0:1], s[22:23], 9
	s_lshl_b64 s[2:3], s[26:27], 1
	s_add_u32 s16, s24, s2
	s_addc_u32 s17, s25, s3
	s_add_u32 s27, s20, s26
	s_addc_u32 s28, s21, 0
	s_cmp_lg_u64 s[0:1], s[6:7]
	s_cbranch_scc0 .LBB2247_51
; %bb.18:
	v_lshlrev_b32_e32 v1, 1, v0
	global_load_ushort v2, v1, s[16:17] offset:512
	s_waitcnt lgkmcnt(0)
	global_load_ushort v4, v1, s[16:17] offset:768
	global_load_ushort v6, v1, s[16:17] offset:256
	global_load_ushort v7, v1, s[16:17]
	v_mov_b32_e32 v1, s28
	v_add_co_u32_e32 v11, vcc, s27, v0
	v_mov_b32_e32 v8, 0x100
	v_mov_b32_e32 v9, 0x80
	v_addc_co_u32_e32 v12, vcc, 0, v1, vcc
	v_mov_b32_e32 v10, 0x180
	v_mbcnt_lo_u32_b32 v3, -1, 0
	v_mbcnt_hi_u32_b32 v3, -1, v3
	v_lshlrev_b32_e32 v5, 2, v3
	v_or_b32_e32 v13, 0xfc, v5
	s_waitcnt vmcnt(3)
	v_cmp_eq_f16_e32 vcc, s34, v2
	s_waitcnt vmcnt(2)
	v_cmp_eq_f16_e64 s[0:1], s34, v4
	s_waitcnt vmcnt(1)
	v_cmp_eq_f16_e64 s[2:3], s34, v6
	;; [unrolled: 2-line block ×3, first 2 shown]
	v_cndmask_b32_e64 v1, v8, v9, s[2:3]
	s_or_b64 s[2:3], s[8:9], s[2:3]
	v_cndmask_b32_e64 v1, v1, 0, s[8:9]
	s_or_b64 vcc, s[2:3], vcc
	v_cndmask_b32_e32 v1, v10, v1, vcc
	v_add_co_u32_e64 v1, s[2:3], v11, v1
	v_addc_co_u32_e64 v2, s[2:3], 0, v12, s[2:3]
	s_or_b64 s[0:1], vcc, s[0:1]
	v_mov_b32_dpp v6, v1 quad_perm:[1,0,3,2] row_mask:0xf bank_mask:0xf bound_ctrl:1
	v_mov_b32_dpp v7, v2 quad_perm:[1,0,3,2] row_mask:0xf bank_mask:0xf bound_ctrl:1
	v_cndmask_b32_e64 v4, 0, 1, s[0:1]
	v_cmp_lt_i64_e32 vcc, v[1:2], v[6:7]
	s_and_b64 vcc, s[0:1], vcc
	v_mov_b32_dpp v8, v4 quad_perm:[1,0,3,2] row_mask:0xf bank_mask:0xf bound_ctrl:1
	v_and_b32_e32 v8, 1, v8
	v_cndmask_b32_e32 v6, v6, v1, vcc
	v_cndmask_b32_e32 v7, v7, v2, vcc
	v_cmp_eq_u32_e32 vcc, 1, v8
	v_cndmask_b32_e32 v2, v2, v7, vcc
	v_cndmask_b32_e32 v1, v1, v6, vcc
	v_cndmask_b32_e64 v4, v4, 1, vcc
	v_mov_b32_dpp v7, v2 quad_perm:[2,3,0,1] row_mask:0xf bank_mask:0xf bound_ctrl:1
	v_mov_b32_dpp v6, v1 quad_perm:[2,3,0,1] row_mask:0xf bank_mask:0xf bound_ctrl:1
	v_and_b32_e32 v9, 1, v4
	v_cmp_lt_i64_e64 s[0:1], v[1:2], v[6:7]
	v_mov_b32_dpp v8, v4 quad_perm:[2,3,0,1] row_mask:0xf bank_mask:0xf bound_ctrl:1
	v_cmp_eq_u32_e32 vcc, 1, v9
	v_and_b32_e32 v8, 1, v8
	s_and_b64 vcc, vcc, s[0:1]
	v_cmp_eq_u32_e64 s[2:3], 1, v8
	v_cndmask_b32_e32 v6, v6, v1, vcc
	v_cndmask_b32_e32 v7, v7, v2, vcc
	v_cndmask_b32_e64 v1, v1, v6, s[2:3]
	v_cndmask_b32_e64 v2, v2, v7, s[2:3]
	;; [unrolled: 1-line block ×3, first 2 shown]
	v_mov_b32_dpp v6, v1 row_ror:4 row_mask:0xf bank_mask:0xf bound_ctrl:1
	v_mov_b32_dpp v7, v2 row_ror:4 row_mask:0xf bank_mask:0xf bound_ctrl:1
	v_and_b32_e32 v9, 1, v4
	v_cmp_lt_i64_e64 s[2:3], v[1:2], v[6:7]
	v_mov_b32_dpp v8, v4 row_ror:4 row_mask:0xf bank_mask:0xf bound_ctrl:1
	v_cmp_eq_u32_e32 vcc, 1, v9
	v_and_b32_e32 v8, 1, v8
	s_and_b64 vcc, vcc, s[2:3]
	v_cmp_eq_u32_e64 s[0:1], 1, v8
	v_cndmask_b32_e32 v6, v6, v1, vcc
	v_cndmask_b32_e32 v7, v7, v2, vcc
	v_cndmask_b32_e64 v1, v1, v6, s[0:1]
	v_cndmask_b32_e64 v2, v2, v7, s[0:1]
	;; [unrolled: 1-line block ×3, first 2 shown]
	v_mov_b32_dpp v6, v1 row_ror:8 row_mask:0xf bank_mask:0xf bound_ctrl:1
	v_mov_b32_dpp v7, v2 row_ror:8 row_mask:0xf bank_mask:0xf bound_ctrl:1
	v_and_b32_e32 v9, 1, v4
	v_cmp_lt_i64_e64 s[2:3], v[1:2], v[6:7]
	v_mov_b32_dpp v8, v4 row_ror:8 row_mask:0xf bank_mask:0xf bound_ctrl:1
	v_cmp_eq_u32_e64 s[8:9], 1, v9
	v_and_b32_e32 v8, 1, v8
	s_and_b64 s[2:3], s[8:9], s[2:3]
	v_cmp_eq_u32_e64 s[10:11], 1, v8
	v_cndmask_b32_e64 v6, v6, v1, s[2:3]
	v_cndmask_b32_e64 v7, v7, v2, s[2:3]
	;; [unrolled: 1-line block ×5, first 2 shown]
	v_mov_b32_dpp v6, v1 row_bcast:15 row_mask:0xf bank_mask:0xf bound_ctrl:1
	v_mov_b32_dpp v7, v2 row_bcast:15 row_mask:0xf bank_mask:0xf bound_ctrl:1
	v_and_b32_e32 v9, 1, v4
	v_cmp_lt_i64_e64 s[2:3], v[1:2], v[6:7]
	v_mov_b32_dpp v8, v4 row_bcast:15 row_mask:0xf bank_mask:0xf bound_ctrl:1
	v_cmp_eq_u32_e32 vcc, 1, v9
	v_and_b32_e32 v8, 1, v8
	s_and_b64 vcc, vcc, s[2:3]
	v_cmp_eq_u32_e64 s[0:1], 1, v8
	v_cndmask_b32_e32 v6, v6, v1, vcc
	v_cndmask_b32_e32 v7, v7, v2, vcc
	v_cndmask_b32_e64 v4, v4, 1, s[0:1]
	v_cndmask_b32_e64 v1, v1, v6, s[0:1]
	;; [unrolled: 1-line block ×3, first 2 shown]
	v_mov_b32_dpp v8, v4 row_bcast:31 row_mask:0xf bank_mask:0xf bound_ctrl:1
	v_mov_b32_dpp v6, v1 row_bcast:31 row_mask:0xf bank_mask:0xf bound_ctrl:1
	v_mov_b32_dpp v7, v2 row_bcast:31 row_mask:0xf bank_mask:0xf bound_ctrl:1
	v_and_b32_e32 v9, 1, v4
	v_and_b32_e32 v8, 1, v8
	v_cmp_lt_i64_e32 vcc, v[1:2], v[6:7]
	v_cmp_eq_u32_e64 s[12:13], 1, v9
	v_cmp_eq_u32_e64 s[8:9], 1, v8
	v_cndmask_b32_e64 v4, v4, 1, s[8:9]
	s_and_b64 vcc, s[12:13], vcc
	ds_bpermute_b32 v9, v13, v4
	v_cndmask_b32_e32 v4, v6, v1, vcc
	v_cndmask_b32_e32 v6, v7, v2, vcc
	v_cndmask_b32_e64 v1, v1, v4, s[8:9]
	v_cndmask_b32_e64 v2, v2, v6, s[8:9]
	ds_bpermute_b32 v1, v13, v1
	ds_bpermute_b32 v2, v13, v2
	v_cmp_eq_u32_e32 vcc, 0, v3
	s_and_saveexec_b64 s[0:1], vcc
	s_cbranch_execz .LBB2247_20
; %bb.19:
	v_lshrrev_b32_e32 v4, 2, v0
	v_and_b32_e32 v4, 16, v4
	s_waitcnt lgkmcnt(2)
	ds_write_b8 v4, v9 offset:64
	s_waitcnt lgkmcnt(1)
	ds_write_b64 v4, v[1:2] offset:72
.LBB2247_20:
	s_or_b64 exec, exec, s[0:1]
	v_cmp_gt_u32_e32 vcc, 64, v0
	s_waitcnt lgkmcnt(0)
	s_barrier
	s_and_saveexec_b64 s[0:1], vcc
	s_cbranch_execz .LBB2247_26
; %bb.21:
	v_and_b32_e32 v1, 1, v3
	v_lshlrev_b32_e32 v1, 4, v1
	ds_read_u8 v7, v1 offset:64
	ds_read_b64 v[3:4], v1 offset:72
	v_or_b32_e32 v2, 4, v5
	s_waitcnt lgkmcnt(1)
	v_and_b32_e32 v1, 0xff, v7
	ds_bpermute_b32 v8, v2, v1
	s_waitcnt lgkmcnt(1)
	ds_bpermute_b32 v5, v2, v3
	ds_bpermute_b32 v6, v2, v4
	s_waitcnt lgkmcnt(2)
	v_and_b32_e32 v1, v7, v8
	v_and_b32_e32 v1, 1, v1
	v_cmp_eq_u32_e32 vcc, 1, v1
                                        ; implicit-def: $vgpr1_vgpr2
	s_and_saveexec_b64 s[2:3], vcc
	s_xor_b64 s[2:3], exec, s[2:3]
	s_cbranch_execz .LBB2247_23
; %bb.22:
	s_waitcnt lgkmcnt(0)
	v_cmp_lt_i64_e32 vcc, v[5:6], v[3:4]
                                        ; implicit-def: $vgpr7
                                        ; implicit-def: $vgpr8
	v_cndmask_b32_e32 v2, v4, v6, vcc
	v_cndmask_b32_e32 v1, v3, v5, vcc
                                        ; implicit-def: $vgpr5_vgpr6
                                        ; implicit-def: $vgpr3_vgpr4
.LBB2247_23:
	s_or_saveexec_b64 s[2:3], s[2:3]
	v_mov_b32_e32 v9, 1
	s_xor_b64 exec, exec, s[2:3]
	s_cbranch_execz .LBB2247_25
; %bb.24:
	v_and_b32_e32 v1, 1, v7
	v_cmp_eq_u32_e32 vcc, 1, v1
	s_waitcnt lgkmcnt(0)
	v_cndmask_b32_e32 v2, v6, v4, vcc
	v_cndmask_b32_e32 v1, v5, v3, vcc
	v_cndmask_b32_e64 v9, v8, 1, vcc
.LBB2247_25:
	s_or_b64 exec, exec, s[2:3]
.LBB2247_26:
	s_or_b64 exec, exec, s[0:1]
	s_branch .LBB2247_214
.LBB2247_27:
                                        ; implicit-def: $vgpr3_vgpr4
                                        ; implicit-def: $vgpr5
                                        ; implicit-def: $vgpr1_vgpr2
	s_branch .LBB2247_306
.LBB2247_28:
                                        ; implicit-def: $vgpr1_vgpr2
                                        ; implicit-def: $vgpr17
	s_cbranch_execz .LBB2247_145
; %bb.29:
	s_sub_i32 s36, s22, s30
	v_mov_b32_e32 v15, 0
	v_mov_b32_e32 v1, 0
	v_cmp_gt_u32_e32 vcc, s36, v0
	v_mov_b32_e32 v24, 0
	v_mov_b32_e32 v16, 0
	;; [unrolled: 1-line block ×4, first 2 shown]
	s_and_saveexec_b64 s[0:1], vcc
	s_cbranch_execz .LBB2247_31
; %bb.30:
	v_lshlrev_b32_e32 v1, 1, v0
	global_load_ushort v3, v1, s[28:29]
	v_mov_b32_e32 v2, s38
	v_add_co_u32_e32 v1, vcc, s37, v0
	v_addc_co_u32_e32 v2, vcc, 0, v2, vcc
	s_waitcnt vmcnt(0)
	v_cmp_eq_f16_e32 vcc, s34, v3
	v_cndmask_b32_e64 v17, 0, 1, vcc
.LBB2247_31:
	s_or_b64 exec, exec, s[0:1]
	v_or_b32_e32 v3, 0x80, v0
	v_cmp_gt_u32_e64 s[14:15], s36, v3
	s_and_saveexec_b64 s[0:1], s[14:15]
	s_cbranch_execz .LBB2247_33
; %bb.32:
	v_lshlrev_b32_e32 v4, 1, v0
	global_load_ushort v4, v4, s[28:29] offset:256
	s_waitcnt lgkmcnt(1)
	v_mov_b32_e32 v5, s38
	v_add_co_u32_e32 v15, vcc, s37, v3
	v_addc_co_u32_e32 v16, vcc, 0, v5, vcc
	s_waitcnt vmcnt(0)
	v_cmp_eq_f16_e32 vcc, s34, v4
	v_cndmask_b32_e64 v24, 0, 1, vcc
.LBB2247_33:
	s_or_b64 exec, exec, s[0:1]
	v_or_b32_e32 v3, 0x100, v0
	v_mov_b32_e32 v11, 0
	v_mov_b32_e32 v13, 0
	v_cmp_gt_u32_e64 s[12:13], s36, v3
	v_mov_b32_e32 v22, 0
	v_mov_b32_e32 v12, 0
	;; [unrolled: 1-line block ×4, first 2 shown]
	s_and_saveexec_b64 s[0:1], s[12:13]
	s_cbranch_execz .LBB2247_35
; %bb.34:
	v_lshlrev_b32_e32 v4, 1, v0
	global_load_ushort v4, v4, s[28:29] offset:512
	s_waitcnt lgkmcnt(1)
	v_mov_b32_e32 v5, s38
	v_add_co_u32_e32 v13, vcc, s37, v3
	v_addc_co_u32_e32 v14, vcc, 0, v5, vcc
	s_waitcnt vmcnt(0)
	v_cmp_eq_f16_e32 vcc, s34, v4
	v_cndmask_b32_e64 v23, 0, 1, vcc
.LBB2247_35:
	s_or_b64 exec, exec, s[0:1]
	v_or_b32_e32 v3, 0x180, v0
	v_cmp_gt_u32_e64 s[10:11], s36, v3
	s_and_saveexec_b64 s[0:1], s[10:11]
	s_cbranch_execz .LBB2247_37
; %bb.36:
	v_lshlrev_b32_e32 v4, 1, v0
	global_load_ushort v4, v4, s[28:29] offset:768
	s_waitcnt lgkmcnt(1)
	v_mov_b32_e32 v5, s38
	v_add_co_u32_e32 v11, vcc, s37, v3
	v_addc_co_u32_e32 v12, vcc, 0, v5, vcc
	s_waitcnt vmcnt(0)
	v_cmp_eq_f16_e32 vcc, s34, v4
	v_cndmask_b32_e64 v22, 0, 1, vcc
.LBB2247_37:
	s_or_b64 exec, exec, s[0:1]
	v_or_b32_e32 v3, 0x200, v0
	v_mov_b32_e32 v7, 0
	v_mov_b32_e32 v9, 0
	v_cmp_gt_u32_e64 s[8:9], s36, v3
	v_mov_b32_e32 v20, 0
	v_mov_b32_e32 v8, 0
	v_mov_b32_e32 v10, 0
	v_mov_b32_e32 v21, 0
	s_and_saveexec_b64 s[0:1], s[8:9]
	s_cbranch_execz .LBB2247_39
; %bb.38:
	v_lshlrev_b32_e32 v4, 1, v0
	global_load_ushort v4, v4, s[28:29] offset:1024
	s_waitcnt lgkmcnt(1)
	v_mov_b32_e32 v5, s38
	v_add_co_u32_e32 v9, vcc, s37, v3
	v_addc_co_u32_e32 v10, vcc, 0, v5, vcc
	s_waitcnt vmcnt(0)
	v_cmp_eq_f16_e32 vcc, s34, v4
	v_cndmask_b32_e64 v21, 0, 1, vcc
.LBB2247_39:
	s_or_b64 exec, exec, s[0:1]
	v_or_b32_e32 v3, 0x280, v0
	v_cmp_gt_u32_e64 s[2:3], s36, v3
	s_and_saveexec_b64 s[0:1], s[2:3]
	s_cbranch_execz .LBB2247_41
; %bb.40:
	v_lshlrev_b32_e32 v4, 1, v0
	global_load_ushort v4, v4, s[28:29] offset:1280
	s_waitcnt lgkmcnt(1)
	v_mov_b32_e32 v5, s38
	v_add_co_u32_e32 v7, vcc, s37, v3
	v_addc_co_u32_e32 v8, vcc, 0, v5, vcc
	s_waitcnt vmcnt(0)
	v_cmp_eq_f16_e32 vcc, s34, v4
	v_cndmask_b32_e64 v20, 0, 1, vcc
.LBB2247_41:
	s_or_b64 exec, exec, s[0:1]
	v_or_b32_e32 v25, 0x300, v0
	v_mov_b32_e32 v3, 0
	s_waitcnt lgkmcnt(0)
	v_mov_b32_e32 v5, 0
	v_cmp_gt_u32_e64 s[0:1], s36, v25
	v_mov_b32_e32 v4, 0
	v_mov_b32_e32 v18, 0
	;; [unrolled: 1-line block ×4, first 2 shown]
	s_and_saveexec_b64 s[16:17], s[0:1]
	s_cbranch_execz .LBB2247_43
; %bb.42:
	v_lshlrev_b32_e32 v5, 1, v0
	global_load_ushort v19, v5, s[28:29] offset:1536
	v_mov_b32_e32 v6, s38
	v_add_co_u32_e32 v5, vcc, s37, v25
	v_addc_co_u32_e32 v6, vcc, 0, v6, vcc
	s_waitcnt vmcnt(0)
	v_cmp_eq_f16_e32 vcc, s34, v19
	v_cndmask_b32_e64 v19, 0, 1, vcc
.LBB2247_43:
	s_or_b64 exec, exec, s[16:17]
	v_or_b32_e32 v25, 0x380, v0
	v_cmp_gt_u32_e32 vcc, s36, v25
	s_and_saveexec_b64 s[30:31], vcc
	s_cbranch_execnz .LBB2247_62
; %bb.44:
	s_or_b64 exec, exec, s[30:31]
	s_and_saveexec_b64 s[28:29], s[14:15]
	s_cbranch_execnz .LBB2247_63
.LBB2247_45:
	s_or_b64 exec, exec, s[28:29]
	s_and_saveexec_b64 s[16:17], s[12:13]
	s_cbranch_execnz .LBB2247_68
.LBB2247_46:
	s_or_b64 exec, exec, s[16:17]
	s_and_saveexec_b64 s[14:15], s[10:11]
	s_cbranch_execnz .LBB2247_73
.LBB2247_47:
	s_or_b64 exec, exec, s[14:15]
	s_and_saveexec_b64 s[12:13], s[8:9]
	s_cbranch_execnz .LBB2247_78
.LBB2247_48:
	s_or_b64 exec, exec, s[12:13]
	s_and_saveexec_b64 s[10:11], s[2:3]
	s_cbranch_execnz .LBB2247_83
.LBB2247_49:
	s_or_b64 exec, exec, s[10:11]
	s_and_saveexec_b64 s[8:9], s[0:1]
	s_cbranch_execnz .LBB2247_88
.LBB2247_50:
	s_or_b64 exec, exec, s[8:9]
	s_and_saveexec_b64 s[2:3], vcc
	s_cbranch_execnz .LBB2247_93
	s_branch .LBB2247_98
.LBB2247_51:
                                        ; implicit-def: $vgpr1_vgpr2
                                        ; implicit-def: $vgpr9
	s_cbranch_execz .LBB2247_214
; %bb.52:
	s_sub_i32 s12, s22, s26
	s_waitcnt lgkmcnt(1)
	v_mov_b32_e32 v7, 0
	v_mov_b32_e32 v1, 0
	v_cmp_gt_u32_e32 vcc, s12, v0
	v_mov_b32_e32 v12, 0
	v_mov_b32_e32 v8, 0
	;; [unrolled: 1-line block ×4, first 2 shown]
	s_and_saveexec_b64 s[0:1], vcc
	s_cbranch_execz .LBB2247_54
; %bb.53:
	v_lshlrev_b32_e32 v1, 1, v0
	global_load_ushort v3, v1, s[16:17]
	v_mov_b32_e32 v2, s28
	v_add_co_u32_e32 v1, vcc, s27, v0
	v_addc_co_u32_e32 v2, vcc, 0, v2, vcc
	s_waitcnt vmcnt(0)
	v_cmp_eq_f16_e32 vcc, s34, v3
	v_cndmask_b32_e64 v9, 0, 1, vcc
.LBB2247_54:
	s_or_b64 exec, exec, s[0:1]
	v_or_b32_e32 v3, 0x80, v0
	v_cmp_gt_u32_e64 s[2:3], s12, v3
	s_and_saveexec_b64 s[0:1], s[2:3]
	s_cbranch_execz .LBB2247_56
; %bb.55:
	s_waitcnt lgkmcnt(0)
	v_lshlrev_b32_e32 v4, 1, v0
	global_load_ushort v4, v4, s[16:17] offset:256
	v_mov_b32_e32 v5, s28
	v_add_co_u32_e32 v7, vcc, s27, v3
	v_addc_co_u32_e32 v8, vcc, 0, v5, vcc
	s_waitcnt vmcnt(0)
	v_cmp_eq_f16_e32 vcc, s34, v4
	v_cndmask_b32_e64 v12, 0, 1, vcc
.LBB2247_56:
	s_or_b64 exec, exec, s[0:1]
	v_or_b32_e32 v13, 0x100, v0
	s_waitcnt lgkmcnt(0)
	v_mov_b32_e32 v3, 0
	v_mov_b32_e32 v5, 0
	v_cmp_gt_u32_e64 s[0:1], s12, v13
	v_mov_b32_e32 v10, 0
	v_mov_b32_e32 v4, 0
	;; [unrolled: 1-line block ×4, first 2 shown]
	s_and_saveexec_b64 s[8:9], s[0:1]
	s_cbranch_execz .LBB2247_58
; %bb.57:
	v_lshlrev_b32_e32 v5, 1, v0
	global_load_ushort v11, v5, s[16:17] offset:512
	v_mov_b32_e32 v6, s28
	v_add_co_u32_e32 v5, vcc, s27, v13
	v_addc_co_u32_e32 v6, vcc, 0, v6, vcc
	s_waitcnt vmcnt(0)
	v_cmp_eq_f16_e32 vcc, s34, v11
	v_cndmask_b32_e64 v11, 0, 1, vcc
.LBB2247_58:
	s_or_b64 exec, exec, s[8:9]
	v_or_b32_e32 v13, 0x180, v0
	v_cmp_gt_u32_e32 vcc, s12, v13
	s_and_saveexec_b64 s[10:11], vcc
	s_cbranch_execnz .LBB2247_151
; %bb.59:
	s_or_b64 exec, exec, s[10:11]
	s_and_saveexec_b64 s[10:11], s[2:3]
	s_cbranch_execnz .LBB2247_152
.LBB2247_60:
	s_or_b64 exec, exec, s[10:11]
	s_and_saveexec_b64 s[8:9], s[0:1]
	s_cbranch_execnz .LBB2247_157
.LBB2247_61:
	s_or_b64 exec, exec, s[8:9]
	s_and_saveexec_b64 s[2:3], vcc
	s_cbranch_execnz .LBB2247_162
	s_branch .LBB2247_167
.LBB2247_62:
	v_lshlrev_b32_e32 v3, 1, v0
	global_load_ushort v18, v3, s[28:29] offset:1792
	v_mov_b32_e32 v4, s38
	v_add_co_u32_e64 v3, s[16:17], s37, v25
	v_addc_co_u32_e64 v4, s[16:17], 0, v4, s[16:17]
	s_waitcnt vmcnt(0)
	v_cmp_eq_f16_e64 s[16:17], s34, v18
	v_cndmask_b32_e64 v18, 0, 1, s[16:17]
	s_or_b64 exec, exec, s[30:31]
	s_and_saveexec_b64 s[28:29], s[14:15]
	s_cbranch_execz .LBB2247_45
.LBB2247_63:
	v_and_b32_e32 v17, 1, v17
	v_cmp_eq_u32_e64 s[14:15], 1, v17
	v_and_b32_e32 v17, 1, v24
	v_cmp_eq_u32_e64 s[16:17], 1, v17
	s_and_b64 s[16:17], s[14:15], s[16:17]
	s_xor_b64 s[16:17], s[16:17], -1
                                        ; implicit-def: $vgpr17
	s_and_saveexec_b64 s[30:31], s[16:17]
	s_xor_b64 s[16:17], exec, s[30:31]
; %bb.64:
	v_and_b32_e32 v17, 0xffff, v24
	v_cndmask_b32_e64 v17, v17, 1, s[14:15]
	v_cndmask_b32_e64 v2, v16, v2, s[14:15]
	;; [unrolled: 1-line block ×3, first 2 shown]
                                        ; implicit-def: $vgpr15_vgpr16
; %bb.65:
	s_andn2_saveexec_b64 s[16:17], s[16:17]
; %bb.66:
	v_cmp_lt_i64_e64 s[14:15], v[15:16], v[1:2]
	v_mov_b32_e32 v17, 1
	v_cndmask_b32_e64 v2, v2, v16, s[14:15]
	v_cndmask_b32_e64 v1, v1, v15, s[14:15]
; %bb.67:
	s_or_b64 exec, exec, s[16:17]
	s_or_b64 exec, exec, s[28:29]
	s_and_saveexec_b64 s[16:17], s[12:13]
	s_cbranch_execz .LBB2247_46
.LBB2247_68:
	v_and_b32_e32 v15, 1, v17
	v_cmp_eq_u32_e64 s[12:13], 1, v15
	v_and_b32_e32 v15, 1, v23
	v_cmp_eq_u32_e64 s[14:15], 1, v15
	s_and_b64 s[14:15], s[12:13], s[14:15]
	s_xor_b64 s[14:15], s[14:15], -1
                                        ; implicit-def: $vgpr17
	s_and_saveexec_b64 s[28:29], s[14:15]
	s_xor_b64 s[14:15], exec, s[28:29]
; %bb.69:
	v_and_b32_e32 v15, 0xffff, v23
	v_cndmask_b32_e64 v17, v15, 1, s[12:13]
	v_cndmask_b32_e64 v2, v14, v2, s[12:13]
	;; [unrolled: 1-line block ×3, first 2 shown]
                                        ; implicit-def: $vgpr13_vgpr14
; %bb.70:
	s_andn2_saveexec_b64 s[14:15], s[14:15]
; %bb.71:
	v_cmp_lt_i64_e64 s[12:13], v[13:14], v[1:2]
	v_mov_b32_e32 v17, 1
	v_cndmask_b32_e64 v2, v2, v14, s[12:13]
	v_cndmask_b32_e64 v1, v1, v13, s[12:13]
; %bb.72:
	s_or_b64 exec, exec, s[14:15]
	s_or_b64 exec, exec, s[16:17]
	s_and_saveexec_b64 s[14:15], s[10:11]
	s_cbranch_execz .LBB2247_47
.LBB2247_73:
	v_and_b32_e32 v13, 1, v17
	v_cmp_eq_u32_e64 s[10:11], 1, v13
	v_and_b32_e32 v13, 1, v22
	v_cmp_eq_u32_e64 s[12:13], 1, v13
	s_and_b64 s[12:13], s[10:11], s[12:13]
	s_xor_b64 s[12:13], s[12:13], -1
                                        ; implicit-def: $vgpr17
	s_and_saveexec_b64 s[16:17], s[12:13]
	s_xor_b64 s[12:13], exec, s[16:17]
; %bb.74:
	v_and_b32_e32 v13, 0xffff, v22
	v_cndmask_b32_e64 v17, v13, 1, s[10:11]
	v_cndmask_b32_e64 v2, v12, v2, s[10:11]
	;; [unrolled: 1-line block ×3, first 2 shown]
                                        ; implicit-def: $vgpr11_vgpr12
; %bb.75:
	s_andn2_saveexec_b64 s[12:13], s[12:13]
; %bb.76:
	v_cmp_lt_i64_e64 s[10:11], v[11:12], v[1:2]
	v_mov_b32_e32 v17, 1
	v_cndmask_b32_e64 v2, v2, v12, s[10:11]
	v_cndmask_b32_e64 v1, v1, v11, s[10:11]
; %bb.77:
	s_or_b64 exec, exec, s[12:13]
	s_or_b64 exec, exec, s[14:15]
	s_and_saveexec_b64 s[12:13], s[8:9]
	s_cbranch_execz .LBB2247_48
.LBB2247_78:
	v_and_b32_e32 v11, 1, v17
	v_cmp_eq_u32_e64 s[8:9], 1, v11
	v_and_b32_e32 v11, 1, v21
	v_cmp_eq_u32_e64 s[10:11], 1, v11
	s_and_b64 s[10:11], s[8:9], s[10:11]
	s_xor_b64 s[10:11], s[10:11], -1
                                        ; implicit-def: $vgpr17
	s_and_saveexec_b64 s[14:15], s[10:11]
	s_xor_b64 s[10:11], exec, s[14:15]
; %bb.79:
	v_and_b32_e32 v11, 0xffff, v21
	v_cndmask_b32_e64 v17, v11, 1, s[8:9]
	v_cndmask_b32_e64 v2, v10, v2, s[8:9]
	;; [unrolled: 1-line block ×3, first 2 shown]
                                        ; implicit-def: $vgpr9_vgpr10
; %bb.80:
	s_andn2_saveexec_b64 s[10:11], s[10:11]
; %bb.81:
	v_cmp_lt_i64_e64 s[8:9], v[9:10], v[1:2]
	v_mov_b32_e32 v17, 1
	v_cndmask_b32_e64 v2, v2, v10, s[8:9]
	v_cndmask_b32_e64 v1, v1, v9, s[8:9]
; %bb.82:
	s_or_b64 exec, exec, s[10:11]
	s_or_b64 exec, exec, s[12:13]
	s_and_saveexec_b64 s[10:11], s[2:3]
	s_cbranch_execz .LBB2247_49
.LBB2247_83:
	v_and_b32_e32 v9, 1, v17
	v_cmp_eq_u32_e64 s[2:3], 1, v9
	v_and_b32_e32 v9, 1, v20
	v_cmp_eq_u32_e64 s[8:9], 1, v9
	s_and_b64 s[8:9], s[2:3], s[8:9]
	s_xor_b64 s[8:9], s[8:9], -1
                                        ; implicit-def: $vgpr17
	s_and_saveexec_b64 s[12:13], s[8:9]
	s_xor_b64 s[8:9], exec, s[12:13]
; %bb.84:
	v_and_b32_e32 v9, 0xffff, v20
	v_cndmask_b32_e64 v17, v9, 1, s[2:3]
	v_cndmask_b32_e64 v2, v8, v2, s[2:3]
	v_cndmask_b32_e64 v1, v7, v1, s[2:3]
                                        ; implicit-def: $vgpr7_vgpr8
; %bb.85:
	s_andn2_saveexec_b64 s[8:9], s[8:9]
; %bb.86:
	v_cmp_lt_i64_e64 s[2:3], v[7:8], v[1:2]
	v_mov_b32_e32 v17, 1
	v_cndmask_b32_e64 v2, v2, v8, s[2:3]
	v_cndmask_b32_e64 v1, v1, v7, s[2:3]
; %bb.87:
	s_or_b64 exec, exec, s[8:9]
	s_or_b64 exec, exec, s[10:11]
	s_and_saveexec_b64 s[8:9], s[0:1]
	s_cbranch_execz .LBB2247_50
.LBB2247_88:
	v_and_b32_e32 v7, 1, v17
	v_cmp_eq_u32_e64 s[0:1], 1, v7
	v_and_b32_e32 v7, 1, v19
	v_cmp_eq_u32_e64 s[2:3], 1, v7
	s_and_b64 s[2:3], s[0:1], s[2:3]
	s_xor_b64 s[2:3], s[2:3], -1
                                        ; implicit-def: $vgpr17
	s_and_saveexec_b64 s[10:11], s[2:3]
	s_xor_b64 s[2:3], exec, s[10:11]
; %bb.89:
	v_and_b32_e32 v7, 0xffff, v19
	v_cndmask_b32_e64 v17, v7, 1, s[0:1]
	v_cndmask_b32_e64 v2, v6, v2, s[0:1]
	;; [unrolled: 1-line block ×3, first 2 shown]
                                        ; implicit-def: $vgpr5_vgpr6
; %bb.90:
	s_andn2_saveexec_b64 s[2:3], s[2:3]
; %bb.91:
	v_cmp_lt_i64_e64 s[0:1], v[5:6], v[1:2]
	v_mov_b32_e32 v17, 1
	v_cndmask_b32_e64 v2, v2, v6, s[0:1]
	v_cndmask_b32_e64 v1, v1, v5, s[0:1]
; %bb.92:
	s_or_b64 exec, exec, s[2:3]
	s_or_b64 exec, exec, s[8:9]
	s_and_saveexec_b64 s[2:3], vcc
	s_cbranch_execz .LBB2247_98
.LBB2247_93:
	v_and_b32_e32 v5, 1, v17
	v_cmp_eq_u32_e32 vcc, 1, v5
	v_and_b32_e32 v5, 1, v18
	v_cmp_eq_u32_e64 s[0:1], 1, v5
	s_and_b64 s[0:1], vcc, s[0:1]
	s_xor_b64 s[0:1], s[0:1], -1
                                        ; implicit-def: $vgpr17
	s_and_saveexec_b64 s[8:9], s[0:1]
	s_xor_b64 s[0:1], exec, s[8:9]
; %bb.94:
	v_and_b32_e32 v5, 0xffff, v18
	v_cndmask_b32_e64 v17, v5, 1, vcc
	v_cndmask_b32_e32 v2, v4, v2, vcc
	v_cndmask_b32_e32 v1, v3, v1, vcc
                                        ; implicit-def: $vgpr3_vgpr4
; %bb.95:
	s_andn2_saveexec_b64 s[0:1], s[0:1]
; %bb.96:
	v_cmp_lt_i64_e32 vcc, v[3:4], v[1:2]
	v_mov_b32_e32 v17, 1
	v_cndmask_b32_e32 v2, v2, v4, vcc
	v_cndmask_b32_e32 v1, v1, v3, vcc
; %bb.97:
	s_or_b64 exec, exec, s[0:1]
.LBB2247_98:
	s_or_b64 exec, exec, s[2:3]
	v_mbcnt_lo_u32_b32 v3, -1, 0
	v_mbcnt_hi_u32_b32 v5, -1, v3
	v_and_b32_e32 v6, 63, v5
	v_cmp_ne_u32_e32 vcc, 63, v6
	v_addc_co_u32_e32 v3, vcc, 0, v5, vcc
	v_lshlrev_b32_e32 v4, 2, v3
	ds_bpermute_b32 v8, v4, v17
	ds_bpermute_b32 v3, v4, v1
	ds_bpermute_b32 v4, v4, v2
	s_min_u32 s8, s36, 0x80
	v_and_b32_e32 v7, 64, v0
	v_sub_u32_e64 v7, s8, v7 clamp
	v_add_u32_e32 v9, 1, v6
	v_cmp_lt_u32_e32 vcc, v9, v7
	s_and_saveexec_b64 s[0:1], vcc
	s_xor_b64 s[0:1], exec, s[0:1]
	s_cbranch_execz .LBB2247_104
; %bb.99:
	s_waitcnt lgkmcnt(2)
	v_and_b32_e32 v9, v8, v17
	v_cmp_ne_u32_e32 vcc, 0, v9
	s_and_saveexec_b64 s[2:3], vcc
	s_xor_b64 s[2:3], exec, s[2:3]
	s_cbranch_execz .LBB2247_101
; %bb.100:
	s_waitcnt lgkmcnt(0)
	v_cmp_lt_i64_e32 vcc, v[3:4], v[1:2]
                                        ; implicit-def: $vgpr17
                                        ; implicit-def: $vgpr8
	v_cndmask_b32_e32 v2, v2, v4, vcc
	v_cndmask_b32_e32 v1, v1, v3, vcc
                                        ; implicit-def: $vgpr3_vgpr4
.LBB2247_101:
	s_or_saveexec_b64 s[2:3], s[2:3]
	v_mov_b32_e32 v9, 1
	s_xor_b64 exec, exec, s[2:3]
	s_cbranch_execz .LBB2247_103
; %bb.102:
	v_and_b32_e32 v9, 1, v17
	v_cmp_eq_u32_e32 vcc, 1, v9
	s_waitcnt lgkmcnt(1)
	v_cndmask_b32_e32 v1, v3, v1, vcc
	v_and_b32_e32 v3, 0xff, v8
	s_waitcnt lgkmcnt(0)
	v_cndmask_b32_e32 v2, v4, v2, vcc
	v_cndmask_b32_e64 v9, v3, 1, vcc
.LBB2247_103:
	s_or_b64 exec, exec, s[2:3]
	v_mov_b32_e32 v17, v9
.LBB2247_104:
	s_or_b64 exec, exec, s[0:1]
	v_cmp_gt_u32_e32 vcc, 62, v6
	s_waitcnt lgkmcnt(1)
	v_cndmask_b32_e64 v3, 0, 2, vcc
	s_waitcnt lgkmcnt(0)
	v_add_lshl_u32 v4, v3, v5, 2
	ds_bpermute_b32 v8, v4, v17
	ds_bpermute_b32 v3, v4, v1
	ds_bpermute_b32 v4, v4, v2
	v_add_u32_e32 v9, 2, v6
	v_cmp_lt_u32_e32 vcc, v9, v7
	s_and_saveexec_b64 s[0:1], vcc
	s_cbranch_execz .LBB2247_110
; %bb.105:
	s_waitcnt lgkmcnt(2)
	v_and_b32_e32 v9, v17, v8
	v_and_b32_e32 v9, 1, v9
	v_cmp_eq_u32_e32 vcc, 1, v9
	s_and_saveexec_b64 s[2:3], vcc
	s_xor_b64 s[2:3], exec, s[2:3]
	s_cbranch_execz .LBB2247_107
; %bb.106:
	s_waitcnt lgkmcnt(0)
	v_cmp_lt_i64_e32 vcc, v[3:4], v[1:2]
                                        ; implicit-def: $vgpr17
                                        ; implicit-def: $vgpr8
	v_cndmask_b32_e32 v2, v2, v4, vcc
	v_cndmask_b32_e32 v1, v1, v3, vcc
                                        ; implicit-def: $vgpr3_vgpr4
.LBB2247_107:
	s_or_saveexec_b64 s[2:3], s[2:3]
	v_mov_b32_e32 v9, 1
	s_xor_b64 exec, exec, s[2:3]
	s_cbranch_execz .LBB2247_109
; %bb.108:
	v_and_b32_e32 v9, 1, v17
	v_cmp_eq_u32_e32 vcc, 1, v9
	s_waitcnt lgkmcnt(1)
	v_cndmask_b32_e32 v1, v3, v1, vcc
	v_and_b32_e32 v3, 0xff, v8
	s_waitcnt lgkmcnt(0)
	v_cndmask_b32_e32 v2, v4, v2, vcc
	v_cndmask_b32_e64 v9, v3, 1, vcc
.LBB2247_109:
	s_or_b64 exec, exec, s[2:3]
	v_mov_b32_e32 v17, v9
.LBB2247_110:
	s_or_b64 exec, exec, s[0:1]
	v_cmp_gt_u32_e32 vcc, 60, v6
	s_waitcnt lgkmcnt(1)
	v_cndmask_b32_e64 v3, 0, 4, vcc
	s_waitcnt lgkmcnt(0)
	v_add_lshl_u32 v4, v3, v5, 2
	ds_bpermute_b32 v8, v4, v17
	ds_bpermute_b32 v3, v4, v1
	ds_bpermute_b32 v4, v4, v2
	v_add_u32_e32 v9, 4, v6
	v_cmp_lt_u32_e32 vcc, v9, v7
	s_and_saveexec_b64 s[0:1], vcc
	s_cbranch_execz .LBB2247_116
; %bb.111:
	s_waitcnt lgkmcnt(2)
	v_and_b32_e32 v9, v17, v8
	v_and_b32_e32 v9, 1, v9
	v_cmp_eq_u32_e32 vcc, 1, v9
	s_and_saveexec_b64 s[2:3], vcc
	s_xor_b64 s[2:3], exec, s[2:3]
	s_cbranch_execz .LBB2247_113
; %bb.112:
	s_waitcnt lgkmcnt(0)
	v_cmp_lt_i64_e32 vcc, v[3:4], v[1:2]
                                        ; implicit-def: $vgpr17
                                        ; implicit-def: $vgpr8
	v_cndmask_b32_e32 v2, v2, v4, vcc
	v_cndmask_b32_e32 v1, v1, v3, vcc
                                        ; implicit-def: $vgpr3_vgpr4
.LBB2247_113:
	s_or_saveexec_b64 s[2:3], s[2:3]
	v_mov_b32_e32 v9, 1
	s_xor_b64 exec, exec, s[2:3]
	s_cbranch_execz .LBB2247_115
; %bb.114:
	v_and_b32_e32 v9, 1, v17
	v_cmp_eq_u32_e32 vcc, 1, v9
	s_waitcnt lgkmcnt(1)
	v_cndmask_b32_e32 v1, v3, v1, vcc
	v_and_b32_e32 v3, 0xff, v8
	s_waitcnt lgkmcnt(0)
	v_cndmask_b32_e32 v2, v4, v2, vcc
	v_cndmask_b32_e64 v9, v3, 1, vcc
.LBB2247_115:
	s_or_b64 exec, exec, s[2:3]
	v_mov_b32_e32 v17, v9
.LBB2247_116:
	;; [unrolled: 47-line block ×4, first 2 shown]
	s_or_b64 exec, exec, s[0:1]
	s_waitcnt lgkmcnt(2)
	v_lshlrev_b32_e32 v8, 2, v5
	s_waitcnt lgkmcnt(0)
	v_or_b32_e32 v4, 0x80, v8
	ds_bpermute_b32 v9, v4, v17
	ds_bpermute_b32 v3, v4, v1
	;; [unrolled: 1-line block ×3, first 2 shown]
	v_add_u32_e32 v6, 32, v6
	v_cmp_lt_u32_e32 vcc, v6, v7
	v_mov_b32_e32 v6, v17
	s_and_saveexec_b64 s[0:1], vcc
	s_cbranch_execz .LBB2247_134
; %bb.129:
	s_waitcnt lgkmcnt(2)
	v_and_b32_e32 v6, v17, v9
	v_and_b32_e32 v6, 1, v6
	v_cmp_eq_u32_e32 vcc, 1, v6
	s_and_saveexec_b64 s[2:3], vcc
	s_xor_b64 s[2:3], exec, s[2:3]
	s_cbranch_execz .LBB2247_131
; %bb.130:
	s_waitcnt lgkmcnt(0)
	v_cmp_lt_i64_e32 vcc, v[3:4], v[1:2]
                                        ; implicit-def: $vgpr17
                                        ; implicit-def: $vgpr9
	v_cndmask_b32_e32 v2, v2, v4, vcc
	v_cndmask_b32_e32 v1, v1, v3, vcc
                                        ; implicit-def: $vgpr3_vgpr4
.LBB2247_131:
	s_or_saveexec_b64 s[2:3], s[2:3]
	v_mov_b32_e32 v6, 1
	s_xor_b64 exec, exec, s[2:3]
	s_cbranch_execz .LBB2247_133
; %bb.132:
	v_and_b32_e32 v6, 1, v17
	v_cmp_eq_u32_e32 vcc, 1, v6
	v_cndmask_b32_e64 v6, v9, 1, vcc
	s_waitcnt lgkmcnt(0)
	v_cndmask_b32_e32 v2, v4, v2, vcc
	v_cndmask_b32_e32 v1, v3, v1, vcc
.LBB2247_133:
	s_or_b64 exec, exec, s[2:3]
	v_and_b32_e32 v17, 0xff, v6
.LBB2247_134:
	s_or_b64 exec, exec, s[0:1]
	v_cmp_eq_u32_e32 vcc, 0, v5
	s_and_saveexec_b64 s[0:1], vcc
	s_cbranch_execz .LBB2247_136
; %bb.135:
	s_waitcnt lgkmcnt(1)
	v_lshrrev_b32_e32 v3, 2, v0
	v_and_b32_e32 v3, 16, v3
	ds_write_b8 v3, v6 offset:128
	ds_write_b64 v3, v[1:2] offset:136
.LBB2247_136:
	s_or_b64 exec, exec, s[0:1]
	v_cmp_gt_u32_e32 vcc, 2, v0
	s_waitcnt lgkmcnt(0)
	s_barrier
	s_and_saveexec_b64 s[0:1], vcc
	s_cbranch_execz .LBB2247_144
; %bb.137:
	v_lshlrev_b32_e32 v1, 4, v5
	ds_read_u8 v6, v1 offset:128
	ds_read_b64 v[1:2], v1 offset:136
	v_or_b32_e32 v4, 4, v8
	s_add_i32 s8, s8, 63
	v_and_b32_e32 v5, 1, v5
	s_waitcnt lgkmcnt(1)
	v_and_b32_e32 v17, 0xff, v6
	s_waitcnt lgkmcnt(0)
	ds_bpermute_b32 v3, v4, v1
	ds_bpermute_b32 v7, v4, v17
	;; [unrolled: 1-line block ×3, first 2 shown]
	s_lshr_b32 s2, s8, 6
	v_add_u32_e32 v5, 1, v5
	v_cmp_gt_u32_e32 vcc, s2, v5
	s_and_saveexec_b64 s[2:3], vcc
	s_cbranch_execz .LBB2247_143
; %bb.138:
	s_waitcnt lgkmcnt(1)
	v_and_b32_e32 v5, v17, v7
	v_and_b32_e32 v5, 1, v5
	v_cmp_eq_u32_e32 vcc, 1, v5
	s_and_saveexec_b64 s[8:9], vcc
	s_xor_b64 s[8:9], exec, s[8:9]
	s_cbranch_execz .LBB2247_140
; %bb.139:
	s_waitcnt lgkmcnt(0)
	v_cmp_lt_i64_e32 vcc, v[3:4], v[1:2]
                                        ; implicit-def: $vgpr6
                                        ; implicit-def: $vgpr7
	v_cndmask_b32_e32 v2, v2, v4, vcc
	v_cndmask_b32_e32 v1, v1, v3, vcc
                                        ; implicit-def: $vgpr3_vgpr4
.LBB2247_140:
	s_or_saveexec_b64 s[8:9], s[8:9]
	v_mov_b32_e32 v17, 1
	s_xor_b64 exec, exec, s[8:9]
	s_cbranch_execz .LBB2247_142
; %bb.141:
	v_and_b32_e32 v5, 1, v6
	v_cmp_eq_u32_e32 vcc, 1, v5
	s_waitcnt lgkmcnt(0)
	v_cndmask_b32_e32 v2, v4, v2, vcc
	v_cndmask_b32_e32 v1, v3, v1, vcc
	v_cndmask_b32_e64 v17, v7, 1, vcc
.LBB2247_142:
	s_or_b64 exec, exec, s[8:9]
.LBB2247_143:
	s_or_b64 exec, exec, s[2:3]
.LBB2247_144:
	s_or_b64 exec, exec, s[0:1]
.LBB2247_145:
	v_cmp_eq_u32_e32 vcc, 0, v0
	s_mov_b64 s[14:15], 0
                                        ; implicit-def: $vgpr3_vgpr4
                                        ; implicit-def: $vgpr5
	s_and_saveexec_b64 s[0:1], vcc
	s_xor_b64 s[8:9], exec, s[0:1]
	s_cbranch_execz .LBB2247_149
; %bb.146:
	s_waitcnt lgkmcnt(0)
	v_mov_b32_e32 v3, s18
	s_cmp_eq_u64 s[22:23], 0
	v_mov_b32_e32 v4, s19
	v_mov_b32_e32 v5, s33
	s_cbranch_scc1 .LBB2247_148
; %bb.147:
	v_and_b32_e32 v3, 1, v17
	v_cmp_gt_i64_e64 s[0:1], s[18:19], v[1:2]
	s_bitcmp1_b32 s33, 0
	v_cmp_eq_u32_e32 vcc, 1, v3
	s_cselect_b64 s[2:3], -1, 0
	v_mov_b32_e32 v3, s18
	s_and_b64 vcc, vcc, s[0:1]
	v_mov_b32_e32 v4, s19
	v_cndmask_b32_e32 v3, v3, v1, vcc
	v_cndmask_b32_e32 v4, v4, v2, vcc
	v_cndmask_b32_e64 v5, v17, 1, s[2:3]
	v_cndmask_b32_e64 v4, v2, v4, s[2:3]
	;; [unrolled: 1-line block ×3, first 2 shown]
.LBB2247_148:
	s_mov_b64 s[14:15], exec
.LBB2247_149:
	s_or_b64 exec, exec, s[8:9]
	v_mov_b32_e32 v1, s6
	v_mov_b32_e32 v2, s7
	s_and_b64 vcc, exec, s[26:27]
	s_cbranch_vccnz .LBB2247_16
.LBB2247_150:
	s_branch .LBB2247_306
.LBB2247_151:
	v_lshlrev_b32_e32 v3, 1, v0
	global_load_ushort v10, v3, s[16:17] offset:768
	v_mov_b32_e32 v4, s28
	v_add_co_u32_e64 v3, s[8:9], s27, v13
	v_addc_co_u32_e64 v4, s[8:9], 0, v4, s[8:9]
	s_waitcnt vmcnt(0)
	v_cmp_eq_f16_e64 s[8:9], s34, v10
	v_cndmask_b32_e64 v10, 0, 1, s[8:9]
	s_or_b64 exec, exec, s[10:11]
	s_and_saveexec_b64 s[10:11], s[2:3]
	s_cbranch_execz .LBB2247_60
.LBB2247_152:
	v_and_b32_e32 v9, 1, v9
	v_cmp_eq_u32_e64 s[2:3], 1, v9
	v_and_b32_e32 v9, 1, v12
	v_cmp_eq_u32_e64 s[8:9], 1, v9
	s_and_b64 s[8:9], s[2:3], s[8:9]
	s_xor_b64 s[8:9], s[8:9], -1
                                        ; implicit-def: $vgpr9
	s_and_saveexec_b64 s[16:17], s[8:9]
	s_xor_b64 s[8:9], exec, s[16:17]
; %bb.153:
	v_and_b32_e32 v9, 0xffff, v12
	v_cndmask_b32_e64 v9, v9, 1, s[2:3]
	v_cndmask_b32_e64 v2, v8, v2, s[2:3]
	v_cndmask_b32_e64 v1, v7, v1, s[2:3]
                                        ; implicit-def: $vgpr7_vgpr8
; %bb.154:
	s_andn2_saveexec_b64 s[8:9], s[8:9]
; %bb.155:
	v_cmp_lt_i64_e64 s[2:3], v[7:8], v[1:2]
	v_mov_b32_e32 v9, 1
	v_cndmask_b32_e64 v2, v2, v8, s[2:3]
	v_cndmask_b32_e64 v1, v1, v7, s[2:3]
; %bb.156:
	s_or_b64 exec, exec, s[8:9]
	s_or_b64 exec, exec, s[10:11]
	s_and_saveexec_b64 s[8:9], s[0:1]
	s_cbranch_execz .LBB2247_61
.LBB2247_157:
	v_and_b32_e32 v7, 1, v9
	v_cmp_eq_u32_e64 s[0:1], 1, v7
	v_and_b32_e32 v7, 1, v11
	v_cmp_eq_u32_e64 s[2:3], 1, v7
	s_and_b64 s[2:3], s[0:1], s[2:3]
	s_xor_b64 s[2:3], s[2:3], -1
                                        ; implicit-def: $vgpr9
	s_and_saveexec_b64 s[10:11], s[2:3]
	s_xor_b64 s[2:3], exec, s[10:11]
; %bb.158:
	v_and_b32_e32 v7, 0xffff, v11
	v_cndmask_b32_e64 v9, v7, 1, s[0:1]
	v_cndmask_b32_e64 v2, v6, v2, s[0:1]
	v_cndmask_b32_e64 v1, v5, v1, s[0:1]
                                        ; implicit-def: $vgpr5_vgpr6
; %bb.159:
	s_andn2_saveexec_b64 s[2:3], s[2:3]
; %bb.160:
	v_cmp_lt_i64_e64 s[0:1], v[5:6], v[1:2]
	v_mov_b32_e32 v9, 1
	v_cndmask_b32_e64 v2, v2, v6, s[0:1]
	v_cndmask_b32_e64 v1, v1, v5, s[0:1]
; %bb.161:
	s_or_b64 exec, exec, s[2:3]
	s_or_b64 exec, exec, s[8:9]
	s_and_saveexec_b64 s[2:3], vcc
	s_cbranch_execz .LBB2247_167
.LBB2247_162:
	v_and_b32_e32 v5, 1, v9
	v_cmp_eq_u32_e32 vcc, 1, v5
	v_and_b32_e32 v5, 1, v10
	v_cmp_eq_u32_e64 s[0:1], 1, v5
	s_and_b64 s[0:1], vcc, s[0:1]
	s_xor_b64 s[0:1], s[0:1], -1
                                        ; implicit-def: $vgpr9
	s_and_saveexec_b64 s[8:9], s[0:1]
	s_xor_b64 s[0:1], exec, s[8:9]
; %bb.163:
	v_and_b32_e32 v5, 0xffff, v10
	v_cndmask_b32_e64 v9, v5, 1, vcc
	v_cndmask_b32_e32 v2, v4, v2, vcc
	v_cndmask_b32_e32 v1, v3, v1, vcc
                                        ; implicit-def: $vgpr3_vgpr4
; %bb.164:
	s_andn2_saveexec_b64 s[0:1], s[0:1]
; %bb.165:
	v_cmp_lt_i64_e32 vcc, v[3:4], v[1:2]
	v_mov_b32_e32 v9, 1
	v_cndmask_b32_e32 v2, v2, v4, vcc
	v_cndmask_b32_e32 v1, v1, v3, vcc
; %bb.166:
	s_or_b64 exec, exec, s[0:1]
.LBB2247_167:
	s_or_b64 exec, exec, s[2:3]
	v_mbcnt_lo_u32_b32 v3, -1, 0
	v_mbcnt_hi_u32_b32 v5, -1, v3
	v_and_b32_e32 v6, 63, v5
	v_cmp_ne_u32_e32 vcc, 63, v6
	v_addc_co_u32_e32 v3, vcc, 0, v5, vcc
	v_lshlrev_b32_e32 v4, 2, v3
	ds_bpermute_b32 v8, v4, v9
	ds_bpermute_b32 v3, v4, v1
	;; [unrolled: 1-line block ×3, first 2 shown]
	s_min_u32 s8, s12, 0x80
	v_and_b32_e32 v7, 64, v0
	v_sub_u32_e64 v7, s8, v7 clamp
	v_add_u32_e32 v10, 1, v6
	v_cmp_lt_u32_e32 vcc, v10, v7
	s_and_saveexec_b64 s[0:1], vcc
	s_xor_b64 s[0:1], exec, s[0:1]
	s_cbranch_execz .LBB2247_173
; %bb.168:
	s_waitcnt lgkmcnt(2)
	v_and_b32_e32 v10, v8, v9
	v_cmp_ne_u32_e32 vcc, 0, v10
	s_and_saveexec_b64 s[2:3], vcc
	s_xor_b64 s[2:3], exec, s[2:3]
	s_cbranch_execz .LBB2247_170
; %bb.169:
	s_waitcnt lgkmcnt(0)
	v_cmp_lt_i64_e32 vcc, v[3:4], v[1:2]
                                        ; implicit-def: $vgpr9
                                        ; implicit-def: $vgpr8
	v_cndmask_b32_e32 v2, v2, v4, vcc
	v_cndmask_b32_e32 v1, v1, v3, vcc
                                        ; implicit-def: $vgpr3_vgpr4
.LBB2247_170:
	s_or_saveexec_b64 s[2:3], s[2:3]
	v_mov_b32_e32 v10, 1
	s_xor_b64 exec, exec, s[2:3]
	s_cbranch_execz .LBB2247_172
; %bb.171:
	v_and_b32_e32 v9, 1, v9
	v_cmp_eq_u32_e32 vcc, 1, v9
	s_waitcnt lgkmcnt(1)
	v_cndmask_b32_e32 v1, v3, v1, vcc
	v_and_b32_e32 v3, 0xff, v8
	s_waitcnt lgkmcnt(0)
	v_cndmask_b32_e32 v2, v4, v2, vcc
	v_cndmask_b32_e64 v10, v3, 1, vcc
.LBB2247_172:
	s_or_b64 exec, exec, s[2:3]
	v_mov_b32_e32 v9, v10
.LBB2247_173:
	s_or_b64 exec, exec, s[0:1]
	v_cmp_gt_u32_e32 vcc, 62, v6
	s_waitcnt lgkmcnt(1)
	v_cndmask_b32_e64 v3, 0, 2, vcc
	s_waitcnt lgkmcnt(0)
	v_add_lshl_u32 v4, v3, v5, 2
	ds_bpermute_b32 v8, v4, v9
	ds_bpermute_b32 v3, v4, v1
	ds_bpermute_b32 v4, v4, v2
	v_add_u32_e32 v10, 2, v6
	v_cmp_lt_u32_e32 vcc, v10, v7
	s_and_saveexec_b64 s[0:1], vcc
	s_cbranch_execz .LBB2247_179
; %bb.174:
	s_waitcnt lgkmcnt(2)
	v_and_b32_e32 v10, v9, v8
	v_and_b32_e32 v10, 1, v10
	v_cmp_eq_u32_e32 vcc, 1, v10
	s_and_saveexec_b64 s[2:3], vcc
	s_xor_b64 s[2:3], exec, s[2:3]
	s_cbranch_execz .LBB2247_176
; %bb.175:
	s_waitcnt lgkmcnt(0)
	v_cmp_lt_i64_e32 vcc, v[3:4], v[1:2]
                                        ; implicit-def: $vgpr9
                                        ; implicit-def: $vgpr8
	v_cndmask_b32_e32 v2, v2, v4, vcc
	v_cndmask_b32_e32 v1, v1, v3, vcc
                                        ; implicit-def: $vgpr3_vgpr4
.LBB2247_176:
	s_or_saveexec_b64 s[2:3], s[2:3]
	v_mov_b32_e32 v10, 1
	s_xor_b64 exec, exec, s[2:3]
	s_cbranch_execz .LBB2247_178
; %bb.177:
	v_and_b32_e32 v9, 1, v9
	v_cmp_eq_u32_e32 vcc, 1, v9
	s_waitcnt lgkmcnt(1)
	v_cndmask_b32_e32 v1, v3, v1, vcc
	v_and_b32_e32 v3, 0xff, v8
	s_waitcnt lgkmcnt(0)
	v_cndmask_b32_e32 v2, v4, v2, vcc
	v_cndmask_b32_e64 v10, v3, 1, vcc
.LBB2247_178:
	s_or_b64 exec, exec, s[2:3]
	v_mov_b32_e32 v9, v10
.LBB2247_179:
	s_or_b64 exec, exec, s[0:1]
	v_cmp_gt_u32_e32 vcc, 60, v6
	s_waitcnt lgkmcnt(1)
	v_cndmask_b32_e64 v3, 0, 4, vcc
	s_waitcnt lgkmcnt(0)
	v_add_lshl_u32 v4, v3, v5, 2
	ds_bpermute_b32 v8, v4, v9
	ds_bpermute_b32 v3, v4, v1
	ds_bpermute_b32 v4, v4, v2
	v_add_u32_e32 v10, 4, v6
	v_cmp_lt_u32_e32 vcc, v10, v7
	s_and_saveexec_b64 s[0:1], vcc
	s_cbranch_execz .LBB2247_185
; %bb.180:
	s_waitcnt lgkmcnt(2)
	v_and_b32_e32 v10, v9, v8
	v_and_b32_e32 v10, 1, v10
	v_cmp_eq_u32_e32 vcc, 1, v10
	s_and_saveexec_b64 s[2:3], vcc
	s_xor_b64 s[2:3], exec, s[2:3]
	s_cbranch_execz .LBB2247_182
; %bb.181:
	s_waitcnt lgkmcnt(0)
	v_cmp_lt_i64_e32 vcc, v[3:4], v[1:2]
                                        ; implicit-def: $vgpr9
                                        ; implicit-def: $vgpr8
	v_cndmask_b32_e32 v2, v2, v4, vcc
	v_cndmask_b32_e32 v1, v1, v3, vcc
                                        ; implicit-def: $vgpr3_vgpr4
.LBB2247_182:
	s_or_saveexec_b64 s[2:3], s[2:3]
	v_mov_b32_e32 v10, 1
	s_xor_b64 exec, exec, s[2:3]
	s_cbranch_execz .LBB2247_184
; %bb.183:
	v_and_b32_e32 v9, 1, v9
	v_cmp_eq_u32_e32 vcc, 1, v9
	s_waitcnt lgkmcnt(1)
	v_cndmask_b32_e32 v1, v3, v1, vcc
	v_and_b32_e32 v3, 0xff, v8
	s_waitcnt lgkmcnt(0)
	v_cndmask_b32_e32 v2, v4, v2, vcc
	v_cndmask_b32_e64 v10, v3, 1, vcc
.LBB2247_184:
	s_or_b64 exec, exec, s[2:3]
	v_mov_b32_e32 v9, v10
.LBB2247_185:
	s_or_b64 exec, exec, s[0:1]
	v_cmp_gt_u32_e32 vcc, 56, v6
	s_waitcnt lgkmcnt(1)
	v_cndmask_b32_e64 v3, 0, 8, vcc
	s_waitcnt lgkmcnt(0)
	v_add_lshl_u32 v4, v3, v5, 2
	ds_bpermute_b32 v8, v4, v9
	ds_bpermute_b32 v3, v4, v1
	ds_bpermute_b32 v4, v4, v2
	v_add_u32_e32 v10, 8, v6
	v_cmp_lt_u32_e32 vcc, v10, v7
	s_and_saveexec_b64 s[0:1], vcc
	s_cbranch_execz .LBB2247_191
; %bb.186:
	s_waitcnt lgkmcnt(2)
	v_and_b32_e32 v10, v9, v8
	v_and_b32_e32 v10, 1, v10
	v_cmp_eq_u32_e32 vcc, 1, v10
	s_and_saveexec_b64 s[2:3], vcc
	s_xor_b64 s[2:3], exec, s[2:3]
	s_cbranch_execz .LBB2247_188
; %bb.187:
	s_waitcnt lgkmcnt(0)
	v_cmp_lt_i64_e32 vcc, v[3:4], v[1:2]
                                        ; implicit-def: $vgpr9
                                        ; implicit-def: $vgpr8
	v_cndmask_b32_e32 v2, v2, v4, vcc
	v_cndmask_b32_e32 v1, v1, v3, vcc
                                        ; implicit-def: $vgpr3_vgpr4
.LBB2247_188:
	s_or_saveexec_b64 s[2:3], s[2:3]
	v_mov_b32_e32 v10, 1
	s_xor_b64 exec, exec, s[2:3]
	s_cbranch_execz .LBB2247_190
; %bb.189:
	v_and_b32_e32 v9, 1, v9
	v_cmp_eq_u32_e32 vcc, 1, v9
	s_waitcnt lgkmcnt(1)
	v_cndmask_b32_e32 v1, v3, v1, vcc
	v_and_b32_e32 v3, 0xff, v8
	s_waitcnt lgkmcnt(0)
	v_cndmask_b32_e32 v2, v4, v2, vcc
	v_cndmask_b32_e64 v10, v3, 1, vcc
.LBB2247_190:
	s_or_b64 exec, exec, s[2:3]
	v_mov_b32_e32 v9, v10
.LBB2247_191:
	s_or_b64 exec, exec, s[0:1]
	v_cmp_gt_u32_e32 vcc, 48, v6
	s_waitcnt lgkmcnt(1)
	v_cndmask_b32_e64 v3, 0, 16, vcc
	s_waitcnt lgkmcnt(0)
	v_add_lshl_u32 v4, v3, v5, 2
	ds_bpermute_b32 v8, v4, v9
	ds_bpermute_b32 v3, v4, v1
	ds_bpermute_b32 v4, v4, v2
	v_add_u32_e32 v10, 16, v6
	v_cmp_lt_u32_e32 vcc, v10, v7
	s_and_saveexec_b64 s[0:1], vcc
	s_cbranch_execz .LBB2247_197
; %bb.192:
	s_waitcnt lgkmcnt(2)
	v_and_b32_e32 v10, v9, v8
	v_and_b32_e32 v10, 1, v10
	v_cmp_eq_u32_e32 vcc, 1, v10
	s_and_saveexec_b64 s[2:3], vcc
	s_xor_b64 s[2:3], exec, s[2:3]
	s_cbranch_execz .LBB2247_194
; %bb.193:
	s_waitcnt lgkmcnt(0)
	v_cmp_lt_i64_e32 vcc, v[3:4], v[1:2]
                                        ; implicit-def: $vgpr9
                                        ; implicit-def: $vgpr8
	v_cndmask_b32_e32 v2, v2, v4, vcc
	v_cndmask_b32_e32 v1, v1, v3, vcc
                                        ; implicit-def: $vgpr3_vgpr4
.LBB2247_194:
	s_or_saveexec_b64 s[2:3], s[2:3]
	v_mov_b32_e32 v10, 1
	s_xor_b64 exec, exec, s[2:3]
	s_cbranch_execz .LBB2247_196
; %bb.195:
	v_and_b32_e32 v9, 1, v9
	v_cmp_eq_u32_e32 vcc, 1, v9
	s_waitcnt lgkmcnt(1)
	v_cndmask_b32_e32 v1, v3, v1, vcc
	v_and_b32_e32 v3, 0xff, v8
	s_waitcnt lgkmcnt(0)
	v_cndmask_b32_e32 v2, v4, v2, vcc
	v_cndmask_b32_e64 v10, v3, 1, vcc
.LBB2247_196:
	s_or_b64 exec, exec, s[2:3]
	v_mov_b32_e32 v9, v10
.LBB2247_197:
	s_or_b64 exec, exec, s[0:1]
	s_waitcnt lgkmcnt(2)
	v_lshlrev_b32_e32 v8, 2, v5
	s_waitcnt lgkmcnt(0)
	v_or_b32_e32 v4, 0x80, v8
	ds_bpermute_b32 v10, v4, v9
	ds_bpermute_b32 v3, v4, v1
	;; [unrolled: 1-line block ×3, first 2 shown]
	v_add_u32_e32 v6, 32, v6
	v_cmp_lt_u32_e32 vcc, v6, v7
	v_mov_b32_e32 v6, v9
	s_and_saveexec_b64 s[0:1], vcc
	s_cbranch_execz .LBB2247_203
; %bb.198:
	s_waitcnt lgkmcnt(2)
	v_and_b32_e32 v6, v9, v10
	v_and_b32_e32 v6, 1, v6
	v_cmp_eq_u32_e32 vcc, 1, v6
	s_and_saveexec_b64 s[2:3], vcc
	s_xor_b64 s[2:3], exec, s[2:3]
	s_cbranch_execz .LBB2247_200
; %bb.199:
	s_waitcnt lgkmcnt(0)
	v_cmp_lt_i64_e32 vcc, v[3:4], v[1:2]
                                        ; implicit-def: $vgpr9
                                        ; implicit-def: $vgpr10
	v_cndmask_b32_e32 v2, v2, v4, vcc
	v_cndmask_b32_e32 v1, v1, v3, vcc
                                        ; implicit-def: $vgpr3_vgpr4
.LBB2247_200:
	s_or_saveexec_b64 s[2:3], s[2:3]
	v_mov_b32_e32 v6, 1
	s_xor_b64 exec, exec, s[2:3]
	s_cbranch_execz .LBB2247_202
; %bb.201:
	v_and_b32_e32 v6, 1, v9
	v_cmp_eq_u32_e32 vcc, 1, v6
	v_cndmask_b32_e64 v6, v10, 1, vcc
	s_waitcnt lgkmcnt(0)
	v_cndmask_b32_e32 v2, v4, v2, vcc
	v_cndmask_b32_e32 v1, v3, v1, vcc
.LBB2247_202:
	s_or_b64 exec, exec, s[2:3]
	v_and_b32_e32 v9, 0xff, v6
.LBB2247_203:
	s_or_b64 exec, exec, s[0:1]
	v_cmp_eq_u32_e32 vcc, 0, v5
	s_and_saveexec_b64 s[0:1], vcc
	s_cbranch_execz .LBB2247_205
; %bb.204:
	s_waitcnt lgkmcnt(1)
	v_lshrrev_b32_e32 v3, 2, v0
	v_and_b32_e32 v3, 16, v3
	ds_write_b8 v3, v6 offset:128
	ds_write_b64 v3, v[1:2] offset:136
.LBB2247_205:
	s_or_b64 exec, exec, s[0:1]
	v_cmp_gt_u32_e32 vcc, 2, v0
	s_waitcnt lgkmcnt(0)
	s_barrier
	s_and_saveexec_b64 s[0:1], vcc
	s_cbranch_execz .LBB2247_213
; %bb.206:
	v_lshlrev_b32_e32 v1, 4, v5
	ds_read_u8 v6, v1 offset:128
	ds_read_b64 v[1:2], v1 offset:136
	v_or_b32_e32 v4, 4, v8
	s_add_i32 s8, s8, 63
	v_and_b32_e32 v5, 1, v5
	s_waitcnt lgkmcnt(1)
	v_and_b32_e32 v9, 0xff, v6
	s_waitcnt lgkmcnt(0)
	ds_bpermute_b32 v3, v4, v1
	ds_bpermute_b32 v7, v4, v9
	;; [unrolled: 1-line block ×3, first 2 shown]
	s_lshr_b32 s2, s8, 6
	v_add_u32_e32 v5, 1, v5
	v_cmp_gt_u32_e32 vcc, s2, v5
	s_and_saveexec_b64 s[2:3], vcc
	s_cbranch_execz .LBB2247_212
; %bb.207:
	s_waitcnt lgkmcnt(1)
	v_and_b32_e32 v5, v9, v7
	v_and_b32_e32 v5, 1, v5
	v_cmp_eq_u32_e32 vcc, 1, v5
	s_and_saveexec_b64 s[8:9], vcc
	s_xor_b64 s[8:9], exec, s[8:9]
	s_cbranch_execz .LBB2247_209
; %bb.208:
	s_waitcnt lgkmcnt(0)
	v_cmp_lt_i64_e32 vcc, v[3:4], v[1:2]
                                        ; implicit-def: $vgpr6
                                        ; implicit-def: $vgpr7
	v_cndmask_b32_e32 v2, v2, v4, vcc
	v_cndmask_b32_e32 v1, v1, v3, vcc
                                        ; implicit-def: $vgpr3_vgpr4
.LBB2247_209:
	s_or_saveexec_b64 s[8:9], s[8:9]
	v_mov_b32_e32 v9, 1
	s_xor_b64 exec, exec, s[8:9]
	s_cbranch_execz .LBB2247_211
; %bb.210:
	v_and_b32_e32 v5, 1, v6
	v_cmp_eq_u32_e32 vcc, 1, v5
	s_waitcnt lgkmcnt(0)
	v_cndmask_b32_e32 v2, v4, v2, vcc
	v_cndmask_b32_e32 v1, v3, v1, vcc
	v_cndmask_b32_e64 v9, v7, 1, vcc
.LBB2247_211:
	s_or_b64 exec, exec, s[8:9]
.LBB2247_212:
	s_or_b64 exec, exec, s[2:3]
.LBB2247_213:
	s_or_b64 exec, exec, s[0:1]
.LBB2247_214:
	v_cmp_eq_u32_e32 vcc, 0, v0
                                        ; implicit-def: $vgpr3_vgpr4
                                        ; implicit-def: $vgpr5
	s_and_saveexec_b64 s[0:1], vcc
	s_xor_b64 s[8:9], exec, s[0:1]
	s_cbranch_execz .LBB2247_218
; %bb.215:
	s_waitcnt lgkmcnt(0)
	v_mov_b32_e32 v3, s18
	s_cmp_eq_u64 s[22:23], 0
	v_mov_b32_e32 v4, s19
	v_mov_b32_e32 v5, s33
	s_cbranch_scc1 .LBB2247_217
; %bb.216:
	v_and_b32_e32 v3, 1, v9
	v_cmp_gt_i64_e64 s[0:1], s[18:19], v[1:2]
	s_bitcmp1_b32 s33, 0
	v_cmp_eq_u32_e32 vcc, 1, v3
	s_cselect_b64 s[2:3], -1, 0
	v_mov_b32_e32 v3, s18
	s_and_b64 vcc, vcc, s[0:1]
	v_mov_b32_e32 v4, s19
	v_cndmask_b32_e32 v3, v3, v1, vcc
	v_cndmask_b32_e32 v4, v4, v2, vcc
	v_cndmask_b32_e64 v5, v9, 1, s[2:3]
	v_cndmask_b32_e64 v4, v2, v4, s[2:3]
	;; [unrolled: 1-line block ×3, first 2 shown]
.LBB2247_217:
	s_or_b64 s[14:15], s[14:15], exec
.LBB2247_218:
	s_or_b64 exec, exec, s[8:9]
	v_mov_b32_e32 v1, s6
	v_mov_b32_e32 v2, s7
	s_branch .LBB2247_306
.LBB2247_219:
	s_cmp_gt_i32 s35, 1
	s_cbranch_scc0 .LBB2247_231
; %bb.220:
	s_cmp_eq_u32 s35, 2
	s_cbranch_scc0 .LBB2247_232
; %bb.221:
	s_mov_b32 s7, 0
	s_lshl_b32 s26, s6, 8
	s_mov_b32 s27, s7
	s_lshr_b64 s[0:1], s[22:23], 8
	s_lshl_b64 s[2:3], s[26:27], 1
	s_add_u32 s16, s24, s2
	s_addc_u32 s17, s25, s3
	s_add_u32 s27, s20, s26
	s_addc_u32 s28, s21, 0
	s_cmp_lg_u64 s[0:1], s[6:7]
	s_cbranch_scc0 .LBB2247_233
; %bb.222:
	v_lshlrev_b32_e32 v1, 1, v0
	global_load_ushort v2, v1, s[16:17] offset:256
	s_waitcnt lgkmcnt(0)
	global_load_ushort v4, v1, s[16:17]
	v_mov_b32_e32 v1, s28
	v_add_co_u32_e32 v6, vcc, s27, v0
	v_addc_co_u32_e32 v1, vcc, 0, v1, vcc
	v_add_co_u32_e32 v7, vcc, 0x80, v6
	v_addc_co_u32_e32 v8, vcc, 0, v1, vcc
	v_mbcnt_lo_u32_b32 v3, -1, 0
	v_mbcnt_hi_u32_b32 v3, -1, v3
	v_lshlrev_b32_e32 v5, 2, v3
	v_or_b32_e32 v10, 0xfc, v5
	s_waitcnt vmcnt(1)
	v_cmp_eq_f16_e32 vcc, s34, v2
	s_waitcnt vmcnt(0)
	v_cmp_eq_f16_e64 s[0:1], s34, v4
	v_cndmask_b32_e64 v2, v8, v1, s[0:1]
	v_cndmask_b32_e64 v1, v7, v6, s[0:1]
	s_or_b64 s[0:1], s[0:1], vcc
	v_mov_b32_dpp v7, v2 quad_perm:[1,0,3,2] row_mask:0xf bank_mask:0xf bound_ctrl:1
	v_mov_b32_dpp v6, v1 quad_perm:[1,0,3,2] row_mask:0xf bank_mask:0xf bound_ctrl:1
	v_cndmask_b32_e64 v4, 0, 1, s[0:1]
	v_cmp_lt_i64_e32 vcc, v[1:2], v[6:7]
	s_and_b64 vcc, s[0:1], vcc
	v_mov_b32_dpp v8, v4 quad_perm:[1,0,3,2] row_mask:0xf bank_mask:0xf bound_ctrl:1
	v_and_b32_e32 v8, 1, v8
	v_cndmask_b32_e32 v6, v6, v1, vcc
	v_cndmask_b32_e32 v7, v7, v2, vcc
	v_cmp_eq_u32_e32 vcc, 1, v8
	v_cndmask_b32_e32 v2, v2, v7, vcc
	v_cndmask_b32_e32 v1, v1, v6, vcc
	v_cndmask_b32_e64 v4, v4, 1, vcc
	v_mov_b32_dpp v7, v2 quad_perm:[2,3,0,1] row_mask:0xf bank_mask:0xf bound_ctrl:1
	v_mov_b32_dpp v6, v1 quad_perm:[2,3,0,1] row_mask:0xf bank_mask:0xf bound_ctrl:1
	v_and_b32_e32 v9, 1, v4
	v_cmp_lt_i64_e64 s[0:1], v[1:2], v[6:7]
	v_mov_b32_dpp v8, v4 quad_perm:[2,3,0,1] row_mask:0xf bank_mask:0xf bound_ctrl:1
	v_cmp_eq_u32_e32 vcc, 1, v9
	v_and_b32_e32 v8, 1, v8
	s_and_b64 vcc, vcc, s[0:1]
	v_cmp_eq_u32_e64 s[2:3], 1, v8
	v_cndmask_b32_e32 v6, v6, v1, vcc
	v_cndmask_b32_e32 v7, v7, v2, vcc
	v_cndmask_b32_e64 v1, v1, v6, s[2:3]
	v_cndmask_b32_e64 v2, v2, v7, s[2:3]
	;; [unrolled: 1-line block ×3, first 2 shown]
	v_mov_b32_dpp v6, v1 row_ror:4 row_mask:0xf bank_mask:0xf bound_ctrl:1
	v_mov_b32_dpp v7, v2 row_ror:4 row_mask:0xf bank_mask:0xf bound_ctrl:1
	v_and_b32_e32 v9, 1, v4
	v_cmp_lt_i64_e64 s[2:3], v[1:2], v[6:7]
	v_mov_b32_dpp v8, v4 row_ror:4 row_mask:0xf bank_mask:0xf bound_ctrl:1
	v_cmp_eq_u32_e32 vcc, 1, v9
	v_and_b32_e32 v8, 1, v8
	s_and_b64 vcc, vcc, s[2:3]
	v_cmp_eq_u32_e64 s[0:1], 1, v8
	v_cndmask_b32_e32 v6, v6, v1, vcc
	v_cndmask_b32_e32 v7, v7, v2, vcc
	v_cndmask_b32_e64 v1, v1, v6, s[0:1]
	v_cndmask_b32_e64 v2, v2, v7, s[0:1]
	;; [unrolled: 1-line block ×3, first 2 shown]
	v_mov_b32_dpp v6, v1 row_ror:8 row_mask:0xf bank_mask:0xf bound_ctrl:1
	v_mov_b32_dpp v7, v2 row_ror:8 row_mask:0xf bank_mask:0xf bound_ctrl:1
	v_and_b32_e32 v9, 1, v4
	v_cmp_lt_i64_e64 s[2:3], v[1:2], v[6:7]
	v_mov_b32_dpp v8, v4 row_ror:8 row_mask:0xf bank_mask:0xf bound_ctrl:1
	v_cmp_eq_u32_e64 s[8:9], 1, v9
	v_and_b32_e32 v8, 1, v8
	s_and_b64 s[2:3], s[8:9], s[2:3]
	v_cmp_eq_u32_e64 s[10:11], 1, v8
	v_cndmask_b32_e64 v6, v6, v1, s[2:3]
	v_cndmask_b32_e64 v7, v7, v2, s[2:3]
	;; [unrolled: 1-line block ×5, first 2 shown]
	v_mov_b32_dpp v8, v4 row_bcast:15 row_mask:0xf bank_mask:0xf bound_ctrl:1
	v_mov_b32_dpp v6, v1 row_bcast:15 row_mask:0xf bank_mask:0xf bound_ctrl:1
	;; [unrolled: 1-line block ×3, first 2 shown]
	v_and_b32_e32 v9, 1, v4
	v_and_b32_e32 v8, 1, v8
	v_cmp_lt_i64_e64 s[2:3], v[1:2], v[6:7]
	v_cmp_eq_u32_e32 vcc, 1, v9
	v_cmp_eq_u32_e64 s[0:1], 1, v8
	v_cndmask_b32_e64 v4, v4, 1, s[0:1]
	s_and_b64 vcc, vcc, s[2:3]
	v_cndmask_b32_e32 v6, v6, v1, vcc
	v_mov_b32_dpp v8, v4 row_bcast:31 row_mask:0xf bank_mask:0xf bound_ctrl:1
	v_cndmask_b32_e32 v7, v7, v2, vcc
	v_and_b32_e32 v9, 1, v4
	v_and_b32_e32 v8, 1, v8
	v_cndmask_b32_e64 v1, v1, v6, s[0:1]
	v_cndmask_b32_e64 v2, v2, v7, s[0:1]
	v_cmp_eq_u32_e64 s[12:13], 1, v9
	v_cmp_eq_u32_e64 s[8:9], 1, v8
	v_mov_b32_dpp v8, v1 row_bcast:31 row_mask:0xf bank_mask:0xf bound_ctrl:1
	v_mov_b32_dpp v9, v2 row_bcast:31 row_mask:0xf bank_mask:0xf bound_ctrl:1
	v_cmp_lt_i64_e32 vcc, v[1:2], v[8:9]
	v_cndmask_b32_e64 v4, v4, 1, s[8:9]
	s_and_b64 vcc, s[12:13], vcc
	ds_bpermute_b32 v7, v10, v4
	v_cndmask_b32_e32 v4, v8, v1, vcc
	v_cndmask_b32_e32 v6, v9, v2, vcc
	v_cndmask_b32_e64 v1, v1, v4, s[8:9]
	v_cndmask_b32_e64 v2, v2, v6, s[8:9]
	ds_bpermute_b32 v1, v10, v1
	ds_bpermute_b32 v2, v10, v2
	v_cmp_eq_u32_e32 vcc, 0, v3
	s_and_saveexec_b64 s[0:1], vcc
	s_cbranch_execz .LBB2247_224
; %bb.223:
	v_lshrrev_b32_e32 v4, 2, v0
	v_and_b32_e32 v4, 16, v4
	s_waitcnt lgkmcnt(2)
	ds_write_b8 v4, v7 offset:32
	s_waitcnt lgkmcnt(1)
	ds_write_b64 v4, v[1:2] offset:40
.LBB2247_224:
	s_or_b64 exec, exec, s[0:1]
	v_cmp_gt_u32_e32 vcc, 64, v0
	s_waitcnt lgkmcnt(0)
	s_barrier
	s_and_saveexec_b64 s[0:1], vcc
	s_cbranch_execz .LBB2247_230
; %bb.225:
	v_and_b32_e32 v1, 1, v3
	v_lshlrev_b32_e32 v1, 4, v1
	ds_read_u8 v8, v1 offset:32
	ds_read_b64 v[3:4], v1 offset:40
	v_or_b32_e32 v2, 4, v5
	s_waitcnt lgkmcnt(1)
	v_and_b32_e32 v1, 0xff, v8
	ds_bpermute_b32 v9, v2, v1
	s_waitcnt lgkmcnt(1)
	ds_bpermute_b32 v5, v2, v3
	ds_bpermute_b32 v6, v2, v4
	s_waitcnt lgkmcnt(2)
	v_and_b32_e32 v1, v8, v9
	v_and_b32_e32 v1, 1, v1
	v_cmp_eq_u32_e32 vcc, 1, v1
                                        ; implicit-def: $vgpr1_vgpr2
	s_and_saveexec_b64 s[2:3], vcc
	s_xor_b64 s[2:3], exec, s[2:3]
	s_cbranch_execz .LBB2247_227
; %bb.226:
	s_waitcnt lgkmcnt(0)
	v_cmp_lt_i64_e32 vcc, v[5:6], v[3:4]
                                        ; implicit-def: $vgpr8
                                        ; implicit-def: $vgpr9
	v_cndmask_b32_e32 v2, v4, v6, vcc
	v_cndmask_b32_e32 v1, v3, v5, vcc
                                        ; implicit-def: $vgpr5_vgpr6
                                        ; implicit-def: $vgpr3_vgpr4
.LBB2247_227:
	s_or_saveexec_b64 s[2:3], s[2:3]
	v_mov_b32_e32 v7, 1
	s_xor_b64 exec, exec, s[2:3]
	s_cbranch_execz .LBB2247_229
; %bb.228:
	v_and_b32_e32 v1, 1, v8
	v_cmp_eq_u32_e32 vcc, 1, v1
	s_waitcnt lgkmcnt(0)
	v_cndmask_b32_e32 v2, v6, v4, vcc
	v_cndmask_b32_e32 v1, v5, v3, vcc
	v_cndmask_b32_e64 v7, v9, 1, vcc
.LBB2247_229:
	s_or_b64 exec, exec, s[2:3]
.LBB2247_230:
	s_or_b64 exec, exec, s[0:1]
	s_branch .LBB2247_285
.LBB2247_231:
                                        ; implicit-def: $vgpr3_vgpr4
                                        ; implicit-def: $vgpr5
                                        ; implicit-def: $vgpr1_vgpr2
	s_cbranch_execnz .LBB2247_290
	s_branch .LBB2247_306
.LBB2247_232:
                                        ; implicit-def: $vgpr3_vgpr4
                                        ; implicit-def: $vgpr5
                                        ; implicit-def: $vgpr1_vgpr2
	s_branch .LBB2247_306
.LBB2247_233:
                                        ; implicit-def: $vgpr1_vgpr2
                                        ; implicit-def: $vgpr7
	s_cbranch_execz .LBB2247_285
; %bb.234:
	s_sub_i32 s10, s22, s26
	s_waitcnt lgkmcnt(0)
	v_mov_b32_e32 v3, 0
	v_mov_b32_e32 v1, 0
	v_cmp_gt_u32_e32 vcc, s10, v0
	v_mov_b32_e32 v5, 0
	v_mov_b32_e32 v4, 0
	;; [unrolled: 1-line block ×4, first 2 shown]
	s_and_saveexec_b64 s[0:1], vcc
	s_cbranch_execz .LBB2247_236
; %bb.235:
	v_lshlrev_b32_e32 v1, 1, v0
	global_load_ushort v6, v1, s[16:17]
	v_mov_b32_e32 v2, s28
	v_add_co_u32_e32 v1, vcc, s27, v0
	v_addc_co_u32_e32 v2, vcc, 0, v2, vcc
	s_waitcnt vmcnt(0)
	v_cmp_eq_f16_e32 vcc, s34, v6
	v_cndmask_b32_e64 v6, 0, 1, vcc
.LBB2247_236:
	s_or_b64 exec, exec, s[0:1]
	v_or_b32_e32 v7, 0x80, v0
	v_cmp_gt_u32_e32 vcc, s10, v7
	s_and_saveexec_b64 s[2:3], vcc
	s_cbranch_execz .LBB2247_238
; %bb.237:
	v_lshlrev_b32_e32 v3, 1, v0
	global_load_ushort v5, v3, s[16:17] offset:256
	v_mov_b32_e32 v4, s28
	v_add_co_u32_e64 v3, s[0:1], s27, v7
	v_addc_co_u32_e64 v4, s[0:1], 0, v4, s[0:1]
	s_waitcnt vmcnt(0)
	v_cmp_eq_f16_e64 s[0:1], s34, v5
	v_cndmask_b32_e64 v5, 0, 1, s[0:1]
.LBB2247_238:
	s_or_b64 exec, exec, s[2:3]
	v_and_b32_e32 v8, 0xffff, v5
	v_and_b32_e32 v5, 1, v5
	v_cmp_lt_i64_e64 s[2:3], v[3:4], v[1:2]
	v_cmp_eq_u32_e64 s[0:1], 1, v5
	v_and_b32_e32 v5, 1, v6
	v_cmp_eq_u32_e64 s[8:9], 1, v5
	s_and_b64 s[0:1], s[0:1], s[2:3]
	v_cndmask_b32_e64 v5, v8, 1, s[8:9]
	v_cndmask_b32_e64 v8, v1, v3, s[0:1]
	;; [unrolled: 1-line block ×3, first 2 shown]
	v_and_b32_e32 v7, 0xffff, v6
	v_cndmask_b32_e32 v1, v1, v3, vcc
	v_mbcnt_lo_u32_b32 v3, -1, 0
	v_cndmask_b32_e64 v6, v2, v4, s[0:1]
	v_cndmask_b32_e32 v7, v7, v5, vcc
	v_mbcnt_hi_u32_b32 v5, -1, v3
	v_cndmask_b32_e64 v4, v4, v6, s[8:9]
	v_and_b32_e32 v6, 63, v5
	v_cndmask_b32_e32 v2, v2, v4, vcc
	v_cmp_ne_u32_e32 vcc, 63, v6
	v_addc_co_u32_e32 v3, vcc, 0, v5, vcc
	v_lshlrev_b32_e32 v4, 2, v3
	ds_bpermute_b32 v9, v4, v7
	ds_bpermute_b32 v3, v4, v1
	;; [unrolled: 1-line block ×3, first 2 shown]
	s_min_u32 s8, s10, 0x80
	v_and_b32_e32 v8, 64, v0
	v_sub_u32_e64 v8, s8, v8 clamp
	v_add_u32_e32 v10, 1, v6
	v_cmp_lt_u32_e32 vcc, v10, v8
	s_and_saveexec_b64 s[0:1], vcc
	s_cbranch_execz .LBB2247_244
; %bb.239:
	s_waitcnt lgkmcnt(2)
	v_and_b32_e32 v10, v9, v7
	v_cmp_ne_u32_e32 vcc, 0, v10
	s_and_saveexec_b64 s[2:3], vcc
	s_xor_b64 s[2:3], exec, s[2:3]
	s_cbranch_execz .LBB2247_241
; %bb.240:
	s_waitcnt lgkmcnt(0)
	v_cmp_lt_i64_e32 vcc, v[3:4], v[1:2]
                                        ; implicit-def: $vgpr7
                                        ; implicit-def: $vgpr9
	v_cndmask_b32_e32 v2, v2, v4, vcc
	v_cndmask_b32_e32 v1, v1, v3, vcc
                                        ; implicit-def: $vgpr3_vgpr4
.LBB2247_241:
	s_or_saveexec_b64 s[2:3], s[2:3]
	v_mov_b32_e32 v10, 1
	s_xor_b64 exec, exec, s[2:3]
	s_cbranch_execz .LBB2247_243
; %bb.242:
	v_and_b32_e32 v7, 1, v7
	v_cmp_eq_u32_e32 vcc, 1, v7
	s_waitcnt lgkmcnt(1)
	v_cndmask_b32_e32 v1, v3, v1, vcc
	v_and_b32_e32 v3, 0xff, v9
	s_waitcnt lgkmcnt(0)
	v_cndmask_b32_e32 v2, v4, v2, vcc
	v_cndmask_b32_e64 v10, v3, 1, vcc
.LBB2247_243:
	s_or_b64 exec, exec, s[2:3]
	v_mov_b32_e32 v7, v10
.LBB2247_244:
	s_or_b64 exec, exec, s[0:1]
	v_cmp_gt_u32_e32 vcc, 62, v6
	s_waitcnt lgkmcnt(1)
	v_cndmask_b32_e64 v3, 0, 2, vcc
	s_waitcnt lgkmcnt(0)
	v_add_lshl_u32 v4, v3, v5, 2
	ds_bpermute_b32 v9, v4, v7
	ds_bpermute_b32 v3, v4, v1
	ds_bpermute_b32 v4, v4, v2
	v_add_u32_e32 v10, 2, v6
	v_cmp_lt_u32_e32 vcc, v10, v8
	s_and_saveexec_b64 s[0:1], vcc
	s_cbranch_execz .LBB2247_250
; %bb.245:
	s_waitcnt lgkmcnt(2)
	v_and_b32_e32 v10, v7, v9
	v_and_b32_e32 v10, 1, v10
	v_cmp_eq_u32_e32 vcc, 1, v10
	s_and_saveexec_b64 s[2:3], vcc
	s_xor_b64 s[2:3], exec, s[2:3]
	s_cbranch_execz .LBB2247_247
; %bb.246:
	s_waitcnt lgkmcnt(0)
	v_cmp_lt_i64_e32 vcc, v[3:4], v[1:2]
                                        ; implicit-def: $vgpr7
                                        ; implicit-def: $vgpr9
	v_cndmask_b32_e32 v2, v2, v4, vcc
	v_cndmask_b32_e32 v1, v1, v3, vcc
                                        ; implicit-def: $vgpr3_vgpr4
.LBB2247_247:
	s_or_saveexec_b64 s[2:3], s[2:3]
	v_mov_b32_e32 v10, 1
	s_xor_b64 exec, exec, s[2:3]
	s_cbranch_execz .LBB2247_249
; %bb.248:
	v_and_b32_e32 v7, 1, v7
	v_cmp_eq_u32_e32 vcc, 1, v7
	s_waitcnt lgkmcnt(1)
	v_cndmask_b32_e32 v1, v3, v1, vcc
	v_and_b32_e32 v3, 0xff, v9
	s_waitcnt lgkmcnt(0)
	v_cndmask_b32_e32 v2, v4, v2, vcc
	v_cndmask_b32_e64 v10, v3, 1, vcc
.LBB2247_249:
	s_or_b64 exec, exec, s[2:3]
	v_mov_b32_e32 v7, v10
.LBB2247_250:
	s_or_b64 exec, exec, s[0:1]
	v_cmp_gt_u32_e32 vcc, 60, v6
	s_waitcnt lgkmcnt(1)
	v_cndmask_b32_e64 v3, 0, 4, vcc
	s_waitcnt lgkmcnt(0)
	v_add_lshl_u32 v4, v3, v5, 2
	ds_bpermute_b32 v9, v4, v7
	ds_bpermute_b32 v3, v4, v1
	ds_bpermute_b32 v4, v4, v2
	v_add_u32_e32 v10, 4, v6
	v_cmp_lt_u32_e32 vcc, v10, v8
	s_and_saveexec_b64 s[0:1], vcc
	s_cbranch_execz .LBB2247_256
; %bb.251:
	s_waitcnt lgkmcnt(2)
	v_and_b32_e32 v10, v7, v9
	v_and_b32_e32 v10, 1, v10
	v_cmp_eq_u32_e32 vcc, 1, v10
	s_and_saveexec_b64 s[2:3], vcc
	s_xor_b64 s[2:3], exec, s[2:3]
	s_cbranch_execz .LBB2247_253
; %bb.252:
	s_waitcnt lgkmcnt(0)
	v_cmp_lt_i64_e32 vcc, v[3:4], v[1:2]
                                        ; implicit-def: $vgpr7
                                        ; implicit-def: $vgpr9
	v_cndmask_b32_e32 v2, v2, v4, vcc
	v_cndmask_b32_e32 v1, v1, v3, vcc
                                        ; implicit-def: $vgpr3_vgpr4
.LBB2247_253:
	s_or_saveexec_b64 s[2:3], s[2:3]
	v_mov_b32_e32 v10, 1
	s_xor_b64 exec, exec, s[2:3]
	s_cbranch_execz .LBB2247_255
; %bb.254:
	v_and_b32_e32 v7, 1, v7
	v_cmp_eq_u32_e32 vcc, 1, v7
	s_waitcnt lgkmcnt(1)
	v_cndmask_b32_e32 v1, v3, v1, vcc
	v_and_b32_e32 v3, 0xff, v9
	s_waitcnt lgkmcnt(0)
	v_cndmask_b32_e32 v2, v4, v2, vcc
	v_cndmask_b32_e64 v10, v3, 1, vcc
.LBB2247_255:
	s_or_b64 exec, exec, s[2:3]
	v_mov_b32_e32 v7, v10
.LBB2247_256:
	;; [unrolled: 47-line block ×4, first 2 shown]
	s_or_b64 exec, exec, s[0:1]
	s_waitcnt lgkmcnt(2)
	v_lshlrev_b32_e32 v9, 2, v5
	s_waitcnt lgkmcnt(0)
	v_or_b32_e32 v4, 0x80, v9
	ds_bpermute_b32 v10, v4, v7
	ds_bpermute_b32 v3, v4, v1
	;; [unrolled: 1-line block ×3, first 2 shown]
	v_add_u32_e32 v6, 32, v6
	v_cmp_lt_u32_e32 vcc, v6, v8
	v_mov_b32_e32 v6, v7
	s_and_saveexec_b64 s[0:1], vcc
	s_cbranch_execz .LBB2247_274
; %bb.269:
	s_waitcnt lgkmcnt(2)
	v_and_b32_e32 v6, v7, v10
	v_and_b32_e32 v6, 1, v6
	v_cmp_eq_u32_e32 vcc, 1, v6
	s_and_saveexec_b64 s[2:3], vcc
	s_xor_b64 s[2:3], exec, s[2:3]
	s_cbranch_execz .LBB2247_271
; %bb.270:
	s_waitcnt lgkmcnt(0)
	v_cmp_lt_i64_e32 vcc, v[3:4], v[1:2]
                                        ; implicit-def: $vgpr7
                                        ; implicit-def: $vgpr10
	v_cndmask_b32_e32 v2, v2, v4, vcc
	v_cndmask_b32_e32 v1, v1, v3, vcc
                                        ; implicit-def: $vgpr3_vgpr4
.LBB2247_271:
	s_or_saveexec_b64 s[2:3], s[2:3]
	v_mov_b32_e32 v6, 1
	s_xor_b64 exec, exec, s[2:3]
	s_cbranch_execz .LBB2247_273
; %bb.272:
	v_and_b32_e32 v6, 1, v7
	v_cmp_eq_u32_e32 vcc, 1, v6
	v_cndmask_b32_e64 v6, v10, 1, vcc
	s_waitcnt lgkmcnt(0)
	v_cndmask_b32_e32 v2, v4, v2, vcc
	v_cndmask_b32_e32 v1, v3, v1, vcc
.LBB2247_273:
	s_or_b64 exec, exec, s[2:3]
	v_and_b32_e32 v7, 0xff, v6
.LBB2247_274:
	s_or_b64 exec, exec, s[0:1]
	v_cmp_eq_u32_e32 vcc, 0, v5
	s_and_saveexec_b64 s[0:1], vcc
	s_cbranch_execz .LBB2247_276
; %bb.275:
	s_waitcnt lgkmcnt(1)
	v_lshrrev_b32_e32 v3, 2, v0
	v_and_b32_e32 v3, 16, v3
	ds_write_b8 v3, v6 offset:128
	ds_write_b64 v3, v[1:2] offset:136
.LBB2247_276:
	s_or_b64 exec, exec, s[0:1]
	v_cmp_gt_u32_e32 vcc, 2, v0
	s_waitcnt lgkmcnt(0)
	s_barrier
	s_and_saveexec_b64 s[0:1], vcc
	s_cbranch_execz .LBB2247_284
; %bb.277:
	v_lshlrev_b32_e32 v1, 4, v5
	ds_read_u8 v6, v1 offset:128
	ds_read_b64 v[1:2], v1 offset:136
	v_or_b32_e32 v4, 4, v9
	s_add_i32 s8, s8, 63
	v_and_b32_e32 v5, 1, v5
	s_waitcnt lgkmcnt(1)
	v_and_b32_e32 v7, 0xff, v6
	s_waitcnt lgkmcnt(0)
	ds_bpermute_b32 v3, v4, v1
	ds_bpermute_b32 v8, v4, v7
	;; [unrolled: 1-line block ×3, first 2 shown]
	s_lshr_b32 s2, s8, 6
	v_add_u32_e32 v5, 1, v5
	v_cmp_gt_u32_e32 vcc, s2, v5
	s_and_saveexec_b64 s[2:3], vcc
	s_cbranch_execz .LBB2247_283
; %bb.278:
	s_waitcnt lgkmcnt(1)
	v_and_b32_e32 v5, v7, v8
	v_and_b32_e32 v5, 1, v5
	v_cmp_eq_u32_e32 vcc, 1, v5
	s_and_saveexec_b64 s[8:9], vcc
	s_xor_b64 s[8:9], exec, s[8:9]
	s_cbranch_execz .LBB2247_280
; %bb.279:
	s_waitcnt lgkmcnt(0)
	v_cmp_lt_i64_e32 vcc, v[3:4], v[1:2]
                                        ; implicit-def: $vgpr6
                                        ; implicit-def: $vgpr8
	v_cndmask_b32_e32 v2, v2, v4, vcc
	v_cndmask_b32_e32 v1, v1, v3, vcc
                                        ; implicit-def: $vgpr3_vgpr4
.LBB2247_280:
	s_or_saveexec_b64 s[8:9], s[8:9]
	v_mov_b32_e32 v7, 1
	s_xor_b64 exec, exec, s[8:9]
	s_cbranch_execz .LBB2247_282
; %bb.281:
	v_and_b32_e32 v5, 1, v6
	v_cmp_eq_u32_e32 vcc, 1, v5
	s_waitcnt lgkmcnt(0)
	v_cndmask_b32_e32 v2, v4, v2, vcc
	v_cndmask_b32_e32 v1, v3, v1, vcc
	v_cndmask_b32_e64 v7, v8, 1, vcc
.LBB2247_282:
	s_or_b64 exec, exec, s[8:9]
.LBB2247_283:
	s_or_b64 exec, exec, s[2:3]
.LBB2247_284:
	s_or_b64 exec, exec, s[0:1]
.LBB2247_285:
	v_cmp_eq_u32_e32 vcc, 0, v0
                                        ; implicit-def: $vgpr3_vgpr4
                                        ; implicit-def: $vgpr5
	s_and_saveexec_b64 s[0:1], vcc
	s_xor_b64 s[8:9], exec, s[0:1]
	s_cbranch_execz .LBB2247_289
; %bb.286:
	s_waitcnt lgkmcnt(0)
	v_mov_b32_e32 v3, s18
	s_cmp_eq_u64 s[22:23], 0
	v_mov_b32_e32 v4, s19
	v_mov_b32_e32 v5, s33
	s_cbranch_scc1 .LBB2247_288
; %bb.287:
	v_and_b32_e32 v3, 1, v7
	v_cmp_gt_i64_e64 s[0:1], s[18:19], v[1:2]
	s_bitcmp1_b32 s33, 0
	v_cmp_eq_u32_e32 vcc, 1, v3
	s_cselect_b64 s[2:3], -1, 0
	v_mov_b32_e32 v3, s18
	s_and_b64 vcc, vcc, s[0:1]
	v_mov_b32_e32 v4, s19
	v_cndmask_b32_e32 v3, v3, v1, vcc
	v_cndmask_b32_e32 v4, v4, v2, vcc
	v_cndmask_b32_e64 v5, v7, 1, s[2:3]
	v_cndmask_b32_e64 v4, v2, v4, s[2:3]
	;; [unrolled: 1-line block ×3, first 2 shown]
.LBB2247_288:
	s_or_b64 s[14:15], s[14:15], exec
.LBB2247_289:
	s_or_b64 exec, exec, s[8:9]
	v_mov_b32_e32 v1, s6
	v_mov_b32_e32 v2, s7
	s_branch .LBB2247_306
.LBB2247_290:
	s_cmp_eq_u32 s35, 1
	s_cbranch_scc0 .LBB2247_305
; %bb.291:
	s_mov_b32 s9, 0
	s_lshl_b32 s8, s6, 7
	s_mov_b32 s7, s9
	s_lshr_b64 s[0:1], s[22:23], 7
	s_cmp_lg_u64 s[0:1], s[6:7]
	s_cbranch_scc0 .LBB2247_309
; %bb.292:
	s_lshl_b64 s[0:1], s[8:9], 1
	s_add_u32 s0, s24, s0
	s_addc_u32 s1, s25, s1
	v_lshlrev_b32_e32 v1, 1, v0
	s_waitcnt lgkmcnt(1)
	global_load_ushort v5, v1, s[0:1]
	s_add_u32 s0, s20, s8
	s_addc_u32 s1, s21, 0
	v_mov_b32_e32 v2, s1
	v_add_co_u32_e32 v1, vcc, s0, v0
	v_addc_co_u32_e32 v2, vcc, 0, v2, vcc
	s_nop 0
	v_mov_b32_dpp v3, v1 quad_perm:[1,0,3,2] row_mask:0xf bank_mask:0xf bound_ctrl:1
	s_waitcnt lgkmcnt(0)
	v_mov_b32_dpp v4, v2 quad_perm:[1,0,3,2] row_mask:0xf bank_mask:0xf bound_ctrl:1
	v_cmp_lt_i64_e32 vcc, v[1:2], v[3:4]
                                        ; implicit-def: $vgpr7
	s_waitcnt vmcnt(0)
	v_cmp_eq_f16_e64 s[0:1], s34, v5
	v_cndmask_b32_e64 v5, 0, 1, s[0:1]
	s_and_b64 vcc, s[0:1], vcc
	v_cndmask_b32_e32 v3, v3, v1, vcc
	v_mov_b32_dpp v5, v5 quad_perm:[1,0,3,2] row_mask:0xf bank_mask:0xf bound_ctrl:1
	v_and_b32_e32 v5, 1, v5
	v_cndmask_b32_e32 v4, v4, v2, vcc
	v_cmp_eq_u32_e32 vcc, 1, v5
	s_or_b64 s[0:1], vcc, s[0:1]
	v_cndmask_b32_e32 v3, v1, v3, vcc
	v_cndmask_b32_e64 v1, 0, 1, s[0:1]
	v_cndmask_b32_e32 v4, v2, v4, vcc
	v_mov_b32_dpp v5, v3 quad_perm:[2,3,0,1] row_mask:0xf bank_mask:0xf bound_ctrl:1
	v_mov_b32_dpp v1, v1 quad_perm:[2,3,0,1] row_mask:0xf bank_mask:0xf bound_ctrl:1
	v_and_b32_e32 v1, 1, v1
	v_cmp_eq_u32_e32 vcc, 1, v1
	s_and_b64 s[2:3], vcc, s[0:1]
	v_mov_b32_dpp v6, v4 quad_perm:[2,3,0,1] row_mask:0xf bank_mask:0xf bound_ctrl:1
	s_xor_b64 s[2:3], s[2:3], -1
                                        ; implicit-def: $vgpr1_vgpr2
	s_and_saveexec_b64 s[10:11], s[2:3]
	s_xor_b64 s[2:3], exec, s[10:11]
; %bb.293:
	s_or_b64 s[0:1], vcc, s[0:1]
	v_cndmask_b32_e32 v2, v4, v6, vcc
	v_cndmask_b32_e32 v1, v3, v5, vcc
	v_cndmask_b32_e64 v7, 0, 1, s[0:1]
                                        ; implicit-def: $vgpr3_vgpr4
                                        ; implicit-def: $vgpr5_vgpr6
; %bb.294:
	s_andn2_saveexec_b64 s[0:1], s[2:3]
; %bb.295:
	v_cmp_lt_i64_e32 vcc, v[3:4], v[5:6]
	v_mov_b32_e32 v7, 1
	v_cndmask_b32_e32 v2, v6, v4, vcc
	v_cndmask_b32_e32 v1, v5, v3, vcc
; %bb.296:
	s_or_b64 exec, exec, s[0:1]
	s_nop 0
	v_mov_b32_dpp v4, v1 row_ror:4 row_mask:0xf bank_mask:0xf bound_ctrl:1
	v_mov_b32_dpp v5, v2 row_ror:4 row_mask:0xf bank_mask:0xf bound_ctrl:1
	v_and_b32_e32 v8, 1, v7
	v_cmp_lt_i64_e64 s[0:1], v[1:2], v[4:5]
	v_mov_b32_dpp v6, v7 row_ror:4 row_mask:0xf bank_mask:0xf bound_ctrl:1
	v_cmp_eq_u32_e32 vcc, 1, v8
	v_and_b32_e32 v6, 1, v6
	s_and_b64 vcc, vcc, s[0:1]
	v_cmp_eq_u32_e64 s[2:3], 1, v6
	v_cndmask_b32_e32 v4, v4, v1, vcc
	v_cndmask_b32_e32 v5, v5, v2, vcc
	v_cndmask_b32_e64 v2, v2, v5, s[2:3]
	v_cndmask_b32_e64 v1, v1, v4, s[2:3]
	;; [unrolled: 1-line block ×3, first 2 shown]
	v_mov_b32_dpp v5, v2 row_ror:8 row_mask:0xf bank_mask:0xf bound_ctrl:1
	v_mov_b32_dpp v4, v1 row_ror:8 row_mask:0xf bank_mask:0xf bound_ctrl:1
	v_and_b32_e32 v8, 1, v6
	v_cmp_lt_i64_e64 s[0:1], v[1:2], v[4:5]
	v_mov_b32_dpp v7, v6 row_ror:8 row_mask:0xf bank_mask:0xf bound_ctrl:1
	v_cmp_eq_u32_e32 vcc, 1, v8
	v_and_b32_e32 v7, 1, v7
	s_and_b64 vcc, vcc, s[0:1]
	v_cmp_eq_u32_e64 s[2:3], 1, v7
	v_cndmask_b32_e32 v4, v4, v1, vcc
	v_cndmask_b32_e32 v5, v5, v2, vcc
	v_cndmask_b32_e64 v2, v2, v5, s[2:3]
	v_cndmask_b32_e64 v1, v1, v4, s[2:3]
	;; [unrolled: 1-line block ×3, first 2 shown]
	v_mov_b32_dpp v5, v2 row_bcast:15 row_mask:0xf bank_mask:0xf bound_ctrl:1
	v_mov_b32_dpp v4, v1 row_bcast:15 row_mask:0xf bank_mask:0xf bound_ctrl:1
	v_and_b32_e32 v8, 1, v6
	v_cmp_lt_i64_e64 s[0:1], v[1:2], v[4:5]
	v_mov_b32_dpp v7, v6 row_bcast:15 row_mask:0xf bank_mask:0xf bound_ctrl:1
	v_cmp_eq_u32_e32 vcc, 1, v8
	v_and_b32_e32 v7, 1, v7
	s_and_b64 vcc, vcc, s[0:1]
	v_cmp_eq_u32_e64 s[2:3], 1, v7
	v_cndmask_b32_e32 v4, v4, v1, vcc
	v_cndmask_b32_e32 v5, v5, v2, vcc
	v_cndmask_b32_e64 v2, v2, v5, s[2:3]
	v_cndmask_b32_e64 v1, v1, v4, s[2:3]
	;; [unrolled: 1-line block ×3, first 2 shown]
	v_mov_b32_dpp v5, v2 row_bcast:31 row_mask:0xf bank_mask:0xf bound_ctrl:1
	v_mov_b32_dpp v4, v1 row_bcast:31 row_mask:0xf bank_mask:0xf bound_ctrl:1
	v_and_b32_e32 v8, 1, v6
	v_cmp_lt_i64_e64 s[0:1], v[1:2], v[4:5]
	v_mov_b32_dpp v7, v6 row_bcast:31 row_mask:0xf bank_mask:0xf bound_ctrl:1
	v_cmp_eq_u32_e32 vcc, 1, v8
	v_mbcnt_lo_u32_b32 v3, -1, 0
	v_and_b32_e32 v7, 1, v7
	s_and_b64 vcc, vcc, s[0:1]
	v_mbcnt_hi_u32_b32 v3, -1, v3
	v_cmp_eq_u32_e64 s[2:3], 1, v7
	v_cndmask_b32_e32 v5, v5, v2, vcc
	v_cndmask_b32_e32 v4, v4, v1, vcc
	v_cndmask_b32_e64 v2, v2, v5, s[2:3]
	v_lshlrev_b32_e32 v5, 2, v3
	v_cndmask_b32_e64 v6, v6, 1, s[2:3]
	v_cndmask_b32_e64 v1, v1, v4, s[2:3]
	v_or_b32_e32 v4, 0xfc, v5
	ds_bpermute_b32 v7, v4, v6
	ds_bpermute_b32 v1, v4, v1
	;; [unrolled: 1-line block ×3, first 2 shown]
	v_cmp_eq_u32_e32 vcc, 0, v3
	s_and_saveexec_b64 s[0:1], vcc
	s_cbranch_execz .LBB2247_298
; %bb.297:
	v_lshrrev_b32_e32 v4, 2, v0
	v_and_b32_e32 v4, 16, v4
	s_waitcnt lgkmcnt(2)
	ds_write_b8 v4, v7
	s_waitcnt lgkmcnt(1)
	ds_write_b64 v4, v[1:2] offset:8
.LBB2247_298:
	s_or_b64 exec, exec, s[0:1]
	v_cmp_gt_u32_e32 vcc, 64, v0
	s_waitcnt lgkmcnt(0)
	s_barrier
	s_and_saveexec_b64 s[0:1], vcc
	s_cbranch_execz .LBB2247_304
; %bb.299:
	v_and_b32_e32 v1, 1, v3
	v_lshlrev_b32_e32 v1, 4, v1
	ds_read_u8 v8, v1
	ds_read_b64 v[3:4], v1 offset:8
	v_or_b32_e32 v2, 4, v5
	s_waitcnt lgkmcnt(1)
	v_and_b32_e32 v1, 0xff, v8
	ds_bpermute_b32 v9, v2, v1
	s_waitcnt lgkmcnt(1)
	ds_bpermute_b32 v5, v2, v3
	ds_bpermute_b32 v6, v2, v4
	s_waitcnt lgkmcnt(2)
	v_and_b32_e32 v1, v8, v9
	v_and_b32_e32 v1, 1, v1
	v_cmp_eq_u32_e32 vcc, 1, v1
                                        ; implicit-def: $vgpr1_vgpr2
	s_and_saveexec_b64 s[2:3], vcc
	s_xor_b64 s[2:3], exec, s[2:3]
	s_cbranch_execz .LBB2247_301
; %bb.300:
	s_waitcnt lgkmcnt(0)
	v_cmp_lt_i64_e32 vcc, v[5:6], v[3:4]
                                        ; implicit-def: $vgpr8
                                        ; implicit-def: $vgpr9
	v_cndmask_b32_e32 v2, v4, v6, vcc
	v_cndmask_b32_e32 v1, v3, v5, vcc
                                        ; implicit-def: $vgpr5_vgpr6
                                        ; implicit-def: $vgpr3_vgpr4
.LBB2247_301:
	s_or_saveexec_b64 s[2:3], s[2:3]
	v_mov_b32_e32 v7, 1
	s_xor_b64 exec, exec, s[2:3]
	s_cbranch_execz .LBB2247_303
; %bb.302:
	v_and_b32_e32 v1, 1, v8
	v_cmp_eq_u32_e32 vcc, 1, v1
	s_waitcnt lgkmcnt(0)
	v_cndmask_b32_e32 v2, v6, v4, vcc
	v_cndmask_b32_e32 v1, v5, v3, vcc
	v_cndmask_b32_e64 v7, v9, 1, vcc
.LBB2247_303:
	s_or_b64 exec, exec, s[2:3]
.LBB2247_304:
	s_or_b64 exec, exec, s[0:1]
	s_branch .LBB2247_359
.LBB2247_305:
                                        ; implicit-def: $vgpr3_vgpr4
                                        ; implicit-def: $vgpr5
                                        ; implicit-def: $vgpr1_vgpr2
.LBB2247_306:
	s_and_saveexec_b64 s[0:1], s[14:15]
	s_cbranch_execz .LBB2247_308
.LBB2247_307:
	s_load_dwordx2 s[0:1], s[4:5], 0x28
	v_lshlrev_b64 v[0:1], 4, v[1:2]
	s_waitcnt lgkmcnt(0)
	v_mov_b32_e32 v2, s1
	v_add_co_u32_e32 v0, vcc, s0, v0
	v_addc_co_u32_e32 v1, vcc, v2, v1, vcc
	global_store_byte v[0:1], v5, off
	global_store_dwordx2 v[0:1], v[3:4], off offset:8
.LBB2247_308:
	s_endpgm
.LBB2247_309:
                                        ; implicit-def: $vgpr1_vgpr2
                                        ; implicit-def: $vgpr7
	s_cbranch_execz .LBB2247_359
; %bb.310:
	s_sub_i32 s2, s22, s8
	v_mov_b32_e32 v1, 0
	v_cmp_gt_u32_e32 vcc, s2, v0
	v_mov_b32_e32 v2, 0
	v_mov_b32_e32 v9, 0
	s_and_saveexec_b64 s[0:1], vcc
	s_cbranch_execz .LBB2247_312
; %bb.311:
	s_lshl_b64 s[10:11], s[8:9], 1
	s_add_u32 s10, s24, s10
	s_addc_u32 s11, s25, s11
	v_lshlrev_b32_e32 v1, 1, v0
	s_waitcnt lgkmcnt(2)
	global_load_ushort v3, v1, s[10:11]
	s_add_u32 s3, s20, s8
	s_addc_u32 s8, s21, 0
	v_mov_b32_e32 v2, s8
	v_add_co_u32_e32 v1, vcc, s3, v0
	v_addc_co_u32_e32 v2, vcc, 0, v2, vcc
	s_waitcnt vmcnt(0)
	v_cmp_eq_f16_e32 vcc, s34, v3
	v_cndmask_b32_e64 v9, 0, 1, vcc
.LBB2247_312:
	s_or_b64 exec, exec, s[0:1]
	s_waitcnt lgkmcnt(2)
	v_mbcnt_lo_u32_b32 v3, -1, 0
	s_waitcnt lgkmcnt(1)
	v_mbcnt_hi_u32_b32 v5, -1, v3
	s_waitcnt lgkmcnt(0)
	v_and_b32_e32 v6, 63, v5
	v_cmp_ne_u32_e32 vcc, 63, v6
	v_addc_co_u32_e32 v3, vcc, 0, v5, vcc
	v_and_b32_e32 v7, 0xffff, v9
	v_lshlrev_b32_e32 v4, 2, v3
	ds_bpermute_b32 v10, v4, v7
	ds_bpermute_b32 v3, v4, v1
	;; [unrolled: 1-line block ×3, first 2 shown]
	s_min_u32 s8, s2, 0x80
	v_and_b32_e32 v8, 64, v0
	v_sub_u32_e64 v8, s8, v8 clamp
	v_add_u32_e32 v11, 1, v6
	v_cmp_lt_u32_e32 vcc, v11, v8
	s_and_saveexec_b64 s[0:1], vcc
	s_cbranch_execz .LBB2247_318
; %bb.313:
	s_waitcnt lgkmcnt(2)
	v_and_b32_e32 v7, v10, v7
	v_and_b32_e32 v7, 1, v7
	v_cmp_eq_u32_e32 vcc, 1, v7
	s_and_saveexec_b64 s[2:3], vcc
	s_xor_b64 s[2:3], exec, s[2:3]
	s_cbranch_execz .LBB2247_315
; %bb.314:
	s_waitcnt lgkmcnt(0)
	v_cmp_lt_i64_e32 vcc, v[3:4], v[1:2]
                                        ; implicit-def: $vgpr9
                                        ; implicit-def: $vgpr10
	v_cndmask_b32_e32 v2, v2, v4, vcc
	v_cndmask_b32_e32 v1, v1, v3, vcc
                                        ; implicit-def: $vgpr3_vgpr4
.LBB2247_315:
	s_or_saveexec_b64 s[2:3], s[2:3]
	v_mov_b32_e32 v7, 1
	s_xor_b64 exec, exec, s[2:3]
	s_cbranch_execz .LBB2247_317
; %bb.316:
	v_and_b32_e32 v7, 1, v9
	v_cmp_eq_u32_e32 vcc, 1, v7
	s_waitcnt lgkmcnt(1)
	v_cndmask_b32_e32 v1, v3, v1, vcc
	v_and_b32_e32 v3, 0xff, v10
	s_waitcnt lgkmcnt(0)
	v_cndmask_b32_e32 v2, v4, v2, vcc
	v_cndmask_b32_e64 v7, v3, 1, vcc
.LBB2247_317:
	s_or_b64 exec, exec, s[2:3]
.LBB2247_318:
	s_or_b64 exec, exec, s[0:1]
	v_cmp_gt_u32_e32 vcc, 62, v6
	s_waitcnt lgkmcnt(1)
	v_cndmask_b32_e64 v3, 0, 2, vcc
	s_waitcnt lgkmcnt(0)
	v_add_lshl_u32 v4, v3, v5, 2
	ds_bpermute_b32 v9, v4, v7
	ds_bpermute_b32 v3, v4, v1
	ds_bpermute_b32 v4, v4, v2
	v_add_u32_e32 v10, 2, v6
	v_cmp_lt_u32_e32 vcc, v10, v8
	s_and_saveexec_b64 s[0:1], vcc
	s_cbranch_execz .LBB2247_324
; %bb.319:
	s_waitcnt lgkmcnt(2)
	v_and_b32_e32 v10, v7, v9
	v_and_b32_e32 v10, 1, v10
	v_cmp_eq_u32_e32 vcc, 1, v10
	s_and_saveexec_b64 s[2:3], vcc
	s_xor_b64 s[2:3], exec, s[2:3]
	s_cbranch_execz .LBB2247_321
; %bb.320:
	s_waitcnt lgkmcnt(0)
	v_cmp_lt_i64_e32 vcc, v[3:4], v[1:2]
                                        ; implicit-def: $vgpr7
                                        ; implicit-def: $vgpr9
	v_cndmask_b32_e32 v2, v2, v4, vcc
	v_cndmask_b32_e32 v1, v1, v3, vcc
                                        ; implicit-def: $vgpr3_vgpr4
.LBB2247_321:
	s_or_saveexec_b64 s[2:3], s[2:3]
	v_mov_b32_e32 v10, 1
	s_xor_b64 exec, exec, s[2:3]
	s_cbranch_execz .LBB2247_323
; %bb.322:
	v_and_b32_e32 v7, 1, v7
	v_cmp_eq_u32_e32 vcc, 1, v7
	s_waitcnt lgkmcnt(1)
	v_cndmask_b32_e32 v1, v3, v1, vcc
	v_and_b32_e32 v3, 0xff, v9
	s_waitcnt lgkmcnt(0)
	v_cndmask_b32_e32 v2, v4, v2, vcc
	v_cndmask_b32_e64 v10, v3, 1, vcc
.LBB2247_323:
	s_or_b64 exec, exec, s[2:3]
	v_mov_b32_e32 v7, v10
.LBB2247_324:
	s_or_b64 exec, exec, s[0:1]
	v_cmp_gt_u32_e32 vcc, 60, v6
	s_waitcnt lgkmcnt(1)
	v_cndmask_b32_e64 v3, 0, 4, vcc
	s_waitcnt lgkmcnt(0)
	v_add_lshl_u32 v4, v3, v5, 2
	ds_bpermute_b32 v9, v4, v7
	ds_bpermute_b32 v3, v4, v1
	ds_bpermute_b32 v4, v4, v2
	v_add_u32_e32 v10, 4, v6
	v_cmp_lt_u32_e32 vcc, v10, v8
	s_and_saveexec_b64 s[0:1], vcc
	s_cbranch_execz .LBB2247_330
; %bb.325:
	s_waitcnt lgkmcnt(2)
	v_and_b32_e32 v10, v7, v9
	v_and_b32_e32 v10, 1, v10
	v_cmp_eq_u32_e32 vcc, 1, v10
	s_and_saveexec_b64 s[2:3], vcc
	s_xor_b64 s[2:3], exec, s[2:3]
	s_cbranch_execz .LBB2247_327
; %bb.326:
	s_waitcnt lgkmcnt(0)
	v_cmp_lt_i64_e32 vcc, v[3:4], v[1:2]
                                        ; implicit-def: $vgpr7
                                        ; implicit-def: $vgpr9
	v_cndmask_b32_e32 v2, v2, v4, vcc
	v_cndmask_b32_e32 v1, v1, v3, vcc
                                        ; implicit-def: $vgpr3_vgpr4
.LBB2247_327:
	s_or_saveexec_b64 s[2:3], s[2:3]
	v_mov_b32_e32 v10, 1
	s_xor_b64 exec, exec, s[2:3]
	s_cbranch_execz .LBB2247_329
; %bb.328:
	v_and_b32_e32 v7, 1, v7
	v_cmp_eq_u32_e32 vcc, 1, v7
	s_waitcnt lgkmcnt(1)
	v_cndmask_b32_e32 v1, v3, v1, vcc
	v_and_b32_e32 v3, 0xff, v9
	s_waitcnt lgkmcnt(0)
	v_cndmask_b32_e32 v2, v4, v2, vcc
	v_cndmask_b32_e64 v10, v3, 1, vcc
.LBB2247_329:
	s_or_b64 exec, exec, s[2:3]
	v_mov_b32_e32 v7, v10
.LBB2247_330:
	;; [unrolled: 47-line block ×4, first 2 shown]
	s_or_b64 exec, exec, s[0:1]
	s_waitcnt lgkmcnt(2)
	v_lshlrev_b32_e32 v9, 2, v5
	s_waitcnt lgkmcnt(0)
	v_or_b32_e32 v4, 0x80, v9
	ds_bpermute_b32 v10, v4, v7
	ds_bpermute_b32 v3, v4, v1
	;; [unrolled: 1-line block ×3, first 2 shown]
	v_add_u32_e32 v6, 32, v6
	v_cmp_lt_u32_e32 vcc, v6, v8
	v_mov_b32_e32 v6, v7
	s_and_saveexec_b64 s[0:1], vcc
	s_cbranch_execz .LBB2247_348
; %bb.343:
	s_waitcnt lgkmcnt(2)
	v_and_b32_e32 v6, v7, v10
	v_and_b32_e32 v6, 1, v6
	v_cmp_eq_u32_e32 vcc, 1, v6
	s_and_saveexec_b64 s[2:3], vcc
	s_xor_b64 s[2:3], exec, s[2:3]
	s_cbranch_execz .LBB2247_345
; %bb.344:
	s_waitcnt lgkmcnt(0)
	v_cmp_lt_i64_e32 vcc, v[3:4], v[1:2]
                                        ; implicit-def: $vgpr7
                                        ; implicit-def: $vgpr10
	v_cndmask_b32_e32 v2, v2, v4, vcc
	v_cndmask_b32_e32 v1, v1, v3, vcc
                                        ; implicit-def: $vgpr3_vgpr4
.LBB2247_345:
	s_or_saveexec_b64 s[2:3], s[2:3]
	v_mov_b32_e32 v6, 1
	s_xor_b64 exec, exec, s[2:3]
	s_cbranch_execz .LBB2247_347
; %bb.346:
	v_and_b32_e32 v6, 1, v7
	v_cmp_eq_u32_e32 vcc, 1, v6
	v_cndmask_b32_e64 v6, v10, 1, vcc
	s_waitcnt lgkmcnt(0)
	v_cndmask_b32_e32 v2, v4, v2, vcc
	v_cndmask_b32_e32 v1, v3, v1, vcc
.LBB2247_347:
	s_or_b64 exec, exec, s[2:3]
	v_and_b32_e32 v7, 0xff, v6
.LBB2247_348:
	s_or_b64 exec, exec, s[0:1]
	v_cmp_eq_u32_e32 vcc, 0, v5
	s_and_saveexec_b64 s[0:1], vcc
	s_cbranch_execz .LBB2247_350
; %bb.349:
	s_waitcnt lgkmcnt(1)
	v_lshrrev_b32_e32 v3, 2, v0
	v_and_b32_e32 v3, 16, v3
	ds_write_b8 v3, v6 offset:128
	ds_write_b64 v3, v[1:2] offset:136
.LBB2247_350:
	s_or_b64 exec, exec, s[0:1]
	v_cmp_gt_u32_e32 vcc, 2, v0
	s_waitcnt lgkmcnt(0)
	s_barrier
	s_and_saveexec_b64 s[0:1], vcc
	s_cbranch_execz .LBB2247_358
; %bb.351:
	v_lshlrev_b32_e32 v1, 4, v5
	ds_read_u8 v6, v1 offset:128
	ds_read_b64 v[1:2], v1 offset:136
	v_or_b32_e32 v4, 4, v9
	s_add_i32 s8, s8, 63
	v_and_b32_e32 v5, 1, v5
	s_waitcnt lgkmcnt(1)
	v_and_b32_e32 v7, 0xff, v6
	s_waitcnt lgkmcnt(0)
	ds_bpermute_b32 v3, v4, v1
	ds_bpermute_b32 v8, v4, v7
	;; [unrolled: 1-line block ×3, first 2 shown]
	s_lshr_b32 s2, s8, 6
	v_add_u32_e32 v5, 1, v5
	v_cmp_gt_u32_e32 vcc, s2, v5
	s_and_saveexec_b64 s[2:3], vcc
	s_cbranch_execz .LBB2247_357
; %bb.352:
	s_waitcnt lgkmcnt(1)
	v_and_b32_e32 v5, v7, v8
	v_and_b32_e32 v5, 1, v5
	v_cmp_eq_u32_e32 vcc, 1, v5
	s_and_saveexec_b64 s[8:9], vcc
	s_xor_b64 s[8:9], exec, s[8:9]
	s_cbranch_execz .LBB2247_354
; %bb.353:
	s_waitcnt lgkmcnt(0)
	v_cmp_lt_i64_e32 vcc, v[3:4], v[1:2]
                                        ; implicit-def: $vgpr6
                                        ; implicit-def: $vgpr8
	v_cndmask_b32_e32 v2, v2, v4, vcc
	v_cndmask_b32_e32 v1, v1, v3, vcc
                                        ; implicit-def: $vgpr3_vgpr4
.LBB2247_354:
	s_or_saveexec_b64 s[8:9], s[8:9]
	v_mov_b32_e32 v7, 1
	s_xor_b64 exec, exec, s[8:9]
	s_cbranch_execz .LBB2247_356
; %bb.355:
	v_and_b32_e32 v5, 1, v6
	v_cmp_eq_u32_e32 vcc, 1, v5
	s_waitcnt lgkmcnt(0)
	v_cndmask_b32_e32 v2, v4, v2, vcc
	v_cndmask_b32_e32 v1, v3, v1, vcc
	v_cndmask_b32_e64 v7, v8, 1, vcc
.LBB2247_356:
	s_or_b64 exec, exec, s[8:9]
.LBB2247_357:
	s_or_b64 exec, exec, s[2:3]
.LBB2247_358:
	s_or_b64 exec, exec, s[0:1]
.LBB2247_359:
	v_cmp_eq_u32_e32 vcc, 0, v0
                                        ; implicit-def: $vgpr3_vgpr4
                                        ; implicit-def: $vgpr5
	s_and_saveexec_b64 s[8:9], vcc
	s_cbranch_execz .LBB2247_363
; %bb.360:
	s_waitcnt lgkmcnt(0)
	v_mov_b32_e32 v3, s18
	s_cmp_eq_u64 s[22:23], 0
	v_mov_b32_e32 v4, s19
	v_mov_b32_e32 v5, s33
	s_cbranch_scc1 .LBB2247_362
; %bb.361:
	v_and_b32_e32 v0, 1, v7
	v_cmp_gt_i64_e64 s[0:1], s[18:19], v[1:2]
	s_bitcmp1_b32 s33, 0
	v_cmp_eq_u32_e32 vcc, 1, v0
	s_cselect_b64 s[2:3], -1, 0
	v_mov_b32_e32 v0, s18
	s_and_b64 vcc, vcc, s[0:1]
	v_mov_b32_e32 v3, s19
	v_cndmask_b32_e32 v0, v0, v1, vcc
	v_cndmask_b32_e32 v3, v3, v2, vcc
	v_cndmask_b32_e64 v5, v7, 1, s[2:3]
	v_cndmask_b32_e64 v4, v2, v3, s[2:3]
	;; [unrolled: 1-line block ×3, first 2 shown]
.LBB2247_362:
	s_or_b64 s[14:15], s[14:15], exec
.LBB2247_363:
	s_or_b64 exec, exec, s[8:9]
	v_mov_b32_e32 v1, s6
	v_mov_b32_e32 v2, s7
	s_and_saveexec_b64 s[0:1], s[14:15]
	s_cbranch_execnz .LBB2247_307
	s_branch .LBB2247_308
	.section	.rodata,"a",@progbits
	.p2align	6, 0x0
	.amdhsa_kernel _ZN7rocprim17ROCPRIM_400000_NS6detail17trampoline_kernelINS0_14default_configENS1_22reduce_config_selectorIN6thrust23THRUST_200600_302600_NS5tupleIblNS6_9null_typeES8_S8_S8_S8_S8_S8_S8_EEEEZNS1_11reduce_implILb1ES3_NS6_12zip_iteratorINS7_INS6_11hip_rocprim26transform_input_iterator_tIbPN3c104HalfENS6_6detail10functional5actorINSJ_9compositeIJNSJ_27transparent_binary_operatorINS6_8equal_toIvEEEENSK_INSJ_8argumentILj0EEEEENSJ_5valueISG_EEEEEEEEENSD_19counting_iterator_tIlEES8_S8_S8_S8_S8_S8_S8_S8_EEEEPS9_S9_NSD_9__find_if7functorIS9_EEEE10hipError_tPvRmT1_T2_T3_mT4_P12ihipStream_tbEUlT_E1_NS1_11comp_targetILNS1_3genE2ELNS1_11target_archE906ELNS1_3gpuE6ELNS1_3repE0EEENS1_30default_config_static_selectorELNS0_4arch9wavefront6targetE1EEEvS19_
		.amdhsa_group_segment_fixed_size 160
		.amdhsa_private_segment_fixed_size 0
		.amdhsa_kernarg_size 72
		.amdhsa_user_sgpr_count 6
		.amdhsa_user_sgpr_private_segment_buffer 1
		.amdhsa_user_sgpr_dispatch_ptr 0
		.amdhsa_user_sgpr_queue_ptr 0
		.amdhsa_user_sgpr_kernarg_segment_ptr 1
		.amdhsa_user_sgpr_dispatch_id 0
		.amdhsa_user_sgpr_flat_scratch_init 0
		.amdhsa_user_sgpr_private_segment_size 0
		.amdhsa_uses_dynamic_stack 0
		.amdhsa_system_sgpr_private_segment_wavefront_offset 0
		.amdhsa_system_sgpr_workgroup_id_x 1
		.amdhsa_system_sgpr_workgroup_id_y 0
		.amdhsa_system_sgpr_workgroup_id_z 0
		.amdhsa_system_sgpr_workgroup_info 0
		.amdhsa_system_vgpr_workitem_id 0
		.amdhsa_next_free_vgpr 26
		.amdhsa_next_free_sgpr 39
		.amdhsa_reserve_vcc 1
		.amdhsa_reserve_flat_scratch 0
		.amdhsa_float_round_mode_32 0
		.amdhsa_float_round_mode_16_64 0
		.amdhsa_float_denorm_mode_32 3
		.amdhsa_float_denorm_mode_16_64 3
		.amdhsa_dx10_clamp 1
		.amdhsa_ieee_mode 1
		.amdhsa_fp16_overflow 0
		.amdhsa_exception_fp_ieee_invalid_op 0
		.amdhsa_exception_fp_denorm_src 0
		.amdhsa_exception_fp_ieee_div_zero 0
		.amdhsa_exception_fp_ieee_overflow 0
		.amdhsa_exception_fp_ieee_underflow 0
		.amdhsa_exception_fp_ieee_inexact 0
		.amdhsa_exception_int_div_zero 0
	.end_amdhsa_kernel
	.section	.text._ZN7rocprim17ROCPRIM_400000_NS6detail17trampoline_kernelINS0_14default_configENS1_22reduce_config_selectorIN6thrust23THRUST_200600_302600_NS5tupleIblNS6_9null_typeES8_S8_S8_S8_S8_S8_S8_EEEEZNS1_11reduce_implILb1ES3_NS6_12zip_iteratorINS7_INS6_11hip_rocprim26transform_input_iterator_tIbPN3c104HalfENS6_6detail10functional5actorINSJ_9compositeIJNSJ_27transparent_binary_operatorINS6_8equal_toIvEEEENSK_INSJ_8argumentILj0EEEEENSJ_5valueISG_EEEEEEEEENSD_19counting_iterator_tIlEES8_S8_S8_S8_S8_S8_S8_S8_EEEEPS9_S9_NSD_9__find_if7functorIS9_EEEE10hipError_tPvRmT1_T2_T3_mT4_P12ihipStream_tbEUlT_E1_NS1_11comp_targetILNS1_3genE2ELNS1_11target_archE906ELNS1_3gpuE6ELNS1_3repE0EEENS1_30default_config_static_selectorELNS0_4arch9wavefront6targetE1EEEvS19_,"axG",@progbits,_ZN7rocprim17ROCPRIM_400000_NS6detail17trampoline_kernelINS0_14default_configENS1_22reduce_config_selectorIN6thrust23THRUST_200600_302600_NS5tupleIblNS6_9null_typeES8_S8_S8_S8_S8_S8_S8_EEEEZNS1_11reduce_implILb1ES3_NS6_12zip_iteratorINS7_INS6_11hip_rocprim26transform_input_iterator_tIbPN3c104HalfENS6_6detail10functional5actorINSJ_9compositeIJNSJ_27transparent_binary_operatorINS6_8equal_toIvEEEENSK_INSJ_8argumentILj0EEEEENSJ_5valueISG_EEEEEEEEENSD_19counting_iterator_tIlEES8_S8_S8_S8_S8_S8_S8_S8_EEEEPS9_S9_NSD_9__find_if7functorIS9_EEEE10hipError_tPvRmT1_T2_T3_mT4_P12ihipStream_tbEUlT_E1_NS1_11comp_targetILNS1_3genE2ELNS1_11target_archE906ELNS1_3gpuE6ELNS1_3repE0EEENS1_30default_config_static_selectorELNS0_4arch9wavefront6targetE1EEEvS19_,comdat
.Lfunc_end2247:
	.size	_ZN7rocprim17ROCPRIM_400000_NS6detail17trampoline_kernelINS0_14default_configENS1_22reduce_config_selectorIN6thrust23THRUST_200600_302600_NS5tupleIblNS6_9null_typeES8_S8_S8_S8_S8_S8_S8_EEEEZNS1_11reduce_implILb1ES3_NS6_12zip_iteratorINS7_INS6_11hip_rocprim26transform_input_iterator_tIbPN3c104HalfENS6_6detail10functional5actorINSJ_9compositeIJNSJ_27transparent_binary_operatorINS6_8equal_toIvEEEENSK_INSJ_8argumentILj0EEEEENSJ_5valueISG_EEEEEEEEENSD_19counting_iterator_tIlEES8_S8_S8_S8_S8_S8_S8_S8_EEEEPS9_S9_NSD_9__find_if7functorIS9_EEEE10hipError_tPvRmT1_T2_T3_mT4_P12ihipStream_tbEUlT_E1_NS1_11comp_targetILNS1_3genE2ELNS1_11target_archE906ELNS1_3gpuE6ELNS1_3repE0EEENS1_30default_config_static_selectorELNS0_4arch9wavefront6targetE1EEEvS19_, .Lfunc_end2247-_ZN7rocprim17ROCPRIM_400000_NS6detail17trampoline_kernelINS0_14default_configENS1_22reduce_config_selectorIN6thrust23THRUST_200600_302600_NS5tupleIblNS6_9null_typeES8_S8_S8_S8_S8_S8_S8_EEEEZNS1_11reduce_implILb1ES3_NS6_12zip_iteratorINS7_INS6_11hip_rocprim26transform_input_iterator_tIbPN3c104HalfENS6_6detail10functional5actorINSJ_9compositeIJNSJ_27transparent_binary_operatorINS6_8equal_toIvEEEENSK_INSJ_8argumentILj0EEEEENSJ_5valueISG_EEEEEEEEENSD_19counting_iterator_tIlEES8_S8_S8_S8_S8_S8_S8_S8_EEEEPS9_S9_NSD_9__find_if7functorIS9_EEEE10hipError_tPvRmT1_T2_T3_mT4_P12ihipStream_tbEUlT_E1_NS1_11comp_targetILNS1_3genE2ELNS1_11target_archE906ELNS1_3gpuE6ELNS1_3repE0EEENS1_30default_config_static_selectorELNS0_4arch9wavefront6targetE1EEEvS19_
                                        ; -- End function
	.set _ZN7rocprim17ROCPRIM_400000_NS6detail17trampoline_kernelINS0_14default_configENS1_22reduce_config_selectorIN6thrust23THRUST_200600_302600_NS5tupleIblNS6_9null_typeES8_S8_S8_S8_S8_S8_S8_EEEEZNS1_11reduce_implILb1ES3_NS6_12zip_iteratorINS7_INS6_11hip_rocprim26transform_input_iterator_tIbPN3c104HalfENS6_6detail10functional5actorINSJ_9compositeIJNSJ_27transparent_binary_operatorINS6_8equal_toIvEEEENSK_INSJ_8argumentILj0EEEEENSJ_5valueISG_EEEEEEEEENSD_19counting_iterator_tIlEES8_S8_S8_S8_S8_S8_S8_S8_EEEEPS9_S9_NSD_9__find_if7functorIS9_EEEE10hipError_tPvRmT1_T2_T3_mT4_P12ihipStream_tbEUlT_E1_NS1_11comp_targetILNS1_3genE2ELNS1_11target_archE906ELNS1_3gpuE6ELNS1_3repE0EEENS1_30default_config_static_selectorELNS0_4arch9wavefront6targetE1EEEvS19_.num_vgpr, 26
	.set _ZN7rocprim17ROCPRIM_400000_NS6detail17trampoline_kernelINS0_14default_configENS1_22reduce_config_selectorIN6thrust23THRUST_200600_302600_NS5tupleIblNS6_9null_typeES8_S8_S8_S8_S8_S8_S8_EEEEZNS1_11reduce_implILb1ES3_NS6_12zip_iteratorINS7_INS6_11hip_rocprim26transform_input_iterator_tIbPN3c104HalfENS6_6detail10functional5actorINSJ_9compositeIJNSJ_27transparent_binary_operatorINS6_8equal_toIvEEEENSK_INSJ_8argumentILj0EEEEENSJ_5valueISG_EEEEEEEEENSD_19counting_iterator_tIlEES8_S8_S8_S8_S8_S8_S8_S8_EEEEPS9_S9_NSD_9__find_if7functorIS9_EEEE10hipError_tPvRmT1_T2_T3_mT4_P12ihipStream_tbEUlT_E1_NS1_11comp_targetILNS1_3genE2ELNS1_11target_archE906ELNS1_3gpuE6ELNS1_3repE0EEENS1_30default_config_static_selectorELNS0_4arch9wavefront6targetE1EEEvS19_.num_agpr, 0
	.set _ZN7rocprim17ROCPRIM_400000_NS6detail17trampoline_kernelINS0_14default_configENS1_22reduce_config_selectorIN6thrust23THRUST_200600_302600_NS5tupleIblNS6_9null_typeES8_S8_S8_S8_S8_S8_S8_EEEEZNS1_11reduce_implILb1ES3_NS6_12zip_iteratorINS7_INS6_11hip_rocprim26transform_input_iterator_tIbPN3c104HalfENS6_6detail10functional5actorINSJ_9compositeIJNSJ_27transparent_binary_operatorINS6_8equal_toIvEEEENSK_INSJ_8argumentILj0EEEEENSJ_5valueISG_EEEEEEEEENSD_19counting_iterator_tIlEES8_S8_S8_S8_S8_S8_S8_S8_EEEEPS9_S9_NSD_9__find_if7functorIS9_EEEE10hipError_tPvRmT1_T2_T3_mT4_P12ihipStream_tbEUlT_E1_NS1_11comp_targetILNS1_3genE2ELNS1_11target_archE906ELNS1_3gpuE6ELNS1_3repE0EEENS1_30default_config_static_selectorELNS0_4arch9wavefront6targetE1EEEvS19_.numbered_sgpr, 39
	.set _ZN7rocprim17ROCPRIM_400000_NS6detail17trampoline_kernelINS0_14default_configENS1_22reduce_config_selectorIN6thrust23THRUST_200600_302600_NS5tupleIblNS6_9null_typeES8_S8_S8_S8_S8_S8_S8_EEEEZNS1_11reduce_implILb1ES3_NS6_12zip_iteratorINS7_INS6_11hip_rocprim26transform_input_iterator_tIbPN3c104HalfENS6_6detail10functional5actorINSJ_9compositeIJNSJ_27transparent_binary_operatorINS6_8equal_toIvEEEENSK_INSJ_8argumentILj0EEEEENSJ_5valueISG_EEEEEEEEENSD_19counting_iterator_tIlEES8_S8_S8_S8_S8_S8_S8_S8_EEEEPS9_S9_NSD_9__find_if7functorIS9_EEEE10hipError_tPvRmT1_T2_T3_mT4_P12ihipStream_tbEUlT_E1_NS1_11comp_targetILNS1_3genE2ELNS1_11target_archE906ELNS1_3gpuE6ELNS1_3repE0EEENS1_30default_config_static_selectorELNS0_4arch9wavefront6targetE1EEEvS19_.num_named_barrier, 0
	.set _ZN7rocprim17ROCPRIM_400000_NS6detail17trampoline_kernelINS0_14default_configENS1_22reduce_config_selectorIN6thrust23THRUST_200600_302600_NS5tupleIblNS6_9null_typeES8_S8_S8_S8_S8_S8_S8_EEEEZNS1_11reduce_implILb1ES3_NS6_12zip_iteratorINS7_INS6_11hip_rocprim26transform_input_iterator_tIbPN3c104HalfENS6_6detail10functional5actorINSJ_9compositeIJNSJ_27transparent_binary_operatorINS6_8equal_toIvEEEENSK_INSJ_8argumentILj0EEEEENSJ_5valueISG_EEEEEEEEENSD_19counting_iterator_tIlEES8_S8_S8_S8_S8_S8_S8_S8_EEEEPS9_S9_NSD_9__find_if7functorIS9_EEEE10hipError_tPvRmT1_T2_T3_mT4_P12ihipStream_tbEUlT_E1_NS1_11comp_targetILNS1_3genE2ELNS1_11target_archE906ELNS1_3gpuE6ELNS1_3repE0EEENS1_30default_config_static_selectorELNS0_4arch9wavefront6targetE1EEEvS19_.private_seg_size, 0
	.set _ZN7rocprim17ROCPRIM_400000_NS6detail17trampoline_kernelINS0_14default_configENS1_22reduce_config_selectorIN6thrust23THRUST_200600_302600_NS5tupleIblNS6_9null_typeES8_S8_S8_S8_S8_S8_S8_EEEEZNS1_11reduce_implILb1ES3_NS6_12zip_iteratorINS7_INS6_11hip_rocprim26transform_input_iterator_tIbPN3c104HalfENS6_6detail10functional5actorINSJ_9compositeIJNSJ_27transparent_binary_operatorINS6_8equal_toIvEEEENSK_INSJ_8argumentILj0EEEEENSJ_5valueISG_EEEEEEEEENSD_19counting_iterator_tIlEES8_S8_S8_S8_S8_S8_S8_S8_EEEEPS9_S9_NSD_9__find_if7functorIS9_EEEE10hipError_tPvRmT1_T2_T3_mT4_P12ihipStream_tbEUlT_E1_NS1_11comp_targetILNS1_3genE2ELNS1_11target_archE906ELNS1_3gpuE6ELNS1_3repE0EEENS1_30default_config_static_selectorELNS0_4arch9wavefront6targetE1EEEvS19_.uses_vcc, 1
	.set _ZN7rocprim17ROCPRIM_400000_NS6detail17trampoline_kernelINS0_14default_configENS1_22reduce_config_selectorIN6thrust23THRUST_200600_302600_NS5tupleIblNS6_9null_typeES8_S8_S8_S8_S8_S8_S8_EEEEZNS1_11reduce_implILb1ES3_NS6_12zip_iteratorINS7_INS6_11hip_rocprim26transform_input_iterator_tIbPN3c104HalfENS6_6detail10functional5actorINSJ_9compositeIJNSJ_27transparent_binary_operatorINS6_8equal_toIvEEEENSK_INSJ_8argumentILj0EEEEENSJ_5valueISG_EEEEEEEEENSD_19counting_iterator_tIlEES8_S8_S8_S8_S8_S8_S8_S8_EEEEPS9_S9_NSD_9__find_if7functorIS9_EEEE10hipError_tPvRmT1_T2_T3_mT4_P12ihipStream_tbEUlT_E1_NS1_11comp_targetILNS1_3genE2ELNS1_11target_archE906ELNS1_3gpuE6ELNS1_3repE0EEENS1_30default_config_static_selectorELNS0_4arch9wavefront6targetE1EEEvS19_.uses_flat_scratch, 0
	.set _ZN7rocprim17ROCPRIM_400000_NS6detail17trampoline_kernelINS0_14default_configENS1_22reduce_config_selectorIN6thrust23THRUST_200600_302600_NS5tupleIblNS6_9null_typeES8_S8_S8_S8_S8_S8_S8_EEEEZNS1_11reduce_implILb1ES3_NS6_12zip_iteratorINS7_INS6_11hip_rocprim26transform_input_iterator_tIbPN3c104HalfENS6_6detail10functional5actorINSJ_9compositeIJNSJ_27transparent_binary_operatorINS6_8equal_toIvEEEENSK_INSJ_8argumentILj0EEEEENSJ_5valueISG_EEEEEEEEENSD_19counting_iterator_tIlEES8_S8_S8_S8_S8_S8_S8_S8_EEEEPS9_S9_NSD_9__find_if7functorIS9_EEEE10hipError_tPvRmT1_T2_T3_mT4_P12ihipStream_tbEUlT_E1_NS1_11comp_targetILNS1_3genE2ELNS1_11target_archE906ELNS1_3gpuE6ELNS1_3repE0EEENS1_30default_config_static_selectorELNS0_4arch9wavefront6targetE1EEEvS19_.has_dyn_sized_stack, 0
	.set _ZN7rocprim17ROCPRIM_400000_NS6detail17trampoline_kernelINS0_14default_configENS1_22reduce_config_selectorIN6thrust23THRUST_200600_302600_NS5tupleIblNS6_9null_typeES8_S8_S8_S8_S8_S8_S8_EEEEZNS1_11reduce_implILb1ES3_NS6_12zip_iteratorINS7_INS6_11hip_rocprim26transform_input_iterator_tIbPN3c104HalfENS6_6detail10functional5actorINSJ_9compositeIJNSJ_27transparent_binary_operatorINS6_8equal_toIvEEEENSK_INSJ_8argumentILj0EEEEENSJ_5valueISG_EEEEEEEEENSD_19counting_iterator_tIlEES8_S8_S8_S8_S8_S8_S8_S8_EEEEPS9_S9_NSD_9__find_if7functorIS9_EEEE10hipError_tPvRmT1_T2_T3_mT4_P12ihipStream_tbEUlT_E1_NS1_11comp_targetILNS1_3genE2ELNS1_11target_archE906ELNS1_3gpuE6ELNS1_3repE0EEENS1_30default_config_static_selectorELNS0_4arch9wavefront6targetE1EEEvS19_.has_recursion, 0
	.set _ZN7rocprim17ROCPRIM_400000_NS6detail17trampoline_kernelINS0_14default_configENS1_22reduce_config_selectorIN6thrust23THRUST_200600_302600_NS5tupleIblNS6_9null_typeES8_S8_S8_S8_S8_S8_S8_EEEEZNS1_11reduce_implILb1ES3_NS6_12zip_iteratorINS7_INS6_11hip_rocprim26transform_input_iterator_tIbPN3c104HalfENS6_6detail10functional5actorINSJ_9compositeIJNSJ_27transparent_binary_operatorINS6_8equal_toIvEEEENSK_INSJ_8argumentILj0EEEEENSJ_5valueISG_EEEEEEEEENSD_19counting_iterator_tIlEES8_S8_S8_S8_S8_S8_S8_S8_EEEEPS9_S9_NSD_9__find_if7functorIS9_EEEE10hipError_tPvRmT1_T2_T3_mT4_P12ihipStream_tbEUlT_E1_NS1_11comp_targetILNS1_3genE2ELNS1_11target_archE906ELNS1_3gpuE6ELNS1_3repE0EEENS1_30default_config_static_selectorELNS0_4arch9wavefront6targetE1EEEvS19_.has_indirect_call, 0
	.section	.AMDGPU.csdata,"",@progbits
; Kernel info:
; codeLenInByte = 12848
; TotalNumSgprs: 43
; NumVgprs: 26
; ScratchSize: 0
; MemoryBound: 0
; FloatMode: 240
; IeeeMode: 1
; LDSByteSize: 160 bytes/workgroup (compile time only)
; SGPRBlocks: 5
; VGPRBlocks: 6
; NumSGPRsForWavesPerEU: 43
; NumVGPRsForWavesPerEU: 26
; Occupancy: 9
; WaveLimiterHint : 1
; COMPUTE_PGM_RSRC2:SCRATCH_EN: 0
; COMPUTE_PGM_RSRC2:USER_SGPR: 6
; COMPUTE_PGM_RSRC2:TRAP_HANDLER: 0
; COMPUTE_PGM_RSRC2:TGID_X_EN: 1
; COMPUTE_PGM_RSRC2:TGID_Y_EN: 0
; COMPUTE_PGM_RSRC2:TGID_Z_EN: 0
; COMPUTE_PGM_RSRC2:TIDIG_COMP_CNT: 0
	.section	.text._ZN7rocprim17ROCPRIM_400000_NS6detail17trampoline_kernelINS0_14default_configENS1_22reduce_config_selectorIN6thrust23THRUST_200600_302600_NS5tupleIblNS6_9null_typeES8_S8_S8_S8_S8_S8_S8_EEEEZNS1_11reduce_implILb1ES3_NS6_12zip_iteratorINS7_INS6_11hip_rocprim26transform_input_iterator_tIbPN3c104HalfENS6_6detail10functional5actorINSJ_9compositeIJNSJ_27transparent_binary_operatorINS6_8equal_toIvEEEENSK_INSJ_8argumentILj0EEEEENSJ_5valueISG_EEEEEEEEENSD_19counting_iterator_tIlEES8_S8_S8_S8_S8_S8_S8_S8_EEEEPS9_S9_NSD_9__find_if7functorIS9_EEEE10hipError_tPvRmT1_T2_T3_mT4_P12ihipStream_tbEUlT_E1_NS1_11comp_targetILNS1_3genE10ELNS1_11target_archE1201ELNS1_3gpuE5ELNS1_3repE0EEENS1_30default_config_static_selectorELNS0_4arch9wavefront6targetE1EEEvS19_,"axG",@progbits,_ZN7rocprim17ROCPRIM_400000_NS6detail17trampoline_kernelINS0_14default_configENS1_22reduce_config_selectorIN6thrust23THRUST_200600_302600_NS5tupleIblNS6_9null_typeES8_S8_S8_S8_S8_S8_S8_EEEEZNS1_11reduce_implILb1ES3_NS6_12zip_iteratorINS7_INS6_11hip_rocprim26transform_input_iterator_tIbPN3c104HalfENS6_6detail10functional5actorINSJ_9compositeIJNSJ_27transparent_binary_operatorINS6_8equal_toIvEEEENSK_INSJ_8argumentILj0EEEEENSJ_5valueISG_EEEEEEEEENSD_19counting_iterator_tIlEES8_S8_S8_S8_S8_S8_S8_S8_EEEEPS9_S9_NSD_9__find_if7functorIS9_EEEE10hipError_tPvRmT1_T2_T3_mT4_P12ihipStream_tbEUlT_E1_NS1_11comp_targetILNS1_3genE10ELNS1_11target_archE1201ELNS1_3gpuE5ELNS1_3repE0EEENS1_30default_config_static_selectorELNS0_4arch9wavefront6targetE1EEEvS19_,comdat
	.protected	_ZN7rocprim17ROCPRIM_400000_NS6detail17trampoline_kernelINS0_14default_configENS1_22reduce_config_selectorIN6thrust23THRUST_200600_302600_NS5tupleIblNS6_9null_typeES8_S8_S8_S8_S8_S8_S8_EEEEZNS1_11reduce_implILb1ES3_NS6_12zip_iteratorINS7_INS6_11hip_rocprim26transform_input_iterator_tIbPN3c104HalfENS6_6detail10functional5actorINSJ_9compositeIJNSJ_27transparent_binary_operatorINS6_8equal_toIvEEEENSK_INSJ_8argumentILj0EEEEENSJ_5valueISG_EEEEEEEEENSD_19counting_iterator_tIlEES8_S8_S8_S8_S8_S8_S8_S8_EEEEPS9_S9_NSD_9__find_if7functorIS9_EEEE10hipError_tPvRmT1_T2_T3_mT4_P12ihipStream_tbEUlT_E1_NS1_11comp_targetILNS1_3genE10ELNS1_11target_archE1201ELNS1_3gpuE5ELNS1_3repE0EEENS1_30default_config_static_selectorELNS0_4arch9wavefront6targetE1EEEvS19_ ; -- Begin function _ZN7rocprim17ROCPRIM_400000_NS6detail17trampoline_kernelINS0_14default_configENS1_22reduce_config_selectorIN6thrust23THRUST_200600_302600_NS5tupleIblNS6_9null_typeES8_S8_S8_S8_S8_S8_S8_EEEEZNS1_11reduce_implILb1ES3_NS6_12zip_iteratorINS7_INS6_11hip_rocprim26transform_input_iterator_tIbPN3c104HalfENS6_6detail10functional5actorINSJ_9compositeIJNSJ_27transparent_binary_operatorINS6_8equal_toIvEEEENSK_INSJ_8argumentILj0EEEEENSJ_5valueISG_EEEEEEEEENSD_19counting_iterator_tIlEES8_S8_S8_S8_S8_S8_S8_S8_EEEEPS9_S9_NSD_9__find_if7functorIS9_EEEE10hipError_tPvRmT1_T2_T3_mT4_P12ihipStream_tbEUlT_E1_NS1_11comp_targetILNS1_3genE10ELNS1_11target_archE1201ELNS1_3gpuE5ELNS1_3repE0EEENS1_30default_config_static_selectorELNS0_4arch9wavefront6targetE1EEEvS19_
	.globl	_ZN7rocprim17ROCPRIM_400000_NS6detail17trampoline_kernelINS0_14default_configENS1_22reduce_config_selectorIN6thrust23THRUST_200600_302600_NS5tupleIblNS6_9null_typeES8_S8_S8_S8_S8_S8_S8_EEEEZNS1_11reduce_implILb1ES3_NS6_12zip_iteratorINS7_INS6_11hip_rocprim26transform_input_iterator_tIbPN3c104HalfENS6_6detail10functional5actorINSJ_9compositeIJNSJ_27transparent_binary_operatorINS6_8equal_toIvEEEENSK_INSJ_8argumentILj0EEEEENSJ_5valueISG_EEEEEEEEENSD_19counting_iterator_tIlEES8_S8_S8_S8_S8_S8_S8_S8_EEEEPS9_S9_NSD_9__find_if7functorIS9_EEEE10hipError_tPvRmT1_T2_T3_mT4_P12ihipStream_tbEUlT_E1_NS1_11comp_targetILNS1_3genE10ELNS1_11target_archE1201ELNS1_3gpuE5ELNS1_3repE0EEENS1_30default_config_static_selectorELNS0_4arch9wavefront6targetE1EEEvS19_
	.p2align	8
	.type	_ZN7rocprim17ROCPRIM_400000_NS6detail17trampoline_kernelINS0_14default_configENS1_22reduce_config_selectorIN6thrust23THRUST_200600_302600_NS5tupleIblNS6_9null_typeES8_S8_S8_S8_S8_S8_S8_EEEEZNS1_11reduce_implILb1ES3_NS6_12zip_iteratorINS7_INS6_11hip_rocprim26transform_input_iterator_tIbPN3c104HalfENS6_6detail10functional5actorINSJ_9compositeIJNSJ_27transparent_binary_operatorINS6_8equal_toIvEEEENSK_INSJ_8argumentILj0EEEEENSJ_5valueISG_EEEEEEEEENSD_19counting_iterator_tIlEES8_S8_S8_S8_S8_S8_S8_S8_EEEEPS9_S9_NSD_9__find_if7functorIS9_EEEE10hipError_tPvRmT1_T2_T3_mT4_P12ihipStream_tbEUlT_E1_NS1_11comp_targetILNS1_3genE10ELNS1_11target_archE1201ELNS1_3gpuE5ELNS1_3repE0EEENS1_30default_config_static_selectorELNS0_4arch9wavefront6targetE1EEEvS19_,@function
_ZN7rocprim17ROCPRIM_400000_NS6detail17trampoline_kernelINS0_14default_configENS1_22reduce_config_selectorIN6thrust23THRUST_200600_302600_NS5tupleIblNS6_9null_typeES8_S8_S8_S8_S8_S8_S8_EEEEZNS1_11reduce_implILb1ES3_NS6_12zip_iteratorINS7_INS6_11hip_rocprim26transform_input_iterator_tIbPN3c104HalfENS6_6detail10functional5actorINSJ_9compositeIJNSJ_27transparent_binary_operatorINS6_8equal_toIvEEEENSK_INSJ_8argumentILj0EEEEENSJ_5valueISG_EEEEEEEEENSD_19counting_iterator_tIlEES8_S8_S8_S8_S8_S8_S8_S8_EEEEPS9_S9_NSD_9__find_if7functorIS9_EEEE10hipError_tPvRmT1_T2_T3_mT4_P12ihipStream_tbEUlT_E1_NS1_11comp_targetILNS1_3genE10ELNS1_11target_archE1201ELNS1_3gpuE5ELNS1_3repE0EEENS1_30default_config_static_selectorELNS0_4arch9wavefront6targetE1EEEvS19_: ; @_ZN7rocprim17ROCPRIM_400000_NS6detail17trampoline_kernelINS0_14default_configENS1_22reduce_config_selectorIN6thrust23THRUST_200600_302600_NS5tupleIblNS6_9null_typeES8_S8_S8_S8_S8_S8_S8_EEEEZNS1_11reduce_implILb1ES3_NS6_12zip_iteratorINS7_INS6_11hip_rocprim26transform_input_iterator_tIbPN3c104HalfENS6_6detail10functional5actorINSJ_9compositeIJNSJ_27transparent_binary_operatorINS6_8equal_toIvEEEENSK_INSJ_8argumentILj0EEEEENSJ_5valueISG_EEEEEEEEENSD_19counting_iterator_tIlEES8_S8_S8_S8_S8_S8_S8_S8_EEEEPS9_S9_NSD_9__find_if7functorIS9_EEEE10hipError_tPvRmT1_T2_T3_mT4_P12ihipStream_tbEUlT_E1_NS1_11comp_targetILNS1_3genE10ELNS1_11target_archE1201ELNS1_3gpuE5ELNS1_3repE0EEENS1_30default_config_static_selectorELNS0_4arch9wavefront6targetE1EEEvS19_
; %bb.0:
	.section	.rodata,"a",@progbits
	.p2align	6, 0x0
	.amdhsa_kernel _ZN7rocprim17ROCPRIM_400000_NS6detail17trampoline_kernelINS0_14default_configENS1_22reduce_config_selectorIN6thrust23THRUST_200600_302600_NS5tupleIblNS6_9null_typeES8_S8_S8_S8_S8_S8_S8_EEEEZNS1_11reduce_implILb1ES3_NS6_12zip_iteratorINS7_INS6_11hip_rocprim26transform_input_iterator_tIbPN3c104HalfENS6_6detail10functional5actorINSJ_9compositeIJNSJ_27transparent_binary_operatorINS6_8equal_toIvEEEENSK_INSJ_8argumentILj0EEEEENSJ_5valueISG_EEEEEEEEENSD_19counting_iterator_tIlEES8_S8_S8_S8_S8_S8_S8_S8_EEEEPS9_S9_NSD_9__find_if7functorIS9_EEEE10hipError_tPvRmT1_T2_T3_mT4_P12ihipStream_tbEUlT_E1_NS1_11comp_targetILNS1_3genE10ELNS1_11target_archE1201ELNS1_3gpuE5ELNS1_3repE0EEENS1_30default_config_static_selectorELNS0_4arch9wavefront6targetE1EEEvS19_
		.amdhsa_group_segment_fixed_size 0
		.amdhsa_private_segment_fixed_size 0
		.amdhsa_kernarg_size 72
		.amdhsa_user_sgpr_count 6
		.amdhsa_user_sgpr_private_segment_buffer 1
		.amdhsa_user_sgpr_dispatch_ptr 0
		.amdhsa_user_sgpr_queue_ptr 0
		.amdhsa_user_sgpr_kernarg_segment_ptr 1
		.amdhsa_user_sgpr_dispatch_id 0
		.amdhsa_user_sgpr_flat_scratch_init 0
		.amdhsa_user_sgpr_private_segment_size 0
		.amdhsa_uses_dynamic_stack 0
		.amdhsa_system_sgpr_private_segment_wavefront_offset 0
		.amdhsa_system_sgpr_workgroup_id_x 1
		.amdhsa_system_sgpr_workgroup_id_y 0
		.amdhsa_system_sgpr_workgroup_id_z 0
		.amdhsa_system_sgpr_workgroup_info 0
		.amdhsa_system_vgpr_workitem_id 0
		.amdhsa_next_free_vgpr 1
		.amdhsa_next_free_sgpr 0
		.amdhsa_reserve_vcc 0
		.amdhsa_reserve_flat_scratch 0
		.amdhsa_float_round_mode_32 0
		.amdhsa_float_round_mode_16_64 0
		.amdhsa_float_denorm_mode_32 3
		.amdhsa_float_denorm_mode_16_64 3
		.amdhsa_dx10_clamp 1
		.amdhsa_ieee_mode 1
		.amdhsa_fp16_overflow 0
		.amdhsa_exception_fp_ieee_invalid_op 0
		.amdhsa_exception_fp_denorm_src 0
		.amdhsa_exception_fp_ieee_div_zero 0
		.amdhsa_exception_fp_ieee_overflow 0
		.amdhsa_exception_fp_ieee_underflow 0
		.amdhsa_exception_fp_ieee_inexact 0
		.amdhsa_exception_int_div_zero 0
	.end_amdhsa_kernel
	.section	.text._ZN7rocprim17ROCPRIM_400000_NS6detail17trampoline_kernelINS0_14default_configENS1_22reduce_config_selectorIN6thrust23THRUST_200600_302600_NS5tupleIblNS6_9null_typeES8_S8_S8_S8_S8_S8_S8_EEEEZNS1_11reduce_implILb1ES3_NS6_12zip_iteratorINS7_INS6_11hip_rocprim26transform_input_iterator_tIbPN3c104HalfENS6_6detail10functional5actorINSJ_9compositeIJNSJ_27transparent_binary_operatorINS6_8equal_toIvEEEENSK_INSJ_8argumentILj0EEEEENSJ_5valueISG_EEEEEEEEENSD_19counting_iterator_tIlEES8_S8_S8_S8_S8_S8_S8_S8_EEEEPS9_S9_NSD_9__find_if7functorIS9_EEEE10hipError_tPvRmT1_T2_T3_mT4_P12ihipStream_tbEUlT_E1_NS1_11comp_targetILNS1_3genE10ELNS1_11target_archE1201ELNS1_3gpuE5ELNS1_3repE0EEENS1_30default_config_static_selectorELNS0_4arch9wavefront6targetE1EEEvS19_,"axG",@progbits,_ZN7rocprim17ROCPRIM_400000_NS6detail17trampoline_kernelINS0_14default_configENS1_22reduce_config_selectorIN6thrust23THRUST_200600_302600_NS5tupleIblNS6_9null_typeES8_S8_S8_S8_S8_S8_S8_EEEEZNS1_11reduce_implILb1ES3_NS6_12zip_iteratorINS7_INS6_11hip_rocprim26transform_input_iterator_tIbPN3c104HalfENS6_6detail10functional5actorINSJ_9compositeIJNSJ_27transparent_binary_operatorINS6_8equal_toIvEEEENSK_INSJ_8argumentILj0EEEEENSJ_5valueISG_EEEEEEEEENSD_19counting_iterator_tIlEES8_S8_S8_S8_S8_S8_S8_S8_EEEEPS9_S9_NSD_9__find_if7functorIS9_EEEE10hipError_tPvRmT1_T2_T3_mT4_P12ihipStream_tbEUlT_E1_NS1_11comp_targetILNS1_3genE10ELNS1_11target_archE1201ELNS1_3gpuE5ELNS1_3repE0EEENS1_30default_config_static_selectorELNS0_4arch9wavefront6targetE1EEEvS19_,comdat
.Lfunc_end2248:
	.size	_ZN7rocprim17ROCPRIM_400000_NS6detail17trampoline_kernelINS0_14default_configENS1_22reduce_config_selectorIN6thrust23THRUST_200600_302600_NS5tupleIblNS6_9null_typeES8_S8_S8_S8_S8_S8_S8_EEEEZNS1_11reduce_implILb1ES3_NS6_12zip_iteratorINS7_INS6_11hip_rocprim26transform_input_iterator_tIbPN3c104HalfENS6_6detail10functional5actorINSJ_9compositeIJNSJ_27transparent_binary_operatorINS6_8equal_toIvEEEENSK_INSJ_8argumentILj0EEEEENSJ_5valueISG_EEEEEEEEENSD_19counting_iterator_tIlEES8_S8_S8_S8_S8_S8_S8_S8_EEEEPS9_S9_NSD_9__find_if7functorIS9_EEEE10hipError_tPvRmT1_T2_T3_mT4_P12ihipStream_tbEUlT_E1_NS1_11comp_targetILNS1_3genE10ELNS1_11target_archE1201ELNS1_3gpuE5ELNS1_3repE0EEENS1_30default_config_static_selectorELNS0_4arch9wavefront6targetE1EEEvS19_, .Lfunc_end2248-_ZN7rocprim17ROCPRIM_400000_NS6detail17trampoline_kernelINS0_14default_configENS1_22reduce_config_selectorIN6thrust23THRUST_200600_302600_NS5tupleIblNS6_9null_typeES8_S8_S8_S8_S8_S8_S8_EEEEZNS1_11reduce_implILb1ES3_NS6_12zip_iteratorINS7_INS6_11hip_rocprim26transform_input_iterator_tIbPN3c104HalfENS6_6detail10functional5actorINSJ_9compositeIJNSJ_27transparent_binary_operatorINS6_8equal_toIvEEEENSK_INSJ_8argumentILj0EEEEENSJ_5valueISG_EEEEEEEEENSD_19counting_iterator_tIlEES8_S8_S8_S8_S8_S8_S8_S8_EEEEPS9_S9_NSD_9__find_if7functorIS9_EEEE10hipError_tPvRmT1_T2_T3_mT4_P12ihipStream_tbEUlT_E1_NS1_11comp_targetILNS1_3genE10ELNS1_11target_archE1201ELNS1_3gpuE5ELNS1_3repE0EEENS1_30default_config_static_selectorELNS0_4arch9wavefront6targetE1EEEvS19_
                                        ; -- End function
	.set _ZN7rocprim17ROCPRIM_400000_NS6detail17trampoline_kernelINS0_14default_configENS1_22reduce_config_selectorIN6thrust23THRUST_200600_302600_NS5tupleIblNS6_9null_typeES8_S8_S8_S8_S8_S8_S8_EEEEZNS1_11reduce_implILb1ES3_NS6_12zip_iteratorINS7_INS6_11hip_rocprim26transform_input_iterator_tIbPN3c104HalfENS6_6detail10functional5actorINSJ_9compositeIJNSJ_27transparent_binary_operatorINS6_8equal_toIvEEEENSK_INSJ_8argumentILj0EEEEENSJ_5valueISG_EEEEEEEEENSD_19counting_iterator_tIlEES8_S8_S8_S8_S8_S8_S8_S8_EEEEPS9_S9_NSD_9__find_if7functorIS9_EEEE10hipError_tPvRmT1_T2_T3_mT4_P12ihipStream_tbEUlT_E1_NS1_11comp_targetILNS1_3genE10ELNS1_11target_archE1201ELNS1_3gpuE5ELNS1_3repE0EEENS1_30default_config_static_selectorELNS0_4arch9wavefront6targetE1EEEvS19_.num_vgpr, 0
	.set _ZN7rocprim17ROCPRIM_400000_NS6detail17trampoline_kernelINS0_14default_configENS1_22reduce_config_selectorIN6thrust23THRUST_200600_302600_NS5tupleIblNS6_9null_typeES8_S8_S8_S8_S8_S8_S8_EEEEZNS1_11reduce_implILb1ES3_NS6_12zip_iteratorINS7_INS6_11hip_rocprim26transform_input_iterator_tIbPN3c104HalfENS6_6detail10functional5actorINSJ_9compositeIJNSJ_27transparent_binary_operatorINS6_8equal_toIvEEEENSK_INSJ_8argumentILj0EEEEENSJ_5valueISG_EEEEEEEEENSD_19counting_iterator_tIlEES8_S8_S8_S8_S8_S8_S8_S8_EEEEPS9_S9_NSD_9__find_if7functorIS9_EEEE10hipError_tPvRmT1_T2_T3_mT4_P12ihipStream_tbEUlT_E1_NS1_11comp_targetILNS1_3genE10ELNS1_11target_archE1201ELNS1_3gpuE5ELNS1_3repE0EEENS1_30default_config_static_selectorELNS0_4arch9wavefront6targetE1EEEvS19_.num_agpr, 0
	.set _ZN7rocprim17ROCPRIM_400000_NS6detail17trampoline_kernelINS0_14default_configENS1_22reduce_config_selectorIN6thrust23THRUST_200600_302600_NS5tupleIblNS6_9null_typeES8_S8_S8_S8_S8_S8_S8_EEEEZNS1_11reduce_implILb1ES3_NS6_12zip_iteratorINS7_INS6_11hip_rocprim26transform_input_iterator_tIbPN3c104HalfENS6_6detail10functional5actorINSJ_9compositeIJNSJ_27transparent_binary_operatorINS6_8equal_toIvEEEENSK_INSJ_8argumentILj0EEEEENSJ_5valueISG_EEEEEEEEENSD_19counting_iterator_tIlEES8_S8_S8_S8_S8_S8_S8_S8_EEEEPS9_S9_NSD_9__find_if7functorIS9_EEEE10hipError_tPvRmT1_T2_T3_mT4_P12ihipStream_tbEUlT_E1_NS1_11comp_targetILNS1_3genE10ELNS1_11target_archE1201ELNS1_3gpuE5ELNS1_3repE0EEENS1_30default_config_static_selectorELNS0_4arch9wavefront6targetE1EEEvS19_.numbered_sgpr, 0
	.set _ZN7rocprim17ROCPRIM_400000_NS6detail17trampoline_kernelINS0_14default_configENS1_22reduce_config_selectorIN6thrust23THRUST_200600_302600_NS5tupleIblNS6_9null_typeES8_S8_S8_S8_S8_S8_S8_EEEEZNS1_11reduce_implILb1ES3_NS6_12zip_iteratorINS7_INS6_11hip_rocprim26transform_input_iterator_tIbPN3c104HalfENS6_6detail10functional5actorINSJ_9compositeIJNSJ_27transparent_binary_operatorINS6_8equal_toIvEEEENSK_INSJ_8argumentILj0EEEEENSJ_5valueISG_EEEEEEEEENSD_19counting_iterator_tIlEES8_S8_S8_S8_S8_S8_S8_S8_EEEEPS9_S9_NSD_9__find_if7functorIS9_EEEE10hipError_tPvRmT1_T2_T3_mT4_P12ihipStream_tbEUlT_E1_NS1_11comp_targetILNS1_3genE10ELNS1_11target_archE1201ELNS1_3gpuE5ELNS1_3repE0EEENS1_30default_config_static_selectorELNS0_4arch9wavefront6targetE1EEEvS19_.num_named_barrier, 0
	.set _ZN7rocprim17ROCPRIM_400000_NS6detail17trampoline_kernelINS0_14default_configENS1_22reduce_config_selectorIN6thrust23THRUST_200600_302600_NS5tupleIblNS6_9null_typeES8_S8_S8_S8_S8_S8_S8_EEEEZNS1_11reduce_implILb1ES3_NS6_12zip_iteratorINS7_INS6_11hip_rocprim26transform_input_iterator_tIbPN3c104HalfENS6_6detail10functional5actorINSJ_9compositeIJNSJ_27transparent_binary_operatorINS6_8equal_toIvEEEENSK_INSJ_8argumentILj0EEEEENSJ_5valueISG_EEEEEEEEENSD_19counting_iterator_tIlEES8_S8_S8_S8_S8_S8_S8_S8_EEEEPS9_S9_NSD_9__find_if7functorIS9_EEEE10hipError_tPvRmT1_T2_T3_mT4_P12ihipStream_tbEUlT_E1_NS1_11comp_targetILNS1_3genE10ELNS1_11target_archE1201ELNS1_3gpuE5ELNS1_3repE0EEENS1_30default_config_static_selectorELNS0_4arch9wavefront6targetE1EEEvS19_.private_seg_size, 0
	.set _ZN7rocprim17ROCPRIM_400000_NS6detail17trampoline_kernelINS0_14default_configENS1_22reduce_config_selectorIN6thrust23THRUST_200600_302600_NS5tupleIblNS6_9null_typeES8_S8_S8_S8_S8_S8_S8_EEEEZNS1_11reduce_implILb1ES3_NS6_12zip_iteratorINS7_INS6_11hip_rocprim26transform_input_iterator_tIbPN3c104HalfENS6_6detail10functional5actorINSJ_9compositeIJNSJ_27transparent_binary_operatorINS6_8equal_toIvEEEENSK_INSJ_8argumentILj0EEEEENSJ_5valueISG_EEEEEEEEENSD_19counting_iterator_tIlEES8_S8_S8_S8_S8_S8_S8_S8_EEEEPS9_S9_NSD_9__find_if7functorIS9_EEEE10hipError_tPvRmT1_T2_T3_mT4_P12ihipStream_tbEUlT_E1_NS1_11comp_targetILNS1_3genE10ELNS1_11target_archE1201ELNS1_3gpuE5ELNS1_3repE0EEENS1_30default_config_static_selectorELNS0_4arch9wavefront6targetE1EEEvS19_.uses_vcc, 0
	.set _ZN7rocprim17ROCPRIM_400000_NS6detail17trampoline_kernelINS0_14default_configENS1_22reduce_config_selectorIN6thrust23THRUST_200600_302600_NS5tupleIblNS6_9null_typeES8_S8_S8_S8_S8_S8_S8_EEEEZNS1_11reduce_implILb1ES3_NS6_12zip_iteratorINS7_INS6_11hip_rocprim26transform_input_iterator_tIbPN3c104HalfENS6_6detail10functional5actorINSJ_9compositeIJNSJ_27transparent_binary_operatorINS6_8equal_toIvEEEENSK_INSJ_8argumentILj0EEEEENSJ_5valueISG_EEEEEEEEENSD_19counting_iterator_tIlEES8_S8_S8_S8_S8_S8_S8_S8_EEEEPS9_S9_NSD_9__find_if7functorIS9_EEEE10hipError_tPvRmT1_T2_T3_mT4_P12ihipStream_tbEUlT_E1_NS1_11comp_targetILNS1_3genE10ELNS1_11target_archE1201ELNS1_3gpuE5ELNS1_3repE0EEENS1_30default_config_static_selectorELNS0_4arch9wavefront6targetE1EEEvS19_.uses_flat_scratch, 0
	.set _ZN7rocprim17ROCPRIM_400000_NS6detail17trampoline_kernelINS0_14default_configENS1_22reduce_config_selectorIN6thrust23THRUST_200600_302600_NS5tupleIblNS6_9null_typeES8_S8_S8_S8_S8_S8_S8_EEEEZNS1_11reduce_implILb1ES3_NS6_12zip_iteratorINS7_INS6_11hip_rocprim26transform_input_iterator_tIbPN3c104HalfENS6_6detail10functional5actorINSJ_9compositeIJNSJ_27transparent_binary_operatorINS6_8equal_toIvEEEENSK_INSJ_8argumentILj0EEEEENSJ_5valueISG_EEEEEEEEENSD_19counting_iterator_tIlEES8_S8_S8_S8_S8_S8_S8_S8_EEEEPS9_S9_NSD_9__find_if7functorIS9_EEEE10hipError_tPvRmT1_T2_T3_mT4_P12ihipStream_tbEUlT_E1_NS1_11comp_targetILNS1_3genE10ELNS1_11target_archE1201ELNS1_3gpuE5ELNS1_3repE0EEENS1_30default_config_static_selectorELNS0_4arch9wavefront6targetE1EEEvS19_.has_dyn_sized_stack, 0
	.set _ZN7rocprim17ROCPRIM_400000_NS6detail17trampoline_kernelINS0_14default_configENS1_22reduce_config_selectorIN6thrust23THRUST_200600_302600_NS5tupleIblNS6_9null_typeES8_S8_S8_S8_S8_S8_S8_EEEEZNS1_11reduce_implILb1ES3_NS6_12zip_iteratorINS7_INS6_11hip_rocprim26transform_input_iterator_tIbPN3c104HalfENS6_6detail10functional5actorINSJ_9compositeIJNSJ_27transparent_binary_operatorINS6_8equal_toIvEEEENSK_INSJ_8argumentILj0EEEEENSJ_5valueISG_EEEEEEEEENSD_19counting_iterator_tIlEES8_S8_S8_S8_S8_S8_S8_S8_EEEEPS9_S9_NSD_9__find_if7functorIS9_EEEE10hipError_tPvRmT1_T2_T3_mT4_P12ihipStream_tbEUlT_E1_NS1_11comp_targetILNS1_3genE10ELNS1_11target_archE1201ELNS1_3gpuE5ELNS1_3repE0EEENS1_30default_config_static_selectorELNS0_4arch9wavefront6targetE1EEEvS19_.has_recursion, 0
	.set _ZN7rocprim17ROCPRIM_400000_NS6detail17trampoline_kernelINS0_14default_configENS1_22reduce_config_selectorIN6thrust23THRUST_200600_302600_NS5tupleIblNS6_9null_typeES8_S8_S8_S8_S8_S8_S8_EEEEZNS1_11reduce_implILb1ES3_NS6_12zip_iteratorINS7_INS6_11hip_rocprim26transform_input_iterator_tIbPN3c104HalfENS6_6detail10functional5actorINSJ_9compositeIJNSJ_27transparent_binary_operatorINS6_8equal_toIvEEEENSK_INSJ_8argumentILj0EEEEENSJ_5valueISG_EEEEEEEEENSD_19counting_iterator_tIlEES8_S8_S8_S8_S8_S8_S8_S8_EEEEPS9_S9_NSD_9__find_if7functorIS9_EEEE10hipError_tPvRmT1_T2_T3_mT4_P12ihipStream_tbEUlT_E1_NS1_11comp_targetILNS1_3genE10ELNS1_11target_archE1201ELNS1_3gpuE5ELNS1_3repE0EEENS1_30default_config_static_selectorELNS0_4arch9wavefront6targetE1EEEvS19_.has_indirect_call, 0
	.section	.AMDGPU.csdata,"",@progbits
; Kernel info:
; codeLenInByte = 0
; TotalNumSgprs: 4
; NumVgprs: 0
; ScratchSize: 0
; MemoryBound: 0
; FloatMode: 240
; IeeeMode: 1
; LDSByteSize: 0 bytes/workgroup (compile time only)
; SGPRBlocks: 0
; VGPRBlocks: 0
; NumSGPRsForWavesPerEU: 4
; NumVGPRsForWavesPerEU: 1
; Occupancy: 10
; WaveLimiterHint : 0
; COMPUTE_PGM_RSRC2:SCRATCH_EN: 0
; COMPUTE_PGM_RSRC2:USER_SGPR: 6
; COMPUTE_PGM_RSRC2:TRAP_HANDLER: 0
; COMPUTE_PGM_RSRC2:TGID_X_EN: 1
; COMPUTE_PGM_RSRC2:TGID_Y_EN: 0
; COMPUTE_PGM_RSRC2:TGID_Z_EN: 0
; COMPUTE_PGM_RSRC2:TIDIG_COMP_CNT: 0
	.section	.text._ZN7rocprim17ROCPRIM_400000_NS6detail17trampoline_kernelINS0_14default_configENS1_22reduce_config_selectorIN6thrust23THRUST_200600_302600_NS5tupleIblNS6_9null_typeES8_S8_S8_S8_S8_S8_S8_EEEEZNS1_11reduce_implILb1ES3_NS6_12zip_iteratorINS7_INS6_11hip_rocprim26transform_input_iterator_tIbPN3c104HalfENS6_6detail10functional5actorINSJ_9compositeIJNSJ_27transparent_binary_operatorINS6_8equal_toIvEEEENSK_INSJ_8argumentILj0EEEEENSJ_5valueISG_EEEEEEEEENSD_19counting_iterator_tIlEES8_S8_S8_S8_S8_S8_S8_S8_EEEEPS9_S9_NSD_9__find_if7functorIS9_EEEE10hipError_tPvRmT1_T2_T3_mT4_P12ihipStream_tbEUlT_E1_NS1_11comp_targetILNS1_3genE10ELNS1_11target_archE1200ELNS1_3gpuE4ELNS1_3repE0EEENS1_30default_config_static_selectorELNS0_4arch9wavefront6targetE1EEEvS19_,"axG",@progbits,_ZN7rocprim17ROCPRIM_400000_NS6detail17trampoline_kernelINS0_14default_configENS1_22reduce_config_selectorIN6thrust23THRUST_200600_302600_NS5tupleIblNS6_9null_typeES8_S8_S8_S8_S8_S8_S8_EEEEZNS1_11reduce_implILb1ES3_NS6_12zip_iteratorINS7_INS6_11hip_rocprim26transform_input_iterator_tIbPN3c104HalfENS6_6detail10functional5actorINSJ_9compositeIJNSJ_27transparent_binary_operatorINS6_8equal_toIvEEEENSK_INSJ_8argumentILj0EEEEENSJ_5valueISG_EEEEEEEEENSD_19counting_iterator_tIlEES8_S8_S8_S8_S8_S8_S8_S8_EEEEPS9_S9_NSD_9__find_if7functorIS9_EEEE10hipError_tPvRmT1_T2_T3_mT4_P12ihipStream_tbEUlT_E1_NS1_11comp_targetILNS1_3genE10ELNS1_11target_archE1200ELNS1_3gpuE4ELNS1_3repE0EEENS1_30default_config_static_selectorELNS0_4arch9wavefront6targetE1EEEvS19_,comdat
	.protected	_ZN7rocprim17ROCPRIM_400000_NS6detail17trampoline_kernelINS0_14default_configENS1_22reduce_config_selectorIN6thrust23THRUST_200600_302600_NS5tupleIblNS6_9null_typeES8_S8_S8_S8_S8_S8_S8_EEEEZNS1_11reduce_implILb1ES3_NS6_12zip_iteratorINS7_INS6_11hip_rocprim26transform_input_iterator_tIbPN3c104HalfENS6_6detail10functional5actorINSJ_9compositeIJNSJ_27transparent_binary_operatorINS6_8equal_toIvEEEENSK_INSJ_8argumentILj0EEEEENSJ_5valueISG_EEEEEEEEENSD_19counting_iterator_tIlEES8_S8_S8_S8_S8_S8_S8_S8_EEEEPS9_S9_NSD_9__find_if7functorIS9_EEEE10hipError_tPvRmT1_T2_T3_mT4_P12ihipStream_tbEUlT_E1_NS1_11comp_targetILNS1_3genE10ELNS1_11target_archE1200ELNS1_3gpuE4ELNS1_3repE0EEENS1_30default_config_static_selectorELNS0_4arch9wavefront6targetE1EEEvS19_ ; -- Begin function _ZN7rocprim17ROCPRIM_400000_NS6detail17trampoline_kernelINS0_14default_configENS1_22reduce_config_selectorIN6thrust23THRUST_200600_302600_NS5tupleIblNS6_9null_typeES8_S8_S8_S8_S8_S8_S8_EEEEZNS1_11reduce_implILb1ES3_NS6_12zip_iteratorINS7_INS6_11hip_rocprim26transform_input_iterator_tIbPN3c104HalfENS6_6detail10functional5actorINSJ_9compositeIJNSJ_27transparent_binary_operatorINS6_8equal_toIvEEEENSK_INSJ_8argumentILj0EEEEENSJ_5valueISG_EEEEEEEEENSD_19counting_iterator_tIlEES8_S8_S8_S8_S8_S8_S8_S8_EEEEPS9_S9_NSD_9__find_if7functorIS9_EEEE10hipError_tPvRmT1_T2_T3_mT4_P12ihipStream_tbEUlT_E1_NS1_11comp_targetILNS1_3genE10ELNS1_11target_archE1200ELNS1_3gpuE4ELNS1_3repE0EEENS1_30default_config_static_selectorELNS0_4arch9wavefront6targetE1EEEvS19_
	.globl	_ZN7rocprim17ROCPRIM_400000_NS6detail17trampoline_kernelINS0_14default_configENS1_22reduce_config_selectorIN6thrust23THRUST_200600_302600_NS5tupleIblNS6_9null_typeES8_S8_S8_S8_S8_S8_S8_EEEEZNS1_11reduce_implILb1ES3_NS6_12zip_iteratorINS7_INS6_11hip_rocprim26transform_input_iterator_tIbPN3c104HalfENS6_6detail10functional5actorINSJ_9compositeIJNSJ_27transparent_binary_operatorINS6_8equal_toIvEEEENSK_INSJ_8argumentILj0EEEEENSJ_5valueISG_EEEEEEEEENSD_19counting_iterator_tIlEES8_S8_S8_S8_S8_S8_S8_S8_EEEEPS9_S9_NSD_9__find_if7functorIS9_EEEE10hipError_tPvRmT1_T2_T3_mT4_P12ihipStream_tbEUlT_E1_NS1_11comp_targetILNS1_3genE10ELNS1_11target_archE1200ELNS1_3gpuE4ELNS1_3repE0EEENS1_30default_config_static_selectorELNS0_4arch9wavefront6targetE1EEEvS19_
	.p2align	8
	.type	_ZN7rocprim17ROCPRIM_400000_NS6detail17trampoline_kernelINS0_14default_configENS1_22reduce_config_selectorIN6thrust23THRUST_200600_302600_NS5tupleIblNS6_9null_typeES8_S8_S8_S8_S8_S8_S8_EEEEZNS1_11reduce_implILb1ES3_NS6_12zip_iteratorINS7_INS6_11hip_rocprim26transform_input_iterator_tIbPN3c104HalfENS6_6detail10functional5actorINSJ_9compositeIJNSJ_27transparent_binary_operatorINS6_8equal_toIvEEEENSK_INSJ_8argumentILj0EEEEENSJ_5valueISG_EEEEEEEEENSD_19counting_iterator_tIlEES8_S8_S8_S8_S8_S8_S8_S8_EEEEPS9_S9_NSD_9__find_if7functorIS9_EEEE10hipError_tPvRmT1_T2_T3_mT4_P12ihipStream_tbEUlT_E1_NS1_11comp_targetILNS1_3genE10ELNS1_11target_archE1200ELNS1_3gpuE4ELNS1_3repE0EEENS1_30default_config_static_selectorELNS0_4arch9wavefront6targetE1EEEvS19_,@function
_ZN7rocprim17ROCPRIM_400000_NS6detail17trampoline_kernelINS0_14default_configENS1_22reduce_config_selectorIN6thrust23THRUST_200600_302600_NS5tupleIblNS6_9null_typeES8_S8_S8_S8_S8_S8_S8_EEEEZNS1_11reduce_implILb1ES3_NS6_12zip_iteratorINS7_INS6_11hip_rocprim26transform_input_iterator_tIbPN3c104HalfENS6_6detail10functional5actorINSJ_9compositeIJNSJ_27transparent_binary_operatorINS6_8equal_toIvEEEENSK_INSJ_8argumentILj0EEEEENSJ_5valueISG_EEEEEEEEENSD_19counting_iterator_tIlEES8_S8_S8_S8_S8_S8_S8_S8_EEEEPS9_S9_NSD_9__find_if7functorIS9_EEEE10hipError_tPvRmT1_T2_T3_mT4_P12ihipStream_tbEUlT_E1_NS1_11comp_targetILNS1_3genE10ELNS1_11target_archE1200ELNS1_3gpuE4ELNS1_3repE0EEENS1_30default_config_static_selectorELNS0_4arch9wavefront6targetE1EEEvS19_: ; @_ZN7rocprim17ROCPRIM_400000_NS6detail17trampoline_kernelINS0_14default_configENS1_22reduce_config_selectorIN6thrust23THRUST_200600_302600_NS5tupleIblNS6_9null_typeES8_S8_S8_S8_S8_S8_S8_EEEEZNS1_11reduce_implILb1ES3_NS6_12zip_iteratorINS7_INS6_11hip_rocprim26transform_input_iterator_tIbPN3c104HalfENS6_6detail10functional5actorINSJ_9compositeIJNSJ_27transparent_binary_operatorINS6_8equal_toIvEEEENSK_INSJ_8argumentILj0EEEEENSJ_5valueISG_EEEEEEEEENSD_19counting_iterator_tIlEES8_S8_S8_S8_S8_S8_S8_S8_EEEEPS9_S9_NSD_9__find_if7functorIS9_EEEE10hipError_tPvRmT1_T2_T3_mT4_P12ihipStream_tbEUlT_E1_NS1_11comp_targetILNS1_3genE10ELNS1_11target_archE1200ELNS1_3gpuE4ELNS1_3repE0EEENS1_30default_config_static_selectorELNS0_4arch9wavefront6targetE1EEEvS19_
; %bb.0:
	.section	.rodata,"a",@progbits
	.p2align	6, 0x0
	.amdhsa_kernel _ZN7rocprim17ROCPRIM_400000_NS6detail17trampoline_kernelINS0_14default_configENS1_22reduce_config_selectorIN6thrust23THRUST_200600_302600_NS5tupleIblNS6_9null_typeES8_S8_S8_S8_S8_S8_S8_EEEEZNS1_11reduce_implILb1ES3_NS6_12zip_iteratorINS7_INS6_11hip_rocprim26transform_input_iterator_tIbPN3c104HalfENS6_6detail10functional5actorINSJ_9compositeIJNSJ_27transparent_binary_operatorINS6_8equal_toIvEEEENSK_INSJ_8argumentILj0EEEEENSJ_5valueISG_EEEEEEEEENSD_19counting_iterator_tIlEES8_S8_S8_S8_S8_S8_S8_S8_EEEEPS9_S9_NSD_9__find_if7functorIS9_EEEE10hipError_tPvRmT1_T2_T3_mT4_P12ihipStream_tbEUlT_E1_NS1_11comp_targetILNS1_3genE10ELNS1_11target_archE1200ELNS1_3gpuE4ELNS1_3repE0EEENS1_30default_config_static_selectorELNS0_4arch9wavefront6targetE1EEEvS19_
		.amdhsa_group_segment_fixed_size 0
		.amdhsa_private_segment_fixed_size 0
		.amdhsa_kernarg_size 72
		.amdhsa_user_sgpr_count 6
		.amdhsa_user_sgpr_private_segment_buffer 1
		.amdhsa_user_sgpr_dispatch_ptr 0
		.amdhsa_user_sgpr_queue_ptr 0
		.amdhsa_user_sgpr_kernarg_segment_ptr 1
		.amdhsa_user_sgpr_dispatch_id 0
		.amdhsa_user_sgpr_flat_scratch_init 0
		.amdhsa_user_sgpr_private_segment_size 0
		.amdhsa_uses_dynamic_stack 0
		.amdhsa_system_sgpr_private_segment_wavefront_offset 0
		.amdhsa_system_sgpr_workgroup_id_x 1
		.amdhsa_system_sgpr_workgroup_id_y 0
		.amdhsa_system_sgpr_workgroup_id_z 0
		.amdhsa_system_sgpr_workgroup_info 0
		.amdhsa_system_vgpr_workitem_id 0
		.amdhsa_next_free_vgpr 1
		.amdhsa_next_free_sgpr 0
		.amdhsa_reserve_vcc 0
		.amdhsa_reserve_flat_scratch 0
		.amdhsa_float_round_mode_32 0
		.amdhsa_float_round_mode_16_64 0
		.amdhsa_float_denorm_mode_32 3
		.amdhsa_float_denorm_mode_16_64 3
		.amdhsa_dx10_clamp 1
		.amdhsa_ieee_mode 1
		.amdhsa_fp16_overflow 0
		.amdhsa_exception_fp_ieee_invalid_op 0
		.amdhsa_exception_fp_denorm_src 0
		.amdhsa_exception_fp_ieee_div_zero 0
		.amdhsa_exception_fp_ieee_overflow 0
		.amdhsa_exception_fp_ieee_underflow 0
		.amdhsa_exception_fp_ieee_inexact 0
		.amdhsa_exception_int_div_zero 0
	.end_amdhsa_kernel
	.section	.text._ZN7rocprim17ROCPRIM_400000_NS6detail17trampoline_kernelINS0_14default_configENS1_22reduce_config_selectorIN6thrust23THRUST_200600_302600_NS5tupleIblNS6_9null_typeES8_S8_S8_S8_S8_S8_S8_EEEEZNS1_11reduce_implILb1ES3_NS6_12zip_iteratorINS7_INS6_11hip_rocprim26transform_input_iterator_tIbPN3c104HalfENS6_6detail10functional5actorINSJ_9compositeIJNSJ_27transparent_binary_operatorINS6_8equal_toIvEEEENSK_INSJ_8argumentILj0EEEEENSJ_5valueISG_EEEEEEEEENSD_19counting_iterator_tIlEES8_S8_S8_S8_S8_S8_S8_S8_EEEEPS9_S9_NSD_9__find_if7functorIS9_EEEE10hipError_tPvRmT1_T2_T3_mT4_P12ihipStream_tbEUlT_E1_NS1_11comp_targetILNS1_3genE10ELNS1_11target_archE1200ELNS1_3gpuE4ELNS1_3repE0EEENS1_30default_config_static_selectorELNS0_4arch9wavefront6targetE1EEEvS19_,"axG",@progbits,_ZN7rocprim17ROCPRIM_400000_NS6detail17trampoline_kernelINS0_14default_configENS1_22reduce_config_selectorIN6thrust23THRUST_200600_302600_NS5tupleIblNS6_9null_typeES8_S8_S8_S8_S8_S8_S8_EEEEZNS1_11reduce_implILb1ES3_NS6_12zip_iteratorINS7_INS6_11hip_rocprim26transform_input_iterator_tIbPN3c104HalfENS6_6detail10functional5actorINSJ_9compositeIJNSJ_27transparent_binary_operatorINS6_8equal_toIvEEEENSK_INSJ_8argumentILj0EEEEENSJ_5valueISG_EEEEEEEEENSD_19counting_iterator_tIlEES8_S8_S8_S8_S8_S8_S8_S8_EEEEPS9_S9_NSD_9__find_if7functorIS9_EEEE10hipError_tPvRmT1_T2_T3_mT4_P12ihipStream_tbEUlT_E1_NS1_11comp_targetILNS1_3genE10ELNS1_11target_archE1200ELNS1_3gpuE4ELNS1_3repE0EEENS1_30default_config_static_selectorELNS0_4arch9wavefront6targetE1EEEvS19_,comdat
.Lfunc_end2249:
	.size	_ZN7rocprim17ROCPRIM_400000_NS6detail17trampoline_kernelINS0_14default_configENS1_22reduce_config_selectorIN6thrust23THRUST_200600_302600_NS5tupleIblNS6_9null_typeES8_S8_S8_S8_S8_S8_S8_EEEEZNS1_11reduce_implILb1ES3_NS6_12zip_iteratorINS7_INS6_11hip_rocprim26transform_input_iterator_tIbPN3c104HalfENS6_6detail10functional5actorINSJ_9compositeIJNSJ_27transparent_binary_operatorINS6_8equal_toIvEEEENSK_INSJ_8argumentILj0EEEEENSJ_5valueISG_EEEEEEEEENSD_19counting_iterator_tIlEES8_S8_S8_S8_S8_S8_S8_S8_EEEEPS9_S9_NSD_9__find_if7functorIS9_EEEE10hipError_tPvRmT1_T2_T3_mT4_P12ihipStream_tbEUlT_E1_NS1_11comp_targetILNS1_3genE10ELNS1_11target_archE1200ELNS1_3gpuE4ELNS1_3repE0EEENS1_30default_config_static_selectorELNS0_4arch9wavefront6targetE1EEEvS19_, .Lfunc_end2249-_ZN7rocprim17ROCPRIM_400000_NS6detail17trampoline_kernelINS0_14default_configENS1_22reduce_config_selectorIN6thrust23THRUST_200600_302600_NS5tupleIblNS6_9null_typeES8_S8_S8_S8_S8_S8_S8_EEEEZNS1_11reduce_implILb1ES3_NS6_12zip_iteratorINS7_INS6_11hip_rocprim26transform_input_iterator_tIbPN3c104HalfENS6_6detail10functional5actorINSJ_9compositeIJNSJ_27transparent_binary_operatorINS6_8equal_toIvEEEENSK_INSJ_8argumentILj0EEEEENSJ_5valueISG_EEEEEEEEENSD_19counting_iterator_tIlEES8_S8_S8_S8_S8_S8_S8_S8_EEEEPS9_S9_NSD_9__find_if7functorIS9_EEEE10hipError_tPvRmT1_T2_T3_mT4_P12ihipStream_tbEUlT_E1_NS1_11comp_targetILNS1_3genE10ELNS1_11target_archE1200ELNS1_3gpuE4ELNS1_3repE0EEENS1_30default_config_static_selectorELNS0_4arch9wavefront6targetE1EEEvS19_
                                        ; -- End function
	.set _ZN7rocprim17ROCPRIM_400000_NS6detail17trampoline_kernelINS0_14default_configENS1_22reduce_config_selectorIN6thrust23THRUST_200600_302600_NS5tupleIblNS6_9null_typeES8_S8_S8_S8_S8_S8_S8_EEEEZNS1_11reduce_implILb1ES3_NS6_12zip_iteratorINS7_INS6_11hip_rocprim26transform_input_iterator_tIbPN3c104HalfENS6_6detail10functional5actorINSJ_9compositeIJNSJ_27transparent_binary_operatorINS6_8equal_toIvEEEENSK_INSJ_8argumentILj0EEEEENSJ_5valueISG_EEEEEEEEENSD_19counting_iterator_tIlEES8_S8_S8_S8_S8_S8_S8_S8_EEEEPS9_S9_NSD_9__find_if7functorIS9_EEEE10hipError_tPvRmT1_T2_T3_mT4_P12ihipStream_tbEUlT_E1_NS1_11comp_targetILNS1_3genE10ELNS1_11target_archE1200ELNS1_3gpuE4ELNS1_3repE0EEENS1_30default_config_static_selectorELNS0_4arch9wavefront6targetE1EEEvS19_.num_vgpr, 0
	.set _ZN7rocprim17ROCPRIM_400000_NS6detail17trampoline_kernelINS0_14default_configENS1_22reduce_config_selectorIN6thrust23THRUST_200600_302600_NS5tupleIblNS6_9null_typeES8_S8_S8_S8_S8_S8_S8_EEEEZNS1_11reduce_implILb1ES3_NS6_12zip_iteratorINS7_INS6_11hip_rocprim26transform_input_iterator_tIbPN3c104HalfENS6_6detail10functional5actorINSJ_9compositeIJNSJ_27transparent_binary_operatorINS6_8equal_toIvEEEENSK_INSJ_8argumentILj0EEEEENSJ_5valueISG_EEEEEEEEENSD_19counting_iterator_tIlEES8_S8_S8_S8_S8_S8_S8_S8_EEEEPS9_S9_NSD_9__find_if7functorIS9_EEEE10hipError_tPvRmT1_T2_T3_mT4_P12ihipStream_tbEUlT_E1_NS1_11comp_targetILNS1_3genE10ELNS1_11target_archE1200ELNS1_3gpuE4ELNS1_3repE0EEENS1_30default_config_static_selectorELNS0_4arch9wavefront6targetE1EEEvS19_.num_agpr, 0
	.set _ZN7rocprim17ROCPRIM_400000_NS6detail17trampoline_kernelINS0_14default_configENS1_22reduce_config_selectorIN6thrust23THRUST_200600_302600_NS5tupleIblNS6_9null_typeES8_S8_S8_S8_S8_S8_S8_EEEEZNS1_11reduce_implILb1ES3_NS6_12zip_iteratorINS7_INS6_11hip_rocprim26transform_input_iterator_tIbPN3c104HalfENS6_6detail10functional5actorINSJ_9compositeIJNSJ_27transparent_binary_operatorINS6_8equal_toIvEEEENSK_INSJ_8argumentILj0EEEEENSJ_5valueISG_EEEEEEEEENSD_19counting_iterator_tIlEES8_S8_S8_S8_S8_S8_S8_S8_EEEEPS9_S9_NSD_9__find_if7functorIS9_EEEE10hipError_tPvRmT1_T2_T3_mT4_P12ihipStream_tbEUlT_E1_NS1_11comp_targetILNS1_3genE10ELNS1_11target_archE1200ELNS1_3gpuE4ELNS1_3repE0EEENS1_30default_config_static_selectorELNS0_4arch9wavefront6targetE1EEEvS19_.numbered_sgpr, 0
	.set _ZN7rocprim17ROCPRIM_400000_NS6detail17trampoline_kernelINS0_14default_configENS1_22reduce_config_selectorIN6thrust23THRUST_200600_302600_NS5tupleIblNS6_9null_typeES8_S8_S8_S8_S8_S8_S8_EEEEZNS1_11reduce_implILb1ES3_NS6_12zip_iteratorINS7_INS6_11hip_rocprim26transform_input_iterator_tIbPN3c104HalfENS6_6detail10functional5actorINSJ_9compositeIJNSJ_27transparent_binary_operatorINS6_8equal_toIvEEEENSK_INSJ_8argumentILj0EEEEENSJ_5valueISG_EEEEEEEEENSD_19counting_iterator_tIlEES8_S8_S8_S8_S8_S8_S8_S8_EEEEPS9_S9_NSD_9__find_if7functorIS9_EEEE10hipError_tPvRmT1_T2_T3_mT4_P12ihipStream_tbEUlT_E1_NS1_11comp_targetILNS1_3genE10ELNS1_11target_archE1200ELNS1_3gpuE4ELNS1_3repE0EEENS1_30default_config_static_selectorELNS0_4arch9wavefront6targetE1EEEvS19_.num_named_barrier, 0
	.set _ZN7rocprim17ROCPRIM_400000_NS6detail17trampoline_kernelINS0_14default_configENS1_22reduce_config_selectorIN6thrust23THRUST_200600_302600_NS5tupleIblNS6_9null_typeES8_S8_S8_S8_S8_S8_S8_EEEEZNS1_11reduce_implILb1ES3_NS6_12zip_iteratorINS7_INS6_11hip_rocprim26transform_input_iterator_tIbPN3c104HalfENS6_6detail10functional5actorINSJ_9compositeIJNSJ_27transparent_binary_operatorINS6_8equal_toIvEEEENSK_INSJ_8argumentILj0EEEEENSJ_5valueISG_EEEEEEEEENSD_19counting_iterator_tIlEES8_S8_S8_S8_S8_S8_S8_S8_EEEEPS9_S9_NSD_9__find_if7functorIS9_EEEE10hipError_tPvRmT1_T2_T3_mT4_P12ihipStream_tbEUlT_E1_NS1_11comp_targetILNS1_3genE10ELNS1_11target_archE1200ELNS1_3gpuE4ELNS1_3repE0EEENS1_30default_config_static_selectorELNS0_4arch9wavefront6targetE1EEEvS19_.private_seg_size, 0
	.set _ZN7rocprim17ROCPRIM_400000_NS6detail17trampoline_kernelINS0_14default_configENS1_22reduce_config_selectorIN6thrust23THRUST_200600_302600_NS5tupleIblNS6_9null_typeES8_S8_S8_S8_S8_S8_S8_EEEEZNS1_11reduce_implILb1ES3_NS6_12zip_iteratorINS7_INS6_11hip_rocprim26transform_input_iterator_tIbPN3c104HalfENS6_6detail10functional5actorINSJ_9compositeIJNSJ_27transparent_binary_operatorINS6_8equal_toIvEEEENSK_INSJ_8argumentILj0EEEEENSJ_5valueISG_EEEEEEEEENSD_19counting_iterator_tIlEES8_S8_S8_S8_S8_S8_S8_S8_EEEEPS9_S9_NSD_9__find_if7functorIS9_EEEE10hipError_tPvRmT1_T2_T3_mT4_P12ihipStream_tbEUlT_E1_NS1_11comp_targetILNS1_3genE10ELNS1_11target_archE1200ELNS1_3gpuE4ELNS1_3repE0EEENS1_30default_config_static_selectorELNS0_4arch9wavefront6targetE1EEEvS19_.uses_vcc, 0
	.set _ZN7rocprim17ROCPRIM_400000_NS6detail17trampoline_kernelINS0_14default_configENS1_22reduce_config_selectorIN6thrust23THRUST_200600_302600_NS5tupleIblNS6_9null_typeES8_S8_S8_S8_S8_S8_S8_EEEEZNS1_11reduce_implILb1ES3_NS6_12zip_iteratorINS7_INS6_11hip_rocprim26transform_input_iterator_tIbPN3c104HalfENS6_6detail10functional5actorINSJ_9compositeIJNSJ_27transparent_binary_operatorINS6_8equal_toIvEEEENSK_INSJ_8argumentILj0EEEEENSJ_5valueISG_EEEEEEEEENSD_19counting_iterator_tIlEES8_S8_S8_S8_S8_S8_S8_S8_EEEEPS9_S9_NSD_9__find_if7functorIS9_EEEE10hipError_tPvRmT1_T2_T3_mT4_P12ihipStream_tbEUlT_E1_NS1_11comp_targetILNS1_3genE10ELNS1_11target_archE1200ELNS1_3gpuE4ELNS1_3repE0EEENS1_30default_config_static_selectorELNS0_4arch9wavefront6targetE1EEEvS19_.uses_flat_scratch, 0
	.set _ZN7rocprim17ROCPRIM_400000_NS6detail17trampoline_kernelINS0_14default_configENS1_22reduce_config_selectorIN6thrust23THRUST_200600_302600_NS5tupleIblNS6_9null_typeES8_S8_S8_S8_S8_S8_S8_EEEEZNS1_11reduce_implILb1ES3_NS6_12zip_iteratorINS7_INS6_11hip_rocprim26transform_input_iterator_tIbPN3c104HalfENS6_6detail10functional5actorINSJ_9compositeIJNSJ_27transparent_binary_operatorINS6_8equal_toIvEEEENSK_INSJ_8argumentILj0EEEEENSJ_5valueISG_EEEEEEEEENSD_19counting_iterator_tIlEES8_S8_S8_S8_S8_S8_S8_S8_EEEEPS9_S9_NSD_9__find_if7functorIS9_EEEE10hipError_tPvRmT1_T2_T3_mT4_P12ihipStream_tbEUlT_E1_NS1_11comp_targetILNS1_3genE10ELNS1_11target_archE1200ELNS1_3gpuE4ELNS1_3repE0EEENS1_30default_config_static_selectorELNS0_4arch9wavefront6targetE1EEEvS19_.has_dyn_sized_stack, 0
	.set _ZN7rocprim17ROCPRIM_400000_NS6detail17trampoline_kernelINS0_14default_configENS1_22reduce_config_selectorIN6thrust23THRUST_200600_302600_NS5tupleIblNS6_9null_typeES8_S8_S8_S8_S8_S8_S8_EEEEZNS1_11reduce_implILb1ES3_NS6_12zip_iteratorINS7_INS6_11hip_rocprim26transform_input_iterator_tIbPN3c104HalfENS6_6detail10functional5actorINSJ_9compositeIJNSJ_27transparent_binary_operatorINS6_8equal_toIvEEEENSK_INSJ_8argumentILj0EEEEENSJ_5valueISG_EEEEEEEEENSD_19counting_iterator_tIlEES8_S8_S8_S8_S8_S8_S8_S8_EEEEPS9_S9_NSD_9__find_if7functorIS9_EEEE10hipError_tPvRmT1_T2_T3_mT4_P12ihipStream_tbEUlT_E1_NS1_11comp_targetILNS1_3genE10ELNS1_11target_archE1200ELNS1_3gpuE4ELNS1_3repE0EEENS1_30default_config_static_selectorELNS0_4arch9wavefront6targetE1EEEvS19_.has_recursion, 0
	.set _ZN7rocprim17ROCPRIM_400000_NS6detail17trampoline_kernelINS0_14default_configENS1_22reduce_config_selectorIN6thrust23THRUST_200600_302600_NS5tupleIblNS6_9null_typeES8_S8_S8_S8_S8_S8_S8_EEEEZNS1_11reduce_implILb1ES3_NS6_12zip_iteratorINS7_INS6_11hip_rocprim26transform_input_iterator_tIbPN3c104HalfENS6_6detail10functional5actorINSJ_9compositeIJNSJ_27transparent_binary_operatorINS6_8equal_toIvEEEENSK_INSJ_8argumentILj0EEEEENSJ_5valueISG_EEEEEEEEENSD_19counting_iterator_tIlEES8_S8_S8_S8_S8_S8_S8_S8_EEEEPS9_S9_NSD_9__find_if7functorIS9_EEEE10hipError_tPvRmT1_T2_T3_mT4_P12ihipStream_tbEUlT_E1_NS1_11comp_targetILNS1_3genE10ELNS1_11target_archE1200ELNS1_3gpuE4ELNS1_3repE0EEENS1_30default_config_static_selectorELNS0_4arch9wavefront6targetE1EEEvS19_.has_indirect_call, 0
	.section	.AMDGPU.csdata,"",@progbits
; Kernel info:
; codeLenInByte = 0
; TotalNumSgprs: 4
; NumVgprs: 0
; ScratchSize: 0
; MemoryBound: 0
; FloatMode: 240
; IeeeMode: 1
; LDSByteSize: 0 bytes/workgroup (compile time only)
; SGPRBlocks: 0
; VGPRBlocks: 0
; NumSGPRsForWavesPerEU: 4
; NumVGPRsForWavesPerEU: 1
; Occupancy: 10
; WaveLimiterHint : 0
; COMPUTE_PGM_RSRC2:SCRATCH_EN: 0
; COMPUTE_PGM_RSRC2:USER_SGPR: 6
; COMPUTE_PGM_RSRC2:TRAP_HANDLER: 0
; COMPUTE_PGM_RSRC2:TGID_X_EN: 1
; COMPUTE_PGM_RSRC2:TGID_Y_EN: 0
; COMPUTE_PGM_RSRC2:TGID_Z_EN: 0
; COMPUTE_PGM_RSRC2:TIDIG_COMP_CNT: 0
	.section	.text._ZN7rocprim17ROCPRIM_400000_NS6detail17trampoline_kernelINS0_14default_configENS1_22reduce_config_selectorIN6thrust23THRUST_200600_302600_NS5tupleIblNS6_9null_typeES8_S8_S8_S8_S8_S8_S8_EEEEZNS1_11reduce_implILb1ES3_NS6_12zip_iteratorINS7_INS6_11hip_rocprim26transform_input_iterator_tIbPN3c104HalfENS6_6detail10functional5actorINSJ_9compositeIJNSJ_27transparent_binary_operatorINS6_8equal_toIvEEEENSK_INSJ_8argumentILj0EEEEENSJ_5valueISG_EEEEEEEEENSD_19counting_iterator_tIlEES8_S8_S8_S8_S8_S8_S8_S8_EEEEPS9_S9_NSD_9__find_if7functorIS9_EEEE10hipError_tPvRmT1_T2_T3_mT4_P12ihipStream_tbEUlT_E1_NS1_11comp_targetILNS1_3genE9ELNS1_11target_archE1100ELNS1_3gpuE3ELNS1_3repE0EEENS1_30default_config_static_selectorELNS0_4arch9wavefront6targetE1EEEvS19_,"axG",@progbits,_ZN7rocprim17ROCPRIM_400000_NS6detail17trampoline_kernelINS0_14default_configENS1_22reduce_config_selectorIN6thrust23THRUST_200600_302600_NS5tupleIblNS6_9null_typeES8_S8_S8_S8_S8_S8_S8_EEEEZNS1_11reduce_implILb1ES3_NS6_12zip_iteratorINS7_INS6_11hip_rocprim26transform_input_iterator_tIbPN3c104HalfENS6_6detail10functional5actorINSJ_9compositeIJNSJ_27transparent_binary_operatorINS6_8equal_toIvEEEENSK_INSJ_8argumentILj0EEEEENSJ_5valueISG_EEEEEEEEENSD_19counting_iterator_tIlEES8_S8_S8_S8_S8_S8_S8_S8_EEEEPS9_S9_NSD_9__find_if7functorIS9_EEEE10hipError_tPvRmT1_T2_T3_mT4_P12ihipStream_tbEUlT_E1_NS1_11comp_targetILNS1_3genE9ELNS1_11target_archE1100ELNS1_3gpuE3ELNS1_3repE0EEENS1_30default_config_static_selectorELNS0_4arch9wavefront6targetE1EEEvS19_,comdat
	.protected	_ZN7rocprim17ROCPRIM_400000_NS6detail17trampoline_kernelINS0_14default_configENS1_22reduce_config_selectorIN6thrust23THRUST_200600_302600_NS5tupleIblNS6_9null_typeES8_S8_S8_S8_S8_S8_S8_EEEEZNS1_11reduce_implILb1ES3_NS6_12zip_iteratorINS7_INS6_11hip_rocprim26transform_input_iterator_tIbPN3c104HalfENS6_6detail10functional5actorINSJ_9compositeIJNSJ_27transparent_binary_operatorINS6_8equal_toIvEEEENSK_INSJ_8argumentILj0EEEEENSJ_5valueISG_EEEEEEEEENSD_19counting_iterator_tIlEES8_S8_S8_S8_S8_S8_S8_S8_EEEEPS9_S9_NSD_9__find_if7functorIS9_EEEE10hipError_tPvRmT1_T2_T3_mT4_P12ihipStream_tbEUlT_E1_NS1_11comp_targetILNS1_3genE9ELNS1_11target_archE1100ELNS1_3gpuE3ELNS1_3repE0EEENS1_30default_config_static_selectorELNS0_4arch9wavefront6targetE1EEEvS19_ ; -- Begin function _ZN7rocprim17ROCPRIM_400000_NS6detail17trampoline_kernelINS0_14default_configENS1_22reduce_config_selectorIN6thrust23THRUST_200600_302600_NS5tupleIblNS6_9null_typeES8_S8_S8_S8_S8_S8_S8_EEEEZNS1_11reduce_implILb1ES3_NS6_12zip_iteratorINS7_INS6_11hip_rocprim26transform_input_iterator_tIbPN3c104HalfENS6_6detail10functional5actorINSJ_9compositeIJNSJ_27transparent_binary_operatorINS6_8equal_toIvEEEENSK_INSJ_8argumentILj0EEEEENSJ_5valueISG_EEEEEEEEENSD_19counting_iterator_tIlEES8_S8_S8_S8_S8_S8_S8_S8_EEEEPS9_S9_NSD_9__find_if7functorIS9_EEEE10hipError_tPvRmT1_T2_T3_mT4_P12ihipStream_tbEUlT_E1_NS1_11comp_targetILNS1_3genE9ELNS1_11target_archE1100ELNS1_3gpuE3ELNS1_3repE0EEENS1_30default_config_static_selectorELNS0_4arch9wavefront6targetE1EEEvS19_
	.globl	_ZN7rocprim17ROCPRIM_400000_NS6detail17trampoline_kernelINS0_14default_configENS1_22reduce_config_selectorIN6thrust23THRUST_200600_302600_NS5tupleIblNS6_9null_typeES8_S8_S8_S8_S8_S8_S8_EEEEZNS1_11reduce_implILb1ES3_NS6_12zip_iteratorINS7_INS6_11hip_rocprim26transform_input_iterator_tIbPN3c104HalfENS6_6detail10functional5actorINSJ_9compositeIJNSJ_27transparent_binary_operatorINS6_8equal_toIvEEEENSK_INSJ_8argumentILj0EEEEENSJ_5valueISG_EEEEEEEEENSD_19counting_iterator_tIlEES8_S8_S8_S8_S8_S8_S8_S8_EEEEPS9_S9_NSD_9__find_if7functorIS9_EEEE10hipError_tPvRmT1_T2_T3_mT4_P12ihipStream_tbEUlT_E1_NS1_11comp_targetILNS1_3genE9ELNS1_11target_archE1100ELNS1_3gpuE3ELNS1_3repE0EEENS1_30default_config_static_selectorELNS0_4arch9wavefront6targetE1EEEvS19_
	.p2align	8
	.type	_ZN7rocprim17ROCPRIM_400000_NS6detail17trampoline_kernelINS0_14default_configENS1_22reduce_config_selectorIN6thrust23THRUST_200600_302600_NS5tupleIblNS6_9null_typeES8_S8_S8_S8_S8_S8_S8_EEEEZNS1_11reduce_implILb1ES3_NS6_12zip_iteratorINS7_INS6_11hip_rocprim26transform_input_iterator_tIbPN3c104HalfENS6_6detail10functional5actorINSJ_9compositeIJNSJ_27transparent_binary_operatorINS6_8equal_toIvEEEENSK_INSJ_8argumentILj0EEEEENSJ_5valueISG_EEEEEEEEENSD_19counting_iterator_tIlEES8_S8_S8_S8_S8_S8_S8_S8_EEEEPS9_S9_NSD_9__find_if7functorIS9_EEEE10hipError_tPvRmT1_T2_T3_mT4_P12ihipStream_tbEUlT_E1_NS1_11comp_targetILNS1_3genE9ELNS1_11target_archE1100ELNS1_3gpuE3ELNS1_3repE0EEENS1_30default_config_static_selectorELNS0_4arch9wavefront6targetE1EEEvS19_,@function
_ZN7rocprim17ROCPRIM_400000_NS6detail17trampoline_kernelINS0_14default_configENS1_22reduce_config_selectorIN6thrust23THRUST_200600_302600_NS5tupleIblNS6_9null_typeES8_S8_S8_S8_S8_S8_S8_EEEEZNS1_11reduce_implILb1ES3_NS6_12zip_iteratorINS7_INS6_11hip_rocprim26transform_input_iterator_tIbPN3c104HalfENS6_6detail10functional5actorINSJ_9compositeIJNSJ_27transparent_binary_operatorINS6_8equal_toIvEEEENSK_INSJ_8argumentILj0EEEEENSJ_5valueISG_EEEEEEEEENSD_19counting_iterator_tIlEES8_S8_S8_S8_S8_S8_S8_S8_EEEEPS9_S9_NSD_9__find_if7functorIS9_EEEE10hipError_tPvRmT1_T2_T3_mT4_P12ihipStream_tbEUlT_E1_NS1_11comp_targetILNS1_3genE9ELNS1_11target_archE1100ELNS1_3gpuE3ELNS1_3repE0EEENS1_30default_config_static_selectorELNS0_4arch9wavefront6targetE1EEEvS19_: ; @_ZN7rocprim17ROCPRIM_400000_NS6detail17trampoline_kernelINS0_14default_configENS1_22reduce_config_selectorIN6thrust23THRUST_200600_302600_NS5tupleIblNS6_9null_typeES8_S8_S8_S8_S8_S8_S8_EEEEZNS1_11reduce_implILb1ES3_NS6_12zip_iteratorINS7_INS6_11hip_rocprim26transform_input_iterator_tIbPN3c104HalfENS6_6detail10functional5actorINSJ_9compositeIJNSJ_27transparent_binary_operatorINS6_8equal_toIvEEEENSK_INSJ_8argumentILj0EEEEENSJ_5valueISG_EEEEEEEEENSD_19counting_iterator_tIlEES8_S8_S8_S8_S8_S8_S8_S8_EEEEPS9_S9_NSD_9__find_if7functorIS9_EEEE10hipError_tPvRmT1_T2_T3_mT4_P12ihipStream_tbEUlT_E1_NS1_11comp_targetILNS1_3genE9ELNS1_11target_archE1100ELNS1_3gpuE3ELNS1_3repE0EEENS1_30default_config_static_selectorELNS0_4arch9wavefront6targetE1EEEvS19_
; %bb.0:
	.section	.rodata,"a",@progbits
	.p2align	6, 0x0
	.amdhsa_kernel _ZN7rocprim17ROCPRIM_400000_NS6detail17trampoline_kernelINS0_14default_configENS1_22reduce_config_selectorIN6thrust23THRUST_200600_302600_NS5tupleIblNS6_9null_typeES8_S8_S8_S8_S8_S8_S8_EEEEZNS1_11reduce_implILb1ES3_NS6_12zip_iteratorINS7_INS6_11hip_rocprim26transform_input_iterator_tIbPN3c104HalfENS6_6detail10functional5actorINSJ_9compositeIJNSJ_27transparent_binary_operatorINS6_8equal_toIvEEEENSK_INSJ_8argumentILj0EEEEENSJ_5valueISG_EEEEEEEEENSD_19counting_iterator_tIlEES8_S8_S8_S8_S8_S8_S8_S8_EEEEPS9_S9_NSD_9__find_if7functorIS9_EEEE10hipError_tPvRmT1_T2_T3_mT4_P12ihipStream_tbEUlT_E1_NS1_11comp_targetILNS1_3genE9ELNS1_11target_archE1100ELNS1_3gpuE3ELNS1_3repE0EEENS1_30default_config_static_selectorELNS0_4arch9wavefront6targetE1EEEvS19_
		.amdhsa_group_segment_fixed_size 0
		.amdhsa_private_segment_fixed_size 0
		.amdhsa_kernarg_size 72
		.amdhsa_user_sgpr_count 6
		.amdhsa_user_sgpr_private_segment_buffer 1
		.amdhsa_user_sgpr_dispatch_ptr 0
		.amdhsa_user_sgpr_queue_ptr 0
		.amdhsa_user_sgpr_kernarg_segment_ptr 1
		.amdhsa_user_sgpr_dispatch_id 0
		.amdhsa_user_sgpr_flat_scratch_init 0
		.amdhsa_user_sgpr_private_segment_size 0
		.amdhsa_uses_dynamic_stack 0
		.amdhsa_system_sgpr_private_segment_wavefront_offset 0
		.amdhsa_system_sgpr_workgroup_id_x 1
		.amdhsa_system_sgpr_workgroup_id_y 0
		.amdhsa_system_sgpr_workgroup_id_z 0
		.amdhsa_system_sgpr_workgroup_info 0
		.amdhsa_system_vgpr_workitem_id 0
		.amdhsa_next_free_vgpr 1
		.amdhsa_next_free_sgpr 0
		.amdhsa_reserve_vcc 0
		.amdhsa_reserve_flat_scratch 0
		.amdhsa_float_round_mode_32 0
		.amdhsa_float_round_mode_16_64 0
		.amdhsa_float_denorm_mode_32 3
		.amdhsa_float_denorm_mode_16_64 3
		.amdhsa_dx10_clamp 1
		.amdhsa_ieee_mode 1
		.amdhsa_fp16_overflow 0
		.amdhsa_exception_fp_ieee_invalid_op 0
		.amdhsa_exception_fp_denorm_src 0
		.amdhsa_exception_fp_ieee_div_zero 0
		.amdhsa_exception_fp_ieee_overflow 0
		.amdhsa_exception_fp_ieee_underflow 0
		.amdhsa_exception_fp_ieee_inexact 0
		.amdhsa_exception_int_div_zero 0
	.end_amdhsa_kernel
	.section	.text._ZN7rocprim17ROCPRIM_400000_NS6detail17trampoline_kernelINS0_14default_configENS1_22reduce_config_selectorIN6thrust23THRUST_200600_302600_NS5tupleIblNS6_9null_typeES8_S8_S8_S8_S8_S8_S8_EEEEZNS1_11reduce_implILb1ES3_NS6_12zip_iteratorINS7_INS6_11hip_rocprim26transform_input_iterator_tIbPN3c104HalfENS6_6detail10functional5actorINSJ_9compositeIJNSJ_27transparent_binary_operatorINS6_8equal_toIvEEEENSK_INSJ_8argumentILj0EEEEENSJ_5valueISG_EEEEEEEEENSD_19counting_iterator_tIlEES8_S8_S8_S8_S8_S8_S8_S8_EEEEPS9_S9_NSD_9__find_if7functorIS9_EEEE10hipError_tPvRmT1_T2_T3_mT4_P12ihipStream_tbEUlT_E1_NS1_11comp_targetILNS1_3genE9ELNS1_11target_archE1100ELNS1_3gpuE3ELNS1_3repE0EEENS1_30default_config_static_selectorELNS0_4arch9wavefront6targetE1EEEvS19_,"axG",@progbits,_ZN7rocprim17ROCPRIM_400000_NS6detail17trampoline_kernelINS0_14default_configENS1_22reduce_config_selectorIN6thrust23THRUST_200600_302600_NS5tupleIblNS6_9null_typeES8_S8_S8_S8_S8_S8_S8_EEEEZNS1_11reduce_implILb1ES3_NS6_12zip_iteratorINS7_INS6_11hip_rocprim26transform_input_iterator_tIbPN3c104HalfENS6_6detail10functional5actorINSJ_9compositeIJNSJ_27transparent_binary_operatorINS6_8equal_toIvEEEENSK_INSJ_8argumentILj0EEEEENSJ_5valueISG_EEEEEEEEENSD_19counting_iterator_tIlEES8_S8_S8_S8_S8_S8_S8_S8_EEEEPS9_S9_NSD_9__find_if7functorIS9_EEEE10hipError_tPvRmT1_T2_T3_mT4_P12ihipStream_tbEUlT_E1_NS1_11comp_targetILNS1_3genE9ELNS1_11target_archE1100ELNS1_3gpuE3ELNS1_3repE0EEENS1_30default_config_static_selectorELNS0_4arch9wavefront6targetE1EEEvS19_,comdat
.Lfunc_end2250:
	.size	_ZN7rocprim17ROCPRIM_400000_NS6detail17trampoline_kernelINS0_14default_configENS1_22reduce_config_selectorIN6thrust23THRUST_200600_302600_NS5tupleIblNS6_9null_typeES8_S8_S8_S8_S8_S8_S8_EEEEZNS1_11reduce_implILb1ES3_NS6_12zip_iteratorINS7_INS6_11hip_rocprim26transform_input_iterator_tIbPN3c104HalfENS6_6detail10functional5actorINSJ_9compositeIJNSJ_27transparent_binary_operatorINS6_8equal_toIvEEEENSK_INSJ_8argumentILj0EEEEENSJ_5valueISG_EEEEEEEEENSD_19counting_iterator_tIlEES8_S8_S8_S8_S8_S8_S8_S8_EEEEPS9_S9_NSD_9__find_if7functorIS9_EEEE10hipError_tPvRmT1_T2_T3_mT4_P12ihipStream_tbEUlT_E1_NS1_11comp_targetILNS1_3genE9ELNS1_11target_archE1100ELNS1_3gpuE3ELNS1_3repE0EEENS1_30default_config_static_selectorELNS0_4arch9wavefront6targetE1EEEvS19_, .Lfunc_end2250-_ZN7rocprim17ROCPRIM_400000_NS6detail17trampoline_kernelINS0_14default_configENS1_22reduce_config_selectorIN6thrust23THRUST_200600_302600_NS5tupleIblNS6_9null_typeES8_S8_S8_S8_S8_S8_S8_EEEEZNS1_11reduce_implILb1ES3_NS6_12zip_iteratorINS7_INS6_11hip_rocprim26transform_input_iterator_tIbPN3c104HalfENS6_6detail10functional5actorINSJ_9compositeIJNSJ_27transparent_binary_operatorINS6_8equal_toIvEEEENSK_INSJ_8argumentILj0EEEEENSJ_5valueISG_EEEEEEEEENSD_19counting_iterator_tIlEES8_S8_S8_S8_S8_S8_S8_S8_EEEEPS9_S9_NSD_9__find_if7functorIS9_EEEE10hipError_tPvRmT1_T2_T3_mT4_P12ihipStream_tbEUlT_E1_NS1_11comp_targetILNS1_3genE9ELNS1_11target_archE1100ELNS1_3gpuE3ELNS1_3repE0EEENS1_30default_config_static_selectorELNS0_4arch9wavefront6targetE1EEEvS19_
                                        ; -- End function
	.set _ZN7rocprim17ROCPRIM_400000_NS6detail17trampoline_kernelINS0_14default_configENS1_22reduce_config_selectorIN6thrust23THRUST_200600_302600_NS5tupleIblNS6_9null_typeES8_S8_S8_S8_S8_S8_S8_EEEEZNS1_11reduce_implILb1ES3_NS6_12zip_iteratorINS7_INS6_11hip_rocprim26transform_input_iterator_tIbPN3c104HalfENS6_6detail10functional5actorINSJ_9compositeIJNSJ_27transparent_binary_operatorINS6_8equal_toIvEEEENSK_INSJ_8argumentILj0EEEEENSJ_5valueISG_EEEEEEEEENSD_19counting_iterator_tIlEES8_S8_S8_S8_S8_S8_S8_S8_EEEEPS9_S9_NSD_9__find_if7functorIS9_EEEE10hipError_tPvRmT1_T2_T3_mT4_P12ihipStream_tbEUlT_E1_NS1_11comp_targetILNS1_3genE9ELNS1_11target_archE1100ELNS1_3gpuE3ELNS1_3repE0EEENS1_30default_config_static_selectorELNS0_4arch9wavefront6targetE1EEEvS19_.num_vgpr, 0
	.set _ZN7rocprim17ROCPRIM_400000_NS6detail17trampoline_kernelINS0_14default_configENS1_22reduce_config_selectorIN6thrust23THRUST_200600_302600_NS5tupleIblNS6_9null_typeES8_S8_S8_S8_S8_S8_S8_EEEEZNS1_11reduce_implILb1ES3_NS6_12zip_iteratorINS7_INS6_11hip_rocprim26transform_input_iterator_tIbPN3c104HalfENS6_6detail10functional5actorINSJ_9compositeIJNSJ_27transparent_binary_operatorINS6_8equal_toIvEEEENSK_INSJ_8argumentILj0EEEEENSJ_5valueISG_EEEEEEEEENSD_19counting_iterator_tIlEES8_S8_S8_S8_S8_S8_S8_S8_EEEEPS9_S9_NSD_9__find_if7functorIS9_EEEE10hipError_tPvRmT1_T2_T3_mT4_P12ihipStream_tbEUlT_E1_NS1_11comp_targetILNS1_3genE9ELNS1_11target_archE1100ELNS1_3gpuE3ELNS1_3repE0EEENS1_30default_config_static_selectorELNS0_4arch9wavefront6targetE1EEEvS19_.num_agpr, 0
	.set _ZN7rocprim17ROCPRIM_400000_NS6detail17trampoline_kernelINS0_14default_configENS1_22reduce_config_selectorIN6thrust23THRUST_200600_302600_NS5tupleIblNS6_9null_typeES8_S8_S8_S8_S8_S8_S8_EEEEZNS1_11reduce_implILb1ES3_NS6_12zip_iteratorINS7_INS6_11hip_rocprim26transform_input_iterator_tIbPN3c104HalfENS6_6detail10functional5actorINSJ_9compositeIJNSJ_27transparent_binary_operatorINS6_8equal_toIvEEEENSK_INSJ_8argumentILj0EEEEENSJ_5valueISG_EEEEEEEEENSD_19counting_iterator_tIlEES8_S8_S8_S8_S8_S8_S8_S8_EEEEPS9_S9_NSD_9__find_if7functorIS9_EEEE10hipError_tPvRmT1_T2_T3_mT4_P12ihipStream_tbEUlT_E1_NS1_11comp_targetILNS1_3genE9ELNS1_11target_archE1100ELNS1_3gpuE3ELNS1_3repE0EEENS1_30default_config_static_selectorELNS0_4arch9wavefront6targetE1EEEvS19_.numbered_sgpr, 0
	.set _ZN7rocprim17ROCPRIM_400000_NS6detail17trampoline_kernelINS0_14default_configENS1_22reduce_config_selectorIN6thrust23THRUST_200600_302600_NS5tupleIblNS6_9null_typeES8_S8_S8_S8_S8_S8_S8_EEEEZNS1_11reduce_implILb1ES3_NS6_12zip_iteratorINS7_INS6_11hip_rocprim26transform_input_iterator_tIbPN3c104HalfENS6_6detail10functional5actorINSJ_9compositeIJNSJ_27transparent_binary_operatorINS6_8equal_toIvEEEENSK_INSJ_8argumentILj0EEEEENSJ_5valueISG_EEEEEEEEENSD_19counting_iterator_tIlEES8_S8_S8_S8_S8_S8_S8_S8_EEEEPS9_S9_NSD_9__find_if7functorIS9_EEEE10hipError_tPvRmT1_T2_T3_mT4_P12ihipStream_tbEUlT_E1_NS1_11comp_targetILNS1_3genE9ELNS1_11target_archE1100ELNS1_3gpuE3ELNS1_3repE0EEENS1_30default_config_static_selectorELNS0_4arch9wavefront6targetE1EEEvS19_.num_named_barrier, 0
	.set _ZN7rocprim17ROCPRIM_400000_NS6detail17trampoline_kernelINS0_14default_configENS1_22reduce_config_selectorIN6thrust23THRUST_200600_302600_NS5tupleIblNS6_9null_typeES8_S8_S8_S8_S8_S8_S8_EEEEZNS1_11reduce_implILb1ES3_NS6_12zip_iteratorINS7_INS6_11hip_rocprim26transform_input_iterator_tIbPN3c104HalfENS6_6detail10functional5actorINSJ_9compositeIJNSJ_27transparent_binary_operatorINS6_8equal_toIvEEEENSK_INSJ_8argumentILj0EEEEENSJ_5valueISG_EEEEEEEEENSD_19counting_iterator_tIlEES8_S8_S8_S8_S8_S8_S8_S8_EEEEPS9_S9_NSD_9__find_if7functorIS9_EEEE10hipError_tPvRmT1_T2_T3_mT4_P12ihipStream_tbEUlT_E1_NS1_11comp_targetILNS1_3genE9ELNS1_11target_archE1100ELNS1_3gpuE3ELNS1_3repE0EEENS1_30default_config_static_selectorELNS0_4arch9wavefront6targetE1EEEvS19_.private_seg_size, 0
	.set _ZN7rocprim17ROCPRIM_400000_NS6detail17trampoline_kernelINS0_14default_configENS1_22reduce_config_selectorIN6thrust23THRUST_200600_302600_NS5tupleIblNS6_9null_typeES8_S8_S8_S8_S8_S8_S8_EEEEZNS1_11reduce_implILb1ES3_NS6_12zip_iteratorINS7_INS6_11hip_rocprim26transform_input_iterator_tIbPN3c104HalfENS6_6detail10functional5actorINSJ_9compositeIJNSJ_27transparent_binary_operatorINS6_8equal_toIvEEEENSK_INSJ_8argumentILj0EEEEENSJ_5valueISG_EEEEEEEEENSD_19counting_iterator_tIlEES8_S8_S8_S8_S8_S8_S8_S8_EEEEPS9_S9_NSD_9__find_if7functorIS9_EEEE10hipError_tPvRmT1_T2_T3_mT4_P12ihipStream_tbEUlT_E1_NS1_11comp_targetILNS1_3genE9ELNS1_11target_archE1100ELNS1_3gpuE3ELNS1_3repE0EEENS1_30default_config_static_selectorELNS0_4arch9wavefront6targetE1EEEvS19_.uses_vcc, 0
	.set _ZN7rocprim17ROCPRIM_400000_NS6detail17trampoline_kernelINS0_14default_configENS1_22reduce_config_selectorIN6thrust23THRUST_200600_302600_NS5tupleIblNS6_9null_typeES8_S8_S8_S8_S8_S8_S8_EEEEZNS1_11reduce_implILb1ES3_NS6_12zip_iteratorINS7_INS6_11hip_rocprim26transform_input_iterator_tIbPN3c104HalfENS6_6detail10functional5actorINSJ_9compositeIJNSJ_27transparent_binary_operatorINS6_8equal_toIvEEEENSK_INSJ_8argumentILj0EEEEENSJ_5valueISG_EEEEEEEEENSD_19counting_iterator_tIlEES8_S8_S8_S8_S8_S8_S8_S8_EEEEPS9_S9_NSD_9__find_if7functorIS9_EEEE10hipError_tPvRmT1_T2_T3_mT4_P12ihipStream_tbEUlT_E1_NS1_11comp_targetILNS1_3genE9ELNS1_11target_archE1100ELNS1_3gpuE3ELNS1_3repE0EEENS1_30default_config_static_selectorELNS0_4arch9wavefront6targetE1EEEvS19_.uses_flat_scratch, 0
	.set _ZN7rocprim17ROCPRIM_400000_NS6detail17trampoline_kernelINS0_14default_configENS1_22reduce_config_selectorIN6thrust23THRUST_200600_302600_NS5tupleIblNS6_9null_typeES8_S8_S8_S8_S8_S8_S8_EEEEZNS1_11reduce_implILb1ES3_NS6_12zip_iteratorINS7_INS6_11hip_rocprim26transform_input_iterator_tIbPN3c104HalfENS6_6detail10functional5actorINSJ_9compositeIJNSJ_27transparent_binary_operatorINS6_8equal_toIvEEEENSK_INSJ_8argumentILj0EEEEENSJ_5valueISG_EEEEEEEEENSD_19counting_iterator_tIlEES8_S8_S8_S8_S8_S8_S8_S8_EEEEPS9_S9_NSD_9__find_if7functorIS9_EEEE10hipError_tPvRmT1_T2_T3_mT4_P12ihipStream_tbEUlT_E1_NS1_11comp_targetILNS1_3genE9ELNS1_11target_archE1100ELNS1_3gpuE3ELNS1_3repE0EEENS1_30default_config_static_selectorELNS0_4arch9wavefront6targetE1EEEvS19_.has_dyn_sized_stack, 0
	.set _ZN7rocprim17ROCPRIM_400000_NS6detail17trampoline_kernelINS0_14default_configENS1_22reduce_config_selectorIN6thrust23THRUST_200600_302600_NS5tupleIblNS6_9null_typeES8_S8_S8_S8_S8_S8_S8_EEEEZNS1_11reduce_implILb1ES3_NS6_12zip_iteratorINS7_INS6_11hip_rocprim26transform_input_iterator_tIbPN3c104HalfENS6_6detail10functional5actorINSJ_9compositeIJNSJ_27transparent_binary_operatorINS6_8equal_toIvEEEENSK_INSJ_8argumentILj0EEEEENSJ_5valueISG_EEEEEEEEENSD_19counting_iterator_tIlEES8_S8_S8_S8_S8_S8_S8_S8_EEEEPS9_S9_NSD_9__find_if7functorIS9_EEEE10hipError_tPvRmT1_T2_T3_mT4_P12ihipStream_tbEUlT_E1_NS1_11comp_targetILNS1_3genE9ELNS1_11target_archE1100ELNS1_3gpuE3ELNS1_3repE0EEENS1_30default_config_static_selectorELNS0_4arch9wavefront6targetE1EEEvS19_.has_recursion, 0
	.set _ZN7rocprim17ROCPRIM_400000_NS6detail17trampoline_kernelINS0_14default_configENS1_22reduce_config_selectorIN6thrust23THRUST_200600_302600_NS5tupleIblNS6_9null_typeES8_S8_S8_S8_S8_S8_S8_EEEEZNS1_11reduce_implILb1ES3_NS6_12zip_iteratorINS7_INS6_11hip_rocprim26transform_input_iterator_tIbPN3c104HalfENS6_6detail10functional5actorINSJ_9compositeIJNSJ_27transparent_binary_operatorINS6_8equal_toIvEEEENSK_INSJ_8argumentILj0EEEEENSJ_5valueISG_EEEEEEEEENSD_19counting_iterator_tIlEES8_S8_S8_S8_S8_S8_S8_S8_EEEEPS9_S9_NSD_9__find_if7functorIS9_EEEE10hipError_tPvRmT1_T2_T3_mT4_P12ihipStream_tbEUlT_E1_NS1_11comp_targetILNS1_3genE9ELNS1_11target_archE1100ELNS1_3gpuE3ELNS1_3repE0EEENS1_30default_config_static_selectorELNS0_4arch9wavefront6targetE1EEEvS19_.has_indirect_call, 0
	.section	.AMDGPU.csdata,"",@progbits
; Kernel info:
; codeLenInByte = 0
; TotalNumSgprs: 4
; NumVgprs: 0
; ScratchSize: 0
; MemoryBound: 0
; FloatMode: 240
; IeeeMode: 1
; LDSByteSize: 0 bytes/workgroup (compile time only)
; SGPRBlocks: 0
; VGPRBlocks: 0
; NumSGPRsForWavesPerEU: 4
; NumVGPRsForWavesPerEU: 1
; Occupancy: 10
; WaveLimiterHint : 0
; COMPUTE_PGM_RSRC2:SCRATCH_EN: 0
; COMPUTE_PGM_RSRC2:USER_SGPR: 6
; COMPUTE_PGM_RSRC2:TRAP_HANDLER: 0
; COMPUTE_PGM_RSRC2:TGID_X_EN: 1
; COMPUTE_PGM_RSRC2:TGID_Y_EN: 0
; COMPUTE_PGM_RSRC2:TGID_Z_EN: 0
; COMPUTE_PGM_RSRC2:TIDIG_COMP_CNT: 0
	.section	.text._ZN7rocprim17ROCPRIM_400000_NS6detail17trampoline_kernelINS0_14default_configENS1_22reduce_config_selectorIN6thrust23THRUST_200600_302600_NS5tupleIblNS6_9null_typeES8_S8_S8_S8_S8_S8_S8_EEEEZNS1_11reduce_implILb1ES3_NS6_12zip_iteratorINS7_INS6_11hip_rocprim26transform_input_iterator_tIbPN3c104HalfENS6_6detail10functional5actorINSJ_9compositeIJNSJ_27transparent_binary_operatorINS6_8equal_toIvEEEENSK_INSJ_8argumentILj0EEEEENSJ_5valueISG_EEEEEEEEENSD_19counting_iterator_tIlEES8_S8_S8_S8_S8_S8_S8_S8_EEEEPS9_S9_NSD_9__find_if7functorIS9_EEEE10hipError_tPvRmT1_T2_T3_mT4_P12ihipStream_tbEUlT_E1_NS1_11comp_targetILNS1_3genE8ELNS1_11target_archE1030ELNS1_3gpuE2ELNS1_3repE0EEENS1_30default_config_static_selectorELNS0_4arch9wavefront6targetE1EEEvS19_,"axG",@progbits,_ZN7rocprim17ROCPRIM_400000_NS6detail17trampoline_kernelINS0_14default_configENS1_22reduce_config_selectorIN6thrust23THRUST_200600_302600_NS5tupleIblNS6_9null_typeES8_S8_S8_S8_S8_S8_S8_EEEEZNS1_11reduce_implILb1ES3_NS6_12zip_iteratorINS7_INS6_11hip_rocprim26transform_input_iterator_tIbPN3c104HalfENS6_6detail10functional5actorINSJ_9compositeIJNSJ_27transparent_binary_operatorINS6_8equal_toIvEEEENSK_INSJ_8argumentILj0EEEEENSJ_5valueISG_EEEEEEEEENSD_19counting_iterator_tIlEES8_S8_S8_S8_S8_S8_S8_S8_EEEEPS9_S9_NSD_9__find_if7functorIS9_EEEE10hipError_tPvRmT1_T2_T3_mT4_P12ihipStream_tbEUlT_E1_NS1_11comp_targetILNS1_3genE8ELNS1_11target_archE1030ELNS1_3gpuE2ELNS1_3repE0EEENS1_30default_config_static_selectorELNS0_4arch9wavefront6targetE1EEEvS19_,comdat
	.protected	_ZN7rocprim17ROCPRIM_400000_NS6detail17trampoline_kernelINS0_14default_configENS1_22reduce_config_selectorIN6thrust23THRUST_200600_302600_NS5tupleIblNS6_9null_typeES8_S8_S8_S8_S8_S8_S8_EEEEZNS1_11reduce_implILb1ES3_NS6_12zip_iteratorINS7_INS6_11hip_rocprim26transform_input_iterator_tIbPN3c104HalfENS6_6detail10functional5actorINSJ_9compositeIJNSJ_27transparent_binary_operatorINS6_8equal_toIvEEEENSK_INSJ_8argumentILj0EEEEENSJ_5valueISG_EEEEEEEEENSD_19counting_iterator_tIlEES8_S8_S8_S8_S8_S8_S8_S8_EEEEPS9_S9_NSD_9__find_if7functorIS9_EEEE10hipError_tPvRmT1_T2_T3_mT4_P12ihipStream_tbEUlT_E1_NS1_11comp_targetILNS1_3genE8ELNS1_11target_archE1030ELNS1_3gpuE2ELNS1_3repE0EEENS1_30default_config_static_selectorELNS0_4arch9wavefront6targetE1EEEvS19_ ; -- Begin function _ZN7rocprim17ROCPRIM_400000_NS6detail17trampoline_kernelINS0_14default_configENS1_22reduce_config_selectorIN6thrust23THRUST_200600_302600_NS5tupleIblNS6_9null_typeES8_S8_S8_S8_S8_S8_S8_EEEEZNS1_11reduce_implILb1ES3_NS6_12zip_iteratorINS7_INS6_11hip_rocprim26transform_input_iterator_tIbPN3c104HalfENS6_6detail10functional5actorINSJ_9compositeIJNSJ_27transparent_binary_operatorINS6_8equal_toIvEEEENSK_INSJ_8argumentILj0EEEEENSJ_5valueISG_EEEEEEEEENSD_19counting_iterator_tIlEES8_S8_S8_S8_S8_S8_S8_S8_EEEEPS9_S9_NSD_9__find_if7functorIS9_EEEE10hipError_tPvRmT1_T2_T3_mT4_P12ihipStream_tbEUlT_E1_NS1_11comp_targetILNS1_3genE8ELNS1_11target_archE1030ELNS1_3gpuE2ELNS1_3repE0EEENS1_30default_config_static_selectorELNS0_4arch9wavefront6targetE1EEEvS19_
	.globl	_ZN7rocprim17ROCPRIM_400000_NS6detail17trampoline_kernelINS0_14default_configENS1_22reduce_config_selectorIN6thrust23THRUST_200600_302600_NS5tupleIblNS6_9null_typeES8_S8_S8_S8_S8_S8_S8_EEEEZNS1_11reduce_implILb1ES3_NS6_12zip_iteratorINS7_INS6_11hip_rocprim26transform_input_iterator_tIbPN3c104HalfENS6_6detail10functional5actorINSJ_9compositeIJNSJ_27transparent_binary_operatorINS6_8equal_toIvEEEENSK_INSJ_8argumentILj0EEEEENSJ_5valueISG_EEEEEEEEENSD_19counting_iterator_tIlEES8_S8_S8_S8_S8_S8_S8_S8_EEEEPS9_S9_NSD_9__find_if7functorIS9_EEEE10hipError_tPvRmT1_T2_T3_mT4_P12ihipStream_tbEUlT_E1_NS1_11comp_targetILNS1_3genE8ELNS1_11target_archE1030ELNS1_3gpuE2ELNS1_3repE0EEENS1_30default_config_static_selectorELNS0_4arch9wavefront6targetE1EEEvS19_
	.p2align	8
	.type	_ZN7rocprim17ROCPRIM_400000_NS6detail17trampoline_kernelINS0_14default_configENS1_22reduce_config_selectorIN6thrust23THRUST_200600_302600_NS5tupleIblNS6_9null_typeES8_S8_S8_S8_S8_S8_S8_EEEEZNS1_11reduce_implILb1ES3_NS6_12zip_iteratorINS7_INS6_11hip_rocprim26transform_input_iterator_tIbPN3c104HalfENS6_6detail10functional5actorINSJ_9compositeIJNSJ_27transparent_binary_operatorINS6_8equal_toIvEEEENSK_INSJ_8argumentILj0EEEEENSJ_5valueISG_EEEEEEEEENSD_19counting_iterator_tIlEES8_S8_S8_S8_S8_S8_S8_S8_EEEEPS9_S9_NSD_9__find_if7functorIS9_EEEE10hipError_tPvRmT1_T2_T3_mT4_P12ihipStream_tbEUlT_E1_NS1_11comp_targetILNS1_3genE8ELNS1_11target_archE1030ELNS1_3gpuE2ELNS1_3repE0EEENS1_30default_config_static_selectorELNS0_4arch9wavefront6targetE1EEEvS19_,@function
_ZN7rocprim17ROCPRIM_400000_NS6detail17trampoline_kernelINS0_14default_configENS1_22reduce_config_selectorIN6thrust23THRUST_200600_302600_NS5tupleIblNS6_9null_typeES8_S8_S8_S8_S8_S8_S8_EEEEZNS1_11reduce_implILb1ES3_NS6_12zip_iteratorINS7_INS6_11hip_rocprim26transform_input_iterator_tIbPN3c104HalfENS6_6detail10functional5actorINSJ_9compositeIJNSJ_27transparent_binary_operatorINS6_8equal_toIvEEEENSK_INSJ_8argumentILj0EEEEENSJ_5valueISG_EEEEEEEEENSD_19counting_iterator_tIlEES8_S8_S8_S8_S8_S8_S8_S8_EEEEPS9_S9_NSD_9__find_if7functorIS9_EEEE10hipError_tPvRmT1_T2_T3_mT4_P12ihipStream_tbEUlT_E1_NS1_11comp_targetILNS1_3genE8ELNS1_11target_archE1030ELNS1_3gpuE2ELNS1_3repE0EEENS1_30default_config_static_selectorELNS0_4arch9wavefront6targetE1EEEvS19_: ; @_ZN7rocprim17ROCPRIM_400000_NS6detail17trampoline_kernelINS0_14default_configENS1_22reduce_config_selectorIN6thrust23THRUST_200600_302600_NS5tupleIblNS6_9null_typeES8_S8_S8_S8_S8_S8_S8_EEEEZNS1_11reduce_implILb1ES3_NS6_12zip_iteratorINS7_INS6_11hip_rocprim26transform_input_iterator_tIbPN3c104HalfENS6_6detail10functional5actorINSJ_9compositeIJNSJ_27transparent_binary_operatorINS6_8equal_toIvEEEENSK_INSJ_8argumentILj0EEEEENSJ_5valueISG_EEEEEEEEENSD_19counting_iterator_tIlEES8_S8_S8_S8_S8_S8_S8_S8_EEEEPS9_S9_NSD_9__find_if7functorIS9_EEEE10hipError_tPvRmT1_T2_T3_mT4_P12ihipStream_tbEUlT_E1_NS1_11comp_targetILNS1_3genE8ELNS1_11target_archE1030ELNS1_3gpuE2ELNS1_3repE0EEENS1_30default_config_static_selectorELNS0_4arch9wavefront6targetE1EEEvS19_
; %bb.0:
	.section	.rodata,"a",@progbits
	.p2align	6, 0x0
	.amdhsa_kernel _ZN7rocprim17ROCPRIM_400000_NS6detail17trampoline_kernelINS0_14default_configENS1_22reduce_config_selectorIN6thrust23THRUST_200600_302600_NS5tupleIblNS6_9null_typeES8_S8_S8_S8_S8_S8_S8_EEEEZNS1_11reduce_implILb1ES3_NS6_12zip_iteratorINS7_INS6_11hip_rocprim26transform_input_iterator_tIbPN3c104HalfENS6_6detail10functional5actorINSJ_9compositeIJNSJ_27transparent_binary_operatorINS6_8equal_toIvEEEENSK_INSJ_8argumentILj0EEEEENSJ_5valueISG_EEEEEEEEENSD_19counting_iterator_tIlEES8_S8_S8_S8_S8_S8_S8_S8_EEEEPS9_S9_NSD_9__find_if7functorIS9_EEEE10hipError_tPvRmT1_T2_T3_mT4_P12ihipStream_tbEUlT_E1_NS1_11comp_targetILNS1_3genE8ELNS1_11target_archE1030ELNS1_3gpuE2ELNS1_3repE0EEENS1_30default_config_static_selectorELNS0_4arch9wavefront6targetE1EEEvS19_
		.amdhsa_group_segment_fixed_size 0
		.amdhsa_private_segment_fixed_size 0
		.amdhsa_kernarg_size 72
		.amdhsa_user_sgpr_count 6
		.amdhsa_user_sgpr_private_segment_buffer 1
		.amdhsa_user_sgpr_dispatch_ptr 0
		.amdhsa_user_sgpr_queue_ptr 0
		.amdhsa_user_sgpr_kernarg_segment_ptr 1
		.amdhsa_user_sgpr_dispatch_id 0
		.amdhsa_user_sgpr_flat_scratch_init 0
		.amdhsa_user_sgpr_private_segment_size 0
		.amdhsa_uses_dynamic_stack 0
		.amdhsa_system_sgpr_private_segment_wavefront_offset 0
		.amdhsa_system_sgpr_workgroup_id_x 1
		.amdhsa_system_sgpr_workgroup_id_y 0
		.amdhsa_system_sgpr_workgroup_id_z 0
		.amdhsa_system_sgpr_workgroup_info 0
		.amdhsa_system_vgpr_workitem_id 0
		.amdhsa_next_free_vgpr 1
		.amdhsa_next_free_sgpr 0
		.amdhsa_reserve_vcc 0
		.amdhsa_reserve_flat_scratch 0
		.amdhsa_float_round_mode_32 0
		.amdhsa_float_round_mode_16_64 0
		.amdhsa_float_denorm_mode_32 3
		.amdhsa_float_denorm_mode_16_64 3
		.amdhsa_dx10_clamp 1
		.amdhsa_ieee_mode 1
		.amdhsa_fp16_overflow 0
		.amdhsa_exception_fp_ieee_invalid_op 0
		.amdhsa_exception_fp_denorm_src 0
		.amdhsa_exception_fp_ieee_div_zero 0
		.amdhsa_exception_fp_ieee_overflow 0
		.amdhsa_exception_fp_ieee_underflow 0
		.amdhsa_exception_fp_ieee_inexact 0
		.amdhsa_exception_int_div_zero 0
	.end_amdhsa_kernel
	.section	.text._ZN7rocprim17ROCPRIM_400000_NS6detail17trampoline_kernelINS0_14default_configENS1_22reduce_config_selectorIN6thrust23THRUST_200600_302600_NS5tupleIblNS6_9null_typeES8_S8_S8_S8_S8_S8_S8_EEEEZNS1_11reduce_implILb1ES3_NS6_12zip_iteratorINS7_INS6_11hip_rocprim26transform_input_iterator_tIbPN3c104HalfENS6_6detail10functional5actorINSJ_9compositeIJNSJ_27transparent_binary_operatorINS6_8equal_toIvEEEENSK_INSJ_8argumentILj0EEEEENSJ_5valueISG_EEEEEEEEENSD_19counting_iterator_tIlEES8_S8_S8_S8_S8_S8_S8_S8_EEEEPS9_S9_NSD_9__find_if7functorIS9_EEEE10hipError_tPvRmT1_T2_T3_mT4_P12ihipStream_tbEUlT_E1_NS1_11comp_targetILNS1_3genE8ELNS1_11target_archE1030ELNS1_3gpuE2ELNS1_3repE0EEENS1_30default_config_static_selectorELNS0_4arch9wavefront6targetE1EEEvS19_,"axG",@progbits,_ZN7rocprim17ROCPRIM_400000_NS6detail17trampoline_kernelINS0_14default_configENS1_22reduce_config_selectorIN6thrust23THRUST_200600_302600_NS5tupleIblNS6_9null_typeES8_S8_S8_S8_S8_S8_S8_EEEEZNS1_11reduce_implILb1ES3_NS6_12zip_iteratorINS7_INS6_11hip_rocprim26transform_input_iterator_tIbPN3c104HalfENS6_6detail10functional5actorINSJ_9compositeIJNSJ_27transparent_binary_operatorINS6_8equal_toIvEEEENSK_INSJ_8argumentILj0EEEEENSJ_5valueISG_EEEEEEEEENSD_19counting_iterator_tIlEES8_S8_S8_S8_S8_S8_S8_S8_EEEEPS9_S9_NSD_9__find_if7functorIS9_EEEE10hipError_tPvRmT1_T2_T3_mT4_P12ihipStream_tbEUlT_E1_NS1_11comp_targetILNS1_3genE8ELNS1_11target_archE1030ELNS1_3gpuE2ELNS1_3repE0EEENS1_30default_config_static_selectorELNS0_4arch9wavefront6targetE1EEEvS19_,comdat
.Lfunc_end2251:
	.size	_ZN7rocprim17ROCPRIM_400000_NS6detail17trampoline_kernelINS0_14default_configENS1_22reduce_config_selectorIN6thrust23THRUST_200600_302600_NS5tupleIblNS6_9null_typeES8_S8_S8_S8_S8_S8_S8_EEEEZNS1_11reduce_implILb1ES3_NS6_12zip_iteratorINS7_INS6_11hip_rocprim26transform_input_iterator_tIbPN3c104HalfENS6_6detail10functional5actorINSJ_9compositeIJNSJ_27transparent_binary_operatorINS6_8equal_toIvEEEENSK_INSJ_8argumentILj0EEEEENSJ_5valueISG_EEEEEEEEENSD_19counting_iterator_tIlEES8_S8_S8_S8_S8_S8_S8_S8_EEEEPS9_S9_NSD_9__find_if7functorIS9_EEEE10hipError_tPvRmT1_T2_T3_mT4_P12ihipStream_tbEUlT_E1_NS1_11comp_targetILNS1_3genE8ELNS1_11target_archE1030ELNS1_3gpuE2ELNS1_3repE0EEENS1_30default_config_static_selectorELNS0_4arch9wavefront6targetE1EEEvS19_, .Lfunc_end2251-_ZN7rocprim17ROCPRIM_400000_NS6detail17trampoline_kernelINS0_14default_configENS1_22reduce_config_selectorIN6thrust23THRUST_200600_302600_NS5tupleIblNS6_9null_typeES8_S8_S8_S8_S8_S8_S8_EEEEZNS1_11reduce_implILb1ES3_NS6_12zip_iteratorINS7_INS6_11hip_rocprim26transform_input_iterator_tIbPN3c104HalfENS6_6detail10functional5actorINSJ_9compositeIJNSJ_27transparent_binary_operatorINS6_8equal_toIvEEEENSK_INSJ_8argumentILj0EEEEENSJ_5valueISG_EEEEEEEEENSD_19counting_iterator_tIlEES8_S8_S8_S8_S8_S8_S8_S8_EEEEPS9_S9_NSD_9__find_if7functorIS9_EEEE10hipError_tPvRmT1_T2_T3_mT4_P12ihipStream_tbEUlT_E1_NS1_11comp_targetILNS1_3genE8ELNS1_11target_archE1030ELNS1_3gpuE2ELNS1_3repE0EEENS1_30default_config_static_selectorELNS0_4arch9wavefront6targetE1EEEvS19_
                                        ; -- End function
	.set _ZN7rocprim17ROCPRIM_400000_NS6detail17trampoline_kernelINS0_14default_configENS1_22reduce_config_selectorIN6thrust23THRUST_200600_302600_NS5tupleIblNS6_9null_typeES8_S8_S8_S8_S8_S8_S8_EEEEZNS1_11reduce_implILb1ES3_NS6_12zip_iteratorINS7_INS6_11hip_rocprim26transform_input_iterator_tIbPN3c104HalfENS6_6detail10functional5actorINSJ_9compositeIJNSJ_27transparent_binary_operatorINS6_8equal_toIvEEEENSK_INSJ_8argumentILj0EEEEENSJ_5valueISG_EEEEEEEEENSD_19counting_iterator_tIlEES8_S8_S8_S8_S8_S8_S8_S8_EEEEPS9_S9_NSD_9__find_if7functorIS9_EEEE10hipError_tPvRmT1_T2_T3_mT4_P12ihipStream_tbEUlT_E1_NS1_11comp_targetILNS1_3genE8ELNS1_11target_archE1030ELNS1_3gpuE2ELNS1_3repE0EEENS1_30default_config_static_selectorELNS0_4arch9wavefront6targetE1EEEvS19_.num_vgpr, 0
	.set _ZN7rocprim17ROCPRIM_400000_NS6detail17trampoline_kernelINS0_14default_configENS1_22reduce_config_selectorIN6thrust23THRUST_200600_302600_NS5tupleIblNS6_9null_typeES8_S8_S8_S8_S8_S8_S8_EEEEZNS1_11reduce_implILb1ES3_NS6_12zip_iteratorINS7_INS6_11hip_rocprim26transform_input_iterator_tIbPN3c104HalfENS6_6detail10functional5actorINSJ_9compositeIJNSJ_27transparent_binary_operatorINS6_8equal_toIvEEEENSK_INSJ_8argumentILj0EEEEENSJ_5valueISG_EEEEEEEEENSD_19counting_iterator_tIlEES8_S8_S8_S8_S8_S8_S8_S8_EEEEPS9_S9_NSD_9__find_if7functorIS9_EEEE10hipError_tPvRmT1_T2_T3_mT4_P12ihipStream_tbEUlT_E1_NS1_11comp_targetILNS1_3genE8ELNS1_11target_archE1030ELNS1_3gpuE2ELNS1_3repE0EEENS1_30default_config_static_selectorELNS0_4arch9wavefront6targetE1EEEvS19_.num_agpr, 0
	.set _ZN7rocprim17ROCPRIM_400000_NS6detail17trampoline_kernelINS0_14default_configENS1_22reduce_config_selectorIN6thrust23THRUST_200600_302600_NS5tupleIblNS6_9null_typeES8_S8_S8_S8_S8_S8_S8_EEEEZNS1_11reduce_implILb1ES3_NS6_12zip_iteratorINS7_INS6_11hip_rocprim26transform_input_iterator_tIbPN3c104HalfENS6_6detail10functional5actorINSJ_9compositeIJNSJ_27transparent_binary_operatorINS6_8equal_toIvEEEENSK_INSJ_8argumentILj0EEEEENSJ_5valueISG_EEEEEEEEENSD_19counting_iterator_tIlEES8_S8_S8_S8_S8_S8_S8_S8_EEEEPS9_S9_NSD_9__find_if7functorIS9_EEEE10hipError_tPvRmT1_T2_T3_mT4_P12ihipStream_tbEUlT_E1_NS1_11comp_targetILNS1_3genE8ELNS1_11target_archE1030ELNS1_3gpuE2ELNS1_3repE0EEENS1_30default_config_static_selectorELNS0_4arch9wavefront6targetE1EEEvS19_.numbered_sgpr, 0
	.set _ZN7rocprim17ROCPRIM_400000_NS6detail17trampoline_kernelINS0_14default_configENS1_22reduce_config_selectorIN6thrust23THRUST_200600_302600_NS5tupleIblNS6_9null_typeES8_S8_S8_S8_S8_S8_S8_EEEEZNS1_11reduce_implILb1ES3_NS6_12zip_iteratorINS7_INS6_11hip_rocprim26transform_input_iterator_tIbPN3c104HalfENS6_6detail10functional5actorINSJ_9compositeIJNSJ_27transparent_binary_operatorINS6_8equal_toIvEEEENSK_INSJ_8argumentILj0EEEEENSJ_5valueISG_EEEEEEEEENSD_19counting_iterator_tIlEES8_S8_S8_S8_S8_S8_S8_S8_EEEEPS9_S9_NSD_9__find_if7functorIS9_EEEE10hipError_tPvRmT1_T2_T3_mT4_P12ihipStream_tbEUlT_E1_NS1_11comp_targetILNS1_3genE8ELNS1_11target_archE1030ELNS1_3gpuE2ELNS1_3repE0EEENS1_30default_config_static_selectorELNS0_4arch9wavefront6targetE1EEEvS19_.num_named_barrier, 0
	.set _ZN7rocprim17ROCPRIM_400000_NS6detail17trampoline_kernelINS0_14default_configENS1_22reduce_config_selectorIN6thrust23THRUST_200600_302600_NS5tupleIblNS6_9null_typeES8_S8_S8_S8_S8_S8_S8_EEEEZNS1_11reduce_implILb1ES3_NS6_12zip_iteratorINS7_INS6_11hip_rocprim26transform_input_iterator_tIbPN3c104HalfENS6_6detail10functional5actorINSJ_9compositeIJNSJ_27transparent_binary_operatorINS6_8equal_toIvEEEENSK_INSJ_8argumentILj0EEEEENSJ_5valueISG_EEEEEEEEENSD_19counting_iterator_tIlEES8_S8_S8_S8_S8_S8_S8_S8_EEEEPS9_S9_NSD_9__find_if7functorIS9_EEEE10hipError_tPvRmT1_T2_T3_mT4_P12ihipStream_tbEUlT_E1_NS1_11comp_targetILNS1_3genE8ELNS1_11target_archE1030ELNS1_3gpuE2ELNS1_3repE0EEENS1_30default_config_static_selectorELNS0_4arch9wavefront6targetE1EEEvS19_.private_seg_size, 0
	.set _ZN7rocprim17ROCPRIM_400000_NS6detail17trampoline_kernelINS0_14default_configENS1_22reduce_config_selectorIN6thrust23THRUST_200600_302600_NS5tupleIblNS6_9null_typeES8_S8_S8_S8_S8_S8_S8_EEEEZNS1_11reduce_implILb1ES3_NS6_12zip_iteratorINS7_INS6_11hip_rocprim26transform_input_iterator_tIbPN3c104HalfENS6_6detail10functional5actorINSJ_9compositeIJNSJ_27transparent_binary_operatorINS6_8equal_toIvEEEENSK_INSJ_8argumentILj0EEEEENSJ_5valueISG_EEEEEEEEENSD_19counting_iterator_tIlEES8_S8_S8_S8_S8_S8_S8_S8_EEEEPS9_S9_NSD_9__find_if7functorIS9_EEEE10hipError_tPvRmT1_T2_T3_mT4_P12ihipStream_tbEUlT_E1_NS1_11comp_targetILNS1_3genE8ELNS1_11target_archE1030ELNS1_3gpuE2ELNS1_3repE0EEENS1_30default_config_static_selectorELNS0_4arch9wavefront6targetE1EEEvS19_.uses_vcc, 0
	.set _ZN7rocprim17ROCPRIM_400000_NS6detail17trampoline_kernelINS0_14default_configENS1_22reduce_config_selectorIN6thrust23THRUST_200600_302600_NS5tupleIblNS6_9null_typeES8_S8_S8_S8_S8_S8_S8_EEEEZNS1_11reduce_implILb1ES3_NS6_12zip_iteratorINS7_INS6_11hip_rocprim26transform_input_iterator_tIbPN3c104HalfENS6_6detail10functional5actorINSJ_9compositeIJNSJ_27transparent_binary_operatorINS6_8equal_toIvEEEENSK_INSJ_8argumentILj0EEEEENSJ_5valueISG_EEEEEEEEENSD_19counting_iterator_tIlEES8_S8_S8_S8_S8_S8_S8_S8_EEEEPS9_S9_NSD_9__find_if7functorIS9_EEEE10hipError_tPvRmT1_T2_T3_mT4_P12ihipStream_tbEUlT_E1_NS1_11comp_targetILNS1_3genE8ELNS1_11target_archE1030ELNS1_3gpuE2ELNS1_3repE0EEENS1_30default_config_static_selectorELNS0_4arch9wavefront6targetE1EEEvS19_.uses_flat_scratch, 0
	.set _ZN7rocprim17ROCPRIM_400000_NS6detail17trampoline_kernelINS0_14default_configENS1_22reduce_config_selectorIN6thrust23THRUST_200600_302600_NS5tupleIblNS6_9null_typeES8_S8_S8_S8_S8_S8_S8_EEEEZNS1_11reduce_implILb1ES3_NS6_12zip_iteratorINS7_INS6_11hip_rocprim26transform_input_iterator_tIbPN3c104HalfENS6_6detail10functional5actorINSJ_9compositeIJNSJ_27transparent_binary_operatorINS6_8equal_toIvEEEENSK_INSJ_8argumentILj0EEEEENSJ_5valueISG_EEEEEEEEENSD_19counting_iterator_tIlEES8_S8_S8_S8_S8_S8_S8_S8_EEEEPS9_S9_NSD_9__find_if7functorIS9_EEEE10hipError_tPvRmT1_T2_T3_mT4_P12ihipStream_tbEUlT_E1_NS1_11comp_targetILNS1_3genE8ELNS1_11target_archE1030ELNS1_3gpuE2ELNS1_3repE0EEENS1_30default_config_static_selectorELNS0_4arch9wavefront6targetE1EEEvS19_.has_dyn_sized_stack, 0
	.set _ZN7rocprim17ROCPRIM_400000_NS6detail17trampoline_kernelINS0_14default_configENS1_22reduce_config_selectorIN6thrust23THRUST_200600_302600_NS5tupleIblNS6_9null_typeES8_S8_S8_S8_S8_S8_S8_EEEEZNS1_11reduce_implILb1ES3_NS6_12zip_iteratorINS7_INS6_11hip_rocprim26transform_input_iterator_tIbPN3c104HalfENS6_6detail10functional5actorINSJ_9compositeIJNSJ_27transparent_binary_operatorINS6_8equal_toIvEEEENSK_INSJ_8argumentILj0EEEEENSJ_5valueISG_EEEEEEEEENSD_19counting_iterator_tIlEES8_S8_S8_S8_S8_S8_S8_S8_EEEEPS9_S9_NSD_9__find_if7functorIS9_EEEE10hipError_tPvRmT1_T2_T3_mT4_P12ihipStream_tbEUlT_E1_NS1_11comp_targetILNS1_3genE8ELNS1_11target_archE1030ELNS1_3gpuE2ELNS1_3repE0EEENS1_30default_config_static_selectorELNS0_4arch9wavefront6targetE1EEEvS19_.has_recursion, 0
	.set _ZN7rocprim17ROCPRIM_400000_NS6detail17trampoline_kernelINS0_14default_configENS1_22reduce_config_selectorIN6thrust23THRUST_200600_302600_NS5tupleIblNS6_9null_typeES8_S8_S8_S8_S8_S8_S8_EEEEZNS1_11reduce_implILb1ES3_NS6_12zip_iteratorINS7_INS6_11hip_rocprim26transform_input_iterator_tIbPN3c104HalfENS6_6detail10functional5actorINSJ_9compositeIJNSJ_27transparent_binary_operatorINS6_8equal_toIvEEEENSK_INSJ_8argumentILj0EEEEENSJ_5valueISG_EEEEEEEEENSD_19counting_iterator_tIlEES8_S8_S8_S8_S8_S8_S8_S8_EEEEPS9_S9_NSD_9__find_if7functorIS9_EEEE10hipError_tPvRmT1_T2_T3_mT4_P12ihipStream_tbEUlT_E1_NS1_11comp_targetILNS1_3genE8ELNS1_11target_archE1030ELNS1_3gpuE2ELNS1_3repE0EEENS1_30default_config_static_selectorELNS0_4arch9wavefront6targetE1EEEvS19_.has_indirect_call, 0
	.section	.AMDGPU.csdata,"",@progbits
; Kernel info:
; codeLenInByte = 0
; TotalNumSgprs: 4
; NumVgprs: 0
; ScratchSize: 0
; MemoryBound: 0
; FloatMode: 240
; IeeeMode: 1
; LDSByteSize: 0 bytes/workgroup (compile time only)
; SGPRBlocks: 0
; VGPRBlocks: 0
; NumSGPRsForWavesPerEU: 4
; NumVGPRsForWavesPerEU: 1
; Occupancy: 10
; WaveLimiterHint : 0
; COMPUTE_PGM_RSRC2:SCRATCH_EN: 0
; COMPUTE_PGM_RSRC2:USER_SGPR: 6
; COMPUTE_PGM_RSRC2:TRAP_HANDLER: 0
; COMPUTE_PGM_RSRC2:TGID_X_EN: 1
; COMPUTE_PGM_RSRC2:TGID_Y_EN: 0
; COMPUTE_PGM_RSRC2:TGID_Z_EN: 0
; COMPUTE_PGM_RSRC2:TIDIG_COMP_CNT: 0
	.section	.AMDGPU.gpr_maximums,"",@progbits
	.set amdgpu.max_num_vgpr, 0
	.set amdgpu.max_num_agpr, 0
	.set amdgpu.max_num_sgpr, 0
	.section	.AMDGPU.csdata,"",@progbits
	.protected	_ZN7rocprim17ROCPRIM_400000_NS16block_radix_sortIhLj256ELj4ElLj1ELj1ELj0ELNS0_26block_radix_rank_algorithmE1ELNS0_18block_padding_hintE2ELNS0_4arch9wavefront6targetE1EE19radix_bits_per_passE ; @_ZN7rocprim17ROCPRIM_400000_NS16block_radix_sortIhLj256ELj4ElLj1ELj1ELj0ELNS0_26block_radix_rank_algorithmE1ELNS0_18block_padding_hintE2ELNS0_4arch9wavefront6targetE1EE19radix_bits_per_passE
	.type	_ZN7rocprim17ROCPRIM_400000_NS16block_radix_sortIhLj256ELj4ElLj1ELj1ELj0ELNS0_26block_radix_rank_algorithmE1ELNS0_18block_padding_hintE2ELNS0_4arch9wavefront6targetE1EE19radix_bits_per_passE,@object
	.section	.rodata._ZN7rocprim17ROCPRIM_400000_NS16block_radix_sortIhLj256ELj4ElLj1ELj1ELj0ELNS0_26block_radix_rank_algorithmE1ELNS0_18block_padding_hintE2ELNS0_4arch9wavefront6targetE1EE19radix_bits_per_passE,"aG",@progbits,_ZN7rocprim17ROCPRIM_400000_NS16block_radix_sortIhLj256ELj4ElLj1ELj1ELj0ELNS0_26block_radix_rank_algorithmE1ELNS0_18block_padding_hintE2ELNS0_4arch9wavefront6targetE1EE19radix_bits_per_passE,comdat
	.weak	_ZN7rocprim17ROCPRIM_400000_NS16block_radix_sortIhLj256ELj4ElLj1ELj1ELj0ELNS0_26block_radix_rank_algorithmE1ELNS0_18block_padding_hintE2ELNS0_4arch9wavefront6targetE1EE19radix_bits_per_passE
	.p2align	2, 0x0
_ZN7rocprim17ROCPRIM_400000_NS16block_radix_sortIhLj256ELj4ElLj1ELj1ELj0ELNS0_26block_radix_rank_algorithmE1ELNS0_18block_padding_hintE2ELNS0_4arch9wavefront6targetE1EE19radix_bits_per_passE:
	.long	8                               ; 0x8
	.size	_ZN7rocprim17ROCPRIM_400000_NS16block_radix_sortIhLj256ELj4ElLj1ELj1ELj0ELNS0_26block_radix_rank_algorithmE1ELNS0_18block_padding_hintE2ELNS0_4arch9wavefront6targetE1EE19radix_bits_per_passE, 4

	.protected	_ZN7rocprim17ROCPRIM_400000_NS16block_radix_sortIaLj256ELj4ElLj1ELj1ELj0ELNS0_26block_radix_rank_algorithmE1ELNS0_18block_padding_hintE2ELNS0_4arch9wavefront6targetE1EE19radix_bits_per_passE ; @_ZN7rocprim17ROCPRIM_400000_NS16block_radix_sortIaLj256ELj4ElLj1ELj1ELj0ELNS0_26block_radix_rank_algorithmE1ELNS0_18block_padding_hintE2ELNS0_4arch9wavefront6targetE1EE19radix_bits_per_passE
	.type	_ZN7rocprim17ROCPRIM_400000_NS16block_radix_sortIaLj256ELj4ElLj1ELj1ELj0ELNS0_26block_radix_rank_algorithmE1ELNS0_18block_padding_hintE2ELNS0_4arch9wavefront6targetE1EE19radix_bits_per_passE,@object
	.section	.rodata._ZN7rocprim17ROCPRIM_400000_NS16block_radix_sortIaLj256ELj4ElLj1ELj1ELj0ELNS0_26block_radix_rank_algorithmE1ELNS0_18block_padding_hintE2ELNS0_4arch9wavefront6targetE1EE19radix_bits_per_passE,"aG",@progbits,_ZN7rocprim17ROCPRIM_400000_NS16block_radix_sortIaLj256ELj4ElLj1ELj1ELj0ELNS0_26block_radix_rank_algorithmE1ELNS0_18block_padding_hintE2ELNS0_4arch9wavefront6targetE1EE19radix_bits_per_passE,comdat
	.weak	_ZN7rocprim17ROCPRIM_400000_NS16block_radix_sortIaLj256ELj4ElLj1ELj1ELj0ELNS0_26block_radix_rank_algorithmE1ELNS0_18block_padding_hintE2ELNS0_4arch9wavefront6targetE1EE19radix_bits_per_passE
	.p2align	2, 0x0
_ZN7rocprim17ROCPRIM_400000_NS16block_radix_sortIaLj256ELj4ElLj1ELj1ELj0ELNS0_26block_radix_rank_algorithmE1ELNS0_18block_padding_hintE2ELNS0_4arch9wavefront6targetE1EE19radix_bits_per_passE:
	.long	8                               ; 0x8
	.size	_ZN7rocprim17ROCPRIM_400000_NS16block_radix_sortIaLj256ELj4ElLj1ELj1ELj0ELNS0_26block_radix_rank_algorithmE1ELNS0_18block_padding_hintE2ELNS0_4arch9wavefront6targetE1EE19radix_bits_per_passE, 4

	.protected	_ZN7rocprim17ROCPRIM_400000_NS16block_radix_sortIiLj256ELj4ElLj1ELj1ELj0ELNS0_26block_radix_rank_algorithmE1ELNS0_18block_padding_hintE2ELNS0_4arch9wavefront6targetE1EE19radix_bits_per_passE ; @_ZN7rocprim17ROCPRIM_400000_NS16block_radix_sortIiLj256ELj4ElLj1ELj1ELj0ELNS0_26block_radix_rank_algorithmE1ELNS0_18block_padding_hintE2ELNS0_4arch9wavefront6targetE1EE19radix_bits_per_passE
	.type	_ZN7rocprim17ROCPRIM_400000_NS16block_radix_sortIiLj256ELj4ElLj1ELj1ELj0ELNS0_26block_radix_rank_algorithmE1ELNS0_18block_padding_hintE2ELNS0_4arch9wavefront6targetE1EE19radix_bits_per_passE,@object
	.section	.rodata._ZN7rocprim17ROCPRIM_400000_NS16block_radix_sortIiLj256ELj4ElLj1ELj1ELj0ELNS0_26block_radix_rank_algorithmE1ELNS0_18block_padding_hintE2ELNS0_4arch9wavefront6targetE1EE19radix_bits_per_passE,"aG",@progbits,_ZN7rocprim17ROCPRIM_400000_NS16block_radix_sortIiLj256ELj4ElLj1ELj1ELj0ELNS0_26block_radix_rank_algorithmE1ELNS0_18block_padding_hintE2ELNS0_4arch9wavefront6targetE1EE19radix_bits_per_passE,comdat
	.weak	_ZN7rocprim17ROCPRIM_400000_NS16block_radix_sortIiLj256ELj4ElLj1ELj1ELj0ELNS0_26block_radix_rank_algorithmE1ELNS0_18block_padding_hintE2ELNS0_4arch9wavefront6targetE1EE19radix_bits_per_passE
	.p2align	2, 0x0
_ZN7rocprim17ROCPRIM_400000_NS16block_radix_sortIiLj256ELj4ElLj1ELj1ELj0ELNS0_26block_radix_rank_algorithmE1ELNS0_18block_padding_hintE2ELNS0_4arch9wavefront6targetE1EE19radix_bits_per_passE:
	.long	8                               ; 0x8
	.size	_ZN7rocprim17ROCPRIM_400000_NS16block_radix_sortIiLj256ELj4ElLj1ELj1ELj0ELNS0_26block_radix_rank_algorithmE1ELNS0_18block_padding_hintE2ELNS0_4arch9wavefront6targetE1EE19radix_bits_per_passE, 4

	.protected	_ZN7rocprim17ROCPRIM_400000_NS16block_radix_sortIlLj256ELj4ElLj1ELj1ELj0ELNS0_26block_radix_rank_algorithmE1ELNS0_18block_padding_hintE2ELNS0_4arch9wavefront6targetE1EE19radix_bits_per_passE ; @_ZN7rocprim17ROCPRIM_400000_NS16block_radix_sortIlLj256ELj4ElLj1ELj1ELj0ELNS0_26block_radix_rank_algorithmE1ELNS0_18block_padding_hintE2ELNS0_4arch9wavefront6targetE1EE19radix_bits_per_passE
	.type	_ZN7rocprim17ROCPRIM_400000_NS16block_radix_sortIlLj256ELj4ElLj1ELj1ELj0ELNS0_26block_radix_rank_algorithmE1ELNS0_18block_padding_hintE2ELNS0_4arch9wavefront6targetE1EE19radix_bits_per_passE,@object
	.section	.rodata._ZN7rocprim17ROCPRIM_400000_NS16block_radix_sortIlLj256ELj4ElLj1ELj1ELj0ELNS0_26block_radix_rank_algorithmE1ELNS0_18block_padding_hintE2ELNS0_4arch9wavefront6targetE1EE19radix_bits_per_passE,"aG",@progbits,_ZN7rocprim17ROCPRIM_400000_NS16block_radix_sortIlLj256ELj4ElLj1ELj1ELj0ELNS0_26block_radix_rank_algorithmE1ELNS0_18block_padding_hintE2ELNS0_4arch9wavefront6targetE1EE19radix_bits_per_passE,comdat
	.weak	_ZN7rocprim17ROCPRIM_400000_NS16block_radix_sortIlLj256ELj4ElLj1ELj1ELj0ELNS0_26block_radix_rank_algorithmE1ELNS0_18block_padding_hintE2ELNS0_4arch9wavefront6targetE1EE19radix_bits_per_passE
	.p2align	2, 0x0
_ZN7rocprim17ROCPRIM_400000_NS16block_radix_sortIlLj256ELj4ElLj1ELj1ELj0ELNS0_26block_radix_rank_algorithmE1ELNS0_18block_padding_hintE2ELNS0_4arch9wavefront6targetE1EE19radix_bits_per_passE:
	.long	8                               ; 0x8
	.size	_ZN7rocprim17ROCPRIM_400000_NS16block_radix_sortIlLj256ELj4ElLj1ELj1ELj0ELNS0_26block_radix_rank_algorithmE1ELNS0_18block_padding_hintE2ELNS0_4arch9wavefront6targetE1EE19radix_bits_per_passE, 4

	.protected	_ZN7rocprim17ROCPRIM_400000_NS16block_radix_sortIsLj256ELj4ElLj1ELj1ELj0ELNS0_26block_radix_rank_algorithmE1ELNS0_18block_padding_hintE2ELNS0_4arch9wavefront6targetE1EE19radix_bits_per_passE ; @_ZN7rocprim17ROCPRIM_400000_NS16block_radix_sortIsLj256ELj4ElLj1ELj1ELj0ELNS0_26block_radix_rank_algorithmE1ELNS0_18block_padding_hintE2ELNS0_4arch9wavefront6targetE1EE19radix_bits_per_passE
	.type	_ZN7rocprim17ROCPRIM_400000_NS16block_radix_sortIsLj256ELj4ElLj1ELj1ELj0ELNS0_26block_radix_rank_algorithmE1ELNS0_18block_padding_hintE2ELNS0_4arch9wavefront6targetE1EE19radix_bits_per_passE,@object
	.section	.rodata._ZN7rocprim17ROCPRIM_400000_NS16block_radix_sortIsLj256ELj4ElLj1ELj1ELj0ELNS0_26block_radix_rank_algorithmE1ELNS0_18block_padding_hintE2ELNS0_4arch9wavefront6targetE1EE19radix_bits_per_passE,"aG",@progbits,_ZN7rocprim17ROCPRIM_400000_NS16block_radix_sortIsLj256ELj4ElLj1ELj1ELj0ELNS0_26block_radix_rank_algorithmE1ELNS0_18block_padding_hintE2ELNS0_4arch9wavefront6targetE1EE19radix_bits_per_passE,comdat
	.weak	_ZN7rocprim17ROCPRIM_400000_NS16block_radix_sortIsLj256ELj4ElLj1ELj1ELj0ELNS0_26block_radix_rank_algorithmE1ELNS0_18block_padding_hintE2ELNS0_4arch9wavefront6targetE1EE19radix_bits_per_passE
	.p2align	2, 0x0
_ZN7rocprim17ROCPRIM_400000_NS16block_radix_sortIsLj256ELj4ElLj1ELj1ELj0ELNS0_26block_radix_rank_algorithmE1ELNS0_18block_padding_hintE2ELNS0_4arch9wavefront6targetE1EE19radix_bits_per_passE:
	.long	8                               ; 0x8
	.size	_ZN7rocprim17ROCPRIM_400000_NS16block_radix_sortIsLj256ELj4ElLj1ELj1ELj0ELNS0_26block_radix_rank_algorithmE1ELNS0_18block_padding_hintE2ELNS0_4arch9wavefront6targetE1EE19radix_bits_per_passE, 4

	.protected	_ZN7rocprim17ROCPRIM_400000_NS16block_radix_sortIdLj256ELj4ElLj1ELj1ELj0ELNS0_26block_radix_rank_algorithmE1ELNS0_18block_padding_hintE2ELNS0_4arch9wavefront6targetE1EE19radix_bits_per_passE ; @_ZN7rocprim17ROCPRIM_400000_NS16block_radix_sortIdLj256ELj4ElLj1ELj1ELj0ELNS0_26block_radix_rank_algorithmE1ELNS0_18block_padding_hintE2ELNS0_4arch9wavefront6targetE1EE19radix_bits_per_passE
	.type	_ZN7rocprim17ROCPRIM_400000_NS16block_radix_sortIdLj256ELj4ElLj1ELj1ELj0ELNS0_26block_radix_rank_algorithmE1ELNS0_18block_padding_hintE2ELNS0_4arch9wavefront6targetE1EE19radix_bits_per_passE,@object
	.section	.rodata._ZN7rocprim17ROCPRIM_400000_NS16block_radix_sortIdLj256ELj4ElLj1ELj1ELj0ELNS0_26block_radix_rank_algorithmE1ELNS0_18block_padding_hintE2ELNS0_4arch9wavefront6targetE1EE19radix_bits_per_passE,"aG",@progbits,_ZN7rocprim17ROCPRIM_400000_NS16block_radix_sortIdLj256ELj4ElLj1ELj1ELj0ELNS0_26block_radix_rank_algorithmE1ELNS0_18block_padding_hintE2ELNS0_4arch9wavefront6targetE1EE19radix_bits_per_passE,comdat
	.weak	_ZN7rocprim17ROCPRIM_400000_NS16block_radix_sortIdLj256ELj4ElLj1ELj1ELj0ELNS0_26block_radix_rank_algorithmE1ELNS0_18block_padding_hintE2ELNS0_4arch9wavefront6targetE1EE19radix_bits_per_passE
	.p2align	2, 0x0
_ZN7rocprim17ROCPRIM_400000_NS16block_radix_sortIdLj256ELj4ElLj1ELj1ELj0ELNS0_26block_radix_rank_algorithmE1ELNS0_18block_padding_hintE2ELNS0_4arch9wavefront6targetE1EE19radix_bits_per_passE:
	.long	8                               ; 0x8
	.size	_ZN7rocprim17ROCPRIM_400000_NS16block_radix_sortIdLj256ELj4ElLj1ELj1ELj0ELNS0_26block_radix_rank_algorithmE1ELNS0_18block_padding_hintE2ELNS0_4arch9wavefront6targetE1EE19radix_bits_per_passE, 4

	.protected	_ZN7rocprim17ROCPRIM_400000_NS16block_radix_sortIfLj256ELj4ElLj1ELj1ELj0ELNS0_26block_radix_rank_algorithmE1ELNS0_18block_padding_hintE2ELNS0_4arch9wavefront6targetE1EE19radix_bits_per_passE ; @_ZN7rocprim17ROCPRIM_400000_NS16block_radix_sortIfLj256ELj4ElLj1ELj1ELj0ELNS0_26block_radix_rank_algorithmE1ELNS0_18block_padding_hintE2ELNS0_4arch9wavefront6targetE1EE19radix_bits_per_passE
	.type	_ZN7rocprim17ROCPRIM_400000_NS16block_radix_sortIfLj256ELj4ElLj1ELj1ELj0ELNS0_26block_radix_rank_algorithmE1ELNS0_18block_padding_hintE2ELNS0_4arch9wavefront6targetE1EE19radix_bits_per_passE,@object
	.section	.rodata._ZN7rocprim17ROCPRIM_400000_NS16block_radix_sortIfLj256ELj4ElLj1ELj1ELj0ELNS0_26block_radix_rank_algorithmE1ELNS0_18block_padding_hintE2ELNS0_4arch9wavefront6targetE1EE19radix_bits_per_passE,"aG",@progbits,_ZN7rocprim17ROCPRIM_400000_NS16block_radix_sortIfLj256ELj4ElLj1ELj1ELj0ELNS0_26block_radix_rank_algorithmE1ELNS0_18block_padding_hintE2ELNS0_4arch9wavefront6targetE1EE19radix_bits_per_passE,comdat
	.weak	_ZN7rocprim17ROCPRIM_400000_NS16block_radix_sortIfLj256ELj4ElLj1ELj1ELj0ELNS0_26block_radix_rank_algorithmE1ELNS0_18block_padding_hintE2ELNS0_4arch9wavefront6targetE1EE19radix_bits_per_passE
	.p2align	2, 0x0
_ZN7rocprim17ROCPRIM_400000_NS16block_radix_sortIfLj256ELj4ElLj1ELj1ELj0ELNS0_26block_radix_rank_algorithmE1ELNS0_18block_padding_hintE2ELNS0_4arch9wavefront6targetE1EE19radix_bits_per_passE:
	.long	8                               ; 0x8
	.size	_ZN7rocprim17ROCPRIM_400000_NS16block_radix_sortIfLj256ELj4ElLj1ELj1ELj0ELNS0_26block_radix_rank_algorithmE1ELNS0_18block_padding_hintE2ELNS0_4arch9wavefront6targetE1EE19radix_bits_per_passE, 4

	.type	__hip_cuid_7fad3dc55ccebf78,@object ; @__hip_cuid_7fad3dc55ccebf78
	.section	.bss,"aw",@nobits
	.globl	__hip_cuid_7fad3dc55ccebf78
__hip_cuid_7fad3dc55ccebf78:
	.byte	0                               ; 0x0
	.size	__hip_cuid_7fad3dc55ccebf78, 1

	.ident	"AMD clang version 22.0.0git (https://github.com/RadeonOpenCompute/llvm-project roc-7.2.4 26084 f58b06dce1f9c15707c5f808fd002e18c2accf7e)"
	.section	".note.GNU-stack","",@progbits
	.addrsig
	.addrsig_sym __hip_cuid_7fad3dc55ccebf78
	.amdgpu_metadata
---
amdhsa.kernels:
  - .args:
      - .offset:         0
        .size:           64
        .value_kind:     by_value
    .group_segment_fixed_size: 0
    .kernarg_segment_align: 8
    .kernarg_segment_size: 64
    .language:       OpenCL C
    .language_version:
      - 2
      - 0
    .max_flat_workgroup_size: 256
    .name:           _ZN7rocprim17ROCPRIM_400000_NS6detail17trampoline_kernelINS0_14default_configENS1_22reduce_config_selectorIlEEZNS1_11reduce_implILb1ES3_PlS7_lN6thrust23THRUST_200600_302600_NS4plusIlEEEE10hipError_tPvRmT1_T2_T3_mT4_P12ihipStream_tbEUlT_E0_NS1_11comp_targetILNS1_3genE0ELNS1_11target_archE4294967295ELNS1_3gpuE0ELNS1_3repE0EEENS1_30default_config_static_selectorELNS0_4arch9wavefront6targetE1EEEvSF_
    .private_segment_fixed_size: 0
    .sgpr_count:     4
    .sgpr_spill_count: 0
    .symbol:         _ZN7rocprim17ROCPRIM_400000_NS6detail17trampoline_kernelINS0_14default_configENS1_22reduce_config_selectorIlEEZNS1_11reduce_implILb1ES3_PlS7_lN6thrust23THRUST_200600_302600_NS4plusIlEEEE10hipError_tPvRmT1_T2_T3_mT4_P12ihipStream_tbEUlT_E0_NS1_11comp_targetILNS1_3genE0ELNS1_11target_archE4294967295ELNS1_3gpuE0ELNS1_3repE0EEENS1_30default_config_static_selectorELNS0_4arch9wavefront6targetE1EEEvSF_.kd
    .uniform_work_group_size: 1
    .uses_dynamic_stack: false
    .vgpr_count:     0
    .vgpr_spill_count: 0
    .wavefront_size: 64
  - .args:
      - .offset:         0
        .size:           64
        .value_kind:     by_value
    .group_segment_fixed_size: 0
    .kernarg_segment_align: 8
    .kernarg_segment_size: 64
    .language:       OpenCL C
    .language_version:
      - 2
      - 0
    .max_flat_workgroup_size: 256
    .name:           _ZN7rocprim17ROCPRIM_400000_NS6detail17trampoline_kernelINS0_14default_configENS1_22reduce_config_selectorIlEEZNS1_11reduce_implILb1ES3_PlS7_lN6thrust23THRUST_200600_302600_NS4plusIlEEEE10hipError_tPvRmT1_T2_T3_mT4_P12ihipStream_tbEUlT_E0_NS1_11comp_targetILNS1_3genE5ELNS1_11target_archE942ELNS1_3gpuE9ELNS1_3repE0EEENS1_30default_config_static_selectorELNS0_4arch9wavefront6targetE1EEEvSF_
    .private_segment_fixed_size: 0
    .sgpr_count:     4
    .sgpr_spill_count: 0
    .symbol:         _ZN7rocprim17ROCPRIM_400000_NS6detail17trampoline_kernelINS0_14default_configENS1_22reduce_config_selectorIlEEZNS1_11reduce_implILb1ES3_PlS7_lN6thrust23THRUST_200600_302600_NS4plusIlEEEE10hipError_tPvRmT1_T2_T3_mT4_P12ihipStream_tbEUlT_E0_NS1_11comp_targetILNS1_3genE5ELNS1_11target_archE942ELNS1_3gpuE9ELNS1_3repE0EEENS1_30default_config_static_selectorELNS0_4arch9wavefront6targetE1EEEvSF_.kd
    .uniform_work_group_size: 1
    .uses_dynamic_stack: false
    .vgpr_count:     0
    .vgpr_spill_count: 0
    .wavefront_size: 64
  - .args:
      - .offset:         0
        .size:           64
        .value_kind:     by_value
    .group_segment_fixed_size: 0
    .kernarg_segment_align: 8
    .kernarg_segment_size: 64
    .language:       OpenCL C
    .language_version:
      - 2
      - 0
    .max_flat_workgroup_size: 256
    .name:           _ZN7rocprim17ROCPRIM_400000_NS6detail17trampoline_kernelINS0_14default_configENS1_22reduce_config_selectorIlEEZNS1_11reduce_implILb1ES3_PlS7_lN6thrust23THRUST_200600_302600_NS4plusIlEEEE10hipError_tPvRmT1_T2_T3_mT4_P12ihipStream_tbEUlT_E0_NS1_11comp_targetILNS1_3genE4ELNS1_11target_archE910ELNS1_3gpuE8ELNS1_3repE0EEENS1_30default_config_static_selectorELNS0_4arch9wavefront6targetE1EEEvSF_
    .private_segment_fixed_size: 0
    .sgpr_count:     4
    .sgpr_spill_count: 0
    .symbol:         _ZN7rocprim17ROCPRIM_400000_NS6detail17trampoline_kernelINS0_14default_configENS1_22reduce_config_selectorIlEEZNS1_11reduce_implILb1ES3_PlS7_lN6thrust23THRUST_200600_302600_NS4plusIlEEEE10hipError_tPvRmT1_T2_T3_mT4_P12ihipStream_tbEUlT_E0_NS1_11comp_targetILNS1_3genE4ELNS1_11target_archE910ELNS1_3gpuE8ELNS1_3repE0EEENS1_30default_config_static_selectorELNS0_4arch9wavefront6targetE1EEEvSF_.kd
    .uniform_work_group_size: 1
    .uses_dynamic_stack: false
    .vgpr_count:     0
    .vgpr_spill_count: 0
    .wavefront_size: 64
  - .args:
      - .offset:         0
        .size:           64
        .value_kind:     by_value
    .group_segment_fixed_size: 0
    .kernarg_segment_align: 8
    .kernarg_segment_size: 64
    .language:       OpenCL C
    .language_version:
      - 2
      - 0
    .max_flat_workgroup_size: 256
    .name:           _ZN7rocprim17ROCPRIM_400000_NS6detail17trampoline_kernelINS0_14default_configENS1_22reduce_config_selectorIlEEZNS1_11reduce_implILb1ES3_PlS7_lN6thrust23THRUST_200600_302600_NS4plusIlEEEE10hipError_tPvRmT1_T2_T3_mT4_P12ihipStream_tbEUlT_E0_NS1_11comp_targetILNS1_3genE3ELNS1_11target_archE908ELNS1_3gpuE7ELNS1_3repE0EEENS1_30default_config_static_selectorELNS0_4arch9wavefront6targetE1EEEvSF_
    .private_segment_fixed_size: 0
    .sgpr_count:     4
    .sgpr_spill_count: 0
    .symbol:         _ZN7rocprim17ROCPRIM_400000_NS6detail17trampoline_kernelINS0_14default_configENS1_22reduce_config_selectorIlEEZNS1_11reduce_implILb1ES3_PlS7_lN6thrust23THRUST_200600_302600_NS4plusIlEEEE10hipError_tPvRmT1_T2_T3_mT4_P12ihipStream_tbEUlT_E0_NS1_11comp_targetILNS1_3genE3ELNS1_11target_archE908ELNS1_3gpuE7ELNS1_3repE0EEENS1_30default_config_static_selectorELNS0_4arch9wavefront6targetE1EEEvSF_.kd
    .uniform_work_group_size: 1
    .uses_dynamic_stack: false
    .vgpr_count:     0
    .vgpr_spill_count: 0
    .wavefront_size: 64
  - .args:
      - .offset:         0
        .size:           64
        .value_kind:     by_value
    .group_segment_fixed_size: 64
    .kernarg_segment_align: 8
    .kernarg_segment_size: 64
    .language:       OpenCL C
    .language_version:
      - 2
      - 0
    .max_flat_workgroup_size: 256
    .name:           _ZN7rocprim17ROCPRIM_400000_NS6detail17trampoline_kernelINS0_14default_configENS1_22reduce_config_selectorIlEEZNS1_11reduce_implILb1ES3_PlS7_lN6thrust23THRUST_200600_302600_NS4plusIlEEEE10hipError_tPvRmT1_T2_T3_mT4_P12ihipStream_tbEUlT_E0_NS1_11comp_targetILNS1_3genE2ELNS1_11target_archE906ELNS1_3gpuE6ELNS1_3repE0EEENS1_30default_config_static_selectorELNS0_4arch9wavefront6targetE1EEEvSF_
    .private_segment_fixed_size: 0
    .sgpr_count:     24
    .sgpr_spill_count: 0
    .symbol:         _ZN7rocprim17ROCPRIM_400000_NS6detail17trampoline_kernelINS0_14default_configENS1_22reduce_config_selectorIlEEZNS1_11reduce_implILb1ES3_PlS7_lN6thrust23THRUST_200600_302600_NS4plusIlEEEE10hipError_tPvRmT1_T2_T3_mT4_P12ihipStream_tbEUlT_E0_NS1_11comp_targetILNS1_3genE2ELNS1_11target_archE906ELNS1_3gpuE6ELNS1_3repE0EEENS1_30default_config_static_selectorELNS0_4arch9wavefront6targetE1EEEvSF_.kd
    .uniform_work_group_size: 1
    .uses_dynamic_stack: false
    .vgpr_count:     11
    .vgpr_spill_count: 0
    .wavefront_size: 64
  - .args:
      - .offset:         0
        .size:           64
        .value_kind:     by_value
    .group_segment_fixed_size: 0
    .kernarg_segment_align: 8
    .kernarg_segment_size: 64
    .language:       OpenCL C
    .language_version:
      - 2
      - 0
    .max_flat_workgroup_size: 256
    .name:           _ZN7rocprim17ROCPRIM_400000_NS6detail17trampoline_kernelINS0_14default_configENS1_22reduce_config_selectorIlEEZNS1_11reduce_implILb1ES3_PlS7_lN6thrust23THRUST_200600_302600_NS4plusIlEEEE10hipError_tPvRmT1_T2_T3_mT4_P12ihipStream_tbEUlT_E0_NS1_11comp_targetILNS1_3genE10ELNS1_11target_archE1201ELNS1_3gpuE5ELNS1_3repE0EEENS1_30default_config_static_selectorELNS0_4arch9wavefront6targetE1EEEvSF_
    .private_segment_fixed_size: 0
    .sgpr_count:     4
    .sgpr_spill_count: 0
    .symbol:         _ZN7rocprim17ROCPRIM_400000_NS6detail17trampoline_kernelINS0_14default_configENS1_22reduce_config_selectorIlEEZNS1_11reduce_implILb1ES3_PlS7_lN6thrust23THRUST_200600_302600_NS4plusIlEEEE10hipError_tPvRmT1_T2_T3_mT4_P12ihipStream_tbEUlT_E0_NS1_11comp_targetILNS1_3genE10ELNS1_11target_archE1201ELNS1_3gpuE5ELNS1_3repE0EEENS1_30default_config_static_selectorELNS0_4arch9wavefront6targetE1EEEvSF_.kd
    .uniform_work_group_size: 1
    .uses_dynamic_stack: false
    .vgpr_count:     0
    .vgpr_spill_count: 0
    .wavefront_size: 64
  - .args:
      - .offset:         0
        .size:           64
        .value_kind:     by_value
    .group_segment_fixed_size: 0
    .kernarg_segment_align: 8
    .kernarg_segment_size: 64
    .language:       OpenCL C
    .language_version:
      - 2
      - 0
    .max_flat_workgroup_size: 256
    .name:           _ZN7rocprim17ROCPRIM_400000_NS6detail17trampoline_kernelINS0_14default_configENS1_22reduce_config_selectorIlEEZNS1_11reduce_implILb1ES3_PlS7_lN6thrust23THRUST_200600_302600_NS4plusIlEEEE10hipError_tPvRmT1_T2_T3_mT4_P12ihipStream_tbEUlT_E0_NS1_11comp_targetILNS1_3genE10ELNS1_11target_archE1200ELNS1_3gpuE4ELNS1_3repE0EEENS1_30default_config_static_selectorELNS0_4arch9wavefront6targetE1EEEvSF_
    .private_segment_fixed_size: 0
    .sgpr_count:     4
    .sgpr_spill_count: 0
    .symbol:         _ZN7rocprim17ROCPRIM_400000_NS6detail17trampoline_kernelINS0_14default_configENS1_22reduce_config_selectorIlEEZNS1_11reduce_implILb1ES3_PlS7_lN6thrust23THRUST_200600_302600_NS4plusIlEEEE10hipError_tPvRmT1_T2_T3_mT4_P12ihipStream_tbEUlT_E0_NS1_11comp_targetILNS1_3genE10ELNS1_11target_archE1200ELNS1_3gpuE4ELNS1_3repE0EEENS1_30default_config_static_selectorELNS0_4arch9wavefront6targetE1EEEvSF_.kd
    .uniform_work_group_size: 1
    .uses_dynamic_stack: false
    .vgpr_count:     0
    .vgpr_spill_count: 0
    .wavefront_size: 64
  - .args:
      - .offset:         0
        .size:           64
        .value_kind:     by_value
    .group_segment_fixed_size: 0
    .kernarg_segment_align: 8
    .kernarg_segment_size: 64
    .language:       OpenCL C
    .language_version:
      - 2
      - 0
    .max_flat_workgroup_size: 256
    .name:           _ZN7rocprim17ROCPRIM_400000_NS6detail17trampoline_kernelINS0_14default_configENS1_22reduce_config_selectorIlEEZNS1_11reduce_implILb1ES3_PlS7_lN6thrust23THRUST_200600_302600_NS4plusIlEEEE10hipError_tPvRmT1_T2_T3_mT4_P12ihipStream_tbEUlT_E0_NS1_11comp_targetILNS1_3genE9ELNS1_11target_archE1100ELNS1_3gpuE3ELNS1_3repE0EEENS1_30default_config_static_selectorELNS0_4arch9wavefront6targetE1EEEvSF_
    .private_segment_fixed_size: 0
    .sgpr_count:     4
    .sgpr_spill_count: 0
    .symbol:         _ZN7rocprim17ROCPRIM_400000_NS6detail17trampoline_kernelINS0_14default_configENS1_22reduce_config_selectorIlEEZNS1_11reduce_implILb1ES3_PlS7_lN6thrust23THRUST_200600_302600_NS4plusIlEEEE10hipError_tPvRmT1_T2_T3_mT4_P12ihipStream_tbEUlT_E0_NS1_11comp_targetILNS1_3genE9ELNS1_11target_archE1100ELNS1_3gpuE3ELNS1_3repE0EEENS1_30default_config_static_selectorELNS0_4arch9wavefront6targetE1EEEvSF_.kd
    .uniform_work_group_size: 1
    .uses_dynamic_stack: false
    .vgpr_count:     0
    .vgpr_spill_count: 0
    .wavefront_size: 64
  - .args:
      - .offset:         0
        .size:           64
        .value_kind:     by_value
    .group_segment_fixed_size: 0
    .kernarg_segment_align: 8
    .kernarg_segment_size: 64
    .language:       OpenCL C
    .language_version:
      - 2
      - 0
    .max_flat_workgroup_size: 256
    .name:           _ZN7rocprim17ROCPRIM_400000_NS6detail17trampoline_kernelINS0_14default_configENS1_22reduce_config_selectorIlEEZNS1_11reduce_implILb1ES3_PlS7_lN6thrust23THRUST_200600_302600_NS4plusIlEEEE10hipError_tPvRmT1_T2_T3_mT4_P12ihipStream_tbEUlT_E0_NS1_11comp_targetILNS1_3genE8ELNS1_11target_archE1030ELNS1_3gpuE2ELNS1_3repE0EEENS1_30default_config_static_selectorELNS0_4arch9wavefront6targetE1EEEvSF_
    .private_segment_fixed_size: 0
    .sgpr_count:     4
    .sgpr_spill_count: 0
    .symbol:         _ZN7rocprim17ROCPRIM_400000_NS6detail17trampoline_kernelINS0_14default_configENS1_22reduce_config_selectorIlEEZNS1_11reduce_implILb1ES3_PlS7_lN6thrust23THRUST_200600_302600_NS4plusIlEEEE10hipError_tPvRmT1_T2_T3_mT4_P12ihipStream_tbEUlT_E0_NS1_11comp_targetILNS1_3genE8ELNS1_11target_archE1030ELNS1_3gpuE2ELNS1_3repE0EEENS1_30default_config_static_selectorELNS0_4arch9wavefront6targetE1EEEvSF_.kd
    .uniform_work_group_size: 1
    .uses_dynamic_stack: false
    .vgpr_count:     0
    .vgpr_spill_count: 0
    .wavefront_size: 64
  - .args:
      - .offset:         0
        .size:           48
        .value_kind:     by_value
    .group_segment_fixed_size: 0
    .kernarg_segment_align: 8
    .kernarg_segment_size: 48
    .language:       OpenCL C
    .language_version:
      - 2
      - 0
    .max_flat_workgroup_size: 256
    .name:           _ZN7rocprim17ROCPRIM_400000_NS6detail17trampoline_kernelINS0_14default_configENS1_22reduce_config_selectorIlEEZNS1_11reduce_implILb1ES3_PlS7_lN6thrust23THRUST_200600_302600_NS4plusIlEEEE10hipError_tPvRmT1_T2_T3_mT4_P12ihipStream_tbEUlT_E1_NS1_11comp_targetILNS1_3genE0ELNS1_11target_archE4294967295ELNS1_3gpuE0ELNS1_3repE0EEENS1_30default_config_static_selectorELNS0_4arch9wavefront6targetE1EEEvSF_
    .private_segment_fixed_size: 0
    .sgpr_count:     4
    .sgpr_spill_count: 0
    .symbol:         _ZN7rocprim17ROCPRIM_400000_NS6detail17trampoline_kernelINS0_14default_configENS1_22reduce_config_selectorIlEEZNS1_11reduce_implILb1ES3_PlS7_lN6thrust23THRUST_200600_302600_NS4plusIlEEEE10hipError_tPvRmT1_T2_T3_mT4_P12ihipStream_tbEUlT_E1_NS1_11comp_targetILNS1_3genE0ELNS1_11target_archE4294967295ELNS1_3gpuE0ELNS1_3repE0EEENS1_30default_config_static_selectorELNS0_4arch9wavefront6targetE1EEEvSF_.kd
    .uniform_work_group_size: 1
    .uses_dynamic_stack: false
    .vgpr_count:     0
    .vgpr_spill_count: 0
    .wavefront_size: 64
  - .args:
      - .offset:         0
        .size:           48
        .value_kind:     by_value
    .group_segment_fixed_size: 0
    .kernarg_segment_align: 8
    .kernarg_segment_size: 48
    .language:       OpenCL C
    .language_version:
      - 2
      - 0
    .max_flat_workgroup_size: 256
    .name:           _ZN7rocprim17ROCPRIM_400000_NS6detail17trampoline_kernelINS0_14default_configENS1_22reduce_config_selectorIlEEZNS1_11reduce_implILb1ES3_PlS7_lN6thrust23THRUST_200600_302600_NS4plusIlEEEE10hipError_tPvRmT1_T2_T3_mT4_P12ihipStream_tbEUlT_E1_NS1_11comp_targetILNS1_3genE5ELNS1_11target_archE942ELNS1_3gpuE9ELNS1_3repE0EEENS1_30default_config_static_selectorELNS0_4arch9wavefront6targetE1EEEvSF_
    .private_segment_fixed_size: 0
    .sgpr_count:     4
    .sgpr_spill_count: 0
    .symbol:         _ZN7rocprim17ROCPRIM_400000_NS6detail17trampoline_kernelINS0_14default_configENS1_22reduce_config_selectorIlEEZNS1_11reduce_implILb1ES3_PlS7_lN6thrust23THRUST_200600_302600_NS4plusIlEEEE10hipError_tPvRmT1_T2_T3_mT4_P12ihipStream_tbEUlT_E1_NS1_11comp_targetILNS1_3genE5ELNS1_11target_archE942ELNS1_3gpuE9ELNS1_3repE0EEENS1_30default_config_static_selectorELNS0_4arch9wavefront6targetE1EEEvSF_.kd
    .uniform_work_group_size: 1
    .uses_dynamic_stack: false
    .vgpr_count:     0
    .vgpr_spill_count: 0
    .wavefront_size: 64
  - .args:
      - .offset:         0
        .size:           48
        .value_kind:     by_value
    .group_segment_fixed_size: 0
    .kernarg_segment_align: 8
    .kernarg_segment_size: 48
    .language:       OpenCL C
    .language_version:
      - 2
      - 0
    .max_flat_workgroup_size: 256
    .name:           _ZN7rocprim17ROCPRIM_400000_NS6detail17trampoline_kernelINS0_14default_configENS1_22reduce_config_selectorIlEEZNS1_11reduce_implILb1ES3_PlS7_lN6thrust23THRUST_200600_302600_NS4plusIlEEEE10hipError_tPvRmT1_T2_T3_mT4_P12ihipStream_tbEUlT_E1_NS1_11comp_targetILNS1_3genE4ELNS1_11target_archE910ELNS1_3gpuE8ELNS1_3repE0EEENS1_30default_config_static_selectorELNS0_4arch9wavefront6targetE1EEEvSF_
    .private_segment_fixed_size: 0
    .sgpr_count:     4
    .sgpr_spill_count: 0
    .symbol:         _ZN7rocprim17ROCPRIM_400000_NS6detail17trampoline_kernelINS0_14default_configENS1_22reduce_config_selectorIlEEZNS1_11reduce_implILb1ES3_PlS7_lN6thrust23THRUST_200600_302600_NS4plusIlEEEE10hipError_tPvRmT1_T2_T3_mT4_P12ihipStream_tbEUlT_E1_NS1_11comp_targetILNS1_3genE4ELNS1_11target_archE910ELNS1_3gpuE8ELNS1_3repE0EEENS1_30default_config_static_selectorELNS0_4arch9wavefront6targetE1EEEvSF_.kd
    .uniform_work_group_size: 1
    .uses_dynamic_stack: false
    .vgpr_count:     0
    .vgpr_spill_count: 0
    .wavefront_size: 64
  - .args:
      - .offset:         0
        .size:           48
        .value_kind:     by_value
    .group_segment_fixed_size: 0
    .kernarg_segment_align: 8
    .kernarg_segment_size: 48
    .language:       OpenCL C
    .language_version:
      - 2
      - 0
    .max_flat_workgroup_size: 256
    .name:           _ZN7rocprim17ROCPRIM_400000_NS6detail17trampoline_kernelINS0_14default_configENS1_22reduce_config_selectorIlEEZNS1_11reduce_implILb1ES3_PlS7_lN6thrust23THRUST_200600_302600_NS4plusIlEEEE10hipError_tPvRmT1_T2_T3_mT4_P12ihipStream_tbEUlT_E1_NS1_11comp_targetILNS1_3genE3ELNS1_11target_archE908ELNS1_3gpuE7ELNS1_3repE0EEENS1_30default_config_static_selectorELNS0_4arch9wavefront6targetE1EEEvSF_
    .private_segment_fixed_size: 0
    .sgpr_count:     4
    .sgpr_spill_count: 0
    .symbol:         _ZN7rocprim17ROCPRIM_400000_NS6detail17trampoline_kernelINS0_14default_configENS1_22reduce_config_selectorIlEEZNS1_11reduce_implILb1ES3_PlS7_lN6thrust23THRUST_200600_302600_NS4plusIlEEEE10hipError_tPvRmT1_T2_T3_mT4_P12ihipStream_tbEUlT_E1_NS1_11comp_targetILNS1_3genE3ELNS1_11target_archE908ELNS1_3gpuE7ELNS1_3repE0EEENS1_30default_config_static_selectorELNS0_4arch9wavefront6targetE1EEEvSF_.kd
    .uniform_work_group_size: 1
    .uses_dynamic_stack: false
    .vgpr_count:     0
    .vgpr_spill_count: 0
    .wavefront_size: 64
  - .args:
      - .offset:         0
        .size:           48
        .value_kind:     by_value
    .group_segment_fixed_size: 192
    .kernarg_segment_align: 8
    .kernarg_segment_size: 48
    .language:       OpenCL C
    .language_version:
      - 2
      - 0
    .max_flat_workgroup_size: 256
    .name:           _ZN7rocprim17ROCPRIM_400000_NS6detail17trampoline_kernelINS0_14default_configENS1_22reduce_config_selectorIlEEZNS1_11reduce_implILb1ES3_PlS7_lN6thrust23THRUST_200600_302600_NS4plusIlEEEE10hipError_tPvRmT1_T2_T3_mT4_P12ihipStream_tbEUlT_E1_NS1_11comp_targetILNS1_3genE2ELNS1_11target_archE906ELNS1_3gpuE6ELNS1_3repE0EEENS1_30default_config_static_selectorELNS0_4arch9wavefront6targetE1EEEvSF_
    .private_segment_fixed_size: 0
    .sgpr_count:     32
    .sgpr_spill_count: 0
    .symbol:         _ZN7rocprim17ROCPRIM_400000_NS6detail17trampoline_kernelINS0_14default_configENS1_22reduce_config_selectorIlEEZNS1_11reduce_implILb1ES3_PlS7_lN6thrust23THRUST_200600_302600_NS4plusIlEEEE10hipError_tPvRmT1_T2_T3_mT4_P12ihipStream_tbEUlT_E1_NS1_11comp_targetILNS1_3genE2ELNS1_11target_archE906ELNS1_3gpuE6ELNS1_3repE0EEENS1_30default_config_static_selectorELNS0_4arch9wavefront6targetE1EEEvSF_.kd
    .uniform_work_group_size: 1
    .uses_dynamic_stack: false
    .vgpr_count:     34
    .vgpr_spill_count: 0
    .wavefront_size: 64
  - .args:
      - .offset:         0
        .size:           48
        .value_kind:     by_value
    .group_segment_fixed_size: 0
    .kernarg_segment_align: 8
    .kernarg_segment_size: 48
    .language:       OpenCL C
    .language_version:
      - 2
      - 0
    .max_flat_workgroup_size: 256
    .name:           _ZN7rocprim17ROCPRIM_400000_NS6detail17trampoline_kernelINS0_14default_configENS1_22reduce_config_selectorIlEEZNS1_11reduce_implILb1ES3_PlS7_lN6thrust23THRUST_200600_302600_NS4plusIlEEEE10hipError_tPvRmT1_T2_T3_mT4_P12ihipStream_tbEUlT_E1_NS1_11comp_targetILNS1_3genE10ELNS1_11target_archE1201ELNS1_3gpuE5ELNS1_3repE0EEENS1_30default_config_static_selectorELNS0_4arch9wavefront6targetE1EEEvSF_
    .private_segment_fixed_size: 0
    .sgpr_count:     4
    .sgpr_spill_count: 0
    .symbol:         _ZN7rocprim17ROCPRIM_400000_NS6detail17trampoline_kernelINS0_14default_configENS1_22reduce_config_selectorIlEEZNS1_11reduce_implILb1ES3_PlS7_lN6thrust23THRUST_200600_302600_NS4plusIlEEEE10hipError_tPvRmT1_T2_T3_mT4_P12ihipStream_tbEUlT_E1_NS1_11comp_targetILNS1_3genE10ELNS1_11target_archE1201ELNS1_3gpuE5ELNS1_3repE0EEENS1_30default_config_static_selectorELNS0_4arch9wavefront6targetE1EEEvSF_.kd
    .uniform_work_group_size: 1
    .uses_dynamic_stack: false
    .vgpr_count:     0
    .vgpr_spill_count: 0
    .wavefront_size: 64
  - .args:
      - .offset:         0
        .size:           48
        .value_kind:     by_value
    .group_segment_fixed_size: 0
    .kernarg_segment_align: 8
    .kernarg_segment_size: 48
    .language:       OpenCL C
    .language_version:
      - 2
      - 0
    .max_flat_workgroup_size: 256
    .name:           _ZN7rocprim17ROCPRIM_400000_NS6detail17trampoline_kernelINS0_14default_configENS1_22reduce_config_selectorIlEEZNS1_11reduce_implILb1ES3_PlS7_lN6thrust23THRUST_200600_302600_NS4plusIlEEEE10hipError_tPvRmT1_T2_T3_mT4_P12ihipStream_tbEUlT_E1_NS1_11comp_targetILNS1_3genE10ELNS1_11target_archE1200ELNS1_3gpuE4ELNS1_3repE0EEENS1_30default_config_static_selectorELNS0_4arch9wavefront6targetE1EEEvSF_
    .private_segment_fixed_size: 0
    .sgpr_count:     4
    .sgpr_spill_count: 0
    .symbol:         _ZN7rocprim17ROCPRIM_400000_NS6detail17trampoline_kernelINS0_14default_configENS1_22reduce_config_selectorIlEEZNS1_11reduce_implILb1ES3_PlS7_lN6thrust23THRUST_200600_302600_NS4plusIlEEEE10hipError_tPvRmT1_T2_T3_mT4_P12ihipStream_tbEUlT_E1_NS1_11comp_targetILNS1_3genE10ELNS1_11target_archE1200ELNS1_3gpuE4ELNS1_3repE0EEENS1_30default_config_static_selectorELNS0_4arch9wavefront6targetE1EEEvSF_.kd
    .uniform_work_group_size: 1
    .uses_dynamic_stack: false
    .vgpr_count:     0
    .vgpr_spill_count: 0
    .wavefront_size: 64
  - .args:
      - .offset:         0
        .size:           48
        .value_kind:     by_value
    .group_segment_fixed_size: 0
    .kernarg_segment_align: 8
    .kernarg_segment_size: 48
    .language:       OpenCL C
    .language_version:
      - 2
      - 0
    .max_flat_workgroup_size: 256
    .name:           _ZN7rocprim17ROCPRIM_400000_NS6detail17trampoline_kernelINS0_14default_configENS1_22reduce_config_selectorIlEEZNS1_11reduce_implILb1ES3_PlS7_lN6thrust23THRUST_200600_302600_NS4plusIlEEEE10hipError_tPvRmT1_T2_T3_mT4_P12ihipStream_tbEUlT_E1_NS1_11comp_targetILNS1_3genE9ELNS1_11target_archE1100ELNS1_3gpuE3ELNS1_3repE0EEENS1_30default_config_static_selectorELNS0_4arch9wavefront6targetE1EEEvSF_
    .private_segment_fixed_size: 0
    .sgpr_count:     4
    .sgpr_spill_count: 0
    .symbol:         _ZN7rocprim17ROCPRIM_400000_NS6detail17trampoline_kernelINS0_14default_configENS1_22reduce_config_selectorIlEEZNS1_11reduce_implILb1ES3_PlS7_lN6thrust23THRUST_200600_302600_NS4plusIlEEEE10hipError_tPvRmT1_T2_T3_mT4_P12ihipStream_tbEUlT_E1_NS1_11comp_targetILNS1_3genE9ELNS1_11target_archE1100ELNS1_3gpuE3ELNS1_3repE0EEENS1_30default_config_static_selectorELNS0_4arch9wavefront6targetE1EEEvSF_.kd
    .uniform_work_group_size: 1
    .uses_dynamic_stack: false
    .vgpr_count:     0
    .vgpr_spill_count: 0
    .wavefront_size: 64
  - .args:
      - .offset:         0
        .size:           48
        .value_kind:     by_value
    .group_segment_fixed_size: 0
    .kernarg_segment_align: 8
    .kernarg_segment_size: 48
    .language:       OpenCL C
    .language_version:
      - 2
      - 0
    .max_flat_workgroup_size: 256
    .name:           _ZN7rocprim17ROCPRIM_400000_NS6detail17trampoline_kernelINS0_14default_configENS1_22reduce_config_selectorIlEEZNS1_11reduce_implILb1ES3_PlS7_lN6thrust23THRUST_200600_302600_NS4plusIlEEEE10hipError_tPvRmT1_T2_T3_mT4_P12ihipStream_tbEUlT_E1_NS1_11comp_targetILNS1_3genE8ELNS1_11target_archE1030ELNS1_3gpuE2ELNS1_3repE0EEENS1_30default_config_static_selectorELNS0_4arch9wavefront6targetE1EEEvSF_
    .private_segment_fixed_size: 0
    .sgpr_count:     4
    .sgpr_spill_count: 0
    .symbol:         _ZN7rocprim17ROCPRIM_400000_NS6detail17trampoline_kernelINS0_14default_configENS1_22reduce_config_selectorIlEEZNS1_11reduce_implILb1ES3_PlS7_lN6thrust23THRUST_200600_302600_NS4plusIlEEEE10hipError_tPvRmT1_T2_T3_mT4_P12ihipStream_tbEUlT_E1_NS1_11comp_targetILNS1_3genE8ELNS1_11target_archE1030ELNS1_3gpuE2ELNS1_3repE0EEENS1_30default_config_static_selectorELNS0_4arch9wavefront6targetE1EEEvSF_.kd
    .uniform_work_group_size: 1
    .uses_dynamic_stack: false
    .vgpr_count:     0
    .vgpr_spill_count: 0
    .wavefront_size: 64
  - .args:
      - .offset:         0
        .size:           72
        .value_kind:     by_value
    .group_segment_fixed_size: 0
    .kernarg_segment_align: 8
    .kernarg_segment_size: 72
    .language:       OpenCL C
    .language_version:
      - 2
      - 0
    .max_flat_workgroup_size: 256
    .name:           _ZN7rocprim17ROCPRIM_400000_NS6detail17trampoline_kernelINS0_14default_configENS1_22reduce_config_selectorIlEEZNS1_11reduce_implILb1ES3_N6thrust23THRUST_200600_302600_NS11hip_rocprim26transform_input_iterator_tIlPKhZN2at6native8ModeImplIbEclEPKbSI_EUlhE_EEPllNS8_4plusIlEEEE10hipError_tPvRmT1_T2_T3_mT4_P12ihipStream_tbEUlT_E0_NS1_11comp_targetILNS1_3genE0ELNS1_11target_archE4294967295ELNS1_3gpuE0ELNS1_3repE0EEENS1_30default_config_static_selectorELNS0_4arch9wavefront6targetE1EEEvSR_
    .private_segment_fixed_size: 0
    .sgpr_count:     4
    .sgpr_spill_count: 0
    .symbol:         _ZN7rocprim17ROCPRIM_400000_NS6detail17trampoline_kernelINS0_14default_configENS1_22reduce_config_selectorIlEEZNS1_11reduce_implILb1ES3_N6thrust23THRUST_200600_302600_NS11hip_rocprim26transform_input_iterator_tIlPKhZN2at6native8ModeImplIbEclEPKbSI_EUlhE_EEPllNS8_4plusIlEEEE10hipError_tPvRmT1_T2_T3_mT4_P12ihipStream_tbEUlT_E0_NS1_11comp_targetILNS1_3genE0ELNS1_11target_archE4294967295ELNS1_3gpuE0ELNS1_3repE0EEENS1_30default_config_static_selectorELNS0_4arch9wavefront6targetE1EEEvSR_.kd
    .uniform_work_group_size: 1
    .uses_dynamic_stack: false
    .vgpr_count:     0
    .vgpr_spill_count: 0
    .wavefront_size: 64
  - .args:
      - .offset:         0
        .size:           72
        .value_kind:     by_value
    .group_segment_fixed_size: 0
    .kernarg_segment_align: 8
    .kernarg_segment_size: 72
    .language:       OpenCL C
    .language_version:
      - 2
      - 0
    .max_flat_workgroup_size: 256
    .name:           _ZN7rocprim17ROCPRIM_400000_NS6detail17trampoline_kernelINS0_14default_configENS1_22reduce_config_selectorIlEEZNS1_11reduce_implILb1ES3_N6thrust23THRUST_200600_302600_NS11hip_rocprim26transform_input_iterator_tIlPKhZN2at6native8ModeImplIbEclEPKbSI_EUlhE_EEPllNS8_4plusIlEEEE10hipError_tPvRmT1_T2_T3_mT4_P12ihipStream_tbEUlT_E0_NS1_11comp_targetILNS1_3genE5ELNS1_11target_archE942ELNS1_3gpuE9ELNS1_3repE0EEENS1_30default_config_static_selectorELNS0_4arch9wavefront6targetE1EEEvSR_
    .private_segment_fixed_size: 0
    .sgpr_count:     4
    .sgpr_spill_count: 0
    .symbol:         _ZN7rocprim17ROCPRIM_400000_NS6detail17trampoline_kernelINS0_14default_configENS1_22reduce_config_selectorIlEEZNS1_11reduce_implILb1ES3_N6thrust23THRUST_200600_302600_NS11hip_rocprim26transform_input_iterator_tIlPKhZN2at6native8ModeImplIbEclEPKbSI_EUlhE_EEPllNS8_4plusIlEEEE10hipError_tPvRmT1_T2_T3_mT4_P12ihipStream_tbEUlT_E0_NS1_11comp_targetILNS1_3genE5ELNS1_11target_archE942ELNS1_3gpuE9ELNS1_3repE0EEENS1_30default_config_static_selectorELNS0_4arch9wavefront6targetE1EEEvSR_.kd
    .uniform_work_group_size: 1
    .uses_dynamic_stack: false
    .vgpr_count:     0
    .vgpr_spill_count: 0
    .wavefront_size: 64
  - .args:
      - .offset:         0
        .size:           72
        .value_kind:     by_value
    .group_segment_fixed_size: 0
    .kernarg_segment_align: 8
    .kernarg_segment_size: 72
    .language:       OpenCL C
    .language_version:
      - 2
      - 0
    .max_flat_workgroup_size: 256
    .name:           _ZN7rocprim17ROCPRIM_400000_NS6detail17trampoline_kernelINS0_14default_configENS1_22reduce_config_selectorIlEEZNS1_11reduce_implILb1ES3_N6thrust23THRUST_200600_302600_NS11hip_rocprim26transform_input_iterator_tIlPKhZN2at6native8ModeImplIbEclEPKbSI_EUlhE_EEPllNS8_4plusIlEEEE10hipError_tPvRmT1_T2_T3_mT4_P12ihipStream_tbEUlT_E0_NS1_11comp_targetILNS1_3genE4ELNS1_11target_archE910ELNS1_3gpuE8ELNS1_3repE0EEENS1_30default_config_static_selectorELNS0_4arch9wavefront6targetE1EEEvSR_
    .private_segment_fixed_size: 0
    .sgpr_count:     4
    .sgpr_spill_count: 0
    .symbol:         _ZN7rocprim17ROCPRIM_400000_NS6detail17trampoline_kernelINS0_14default_configENS1_22reduce_config_selectorIlEEZNS1_11reduce_implILb1ES3_N6thrust23THRUST_200600_302600_NS11hip_rocprim26transform_input_iterator_tIlPKhZN2at6native8ModeImplIbEclEPKbSI_EUlhE_EEPllNS8_4plusIlEEEE10hipError_tPvRmT1_T2_T3_mT4_P12ihipStream_tbEUlT_E0_NS1_11comp_targetILNS1_3genE4ELNS1_11target_archE910ELNS1_3gpuE8ELNS1_3repE0EEENS1_30default_config_static_selectorELNS0_4arch9wavefront6targetE1EEEvSR_.kd
    .uniform_work_group_size: 1
    .uses_dynamic_stack: false
    .vgpr_count:     0
    .vgpr_spill_count: 0
    .wavefront_size: 64
  - .args:
      - .offset:         0
        .size:           72
        .value_kind:     by_value
    .group_segment_fixed_size: 0
    .kernarg_segment_align: 8
    .kernarg_segment_size: 72
    .language:       OpenCL C
    .language_version:
      - 2
      - 0
    .max_flat_workgroup_size: 256
    .name:           _ZN7rocprim17ROCPRIM_400000_NS6detail17trampoline_kernelINS0_14default_configENS1_22reduce_config_selectorIlEEZNS1_11reduce_implILb1ES3_N6thrust23THRUST_200600_302600_NS11hip_rocprim26transform_input_iterator_tIlPKhZN2at6native8ModeImplIbEclEPKbSI_EUlhE_EEPllNS8_4plusIlEEEE10hipError_tPvRmT1_T2_T3_mT4_P12ihipStream_tbEUlT_E0_NS1_11comp_targetILNS1_3genE3ELNS1_11target_archE908ELNS1_3gpuE7ELNS1_3repE0EEENS1_30default_config_static_selectorELNS0_4arch9wavefront6targetE1EEEvSR_
    .private_segment_fixed_size: 0
    .sgpr_count:     4
    .sgpr_spill_count: 0
    .symbol:         _ZN7rocprim17ROCPRIM_400000_NS6detail17trampoline_kernelINS0_14default_configENS1_22reduce_config_selectorIlEEZNS1_11reduce_implILb1ES3_N6thrust23THRUST_200600_302600_NS11hip_rocprim26transform_input_iterator_tIlPKhZN2at6native8ModeImplIbEclEPKbSI_EUlhE_EEPllNS8_4plusIlEEEE10hipError_tPvRmT1_T2_T3_mT4_P12ihipStream_tbEUlT_E0_NS1_11comp_targetILNS1_3genE3ELNS1_11target_archE908ELNS1_3gpuE7ELNS1_3repE0EEENS1_30default_config_static_selectorELNS0_4arch9wavefront6targetE1EEEvSR_.kd
    .uniform_work_group_size: 1
    .uses_dynamic_stack: false
    .vgpr_count:     0
    .vgpr_spill_count: 0
    .wavefront_size: 64
  - .args:
      - .offset:         0
        .size:           72
        .value_kind:     by_value
    .group_segment_fixed_size: 64
    .kernarg_segment_align: 8
    .kernarg_segment_size: 72
    .language:       OpenCL C
    .language_version:
      - 2
      - 0
    .max_flat_workgroup_size: 256
    .name:           _ZN7rocprim17ROCPRIM_400000_NS6detail17trampoline_kernelINS0_14default_configENS1_22reduce_config_selectorIlEEZNS1_11reduce_implILb1ES3_N6thrust23THRUST_200600_302600_NS11hip_rocprim26transform_input_iterator_tIlPKhZN2at6native8ModeImplIbEclEPKbSI_EUlhE_EEPllNS8_4plusIlEEEE10hipError_tPvRmT1_T2_T3_mT4_P12ihipStream_tbEUlT_E0_NS1_11comp_targetILNS1_3genE2ELNS1_11target_archE906ELNS1_3gpuE6ELNS1_3repE0EEENS1_30default_config_static_selectorELNS0_4arch9wavefront6targetE1EEEvSR_
    .private_segment_fixed_size: 0
    .sgpr_count:     24
    .sgpr_spill_count: 0
    .symbol:         _ZN7rocprim17ROCPRIM_400000_NS6detail17trampoline_kernelINS0_14default_configENS1_22reduce_config_selectorIlEEZNS1_11reduce_implILb1ES3_N6thrust23THRUST_200600_302600_NS11hip_rocprim26transform_input_iterator_tIlPKhZN2at6native8ModeImplIbEclEPKbSI_EUlhE_EEPllNS8_4plusIlEEEE10hipError_tPvRmT1_T2_T3_mT4_P12ihipStream_tbEUlT_E0_NS1_11comp_targetILNS1_3genE2ELNS1_11target_archE906ELNS1_3gpuE6ELNS1_3repE0EEENS1_30default_config_static_selectorELNS0_4arch9wavefront6targetE1EEEvSR_.kd
    .uniform_work_group_size: 1
    .uses_dynamic_stack: false
    .vgpr_count:     10
    .vgpr_spill_count: 0
    .wavefront_size: 64
  - .args:
      - .offset:         0
        .size:           72
        .value_kind:     by_value
    .group_segment_fixed_size: 0
    .kernarg_segment_align: 8
    .kernarg_segment_size: 72
    .language:       OpenCL C
    .language_version:
      - 2
      - 0
    .max_flat_workgroup_size: 256
    .name:           _ZN7rocprim17ROCPRIM_400000_NS6detail17trampoline_kernelINS0_14default_configENS1_22reduce_config_selectorIlEEZNS1_11reduce_implILb1ES3_N6thrust23THRUST_200600_302600_NS11hip_rocprim26transform_input_iterator_tIlPKhZN2at6native8ModeImplIbEclEPKbSI_EUlhE_EEPllNS8_4plusIlEEEE10hipError_tPvRmT1_T2_T3_mT4_P12ihipStream_tbEUlT_E0_NS1_11comp_targetILNS1_3genE10ELNS1_11target_archE1201ELNS1_3gpuE5ELNS1_3repE0EEENS1_30default_config_static_selectorELNS0_4arch9wavefront6targetE1EEEvSR_
    .private_segment_fixed_size: 0
    .sgpr_count:     4
    .sgpr_spill_count: 0
    .symbol:         _ZN7rocprim17ROCPRIM_400000_NS6detail17trampoline_kernelINS0_14default_configENS1_22reduce_config_selectorIlEEZNS1_11reduce_implILb1ES3_N6thrust23THRUST_200600_302600_NS11hip_rocprim26transform_input_iterator_tIlPKhZN2at6native8ModeImplIbEclEPKbSI_EUlhE_EEPllNS8_4plusIlEEEE10hipError_tPvRmT1_T2_T3_mT4_P12ihipStream_tbEUlT_E0_NS1_11comp_targetILNS1_3genE10ELNS1_11target_archE1201ELNS1_3gpuE5ELNS1_3repE0EEENS1_30default_config_static_selectorELNS0_4arch9wavefront6targetE1EEEvSR_.kd
    .uniform_work_group_size: 1
    .uses_dynamic_stack: false
    .vgpr_count:     0
    .vgpr_spill_count: 0
    .wavefront_size: 64
  - .args:
      - .offset:         0
        .size:           72
        .value_kind:     by_value
    .group_segment_fixed_size: 0
    .kernarg_segment_align: 8
    .kernarg_segment_size: 72
    .language:       OpenCL C
    .language_version:
      - 2
      - 0
    .max_flat_workgroup_size: 256
    .name:           _ZN7rocprim17ROCPRIM_400000_NS6detail17trampoline_kernelINS0_14default_configENS1_22reduce_config_selectorIlEEZNS1_11reduce_implILb1ES3_N6thrust23THRUST_200600_302600_NS11hip_rocprim26transform_input_iterator_tIlPKhZN2at6native8ModeImplIbEclEPKbSI_EUlhE_EEPllNS8_4plusIlEEEE10hipError_tPvRmT1_T2_T3_mT4_P12ihipStream_tbEUlT_E0_NS1_11comp_targetILNS1_3genE10ELNS1_11target_archE1200ELNS1_3gpuE4ELNS1_3repE0EEENS1_30default_config_static_selectorELNS0_4arch9wavefront6targetE1EEEvSR_
    .private_segment_fixed_size: 0
    .sgpr_count:     4
    .sgpr_spill_count: 0
    .symbol:         _ZN7rocprim17ROCPRIM_400000_NS6detail17trampoline_kernelINS0_14default_configENS1_22reduce_config_selectorIlEEZNS1_11reduce_implILb1ES3_N6thrust23THRUST_200600_302600_NS11hip_rocprim26transform_input_iterator_tIlPKhZN2at6native8ModeImplIbEclEPKbSI_EUlhE_EEPllNS8_4plusIlEEEE10hipError_tPvRmT1_T2_T3_mT4_P12ihipStream_tbEUlT_E0_NS1_11comp_targetILNS1_3genE10ELNS1_11target_archE1200ELNS1_3gpuE4ELNS1_3repE0EEENS1_30default_config_static_selectorELNS0_4arch9wavefront6targetE1EEEvSR_.kd
    .uniform_work_group_size: 1
    .uses_dynamic_stack: false
    .vgpr_count:     0
    .vgpr_spill_count: 0
    .wavefront_size: 64
  - .args:
      - .offset:         0
        .size:           72
        .value_kind:     by_value
    .group_segment_fixed_size: 0
    .kernarg_segment_align: 8
    .kernarg_segment_size: 72
    .language:       OpenCL C
    .language_version:
      - 2
      - 0
    .max_flat_workgroup_size: 256
    .name:           _ZN7rocprim17ROCPRIM_400000_NS6detail17trampoline_kernelINS0_14default_configENS1_22reduce_config_selectorIlEEZNS1_11reduce_implILb1ES3_N6thrust23THRUST_200600_302600_NS11hip_rocprim26transform_input_iterator_tIlPKhZN2at6native8ModeImplIbEclEPKbSI_EUlhE_EEPllNS8_4plusIlEEEE10hipError_tPvRmT1_T2_T3_mT4_P12ihipStream_tbEUlT_E0_NS1_11comp_targetILNS1_3genE9ELNS1_11target_archE1100ELNS1_3gpuE3ELNS1_3repE0EEENS1_30default_config_static_selectorELNS0_4arch9wavefront6targetE1EEEvSR_
    .private_segment_fixed_size: 0
    .sgpr_count:     4
    .sgpr_spill_count: 0
    .symbol:         _ZN7rocprim17ROCPRIM_400000_NS6detail17trampoline_kernelINS0_14default_configENS1_22reduce_config_selectorIlEEZNS1_11reduce_implILb1ES3_N6thrust23THRUST_200600_302600_NS11hip_rocprim26transform_input_iterator_tIlPKhZN2at6native8ModeImplIbEclEPKbSI_EUlhE_EEPllNS8_4plusIlEEEE10hipError_tPvRmT1_T2_T3_mT4_P12ihipStream_tbEUlT_E0_NS1_11comp_targetILNS1_3genE9ELNS1_11target_archE1100ELNS1_3gpuE3ELNS1_3repE0EEENS1_30default_config_static_selectorELNS0_4arch9wavefront6targetE1EEEvSR_.kd
    .uniform_work_group_size: 1
    .uses_dynamic_stack: false
    .vgpr_count:     0
    .vgpr_spill_count: 0
    .wavefront_size: 64
  - .args:
      - .offset:         0
        .size:           72
        .value_kind:     by_value
    .group_segment_fixed_size: 0
    .kernarg_segment_align: 8
    .kernarg_segment_size: 72
    .language:       OpenCL C
    .language_version:
      - 2
      - 0
    .max_flat_workgroup_size: 256
    .name:           _ZN7rocprim17ROCPRIM_400000_NS6detail17trampoline_kernelINS0_14default_configENS1_22reduce_config_selectorIlEEZNS1_11reduce_implILb1ES3_N6thrust23THRUST_200600_302600_NS11hip_rocprim26transform_input_iterator_tIlPKhZN2at6native8ModeImplIbEclEPKbSI_EUlhE_EEPllNS8_4plusIlEEEE10hipError_tPvRmT1_T2_T3_mT4_P12ihipStream_tbEUlT_E0_NS1_11comp_targetILNS1_3genE8ELNS1_11target_archE1030ELNS1_3gpuE2ELNS1_3repE0EEENS1_30default_config_static_selectorELNS0_4arch9wavefront6targetE1EEEvSR_
    .private_segment_fixed_size: 0
    .sgpr_count:     4
    .sgpr_spill_count: 0
    .symbol:         _ZN7rocprim17ROCPRIM_400000_NS6detail17trampoline_kernelINS0_14default_configENS1_22reduce_config_selectorIlEEZNS1_11reduce_implILb1ES3_N6thrust23THRUST_200600_302600_NS11hip_rocprim26transform_input_iterator_tIlPKhZN2at6native8ModeImplIbEclEPKbSI_EUlhE_EEPllNS8_4plusIlEEEE10hipError_tPvRmT1_T2_T3_mT4_P12ihipStream_tbEUlT_E0_NS1_11comp_targetILNS1_3genE8ELNS1_11target_archE1030ELNS1_3gpuE2ELNS1_3repE0EEENS1_30default_config_static_selectorELNS0_4arch9wavefront6targetE1EEEvSR_.kd
    .uniform_work_group_size: 1
    .uses_dynamic_stack: false
    .vgpr_count:     0
    .vgpr_spill_count: 0
    .wavefront_size: 64
  - .args:
      - .offset:         0
        .size:           56
        .value_kind:     by_value
    .group_segment_fixed_size: 0
    .kernarg_segment_align: 8
    .kernarg_segment_size: 56
    .language:       OpenCL C
    .language_version:
      - 2
      - 0
    .max_flat_workgroup_size: 256
    .name:           _ZN7rocprim17ROCPRIM_400000_NS6detail17trampoline_kernelINS0_14default_configENS1_22reduce_config_selectorIlEEZNS1_11reduce_implILb1ES3_N6thrust23THRUST_200600_302600_NS11hip_rocprim26transform_input_iterator_tIlPKhZN2at6native8ModeImplIbEclEPKbSI_EUlhE_EEPllNS8_4plusIlEEEE10hipError_tPvRmT1_T2_T3_mT4_P12ihipStream_tbEUlT_E1_NS1_11comp_targetILNS1_3genE0ELNS1_11target_archE4294967295ELNS1_3gpuE0ELNS1_3repE0EEENS1_30default_config_static_selectorELNS0_4arch9wavefront6targetE1EEEvSR_
    .private_segment_fixed_size: 0
    .sgpr_count:     4
    .sgpr_spill_count: 0
    .symbol:         _ZN7rocprim17ROCPRIM_400000_NS6detail17trampoline_kernelINS0_14default_configENS1_22reduce_config_selectorIlEEZNS1_11reduce_implILb1ES3_N6thrust23THRUST_200600_302600_NS11hip_rocprim26transform_input_iterator_tIlPKhZN2at6native8ModeImplIbEclEPKbSI_EUlhE_EEPllNS8_4plusIlEEEE10hipError_tPvRmT1_T2_T3_mT4_P12ihipStream_tbEUlT_E1_NS1_11comp_targetILNS1_3genE0ELNS1_11target_archE4294967295ELNS1_3gpuE0ELNS1_3repE0EEENS1_30default_config_static_selectorELNS0_4arch9wavefront6targetE1EEEvSR_.kd
    .uniform_work_group_size: 1
    .uses_dynamic_stack: false
    .vgpr_count:     0
    .vgpr_spill_count: 0
    .wavefront_size: 64
  - .args:
      - .offset:         0
        .size:           56
        .value_kind:     by_value
    .group_segment_fixed_size: 0
    .kernarg_segment_align: 8
    .kernarg_segment_size: 56
    .language:       OpenCL C
    .language_version:
      - 2
      - 0
    .max_flat_workgroup_size: 256
    .name:           _ZN7rocprim17ROCPRIM_400000_NS6detail17trampoline_kernelINS0_14default_configENS1_22reduce_config_selectorIlEEZNS1_11reduce_implILb1ES3_N6thrust23THRUST_200600_302600_NS11hip_rocprim26transform_input_iterator_tIlPKhZN2at6native8ModeImplIbEclEPKbSI_EUlhE_EEPllNS8_4plusIlEEEE10hipError_tPvRmT1_T2_T3_mT4_P12ihipStream_tbEUlT_E1_NS1_11comp_targetILNS1_3genE5ELNS1_11target_archE942ELNS1_3gpuE9ELNS1_3repE0EEENS1_30default_config_static_selectorELNS0_4arch9wavefront6targetE1EEEvSR_
    .private_segment_fixed_size: 0
    .sgpr_count:     4
    .sgpr_spill_count: 0
    .symbol:         _ZN7rocprim17ROCPRIM_400000_NS6detail17trampoline_kernelINS0_14default_configENS1_22reduce_config_selectorIlEEZNS1_11reduce_implILb1ES3_N6thrust23THRUST_200600_302600_NS11hip_rocprim26transform_input_iterator_tIlPKhZN2at6native8ModeImplIbEclEPKbSI_EUlhE_EEPllNS8_4plusIlEEEE10hipError_tPvRmT1_T2_T3_mT4_P12ihipStream_tbEUlT_E1_NS1_11comp_targetILNS1_3genE5ELNS1_11target_archE942ELNS1_3gpuE9ELNS1_3repE0EEENS1_30default_config_static_selectorELNS0_4arch9wavefront6targetE1EEEvSR_.kd
    .uniform_work_group_size: 1
    .uses_dynamic_stack: false
    .vgpr_count:     0
    .vgpr_spill_count: 0
    .wavefront_size: 64
  - .args:
      - .offset:         0
        .size:           56
        .value_kind:     by_value
    .group_segment_fixed_size: 0
    .kernarg_segment_align: 8
    .kernarg_segment_size: 56
    .language:       OpenCL C
    .language_version:
      - 2
      - 0
    .max_flat_workgroup_size: 256
    .name:           _ZN7rocprim17ROCPRIM_400000_NS6detail17trampoline_kernelINS0_14default_configENS1_22reduce_config_selectorIlEEZNS1_11reduce_implILb1ES3_N6thrust23THRUST_200600_302600_NS11hip_rocprim26transform_input_iterator_tIlPKhZN2at6native8ModeImplIbEclEPKbSI_EUlhE_EEPllNS8_4plusIlEEEE10hipError_tPvRmT1_T2_T3_mT4_P12ihipStream_tbEUlT_E1_NS1_11comp_targetILNS1_3genE4ELNS1_11target_archE910ELNS1_3gpuE8ELNS1_3repE0EEENS1_30default_config_static_selectorELNS0_4arch9wavefront6targetE1EEEvSR_
    .private_segment_fixed_size: 0
    .sgpr_count:     4
    .sgpr_spill_count: 0
    .symbol:         _ZN7rocprim17ROCPRIM_400000_NS6detail17trampoline_kernelINS0_14default_configENS1_22reduce_config_selectorIlEEZNS1_11reduce_implILb1ES3_N6thrust23THRUST_200600_302600_NS11hip_rocprim26transform_input_iterator_tIlPKhZN2at6native8ModeImplIbEclEPKbSI_EUlhE_EEPllNS8_4plusIlEEEE10hipError_tPvRmT1_T2_T3_mT4_P12ihipStream_tbEUlT_E1_NS1_11comp_targetILNS1_3genE4ELNS1_11target_archE910ELNS1_3gpuE8ELNS1_3repE0EEENS1_30default_config_static_selectorELNS0_4arch9wavefront6targetE1EEEvSR_.kd
    .uniform_work_group_size: 1
    .uses_dynamic_stack: false
    .vgpr_count:     0
    .vgpr_spill_count: 0
    .wavefront_size: 64
  - .args:
      - .offset:         0
        .size:           56
        .value_kind:     by_value
    .group_segment_fixed_size: 0
    .kernarg_segment_align: 8
    .kernarg_segment_size: 56
    .language:       OpenCL C
    .language_version:
      - 2
      - 0
    .max_flat_workgroup_size: 256
    .name:           _ZN7rocprim17ROCPRIM_400000_NS6detail17trampoline_kernelINS0_14default_configENS1_22reduce_config_selectorIlEEZNS1_11reduce_implILb1ES3_N6thrust23THRUST_200600_302600_NS11hip_rocprim26transform_input_iterator_tIlPKhZN2at6native8ModeImplIbEclEPKbSI_EUlhE_EEPllNS8_4plusIlEEEE10hipError_tPvRmT1_T2_T3_mT4_P12ihipStream_tbEUlT_E1_NS1_11comp_targetILNS1_3genE3ELNS1_11target_archE908ELNS1_3gpuE7ELNS1_3repE0EEENS1_30default_config_static_selectorELNS0_4arch9wavefront6targetE1EEEvSR_
    .private_segment_fixed_size: 0
    .sgpr_count:     4
    .sgpr_spill_count: 0
    .symbol:         _ZN7rocprim17ROCPRIM_400000_NS6detail17trampoline_kernelINS0_14default_configENS1_22reduce_config_selectorIlEEZNS1_11reduce_implILb1ES3_N6thrust23THRUST_200600_302600_NS11hip_rocprim26transform_input_iterator_tIlPKhZN2at6native8ModeImplIbEclEPKbSI_EUlhE_EEPllNS8_4plusIlEEEE10hipError_tPvRmT1_T2_T3_mT4_P12ihipStream_tbEUlT_E1_NS1_11comp_targetILNS1_3genE3ELNS1_11target_archE908ELNS1_3gpuE7ELNS1_3repE0EEENS1_30default_config_static_selectorELNS0_4arch9wavefront6targetE1EEEvSR_.kd
    .uniform_work_group_size: 1
    .uses_dynamic_stack: false
    .vgpr_count:     0
    .vgpr_spill_count: 0
    .wavefront_size: 64
  - .args:
      - .offset:         0
        .size:           56
        .value_kind:     by_value
    .group_segment_fixed_size: 192
    .kernarg_segment_align: 8
    .kernarg_segment_size: 56
    .language:       OpenCL C
    .language_version:
      - 2
      - 0
    .max_flat_workgroup_size: 256
    .name:           _ZN7rocprim17ROCPRIM_400000_NS6detail17trampoline_kernelINS0_14default_configENS1_22reduce_config_selectorIlEEZNS1_11reduce_implILb1ES3_N6thrust23THRUST_200600_302600_NS11hip_rocprim26transform_input_iterator_tIlPKhZN2at6native8ModeImplIbEclEPKbSI_EUlhE_EEPllNS8_4plusIlEEEE10hipError_tPvRmT1_T2_T3_mT4_P12ihipStream_tbEUlT_E1_NS1_11comp_targetILNS1_3genE2ELNS1_11target_archE906ELNS1_3gpuE6ELNS1_3repE0EEENS1_30default_config_static_selectorELNS0_4arch9wavefront6targetE1EEEvSR_
    .private_segment_fixed_size: 0
    .sgpr_count:     33
    .sgpr_spill_count: 0
    .symbol:         _ZN7rocprim17ROCPRIM_400000_NS6detail17trampoline_kernelINS0_14default_configENS1_22reduce_config_selectorIlEEZNS1_11reduce_implILb1ES3_N6thrust23THRUST_200600_302600_NS11hip_rocprim26transform_input_iterator_tIlPKhZN2at6native8ModeImplIbEclEPKbSI_EUlhE_EEPllNS8_4plusIlEEEE10hipError_tPvRmT1_T2_T3_mT4_P12ihipStream_tbEUlT_E1_NS1_11comp_targetILNS1_3genE2ELNS1_11target_archE906ELNS1_3gpuE6ELNS1_3repE0EEENS1_30default_config_static_selectorELNS0_4arch9wavefront6targetE1EEEvSR_.kd
    .uniform_work_group_size: 1
    .uses_dynamic_stack: false
    .vgpr_count:     34
    .vgpr_spill_count: 0
    .wavefront_size: 64
  - .args:
      - .offset:         0
        .size:           56
        .value_kind:     by_value
    .group_segment_fixed_size: 0
    .kernarg_segment_align: 8
    .kernarg_segment_size: 56
    .language:       OpenCL C
    .language_version:
      - 2
      - 0
    .max_flat_workgroup_size: 256
    .name:           _ZN7rocprim17ROCPRIM_400000_NS6detail17trampoline_kernelINS0_14default_configENS1_22reduce_config_selectorIlEEZNS1_11reduce_implILb1ES3_N6thrust23THRUST_200600_302600_NS11hip_rocprim26transform_input_iterator_tIlPKhZN2at6native8ModeImplIbEclEPKbSI_EUlhE_EEPllNS8_4plusIlEEEE10hipError_tPvRmT1_T2_T3_mT4_P12ihipStream_tbEUlT_E1_NS1_11comp_targetILNS1_3genE10ELNS1_11target_archE1201ELNS1_3gpuE5ELNS1_3repE0EEENS1_30default_config_static_selectorELNS0_4arch9wavefront6targetE1EEEvSR_
    .private_segment_fixed_size: 0
    .sgpr_count:     4
    .sgpr_spill_count: 0
    .symbol:         _ZN7rocprim17ROCPRIM_400000_NS6detail17trampoline_kernelINS0_14default_configENS1_22reduce_config_selectorIlEEZNS1_11reduce_implILb1ES3_N6thrust23THRUST_200600_302600_NS11hip_rocprim26transform_input_iterator_tIlPKhZN2at6native8ModeImplIbEclEPKbSI_EUlhE_EEPllNS8_4plusIlEEEE10hipError_tPvRmT1_T2_T3_mT4_P12ihipStream_tbEUlT_E1_NS1_11comp_targetILNS1_3genE10ELNS1_11target_archE1201ELNS1_3gpuE5ELNS1_3repE0EEENS1_30default_config_static_selectorELNS0_4arch9wavefront6targetE1EEEvSR_.kd
    .uniform_work_group_size: 1
    .uses_dynamic_stack: false
    .vgpr_count:     0
    .vgpr_spill_count: 0
    .wavefront_size: 64
  - .args:
      - .offset:         0
        .size:           56
        .value_kind:     by_value
    .group_segment_fixed_size: 0
    .kernarg_segment_align: 8
    .kernarg_segment_size: 56
    .language:       OpenCL C
    .language_version:
      - 2
      - 0
    .max_flat_workgroup_size: 256
    .name:           _ZN7rocprim17ROCPRIM_400000_NS6detail17trampoline_kernelINS0_14default_configENS1_22reduce_config_selectorIlEEZNS1_11reduce_implILb1ES3_N6thrust23THRUST_200600_302600_NS11hip_rocprim26transform_input_iterator_tIlPKhZN2at6native8ModeImplIbEclEPKbSI_EUlhE_EEPllNS8_4plusIlEEEE10hipError_tPvRmT1_T2_T3_mT4_P12ihipStream_tbEUlT_E1_NS1_11comp_targetILNS1_3genE10ELNS1_11target_archE1200ELNS1_3gpuE4ELNS1_3repE0EEENS1_30default_config_static_selectorELNS0_4arch9wavefront6targetE1EEEvSR_
    .private_segment_fixed_size: 0
    .sgpr_count:     4
    .sgpr_spill_count: 0
    .symbol:         _ZN7rocprim17ROCPRIM_400000_NS6detail17trampoline_kernelINS0_14default_configENS1_22reduce_config_selectorIlEEZNS1_11reduce_implILb1ES3_N6thrust23THRUST_200600_302600_NS11hip_rocprim26transform_input_iterator_tIlPKhZN2at6native8ModeImplIbEclEPKbSI_EUlhE_EEPllNS8_4plusIlEEEE10hipError_tPvRmT1_T2_T3_mT4_P12ihipStream_tbEUlT_E1_NS1_11comp_targetILNS1_3genE10ELNS1_11target_archE1200ELNS1_3gpuE4ELNS1_3repE0EEENS1_30default_config_static_selectorELNS0_4arch9wavefront6targetE1EEEvSR_.kd
    .uniform_work_group_size: 1
    .uses_dynamic_stack: false
    .vgpr_count:     0
    .vgpr_spill_count: 0
    .wavefront_size: 64
  - .args:
      - .offset:         0
        .size:           56
        .value_kind:     by_value
    .group_segment_fixed_size: 0
    .kernarg_segment_align: 8
    .kernarg_segment_size: 56
    .language:       OpenCL C
    .language_version:
      - 2
      - 0
    .max_flat_workgroup_size: 256
    .name:           _ZN7rocprim17ROCPRIM_400000_NS6detail17trampoline_kernelINS0_14default_configENS1_22reduce_config_selectorIlEEZNS1_11reduce_implILb1ES3_N6thrust23THRUST_200600_302600_NS11hip_rocprim26transform_input_iterator_tIlPKhZN2at6native8ModeImplIbEclEPKbSI_EUlhE_EEPllNS8_4plusIlEEEE10hipError_tPvRmT1_T2_T3_mT4_P12ihipStream_tbEUlT_E1_NS1_11comp_targetILNS1_3genE9ELNS1_11target_archE1100ELNS1_3gpuE3ELNS1_3repE0EEENS1_30default_config_static_selectorELNS0_4arch9wavefront6targetE1EEEvSR_
    .private_segment_fixed_size: 0
    .sgpr_count:     4
    .sgpr_spill_count: 0
    .symbol:         _ZN7rocprim17ROCPRIM_400000_NS6detail17trampoline_kernelINS0_14default_configENS1_22reduce_config_selectorIlEEZNS1_11reduce_implILb1ES3_N6thrust23THRUST_200600_302600_NS11hip_rocprim26transform_input_iterator_tIlPKhZN2at6native8ModeImplIbEclEPKbSI_EUlhE_EEPllNS8_4plusIlEEEE10hipError_tPvRmT1_T2_T3_mT4_P12ihipStream_tbEUlT_E1_NS1_11comp_targetILNS1_3genE9ELNS1_11target_archE1100ELNS1_3gpuE3ELNS1_3repE0EEENS1_30default_config_static_selectorELNS0_4arch9wavefront6targetE1EEEvSR_.kd
    .uniform_work_group_size: 1
    .uses_dynamic_stack: false
    .vgpr_count:     0
    .vgpr_spill_count: 0
    .wavefront_size: 64
  - .args:
      - .offset:         0
        .size:           56
        .value_kind:     by_value
    .group_segment_fixed_size: 0
    .kernarg_segment_align: 8
    .kernarg_segment_size: 56
    .language:       OpenCL C
    .language_version:
      - 2
      - 0
    .max_flat_workgroup_size: 256
    .name:           _ZN7rocprim17ROCPRIM_400000_NS6detail17trampoline_kernelINS0_14default_configENS1_22reduce_config_selectorIlEEZNS1_11reduce_implILb1ES3_N6thrust23THRUST_200600_302600_NS11hip_rocprim26transform_input_iterator_tIlPKhZN2at6native8ModeImplIbEclEPKbSI_EUlhE_EEPllNS8_4plusIlEEEE10hipError_tPvRmT1_T2_T3_mT4_P12ihipStream_tbEUlT_E1_NS1_11comp_targetILNS1_3genE8ELNS1_11target_archE1030ELNS1_3gpuE2ELNS1_3repE0EEENS1_30default_config_static_selectorELNS0_4arch9wavefront6targetE1EEEvSR_
    .private_segment_fixed_size: 0
    .sgpr_count:     4
    .sgpr_spill_count: 0
    .symbol:         _ZN7rocprim17ROCPRIM_400000_NS6detail17trampoline_kernelINS0_14default_configENS1_22reduce_config_selectorIlEEZNS1_11reduce_implILb1ES3_N6thrust23THRUST_200600_302600_NS11hip_rocprim26transform_input_iterator_tIlPKhZN2at6native8ModeImplIbEclEPKbSI_EUlhE_EEPllNS8_4plusIlEEEE10hipError_tPvRmT1_T2_T3_mT4_P12ihipStream_tbEUlT_E1_NS1_11comp_targetILNS1_3genE8ELNS1_11target_archE1030ELNS1_3gpuE2ELNS1_3repE0EEENS1_30default_config_static_selectorELNS0_4arch9wavefront6targetE1EEEvSR_.kd
    .uniform_work_group_size: 1
    .uses_dynamic_stack: false
    .vgpr_count:     0
    .vgpr_spill_count: 0
    .wavefront_size: 64
  - .args:
      - .offset:         0
        .size:           72
        .value_kind:     by_value
    .group_segment_fixed_size: 0
    .kernarg_segment_align: 8
    .kernarg_segment_size: 72
    .language:       OpenCL C
    .language_version:
      - 2
      - 0
    .max_flat_workgroup_size: 128
    .name:           _ZN7rocprim17ROCPRIM_400000_NS6detail17trampoline_kernelINS0_14default_configENS1_22reduce_config_selectorIN6thrust23THRUST_200600_302600_NS5tupleIblNS6_9null_typeES8_S8_S8_S8_S8_S8_S8_EEEEZNS1_11reduce_implILb1ES3_PS9_SC_S9_NS6_11hip_rocprim9__find_if7functorIS9_EEEE10hipError_tPvRmT1_T2_T3_mT4_P12ihipStream_tbEUlT_E0_NS1_11comp_targetILNS1_3genE0ELNS1_11target_archE4294967295ELNS1_3gpuE0ELNS1_3repE0EEENS1_30default_config_static_selectorELNS0_4arch9wavefront6targetE1EEEvSK_
    .private_segment_fixed_size: 0
    .sgpr_count:     4
    .sgpr_spill_count: 0
    .symbol:         _ZN7rocprim17ROCPRIM_400000_NS6detail17trampoline_kernelINS0_14default_configENS1_22reduce_config_selectorIN6thrust23THRUST_200600_302600_NS5tupleIblNS6_9null_typeES8_S8_S8_S8_S8_S8_S8_EEEEZNS1_11reduce_implILb1ES3_PS9_SC_S9_NS6_11hip_rocprim9__find_if7functorIS9_EEEE10hipError_tPvRmT1_T2_T3_mT4_P12ihipStream_tbEUlT_E0_NS1_11comp_targetILNS1_3genE0ELNS1_11target_archE4294967295ELNS1_3gpuE0ELNS1_3repE0EEENS1_30default_config_static_selectorELNS0_4arch9wavefront6targetE1EEEvSK_.kd
    .uniform_work_group_size: 1
    .uses_dynamic_stack: false
    .vgpr_count:     0
    .vgpr_spill_count: 0
    .wavefront_size: 64
  - .args:
      - .offset:         0
        .size:           72
        .value_kind:     by_value
    .group_segment_fixed_size: 0
    .kernarg_segment_align: 8
    .kernarg_segment_size: 72
    .language:       OpenCL C
    .language_version:
      - 2
      - 0
    .max_flat_workgroup_size: 256
    .name:           _ZN7rocprim17ROCPRIM_400000_NS6detail17trampoline_kernelINS0_14default_configENS1_22reduce_config_selectorIN6thrust23THRUST_200600_302600_NS5tupleIblNS6_9null_typeES8_S8_S8_S8_S8_S8_S8_EEEEZNS1_11reduce_implILb1ES3_PS9_SC_S9_NS6_11hip_rocprim9__find_if7functorIS9_EEEE10hipError_tPvRmT1_T2_T3_mT4_P12ihipStream_tbEUlT_E0_NS1_11comp_targetILNS1_3genE5ELNS1_11target_archE942ELNS1_3gpuE9ELNS1_3repE0EEENS1_30default_config_static_selectorELNS0_4arch9wavefront6targetE1EEEvSK_
    .private_segment_fixed_size: 0
    .sgpr_count:     4
    .sgpr_spill_count: 0
    .symbol:         _ZN7rocprim17ROCPRIM_400000_NS6detail17trampoline_kernelINS0_14default_configENS1_22reduce_config_selectorIN6thrust23THRUST_200600_302600_NS5tupleIblNS6_9null_typeES8_S8_S8_S8_S8_S8_S8_EEEEZNS1_11reduce_implILb1ES3_PS9_SC_S9_NS6_11hip_rocprim9__find_if7functorIS9_EEEE10hipError_tPvRmT1_T2_T3_mT4_P12ihipStream_tbEUlT_E0_NS1_11comp_targetILNS1_3genE5ELNS1_11target_archE942ELNS1_3gpuE9ELNS1_3repE0EEENS1_30default_config_static_selectorELNS0_4arch9wavefront6targetE1EEEvSK_.kd
    .uniform_work_group_size: 1
    .uses_dynamic_stack: false
    .vgpr_count:     0
    .vgpr_spill_count: 0
    .wavefront_size: 64
  - .args:
      - .offset:         0
        .size:           72
        .value_kind:     by_value
    .group_segment_fixed_size: 0
    .kernarg_segment_align: 8
    .kernarg_segment_size: 72
    .language:       OpenCL C
    .language_version:
      - 2
      - 0
    .max_flat_workgroup_size: 256
    .name:           _ZN7rocprim17ROCPRIM_400000_NS6detail17trampoline_kernelINS0_14default_configENS1_22reduce_config_selectorIN6thrust23THRUST_200600_302600_NS5tupleIblNS6_9null_typeES8_S8_S8_S8_S8_S8_S8_EEEEZNS1_11reduce_implILb1ES3_PS9_SC_S9_NS6_11hip_rocprim9__find_if7functorIS9_EEEE10hipError_tPvRmT1_T2_T3_mT4_P12ihipStream_tbEUlT_E0_NS1_11comp_targetILNS1_3genE4ELNS1_11target_archE910ELNS1_3gpuE8ELNS1_3repE0EEENS1_30default_config_static_selectorELNS0_4arch9wavefront6targetE1EEEvSK_
    .private_segment_fixed_size: 0
    .sgpr_count:     4
    .sgpr_spill_count: 0
    .symbol:         _ZN7rocprim17ROCPRIM_400000_NS6detail17trampoline_kernelINS0_14default_configENS1_22reduce_config_selectorIN6thrust23THRUST_200600_302600_NS5tupleIblNS6_9null_typeES8_S8_S8_S8_S8_S8_S8_EEEEZNS1_11reduce_implILb1ES3_PS9_SC_S9_NS6_11hip_rocprim9__find_if7functorIS9_EEEE10hipError_tPvRmT1_T2_T3_mT4_P12ihipStream_tbEUlT_E0_NS1_11comp_targetILNS1_3genE4ELNS1_11target_archE910ELNS1_3gpuE8ELNS1_3repE0EEENS1_30default_config_static_selectorELNS0_4arch9wavefront6targetE1EEEvSK_.kd
    .uniform_work_group_size: 1
    .uses_dynamic_stack: false
    .vgpr_count:     0
    .vgpr_spill_count: 0
    .wavefront_size: 64
  - .args:
      - .offset:         0
        .size:           72
        .value_kind:     by_value
    .group_segment_fixed_size: 0
    .kernarg_segment_align: 8
    .kernarg_segment_size: 72
    .language:       OpenCL C
    .language_version:
      - 2
      - 0
    .max_flat_workgroup_size: 128
    .name:           _ZN7rocprim17ROCPRIM_400000_NS6detail17trampoline_kernelINS0_14default_configENS1_22reduce_config_selectorIN6thrust23THRUST_200600_302600_NS5tupleIblNS6_9null_typeES8_S8_S8_S8_S8_S8_S8_EEEEZNS1_11reduce_implILb1ES3_PS9_SC_S9_NS6_11hip_rocprim9__find_if7functorIS9_EEEE10hipError_tPvRmT1_T2_T3_mT4_P12ihipStream_tbEUlT_E0_NS1_11comp_targetILNS1_3genE3ELNS1_11target_archE908ELNS1_3gpuE7ELNS1_3repE0EEENS1_30default_config_static_selectorELNS0_4arch9wavefront6targetE1EEEvSK_
    .private_segment_fixed_size: 0
    .sgpr_count:     4
    .sgpr_spill_count: 0
    .symbol:         _ZN7rocprim17ROCPRIM_400000_NS6detail17trampoline_kernelINS0_14default_configENS1_22reduce_config_selectorIN6thrust23THRUST_200600_302600_NS5tupleIblNS6_9null_typeES8_S8_S8_S8_S8_S8_S8_EEEEZNS1_11reduce_implILb1ES3_PS9_SC_S9_NS6_11hip_rocprim9__find_if7functorIS9_EEEE10hipError_tPvRmT1_T2_T3_mT4_P12ihipStream_tbEUlT_E0_NS1_11comp_targetILNS1_3genE3ELNS1_11target_archE908ELNS1_3gpuE7ELNS1_3repE0EEENS1_30default_config_static_selectorELNS0_4arch9wavefront6targetE1EEEvSK_.kd
    .uniform_work_group_size: 1
    .uses_dynamic_stack: false
    .vgpr_count:     0
    .vgpr_spill_count: 0
    .wavefront_size: 64
  - .args:
      - .offset:         0
        .size:           72
        .value_kind:     by_value
    .group_segment_fixed_size: 64
    .kernarg_segment_align: 8
    .kernarg_segment_size: 72
    .language:       OpenCL C
    .language_version:
      - 2
      - 0
    .max_flat_workgroup_size: 128
    .name:           _ZN7rocprim17ROCPRIM_400000_NS6detail17trampoline_kernelINS0_14default_configENS1_22reduce_config_selectorIN6thrust23THRUST_200600_302600_NS5tupleIblNS6_9null_typeES8_S8_S8_S8_S8_S8_S8_EEEEZNS1_11reduce_implILb1ES3_PS9_SC_S9_NS6_11hip_rocprim9__find_if7functorIS9_EEEE10hipError_tPvRmT1_T2_T3_mT4_P12ihipStream_tbEUlT_E0_NS1_11comp_targetILNS1_3genE2ELNS1_11target_archE906ELNS1_3gpuE6ELNS1_3repE0EEENS1_30default_config_static_selectorELNS0_4arch9wavefront6targetE1EEEvSK_
    .private_segment_fixed_size: 0
    .sgpr_count:     30
    .sgpr_spill_count: 0
    .symbol:         _ZN7rocprim17ROCPRIM_400000_NS6detail17trampoline_kernelINS0_14default_configENS1_22reduce_config_selectorIN6thrust23THRUST_200600_302600_NS5tupleIblNS6_9null_typeES8_S8_S8_S8_S8_S8_S8_EEEEZNS1_11reduce_implILb1ES3_PS9_SC_S9_NS6_11hip_rocprim9__find_if7functorIS9_EEEE10hipError_tPvRmT1_T2_T3_mT4_P12ihipStream_tbEUlT_E0_NS1_11comp_targetILNS1_3genE2ELNS1_11target_archE906ELNS1_3gpuE6ELNS1_3repE0EEENS1_30default_config_static_selectorELNS0_4arch9wavefront6targetE1EEEvSK_.kd
    .uniform_work_group_size: 1
    .uses_dynamic_stack: false
    .vgpr_count:     13
    .vgpr_spill_count: 0
    .wavefront_size: 64
  - .args:
      - .offset:         0
        .size:           72
        .value_kind:     by_value
    .group_segment_fixed_size: 0
    .kernarg_segment_align: 8
    .kernarg_segment_size: 72
    .language:       OpenCL C
    .language_version:
      - 2
      - 0
    .max_flat_workgroup_size: 256
    .name:           _ZN7rocprim17ROCPRIM_400000_NS6detail17trampoline_kernelINS0_14default_configENS1_22reduce_config_selectorIN6thrust23THRUST_200600_302600_NS5tupleIblNS6_9null_typeES8_S8_S8_S8_S8_S8_S8_EEEEZNS1_11reduce_implILb1ES3_PS9_SC_S9_NS6_11hip_rocprim9__find_if7functorIS9_EEEE10hipError_tPvRmT1_T2_T3_mT4_P12ihipStream_tbEUlT_E0_NS1_11comp_targetILNS1_3genE10ELNS1_11target_archE1201ELNS1_3gpuE5ELNS1_3repE0EEENS1_30default_config_static_selectorELNS0_4arch9wavefront6targetE1EEEvSK_
    .private_segment_fixed_size: 0
    .sgpr_count:     4
    .sgpr_spill_count: 0
    .symbol:         _ZN7rocprim17ROCPRIM_400000_NS6detail17trampoline_kernelINS0_14default_configENS1_22reduce_config_selectorIN6thrust23THRUST_200600_302600_NS5tupleIblNS6_9null_typeES8_S8_S8_S8_S8_S8_S8_EEEEZNS1_11reduce_implILb1ES3_PS9_SC_S9_NS6_11hip_rocprim9__find_if7functorIS9_EEEE10hipError_tPvRmT1_T2_T3_mT4_P12ihipStream_tbEUlT_E0_NS1_11comp_targetILNS1_3genE10ELNS1_11target_archE1201ELNS1_3gpuE5ELNS1_3repE0EEENS1_30default_config_static_selectorELNS0_4arch9wavefront6targetE1EEEvSK_.kd
    .uniform_work_group_size: 1
    .uses_dynamic_stack: false
    .vgpr_count:     0
    .vgpr_spill_count: 0
    .wavefront_size: 64
  - .args:
      - .offset:         0
        .size:           72
        .value_kind:     by_value
    .group_segment_fixed_size: 0
    .kernarg_segment_align: 8
    .kernarg_segment_size: 72
    .language:       OpenCL C
    .language_version:
      - 2
      - 0
    .max_flat_workgroup_size: 256
    .name:           _ZN7rocprim17ROCPRIM_400000_NS6detail17trampoline_kernelINS0_14default_configENS1_22reduce_config_selectorIN6thrust23THRUST_200600_302600_NS5tupleIblNS6_9null_typeES8_S8_S8_S8_S8_S8_S8_EEEEZNS1_11reduce_implILb1ES3_PS9_SC_S9_NS6_11hip_rocprim9__find_if7functorIS9_EEEE10hipError_tPvRmT1_T2_T3_mT4_P12ihipStream_tbEUlT_E0_NS1_11comp_targetILNS1_3genE10ELNS1_11target_archE1200ELNS1_3gpuE4ELNS1_3repE0EEENS1_30default_config_static_selectorELNS0_4arch9wavefront6targetE1EEEvSK_
    .private_segment_fixed_size: 0
    .sgpr_count:     4
    .sgpr_spill_count: 0
    .symbol:         _ZN7rocprim17ROCPRIM_400000_NS6detail17trampoline_kernelINS0_14default_configENS1_22reduce_config_selectorIN6thrust23THRUST_200600_302600_NS5tupleIblNS6_9null_typeES8_S8_S8_S8_S8_S8_S8_EEEEZNS1_11reduce_implILb1ES3_PS9_SC_S9_NS6_11hip_rocprim9__find_if7functorIS9_EEEE10hipError_tPvRmT1_T2_T3_mT4_P12ihipStream_tbEUlT_E0_NS1_11comp_targetILNS1_3genE10ELNS1_11target_archE1200ELNS1_3gpuE4ELNS1_3repE0EEENS1_30default_config_static_selectorELNS0_4arch9wavefront6targetE1EEEvSK_.kd
    .uniform_work_group_size: 1
    .uses_dynamic_stack: false
    .vgpr_count:     0
    .vgpr_spill_count: 0
    .wavefront_size: 64
  - .args:
      - .offset:         0
        .size:           72
        .value_kind:     by_value
    .group_segment_fixed_size: 0
    .kernarg_segment_align: 8
    .kernarg_segment_size: 72
    .language:       OpenCL C
    .language_version:
      - 2
      - 0
    .max_flat_workgroup_size: 256
    .name:           _ZN7rocprim17ROCPRIM_400000_NS6detail17trampoline_kernelINS0_14default_configENS1_22reduce_config_selectorIN6thrust23THRUST_200600_302600_NS5tupleIblNS6_9null_typeES8_S8_S8_S8_S8_S8_S8_EEEEZNS1_11reduce_implILb1ES3_PS9_SC_S9_NS6_11hip_rocprim9__find_if7functorIS9_EEEE10hipError_tPvRmT1_T2_T3_mT4_P12ihipStream_tbEUlT_E0_NS1_11comp_targetILNS1_3genE9ELNS1_11target_archE1100ELNS1_3gpuE3ELNS1_3repE0EEENS1_30default_config_static_selectorELNS0_4arch9wavefront6targetE1EEEvSK_
    .private_segment_fixed_size: 0
    .sgpr_count:     4
    .sgpr_spill_count: 0
    .symbol:         _ZN7rocprim17ROCPRIM_400000_NS6detail17trampoline_kernelINS0_14default_configENS1_22reduce_config_selectorIN6thrust23THRUST_200600_302600_NS5tupleIblNS6_9null_typeES8_S8_S8_S8_S8_S8_S8_EEEEZNS1_11reduce_implILb1ES3_PS9_SC_S9_NS6_11hip_rocprim9__find_if7functorIS9_EEEE10hipError_tPvRmT1_T2_T3_mT4_P12ihipStream_tbEUlT_E0_NS1_11comp_targetILNS1_3genE9ELNS1_11target_archE1100ELNS1_3gpuE3ELNS1_3repE0EEENS1_30default_config_static_selectorELNS0_4arch9wavefront6targetE1EEEvSK_.kd
    .uniform_work_group_size: 1
    .uses_dynamic_stack: false
    .vgpr_count:     0
    .vgpr_spill_count: 0
    .wavefront_size: 64
  - .args:
      - .offset:         0
        .size:           72
        .value_kind:     by_value
    .group_segment_fixed_size: 0
    .kernarg_segment_align: 8
    .kernarg_segment_size: 72
    .language:       OpenCL C
    .language_version:
      - 2
      - 0
    .max_flat_workgroup_size: 256
    .name:           _ZN7rocprim17ROCPRIM_400000_NS6detail17trampoline_kernelINS0_14default_configENS1_22reduce_config_selectorIN6thrust23THRUST_200600_302600_NS5tupleIblNS6_9null_typeES8_S8_S8_S8_S8_S8_S8_EEEEZNS1_11reduce_implILb1ES3_PS9_SC_S9_NS6_11hip_rocprim9__find_if7functorIS9_EEEE10hipError_tPvRmT1_T2_T3_mT4_P12ihipStream_tbEUlT_E0_NS1_11comp_targetILNS1_3genE8ELNS1_11target_archE1030ELNS1_3gpuE2ELNS1_3repE0EEENS1_30default_config_static_selectorELNS0_4arch9wavefront6targetE1EEEvSK_
    .private_segment_fixed_size: 0
    .sgpr_count:     4
    .sgpr_spill_count: 0
    .symbol:         _ZN7rocprim17ROCPRIM_400000_NS6detail17trampoline_kernelINS0_14default_configENS1_22reduce_config_selectorIN6thrust23THRUST_200600_302600_NS5tupleIblNS6_9null_typeES8_S8_S8_S8_S8_S8_S8_EEEEZNS1_11reduce_implILb1ES3_PS9_SC_S9_NS6_11hip_rocprim9__find_if7functorIS9_EEEE10hipError_tPvRmT1_T2_T3_mT4_P12ihipStream_tbEUlT_E0_NS1_11comp_targetILNS1_3genE8ELNS1_11target_archE1030ELNS1_3gpuE2ELNS1_3repE0EEENS1_30default_config_static_selectorELNS0_4arch9wavefront6targetE1EEEvSK_.kd
    .uniform_work_group_size: 1
    .uses_dynamic_stack: false
    .vgpr_count:     0
    .vgpr_spill_count: 0
    .wavefront_size: 64
  - .args:
      - .offset:         0
        .size:           56
        .value_kind:     by_value
    .group_segment_fixed_size: 0
    .kernarg_segment_align: 8
    .kernarg_segment_size: 56
    .language:       OpenCL C
    .language_version:
      - 2
      - 0
    .max_flat_workgroup_size: 128
    .name:           _ZN7rocprim17ROCPRIM_400000_NS6detail17trampoline_kernelINS0_14default_configENS1_22reduce_config_selectorIN6thrust23THRUST_200600_302600_NS5tupleIblNS6_9null_typeES8_S8_S8_S8_S8_S8_S8_EEEEZNS1_11reduce_implILb1ES3_PS9_SC_S9_NS6_11hip_rocprim9__find_if7functorIS9_EEEE10hipError_tPvRmT1_T2_T3_mT4_P12ihipStream_tbEUlT_E1_NS1_11comp_targetILNS1_3genE0ELNS1_11target_archE4294967295ELNS1_3gpuE0ELNS1_3repE0EEENS1_30default_config_static_selectorELNS0_4arch9wavefront6targetE1EEEvSK_
    .private_segment_fixed_size: 0
    .sgpr_count:     4
    .sgpr_spill_count: 0
    .symbol:         _ZN7rocprim17ROCPRIM_400000_NS6detail17trampoline_kernelINS0_14default_configENS1_22reduce_config_selectorIN6thrust23THRUST_200600_302600_NS5tupleIblNS6_9null_typeES8_S8_S8_S8_S8_S8_S8_EEEEZNS1_11reduce_implILb1ES3_PS9_SC_S9_NS6_11hip_rocprim9__find_if7functorIS9_EEEE10hipError_tPvRmT1_T2_T3_mT4_P12ihipStream_tbEUlT_E1_NS1_11comp_targetILNS1_3genE0ELNS1_11target_archE4294967295ELNS1_3gpuE0ELNS1_3repE0EEENS1_30default_config_static_selectorELNS0_4arch9wavefront6targetE1EEEvSK_.kd
    .uniform_work_group_size: 1
    .uses_dynamic_stack: false
    .vgpr_count:     0
    .vgpr_spill_count: 0
    .wavefront_size: 64
  - .args:
      - .offset:         0
        .size:           56
        .value_kind:     by_value
    .group_segment_fixed_size: 0
    .kernarg_segment_align: 8
    .kernarg_segment_size: 56
    .language:       OpenCL C
    .language_version:
      - 2
      - 0
    .max_flat_workgroup_size: 256
    .name:           _ZN7rocprim17ROCPRIM_400000_NS6detail17trampoline_kernelINS0_14default_configENS1_22reduce_config_selectorIN6thrust23THRUST_200600_302600_NS5tupleIblNS6_9null_typeES8_S8_S8_S8_S8_S8_S8_EEEEZNS1_11reduce_implILb1ES3_PS9_SC_S9_NS6_11hip_rocprim9__find_if7functorIS9_EEEE10hipError_tPvRmT1_T2_T3_mT4_P12ihipStream_tbEUlT_E1_NS1_11comp_targetILNS1_3genE5ELNS1_11target_archE942ELNS1_3gpuE9ELNS1_3repE0EEENS1_30default_config_static_selectorELNS0_4arch9wavefront6targetE1EEEvSK_
    .private_segment_fixed_size: 0
    .sgpr_count:     4
    .sgpr_spill_count: 0
    .symbol:         _ZN7rocprim17ROCPRIM_400000_NS6detail17trampoline_kernelINS0_14default_configENS1_22reduce_config_selectorIN6thrust23THRUST_200600_302600_NS5tupleIblNS6_9null_typeES8_S8_S8_S8_S8_S8_S8_EEEEZNS1_11reduce_implILb1ES3_PS9_SC_S9_NS6_11hip_rocprim9__find_if7functorIS9_EEEE10hipError_tPvRmT1_T2_T3_mT4_P12ihipStream_tbEUlT_E1_NS1_11comp_targetILNS1_3genE5ELNS1_11target_archE942ELNS1_3gpuE9ELNS1_3repE0EEENS1_30default_config_static_selectorELNS0_4arch9wavefront6targetE1EEEvSK_.kd
    .uniform_work_group_size: 1
    .uses_dynamic_stack: false
    .vgpr_count:     0
    .vgpr_spill_count: 0
    .wavefront_size: 64
  - .args:
      - .offset:         0
        .size:           56
        .value_kind:     by_value
    .group_segment_fixed_size: 0
    .kernarg_segment_align: 8
    .kernarg_segment_size: 56
    .language:       OpenCL C
    .language_version:
      - 2
      - 0
    .max_flat_workgroup_size: 256
    .name:           _ZN7rocprim17ROCPRIM_400000_NS6detail17trampoline_kernelINS0_14default_configENS1_22reduce_config_selectorIN6thrust23THRUST_200600_302600_NS5tupleIblNS6_9null_typeES8_S8_S8_S8_S8_S8_S8_EEEEZNS1_11reduce_implILb1ES3_PS9_SC_S9_NS6_11hip_rocprim9__find_if7functorIS9_EEEE10hipError_tPvRmT1_T2_T3_mT4_P12ihipStream_tbEUlT_E1_NS1_11comp_targetILNS1_3genE4ELNS1_11target_archE910ELNS1_3gpuE8ELNS1_3repE0EEENS1_30default_config_static_selectorELNS0_4arch9wavefront6targetE1EEEvSK_
    .private_segment_fixed_size: 0
    .sgpr_count:     4
    .sgpr_spill_count: 0
    .symbol:         _ZN7rocprim17ROCPRIM_400000_NS6detail17trampoline_kernelINS0_14default_configENS1_22reduce_config_selectorIN6thrust23THRUST_200600_302600_NS5tupleIblNS6_9null_typeES8_S8_S8_S8_S8_S8_S8_EEEEZNS1_11reduce_implILb1ES3_PS9_SC_S9_NS6_11hip_rocprim9__find_if7functorIS9_EEEE10hipError_tPvRmT1_T2_T3_mT4_P12ihipStream_tbEUlT_E1_NS1_11comp_targetILNS1_3genE4ELNS1_11target_archE910ELNS1_3gpuE8ELNS1_3repE0EEENS1_30default_config_static_selectorELNS0_4arch9wavefront6targetE1EEEvSK_.kd
    .uniform_work_group_size: 1
    .uses_dynamic_stack: false
    .vgpr_count:     0
    .vgpr_spill_count: 0
    .wavefront_size: 64
  - .args:
      - .offset:         0
        .size:           56
        .value_kind:     by_value
    .group_segment_fixed_size: 0
    .kernarg_segment_align: 8
    .kernarg_segment_size: 56
    .language:       OpenCL C
    .language_version:
      - 2
      - 0
    .max_flat_workgroup_size: 128
    .name:           _ZN7rocprim17ROCPRIM_400000_NS6detail17trampoline_kernelINS0_14default_configENS1_22reduce_config_selectorIN6thrust23THRUST_200600_302600_NS5tupleIblNS6_9null_typeES8_S8_S8_S8_S8_S8_S8_EEEEZNS1_11reduce_implILb1ES3_PS9_SC_S9_NS6_11hip_rocprim9__find_if7functorIS9_EEEE10hipError_tPvRmT1_T2_T3_mT4_P12ihipStream_tbEUlT_E1_NS1_11comp_targetILNS1_3genE3ELNS1_11target_archE908ELNS1_3gpuE7ELNS1_3repE0EEENS1_30default_config_static_selectorELNS0_4arch9wavefront6targetE1EEEvSK_
    .private_segment_fixed_size: 0
    .sgpr_count:     4
    .sgpr_spill_count: 0
    .symbol:         _ZN7rocprim17ROCPRIM_400000_NS6detail17trampoline_kernelINS0_14default_configENS1_22reduce_config_selectorIN6thrust23THRUST_200600_302600_NS5tupleIblNS6_9null_typeES8_S8_S8_S8_S8_S8_S8_EEEEZNS1_11reduce_implILb1ES3_PS9_SC_S9_NS6_11hip_rocprim9__find_if7functorIS9_EEEE10hipError_tPvRmT1_T2_T3_mT4_P12ihipStream_tbEUlT_E1_NS1_11comp_targetILNS1_3genE3ELNS1_11target_archE908ELNS1_3gpuE7ELNS1_3repE0EEENS1_30default_config_static_selectorELNS0_4arch9wavefront6targetE1EEEvSK_.kd
    .uniform_work_group_size: 1
    .uses_dynamic_stack: false
    .vgpr_count:     0
    .vgpr_spill_count: 0
    .wavefront_size: 64
  - .args:
      - .offset:         0
        .size:           56
        .value_kind:     by_value
    .group_segment_fixed_size: 160
    .kernarg_segment_align: 8
    .kernarg_segment_size: 56
    .language:       OpenCL C
    .language_version:
      - 2
      - 0
    .max_flat_workgroup_size: 128
    .name:           _ZN7rocprim17ROCPRIM_400000_NS6detail17trampoline_kernelINS0_14default_configENS1_22reduce_config_selectorIN6thrust23THRUST_200600_302600_NS5tupleIblNS6_9null_typeES8_S8_S8_S8_S8_S8_S8_EEEEZNS1_11reduce_implILb1ES3_PS9_SC_S9_NS6_11hip_rocprim9__find_if7functorIS9_EEEE10hipError_tPvRmT1_T2_T3_mT4_P12ihipStream_tbEUlT_E1_NS1_11comp_targetILNS1_3genE2ELNS1_11target_archE906ELNS1_3gpuE6ELNS1_3repE0EEENS1_30default_config_static_selectorELNS0_4arch9wavefront6targetE1EEEvSK_
    .private_segment_fixed_size: 0
    .sgpr_count:     40
    .sgpr_spill_count: 0
    .symbol:         _ZN7rocprim17ROCPRIM_400000_NS6detail17trampoline_kernelINS0_14default_configENS1_22reduce_config_selectorIN6thrust23THRUST_200600_302600_NS5tupleIblNS6_9null_typeES8_S8_S8_S8_S8_S8_S8_EEEEZNS1_11reduce_implILb1ES3_PS9_SC_S9_NS6_11hip_rocprim9__find_if7functorIS9_EEEE10hipError_tPvRmT1_T2_T3_mT4_P12ihipStream_tbEUlT_E1_NS1_11comp_targetILNS1_3genE2ELNS1_11target_archE906ELNS1_3gpuE6ELNS1_3repE0EEENS1_30default_config_static_selectorELNS0_4arch9wavefront6targetE1EEEvSK_.kd
    .uniform_work_group_size: 1
    .uses_dynamic_stack: false
    .vgpr_count:     27
    .vgpr_spill_count: 0
    .wavefront_size: 64
  - .args:
      - .offset:         0
        .size:           56
        .value_kind:     by_value
    .group_segment_fixed_size: 0
    .kernarg_segment_align: 8
    .kernarg_segment_size: 56
    .language:       OpenCL C
    .language_version:
      - 2
      - 0
    .max_flat_workgroup_size: 256
    .name:           _ZN7rocprim17ROCPRIM_400000_NS6detail17trampoline_kernelINS0_14default_configENS1_22reduce_config_selectorIN6thrust23THRUST_200600_302600_NS5tupleIblNS6_9null_typeES8_S8_S8_S8_S8_S8_S8_EEEEZNS1_11reduce_implILb1ES3_PS9_SC_S9_NS6_11hip_rocprim9__find_if7functorIS9_EEEE10hipError_tPvRmT1_T2_T3_mT4_P12ihipStream_tbEUlT_E1_NS1_11comp_targetILNS1_3genE10ELNS1_11target_archE1201ELNS1_3gpuE5ELNS1_3repE0EEENS1_30default_config_static_selectorELNS0_4arch9wavefront6targetE1EEEvSK_
    .private_segment_fixed_size: 0
    .sgpr_count:     4
    .sgpr_spill_count: 0
    .symbol:         _ZN7rocprim17ROCPRIM_400000_NS6detail17trampoline_kernelINS0_14default_configENS1_22reduce_config_selectorIN6thrust23THRUST_200600_302600_NS5tupleIblNS6_9null_typeES8_S8_S8_S8_S8_S8_S8_EEEEZNS1_11reduce_implILb1ES3_PS9_SC_S9_NS6_11hip_rocprim9__find_if7functorIS9_EEEE10hipError_tPvRmT1_T2_T3_mT4_P12ihipStream_tbEUlT_E1_NS1_11comp_targetILNS1_3genE10ELNS1_11target_archE1201ELNS1_3gpuE5ELNS1_3repE0EEENS1_30default_config_static_selectorELNS0_4arch9wavefront6targetE1EEEvSK_.kd
    .uniform_work_group_size: 1
    .uses_dynamic_stack: false
    .vgpr_count:     0
    .vgpr_spill_count: 0
    .wavefront_size: 64
  - .args:
      - .offset:         0
        .size:           56
        .value_kind:     by_value
    .group_segment_fixed_size: 0
    .kernarg_segment_align: 8
    .kernarg_segment_size: 56
    .language:       OpenCL C
    .language_version:
      - 2
      - 0
    .max_flat_workgroup_size: 256
    .name:           _ZN7rocprim17ROCPRIM_400000_NS6detail17trampoline_kernelINS0_14default_configENS1_22reduce_config_selectorIN6thrust23THRUST_200600_302600_NS5tupleIblNS6_9null_typeES8_S8_S8_S8_S8_S8_S8_EEEEZNS1_11reduce_implILb1ES3_PS9_SC_S9_NS6_11hip_rocprim9__find_if7functorIS9_EEEE10hipError_tPvRmT1_T2_T3_mT4_P12ihipStream_tbEUlT_E1_NS1_11comp_targetILNS1_3genE10ELNS1_11target_archE1200ELNS1_3gpuE4ELNS1_3repE0EEENS1_30default_config_static_selectorELNS0_4arch9wavefront6targetE1EEEvSK_
    .private_segment_fixed_size: 0
    .sgpr_count:     4
    .sgpr_spill_count: 0
    .symbol:         _ZN7rocprim17ROCPRIM_400000_NS6detail17trampoline_kernelINS0_14default_configENS1_22reduce_config_selectorIN6thrust23THRUST_200600_302600_NS5tupleIblNS6_9null_typeES8_S8_S8_S8_S8_S8_S8_EEEEZNS1_11reduce_implILb1ES3_PS9_SC_S9_NS6_11hip_rocprim9__find_if7functorIS9_EEEE10hipError_tPvRmT1_T2_T3_mT4_P12ihipStream_tbEUlT_E1_NS1_11comp_targetILNS1_3genE10ELNS1_11target_archE1200ELNS1_3gpuE4ELNS1_3repE0EEENS1_30default_config_static_selectorELNS0_4arch9wavefront6targetE1EEEvSK_.kd
    .uniform_work_group_size: 1
    .uses_dynamic_stack: false
    .vgpr_count:     0
    .vgpr_spill_count: 0
    .wavefront_size: 64
  - .args:
      - .offset:         0
        .size:           56
        .value_kind:     by_value
    .group_segment_fixed_size: 0
    .kernarg_segment_align: 8
    .kernarg_segment_size: 56
    .language:       OpenCL C
    .language_version:
      - 2
      - 0
    .max_flat_workgroup_size: 256
    .name:           _ZN7rocprim17ROCPRIM_400000_NS6detail17trampoline_kernelINS0_14default_configENS1_22reduce_config_selectorIN6thrust23THRUST_200600_302600_NS5tupleIblNS6_9null_typeES8_S8_S8_S8_S8_S8_S8_EEEEZNS1_11reduce_implILb1ES3_PS9_SC_S9_NS6_11hip_rocprim9__find_if7functorIS9_EEEE10hipError_tPvRmT1_T2_T3_mT4_P12ihipStream_tbEUlT_E1_NS1_11comp_targetILNS1_3genE9ELNS1_11target_archE1100ELNS1_3gpuE3ELNS1_3repE0EEENS1_30default_config_static_selectorELNS0_4arch9wavefront6targetE1EEEvSK_
    .private_segment_fixed_size: 0
    .sgpr_count:     4
    .sgpr_spill_count: 0
    .symbol:         _ZN7rocprim17ROCPRIM_400000_NS6detail17trampoline_kernelINS0_14default_configENS1_22reduce_config_selectorIN6thrust23THRUST_200600_302600_NS5tupleIblNS6_9null_typeES8_S8_S8_S8_S8_S8_S8_EEEEZNS1_11reduce_implILb1ES3_PS9_SC_S9_NS6_11hip_rocprim9__find_if7functorIS9_EEEE10hipError_tPvRmT1_T2_T3_mT4_P12ihipStream_tbEUlT_E1_NS1_11comp_targetILNS1_3genE9ELNS1_11target_archE1100ELNS1_3gpuE3ELNS1_3repE0EEENS1_30default_config_static_selectorELNS0_4arch9wavefront6targetE1EEEvSK_.kd
    .uniform_work_group_size: 1
    .uses_dynamic_stack: false
    .vgpr_count:     0
    .vgpr_spill_count: 0
    .wavefront_size: 64
  - .args:
      - .offset:         0
        .size:           56
        .value_kind:     by_value
    .group_segment_fixed_size: 0
    .kernarg_segment_align: 8
    .kernarg_segment_size: 56
    .language:       OpenCL C
    .language_version:
      - 2
      - 0
    .max_flat_workgroup_size: 256
    .name:           _ZN7rocprim17ROCPRIM_400000_NS6detail17trampoline_kernelINS0_14default_configENS1_22reduce_config_selectorIN6thrust23THRUST_200600_302600_NS5tupleIblNS6_9null_typeES8_S8_S8_S8_S8_S8_S8_EEEEZNS1_11reduce_implILb1ES3_PS9_SC_S9_NS6_11hip_rocprim9__find_if7functorIS9_EEEE10hipError_tPvRmT1_T2_T3_mT4_P12ihipStream_tbEUlT_E1_NS1_11comp_targetILNS1_3genE8ELNS1_11target_archE1030ELNS1_3gpuE2ELNS1_3repE0EEENS1_30default_config_static_selectorELNS0_4arch9wavefront6targetE1EEEvSK_
    .private_segment_fixed_size: 0
    .sgpr_count:     4
    .sgpr_spill_count: 0
    .symbol:         _ZN7rocprim17ROCPRIM_400000_NS6detail17trampoline_kernelINS0_14default_configENS1_22reduce_config_selectorIN6thrust23THRUST_200600_302600_NS5tupleIblNS6_9null_typeES8_S8_S8_S8_S8_S8_S8_EEEEZNS1_11reduce_implILb1ES3_PS9_SC_S9_NS6_11hip_rocprim9__find_if7functorIS9_EEEE10hipError_tPvRmT1_T2_T3_mT4_P12ihipStream_tbEUlT_E1_NS1_11comp_targetILNS1_3genE8ELNS1_11target_archE1030ELNS1_3gpuE2ELNS1_3repE0EEENS1_30default_config_static_selectorELNS0_4arch9wavefront6targetE1EEEvSK_.kd
    .uniform_work_group_size: 1
    .uses_dynamic_stack: false
    .vgpr_count:     0
    .vgpr_spill_count: 0
    .wavefront_size: 64
  - .args:
      - .offset:         0
        .size:           88
        .value_kind:     by_value
    .group_segment_fixed_size: 0
    .kernarg_segment_align: 8
    .kernarg_segment_size: 88
    .language:       OpenCL C
    .language_version:
      - 2
      - 0
    .max_flat_workgroup_size: 128
    .name:           _ZN7rocprim17ROCPRIM_400000_NS6detail17trampoline_kernelINS0_14default_configENS1_22reduce_config_selectorIN6thrust23THRUST_200600_302600_NS5tupleIblNS6_9null_typeES8_S8_S8_S8_S8_S8_S8_EEEEZNS1_11reduce_implILb1ES3_NS6_12zip_iteratorINS7_INS6_11hip_rocprim26transform_input_iterator_tIbPKhN2at6native10EqualsModeEEENSD_19counting_iterator_tIlEES8_S8_S8_S8_S8_S8_S8_S8_EEEEPS9_S9_NSD_9__find_if7functorIS9_EEEE10hipError_tPvRmT1_T2_T3_mT4_P12ihipStream_tbEUlT_E0_NS1_11comp_targetILNS1_3genE0ELNS1_11target_archE4294967295ELNS1_3gpuE0ELNS1_3repE0EEENS1_30default_config_static_selectorELNS0_4arch9wavefront6targetE1EEEvSW_
    .private_segment_fixed_size: 0
    .sgpr_count:     4
    .sgpr_spill_count: 0
    .symbol:         _ZN7rocprim17ROCPRIM_400000_NS6detail17trampoline_kernelINS0_14default_configENS1_22reduce_config_selectorIN6thrust23THRUST_200600_302600_NS5tupleIblNS6_9null_typeES8_S8_S8_S8_S8_S8_S8_EEEEZNS1_11reduce_implILb1ES3_NS6_12zip_iteratorINS7_INS6_11hip_rocprim26transform_input_iterator_tIbPKhN2at6native10EqualsModeEEENSD_19counting_iterator_tIlEES8_S8_S8_S8_S8_S8_S8_S8_EEEEPS9_S9_NSD_9__find_if7functorIS9_EEEE10hipError_tPvRmT1_T2_T3_mT4_P12ihipStream_tbEUlT_E0_NS1_11comp_targetILNS1_3genE0ELNS1_11target_archE4294967295ELNS1_3gpuE0ELNS1_3repE0EEENS1_30default_config_static_selectorELNS0_4arch9wavefront6targetE1EEEvSW_.kd
    .uniform_work_group_size: 1
    .uses_dynamic_stack: false
    .vgpr_count:     0
    .vgpr_spill_count: 0
    .wavefront_size: 64
  - .args:
      - .offset:         0
        .size:           88
        .value_kind:     by_value
    .group_segment_fixed_size: 0
    .kernarg_segment_align: 8
    .kernarg_segment_size: 88
    .language:       OpenCL C
    .language_version:
      - 2
      - 0
    .max_flat_workgroup_size: 256
    .name:           _ZN7rocprim17ROCPRIM_400000_NS6detail17trampoline_kernelINS0_14default_configENS1_22reduce_config_selectorIN6thrust23THRUST_200600_302600_NS5tupleIblNS6_9null_typeES8_S8_S8_S8_S8_S8_S8_EEEEZNS1_11reduce_implILb1ES3_NS6_12zip_iteratorINS7_INS6_11hip_rocprim26transform_input_iterator_tIbPKhN2at6native10EqualsModeEEENSD_19counting_iterator_tIlEES8_S8_S8_S8_S8_S8_S8_S8_EEEEPS9_S9_NSD_9__find_if7functorIS9_EEEE10hipError_tPvRmT1_T2_T3_mT4_P12ihipStream_tbEUlT_E0_NS1_11comp_targetILNS1_3genE5ELNS1_11target_archE942ELNS1_3gpuE9ELNS1_3repE0EEENS1_30default_config_static_selectorELNS0_4arch9wavefront6targetE1EEEvSW_
    .private_segment_fixed_size: 0
    .sgpr_count:     4
    .sgpr_spill_count: 0
    .symbol:         _ZN7rocprim17ROCPRIM_400000_NS6detail17trampoline_kernelINS0_14default_configENS1_22reduce_config_selectorIN6thrust23THRUST_200600_302600_NS5tupleIblNS6_9null_typeES8_S8_S8_S8_S8_S8_S8_EEEEZNS1_11reduce_implILb1ES3_NS6_12zip_iteratorINS7_INS6_11hip_rocprim26transform_input_iterator_tIbPKhN2at6native10EqualsModeEEENSD_19counting_iterator_tIlEES8_S8_S8_S8_S8_S8_S8_S8_EEEEPS9_S9_NSD_9__find_if7functorIS9_EEEE10hipError_tPvRmT1_T2_T3_mT4_P12ihipStream_tbEUlT_E0_NS1_11comp_targetILNS1_3genE5ELNS1_11target_archE942ELNS1_3gpuE9ELNS1_3repE0EEENS1_30default_config_static_selectorELNS0_4arch9wavefront6targetE1EEEvSW_.kd
    .uniform_work_group_size: 1
    .uses_dynamic_stack: false
    .vgpr_count:     0
    .vgpr_spill_count: 0
    .wavefront_size: 64
  - .args:
      - .offset:         0
        .size:           88
        .value_kind:     by_value
    .group_segment_fixed_size: 0
    .kernarg_segment_align: 8
    .kernarg_segment_size: 88
    .language:       OpenCL C
    .language_version:
      - 2
      - 0
    .max_flat_workgroup_size: 256
    .name:           _ZN7rocprim17ROCPRIM_400000_NS6detail17trampoline_kernelINS0_14default_configENS1_22reduce_config_selectorIN6thrust23THRUST_200600_302600_NS5tupleIblNS6_9null_typeES8_S8_S8_S8_S8_S8_S8_EEEEZNS1_11reduce_implILb1ES3_NS6_12zip_iteratorINS7_INS6_11hip_rocprim26transform_input_iterator_tIbPKhN2at6native10EqualsModeEEENSD_19counting_iterator_tIlEES8_S8_S8_S8_S8_S8_S8_S8_EEEEPS9_S9_NSD_9__find_if7functorIS9_EEEE10hipError_tPvRmT1_T2_T3_mT4_P12ihipStream_tbEUlT_E0_NS1_11comp_targetILNS1_3genE4ELNS1_11target_archE910ELNS1_3gpuE8ELNS1_3repE0EEENS1_30default_config_static_selectorELNS0_4arch9wavefront6targetE1EEEvSW_
    .private_segment_fixed_size: 0
    .sgpr_count:     4
    .sgpr_spill_count: 0
    .symbol:         _ZN7rocprim17ROCPRIM_400000_NS6detail17trampoline_kernelINS0_14default_configENS1_22reduce_config_selectorIN6thrust23THRUST_200600_302600_NS5tupleIblNS6_9null_typeES8_S8_S8_S8_S8_S8_S8_EEEEZNS1_11reduce_implILb1ES3_NS6_12zip_iteratorINS7_INS6_11hip_rocprim26transform_input_iterator_tIbPKhN2at6native10EqualsModeEEENSD_19counting_iterator_tIlEES8_S8_S8_S8_S8_S8_S8_S8_EEEEPS9_S9_NSD_9__find_if7functorIS9_EEEE10hipError_tPvRmT1_T2_T3_mT4_P12ihipStream_tbEUlT_E0_NS1_11comp_targetILNS1_3genE4ELNS1_11target_archE910ELNS1_3gpuE8ELNS1_3repE0EEENS1_30default_config_static_selectorELNS0_4arch9wavefront6targetE1EEEvSW_.kd
    .uniform_work_group_size: 1
    .uses_dynamic_stack: false
    .vgpr_count:     0
    .vgpr_spill_count: 0
    .wavefront_size: 64
  - .args:
      - .offset:         0
        .size:           88
        .value_kind:     by_value
    .group_segment_fixed_size: 0
    .kernarg_segment_align: 8
    .kernarg_segment_size: 88
    .language:       OpenCL C
    .language_version:
      - 2
      - 0
    .max_flat_workgroup_size: 128
    .name:           _ZN7rocprim17ROCPRIM_400000_NS6detail17trampoline_kernelINS0_14default_configENS1_22reduce_config_selectorIN6thrust23THRUST_200600_302600_NS5tupleIblNS6_9null_typeES8_S8_S8_S8_S8_S8_S8_EEEEZNS1_11reduce_implILb1ES3_NS6_12zip_iteratorINS7_INS6_11hip_rocprim26transform_input_iterator_tIbPKhN2at6native10EqualsModeEEENSD_19counting_iterator_tIlEES8_S8_S8_S8_S8_S8_S8_S8_EEEEPS9_S9_NSD_9__find_if7functorIS9_EEEE10hipError_tPvRmT1_T2_T3_mT4_P12ihipStream_tbEUlT_E0_NS1_11comp_targetILNS1_3genE3ELNS1_11target_archE908ELNS1_3gpuE7ELNS1_3repE0EEENS1_30default_config_static_selectorELNS0_4arch9wavefront6targetE1EEEvSW_
    .private_segment_fixed_size: 0
    .sgpr_count:     4
    .sgpr_spill_count: 0
    .symbol:         _ZN7rocprim17ROCPRIM_400000_NS6detail17trampoline_kernelINS0_14default_configENS1_22reduce_config_selectorIN6thrust23THRUST_200600_302600_NS5tupleIblNS6_9null_typeES8_S8_S8_S8_S8_S8_S8_EEEEZNS1_11reduce_implILb1ES3_NS6_12zip_iteratorINS7_INS6_11hip_rocprim26transform_input_iterator_tIbPKhN2at6native10EqualsModeEEENSD_19counting_iterator_tIlEES8_S8_S8_S8_S8_S8_S8_S8_EEEEPS9_S9_NSD_9__find_if7functorIS9_EEEE10hipError_tPvRmT1_T2_T3_mT4_P12ihipStream_tbEUlT_E0_NS1_11comp_targetILNS1_3genE3ELNS1_11target_archE908ELNS1_3gpuE7ELNS1_3repE0EEENS1_30default_config_static_selectorELNS0_4arch9wavefront6targetE1EEEvSW_.kd
    .uniform_work_group_size: 1
    .uses_dynamic_stack: false
    .vgpr_count:     0
    .vgpr_spill_count: 0
    .wavefront_size: 64
  - .args:
      - .offset:         0
        .size:           88
        .value_kind:     by_value
    .group_segment_fixed_size: 64
    .kernarg_segment_align: 8
    .kernarg_segment_size: 88
    .language:       OpenCL C
    .language_version:
      - 2
      - 0
    .max_flat_workgroup_size: 128
    .name:           _ZN7rocprim17ROCPRIM_400000_NS6detail17trampoline_kernelINS0_14default_configENS1_22reduce_config_selectorIN6thrust23THRUST_200600_302600_NS5tupleIblNS6_9null_typeES8_S8_S8_S8_S8_S8_S8_EEEEZNS1_11reduce_implILb1ES3_NS6_12zip_iteratorINS7_INS6_11hip_rocprim26transform_input_iterator_tIbPKhN2at6native10EqualsModeEEENSD_19counting_iterator_tIlEES8_S8_S8_S8_S8_S8_S8_S8_EEEEPS9_S9_NSD_9__find_if7functorIS9_EEEE10hipError_tPvRmT1_T2_T3_mT4_P12ihipStream_tbEUlT_E0_NS1_11comp_targetILNS1_3genE2ELNS1_11target_archE906ELNS1_3gpuE6ELNS1_3repE0EEENS1_30default_config_static_selectorELNS0_4arch9wavefront6targetE1EEEvSW_
    .private_segment_fixed_size: 0
    .sgpr_count:     32
    .sgpr_spill_count: 0
    .symbol:         _ZN7rocprim17ROCPRIM_400000_NS6detail17trampoline_kernelINS0_14default_configENS1_22reduce_config_selectorIN6thrust23THRUST_200600_302600_NS5tupleIblNS6_9null_typeES8_S8_S8_S8_S8_S8_S8_EEEEZNS1_11reduce_implILb1ES3_NS6_12zip_iteratorINS7_INS6_11hip_rocprim26transform_input_iterator_tIbPKhN2at6native10EqualsModeEEENSD_19counting_iterator_tIlEES8_S8_S8_S8_S8_S8_S8_S8_EEEEPS9_S9_NSD_9__find_if7functorIS9_EEEE10hipError_tPvRmT1_T2_T3_mT4_P12ihipStream_tbEUlT_E0_NS1_11comp_targetILNS1_3genE2ELNS1_11target_archE906ELNS1_3gpuE6ELNS1_3repE0EEENS1_30default_config_static_selectorELNS0_4arch9wavefront6targetE1EEEvSW_.kd
    .uniform_work_group_size: 1
    .uses_dynamic_stack: false
    .vgpr_count:     12
    .vgpr_spill_count: 0
    .wavefront_size: 64
  - .args:
      - .offset:         0
        .size:           88
        .value_kind:     by_value
    .group_segment_fixed_size: 0
    .kernarg_segment_align: 8
    .kernarg_segment_size: 88
    .language:       OpenCL C
    .language_version:
      - 2
      - 0
    .max_flat_workgroup_size: 256
    .name:           _ZN7rocprim17ROCPRIM_400000_NS6detail17trampoline_kernelINS0_14default_configENS1_22reduce_config_selectorIN6thrust23THRUST_200600_302600_NS5tupleIblNS6_9null_typeES8_S8_S8_S8_S8_S8_S8_EEEEZNS1_11reduce_implILb1ES3_NS6_12zip_iteratorINS7_INS6_11hip_rocprim26transform_input_iterator_tIbPKhN2at6native10EqualsModeEEENSD_19counting_iterator_tIlEES8_S8_S8_S8_S8_S8_S8_S8_EEEEPS9_S9_NSD_9__find_if7functorIS9_EEEE10hipError_tPvRmT1_T2_T3_mT4_P12ihipStream_tbEUlT_E0_NS1_11comp_targetILNS1_3genE10ELNS1_11target_archE1201ELNS1_3gpuE5ELNS1_3repE0EEENS1_30default_config_static_selectorELNS0_4arch9wavefront6targetE1EEEvSW_
    .private_segment_fixed_size: 0
    .sgpr_count:     4
    .sgpr_spill_count: 0
    .symbol:         _ZN7rocprim17ROCPRIM_400000_NS6detail17trampoline_kernelINS0_14default_configENS1_22reduce_config_selectorIN6thrust23THRUST_200600_302600_NS5tupleIblNS6_9null_typeES8_S8_S8_S8_S8_S8_S8_EEEEZNS1_11reduce_implILb1ES3_NS6_12zip_iteratorINS7_INS6_11hip_rocprim26transform_input_iterator_tIbPKhN2at6native10EqualsModeEEENSD_19counting_iterator_tIlEES8_S8_S8_S8_S8_S8_S8_S8_EEEEPS9_S9_NSD_9__find_if7functorIS9_EEEE10hipError_tPvRmT1_T2_T3_mT4_P12ihipStream_tbEUlT_E0_NS1_11comp_targetILNS1_3genE10ELNS1_11target_archE1201ELNS1_3gpuE5ELNS1_3repE0EEENS1_30default_config_static_selectorELNS0_4arch9wavefront6targetE1EEEvSW_.kd
    .uniform_work_group_size: 1
    .uses_dynamic_stack: false
    .vgpr_count:     0
    .vgpr_spill_count: 0
    .wavefront_size: 64
  - .args:
      - .offset:         0
        .size:           88
        .value_kind:     by_value
    .group_segment_fixed_size: 0
    .kernarg_segment_align: 8
    .kernarg_segment_size: 88
    .language:       OpenCL C
    .language_version:
      - 2
      - 0
    .max_flat_workgroup_size: 256
    .name:           _ZN7rocprim17ROCPRIM_400000_NS6detail17trampoline_kernelINS0_14default_configENS1_22reduce_config_selectorIN6thrust23THRUST_200600_302600_NS5tupleIblNS6_9null_typeES8_S8_S8_S8_S8_S8_S8_EEEEZNS1_11reduce_implILb1ES3_NS6_12zip_iteratorINS7_INS6_11hip_rocprim26transform_input_iterator_tIbPKhN2at6native10EqualsModeEEENSD_19counting_iterator_tIlEES8_S8_S8_S8_S8_S8_S8_S8_EEEEPS9_S9_NSD_9__find_if7functorIS9_EEEE10hipError_tPvRmT1_T2_T3_mT4_P12ihipStream_tbEUlT_E0_NS1_11comp_targetILNS1_3genE10ELNS1_11target_archE1200ELNS1_3gpuE4ELNS1_3repE0EEENS1_30default_config_static_selectorELNS0_4arch9wavefront6targetE1EEEvSW_
    .private_segment_fixed_size: 0
    .sgpr_count:     4
    .sgpr_spill_count: 0
    .symbol:         _ZN7rocprim17ROCPRIM_400000_NS6detail17trampoline_kernelINS0_14default_configENS1_22reduce_config_selectorIN6thrust23THRUST_200600_302600_NS5tupleIblNS6_9null_typeES8_S8_S8_S8_S8_S8_S8_EEEEZNS1_11reduce_implILb1ES3_NS6_12zip_iteratorINS7_INS6_11hip_rocprim26transform_input_iterator_tIbPKhN2at6native10EqualsModeEEENSD_19counting_iterator_tIlEES8_S8_S8_S8_S8_S8_S8_S8_EEEEPS9_S9_NSD_9__find_if7functorIS9_EEEE10hipError_tPvRmT1_T2_T3_mT4_P12ihipStream_tbEUlT_E0_NS1_11comp_targetILNS1_3genE10ELNS1_11target_archE1200ELNS1_3gpuE4ELNS1_3repE0EEENS1_30default_config_static_selectorELNS0_4arch9wavefront6targetE1EEEvSW_.kd
    .uniform_work_group_size: 1
    .uses_dynamic_stack: false
    .vgpr_count:     0
    .vgpr_spill_count: 0
    .wavefront_size: 64
  - .args:
      - .offset:         0
        .size:           88
        .value_kind:     by_value
    .group_segment_fixed_size: 0
    .kernarg_segment_align: 8
    .kernarg_segment_size: 88
    .language:       OpenCL C
    .language_version:
      - 2
      - 0
    .max_flat_workgroup_size: 256
    .name:           _ZN7rocprim17ROCPRIM_400000_NS6detail17trampoline_kernelINS0_14default_configENS1_22reduce_config_selectorIN6thrust23THRUST_200600_302600_NS5tupleIblNS6_9null_typeES8_S8_S8_S8_S8_S8_S8_EEEEZNS1_11reduce_implILb1ES3_NS6_12zip_iteratorINS7_INS6_11hip_rocprim26transform_input_iterator_tIbPKhN2at6native10EqualsModeEEENSD_19counting_iterator_tIlEES8_S8_S8_S8_S8_S8_S8_S8_EEEEPS9_S9_NSD_9__find_if7functorIS9_EEEE10hipError_tPvRmT1_T2_T3_mT4_P12ihipStream_tbEUlT_E0_NS1_11comp_targetILNS1_3genE9ELNS1_11target_archE1100ELNS1_3gpuE3ELNS1_3repE0EEENS1_30default_config_static_selectorELNS0_4arch9wavefront6targetE1EEEvSW_
    .private_segment_fixed_size: 0
    .sgpr_count:     4
    .sgpr_spill_count: 0
    .symbol:         _ZN7rocprim17ROCPRIM_400000_NS6detail17trampoline_kernelINS0_14default_configENS1_22reduce_config_selectorIN6thrust23THRUST_200600_302600_NS5tupleIblNS6_9null_typeES8_S8_S8_S8_S8_S8_S8_EEEEZNS1_11reduce_implILb1ES3_NS6_12zip_iteratorINS7_INS6_11hip_rocprim26transform_input_iterator_tIbPKhN2at6native10EqualsModeEEENSD_19counting_iterator_tIlEES8_S8_S8_S8_S8_S8_S8_S8_EEEEPS9_S9_NSD_9__find_if7functorIS9_EEEE10hipError_tPvRmT1_T2_T3_mT4_P12ihipStream_tbEUlT_E0_NS1_11comp_targetILNS1_3genE9ELNS1_11target_archE1100ELNS1_3gpuE3ELNS1_3repE0EEENS1_30default_config_static_selectorELNS0_4arch9wavefront6targetE1EEEvSW_.kd
    .uniform_work_group_size: 1
    .uses_dynamic_stack: false
    .vgpr_count:     0
    .vgpr_spill_count: 0
    .wavefront_size: 64
  - .args:
      - .offset:         0
        .size:           88
        .value_kind:     by_value
    .group_segment_fixed_size: 0
    .kernarg_segment_align: 8
    .kernarg_segment_size: 88
    .language:       OpenCL C
    .language_version:
      - 2
      - 0
    .max_flat_workgroup_size: 256
    .name:           _ZN7rocprim17ROCPRIM_400000_NS6detail17trampoline_kernelINS0_14default_configENS1_22reduce_config_selectorIN6thrust23THRUST_200600_302600_NS5tupleIblNS6_9null_typeES8_S8_S8_S8_S8_S8_S8_EEEEZNS1_11reduce_implILb1ES3_NS6_12zip_iteratorINS7_INS6_11hip_rocprim26transform_input_iterator_tIbPKhN2at6native10EqualsModeEEENSD_19counting_iterator_tIlEES8_S8_S8_S8_S8_S8_S8_S8_EEEEPS9_S9_NSD_9__find_if7functorIS9_EEEE10hipError_tPvRmT1_T2_T3_mT4_P12ihipStream_tbEUlT_E0_NS1_11comp_targetILNS1_3genE8ELNS1_11target_archE1030ELNS1_3gpuE2ELNS1_3repE0EEENS1_30default_config_static_selectorELNS0_4arch9wavefront6targetE1EEEvSW_
    .private_segment_fixed_size: 0
    .sgpr_count:     4
    .sgpr_spill_count: 0
    .symbol:         _ZN7rocprim17ROCPRIM_400000_NS6detail17trampoline_kernelINS0_14default_configENS1_22reduce_config_selectorIN6thrust23THRUST_200600_302600_NS5tupleIblNS6_9null_typeES8_S8_S8_S8_S8_S8_S8_EEEEZNS1_11reduce_implILb1ES3_NS6_12zip_iteratorINS7_INS6_11hip_rocprim26transform_input_iterator_tIbPKhN2at6native10EqualsModeEEENSD_19counting_iterator_tIlEES8_S8_S8_S8_S8_S8_S8_S8_EEEEPS9_S9_NSD_9__find_if7functorIS9_EEEE10hipError_tPvRmT1_T2_T3_mT4_P12ihipStream_tbEUlT_E0_NS1_11comp_targetILNS1_3genE8ELNS1_11target_archE1030ELNS1_3gpuE2ELNS1_3repE0EEENS1_30default_config_static_selectorELNS0_4arch9wavefront6targetE1EEEvSW_.kd
    .uniform_work_group_size: 1
    .uses_dynamic_stack: false
    .vgpr_count:     0
    .vgpr_spill_count: 0
    .wavefront_size: 64
  - .args:
      - .offset:         0
        .size:           72
        .value_kind:     by_value
    .group_segment_fixed_size: 0
    .kernarg_segment_align: 8
    .kernarg_segment_size: 72
    .language:       OpenCL C
    .language_version:
      - 2
      - 0
    .max_flat_workgroup_size: 128
    .name:           _ZN7rocprim17ROCPRIM_400000_NS6detail17trampoline_kernelINS0_14default_configENS1_22reduce_config_selectorIN6thrust23THRUST_200600_302600_NS5tupleIblNS6_9null_typeES8_S8_S8_S8_S8_S8_S8_EEEEZNS1_11reduce_implILb1ES3_NS6_12zip_iteratorINS7_INS6_11hip_rocprim26transform_input_iterator_tIbPKhN2at6native10EqualsModeEEENSD_19counting_iterator_tIlEES8_S8_S8_S8_S8_S8_S8_S8_EEEEPS9_S9_NSD_9__find_if7functorIS9_EEEE10hipError_tPvRmT1_T2_T3_mT4_P12ihipStream_tbEUlT_E1_NS1_11comp_targetILNS1_3genE0ELNS1_11target_archE4294967295ELNS1_3gpuE0ELNS1_3repE0EEENS1_30default_config_static_selectorELNS0_4arch9wavefront6targetE1EEEvSW_
    .private_segment_fixed_size: 0
    .sgpr_count:     4
    .sgpr_spill_count: 0
    .symbol:         _ZN7rocprim17ROCPRIM_400000_NS6detail17trampoline_kernelINS0_14default_configENS1_22reduce_config_selectorIN6thrust23THRUST_200600_302600_NS5tupleIblNS6_9null_typeES8_S8_S8_S8_S8_S8_S8_EEEEZNS1_11reduce_implILb1ES3_NS6_12zip_iteratorINS7_INS6_11hip_rocprim26transform_input_iterator_tIbPKhN2at6native10EqualsModeEEENSD_19counting_iterator_tIlEES8_S8_S8_S8_S8_S8_S8_S8_EEEEPS9_S9_NSD_9__find_if7functorIS9_EEEE10hipError_tPvRmT1_T2_T3_mT4_P12ihipStream_tbEUlT_E1_NS1_11comp_targetILNS1_3genE0ELNS1_11target_archE4294967295ELNS1_3gpuE0ELNS1_3repE0EEENS1_30default_config_static_selectorELNS0_4arch9wavefront6targetE1EEEvSW_.kd
    .uniform_work_group_size: 1
    .uses_dynamic_stack: false
    .vgpr_count:     0
    .vgpr_spill_count: 0
    .wavefront_size: 64
  - .args:
      - .offset:         0
        .size:           72
        .value_kind:     by_value
    .group_segment_fixed_size: 0
    .kernarg_segment_align: 8
    .kernarg_segment_size: 72
    .language:       OpenCL C
    .language_version:
      - 2
      - 0
    .max_flat_workgroup_size: 256
    .name:           _ZN7rocprim17ROCPRIM_400000_NS6detail17trampoline_kernelINS0_14default_configENS1_22reduce_config_selectorIN6thrust23THRUST_200600_302600_NS5tupleIblNS6_9null_typeES8_S8_S8_S8_S8_S8_S8_EEEEZNS1_11reduce_implILb1ES3_NS6_12zip_iteratorINS7_INS6_11hip_rocprim26transform_input_iterator_tIbPKhN2at6native10EqualsModeEEENSD_19counting_iterator_tIlEES8_S8_S8_S8_S8_S8_S8_S8_EEEEPS9_S9_NSD_9__find_if7functorIS9_EEEE10hipError_tPvRmT1_T2_T3_mT4_P12ihipStream_tbEUlT_E1_NS1_11comp_targetILNS1_3genE5ELNS1_11target_archE942ELNS1_3gpuE9ELNS1_3repE0EEENS1_30default_config_static_selectorELNS0_4arch9wavefront6targetE1EEEvSW_
    .private_segment_fixed_size: 0
    .sgpr_count:     4
    .sgpr_spill_count: 0
    .symbol:         _ZN7rocprim17ROCPRIM_400000_NS6detail17trampoline_kernelINS0_14default_configENS1_22reduce_config_selectorIN6thrust23THRUST_200600_302600_NS5tupleIblNS6_9null_typeES8_S8_S8_S8_S8_S8_S8_EEEEZNS1_11reduce_implILb1ES3_NS6_12zip_iteratorINS7_INS6_11hip_rocprim26transform_input_iterator_tIbPKhN2at6native10EqualsModeEEENSD_19counting_iterator_tIlEES8_S8_S8_S8_S8_S8_S8_S8_EEEEPS9_S9_NSD_9__find_if7functorIS9_EEEE10hipError_tPvRmT1_T2_T3_mT4_P12ihipStream_tbEUlT_E1_NS1_11comp_targetILNS1_3genE5ELNS1_11target_archE942ELNS1_3gpuE9ELNS1_3repE0EEENS1_30default_config_static_selectorELNS0_4arch9wavefront6targetE1EEEvSW_.kd
    .uniform_work_group_size: 1
    .uses_dynamic_stack: false
    .vgpr_count:     0
    .vgpr_spill_count: 0
    .wavefront_size: 64
  - .args:
      - .offset:         0
        .size:           72
        .value_kind:     by_value
    .group_segment_fixed_size: 0
    .kernarg_segment_align: 8
    .kernarg_segment_size: 72
    .language:       OpenCL C
    .language_version:
      - 2
      - 0
    .max_flat_workgroup_size: 256
    .name:           _ZN7rocprim17ROCPRIM_400000_NS6detail17trampoline_kernelINS0_14default_configENS1_22reduce_config_selectorIN6thrust23THRUST_200600_302600_NS5tupleIblNS6_9null_typeES8_S8_S8_S8_S8_S8_S8_EEEEZNS1_11reduce_implILb1ES3_NS6_12zip_iteratorINS7_INS6_11hip_rocprim26transform_input_iterator_tIbPKhN2at6native10EqualsModeEEENSD_19counting_iterator_tIlEES8_S8_S8_S8_S8_S8_S8_S8_EEEEPS9_S9_NSD_9__find_if7functorIS9_EEEE10hipError_tPvRmT1_T2_T3_mT4_P12ihipStream_tbEUlT_E1_NS1_11comp_targetILNS1_3genE4ELNS1_11target_archE910ELNS1_3gpuE8ELNS1_3repE0EEENS1_30default_config_static_selectorELNS0_4arch9wavefront6targetE1EEEvSW_
    .private_segment_fixed_size: 0
    .sgpr_count:     4
    .sgpr_spill_count: 0
    .symbol:         _ZN7rocprim17ROCPRIM_400000_NS6detail17trampoline_kernelINS0_14default_configENS1_22reduce_config_selectorIN6thrust23THRUST_200600_302600_NS5tupleIblNS6_9null_typeES8_S8_S8_S8_S8_S8_S8_EEEEZNS1_11reduce_implILb1ES3_NS6_12zip_iteratorINS7_INS6_11hip_rocprim26transform_input_iterator_tIbPKhN2at6native10EqualsModeEEENSD_19counting_iterator_tIlEES8_S8_S8_S8_S8_S8_S8_S8_EEEEPS9_S9_NSD_9__find_if7functorIS9_EEEE10hipError_tPvRmT1_T2_T3_mT4_P12ihipStream_tbEUlT_E1_NS1_11comp_targetILNS1_3genE4ELNS1_11target_archE910ELNS1_3gpuE8ELNS1_3repE0EEENS1_30default_config_static_selectorELNS0_4arch9wavefront6targetE1EEEvSW_.kd
    .uniform_work_group_size: 1
    .uses_dynamic_stack: false
    .vgpr_count:     0
    .vgpr_spill_count: 0
    .wavefront_size: 64
  - .args:
      - .offset:         0
        .size:           72
        .value_kind:     by_value
    .group_segment_fixed_size: 0
    .kernarg_segment_align: 8
    .kernarg_segment_size: 72
    .language:       OpenCL C
    .language_version:
      - 2
      - 0
    .max_flat_workgroup_size: 128
    .name:           _ZN7rocprim17ROCPRIM_400000_NS6detail17trampoline_kernelINS0_14default_configENS1_22reduce_config_selectorIN6thrust23THRUST_200600_302600_NS5tupleIblNS6_9null_typeES8_S8_S8_S8_S8_S8_S8_EEEEZNS1_11reduce_implILb1ES3_NS6_12zip_iteratorINS7_INS6_11hip_rocprim26transform_input_iterator_tIbPKhN2at6native10EqualsModeEEENSD_19counting_iterator_tIlEES8_S8_S8_S8_S8_S8_S8_S8_EEEEPS9_S9_NSD_9__find_if7functorIS9_EEEE10hipError_tPvRmT1_T2_T3_mT4_P12ihipStream_tbEUlT_E1_NS1_11comp_targetILNS1_3genE3ELNS1_11target_archE908ELNS1_3gpuE7ELNS1_3repE0EEENS1_30default_config_static_selectorELNS0_4arch9wavefront6targetE1EEEvSW_
    .private_segment_fixed_size: 0
    .sgpr_count:     4
    .sgpr_spill_count: 0
    .symbol:         _ZN7rocprim17ROCPRIM_400000_NS6detail17trampoline_kernelINS0_14default_configENS1_22reduce_config_selectorIN6thrust23THRUST_200600_302600_NS5tupleIblNS6_9null_typeES8_S8_S8_S8_S8_S8_S8_EEEEZNS1_11reduce_implILb1ES3_NS6_12zip_iteratorINS7_INS6_11hip_rocprim26transform_input_iterator_tIbPKhN2at6native10EqualsModeEEENSD_19counting_iterator_tIlEES8_S8_S8_S8_S8_S8_S8_S8_EEEEPS9_S9_NSD_9__find_if7functorIS9_EEEE10hipError_tPvRmT1_T2_T3_mT4_P12ihipStream_tbEUlT_E1_NS1_11comp_targetILNS1_3genE3ELNS1_11target_archE908ELNS1_3gpuE7ELNS1_3repE0EEENS1_30default_config_static_selectorELNS0_4arch9wavefront6targetE1EEEvSW_.kd
    .uniform_work_group_size: 1
    .uses_dynamic_stack: false
    .vgpr_count:     0
    .vgpr_spill_count: 0
    .wavefront_size: 64
  - .args:
      - .offset:         0
        .size:           72
        .value_kind:     by_value
    .group_segment_fixed_size: 160
    .kernarg_segment_align: 8
    .kernarg_segment_size: 72
    .language:       OpenCL C
    .language_version:
      - 2
      - 0
    .max_flat_workgroup_size: 128
    .name:           _ZN7rocprim17ROCPRIM_400000_NS6detail17trampoline_kernelINS0_14default_configENS1_22reduce_config_selectorIN6thrust23THRUST_200600_302600_NS5tupleIblNS6_9null_typeES8_S8_S8_S8_S8_S8_S8_EEEEZNS1_11reduce_implILb1ES3_NS6_12zip_iteratorINS7_INS6_11hip_rocprim26transform_input_iterator_tIbPKhN2at6native10EqualsModeEEENSD_19counting_iterator_tIlEES8_S8_S8_S8_S8_S8_S8_S8_EEEEPS9_S9_NSD_9__find_if7functorIS9_EEEE10hipError_tPvRmT1_T2_T3_mT4_P12ihipStream_tbEUlT_E1_NS1_11comp_targetILNS1_3genE2ELNS1_11target_archE906ELNS1_3gpuE6ELNS1_3repE0EEENS1_30default_config_static_selectorELNS0_4arch9wavefront6targetE1EEEvSW_
    .private_segment_fixed_size: 0
    .sgpr_count:     43
    .sgpr_spill_count: 0
    .symbol:         _ZN7rocprim17ROCPRIM_400000_NS6detail17trampoline_kernelINS0_14default_configENS1_22reduce_config_selectorIN6thrust23THRUST_200600_302600_NS5tupleIblNS6_9null_typeES8_S8_S8_S8_S8_S8_S8_EEEEZNS1_11reduce_implILb1ES3_NS6_12zip_iteratorINS7_INS6_11hip_rocprim26transform_input_iterator_tIbPKhN2at6native10EqualsModeEEENSD_19counting_iterator_tIlEES8_S8_S8_S8_S8_S8_S8_S8_EEEEPS9_S9_NSD_9__find_if7functorIS9_EEEE10hipError_tPvRmT1_T2_T3_mT4_P12ihipStream_tbEUlT_E1_NS1_11comp_targetILNS1_3genE2ELNS1_11target_archE906ELNS1_3gpuE6ELNS1_3repE0EEENS1_30default_config_static_selectorELNS0_4arch9wavefront6targetE1EEEvSW_.kd
    .uniform_work_group_size: 1
    .uses_dynamic_stack: false
    .vgpr_count:     26
    .vgpr_spill_count: 0
    .wavefront_size: 64
  - .args:
      - .offset:         0
        .size:           72
        .value_kind:     by_value
    .group_segment_fixed_size: 0
    .kernarg_segment_align: 8
    .kernarg_segment_size: 72
    .language:       OpenCL C
    .language_version:
      - 2
      - 0
    .max_flat_workgroup_size: 256
    .name:           _ZN7rocprim17ROCPRIM_400000_NS6detail17trampoline_kernelINS0_14default_configENS1_22reduce_config_selectorIN6thrust23THRUST_200600_302600_NS5tupleIblNS6_9null_typeES8_S8_S8_S8_S8_S8_S8_EEEEZNS1_11reduce_implILb1ES3_NS6_12zip_iteratorINS7_INS6_11hip_rocprim26transform_input_iterator_tIbPKhN2at6native10EqualsModeEEENSD_19counting_iterator_tIlEES8_S8_S8_S8_S8_S8_S8_S8_EEEEPS9_S9_NSD_9__find_if7functorIS9_EEEE10hipError_tPvRmT1_T2_T3_mT4_P12ihipStream_tbEUlT_E1_NS1_11comp_targetILNS1_3genE10ELNS1_11target_archE1201ELNS1_3gpuE5ELNS1_3repE0EEENS1_30default_config_static_selectorELNS0_4arch9wavefront6targetE1EEEvSW_
    .private_segment_fixed_size: 0
    .sgpr_count:     4
    .sgpr_spill_count: 0
    .symbol:         _ZN7rocprim17ROCPRIM_400000_NS6detail17trampoline_kernelINS0_14default_configENS1_22reduce_config_selectorIN6thrust23THRUST_200600_302600_NS5tupleIblNS6_9null_typeES8_S8_S8_S8_S8_S8_S8_EEEEZNS1_11reduce_implILb1ES3_NS6_12zip_iteratorINS7_INS6_11hip_rocprim26transform_input_iterator_tIbPKhN2at6native10EqualsModeEEENSD_19counting_iterator_tIlEES8_S8_S8_S8_S8_S8_S8_S8_EEEEPS9_S9_NSD_9__find_if7functorIS9_EEEE10hipError_tPvRmT1_T2_T3_mT4_P12ihipStream_tbEUlT_E1_NS1_11comp_targetILNS1_3genE10ELNS1_11target_archE1201ELNS1_3gpuE5ELNS1_3repE0EEENS1_30default_config_static_selectorELNS0_4arch9wavefront6targetE1EEEvSW_.kd
    .uniform_work_group_size: 1
    .uses_dynamic_stack: false
    .vgpr_count:     0
    .vgpr_spill_count: 0
    .wavefront_size: 64
  - .args:
      - .offset:         0
        .size:           72
        .value_kind:     by_value
    .group_segment_fixed_size: 0
    .kernarg_segment_align: 8
    .kernarg_segment_size: 72
    .language:       OpenCL C
    .language_version:
      - 2
      - 0
    .max_flat_workgroup_size: 256
    .name:           _ZN7rocprim17ROCPRIM_400000_NS6detail17trampoline_kernelINS0_14default_configENS1_22reduce_config_selectorIN6thrust23THRUST_200600_302600_NS5tupleIblNS6_9null_typeES8_S8_S8_S8_S8_S8_S8_EEEEZNS1_11reduce_implILb1ES3_NS6_12zip_iteratorINS7_INS6_11hip_rocprim26transform_input_iterator_tIbPKhN2at6native10EqualsModeEEENSD_19counting_iterator_tIlEES8_S8_S8_S8_S8_S8_S8_S8_EEEEPS9_S9_NSD_9__find_if7functorIS9_EEEE10hipError_tPvRmT1_T2_T3_mT4_P12ihipStream_tbEUlT_E1_NS1_11comp_targetILNS1_3genE10ELNS1_11target_archE1200ELNS1_3gpuE4ELNS1_3repE0EEENS1_30default_config_static_selectorELNS0_4arch9wavefront6targetE1EEEvSW_
    .private_segment_fixed_size: 0
    .sgpr_count:     4
    .sgpr_spill_count: 0
    .symbol:         _ZN7rocprim17ROCPRIM_400000_NS6detail17trampoline_kernelINS0_14default_configENS1_22reduce_config_selectorIN6thrust23THRUST_200600_302600_NS5tupleIblNS6_9null_typeES8_S8_S8_S8_S8_S8_S8_EEEEZNS1_11reduce_implILb1ES3_NS6_12zip_iteratorINS7_INS6_11hip_rocprim26transform_input_iterator_tIbPKhN2at6native10EqualsModeEEENSD_19counting_iterator_tIlEES8_S8_S8_S8_S8_S8_S8_S8_EEEEPS9_S9_NSD_9__find_if7functorIS9_EEEE10hipError_tPvRmT1_T2_T3_mT4_P12ihipStream_tbEUlT_E1_NS1_11comp_targetILNS1_3genE10ELNS1_11target_archE1200ELNS1_3gpuE4ELNS1_3repE0EEENS1_30default_config_static_selectorELNS0_4arch9wavefront6targetE1EEEvSW_.kd
    .uniform_work_group_size: 1
    .uses_dynamic_stack: false
    .vgpr_count:     0
    .vgpr_spill_count: 0
    .wavefront_size: 64
  - .args:
      - .offset:         0
        .size:           72
        .value_kind:     by_value
    .group_segment_fixed_size: 0
    .kernarg_segment_align: 8
    .kernarg_segment_size: 72
    .language:       OpenCL C
    .language_version:
      - 2
      - 0
    .max_flat_workgroup_size: 256
    .name:           _ZN7rocprim17ROCPRIM_400000_NS6detail17trampoline_kernelINS0_14default_configENS1_22reduce_config_selectorIN6thrust23THRUST_200600_302600_NS5tupleIblNS6_9null_typeES8_S8_S8_S8_S8_S8_S8_EEEEZNS1_11reduce_implILb1ES3_NS6_12zip_iteratorINS7_INS6_11hip_rocprim26transform_input_iterator_tIbPKhN2at6native10EqualsModeEEENSD_19counting_iterator_tIlEES8_S8_S8_S8_S8_S8_S8_S8_EEEEPS9_S9_NSD_9__find_if7functorIS9_EEEE10hipError_tPvRmT1_T2_T3_mT4_P12ihipStream_tbEUlT_E1_NS1_11comp_targetILNS1_3genE9ELNS1_11target_archE1100ELNS1_3gpuE3ELNS1_3repE0EEENS1_30default_config_static_selectorELNS0_4arch9wavefront6targetE1EEEvSW_
    .private_segment_fixed_size: 0
    .sgpr_count:     4
    .sgpr_spill_count: 0
    .symbol:         _ZN7rocprim17ROCPRIM_400000_NS6detail17trampoline_kernelINS0_14default_configENS1_22reduce_config_selectorIN6thrust23THRUST_200600_302600_NS5tupleIblNS6_9null_typeES8_S8_S8_S8_S8_S8_S8_EEEEZNS1_11reduce_implILb1ES3_NS6_12zip_iteratorINS7_INS6_11hip_rocprim26transform_input_iterator_tIbPKhN2at6native10EqualsModeEEENSD_19counting_iterator_tIlEES8_S8_S8_S8_S8_S8_S8_S8_EEEEPS9_S9_NSD_9__find_if7functorIS9_EEEE10hipError_tPvRmT1_T2_T3_mT4_P12ihipStream_tbEUlT_E1_NS1_11comp_targetILNS1_3genE9ELNS1_11target_archE1100ELNS1_3gpuE3ELNS1_3repE0EEENS1_30default_config_static_selectorELNS0_4arch9wavefront6targetE1EEEvSW_.kd
    .uniform_work_group_size: 1
    .uses_dynamic_stack: false
    .vgpr_count:     0
    .vgpr_spill_count: 0
    .wavefront_size: 64
  - .args:
      - .offset:         0
        .size:           72
        .value_kind:     by_value
    .group_segment_fixed_size: 0
    .kernarg_segment_align: 8
    .kernarg_segment_size: 72
    .language:       OpenCL C
    .language_version:
      - 2
      - 0
    .max_flat_workgroup_size: 256
    .name:           _ZN7rocprim17ROCPRIM_400000_NS6detail17trampoline_kernelINS0_14default_configENS1_22reduce_config_selectorIN6thrust23THRUST_200600_302600_NS5tupleIblNS6_9null_typeES8_S8_S8_S8_S8_S8_S8_EEEEZNS1_11reduce_implILb1ES3_NS6_12zip_iteratorINS7_INS6_11hip_rocprim26transform_input_iterator_tIbPKhN2at6native10EqualsModeEEENSD_19counting_iterator_tIlEES8_S8_S8_S8_S8_S8_S8_S8_EEEEPS9_S9_NSD_9__find_if7functorIS9_EEEE10hipError_tPvRmT1_T2_T3_mT4_P12ihipStream_tbEUlT_E1_NS1_11comp_targetILNS1_3genE8ELNS1_11target_archE1030ELNS1_3gpuE2ELNS1_3repE0EEENS1_30default_config_static_selectorELNS0_4arch9wavefront6targetE1EEEvSW_
    .private_segment_fixed_size: 0
    .sgpr_count:     4
    .sgpr_spill_count: 0
    .symbol:         _ZN7rocprim17ROCPRIM_400000_NS6detail17trampoline_kernelINS0_14default_configENS1_22reduce_config_selectorIN6thrust23THRUST_200600_302600_NS5tupleIblNS6_9null_typeES8_S8_S8_S8_S8_S8_S8_EEEEZNS1_11reduce_implILb1ES3_NS6_12zip_iteratorINS7_INS6_11hip_rocprim26transform_input_iterator_tIbPKhN2at6native10EqualsModeEEENSD_19counting_iterator_tIlEES8_S8_S8_S8_S8_S8_S8_S8_EEEEPS9_S9_NSD_9__find_if7functorIS9_EEEE10hipError_tPvRmT1_T2_T3_mT4_P12ihipStream_tbEUlT_E1_NS1_11comp_targetILNS1_3genE8ELNS1_11target_archE1030ELNS1_3gpuE2ELNS1_3repE0EEENS1_30default_config_static_selectorELNS0_4arch9wavefront6targetE1EEEvSW_.kd
    .uniform_work_group_size: 1
    .uses_dynamic_stack: false
    .vgpr_count:     0
    .vgpr_spill_count: 0
    .wavefront_size: 64
  - .args:
      - .offset:         0
        .size:           16
        .value_kind:     by_value
      - .offset:         16
        .size:           8
        .value_kind:     by_value
      - .offset:         24
        .size:           8
        .value_kind:     by_value
    .group_segment_fixed_size: 0
    .kernarg_segment_align: 8
    .kernarg_segment_size: 32
    .language:       OpenCL C
    .language_version:
      - 2
      - 0
    .max_flat_workgroup_size: 256
    .name:           _ZN6thrust23THRUST_200600_302600_NS11hip_rocprim14__parallel_for6kernelILj256ENS1_10for_each_fINS0_7pointerINS0_5tupleIblNS0_9null_typeES7_S7_S7_S7_S7_S7_S7_EENS0_6detail22execute_with_allocatorIRN2at4cuda15ThrustAllocatorENS1_22execute_on_stream_baseEEENS0_11use_defaultESH_EENS9_16wrapped_functionINS9_23allocator_traits_detail24construct1_via_allocatorINS9_18no_throw_allocatorINS9_19temporary_allocatorIS8_SG_EEEEEEvEEEEmLj1EEEvT0_T1_SU_
    .private_segment_fixed_size: 0
    .sgpr_count:     16
    .sgpr_spill_count: 0
    .symbol:         _ZN6thrust23THRUST_200600_302600_NS11hip_rocprim14__parallel_for6kernelILj256ENS1_10for_each_fINS0_7pointerINS0_5tupleIblNS0_9null_typeES7_S7_S7_S7_S7_S7_S7_EENS0_6detail22execute_with_allocatorIRN2at4cuda15ThrustAllocatorENS1_22execute_on_stream_baseEEENS0_11use_defaultESH_EENS9_16wrapped_functionINS9_23allocator_traits_detail24construct1_via_allocatorINS9_18no_throw_allocatorINS9_19temporary_allocatorIS8_SG_EEEEEEvEEEEmLj1EEEvT0_T1_SU_.kd
    .uniform_work_group_size: 1
    .uses_dynamic_stack: false
    .vgpr_count:     5
    .vgpr_spill_count: 0
    .wavefront_size: 64
  - .args:
      - .offset:         0
        .size:           16
        .value_kind:     by_value
      - .offset:         16
        .size:           8
        .value_kind:     by_value
      - .offset:         24
        .size:           8
        .value_kind:     by_value
    .group_segment_fixed_size: 0
    .kernarg_segment_align: 8
    .kernarg_segment_size: 32
    .language:       OpenCL C
    .language_version:
      - 2
      - 0
    .max_flat_workgroup_size: 256
    .name:           _ZN6thrust23THRUST_200600_302600_NS11hip_rocprim14__parallel_for6kernelILj256ENS1_10for_each_fINS0_7pointerINS0_5tupleIblNS0_9null_typeES7_S7_S7_S7_S7_S7_S7_EENS0_6detail22execute_with_allocatorIRN2at4cuda15ThrustAllocatorENS1_22execute_on_stream_baseEEENS0_11use_defaultESH_EENS9_16wrapped_functionINS9_23allocator_traits_detail5gozerEvEEEElLj1EEEvT0_T1_SP_
    .private_segment_fixed_size: 0
    .sgpr_count:     4
    .sgpr_spill_count: 0
    .symbol:         _ZN6thrust23THRUST_200600_302600_NS11hip_rocprim14__parallel_for6kernelILj256ENS1_10for_each_fINS0_7pointerINS0_5tupleIblNS0_9null_typeES7_S7_S7_S7_S7_S7_S7_EENS0_6detail22execute_with_allocatorIRN2at4cuda15ThrustAllocatorENS1_22execute_on_stream_baseEEENS0_11use_defaultESH_EENS9_16wrapped_functionINS9_23allocator_traits_detail5gozerEvEEEElLj1EEEvT0_T1_SP_.kd
    .uniform_work_group_size: 1
    .uses_dynamic_stack: false
    .vgpr_count:     0
    .vgpr_spill_count: 0
    .wavefront_size: 64
  - .args:
      - .offset:         0
        .size:           16
        .value_kind:     by_value
      - .offset:         16
        .size:           8
        .value_kind:     by_value
      - .offset:         24
        .size:           8
        .value_kind:     by_value
    .group_segment_fixed_size: 0
    .kernarg_segment_align: 8
    .kernarg_segment_size: 32
    .language:       OpenCL C
    .language_version:
      - 2
      - 0
    .max_flat_workgroup_size: 256
    .name:           _ZN6thrust23THRUST_200600_302600_NS11hip_rocprim14__parallel_for6kernelILj256ENS1_20__uninitialized_copy7functorIPNS0_5tupleIblNS0_9null_typeES7_S7_S7_S7_S7_S7_S7_EENS0_7pointerIS8_NS0_6detail22execute_with_allocatorIRN2at4cuda15ThrustAllocatorENS1_22execute_on_stream_baseEEENS0_11use_defaultESJ_EEEEmLj1EEEvT0_T1_SN_
    .private_segment_fixed_size: 0
    .sgpr_count:     20
    .sgpr_spill_count: 0
    .symbol:         _ZN6thrust23THRUST_200600_302600_NS11hip_rocprim14__parallel_for6kernelILj256ENS1_20__uninitialized_copy7functorIPNS0_5tupleIblNS0_9null_typeES7_S7_S7_S7_S7_S7_S7_EENS0_7pointerIS8_NS0_6detail22execute_with_allocatorIRN2at4cuda15ThrustAllocatorENS1_22execute_on_stream_baseEEENS0_11use_defaultESJ_EEEEmLj1EEEvT0_T1_SN_.kd
    .uniform_work_group_size: 1
    .uses_dynamic_stack: false
    .vgpr_count:     7
    .vgpr_spill_count: 0
    .wavefront_size: 64
  - .args:
      - .address_space:  global
        .offset:         0
        .size:           8
        .value_kind:     global_buffer
      - .offset:         8
        .size:           216
        .value_kind:     by_value
      - .offset:         224
        .size:           216
        .value_kind:     by_value
      - .offset:         440
        .size:           8
        .value_kind:     by_value
      - .offset:         448
        .size:           8
        .value_kind:     by_value
      - .offset:         456
        .size:           4
        .value_kind:     hidden_block_count_x
      - .offset:         460
        .size:           4
        .value_kind:     hidden_block_count_y
      - .offset:         464
        .size:           4
        .value_kind:     hidden_block_count_z
      - .offset:         468
        .size:           2
        .value_kind:     hidden_group_size_x
      - .offset:         470
        .size:           2
        .value_kind:     hidden_group_size_y
      - .offset:         472
        .size:           2
        .value_kind:     hidden_group_size_z
      - .offset:         474
        .size:           2
        .value_kind:     hidden_remainder_x
      - .offset:         476
        .size:           2
        .value_kind:     hidden_remainder_y
      - .offset:         478
        .size:           2
        .value_kind:     hidden_remainder_z
      - .offset:         496
        .size:           8
        .value_kind:     hidden_global_offset_x
      - .offset:         504
        .size:           8
        .value_kind:     hidden_global_offset_y
      - .offset:         512
        .size:           8
        .value_kind:     hidden_global_offset_z
      - .offset:         520
        .size:           2
        .value_kind:     hidden_grid_dims
      - .offset:         576
        .size:           4
        .value_kind:     hidden_dynamic_lds_size
    .group_segment_fixed_size: 1
    .kernarg_segment_align: 8
    .kernarg_segment_size: 712
    .language:       OpenCL C
    .language_version:
      - 2
      - 0
    .max_flat_workgroup_size: 1024
    .name:           _ZN2at6native12compute_modeIhLj2048EEEvPKT_NS_4cuda6detail10TensorInfoIS2_jEENS7_IljEEll
    .private_segment_fixed_size: 0
    .sgpr_count:     26
    .sgpr_spill_count: 0
    .symbol:         _ZN2at6native12compute_modeIhLj2048EEEvPKT_NS_4cuda6detail10TensorInfoIS2_jEENS7_IljEEll.kd
    .uniform_work_group_size: 1
    .uses_dynamic_stack: false
    .vgpr_count:     20
    .vgpr_spill_count: 0
    .wavefront_size: 64
  - .args:
      - .address_space:  global
        .offset:         0
        .size:           8
        .value_kind:     global_buffer
      - .offset:         8
        .size:           216
        .value_kind:     by_value
      - .offset:         224
        .size:           216
        .value_kind:     by_value
      - .offset:         440
        .size:           8
        .value_kind:     by_value
      - .offset:         448
        .size:           8
        .value_kind:     by_value
      - .offset:         456
        .size:           4
        .value_kind:     hidden_block_count_x
      - .offset:         460
        .size:           4
        .value_kind:     hidden_block_count_y
      - .offset:         464
        .size:           4
        .value_kind:     hidden_block_count_z
      - .offset:         468
        .size:           2
        .value_kind:     hidden_group_size_x
      - .offset:         470
        .size:           2
        .value_kind:     hidden_group_size_y
      - .offset:         472
        .size:           2
        .value_kind:     hidden_group_size_z
      - .offset:         474
        .size:           2
        .value_kind:     hidden_remainder_x
      - .offset:         476
        .size:           2
        .value_kind:     hidden_remainder_y
      - .offset:         478
        .size:           2
        .value_kind:     hidden_remainder_z
      - .offset:         496
        .size:           8
        .value_kind:     hidden_global_offset_x
      - .offset:         504
        .size:           8
        .value_kind:     hidden_global_offset_y
      - .offset:         512
        .size:           8
        .value_kind:     hidden_global_offset_z
      - .offset:         520
        .size:           2
        .value_kind:     hidden_grid_dims
      - .offset:         576
        .size:           4
        .value_kind:     hidden_dynamic_lds_size
    .group_segment_fixed_size: 1
    .kernarg_segment_align: 8
    .kernarg_segment_size: 712
    .language:       OpenCL C
    .language_version:
      - 2
      - 0
    .max_flat_workgroup_size: 1024
    .name:           _ZN2at6native12compute_modeIhLj1024EEEvPKT_NS_4cuda6detail10TensorInfoIS2_jEENS7_IljEEll
    .private_segment_fixed_size: 0
    .sgpr_count:     26
    .sgpr_spill_count: 0
    .symbol:         _ZN2at6native12compute_modeIhLj1024EEEvPKT_NS_4cuda6detail10TensorInfoIS2_jEENS7_IljEEll.kd
    .uniform_work_group_size: 1
    .uses_dynamic_stack: false
    .vgpr_count:     19
    .vgpr_spill_count: 0
    .wavefront_size: 64
  - .args:
      - .address_space:  global
        .offset:         0
        .size:           8
        .value_kind:     global_buffer
      - .offset:         8
        .size:           216
        .value_kind:     by_value
      - .offset:         224
        .size:           216
        .value_kind:     by_value
      - .offset:         440
        .size:           8
        .value_kind:     by_value
      - .offset:         448
        .size:           8
        .value_kind:     by_value
      - .offset:         456
        .size:           4
        .value_kind:     hidden_block_count_x
      - .offset:         460
        .size:           4
        .value_kind:     hidden_block_count_y
      - .offset:         464
        .size:           4
        .value_kind:     hidden_block_count_z
      - .offset:         468
        .size:           2
        .value_kind:     hidden_group_size_x
      - .offset:         470
        .size:           2
        .value_kind:     hidden_group_size_y
      - .offset:         472
        .size:           2
        .value_kind:     hidden_group_size_z
      - .offset:         474
        .size:           2
        .value_kind:     hidden_remainder_x
      - .offset:         476
        .size:           2
        .value_kind:     hidden_remainder_y
      - .offset:         478
        .size:           2
        .value_kind:     hidden_remainder_z
      - .offset:         496
        .size:           8
        .value_kind:     hidden_global_offset_x
      - .offset:         504
        .size:           8
        .value_kind:     hidden_global_offset_y
      - .offset:         512
        .size:           8
        .value_kind:     hidden_global_offset_z
      - .offset:         520
        .size:           2
        .value_kind:     hidden_grid_dims
      - .offset:         576
        .size:           4
        .value_kind:     hidden_dynamic_lds_size
    .group_segment_fixed_size: 1
    .kernarg_segment_align: 8
    .kernarg_segment_size: 712
    .language:       OpenCL C
    .language_version:
      - 2
      - 0
    .max_flat_workgroup_size: 1024
    .name:           _ZN2at6native12compute_modeIhLj128EEEvPKT_NS_4cuda6detail10TensorInfoIS2_jEENS7_IljEEll
    .private_segment_fixed_size: 0
    .sgpr_count:     26
    .sgpr_spill_count: 0
    .symbol:         _ZN2at6native12compute_modeIhLj128EEEvPKT_NS_4cuda6detail10TensorInfoIS2_jEENS7_IljEEll.kd
    .uniform_work_group_size: 1
    .uses_dynamic_stack: false
    .vgpr_count:     17
    .vgpr_spill_count: 0
    .wavefront_size: 64
  - .args:
      - .address_space:  global
        .offset:         0
        .size:           8
        .value_kind:     global_buffer
      - .offset:         8
        .size:           216
        .value_kind:     by_value
      - .offset:         224
        .size:           216
        .value_kind:     by_value
      - .offset:         440
        .size:           8
        .value_kind:     by_value
      - .offset:         448
        .size:           8
        .value_kind:     by_value
      - .offset:         456
        .size:           4
        .value_kind:     hidden_block_count_x
      - .offset:         460
        .size:           4
        .value_kind:     hidden_block_count_y
      - .offset:         464
        .size:           4
        .value_kind:     hidden_block_count_z
      - .offset:         468
        .size:           2
        .value_kind:     hidden_group_size_x
      - .offset:         470
        .size:           2
        .value_kind:     hidden_group_size_y
      - .offset:         472
        .size:           2
        .value_kind:     hidden_group_size_z
      - .offset:         474
        .size:           2
        .value_kind:     hidden_remainder_x
      - .offset:         476
        .size:           2
        .value_kind:     hidden_remainder_y
      - .offset:         478
        .size:           2
        .value_kind:     hidden_remainder_z
      - .offset:         496
        .size:           8
        .value_kind:     hidden_global_offset_x
      - .offset:         504
        .size:           8
        .value_kind:     hidden_global_offset_y
      - .offset:         512
        .size:           8
        .value_kind:     hidden_global_offset_z
      - .offset:         520
        .size:           2
        .value_kind:     hidden_grid_dims
      - .offset:         576
        .size:           4
        .value_kind:     hidden_dynamic_lds_size
    .group_segment_fixed_size: 1
    .kernarg_segment_align: 8
    .kernarg_segment_size: 712
    .language:       OpenCL C
    .language_version:
      - 2
      - 0
    .max_flat_workgroup_size: 1024
    .name:           _ZN2at6native12compute_modeIaLj2048EEEvPKT_NS_4cuda6detail10TensorInfoIS2_jEENS7_IljEEll
    .private_segment_fixed_size: 0
    .sgpr_count:     26
    .sgpr_spill_count: 0
    .symbol:         _ZN2at6native12compute_modeIaLj2048EEEvPKT_NS_4cuda6detail10TensorInfoIS2_jEENS7_IljEEll.kd
    .uniform_work_group_size: 1
    .uses_dynamic_stack: false
    .vgpr_count:     20
    .vgpr_spill_count: 0
    .wavefront_size: 64
  - .args:
      - .address_space:  global
        .offset:         0
        .size:           8
        .value_kind:     global_buffer
      - .offset:         8
        .size:           216
        .value_kind:     by_value
      - .offset:         224
        .size:           216
        .value_kind:     by_value
      - .offset:         440
        .size:           8
        .value_kind:     by_value
      - .offset:         448
        .size:           8
        .value_kind:     by_value
      - .offset:         456
        .size:           4
        .value_kind:     hidden_block_count_x
      - .offset:         460
        .size:           4
        .value_kind:     hidden_block_count_y
      - .offset:         464
        .size:           4
        .value_kind:     hidden_block_count_z
      - .offset:         468
        .size:           2
        .value_kind:     hidden_group_size_x
      - .offset:         470
        .size:           2
        .value_kind:     hidden_group_size_y
      - .offset:         472
        .size:           2
        .value_kind:     hidden_group_size_z
      - .offset:         474
        .size:           2
        .value_kind:     hidden_remainder_x
      - .offset:         476
        .size:           2
        .value_kind:     hidden_remainder_y
      - .offset:         478
        .size:           2
        .value_kind:     hidden_remainder_z
      - .offset:         496
        .size:           8
        .value_kind:     hidden_global_offset_x
      - .offset:         504
        .size:           8
        .value_kind:     hidden_global_offset_y
      - .offset:         512
        .size:           8
        .value_kind:     hidden_global_offset_z
      - .offset:         520
        .size:           2
        .value_kind:     hidden_grid_dims
      - .offset:         576
        .size:           4
        .value_kind:     hidden_dynamic_lds_size
    .group_segment_fixed_size: 1
    .kernarg_segment_align: 8
    .kernarg_segment_size: 712
    .language:       OpenCL C
    .language_version:
      - 2
      - 0
    .max_flat_workgroup_size: 1024
    .name:           _ZN2at6native12compute_modeIaLj1024EEEvPKT_NS_4cuda6detail10TensorInfoIS2_jEENS7_IljEEll
    .private_segment_fixed_size: 0
    .sgpr_count:     26
    .sgpr_spill_count: 0
    .symbol:         _ZN2at6native12compute_modeIaLj1024EEEvPKT_NS_4cuda6detail10TensorInfoIS2_jEENS7_IljEEll.kd
    .uniform_work_group_size: 1
    .uses_dynamic_stack: false
    .vgpr_count:     19
    .vgpr_spill_count: 0
    .wavefront_size: 64
  - .args:
      - .address_space:  global
        .offset:         0
        .size:           8
        .value_kind:     global_buffer
      - .offset:         8
        .size:           216
        .value_kind:     by_value
      - .offset:         224
        .size:           216
        .value_kind:     by_value
      - .offset:         440
        .size:           8
        .value_kind:     by_value
      - .offset:         448
        .size:           8
        .value_kind:     by_value
      - .offset:         456
        .size:           4
        .value_kind:     hidden_block_count_x
      - .offset:         460
        .size:           4
        .value_kind:     hidden_block_count_y
      - .offset:         464
        .size:           4
        .value_kind:     hidden_block_count_z
      - .offset:         468
        .size:           2
        .value_kind:     hidden_group_size_x
      - .offset:         470
        .size:           2
        .value_kind:     hidden_group_size_y
      - .offset:         472
        .size:           2
        .value_kind:     hidden_group_size_z
      - .offset:         474
        .size:           2
        .value_kind:     hidden_remainder_x
      - .offset:         476
        .size:           2
        .value_kind:     hidden_remainder_y
      - .offset:         478
        .size:           2
        .value_kind:     hidden_remainder_z
      - .offset:         496
        .size:           8
        .value_kind:     hidden_global_offset_x
      - .offset:         504
        .size:           8
        .value_kind:     hidden_global_offset_y
      - .offset:         512
        .size:           8
        .value_kind:     hidden_global_offset_z
      - .offset:         520
        .size:           2
        .value_kind:     hidden_grid_dims
      - .offset:         576
        .size:           4
        .value_kind:     hidden_dynamic_lds_size
    .group_segment_fixed_size: 1
    .kernarg_segment_align: 8
    .kernarg_segment_size: 712
    .language:       OpenCL C
    .language_version:
      - 2
      - 0
    .max_flat_workgroup_size: 1024
    .name:           _ZN2at6native12compute_modeIaLj128EEEvPKT_NS_4cuda6detail10TensorInfoIS2_jEENS7_IljEEll
    .private_segment_fixed_size: 0
    .sgpr_count:     26
    .sgpr_spill_count: 0
    .symbol:         _ZN2at6native12compute_modeIaLj128EEEvPKT_NS_4cuda6detail10TensorInfoIS2_jEENS7_IljEEll.kd
    .uniform_work_group_size: 1
    .uses_dynamic_stack: false
    .vgpr_count:     17
    .vgpr_spill_count: 0
    .wavefront_size: 64
  - .args:
      - .address_space:  global
        .offset:         0
        .size:           8
        .value_kind:     global_buffer
      - .offset:         8
        .size:           216
        .value_kind:     by_value
      - .offset:         224
        .size:           216
        .value_kind:     by_value
      - .offset:         440
        .size:           8
        .value_kind:     by_value
      - .offset:         448
        .size:           8
        .value_kind:     by_value
      - .offset:         456
        .size:           4
        .value_kind:     hidden_block_count_x
      - .offset:         460
        .size:           4
        .value_kind:     hidden_block_count_y
      - .offset:         464
        .size:           4
        .value_kind:     hidden_block_count_z
      - .offset:         468
        .size:           2
        .value_kind:     hidden_group_size_x
      - .offset:         470
        .size:           2
        .value_kind:     hidden_group_size_y
      - .offset:         472
        .size:           2
        .value_kind:     hidden_group_size_z
      - .offset:         474
        .size:           2
        .value_kind:     hidden_remainder_x
      - .offset:         476
        .size:           2
        .value_kind:     hidden_remainder_y
      - .offset:         478
        .size:           2
        .value_kind:     hidden_remainder_z
      - .offset:         496
        .size:           8
        .value_kind:     hidden_global_offset_x
      - .offset:         504
        .size:           8
        .value_kind:     hidden_global_offset_y
      - .offset:         512
        .size:           8
        .value_kind:     hidden_global_offset_z
      - .offset:         520
        .size:           2
        .value_kind:     hidden_grid_dims
      - .offset:         576
        .size:           4
        .value_kind:     hidden_dynamic_lds_size
    .group_segment_fixed_size: 4
    .kernarg_segment_align: 8
    .kernarg_segment_size: 712
    .language:       OpenCL C
    .language_version:
      - 2
      - 0
    .max_flat_workgroup_size: 1024
    .name:           _ZN2at6native12compute_modeIiLj2048EEEvPKT_NS_4cuda6detail10TensorInfoIS2_jEENS7_IljEEll
    .private_segment_fixed_size: 0
    .sgpr_count:     26
    .sgpr_spill_count: 0
    .symbol:         _ZN2at6native12compute_modeIiLj2048EEEvPKT_NS_4cuda6detail10TensorInfoIS2_jEENS7_IljEEll.kd
    .uniform_work_group_size: 1
    .uses_dynamic_stack: false
    .vgpr_count:     42
    .vgpr_spill_count: 0
    .wavefront_size: 64
  - .args:
      - .address_space:  global
        .offset:         0
        .size:           8
        .value_kind:     global_buffer
      - .offset:         8
        .size:           216
        .value_kind:     by_value
      - .offset:         224
        .size:           216
        .value_kind:     by_value
      - .offset:         440
        .size:           8
        .value_kind:     by_value
      - .offset:         448
        .size:           8
        .value_kind:     by_value
      - .offset:         456
        .size:           4
        .value_kind:     hidden_block_count_x
      - .offset:         460
        .size:           4
        .value_kind:     hidden_block_count_y
      - .offset:         464
        .size:           4
        .value_kind:     hidden_block_count_z
      - .offset:         468
        .size:           2
        .value_kind:     hidden_group_size_x
      - .offset:         470
        .size:           2
        .value_kind:     hidden_group_size_y
      - .offset:         472
        .size:           2
        .value_kind:     hidden_group_size_z
      - .offset:         474
        .size:           2
        .value_kind:     hidden_remainder_x
      - .offset:         476
        .size:           2
        .value_kind:     hidden_remainder_y
      - .offset:         478
        .size:           2
        .value_kind:     hidden_remainder_z
      - .offset:         496
        .size:           8
        .value_kind:     hidden_global_offset_x
      - .offset:         504
        .size:           8
        .value_kind:     hidden_global_offset_y
      - .offset:         512
        .size:           8
        .value_kind:     hidden_global_offset_z
      - .offset:         520
        .size:           2
        .value_kind:     hidden_grid_dims
      - .offset:         576
        .size:           4
        .value_kind:     hidden_dynamic_lds_size
    .group_segment_fixed_size: 4
    .kernarg_segment_align: 8
    .kernarg_segment_size: 712
    .language:       OpenCL C
    .language_version:
      - 2
      - 0
    .max_flat_workgroup_size: 1024
    .name:           _ZN2at6native12compute_modeIiLj1024EEEvPKT_NS_4cuda6detail10TensorInfoIS2_jEENS7_IljEEll
    .private_segment_fixed_size: 0
    .sgpr_count:     26
    .sgpr_spill_count: 0
    .symbol:         _ZN2at6native12compute_modeIiLj1024EEEvPKT_NS_4cuda6detail10TensorInfoIS2_jEENS7_IljEEll.kd
    .uniform_work_group_size: 1
    .uses_dynamic_stack: false
    .vgpr_count:     39
    .vgpr_spill_count: 0
    .wavefront_size: 64
  - .args:
      - .address_space:  global
        .offset:         0
        .size:           8
        .value_kind:     global_buffer
      - .offset:         8
        .size:           216
        .value_kind:     by_value
      - .offset:         224
        .size:           216
        .value_kind:     by_value
      - .offset:         440
        .size:           8
        .value_kind:     by_value
      - .offset:         448
        .size:           8
        .value_kind:     by_value
      - .offset:         456
        .size:           4
        .value_kind:     hidden_block_count_x
      - .offset:         460
        .size:           4
        .value_kind:     hidden_block_count_y
      - .offset:         464
        .size:           4
        .value_kind:     hidden_block_count_z
      - .offset:         468
        .size:           2
        .value_kind:     hidden_group_size_x
      - .offset:         470
        .size:           2
        .value_kind:     hidden_group_size_y
      - .offset:         472
        .size:           2
        .value_kind:     hidden_group_size_z
      - .offset:         474
        .size:           2
        .value_kind:     hidden_remainder_x
      - .offset:         476
        .size:           2
        .value_kind:     hidden_remainder_y
      - .offset:         478
        .size:           2
        .value_kind:     hidden_remainder_z
      - .offset:         496
        .size:           8
        .value_kind:     hidden_global_offset_x
      - .offset:         504
        .size:           8
        .value_kind:     hidden_global_offset_y
      - .offset:         512
        .size:           8
        .value_kind:     hidden_global_offset_z
      - .offset:         520
        .size:           2
        .value_kind:     hidden_grid_dims
      - .offset:         576
        .size:           4
        .value_kind:     hidden_dynamic_lds_size
    .group_segment_fixed_size: 4
    .kernarg_segment_align: 8
    .kernarg_segment_size: 712
    .language:       OpenCL C
    .language_version:
      - 2
      - 0
    .max_flat_workgroup_size: 1024
    .name:           _ZN2at6native12compute_modeIiLj128EEEvPKT_NS_4cuda6detail10TensorInfoIS2_jEENS7_IljEEll
    .private_segment_fixed_size: 0
    .sgpr_count:     26
    .sgpr_spill_count: 0
    .symbol:         _ZN2at6native12compute_modeIiLj128EEEvPKT_NS_4cuda6detail10TensorInfoIS2_jEENS7_IljEEll.kd
    .uniform_work_group_size: 1
    .uses_dynamic_stack: false
    .vgpr_count:     30
    .vgpr_spill_count: 0
    .wavefront_size: 64
  - .args:
      - .address_space:  global
        .offset:         0
        .size:           8
        .value_kind:     global_buffer
      - .offset:         8
        .size:           216
        .value_kind:     by_value
      - .offset:         224
        .size:           216
        .value_kind:     by_value
      - .offset:         440
        .size:           8
        .value_kind:     by_value
      - .offset:         448
        .size:           8
        .value_kind:     by_value
      - .offset:         456
        .size:           4
        .value_kind:     hidden_block_count_x
      - .offset:         460
        .size:           4
        .value_kind:     hidden_block_count_y
      - .offset:         464
        .size:           4
        .value_kind:     hidden_block_count_z
      - .offset:         468
        .size:           2
        .value_kind:     hidden_group_size_x
      - .offset:         470
        .size:           2
        .value_kind:     hidden_group_size_y
      - .offset:         472
        .size:           2
        .value_kind:     hidden_group_size_z
      - .offset:         474
        .size:           2
        .value_kind:     hidden_remainder_x
      - .offset:         476
        .size:           2
        .value_kind:     hidden_remainder_y
      - .offset:         478
        .size:           2
        .value_kind:     hidden_remainder_z
      - .offset:         496
        .size:           8
        .value_kind:     hidden_global_offset_x
      - .offset:         504
        .size:           8
        .value_kind:     hidden_global_offset_y
      - .offset:         512
        .size:           8
        .value_kind:     hidden_global_offset_z
      - .offset:         520
        .size:           2
        .value_kind:     hidden_grid_dims
      - .offset:         576
        .size:           4
        .value_kind:     hidden_dynamic_lds_size
    .group_segment_fixed_size: 8
    .kernarg_segment_align: 8
    .kernarg_segment_size: 712
    .language:       OpenCL C
    .language_version:
      - 2
      - 0
    .max_flat_workgroup_size: 1024
    .name:           _ZN2at6native12compute_modeIlLj2048EEEvPKT_NS_4cuda6detail10TensorInfoIS2_jEENS7_IljEEll
    .private_segment_fixed_size: 0
    .sgpr_count:     26
    .sgpr_spill_count: 0
    .symbol:         _ZN2at6native12compute_modeIlLj2048EEEvPKT_NS_4cuda6detail10TensorInfoIS2_jEENS7_IljEEll.kd
    .uniform_work_group_size: 1
    .uses_dynamic_stack: false
    .vgpr_count:     44
    .vgpr_spill_count: 0
    .wavefront_size: 64
  - .args:
      - .address_space:  global
        .offset:         0
        .size:           8
        .value_kind:     global_buffer
      - .offset:         8
        .size:           216
        .value_kind:     by_value
      - .offset:         224
        .size:           216
        .value_kind:     by_value
      - .offset:         440
        .size:           8
        .value_kind:     by_value
      - .offset:         448
        .size:           8
        .value_kind:     by_value
      - .offset:         456
        .size:           4
        .value_kind:     hidden_block_count_x
      - .offset:         460
        .size:           4
        .value_kind:     hidden_block_count_y
      - .offset:         464
        .size:           4
        .value_kind:     hidden_block_count_z
      - .offset:         468
        .size:           2
        .value_kind:     hidden_group_size_x
      - .offset:         470
        .size:           2
        .value_kind:     hidden_group_size_y
      - .offset:         472
        .size:           2
        .value_kind:     hidden_group_size_z
      - .offset:         474
        .size:           2
        .value_kind:     hidden_remainder_x
      - .offset:         476
        .size:           2
        .value_kind:     hidden_remainder_y
      - .offset:         478
        .size:           2
        .value_kind:     hidden_remainder_z
      - .offset:         496
        .size:           8
        .value_kind:     hidden_global_offset_x
      - .offset:         504
        .size:           8
        .value_kind:     hidden_global_offset_y
      - .offset:         512
        .size:           8
        .value_kind:     hidden_global_offset_z
      - .offset:         520
        .size:           2
        .value_kind:     hidden_grid_dims
      - .offset:         576
        .size:           4
        .value_kind:     hidden_dynamic_lds_size
    .group_segment_fixed_size: 8
    .kernarg_segment_align: 8
    .kernarg_segment_size: 712
    .language:       OpenCL C
    .language_version:
      - 2
      - 0
    .max_flat_workgroup_size: 1024
    .name:           _ZN2at6native12compute_modeIlLj1024EEEvPKT_NS_4cuda6detail10TensorInfoIS2_jEENS7_IljEEll
    .private_segment_fixed_size: 0
    .sgpr_count:     26
    .sgpr_spill_count: 0
    .symbol:         _ZN2at6native12compute_modeIlLj1024EEEvPKT_NS_4cuda6detail10TensorInfoIS2_jEENS7_IljEEll.kd
    .uniform_work_group_size: 1
    .uses_dynamic_stack: false
    .vgpr_count:     41
    .vgpr_spill_count: 0
    .wavefront_size: 64
  - .args:
      - .address_space:  global
        .offset:         0
        .size:           8
        .value_kind:     global_buffer
      - .offset:         8
        .size:           216
        .value_kind:     by_value
      - .offset:         224
        .size:           216
        .value_kind:     by_value
      - .offset:         440
        .size:           8
        .value_kind:     by_value
      - .offset:         448
        .size:           8
        .value_kind:     by_value
      - .offset:         456
        .size:           4
        .value_kind:     hidden_block_count_x
      - .offset:         460
        .size:           4
        .value_kind:     hidden_block_count_y
      - .offset:         464
        .size:           4
        .value_kind:     hidden_block_count_z
      - .offset:         468
        .size:           2
        .value_kind:     hidden_group_size_x
      - .offset:         470
        .size:           2
        .value_kind:     hidden_group_size_y
      - .offset:         472
        .size:           2
        .value_kind:     hidden_group_size_z
      - .offset:         474
        .size:           2
        .value_kind:     hidden_remainder_x
      - .offset:         476
        .size:           2
        .value_kind:     hidden_remainder_y
      - .offset:         478
        .size:           2
        .value_kind:     hidden_remainder_z
      - .offset:         496
        .size:           8
        .value_kind:     hidden_global_offset_x
      - .offset:         504
        .size:           8
        .value_kind:     hidden_global_offset_y
      - .offset:         512
        .size:           8
        .value_kind:     hidden_global_offset_z
      - .offset:         520
        .size:           2
        .value_kind:     hidden_grid_dims
      - .offset:         576
        .size:           4
        .value_kind:     hidden_dynamic_lds_size
    .group_segment_fixed_size: 8
    .kernarg_segment_align: 8
    .kernarg_segment_size: 712
    .language:       OpenCL C
    .language_version:
      - 2
      - 0
    .max_flat_workgroup_size: 1024
    .name:           _ZN2at6native12compute_modeIlLj128EEEvPKT_NS_4cuda6detail10TensorInfoIS2_jEENS7_IljEEll
    .private_segment_fixed_size: 0
    .sgpr_count:     26
    .sgpr_spill_count: 0
    .symbol:         _ZN2at6native12compute_modeIlLj128EEEvPKT_NS_4cuda6detail10TensorInfoIS2_jEENS7_IljEEll.kd
    .uniform_work_group_size: 1
    .uses_dynamic_stack: false
    .vgpr_count:     32
    .vgpr_spill_count: 0
    .wavefront_size: 64
  - .args:
      - .address_space:  global
        .offset:         0
        .size:           8
        .value_kind:     global_buffer
      - .offset:         8
        .size:           216
        .value_kind:     by_value
      - .offset:         224
        .size:           216
        .value_kind:     by_value
      - .offset:         440
        .size:           8
        .value_kind:     by_value
      - .offset:         448
        .size:           8
        .value_kind:     by_value
      - .offset:         456
        .size:           4
        .value_kind:     hidden_block_count_x
      - .offset:         460
        .size:           4
        .value_kind:     hidden_block_count_y
      - .offset:         464
        .size:           4
        .value_kind:     hidden_block_count_z
      - .offset:         468
        .size:           2
        .value_kind:     hidden_group_size_x
      - .offset:         470
        .size:           2
        .value_kind:     hidden_group_size_y
      - .offset:         472
        .size:           2
        .value_kind:     hidden_group_size_z
      - .offset:         474
        .size:           2
        .value_kind:     hidden_remainder_x
      - .offset:         476
        .size:           2
        .value_kind:     hidden_remainder_y
      - .offset:         478
        .size:           2
        .value_kind:     hidden_remainder_z
      - .offset:         496
        .size:           8
        .value_kind:     hidden_global_offset_x
      - .offset:         504
        .size:           8
        .value_kind:     hidden_global_offset_y
      - .offset:         512
        .size:           8
        .value_kind:     hidden_global_offset_z
      - .offset:         520
        .size:           2
        .value_kind:     hidden_grid_dims
      - .offset:         576
        .size:           4
        .value_kind:     hidden_dynamic_lds_size
    .group_segment_fixed_size: 2
    .kernarg_segment_align: 8
    .kernarg_segment_size: 712
    .language:       OpenCL C
    .language_version:
      - 2
      - 0
    .max_flat_workgroup_size: 1024
    .name:           _ZN2at6native12compute_modeIsLj2048EEEvPKT_NS_4cuda6detail10TensorInfoIS2_jEENS7_IljEEll
    .private_segment_fixed_size: 0
    .sgpr_count:     26
    .sgpr_spill_count: 0
    .symbol:         _ZN2at6native12compute_modeIsLj2048EEEvPKT_NS_4cuda6detail10TensorInfoIS2_jEENS7_IljEEll.kd
    .uniform_work_group_size: 1
    .uses_dynamic_stack: false
    .vgpr_count:     40
    .vgpr_spill_count: 0
    .wavefront_size: 64
  - .args:
      - .address_space:  global
        .offset:         0
        .size:           8
        .value_kind:     global_buffer
      - .offset:         8
        .size:           216
        .value_kind:     by_value
      - .offset:         224
        .size:           216
        .value_kind:     by_value
      - .offset:         440
        .size:           8
        .value_kind:     by_value
      - .offset:         448
        .size:           8
        .value_kind:     by_value
      - .offset:         456
        .size:           4
        .value_kind:     hidden_block_count_x
      - .offset:         460
        .size:           4
        .value_kind:     hidden_block_count_y
      - .offset:         464
        .size:           4
        .value_kind:     hidden_block_count_z
      - .offset:         468
        .size:           2
        .value_kind:     hidden_group_size_x
      - .offset:         470
        .size:           2
        .value_kind:     hidden_group_size_y
      - .offset:         472
        .size:           2
        .value_kind:     hidden_group_size_z
      - .offset:         474
        .size:           2
        .value_kind:     hidden_remainder_x
      - .offset:         476
        .size:           2
        .value_kind:     hidden_remainder_y
      - .offset:         478
        .size:           2
        .value_kind:     hidden_remainder_z
      - .offset:         496
        .size:           8
        .value_kind:     hidden_global_offset_x
      - .offset:         504
        .size:           8
        .value_kind:     hidden_global_offset_y
      - .offset:         512
        .size:           8
        .value_kind:     hidden_global_offset_z
      - .offset:         520
        .size:           2
        .value_kind:     hidden_grid_dims
      - .offset:         576
        .size:           4
        .value_kind:     hidden_dynamic_lds_size
    .group_segment_fixed_size: 2
    .kernarg_segment_align: 8
    .kernarg_segment_size: 712
    .language:       OpenCL C
    .language_version:
      - 2
      - 0
    .max_flat_workgroup_size: 1024
    .name:           _ZN2at6native12compute_modeIsLj1024EEEvPKT_NS_4cuda6detail10TensorInfoIS2_jEENS7_IljEEll
    .private_segment_fixed_size: 0
    .sgpr_count:     26
    .sgpr_spill_count: 0
    .symbol:         _ZN2at6native12compute_modeIsLj1024EEEvPKT_NS_4cuda6detail10TensorInfoIS2_jEENS7_IljEEll.kd
    .uniform_work_group_size: 1
    .uses_dynamic_stack: false
    .vgpr_count:     37
    .vgpr_spill_count: 0
    .wavefront_size: 64
  - .args:
      - .address_space:  global
        .offset:         0
        .size:           8
        .value_kind:     global_buffer
      - .offset:         8
        .size:           216
        .value_kind:     by_value
      - .offset:         224
        .size:           216
        .value_kind:     by_value
      - .offset:         440
        .size:           8
        .value_kind:     by_value
      - .offset:         448
        .size:           8
        .value_kind:     by_value
      - .offset:         456
        .size:           4
        .value_kind:     hidden_block_count_x
      - .offset:         460
        .size:           4
        .value_kind:     hidden_block_count_y
      - .offset:         464
        .size:           4
        .value_kind:     hidden_block_count_z
      - .offset:         468
        .size:           2
        .value_kind:     hidden_group_size_x
      - .offset:         470
        .size:           2
        .value_kind:     hidden_group_size_y
      - .offset:         472
        .size:           2
        .value_kind:     hidden_group_size_z
      - .offset:         474
        .size:           2
        .value_kind:     hidden_remainder_x
      - .offset:         476
        .size:           2
        .value_kind:     hidden_remainder_y
      - .offset:         478
        .size:           2
        .value_kind:     hidden_remainder_z
      - .offset:         496
        .size:           8
        .value_kind:     hidden_global_offset_x
      - .offset:         504
        .size:           8
        .value_kind:     hidden_global_offset_y
      - .offset:         512
        .size:           8
        .value_kind:     hidden_global_offset_z
      - .offset:         520
        .size:           2
        .value_kind:     hidden_grid_dims
      - .offset:         576
        .size:           4
        .value_kind:     hidden_dynamic_lds_size
    .group_segment_fixed_size: 2
    .kernarg_segment_align: 8
    .kernarg_segment_size: 712
    .language:       OpenCL C
    .language_version:
      - 2
      - 0
    .max_flat_workgroup_size: 1024
    .name:           _ZN2at6native12compute_modeIsLj128EEEvPKT_NS_4cuda6detail10TensorInfoIS2_jEENS7_IljEEll
    .private_segment_fixed_size: 0
    .sgpr_count:     26
    .sgpr_spill_count: 0
    .symbol:         _ZN2at6native12compute_modeIsLj128EEEvPKT_NS_4cuda6detail10TensorInfoIS2_jEENS7_IljEEll.kd
    .uniform_work_group_size: 1
    .uses_dynamic_stack: false
    .vgpr_count:     28
    .vgpr_spill_count: 0
    .wavefront_size: 64
  - .args:
      - .address_space:  global
        .offset:         0
        .size:           8
        .value_kind:     global_buffer
      - .offset:         8
        .size:           216
        .value_kind:     by_value
      - .offset:         224
        .size:           216
        .value_kind:     by_value
      - .offset:         440
        .size:           8
        .value_kind:     by_value
      - .offset:         448
        .size:           8
        .value_kind:     by_value
      - .offset:         456
        .size:           4
        .value_kind:     hidden_block_count_x
      - .offset:         460
        .size:           4
        .value_kind:     hidden_block_count_y
      - .offset:         464
        .size:           4
        .value_kind:     hidden_block_count_z
      - .offset:         468
        .size:           2
        .value_kind:     hidden_group_size_x
      - .offset:         470
        .size:           2
        .value_kind:     hidden_group_size_y
      - .offset:         472
        .size:           2
        .value_kind:     hidden_group_size_z
      - .offset:         474
        .size:           2
        .value_kind:     hidden_remainder_x
      - .offset:         476
        .size:           2
        .value_kind:     hidden_remainder_y
      - .offset:         478
        .size:           2
        .value_kind:     hidden_remainder_z
      - .offset:         496
        .size:           8
        .value_kind:     hidden_global_offset_x
      - .offset:         504
        .size:           8
        .value_kind:     hidden_global_offset_y
      - .offset:         512
        .size:           8
        .value_kind:     hidden_global_offset_z
      - .offset:         520
        .size:           2
        .value_kind:     hidden_grid_dims
      - .offset:         576
        .size:           4
        .value_kind:     hidden_dynamic_lds_size
    .group_segment_fixed_size: 8
    .kernarg_segment_align: 8
    .kernarg_segment_size: 712
    .language:       OpenCL C
    .language_version:
      - 2
      - 0
    .max_flat_workgroup_size: 1024
    .name:           _ZN2at6native12compute_modeIdLj2048EEEvPKT_NS_4cuda6detail10TensorInfoIS2_jEENS7_IljEEll
    .private_segment_fixed_size: 0
    .sgpr_count:     26
    .sgpr_spill_count: 0
    .symbol:         _ZN2at6native12compute_modeIdLj2048EEEvPKT_NS_4cuda6detail10TensorInfoIS2_jEENS7_IljEEll.kd
    .uniform_work_group_size: 1
    .uses_dynamic_stack: false
    .vgpr_count:     45
    .vgpr_spill_count: 0
    .wavefront_size: 64
  - .args:
      - .address_space:  global
        .offset:         0
        .size:           8
        .value_kind:     global_buffer
      - .offset:         8
        .size:           216
        .value_kind:     by_value
      - .offset:         224
        .size:           216
        .value_kind:     by_value
      - .offset:         440
        .size:           8
        .value_kind:     by_value
      - .offset:         448
        .size:           8
        .value_kind:     by_value
      - .offset:         456
        .size:           4
        .value_kind:     hidden_block_count_x
      - .offset:         460
        .size:           4
        .value_kind:     hidden_block_count_y
      - .offset:         464
        .size:           4
        .value_kind:     hidden_block_count_z
      - .offset:         468
        .size:           2
        .value_kind:     hidden_group_size_x
      - .offset:         470
        .size:           2
        .value_kind:     hidden_group_size_y
      - .offset:         472
        .size:           2
        .value_kind:     hidden_group_size_z
      - .offset:         474
        .size:           2
        .value_kind:     hidden_remainder_x
      - .offset:         476
        .size:           2
        .value_kind:     hidden_remainder_y
      - .offset:         478
        .size:           2
        .value_kind:     hidden_remainder_z
      - .offset:         496
        .size:           8
        .value_kind:     hidden_global_offset_x
      - .offset:         504
        .size:           8
        .value_kind:     hidden_global_offset_y
      - .offset:         512
        .size:           8
        .value_kind:     hidden_global_offset_z
      - .offset:         520
        .size:           2
        .value_kind:     hidden_grid_dims
      - .offset:         576
        .size:           4
        .value_kind:     hidden_dynamic_lds_size
    .group_segment_fixed_size: 8
    .kernarg_segment_align: 8
    .kernarg_segment_size: 712
    .language:       OpenCL C
    .language_version:
      - 2
      - 0
    .max_flat_workgroup_size: 1024
    .name:           _ZN2at6native12compute_modeIdLj1024EEEvPKT_NS_4cuda6detail10TensorInfoIS2_jEENS7_IljEEll
    .private_segment_fixed_size: 0
    .sgpr_count:     26
    .sgpr_spill_count: 0
    .symbol:         _ZN2at6native12compute_modeIdLj1024EEEvPKT_NS_4cuda6detail10TensorInfoIS2_jEENS7_IljEEll.kd
    .uniform_work_group_size: 1
    .uses_dynamic_stack: false
    .vgpr_count:     42
    .vgpr_spill_count: 0
    .wavefront_size: 64
  - .args:
      - .address_space:  global
        .offset:         0
        .size:           8
        .value_kind:     global_buffer
      - .offset:         8
        .size:           216
        .value_kind:     by_value
      - .offset:         224
        .size:           216
        .value_kind:     by_value
      - .offset:         440
        .size:           8
        .value_kind:     by_value
      - .offset:         448
        .size:           8
        .value_kind:     by_value
      - .offset:         456
        .size:           4
        .value_kind:     hidden_block_count_x
      - .offset:         460
        .size:           4
        .value_kind:     hidden_block_count_y
      - .offset:         464
        .size:           4
        .value_kind:     hidden_block_count_z
      - .offset:         468
        .size:           2
        .value_kind:     hidden_group_size_x
      - .offset:         470
        .size:           2
        .value_kind:     hidden_group_size_y
      - .offset:         472
        .size:           2
        .value_kind:     hidden_group_size_z
      - .offset:         474
        .size:           2
        .value_kind:     hidden_remainder_x
      - .offset:         476
        .size:           2
        .value_kind:     hidden_remainder_y
      - .offset:         478
        .size:           2
        .value_kind:     hidden_remainder_z
      - .offset:         496
        .size:           8
        .value_kind:     hidden_global_offset_x
      - .offset:         504
        .size:           8
        .value_kind:     hidden_global_offset_y
      - .offset:         512
        .size:           8
        .value_kind:     hidden_global_offset_z
      - .offset:         520
        .size:           2
        .value_kind:     hidden_grid_dims
      - .offset:         576
        .size:           4
        .value_kind:     hidden_dynamic_lds_size
    .group_segment_fixed_size: 8
    .kernarg_segment_align: 8
    .kernarg_segment_size: 712
    .language:       OpenCL C
    .language_version:
      - 2
      - 0
    .max_flat_workgroup_size: 1024
    .name:           _ZN2at6native12compute_modeIdLj128EEEvPKT_NS_4cuda6detail10TensorInfoIS2_jEENS7_IljEEll
    .private_segment_fixed_size: 0
    .sgpr_count:     26
    .sgpr_spill_count: 0
    .symbol:         _ZN2at6native12compute_modeIdLj128EEEvPKT_NS_4cuda6detail10TensorInfoIS2_jEENS7_IljEEll.kd
    .uniform_work_group_size: 1
    .uses_dynamic_stack: false
    .vgpr_count:     33
    .vgpr_spill_count: 0
    .wavefront_size: 64
  - .args:
      - .address_space:  global
        .offset:         0
        .size:           8
        .value_kind:     global_buffer
      - .offset:         8
        .size:           216
        .value_kind:     by_value
      - .offset:         224
        .size:           216
        .value_kind:     by_value
      - .offset:         440
        .size:           8
        .value_kind:     by_value
      - .offset:         448
        .size:           8
        .value_kind:     by_value
      - .offset:         456
        .size:           4
        .value_kind:     hidden_block_count_x
      - .offset:         460
        .size:           4
        .value_kind:     hidden_block_count_y
      - .offset:         464
        .size:           4
        .value_kind:     hidden_block_count_z
      - .offset:         468
        .size:           2
        .value_kind:     hidden_group_size_x
      - .offset:         470
        .size:           2
        .value_kind:     hidden_group_size_y
      - .offset:         472
        .size:           2
        .value_kind:     hidden_group_size_z
      - .offset:         474
        .size:           2
        .value_kind:     hidden_remainder_x
      - .offset:         476
        .size:           2
        .value_kind:     hidden_remainder_y
      - .offset:         478
        .size:           2
        .value_kind:     hidden_remainder_z
      - .offset:         496
        .size:           8
        .value_kind:     hidden_global_offset_x
      - .offset:         504
        .size:           8
        .value_kind:     hidden_global_offset_y
      - .offset:         512
        .size:           8
        .value_kind:     hidden_global_offset_z
      - .offset:         520
        .size:           2
        .value_kind:     hidden_grid_dims
      - .offset:         576
        .size:           4
        .value_kind:     hidden_dynamic_lds_size
    .group_segment_fixed_size: 4
    .kernarg_segment_align: 8
    .kernarg_segment_size: 712
    .language:       OpenCL C
    .language_version:
      - 2
      - 0
    .max_flat_workgroup_size: 1024
    .name:           _ZN2at6native12compute_modeIfLj2048EEEvPKT_NS_4cuda6detail10TensorInfoIS2_jEENS7_IljEEll
    .private_segment_fixed_size: 0
    .sgpr_count:     26
    .sgpr_spill_count: 0
    .symbol:         _ZN2at6native12compute_modeIfLj2048EEEvPKT_NS_4cuda6detail10TensorInfoIS2_jEENS7_IljEEll.kd
    .uniform_work_group_size: 1
    .uses_dynamic_stack: false
    .vgpr_count:     42
    .vgpr_spill_count: 0
    .wavefront_size: 64
  - .args:
      - .address_space:  global
        .offset:         0
        .size:           8
        .value_kind:     global_buffer
      - .offset:         8
        .size:           216
        .value_kind:     by_value
      - .offset:         224
        .size:           216
        .value_kind:     by_value
      - .offset:         440
        .size:           8
        .value_kind:     by_value
      - .offset:         448
        .size:           8
        .value_kind:     by_value
      - .offset:         456
        .size:           4
        .value_kind:     hidden_block_count_x
      - .offset:         460
        .size:           4
        .value_kind:     hidden_block_count_y
      - .offset:         464
        .size:           4
        .value_kind:     hidden_block_count_z
      - .offset:         468
        .size:           2
        .value_kind:     hidden_group_size_x
      - .offset:         470
        .size:           2
        .value_kind:     hidden_group_size_y
      - .offset:         472
        .size:           2
        .value_kind:     hidden_group_size_z
      - .offset:         474
        .size:           2
        .value_kind:     hidden_remainder_x
      - .offset:         476
        .size:           2
        .value_kind:     hidden_remainder_y
      - .offset:         478
        .size:           2
        .value_kind:     hidden_remainder_z
      - .offset:         496
        .size:           8
        .value_kind:     hidden_global_offset_x
      - .offset:         504
        .size:           8
        .value_kind:     hidden_global_offset_y
      - .offset:         512
        .size:           8
        .value_kind:     hidden_global_offset_z
      - .offset:         520
        .size:           2
        .value_kind:     hidden_grid_dims
      - .offset:         576
        .size:           4
        .value_kind:     hidden_dynamic_lds_size
    .group_segment_fixed_size: 4
    .kernarg_segment_align: 8
    .kernarg_segment_size: 712
    .language:       OpenCL C
    .language_version:
      - 2
      - 0
    .max_flat_workgroup_size: 1024
    .name:           _ZN2at6native12compute_modeIfLj1024EEEvPKT_NS_4cuda6detail10TensorInfoIS2_jEENS7_IljEEll
    .private_segment_fixed_size: 0
    .sgpr_count:     26
    .sgpr_spill_count: 0
    .symbol:         _ZN2at6native12compute_modeIfLj1024EEEvPKT_NS_4cuda6detail10TensorInfoIS2_jEENS7_IljEEll.kd
    .uniform_work_group_size: 1
    .uses_dynamic_stack: false
    .vgpr_count:     39
    .vgpr_spill_count: 0
    .wavefront_size: 64
  - .args:
      - .address_space:  global
        .offset:         0
        .size:           8
        .value_kind:     global_buffer
      - .offset:         8
        .size:           216
        .value_kind:     by_value
      - .offset:         224
        .size:           216
        .value_kind:     by_value
      - .offset:         440
        .size:           8
        .value_kind:     by_value
      - .offset:         448
        .size:           8
        .value_kind:     by_value
      - .offset:         456
        .size:           4
        .value_kind:     hidden_block_count_x
      - .offset:         460
        .size:           4
        .value_kind:     hidden_block_count_y
      - .offset:         464
        .size:           4
        .value_kind:     hidden_block_count_z
      - .offset:         468
        .size:           2
        .value_kind:     hidden_group_size_x
      - .offset:         470
        .size:           2
        .value_kind:     hidden_group_size_y
      - .offset:         472
        .size:           2
        .value_kind:     hidden_group_size_z
      - .offset:         474
        .size:           2
        .value_kind:     hidden_remainder_x
      - .offset:         476
        .size:           2
        .value_kind:     hidden_remainder_y
      - .offset:         478
        .size:           2
        .value_kind:     hidden_remainder_z
      - .offset:         496
        .size:           8
        .value_kind:     hidden_global_offset_x
      - .offset:         504
        .size:           8
        .value_kind:     hidden_global_offset_y
      - .offset:         512
        .size:           8
        .value_kind:     hidden_global_offset_z
      - .offset:         520
        .size:           2
        .value_kind:     hidden_grid_dims
      - .offset:         576
        .size:           4
        .value_kind:     hidden_dynamic_lds_size
    .group_segment_fixed_size: 4
    .kernarg_segment_align: 8
    .kernarg_segment_size: 712
    .language:       OpenCL C
    .language_version:
      - 2
      - 0
    .max_flat_workgroup_size: 1024
    .name:           _ZN2at6native12compute_modeIfLj128EEEvPKT_NS_4cuda6detail10TensorInfoIS2_jEENS7_IljEEll
    .private_segment_fixed_size: 0
    .sgpr_count:     26
    .sgpr_spill_count: 0
    .symbol:         _ZN2at6native12compute_modeIfLj128EEEvPKT_NS_4cuda6detail10TensorInfoIS2_jEENS7_IljEEll.kd
    .uniform_work_group_size: 1
    .uses_dynamic_stack: false
    .vgpr_count:     30
    .vgpr_spill_count: 0
    .wavefront_size: 64
  - .args:
      - .address_space:  global
        .offset:         0
        .size:           8
        .value_kind:     global_buffer
      - .offset:         8
        .size:           216
        .value_kind:     by_value
      - .offset:         224
        .size:           216
        .value_kind:     by_value
      - .offset:         440
        .size:           8
        .value_kind:     by_value
      - .offset:         448
        .size:           8
        .value_kind:     by_value
      - .offset:         456
        .size:           4
        .value_kind:     hidden_block_count_x
      - .offset:         460
        .size:           4
        .value_kind:     hidden_block_count_y
      - .offset:         464
        .size:           4
        .value_kind:     hidden_block_count_z
      - .offset:         468
        .size:           2
        .value_kind:     hidden_group_size_x
      - .offset:         470
        .size:           2
        .value_kind:     hidden_group_size_y
      - .offset:         472
        .size:           2
        .value_kind:     hidden_group_size_z
      - .offset:         474
        .size:           2
        .value_kind:     hidden_remainder_x
      - .offset:         476
        .size:           2
        .value_kind:     hidden_remainder_y
      - .offset:         478
        .size:           2
        .value_kind:     hidden_remainder_z
      - .offset:         496
        .size:           8
        .value_kind:     hidden_global_offset_x
      - .offset:         504
        .size:           8
        .value_kind:     hidden_global_offset_y
      - .offset:         512
        .size:           8
        .value_kind:     hidden_global_offset_z
      - .offset:         520
        .size:           2
        .value_kind:     hidden_grid_dims
      - .offset:         576
        .size:           4
        .value_kind:     hidden_dynamic_lds_size
    .group_segment_fixed_size: 1
    .kernarg_segment_align: 8
    .kernarg_segment_size: 712
    .language:       OpenCL C
    .language_version:
      - 2
      - 0
    .max_flat_workgroup_size: 1024
    .name:           _ZN2at6native12compute_modeIbLj2048EEEvPKT_NS_4cuda6detail10TensorInfoIS2_jEENS7_IljEEll
    .private_segment_fixed_size: 0
    .sgpr_count:     26
    .sgpr_spill_count: 0
    .symbol:         _ZN2at6native12compute_modeIbLj2048EEEvPKT_NS_4cuda6detail10TensorInfoIS2_jEENS7_IljEEll.kd
    .uniform_work_group_size: 1
    .uses_dynamic_stack: false
    .vgpr_count:     20
    .vgpr_spill_count: 0
    .wavefront_size: 64
  - .args:
      - .address_space:  global
        .offset:         0
        .size:           8
        .value_kind:     global_buffer
      - .offset:         8
        .size:           216
        .value_kind:     by_value
      - .offset:         224
        .size:           216
        .value_kind:     by_value
      - .offset:         440
        .size:           8
        .value_kind:     by_value
      - .offset:         448
        .size:           8
        .value_kind:     by_value
      - .offset:         456
        .size:           4
        .value_kind:     hidden_block_count_x
      - .offset:         460
        .size:           4
        .value_kind:     hidden_block_count_y
      - .offset:         464
        .size:           4
        .value_kind:     hidden_block_count_z
      - .offset:         468
        .size:           2
        .value_kind:     hidden_group_size_x
      - .offset:         470
        .size:           2
        .value_kind:     hidden_group_size_y
      - .offset:         472
        .size:           2
        .value_kind:     hidden_group_size_z
      - .offset:         474
        .size:           2
        .value_kind:     hidden_remainder_x
      - .offset:         476
        .size:           2
        .value_kind:     hidden_remainder_y
      - .offset:         478
        .size:           2
        .value_kind:     hidden_remainder_z
      - .offset:         496
        .size:           8
        .value_kind:     hidden_global_offset_x
      - .offset:         504
        .size:           8
        .value_kind:     hidden_global_offset_y
      - .offset:         512
        .size:           8
        .value_kind:     hidden_global_offset_z
      - .offset:         520
        .size:           2
        .value_kind:     hidden_grid_dims
      - .offset:         576
        .size:           4
        .value_kind:     hidden_dynamic_lds_size
    .group_segment_fixed_size: 1
    .kernarg_segment_align: 8
    .kernarg_segment_size: 712
    .language:       OpenCL C
    .language_version:
      - 2
      - 0
    .max_flat_workgroup_size: 1024
    .name:           _ZN2at6native12compute_modeIbLj1024EEEvPKT_NS_4cuda6detail10TensorInfoIS2_jEENS7_IljEEll
    .private_segment_fixed_size: 0
    .sgpr_count:     26
    .sgpr_spill_count: 0
    .symbol:         _ZN2at6native12compute_modeIbLj1024EEEvPKT_NS_4cuda6detail10TensorInfoIS2_jEENS7_IljEEll.kd
    .uniform_work_group_size: 1
    .uses_dynamic_stack: false
    .vgpr_count:     19
    .vgpr_spill_count: 0
    .wavefront_size: 64
  - .args:
      - .address_space:  global
        .offset:         0
        .size:           8
        .value_kind:     global_buffer
      - .offset:         8
        .size:           216
        .value_kind:     by_value
      - .offset:         224
        .size:           216
        .value_kind:     by_value
      - .offset:         440
        .size:           8
        .value_kind:     by_value
      - .offset:         448
        .size:           8
        .value_kind:     by_value
      - .offset:         456
        .size:           4
        .value_kind:     hidden_block_count_x
      - .offset:         460
        .size:           4
        .value_kind:     hidden_block_count_y
      - .offset:         464
        .size:           4
        .value_kind:     hidden_block_count_z
      - .offset:         468
        .size:           2
        .value_kind:     hidden_group_size_x
      - .offset:         470
        .size:           2
        .value_kind:     hidden_group_size_y
      - .offset:         472
        .size:           2
        .value_kind:     hidden_group_size_z
      - .offset:         474
        .size:           2
        .value_kind:     hidden_remainder_x
      - .offset:         476
        .size:           2
        .value_kind:     hidden_remainder_y
      - .offset:         478
        .size:           2
        .value_kind:     hidden_remainder_z
      - .offset:         496
        .size:           8
        .value_kind:     hidden_global_offset_x
      - .offset:         504
        .size:           8
        .value_kind:     hidden_global_offset_y
      - .offset:         512
        .size:           8
        .value_kind:     hidden_global_offset_z
      - .offset:         520
        .size:           2
        .value_kind:     hidden_grid_dims
      - .offset:         576
        .size:           4
        .value_kind:     hidden_dynamic_lds_size
    .group_segment_fixed_size: 1
    .kernarg_segment_align: 8
    .kernarg_segment_size: 712
    .language:       OpenCL C
    .language_version:
      - 2
      - 0
    .max_flat_workgroup_size: 1024
    .name:           _ZN2at6native12compute_modeIbLj128EEEvPKT_NS_4cuda6detail10TensorInfoIS2_jEENS7_IljEEll
    .private_segment_fixed_size: 0
    .sgpr_count:     26
    .sgpr_spill_count: 0
    .symbol:         _ZN2at6native12compute_modeIbLj128EEEvPKT_NS_4cuda6detail10TensorInfoIS2_jEENS7_IljEEll.kd
    .uniform_work_group_size: 1
    .uses_dynamic_stack: false
    .vgpr_count:     17
    .vgpr_spill_count: 0
    .wavefront_size: 64
  - .args:
      - .address_space:  global
        .offset:         0
        .size:           8
        .value_kind:     global_buffer
      - .offset:         8
        .size:           216
        .value_kind:     by_value
      - .offset:         224
        .size:           216
        .value_kind:     by_value
      - .offset:         440
        .size:           8
        .value_kind:     by_value
      - .offset:         448
        .size:           8
        .value_kind:     by_value
      - .offset:         456
        .size:           4
        .value_kind:     hidden_block_count_x
      - .offset:         460
        .size:           4
        .value_kind:     hidden_block_count_y
      - .offset:         464
        .size:           4
        .value_kind:     hidden_block_count_z
      - .offset:         468
        .size:           2
        .value_kind:     hidden_group_size_x
      - .offset:         470
        .size:           2
        .value_kind:     hidden_group_size_y
      - .offset:         472
        .size:           2
        .value_kind:     hidden_group_size_z
      - .offset:         474
        .size:           2
        .value_kind:     hidden_remainder_x
      - .offset:         476
        .size:           2
        .value_kind:     hidden_remainder_y
      - .offset:         478
        .size:           2
        .value_kind:     hidden_remainder_z
      - .offset:         496
        .size:           8
        .value_kind:     hidden_global_offset_x
      - .offset:         504
        .size:           8
        .value_kind:     hidden_global_offset_y
      - .offset:         512
        .size:           8
        .value_kind:     hidden_global_offset_z
      - .offset:         520
        .size:           2
        .value_kind:     hidden_grid_dims
      - .offset:         576
        .size:           4
        .value_kind:     hidden_dynamic_lds_size
    .group_segment_fixed_size: 2
    .kernarg_segment_align: 8
    .kernarg_segment_size: 712
    .language:       OpenCL C
    .language_version:
      - 2
      - 0
    .max_flat_workgroup_size: 1024
    .name:           _ZN2at6native12compute_modeIN3c108BFloat16ELj2048EEEvPKT_NS_4cuda6detail10TensorInfoIS4_jEENS9_IljEEll
    .private_segment_fixed_size: 0
    .sgpr_count:     26
    .sgpr_spill_count: 0
    .symbol:         _ZN2at6native12compute_modeIN3c108BFloat16ELj2048EEEvPKT_NS_4cuda6detail10TensorInfoIS4_jEENS9_IljEEll.kd
    .uniform_work_group_size: 1
    .uses_dynamic_stack: false
    .vgpr_count:     41
    .vgpr_spill_count: 0
    .wavefront_size: 64
  - .args:
      - .address_space:  global
        .offset:         0
        .size:           8
        .value_kind:     global_buffer
      - .offset:         8
        .size:           216
        .value_kind:     by_value
      - .offset:         224
        .size:           216
        .value_kind:     by_value
      - .offset:         440
        .size:           8
        .value_kind:     by_value
      - .offset:         448
        .size:           8
        .value_kind:     by_value
      - .offset:         456
        .size:           4
        .value_kind:     hidden_block_count_x
      - .offset:         460
        .size:           4
        .value_kind:     hidden_block_count_y
      - .offset:         464
        .size:           4
        .value_kind:     hidden_block_count_z
      - .offset:         468
        .size:           2
        .value_kind:     hidden_group_size_x
      - .offset:         470
        .size:           2
        .value_kind:     hidden_group_size_y
      - .offset:         472
        .size:           2
        .value_kind:     hidden_group_size_z
      - .offset:         474
        .size:           2
        .value_kind:     hidden_remainder_x
      - .offset:         476
        .size:           2
        .value_kind:     hidden_remainder_y
      - .offset:         478
        .size:           2
        .value_kind:     hidden_remainder_z
      - .offset:         496
        .size:           8
        .value_kind:     hidden_global_offset_x
      - .offset:         504
        .size:           8
        .value_kind:     hidden_global_offset_y
      - .offset:         512
        .size:           8
        .value_kind:     hidden_global_offset_z
      - .offset:         520
        .size:           2
        .value_kind:     hidden_grid_dims
      - .offset:         576
        .size:           4
        .value_kind:     hidden_dynamic_lds_size
    .group_segment_fixed_size: 2
    .kernarg_segment_align: 8
    .kernarg_segment_size: 712
    .language:       OpenCL C
    .language_version:
      - 2
      - 0
    .max_flat_workgroup_size: 1024
    .name:           _ZN2at6native12compute_modeIN3c108BFloat16ELj1024EEEvPKT_NS_4cuda6detail10TensorInfoIS4_jEENS9_IljEEll
    .private_segment_fixed_size: 0
    .sgpr_count:     26
    .sgpr_spill_count: 0
    .symbol:         _ZN2at6native12compute_modeIN3c108BFloat16ELj1024EEEvPKT_NS_4cuda6detail10TensorInfoIS4_jEENS9_IljEEll.kd
    .uniform_work_group_size: 1
    .uses_dynamic_stack: false
    .vgpr_count:     38
    .vgpr_spill_count: 0
    .wavefront_size: 64
  - .args:
      - .address_space:  global
        .offset:         0
        .size:           8
        .value_kind:     global_buffer
      - .offset:         8
        .size:           216
        .value_kind:     by_value
      - .offset:         224
        .size:           216
        .value_kind:     by_value
      - .offset:         440
        .size:           8
        .value_kind:     by_value
      - .offset:         448
        .size:           8
        .value_kind:     by_value
      - .offset:         456
        .size:           4
        .value_kind:     hidden_block_count_x
      - .offset:         460
        .size:           4
        .value_kind:     hidden_block_count_y
      - .offset:         464
        .size:           4
        .value_kind:     hidden_block_count_z
      - .offset:         468
        .size:           2
        .value_kind:     hidden_group_size_x
      - .offset:         470
        .size:           2
        .value_kind:     hidden_group_size_y
      - .offset:         472
        .size:           2
        .value_kind:     hidden_group_size_z
      - .offset:         474
        .size:           2
        .value_kind:     hidden_remainder_x
      - .offset:         476
        .size:           2
        .value_kind:     hidden_remainder_y
      - .offset:         478
        .size:           2
        .value_kind:     hidden_remainder_z
      - .offset:         496
        .size:           8
        .value_kind:     hidden_global_offset_x
      - .offset:         504
        .size:           8
        .value_kind:     hidden_global_offset_y
      - .offset:         512
        .size:           8
        .value_kind:     hidden_global_offset_z
      - .offset:         520
        .size:           2
        .value_kind:     hidden_grid_dims
      - .offset:         576
        .size:           4
        .value_kind:     hidden_dynamic_lds_size
    .group_segment_fixed_size: 2
    .kernarg_segment_align: 8
    .kernarg_segment_size: 712
    .language:       OpenCL C
    .language_version:
      - 2
      - 0
    .max_flat_workgroup_size: 1024
    .name:           _ZN2at6native12compute_modeIN3c108BFloat16ELj128EEEvPKT_NS_4cuda6detail10TensorInfoIS4_jEENS9_IljEEll
    .private_segment_fixed_size: 0
    .sgpr_count:     26
    .sgpr_spill_count: 0
    .symbol:         _ZN2at6native12compute_modeIN3c108BFloat16ELj128EEEvPKT_NS_4cuda6detail10TensorInfoIS4_jEENS9_IljEEll.kd
    .uniform_work_group_size: 1
    .uses_dynamic_stack: false
    .vgpr_count:     29
    .vgpr_spill_count: 0
    .wavefront_size: 64
  - .args:
      - .address_space:  global
        .offset:         0
        .size:           8
        .value_kind:     global_buffer
      - .offset:         8
        .size:           216
        .value_kind:     by_value
      - .offset:         224
        .size:           216
        .value_kind:     by_value
      - .offset:         440
        .size:           8
        .value_kind:     by_value
      - .offset:         448
        .size:           8
        .value_kind:     by_value
      - .offset:         456
        .size:           4
        .value_kind:     hidden_block_count_x
      - .offset:         460
        .size:           4
        .value_kind:     hidden_block_count_y
      - .offset:         464
        .size:           4
        .value_kind:     hidden_block_count_z
      - .offset:         468
        .size:           2
        .value_kind:     hidden_group_size_x
      - .offset:         470
        .size:           2
        .value_kind:     hidden_group_size_y
      - .offset:         472
        .size:           2
        .value_kind:     hidden_group_size_z
      - .offset:         474
        .size:           2
        .value_kind:     hidden_remainder_x
      - .offset:         476
        .size:           2
        .value_kind:     hidden_remainder_y
      - .offset:         478
        .size:           2
        .value_kind:     hidden_remainder_z
      - .offset:         496
        .size:           8
        .value_kind:     hidden_global_offset_x
      - .offset:         504
        .size:           8
        .value_kind:     hidden_global_offset_y
      - .offset:         512
        .size:           8
        .value_kind:     hidden_global_offset_z
      - .offset:         520
        .size:           2
        .value_kind:     hidden_grid_dims
      - .offset:         576
        .size:           4
        .value_kind:     hidden_dynamic_lds_size
    .group_segment_fixed_size: 2
    .kernarg_segment_align: 8
    .kernarg_segment_size: 712
    .language:       OpenCL C
    .language_version:
      - 2
      - 0
    .max_flat_workgroup_size: 1024
    .name:           _ZN2at6native12compute_modeIN3c104HalfELj2048EEEvPKT_NS_4cuda6detail10TensorInfoIS4_jEENS9_IljEEll
    .private_segment_fixed_size: 0
    .sgpr_count:     26
    .sgpr_spill_count: 0
    .symbol:         _ZN2at6native12compute_modeIN3c104HalfELj2048EEEvPKT_NS_4cuda6detail10TensorInfoIS4_jEENS9_IljEEll.kd
    .uniform_work_group_size: 1
    .uses_dynamic_stack: false
    .vgpr_count:     40
    .vgpr_spill_count: 0
    .wavefront_size: 64
  - .args:
      - .address_space:  global
        .offset:         0
        .size:           8
        .value_kind:     global_buffer
      - .offset:         8
        .size:           216
        .value_kind:     by_value
      - .offset:         224
        .size:           216
        .value_kind:     by_value
      - .offset:         440
        .size:           8
        .value_kind:     by_value
      - .offset:         448
        .size:           8
        .value_kind:     by_value
      - .offset:         456
        .size:           4
        .value_kind:     hidden_block_count_x
      - .offset:         460
        .size:           4
        .value_kind:     hidden_block_count_y
      - .offset:         464
        .size:           4
        .value_kind:     hidden_block_count_z
      - .offset:         468
        .size:           2
        .value_kind:     hidden_group_size_x
      - .offset:         470
        .size:           2
        .value_kind:     hidden_group_size_y
      - .offset:         472
        .size:           2
        .value_kind:     hidden_group_size_z
      - .offset:         474
        .size:           2
        .value_kind:     hidden_remainder_x
      - .offset:         476
        .size:           2
        .value_kind:     hidden_remainder_y
      - .offset:         478
        .size:           2
        .value_kind:     hidden_remainder_z
      - .offset:         496
        .size:           8
        .value_kind:     hidden_global_offset_x
      - .offset:         504
        .size:           8
        .value_kind:     hidden_global_offset_y
      - .offset:         512
        .size:           8
        .value_kind:     hidden_global_offset_z
      - .offset:         520
        .size:           2
        .value_kind:     hidden_grid_dims
      - .offset:         576
        .size:           4
        .value_kind:     hidden_dynamic_lds_size
    .group_segment_fixed_size: 2
    .kernarg_segment_align: 8
    .kernarg_segment_size: 712
    .language:       OpenCL C
    .language_version:
      - 2
      - 0
    .max_flat_workgroup_size: 1024
    .name:           _ZN2at6native12compute_modeIN3c104HalfELj1024EEEvPKT_NS_4cuda6detail10TensorInfoIS4_jEENS9_IljEEll
    .private_segment_fixed_size: 0
    .sgpr_count:     26
    .sgpr_spill_count: 0
    .symbol:         _ZN2at6native12compute_modeIN3c104HalfELj1024EEEvPKT_NS_4cuda6detail10TensorInfoIS4_jEENS9_IljEEll.kd
    .uniform_work_group_size: 1
    .uses_dynamic_stack: false
    .vgpr_count:     37
    .vgpr_spill_count: 0
    .wavefront_size: 64
  - .args:
      - .address_space:  global
        .offset:         0
        .size:           8
        .value_kind:     global_buffer
      - .offset:         8
        .size:           216
        .value_kind:     by_value
      - .offset:         224
        .size:           216
        .value_kind:     by_value
      - .offset:         440
        .size:           8
        .value_kind:     by_value
      - .offset:         448
        .size:           8
        .value_kind:     by_value
      - .offset:         456
        .size:           4
        .value_kind:     hidden_block_count_x
      - .offset:         460
        .size:           4
        .value_kind:     hidden_block_count_y
      - .offset:         464
        .size:           4
        .value_kind:     hidden_block_count_z
      - .offset:         468
        .size:           2
        .value_kind:     hidden_group_size_x
      - .offset:         470
        .size:           2
        .value_kind:     hidden_group_size_y
      - .offset:         472
        .size:           2
        .value_kind:     hidden_group_size_z
      - .offset:         474
        .size:           2
        .value_kind:     hidden_remainder_x
      - .offset:         476
        .size:           2
        .value_kind:     hidden_remainder_y
      - .offset:         478
        .size:           2
        .value_kind:     hidden_remainder_z
      - .offset:         496
        .size:           8
        .value_kind:     hidden_global_offset_x
      - .offset:         504
        .size:           8
        .value_kind:     hidden_global_offset_y
      - .offset:         512
        .size:           8
        .value_kind:     hidden_global_offset_z
      - .offset:         520
        .size:           2
        .value_kind:     hidden_grid_dims
      - .offset:         576
        .size:           4
        .value_kind:     hidden_dynamic_lds_size
    .group_segment_fixed_size: 2
    .kernarg_segment_align: 8
    .kernarg_segment_size: 712
    .language:       OpenCL C
    .language_version:
      - 2
      - 0
    .max_flat_workgroup_size: 1024
    .name:           _ZN2at6native12compute_modeIN3c104HalfELj128EEEvPKT_NS_4cuda6detail10TensorInfoIS4_jEENS9_IljEEll
    .private_segment_fixed_size: 0
    .sgpr_count:     26
    .sgpr_spill_count: 0
    .symbol:         _ZN2at6native12compute_modeIN3c104HalfELj128EEEvPKT_NS_4cuda6detail10TensorInfoIS4_jEENS9_IljEEll.kd
    .uniform_work_group_size: 1
    .uses_dynamic_stack: false
    .vgpr_count:     28
    .vgpr_spill_count: 0
    .wavefront_size: 64
  - .args:
      - .offset:         0
        .size:           24
        .value_kind:     by_value
      - .offset:         24
        .size:           8
        .value_kind:     by_value
      - .offset:         32
        .size:           8
        .value_kind:     by_value
    .group_segment_fixed_size: 0
    .kernarg_segment_align: 8
    .kernarg_segment_size: 40
    .language:       OpenCL C
    .language_version:
      - 2
      - 0
    .max_flat_workgroup_size: 256
    .name:           _ZN6thrust23THRUST_200600_302600_NS11hip_rocprim14__parallel_for6kernelILj256ENS1_11__transform17unary_transform_fINS0_17counting_iteratorIlNS0_11use_defaultES7_S7_EENS0_10device_ptrIlEENS4_14no_stencil_tagENS0_8identityIlEENS4_21always_true_predicateEEElLj1EEEvT0_T1_SH_
    .private_segment_fixed_size: 0
    .sgpr_count:     16
    .sgpr_spill_count: 0
    .symbol:         _ZN6thrust23THRUST_200600_302600_NS11hip_rocprim14__parallel_for6kernelILj256ENS1_11__transform17unary_transform_fINS0_17counting_iteratorIlNS0_11use_defaultES7_S7_EENS0_10device_ptrIlEENS4_14no_stencil_tagENS0_8identityIlEENS4_21always_true_predicateEEElLj1EEEvT0_T1_SH_.kd
    .uniform_work_group_size: 1
    .uses_dynamic_stack: false
    .vgpr_count:     5
    .vgpr_spill_count: 0
    .wavefront_size: 64
  - .args:
      - .offset:         0
        .size:           48
        .value_kind:     by_value
    .group_segment_fixed_size: 0
    .kernarg_segment_align: 8
    .kernarg_segment_size: 48
    .language:       OpenCL C
    .language_version:
      - 2
      - 0
    .max_flat_workgroup_size: 256
    .name:           _ZN7rocprim17ROCPRIM_400000_NS6detail17trampoline_kernelINS0_13kernel_configILj256ELj4ELj4294967295EEENS1_37radix_sort_block_sort_config_selectorIhlEEZNS1_21radix_sort_block_sortIS4_Lb0EPhS8_N6thrust23THRUST_200600_302600_NS10device_ptrIlEESC_NS0_19identity_decomposerEEE10hipError_tT1_T2_T3_T4_jRjT5_jjP12ihipStream_tbEUlT_E_NS1_11comp_targetILNS1_3genE0ELNS1_11target_archE4294967295ELNS1_3gpuE0ELNS1_3repE0EEENS1_44radix_sort_block_sort_config_static_selectorELNS0_4arch9wavefront6targetE1EEEvSF_
    .private_segment_fixed_size: 0
    .sgpr_count:     4
    .sgpr_spill_count: 0
    .symbol:         _ZN7rocprim17ROCPRIM_400000_NS6detail17trampoline_kernelINS0_13kernel_configILj256ELj4ELj4294967295EEENS1_37radix_sort_block_sort_config_selectorIhlEEZNS1_21radix_sort_block_sortIS4_Lb0EPhS8_N6thrust23THRUST_200600_302600_NS10device_ptrIlEESC_NS0_19identity_decomposerEEE10hipError_tT1_T2_T3_T4_jRjT5_jjP12ihipStream_tbEUlT_E_NS1_11comp_targetILNS1_3genE0ELNS1_11target_archE4294967295ELNS1_3gpuE0ELNS1_3repE0EEENS1_44radix_sort_block_sort_config_static_selectorELNS0_4arch9wavefront6targetE1EEEvSF_.kd
    .uniform_work_group_size: 1
    .uses_dynamic_stack: false
    .vgpr_count:     0
    .vgpr_spill_count: 0
    .wavefront_size: 64
  - .args:
      - .offset:         0
        .size:           48
        .value_kind:     by_value
    .group_segment_fixed_size: 0
    .kernarg_segment_align: 8
    .kernarg_segment_size: 48
    .language:       OpenCL C
    .language_version:
      - 2
      - 0
    .max_flat_workgroup_size: 256
    .name:           _ZN7rocprim17ROCPRIM_400000_NS6detail17trampoline_kernelINS0_13kernel_configILj256ELj4ELj4294967295EEENS1_37radix_sort_block_sort_config_selectorIhlEEZNS1_21radix_sort_block_sortIS4_Lb0EPhS8_N6thrust23THRUST_200600_302600_NS10device_ptrIlEESC_NS0_19identity_decomposerEEE10hipError_tT1_T2_T3_T4_jRjT5_jjP12ihipStream_tbEUlT_E_NS1_11comp_targetILNS1_3genE5ELNS1_11target_archE942ELNS1_3gpuE9ELNS1_3repE0EEENS1_44radix_sort_block_sort_config_static_selectorELNS0_4arch9wavefront6targetE1EEEvSF_
    .private_segment_fixed_size: 0
    .sgpr_count:     4
    .sgpr_spill_count: 0
    .symbol:         _ZN7rocprim17ROCPRIM_400000_NS6detail17trampoline_kernelINS0_13kernel_configILj256ELj4ELj4294967295EEENS1_37radix_sort_block_sort_config_selectorIhlEEZNS1_21radix_sort_block_sortIS4_Lb0EPhS8_N6thrust23THRUST_200600_302600_NS10device_ptrIlEESC_NS0_19identity_decomposerEEE10hipError_tT1_T2_T3_T4_jRjT5_jjP12ihipStream_tbEUlT_E_NS1_11comp_targetILNS1_3genE5ELNS1_11target_archE942ELNS1_3gpuE9ELNS1_3repE0EEENS1_44radix_sort_block_sort_config_static_selectorELNS0_4arch9wavefront6targetE1EEEvSF_.kd
    .uniform_work_group_size: 1
    .uses_dynamic_stack: false
    .vgpr_count:     0
    .vgpr_spill_count: 0
    .wavefront_size: 64
  - .args:
      - .offset:         0
        .size:           48
        .value_kind:     by_value
    .group_segment_fixed_size: 0
    .kernarg_segment_align: 8
    .kernarg_segment_size: 48
    .language:       OpenCL C
    .language_version:
      - 2
      - 0
    .max_flat_workgroup_size: 256
    .name:           _ZN7rocprim17ROCPRIM_400000_NS6detail17trampoline_kernelINS0_13kernel_configILj256ELj4ELj4294967295EEENS1_37radix_sort_block_sort_config_selectorIhlEEZNS1_21radix_sort_block_sortIS4_Lb0EPhS8_N6thrust23THRUST_200600_302600_NS10device_ptrIlEESC_NS0_19identity_decomposerEEE10hipError_tT1_T2_T3_T4_jRjT5_jjP12ihipStream_tbEUlT_E_NS1_11comp_targetILNS1_3genE4ELNS1_11target_archE910ELNS1_3gpuE8ELNS1_3repE0EEENS1_44radix_sort_block_sort_config_static_selectorELNS0_4arch9wavefront6targetE1EEEvSF_
    .private_segment_fixed_size: 0
    .sgpr_count:     4
    .sgpr_spill_count: 0
    .symbol:         _ZN7rocprim17ROCPRIM_400000_NS6detail17trampoline_kernelINS0_13kernel_configILj256ELj4ELj4294967295EEENS1_37radix_sort_block_sort_config_selectorIhlEEZNS1_21radix_sort_block_sortIS4_Lb0EPhS8_N6thrust23THRUST_200600_302600_NS10device_ptrIlEESC_NS0_19identity_decomposerEEE10hipError_tT1_T2_T3_T4_jRjT5_jjP12ihipStream_tbEUlT_E_NS1_11comp_targetILNS1_3genE4ELNS1_11target_archE910ELNS1_3gpuE8ELNS1_3repE0EEENS1_44radix_sort_block_sort_config_static_selectorELNS0_4arch9wavefront6targetE1EEEvSF_.kd
    .uniform_work_group_size: 1
    .uses_dynamic_stack: false
    .vgpr_count:     0
    .vgpr_spill_count: 0
    .wavefront_size: 64
  - .args:
      - .offset:         0
        .size:           48
        .value_kind:     by_value
    .group_segment_fixed_size: 0
    .kernarg_segment_align: 8
    .kernarg_segment_size: 48
    .language:       OpenCL C
    .language_version:
      - 2
      - 0
    .max_flat_workgroup_size: 256
    .name:           _ZN7rocprim17ROCPRIM_400000_NS6detail17trampoline_kernelINS0_13kernel_configILj256ELj4ELj4294967295EEENS1_37radix_sort_block_sort_config_selectorIhlEEZNS1_21radix_sort_block_sortIS4_Lb0EPhS8_N6thrust23THRUST_200600_302600_NS10device_ptrIlEESC_NS0_19identity_decomposerEEE10hipError_tT1_T2_T3_T4_jRjT5_jjP12ihipStream_tbEUlT_E_NS1_11comp_targetILNS1_3genE3ELNS1_11target_archE908ELNS1_3gpuE7ELNS1_3repE0EEENS1_44radix_sort_block_sort_config_static_selectorELNS0_4arch9wavefront6targetE1EEEvSF_
    .private_segment_fixed_size: 0
    .sgpr_count:     4
    .sgpr_spill_count: 0
    .symbol:         _ZN7rocprim17ROCPRIM_400000_NS6detail17trampoline_kernelINS0_13kernel_configILj256ELj4ELj4294967295EEENS1_37radix_sort_block_sort_config_selectorIhlEEZNS1_21radix_sort_block_sortIS4_Lb0EPhS8_N6thrust23THRUST_200600_302600_NS10device_ptrIlEESC_NS0_19identity_decomposerEEE10hipError_tT1_T2_T3_T4_jRjT5_jjP12ihipStream_tbEUlT_E_NS1_11comp_targetILNS1_3genE3ELNS1_11target_archE908ELNS1_3gpuE7ELNS1_3repE0EEENS1_44radix_sort_block_sort_config_static_selectorELNS0_4arch9wavefront6targetE1EEEvSF_.kd
    .uniform_work_group_size: 1
    .uses_dynamic_stack: false
    .vgpr_count:     0
    .vgpr_spill_count: 0
    .wavefront_size: 64
  - .args:
      - .offset:         0
        .size:           48
        .value_kind:     by_value
      - .offset:         48
        .size:           4
        .value_kind:     hidden_block_count_x
      - .offset:         52
        .size:           4
        .value_kind:     hidden_block_count_y
      - .offset:         56
        .size:           4
        .value_kind:     hidden_block_count_z
      - .offset:         60
        .size:           2
        .value_kind:     hidden_group_size_x
      - .offset:         62
        .size:           2
        .value_kind:     hidden_group_size_y
      - .offset:         64
        .size:           2
        .value_kind:     hidden_group_size_z
      - .offset:         66
        .size:           2
        .value_kind:     hidden_remainder_x
      - .offset:         68
        .size:           2
        .value_kind:     hidden_remainder_y
      - .offset:         70
        .size:           2
        .value_kind:     hidden_remainder_z
      - .offset:         88
        .size:           8
        .value_kind:     hidden_global_offset_x
      - .offset:         96
        .size:           8
        .value_kind:     hidden_global_offset_y
      - .offset:         104
        .size:           8
        .value_kind:     hidden_global_offset_z
      - .offset:         112
        .size:           2
        .value_kind:     hidden_grid_dims
    .group_segment_fixed_size: 8192
    .kernarg_segment_align: 8
    .kernarg_segment_size: 304
    .language:       OpenCL C
    .language_version:
      - 2
      - 0
    .max_flat_workgroup_size: 256
    .name:           _ZN7rocprim17ROCPRIM_400000_NS6detail17trampoline_kernelINS0_13kernel_configILj256ELj4ELj4294967295EEENS1_37radix_sort_block_sort_config_selectorIhlEEZNS1_21radix_sort_block_sortIS4_Lb0EPhS8_N6thrust23THRUST_200600_302600_NS10device_ptrIlEESC_NS0_19identity_decomposerEEE10hipError_tT1_T2_T3_T4_jRjT5_jjP12ihipStream_tbEUlT_E_NS1_11comp_targetILNS1_3genE2ELNS1_11target_archE906ELNS1_3gpuE6ELNS1_3repE0EEENS1_44radix_sort_block_sort_config_static_selectorELNS0_4arch9wavefront6targetE1EEEvSF_
    .private_segment_fixed_size: 0
    .sgpr_count:     50
    .sgpr_spill_count: 0
    .symbol:         _ZN7rocprim17ROCPRIM_400000_NS6detail17trampoline_kernelINS0_13kernel_configILj256ELj4ELj4294967295EEENS1_37radix_sort_block_sort_config_selectorIhlEEZNS1_21radix_sort_block_sortIS4_Lb0EPhS8_N6thrust23THRUST_200600_302600_NS10device_ptrIlEESC_NS0_19identity_decomposerEEE10hipError_tT1_T2_T3_T4_jRjT5_jjP12ihipStream_tbEUlT_E_NS1_11comp_targetILNS1_3genE2ELNS1_11target_archE906ELNS1_3gpuE6ELNS1_3repE0EEENS1_44radix_sort_block_sort_config_static_selectorELNS0_4arch9wavefront6targetE1EEEvSF_.kd
    .uniform_work_group_size: 1
    .uses_dynamic_stack: false
    .vgpr_count:     48
    .vgpr_spill_count: 0
    .wavefront_size: 64
  - .args:
      - .offset:         0
        .size:           48
        .value_kind:     by_value
    .group_segment_fixed_size: 0
    .kernarg_segment_align: 8
    .kernarg_segment_size: 48
    .language:       OpenCL C
    .language_version:
      - 2
      - 0
    .max_flat_workgroup_size: 256
    .name:           _ZN7rocprim17ROCPRIM_400000_NS6detail17trampoline_kernelINS0_13kernel_configILj256ELj4ELj4294967295EEENS1_37radix_sort_block_sort_config_selectorIhlEEZNS1_21radix_sort_block_sortIS4_Lb0EPhS8_N6thrust23THRUST_200600_302600_NS10device_ptrIlEESC_NS0_19identity_decomposerEEE10hipError_tT1_T2_T3_T4_jRjT5_jjP12ihipStream_tbEUlT_E_NS1_11comp_targetILNS1_3genE10ELNS1_11target_archE1201ELNS1_3gpuE5ELNS1_3repE0EEENS1_44radix_sort_block_sort_config_static_selectorELNS0_4arch9wavefront6targetE1EEEvSF_
    .private_segment_fixed_size: 0
    .sgpr_count:     4
    .sgpr_spill_count: 0
    .symbol:         _ZN7rocprim17ROCPRIM_400000_NS6detail17trampoline_kernelINS0_13kernel_configILj256ELj4ELj4294967295EEENS1_37radix_sort_block_sort_config_selectorIhlEEZNS1_21radix_sort_block_sortIS4_Lb0EPhS8_N6thrust23THRUST_200600_302600_NS10device_ptrIlEESC_NS0_19identity_decomposerEEE10hipError_tT1_T2_T3_T4_jRjT5_jjP12ihipStream_tbEUlT_E_NS1_11comp_targetILNS1_3genE10ELNS1_11target_archE1201ELNS1_3gpuE5ELNS1_3repE0EEENS1_44radix_sort_block_sort_config_static_selectorELNS0_4arch9wavefront6targetE1EEEvSF_.kd
    .uniform_work_group_size: 1
    .uses_dynamic_stack: false
    .vgpr_count:     0
    .vgpr_spill_count: 0
    .wavefront_size: 64
  - .args:
      - .offset:         0
        .size:           48
        .value_kind:     by_value
    .group_segment_fixed_size: 0
    .kernarg_segment_align: 8
    .kernarg_segment_size: 48
    .language:       OpenCL C
    .language_version:
      - 2
      - 0
    .max_flat_workgroup_size: 256
    .name:           _ZN7rocprim17ROCPRIM_400000_NS6detail17trampoline_kernelINS0_13kernel_configILj256ELj4ELj4294967295EEENS1_37radix_sort_block_sort_config_selectorIhlEEZNS1_21radix_sort_block_sortIS4_Lb0EPhS8_N6thrust23THRUST_200600_302600_NS10device_ptrIlEESC_NS0_19identity_decomposerEEE10hipError_tT1_T2_T3_T4_jRjT5_jjP12ihipStream_tbEUlT_E_NS1_11comp_targetILNS1_3genE10ELNS1_11target_archE1200ELNS1_3gpuE4ELNS1_3repE0EEENS1_44radix_sort_block_sort_config_static_selectorELNS0_4arch9wavefront6targetE1EEEvSF_
    .private_segment_fixed_size: 0
    .sgpr_count:     4
    .sgpr_spill_count: 0
    .symbol:         _ZN7rocprim17ROCPRIM_400000_NS6detail17trampoline_kernelINS0_13kernel_configILj256ELj4ELj4294967295EEENS1_37radix_sort_block_sort_config_selectorIhlEEZNS1_21radix_sort_block_sortIS4_Lb0EPhS8_N6thrust23THRUST_200600_302600_NS10device_ptrIlEESC_NS0_19identity_decomposerEEE10hipError_tT1_T2_T3_T4_jRjT5_jjP12ihipStream_tbEUlT_E_NS1_11comp_targetILNS1_3genE10ELNS1_11target_archE1200ELNS1_3gpuE4ELNS1_3repE0EEENS1_44radix_sort_block_sort_config_static_selectorELNS0_4arch9wavefront6targetE1EEEvSF_.kd
    .uniform_work_group_size: 1
    .uses_dynamic_stack: false
    .vgpr_count:     0
    .vgpr_spill_count: 0
    .wavefront_size: 64
  - .args:
      - .offset:         0
        .size:           48
        .value_kind:     by_value
    .group_segment_fixed_size: 0
    .kernarg_segment_align: 8
    .kernarg_segment_size: 48
    .language:       OpenCL C
    .language_version:
      - 2
      - 0
    .max_flat_workgroup_size: 256
    .name:           _ZN7rocprim17ROCPRIM_400000_NS6detail17trampoline_kernelINS0_13kernel_configILj256ELj4ELj4294967295EEENS1_37radix_sort_block_sort_config_selectorIhlEEZNS1_21radix_sort_block_sortIS4_Lb0EPhS8_N6thrust23THRUST_200600_302600_NS10device_ptrIlEESC_NS0_19identity_decomposerEEE10hipError_tT1_T2_T3_T4_jRjT5_jjP12ihipStream_tbEUlT_E_NS1_11comp_targetILNS1_3genE9ELNS1_11target_archE1100ELNS1_3gpuE3ELNS1_3repE0EEENS1_44radix_sort_block_sort_config_static_selectorELNS0_4arch9wavefront6targetE1EEEvSF_
    .private_segment_fixed_size: 0
    .sgpr_count:     4
    .sgpr_spill_count: 0
    .symbol:         _ZN7rocprim17ROCPRIM_400000_NS6detail17trampoline_kernelINS0_13kernel_configILj256ELj4ELj4294967295EEENS1_37radix_sort_block_sort_config_selectorIhlEEZNS1_21radix_sort_block_sortIS4_Lb0EPhS8_N6thrust23THRUST_200600_302600_NS10device_ptrIlEESC_NS0_19identity_decomposerEEE10hipError_tT1_T2_T3_T4_jRjT5_jjP12ihipStream_tbEUlT_E_NS1_11comp_targetILNS1_3genE9ELNS1_11target_archE1100ELNS1_3gpuE3ELNS1_3repE0EEENS1_44radix_sort_block_sort_config_static_selectorELNS0_4arch9wavefront6targetE1EEEvSF_.kd
    .uniform_work_group_size: 1
    .uses_dynamic_stack: false
    .vgpr_count:     0
    .vgpr_spill_count: 0
    .wavefront_size: 64
  - .args:
      - .offset:         0
        .size:           48
        .value_kind:     by_value
    .group_segment_fixed_size: 0
    .kernarg_segment_align: 8
    .kernarg_segment_size: 48
    .language:       OpenCL C
    .language_version:
      - 2
      - 0
    .max_flat_workgroup_size: 256
    .name:           _ZN7rocprim17ROCPRIM_400000_NS6detail17trampoline_kernelINS0_13kernel_configILj256ELj4ELj4294967295EEENS1_37radix_sort_block_sort_config_selectorIhlEEZNS1_21radix_sort_block_sortIS4_Lb0EPhS8_N6thrust23THRUST_200600_302600_NS10device_ptrIlEESC_NS0_19identity_decomposerEEE10hipError_tT1_T2_T3_T4_jRjT5_jjP12ihipStream_tbEUlT_E_NS1_11comp_targetILNS1_3genE8ELNS1_11target_archE1030ELNS1_3gpuE2ELNS1_3repE0EEENS1_44radix_sort_block_sort_config_static_selectorELNS0_4arch9wavefront6targetE1EEEvSF_
    .private_segment_fixed_size: 0
    .sgpr_count:     4
    .sgpr_spill_count: 0
    .symbol:         _ZN7rocprim17ROCPRIM_400000_NS6detail17trampoline_kernelINS0_13kernel_configILj256ELj4ELj4294967295EEENS1_37radix_sort_block_sort_config_selectorIhlEEZNS1_21radix_sort_block_sortIS4_Lb0EPhS8_N6thrust23THRUST_200600_302600_NS10device_ptrIlEESC_NS0_19identity_decomposerEEE10hipError_tT1_T2_T3_T4_jRjT5_jjP12ihipStream_tbEUlT_E_NS1_11comp_targetILNS1_3genE8ELNS1_11target_archE1030ELNS1_3gpuE2ELNS1_3repE0EEENS1_44radix_sort_block_sort_config_static_selectorELNS0_4arch9wavefront6targetE1EEEvSF_.kd
    .uniform_work_group_size: 1
    .uses_dynamic_stack: false
    .vgpr_count:     0
    .vgpr_spill_count: 0
    .wavefront_size: 64
  - .args:           []
    .group_segment_fixed_size: 0
    .kernarg_segment_align: 4
    .kernarg_segment_size: 0
    .language:       OpenCL C
    .language_version:
      - 2
      - 0
    .max_flat_workgroup_size: 1024
    .name:           _ZN7rocprim17ROCPRIM_400000_NS6detail44device_merge_sort_compile_time_verifier_archINS1_11comp_targetILNS1_3genE0ELNS1_11target_archE4294967295ELNS1_3gpuE0ELNS1_3repE0EEES8_NS1_28merge_sort_block_sort_configILj256ELj4ELNS0_20block_sort_algorithmE0EEENS0_14default_configENS1_37merge_sort_block_sort_config_selectorIhlEENS1_38merge_sort_block_merge_config_selectorIhlEEEEvv
    .private_segment_fixed_size: 0
    .sgpr_count:     4
    .sgpr_spill_count: 0
    .symbol:         _ZN7rocprim17ROCPRIM_400000_NS6detail44device_merge_sort_compile_time_verifier_archINS1_11comp_targetILNS1_3genE0ELNS1_11target_archE4294967295ELNS1_3gpuE0ELNS1_3repE0EEES8_NS1_28merge_sort_block_sort_configILj256ELj4ELNS0_20block_sort_algorithmE0EEENS0_14default_configENS1_37merge_sort_block_sort_config_selectorIhlEENS1_38merge_sort_block_merge_config_selectorIhlEEEEvv.kd
    .uniform_work_group_size: 1
    .uses_dynamic_stack: false
    .vgpr_count:     0
    .vgpr_spill_count: 0
    .wavefront_size: 64
  - .args:           []
    .group_segment_fixed_size: 0
    .kernarg_segment_align: 4
    .kernarg_segment_size: 0
    .language:       OpenCL C
    .language_version:
      - 2
      - 0
    .max_flat_workgroup_size: 1024
    .name:           _ZN7rocprim17ROCPRIM_400000_NS6detail44device_merge_sort_compile_time_verifier_archINS1_11comp_targetILNS1_3genE5ELNS1_11target_archE942ELNS1_3gpuE9ELNS1_3repE0EEES8_NS1_28merge_sort_block_sort_configILj256ELj4ELNS0_20block_sort_algorithmE0EEENS0_14default_configENS1_37merge_sort_block_sort_config_selectorIhlEENS1_38merge_sort_block_merge_config_selectorIhlEEEEvv
    .private_segment_fixed_size: 0
    .sgpr_count:     4
    .sgpr_spill_count: 0
    .symbol:         _ZN7rocprim17ROCPRIM_400000_NS6detail44device_merge_sort_compile_time_verifier_archINS1_11comp_targetILNS1_3genE5ELNS1_11target_archE942ELNS1_3gpuE9ELNS1_3repE0EEES8_NS1_28merge_sort_block_sort_configILj256ELj4ELNS0_20block_sort_algorithmE0EEENS0_14default_configENS1_37merge_sort_block_sort_config_selectorIhlEENS1_38merge_sort_block_merge_config_selectorIhlEEEEvv.kd
    .uniform_work_group_size: 1
    .uses_dynamic_stack: false
    .vgpr_count:     0
    .vgpr_spill_count: 0
    .wavefront_size: 64
  - .args:           []
    .group_segment_fixed_size: 0
    .kernarg_segment_align: 4
    .kernarg_segment_size: 0
    .language:       OpenCL C
    .language_version:
      - 2
      - 0
    .max_flat_workgroup_size: 1024
    .name:           _ZN7rocprim17ROCPRIM_400000_NS6detail44device_merge_sort_compile_time_verifier_archINS1_11comp_targetILNS1_3genE4ELNS1_11target_archE910ELNS1_3gpuE8ELNS1_3repE0EEES8_NS1_28merge_sort_block_sort_configILj256ELj4ELNS0_20block_sort_algorithmE0EEENS0_14default_configENS1_37merge_sort_block_sort_config_selectorIhlEENS1_38merge_sort_block_merge_config_selectorIhlEEEEvv
    .private_segment_fixed_size: 0
    .sgpr_count:     4
    .sgpr_spill_count: 0
    .symbol:         _ZN7rocprim17ROCPRIM_400000_NS6detail44device_merge_sort_compile_time_verifier_archINS1_11comp_targetILNS1_3genE4ELNS1_11target_archE910ELNS1_3gpuE8ELNS1_3repE0EEES8_NS1_28merge_sort_block_sort_configILj256ELj4ELNS0_20block_sort_algorithmE0EEENS0_14default_configENS1_37merge_sort_block_sort_config_selectorIhlEENS1_38merge_sort_block_merge_config_selectorIhlEEEEvv.kd
    .uniform_work_group_size: 1
    .uses_dynamic_stack: false
    .vgpr_count:     0
    .vgpr_spill_count: 0
    .wavefront_size: 64
  - .args:           []
    .group_segment_fixed_size: 0
    .kernarg_segment_align: 4
    .kernarg_segment_size: 0
    .language:       OpenCL C
    .language_version:
      - 2
      - 0
    .max_flat_workgroup_size: 1024
    .name:           _ZN7rocprim17ROCPRIM_400000_NS6detail44device_merge_sort_compile_time_verifier_archINS1_11comp_targetILNS1_3genE3ELNS1_11target_archE908ELNS1_3gpuE7ELNS1_3repE0EEES8_NS1_28merge_sort_block_sort_configILj256ELj4ELNS0_20block_sort_algorithmE0EEENS0_14default_configENS1_37merge_sort_block_sort_config_selectorIhlEENS1_38merge_sort_block_merge_config_selectorIhlEEEEvv
    .private_segment_fixed_size: 0
    .sgpr_count:     4
    .sgpr_spill_count: 0
    .symbol:         _ZN7rocprim17ROCPRIM_400000_NS6detail44device_merge_sort_compile_time_verifier_archINS1_11comp_targetILNS1_3genE3ELNS1_11target_archE908ELNS1_3gpuE7ELNS1_3repE0EEES8_NS1_28merge_sort_block_sort_configILj256ELj4ELNS0_20block_sort_algorithmE0EEENS0_14default_configENS1_37merge_sort_block_sort_config_selectorIhlEENS1_38merge_sort_block_merge_config_selectorIhlEEEEvv.kd
    .uniform_work_group_size: 1
    .uses_dynamic_stack: false
    .vgpr_count:     0
    .vgpr_spill_count: 0
    .wavefront_size: 64
  - .args:           []
    .group_segment_fixed_size: 0
    .kernarg_segment_align: 4
    .kernarg_segment_size: 0
    .language:       OpenCL C
    .language_version:
      - 2
      - 0
    .max_flat_workgroup_size: 1024
    .name:           _ZN7rocprim17ROCPRIM_400000_NS6detail44device_merge_sort_compile_time_verifier_archINS1_11comp_targetILNS1_3genE2ELNS1_11target_archE906ELNS1_3gpuE6ELNS1_3repE0EEES8_NS1_28merge_sort_block_sort_configILj256ELj4ELNS0_20block_sort_algorithmE0EEENS0_14default_configENS1_37merge_sort_block_sort_config_selectorIhlEENS1_38merge_sort_block_merge_config_selectorIhlEEEEvv
    .private_segment_fixed_size: 0
    .sgpr_count:     4
    .sgpr_spill_count: 0
    .symbol:         _ZN7rocprim17ROCPRIM_400000_NS6detail44device_merge_sort_compile_time_verifier_archINS1_11comp_targetILNS1_3genE2ELNS1_11target_archE906ELNS1_3gpuE6ELNS1_3repE0EEES8_NS1_28merge_sort_block_sort_configILj256ELj4ELNS0_20block_sort_algorithmE0EEENS0_14default_configENS1_37merge_sort_block_sort_config_selectorIhlEENS1_38merge_sort_block_merge_config_selectorIhlEEEEvv.kd
    .uniform_work_group_size: 1
    .uses_dynamic_stack: false
    .vgpr_count:     0
    .vgpr_spill_count: 0
    .wavefront_size: 64
  - .args:           []
    .group_segment_fixed_size: 0
    .kernarg_segment_align: 4
    .kernarg_segment_size: 0
    .language:       OpenCL C
    .language_version:
      - 2
      - 0
    .max_flat_workgroup_size: 1024
    .name:           _ZN7rocprim17ROCPRIM_400000_NS6detail44device_merge_sort_compile_time_verifier_archINS1_11comp_targetILNS1_3genE10ELNS1_11target_archE1201ELNS1_3gpuE5ELNS1_3repE0EEES8_NS1_28merge_sort_block_sort_configILj256ELj4ELNS0_20block_sort_algorithmE0EEENS0_14default_configENS1_37merge_sort_block_sort_config_selectorIhlEENS1_38merge_sort_block_merge_config_selectorIhlEEEEvv
    .private_segment_fixed_size: 0
    .sgpr_count:     4
    .sgpr_spill_count: 0
    .symbol:         _ZN7rocprim17ROCPRIM_400000_NS6detail44device_merge_sort_compile_time_verifier_archINS1_11comp_targetILNS1_3genE10ELNS1_11target_archE1201ELNS1_3gpuE5ELNS1_3repE0EEES8_NS1_28merge_sort_block_sort_configILj256ELj4ELNS0_20block_sort_algorithmE0EEENS0_14default_configENS1_37merge_sort_block_sort_config_selectorIhlEENS1_38merge_sort_block_merge_config_selectorIhlEEEEvv.kd
    .uniform_work_group_size: 1
    .uses_dynamic_stack: false
    .vgpr_count:     0
    .vgpr_spill_count: 0
    .wavefront_size: 64
  - .args:           []
    .group_segment_fixed_size: 0
    .kernarg_segment_align: 4
    .kernarg_segment_size: 0
    .language:       OpenCL C
    .language_version:
      - 2
      - 0
    .max_flat_workgroup_size: 1024
    .name:           _ZN7rocprim17ROCPRIM_400000_NS6detail44device_merge_sort_compile_time_verifier_archINS1_11comp_targetILNS1_3genE10ELNS1_11target_archE1200ELNS1_3gpuE4ELNS1_3repE0EEENS3_ILS4_10ELS5_1201ELS6_5ELS7_0EEENS1_28merge_sort_block_sort_configILj256ELj4ELNS0_20block_sort_algorithmE0EEENS0_14default_configENS1_37merge_sort_block_sort_config_selectorIhlEENS1_38merge_sort_block_merge_config_selectorIhlEEEEvv
    .private_segment_fixed_size: 0
    .sgpr_count:     4
    .sgpr_spill_count: 0
    .symbol:         _ZN7rocprim17ROCPRIM_400000_NS6detail44device_merge_sort_compile_time_verifier_archINS1_11comp_targetILNS1_3genE10ELNS1_11target_archE1200ELNS1_3gpuE4ELNS1_3repE0EEENS3_ILS4_10ELS5_1201ELS6_5ELS7_0EEENS1_28merge_sort_block_sort_configILj256ELj4ELNS0_20block_sort_algorithmE0EEENS0_14default_configENS1_37merge_sort_block_sort_config_selectorIhlEENS1_38merge_sort_block_merge_config_selectorIhlEEEEvv.kd
    .uniform_work_group_size: 1
    .uses_dynamic_stack: false
    .vgpr_count:     0
    .vgpr_spill_count: 0
    .wavefront_size: 64
  - .args:           []
    .group_segment_fixed_size: 0
    .kernarg_segment_align: 4
    .kernarg_segment_size: 0
    .language:       OpenCL C
    .language_version:
      - 2
      - 0
    .max_flat_workgroup_size: 1024
    .name:           _ZN7rocprim17ROCPRIM_400000_NS6detail44device_merge_sort_compile_time_verifier_archINS1_11comp_targetILNS1_3genE9ELNS1_11target_archE1100ELNS1_3gpuE3ELNS1_3repE0EEES8_NS1_28merge_sort_block_sort_configILj256ELj4ELNS0_20block_sort_algorithmE0EEENS0_14default_configENS1_37merge_sort_block_sort_config_selectorIhlEENS1_38merge_sort_block_merge_config_selectorIhlEEEEvv
    .private_segment_fixed_size: 0
    .sgpr_count:     4
    .sgpr_spill_count: 0
    .symbol:         _ZN7rocprim17ROCPRIM_400000_NS6detail44device_merge_sort_compile_time_verifier_archINS1_11comp_targetILNS1_3genE9ELNS1_11target_archE1100ELNS1_3gpuE3ELNS1_3repE0EEES8_NS1_28merge_sort_block_sort_configILj256ELj4ELNS0_20block_sort_algorithmE0EEENS0_14default_configENS1_37merge_sort_block_sort_config_selectorIhlEENS1_38merge_sort_block_merge_config_selectorIhlEEEEvv.kd
    .uniform_work_group_size: 1
    .uses_dynamic_stack: false
    .vgpr_count:     0
    .vgpr_spill_count: 0
    .wavefront_size: 64
  - .args:           []
    .group_segment_fixed_size: 0
    .kernarg_segment_align: 4
    .kernarg_segment_size: 0
    .language:       OpenCL C
    .language_version:
      - 2
      - 0
    .max_flat_workgroup_size: 1024
    .name:           _ZN7rocprim17ROCPRIM_400000_NS6detail44device_merge_sort_compile_time_verifier_archINS1_11comp_targetILNS1_3genE8ELNS1_11target_archE1030ELNS1_3gpuE2ELNS1_3repE0EEES8_NS1_28merge_sort_block_sort_configILj256ELj4ELNS0_20block_sort_algorithmE0EEENS0_14default_configENS1_37merge_sort_block_sort_config_selectorIhlEENS1_38merge_sort_block_merge_config_selectorIhlEEEEvv
    .private_segment_fixed_size: 0
    .sgpr_count:     4
    .sgpr_spill_count: 0
    .symbol:         _ZN7rocprim17ROCPRIM_400000_NS6detail44device_merge_sort_compile_time_verifier_archINS1_11comp_targetILNS1_3genE8ELNS1_11target_archE1030ELNS1_3gpuE2ELNS1_3repE0EEES8_NS1_28merge_sort_block_sort_configILj256ELj4ELNS0_20block_sort_algorithmE0EEENS0_14default_configENS1_37merge_sort_block_sort_config_selectorIhlEENS1_38merge_sort_block_merge_config_selectorIhlEEEEvv.kd
    .uniform_work_group_size: 1
    .uses_dynamic_stack: false
    .vgpr_count:     0
    .vgpr_spill_count: 0
    .wavefront_size: 64
  - .args:
      - .offset:         0
        .size:           40
        .value_kind:     by_value
    .group_segment_fixed_size: 0
    .kernarg_segment_align: 8
    .kernarg_segment_size: 40
    .language:       OpenCL C
    .language_version:
      - 2
      - 0
    .max_flat_workgroup_size: 128
    .name:           _ZN7rocprim17ROCPRIM_400000_NS6detail17trampoline_kernelINS0_14default_configENS1_38merge_sort_block_merge_config_selectorIhlEEZZNS1_27merge_sort_block_merge_implIS3_PhN6thrust23THRUST_200600_302600_NS10device_ptrIlEEjNS1_19radix_merge_compareILb0ELb0EhNS0_19identity_decomposerEEEEE10hipError_tT0_T1_T2_jT3_P12ihipStream_tbPNSt15iterator_traitsISG_E10value_typeEPNSM_ISH_E10value_typeEPSI_NS1_7vsmem_tEENKUlT_SG_SH_SI_E_clIS7_S7_PlSB_EESF_SV_SG_SH_SI_EUlSV_E_NS1_11comp_targetILNS1_3genE0ELNS1_11target_archE4294967295ELNS1_3gpuE0ELNS1_3repE0EEENS1_48merge_mergepath_partition_config_static_selectorELNS0_4arch9wavefront6targetE1EEEvSH_
    .private_segment_fixed_size: 0
    .sgpr_count:     4
    .sgpr_spill_count: 0
    .symbol:         _ZN7rocprim17ROCPRIM_400000_NS6detail17trampoline_kernelINS0_14default_configENS1_38merge_sort_block_merge_config_selectorIhlEEZZNS1_27merge_sort_block_merge_implIS3_PhN6thrust23THRUST_200600_302600_NS10device_ptrIlEEjNS1_19radix_merge_compareILb0ELb0EhNS0_19identity_decomposerEEEEE10hipError_tT0_T1_T2_jT3_P12ihipStream_tbPNSt15iterator_traitsISG_E10value_typeEPNSM_ISH_E10value_typeEPSI_NS1_7vsmem_tEENKUlT_SG_SH_SI_E_clIS7_S7_PlSB_EESF_SV_SG_SH_SI_EUlSV_E_NS1_11comp_targetILNS1_3genE0ELNS1_11target_archE4294967295ELNS1_3gpuE0ELNS1_3repE0EEENS1_48merge_mergepath_partition_config_static_selectorELNS0_4arch9wavefront6targetE1EEEvSH_.kd
    .uniform_work_group_size: 1
    .uses_dynamic_stack: false
    .vgpr_count:     0
    .vgpr_spill_count: 0
    .wavefront_size: 64
  - .args:
      - .offset:         0
        .size:           40
        .value_kind:     by_value
    .group_segment_fixed_size: 0
    .kernarg_segment_align: 8
    .kernarg_segment_size: 40
    .language:       OpenCL C
    .language_version:
      - 2
      - 0
    .max_flat_workgroup_size: 128
    .name:           _ZN7rocprim17ROCPRIM_400000_NS6detail17trampoline_kernelINS0_14default_configENS1_38merge_sort_block_merge_config_selectorIhlEEZZNS1_27merge_sort_block_merge_implIS3_PhN6thrust23THRUST_200600_302600_NS10device_ptrIlEEjNS1_19radix_merge_compareILb0ELb0EhNS0_19identity_decomposerEEEEE10hipError_tT0_T1_T2_jT3_P12ihipStream_tbPNSt15iterator_traitsISG_E10value_typeEPNSM_ISH_E10value_typeEPSI_NS1_7vsmem_tEENKUlT_SG_SH_SI_E_clIS7_S7_PlSB_EESF_SV_SG_SH_SI_EUlSV_E_NS1_11comp_targetILNS1_3genE10ELNS1_11target_archE1201ELNS1_3gpuE5ELNS1_3repE0EEENS1_48merge_mergepath_partition_config_static_selectorELNS0_4arch9wavefront6targetE1EEEvSH_
    .private_segment_fixed_size: 0
    .sgpr_count:     4
    .sgpr_spill_count: 0
    .symbol:         _ZN7rocprim17ROCPRIM_400000_NS6detail17trampoline_kernelINS0_14default_configENS1_38merge_sort_block_merge_config_selectorIhlEEZZNS1_27merge_sort_block_merge_implIS3_PhN6thrust23THRUST_200600_302600_NS10device_ptrIlEEjNS1_19radix_merge_compareILb0ELb0EhNS0_19identity_decomposerEEEEE10hipError_tT0_T1_T2_jT3_P12ihipStream_tbPNSt15iterator_traitsISG_E10value_typeEPNSM_ISH_E10value_typeEPSI_NS1_7vsmem_tEENKUlT_SG_SH_SI_E_clIS7_S7_PlSB_EESF_SV_SG_SH_SI_EUlSV_E_NS1_11comp_targetILNS1_3genE10ELNS1_11target_archE1201ELNS1_3gpuE5ELNS1_3repE0EEENS1_48merge_mergepath_partition_config_static_selectorELNS0_4arch9wavefront6targetE1EEEvSH_.kd
    .uniform_work_group_size: 1
    .uses_dynamic_stack: false
    .vgpr_count:     0
    .vgpr_spill_count: 0
    .wavefront_size: 64
  - .args:
      - .offset:         0
        .size:           40
        .value_kind:     by_value
    .group_segment_fixed_size: 0
    .kernarg_segment_align: 8
    .kernarg_segment_size: 40
    .language:       OpenCL C
    .language_version:
      - 2
      - 0
    .max_flat_workgroup_size: 128
    .name:           _ZN7rocprim17ROCPRIM_400000_NS6detail17trampoline_kernelINS0_14default_configENS1_38merge_sort_block_merge_config_selectorIhlEEZZNS1_27merge_sort_block_merge_implIS3_PhN6thrust23THRUST_200600_302600_NS10device_ptrIlEEjNS1_19radix_merge_compareILb0ELb0EhNS0_19identity_decomposerEEEEE10hipError_tT0_T1_T2_jT3_P12ihipStream_tbPNSt15iterator_traitsISG_E10value_typeEPNSM_ISH_E10value_typeEPSI_NS1_7vsmem_tEENKUlT_SG_SH_SI_E_clIS7_S7_PlSB_EESF_SV_SG_SH_SI_EUlSV_E_NS1_11comp_targetILNS1_3genE5ELNS1_11target_archE942ELNS1_3gpuE9ELNS1_3repE0EEENS1_48merge_mergepath_partition_config_static_selectorELNS0_4arch9wavefront6targetE1EEEvSH_
    .private_segment_fixed_size: 0
    .sgpr_count:     4
    .sgpr_spill_count: 0
    .symbol:         _ZN7rocprim17ROCPRIM_400000_NS6detail17trampoline_kernelINS0_14default_configENS1_38merge_sort_block_merge_config_selectorIhlEEZZNS1_27merge_sort_block_merge_implIS3_PhN6thrust23THRUST_200600_302600_NS10device_ptrIlEEjNS1_19radix_merge_compareILb0ELb0EhNS0_19identity_decomposerEEEEE10hipError_tT0_T1_T2_jT3_P12ihipStream_tbPNSt15iterator_traitsISG_E10value_typeEPNSM_ISH_E10value_typeEPSI_NS1_7vsmem_tEENKUlT_SG_SH_SI_E_clIS7_S7_PlSB_EESF_SV_SG_SH_SI_EUlSV_E_NS1_11comp_targetILNS1_3genE5ELNS1_11target_archE942ELNS1_3gpuE9ELNS1_3repE0EEENS1_48merge_mergepath_partition_config_static_selectorELNS0_4arch9wavefront6targetE1EEEvSH_.kd
    .uniform_work_group_size: 1
    .uses_dynamic_stack: false
    .vgpr_count:     0
    .vgpr_spill_count: 0
    .wavefront_size: 64
  - .args:
      - .offset:         0
        .size:           40
        .value_kind:     by_value
    .group_segment_fixed_size: 0
    .kernarg_segment_align: 8
    .kernarg_segment_size: 40
    .language:       OpenCL C
    .language_version:
      - 2
      - 0
    .max_flat_workgroup_size: 128
    .name:           _ZN7rocprim17ROCPRIM_400000_NS6detail17trampoline_kernelINS0_14default_configENS1_38merge_sort_block_merge_config_selectorIhlEEZZNS1_27merge_sort_block_merge_implIS3_PhN6thrust23THRUST_200600_302600_NS10device_ptrIlEEjNS1_19radix_merge_compareILb0ELb0EhNS0_19identity_decomposerEEEEE10hipError_tT0_T1_T2_jT3_P12ihipStream_tbPNSt15iterator_traitsISG_E10value_typeEPNSM_ISH_E10value_typeEPSI_NS1_7vsmem_tEENKUlT_SG_SH_SI_E_clIS7_S7_PlSB_EESF_SV_SG_SH_SI_EUlSV_E_NS1_11comp_targetILNS1_3genE4ELNS1_11target_archE910ELNS1_3gpuE8ELNS1_3repE0EEENS1_48merge_mergepath_partition_config_static_selectorELNS0_4arch9wavefront6targetE1EEEvSH_
    .private_segment_fixed_size: 0
    .sgpr_count:     4
    .sgpr_spill_count: 0
    .symbol:         _ZN7rocprim17ROCPRIM_400000_NS6detail17trampoline_kernelINS0_14default_configENS1_38merge_sort_block_merge_config_selectorIhlEEZZNS1_27merge_sort_block_merge_implIS3_PhN6thrust23THRUST_200600_302600_NS10device_ptrIlEEjNS1_19radix_merge_compareILb0ELb0EhNS0_19identity_decomposerEEEEE10hipError_tT0_T1_T2_jT3_P12ihipStream_tbPNSt15iterator_traitsISG_E10value_typeEPNSM_ISH_E10value_typeEPSI_NS1_7vsmem_tEENKUlT_SG_SH_SI_E_clIS7_S7_PlSB_EESF_SV_SG_SH_SI_EUlSV_E_NS1_11comp_targetILNS1_3genE4ELNS1_11target_archE910ELNS1_3gpuE8ELNS1_3repE0EEENS1_48merge_mergepath_partition_config_static_selectorELNS0_4arch9wavefront6targetE1EEEvSH_.kd
    .uniform_work_group_size: 1
    .uses_dynamic_stack: false
    .vgpr_count:     0
    .vgpr_spill_count: 0
    .wavefront_size: 64
  - .args:
      - .offset:         0
        .size:           40
        .value_kind:     by_value
    .group_segment_fixed_size: 0
    .kernarg_segment_align: 8
    .kernarg_segment_size: 40
    .language:       OpenCL C
    .language_version:
      - 2
      - 0
    .max_flat_workgroup_size: 128
    .name:           _ZN7rocprim17ROCPRIM_400000_NS6detail17trampoline_kernelINS0_14default_configENS1_38merge_sort_block_merge_config_selectorIhlEEZZNS1_27merge_sort_block_merge_implIS3_PhN6thrust23THRUST_200600_302600_NS10device_ptrIlEEjNS1_19radix_merge_compareILb0ELb0EhNS0_19identity_decomposerEEEEE10hipError_tT0_T1_T2_jT3_P12ihipStream_tbPNSt15iterator_traitsISG_E10value_typeEPNSM_ISH_E10value_typeEPSI_NS1_7vsmem_tEENKUlT_SG_SH_SI_E_clIS7_S7_PlSB_EESF_SV_SG_SH_SI_EUlSV_E_NS1_11comp_targetILNS1_3genE3ELNS1_11target_archE908ELNS1_3gpuE7ELNS1_3repE0EEENS1_48merge_mergepath_partition_config_static_selectorELNS0_4arch9wavefront6targetE1EEEvSH_
    .private_segment_fixed_size: 0
    .sgpr_count:     4
    .sgpr_spill_count: 0
    .symbol:         _ZN7rocprim17ROCPRIM_400000_NS6detail17trampoline_kernelINS0_14default_configENS1_38merge_sort_block_merge_config_selectorIhlEEZZNS1_27merge_sort_block_merge_implIS3_PhN6thrust23THRUST_200600_302600_NS10device_ptrIlEEjNS1_19radix_merge_compareILb0ELb0EhNS0_19identity_decomposerEEEEE10hipError_tT0_T1_T2_jT3_P12ihipStream_tbPNSt15iterator_traitsISG_E10value_typeEPNSM_ISH_E10value_typeEPSI_NS1_7vsmem_tEENKUlT_SG_SH_SI_E_clIS7_S7_PlSB_EESF_SV_SG_SH_SI_EUlSV_E_NS1_11comp_targetILNS1_3genE3ELNS1_11target_archE908ELNS1_3gpuE7ELNS1_3repE0EEENS1_48merge_mergepath_partition_config_static_selectorELNS0_4arch9wavefront6targetE1EEEvSH_.kd
    .uniform_work_group_size: 1
    .uses_dynamic_stack: false
    .vgpr_count:     0
    .vgpr_spill_count: 0
    .wavefront_size: 64
  - .args:
      - .offset:         0
        .size:           40
        .value_kind:     by_value
    .group_segment_fixed_size: 0
    .kernarg_segment_align: 8
    .kernarg_segment_size: 40
    .language:       OpenCL C
    .language_version:
      - 2
      - 0
    .max_flat_workgroup_size: 128
    .name:           _ZN7rocprim17ROCPRIM_400000_NS6detail17trampoline_kernelINS0_14default_configENS1_38merge_sort_block_merge_config_selectorIhlEEZZNS1_27merge_sort_block_merge_implIS3_PhN6thrust23THRUST_200600_302600_NS10device_ptrIlEEjNS1_19radix_merge_compareILb0ELb0EhNS0_19identity_decomposerEEEEE10hipError_tT0_T1_T2_jT3_P12ihipStream_tbPNSt15iterator_traitsISG_E10value_typeEPNSM_ISH_E10value_typeEPSI_NS1_7vsmem_tEENKUlT_SG_SH_SI_E_clIS7_S7_PlSB_EESF_SV_SG_SH_SI_EUlSV_E_NS1_11comp_targetILNS1_3genE2ELNS1_11target_archE906ELNS1_3gpuE6ELNS1_3repE0EEENS1_48merge_mergepath_partition_config_static_selectorELNS0_4arch9wavefront6targetE1EEEvSH_
    .private_segment_fixed_size: 0
    .sgpr_count:     12
    .sgpr_spill_count: 0
    .symbol:         _ZN7rocprim17ROCPRIM_400000_NS6detail17trampoline_kernelINS0_14default_configENS1_38merge_sort_block_merge_config_selectorIhlEEZZNS1_27merge_sort_block_merge_implIS3_PhN6thrust23THRUST_200600_302600_NS10device_ptrIlEEjNS1_19radix_merge_compareILb0ELb0EhNS0_19identity_decomposerEEEEE10hipError_tT0_T1_T2_jT3_P12ihipStream_tbPNSt15iterator_traitsISG_E10value_typeEPNSM_ISH_E10value_typeEPSI_NS1_7vsmem_tEENKUlT_SG_SH_SI_E_clIS7_S7_PlSB_EESF_SV_SG_SH_SI_EUlSV_E_NS1_11comp_targetILNS1_3genE2ELNS1_11target_archE906ELNS1_3gpuE6ELNS1_3repE0EEENS1_48merge_mergepath_partition_config_static_selectorELNS0_4arch9wavefront6targetE1EEEvSH_.kd
    .uniform_work_group_size: 1
    .uses_dynamic_stack: false
    .vgpr_count:     16
    .vgpr_spill_count: 0
    .wavefront_size: 64
  - .args:
      - .offset:         0
        .size:           40
        .value_kind:     by_value
    .group_segment_fixed_size: 0
    .kernarg_segment_align: 8
    .kernarg_segment_size: 40
    .language:       OpenCL C
    .language_version:
      - 2
      - 0
    .max_flat_workgroup_size: 128
    .name:           _ZN7rocprim17ROCPRIM_400000_NS6detail17trampoline_kernelINS0_14default_configENS1_38merge_sort_block_merge_config_selectorIhlEEZZNS1_27merge_sort_block_merge_implIS3_PhN6thrust23THRUST_200600_302600_NS10device_ptrIlEEjNS1_19radix_merge_compareILb0ELb0EhNS0_19identity_decomposerEEEEE10hipError_tT0_T1_T2_jT3_P12ihipStream_tbPNSt15iterator_traitsISG_E10value_typeEPNSM_ISH_E10value_typeEPSI_NS1_7vsmem_tEENKUlT_SG_SH_SI_E_clIS7_S7_PlSB_EESF_SV_SG_SH_SI_EUlSV_E_NS1_11comp_targetILNS1_3genE9ELNS1_11target_archE1100ELNS1_3gpuE3ELNS1_3repE0EEENS1_48merge_mergepath_partition_config_static_selectorELNS0_4arch9wavefront6targetE1EEEvSH_
    .private_segment_fixed_size: 0
    .sgpr_count:     4
    .sgpr_spill_count: 0
    .symbol:         _ZN7rocprim17ROCPRIM_400000_NS6detail17trampoline_kernelINS0_14default_configENS1_38merge_sort_block_merge_config_selectorIhlEEZZNS1_27merge_sort_block_merge_implIS3_PhN6thrust23THRUST_200600_302600_NS10device_ptrIlEEjNS1_19radix_merge_compareILb0ELb0EhNS0_19identity_decomposerEEEEE10hipError_tT0_T1_T2_jT3_P12ihipStream_tbPNSt15iterator_traitsISG_E10value_typeEPNSM_ISH_E10value_typeEPSI_NS1_7vsmem_tEENKUlT_SG_SH_SI_E_clIS7_S7_PlSB_EESF_SV_SG_SH_SI_EUlSV_E_NS1_11comp_targetILNS1_3genE9ELNS1_11target_archE1100ELNS1_3gpuE3ELNS1_3repE0EEENS1_48merge_mergepath_partition_config_static_selectorELNS0_4arch9wavefront6targetE1EEEvSH_.kd
    .uniform_work_group_size: 1
    .uses_dynamic_stack: false
    .vgpr_count:     0
    .vgpr_spill_count: 0
    .wavefront_size: 64
  - .args:
      - .offset:         0
        .size:           40
        .value_kind:     by_value
    .group_segment_fixed_size: 0
    .kernarg_segment_align: 8
    .kernarg_segment_size: 40
    .language:       OpenCL C
    .language_version:
      - 2
      - 0
    .max_flat_workgroup_size: 128
    .name:           _ZN7rocprim17ROCPRIM_400000_NS6detail17trampoline_kernelINS0_14default_configENS1_38merge_sort_block_merge_config_selectorIhlEEZZNS1_27merge_sort_block_merge_implIS3_PhN6thrust23THRUST_200600_302600_NS10device_ptrIlEEjNS1_19radix_merge_compareILb0ELb0EhNS0_19identity_decomposerEEEEE10hipError_tT0_T1_T2_jT3_P12ihipStream_tbPNSt15iterator_traitsISG_E10value_typeEPNSM_ISH_E10value_typeEPSI_NS1_7vsmem_tEENKUlT_SG_SH_SI_E_clIS7_S7_PlSB_EESF_SV_SG_SH_SI_EUlSV_E_NS1_11comp_targetILNS1_3genE8ELNS1_11target_archE1030ELNS1_3gpuE2ELNS1_3repE0EEENS1_48merge_mergepath_partition_config_static_selectorELNS0_4arch9wavefront6targetE1EEEvSH_
    .private_segment_fixed_size: 0
    .sgpr_count:     4
    .sgpr_spill_count: 0
    .symbol:         _ZN7rocprim17ROCPRIM_400000_NS6detail17trampoline_kernelINS0_14default_configENS1_38merge_sort_block_merge_config_selectorIhlEEZZNS1_27merge_sort_block_merge_implIS3_PhN6thrust23THRUST_200600_302600_NS10device_ptrIlEEjNS1_19radix_merge_compareILb0ELb0EhNS0_19identity_decomposerEEEEE10hipError_tT0_T1_T2_jT3_P12ihipStream_tbPNSt15iterator_traitsISG_E10value_typeEPNSM_ISH_E10value_typeEPSI_NS1_7vsmem_tEENKUlT_SG_SH_SI_E_clIS7_S7_PlSB_EESF_SV_SG_SH_SI_EUlSV_E_NS1_11comp_targetILNS1_3genE8ELNS1_11target_archE1030ELNS1_3gpuE2ELNS1_3repE0EEENS1_48merge_mergepath_partition_config_static_selectorELNS0_4arch9wavefront6targetE1EEEvSH_.kd
    .uniform_work_group_size: 1
    .uses_dynamic_stack: false
    .vgpr_count:     0
    .vgpr_spill_count: 0
    .wavefront_size: 64
  - .args:
      - .offset:         0
        .size:           64
        .value_kind:     by_value
    .group_segment_fixed_size: 0
    .kernarg_segment_align: 8
    .kernarg_segment_size: 64
    .language:       OpenCL C
    .language_version:
      - 2
      - 0
    .max_flat_workgroup_size: 512
    .name:           _ZN7rocprim17ROCPRIM_400000_NS6detail17trampoline_kernelINS0_14default_configENS1_38merge_sort_block_merge_config_selectorIhlEEZZNS1_27merge_sort_block_merge_implIS3_PhN6thrust23THRUST_200600_302600_NS10device_ptrIlEEjNS1_19radix_merge_compareILb0ELb0EhNS0_19identity_decomposerEEEEE10hipError_tT0_T1_T2_jT3_P12ihipStream_tbPNSt15iterator_traitsISG_E10value_typeEPNSM_ISH_E10value_typeEPSI_NS1_7vsmem_tEENKUlT_SG_SH_SI_E_clIS7_S7_PlSB_EESF_SV_SG_SH_SI_EUlSV_E0_NS1_11comp_targetILNS1_3genE0ELNS1_11target_archE4294967295ELNS1_3gpuE0ELNS1_3repE0EEENS1_38merge_mergepath_config_static_selectorELNS0_4arch9wavefront6targetE1EEEvSH_
    .private_segment_fixed_size: 0
    .sgpr_count:     4
    .sgpr_spill_count: 0
    .symbol:         _ZN7rocprim17ROCPRIM_400000_NS6detail17trampoline_kernelINS0_14default_configENS1_38merge_sort_block_merge_config_selectorIhlEEZZNS1_27merge_sort_block_merge_implIS3_PhN6thrust23THRUST_200600_302600_NS10device_ptrIlEEjNS1_19radix_merge_compareILb0ELb0EhNS0_19identity_decomposerEEEEE10hipError_tT0_T1_T2_jT3_P12ihipStream_tbPNSt15iterator_traitsISG_E10value_typeEPNSM_ISH_E10value_typeEPSI_NS1_7vsmem_tEENKUlT_SG_SH_SI_E_clIS7_S7_PlSB_EESF_SV_SG_SH_SI_EUlSV_E0_NS1_11comp_targetILNS1_3genE0ELNS1_11target_archE4294967295ELNS1_3gpuE0ELNS1_3repE0EEENS1_38merge_mergepath_config_static_selectorELNS0_4arch9wavefront6targetE1EEEvSH_.kd
    .uniform_work_group_size: 1
    .uses_dynamic_stack: false
    .vgpr_count:     0
    .vgpr_spill_count: 0
    .wavefront_size: 64
  - .args:
      - .offset:         0
        .size:           64
        .value_kind:     by_value
    .group_segment_fixed_size: 0
    .kernarg_segment_align: 8
    .kernarg_segment_size: 64
    .language:       OpenCL C
    .language_version:
      - 2
      - 0
    .max_flat_workgroup_size: 128
    .name:           _ZN7rocprim17ROCPRIM_400000_NS6detail17trampoline_kernelINS0_14default_configENS1_38merge_sort_block_merge_config_selectorIhlEEZZNS1_27merge_sort_block_merge_implIS3_PhN6thrust23THRUST_200600_302600_NS10device_ptrIlEEjNS1_19radix_merge_compareILb0ELb0EhNS0_19identity_decomposerEEEEE10hipError_tT0_T1_T2_jT3_P12ihipStream_tbPNSt15iterator_traitsISG_E10value_typeEPNSM_ISH_E10value_typeEPSI_NS1_7vsmem_tEENKUlT_SG_SH_SI_E_clIS7_S7_PlSB_EESF_SV_SG_SH_SI_EUlSV_E0_NS1_11comp_targetILNS1_3genE10ELNS1_11target_archE1201ELNS1_3gpuE5ELNS1_3repE0EEENS1_38merge_mergepath_config_static_selectorELNS0_4arch9wavefront6targetE1EEEvSH_
    .private_segment_fixed_size: 0
    .sgpr_count:     4
    .sgpr_spill_count: 0
    .symbol:         _ZN7rocprim17ROCPRIM_400000_NS6detail17trampoline_kernelINS0_14default_configENS1_38merge_sort_block_merge_config_selectorIhlEEZZNS1_27merge_sort_block_merge_implIS3_PhN6thrust23THRUST_200600_302600_NS10device_ptrIlEEjNS1_19radix_merge_compareILb0ELb0EhNS0_19identity_decomposerEEEEE10hipError_tT0_T1_T2_jT3_P12ihipStream_tbPNSt15iterator_traitsISG_E10value_typeEPNSM_ISH_E10value_typeEPSI_NS1_7vsmem_tEENKUlT_SG_SH_SI_E_clIS7_S7_PlSB_EESF_SV_SG_SH_SI_EUlSV_E0_NS1_11comp_targetILNS1_3genE10ELNS1_11target_archE1201ELNS1_3gpuE5ELNS1_3repE0EEENS1_38merge_mergepath_config_static_selectorELNS0_4arch9wavefront6targetE1EEEvSH_.kd
    .uniform_work_group_size: 1
    .uses_dynamic_stack: false
    .vgpr_count:     0
    .vgpr_spill_count: 0
    .wavefront_size: 64
  - .args:
      - .offset:         0
        .size:           64
        .value_kind:     by_value
    .group_segment_fixed_size: 0
    .kernarg_segment_align: 8
    .kernarg_segment_size: 64
    .language:       OpenCL C
    .language_version:
      - 2
      - 0
    .max_flat_workgroup_size: 128
    .name:           _ZN7rocprim17ROCPRIM_400000_NS6detail17trampoline_kernelINS0_14default_configENS1_38merge_sort_block_merge_config_selectorIhlEEZZNS1_27merge_sort_block_merge_implIS3_PhN6thrust23THRUST_200600_302600_NS10device_ptrIlEEjNS1_19radix_merge_compareILb0ELb0EhNS0_19identity_decomposerEEEEE10hipError_tT0_T1_T2_jT3_P12ihipStream_tbPNSt15iterator_traitsISG_E10value_typeEPNSM_ISH_E10value_typeEPSI_NS1_7vsmem_tEENKUlT_SG_SH_SI_E_clIS7_S7_PlSB_EESF_SV_SG_SH_SI_EUlSV_E0_NS1_11comp_targetILNS1_3genE5ELNS1_11target_archE942ELNS1_3gpuE9ELNS1_3repE0EEENS1_38merge_mergepath_config_static_selectorELNS0_4arch9wavefront6targetE1EEEvSH_
    .private_segment_fixed_size: 0
    .sgpr_count:     4
    .sgpr_spill_count: 0
    .symbol:         _ZN7rocprim17ROCPRIM_400000_NS6detail17trampoline_kernelINS0_14default_configENS1_38merge_sort_block_merge_config_selectorIhlEEZZNS1_27merge_sort_block_merge_implIS3_PhN6thrust23THRUST_200600_302600_NS10device_ptrIlEEjNS1_19radix_merge_compareILb0ELb0EhNS0_19identity_decomposerEEEEE10hipError_tT0_T1_T2_jT3_P12ihipStream_tbPNSt15iterator_traitsISG_E10value_typeEPNSM_ISH_E10value_typeEPSI_NS1_7vsmem_tEENKUlT_SG_SH_SI_E_clIS7_S7_PlSB_EESF_SV_SG_SH_SI_EUlSV_E0_NS1_11comp_targetILNS1_3genE5ELNS1_11target_archE942ELNS1_3gpuE9ELNS1_3repE0EEENS1_38merge_mergepath_config_static_selectorELNS0_4arch9wavefront6targetE1EEEvSH_.kd
    .uniform_work_group_size: 1
    .uses_dynamic_stack: false
    .vgpr_count:     0
    .vgpr_spill_count: 0
    .wavefront_size: 64
  - .args:
      - .offset:         0
        .size:           64
        .value_kind:     by_value
    .group_segment_fixed_size: 0
    .kernarg_segment_align: 8
    .kernarg_segment_size: 64
    .language:       OpenCL C
    .language_version:
      - 2
      - 0
    .max_flat_workgroup_size: 256
    .name:           _ZN7rocprim17ROCPRIM_400000_NS6detail17trampoline_kernelINS0_14default_configENS1_38merge_sort_block_merge_config_selectorIhlEEZZNS1_27merge_sort_block_merge_implIS3_PhN6thrust23THRUST_200600_302600_NS10device_ptrIlEEjNS1_19radix_merge_compareILb0ELb0EhNS0_19identity_decomposerEEEEE10hipError_tT0_T1_T2_jT3_P12ihipStream_tbPNSt15iterator_traitsISG_E10value_typeEPNSM_ISH_E10value_typeEPSI_NS1_7vsmem_tEENKUlT_SG_SH_SI_E_clIS7_S7_PlSB_EESF_SV_SG_SH_SI_EUlSV_E0_NS1_11comp_targetILNS1_3genE4ELNS1_11target_archE910ELNS1_3gpuE8ELNS1_3repE0EEENS1_38merge_mergepath_config_static_selectorELNS0_4arch9wavefront6targetE1EEEvSH_
    .private_segment_fixed_size: 0
    .sgpr_count:     4
    .sgpr_spill_count: 0
    .symbol:         _ZN7rocprim17ROCPRIM_400000_NS6detail17trampoline_kernelINS0_14default_configENS1_38merge_sort_block_merge_config_selectorIhlEEZZNS1_27merge_sort_block_merge_implIS3_PhN6thrust23THRUST_200600_302600_NS10device_ptrIlEEjNS1_19radix_merge_compareILb0ELb0EhNS0_19identity_decomposerEEEEE10hipError_tT0_T1_T2_jT3_P12ihipStream_tbPNSt15iterator_traitsISG_E10value_typeEPNSM_ISH_E10value_typeEPSI_NS1_7vsmem_tEENKUlT_SG_SH_SI_E_clIS7_S7_PlSB_EESF_SV_SG_SH_SI_EUlSV_E0_NS1_11comp_targetILNS1_3genE4ELNS1_11target_archE910ELNS1_3gpuE8ELNS1_3repE0EEENS1_38merge_mergepath_config_static_selectorELNS0_4arch9wavefront6targetE1EEEvSH_.kd
    .uniform_work_group_size: 1
    .uses_dynamic_stack: false
    .vgpr_count:     0
    .vgpr_spill_count: 0
    .wavefront_size: 64
  - .args:
      - .offset:         0
        .size:           64
        .value_kind:     by_value
    .group_segment_fixed_size: 0
    .kernarg_segment_align: 8
    .kernarg_segment_size: 64
    .language:       OpenCL C
    .language_version:
      - 2
      - 0
    .max_flat_workgroup_size: 512
    .name:           _ZN7rocprim17ROCPRIM_400000_NS6detail17trampoline_kernelINS0_14default_configENS1_38merge_sort_block_merge_config_selectorIhlEEZZNS1_27merge_sort_block_merge_implIS3_PhN6thrust23THRUST_200600_302600_NS10device_ptrIlEEjNS1_19radix_merge_compareILb0ELb0EhNS0_19identity_decomposerEEEEE10hipError_tT0_T1_T2_jT3_P12ihipStream_tbPNSt15iterator_traitsISG_E10value_typeEPNSM_ISH_E10value_typeEPSI_NS1_7vsmem_tEENKUlT_SG_SH_SI_E_clIS7_S7_PlSB_EESF_SV_SG_SH_SI_EUlSV_E0_NS1_11comp_targetILNS1_3genE3ELNS1_11target_archE908ELNS1_3gpuE7ELNS1_3repE0EEENS1_38merge_mergepath_config_static_selectorELNS0_4arch9wavefront6targetE1EEEvSH_
    .private_segment_fixed_size: 0
    .sgpr_count:     4
    .sgpr_spill_count: 0
    .symbol:         _ZN7rocprim17ROCPRIM_400000_NS6detail17trampoline_kernelINS0_14default_configENS1_38merge_sort_block_merge_config_selectorIhlEEZZNS1_27merge_sort_block_merge_implIS3_PhN6thrust23THRUST_200600_302600_NS10device_ptrIlEEjNS1_19radix_merge_compareILb0ELb0EhNS0_19identity_decomposerEEEEE10hipError_tT0_T1_T2_jT3_P12ihipStream_tbPNSt15iterator_traitsISG_E10value_typeEPNSM_ISH_E10value_typeEPSI_NS1_7vsmem_tEENKUlT_SG_SH_SI_E_clIS7_S7_PlSB_EESF_SV_SG_SH_SI_EUlSV_E0_NS1_11comp_targetILNS1_3genE3ELNS1_11target_archE908ELNS1_3gpuE7ELNS1_3repE0EEENS1_38merge_mergepath_config_static_selectorELNS0_4arch9wavefront6targetE1EEEvSH_.kd
    .uniform_work_group_size: 1
    .uses_dynamic_stack: false
    .vgpr_count:     0
    .vgpr_spill_count: 0
    .wavefront_size: 64
  - .args:
      - .offset:         0
        .size:           64
        .value_kind:     by_value
      - .offset:         64
        .size:           4
        .value_kind:     hidden_block_count_x
      - .offset:         68
        .size:           4
        .value_kind:     hidden_block_count_y
      - .offset:         72
        .size:           4
        .value_kind:     hidden_block_count_z
      - .offset:         76
        .size:           2
        .value_kind:     hidden_group_size_x
      - .offset:         78
        .size:           2
        .value_kind:     hidden_group_size_y
      - .offset:         80
        .size:           2
        .value_kind:     hidden_group_size_z
      - .offset:         82
        .size:           2
        .value_kind:     hidden_remainder_x
      - .offset:         84
        .size:           2
        .value_kind:     hidden_remainder_y
      - .offset:         86
        .size:           2
        .value_kind:     hidden_remainder_z
      - .offset:         104
        .size:           8
        .value_kind:     hidden_global_offset_x
      - .offset:         112
        .size:           8
        .value_kind:     hidden_global_offset_y
      - .offset:         120
        .size:           8
        .value_kind:     hidden_global_offset_z
      - .offset:         128
        .size:           2
        .value_kind:     hidden_grid_dims
    .group_segment_fixed_size: 8448
    .kernarg_segment_align: 8
    .kernarg_segment_size: 320
    .language:       OpenCL C
    .language_version:
      - 2
      - 0
    .max_flat_workgroup_size: 256
    .name:           _ZN7rocprim17ROCPRIM_400000_NS6detail17trampoline_kernelINS0_14default_configENS1_38merge_sort_block_merge_config_selectorIhlEEZZNS1_27merge_sort_block_merge_implIS3_PhN6thrust23THRUST_200600_302600_NS10device_ptrIlEEjNS1_19radix_merge_compareILb0ELb0EhNS0_19identity_decomposerEEEEE10hipError_tT0_T1_T2_jT3_P12ihipStream_tbPNSt15iterator_traitsISG_E10value_typeEPNSM_ISH_E10value_typeEPSI_NS1_7vsmem_tEENKUlT_SG_SH_SI_E_clIS7_S7_PlSB_EESF_SV_SG_SH_SI_EUlSV_E0_NS1_11comp_targetILNS1_3genE2ELNS1_11target_archE906ELNS1_3gpuE6ELNS1_3repE0EEENS1_38merge_mergepath_config_static_selectorELNS0_4arch9wavefront6targetE1EEEvSH_
    .private_segment_fixed_size: 0
    .sgpr_count:     33
    .sgpr_spill_count: 0
    .symbol:         _ZN7rocprim17ROCPRIM_400000_NS6detail17trampoline_kernelINS0_14default_configENS1_38merge_sort_block_merge_config_selectorIhlEEZZNS1_27merge_sort_block_merge_implIS3_PhN6thrust23THRUST_200600_302600_NS10device_ptrIlEEjNS1_19radix_merge_compareILb0ELb0EhNS0_19identity_decomposerEEEEE10hipError_tT0_T1_T2_jT3_P12ihipStream_tbPNSt15iterator_traitsISG_E10value_typeEPNSM_ISH_E10value_typeEPSI_NS1_7vsmem_tEENKUlT_SG_SH_SI_E_clIS7_S7_PlSB_EESF_SV_SG_SH_SI_EUlSV_E0_NS1_11comp_targetILNS1_3genE2ELNS1_11target_archE906ELNS1_3gpuE6ELNS1_3repE0EEENS1_38merge_mergepath_config_static_selectorELNS0_4arch9wavefront6targetE1EEEvSH_.kd
    .uniform_work_group_size: 1
    .uses_dynamic_stack: false
    .vgpr_count:     35
    .vgpr_spill_count: 0
    .wavefront_size: 64
  - .args:
      - .offset:         0
        .size:           64
        .value_kind:     by_value
    .group_segment_fixed_size: 0
    .kernarg_segment_align: 8
    .kernarg_segment_size: 64
    .language:       OpenCL C
    .language_version:
      - 2
      - 0
    .max_flat_workgroup_size: 512
    .name:           _ZN7rocprim17ROCPRIM_400000_NS6detail17trampoline_kernelINS0_14default_configENS1_38merge_sort_block_merge_config_selectorIhlEEZZNS1_27merge_sort_block_merge_implIS3_PhN6thrust23THRUST_200600_302600_NS10device_ptrIlEEjNS1_19radix_merge_compareILb0ELb0EhNS0_19identity_decomposerEEEEE10hipError_tT0_T1_T2_jT3_P12ihipStream_tbPNSt15iterator_traitsISG_E10value_typeEPNSM_ISH_E10value_typeEPSI_NS1_7vsmem_tEENKUlT_SG_SH_SI_E_clIS7_S7_PlSB_EESF_SV_SG_SH_SI_EUlSV_E0_NS1_11comp_targetILNS1_3genE9ELNS1_11target_archE1100ELNS1_3gpuE3ELNS1_3repE0EEENS1_38merge_mergepath_config_static_selectorELNS0_4arch9wavefront6targetE1EEEvSH_
    .private_segment_fixed_size: 0
    .sgpr_count:     4
    .sgpr_spill_count: 0
    .symbol:         _ZN7rocprim17ROCPRIM_400000_NS6detail17trampoline_kernelINS0_14default_configENS1_38merge_sort_block_merge_config_selectorIhlEEZZNS1_27merge_sort_block_merge_implIS3_PhN6thrust23THRUST_200600_302600_NS10device_ptrIlEEjNS1_19radix_merge_compareILb0ELb0EhNS0_19identity_decomposerEEEEE10hipError_tT0_T1_T2_jT3_P12ihipStream_tbPNSt15iterator_traitsISG_E10value_typeEPNSM_ISH_E10value_typeEPSI_NS1_7vsmem_tEENKUlT_SG_SH_SI_E_clIS7_S7_PlSB_EESF_SV_SG_SH_SI_EUlSV_E0_NS1_11comp_targetILNS1_3genE9ELNS1_11target_archE1100ELNS1_3gpuE3ELNS1_3repE0EEENS1_38merge_mergepath_config_static_selectorELNS0_4arch9wavefront6targetE1EEEvSH_.kd
    .uniform_work_group_size: 1
    .uses_dynamic_stack: false
    .vgpr_count:     0
    .vgpr_spill_count: 0
    .wavefront_size: 64
  - .args:
      - .offset:         0
        .size:           64
        .value_kind:     by_value
    .group_segment_fixed_size: 0
    .kernarg_segment_align: 8
    .kernarg_segment_size: 64
    .language:       OpenCL C
    .language_version:
      - 2
      - 0
    .max_flat_workgroup_size: 1024
    .name:           _ZN7rocprim17ROCPRIM_400000_NS6detail17trampoline_kernelINS0_14default_configENS1_38merge_sort_block_merge_config_selectorIhlEEZZNS1_27merge_sort_block_merge_implIS3_PhN6thrust23THRUST_200600_302600_NS10device_ptrIlEEjNS1_19radix_merge_compareILb0ELb0EhNS0_19identity_decomposerEEEEE10hipError_tT0_T1_T2_jT3_P12ihipStream_tbPNSt15iterator_traitsISG_E10value_typeEPNSM_ISH_E10value_typeEPSI_NS1_7vsmem_tEENKUlT_SG_SH_SI_E_clIS7_S7_PlSB_EESF_SV_SG_SH_SI_EUlSV_E0_NS1_11comp_targetILNS1_3genE8ELNS1_11target_archE1030ELNS1_3gpuE2ELNS1_3repE0EEENS1_38merge_mergepath_config_static_selectorELNS0_4arch9wavefront6targetE1EEEvSH_
    .private_segment_fixed_size: 0
    .sgpr_count:     4
    .sgpr_spill_count: 0
    .symbol:         _ZN7rocprim17ROCPRIM_400000_NS6detail17trampoline_kernelINS0_14default_configENS1_38merge_sort_block_merge_config_selectorIhlEEZZNS1_27merge_sort_block_merge_implIS3_PhN6thrust23THRUST_200600_302600_NS10device_ptrIlEEjNS1_19radix_merge_compareILb0ELb0EhNS0_19identity_decomposerEEEEE10hipError_tT0_T1_T2_jT3_P12ihipStream_tbPNSt15iterator_traitsISG_E10value_typeEPNSM_ISH_E10value_typeEPSI_NS1_7vsmem_tEENKUlT_SG_SH_SI_E_clIS7_S7_PlSB_EESF_SV_SG_SH_SI_EUlSV_E0_NS1_11comp_targetILNS1_3genE8ELNS1_11target_archE1030ELNS1_3gpuE2ELNS1_3repE0EEENS1_38merge_mergepath_config_static_selectorELNS0_4arch9wavefront6targetE1EEEvSH_.kd
    .uniform_work_group_size: 1
    .uses_dynamic_stack: false
    .vgpr_count:     0
    .vgpr_spill_count: 0
    .wavefront_size: 64
  - .args:
      - .offset:         0
        .size:           48
        .value_kind:     by_value
    .group_segment_fixed_size: 0
    .kernarg_segment_align: 8
    .kernarg_segment_size: 48
    .language:       OpenCL C
    .language_version:
      - 2
      - 0
    .max_flat_workgroup_size: 256
    .name:           _ZN7rocprim17ROCPRIM_400000_NS6detail17trampoline_kernelINS0_14default_configENS1_38merge_sort_block_merge_config_selectorIhlEEZZNS1_27merge_sort_block_merge_implIS3_PhN6thrust23THRUST_200600_302600_NS10device_ptrIlEEjNS1_19radix_merge_compareILb0ELb0EhNS0_19identity_decomposerEEEEE10hipError_tT0_T1_T2_jT3_P12ihipStream_tbPNSt15iterator_traitsISG_E10value_typeEPNSM_ISH_E10value_typeEPSI_NS1_7vsmem_tEENKUlT_SG_SH_SI_E_clIS7_S7_PlSB_EESF_SV_SG_SH_SI_EUlSV_E1_NS1_11comp_targetILNS1_3genE0ELNS1_11target_archE4294967295ELNS1_3gpuE0ELNS1_3repE0EEENS1_36merge_oddeven_config_static_selectorELNS0_4arch9wavefront6targetE1EEEvSH_
    .private_segment_fixed_size: 0
    .sgpr_count:     4
    .sgpr_spill_count: 0
    .symbol:         _ZN7rocprim17ROCPRIM_400000_NS6detail17trampoline_kernelINS0_14default_configENS1_38merge_sort_block_merge_config_selectorIhlEEZZNS1_27merge_sort_block_merge_implIS3_PhN6thrust23THRUST_200600_302600_NS10device_ptrIlEEjNS1_19radix_merge_compareILb0ELb0EhNS0_19identity_decomposerEEEEE10hipError_tT0_T1_T2_jT3_P12ihipStream_tbPNSt15iterator_traitsISG_E10value_typeEPNSM_ISH_E10value_typeEPSI_NS1_7vsmem_tEENKUlT_SG_SH_SI_E_clIS7_S7_PlSB_EESF_SV_SG_SH_SI_EUlSV_E1_NS1_11comp_targetILNS1_3genE0ELNS1_11target_archE4294967295ELNS1_3gpuE0ELNS1_3repE0EEENS1_36merge_oddeven_config_static_selectorELNS0_4arch9wavefront6targetE1EEEvSH_.kd
    .uniform_work_group_size: 1
    .uses_dynamic_stack: false
    .vgpr_count:     0
    .vgpr_spill_count: 0
    .wavefront_size: 64
  - .args:
      - .offset:         0
        .size:           48
        .value_kind:     by_value
    .group_segment_fixed_size: 0
    .kernarg_segment_align: 8
    .kernarg_segment_size: 48
    .language:       OpenCL C
    .language_version:
      - 2
      - 0
    .max_flat_workgroup_size: 256
    .name:           _ZN7rocprim17ROCPRIM_400000_NS6detail17trampoline_kernelINS0_14default_configENS1_38merge_sort_block_merge_config_selectorIhlEEZZNS1_27merge_sort_block_merge_implIS3_PhN6thrust23THRUST_200600_302600_NS10device_ptrIlEEjNS1_19radix_merge_compareILb0ELb0EhNS0_19identity_decomposerEEEEE10hipError_tT0_T1_T2_jT3_P12ihipStream_tbPNSt15iterator_traitsISG_E10value_typeEPNSM_ISH_E10value_typeEPSI_NS1_7vsmem_tEENKUlT_SG_SH_SI_E_clIS7_S7_PlSB_EESF_SV_SG_SH_SI_EUlSV_E1_NS1_11comp_targetILNS1_3genE10ELNS1_11target_archE1201ELNS1_3gpuE5ELNS1_3repE0EEENS1_36merge_oddeven_config_static_selectorELNS0_4arch9wavefront6targetE1EEEvSH_
    .private_segment_fixed_size: 0
    .sgpr_count:     4
    .sgpr_spill_count: 0
    .symbol:         _ZN7rocprim17ROCPRIM_400000_NS6detail17trampoline_kernelINS0_14default_configENS1_38merge_sort_block_merge_config_selectorIhlEEZZNS1_27merge_sort_block_merge_implIS3_PhN6thrust23THRUST_200600_302600_NS10device_ptrIlEEjNS1_19radix_merge_compareILb0ELb0EhNS0_19identity_decomposerEEEEE10hipError_tT0_T1_T2_jT3_P12ihipStream_tbPNSt15iterator_traitsISG_E10value_typeEPNSM_ISH_E10value_typeEPSI_NS1_7vsmem_tEENKUlT_SG_SH_SI_E_clIS7_S7_PlSB_EESF_SV_SG_SH_SI_EUlSV_E1_NS1_11comp_targetILNS1_3genE10ELNS1_11target_archE1201ELNS1_3gpuE5ELNS1_3repE0EEENS1_36merge_oddeven_config_static_selectorELNS0_4arch9wavefront6targetE1EEEvSH_.kd
    .uniform_work_group_size: 1
    .uses_dynamic_stack: false
    .vgpr_count:     0
    .vgpr_spill_count: 0
    .wavefront_size: 64
  - .args:
      - .offset:         0
        .size:           48
        .value_kind:     by_value
    .group_segment_fixed_size: 0
    .kernarg_segment_align: 8
    .kernarg_segment_size: 48
    .language:       OpenCL C
    .language_version:
      - 2
      - 0
    .max_flat_workgroup_size: 256
    .name:           _ZN7rocprim17ROCPRIM_400000_NS6detail17trampoline_kernelINS0_14default_configENS1_38merge_sort_block_merge_config_selectorIhlEEZZNS1_27merge_sort_block_merge_implIS3_PhN6thrust23THRUST_200600_302600_NS10device_ptrIlEEjNS1_19radix_merge_compareILb0ELb0EhNS0_19identity_decomposerEEEEE10hipError_tT0_T1_T2_jT3_P12ihipStream_tbPNSt15iterator_traitsISG_E10value_typeEPNSM_ISH_E10value_typeEPSI_NS1_7vsmem_tEENKUlT_SG_SH_SI_E_clIS7_S7_PlSB_EESF_SV_SG_SH_SI_EUlSV_E1_NS1_11comp_targetILNS1_3genE5ELNS1_11target_archE942ELNS1_3gpuE9ELNS1_3repE0EEENS1_36merge_oddeven_config_static_selectorELNS0_4arch9wavefront6targetE1EEEvSH_
    .private_segment_fixed_size: 0
    .sgpr_count:     4
    .sgpr_spill_count: 0
    .symbol:         _ZN7rocprim17ROCPRIM_400000_NS6detail17trampoline_kernelINS0_14default_configENS1_38merge_sort_block_merge_config_selectorIhlEEZZNS1_27merge_sort_block_merge_implIS3_PhN6thrust23THRUST_200600_302600_NS10device_ptrIlEEjNS1_19radix_merge_compareILb0ELb0EhNS0_19identity_decomposerEEEEE10hipError_tT0_T1_T2_jT3_P12ihipStream_tbPNSt15iterator_traitsISG_E10value_typeEPNSM_ISH_E10value_typeEPSI_NS1_7vsmem_tEENKUlT_SG_SH_SI_E_clIS7_S7_PlSB_EESF_SV_SG_SH_SI_EUlSV_E1_NS1_11comp_targetILNS1_3genE5ELNS1_11target_archE942ELNS1_3gpuE9ELNS1_3repE0EEENS1_36merge_oddeven_config_static_selectorELNS0_4arch9wavefront6targetE1EEEvSH_.kd
    .uniform_work_group_size: 1
    .uses_dynamic_stack: false
    .vgpr_count:     0
    .vgpr_spill_count: 0
    .wavefront_size: 64
  - .args:
      - .offset:         0
        .size:           48
        .value_kind:     by_value
    .group_segment_fixed_size: 0
    .kernarg_segment_align: 8
    .kernarg_segment_size: 48
    .language:       OpenCL C
    .language_version:
      - 2
      - 0
    .max_flat_workgroup_size: 256
    .name:           _ZN7rocprim17ROCPRIM_400000_NS6detail17trampoline_kernelINS0_14default_configENS1_38merge_sort_block_merge_config_selectorIhlEEZZNS1_27merge_sort_block_merge_implIS3_PhN6thrust23THRUST_200600_302600_NS10device_ptrIlEEjNS1_19radix_merge_compareILb0ELb0EhNS0_19identity_decomposerEEEEE10hipError_tT0_T1_T2_jT3_P12ihipStream_tbPNSt15iterator_traitsISG_E10value_typeEPNSM_ISH_E10value_typeEPSI_NS1_7vsmem_tEENKUlT_SG_SH_SI_E_clIS7_S7_PlSB_EESF_SV_SG_SH_SI_EUlSV_E1_NS1_11comp_targetILNS1_3genE4ELNS1_11target_archE910ELNS1_3gpuE8ELNS1_3repE0EEENS1_36merge_oddeven_config_static_selectorELNS0_4arch9wavefront6targetE1EEEvSH_
    .private_segment_fixed_size: 0
    .sgpr_count:     4
    .sgpr_spill_count: 0
    .symbol:         _ZN7rocprim17ROCPRIM_400000_NS6detail17trampoline_kernelINS0_14default_configENS1_38merge_sort_block_merge_config_selectorIhlEEZZNS1_27merge_sort_block_merge_implIS3_PhN6thrust23THRUST_200600_302600_NS10device_ptrIlEEjNS1_19radix_merge_compareILb0ELb0EhNS0_19identity_decomposerEEEEE10hipError_tT0_T1_T2_jT3_P12ihipStream_tbPNSt15iterator_traitsISG_E10value_typeEPNSM_ISH_E10value_typeEPSI_NS1_7vsmem_tEENKUlT_SG_SH_SI_E_clIS7_S7_PlSB_EESF_SV_SG_SH_SI_EUlSV_E1_NS1_11comp_targetILNS1_3genE4ELNS1_11target_archE910ELNS1_3gpuE8ELNS1_3repE0EEENS1_36merge_oddeven_config_static_selectorELNS0_4arch9wavefront6targetE1EEEvSH_.kd
    .uniform_work_group_size: 1
    .uses_dynamic_stack: false
    .vgpr_count:     0
    .vgpr_spill_count: 0
    .wavefront_size: 64
  - .args:
      - .offset:         0
        .size:           48
        .value_kind:     by_value
    .group_segment_fixed_size: 0
    .kernarg_segment_align: 8
    .kernarg_segment_size: 48
    .language:       OpenCL C
    .language_version:
      - 2
      - 0
    .max_flat_workgroup_size: 256
    .name:           _ZN7rocprim17ROCPRIM_400000_NS6detail17trampoline_kernelINS0_14default_configENS1_38merge_sort_block_merge_config_selectorIhlEEZZNS1_27merge_sort_block_merge_implIS3_PhN6thrust23THRUST_200600_302600_NS10device_ptrIlEEjNS1_19radix_merge_compareILb0ELb0EhNS0_19identity_decomposerEEEEE10hipError_tT0_T1_T2_jT3_P12ihipStream_tbPNSt15iterator_traitsISG_E10value_typeEPNSM_ISH_E10value_typeEPSI_NS1_7vsmem_tEENKUlT_SG_SH_SI_E_clIS7_S7_PlSB_EESF_SV_SG_SH_SI_EUlSV_E1_NS1_11comp_targetILNS1_3genE3ELNS1_11target_archE908ELNS1_3gpuE7ELNS1_3repE0EEENS1_36merge_oddeven_config_static_selectorELNS0_4arch9wavefront6targetE1EEEvSH_
    .private_segment_fixed_size: 0
    .sgpr_count:     4
    .sgpr_spill_count: 0
    .symbol:         _ZN7rocprim17ROCPRIM_400000_NS6detail17trampoline_kernelINS0_14default_configENS1_38merge_sort_block_merge_config_selectorIhlEEZZNS1_27merge_sort_block_merge_implIS3_PhN6thrust23THRUST_200600_302600_NS10device_ptrIlEEjNS1_19radix_merge_compareILb0ELb0EhNS0_19identity_decomposerEEEEE10hipError_tT0_T1_T2_jT3_P12ihipStream_tbPNSt15iterator_traitsISG_E10value_typeEPNSM_ISH_E10value_typeEPSI_NS1_7vsmem_tEENKUlT_SG_SH_SI_E_clIS7_S7_PlSB_EESF_SV_SG_SH_SI_EUlSV_E1_NS1_11comp_targetILNS1_3genE3ELNS1_11target_archE908ELNS1_3gpuE7ELNS1_3repE0EEENS1_36merge_oddeven_config_static_selectorELNS0_4arch9wavefront6targetE1EEEvSH_.kd
    .uniform_work_group_size: 1
    .uses_dynamic_stack: false
    .vgpr_count:     0
    .vgpr_spill_count: 0
    .wavefront_size: 64
  - .args:
      - .offset:         0
        .size:           48
        .value_kind:     by_value
    .group_segment_fixed_size: 0
    .kernarg_segment_align: 8
    .kernarg_segment_size: 48
    .language:       OpenCL C
    .language_version:
      - 2
      - 0
    .max_flat_workgroup_size: 256
    .name:           _ZN7rocprim17ROCPRIM_400000_NS6detail17trampoline_kernelINS0_14default_configENS1_38merge_sort_block_merge_config_selectorIhlEEZZNS1_27merge_sort_block_merge_implIS3_PhN6thrust23THRUST_200600_302600_NS10device_ptrIlEEjNS1_19radix_merge_compareILb0ELb0EhNS0_19identity_decomposerEEEEE10hipError_tT0_T1_T2_jT3_P12ihipStream_tbPNSt15iterator_traitsISG_E10value_typeEPNSM_ISH_E10value_typeEPSI_NS1_7vsmem_tEENKUlT_SG_SH_SI_E_clIS7_S7_PlSB_EESF_SV_SG_SH_SI_EUlSV_E1_NS1_11comp_targetILNS1_3genE2ELNS1_11target_archE906ELNS1_3gpuE6ELNS1_3repE0EEENS1_36merge_oddeven_config_static_selectorELNS0_4arch9wavefront6targetE1EEEvSH_
    .private_segment_fixed_size: 0
    .sgpr_count:     26
    .sgpr_spill_count: 0
    .symbol:         _ZN7rocprim17ROCPRIM_400000_NS6detail17trampoline_kernelINS0_14default_configENS1_38merge_sort_block_merge_config_selectorIhlEEZZNS1_27merge_sort_block_merge_implIS3_PhN6thrust23THRUST_200600_302600_NS10device_ptrIlEEjNS1_19radix_merge_compareILb0ELb0EhNS0_19identity_decomposerEEEEE10hipError_tT0_T1_T2_jT3_P12ihipStream_tbPNSt15iterator_traitsISG_E10value_typeEPNSM_ISH_E10value_typeEPSI_NS1_7vsmem_tEENKUlT_SG_SH_SI_E_clIS7_S7_PlSB_EESF_SV_SG_SH_SI_EUlSV_E1_NS1_11comp_targetILNS1_3genE2ELNS1_11target_archE906ELNS1_3gpuE6ELNS1_3repE0EEENS1_36merge_oddeven_config_static_selectorELNS0_4arch9wavefront6targetE1EEEvSH_.kd
    .uniform_work_group_size: 1
    .uses_dynamic_stack: false
    .vgpr_count:     10
    .vgpr_spill_count: 0
    .wavefront_size: 64
  - .args:
      - .offset:         0
        .size:           48
        .value_kind:     by_value
    .group_segment_fixed_size: 0
    .kernarg_segment_align: 8
    .kernarg_segment_size: 48
    .language:       OpenCL C
    .language_version:
      - 2
      - 0
    .max_flat_workgroup_size: 256
    .name:           _ZN7rocprim17ROCPRIM_400000_NS6detail17trampoline_kernelINS0_14default_configENS1_38merge_sort_block_merge_config_selectorIhlEEZZNS1_27merge_sort_block_merge_implIS3_PhN6thrust23THRUST_200600_302600_NS10device_ptrIlEEjNS1_19radix_merge_compareILb0ELb0EhNS0_19identity_decomposerEEEEE10hipError_tT0_T1_T2_jT3_P12ihipStream_tbPNSt15iterator_traitsISG_E10value_typeEPNSM_ISH_E10value_typeEPSI_NS1_7vsmem_tEENKUlT_SG_SH_SI_E_clIS7_S7_PlSB_EESF_SV_SG_SH_SI_EUlSV_E1_NS1_11comp_targetILNS1_3genE9ELNS1_11target_archE1100ELNS1_3gpuE3ELNS1_3repE0EEENS1_36merge_oddeven_config_static_selectorELNS0_4arch9wavefront6targetE1EEEvSH_
    .private_segment_fixed_size: 0
    .sgpr_count:     4
    .sgpr_spill_count: 0
    .symbol:         _ZN7rocprim17ROCPRIM_400000_NS6detail17trampoline_kernelINS0_14default_configENS1_38merge_sort_block_merge_config_selectorIhlEEZZNS1_27merge_sort_block_merge_implIS3_PhN6thrust23THRUST_200600_302600_NS10device_ptrIlEEjNS1_19radix_merge_compareILb0ELb0EhNS0_19identity_decomposerEEEEE10hipError_tT0_T1_T2_jT3_P12ihipStream_tbPNSt15iterator_traitsISG_E10value_typeEPNSM_ISH_E10value_typeEPSI_NS1_7vsmem_tEENKUlT_SG_SH_SI_E_clIS7_S7_PlSB_EESF_SV_SG_SH_SI_EUlSV_E1_NS1_11comp_targetILNS1_3genE9ELNS1_11target_archE1100ELNS1_3gpuE3ELNS1_3repE0EEENS1_36merge_oddeven_config_static_selectorELNS0_4arch9wavefront6targetE1EEEvSH_.kd
    .uniform_work_group_size: 1
    .uses_dynamic_stack: false
    .vgpr_count:     0
    .vgpr_spill_count: 0
    .wavefront_size: 64
  - .args:
      - .offset:         0
        .size:           48
        .value_kind:     by_value
    .group_segment_fixed_size: 0
    .kernarg_segment_align: 8
    .kernarg_segment_size: 48
    .language:       OpenCL C
    .language_version:
      - 2
      - 0
    .max_flat_workgroup_size: 256
    .name:           _ZN7rocprim17ROCPRIM_400000_NS6detail17trampoline_kernelINS0_14default_configENS1_38merge_sort_block_merge_config_selectorIhlEEZZNS1_27merge_sort_block_merge_implIS3_PhN6thrust23THRUST_200600_302600_NS10device_ptrIlEEjNS1_19radix_merge_compareILb0ELb0EhNS0_19identity_decomposerEEEEE10hipError_tT0_T1_T2_jT3_P12ihipStream_tbPNSt15iterator_traitsISG_E10value_typeEPNSM_ISH_E10value_typeEPSI_NS1_7vsmem_tEENKUlT_SG_SH_SI_E_clIS7_S7_PlSB_EESF_SV_SG_SH_SI_EUlSV_E1_NS1_11comp_targetILNS1_3genE8ELNS1_11target_archE1030ELNS1_3gpuE2ELNS1_3repE0EEENS1_36merge_oddeven_config_static_selectorELNS0_4arch9wavefront6targetE1EEEvSH_
    .private_segment_fixed_size: 0
    .sgpr_count:     4
    .sgpr_spill_count: 0
    .symbol:         _ZN7rocprim17ROCPRIM_400000_NS6detail17trampoline_kernelINS0_14default_configENS1_38merge_sort_block_merge_config_selectorIhlEEZZNS1_27merge_sort_block_merge_implIS3_PhN6thrust23THRUST_200600_302600_NS10device_ptrIlEEjNS1_19radix_merge_compareILb0ELb0EhNS0_19identity_decomposerEEEEE10hipError_tT0_T1_T2_jT3_P12ihipStream_tbPNSt15iterator_traitsISG_E10value_typeEPNSM_ISH_E10value_typeEPSI_NS1_7vsmem_tEENKUlT_SG_SH_SI_E_clIS7_S7_PlSB_EESF_SV_SG_SH_SI_EUlSV_E1_NS1_11comp_targetILNS1_3genE8ELNS1_11target_archE1030ELNS1_3gpuE2ELNS1_3repE0EEENS1_36merge_oddeven_config_static_selectorELNS0_4arch9wavefront6targetE1EEEvSH_.kd
    .uniform_work_group_size: 1
    .uses_dynamic_stack: false
    .vgpr_count:     0
    .vgpr_spill_count: 0
    .wavefront_size: 64
  - .args:
      - .offset:         0
        .size:           40
        .value_kind:     by_value
    .group_segment_fixed_size: 0
    .kernarg_segment_align: 8
    .kernarg_segment_size: 40
    .language:       OpenCL C
    .language_version:
      - 2
      - 0
    .max_flat_workgroup_size: 128
    .name:           _ZN7rocprim17ROCPRIM_400000_NS6detail17trampoline_kernelINS0_14default_configENS1_38merge_sort_block_merge_config_selectorIhlEEZZNS1_27merge_sort_block_merge_implIS3_PhN6thrust23THRUST_200600_302600_NS10device_ptrIlEEjNS1_19radix_merge_compareILb0ELb0EhNS0_19identity_decomposerEEEEE10hipError_tT0_T1_T2_jT3_P12ihipStream_tbPNSt15iterator_traitsISG_E10value_typeEPNSM_ISH_E10value_typeEPSI_NS1_7vsmem_tEENKUlT_SG_SH_SI_E_clIS7_S7_SB_PlEESF_SV_SG_SH_SI_EUlSV_E_NS1_11comp_targetILNS1_3genE0ELNS1_11target_archE4294967295ELNS1_3gpuE0ELNS1_3repE0EEENS1_48merge_mergepath_partition_config_static_selectorELNS0_4arch9wavefront6targetE1EEEvSH_
    .private_segment_fixed_size: 0
    .sgpr_count:     4
    .sgpr_spill_count: 0
    .symbol:         _ZN7rocprim17ROCPRIM_400000_NS6detail17trampoline_kernelINS0_14default_configENS1_38merge_sort_block_merge_config_selectorIhlEEZZNS1_27merge_sort_block_merge_implIS3_PhN6thrust23THRUST_200600_302600_NS10device_ptrIlEEjNS1_19radix_merge_compareILb0ELb0EhNS0_19identity_decomposerEEEEE10hipError_tT0_T1_T2_jT3_P12ihipStream_tbPNSt15iterator_traitsISG_E10value_typeEPNSM_ISH_E10value_typeEPSI_NS1_7vsmem_tEENKUlT_SG_SH_SI_E_clIS7_S7_SB_PlEESF_SV_SG_SH_SI_EUlSV_E_NS1_11comp_targetILNS1_3genE0ELNS1_11target_archE4294967295ELNS1_3gpuE0ELNS1_3repE0EEENS1_48merge_mergepath_partition_config_static_selectorELNS0_4arch9wavefront6targetE1EEEvSH_.kd
    .uniform_work_group_size: 1
    .uses_dynamic_stack: false
    .vgpr_count:     0
    .vgpr_spill_count: 0
    .wavefront_size: 64
  - .args:
      - .offset:         0
        .size:           40
        .value_kind:     by_value
    .group_segment_fixed_size: 0
    .kernarg_segment_align: 8
    .kernarg_segment_size: 40
    .language:       OpenCL C
    .language_version:
      - 2
      - 0
    .max_flat_workgroup_size: 128
    .name:           _ZN7rocprim17ROCPRIM_400000_NS6detail17trampoline_kernelINS0_14default_configENS1_38merge_sort_block_merge_config_selectorIhlEEZZNS1_27merge_sort_block_merge_implIS3_PhN6thrust23THRUST_200600_302600_NS10device_ptrIlEEjNS1_19radix_merge_compareILb0ELb0EhNS0_19identity_decomposerEEEEE10hipError_tT0_T1_T2_jT3_P12ihipStream_tbPNSt15iterator_traitsISG_E10value_typeEPNSM_ISH_E10value_typeEPSI_NS1_7vsmem_tEENKUlT_SG_SH_SI_E_clIS7_S7_SB_PlEESF_SV_SG_SH_SI_EUlSV_E_NS1_11comp_targetILNS1_3genE10ELNS1_11target_archE1201ELNS1_3gpuE5ELNS1_3repE0EEENS1_48merge_mergepath_partition_config_static_selectorELNS0_4arch9wavefront6targetE1EEEvSH_
    .private_segment_fixed_size: 0
    .sgpr_count:     4
    .sgpr_spill_count: 0
    .symbol:         _ZN7rocprim17ROCPRIM_400000_NS6detail17trampoline_kernelINS0_14default_configENS1_38merge_sort_block_merge_config_selectorIhlEEZZNS1_27merge_sort_block_merge_implIS3_PhN6thrust23THRUST_200600_302600_NS10device_ptrIlEEjNS1_19radix_merge_compareILb0ELb0EhNS0_19identity_decomposerEEEEE10hipError_tT0_T1_T2_jT3_P12ihipStream_tbPNSt15iterator_traitsISG_E10value_typeEPNSM_ISH_E10value_typeEPSI_NS1_7vsmem_tEENKUlT_SG_SH_SI_E_clIS7_S7_SB_PlEESF_SV_SG_SH_SI_EUlSV_E_NS1_11comp_targetILNS1_3genE10ELNS1_11target_archE1201ELNS1_3gpuE5ELNS1_3repE0EEENS1_48merge_mergepath_partition_config_static_selectorELNS0_4arch9wavefront6targetE1EEEvSH_.kd
    .uniform_work_group_size: 1
    .uses_dynamic_stack: false
    .vgpr_count:     0
    .vgpr_spill_count: 0
    .wavefront_size: 64
  - .args:
      - .offset:         0
        .size:           40
        .value_kind:     by_value
    .group_segment_fixed_size: 0
    .kernarg_segment_align: 8
    .kernarg_segment_size: 40
    .language:       OpenCL C
    .language_version:
      - 2
      - 0
    .max_flat_workgroup_size: 128
    .name:           _ZN7rocprim17ROCPRIM_400000_NS6detail17trampoline_kernelINS0_14default_configENS1_38merge_sort_block_merge_config_selectorIhlEEZZNS1_27merge_sort_block_merge_implIS3_PhN6thrust23THRUST_200600_302600_NS10device_ptrIlEEjNS1_19radix_merge_compareILb0ELb0EhNS0_19identity_decomposerEEEEE10hipError_tT0_T1_T2_jT3_P12ihipStream_tbPNSt15iterator_traitsISG_E10value_typeEPNSM_ISH_E10value_typeEPSI_NS1_7vsmem_tEENKUlT_SG_SH_SI_E_clIS7_S7_SB_PlEESF_SV_SG_SH_SI_EUlSV_E_NS1_11comp_targetILNS1_3genE5ELNS1_11target_archE942ELNS1_3gpuE9ELNS1_3repE0EEENS1_48merge_mergepath_partition_config_static_selectorELNS0_4arch9wavefront6targetE1EEEvSH_
    .private_segment_fixed_size: 0
    .sgpr_count:     4
    .sgpr_spill_count: 0
    .symbol:         _ZN7rocprim17ROCPRIM_400000_NS6detail17trampoline_kernelINS0_14default_configENS1_38merge_sort_block_merge_config_selectorIhlEEZZNS1_27merge_sort_block_merge_implIS3_PhN6thrust23THRUST_200600_302600_NS10device_ptrIlEEjNS1_19radix_merge_compareILb0ELb0EhNS0_19identity_decomposerEEEEE10hipError_tT0_T1_T2_jT3_P12ihipStream_tbPNSt15iterator_traitsISG_E10value_typeEPNSM_ISH_E10value_typeEPSI_NS1_7vsmem_tEENKUlT_SG_SH_SI_E_clIS7_S7_SB_PlEESF_SV_SG_SH_SI_EUlSV_E_NS1_11comp_targetILNS1_3genE5ELNS1_11target_archE942ELNS1_3gpuE9ELNS1_3repE0EEENS1_48merge_mergepath_partition_config_static_selectorELNS0_4arch9wavefront6targetE1EEEvSH_.kd
    .uniform_work_group_size: 1
    .uses_dynamic_stack: false
    .vgpr_count:     0
    .vgpr_spill_count: 0
    .wavefront_size: 64
  - .args:
      - .offset:         0
        .size:           40
        .value_kind:     by_value
    .group_segment_fixed_size: 0
    .kernarg_segment_align: 8
    .kernarg_segment_size: 40
    .language:       OpenCL C
    .language_version:
      - 2
      - 0
    .max_flat_workgroup_size: 128
    .name:           _ZN7rocprim17ROCPRIM_400000_NS6detail17trampoline_kernelINS0_14default_configENS1_38merge_sort_block_merge_config_selectorIhlEEZZNS1_27merge_sort_block_merge_implIS3_PhN6thrust23THRUST_200600_302600_NS10device_ptrIlEEjNS1_19radix_merge_compareILb0ELb0EhNS0_19identity_decomposerEEEEE10hipError_tT0_T1_T2_jT3_P12ihipStream_tbPNSt15iterator_traitsISG_E10value_typeEPNSM_ISH_E10value_typeEPSI_NS1_7vsmem_tEENKUlT_SG_SH_SI_E_clIS7_S7_SB_PlEESF_SV_SG_SH_SI_EUlSV_E_NS1_11comp_targetILNS1_3genE4ELNS1_11target_archE910ELNS1_3gpuE8ELNS1_3repE0EEENS1_48merge_mergepath_partition_config_static_selectorELNS0_4arch9wavefront6targetE1EEEvSH_
    .private_segment_fixed_size: 0
    .sgpr_count:     4
    .sgpr_spill_count: 0
    .symbol:         _ZN7rocprim17ROCPRIM_400000_NS6detail17trampoline_kernelINS0_14default_configENS1_38merge_sort_block_merge_config_selectorIhlEEZZNS1_27merge_sort_block_merge_implIS3_PhN6thrust23THRUST_200600_302600_NS10device_ptrIlEEjNS1_19radix_merge_compareILb0ELb0EhNS0_19identity_decomposerEEEEE10hipError_tT0_T1_T2_jT3_P12ihipStream_tbPNSt15iterator_traitsISG_E10value_typeEPNSM_ISH_E10value_typeEPSI_NS1_7vsmem_tEENKUlT_SG_SH_SI_E_clIS7_S7_SB_PlEESF_SV_SG_SH_SI_EUlSV_E_NS1_11comp_targetILNS1_3genE4ELNS1_11target_archE910ELNS1_3gpuE8ELNS1_3repE0EEENS1_48merge_mergepath_partition_config_static_selectorELNS0_4arch9wavefront6targetE1EEEvSH_.kd
    .uniform_work_group_size: 1
    .uses_dynamic_stack: false
    .vgpr_count:     0
    .vgpr_spill_count: 0
    .wavefront_size: 64
  - .args:
      - .offset:         0
        .size:           40
        .value_kind:     by_value
    .group_segment_fixed_size: 0
    .kernarg_segment_align: 8
    .kernarg_segment_size: 40
    .language:       OpenCL C
    .language_version:
      - 2
      - 0
    .max_flat_workgroup_size: 128
    .name:           _ZN7rocprim17ROCPRIM_400000_NS6detail17trampoline_kernelINS0_14default_configENS1_38merge_sort_block_merge_config_selectorIhlEEZZNS1_27merge_sort_block_merge_implIS3_PhN6thrust23THRUST_200600_302600_NS10device_ptrIlEEjNS1_19radix_merge_compareILb0ELb0EhNS0_19identity_decomposerEEEEE10hipError_tT0_T1_T2_jT3_P12ihipStream_tbPNSt15iterator_traitsISG_E10value_typeEPNSM_ISH_E10value_typeEPSI_NS1_7vsmem_tEENKUlT_SG_SH_SI_E_clIS7_S7_SB_PlEESF_SV_SG_SH_SI_EUlSV_E_NS1_11comp_targetILNS1_3genE3ELNS1_11target_archE908ELNS1_3gpuE7ELNS1_3repE0EEENS1_48merge_mergepath_partition_config_static_selectorELNS0_4arch9wavefront6targetE1EEEvSH_
    .private_segment_fixed_size: 0
    .sgpr_count:     4
    .sgpr_spill_count: 0
    .symbol:         _ZN7rocprim17ROCPRIM_400000_NS6detail17trampoline_kernelINS0_14default_configENS1_38merge_sort_block_merge_config_selectorIhlEEZZNS1_27merge_sort_block_merge_implIS3_PhN6thrust23THRUST_200600_302600_NS10device_ptrIlEEjNS1_19radix_merge_compareILb0ELb0EhNS0_19identity_decomposerEEEEE10hipError_tT0_T1_T2_jT3_P12ihipStream_tbPNSt15iterator_traitsISG_E10value_typeEPNSM_ISH_E10value_typeEPSI_NS1_7vsmem_tEENKUlT_SG_SH_SI_E_clIS7_S7_SB_PlEESF_SV_SG_SH_SI_EUlSV_E_NS1_11comp_targetILNS1_3genE3ELNS1_11target_archE908ELNS1_3gpuE7ELNS1_3repE0EEENS1_48merge_mergepath_partition_config_static_selectorELNS0_4arch9wavefront6targetE1EEEvSH_.kd
    .uniform_work_group_size: 1
    .uses_dynamic_stack: false
    .vgpr_count:     0
    .vgpr_spill_count: 0
    .wavefront_size: 64
  - .args:
      - .offset:         0
        .size:           40
        .value_kind:     by_value
    .group_segment_fixed_size: 0
    .kernarg_segment_align: 8
    .kernarg_segment_size: 40
    .language:       OpenCL C
    .language_version:
      - 2
      - 0
    .max_flat_workgroup_size: 128
    .name:           _ZN7rocprim17ROCPRIM_400000_NS6detail17trampoline_kernelINS0_14default_configENS1_38merge_sort_block_merge_config_selectorIhlEEZZNS1_27merge_sort_block_merge_implIS3_PhN6thrust23THRUST_200600_302600_NS10device_ptrIlEEjNS1_19radix_merge_compareILb0ELb0EhNS0_19identity_decomposerEEEEE10hipError_tT0_T1_T2_jT3_P12ihipStream_tbPNSt15iterator_traitsISG_E10value_typeEPNSM_ISH_E10value_typeEPSI_NS1_7vsmem_tEENKUlT_SG_SH_SI_E_clIS7_S7_SB_PlEESF_SV_SG_SH_SI_EUlSV_E_NS1_11comp_targetILNS1_3genE2ELNS1_11target_archE906ELNS1_3gpuE6ELNS1_3repE0EEENS1_48merge_mergepath_partition_config_static_selectorELNS0_4arch9wavefront6targetE1EEEvSH_
    .private_segment_fixed_size: 0
    .sgpr_count:     12
    .sgpr_spill_count: 0
    .symbol:         _ZN7rocprim17ROCPRIM_400000_NS6detail17trampoline_kernelINS0_14default_configENS1_38merge_sort_block_merge_config_selectorIhlEEZZNS1_27merge_sort_block_merge_implIS3_PhN6thrust23THRUST_200600_302600_NS10device_ptrIlEEjNS1_19radix_merge_compareILb0ELb0EhNS0_19identity_decomposerEEEEE10hipError_tT0_T1_T2_jT3_P12ihipStream_tbPNSt15iterator_traitsISG_E10value_typeEPNSM_ISH_E10value_typeEPSI_NS1_7vsmem_tEENKUlT_SG_SH_SI_E_clIS7_S7_SB_PlEESF_SV_SG_SH_SI_EUlSV_E_NS1_11comp_targetILNS1_3genE2ELNS1_11target_archE906ELNS1_3gpuE6ELNS1_3repE0EEENS1_48merge_mergepath_partition_config_static_selectorELNS0_4arch9wavefront6targetE1EEEvSH_.kd
    .uniform_work_group_size: 1
    .uses_dynamic_stack: false
    .vgpr_count:     16
    .vgpr_spill_count: 0
    .wavefront_size: 64
  - .args:
      - .offset:         0
        .size:           40
        .value_kind:     by_value
    .group_segment_fixed_size: 0
    .kernarg_segment_align: 8
    .kernarg_segment_size: 40
    .language:       OpenCL C
    .language_version:
      - 2
      - 0
    .max_flat_workgroup_size: 128
    .name:           _ZN7rocprim17ROCPRIM_400000_NS6detail17trampoline_kernelINS0_14default_configENS1_38merge_sort_block_merge_config_selectorIhlEEZZNS1_27merge_sort_block_merge_implIS3_PhN6thrust23THRUST_200600_302600_NS10device_ptrIlEEjNS1_19radix_merge_compareILb0ELb0EhNS0_19identity_decomposerEEEEE10hipError_tT0_T1_T2_jT3_P12ihipStream_tbPNSt15iterator_traitsISG_E10value_typeEPNSM_ISH_E10value_typeEPSI_NS1_7vsmem_tEENKUlT_SG_SH_SI_E_clIS7_S7_SB_PlEESF_SV_SG_SH_SI_EUlSV_E_NS1_11comp_targetILNS1_3genE9ELNS1_11target_archE1100ELNS1_3gpuE3ELNS1_3repE0EEENS1_48merge_mergepath_partition_config_static_selectorELNS0_4arch9wavefront6targetE1EEEvSH_
    .private_segment_fixed_size: 0
    .sgpr_count:     4
    .sgpr_spill_count: 0
    .symbol:         _ZN7rocprim17ROCPRIM_400000_NS6detail17trampoline_kernelINS0_14default_configENS1_38merge_sort_block_merge_config_selectorIhlEEZZNS1_27merge_sort_block_merge_implIS3_PhN6thrust23THRUST_200600_302600_NS10device_ptrIlEEjNS1_19radix_merge_compareILb0ELb0EhNS0_19identity_decomposerEEEEE10hipError_tT0_T1_T2_jT3_P12ihipStream_tbPNSt15iterator_traitsISG_E10value_typeEPNSM_ISH_E10value_typeEPSI_NS1_7vsmem_tEENKUlT_SG_SH_SI_E_clIS7_S7_SB_PlEESF_SV_SG_SH_SI_EUlSV_E_NS1_11comp_targetILNS1_3genE9ELNS1_11target_archE1100ELNS1_3gpuE3ELNS1_3repE0EEENS1_48merge_mergepath_partition_config_static_selectorELNS0_4arch9wavefront6targetE1EEEvSH_.kd
    .uniform_work_group_size: 1
    .uses_dynamic_stack: false
    .vgpr_count:     0
    .vgpr_spill_count: 0
    .wavefront_size: 64
  - .args:
      - .offset:         0
        .size:           40
        .value_kind:     by_value
    .group_segment_fixed_size: 0
    .kernarg_segment_align: 8
    .kernarg_segment_size: 40
    .language:       OpenCL C
    .language_version:
      - 2
      - 0
    .max_flat_workgroup_size: 128
    .name:           _ZN7rocprim17ROCPRIM_400000_NS6detail17trampoline_kernelINS0_14default_configENS1_38merge_sort_block_merge_config_selectorIhlEEZZNS1_27merge_sort_block_merge_implIS3_PhN6thrust23THRUST_200600_302600_NS10device_ptrIlEEjNS1_19radix_merge_compareILb0ELb0EhNS0_19identity_decomposerEEEEE10hipError_tT0_T1_T2_jT3_P12ihipStream_tbPNSt15iterator_traitsISG_E10value_typeEPNSM_ISH_E10value_typeEPSI_NS1_7vsmem_tEENKUlT_SG_SH_SI_E_clIS7_S7_SB_PlEESF_SV_SG_SH_SI_EUlSV_E_NS1_11comp_targetILNS1_3genE8ELNS1_11target_archE1030ELNS1_3gpuE2ELNS1_3repE0EEENS1_48merge_mergepath_partition_config_static_selectorELNS0_4arch9wavefront6targetE1EEEvSH_
    .private_segment_fixed_size: 0
    .sgpr_count:     4
    .sgpr_spill_count: 0
    .symbol:         _ZN7rocprim17ROCPRIM_400000_NS6detail17trampoline_kernelINS0_14default_configENS1_38merge_sort_block_merge_config_selectorIhlEEZZNS1_27merge_sort_block_merge_implIS3_PhN6thrust23THRUST_200600_302600_NS10device_ptrIlEEjNS1_19radix_merge_compareILb0ELb0EhNS0_19identity_decomposerEEEEE10hipError_tT0_T1_T2_jT3_P12ihipStream_tbPNSt15iterator_traitsISG_E10value_typeEPNSM_ISH_E10value_typeEPSI_NS1_7vsmem_tEENKUlT_SG_SH_SI_E_clIS7_S7_SB_PlEESF_SV_SG_SH_SI_EUlSV_E_NS1_11comp_targetILNS1_3genE8ELNS1_11target_archE1030ELNS1_3gpuE2ELNS1_3repE0EEENS1_48merge_mergepath_partition_config_static_selectorELNS0_4arch9wavefront6targetE1EEEvSH_.kd
    .uniform_work_group_size: 1
    .uses_dynamic_stack: false
    .vgpr_count:     0
    .vgpr_spill_count: 0
    .wavefront_size: 64
  - .args:
      - .offset:         0
        .size:           64
        .value_kind:     by_value
    .group_segment_fixed_size: 0
    .kernarg_segment_align: 8
    .kernarg_segment_size: 64
    .language:       OpenCL C
    .language_version:
      - 2
      - 0
    .max_flat_workgroup_size: 512
    .name:           _ZN7rocprim17ROCPRIM_400000_NS6detail17trampoline_kernelINS0_14default_configENS1_38merge_sort_block_merge_config_selectorIhlEEZZNS1_27merge_sort_block_merge_implIS3_PhN6thrust23THRUST_200600_302600_NS10device_ptrIlEEjNS1_19radix_merge_compareILb0ELb0EhNS0_19identity_decomposerEEEEE10hipError_tT0_T1_T2_jT3_P12ihipStream_tbPNSt15iterator_traitsISG_E10value_typeEPNSM_ISH_E10value_typeEPSI_NS1_7vsmem_tEENKUlT_SG_SH_SI_E_clIS7_S7_SB_PlEESF_SV_SG_SH_SI_EUlSV_E0_NS1_11comp_targetILNS1_3genE0ELNS1_11target_archE4294967295ELNS1_3gpuE0ELNS1_3repE0EEENS1_38merge_mergepath_config_static_selectorELNS0_4arch9wavefront6targetE1EEEvSH_
    .private_segment_fixed_size: 0
    .sgpr_count:     4
    .sgpr_spill_count: 0
    .symbol:         _ZN7rocprim17ROCPRIM_400000_NS6detail17trampoline_kernelINS0_14default_configENS1_38merge_sort_block_merge_config_selectorIhlEEZZNS1_27merge_sort_block_merge_implIS3_PhN6thrust23THRUST_200600_302600_NS10device_ptrIlEEjNS1_19radix_merge_compareILb0ELb0EhNS0_19identity_decomposerEEEEE10hipError_tT0_T1_T2_jT3_P12ihipStream_tbPNSt15iterator_traitsISG_E10value_typeEPNSM_ISH_E10value_typeEPSI_NS1_7vsmem_tEENKUlT_SG_SH_SI_E_clIS7_S7_SB_PlEESF_SV_SG_SH_SI_EUlSV_E0_NS1_11comp_targetILNS1_3genE0ELNS1_11target_archE4294967295ELNS1_3gpuE0ELNS1_3repE0EEENS1_38merge_mergepath_config_static_selectorELNS0_4arch9wavefront6targetE1EEEvSH_.kd
    .uniform_work_group_size: 1
    .uses_dynamic_stack: false
    .vgpr_count:     0
    .vgpr_spill_count: 0
    .wavefront_size: 64
  - .args:
      - .offset:         0
        .size:           64
        .value_kind:     by_value
    .group_segment_fixed_size: 0
    .kernarg_segment_align: 8
    .kernarg_segment_size: 64
    .language:       OpenCL C
    .language_version:
      - 2
      - 0
    .max_flat_workgroup_size: 128
    .name:           _ZN7rocprim17ROCPRIM_400000_NS6detail17trampoline_kernelINS0_14default_configENS1_38merge_sort_block_merge_config_selectorIhlEEZZNS1_27merge_sort_block_merge_implIS3_PhN6thrust23THRUST_200600_302600_NS10device_ptrIlEEjNS1_19radix_merge_compareILb0ELb0EhNS0_19identity_decomposerEEEEE10hipError_tT0_T1_T2_jT3_P12ihipStream_tbPNSt15iterator_traitsISG_E10value_typeEPNSM_ISH_E10value_typeEPSI_NS1_7vsmem_tEENKUlT_SG_SH_SI_E_clIS7_S7_SB_PlEESF_SV_SG_SH_SI_EUlSV_E0_NS1_11comp_targetILNS1_3genE10ELNS1_11target_archE1201ELNS1_3gpuE5ELNS1_3repE0EEENS1_38merge_mergepath_config_static_selectorELNS0_4arch9wavefront6targetE1EEEvSH_
    .private_segment_fixed_size: 0
    .sgpr_count:     4
    .sgpr_spill_count: 0
    .symbol:         _ZN7rocprim17ROCPRIM_400000_NS6detail17trampoline_kernelINS0_14default_configENS1_38merge_sort_block_merge_config_selectorIhlEEZZNS1_27merge_sort_block_merge_implIS3_PhN6thrust23THRUST_200600_302600_NS10device_ptrIlEEjNS1_19radix_merge_compareILb0ELb0EhNS0_19identity_decomposerEEEEE10hipError_tT0_T1_T2_jT3_P12ihipStream_tbPNSt15iterator_traitsISG_E10value_typeEPNSM_ISH_E10value_typeEPSI_NS1_7vsmem_tEENKUlT_SG_SH_SI_E_clIS7_S7_SB_PlEESF_SV_SG_SH_SI_EUlSV_E0_NS1_11comp_targetILNS1_3genE10ELNS1_11target_archE1201ELNS1_3gpuE5ELNS1_3repE0EEENS1_38merge_mergepath_config_static_selectorELNS0_4arch9wavefront6targetE1EEEvSH_.kd
    .uniform_work_group_size: 1
    .uses_dynamic_stack: false
    .vgpr_count:     0
    .vgpr_spill_count: 0
    .wavefront_size: 64
  - .args:
      - .offset:         0
        .size:           64
        .value_kind:     by_value
    .group_segment_fixed_size: 0
    .kernarg_segment_align: 8
    .kernarg_segment_size: 64
    .language:       OpenCL C
    .language_version:
      - 2
      - 0
    .max_flat_workgroup_size: 128
    .name:           _ZN7rocprim17ROCPRIM_400000_NS6detail17trampoline_kernelINS0_14default_configENS1_38merge_sort_block_merge_config_selectorIhlEEZZNS1_27merge_sort_block_merge_implIS3_PhN6thrust23THRUST_200600_302600_NS10device_ptrIlEEjNS1_19radix_merge_compareILb0ELb0EhNS0_19identity_decomposerEEEEE10hipError_tT0_T1_T2_jT3_P12ihipStream_tbPNSt15iterator_traitsISG_E10value_typeEPNSM_ISH_E10value_typeEPSI_NS1_7vsmem_tEENKUlT_SG_SH_SI_E_clIS7_S7_SB_PlEESF_SV_SG_SH_SI_EUlSV_E0_NS1_11comp_targetILNS1_3genE5ELNS1_11target_archE942ELNS1_3gpuE9ELNS1_3repE0EEENS1_38merge_mergepath_config_static_selectorELNS0_4arch9wavefront6targetE1EEEvSH_
    .private_segment_fixed_size: 0
    .sgpr_count:     4
    .sgpr_spill_count: 0
    .symbol:         _ZN7rocprim17ROCPRIM_400000_NS6detail17trampoline_kernelINS0_14default_configENS1_38merge_sort_block_merge_config_selectorIhlEEZZNS1_27merge_sort_block_merge_implIS3_PhN6thrust23THRUST_200600_302600_NS10device_ptrIlEEjNS1_19radix_merge_compareILb0ELb0EhNS0_19identity_decomposerEEEEE10hipError_tT0_T1_T2_jT3_P12ihipStream_tbPNSt15iterator_traitsISG_E10value_typeEPNSM_ISH_E10value_typeEPSI_NS1_7vsmem_tEENKUlT_SG_SH_SI_E_clIS7_S7_SB_PlEESF_SV_SG_SH_SI_EUlSV_E0_NS1_11comp_targetILNS1_3genE5ELNS1_11target_archE942ELNS1_3gpuE9ELNS1_3repE0EEENS1_38merge_mergepath_config_static_selectorELNS0_4arch9wavefront6targetE1EEEvSH_.kd
    .uniform_work_group_size: 1
    .uses_dynamic_stack: false
    .vgpr_count:     0
    .vgpr_spill_count: 0
    .wavefront_size: 64
  - .args:
      - .offset:         0
        .size:           64
        .value_kind:     by_value
    .group_segment_fixed_size: 0
    .kernarg_segment_align: 8
    .kernarg_segment_size: 64
    .language:       OpenCL C
    .language_version:
      - 2
      - 0
    .max_flat_workgroup_size: 256
    .name:           _ZN7rocprim17ROCPRIM_400000_NS6detail17trampoline_kernelINS0_14default_configENS1_38merge_sort_block_merge_config_selectorIhlEEZZNS1_27merge_sort_block_merge_implIS3_PhN6thrust23THRUST_200600_302600_NS10device_ptrIlEEjNS1_19radix_merge_compareILb0ELb0EhNS0_19identity_decomposerEEEEE10hipError_tT0_T1_T2_jT3_P12ihipStream_tbPNSt15iterator_traitsISG_E10value_typeEPNSM_ISH_E10value_typeEPSI_NS1_7vsmem_tEENKUlT_SG_SH_SI_E_clIS7_S7_SB_PlEESF_SV_SG_SH_SI_EUlSV_E0_NS1_11comp_targetILNS1_3genE4ELNS1_11target_archE910ELNS1_3gpuE8ELNS1_3repE0EEENS1_38merge_mergepath_config_static_selectorELNS0_4arch9wavefront6targetE1EEEvSH_
    .private_segment_fixed_size: 0
    .sgpr_count:     4
    .sgpr_spill_count: 0
    .symbol:         _ZN7rocprim17ROCPRIM_400000_NS6detail17trampoline_kernelINS0_14default_configENS1_38merge_sort_block_merge_config_selectorIhlEEZZNS1_27merge_sort_block_merge_implIS3_PhN6thrust23THRUST_200600_302600_NS10device_ptrIlEEjNS1_19radix_merge_compareILb0ELb0EhNS0_19identity_decomposerEEEEE10hipError_tT0_T1_T2_jT3_P12ihipStream_tbPNSt15iterator_traitsISG_E10value_typeEPNSM_ISH_E10value_typeEPSI_NS1_7vsmem_tEENKUlT_SG_SH_SI_E_clIS7_S7_SB_PlEESF_SV_SG_SH_SI_EUlSV_E0_NS1_11comp_targetILNS1_3genE4ELNS1_11target_archE910ELNS1_3gpuE8ELNS1_3repE0EEENS1_38merge_mergepath_config_static_selectorELNS0_4arch9wavefront6targetE1EEEvSH_.kd
    .uniform_work_group_size: 1
    .uses_dynamic_stack: false
    .vgpr_count:     0
    .vgpr_spill_count: 0
    .wavefront_size: 64
  - .args:
      - .offset:         0
        .size:           64
        .value_kind:     by_value
    .group_segment_fixed_size: 0
    .kernarg_segment_align: 8
    .kernarg_segment_size: 64
    .language:       OpenCL C
    .language_version:
      - 2
      - 0
    .max_flat_workgroup_size: 512
    .name:           _ZN7rocprim17ROCPRIM_400000_NS6detail17trampoline_kernelINS0_14default_configENS1_38merge_sort_block_merge_config_selectorIhlEEZZNS1_27merge_sort_block_merge_implIS3_PhN6thrust23THRUST_200600_302600_NS10device_ptrIlEEjNS1_19radix_merge_compareILb0ELb0EhNS0_19identity_decomposerEEEEE10hipError_tT0_T1_T2_jT3_P12ihipStream_tbPNSt15iterator_traitsISG_E10value_typeEPNSM_ISH_E10value_typeEPSI_NS1_7vsmem_tEENKUlT_SG_SH_SI_E_clIS7_S7_SB_PlEESF_SV_SG_SH_SI_EUlSV_E0_NS1_11comp_targetILNS1_3genE3ELNS1_11target_archE908ELNS1_3gpuE7ELNS1_3repE0EEENS1_38merge_mergepath_config_static_selectorELNS0_4arch9wavefront6targetE1EEEvSH_
    .private_segment_fixed_size: 0
    .sgpr_count:     4
    .sgpr_spill_count: 0
    .symbol:         _ZN7rocprim17ROCPRIM_400000_NS6detail17trampoline_kernelINS0_14default_configENS1_38merge_sort_block_merge_config_selectorIhlEEZZNS1_27merge_sort_block_merge_implIS3_PhN6thrust23THRUST_200600_302600_NS10device_ptrIlEEjNS1_19radix_merge_compareILb0ELb0EhNS0_19identity_decomposerEEEEE10hipError_tT0_T1_T2_jT3_P12ihipStream_tbPNSt15iterator_traitsISG_E10value_typeEPNSM_ISH_E10value_typeEPSI_NS1_7vsmem_tEENKUlT_SG_SH_SI_E_clIS7_S7_SB_PlEESF_SV_SG_SH_SI_EUlSV_E0_NS1_11comp_targetILNS1_3genE3ELNS1_11target_archE908ELNS1_3gpuE7ELNS1_3repE0EEENS1_38merge_mergepath_config_static_selectorELNS0_4arch9wavefront6targetE1EEEvSH_.kd
    .uniform_work_group_size: 1
    .uses_dynamic_stack: false
    .vgpr_count:     0
    .vgpr_spill_count: 0
    .wavefront_size: 64
  - .args:
      - .offset:         0
        .size:           64
        .value_kind:     by_value
      - .offset:         64
        .size:           4
        .value_kind:     hidden_block_count_x
      - .offset:         68
        .size:           4
        .value_kind:     hidden_block_count_y
      - .offset:         72
        .size:           4
        .value_kind:     hidden_block_count_z
      - .offset:         76
        .size:           2
        .value_kind:     hidden_group_size_x
      - .offset:         78
        .size:           2
        .value_kind:     hidden_group_size_y
      - .offset:         80
        .size:           2
        .value_kind:     hidden_group_size_z
      - .offset:         82
        .size:           2
        .value_kind:     hidden_remainder_x
      - .offset:         84
        .size:           2
        .value_kind:     hidden_remainder_y
      - .offset:         86
        .size:           2
        .value_kind:     hidden_remainder_z
      - .offset:         104
        .size:           8
        .value_kind:     hidden_global_offset_x
      - .offset:         112
        .size:           8
        .value_kind:     hidden_global_offset_y
      - .offset:         120
        .size:           8
        .value_kind:     hidden_global_offset_z
      - .offset:         128
        .size:           2
        .value_kind:     hidden_grid_dims
    .group_segment_fixed_size: 8448
    .kernarg_segment_align: 8
    .kernarg_segment_size: 320
    .language:       OpenCL C
    .language_version:
      - 2
      - 0
    .max_flat_workgroup_size: 256
    .name:           _ZN7rocprim17ROCPRIM_400000_NS6detail17trampoline_kernelINS0_14default_configENS1_38merge_sort_block_merge_config_selectorIhlEEZZNS1_27merge_sort_block_merge_implIS3_PhN6thrust23THRUST_200600_302600_NS10device_ptrIlEEjNS1_19radix_merge_compareILb0ELb0EhNS0_19identity_decomposerEEEEE10hipError_tT0_T1_T2_jT3_P12ihipStream_tbPNSt15iterator_traitsISG_E10value_typeEPNSM_ISH_E10value_typeEPSI_NS1_7vsmem_tEENKUlT_SG_SH_SI_E_clIS7_S7_SB_PlEESF_SV_SG_SH_SI_EUlSV_E0_NS1_11comp_targetILNS1_3genE2ELNS1_11target_archE906ELNS1_3gpuE6ELNS1_3repE0EEENS1_38merge_mergepath_config_static_selectorELNS0_4arch9wavefront6targetE1EEEvSH_
    .private_segment_fixed_size: 0
    .sgpr_count:     33
    .sgpr_spill_count: 0
    .symbol:         _ZN7rocprim17ROCPRIM_400000_NS6detail17trampoline_kernelINS0_14default_configENS1_38merge_sort_block_merge_config_selectorIhlEEZZNS1_27merge_sort_block_merge_implIS3_PhN6thrust23THRUST_200600_302600_NS10device_ptrIlEEjNS1_19radix_merge_compareILb0ELb0EhNS0_19identity_decomposerEEEEE10hipError_tT0_T1_T2_jT3_P12ihipStream_tbPNSt15iterator_traitsISG_E10value_typeEPNSM_ISH_E10value_typeEPSI_NS1_7vsmem_tEENKUlT_SG_SH_SI_E_clIS7_S7_SB_PlEESF_SV_SG_SH_SI_EUlSV_E0_NS1_11comp_targetILNS1_3genE2ELNS1_11target_archE906ELNS1_3gpuE6ELNS1_3repE0EEENS1_38merge_mergepath_config_static_selectorELNS0_4arch9wavefront6targetE1EEEvSH_.kd
    .uniform_work_group_size: 1
    .uses_dynamic_stack: false
    .vgpr_count:     35
    .vgpr_spill_count: 0
    .wavefront_size: 64
  - .args:
      - .offset:         0
        .size:           64
        .value_kind:     by_value
    .group_segment_fixed_size: 0
    .kernarg_segment_align: 8
    .kernarg_segment_size: 64
    .language:       OpenCL C
    .language_version:
      - 2
      - 0
    .max_flat_workgroup_size: 512
    .name:           _ZN7rocprim17ROCPRIM_400000_NS6detail17trampoline_kernelINS0_14default_configENS1_38merge_sort_block_merge_config_selectorIhlEEZZNS1_27merge_sort_block_merge_implIS3_PhN6thrust23THRUST_200600_302600_NS10device_ptrIlEEjNS1_19radix_merge_compareILb0ELb0EhNS0_19identity_decomposerEEEEE10hipError_tT0_T1_T2_jT3_P12ihipStream_tbPNSt15iterator_traitsISG_E10value_typeEPNSM_ISH_E10value_typeEPSI_NS1_7vsmem_tEENKUlT_SG_SH_SI_E_clIS7_S7_SB_PlEESF_SV_SG_SH_SI_EUlSV_E0_NS1_11comp_targetILNS1_3genE9ELNS1_11target_archE1100ELNS1_3gpuE3ELNS1_3repE0EEENS1_38merge_mergepath_config_static_selectorELNS0_4arch9wavefront6targetE1EEEvSH_
    .private_segment_fixed_size: 0
    .sgpr_count:     4
    .sgpr_spill_count: 0
    .symbol:         _ZN7rocprim17ROCPRIM_400000_NS6detail17trampoline_kernelINS0_14default_configENS1_38merge_sort_block_merge_config_selectorIhlEEZZNS1_27merge_sort_block_merge_implIS3_PhN6thrust23THRUST_200600_302600_NS10device_ptrIlEEjNS1_19radix_merge_compareILb0ELb0EhNS0_19identity_decomposerEEEEE10hipError_tT0_T1_T2_jT3_P12ihipStream_tbPNSt15iterator_traitsISG_E10value_typeEPNSM_ISH_E10value_typeEPSI_NS1_7vsmem_tEENKUlT_SG_SH_SI_E_clIS7_S7_SB_PlEESF_SV_SG_SH_SI_EUlSV_E0_NS1_11comp_targetILNS1_3genE9ELNS1_11target_archE1100ELNS1_3gpuE3ELNS1_3repE0EEENS1_38merge_mergepath_config_static_selectorELNS0_4arch9wavefront6targetE1EEEvSH_.kd
    .uniform_work_group_size: 1
    .uses_dynamic_stack: false
    .vgpr_count:     0
    .vgpr_spill_count: 0
    .wavefront_size: 64
  - .args:
      - .offset:         0
        .size:           64
        .value_kind:     by_value
    .group_segment_fixed_size: 0
    .kernarg_segment_align: 8
    .kernarg_segment_size: 64
    .language:       OpenCL C
    .language_version:
      - 2
      - 0
    .max_flat_workgroup_size: 1024
    .name:           _ZN7rocprim17ROCPRIM_400000_NS6detail17trampoline_kernelINS0_14default_configENS1_38merge_sort_block_merge_config_selectorIhlEEZZNS1_27merge_sort_block_merge_implIS3_PhN6thrust23THRUST_200600_302600_NS10device_ptrIlEEjNS1_19radix_merge_compareILb0ELb0EhNS0_19identity_decomposerEEEEE10hipError_tT0_T1_T2_jT3_P12ihipStream_tbPNSt15iterator_traitsISG_E10value_typeEPNSM_ISH_E10value_typeEPSI_NS1_7vsmem_tEENKUlT_SG_SH_SI_E_clIS7_S7_SB_PlEESF_SV_SG_SH_SI_EUlSV_E0_NS1_11comp_targetILNS1_3genE8ELNS1_11target_archE1030ELNS1_3gpuE2ELNS1_3repE0EEENS1_38merge_mergepath_config_static_selectorELNS0_4arch9wavefront6targetE1EEEvSH_
    .private_segment_fixed_size: 0
    .sgpr_count:     4
    .sgpr_spill_count: 0
    .symbol:         _ZN7rocprim17ROCPRIM_400000_NS6detail17trampoline_kernelINS0_14default_configENS1_38merge_sort_block_merge_config_selectorIhlEEZZNS1_27merge_sort_block_merge_implIS3_PhN6thrust23THRUST_200600_302600_NS10device_ptrIlEEjNS1_19radix_merge_compareILb0ELb0EhNS0_19identity_decomposerEEEEE10hipError_tT0_T1_T2_jT3_P12ihipStream_tbPNSt15iterator_traitsISG_E10value_typeEPNSM_ISH_E10value_typeEPSI_NS1_7vsmem_tEENKUlT_SG_SH_SI_E_clIS7_S7_SB_PlEESF_SV_SG_SH_SI_EUlSV_E0_NS1_11comp_targetILNS1_3genE8ELNS1_11target_archE1030ELNS1_3gpuE2ELNS1_3repE0EEENS1_38merge_mergepath_config_static_selectorELNS0_4arch9wavefront6targetE1EEEvSH_.kd
    .uniform_work_group_size: 1
    .uses_dynamic_stack: false
    .vgpr_count:     0
    .vgpr_spill_count: 0
    .wavefront_size: 64
  - .args:
      - .offset:         0
        .size:           48
        .value_kind:     by_value
    .group_segment_fixed_size: 0
    .kernarg_segment_align: 8
    .kernarg_segment_size: 48
    .language:       OpenCL C
    .language_version:
      - 2
      - 0
    .max_flat_workgroup_size: 256
    .name:           _ZN7rocprim17ROCPRIM_400000_NS6detail17trampoline_kernelINS0_14default_configENS1_38merge_sort_block_merge_config_selectorIhlEEZZNS1_27merge_sort_block_merge_implIS3_PhN6thrust23THRUST_200600_302600_NS10device_ptrIlEEjNS1_19radix_merge_compareILb0ELb0EhNS0_19identity_decomposerEEEEE10hipError_tT0_T1_T2_jT3_P12ihipStream_tbPNSt15iterator_traitsISG_E10value_typeEPNSM_ISH_E10value_typeEPSI_NS1_7vsmem_tEENKUlT_SG_SH_SI_E_clIS7_S7_SB_PlEESF_SV_SG_SH_SI_EUlSV_E1_NS1_11comp_targetILNS1_3genE0ELNS1_11target_archE4294967295ELNS1_3gpuE0ELNS1_3repE0EEENS1_36merge_oddeven_config_static_selectorELNS0_4arch9wavefront6targetE1EEEvSH_
    .private_segment_fixed_size: 0
    .sgpr_count:     4
    .sgpr_spill_count: 0
    .symbol:         _ZN7rocprim17ROCPRIM_400000_NS6detail17trampoline_kernelINS0_14default_configENS1_38merge_sort_block_merge_config_selectorIhlEEZZNS1_27merge_sort_block_merge_implIS3_PhN6thrust23THRUST_200600_302600_NS10device_ptrIlEEjNS1_19radix_merge_compareILb0ELb0EhNS0_19identity_decomposerEEEEE10hipError_tT0_T1_T2_jT3_P12ihipStream_tbPNSt15iterator_traitsISG_E10value_typeEPNSM_ISH_E10value_typeEPSI_NS1_7vsmem_tEENKUlT_SG_SH_SI_E_clIS7_S7_SB_PlEESF_SV_SG_SH_SI_EUlSV_E1_NS1_11comp_targetILNS1_3genE0ELNS1_11target_archE4294967295ELNS1_3gpuE0ELNS1_3repE0EEENS1_36merge_oddeven_config_static_selectorELNS0_4arch9wavefront6targetE1EEEvSH_.kd
    .uniform_work_group_size: 1
    .uses_dynamic_stack: false
    .vgpr_count:     0
    .vgpr_spill_count: 0
    .wavefront_size: 64
  - .args:
      - .offset:         0
        .size:           48
        .value_kind:     by_value
    .group_segment_fixed_size: 0
    .kernarg_segment_align: 8
    .kernarg_segment_size: 48
    .language:       OpenCL C
    .language_version:
      - 2
      - 0
    .max_flat_workgroup_size: 256
    .name:           _ZN7rocprim17ROCPRIM_400000_NS6detail17trampoline_kernelINS0_14default_configENS1_38merge_sort_block_merge_config_selectorIhlEEZZNS1_27merge_sort_block_merge_implIS3_PhN6thrust23THRUST_200600_302600_NS10device_ptrIlEEjNS1_19radix_merge_compareILb0ELb0EhNS0_19identity_decomposerEEEEE10hipError_tT0_T1_T2_jT3_P12ihipStream_tbPNSt15iterator_traitsISG_E10value_typeEPNSM_ISH_E10value_typeEPSI_NS1_7vsmem_tEENKUlT_SG_SH_SI_E_clIS7_S7_SB_PlEESF_SV_SG_SH_SI_EUlSV_E1_NS1_11comp_targetILNS1_3genE10ELNS1_11target_archE1201ELNS1_3gpuE5ELNS1_3repE0EEENS1_36merge_oddeven_config_static_selectorELNS0_4arch9wavefront6targetE1EEEvSH_
    .private_segment_fixed_size: 0
    .sgpr_count:     4
    .sgpr_spill_count: 0
    .symbol:         _ZN7rocprim17ROCPRIM_400000_NS6detail17trampoline_kernelINS0_14default_configENS1_38merge_sort_block_merge_config_selectorIhlEEZZNS1_27merge_sort_block_merge_implIS3_PhN6thrust23THRUST_200600_302600_NS10device_ptrIlEEjNS1_19radix_merge_compareILb0ELb0EhNS0_19identity_decomposerEEEEE10hipError_tT0_T1_T2_jT3_P12ihipStream_tbPNSt15iterator_traitsISG_E10value_typeEPNSM_ISH_E10value_typeEPSI_NS1_7vsmem_tEENKUlT_SG_SH_SI_E_clIS7_S7_SB_PlEESF_SV_SG_SH_SI_EUlSV_E1_NS1_11comp_targetILNS1_3genE10ELNS1_11target_archE1201ELNS1_3gpuE5ELNS1_3repE0EEENS1_36merge_oddeven_config_static_selectorELNS0_4arch9wavefront6targetE1EEEvSH_.kd
    .uniform_work_group_size: 1
    .uses_dynamic_stack: false
    .vgpr_count:     0
    .vgpr_spill_count: 0
    .wavefront_size: 64
  - .args:
      - .offset:         0
        .size:           48
        .value_kind:     by_value
    .group_segment_fixed_size: 0
    .kernarg_segment_align: 8
    .kernarg_segment_size: 48
    .language:       OpenCL C
    .language_version:
      - 2
      - 0
    .max_flat_workgroup_size: 256
    .name:           _ZN7rocprim17ROCPRIM_400000_NS6detail17trampoline_kernelINS0_14default_configENS1_38merge_sort_block_merge_config_selectorIhlEEZZNS1_27merge_sort_block_merge_implIS3_PhN6thrust23THRUST_200600_302600_NS10device_ptrIlEEjNS1_19radix_merge_compareILb0ELb0EhNS0_19identity_decomposerEEEEE10hipError_tT0_T1_T2_jT3_P12ihipStream_tbPNSt15iterator_traitsISG_E10value_typeEPNSM_ISH_E10value_typeEPSI_NS1_7vsmem_tEENKUlT_SG_SH_SI_E_clIS7_S7_SB_PlEESF_SV_SG_SH_SI_EUlSV_E1_NS1_11comp_targetILNS1_3genE5ELNS1_11target_archE942ELNS1_3gpuE9ELNS1_3repE0EEENS1_36merge_oddeven_config_static_selectorELNS0_4arch9wavefront6targetE1EEEvSH_
    .private_segment_fixed_size: 0
    .sgpr_count:     4
    .sgpr_spill_count: 0
    .symbol:         _ZN7rocprim17ROCPRIM_400000_NS6detail17trampoline_kernelINS0_14default_configENS1_38merge_sort_block_merge_config_selectorIhlEEZZNS1_27merge_sort_block_merge_implIS3_PhN6thrust23THRUST_200600_302600_NS10device_ptrIlEEjNS1_19radix_merge_compareILb0ELb0EhNS0_19identity_decomposerEEEEE10hipError_tT0_T1_T2_jT3_P12ihipStream_tbPNSt15iterator_traitsISG_E10value_typeEPNSM_ISH_E10value_typeEPSI_NS1_7vsmem_tEENKUlT_SG_SH_SI_E_clIS7_S7_SB_PlEESF_SV_SG_SH_SI_EUlSV_E1_NS1_11comp_targetILNS1_3genE5ELNS1_11target_archE942ELNS1_3gpuE9ELNS1_3repE0EEENS1_36merge_oddeven_config_static_selectorELNS0_4arch9wavefront6targetE1EEEvSH_.kd
    .uniform_work_group_size: 1
    .uses_dynamic_stack: false
    .vgpr_count:     0
    .vgpr_spill_count: 0
    .wavefront_size: 64
  - .args:
      - .offset:         0
        .size:           48
        .value_kind:     by_value
    .group_segment_fixed_size: 0
    .kernarg_segment_align: 8
    .kernarg_segment_size: 48
    .language:       OpenCL C
    .language_version:
      - 2
      - 0
    .max_flat_workgroup_size: 256
    .name:           _ZN7rocprim17ROCPRIM_400000_NS6detail17trampoline_kernelINS0_14default_configENS1_38merge_sort_block_merge_config_selectorIhlEEZZNS1_27merge_sort_block_merge_implIS3_PhN6thrust23THRUST_200600_302600_NS10device_ptrIlEEjNS1_19radix_merge_compareILb0ELb0EhNS0_19identity_decomposerEEEEE10hipError_tT0_T1_T2_jT3_P12ihipStream_tbPNSt15iterator_traitsISG_E10value_typeEPNSM_ISH_E10value_typeEPSI_NS1_7vsmem_tEENKUlT_SG_SH_SI_E_clIS7_S7_SB_PlEESF_SV_SG_SH_SI_EUlSV_E1_NS1_11comp_targetILNS1_3genE4ELNS1_11target_archE910ELNS1_3gpuE8ELNS1_3repE0EEENS1_36merge_oddeven_config_static_selectorELNS0_4arch9wavefront6targetE1EEEvSH_
    .private_segment_fixed_size: 0
    .sgpr_count:     4
    .sgpr_spill_count: 0
    .symbol:         _ZN7rocprim17ROCPRIM_400000_NS6detail17trampoline_kernelINS0_14default_configENS1_38merge_sort_block_merge_config_selectorIhlEEZZNS1_27merge_sort_block_merge_implIS3_PhN6thrust23THRUST_200600_302600_NS10device_ptrIlEEjNS1_19radix_merge_compareILb0ELb0EhNS0_19identity_decomposerEEEEE10hipError_tT0_T1_T2_jT3_P12ihipStream_tbPNSt15iterator_traitsISG_E10value_typeEPNSM_ISH_E10value_typeEPSI_NS1_7vsmem_tEENKUlT_SG_SH_SI_E_clIS7_S7_SB_PlEESF_SV_SG_SH_SI_EUlSV_E1_NS1_11comp_targetILNS1_3genE4ELNS1_11target_archE910ELNS1_3gpuE8ELNS1_3repE0EEENS1_36merge_oddeven_config_static_selectorELNS0_4arch9wavefront6targetE1EEEvSH_.kd
    .uniform_work_group_size: 1
    .uses_dynamic_stack: false
    .vgpr_count:     0
    .vgpr_spill_count: 0
    .wavefront_size: 64
  - .args:
      - .offset:         0
        .size:           48
        .value_kind:     by_value
    .group_segment_fixed_size: 0
    .kernarg_segment_align: 8
    .kernarg_segment_size: 48
    .language:       OpenCL C
    .language_version:
      - 2
      - 0
    .max_flat_workgroup_size: 256
    .name:           _ZN7rocprim17ROCPRIM_400000_NS6detail17trampoline_kernelINS0_14default_configENS1_38merge_sort_block_merge_config_selectorIhlEEZZNS1_27merge_sort_block_merge_implIS3_PhN6thrust23THRUST_200600_302600_NS10device_ptrIlEEjNS1_19radix_merge_compareILb0ELb0EhNS0_19identity_decomposerEEEEE10hipError_tT0_T1_T2_jT3_P12ihipStream_tbPNSt15iterator_traitsISG_E10value_typeEPNSM_ISH_E10value_typeEPSI_NS1_7vsmem_tEENKUlT_SG_SH_SI_E_clIS7_S7_SB_PlEESF_SV_SG_SH_SI_EUlSV_E1_NS1_11comp_targetILNS1_3genE3ELNS1_11target_archE908ELNS1_3gpuE7ELNS1_3repE0EEENS1_36merge_oddeven_config_static_selectorELNS0_4arch9wavefront6targetE1EEEvSH_
    .private_segment_fixed_size: 0
    .sgpr_count:     4
    .sgpr_spill_count: 0
    .symbol:         _ZN7rocprim17ROCPRIM_400000_NS6detail17trampoline_kernelINS0_14default_configENS1_38merge_sort_block_merge_config_selectorIhlEEZZNS1_27merge_sort_block_merge_implIS3_PhN6thrust23THRUST_200600_302600_NS10device_ptrIlEEjNS1_19radix_merge_compareILb0ELb0EhNS0_19identity_decomposerEEEEE10hipError_tT0_T1_T2_jT3_P12ihipStream_tbPNSt15iterator_traitsISG_E10value_typeEPNSM_ISH_E10value_typeEPSI_NS1_7vsmem_tEENKUlT_SG_SH_SI_E_clIS7_S7_SB_PlEESF_SV_SG_SH_SI_EUlSV_E1_NS1_11comp_targetILNS1_3genE3ELNS1_11target_archE908ELNS1_3gpuE7ELNS1_3repE0EEENS1_36merge_oddeven_config_static_selectorELNS0_4arch9wavefront6targetE1EEEvSH_.kd
    .uniform_work_group_size: 1
    .uses_dynamic_stack: false
    .vgpr_count:     0
    .vgpr_spill_count: 0
    .wavefront_size: 64
  - .args:
      - .offset:         0
        .size:           48
        .value_kind:     by_value
    .group_segment_fixed_size: 0
    .kernarg_segment_align: 8
    .kernarg_segment_size: 48
    .language:       OpenCL C
    .language_version:
      - 2
      - 0
    .max_flat_workgroup_size: 256
    .name:           _ZN7rocprim17ROCPRIM_400000_NS6detail17trampoline_kernelINS0_14default_configENS1_38merge_sort_block_merge_config_selectorIhlEEZZNS1_27merge_sort_block_merge_implIS3_PhN6thrust23THRUST_200600_302600_NS10device_ptrIlEEjNS1_19radix_merge_compareILb0ELb0EhNS0_19identity_decomposerEEEEE10hipError_tT0_T1_T2_jT3_P12ihipStream_tbPNSt15iterator_traitsISG_E10value_typeEPNSM_ISH_E10value_typeEPSI_NS1_7vsmem_tEENKUlT_SG_SH_SI_E_clIS7_S7_SB_PlEESF_SV_SG_SH_SI_EUlSV_E1_NS1_11comp_targetILNS1_3genE2ELNS1_11target_archE906ELNS1_3gpuE6ELNS1_3repE0EEENS1_36merge_oddeven_config_static_selectorELNS0_4arch9wavefront6targetE1EEEvSH_
    .private_segment_fixed_size: 0
    .sgpr_count:     26
    .sgpr_spill_count: 0
    .symbol:         _ZN7rocprim17ROCPRIM_400000_NS6detail17trampoline_kernelINS0_14default_configENS1_38merge_sort_block_merge_config_selectorIhlEEZZNS1_27merge_sort_block_merge_implIS3_PhN6thrust23THRUST_200600_302600_NS10device_ptrIlEEjNS1_19radix_merge_compareILb0ELb0EhNS0_19identity_decomposerEEEEE10hipError_tT0_T1_T2_jT3_P12ihipStream_tbPNSt15iterator_traitsISG_E10value_typeEPNSM_ISH_E10value_typeEPSI_NS1_7vsmem_tEENKUlT_SG_SH_SI_E_clIS7_S7_SB_PlEESF_SV_SG_SH_SI_EUlSV_E1_NS1_11comp_targetILNS1_3genE2ELNS1_11target_archE906ELNS1_3gpuE6ELNS1_3repE0EEENS1_36merge_oddeven_config_static_selectorELNS0_4arch9wavefront6targetE1EEEvSH_.kd
    .uniform_work_group_size: 1
    .uses_dynamic_stack: false
    .vgpr_count:     10
    .vgpr_spill_count: 0
    .wavefront_size: 64
  - .args:
      - .offset:         0
        .size:           48
        .value_kind:     by_value
    .group_segment_fixed_size: 0
    .kernarg_segment_align: 8
    .kernarg_segment_size: 48
    .language:       OpenCL C
    .language_version:
      - 2
      - 0
    .max_flat_workgroup_size: 256
    .name:           _ZN7rocprim17ROCPRIM_400000_NS6detail17trampoline_kernelINS0_14default_configENS1_38merge_sort_block_merge_config_selectorIhlEEZZNS1_27merge_sort_block_merge_implIS3_PhN6thrust23THRUST_200600_302600_NS10device_ptrIlEEjNS1_19radix_merge_compareILb0ELb0EhNS0_19identity_decomposerEEEEE10hipError_tT0_T1_T2_jT3_P12ihipStream_tbPNSt15iterator_traitsISG_E10value_typeEPNSM_ISH_E10value_typeEPSI_NS1_7vsmem_tEENKUlT_SG_SH_SI_E_clIS7_S7_SB_PlEESF_SV_SG_SH_SI_EUlSV_E1_NS1_11comp_targetILNS1_3genE9ELNS1_11target_archE1100ELNS1_3gpuE3ELNS1_3repE0EEENS1_36merge_oddeven_config_static_selectorELNS0_4arch9wavefront6targetE1EEEvSH_
    .private_segment_fixed_size: 0
    .sgpr_count:     4
    .sgpr_spill_count: 0
    .symbol:         _ZN7rocprim17ROCPRIM_400000_NS6detail17trampoline_kernelINS0_14default_configENS1_38merge_sort_block_merge_config_selectorIhlEEZZNS1_27merge_sort_block_merge_implIS3_PhN6thrust23THRUST_200600_302600_NS10device_ptrIlEEjNS1_19radix_merge_compareILb0ELb0EhNS0_19identity_decomposerEEEEE10hipError_tT0_T1_T2_jT3_P12ihipStream_tbPNSt15iterator_traitsISG_E10value_typeEPNSM_ISH_E10value_typeEPSI_NS1_7vsmem_tEENKUlT_SG_SH_SI_E_clIS7_S7_SB_PlEESF_SV_SG_SH_SI_EUlSV_E1_NS1_11comp_targetILNS1_3genE9ELNS1_11target_archE1100ELNS1_3gpuE3ELNS1_3repE0EEENS1_36merge_oddeven_config_static_selectorELNS0_4arch9wavefront6targetE1EEEvSH_.kd
    .uniform_work_group_size: 1
    .uses_dynamic_stack: false
    .vgpr_count:     0
    .vgpr_spill_count: 0
    .wavefront_size: 64
  - .args:
      - .offset:         0
        .size:           48
        .value_kind:     by_value
    .group_segment_fixed_size: 0
    .kernarg_segment_align: 8
    .kernarg_segment_size: 48
    .language:       OpenCL C
    .language_version:
      - 2
      - 0
    .max_flat_workgroup_size: 256
    .name:           _ZN7rocprim17ROCPRIM_400000_NS6detail17trampoline_kernelINS0_14default_configENS1_38merge_sort_block_merge_config_selectorIhlEEZZNS1_27merge_sort_block_merge_implIS3_PhN6thrust23THRUST_200600_302600_NS10device_ptrIlEEjNS1_19radix_merge_compareILb0ELb0EhNS0_19identity_decomposerEEEEE10hipError_tT0_T1_T2_jT3_P12ihipStream_tbPNSt15iterator_traitsISG_E10value_typeEPNSM_ISH_E10value_typeEPSI_NS1_7vsmem_tEENKUlT_SG_SH_SI_E_clIS7_S7_SB_PlEESF_SV_SG_SH_SI_EUlSV_E1_NS1_11comp_targetILNS1_3genE8ELNS1_11target_archE1030ELNS1_3gpuE2ELNS1_3repE0EEENS1_36merge_oddeven_config_static_selectorELNS0_4arch9wavefront6targetE1EEEvSH_
    .private_segment_fixed_size: 0
    .sgpr_count:     4
    .sgpr_spill_count: 0
    .symbol:         _ZN7rocprim17ROCPRIM_400000_NS6detail17trampoline_kernelINS0_14default_configENS1_38merge_sort_block_merge_config_selectorIhlEEZZNS1_27merge_sort_block_merge_implIS3_PhN6thrust23THRUST_200600_302600_NS10device_ptrIlEEjNS1_19radix_merge_compareILb0ELb0EhNS0_19identity_decomposerEEEEE10hipError_tT0_T1_T2_jT3_P12ihipStream_tbPNSt15iterator_traitsISG_E10value_typeEPNSM_ISH_E10value_typeEPSI_NS1_7vsmem_tEENKUlT_SG_SH_SI_E_clIS7_S7_SB_PlEESF_SV_SG_SH_SI_EUlSV_E1_NS1_11comp_targetILNS1_3genE8ELNS1_11target_archE1030ELNS1_3gpuE2ELNS1_3repE0EEENS1_36merge_oddeven_config_static_selectorELNS0_4arch9wavefront6targetE1EEEvSH_.kd
    .uniform_work_group_size: 1
    .uses_dynamic_stack: false
    .vgpr_count:     0
    .vgpr_spill_count: 0
    .wavefront_size: 64
  - .args:
      - .offset:         0
        .size:           40
        .value_kind:     by_value
    .group_segment_fixed_size: 0
    .kernarg_segment_align: 8
    .kernarg_segment_size: 40
    .language:       OpenCL C
    .language_version:
      - 2
      - 0
    .max_flat_workgroup_size: 128
    .name:           _ZN7rocprim17ROCPRIM_400000_NS6detail17trampoline_kernelINS0_14default_configENS1_25transform_config_selectorIhLb1EEEZNS1_14transform_implILb1ES3_S5_PhS7_NS0_8identityIhEEEE10hipError_tT2_T3_mT4_P12ihipStream_tbEUlT_E_NS1_11comp_targetILNS1_3genE0ELNS1_11target_archE4294967295ELNS1_3gpuE0ELNS1_3repE0EEENS1_30default_config_static_selectorELNS0_4arch9wavefront6targetE1EEEvT1_
    .private_segment_fixed_size: 0
    .sgpr_count:     4
    .sgpr_spill_count: 0
    .symbol:         _ZN7rocprim17ROCPRIM_400000_NS6detail17trampoline_kernelINS0_14default_configENS1_25transform_config_selectorIhLb1EEEZNS1_14transform_implILb1ES3_S5_PhS7_NS0_8identityIhEEEE10hipError_tT2_T3_mT4_P12ihipStream_tbEUlT_E_NS1_11comp_targetILNS1_3genE0ELNS1_11target_archE4294967295ELNS1_3gpuE0ELNS1_3repE0EEENS1_30default_config_static_selectorELNS0_4arch9wavefront6targetE1EEEvT1_.kd
    .uniform_work_group_size: 1
    .uses_dynamic_stack: false
    .vgpr_count:     0
    .vgpr_spill_count: 0
    .wavefront_size: 64
  - .args:
      - .offset:         0
        .size:           40
        .value_kind:     by_value
    .group_segment_fixed_size: 0
    .kernarg_segment_align: 8
    .kernarg_segment_size: 40
    .language:       OpenCL C
    .language_version:
      - 2
      - 0
    .max_flat_workgroup_size: 1024
    .name:           _ZN7rocprim17ROCPRIM_400000_NS6detail17trampoline_kernelINS0_14default_configENS1_25transform_config_selectorIhLb1EEEZNS1_14transform_implILb1ES3_S5_PhS7_NS0_8identityIhEEEE10hipError_tT2_T3_mT4_P12ihipStream_tbEUlT_E_NS1_11comp_targetILNS1_3genE10ELNS1_11target_archE1201ELNS1_3gpuE5ELNS1_3repE0EEENS1_30default_config_static_selectorELNS0_4arch9wavefront6targetE1EEEvT1_
    .private_segment_fixed_size: 0
    .sgpr_count:     4
    .sgpr_spill_count: 0
    .symbol:         _ZN7rocprim17ROCPRIM_400000_NS6detail17trampoline_kernelINS0_14default_configENS1_25transform_config_selectorIhLb1EEEZNS1_14transform_implILb1ES3_S5_PhS7_NS0_8identityIhEEEE10hipError_tT2_T3_mT4_P12ihipStream_tbEUlT_E_NS1_11comp_targetILNS1_3genE10ELNS1_11target_archE1201ELNS1_3gpuE5ELNS1_3repE0EEENS1_30default_config_static_selectorELNS0_4arch9wavefront6targetE1EEEvT1_.kd
    .uniform_work_group_size: 1
    .uses_dynamic_stack: false
    .vgpr_count:     0
    .vgpr_spill_count: 0
    .wavefront_size: 64
  - .args:
      - .offset:         0
        .size:           40
        .value_kind:     by_value
    .group_segment_fixed_size: 0
    .kernarg_segment_align: 8
    .kernarg_segment_size: 40
    .language:       OpenCL C
    .language_version:
      - 2
      - 0
    .max_flat_workgroup_size: 256
    .name:           _ZN7rocprim17ROCPRIM_400000_NS6detail17trampoline_kernelINS0_14default_configENS1_25transform_config_selectorIhLb1EEEZNS1_14transform_implILb1ES3_S5_PhS7_NS0_8identityIhEEEE10hipError_tT2_T3_mT4_P12ihipStream_tbEUlT_E_NS1_11comp_targetILNS1_3genE5ELNS1_11target_archE942ELNS1_3gpuE9ELNS1_3repE0EEENS1_30default_config_static_selectorELNS0_4arch9wavefront6targetE1EEEvT1_
    .private_segment_fixed_size: 0
    .sgpr_count:     4
    .sgpr_spill_count: 0
    .symbol:         _ZN7rocprim17ROCPRIM_400000_NS6detail17trampoline_kernelINS0_14default_configENS1_25transform_config_selectorIhLb1EEEZNS1_14transform_implILb1ES3_S5_PhS7_NS0_8identityIhEEEE10hipError_tT2_T3_mT4_P12ihipStream_tbEUlT_E_NS1_11comp_targetILNS1_3genE5ELNS1_11target_archE942ELNS1_3gpuE9ELNS1_3repE0EEENS1_30default_config_static_selectorELNS0_4arch9wavefront6targetE1EEEvT1_.kd
    .uniform_work_group_size: 1
    .uses_dynamic_stack: false
    .vgpr_count:     0
    .vgpr_spill_count: 0
    .wavefront_size: 64
  - .args:
      - .offset:         0
        .size:           40
        .value_kind:     by_value
    .group_segment_fixed_size: 0
    .kernarg_segment_align: 8
    .kernarg_segment_size: 40
    .language:       OpenCL C
    .language_version:
      - 2
      - 0
    .max_flat_workgroup_size: 1024
    .name:           _ZN7rocprim17ROCPRIM_400000_NS6detail17trampoline_kernelINS0_14default_configENS1_25transform_config_selectorIhLb1EEEZNS1_14transform_implILb1ES3_S5_PhS7_NS0_8identityIhEEEE10hipError_tT2_T3_mT4_P12ihipStream_tbEUlT_E_NS1_11comp_targetILNS1_3genE4ELNS1_11target_archE910ELNS1_3gpuE8ELNS1_3repE0EEENS1_30default_config_static_selectorELNS0_4arch9wavefront6targetE1EEEvT1_
    .private_segment_fixed_size: 0
    .sgpr_count:     4
    .sgpr_spill_count: 0
    .symbol:         _ZN7rocprim17ROCPRIM_400000_NS6detail17trampoline_kernelINS0_14default_configENS1_25transform_config_selectorIhLb1EEEZNS1_14transform_implILb1ES3_S5_PhS7_NS0_8identityIhEEEE10hipError_tT2_T3_mT4_P12ihipStream_tbEUlT_E_NS1_11comp_targetILNS1_3genE4ELNS1_11target_archE910ELNS1_3gpuE8ELNS1_3repE0EEENS1_30default_config_static_selectorELNS0_4arch9wavefront6targetE1EEEvT1_.kd
    .uniform_work_group_size: 1
    .uses_dynamic_stack: false
    .vgpr_count:     0
    .vgpr_spill_count: 0
    .wavefront_size: 64
  - .args:
      - .offset:         0
        .size:           40
        .value_kind:     by_value
    .group_segment_fixed_size: 0
    .kernarg_segment_align: 8
    .kernarg_segment_size: 40
    .language:       OpenCL C
    .language_version:
      - 2
      - 0
    .max_flat_workgroup_size: 128
    .name:           _ZN7rocprim17ROCPRIM_400000_NS6detail17trampoline_kernelINS0_14default_configENS1_25transform_config_selectorIhLb1EEEZNS1_14transform_implILb1ES3_S5_PhS7_NS0_8identityIhEEEE10hipError_tT2_T3_mT4_P12ihipStream_tbEUlT_E_NS1_11comp_targetILNS1_3genE3ELNS1_11target_archE908ELNS1_3gpuE7ELNS1_3repE0EEENS1_30default_config_static_selectorELNS0_4arch9wavefront6targetE1EEEvT1_
    .private_segment_fixed_size: 0
    .sgpr_count:     4
    .sgpr_spill_count: 0
    .symbol:         _ZN7rocprim17ROCPRIM_400000_NS6detail17trampoline_kernelINS0_14default_configENS1_25transform_config_selectorIhLb1EEEZNS1_14transform_implILb1ES3_S5_PhS7_NS0_8identityIhEEEE10hipError_tT2_T3_mT4_P12ihipStream_tbEUlT_E_NS1_11comp_targetILNS1_3genE3ELNS1_11target_archE908ELNS1_3gpuE7ELNS1_3repE0EEENS1_30default_config_static_selectorELNS0_4arch9wavefront6targetE1EEEvT1_.kd
    .uniform_work_group_size: 1
    .uses_dynamic_stack: false
    .vgpr_count:     0
    .vgpr_spill_count: 0
    .wavefront_size: 64
  - .args:
      - .offset:         0
        .size:           40
        .value_kind:     by_value
      - .offset:         40
        .size:           4
        .value_kind:     hidden_block_count_x
      - .offset:         44
        .size:           4
        .value_kind:     hidden_block_count_y
      - .offset:         48
        .size:           4
        .value_kind:     hidden_block_count_z
      - .offset:         52
        .size:           2
        .value_kind:     hidden_group_size_x
      - .offset:         54
        .size:           2
        .value_kind:     hidden_group_size_y
      - .offset:         56
        .size:           2
        .value_kind:     hidden_group_size_z
      - .offset:         58
        .size:           2
        .value_kind:     hidden_remainder_x
      - .offset:         60
        .size:           2
        .value_kind:     hidden_remainder_y
      - .offset:         62
        .size:           2
        .value_kind:     hidden_remainder_z
      - .offset:         80
        .size:           8
        .value_kind:     hidden_global_offset_x
      - .offset:         88
        .size:           8
        .value_kind:     hidden_global_offset_y
      - .offset:         96
        .size:           8
        .value_kind:     hidden_global_offset_z
      - .offset:         104
        .size:           2
        .value_kind:     hidden_grid_dims
    .group_segment_fixed_size: 0
    .kernarg_segment_align: 8
    .kernarg_segment_size: 296
    .language:       OpenCL C
    .language_version:
      - 2
      - 0
    .max_flat_workgroup_size: 512
    .name:           _ZN7rocprim17ROCPRIM_400000_NS6detail17trampoline_kernelINS0_14default_configENS1_25transform_config_selectorIhLb1EEEZNS1_14transform_implILb1ES3_S5_PhS7_NS0_8identityIhEEEE10hipError_tT2_T3_mT4_P12ihipStream_tbEUlT_E_NS1_11comp_targetILNS1_3genE2ELNS1_11target_archE906ELNS1_3gpuE6ELNS1_3repE0EEENS1_30default_config_static_selectorELNS0_4arch9wavefront6targetE1EEEvT1_
    .private_segment_fixed_size: 0
    .sgpr_count:     27
    .sgpr_spill_count: 0
    .symbol:         _ZN7rocprim17ROCPRIM_400000_NS6detail17trampoline_kernelINS0_14default_configENS1_25transform_config_selectorIhLb1EEEZNS1_14transform_implILb1ES3_S5_PhS7_NS0_8identityIhEEEE10hipError_tT2_T3_mT4_P12ihipStream_tbEUlT_E_NS1_11comp_targetILNS1_3genE2ELNS1_11target_archE906ELNS1_3gpuE6ELNS1_3repE0EEENS1_30default_config_static_selectorELNS0_4arch9wavefront6targetE1EEEvT1_.kd
    .uniform_work_group_size: 1
    .uses_dynamic_stack: false
    .vgpr_count:     16
    .vgpr_spill_count: 0
    .wavefront_size: 64
  - .args:
      - .offset:         0
        .size:           40
        .value_kind:     by_value
    .group_segment_fixed_size: 0
    .kernarg_segment_align: 8
    .kernarg_segment_size: 40
    .language:       OpenCL C
    .language_version:
      - 2
      - 0
    .max_flat_workgroup_size: 1024
    .name:           _ZN7rocprim17ROCPRIM_400000_NS6detail17trampoline_kernelINS0_14default_configENS1_25transform_config_selectorIhLb1EEEZNS1_14transform_implILb1ES3_S5_PhS7_NS0_8identityIhEEEE10hipError_tT2_T3_mT4_P12ihipStream_tbEUlT_E_NS1_11comp_targetILNS1_3genE9ELNS1_11target_archE1100ELNS1_3gpuE3ELNS1_3repE0EEENS1_30default_config_static_selectorELNS0_4arch9wavefront6targetE1EEEvT1_
    .private_segment_fixed_size: 0
    .sgpr_count:     4
    .sgpr_spill_count: 0
    .symbol:         _ZN7rocprim17ROCPRIM_400000_NS6detail17trampoline_kernelINS0_14default_configENS1_25transform_config_selectorIhLb1EEEZNS1_14transform_implILb1ES3_S5_PhS7_NS0_8identityIhEEEE10hipError_tT2_T3_mT4_P12ihipStream_tbEUlT_E_NS1_11comp_targetILNS1_3genE9ELNS1_11target_archE1100ELNS1_3gpuE3ELNS1_3repE0EEENS1_30default_config_static_selectorELNS0_4arch9wavefront6targetE1EEEvT1_.kd
    .uniform_work_group_size: 1
    .uses_dynamic_stack: false
    .vgpr_count:     0
    .vgpr_spill_count: 0
    .wavefront_size: 64
  - .args:
      - .offset:         0
        .size:           40
        .value_kind:     by_value
    .group_segment_fixed_size: 0
    .kernarg_segment_align: 8
    .kernarg_segment_size: 40
    .language:       OpenCL C
    .language_version:
      - 2
      - 0
    .max_flat_workgroup_size: 1024
    .name:           _ZN7rocprim17ROCPRIM_400000_NS6detail17trampoline_kernelINS0_14default_configENS1_25transform_config_selectorIhLb1EEEZNS1_14transform_implILb1ES3_S5_PhS7_NS0_8identityIhEEEE10hipError_tT2_T3_mT4_P12ihipStream_tbEUlT_E_NS1_11comp_targetILNS1_3genE8ELNS1_11target_archE1030ELNS1_3gpuE2ELNS1_3repE0EEENS1_30default_config_static_selectorELNS0_4arch9wavefront6targetE1EEEvT1_
    .private_segment_fixed_size: 0
    .sgpr_count:     4
    .sgpr_spill_count: 0
    .symbol:         _ZN7rocprim17ROCPRIM_400000_NS6detail17trampoline_kernelINS0_14default_configENS1_25transform_config_selectorIhLb1EEEZNS1_14transform_implILb1ES3_S5_PhS7_NS0_8identityIhEEEE10hipError_tT2_T3_mT4_P12ihipStream_tbEUlT_E_NS1_11comp_targetILNS1_3genE8ELNS1_11target_archE1030ELNS1_3gpuE2ELNS1_3repE0EEENS1_30default_config_static_selectorELNS0_4arch9wavefront6targetE1EEEvT1_.kd
    .uniform_work_group_size: 1
    .uses_dynamic_stack: false
    .vgpr_count:     0
    .vgpr_spill_count: 0
    .wavefront_size: 64
  - .args:
      - .offset:         0
        .size:           40
        .value_kind:     by_value
    .group_segment_fixed_size: 0
    .kernarg_segment_align: 8
    .kernarg_segment_size: 40
    .language:       OpenCL C
    .language_version:
      - 2
      - 0
    .max_flat_workgroup_size: 128
    .name:           _ZN7rocprim17ROCPRIM_400000_NS6detail17trampoline_kernelINS0_14default_configENS1_25transform_config_selectorIlLb0EEEZNS1_14transform_implILb0ES3_S5_PlN6thrust23THRUST_200600_302600_NS10device_ptrIlEENS0_8identityIlEEEE10hipError_tT2_T3_mT4_P12ihipStream_tbEUlT_E_NS1_11comp_targetILNS1_3genE0ELNS1_11target_archE4294967295ELNS1_3gpuE0ELNS1_3repE0EEENS1_30default_config_static_selectorELNS0_4arch9wavefront6targetE1EEEvT1_
    .private_segment_fixed_size: 0
    .sgpr_count:     4
    .sgpr_spill_count: 0
    .symbol:         _ZN7rocprim17ROCPRIM_400000_NS6detail17trampoline_kernelINS0_14default_configENS1_25transform_config_selectorIlLb0EEEZNS1_14transform_implILb0ES3_S5_PlN6thrust23THRUST_200600_302600_NS10device_ptrIlEENS0_8identityIlEEEE10hipError_tT2_T3_mT4_P12ihipStream_tbEUlT_E_NS1_11comp_targetILNS1_3genE0ELNS1_11target_archE4294967295ELNS1_3gpuE0ELNS1_3repE0EEENS1_30default_config_static_selectorELNS0_4arch9wavefront6targetE1EEEvT1_.kd
    .uniform_work_group_size: 1
    .uses_dynamic_stack: false
    .vgpr_count:     0
    .vgpr_spill_count: 0
    .wavefront_size: 64
  - .args:
      - .offset:         0
        .size:           40
        .value_kind:     by_value
    .group_segment_fixed_size: 0
    .kernarg_segment_align: 8
    .kernarg_segment_size: 40
    .language:       OpenCL C
    .language_version:
      - 2
      - 0
    .max_flat_workgroup_size: 512
    .name:           _ZN7rocprim17ROCPRIM_400000_NS6detail17trampoline_kernelINS0_14default_configENS1_25transform_config_selectorIlLb0EEEZNS1_14transform_implILb0ES3_S5_PlN6thrust23THRUST_200600_302600_NS10device_ptrIlEENS0_8identityIlEEEE10hipError_tT2_T3_mT4_P12ihipStream_tbEUlT_E_NS1_11comp_targetILNS1_3genE5ELNS1_11target_archE942ELNS1_3gpuE9ELNS1_3repE0EEENS1_30default_config_static_selectorELNS0_4arch9wavefront6targetE1EEEvT1_
    .private_segment_fixed_size: 0
    .sgpr_count:     4
    .sgpr_spill_count: 0
    .symbol:         _ZN7rocprim17ROCPRIM_400000_NS6detail17trampoline_kernelINS0_14default_configENS1_25transform_config_selectorIlLb0EEEZNS1_14transform_implILb0ES3_S5_PlN6thrust23THRUST_200600_302600_NS10device_ptrIlEENS0_8identityIlEEEE10hipError_tT2_T3_mT4_P12ihipStream_tbEUlT_E_NS1_11comp_targetILNS1_3genE5ELNS1_11target_archE942ELNS1_3gpuE9ELNS1_3repE0EEENS1_30default_config_static_selectorELNS0_4arch9wavefront6targetE1EEEvT1_.kd
    .uniform_work_group_size: 1
    .uses_dynamic_stack: false
    .vgpr_count:     0
    .vgpr_spill_count: 0
    .wavefront_size: 64
  - .args:
      - .offset:         0
        .size:           40
        .value_kind:     by_value
    .group_segment_fixed_size: 0
    .kernarg_segment_align: 8
    .kernarg_segment_size: 40
    .language:       OpenCL C
    .language_version:
      - 2
      - 0
    .max_flat_workgroup_size: 256
    .name:           _ZN7rocprim17ROCPRIM_400000_NS6detail17trampoline_kernelINS0_14default_configENS1_25transform_config_selectorIlLb0EEEZNS1_14transform_implILb0ES3_S5_PlN6thrust23THRUST_200600_302600_NS10device_ptrIlEENS0_8identityIlEEEE10hipError_tT2_T3_mT4_P12ihipStream_tbEUlT_E_NS1_11comp_targetILNS1_3genE4ELNS1_11target_archE910ELNS1_3gpuE8ELNS1_3repE0EEENS1_30default_config_static_selectorELNS0_4arch9wavefront6targetE1EEEvT1_
    .private_segment_fixed_size: 0
    .sgpr_count:     4
    .sgpr_spill_count: 0
    .symbol:         _ZN7rocprim17ROCPRIM_400000_NS6detail17trampoline_kernelINS0_14default_configENS1_25transform_config_selectorIlLb0EEEZNS1_14transform_implILb0ES3_S5_PlN6thrust23THRUST_200600_302600_NS10device_ptrIlEENS0_8identityIlEEEE10hipError_tT2_T3_mT4_P12ihipStream_tbEUlT_E_NS1_11comp_targetILNS1_3genE4ELNS1_11target_archE910ELNS1_3gpuE8ELNS1_3repE0EEENS1_30default_config_static_selectorELNS0_4arch9wavefront6targetE1EEEvT1_.kd
    .uniform_work_group_size: 1
    .uses_dynamic_stack: false
    .vgpr_count:     0
    .vgpr_spill_count: 0
    .wavefront_size: 64
  - .args:
      - .offset:         0
        .size:           40
        .value_kind:     by_value
    .group_segment_fixed_size: 0
    .kernarg_segment_align: 8
    .kernarg_segment_size: 40
    .language:       OpenCL C
    .language_version:
      - 2
      - 0
    .max_flat_workgroup_size: 128
    .name:           _ZN7rocprim17ROCPRIM_400000_NS6detail17trampoline_kernelINS0_14default_configENS1_25transform_config_selectorIlLb0EEEZNS1_14transform_implILb0ES3_S5_PlN6thrust23THRUST_200600_302600_NS10device_ptrIlEENS0_8identityIlEEEE10hipError_tT2_T3_mT4_P12ihipStream_tbEUlT_E_NS1_11comp_targetILNS1_3genE3ELNS1_11target_archE908ELNS1_3gpuE7ELNS1_3repE0EEENS1_30default_config_static_selectorELNS0_4arch9wavefront6targetE1EEEvT1_
    .private_segment_fixed_size: 0
    .sgpr_count:     4
    .sgpr_spill_count: 0
    .symbol:         _ZN7rocprim17ROCPRIM_400000_NS6detail17trampoline_kernelINS0_14default_configENS1_25transform_config_selectorIlLb0EEEZNS1_14transform_implILb0ES3_S5_PlN6thrust23THRUST_200600_302600_NS10device_ptrIlEENS0_8identityIlEEEE10hipError_tT2_T3_mT4_P12ihipStream_tbEUlT_E_NS1_11comp_targetILNS1_3genE3ELNS1_11target_archE908ELNS1_3gpuE7ELNS1_3repE0EEENS1_30default_config_static_selectorELNS0_4arch9wavefront6targetE1EEEvT1_.kd
    .uniform_work_group_size: 1
    .uses_dynamic_stack: false
    .vgpr_count:     0
    .vgpr_spill_count: 0
    .wavefront_size: 64
  - .args:
      - .offset:         0
        .size:           40
        .value_kind:     by_value
      - .offset:         40
        .size:           4
        .value_kind:     hidden_block_count_x
      - .offset:         44
        .size:           4
        .value_kind:     hidden_block_count_y
      - .offset:         48
        .size:           4
        .value_kind:     hidden_block_count_z
      - .offset:         52
        .size:           2
        .value_kind:     hidden_group_size_x
      - .offset:         54
        .size:           2
        .value_kind:     hidden_group_size_y
      - .offset:         56
        .size:           2
        .value_kind:     hidden_group_size_z
      - .offset:         58
        .size:           2
        .value_kind:     hidden_remainder_x
      - .offset:         60
        .size:           2
        .value_kind:     hidden_remainder_y
      - .offset:         62
        .size:           2
        .value_kind:     hidden_remainder_z
      - .offset:         80
        .size:           8
        .value_kind:     hidden_global_offset_x
      - .offset:         88
        .size:           8
        .value_kind:     hidden_global_offset_y
      - .offset:         96
        .size:           8
        .value_kind:     hidden_global_offset_z
      - .offset:         104
        .size:           2
        .value_kind:     hidden_grid_dims
    .group_segment_fixed_size: 0
    .kernarg_segment_align: 8
    .kernarg_segment_size: 296
    .language:       OpenCL C
    .language_version:
      - 2
      - 0
    .max_flat_workgroup_size: 512
    .name:           _ZN7rocprim17ROCPRIM_400000_NS6detail17trampoline_kernelINS0_14default_configENS1_25transform_config_selectorIlLb0EEEZNS1_14transform_implILb0ES3_S5_PlN6thrust23THRUST_200600_302600_NS10device_ptrIlEENS0_8identityIlEEEE10hipError_tT2_T3_mT4_P12ihipStream_tbEUlT_E_NS1_11comp_targetILNS1_3genE2ELNS1_11target_archE906ELNS1_3gpuE6ELNS1_3repE0EEENS1_30default_config_static_selectorELNS0_4arch9wavefront6targetE1EEEvT1_
    .private_segment_fixed_size: 0
    .sgpr_count:     16
    .sgpr_spill_count: 0
    .symbol:         _ZN7rocprim17ROCPRIM_400000_NS6detail17trampoline_kernelINS0_14default_configENS1_25transform_config_selectorIlLb0EEEZNS1_14transform_implILb0ES3_S5_PlN6thrust23THRUST_200600_302600_NS10device_ptrIlEENS0_8identityIlEEEE10hipError_tT2_T3_mT4_P12ihipStream_tbEUlT_E_NS1_11comp_targetILNS1_3genE2ELNS1_11target_archE906ELNS1_3gpuE6ELNS1_3repE0EEENS1_30default_config_static_selectorELNS0_4arch9wavefront6targetE1EEEvT1_.kd
    .uniform_work_group_size: 1
    .uses_dynamic_stack: false
    .vgpr_count:     4
    .vgpr_spill_count: 0
    .wavefront_size: 64
  - .args:
      - .offset:         0
        .size:           40
        .value_kind:     by_value
    .group_segment_fixed_size: 0
    .kernarg_segment_align: 8
    .kernarg_segment_size: 40
    .language:       OpenCL C
    .language_version:
      - 2
      - 0
    .max_flat_workgroup_size: 1024
    .name:           _ZN7rocprim17ROCPRIM_400000_NS6detail17trampoline_kernelINS0_14default_configENS1_25transform_config_selectorIlLb0EEEZNS1_14transform_implILb0ES3_S5_PlN6thrust23THRUST_200600_302600_NS10device_ptrIlEENS0_8identityIlEEEE10hipError_tT2_T3_mT4_P12ihipStream_tbEUlT_E_NS1_11comp_targetILNS1_3genE10ELNS1_11target_archE1201ELNS1_3gpuE5ELNS1_3repE0EEENS1_30default_config_static_selectorELNS0_4arch9wavefront6targetE1EEEvT1_
    .private_segment_fixed_size: 0
    .sgpr_count:     4
    .sgpr_spill_count: 0
    .symbol:         _ZN7rocprim17ROCPRIM_400000_NS6detail17trampoline_kernelINS0_14default_configENS1_25transform_config_selectorIlLb0EEEZNS1_14transform_implILb0ES3_S5_PlN6thrust23THRUST_200600_302600_NS10device_ptrIlEENS0_8identityIlEEEE10hipError_tT2_T3_mT4_P12ihipStream_tbEUlT_E_NS1_11comp_targetILNS1_3genE10ELNS1_11target_archE1201ELNS1_3gpuE5ELNS1_3repE0EEENS1_30default_config_static_selectorELNS0_4arch9wavefront6targetE1EEEvT1_.kd
    .uniform_work_group_size: 1
    .uses_dynamic_stack: false
    .vgpr_count:     0
    .vgpr_spill_count: 0
    .wavefront_size: 64
  - .args:
      - .offset:         0
        .size:           40
        .value_kind:     by_value
    .group_segment_fixed_size: 0
    .kernarg_segment_align: 8
    .kernarg_segment_size: 40
    .language:       OpenCL C
    .language_version:
      - 2
      - 0
    .max_flat_workgroup_size: 512
    .name:           _ZN7rocprim17ROCPRIM_400000_NS6detail17trampoline_kernelINS0_14default_configENS1_25transform_config_selectorIlLb0EEEZNS1_14transform_implILb0ES3_S5_PlN6thrust23THRUST_200600_302600_NS10device_ptrIlEENS0_8identityIlEEEE10hipError_tT2_T3_mT4_P12ihipStream_tbEUlT_E_NS1_11comp_targetILNS1_3genE10ELNS1_11target_archE1200ELNS1_3gpuE4ELNS1_3repE0EEENS1_30default_config_static_selectorELNS0_4arch9wavefront6targetE1EEEvT1_
    .private_segment_fixed_size: 0
    .sgpr_count:     4
    .sgpr_spill_count: 0
    .symbol:         _ZN7rocprim17ROCPRIM_400000_NS6detail17trampoline_kernelINS0_14default_configENS1_25transform_config_selectorIlLb0EEEZNS1_14transform_implILb0ES3_S5_PlN6thrust23THRUST_200600_302600_NS10device_ptrIlEENS0_8identityIlEEEE10hipError_tT2_T3_mT4_P12ihipStream_tbEUlT_E_NS1_11comp_targetILNS1_3genE10ELNS1_11target_archE1200ELNS1_3gpuE4ELNS1_3repE0EEENS1_30default_config_static_selectorELNS0_4arch9wavefront6targetE1EEEvT1_.kd
    .uniform_work_group_size: 1
    .uses_dynamic_stack: false
    .vgpr_count:     0
    .vgpr_spill_count: 0
    .wavefront_size: 64
  - .args:
      - .offset:         0
        .size:           40
        .value_kind:     by_value
    .group_segment_fixed_size: 0
    .kernarg_segment_align: 8
    .kernarg_segment_size: 40
    .language:       OpenCL C
    .language_version:
      - 2
      - 0
    .max_flat_workgroup_size: 512
    .name:           _ZN7rocprim17ROCPRIM_400000_NS6detail17trampoline_kernelINS0_14default_configENS1_25transform_config_selectorIlLb0EEEZNS1_14transform_implILb0ES3_S5_PlN6thrust23THRUST_200600_302600_NS10device_ptrIlEENS0_8identityIlEEEE10hipError_tT2_T3_mT4_P12ihipStream_tbEUlT_E_NS1_11comp_targetILNS1_3genE9ELNS1_11target_archE1100ELNS1_3gpuE3ELNS1_3repE0EEENS1_30default_config_static_selectorELNS0_4arch9wavefront6targetE1EEEvT1_
    .private_segment_fixed_size: 0
    .sgpr_count:     4
    .sgpr_spill_count: 0
    .symbol:         _ZN7rocprim17ROCPRIM_400000_NS6detail17trampoline_kernelINS0_14default_configENS1_25transform_config_selectorIlLb0EEEZNS1_14transform_implILb0ES3_S5_PlN6thrust23THRUST_200600_302600_NS10device_ptrIlEENS0_8identityIlEEEE10hipError_tT2_T3_mT4_P12ihipStream_tbEUlT_E_NS1_11comp_targetILNS1_3genE9ELNS1_11target_archE1100ELNS1_3gpuE3ELNS1_3repE0EEENS1_30default_config_static_selectorELNS0_4arch9wavefront6targetE1EEEvT1_.kd
    .uniform_work_group_size: 1
    .uses_dynamic_stack: false
    .vgpr_count:     0
    .vgpr_spill_count: 0
    .wavefront_size: 64
  - .args:
      - .offset:         0
        .size:           40
        .value_kind:     by_value
    .group_segment_fixed_size: 0
    .kernarg_segment_align: 8
    .kernarg_segment_size: 40
    .language:       OpenCL C
    .language_version:
      - 2
      - 0
    .max_flat_workgroup_size: 512
    .name:           _ZN7rocprim17ROCPRIM_400000_NS6detail17trampoline_kernelINS0_14default_configENS1_25transform_config_selectorIlLb0EEEZNS1_14transform_implILb0ES3_S5_PlN6thrust23THRUST_200600_302600_NS10device_ptrIlEENS0_8identityIlEEEE10hipError_tT2_T3_mT4_P12ihipStream_tbEUlT_E_NS1_11comp_targetILNS1_3genE8ELNS1_11target_archE1030ELNS1_3gpuE2ELNS1_3repE0EEENS1_30default_config_static_selectorELNS0_4arch9wavefront6targetE1EEEvT1_
    .private_segment_fixed_size: 0
    .sgpr_count:     4
    .sgpr_spill_count: 0
    .symbol:         _ZN7rocprim17ROCPRIM_400000_NS6detail17trampoline_kernelINS0_14default_configENS1_25transform_config_selectorIlLb0EEEZNS1_14transform_implILb0ES3_S5_PlN6thrust23THRUST_200600_302600_NS10device_ptrIlEENS0_8identityIlEEEE10hipError_tT2_T3_mT4_P12ihipStream_tbEUlT_E_NS1_11comp_targetILNS1_3genE8ELNS1_11target_archE1030ELNS1_3gpuE2ELNS1_3repE0EEENS1_30default_config_static_selectorELNS0_4arch9wavefront6targetE1EEEvT1_.kd
    .uniform_work_group_size: 1
    .uses_dynamic_stack: false
    .vgpr_count:     0
    .vgpr_spill_count: 0
    .wavefront_size: 64
  - .args:
      - .offset:         0
        .size:           40
        .value_kind:     by_value
    .group_segment_fixed_size: 0
    .kernarg_segment_align: 8
    .kernarg_segment_size: 40
    .language:       OpenCL C
    .language_version:
      - 2
      - 0
    .max_flat_workgroup_size: 128
    .name:           _ZN7rocprim17ROCPRIM_400000_NS6detail17trampoline_kernelINS0_14default_configENS1_38merge_sort_block_merge_config_selectorIhlEEZZNS1_27merge_sort_block_merge_implIS3_PhN6thrust23THRUST_200600_302600_NS10device_ptrIlEEjNS1_19radix_merge_compareILb0ELb1EhNS0_19identity_decomposerEEEEE10hipError_tT0_T1_T2_jT3_P12ihipStream_tbPNSt15iterator_traitsISG_E10value_typeEPNSM_ISH_E10value_typeEPSI_NS1_7vsmem_tEENKUlT_SG_SH_SI_E_clIS7_S7_PlSB_EESF_SV_SG_SH_SI_EUlSV_E_NS1_11comp_targetILNS1_3genE0ELNS1_11target_archE4294967295ELNS1_3gpuE0ELNS1_3repE0EEENS1_48merge_mergepath_partition_config_static_selectorELNS0_4arch9wavefront6targetE1EEEvSH_
    .private_segment_fixed_size: 0
    .sgpr_count:     4
    .sgpr_spill_count: 0
    .symbol:         _ZN7rocprim17ROCPRIM_400000_NS6detail17trampoline_kernelINS0_14default_configENS1_38merge_sort_block_merge_config_selectorIhlEEZZNS1_27merge_sort_block_merge_implIS3_PhN6thrust23THRUST_200600_302600_NS10device_ptrIlEEjNS1_19radix_merge_compareILb0ELb1EhNS0_19identity_decomposerEEEEE10hipError_tT0_T1_T2_jT3_P12ihipStream_tbPNSt15iterator_traitsISG_E10value_typeEPNSM_ISH_E10value_typeEPSI_NS1_7vsmem_tEENKUlT_SG_SH_SI_E_clIS7_S7_PlSB_EESF_SV_SG_SH_SI_EUlSV_E_NS1_11comp_targetILNS1_3genE0ELNS1_11target_archE4294967295ELNS1_3gpuE0ELNS1_3repE0EEENS1_48merge_mergepath_partition_config_static_selectorELNS0_4arch9wavefront6targetE1EEEvSH_.kd
    .uniform_work_group_size: 1
    .uses_dynamic_stack: false
    .vgpr_count:     0
    .vgpr_spill_count: 0
    .wavefront_size: 64
  - .args:
      - .offset:         0
        .size:           40
        .value_kind:     by_value
    .group_segment_fixed_size: 0
    .kernarg_segment_align: 8
    .kernarg_segment_size: 40
    .language:       OpenCL C
    .language_version:
      - 2
      - 0
    .max_flat_workgroup_size: 128
    .name:           _ZN7rocprim17ROCPRIM_400000_NS6detail17trampoline_kernelINS0_14default_configENS1_38merge_sort_block_merge_config_selectorIhlEEZZNS1_27merge_sort_block_merge_implIS3_PhN6thrust23THRUST_200600_302600_NS10device_ptrIlEEjNS1_19radix_merge_compareILb0ELb1EhNS0_19identity_decomposerEEEEE10hipError_tT0_T1_T2_jT3_P12ihipStream_tbPNSt15iterator_traitsISG_E10value_typeEPNSM_ISH_E10value_typeEPSI_NS1_7vsmem_tEENKUlT_SG_SH_SI_E_clIS7_S7_PlSB_EESF_SV_SG_SH_SI_EUlSV_E_NS1_11comp_targetILNS1_3genE10ELNS1_11target_archE1201ELNS1_3gpuE5ELNS1_3repE0EEENS1_48merge_mergepath_partition_config_static_selectorELNS0_4arch9wavefront6targetE1EEEvSH_
    .private_segment_fixed_size: 0
    .sgpr_count:     4
    .sgpr_spill_count: 0
    .symbol:         _ZN7rocprim17ROCPRIM_400000_NS6detail17trampoline_kernelINS0_14default_configENS1_38merge_sort_block_merge_config_selectorIhlEEZZNS1_27merge_sort_block_merge_implIS3_PhN6thrust23THRUST_200600_302600_NS10device_ptrIlEEjNS1_19radix_merge_compareILb0ELb1EhNS0_19identity_decomposerEEEEE10hipError_tT0_T1_T2_jT3_P12ihipStream_tbPNSt15iterator_traitsISG_E10value_typeEPNSM_ISH_E10value_typeEPSI_NS1_7vsmem_tEENKUlT_SG_SH_SI_E_clIS7_S7_PlSB_EESF_SV_SG_SH_SI_EUlSV_E_NS1_11comp_targetILNS1_3genE10ELNS1_11target_archE1201ELNS1_3gpuE5ELNS1_3repE0EEENS1_48merge_mergepath_partition_config_static_selectorELNS0_4arch9wavefront6targetE1EEEvSH_.kd
    .uniform_work_group_size: 1
    .uses_dynamic_stack: false
    .vgpr_count:     0
    .vgpr_spill_count: 0
    .wavefront_size: 64
  - .args:
      - .offset:         0
        .size:           40
        .value_kind:     by_value
    .group_segment_fixed_size: 0
    .kernarg_segment_align: 8
    .kernarg_segment_size: 40
    .language:       OpenCL C
    .language_version:
      - 2
      - 0
    .max_flat_workgroup_size: 128
    .name:           _ZN7rocprim17ROCPRIM_400000_NS6detail17trampoline_kernelINS0_14default_configENS1_38merge_sort_block_merge_config_selectorIhlEEZZNS1_27merge_sort_block_merge_implIS3_PhN6thrust23THRUST_200600_302600_NS10device_ptrIlEEjNS1_19radix_merge_compareILb0ELb1EhNS0_19identity_decomposerEEEEE10hipError_tT0_T1_T2_jT3_P12ihipStream_tbPNSt15iterator_traitsISG_E10value_typeEPNSM_ISH_E10value_typeEPSI_NS1_7vsmem_tEENKUlT_SG_SH_SI_E_clIS7_S7_PlSB_EESF_SV_SG_SH_SI_EUlSV_E_NS1_11comp_targetILNS1_3genE5ELNS1_11target_archE942ELNS1_3gpuE9ELNS1_3repE0EEENS1_48merge_mergepath_partition_config_static_selectorELNS0_4arch9wavefront6targetE1EEEvSH_
    .private_segment_fixed_size: 0
    .sgpr_count:     4
    .sgpr_spill_count: 0
    .symbol:         _ZN7rocprim17ROCPRIM_400000_NS6detail17trampoline_kernelINS0_14default_configENS1_38merge_sort_block_merge_config_selectorIhlEEZZNS1_27merge_sort_block_merge_implIS3_PhN6thrust23THRUST_200600_302600_NS10device_ptrIlEEjNS1_19radix_merge_compareILb0ELb1EhNS0_19identity_decomposerEEEEE10hipError_tT0_T1_T2_jT3_P12ihipStream_tbPNSt15iterator_traitsISG_E10value_typeEPNSM_ISH_E10value_typeEPSI_NS1_7vsmem_tEENKUlT_SG_SH_SI_E_clIS7_S7_PlSB_EESF_SV_SG_SH_SI_EUlSV_E_NS1_11comp_targetILNS1_3genE5ELNS1_11target_archE942ELNS1_3gpuE9ELNS1_3repE0EEENS1_48merge_mergepath_partition_config_static_selectorELNS0_4arch9wavefront6targetE1EEEvSH_.kd
    .uniform_work_group_size: 1
    .uses_dynamic_stack: false
    .vgpr_count:     0
    .vgpr_spill_count: 0
    .wavefront_size: 64
  - .args:
      - .offset:         0
        .size:           40
        .value_kind:     by_value
    .group_segment_fixed_size: 0
    .kernarg_segment_align: 8
    .kernarg_segment_size: 40
    .language:       OpenCL C
    .language_version:
      - 2
      - 0
    .max_flat_workgroup_size: 128
    .name:           _ZN7rocprim17ROCPRIM_400000_NS6detail17trampoline_kernelINS0_14default_configENS1_38merge_sort_block_merge_config_selectorIhlEEZZNS1_27merge_sort_block_merge_implIS3_PhN6thrust23THRUST_200600_302600_NS10device_ptrIlEEjNS1_19radix_merge_compareILb0ELb1EhNS0_19identity_decomposerEEEEE10hipError_tT0_T1_T2_jT3_P12ihipStream_tbPNSt15iterator_traitsISG_E10value_typeEPNSM_ISH_E10value_typeEPSI_NS1_7vsmem_tEENKUlT_SG_SH_SI_E_clIS7_S7_PlSB_EESF_SV_SG_SH_SI_EUlSV_E_NS1_11comp_targetILNS1_3genE4ELNS1_11target_archE910ELNS1_3gpuE8ELNS1_3repE0EEENS1_48merge_mergepath_partition_config_static_selectorELNS0_4arch9wavefront6targetE1EEEvSH_
    .private_segment_fixed_size: 0
    .sgpr_count:     4
    .sgpr_spill_count: 0
    .symbol:         _ZN7rocprim17ROCPRIM_400000_NS6detail17trampoline_kernelINS0_14default_configENS1_38merge_sort_block_merge_config_selectorIhlEEZZNS1_27merge_sort_block_merge_implIS3_PhN6thrust23THRUST_200600_302600_NS10device_ptrIlEEjNS1_19radix_merge_compareILb0ELb1EhNS0_19identity_decomposerEEEEE10hipError_tT0_T1_T2_jT3_P12ihipStream_tbPNSt15iterator_traitsISG_E10value_typeEPNSM_ISH_E10value_typeEPSI_NS1_7vsmem_tEENKUlT_SG_SH_SI_E_clIS7_S7_PlSB_EESF_SV_SG_SH_SI_EUlSV_E_NS1_11comp_targetILNS1_3genE4ELNS1_11target_archE910ELNS1_3gpuE8ELNS1_3repE0EEENS1_48merge_mergepath_partition_config_static_selectorELNS0_4arch9wavefront6targetE1EEEvSH_.kd
    .uniform_work_group_size: 1
    .uses_dynamic_stack: false
    .vgpr_count:     0
    .vgpr_spill_count: 0
    .wavefront_size: 64
  - .args:
      - .offset:         0
        .size:           40
        .value_kind:     by_value
    .group_segment_fixed_size: 0
    .kernarg_segment_align: 8
    .kernarg_segment_size: 40
    .language:       OpenCL C
    .language_version:
      - 2
      - 0
    .max_flat_workgroup_size: 128
    .name:           _ZN7rocprim17ROCPRIM_400000_NS6detail17trampoline_kernelINS0_14default_configENS1_38merge_sort_block_merge_config_selectorIhlEEZZNS1_27merge_sort_block_merge_implIS3_PhN6thrust23THRUST_200600_302600_NS10device_ptrIlEEjNS1_19radix_merge_compareILb0ELb1EhNS0_19identity_decomposerEEEEE10hipError_tT0_T1_T2_jT3_P12ihipStream_tbPNSt15iterator_traitsISG_E10value_typeEPNSM_ISH_E10value_typeEPSI_NS1_7vsmem_tEENKUlT_SG_SH_SI_E_clIS7_S7_PlSB_EESF_SV_SG_SH_SI_EUlSV_E_NS1_11comp_targetILNS1_3genE3ELNS1_11target_archE908ELNS1_3gpuE7ELNS1_3repE0EEENS1_48merge_mergepath_partition_config_static_selectorELNS0_4arch9wavefront6targetE1EEEvSH_
    .private_segment_fixed_size: 0
    .sgpr_count:     4
    .sgpr_spill_count: 0
    .symbol:         _ZN7rocprim17ROCPRIM_400000_NS6detail17trampoline_kernelINS0_14default_configENS1_38merge_sort_block_merge_config_selectorIhlEEZZNS1_27merge_sort_block_merge_implIS3_PhN6thrust23THRUST_200600_302600_NS10device_ptrIlEEjNS1_19radix_merge_compareILb0ELb1EhNS0_19identity_decomposerEEEEE10hipError_tT0_T1_T2_jT3_P12ihipStream_tbPNSt15iterator_traitsISG_E10value_typeEPNSM_ISH_E10value_typeEPSI_NS1_7vsmem_tEENKUlT_SG_SH_SI_E_clIS7_S7_PlSB_EESF_SV_SG_SH_SI_EUlSV_E_NS1_11comp_targetILNS1_3genE3ELNS1_11target_archE908ELNS1_3gpuE7ELNS1_3repE0EEENS1_48merge_mergepath_partition_config_static_selectorELNS0_4arch9wavefront6targetE1EEEvSH_.kd
    .uniform_work_group_size: 1
    .uses_dynamic_stack: false
    .vgpr_count:     0
    .vgpr_spill_count: 0
    .wavefront_size: 64
  - .args:
      - .offset:         0
        .size:           40
        .value_kind:     by_value
    .group_segment_fixed_size: 0
    .kernarg_segment_align: 8
    .kernarg_segment_size: 40
    .language:       OpenCL C
    .language_version:
      - 2
      - 0
    .max_flat_workgroup_size: 128
    .name:           _ZN7rocprim17ROCPRIM_400000_NS6detail17trampoline_kernelINS0_14default_configENS1_38merge_sort_block_merge_config_selectorIhlEEZZNS1_27merge_sort_block_merge_implIS3_PhN6thrust23THRUST_200600_302600_NS10device_ptrIlEEjNS1_19radix_merge_compareILb0ELb1EhNS0_19identity_decomposerEEEEE10hipError_tT0_T1_T2_jT3_P12ihipStream_tbPNSt15iterator_traitsISG_E10value_typeEPNSM_ISH_E10value_typeEPSI_NS1_7vsmem_tEENKUlT_SG_SH_SI_E_clIS7_S7_PlSB_EESF_SV_SG_SH_SI_EUlSV_E_NS1_11comp_targetILNS1_3genE2ELNS1_11target_archE906ELNS1_3gpuE6ELNS1_3repE0EEENS1_48merge_mergepath_partition_config_static_selectorELNS0_4arch9wavefront6targetE1EEEvSH_
    .private_segment_fixed_size: 0
    .sgpr_count:     14
    .sgpr_spill_count: 0
    .symbol:         _ZN7rocprim17ROCPRIM_400000_NS6detail17trampoline_kernelINS0_14default_configENS1_38merge_sort_block_merge_config_selectorIhlEEZZNS1_27merge_sort_block_merge_implIS3_PhN6thrust23THRUST_200600_302600_NS10device_ptrIlEEjNS1_19radix_merge_compareILb0ELb1EhNS0_19identity_decomposerEEEEE10hipError_tT0_T1_T2_jT3_P12ihipStream_tbPNSt15iterator_traitsISG_E10value_typeEPNSM_ISH_E10value_typeEPSI_NS1_7vsmem_tEENKUlT_SG_SH_SI_E_clIS7_S7_PlSB_EESF_SV_SG_SH_SI_EUlSV_E_NS1_11comp_targetILNS1_3genE2ELNS1_11target_archE906ELNS1_3gpuE6ELNS1_3repE0EEENS1_48merge_mergepath_partition_config_static_selectorELNS0_4arch9wavefront6targetE1EEEvSH_.kd
    .uniform_work_group_size: 1
    .uses_dynamic_stack: false
    .vgpr_count:     16
    .vgpr_spill_count: 0
    .wavefront_size: 64
  - .args:
      - .offset:         0
        .size:           40
        .value_kind:     by_value
    .group_segment_fixed_size: 0
    .kernarg_segment_align: 8
    .kernarg_segment_size: 40
    .language:       OpenCL C
    .language_version:
      - 2
      - 0
    .max_flat_workgroup_size: 128
    .name:           _ZN7rocprim17ROCPRIM_400000_NS6detail17trampoline_kernelINS0_14default_configENS1_38merge_sort_block_merge_config_selectorIhlEEZZNS1_27merge_sort_block_merge_implIS3_PhN6thrust23THRUST_200600_302600_NS10device_ptrIlEEjNS1_19radix_merge_compareILb0ELb1EhNS0_19identity_decomposerEEEEE10hipError_tT0_T1_T2_jT3_P12ihipStream_tbPNSt15iterator_traitsISG_E10value_typeEPNSM_ISH_E10value_typeEPSI_NS1_7vsmem_tEENKUlT_SG_SH_SI_E_clIS7_S7_PlSB_EESF_SV_SG_SH_SI_EUlSV_E_NS1_11comp_targetILNS1_3genE9ELNS1_11target_archE1100ELNS1_3gpuE3ELNS1_3repE0EEENS1_48merge_mergepath_partition_config_static_selectorELNS0_4arch9wavefront6targetE1EEEvSH_
    .private_segment_fixed_size: 0
    .sgpr_count:     4
    .sgpr_spill_count: 0
    .symbol:         _ZN7rocprim17ROCPRIM_400000_NS6detail17trampoline_kernelINS0_14default_configENS1_38merge_sort_block_merge_config_selectorIhlEEZZNS1_27merge_sort_block_merge_implIS3_PhN6thrust23THRUST_200600_302600_NS10device_ptrIlEEjNS1_19radix_merge_compareILb0ELb1EhNS0_19identity_decomposerEEEEE10hipError_tT0_T1_T2_jT3_P12ihipStream_tbPNSt15iterator_traitsISG_E10value_typeEPNSM_ISH_E10value_typeEPSI_NS1_7vsmem_tEENKUlT_SG_SH_SI_E_clIS7_S7_PlSB_EESF_SV_SG_SH_SI_EUlSV_E_NS1_11comp_targetILNS1_3genE9ELNS1_11target_archE1100ELNS1_3gpuE3ELNS1_3repE0EEENS1_48merge_mergepath_partition_config_static_selectorELNS0_4arch9wavefront6targetE1EEEvSH_.kd
    .uniform_work_group_size: 1
    .uses_dynamic_stack: false
    .vgpr_count:     0
    .vgpr_spill_count: 0
    .wavefront_size: 64
  - .args:
      - .offset:         0
        .size:           40
        .value_kind:     by_value
    .group_segment_fixed_size: 0
    .kernarg_segment_align: 8
    .kernarg_segment_size: 40
    .language:       OpenCL C
    .language_version:
      - 2
      - 0
    .max_flat_workgroup_size: 128
    .name:           _ZN7rocprim17ROCPRIM_400000_NS6detail17trampoline_kernelINS0_14default_configENS1_38merge_sort_block_merge_config_selectorIhlEEZZNS1_27merge_sort_block_merge_implIS3_PhN6thrust23THRUST_200600_302600_NS10device_ptrIlEEjNS1_19radix_merge_compareILb0ELb1EhNS0_19identity_decomposerEEEEE10hipError_tT0_T1_T2_jT3_P12ihipStream_tbPNSt15iterator_traitsISG_E10value_typeEPNSM_ISH_E10value_typeEPSI_NS1_7vsmem_tEENKUlT_SG_SH_SI_E_clIS7_S7_PlSB_EESF_SV_SG_SH_SI_EUlSV_E_NS1_11comp_targetILNS1_3genE8ELNS1_11target_archE1030ELNS1_3gpuE2ELNS1_3repE0EEENS1_48merge_mergepath_partition_config_static_selectorELNS0_4arch9wavefront6targetE1EEEvSH_
    .private_segment_fixed_size: 0
    .sgpr_count:     4
    .sgpr_spill_count: 0
    .symbol:         _ZN7rocprim17ROCPRIM_400000_NS6detail17trampoline_kernelINS0_14default_configENS1_38merge_sort_block_merge_config_selectorIhlEEZZNS1_27merge_sort_block_merge_implIS3_PhN6thrust23THRUST_200600_302600_NS10device_ptrIlEEjNS1_19radix_merge_compareILb0ELb1EhNS0_19identity_decomposerEEEEE10hipError_tT0_T1_T2_jT3_P12ihipStream_tbPNSt15iterator_traitsISG_E10value_typeEPNSM_ISH_E10value_typeEPSI_NS1_7vsmem_tEENKUlT_SG_SH_SI_E_clIS7_S7_PlSB_EESF_SV_SG_SH_SI_EUlSV_E_NS1_11comp_targetILNS1_3genE8ELNS1_11target_archE1030ELNS1_3gpuE2ELNS1_3repE0EEENS1_48merge_mergepath_partition_config_static_selectorELNS0_4arch9wavefront6targetE1EEEvSH_.kd
    .uniform_work_group_size: 1
    .uses_dynamic_stack: false
    .vgpr_count:     0
    .vgpr_spill_count: 0
    .wavefront_size: 64
  - .args:
      - .offset:         0
        .size:           64
        .value_kind:     by_value
    .group_segment_fixed_size: 0
    .kernarg_segment_align: 8
    .kernarg_segment_size: 64
    .language:       OpenCL C
    .language_version:
      - 2
      - 0
    .max_flat_workgroup_size: 512
    .name:           _ZN7rocprim17ROCPRIM_400000_NS6detail17trampoline_kernelINS0_14default_configENS1_38merge_sort_block_merge_config_selectorIhlEEZZNS1_27merge_sort_block_merge_implIS3_PhN6thrust23THRUST_200600_302600_NS10device_ptrIlEEjNS1_19radix_merge_compareILb0ELb1EhNS0_19identity_decomposerEEEEE10hipError_tT0_T1_T2_jT3_P12ihipStream_tbPNSt15iterator_traitsISG_E10value_typeEPNSM_ISH_E10value_typeEPSI_NS1_7vsmem_tEENKUlT_SG_SH_SI_E_clIS7_S7_PlSB_EESF_SV_SG_SH_SI_EUlSV_E0_NS1_11comp_targetILNS1_3genE0ELNS1_11target_archE4294967295ELNS1_3gpuE0ELNS1_3repE0EEENS1_38merge_mergepath_config_static_selectorELNS0_4arch9wavefront6targetE1EEEvSH_
    .private_segment_fixed_size: 0
    .sgpr_count:     4
    .sgpr_spill_count: 0
    .symbol:         _ZN7rocprim17ROCPRIM_400000_NS6detail17trampoline_kernelINS0_14default_configENS1_38merge_sort_block_merge_config_selectorIhlEEZZNS1_27merge_sort_block_merge_implIS3_PhN6thrust23THRUST_200600_302600_NS10device_ptrIlEEjNS1_19radix_merge_compareILb0ELb1EhNS0_19identity_decomposerEEEEE10hipError_tT0_T1_T2_jT3_P12ihipStream_tbPNSt15iterator_traitsISG_E10value_typeEPNSM_ISH_E10value_typeEPSI_NS1_7vsmem_tEENKUlT_SG_SH_SI_E_clIS7_S7_PlSB_EESF_SV_SG_SH_SI_EUlSV_E0_NS1_11comp_targetILNS1_3genE0ELNS1_11target_archE4294967295ELNS1_3gpuE0ELNS1_3repE0EEENS1_38merge_mergepath_config_static_selectorELNS0_4arch9wavefront6targetE1EEEvSH_.kd
    .uniform_work_group_size: 1
    .uses_dynamic_stack: false
    .vgpr_count:     0
    .vgpr_spill_count: 0
    .wavefront_size: 64
  - .args:
      - .offset:         0
        .size:           64
        .value_kind:     by_value
    .group_segment_fixed_size: 0
    .kernarg_segment_align: 8
    .kernarg_segment_size: 64
    .language:       OpenCL C
    .language_version:
      - 2
      - 0
    .max_flat_workgroup_size: 128
    .name:           _ZN7rocprim17ROCPRIM_400000_NS6detail17trampoline_kernelINS0_14default_configENS1_38merge_sort_block_merge_config_selectorIhlEEZZNS1_27merge_sort_block_merge_implIS3_PhN6thrust23THRUST_200600_302600_NS10device_ptrIlEEjNS1_19radix_merge_compareILb0ELb1EhNS0_19identity_decomposerEEEEE10hipError_tT0_T1_T2_jT3_P12ihipStream_tbPNSt15iterator_traitsISG_E10value_typeEPNSM_ISH_E10value_typeEPSI_NS1_7vsmem_tEENKUlT_SG_SH_SI_E_clIS7_S7_PlSB_EESF_SV_SG_SH_SI_EUlSV_E0_NS1_11comp_targetILNS1_3genE10ELNS1_11target_archE1201ELNS1_3gpuE5ELNS1_3repE0EEENS1_38merge_mergepath_config_static_selectorELNS0_4arch9wavefront6targetE1EEEvSH_
    .private_segment_fixed_size: 0
    .sgpr_count:     4
    .sgpr_spill_count: 0
    .symbol:         _ZN7rocprim17ROCPRIM_400000_NS6detail17trampoline_kernelINS0_14default_configENS1_38merge_sort_block_merge_config_selectorIhlEEZZNS1_27merge_sort_block_merge_implIS3_PhN6thrust23THRUST_200600_302600_NS10device_ptrIlEEjNS1_19radix_merge_compareILb0ELb1EhNS0_19identity_decomposerEEEEE10hipError_tT0_T1_T2_jT3_P12ihipStream_tbPNSt15iterator_traitsISG_E10value_typeEPNSM_ISH_E10value_typeEPSI_NS1_7vsmem_tEENKUlT_SG_SH_SI_E_clIS7_S7_PlSB_EESF_SV_SG_SH_SI_EUlSV_E0_NS1_11comp_targetILNS1_3genE10ELNS1_11target_archE1201ELNS1_3gpuE5ELNS1_3repE0EEENS1_38merge_mergepath_config_static_selectorELNS0_4arch9wavefront6targetE1EEEvSH_.kd
    .uniform_work_group_size: 1
    .uses_dynamic_stack: false
    .vgpr_count:     0
    .vgpr_spill_count: 0
    .wavefront_size: 64
  - .args:
      - .offset:         0
        .size:           64
        .value_kind:     by_value
    .group_segment_fixed_size: 0
    .kernarg_segment_align: 8
    .kernarg_segment_size: 64
    .language:       OpenCL C
    .language_version:
      - 2
      - 0
    .max_flat_workgroup_size: 128
    .name:           _ZN7rocprim17ROCPRIM_400000_NS6detail17trampoline_kernelINS0_14default_configENS1_38merge_sort_block_merge_config_selectorIhlEEZZNS1_27merge_sort_block_merge_implIS3_PhN6thrust23THRUST_200600_302600_NS10device_ptrIlEEjNS1_19radix_merge_compareILb0ELb1EhNS0_19identity_decomposerEEEEE10hipError_tT0_T1_T2_jT3_P12ihipStream_tbPNSt15iterator_traitsISG_E10value_typeEPNSM_ISH_E10value_typeEPSI_NS1_7vsmem_tEENKUlT_SG_SH_SI_E_clIS7_S7_PlSB_EESF_SV_SG_SH_SI_EUlSV_E0_NS1_11comp_targetILNS1_3genE5ELNS1_11target_archE942ELNS1_3gpuE9ELNS1_3repE0EEENS1_38merge_mergepath_config_static_selectorELNS0_4arch9wavefront6targetE1EEEvSH_
    .private_segment_fixed_size: 0
    .sgpr_count:     4
    .sgpr_spill_count: 0
    .symbol:         _ZN7rocprim17ROCPRIM_400000_NS6detail17trampoline_kernelINS0_14default_configENS1_38merge_sort_block_merge_config_selectorIhlEEZZNS1_27merge_sort_block_merge_implIS3_PhN6thrust23THRUST_200600_302600_NS10device_ptrIlEEjNS1_19radix_merge_compareILb0ELb1EhNS0_19identity_decomposerEEEEE10hipError_tT0_T1_T2_jT3_P12ihipStream_tbPNSt15iterator_traitsISG_E10value_typeEPNSM_ISH_E10value_typeEPSI_NS1_7vsmem_tEENKUlT_SG_SH_SI_E_clIS7_S7_PlSB_EESF_SV_SG_SH_SI_EUlSV_E0_NS1_11comp_targetILNS1_3genE5ELNS1_11target_archE942ELNS1_3gpuE9ELNS1_3repE0EEENS1_38merge_mergepath_config_static_selectorELNS0_4arch9wavefront6targetE1EEEvSH_.kd
    .uniform_work_group_size: 1
    .uses_dynamic_stack: false
    .vgpr_count:     0
    .vgpr_spill_count: 0
    .wavefront_size: 64
  - .args:
      - .offset:         0
        .size:           64
        .value_kind:     by_value
    .group_segment_fixed_size: 0
    .kernarg_segment_align: 8
    .kernarg_segment_size: 64
    .language:       OpenCL C
    .language_version:
      - 2
      - 0
    .max_flat_workgroup_size: 256
    .name:           _ZN7rocprim17ROCPRIM_400000_NS6detail17trampoline_kernelINS0_14default_configENS1_38merge_sort_block_merge_config_selectorIhlEEZZNS1_27merge_sort_block_merge_implIS3_PhN6thrust23THRUST_200600_302600_NS10device_ptrIlEEjNS1_19radix_merge_compareILb0ELb1EhNS0_19identity_decomposerEEEEE10hipError_tT0_T1_T2_jT3_P12ihipStream_tbPNSt15iterator_traitsISG_E10value_typeEPNSM_ISH_E10value_typeEPSI_NS1_7vsmem_tEENKUlT_SG_SH_SI_E_clIS7_S7_PlSB_EESF_SV_SG_SH_SI_EUlSV_E0_NS1_11comp_targetILNS1_3genE4ELNS1_11target_archE910ELNS1_3gpuE8ELNS1_3repE0EEENS1_38merge_mergepath_config_static_selectorELNS0_4arch9wavefront6targetE1EEEvSH_
    .private_segment_fixed_size: 0
    .sgpr_count:     4
    .sgpr_spill_count: 0
    .symbol:         _ZN7rocprim17ROCPRIM_400000_NS6detail17trampoline_kernelINS0_14default_configENS1_38merge_sort_block_merge_config_selectorIhlEEZZNS1_27merge_sort_block_merge_implIS3_PhN6thrust23THRUST_200600_302600_NS10device_ptrIlEEjNS1_19radix_merge_compareILb0ELb1EhNS0_19identity_decomposerEEEEE10hipError_tT0_T1_T2_jT3_P12ihipStream_tbPNSt15iterator_traitsISG_E10value_typeEPNSM_ISH_E10value_typeEPSI_NS1_7vsmem_tEENKUlT_SG_SH_SI_E_clIS7_S7_PlSB_EESF_SV_SG_SH_SI_EUlSV_E0_NS1_11comp_targetILNS1_3genE4ELNS1_11target_archE910ELNS1_3gpuE8ELNS1_3repE0EEENS1_38merge_mergepath_config_static_selectorELNS0_4arch9wavefront6targetE1EEEvSH_.kd
    .uniform_work_group_size: 1
    .uses_dynamic_stack: false
    .vgpr_count:     0
    .vgpr_spill_count: 0
    .wavefront_size: 64
  - .args:
      - .offset:         0
        .size:           64
        .value_kind:     by_value
    .group_segment_fixed_size: 0
    .kernarg_segment_align: 8
    .kernarg_segment_size: 64
    .language:       OpenCL C
    .language_version:
      - 2
      - 0
    .max_flat_workgroup_size: 512
    .name:           _ZN7rocprim17ROCPRIM_400000_NS6detail17trampoline_kernelINS0_14default_configENS1_38merge_sort_block_merge_config_selectorIhlEEZZNS1_27merge_sort_block_merge_implIS3_PhN6thrust23THRUST_200600_302600_NS10device_ptrIlEEjNS1_19radix_merge_compareILb0ELb1EhNS0_19identity_decomposerEEEEE10hipError_tT0_T1_T2_jT3_P12ihipStream_tbPNSt15iterator_traitsISG_E10value_typeEPNSM_ISH_E10value_typeEPSI_NS1_7vsmem_tEENKUlT_SG_SH_SI_E_clIS7_S7_PlSB_EESF_SV_SG_SH_SI_EUlSV_E0_NS1_11comp_targetILNS1_3genE3ELNS1_11target_archE908ELNS1_3gpuE7ELNS1_3repE0EEENS1_38merge_mergepath_config_static_selectorELNS0_4arch9wavefront6targetE1EEEvSH_
    .private_segment_fixed_size: 0
    .sgpr_count:     4
    .sgpr_spill_count: 0
    .symbol:         _ZN7rocprim17ROCPRIM_400000_NS6detail17trampoline_kernelINS0_14default_configENS1_38merge_sort_block_merge_config_selectorIhlEEZZNS1_27merge_sort_block_merge_implIS3_PhN6thrust23THRUST_200600_302600_NS10device_ptrIlEEjNS1_19radix_merge_compareILb0ELb1EhNS0_19identity_decomposerEEEEE10hipError_tT0_T1_T2_jT3_P12ihipStream_tbPNSt15iterator_traitsISG_E10value_typeEPNSM_ISH_E10value_typeEPSI_NS1_7vsmem_tEENKUlT_SG_SH_SI_E_clIS7_S7_PlSB_EESF_SV_SG_SH_SI_EUlSV_E0_NS1_11comp_targetILNS1_3genE3ELNS1_11target_archE908ELNS1_3gpuE7ELNS1_3repE0EEENS1_38merge_mergepath_config_static_selectorELNS0_4arch9wavefront6targetE1EEEvSH_.kd
    .uniform_work_group_size: 1
    .uses_dynamic_stack: false
    .vgpr_count:     0
    .vgpr_spill_count: 0
    .wavefront_size: 64
  - .args:
      - .offset:         0
        .size:           64
        .value_kind:     by_value
      - .offset:         64
        .size:           4
        .value_kind:     hidden_block_count_x
      - .offset:         68
        .size:           4
        .value_kind:     hidden_block_count_y
      - .offset:         72
        .size:           4
        .value_kind:     hidden_block_count_z
      - .offset:         76
        .size:           2
        .value_kind:     hidden_group_size_x
      - .offset:         78
        .size:           2
        .value_kind:     hidden_group_size_y
      - .offset:         80
        .size:           2
        .value_kind:     hidden_group_size_z
      - .offset:         82
        .size:           2
        .value_kind:     hidden_remainder_x
      - .offset:         84
        .size:           2
        .value_kind:     hidden_remainder_y
      - .offset:         86
        .size:           2
        .value_kind:     hidden_remainder_z
      - .offset:         104
        .size:           8
        .value_kind:     hidden_global_offset_x
      - .offset:         112
        .size:           8
        .value_kind:     hidden_global_offset_y
      - .offset:         120
        .size:           8
        .value_kind:     hidden_global_offset_z
      - .offset:         128
        .size:           2
        .value_kind:     hidden_grid_dims
    .group_segment_fixed_size: 8448
    .kernarg_segment_align: 8
    .kernarg_segment_size: 320
    .language:       OpenCL C
    .language_version:
      - 2
      - 0
    .max_flat_workgroup_size: 256
    .name:           _ZN7rocprim17ROCPRIM_400000_NS6detail17trampoline_kernelINS0_14default_configENS1_38merge_sort_block_merge_config_selectorIhlEEZZNS1_27merge_sort_block_merge_implIS3_PhN6thrust23THRUST_200600_302600_NS10device_ptrIlEEjNS1_19radix_merge_compareILb0ELb1EhNS0_19identity_decomposerEEEEE10hipError_tT0_T1_T2_jT3_P12ihipStream_tbPNSt15iterator_traitsISG_E10value_typeEPNSM_ISH_E10value_typeEPSI_NS1_7vsmem_tEENKUlT_SG_SH_SI_E_clIS7_S7_PlSB_EESF_SV_SG_SH_SI_EUlSV_E0_NS1_11comp_targetILNS1_3genE2ELNS1_11target_archE906ELNS1_3gpuE6ELNS1_3repE0EEENS1_38merge_mergepath_config_static_selectorELNS0_4arch9wavefront6targetE1EEEvSH_
    .private_segment_fixed_size: 0
    .sgpr_count:     35
    .sgpr_spill_count: 0
    .symbol:         _ZN7rocprim17ROCPRIM_400000_NS6detail17trampoline_kernelINS0_14default_configENS1_38merge_sort_block_merge_config_selectorIhlEEZZNS1_27merge_sort_block_merge_implIS3_PhN6thrust23THRUST_200600_302600_NS10device_ptrIlEEjNS1_19radix_merge_compareILb0ELb1EhNS0_19identity_decomposerEEEEE10hipError_tT0_T1_T2_jT3_P12ihipStream_tbPNSt15iterator_traitsISG_E10value_typeEPNSM_ISH_E10value_typeEPSI_NS1_7vsmem_tEENKUlT_SG_SH_SI_E_clIS7_S7_PlSB_EESF_SV_SG_SH_SI_EUlSV_E0_NS1_11comp_targetILNS1_3genE2ELNS1_11target_archE906ELNS1_3gpuE6ELNS1_3repE0EEENS1_38merge_mergepath_config_static_selectorELNS0_4arch9wavefront6targetE1EEEvSH_.kd
    .uniform_work_group_size: 1
    .uses_dynamic_stack: false
    .vgpr_count:     35
    .vgpr_spill_count: 0
    .wavefront_size: 64
  - .args:
      - .offset:         0
        .size:           64
        .value_kind:     by_value
    .group_segment_fixed_size: 0
    .kernarg_segment_align: 8
    .kernarg_segment_size: 64
    .language:       OpenCL C
    .language_version:
      - 2
      - 0
    .max_flat_workgroup_size: 512
    .name:           _ZN7rocprim17ROCPRIM_400000_NS6detail17trampoline_kernelINS0_14default_configENS1_38merge_sort_block_merge_config_selectorIhlEEZZNS1_27merge_sort_block_merge_implIS3_PhN6thrust23THRUST_200600_302600_NS10device_ptrIlEEjNS1_19radix_merge_compareILb0ELb1EhNS0_19identity_decomposerEEEEE10hipError_tT0_T1_T2_jT3_P12ihipStream_tbPNSt15iterator_traitsISG_E10value_typeEPNSM_ISH_E10value_typeEPSI_NS1_7vsmem_tEENKUlT_SG_SH_SI_E_clIS7_S7_PlSB_EESF_SV_SG_SH_SI_EUlSV_E0_NS1_11comp_targetILNS1_3genE9ELNS1_11target_archE1100ELNS1_3gpuE3ELNS1_3repE0EEENS1_38merge_mergepath_config_static_selectorELNS0_4arch9wavefront6targetE1EEEvSH_
    .private_segment_fixed_size: 0
    .sgpr_count:     4
    .sgpr_spill_count: 0
    .symbol:         _ZN7rocprim17ROCPRIM_400000_NS6detail17trampoline_kernelINS0_14default_configENS1_38merge_sort_block_merge_config_selectorIhlEEZZNS1_27merge_sort_block_merge_implIS3_PhN6thrust23THRUST_200600_302600_NS10device_ptrIlEEjNS1_19radix_merge_compareILb0ELb1EhNS0_19identity_decomposerEEEEE10hipError_tT0_T1_T2_jT3_P12ihipStream_tbPNSt15iterator_traitsISG_E10value_typeEPNSM_ISH_E10value_typeEPSI_NS1_7vsmem_tEENKUlT_SG_SH_SI_E_clIS7_S7_PlSB_EESF_SV_SG_SH_SI_EUlSV_E0_NS1_11comp_targetILNS1_3genE9ELNS1_11target_archE1100ELNS1_3gpuE3ELNS1_3repE0EEENS1_38merge_mergepath_config_static_selectorELNS0_4arch9wavefront6targetE1EEEvSH_.kd
    .uniform_work_group_size: 1
    .uses_dynamic_stack: false
    .vgpr_count:     0
    .vgpr_spill_count: 0
    .wavefront_size: 64
  - .args:
      - .offset:         0
        .size:           64
        .value_kind:     by_value
    .group_segment_fixed_size: 0
    .kernarg_segment_align: 8
    .kernarg_segment_size: 64
    .language:       OpenCL C
    .language_version:
      - 2
      - 0
    .max_flat_workgroup_size: 1024
    .name:           _ZN7rocprim17ROCPRIM_400000_NS6detail17trampoline_kernelINS0_14default_configENS1_38merge_sort_block_merge_config_selectorIhlEEZZNS1_27merge_sort_block_merge_implIS3_PhN6thrust23THRUST_200600_302600_NS10device_ptrIlEEjNS1_19radix_merge_compareILb0ELb1EhNS0_19identity_decomposerEEEEE10hipError_tT0_T1_T2_jT3_P12ihipStream_tbPNSt15iterator_traitsISG_E10value_typeEPNSM_ISH_E10value_typeEPSI_NS1_7vsmem_tEENKUlT_SG_SH_SI_E_clIS7_S7_PlSB_EESF_SV_SG_SH_SI_EUlSV_E0_NS1_11comp_targetILNS1_3genE8ELNS1_11target_archE1030ELNS1_3gpuE2ELNS1_3repE0EEENS1_38merge_mergepath_config_static_selectorELNS0_4arch9wavefront6targetE1EEEvSH_
    .private_segment_fixed_size: 0
    .sgpr_count:     4
    .sgpr_spill_count: 0
    .symbol:         _ZN7rocprim17ROCPRIM_400000_NS6detail17trampoline_kernelINS0_14default_configENS1_38merge_sort_block_merge_config_selectorIhlEEZZNS1_27merge_sort_block_merge_implIS3_PhN6thrust23THRUST_200600_302600_NS10device_ptrIlEEjNS1_19radix_merge_compareILb0ELb1EhNS0_19identity_decomposerEEEEE10hipError_tT0_T1_T2_jT3_P12ihipStream_tbPNSt15iterator_traitsISG_E10value_typeEPNSM_ISH_E10value_typeEPSI_NS1_7vsmem_tEENKUlT_SG_SH_SI_E_clIS7_S7_PlSB_EESF_SV_SG_SH_SI_EUlSV_E0_NS1_11comp_targetILNS1_3genE8ELNS1_11target_archE1030ELNS1_3gpuE2ELNS1_3repE0EEENS1_38merge_mergepath_config_static_selectorELNS0_4arch9wavefront6targetE1EEEvSH_.kd
    .uniform_work_group_size: 1
    .uses_dynamic_stack: false
    .vgpr_count:     0
    .vgpr_spill_count: 0
    .wavefront_size: 64
  - .args:
      - .offset:         0
        .size:           48
        .value_kind:     by_value
    .group_segment_fixed_size: 0
    .kernarg_segment_align: 8
    .kernarg_segment_size: 48
    .language:       OpenCL C
    .language_version:
      - 2
      - 0
    .max_flat_workgroup_size: 256
    .name:           _ZN7rocprim17ROCPRIM_400000_NS6detail17trampoline_kernelINS0_14default_configENS1_38merge_sort_block_merge_config_selectorIhlEEZZNS1_27merge_sort_block_merge_implIS3_PhN6thrust23THRUST_200600_302600_NS10device_ptrIlEEjNS1_19radix_merge_compareILb0ELb1EhNS0_19identity_decomposerEEEEE10hipError_tT0_T1_T2_jT3_P12ihipStream_tbPNSt15iterator_traitsISG_E10value_typeEPNSM_ISH_E10value_typeEPSI_NS1_7vsmem_tEENKUlT_SG_SH_SI_E_clIS7_S7_PlSB_EESF_SV_SG_SH_SI_EUlSV_E1_NS1_11comp_targetILNS1_3genE0ELNS1_11target_archE4294967295ELNS1_3gpuE0ELNS1_3repE0EEENS1_36merge_oddeven_config_static_selectorELNS0_4arch9wavefront6targetE1EEEvSH_
    .private_segment_fixed_size: 0
    .sgpr_count:     4
    .sgpr_spill_count: 0
    .symbol:         _ZN7rocprim17ROCPRIM_400000_NS6detail17trampoline_kernelINS0_14default_configENS1_38merge_sort_block_merge_config_selectorIhlEEZZNS1_27merge_sort_block_merge_implIS3_PhN6thrust23THRUST_200600_302600_NS10device_ptrIlEEjNS1_19radix_merge_compareILb0ELb1EhNS0_19identity_decomposerEEEEE10hipError_tT0_T1_T2_jT3_P12ihipStream_tbPNSt15iterator_traitsISG_E10value_typeEPNSM_ISH_E10value_typeEPSI_NS1_7vsmem_tEENKUlT_SG_SH_SI_E_clIS7_S7_PlSB_EESF_SV_SG_SH_SI_EUlSV_E1_NS1_11comp_targetILNS1_3genE0ELNS1_11target_archE4294967295ELNS1_3gpuE0ELNS1_3repE0EEENS1_36merge_oddeven_config_static_selectorELNS0_4arch9wavefront6targetE1EEEvSH_.kd
    .uniform_work_group_size: 1
    .uses_dynamic_stack: false
    .vgpr_count:     0
    .vgpr_spill_count: 0
    .wavefront_size: 64
  - .args:
      - .offset:         0
        .size:           48
        .value_kind:     by_value
    .group_segment_fixed_size: 0
    .kernarg_segment_align: 8
    .kernarg_segment_size: 48
    .language:       OpenCL C
    .language_version:
      - 2
      - 0
    .max_flat_workgroup_size: 256
    .name:           _ZN7rocprim17ROCPRIM_400000_NS6detail17trampoline_kernelINS0_14default_configENS1_38merge_sort_block_merge_config_selectorIhlEEZZNS1_27merge_sort_block_merge_implIS3_PhN6thrust23THRUST_200600_302600_NS10device_ptrIlEEjNS1_19radix_merge_compareILb0ELb1EhNS0_19identity_decomposerEEEEE10hipError_tT0_T1_T2_jT3_P12ihipStream_tbPNSt15iterator_traitsISG_E10value_typeEPNSM_ISH_E10value_typeEPSI_NS1_7vsmem_tEENKUlT_SG_SH_SI_E_clIS7_S7_PlSB_EESF_SV_SG_SH_SI_EUlSV_E1_NS1_11comp_targetILNS1_3genE10ELNS1_11target_archE1201ELNS1_3gpuE5ELNS1_3repE0EEENS1_36merge_oddeven_config_static_selectorELNS0_4arch9wavefront6targetE1EEEvSH_
    .private_segment_fixed_size: 0
    .sgpr_count:     4
    .sgpr_spill_count: 0
    .symbol:         _ZN7rocprim17ROCPRIM_400000_NS6detail17trampoline_kernelINS0_14default_configENS1_38merge_sort_block_merge_config_selectorIhlEEZZNS1_27merge_sort_block_merge_implIS3_PhN6thrust23THRUST_200600_302600_NS10device_ptrIlEEjNS1_19radix_merge_compareILb0ELb1EhNS0_19identity_decomposerEEEEE10hipError_tT0_T1_T2_jT3_P12ihipStream_tbPNSt15iterator_traitsISG_E10value_typeEPNSM_ISH_E10value_typeEPSI_NS1_7vsmem_tEENKUlT_SG_SH_SI_E_clIS7_S7_PlSB_EESF_SV_SG_SH_SI_EUlSV_E1_NS1_11comp_targetILNS1_3genE10ELNS1_11target_archE1201ELNS1_3gpuE5ELNS1_3repE0EEENS1_36merge_oddeven_config_static_selectorELNS0_4arch9wavefront6targetE1EEEvSH_.kd
    .uniform_work_group_size: 1
    .uses_dynamic_stack: false
    .vgpr_count:     0
    .vgpr_spill_count: 0
    .wavefront_size: 64
  - .args:
      - .offset:         0
        .size:           48
        .value_kind:     by_value
    .group_segment_fixed_size: 0
    .kernarg_segment_align: 8
    .kernarg_segment_size: 48
    .language:       OpenCL C
    .language_version:
      - 2
      - 0
    .max_flat_workgroup_size: 256
    .name:           _ZN7rocprim17ROCPRIM_400000_NS6detail17trampoline_kernelINS0_14default_configENS1_38merge_sort_block_merge_config_selectorIhlEEZZNS1_27merge_sort_block_merge_implIS3_PhN6thrust23THRUST_200600_302600_NS10device_ptrIlEEjNS1_19radix_merge_compareILb0ELb1EhNS0_19identity_decomposerEEEEE10hipError_tT0_T1_T2_jT3_P12ihipStream_tbPNSt15iterator_traitsISG_E10value_typeEPNSM_ISH_E10value_typeEPSI_NS1_7vsmem_tEENKUlT_SG_SH_SI_E_clIS7_S7_PlSB_EESF_SV_SG_SH_SI_EUlSV_E1_NS1_11comp_targetILNS1_3genE5ELNS1_11target_archE942ELNS1_3gpuE9ELNS1_3repE0EEENS1_36merge_oddeven_config_static_selectorELNS0_4arch9wavefront6targetE1EEEvSH_
    .private_segment_fixed_size: 0
    .sgpr_count:     4
    .sgpr_spill_count: 0
    .symbol:         _ZN7rocprim17ROCPRIM_400000_NS6detail17trampoline_kernelINS0_14default_configENS1_38merge_sort_block_merge_config_selectorIhlEEZZNS1_27merge_sort_block_merge_implIS3_PhN6thrust23THRUST_200600_302600_NS10device_ptrIlEEjNS1_19radix_merge_compareILb0ELb1EhNS0_19identity_decomposerEEEEE10hipError_tT0_T1_T2_jT3_P12ihipStream_tbPNSt15iterator_traitsISG_E10value_typeEPNSM_ISH_E10value_typeEPSI_NS1_7vsmem_tEENKUlT_SG_SH_SI_E_clIS7_S7_PlSB_EESF_SV_SG_SH_SI_EUlSV_E1_NS1_11comp_targetILNS1_3genE5ELNS1_11target_archE942ELNS1_3gpuE9ELNS1_3repE0EEENS1_36merge_oddeven_config_static_selectorELNS0_4arch9wavefront6targetE1EEEvSH_.kd
    .uniform_work_group_size: 1
    .uses_dynamic_stack: false
    .vgpr_count:     0
    .vgpr_spill_count: 0
    .wavefront_size: 64
  - .args:
      - .offset:         0
        .size:           48
        .value_kind:     by_value
    .group_segment_fixed_size: 0
    .kernarg_segment_align: 8
    .kernarg_segment_size: 48
    .language:       OpenCL C
    .language_version:
      - 2
      - 0
    .max_flat_workgroup_size: 256
    .name:           _ZN7rocprim17ROCPRIM_400000_NS6detail17trampoline_kernelINS0_14default_configENS1_38merge_sort_block_merge_config_selectorIhlEEZZNS1_27merge_sort_block_merge_implIS3_PhN6thrust23THRUST_200600_302600_NS10device_ptrIlEEjNS1_19radix_merge_compareILb0ELb1EhNS0_19identity_decomposerEEEEE10hipError_tT0_T1_T2_jT3_P12ihipStream_tbPNSt15iterator_traitsISG_E10value_typeEPNSM_ISH_E10value_typeEPSI_NS1_7vsmem_tEENKUlT_SG_SH_SI_E_clIS7_S7_PlSB_EESF_SV_SG_SH_SI_EUlSV_E1_NS1_11comp_targetILNS1_3genE4ELNS1_11target_archE910ELNS1_3gpuE8ELNS1_3repE0EEENS1_36merge_oddeven_config_static_selectorELNS0_4arch9wavefront6targetE1EEEvSH_
    .private_segment_fixed_size: 0
    .sgpr_count:     4
    .sgpr_spill_count: 0
    .symbol:         _ZN7rocprim17ROCPRIM_400000_NS6detail17trampoline_kernelINS0_14default_configENS1_38merge_sort_block_merge_config_selectorIhlEEZZNS1_27merge_sort_block_merge_implIS3_PhN6thrust23THRUST_200600_302600_NS10device_ptrIlEEjNS1_19radix_merge_compareILb0ELb1EhNS0_19identity_decomposerEEEEE10hipError_tT0_T1_T2_jT3_P12ihipStream_tbPNSt15iterator_traitsISG_E10value_typeEPNSM_ISH_E10value_typeEPSI_NS1_7vsmem_tEENKUlT_SG_SH_SI_E_clIS7_S7_PlSB_EESF_SV_SG_SH_SI_EUlSV_E1_NS1_11comp_targetILNS1_3genE4ELNS1_11target_archE910ELNS1_3gpuE8ELNS1_3repE0EEENS1_36merge_oddeven_config_static_selectorELNS0_4arch9wavefront6targetE1EEEvSH_.kd
    .uniform_work_group_size: 1
    .uses_dynamic_stack: false
    .vgpr_count:     0
    .vgpr_spill_count: 0
    .wavefront_size: 64
  - .args:
      - .offset:         0
        .size:           48
        .value_kind:     by_value
    .group_segment_fixed_size: 0
    .kernarg_segment_align: 8
    .kernarg_segment_size: 48
    .language:       OpenCL C
    .language_version:
      - 2
      - 0
    .max_flat_workgroup_size: 256
    .name:           _ZN7rocprim17ROCPRIM_400000_NS6detail17trampoline_kernelINS0_14default_configENS1_38merge_sort_block_merge_config_selectorIhlEEZZNS1_27merge_sort_block_merge_implIS3_PhN6thrust23THRUST_200600_302600_NS10device_ptrIlEEjNS1_19radix_merge_compareILb0ELb1EhNS0_19identity_decomposerEEEEE10hipError_tT0_T1_T2_jT3_P12ihipStream_tbPNSt15iterator_traitsISG_E10value_typeEPNSM_ISH_E10value_typeEPSI_NS1_7vsmem_tEENKUlT_SG_SH_SI_E_clIS7_S7_PlSB_EESF_SV_SG_SH_SI_EUlSV_E1_NS1_11comp_targetILNS1_3genE3ELNS1_11target_archE908ELNS1_3gpuE7ELNS1_3repE0EEENS1_36merge_oddeven_config_static_selectorELNS0_4arch9wavefront6targetE1EEEvSH_
    .private_segment_fixed_size: 0
    .sgpr_count:     4
    .sgpr_spill_count: 0
    .symbol:         _ZN7rocprim17ROCPRIM_400000_NS6detail17trampoline_kernelINS0_14default_configENS1_38merge_sort_block_merge_config_selectorIhlEEZZNS1_27merge_sort_block_merge_implIS3_PhN6thrust23THRUST_200600_302600_NS10device_ptrIlEEjNS1_19radix_merge_compareILb0ELb1EhNS0_19identity_decomposerEEEEE10hipError_tT0_T1_T2_jT3_P12ihipStream_tbPNSt15iterator_traitsISG_E10value_typeEPNSM_ISH_E10value_typeEPSI_NS1_7vsmem_tEENKUlT_SG_SH_SI_E_clIS7_S7_PlSB_EESF_SV_SG_SH_SI_EUlSV_E1_NS1_11comp_targetILNS1_3genE3ELNS1_11target_archE908ELNS1_3gpuE7ELNS1_3repE0EEENS1_36merge_oddeven_config_static_selectorELNS0_4arch9wavefront6targetE1EEEvSH_.kd
    .uniform_work_group_size: 1
    .uses_dynamic_stack: false
    .vgpr_count:     0
    .vgpr_spill_count: 0
    .wavefront_size: 64
  - .args:
      - .offset:         0
        .size:           48
        .value_kind:     by_value
    .group_segment_fixed_size: 0
    .kernarg_segment_align: 8
    .kernarg_segment_size: 48
    .language:       OpenCL C
    .language_version:
      - 2
      - 0
    .max_flat_workgroup_size: 256
    .name:           _ZN7rocprim17ROCPRIM_400000_NS6detail17trampoline_kernelINS0_14default_configENS1_38merge_sort_block_merge_config_selectorIhlEEZZNS1_27merge_sort_block_merge_implIS3_PhN6thrust23THRUST_200600_302600_NS10device_ptrIlEEjNS1_19radix_merge_compareILb0ELb1EhNS0_19identity_decomposerEEEEE10hipError_tT0_T1_T2_jT3_P12ihipStream_tbPNSt15iterator_traitsISG_E10value_typeEPNSM_ISH_E10value_typeEPSI_NS1_7vsmem_tEENKUlT_SG_SH_SI_E_clIS7_S7_PlSB_EESF_SV_SG_SH_SI_EUlSV_E1_NS1_11comp_targetILNS1_3genE2ELNS1_11target_archE906ELNS1_3gpuE6ELNS1_3repE0EEENS1_36merge_oddeven_config_static_selectorELNS0_4arch9wavefront6targetE1EEEvSH_
    .private_segment_fixed_size: 0
    .sgpr_count:     28
    .sgpr_spill_count: 0
    .symbol:         _ZN7rocprim17ROCPRIM_400000_NS6detail17trampoline_kernelINS0_14default_configENS1_38merge_sort_block_merge_config_selectorIhlEEZZNS1_27merge_sort_block_merge_implIS3_PhN6thrust23THRUST_200600_302600_NS10device_ptrIlEEjNS1_19radix_merge_compareILb0ELb1EhNS0_19identity_decomposerEEEEE10hipError_tT0_T1_T2_jT3_P12ihipStream_tbPNSt15iterator_traitsISG_E10value_typeEPNSM_ISH_E10value_typeEPSI_NS1_7vsmem_tEENKUlT_SG_SH_SI_E_clIS7_S7_PlSB_EESF_SV_SG_SH_SI_EUlSV_E1_NS1_11comp_targetILNS1_3genE2ELNS1_11target_archE906ELNS1_3gpuE6ELNS1_3repE0EEENS1_36merge_oddeven_config_static_selectorELNS0_4arch9wavefront6targetE1EEEvSH_.kd
    .uniform_work_group_size: 1
    .uses_dynamic_stack: false
    .vgpr_count:     11
    .vgpr_spill_count: 0
    .wavefront_size: 64
  - .args:
      - .offset:         0
        .size:           48
        .value_kind:     by_value
    .group_segment_fixed_size: 0
    .kernarg_segment_align: 8
    .kernarg_segment_size: 48
    .language:       OpenCL C
    .language_version:
      - 2
      - 0
    .max_flat_workgroup_size: 256
    .name:           _ZN7rocprim17ROCPRIM_400000_NS6detail17trampoline_kernelINS0_14default_configENS1_38merge_sort_block_merge_config_selectorIhlEEZZNS1_27merge_sort_block_merge_implIS3_PhN6thrust23THRUST_200600_302600_NS10device_ptrIlEEjNS1_19radix_merge_compareILb0ELb1EhNS0_19identity_decomposerEEEEE10hipError_tT0_T1_T2_jT3_P12ihipStream_tbPNSt15iterator_traitsISG_E10value_typeEPNSM_ISH_E10value_typeEPSI_NS1_7vsmem_tEENKUlT_SG_SH_SI_E_clIS7_S7_PlSB_EESF_SV_SG_SH_SI_EUlSV_E1_NS1_11comp_targetILNS1_3genE9ELNS1_11target_archE1100ELNS1_3gpuE3ELNS1_3repE0EEENS1_36merge_oddeven_config_static_selectorELNS0_4arch9wavefront6targetE1EEEvSH_
    .private_segment_fixed_size: 0
    .sgpr_count:     4
    .sgpr_spill_count: 0
    .symbol:         _ZN7rocprim17ROCPRIM_400000_NS6detail17trampoline_kernelINS0_14default_configENS1_38merge_sort_block_merge_config_selectorIhlEEZZNS1_27merge_sort_block_merge_implIS3_PhN6thrust23THRUST_200600_302600_NS10device_ptrIlEEjNS1_19radix_merge_compareILb0ELb1EhNS0_19identity_decomposerEEEEE10hipError_tT0_T1_T2_jT3_P12ihipStream_tbPNSt15iterator_traitsISG_E10value_typeEPNSM_ISH_E10value_typeEPSI_NS1_7vsmem_tEENKUlT_SG_SH_SI_E_clIS7_S7_PlSB_EESF_SV_SG_SH_SI_EUlSV_E1_NS1_11comp_targetILNS1_3genE9ELNS1_11target_archE1100ELNS1_3gpuE3ELNS1_3repE0EEENS1_36merge_oddeven_config_static_selectorELNS0_4arch9wavefront6targetE1EEEvSH_.kd
    .uniform_work_group_size: 1
    .uses_dynamic_stack: false
    .vgpr_count:     0
    .vgpr_spill_count: 0
    .wavefront_size: 64
  - .args:
      - .offset:         0
        .size:           48
        .value_kind:     by_value
    .group_segment_fixed_size: 0
    .kernarg_segment_align: 8
    .kernarg_segment_size: 48
    .language:       OpenCL C
    .language_version:
      - 2
      - 0
    .max_flat_workgroup_size: 256
    .name:           _ZN7rocprim17ROCPRIM_400000_NS6detail17trampoline_kernelINS0_14default_configENS1_38merge_sort_block_merge_config_selectorIhlEEZZNS1_27merge_sort_block_merge_implIS3_PhN6thrust23THRUST_200600_302600_NS10device_ptrIlEEjNS1_19radix_merge_compareILb0ELb1EhNS0_19identity_decomposerEEEEE10hipError_tT0_T1_T2_jT3_P12ihipStream_tbPNSt15iterator_traitsISG_E10value_typeEPNSM_ISH_E10value_typeEPSI_NS1_7vsmem_tEENKUlT_SG_SH_SI_E_clIS7_S7_PlSB_EESF_SV_SG_SH_SI_EUlSV_E1_NS1_11comp_targetILNS1_3genE8ELNS1_11target_archE1030ELNS1_3gpuE2ELNS1_3repE0EEENS1_36merge_oddeven_config_static_selectorELNS0_4arch9wavefront6targetE1EEEvSH_
    .private_segment_fixed_size: 0
    .sgpr_count:     4
    .sgpr_spill_count: 0
    .symbol:         _ZN7rocprim17ROCPRIM_400000_NS6detail17trampoline_kernelINS0_14default_configENS1_38merge_sort_block_merge_config_selectorIhlEEZZNS1_27merge_sort_block_merge_implIS3_PhN6thrust23THRUST_200600_302600_NS10device_ptrIlEEjNS1_19radix_merge_compareILb0ELb1EhNS0_19identity_decomposerEEEEE10hipError_tT0_T1_T2_jT3_P12ihipStream_tbPNSt15iterator_traitsISG_E10value_typeEPNSM_ISH_E10value_typeEPSI_NS1_7vsmem_tEENKUlT_SG_SH_SI_E_clIS7_S7_PlSB_EESF_SV_SG_SH_SI_EUlSV_E1_NS1_11comp_targetILNS1_3genE8ELNS1_11target_archE1030ELNS1_3gpuE2ELNS1_3repE0EEENS1_36merge_oddeven_config_static_selectorELNS0_4arch9wavefront6targetE1EEEvSH_.kd
    .uniform_work_group_size: 1
    .uses_dynamic_stack: false
    .vgpr_count:     0
    .vgpr_spill_count: 0
    .wavefront_size: 64
  - .args:
      - .offset:         0
        .size:           40
        .value_kind:     by_value
    .group_segment_fixed_size: 0
    .kernarg_segment_align: 8
    .kernarg_segment_size: 40
    .language:       OpenCL C
    .language_version:
      - 2
      - 0
    .max_flat_workgroup_size: 128
    .name:           _ZN7rocprim17ROCPRIM_400000_NS6detail17trampoline_kernelINS0_14default_configENS1_38merge_sort_block_merge_config_selectorIhlEEZZNS1_27merge_sort_block_merge_implIS3_PhN6thrust23THRUST_200600_302600_NS10device_ptrIlEEjNS1_19radix_merge_compareILb0ELb1EhNS0_19identity_decomposerEEEEE10hipError_tT0_T1_T2_jT3_P12ihipStream_tbPNSt15iterator_traitsISG_E10value_typeEPNSM_ISH_E10value_typeEPSI_NS1_7vsmem_tEENKUlT_SG_SH_SI_E_clIS7_S7_SB_PlEESF_SV_SG_SH_SI_EUlSV_E_NS1_11comp_targetILNS1_3genE0ELNS1_11target_archE4294967295ELNS1_3gpuE0ELNS1_3repE0EEENS1_48merge_mergepath_partition_config_static_selectorELNS0_4arch9wavefront6targetE1EEEvSH_
    .private_segment_fixed_size: 0
    .sgpr_count:     4
    .sgpr_spill_count: 0
    .symbol:         _ZN7rocprim17ROCPRIM_400000_NS6detail17trampoline_kernelINS0_14default_configENS1_38merge_sort_block_merge_config_selectorIhlEEZZNS1_27merge_sort_block_merge_implIS3_PhN6thrust23THRUST_200600_302600_NS10device_ptrIlEEjNS1_19radix_merge_compareILb0ELb1EhNS0_19identity_decomposerEEEEE10hipError_tT0_T1_T2_jT3_P12ihipStream_tbPNSt15iterator_traitsISG_E10value_typeEPNSM_ISH_E10value_typeEPSI_NS1_7vsmem_tEENKUlT_SG_SH_SI_E_clIS7_S7_SB_PlEESF_SV_SG_SH_SI_EUlSV_E_NS1_11comp_targetILNS1_3genE0ELNS1_11target_archE4294967295ELNS1_3gpuE0ELNS1_3repE0EEENS1_48merge_mergepath_partition_config_static_selectorELNS0_4arch9wavefront6targetE1EEEvSH_.kd
    .uniform_work_group_size: 1
    .uses_dynamic_stack: false
    .vgpr_count:     0
    .vgpr_spill_count: 0
    .wavefront_size: 64
  - .args:
      - .offset:         0
        .size:           40
        .value_kind:     by_value
    .group_segment_fixed_size: 0
    .kernarg_segment_align: 8
    .kernarg_segment_size: 40
    .language:       OpenCL C
    .language_version:
      - 2
      - 0
    .max_flat_workgroup_size: 128
    .name:           _ZN7rocprim17ROCPRIM_400000_NS6detail17trampoline_kernelINS0_14default_configENS1_38merge_sort_block_merge_config_selectorIhlEEZZNS1_27merge_sort_block_merge_implIS3_PhN6thrust23THRUST_200600_302600_NS10device_ptrIlEEjNS1_19radix_merge_compareILb0ELb1EhNS0_19identity_decomposerEEEEE10hipError_tT0_T1_T2_jT3_P12ihipStream_tbPNSt15iterator_traitsISG_E10value_typeEPNSM_ISH_E10value_typeEPSI_NS1_7vsmem_tEENKUlT_SG_SH_SI_E_clIS7_S7_SB_PlEESF_SV_SG_SH_SI_EUlSV_E_NS1_11comp_targetILNS1_3genE10ELNS1_11target_archE1201ELNS1_3gpuE5ELNS1_3repE0EEENS1_48merge_mergepath_partition_config_static_selectorELNS0_4arch9wavefront6targetE1EEEvSH_
    .private_segment_fixed_size: 0
    .sgpr_count:     4
    .sgpr_spill_count: 0
    .symbol:         _ZN7rocprim17ROCPRIM_400000_NS6detail17trampoline_kernelINS0_14default_configENS1_38merge_sort_block_merge_config_selectorIhlEEZZNS1_27merge_sort_block_merge_implIS3_PhN6thrust23THRUST_200600_302600_NS10device_ptrIlEEjNS1_19radix_merge_compareILb0ELb1EhNS0_19identity_decomposerEEEEE10hipError_tT0_T1_T2_jT3_P12ihipStream_tbPNSt15iterator_traitsISG_E10value_typeEPNSM_ISH_E10value_typeEPSI_NS1_7vsmem_tEENKUlT_SG_SH_SI_E_clIS7_S7_SB_PlEESF_SV_SG_SH_SI_EUlSV_E_NS1_11comp_targetILNS1_3genE10ELNS1_11target_archE1201ELNS1_3gpuE5ELNS1_3repE0EEENS1_48merge_mergepath_partition_config_static_selectorELNS0_4arch9wavefront6targetE1EEEvSH_.kd
    .uniform_work_group_size: 1
    .uses_dynamic_stack: false
    .vgpr_count:     0
    .vgpr_spill_count: 0
    .wavefront_size: 64
  - .args:
      - .offset:         0
        .size:           40
        .value_kind:     by_value
    .group_segment_fixed_size: 0
    .kernarg_segment_align: 8
    .kernarg_segment_size: 40
    .language:       OpenCL C
    .language_version:
      - 2
      - 0
    .max_flat_workgroup_size: 128
    .name:           _ZN7rocprim17ROCPRIM_400000_NS6detail17trampoline_kernelINS0_14default_configENS1_38merge_sort_block_merge_config_selectorIhlEEZZNS1_27merge_sort_block_merge_implIS3_PhN6thrust23THRUST_200600_302600_NS10device_ptrIlEEjNS1_19radix_merge_compareILb0ELb1EhNS0_19identity_decomposerEEEEE10hipError_tT0_T1_T2_jT3_P12ihipStream_tbPNSt15iterator_traitsISG_E10value_typeEPNSM_ISH_E10value_typeEPSI_NS1_7vsmem_tEENKUlT_SG_SH_SI_E_clIS7_S7_SB_PlEESF_SV_SG_SH_SI_EUlSV_E_NS1_11comp_targetILNS1_3genE5ELNS1_11target_archE942ELNS1_3gpuE9ELNS1_3repE0EEENS1_48merge_mergepath_partition_config_static_selectorELNS0_4arch9wavefront6targetE1EEEvSH_
    .private_segment_fixed_size: 0
    .sgpr_count:     4
    .sgpr_spill_count: 0
    .symbol:         _ZN7rocprim17ROCPRIM_400000_NS6detail17trampoline_kernelINS0_14default_configENS1_38merge_sort_block_merge_config_selectorIhlEEZZNS1_27merge_sort_block_merge_implIS3_PhN6thrust23THRUST_200600_302600_NS10device_ptrIlEEjNS1_19radix_merge_compareILb0ELb1EhNS0_19identity_decomposerEEEEE10hipError_tT0_T1_T2_jT3_P12ihipStream_tbPNSt15iterator_traitsISG_E10value_typeEPNSM_ISH_E10value_typeEPSI_NS1_7vsmem_tEENKUlT_SG_SH_SI_E_clIS7_S7_SB_PlEESF_SV_SG_SH_SI_EUlSV_E_NS1_11comp_targetILNS1_3genE5ELNS1_11target_archE942ELNS1_3gpuE9ELNS1_3repE0EEENS1_48merge_mergepath_partition_config_static_selectorELNS0_4arch9wavefront6targetE1EEEvSH_.kd
    .uniform_work_group_size: 1
    .uses_dynamic_stack: false
    .vgpr_count:     0
    .vgpr_spill_count: 0
    .wavefront_size: 64
  - .args:
      - .offset:         0
        .size:           40
        .value_kind:     by_value
    .group_segment_fixed_size: 0
    .kernarg_segment_align: 8
    .kernarg_segment_size: 40
    .language:       OpenCL C
    .language_version:
      - 2
      - 0
    .max_flat_workgroup_size: 128
    .name:           _ZN7rocprim17ROCPRIM_400000_NS6detail17trampoline_kernelINS0_14default_configENS1_38merge_sort_block_merge_config_selectorIhlEEZZNS1_27merge_sort_block_merge_implIS3_PhN6thrust23THRUST_200600_302600_NS10device_ptrIlEEjNS1_19radix_merge_compareILb0ELb1EhNS0_19identity_decomposerEEEEE10hipError_tT0_T1_T2_jT3_P12ihipStream_tbPNSt15iterator_traitsISG_E10value_typeEPNSM_ISH_E10value_typeEPSI_NS1_7vsmem_tEENKUlT_SG_SH_SI_E_clIS7_S7_SB_PlEESF_SV_SG_SH_SI_EUlSV_E_NS1_11comp_targetILNS1_3genE4ELNS1_11target_archE910ELNS1_3gpuE8ELNS1_3repE0EEENS1_48merge_mergepath_partition_config_static_selectorELNS0_4arch9wavefront6targetE1EEEvSH_
    .private_segment_fixed_size: 0
    .sgpr_count:     4
    .sgpr_spill_count: 0
    .symbol:         _ZN7rocprim17ROCPRIM_400000_NS6detail17trampoline_kernelINS0_14default_configENS1_38merge_sort_block_merge_config_selectorIhlEEZZNS1_27merge_sort_block_merge_implIS3_PhN6thrust23THRUST_200600_302600_NS10device_ptrIlEEjNS1_19radix_merge_compareILb0ELb1EhNS0_19identity_decomposerEEEEE10hipError_tT0_T1_T2_jT3_P12ihipStream_tbPNSt15iterator_traitsISG_E10value_typeEPNSM_ISH_E10value_typeEPSI_NS1_7vsmem_tEENKUlT_SG_SH_SI_E_clIS7_S7_SB_PlEESF_SV_SG_SH_SI_EUlSV_E_NS1_11comp_targetILNS1_3genE4ELNS1_11target_archE910ELNS1_3gpuE8ELNS1_3repE0EEENS1_48merge_mergepath_partition_config_static_selectorELNS0_4arch9wavefront6targetE1EEEvSH_.kd
    .uniform_work_group_size: 1
    .uses_dynamic_stack: false
    .vgpr_count:     0
    .vgpr_spill_count: 0
    .wavefront_size: 64
  - .args:
      - .offset:         0
        .size:           40
        .value_kind:     by_value
    .group_segment_fixed_size: 0
    .kernarg_segment_align: 8
    .kernarg_segment_size: 40
    .language:       OpenCL C
    .language_version:
      - 2
      - 0
    .max_flat_workgroup_size: 128
    .name:           _ZN7rocprim17ROCPRIM_400000_NS6detail17trampoline_kernelINS0_14default_configENS1_38merge_sort_block_merge_config_selectorIhlEEZZNS1_27merge_sort_block_merge_implIS3_PhN6thrust23THRUST_200600_302600_NS10device_ptrIlEEjNS1_19radix_merge_compareILb0ELb1EhNS0_19identity_decomposerEEEEE10hipError_tT0_T1_T2_jT3_P12ihipStream_tbPNSt15iterator_traitsISG_E10value_typeEPNSM_ISH_E10value_typeEPSI_NS1_7vsmem_tEENKUlT_SG_SH_SI_E_clIS7_S7_SB_PlEESF_SV_SG_SH_SI_EUlSV_E_NS1_11comp_targetILNS1_3genE3ELNS1_11target_archE908ELNS1_3gpuE7ELNS1_3repE0EEENS1_48merge_mergepath_partition_config_static_selectorELNS0_4arch9wavefront6targetE1EEEvSH_
    .private_segment_fixed_size: 0
    .sgpr_count:     4
    .sgpr_spill_count: 0
    .symbol:         _ZN7rocprim17ROCPRIM_400000_NS6detail17trampoline_kernelINS0_14default_configENS1_38merge_sort_block_merge_config_selectorIhlEEZZNS1_27merge_sort_block_merge_implIS3_PhN6thrust23THRUST_200600_302600_NS10device_ptrIlEEjNS1_19radix_merge_compareILb0ELb1EhNS0_19identity_decomposerEEEEE10hipError_tT0_T1_T2_jT3_P12ihipStream_tbPNSt15iterator_traitsISG_E10value_typeEPNSM_ISH_E10value_typeEPSI_NS1_7vsmem_tEENKUlT_SG_SH_SI_E_clIS7_S7_SB_PlEESF_SV_SG_SH_SI_EUlSV_E_NS1_11comp_targetILNS1_3genE3ELNS1_11target_archE908ELNS1_3gpuE7ELNS1_3repE0EEENS1_48merge_mergepath_partition_config_static_selectorELNS0_4arch9wavefront6targetE1EEEvSH_.kd
    .uniform_work_group_size: 1
    .uses_dynamic_stack: false
    .vgpr_count:     0
    .vgpr_spill_count: 0
    .wavefront_size: 64
  - .args:
      - .offset:         0
        .size:           40
        .value_kind:     by_value
    .group_segment_fixed_size: 0
    .kernarg_segment_align: 8
    .kernarg_segment_size: 40
    .language:       OpenCL C
    .language_version:
      - 2
      - 0
    .max_flat_workgroup_size: 128
    .name:           _ZN7rocprim17ROCPRIM_400000_NS6detail17trampoline_kernelINS0_14default_configENS1_38merge_sort_block_merge_config_selectorIhlEEZZNS1_27merge_sort_block_merge_implIS3_PhN6thrust23THRUST_200600_302600_NS10device_ptrIlEEjNS1_19radix_merge_compareILb0ELb1EhNS0_19identity_decomposerEEEEE10hipError_tT0_T1_T2_jT3_P12ihipStream_tbPNSt15iterator_traitsISG_E10value_typeEPNSM_ISH_E10value_typeEPSI_NS1_7vsmem_tEENKUlT_SG_SH_SI_E_clIS7_S7_SB_PlEESF_SV_SG_SH_SI_EUlSV_E_NS1_11comp_targetILNS1_3genE2ELNS1_11target_archE906ELNS1_3gpuE6ELNS1_3repE0EEENS1_48merge_mergepath_partition_config_static_selectorELNS0_4arch9wavefront6targetE1EEEvSH_
    .private_segment_fixed_size: 0
    .sgpr_count:     14
    .sgpr_spill_count: 0
    .symbol:         _ZN7rocprim17ROCPRIM_400000_NS6detail17trampoline_kernelINS0_14default_configENS1_38merge_sort_block_merge_config_selectorIhlEEZZNS1_27merge_sort_block_merge_implIS3_PhN6thrust23THRUST_200600_302600_NS10device_ptrIlEEjNS1_19radix_merge_compareILb0ELb1EhNS0_19identity_decomposerEEEEE10hipError_tT0_T1_T2_jT3_P12ihipStream_tbPNSt15iterator_traitsISG_E10value_typeEPNSM_ISH_E10value_typeEPSI_NS1_7vsmem_tEENKUlT_SG_SH_SI_E_clIS7_S7_SB_PlEESF_SV_SG_SH_SI_EUlSV_E_NS1_11comp_targetILNS1_3genE2ELNS1_11target_archE906ELNS1_3gpuE6ELNS1_3repE0EEENS1_48merge_mergepath_partition_config_static_selectorELNS0_4arch9wavefront6targetE1EEEvSH_.kd
    .uniform_work_group_size: 1
    .uses_dynamic_stack: false
    .vgpr_count:     16
    .vgpr_spill_count: 0
    .wavefront_size: 64
  - .args:
      - .offset:         0
        .size:           40
        .value_kind:     by_value
    .group_segment_fixed_size: 0
    .kernarg_segment_align: 8
    .kernarg_segment_size: 40
    .language:       OpenCL C
    .language_version:
      - 2
      - 0
    .max_flat_workgroup_size: 128
    .name:           _ZN7rocprim17ROCPRIM_400000_NS6detail17trampoline_kernelINS0_14default_configENS1_38merge_sort_block_merge_config_selectorIhlEEZZNS1_27merge_sort_block_merge_implIS3_PhN6thrust23THRUST_200600_302600_NS10device_ptrIlEEjNS1_19radix_merge_compareILb0ELb1EhNS0_19identity_decomposerEEEEE10hipError_tT0_T1_T2_jT3_P12ihipStream_tbPNSt15iterator_traitsISG_E10value_typeEPNSM_ISH_E10value_typeEPSI_NS1_7vsmem_tEENKUlT_SG_SH_SI_E_clIS7_S7_SB_PlEESF_SV_SG_SH_SI_EUlSV_E_NS1_11comp_targetILNS1_3genE9ELNS1_11target_archE1100ELNS1_3gpuE3ELNS1_3repE0EEENS1_48merge_mergepath_partition_config_static_selectorELNS0_4arch9wavefront6targetE1EEEvSH_
    .private_segment_fixed_size: 0
    .sgpr_count:     4
    .sgpr_spill_count: 0
    .symbol:         _ZN7rocprim17ROCPRIM_400000_NS6detail17trampoline_kernelINS0_14default_configENS1_38merge_sort_block_merge_config_selectorIhlEEZZNS1_27merge_sort_block_merge_implIS3_PhN6thrust23THRUST_200600_302600_NS10device_ptrIlEEjNS1_19radix_merge_compareILb0ELb1EhNS0_19identity_decomposerEEEEE10hipError_tT0_T1_T2_jT3_P12ihipStream_tbPNSt15iterator_traitsISG_E10value_typeEPNSM_ISH_E10value_typeEPSI_NS1_7vsmem_tEENKUlT_SG_SH_SI_E_clIS7_S7_SB_PlEESF_SV_SG_SH_SI_EUlSV_E_NS1_11comp_targetILNS1_3genE9ELNS1_11target_archE1100ELNS1_3gpuE3ELNS1_3repE0EEENS1_48merge_mergepath_partition_config_static_selectorELNS0_4arch9wavefront6targetE1EEEvSH_.kd
    .uniform_work_group_size: 1
    .uses_dynamic_stack: false
    .vgpr_count:     0
    .vgpr_spill_count: 0
    .wavefront_size: 64
  - .args:
      - .offset:         0
        .size:           40
        .value_kind:     by_value
    .group_segment_fixed_size: 0
    .kernarg_segment_align: 8
    .kernarg_segment_size: 40
    .language:       OpenCL C
    .language_version:
      - 2
      - 0
    .max_flat_workgroup_size: 128
    .name:           _ZN7rocprim17ROCPRIM_400000_NS6detail17trampoline_kernelINS0_14default_configENS1_38merge_sort_block_merge_config_selectorIhlEEZZNS1_27merge_sort_block_merge_implIS3_PhN6thrust23THRUST_200600_302600_NS10device_ptrIlEEjNS1_19radix_merge_compareILb0ELb1EhNS0_19identity_decomposerEEEEE10hipError_tT0_T1_T2_jT3_P12ihipStream_tbPNSt15iterator_traitsISG_E10value_typeEPNSM_ISH_E10value_typeEPSI_NS1_7vsmem_tEENKUlT_SG_SH_SI_E_clIS7_S7_SB_PlEESF_SV_SG_SH_SI_EUlSV_E_NS1_11comp_targetILNS1_3genE8ELNS1_11target_archE1030ELNS1_3gpuE2ELNS1_3repE0EEENS1_48merge_mergepath_partition_config_static_selectorELNS0_4arch9wavefront6targetE1EEEvSH_
    .private_segment_fixed_size: 0
    .sgpr_count:     4
    .sgpr_spill_count: 0
    .symbol:         _ZN7rocprim17ROCPRIM_400000_NS6detail17trampoline_kernelINS0_14default_configENS1_38merge_sort_block_merge_config_selectorIhlEEZZNS1_27merge_sort_block_merge_implIS3_PhN6thrust23THRUST_200600_302600_NS10device_ptrIlEEjNS1_19radix_merge_compareILb0ELb1EhNS0_19identity_decomposerEEEEE10hipError_tT0_T1_T2_jT3_P12ihipStream_tbPNSt15iterator_traitsISG_E10value_typeEPNSM_ISH_E10value_typeEPSI_NS1_7vsmem_tEENKUlT_SG_SH_SI_E_clIS7_S7_SB_PlEESF_SV_SG_SH_SI_EUlSV_E_NS1_11comp_targetILNS1_3genE8ELNS1_11target_archE1030ELNS1_3gpuE2ELNS1_3repE0EEENS1_48merge_mergepath_partition_config_static_selectorELNS0_4arch9wavefront6targetE1EEEvSH_.kd
    .uniform_work_group_size: 1
    .uses_dynamic_stack: false
    .vgpr_count:     0
    .vgpr_spill_count: 0
    .wavefront_size: 64
  - .args:
      - .offset:         0
        .size:           64
        .value_kind:     by_value
    .group_segment_fixed_size: 0
    .kernarg_segment_align: 8
    .kernarg_segment_size: 64
    .language:       OpenCL C
    .language_version:
      - 2
      - 0
    .max_flat_workgroup_size: 512
    .name:           _ZN7rocprim17ROCPRIM_400000_NS6detail17trampoline_kernelINS0_14default_configENS1_38merge_sort_block_merge_config_selectorIhlEEZZNS1_27merge_sort_block_merge_implIS3_PhN6thrust23THRUST_200600_302600_NS10device_ptrIlEEjNS1_19radix_merge_compareILb0ELb1EhNS0_19identity_decomposerEEEEE10hipError_tT0_T1_T2_jT3_P12ihipStream_tbPNSt15iterator_traitsISG_E10value_typeEPNSM_ISH_E10value_typeEPSI_NS1_7vsmem_tEENKUlT_SG_SH_SI_E_clIS7_S7_SB_PlEESF_SV_SG_SH_SI_EUlSV_E0_NS1_11comp_targetILNS1_3genE0ELNS1_11target_archE4294967295ELNS1_3gpuE0ELNS1_3repE0EEENS1_38merge_mergepath_config_static_selectorELNS0_4arch9wavefront6targetE1EEEvSH_
    .private_segment_fixed_size: 0
    .sgpr_count:     4
    .sgpr_spill_count: 0
    .symbol:         _ZN7rocprim17ROCPRIM_400000_NS6detail17trampoline_kernelINS0_14default_configENS1_38merge_sort_block_merge_config_selectorIhlEEZZNS1_27merge_sort_block_merge_implIS3_PhN6thrust23THRUST_200600_302600_NS10device_ptrIlEEjNS1_19radix_merge_compareILb0ELb1EhNS0_19identity_decomposerEEEEE10hipError_tT0_T1_T2_jT3_P12ihipStream_tbPNSt15iterator_traitsISG_E10value_typeEPNSM_ISH_E10value_typeEPSI_NS1_7vsmem_tEENKUlT_SG_SH_SI_E_clIS7_S7_SB_PlEESF_SV_SG_SH_SI_EUlSV_E0_NS1_11comp_targetILNS1_3genE0ELNS1_11target_archE4294967295ELNS1_3gpuE0ELNS1_3repE0EEENS1_38merge_mergepath_config_static_selectorELNS0_4arch9wavefront6targetE1EEEvSH_.kd
    .uniform_work_group_size: 1
    .uses_dynamic_stack: false
    .vgpr_count:     0
    .vgpr_spill_count: 0
    .wavefront_size: 64
  - .args:
      - .offset:         0
        .size:           64
        .value_kind:     by_value
    .group_segment_fixed_size: 0
    .kernarg_segment_align: 8
    .kernarg_segment_size: 64
    .language:       OpenCL C
    .language_version:
      - 2
      - 0
    .max_flat_workgroup_size: 128
    .name:           _ZN7rocprim17ROCPRIM_400000_NS6detail17trampoline_kernelINS0_14default_configENS1_38merge_sort_block_merge_config_selectorIhlEEZZNS1_27merge_sort_block_merge_implIS3_PhN6thrust23THRUST_200600_302600_NS10device_ptrIlEEjNS1_19radix_merge_compareILb0ELb1EhNS0_19identity_decomposerEEEEE10hipError_tT0_T1_T2_jT3_P12ihipStream_tbPNSt15iterator_traitsISG_E10value_typeEPNSM_ISH_E10value_typeEPSI_NS1_7vsmem_tEENKUlT_SG_SH_SI_E_clIS7_S7_SB_PlEESF_SV_SG_SH_SI_EUlSV_E0_NS1_11comp_targetILNS1_3genE10ELNS1_11target_archE1201ELNS1_3gpuE5ELNS1_3repE0EEENS1_38merge_mergepath_config_static_selectorELNS0_4arch9wavefront6targetE1EEEvSH_
    .private_segment_fixed_size: 0
    .sgpr_count:     4
    .sgpr_spill_count: 0
    .symbol:         _ZN7rocprim17ROCPRIM_400000_NS6detail17trampoline_kernelINS0_14default_configENS1_38merge_sort_block_merge_config_selectorIhlEEZZNS1_27merge_sort_block_merge_implIS3_PhN6thrust23THRUST_200600_302600_NS10device_ptrIlEEjNS1_19radix_merge_compareILb0ELb1EhNS0_19identity_decomposerEEEEE10hipError_tT0_T1_T2_jT3_P12ihipStream_tbPNSt15iterator_traitsISG_E10value_typeEPNSM_ISH_E10value_typeEPSI_NS1_7vsmem_tEENKUlT_SG_SH_SI_E_clIS7_S7_SB_PlEESF_SV_SG_SH_SI_EUlSV_E0_NS1_11comp_targetILNS1_3genE10ELNS1_11target_archE1201ELNS1_3gpuE5ELNS1_3repE0EEENS1_38merge_mergepath_config_static_selectorELNS0_4arch9wavefront6targetE1EEEvSH_.kd
    .uniform_work_group_size: 1
    .uses_dynamic_stack: false
    .vgpr_count:     0
    .vgpr_spill_count: 0
    .wavefront_size: 64
  - .args:
      - .offset:         0
        .size:           64
        .value_kind:     by_value
    .group_segment_fixed_size: 0
    .kernarg_segment_align: 8
    .kernarg_segment_size: 64
    .language:       OpenCL C
    .language_version:
      - 2
      - 0
    .max_flat_workgroup_size: 128
    .name:           _ZN7rocprim17ROCPRIM_400000_NS6detail17trampoline_kernelINS0_14default_configENS1_38merge_sort_block_merge_config_selectorIhlEEZZNS1_27merge_sort_block_merge_implIS3_PhN6thrust23THRUST_200600_302600_NS10device_ptrIlEEjNS1_19radix_merge_compareILb0ELb1EhNS0_19identity_decomposerEEEEE10hipError_tT0_T1_T2_jT3_P12ihipStream_tbPNSt15iterator_traitsISG_E10value_typeEPNSM_ISH_E10value_typeEPSI_NS1_7vsmem_tEENKUlT_SG_SH_SI_E_clIS7_S7_SB_PlEESF_SV_SG_SH_SI_EUlSV_E0_NS1_11comp_targetILNS1_3genE5ELNS1_11target_archE942ELNS1_3gpuE9ELNS1_3repE0EEENS1_38merge_mergepath_config_static_selectorELNS0_4arch9wavefront6targetE1EEEvSH_
    .private_segment_fixed_size: 0
    .sgpr_count:     4
    .sgpr_spill_count: 0
    .symbol:         _ZN7rocprim17ROCPRIM_400000_NS6detail17trampoline_kernelINS0_14default_configENS1_38merge_sort_block_merge_config_selectorIhlEEZZNS1_27merge_sort_block_merge_implIS3_PhN6thrust23THRUST_200600_302600_NS10device_ptrIlEEjNS1_19radix_merge_compareILb0ELb1EhNS0_19identity_decomposerEEEEE10hipError_tT0_T1_T2_jT3_P12ihipStream_tbPNSt15iterator_traitsISG_E10value_typeEPNSM_ISH_E10value_typeEPSI_NS1_7vsmem_tEENKUlT_SG_SH_SI_E_clIS7_S7_SB_PlEESF_SV_SG_SH_SI_EUlSV_E0_NS1_11comp_targetILNS1_3genE5ELNS1_11target_archE942ELNS1_3gpuE9ELNS1_3repE0EEENS1_38merge_mergepath_config_static_selectorELNS0_4arch9wavefront6targetE1EEEvSH_.kd
    .uniform_work_group_size: 1
    .uses_dynamic_stack: false
    .vgpr_count:     0
    .vgpr_spill_count: 0
    .wavefront_size: 64
  - .args:
      - .offset:         0
        .size:           64
        .value_kind:     by_value
    .group_segment_fixed_size: 0
    .kernarg_segment_align: 8
    .kernarg_segment_size: 64
    .language:       OpenCL C
    .language_version:
      - 2
      - 0
    .max_flat_workgroup_size: 256
    .name:           _ZN7rocprim17ROCPRIM_400000_NS6detail17trampoline_kernelINS0_14default_configENS1_38merge_sort_block_merge_config_selectorIhlEEZZNS1_27merge_sort_block_merge_implIS3_PhN6thrust23THRUST_200600_302600_NS10device_ptrIlEEjNS1_19radix_merge_compareILb0ELb1EhNS0_19identity_decomposerEEEEE10hipError_tT0_T1_T2_jT3_P12ihipStream_tbPNSt15iterator_traitsISG_E10value_typeEPNSM_ISH_E10value_typeEPSI_NS1_7vsmem_tEENKUlT_SG_SH_SI_E_clIS7_S7_SB_PlEESF_SV_SG_SH_SI_EUlSV_E0_NS1_11comp_targetILNS1_3genE4ELNS1_11target_archE910ELNS1_3gpuE8ELNS1_3repE0EEENS1_38merge_mergepath_config_static_selectorELNS0_4arch9wavefront6targetE1EEEvSH_
    .private_segment_fixed_size: 0
    .sgpr_count:     4
    .sgpr_spill_count: 0
    .symbol:         _ZN7rocprim17ROCPRIM_400000_NS6detail17trampoline_kernelINS0_14default_configENS1_38merge_sort_block_merge_config_selectorIhlEEZZNS1_27merge_sort_block_merge_implIS3_PhN6thrust23THRUST_200600_302600_NS10device_ptrIlEEjNS1_19radix_merge_compareILb0ELb1EhNS0_19identity_decomposerEEEEE10hipError_tT0_T1_T2_jT3_P12ihipStream_tbPNSt15iterator_traitsISG_E10value_typeEPNSM_ISH_E10value_typeEPSI_NS1_7vsmem_tEENKUlT_SG_SH_SI_E_clIS7_S7_SB_PlEESF_SV_SG_SH_SI_EUlSV_E0_NS1_11comp_targetILNS1_3genE4ELNS1_11target_archE910ELNS1_3gpuE8ELNS1_3repE0EEENS1_38merge_mergepath_config_static_selectorELNS0_4arch9wavefront6targetE1EEEvSH_.kd
    .uniform_work_group_size: 1
    .uses_dynamic_stack: false
    .vgpr_count:     0
    .vgpr_spill_count: 0
    .wavefront_size: 64
  - .args:
      - .offset:         0
        .size:           64
        .value_kind:     by_value
    .group_segment_fixed_size: 0
    .kernarg_segment_align: 8
    .kernarg_segment_size: 64
    .language:       OpenCL C
    .language_version:
      - 2
      - 0
    .max_flat_workgroup_size: 512
    .name:           _ZN7rocprim17ROCPRIM_400000_NS6detail17trampoline_kernelINS0_14default_configENS1_38merge_sort_block_merge_config_selectorIhlEEZZNS1_27merge_sort_block_merge_implIS3_PhN6thrust23THRUST_200600_302600_NS10device_ptrIlEEjNS1_19radix_merge_compareILb0ELb1EhNS0_19identity_decomposerEEEEE10hipError_tT0_T1_T2_jT3_P12ihipStream_tbPNSt15iterator_traitsISG_E10value_typeEPNSM_ISH_E10value_typeEPSI_NS1_7vsmem_tEENKUlT_SG_SH_SI_E_clIS7_S7_SB_PlEESF_SV_SG_SH_SI_EUlSV_E0_NS1_11comp_targetILNS1_3genE3ELNS1_11target_archE908ELNS1_3gpuE7ELNS1_3repE0EEENS1_38merge_mergepath_config_static_selectorELNS0_4arch9wavefront6targetE1EEEvSH_
    .private_segment_fixed_size: 0
    .sgpr_count:     4
    .sgpr_spill_count: 0
    .symbol:         _ZN7rocprim17ROCPRIM_400000_NS6detail17trampoline_kernelINS0_14default_configENS1_38merge_sort_block_merge_config_selectorIhlEEZZNS1_27merge_sort_block_merge_implIS3_PhN6thrust23THRUST_200600_302600_NS10device_ptrIlEEjNS1_19radix_merge_compareILb0ELb1EhNS0_19identity_decomposerEEEEE10hipError_tT0_T1_T2_jT3_P12ihipStream_tbPNSt15iterator_traitsISG_E10value_typeEPNSM_ISH_E10value_typeEPSI_NS1_7vsmem_tEENKUlT_SG_SH_SI_E_clIS7_S7_SB_PlEESF_SV_SG_SH_SI_EUlSV_E0_NS1_11comp_targetILNS1_3genE3ELNS1_11target_archE908ELNS1_3gpuE7ELNS1_3repE0EEENS1_38merge_mergepath_config_static_selectorELNS0_4arch9wavefront6targetE1EEEvSH_.kd
    .uniform_work_group_size: 1
    .uses_dynamic_stack: false
    .vgpr_count:     0
    .vgpr_spill_count: 0
    .wavefront_size: 64
  - .args:
      - .offset:         0
        .size:           64
        .value_kind:     by_value
      - .offset:         64
        .size:           4
        .value_kind:     hidden_block_count_x
      - .offset:         68
        .size:           4
        .value_kind:     hidden_block_count_y
      - .offset:         72
        .size:           4
        .value_kind:     hidden_block_count_z
      - .offset:         76
        .size:           2
        .value_kind:     hidden_group_size_x
      - .offset:         78
        .size:           2
        .value_kind:     hidden_group_size_y
      - .offset:         80
        .size:           2
        .value_kind:     hidden_group_size_z
      - .offset:         82
        .size:           2
        .value_kind:     hidden_remainder_x
      - .offset:         84
        .size:           2
        .value_kind:     hidden_remainder_y
      - .offset:         86
        .size:           2
        .value_kind:     hidden_remainder_z
      - .offset:         104
        .size:           8
        .value_kind:     hidden_global_offset_x
      - .offset:         112
        .size:           8
        .value_kind:     hidden_global_offset_y
      - .offset:         120
        .size:           8
        .value_kind:     hidden_global_offset_z
      - .offset:         128
        .size:           2
        .value_kind:     hidden_grid_dims
    .group_segment_fixed_size: 8448
    .kernarg_segment_align: 8
    .kernarg_segment_size: 320
    .language:       OpenCL C
    .language_version:
      - 2
      - 0
    .max_flat_workgroup_size: 256
    .name:           _ZN7rocprim17ROCPRIM_400000_NS6detail17trampoline_kernelINS0_14default_configENS1_38merge_sort_block_merge_config_selectorIhlEEZZNS1_27merge_sort_block_merge_implIS3_PhN6thrust23THRUST_200600_302600_NS10device_ptrIlEEjNS1_19radix_merge_compareILb0ELb1EhNS0_19identity_decomposerEEEEE10hipError_tT0_T1_T2_jT3_P12ihipStream_tbPNSt15iterator_traitsISG_E10value_typeEPNSM_ISH_E10value_typeEPSI_NS1_7vsmem_tEENKUlT_SG_SH_SI_E_clIS7_S7_SB_PlEESF_SV_SG_SH_SI_EUlSV_E0_NS1_11comp_targetILNS1_3genE2ELNS1_11target_archE906ELNS1_3gpuE6ELNS1_3repE0EEENS1_38merge_mergepath_config_static_selectorELNS0_4arch9wavefront6targetE1EEEvSH_
    .private_segment_fixed_size: 0
    .sgpr_count:     35
    .sgpr_spill_count: 0
    .symbol:         _ZN7rocprim17ROCPRIM_400000_NS6detail17trampoline_kernelINS0_14default_configENS1_38merge_sort_block_merge_config_selectorIhlEEZZNS1_27merge_sort_block_merge_implIS3_PhN6thrust23THRUST_200600_302600_NS10device_ptrIlEEjNS1_19radix_merge_compareILb0ELb1EhNS0_19identity_decomposerEEEEE10hipError_tT0_T1_T2_jT3_P12ihipStream_tbPNSt15iterator_traitsISG_E10value_typeEPNSM_ISH_E10value_typeEPSI_NS1_7vsmem_tEENKUlT_SG_SH_SI_E_clIS7_S7_SB_PlEESF_SV_SG_SH_SI_EUlSV_E0_NS1_11comp_targetILNS1_3genE2ELNS1_11target_archE906ELNS1_3gpuE6ELNS1_3repE0EEENS1_38merge_mergepath_config_static_selectorELNS0_4arch9wavefront6targetE1EEEvSH_.kd
    .uniform_work_group_size: 1
    .uses_dynamic_stack: false
    .vgpr_count:     35
    .vgpr_spill_count: 0
    .wavefront_size: 64
  - .args:
      - .offset:         0
        .size:           64
        .value_kind:     by_value
    .group_segment_fixed_size: 0
    .kernarg_segment_align: 8
    .kernarg_segment_size: 64
    .language:       OpenCL C
    .language_version:
      - 2
      - 0
    .max_flat_workgroup_size: 512
    .name:           _ZN7rocprim17ROCPRIM_400000_NS6detail17trampoline_kernelINS0_14default_configENS1_38merge_sort_block_merge_config_selectorIhlEEZZNS1_27merge_sort_block_merge_implIS3_PhN6thrust23THRUST_200600_302600_NS10device_ptrIlEEjNS1_19radix_merge_compareILb0ELb1EhNS0_19identity_decomposerEEEEE10hipError_tT0_T1_T2_jT3_P12ihipStream_tbPNSt15iterator_traitsISG_E10value_typeEPNSM_ISH_E10value_typeEPSI_NS1_7vsmem_tEENKUlT_SG_SH_SI_E_clIS7_S7_SB_PlEESF_SV_SG_SH_SI_EUlSV_E0_NS1_11comp_targetILNS1_3genE9ELNS1_11target_archE1100ELNS1_3gpuE3ELNS1_3repE0EEENS1_38merge_mergepath_config_static_selectorELNS0_4arch9wavefront6targetE1EEEvSH_
    .private_segment_fixed_size: 0
    .sgpr_count:     4
    .sgpr_spill_count: 0
    .symbol:         _ZN7rocprim17ROCPRIM_400000_NS6detail17trampoline_kernelINS0_14default_configENS1_38merge_sort_block_merge_config_selectorIhlEEZZNS1_27merge_sort_block_merge_implIS3_PhN6thrust23THRUST_200600_302600_NS10device_ptrIlEEjNS1_19radix_merge_compareILb0ELb1EhNS0_19identity_decomposerEEEEE10hipError_tT0_T1_T2_jT3_P12ihipStream_tbPNSt15iterator_traitsISG_E10value_typeEPNSM_ISH_E10value_typeEPSI_NS1_7vsmem_tEENKUlT_SG_SH_SI_E_clIS7_S7_SB_PlEESF_SV_SG_SH_SI_EUlSV_E0_NS1_11comp_targetILNS1_3genE9ELNS1_11target_archE1100ELNS1_3gpuE3ELNS1_3repE0EEENS1_38merge_mergepath_config_static_selectorELNS0_4arch9wavefront6targetE1EEEvSH_.kd
    .uniform_work_group_size: 1
    .uses_dynamic_stack: false
    .vgpr_count:     0
    .vgpr_spill_count: 0
    .wavefront_size: 64
  - .args:
      - .offset:         0
        .size:           64
        .value_kind:     by_value
    .group_segment_fixed_size: 0
    .kernarg_segment_align: 8
    .kernarg_segment_size: 64
    .language:       OpenCL C
    .language_version:
      - 2
      - 0
    .max_flat_workgroup_size: 1024
    .name:           _ZN7rocprim17ROCPRIM_400000_NS6detail17trampoline_kernelINS0_14default_configENS1_38merge_sort_block_merge_config_selectorIhlEEZZNS1_27merge_sort_block_merge_implIS3_PhN6thrust23THRUST_200600_302600_NS10device_ptrIlEEjNS1_19radix_merge_compareILb0ELb1EhNS0_19identity_decomposerEEEEE10hipError_tT0_T1_T2_jT3_P12ihipStream_tbPNSt15iterator_traitsISG_E10value_typeEPNSM_ISH_E10value_typeEPSI_NS1_7vsmem_tEENKUlT_SG_SH_SI_E_clIS7_S7_SB_PlEESF_SV_SG_SH_SI_EUlSV_E0_NS1_11comp_targetILNS1_3genE8ELNS1_11target_archE1030ELNS1_3gpuE2ELNS1_3repE0EEENS1_38merge_mergepath_config_static_selectorELNS0_4arch9wavefront6targetE1EEEvSH_
    .private_segment_fixed_size: 0
    .sgpr_count:     4
    .sgpr_spill_count: 0
    .symbol:         _ZN7rocprim17ROCPRIM_400000_NS6detail17trampoline_kernelINS0_14default_configENS1_38merge_sort_block_merge_config_selectorIhlEEZZNS1_27merge_sort_block_merge_implIS3_PhN6thrust23THRUST_200600_302600_NS10device_ptrIlEEjNS1_19radix_merge_compareILb0ELb1EhNS0_19identity_decomposerEEEEE10hipError_tT0_T1_T2_jT3_P12ihipStream_tbPNSt15iterator_traitsISG_E10value_typeEPNSM_ISH_E10value_typeEPSI_NS1_7vsmem_tEENKUlT_SG_SH_SI_E_clIS7_S7_SB_PlEESF_SV_SG_SH_SI_EUlSV_E0_NS1_11comp_targetILNS1_3genE8ELNS1_11target_archE1030ELNS1_3gpuE2ELNS1_3repE0EEENS1_38merge_mergepath_config_static_selectorELNS0_4arch9wavefront6targetE1EEEvSH_.kd
    .uniform_work_group_size: 1
    .uses_dynamic_stack: false
    .vgpr_count:     0
    .vgpr_spill_count: 0
    .wavefront_size: 64
  - .args:
      - .offset:         0
        .size:           48
        .value_kind:     by_value
    .group_segment_fixed_size: 0
    .kernarg_segment_align: 8
    .kernarg_segment_size: 48
    .language:       OpenCL C
    .language_version:
      - 2
      - 0
    .max_flat_workgroup_size: 256
    .name:           _ZN7rocprim17ROCPRIM_400000_NS6detail17trampoline_kernelINS0_14default_configENS1_38merge_sort_block_merge_config_selectorIhlEEZZNS1_27merge_sort_block_merge_implIS3_PhN6thrust23THRUST_200600_302600_NS10device_ptrIlEEjNS1_19radix_merge_compareILb0ELb1EhNS0_19identity_decomposerEEEEE10hipError_tT0_T1_T2_jT3_P12ihipStream_tbPNSt15iterator_traitsISG_E10value_typeEPNSM_ISH_E10value_typeEPSI_NS1_7vsmem_tEENKUlT_SG_SH_SI_E_clIS7_S7_SB_PlEESF_SV_SG_SH_SI_EUlSV_E1_NS1_11comp_targetILNS1_3genE0ELNS1_11target_archE4294967295ELNS1_3gpuE0ELNS1_3repE0EEENS1_36merge_oddeven_config_static_selectorELNS0_4arch9wavefront6targetE1EEEvSH_
    .private_segment_fixed_size: 0
    .sgpr_count:     4
    .sgpr_spill_count: 0
    .symbol:         _ZN7rocprim17ROCPRIM_400000_NS6detail17trampoline_kernelINS0_14default_configENS1_38merge_sort_block_merge_config_selectorIhlEEZZNS1_27merge_sort_block_merge_implIS3_PhN6thrust23THRUST_200600_302600_NS10device_ptrIlEEjNS1_19radix_merge_compareILb0ELb1EhNS0_19identity_decomposerEEEEE10hipError_tT0_T1_T2_jT3_P12ihipStream_tbPNSt15iterator_traitsISG_E10value_typeEPNSM_ISH_E10value_typeEPSI_NS1_7vsmem_tEENKUlT_SG_SH_SI_E_clIS7_S7_SB_PlEESF_SV_SG_SH_SI_EUlSV_E1_NS1_11comp_targetILNS1_3genE0ELNS1_11target_archE4294967295ELNS1_3gpuE0ELNS1_3repE0EEENS1_36merge_oddeven_config_static_selectorELNS0_4arch9wavefront6targetE1EEEvSH_.kd
    .uniform_work_group_size: 1
    .uses_dynamic_stack: false
    .vgpr_count:     0
    .vgpr_spill_count: 0
    .wavefront_size: 64
  - .args:
      - .offset:         0
        .size:           48
        .value_kind:     by_value
    .group_segment_fixed_size: 0
    .kernarg_segment_align: 8
    .kernarg_segment_size: 48
    .language:       OpenCL C
    .language_version:
      - 2
      - 0
    .max_flat_workgroup_size: 256
    .name:           _ZN7rocprim17ROCPRIM_400000_NS6detail17trampoline_kernelINS0_14default_configENS1_38merge_sort_block_merge_config_selectorIhlEEZZNS1_27merge_sort_block_merge_implIS3_PhN6thrust23THRUST_200600_302600_NS10device_ptrIlEEjNS1_19radix_merge_compareILb0ELb1EhNS0_19identity_decomposerEEEEE10hipError_tT0_T1_T2_jT3_P12ihipStream_tbPNSt15iterator_traitsISG_E10value_typeEPNSM_ISH_E10value_typeEPSI_NS1_7vsmem_tEENKUlT_SG_SH_SI_E_clIS7_S7_SB_PlEESF_SV_SG_SH_SI_EUlSV_E1_NS1_11comp_targetILNS1_3genE10ELNS1_11target_archE1201ELNS1_3gpuE5ELNS1_3repE0EEENS1_36merge_oddeven_config_static_selectorELNS0_4arch9wavefront6targetE1EEEvSH_
    .private_segment_fixed_size: 0
    .sgpr_count:     4
    .sgpr_spill_count: 0
    .symbol:         _ZN7rocprim17ROCPRIM_400000_NS6detail17trampoline_kernelINS0_14default_configENS1_38merge_sort_block_merge_config_selectorIhlEEZZNS1_27merge_sort_block_merge_implIS3_PhN6thrust23THRUST_200600_302600_NS10device_ptrIlEEjNS1_19radix_merge_compareILb0ELb1EhNS0_19identity_decomposerEEEEE10hipError_tT0_T1_T2_jT3_P12ihipStream_tbPNSt15iterator_traitsISG_E10value_typeEPNSM_ISH_E10value_typeEPSI_NS1_7vsmem_tEENKUlT_SG_SH_SI_E_clIS7_S7_SB_PlEESF_SV_SG_SH_SI_EUlSV_E1_NS1_11comp_targetILNS1_3genE10ELNS1_11target_archE1201ELNS1_3gpuE5ELNS1_3repE0EEENS1_36merge_oddeven_config_static_selectorELNS0_4arch9wavefront6targetE1EEEvSH_.kd
    .uniform_work_group_size: 1
    .uses_dynamic_stack: false
    .vgpr_count:     0
    .vgpr_spill_count: 0
    .wavefront_size: 64
  - .args:
      - .offset:         0
        .size:           48
        .value_kind:     by_value
    .group_segment_fixed_size: 0
    .kernarg_segment_align: 8
    .kernarg_segment_size: 48
    .language:       OpenCL C
    .language_version:
      - 2
      - 0
    .max_flat_workgroup_size: 256
    .name:           _ZN7rocprim17ROCPRIM_400000_NS6detail17trampoline_kernelINS0_14default_configENS1_38merge_sort_block_merge_config_selectorIhlEEZZNS1_27merge_sort_block_merge_implIS3_PhN6thrust23THRUST_200600_302600_NS10device_ptrIlEEjNS1_19radix_merge_compareILb0ELb1EhNS0_19identity_decomposerEEEEE10hipError_tT0_T1_T2_jT3_P12ihipStream_tbPNSt15iterator_traitsISG_E10value_typeEPNSM_ISH_E10value_typeEPSI_NS1_7vsmem_tEENKUlT_SG_SH_SI_E_clIS7_S7_SB_PlEESF_SV_SG_SH_SI_EUlSV_E1_NS1_11comp_targetILNS1_3genE5ELNS1_11target_archE942ELNS1_3gpuE9ELNS1_3repE0EEENS1_36merge_oddeven_config_static_selectorELNS0_4arch9wavefront6targetE1EEEvSH_
    .private_segment_fixed_size: 0
    .sgpr_count:     4
    .sgpr_spill_count: 0
    .symbol:         _ZN7rocprim17ROCPRIM_400000_NS6detail17trampoline_kernelINS0_14default_configENS1_38merge_sort_block_merge_config_selectorIhlEEZZNS1_27merge_sort_block_merge_implIS3_PhN6thrust23THRUST_200600_302600_NS10device_ptrIlEEjNS1_19radix_merge_compareILb0ELb1EhNS0_19identity_decomposerEEEEE10hipError_tT0_T1_T2_jT3_P12ihipStream_tbPNSt15iterator_traitsISG_E10value_typeEPNSM_ISH_E10value_typeEPSI_NS1_7vsmem_tEENKUlT_SG_SH_SI_E_clIS7_S7_SB_PlEESF_SV_SG_SH_SI_EUlSV_E1_NS1_11comp_targetILNS1_3genE5ELNS1_11target_archE942ELNS1_3gpuE9ELNS1_3repE0EEENS1_36merge_oddeven_config_static_selectorELNS0_4arch9wavefront6targetE1EEEvSH_.kd
    .uniform_work_group_size: 1
    .uses_dynamic_stack: false
    .vgpr_count:     0
    .vgpr_spill_count: 0
    .wavefront_size: 64
  - .args:
      - .offset:         0
        .size:           48
        .value_kind:     by_value
    .group_segment_fixed_size: 0
    .kernarg_segment_align: 8
    .kernarg_segment_size: 48
    .language:       OpenCL C
    .language_version:
      - 2
      - 0
    .max_flat_workgroup_size: 256
    .name:           _ZN7rocprim17ROCPRIM_400000_NS6detail17trampoline_kernelINS0_14default_configENS1_38merge_sort_block_merge_config_selectorIhlEEZZNS1_27merge_sort_block_merge_implIS3_PhN6thrust23THRUST_200600_302600_NS10device_ptrIlEEjNS1_19radix_merge_compareILb0ELb1EhNS0_19identity_decomposerEEEEE10hipError_tT0_T1_T2_jT3_P12ihipStream_tbPNSt15iterator_traitsISG_E10value_typeEPNSM_ISH_E10value_typeEPSI_NS1_7vsmem_tEENKUlT_SG_SH_SI_E_clIS7_S7_SB_PlEESF_SV_SG_SH_SI_EUlSV_E1_NS1_11comp_targetILNS1_3genE4ELNS1_11target_archE910ELNS1_3gpuE8ELNS1_3repE0EEENS1_36merge_oddeven_config_static_selectorELNS0_4arch9wavefront6targetE1EEEvSH_
    .private_segment_fixed_size: 0
    .sgpr_count:     4
    .sgpr_spill_count: 0
    .symbol:         _ZN7rocprim17ROCPRIM_400000_NS6detail17trampoline_kernelINS0_14default_configENS1_38merge_sort_block_merge_config_selectorIhlEEZZNS1_27merge_sort_block_merge_implIS3_PhN6thrust23THRUST_200600_302600_NS10device_ptrIlEEjNS1_19radix_merge_compareILb0ELb1EhNS0_19identity_decomposerEEEEE10hipError_tT0_T1_T2_jT3_P12ihipStream_tbPNSt15iterator_traitsISG_E10value_typeEPNSM_ISH_E10value_typeEPSI_NS1_7vsmem_tEENKUlT_SG_SH_SI_E_clIS7_S7_SB_PlEESF_SV_SG_SH_SI_EUlSV_E1_NS1_11comp_targetILNS1_3genE4ELNS1_11target_archE910ELNS1_3gpuE8ELNS1_3repE0EEENS1_36merge_oddeven_config_static_selectorELNS0_4arch9wavefront6targetE1EEEvSH_.kd
    .uniform_work_group_size: 1
    .uses_dynamic_stack: false
    .vgpr_count:     0
    .vgpr_spill_count: 0
    .wavefront_size: 64
  - .args:
      - .offset:         0
        .size:           48
        .value_kind:     by_value
    .group_segment_fixed_size: 0
    .kernarg_segment_align: 8
    .kernarg_segment_size: 48
    .language:       OpenCL C
    .language_version:
      - 2
      - 0
    .max_flat_workgroup_size: 256
    .name:           _ZN7rocprim17ROCPRIM_400000_NS6detail17trampoline_kernelINS0_14default_configENS1_38merge_sort_block_merge_config_selectorIhlEEZZNS1_27merge_sort_block_merge_implIS3_PhN6thrust23THRUST_200600_302600_NS10device_ptrIlEEjNS1_19radix_merge_compareILb0ELb1EhNS0_19identity_decomposerEEEEE10hipError_tT0_T1_T2_jT3_P12ihipStream_tbPNSt15iterator_traitsISG_E10value_typeEPNSM_ISH_E10value_typeEPSI_NS1_7vsmem_tEENKUlT_SG_SH_SI_E_clIS7_S7_SB_PlEESF_SV_SG_SH_SI_EUlSV_E1_NS1_11comp_targetILNS1_3genE3ELNS1_11target_archE908ELNS1_3gpuE7ELNS1_3repE0EEENS1_36merge_oddeven_config_static_selectorELNS0_4arch9wavefront6targetE1EEEvSH_
    .private_segment_fixed_size: 0
    .sgpr_count:     4
    .sgpr_spill_count: 0
    .symbol:         _ZN7rocprim17ROCPRIM_400000_NS6detail17trampoline_kernelINS0_14default_configENS1_38merge_sort_block_merge_config_selectorIhlEEZZNS1_27merge_sort_block_merge_implIS3_PhN6thrust23THRUST_200600_302600_NS10device_ptrIlEEjNS1_19radix_merge_compareILb0ELb1EhNS0_19identity_decomposerEEEEE10hipError_tT0_T1_T2_jT3_P12ihipStream_tbPNSt15iterator_traitsISG_E10value_typeEPNSM_ISH_E10value_typeEPSI_NS1_7vsmem_tEENKUlT_SG_SH_SI_E_clIS7_S7_SB_PlEESF_SV_SG_SH_SI_EUlSV_E1_NS1_11comp_targetILNS1_3genE3ELNS1_11target_archE908ELNS1_3gpuE7ELNS1_3repE0EEENS1_36merge_oddeven_config_static_selectorELNS0_4arch9wavefront6targetE1EEEvSH_.kd
    .uniform_work_group_size: 1
    .uses_dynamic_stack: false
    .vgpr_count:     0
    .vgpr_spill_count: 0
    .wavefront_size: 64
  - .args:
      - .offset:         0
        .size:           48
        .value_kind:     by_value
    .group_segment_fixed_size: 0
    .kernarg_segment_align: 8
    .kernarg_segment_size: 48
    .language:       OpenCL C
    .language_version:
      - 2
      - 0
    .max_flat_workgroup_size: 256
    .name:           _ZN7rocprim17ROCPRIM_400000_NS6detail17trampoline_kernelINS0_14default_configENS1_38merge_sort_block_merge_config_selectorIhlEEZZNS1_27merge_sort_block_merge_implIS3_PhN6thrust23THRUST_200600_302600_NS10device_ptrIlEEjNS1_19radix_merge_compareILb0ELb1EhNS0_19identity_decomposerEEEEE10hipError_tT0_T1_T2_jT3_P12ihipStream_tbPNSt15iterator_traitsISG_E10value_typeEPNSM_ISH_E10value_typeEPSI_NS1_7vsmem_tEENKUlT_SG_SH_SI_E_clIS7_S7_SB_PlEESF_SV_SG_SH_SI_EUlSV_E1_NS1_11comp_targetILNS1_3genE2ELNS1_11target_archE906ELNS1_3gpuE6ELNS1_3repE0EEENS1_36merge_oddeven_config_static_selectorELNS0_4arch9wavefront6targetE1EEEvSH_
    .private_segment_fixed_size: 0
    .sgpr_count:     28
    .sgpr_spill_count: 0
    .symbol:         _ZN7rocprim17ROCPRIM_400000_NS6detail17trampoline_kernelINS0_14default_configENS1_38merge_sort_block_merge_config_selectorIhlEEZZNS1_27merge_sort_block_merge_implIS3_PhN6thrust23THRUST_200600_302600_NS10device_ptrIlEEjNS1_19radix_merge_compareILb0ELb1EhNS0_19identity_decomposerEEEEE10hipError_tT0_T1_T2_jT3_P12ihipStream_tbPNSt15iterator_traitsISG_E10value_typeEPNSM_ISH_E10value_typeEPSI_NS1_7vsmem_tEENKUlT_SG_SH_SI_E_clIS7_S7_SB_PlEESF_SV_SG_SH_SI_EUlSV_E1_NS1_11comp_targetILNS1_3genE2ELNS1_11target_archE906ELNS1_3gpuE6ELNS1_3repE0EEENS1_36merge_oddeven_config_static_selectorELNS0_4arch9wavefront6targetE1EEEvSH_.kd
    .uniform_work_group_size: 1
    .uses_dynamic_stack: false
    .vgpr_count:     11
    .vgpr_spill_count: 0
    .wavefront_size: 64
  - .args:
      - .offset:         0
        .size:           48
        .value_kind:     by_value
    .group_segment_fixed_size: 0
    .kernarg_segment_align: 8
    .kernarg_segment_size: 48
    .language:       OpenCL C
    .language_version:
      - 2
      - 0
    .max_flat_workgroup_size: 256
    .name:           _ZN7rocprim17ROCPRIM_400000_NS6detail17trampoline_kernelINS0_14default_configENS1_38merge_sort_block_merge_config_selectorIhlEEZZNS1_27merge_sort_block_merge_implIS3_PhN6thrust23THRUST_200600_302600_NS10device_ptrIlEEjNS1_19radix_merge_compareILb0ELb1EhNS0_19identity_decomposerEEEEE10hipError_tT0_T1_T2_jT3_P12ihipStream_tbPNSt15iterator_traitsISG_E10value_typeEPNSM_ISH_E10value_typeEPSI_NS1_7vsmem_tEENKUlT_SG_SH_SI_E_clIS7_S7_SB_PlEESF_SV_SG_SH_SI_EUlSV_E1_NS1_11comp_targetILNS1_3genE9ELNS1_11target_archE1100ELNS1_3gpuE3ELNS1_3repE0EEENS1_36merge_oddeven_config_static_selectorELNS0_4arch9wavefront6targetE1EEEvSH_
    .private_segment_fixed_size: 0
    .sgpr_count:     4
    .sgpr_spill_count: 0
    .symbol:         _ZN7rocprim17ROCPRIM_400000_NS6detail17trampoline_kernelINS0_14default_configENS1_38merge_sort_block_merge_config_selectorIhlEEZZNS1_27merge_sort_block_merge_implIS3_PhN6thrust23THRUST_200600_302600_NS10device_ptrIlEEjNS1_19radix_merge_compareILb0ELb1EhNS0_19identity_decomposerEEEEE10hipError_tT0_T1_T2_jT3_P12ihipStream_tbPNSt15iterator_traitsISG_E10value_typeEPNSM_ISH_E10value_typeEPSI_NS1_7vsmem_tEENKUlT_SG_SH_SI_E_clIS7_S7_SB_PlEESF_SV_SG_SH_SI_EUlSV_E1_NS1_11comp_targetILNS1_3genE9ELNS1_11target_archE1100ELNS1_3gpuE3ELNS1_3repE0EEENS1_36merge_oddeven_config_static_selectorELNS0_4arch9wavefront6targetE1EEEvSH_.kd
    .uniform_work_group_size: 1
    .uses_dynamic_stack: false
    .vgpr_count:     0
    .vgpr_spill_count: 0
    .wavefront_size: 64
  - .args:
      - .offset:         0
        .size:           48
        .value_kind:     by_value
    .group_segment_fixed_size: 0
    .kernarg_segment_align: 8
    .kernarg_segment_size: 48
    .language:       OpenCL C
    .language_version:
      - 2
      - 0
    .max_flat_workgroup_size: 256
    .name:           _ZN7rocprim17ROCPRIM_400000_NS6detail17trampoline_kernelINS0_14default_configENS1_38merge_sort_block_merge_config_selectorIhlEEZZNS1_27merge_sort_block_merge_implIS3_PhN6thrust23THRUST_200600_302600_NS10device_ptrIlEEjNS1_19radix_merge_compareILb0ELb1EhNS0_19identity_decomposerEEEEE10hipError_tT0_T1_T2_jT3_P12ihipStream_tbPNSt15iterator_traitsISG_E10value_typeEPNSM_ISH_E10value_typeEPSI_NS1_7vsmem_tEENKUlT_SG_SH_SI_E_clIS7_S7_SB_PlEESF_SV_SG_SH_SI_EUlSV_E1_NS1_11comp_targetILNS1_3genE8ELNS1_11target_archE1030ELNS1_3gpuE2ELNS1_3repE0EEENS1_36merge_oddeven_config_static_selectorELNS0_4arch9wavefront6targetE1EEEvSH_
    .private_segment_fixed_size: 0
    .sgpr_count:     4
    .sgpr_spill_count: 0
    .symbol:         _ZN7rocprim17ROCPRIM_400000_NS6detail17trampoline_kernelINS0_14default_configENS1_38merge_sort_block_merge_config_selectorIhlEEZZNS1_27merge_sort_block_merge_implIS3_PhN6thrust23THRUST_200600_302600_NS10device_ptrIlEEjNS1_19radix_merge_compareILb0ELb1EhNS0_19identity_decomposerEEEEE10hipError_tT0_T1_T2_jT3_P12ihipStream_tbPNSt15iterator_traitsISG_E10value_typeEPNSM_ISH_E10value_typeEPSI_NS1_7vsmem_tEENKUlT_SG_SH_SI_E_clIS7_S7_SB_PlEESF_SV_SG_SH_SI_EUlSV_E1_NS1_11comp_targetILNS1_3genE8ELNS1_11target_archE1030ELNS1_3gpuE2ELNS1_3repE0EEENS1_36merge_oddeven_config_static_selectorELNS0_4arch9wavefront6targetE1EEEvSH_.kd
    .uniform_work_group_size: 1
    .uses_dynamic_stack: false
    .vgpr_count:     0
    .vgpr_spill_count: 0
    .wavefront_size: 64
  - .args:
      - .offset:         0
        .size:           40
        .value_kind:     by_value
    .group_segment_fixed_size: 0
    .kernarg_segment_align: 8
    .kernarg_segment_size: 40
    .language:       OpenCL C
    .language_version:
      - 2
      - 0
    .max_flat_workgroup_size: 1024
    .name:           _ZN7rocprim17ROCPRIM_400000_NS6detail17trampoline_kernelINS0_14default_configENS1_35radix_sort_onesweep_config_selectorIhlEEZNS1_34radix_sort_onesweep_global_offsetsIS3_Lb0EPhN6thrust23THRUST_200600_302600_NS10device_ptrIlEEjNS0_19identity_decomposerEEE10hipError_tT1_T2_PT3_SG_jT4_jjP12ihipStream_tbEUlT_E_NS1_11comp_targetILNS1_3genE0ELNS1_11target_archE4294967295ELNS1_3gpuE0ELNS1_3repE0EEENS1_52radix_sort_onesweep_histogram_config_static_selectorELNS0_4arch9wavefront6targetE1EEEvSE_
    .private_segment_fixed_size: 0
    .sgpr_count:     4
    .sgpr_spill_count: 0
    .symbol:         _ZN7rocprim17ROCPRIM_400000_NS6detail17trampoline_kernelINS0_14default_configENS1_35radix_sort_onesweep_config_selectorIhlEEZNS1_34radix_sort_onesweep_global_offsetsIS3_Lb0EPhN6thrust23THRUST_200600_302600_NS10device_ptrIlEEjNS0_19identity_decomposerEEE10hipError_tT1_T2_PT3_SG_jT4_jjP12ihipStream_tbEUlT_E_NS1_11comp_targetILNS1_3genE0ELNS1_11target_archE4294967295ELNS1_3gpuE0ELNS1_3repE0EEENS1_52radix_sort_onesweep_histogram_config_static_selectorELNS0_4arch9wavefront6targetE1EEEvSE_.kd
    .uniform_work_group_size: 1
    .uses_dynamic_stack: false
    .vgpr_count:     0
    .vgpr_spill_count: 0
    .wavefront_size: 64
  - .args:
      - .offset:         0
        .size:           40
        .value_kind:     by_value
    .group_segment_fixed_size: 0
    .kernarg_segment_align: 8
    .kernarg_segment_size: 40
    .language:       OpenCL C
    .language_version:
      - 2
      - 0
    .max_flat_workgroup_size: 1024
    .name:           _ZN7rocprim17ROCPRIM_400000_NS6detail17trampoline_kernelINS0_14default_configENS1_35radix_sort_onesweep_config_selectorIhlEEZNS1_34radix_sort_onesweep_global_offsetsIS3_Lb0EPhN6thrust23THRUST_200600_302600_NS10device_ptrIlEEjNS0_19identity_decomposerEEE10hipError_tT1_T2_PT3_SG_jT4_jjP12ihipStream_tbEUlT_E_NS1_11comp_targetILNS1_3genE6ELNS1_11target_archE950ELNS1_3gpuE13ELNS1_3repE0EEENS1_52radix_sort_onesweep_histogram_config_static_selectorELNS0_4arch9wavefront6targetE1EEEvSE_
    .private_segment_fixed_size: 0
    .sgpr_count:     4
    .sgpr_spill_count: 0
    .symbol:         _ZN7rocprim17ROCPRIM_400000_NS6detail17trampoline_kernelINS0_14default_configENS1_35radix_sort_onesweep_config_selectorIhlEEZNS1_34radix_sort_onesweep_global_offsetsIS3_Lb0EPhN6thrust23THRUST_200600_302600_NS10device_ptrIlEEjNS0_19identity_decomposerEEE10hipError_tT1_T2_PT3_SG_jT4_jjP12ihipStream_tbEUlT_E_NS1_11comp_targetILNS1_3genE6ELNS1_11target_archE950ELNS1_3gpuE13ELNS1_3repE0EEENS1_52radix_sort_onesweep_histogram_config_static_selectorELNS0_4arch9wavefront6targetE1EEEvSE_.kd
    .uniform_work_group_size: 1
    .uses_dynamic_stack: false
    .vgpr_count:     0
    .vgpr_spill_count: 0
    .wavefront_size: 64
  - .args:
      - .offset:         0
        .size:           40
        .value_kind:     by_value
    .group_segment_fixed_size: 0
    .kernarg_segment_align: 8
    .kernarg_segment_size: 40
    .language:       OpenCL C
    .language_version:
      - 2
      - 0
    .max_flat_workgroup_size: 1024
    .name:           _ZN7rocprim17ROCPRIM_400000_NS6detail17trampoline_kernelINS0_14default_configENS1_35radix_sort_onesweep_config_selectorIhlEEZNS1_34radix_sort_onesweep_global_offsetsIS3_Lb0EPhN6thrust23THRUST_200600_302600_NS10device_ptrIlEEjNS0_19identity_decomposerEEE10hipError_tT1_T2_PT3_SG_jT4_jjP12ihipStream_tbEUlT_E_NS1_11comp_targetILNS1_3genE5ELNS1_11target_archE942ELNS1_3gpuE9ELNS1_3repE0EEENS1_52radix_sort_onesweep_histogram_config_static_selectorELNS0_4arch9wavefront6targetE1EEEvSE_
    .private_segment_fixed_size: 0
    .sgpr_count:     4
    .sgpr_spill_count: 0
    .symbol:         _ZN7rocprim17ROCPRIM_400000_NS6detail17trampoline_kernelINS0_14default_configENS1_35radix_sort_onesweep_config_selectorIhlEEZNS1_34radix_sort_onesweep_global_offsetsIS3_Lb0EPhN6thrust23THRUST_200600_302600_NS10device_ptrIlEEjNS0_19identity_decomposerEEE10hipError_tT1_T2_PT3_SG_jT4_jjP12ihipStream_tbEUlT_E_NS1_11comp_targetILNS1_3genE5ELNS1_11target_archE942ELNS1_3gpuE9ELNS1_3repE0EEENS1_52radix_sort_onesweep_histogram_config_static_selectorELNS0_4arch9wavefront6targetE1EEEvSE_.kd
    .uniform_work_group_size: 1
    .uses_dynamic_stack: false
    .vgpr_count:     0
    .vgpr_spill_count: 0
    .wavefront_size: 64
  - .args:
      - .offset:         0
        .size:           40
        .value_kind:     by_value
    .group_segment_fixed_size: 4096
    .kernarg_segment_align: 8
    .kernarg_segment_size: 40
    .language:       OpenCL C
    .language_version:
      - 2
      - 0
    .max_flat_workgroup_size: 512
    .name:           _ZN7rocprim17ROCPRIM_400000_NS6detail17trampoline_kernelINS0_14default_configENS1_35radix_sort_onesweep_config_selectorIhlEEZNS1_34radix_sort_onesweep_global_offsetsIS3_Lb0EPhN6thrust23THRUST_200600_302600_NS10device_ptrIlEEjNS0_19identity_decomposerEEE10hipError_tT1_T2_PT3_SG_jT4_jjP12ihipStream_tbEUlT_E_NS1_11comp_targetILNS1_3genE2ELNS1_11target_archE906ELNS1_3gpuE6ELNS1_3repE0EEENS1_52radix_sort_onesweep_histogram_config_static_selectorELNS0_4arch9wavefront6targetE1EEEvSE_
    .private_segment_fixed_size: 0
    .sgpr_count:     20
    .sgpr_spill_count: 0
    .symbol:         _ZN7rocprim17ROCPRIM_400000_NS6detail17trampoline_kernelINS0_14default_configENS1_35radix_sort_onesweep_config_selectorIhlEEZNS1_34radix_sort_onesweep_global_offsetsIS3_Lb0EPhN6thrust23THRUST_200600_302600_NS10device_ptrIlEEjNS0_19identity_decomposerEEE10hipError_tT1_T2_PT3_SG_jT4_jjP12ihipStream_tbEUlT_E_NS1_11comp_targetILNS1_3genE2ELNS1_11target_archE906ELNS1_3gpuE6ELNS1_3repE0EEENS1_52radix_sort_onesweep_histogram_config_static_selectorELNS0_4arch9wavefront6targetE1EEEvSE_.kd
    .uniform_work_group_size: 1
    .uses_dynamic_stack: false
    .vgpr_count:     18
    .vgpr_spill_count: 0
    .wavefront_size: 64
  - .args:
      - .offset:         0
        .size:           40
        .value_kind:     by_value
    .group_segment_fixed_size: 0
    .kernarg_segment_align: 8
    .kernarg_segment_size: 40
    .language:       OpenCL C
    .language_version:
      - 2
      - 0
    .max_flat_workgroup_size: 1024
    .name:           _ZN7rocprim17ROCPRIM_400000_NS6detail17trampoline_kernelINS0_14default_configENS1_35radix_sort_onesweep_config_selectorIhlEEZNS1_34radix_sort_onesweep_global_offsetsIS3_Lb0EPhN6thrust23THRUST_200600_302600_NS10device_ptrIlEEjNS0_19identity_decomposerEEE10hipError_tT1_T2_PT3_SG_jT4_jjP12ihipStream_tbEUlT_E_NS1_11comp_targetILNS1_3genE4ELNS1_11target_archE910ELNS1_3gpuE8ELNS1_3repE0EEENS1_52radix_sort_onesweep_histogram_config_static_selectorELNS0_4arch9wavefront6targetE1EEEvSE_
    .private_segment_fixed_size: 0
    .sgpr_count:     4
    .sgpr_spill_count: 0
    .symbol:         _ZN7rocprim17ROCPRIM_400000_NS6detail17trampoline_kernelINS0_14default_configENS1_35radix_sort_onesweep_config_selectorIhlEEZNS1_34radix_sort_onesweep_global_offsetsIS3_Lb0EPhN6thrust23THRUST_200600_302600_NS10device_ptrIlEEjNS0_19identity_decomposerEEE10hipError_tT1_T2_PT3_SG_jT4_jjP12ihipStream_tbEUlT_E_NS1_11comp_targetILNS1_3genE4ELNS1_11target_archE910ELNS1_3gpuE8ELNS1_3repE0EEENS1_52radix_sort_onesweep_histogram_config_static_selectorELNS0_4arch9wavefront6targetE1EEEvSE_.kd
    .uniform_work_group_size: 1
    .uses_dynamic_stack: false
    .vgpr_count:     0
    .vgpr_spill_count: 0
    .wavefront_size: 64
  - .args:
      - .offset:         0
        .size:           40
        .value_kind:     by_value
    .group_segment_fixed_size: 0
    .kernarg_segment_align: 8
    .kernarg_segment_size: 40
    .language:       OpenCL C
    .language_version:
      - 2
      - 0
    .max_flat_workgroup_size: 1024
    .name:           _ZN7rocprim17ROCPRIM_400000_NS6detail17trampoline_kernelINS0_14default_configENS1_35radix_sort_onesweep_config_selectorIhlEEZNS1_34radix_sort_onesweep_global_offsetsIS3_Lb0EPhN6thrust23THRUST_200600_302600_NS10device_ptrIlEEjNS0_19identity_decomposerEEE10hipError_tT1_T2_PT3_SG_jT4_jjP12ihipStream_tbEUlT_E_NS1_11comp_targetILNS1_3genE3ELNS1_11target_archE908ELNS1_3gpuE7ELNS1_3repE0EEENS1_52radix_sort_onesweep_histogram_config_static_selectorELNS0_4arch9wavefront6targetE1EEEvSE_
    .private_segment_fixed_size: 0
    .sgpr_count:     4
    .sgpr_spill_count: 0
    .symbol:         _ZN7rocprim17ROCPRIM_400000_NS6detail17trampoline_kernelINS0_14default_configENS1_35radix_sort_onesweep_config_selectorIhlEEZNS1_34radix_sort_onesweep_global_offsetsIS3_Lb0EPhN6thrust23THRUST_200600_302600_NS10device_ptrIlEEjNS0_19identity_decomposerEEE10hipError_tT1_T2_PT3_SG_jT4_jjP12ihipStream_tbEUlT_E_NS1_11comp_targetILNS1_3genE3ELNS1_11target_archE908ELNS1_3gpuE7ELNS1_3repE0EEENS1_52radix_sort_onesweep_histogram_config_static_selectorELNS0_4arch9wavefront6targetE1EEEvSE_.kd
    .uniform_work_group_size: 1
    .uses_dynamic_stack: false
    .vgpr_count:     0
    .vgpr_spill_count: 0
    .wavefront_size: 64
  - .args:
      - .offset:         0
        .size:           40
        .value_kind:     by_value
    .group_segment_fixed_size: 0
    .kernarg_segment_align: 8
    .kernarg_segment_size: 40
    .language:       OpenCL C
    .language_version:
      - 2
      - 0
    .max_flat_workgroup_size: 1024
    .name:           _ZN7rocprim17ROCPRIM_400000_NS6detail17trampoline_kernelINS0_14default_configENS1_35radix_sort_onesweep_config_selectorIhlEEZNS1_34radix_sort_onesweep_global_offsetsIS3_Lb0EPhN6thrust23THRUST_200600_302600_NS10device_ptrIlEEjNS0_19identity_decomposerEEE10hipError_tT1_T2_PT3_SG_jT4_jjP12ihipStream_tbEUlT_E_NS1_11comp_targetILNS1_3genE10ELNS1_11target_archE1201ELNS1_3gpuE5ELNS1_3repE0EEENS1_52radix_sort_onesweep_histogram_config_static_selectorELNS0_4arch9wavefront6targetE1EEEvSE_
    .private_segment_fixed_size: 0
    .sgpr_count:     4
    .sgpr_spill_count: 0
    .symbol:         _ZN7rocprim17ROCPRIM_400000_NS6detail17trampoline_kernelINS0_14default_configENS1_35radix_sort_onesweep_config_selectorIhlEEZNS1_34radix_sort_onesweep_global_offsetsIS3_Lb0EPhN6thrust23THRUST_200600_302600_NS10device_ptrIlEEjNS0_19identity_decomposerEEE10hipError_tT1_T2_PT3_SG_jT4_jjP12ihipStream_tbEUlT_E_NS1_11comp_targetILNS1_3genE10ELNS1_11target_archE1201ELNS1_3gpuE5ELNS1_3repE0EEENS1_52radix_sort_onesweep_histogram_config_static_selectorELNS0_4arch9wavefront6targetE1EEEvSE_.kd
    .uniform_work_group_size: 1
    .uses_dynamic_stack: false
    .vgpr_count:     0
    .vgpr_spill_count: 0
    .wavefront_size: 64
  - .args:
      - .offset:         0
        .size:           40
        .value_kind:     by_value
    .group_segment_fixed_size: 0
    .kernarg_segment_align: 8
    .kernarg_segment_size: 40
    .language:       OpenCL C
    .language_version:
      - 2
      - 0
    .max_flat_workgroup_size: 1024
    .name:           _ZN7rocprim17ROCPRIM_400000_NS6detail17trampoline_kernelINS0_14default_configENS1_35radix_sort_onesweep_config_selectorIhlEEZNS1_34radix_sort_onesweep_global_offsetsIS3_Lb0EPhN6thrust23THRUST_200600_302600_NS10device_ptrIlEEjNS0_19identity_decomposerEEE10hipError_tT1_T2_PT3_SG_jT4_jjP12ihipStream_tbEUlT_E_NS1_11comp_targetILNS1_3genE9ELNS1_11target_archE1100ELNS1_3gpuE3ELNS1_3repE0EEENS1_52radix_sort_onesweep_histogram_config_static_selectorELNS0_4arch9wavefront6targetE1EEEvSE_
    .private_segment_fixed_size: 0
    .sgpr_count:     4
    .sgpr_spill_count: 0
    .symbol:         _ZN7rocprim17ROCPRIM_400000_NS6detail17trampoline_kernelINS0_14default_configENS1_35radix_sort_onesweep_config_selectorIhlEEZNS1_34radix_sort_onesweep_global_offsetsIS3_Lb0EPhN6thrust23THRUST_200600_302600_NS10device_ptrIlEEjNS0_19identity_decomposerEEE10hipError_tT1_T2_PT3_SG_jT4_jjP12ihipStream_tbEUlT_E_NS1_11comp_targetILNS1_3genE9ELNS1_11target_archE1100ELNS1_3gpuE3ELNS1_3repE0EEENS1_52radix_sort_onesweep_histogram_config_static_selectorELNS0_4arch9wavefront6targetE1EEEvSE_.kd
    .uniform_work_group_size: 1
    .uses_dynamic_stack: false
    .vgpr_count:     0
    .vgpr_spill_count: 0
    .wavefront_size: 64
  - .args:
      - .offset:         0
        .size:           40
        .value_kind:     by_value
    .group_segment_fixed_size: 0
    .kernarg_segment_align: 8
    .kernarg_segment_size: 40
    .language:       OpenCL C
    .language_version:
      - 2
      - 0
    .max_flat_workgroup_size: 1024
    .name:           _ZN7rocprim17ROCPRIM_400000_NS6detail17trampoline_kernelINS0_14default_configENS1_35radix_sort_onesweep_config_selectorIhlEEZNS1_34radix_sort_onesweep_global_offsetsIS3_Lb0EPhN6thrust23THRUST_200600_302600_NS10device_ptrIlEEjNS0_19identity_decomposerEEE10hipError_tT1_T2_PT3_SG_jT4_jjP12ihipStream_tbEUlT_E_NS1_11comp_targetILNS1_3genE8ELNS1_11target_archE1030ELNS1_3gpuE2ELNS1_3repE0EEENS1_52radix_sort_onesweep_histogram_config_static_selectorELNS0_4arch9wavefront6targetE1EEEvSE_
    .private_segment_fixed_size: 0
    .sgpr_count:     4
    .sgpr_spill_count: 0
    .symbol:         _ZN7rocprim17ROCPRIM_400000_NS6detail17trampoline_kernelINS0_14default_configENS1_35radix_sort_onesweep_config_selectorIhlEEZNS1_34radix_sort_onesweep_global_offsetsIS3_Lb0EPhN6thrust23THRUST_200600_302600_NS10device_ptrIlEEjNS0_19identity_decomposerEEE10hipError_tT1_T2_PT3_SG_jT4_jjP12ihipStream_tbEUlT_E_NS1_11comp_targetILNS1_3genE8ELNS1_11target_archE1030ELNS1_3gpuE2ELNS1_3repE0EEENS1_52radix_sort_onesweep_histogram_config_static_selectorELNS0_4arch9wavefront6targetE1EEEvSE_.kd
    .uniform_work_group_size: 1
    .uses_dynamic_stack: false
    .vgpr_count:     0
    .vgpr_spill_count: 0
    .wavefront_size: 64
  - .args:
      - .address_space:  global
        .offset:         0
        .size:           8
        .value_kind:     global_buffer
    .group_segment_fixed_size: 0
    .kernarg_segment_align: 8
    .kernarg_segment_size: 8
    .language:       OpenCL C
    .language_version:
      - 2
      - 0
    .max_flat_workgroup_size: 1024
    .name:           _ZN7rocprim17ROCPRIM_400000_NS6detail17trampoline_kernelINS0_14default_configENS1_35radix_sort_onesweep_config_selectorIhlEEZNS1_34radix_sort_onesweep_global_offsetsIS3_Lb0EPhN6thrust23THRUST_200600_302600_NS10device_ptrIlEEjNS0_19identity_decomposerEEE10hipError_tT1_T2_PT3_SG_jT4_jjP12ihipStream_tbEUlT_E0_NS1_11comp_targetILNS1_3genE0ELNS1_11target_archE4294967295ELNS1_3gpuE0ELNS1_3repE0EEENS1_52radix_sort_onesweep_histogram_config_static_selectorELNS0_4arch9wavefront6targetE1EEEvSE_
    .private_segment_fixed_size: 0
    .sgpr_count:     4
    .sgpr_spill_count: 0
    .symbol:         _ZN7rocprim17ROCPRIM_400000_NS6detail17trampoline_kernelINS0_14default_configENS1_35radix_sort_onesweep_config_selectorIhlEEZNS1_34radix_sort_onesweep_global_offsetsIS3_Lb0EPhN6thrust23THRUST_200600_302600_NS10device_ptrIlEEjNS0_19identity_decomposerEEE10hipError_tT1_T2_PT3_SG_jT4_jjP12ihipStream_tbEUlT_E0_NS1_11comp_targetILNS1_3genE0ELNS1_11target_archE4294967295ELNS1_3gpuE0ELNS1_3repE0EEENS1_52radix_sort_onesweep_histogram_config_static_selectorELNS0_4arch9wavefront6targetE1EEEvSE_.kd
    .uniform_work_group_size: 1
    .uses_dynamic_stack: false
    .vgpr_count:     0
    .vgpr_spill_count: 0
    .wavefront_size: 64
  - .args:
      - .address_space:  global
        .offset:         0
        .size:           8
        .value_kind:     global_buffer
    .group_segment_fixed_size: 0
    .kernarg_segment_align: 8
    .kernarg_segment_size: 8
    .language:       OpenCL C
    .language_version:
      - 2
      - 0
    .max_flat_workgroup_size: 1024
    .name:           _ZN7rocprim17ROCPRIM_400000_NS6detail17trampoline_kernelINS0_14default_configENS1_35radix_sort_onesweep_config_selectorIhlEEZNS1_34radix_sort_onesweep_global_offsetsIS3_Lb0EPhN6thrust23THRUST_200600_302600_NS10device_ptrIlEEjNS0_19identity_decomposerEEE10hipError_tT1_T2_PT3_SG_jT4_jjP12ihipStream_tbEUlT_E0_NS1_11comp_targetILNS1_3genE6ELNS1_11target_archE950ELNS1_3gpuE13ELNS1_3repE0EEENS1_52radix_sort_onesweep_histogram_config_static_selectorELNS0_4arch9wavefront6targetE1EEEvSE_
    .private_segment_fixed_size: 0
    .sgpr_count:     4
    .sgpr_spill_count: 0
    .symbol:         _ZN7rocprim17ROCPRIM_400000_NS6detail17trampoline_kernelINS0_14default_configENS1_35radix_sort_onesweep_config_selectorIhlEEZNS1_34radix_sort_onesweep_global_offsetsIS3_Lb0EPhN6thrust23THRUST_200600_302600_NS10device_ptrIlEEjNS0_19identity_decomposerEEE10hipError_tT1_T2_PT3_SG_jT4_jjP12ihipStream_tbEUlT_E0_NS1_11comp_targetILNS1_3genE6ELNS1_11target_archE950ELNS1_3gpuE13ELNS1_3repE0EEENS1_52radix_sort_onesweep_histogram_config_static_selectorELNS0_4arch9wavefront6targetE1EEEvSE_.kd
    .uniform_work_group_size: 1
    .uses_dynamic_stack: false
    .vgpr_count:     0
    .vgpr_spill_count: 0
    .wavefront_size: 64
  - .args:
      - .address_space:  global
        .offset:         0
        .size:           8
        .value_kind:     global_buffer
    .group_segment_fixed_size: 0
    .kernarg_segment_align: 8
    .kernarg_segment_size: 8
    .language:       OpenCL C
    .language_version:
      - 2
      - 0
    .max_flat_workgroup_size: 1024
    .name:           _ZN7rocprim17ROCPRIM_400000_NS6detail17trampoline_kernelINS0_14default_configENS1_35radix_sort_onesweep_config_selectorIhlEEZNS1_34radix_sort_onesweep_global_offsetsIS3_Lb0EPhN6thrust23THRUST_200600_302600_NS10device_ptrIlEEjNS0_19identity_decomposerEEE10hipError_tT1_T2_PT3_SG_jT4_jjP12ihipStream_tbEUlT_E0_NS1_11comp_targetILNS1_3genE5ELNS1_11target_archE942ELNS1_3gpuE9ELNS1_3repE0EEENS1_52radix_sort_onesweep_histogram_config_static_selectorELNS0_4arch9wavefront6targetE1EEEvSE_
    .private_segment_fixed_size: 0
    .sgpr_count:     4
    .sgpr_spill_count: 0
    .symbol:         _ZN7rocprim17ROCPRIM_400000_NS6detail17trampoline_kernelINS0_14default_configENS1_35radix_sort_onesweep_config_selectorIhlEEZNS1_34radix_sort_onesweep_global_offsetsIS3_Lb0EPhN6thrust23THRUST_200600_302600_NS10device_ptrIlEEjNS0_19identity_decomposerEEE10hipError_tT1_T2_PT3_SG_jT4_jjP12ihipStream_tbEUlT_E0_NS1_11comp_targetILNS1_3genE5ELNS1_11target_archE942ELNS1_3gpuE9ELNS1_3repE0EEENS1_52radix_sort_onesweep_histogram_config_static_selectorELNS0_4arch9wavefront6targetE1EEEvSE_.kd
    .uniform_work_group_size: 1
    .uses_dynamic_stack: false
    .vgpr_count:     0
    .vgpr_spill_count: 0
    .wavefront_size: 64
  - .args:
      - .address_space:  global
        .offset:         0
        .size:           8
        .value_kind:     global_buffer
    .group_segment_fixed_size: 32
    .kernarg_segment_align: 8
    .kernarg_segment_size: 8
    .language:       OpenCL C
    .language_version:
      - 2
      - 0
    .max_flat_workgroup_size: 512
    .name:           _ZN7rocprim17ROCPRIM_400000_NS6detail17trampoline_kernelINS0_14default_configENS1_35radix_sort_onesweep_config_selectorIhlEEZNS1_34radix_sort_onesweep_global_offsetsIS3_Lb0EPhN6thrust23THRUST_200600_302600_NS10device_ptrIlEEjNS0_19identity_decomposerEEE10hipError_tT1_T2_PT3_SG_jT4_jjP12ihipStream_tbEUlT_E0_NS1_11comp_targetILNS1_3genE2ELNS1_11target_archE906ELNS1_3gpuE6ELNS1_3repE0EEENS1_52radix_sort_onesweep_histogram_config_static_selectorELNS0_4arch9wavefront6targetE1EEEvSE_
    .private_segment_fixed_size: 0
    .sgpr_count:     11
    .sgpr_spill_count: 0
    .symbol:         _ZN7rocprim17ROCPRIM_400000_NS6detail17trampoline_kernelINS0_14default_configENS1_35radix_sort_onesweep_config_selectorIhlEEZNS1_34radix_sort_onesweep_global_offsetsIS3_Lb0EPhN6thrust23THRUST_200600_302600_NS10device_ptrIlEEjNS0_19identity_decomposerEEE10hipError_tT1_T2_PT3_SG_jT4_jjP12ihipStream_tbEUlT_E0_NS1_11comp_targetILNS1_3genE2ELNS1_11target_archE906ELNS1_3gpuE6ELNS1_3repE0EEENS1_52radix_sort_onesweep_histogram_config_static_selectorELNS0_4arch9wavefront6targetE1EEEvSE_.kd
    .uniform_work_group_size: 1
    .uses_dynamic_stack: false
    .vgpr_count:     8
    .vgpr_spill_count: 0
    .wavefront_size: 64
  - .args:
      - .address_space:  global
        .offset:         0
        .size:           8
        .value_kind:     global_buffer
    .group_segment_fixed_size: 0
    .kernarg_segment_align: 8
    .kernarg_segment_size: 8
    .language:       OpenCL C
    .language_version:
      - 2
      - 0
    .max_flat_workgroup_size: 1024
    .name:           _ZN7rocprim17ROCPRIM_400000_NS6detail17trampoline_kernelINS0_14default_configENS1_35radix_sort_onesweep_config_selectorIhlEEZNS1_34radix_sort_onesweep_global_offsetsIS3_Lb0EPhN6thrust23THRUST_200600_302600_NS10device_ptrIlEEjNS0_19identity_decomposerEEE10hipError_tT1_T2_PT3_SG_jT4_jjP12ihipStream_tbEUlT_E0_NS1_11comp_targetILNS1_3genE4ELNS1_11target_archE910ELNS1_3gpuE8ELNS1_3repE0EEENS1_52radix_sort_onesweep_histogram_config_static_selectorELNS0_4arch9wavefront6targetE1EEEvSE_
    .private_segment_fixed_size: 0
    .sgpr_count:     4
    .sgpr_spill_count: 0
    .symbol:         _ZN7rocprim17ROCPRIM_400000_NS6detail17trampoline_kernelINS0_14default_configENS1_35radix_sort_onesweep_config_selectorIhlEEZNS1_34radix_sort_onesweep_global_offsetsIS3_Lb0EPhN6thrust23THRUST_200600_302600_NS10device_ptrIlEEjNS0_19identity_decomposerEEE10hipError_tT1_T2_PT3_SG_jT4_jjP12ihipStream_tbEUlT_E0_NS1_11comp_targetILNS1_3genE4ELNS1_11target_archE910ELNS1_3gpuE8ELNS1_3repE0EEENS1_52radix_sort_onesweep_histogram_config_static_selectorELNS0_4arch9wavefront6targetE1EEEvSE_.kd
    .uniform_work_group_size: 1
    .uses_dynamic_stack: false
    .vgpr_count:     0
    .vgpr_spill_count: 0
    .wavefront_size: 64
  - .args:
      - .address_space:  global
        .offset:         0
        .size:           8
        .value_kind:     global_buffer
    .group_segment_fixed_size: 0
    .kernarg_segment_align: 8
    .kernarg_segment_size: 8
    .language:       OpenCL C
    .language_version:
      - 2
      - 0
    .max_flat_workgroup_size: 1024
    .name:           _ZN7rocprim17ROCPRIM_400000_NS6detail17trampoline_kernelINS0_14default_configENS1_35radix_sort_onesweep_config_selectorIhlEEZNS1_34radix_sort_onesweep_global_offsetsIS3_Lb0EPhN6thrust23THRUST_200600_302600_NS10device_ptrIlEEjNS0_19identity_decomposerEEE10hipError_tT1_T2_PT3_SG_jT4_jjP12ihipStream_tbEUlT_E0_NS1_11comp_targetILNS1_3genE3ELNS1_11target_archE908ELNS1_3gpuE7ELNS1_3repE0EEENS1_52radix_sort_onesweep_histogram_config_static_selectorELNS0_4arch9wavefront6targetE1EEEvSE_
    .private_segment_fixed_size: 0
    .sgpr_count:     4
    .sgpr_spill_count: 0
    .symbol:         _ZN7rocprim17ROCPRIM_400000_NS6detail17trampoline_kernelINS0_14default_configENS1_35radix_sort_onesweep_config_selectorIhlEEZNS1_34radix_sort_onesweep_global_offsetsIS3_Lb0EPhN6thrust23THRUST_200600_302600_NS10device_ptrIlEEjNS0_19identity_decomposerEEE10hipError_tT1_T2_PT3_SG_jT4_jjP12ihipStream_tbEUlT_E0_NS1_11comp_targetILNS1_3genE3ELNS1_11target_archE908ELNS1_3gpuE7ELNS1_3repE0EEENS1_52radix_sort_onesweep_histogram_config_static_selectorELNS0_4arch9wavefront6targetE1EEEvSE_.kd
    .uniform_work_group_size: 1
    .uses_dynamic_stack: false
    .vgpr_count:     0
    .vgpr_spill_count: 0
    .wavefront_size: 64
  - .args:
      - .address_space:  global
        .offset:         0
        .size:           8
        .value_kind:     global_buffer
    .group_segment_fixed_size: 0
    .kernarg_segment_align: 8
    .kernarg_segment_size: 8
    .language:       OpenCL C
    .language_version:
      - 2
      - 0
    .max_flat_workgroup_size: 1024
    .name:           _ZN7rocprim17ROCPRIM_400000_NS6detail17trampoline_kernelINS0_14default_configENS1_35radix_sort_onesweep_config_selectorIhlEEZNS1_34radix_sort_onesweep_global_offsetsIS3_Lb0EPhN6thrust23THRUST_200600_302600_NS10device_ptrIlEEjNS0_19identity_decomposerEEE10hipError_tT1_T2_PT3_SG_jT4_jjP12ihipStream_tbEUlT_E0_NS1_11comp_targetILNS1_3genE10ELNS1_11target_archE1201ELNS1_3gpuE5ELNS1_3repE0EEENS1_52radix_sort_onesweep_histogram_config_static_selectorELNS0_4arch9wavefront6targetE1EEEvSE_
    .private_segment_fixed_size: 0
    .sgpr_count:     4
    .sgpr_spill_count: 0
    .symbol:         _ZN7rocprim17ROCPRIM_400000_NS6detail17trampoline_kernelINS0_14default_configENS1_35radix_sort_onesweep_config_selectorIhlEEZNS1_34radix_sort_onesweep_global_offsetsIS3_Lb0EPhN6thrust23THRUST_200600_302600_NS10device_ptrIlEEjNS0_19identity_decomposerEEE10hipError_tT1_T2_PT3_SG_jT4_jjP12ihipStream_tbEUlT_E0_NS1_11comp_targetILNS1_3genE10ELNS1_11target_archE1201ELNS1_3gpuE5ELNS1_3repE0EEENS1_52radix_sort_onesweep_histogram_config_static_selectorELNS0_4arch9wavefront6targetE1EEEvSE_.kd
    .uniform_work_group_size: 1
    .uses_dynamic_stack: false
    .vgpr_count:     0
    .vgpr_spill_count: 0
    .wavefront_size: 64
  - .args:
      - .address_space:  global
        .offset:         0
        .size:           8
        .value_kind:     global_buffer
    .group_segment_fixed_size: 0
    .kernarg_segment_align: 8
    .kernarg_segment_size: 8
    .language:       OpenCL C
    .language_version:
      - 2
      - 0
    .max_flat_workgroup_size: 1024
    .name:           _ZN7rocprim17ROCPRIM_400000_NS6detail17trampoline_kernelINS0_14default_configENS1_35radix_sort_onesweep_config_selectorIhlEEZNS1_34radix_sort_onesweep_global_offsetsIS3_Lb0EPhN6thrust23THRUST_200600_302600_NS10device_ptrIlEEjNS0_19identity_decomposerEEE10hipError_tT1_T2_PT3_SG_jT4_jjP12ihipStream_tbEUlT_E0_NS1_11comp_targetILNS1_3genE9ELNS1_11target_archE1100ELNS1_3gpuE3ELNS1_3repE0EEENS1_52radix_sort_onesweep_histogram_config_static_selectorELNS0_4arch9wavefront6targetE1EEEvSE_
    .private_segment_fixed_size: 0
    .sgpr_count:     4
    .sgpr_spill_count: 0
    .symbol:         _ZN7rocprim17ROCPRIM_400000_NS6detail17trampoline_kernelINS0_14default_configENS1_35radix_sort_onesweep_config_selectorIhlEEZNS1_34radix_sort_onesweep_global_offsetsIS3_Lb0EPhN6thrust23THRUST_200600_302600_NS10device_ptrIlEEjNS0_19identity_decomposerEEE10hipError_tT1_T2_PT3_SG_jT4_jjP12ihipStream_tbEUlT_E0_NS1_11comp_targetILNS1_3genE9ELNS1_11target_archE1100ELNS1_3gpuE3ELNS1_3repE0EEENS1_52radix_sort_onesweep_histogram_config_static_selectorELNS0_4arch9wavefront6targetE1EEEvSE_.kd
    .uniform_work_group_size: 1
    .uses_dynamic_stack: false
    .vgpr_count:     0
    .vgpr_spill_count: 0
    .wavefront_size: 64
  - .args:
      - .address_space:  global
        .offset:         0
        .size:           8
        .value_kind:     global_buffer
    .group_segment_fixed_size: 0
    .kernarg_segment_align: 8
    .kernarg_segment_size: 8
    .language:       OpenCL C
    .language_version:
      - 2
      - 0
    .max_flat_workgroup_size: 1024
    .name:           _ZN7rocprim17ROCPRIM_400000_NS6detail17trampoline_kernelINS0_14default_configENS1_35radix_sort_onesweep_config_selectorIhlEEZNS1_34radix_sort_onesweep_global_offsetsIS3_Lb0EPhN6thrust23THRUST_200600_302600_NS10device_ptrIlEEjNS0_19identity_decomposerEEE10hipError_tT1_T2_PT3_SG_jT4_jjP12ihipStream_tbEUlT_E0_NS1_11comp_targetILNS1_3genE8ELNS1_11target_archE1030ELNS1_3gpuE2ELNS1_3repE0EEENS1_52radix_sort_onesweep_histogram_config_static_selectorELNS0_4arch9wavefront6targetE1EEEvSE_
    .private_segment_fixed_size: 0
    .sgpr_count:     4
    .sgpr_spill_count: 0
    .symbol:         _ZN7rocprim17ROCPRIM_400000_NS6detail17trampoline_kernelINS0_14default_configENS1_35radix_sort_onesweep_config_selectorIhlEEZNS1_34radix_sort_onesweep_global_offsetsIS3_Lb0EPhN6thrust23THRUST_200600_302600_NS10device_ptrIlEEjNS0_19identity_decomposerEEE10hipError_tT1_T2_PT3_SG_jT4_jjP12ihipStream_tbEUlT_E0_NS1_11comp_targetILNS1_3genE8ELNS1_11target_archE1030ELNS1_3gpuE2ELNS1_3repE0EEENS1_52radix_sort_onesweep_histogram_config_static_selectorELNS0_4arch9wavefront6targetE1EEEvSE_.kd
    .uniform_work_group_size: 1
    .uses_dynamic_stack: false
    .vgpr_count:     0
    .vgpr_spill_count: 0
    .wavefront_size: 64
  - .args:
      - .offset:         0
        .size:           40
        .value_kind:     by_value
    .group_segment_fixed_size: 0
    .kernarg_segment_align: 8
    .kernarg_segment_size: 40
    .language:       OpenCL C
    .language_version:
      - 2
      - 0
    .max_flat_workgroup_size: 128
    .name:           _ZN7rocprim17ROCPRIM_400000_NS6detail17trampoline_kernelINS0_14default_configENS1_25transform_config_selectorIlLb0EEEZNS1_14transform_implILb0ES3_S5_N6thrust23THRUST_200600_302600_NS10device_ptrIlEEPlNS0_8identityIlEEEE10hipError_tT2_T3_mT4_P12ihipStream_tbEUlT_E_NS1_11comp_targetILNS1_3genE0ELNS1_11target_archE4294967295ELNS1_3gpuE0ELNS1_3repE0EEENS1_30default_config_static_selectorELNS0_4arch9wavefront6targetE1EEEvT1_
    .private_segment_fixed_size: 0
    .sgpr_count:     4
    .sgpr_spill_count: 0
    .symbol:         _ZN7rocprim17ROCPRIM_400000_NS6detail17trampoline_kernelINS0_14default_configENS1_25transform_config_selectorIlLb0EEEZNS1_14transform_implILb0ES3_S5_N6thrust23THRUST_200600_302600_NS10device_ptrIlEEPlNS0_8identityIlEEEE10hipError_tT2_T3_mT4_P12ihipStream_tbEUlT_E_NS1_11comp_targetILNS1_3genE0ELNS1_11target_archE4294967295ELNS1_3gpuE0ELNS1_3repE0EEENS1_30default_config_static_selectorELNS0_4arch9wavefront6targetE1EEEvT1_.kd
    .uniform_work_group_size: 1
    .uses_dynamic_stack: false
    .vgpr_count:     0
    .vgpr_spill_count: 0
    .wavefront_size: 64
  - .args:
      - .offset:         0
        .size:           40
        .value_kind:     by_value
    .group_segment_fixed_size: 0
    .kernarg_segment_align: 8
    .kernarg_segment_size: 40
    .language:       OpenCL C
    .language_version:
      - 2
      - 0
    .max_flat_workgroup_size: 512
    .name:           _ZN7rocprim17ROCPRIM_400000_NS6detail17trampoline_kernelINS0_14default_configENS1_25transform_config_selectorIlLb0EEEZNS1_14transform_implILb0ES3_S5_N6thrust23THRUST_200600_302600_NS10device_ptrIlEEPlNS0_8identityIlEEEE10hipError_tT2_T3_mT4_P12ihipStream_tbEUlT_E_NS1_11comp_targetILNS1_3genE5ELNS1_11target_archE942ELNS1_3gpuE9ELNS1_3repE0EEENS1_30default_config_static_selectorELNS0_4arch9wavefront6targetE1EEEvT1_
    .private_segment_fixed_size: 0
    .sgpr_count:     4
    .sgpr_spill_count: 0
    .symbol:         _ZN7rocprim17ROCPRIM_400000_NS6detail17trampoline_kernelINS0_14default_configENS1_25transform_config_selectorIlLb0EEEZNS1_14transform_implILb0ES3_S5_N6thrust23THRUST_200600_302600_NS10device_ptrIlEEPlNS0_8identityIlEEEE10hipError_tT2_T3_mT4_P12ihipStream_tbEUlT_E_NS1_11comp_targetILNS1_3genE5ELNS1_11target_archE942ELNS1_3gpuE9ELNS1_3repE0EEENS1_30default_config_static_selectorELNS0_4arch9wavefront6targetE1EEEvT1_.kd
    .uniform_work_group_size: 1
    .uses_dynamic_stack: false
    .vgpr_count:     0
    .vgpr_spill_count: 0
    .wavefront_size: 64
  - .args:
      - .offset:         0
        .size:           40
        .value_kind:     by_value
    .group_segment_fixed_size: 0
    .kernarg_segment_align: 8
    .kernarg_segment_size: 40
    .language:       OpenCL C
    .language_version:
      - 2
      - 0
    .max_flat_workgroup_size: 256
    .name:           _ZN7rocprim17ROCPRIM_400000_NS6detail17trampoline_kernelINS0_14default_configENS1_25transform_config_selectorIlLb0EEEZNS1_14transform_implILb0ES3_S5_N6thrust23THRUST_200600_302600_NS10device_ptrIlEEPlNS0_8identityIlEEEE10hipError_tT2_T3_mT4_P12ihipStream_tbEUlT_E_NS1_11comp_targetILNS1_3genE4ELNS1_11target_archE910ELNS1_3gpuE8ELNS1_3repE0EEENS1_30default_config_static_selectorELNS0_4arch9wavefront6targetE1EEEvT1_
    .private_segment_fixed_size: 0
    .sgpr_count:     4
    .sgpr_spill_count: 0
    .symbol:         _ZN7rocprim17ROCPRIM_400000_NS6detail17trampoline_kernelINS0_14default_configENS1_25transform_config_selectorIlLb0EEEZNS1_14transform_implILb0ES3_S5_N6thrust23THRUST_200600_302600_NS10device_ptrIlEEPlNS0_8identityIlEEEE10hipError_tT2_T3_mT4_P12ihipStream_tbEUlT_E_NS1_11comp_targetILNS1_3genE4ELNS1_11target_archE910ELNS1_3gpuE8ELNS1_3repE0EEENS1_30default_config_static_selectorELNS0_4arch9wavefront6targetE1EEEvT1_.kd
    .uniform_work_group_size: 1
    .uses_dynamic_stack: false
    .vgpr_count:     0
    .vgpr_spill_count: 0
    .wavefront_size: 64
  - .args:
      - .offset:         0
        .size:           40
        .value_kind:     by_value
    .group_segment_fixed_size: 0
    .kernarg_segment_align: 8
    .kernarg_segment_size: 40
    .language:       OpenCL C
    .language_version:
      - 2
      - 0
    .max_flat_workgroup_size: 128
    .name:           _ZN7rocprim17ROCPRIM_400000_NS6detail17trampoline_kernelINS0_14default_configENS1_25transform_config_selectorIlLb0EEEZNS1_14transform_implILb0ES3_S5_N6thrust23THRUST_200600_302600_NS10device_ptrIlEEPlNS0_8identityIlEEEE10hipError_tT2_T3_mT4_P12ihipStream_tbEUlT_E_NS1_11comp_targetILNS1_3genE3ELNS1_11target_archE908ELNS1_3gpuE7ELNS1_3repE0EEENS1_30default_config_static_selectorELNS0_4arch9wavefront6targetE1EEEvT1_
    .private_segment_fixed_size: 0
    .sgpr_count:     4
    .sgpr_spill_count: 0
    .symbol:         _ZN7rocprim17ROCPRIM_400000_NS6detail17trampoline_kernelINS0_14default_configENS1_25transform_config_selectorIlLb0EEEZNS1_14transform_implILb0ES3_S5_N6thrust23THRUST_200600_302600_NS10device_ptrIlEEPlNS0_8identityIlEEEE10hipError_tT2_T3_mT4_P12ihipStream_tbEUlT_E_NS1_11comp_targetILNS1_3genE3ELNS1_11target_archE908ELNS1_3gpuE7ELNS1_3repE0EEENS1_30default_config_static_selectorELNS0_4arch9wavefront6targetE1EEEvT1_.kd
    .uniform_work_group_size: 1
    .uses_dynamic_stack: false
    .vgpr_count:     0
    .vgpr_spill_count: 0
    .wavefront_size: 64
  - .args:
      - .offset:         0
        .size:           40
        .value_kind:     by_value
      - .offset:         40
        .size:           4
        .value_kind:     hidden_block_count_x
      - .offset:         44
        .size:           4
        .value_kind:     hidden_block_count_y
      - .offset:         48
        .size:           4
        .value_kind:     hidden_block_count_z
      - .offset:         52
        .size:           2
        .value_kind:     hidden_group_size_x
      - .offset:         54
        .size:           2
        .value_kind:     hidden_group_size_y
      - .offset:         56
        .size:           2
        .value_kind:     hidden_group_size_z
      - .offset:         58
        .size:           2
        .value_kind:     hidden_remainder_x
      - .offset:         60
        .size:           2
        .value_kind:     hidden_remainder_y
      - .offset:         62
        .size:           2
        .value_kind:     hidden_remainder_z
      - .offset:         80
        .size:           8
        .value_kind:     hidden_global_offset_x
      - .offset:         88
        .size:           8
        .value_kind:     hidden_global_offset_y
      - .offset:         96
        .size:           8
        .value_kind:     hidden_global_offset_z
      - .offset:         104
        .size:           2
        .value_kind:     hidden_grid_dims
    .group_segment_fixed_size: 0
    .kernarg_segment_align: 8
    .kernarg_segment_size: 296
    .language:       OpenCL C
    .language_version:
      - 2
      - 0
    .max_flat_workgroup_size: 512
    .name:           _ZN7rocprim17ROCPRIM_400000_NS6detail17trampoline_kernelINS0_14default_configENS1_25transform_config_selectorIlLb0EEEZNS1_14transform_implILb0ES3_S5_N6thrust23THRUST_200600_302600_NS10device_ptrIlEEPlNS0_8identityIlEEEE10hipError_tT2_T3_mT4_P12ihipStream_tbEUlT_E_NS1_11comp_targetILNS1_3genE2ELNS1_11target_archE906ELNS1_3gpuE6ELNS1_3repE0EEENS1_30default_config_static_selectorELNS0_4arch9wavefront6targetE1EEEvT1_
    .private_segment_fixed_size: 0
    .sgpr_count:     16
    .sgpr_spill_count: 0
    .symbol:         _ZN7rocprim17ROCPRIM_400000_NS6detail17trampoline_kernelINS0_14default_configENS1_25transform_config_selectorIlLb0EEEZNS1_14transform_implILb0ES3_S5_N6thrust23THRUST_200600_302600_NS10device_ptrIlEEPlNS0_8identityIlEEEE10hipError_tT2_T3_mT4_P12ihipStream_tbEUlT_E_NS1_11comp_targetILNS1_3genE2ELNS1_11target_archE906ELNS1_3gpuE6ELNS1_3repE0EEENS1_30default_config_static_selectorELNS0_4arch9wavefront6targetE1EEEvT1_.kd
    .uniform_work_group_size: 1
    .uses_dynamic_stack: false
    .vgpr_count:     3
    .vgpr_spill_count: 0
    .wavefront_size: 64
  - .args:
      - .offset:         0
        .size:           40
        .value_kind:     by_value
    .group_segment_fixed_size: 0
    .kernarg_segment_align: 8
    .kernarg_segment_size: 40
    .language:       OpenCL C
    .language_version:
      - 2
      - 0
    .max_flat_workgroup_size: 1024
    .name:           _ZN7rocprim17ROCPRIM_400000_NS6detail17trampoline_kernelINS0_14default_configENS1_25transform_config_selectorIlLb0EEEZNS1_14transform_implILb0ES3_S5_N6thrust23THRUST_200600_302600_NS10device_ptrIlEEPlNS0_8identityIlEEEE10hipError_tT2_T3_mT4_P12ihipStream_tbEUlT_E_NS1_11comp_targetILNS1_3genE10ELNS1_11target_archE1201ELNS1_3gpuE5ELNS1_3repE0EEENS1_30default_config_static_selectorELNS0_4arch9wavefront6targetE1EEEvT1_
    .private_segment_fixed_size: 0
    .sgpr_count:     4
    .sgpr_spill_count: 0
    .symbol:         _ZN7rocprim17ROCPRIM_400000_NS6detail17trampoline_kernelINS0_14default_configENS1_25transform_config_selectorIlLb0EEEZNS1_14transform_implILb0ES3_S5_N6thrust23THRUST_200600_302600_NS10device_ptrIlEEPlNS0_8identityIlEEEE10hipError_tT2_T3_mT4_P12ihipStream_tbEUlT_E_NS1_11comp_targetILNS1_3genE10ELNS1_11target_archE1201ELNS1_3gpuE5ELNS1_3repE0EEENS1_30default_config_static_selectorELNS0_4arch9wavefront6targetE1EEEvT1_.kd
    .uniform_work_group_size: 1
    .uses_dynamic_stack: false
    .vgpr_count:     0
    .vgpr_spill_count: 0
    .wavefront_size: 64
  - .args:
      - .offset:         0
        .size:           40
        .value_kind:     by_value
    .group_segment_fixed_size: 0
    .kernarg_segment_align: 8
    .kernarg_segment_size: 40
    .language:       OpenCL C
    .language_version:
      - 2
      - 0
    .max_flat_workgroup_size: 512
    .name:           _ZN7rocprim17ROCPRIM_400000_NS6detail17trampoline_kernelINS0_14default_configENS1_25transform_config_selectorIlLb0EEEZNS1_14transform_implILb0ES3_S5_N6thrust23THRUST_200600_302600_NS10device_ptrIlEEPlNS0_8identityIlEEEE10hipError_tT2_T3_mT4_P12ihipStream_tbEUlT_E_NS1_11comp_targetILNS1_3genE10ELNS1_11target_archE1200ELNS1_3gpuE4ELNS1_3repE0EEENS1_30default_config_static_selectorELNS0_4arch9wavefront6targetE1EEEvT1_
    .private_segment_fixed_size: 0
    .sgpr_count:     4
    .sgpr_spill_count: 0
    .symbol:         _ZN7rocprim17ROCPRIM_400000_NS6detail17trampoline_kernelINS0_14default_configENS1_25transform_config_selectorIlLb0EEEZNS1_14transform_implILb0ES3_S5_N6thrust23THRUST_200600_302600_NS10device_ptrIlEEPlNS0_8identityIlEEEE10hipError_tT2_T3_mT4_P12ihipStream_tbEUlT_E_NS1_11comp_targetILNS1_3genE10ELNS1_11target_archE1200ELNS1_3gpuE4ELNS1_3repE0EEENS1_30default_config_static_selectorELNS0_4arch9wavefront6targetE1EEEvT1_.kd
    .uniform_work_group_size: 1
    .uses_dynamic_stack: false
    .vgpr_count:     0
    .vgpr_spill_count: 0
    .wavefront_size: 64
  - .args:
      - .offset:         0
        .size:           40
        .value_kind:     by_value
    .group_segment_fixed_size: 0
    .kernarg_segment_align: 8
    .kernarg_segment_size: 40
    .language:       OpenCL C
    .language_version:
      - 2
      - 0
    .max_flat_workgroup_size: 512
    .name:           _ZN7rocprim17ROCPRIM_400000_NS6detail17trampoline_kernelINS0_14default_configENS1_25transform_config_selectorIlLb0EEEZNS1_14transform_implILb0ES3_S5_N6thrust23THRUST_200600_302600_NS10device_ptrIlEEPlNS0_8identityIlEEEE10hipError_tT2_T3_mT4_P12ihipStream_tbEUlT_E_NS1_11comp_targetILNS1_3genE9ELNS1_11target_archE1100ELNS1_3gpuE3ELNS1_3repE0EEENS1_30default_config_static_selectorELNS0_4arch9wavefront6targetE1EEEvT1_
    .private_segment_fixed_size: 0
    .sgpr_count:     4
    .sgpr_spill_count: 0
    .symbol:         _ZN7rocprim17ROCPRIM_400000_NS6detail17trampoline_kernelINS0_14default_configENS1_25transform_config_selectorIlLb0EEEZNS1_14transform_implILb0ES3_S5_N6thrust23THRUST_200600_302600_NS10device_ptrIlEEPlNS0_8identityIlEEEE10hipError_tT2_T3_mT4_P12ihipStream_tbEUlT_E_NS1_11comp_targetILNS1_3genE9ELNS1_11target_archE1100ELNS1_3gpuE3ELNS1_3repE0EEENS1_30default_config_static_selectorELNS0_4arch9wavefront6targetE1EEEvT1_.kd
    .uniform_work_group_size: 1
    .uses_dynamic_stack: false
    .vgpr_count:     0
    .vgpr_spill_count: 0
    .wavefront_size: 64
  - .args:
      - .offset:         0
        .size:           40
        .value_kind:     by_value
    .group_segment_fixed_size: 0
    .kernarg_segment_align: 8
    .kernarg_segment_size: 40
    .language:       OpenCL C
    .language_version:
      - 2
      - 0
    .max_flat_workgroup_size: 512
    .name:           _ZN7rocprim17ROCPRIM_400000_NS6detail17trampoline_kernelINS0_14default_configENS1_25transform_config_selectorIlLb0EEEZNS1_14transform_implILb0ES3_S5_N6thrust23THRUST_200600_302600_NS10device_ptrIlEEPlNS0_8identityIlEEEE10hipError_tT2_T3_mT4_P12ihipStream_tbEUlT_E_NS1_11comp_targetILNS1_3genE8ELNS1_11target_archE1030ELNS1_3gpuE2ELNS1_3repE0EEENS1_30default_config_static_selectorELNS0_4arch9wavefront6targetE1EEEvT1_
    .private_segment_fixed_size: 0
    .sgpr_count:     4
    .sgpr_spill_count: 0
    .symbol:         _ZN7rocprim17ROCPRIM_400000_NS6detail17trampoline_kernelINS0_14default_configENS1_25transform_config_selectorIlLb0EEEZNS1_14transform_implILb0ES3_S5_N6thrust23THRUST_200600_302600_NS10device_ptrIlEEPlNS0_8identityIlEEEE10hipError_tT2_T3_mT4_P12ihipStream_tbEUlT_E_NS1_11comp_targetILNS1_3genE8ELNS1_11target_archE1030ELNS1_3gpuE2ELNS1_3repE0EEENS1_30default_config_static_selectorELNS0_4arch9wavefront6targetE1EEEvT1_.kd
    .uniform_work_group_size: 1
    .uses_dynamic_stack: false
    .vgpr_count:     0
    .vgpr_spill_count: 0
    .wavefront_size: 64
  - .args:
      - .offset:         0
        .size:           88
        .value_kind:     by_value
    .group_segment_fixed_size: 0
    .kernarg_segment_align: 8
    .kernarg_segment_size: 88
    .language:       OpenCL C
    .language_version:
      - 2
      - 0
    .max_flat_workgroup_size: 1024
    .name:           _ZN7rocprim17ROCPRIM_400000_NS6detail17trampoline_kernelINS0_14default_configENS1_35radix_sort_onesweep_config_selectorIhlEEZZNS1_29radix_sort_onesweep_iterationIS3_Lb0EPhS7_N6thrust23THRUST_200600_302600_NS10device_ptrIlEESB_jNS0_19identity_decomposerENS1_16block_id_wrapperIjLb1EEEEE10hipError_tT1_PNSt15iterator_traitsISG_E10value_typeET2_T3_PNSH_ISM_E10value_typeET4_T5_PSR_SS_PNS1_23onesweep_lookback_stateEbbT6_jjT7_P12ihipStream_tbENKUlT_T0_SG_SL_E_clIS7_S7_SB_SB_EEDaSZ_S10_SG_SL_EUlSZ_E_NS1_11comp_targetILNS1_3genE0ELNS1_11target_archE4294967295ELNS1_3gpuE0ELNS1_3repE0EEENS1_47radix_sort_onesweep_sort_config_static_selectorELNS0_4arch9wavefront6targetE1EEEvSG_
    .private_segment_fixed_size: 0
    .sgpr_count:     4
    .sgpr_spill_count: 0
    .symbol:         _ZN7rocprim17ROCPRIM_400000_NS6detail17trampoline_kernelINS0_14default_configENS1_35radix_sort_onesweep_config_selectorIhlEEZZNS1_29radix_sort_onesweep_iterationIS3_Lb0EPhS7_N6thrust23THRUST_200600_302600_NS10device_ptrIlEESB_jNS0_19identity_decomposerENS1_16block_id_wrapperIjLb1EEEEE10hipError_tT1_PNSt15iterator_traitsISG_E10value_typeET2_T3_PNSH_ISM_E10value_typeET4_T5_PSR_SS_PNS1_23onesweep_lookback_stateEbbT6_jjT7_P12ihipStream_tbENKUlT_T0_SG_SL_E_clIS7_S7_SB_SB_EEDaSZ_S10_SG_SL_EUlSZ_E_NS1_11comp_targetILNS1_3genE0ELNS1_11target_archE4294967295ELNS1_3gpuE0ELNS1_3repE0EEENS1_47radix_sort_onesweep_sort_config_static_selectorELNS0_4arch9wavefront6targetE1EEEvSG_.kd
    .uniform_work_group_size: 1
    .uses_dynamic_stack: false
    .vgpr_count:     0
    .vgpr_spill_count: 0
    .wavefront_size: 64
  - .args:
      - .offset:         0
        .size:           88
        .value_kind:     by_value
    .group_segment_fixed_size: 0
    .kernarg_segment_align: 8
    .kernarg_segment_size: 88
    .language:       OpenCL C
    .language_version:
      - 2
      - 0
    .max_flat_workgroup_size: 1024
    .name:           _ZN7rocprim17ROCPRIM_400000_NS6detail17trampoline_kernelINS0_14default_configENS1_35radix_sort_onesweep_config_selectorIhlEEZZNS1_29radix_sort_onesweep_iterationIS3_Lb0EPhS7_N6thrust23THRUST_200600_302600_NS10device_ptrIlEESB_jNS0_19identity_decomposerENS1_16block_id_wrapperIjLb1EEEEE10hipError_tT1_PNSt15iterator_traitsISG_E10value_typeET2_T3_PNSH_ISM_E10value_typeET4_T5_PSR_SS_PNS1_23onesweep_lookback_stateEbbT6_jjT7_P12ihipStream_tbENKUlT_T0_SG_SL_E_clIS7_S7_SB_SB_EEDaSZ_S10_SG_SL_EUlSZ_E_NS1_11comp_targetILNS1_3genE6ELNS1_11target_archE950ELNS1_3gpuE13ELNS1_3repE0EEENS1_47radix_sort_onesweep_sort_config_static_selectorELNS0_4arch9wavefront6targetE1EEEvSG_
    .private_segment_fixed_size: 0
    .sgpr_count:     4
    .sgpr_spill_count: 0
    .symbol:         _ZN7rocprim17ROCPRIM_400000_NS6detail17trampoline_kernelINS0_14default_configENS1_35radix_sort_onesweep_config_selectorIhlEEZZNS1_29radix_sort_onesweep_iterationIS3_Lb0EPhS7_N6thrust23THRUST_200600_302600_NS10device_ptrIlEESB_jNS0_19identity_decomposerENS1_16block_id_wrapperIjLb1EEEEE10hipError_tT1_PNSt15iterator_traitsISG_E10value_typeET2_T3_PNSH_ISM_E10value_typeET4_T5_PSR_SS_PNS1_23onesweep_lookback_stateEbbT6_jjT7_P12ihipStream_tbENKUlT_T0_SG_SL_E_clIS7_S7_SB_SB_EEDaSZ_S10_SG_SL_EUlSZ_E_NS1_11comp_targetILNS1_3genE6ELNS1_11target_archE950ELNS1_3gpuE13ELNS1_3repE0EEENS1_47radix_sort_onesweep_sort_config_static_selectorELNS0_4arch9wavefront6targetE1EEEvSG_.kd
    .uniform_work_group_size: 1
    .uses_dynamic_stack: false
    .vgpr_count:     0
    .vgpr_spill_count: 0
    .wavefront_size: 64
  - .args:
      - .offset:         0
        .size:           88
        .value_kind:     by_value
    .group_segment_fixed_size: 0
    .kernarg_segment_align: 8
    .kernarg_segment_size: 88
    .language:       OpenCL C
    .language_version:
      - 2
      - 0
    .max_flat_workgroup_size: 1024
    .name:           _ZN7rocprim17ROCPRIM_400000_NS6detail17trampoline_kernelINS0_14default_configENS1_35radix_sort_onesweep_config_selectorIhlEEZZNS1_29radix_sort_onesweep_iterationIS3_Lb0EPhS7_N6thrust23THRUST_200600_302600_NS10device_ptrIlEESB_jNS0_19identity_decomposerENS1_16block_id_wrapperIjLb1EEEEE10hipError_tT1_PNSt15iterator_traitsISG_E10value_typeET2_T3_PNSH_ISM_E10value_typeET4_T5_PSR_SS_PNS1_23onesweep_lookback_stateEbbT6_jjT7_P12ihipStream_tbENKUlT_T0_SG_SL_E_clIS7_S7_SB_SB_EEDaSZ_S10_SG_SL_EUlSZ_E_NS1_11comp_targetILNS1_3genE5ELNS1_11target_archE942ELNS1_3gpuE9ELNS1_3repE0EEENS1_47radix_sort_onesweep_sort_config_static_selectorELNS0_4arch9wavefront6targetE1EEEvSG_
    .private_segment_fixed_size: 0
    .sgpr_count:     4
    .sgpr_spill_count: 0
    .symbol:         _ZN7rocprim17ROCPRIM_400000_NS6detail17trampoline_kernelINS0_14default_configENS1_35radix_sort_onesweep_config_selectorIhlEEZZNS1_29radix_sort_onesweep_iterationIS3_Lb0EPhS7_N6thrust23THRUST_200600_302600_NS10device_ptrIlEESB_jNS0_19identity_decomposerENS1_16block_id_wrapperIjLb1EEEEE10hipError_tT1_PNSt15iterator_traitsISG_E10value_typeET2_T3_PNSH_ISM_E10value_typeET4_T5_PSR_SS_PNS1_23onesweep_lookback_stateEbbT6_jjT7_P12ihipStream_tbENKUlT_T0_SG_SL_E_clIS7_S7_SB_SB_EEDaSZ_S10_SG_SL_EUlSZ_E_NS1_11comp_targetILNS1_3genE5ELNS1_11target_archE942ELNS1_3gpuE9ELNS1_3repE0EEENS1_47radix_sort_onesweep_sort_config_static_selectorELNS0_4arch9wavefront6targetE1EEEvSG_.kd
    .uniform_work_group_size: 1
    .uses_dynamic_stack: false
    .vgpr_count:     0
    .vgpr_spill_count: 0
    .wavefront_size: 64
  - .args:
      - .offset:         0
        .size:           88
        .value_kind:     by_value
      - .offset:         88
        .size:           4
        .value_kind:     hidden_block_count_x
      - .offset:         92
        .size:           4
        .value_kind:     hidden_block_count_y
      - .offset:         96
        .size:           4
        .value_kind:     hidden_block_count_z
      - .offset:         100
        .size:           2
        .value_kind:     hidden_group_size_x
      - .offset:         102
        .size:           2
        .value_kind:     hidden_group_size_y
      - .offset:         104
        .size:           2
        .value_kind:     hidden_group_size_z
      - .offset:         106
        .size:           2
        .value_kind:     hidden_remainder_x
      - .offset:         108
        .size:           2
        .value_kind:     hidden_remainder_y
      - .offset:         110
        .size:           2
        .value_kind:     hidden_remainder_z
      - .offset:         128
        .size:           8
        .value_kind:     hidden_global_offset_x
      - .offset:         136
        .size:           8
        .value_kind:     hidden_global_offset_y
      - .offset:         144
        .size:           8
        .value_kind:     hidden_global_offset_z
      - .offset:         152
        .size:           2
        .value_kind:     hidden_grid_dims
    .group_segment_fixed_size: 10280
    .kernarg_segment_align: 8
    .kernarg_segment_size: 344
    .language:       OpenCL C
    .language_version:
      - 2
      - 0
    .max_flat_workgroup_size: 512
    .name:           _ZN7rocprim17ROCPRIM_400000_NS6detail17trampoline_kernelINS0_14default_configENS1_35radix_sort_onesweep_config_selectorIhlEEZZNS1_29radix_sort_onesweep_iterationIS3_Lb0EPhS7_N6thrust23THRUST_200600_302600_NS10device_ptrIlEESB_jNS0_19identity_decomposerENS1_16block_id_wrapperIjLb1EEEEE10hipError_tT1_PNSt15iterator_traitsISG_E10value_typeET2_T3_PNSH_ISM_E10value_typeET4_T5_PSR_SS_PNS1_23onesweep_lookback_stateEbbT6_jjT7_P12ihipStream_tbENKUlT_T0_SG_SL_E_clIS7_S7_SB_SB_EEDaSZ_S10_SG_SL_EUlSZ_E_NS1_11comp_targetILNS1_3genE2ELNS1_11target_archE906ELNS1_3gpuE6ELNS1_3repE0EEENS1_47radix_sort_onesweep_sort_config_static_selectorELNS0_4arch9wavefront6targetE1EEEvSG_
    .private_segment_fixed_size: 32
    .sgpr_count:     60
    .sgpr_spill_count: 0
    .symbol:         _ZN7rocprim17ROCPRIM_400000_NS6detail17trampoline_kernelINS0_14default_configENS1_35radix_sort_onesweep_config_selectorIhlEEZZNS1_29radix_sort_onesweep_iterationIS3_Lb0EPhS7_N6thrust23THRUST_200600_302600_NS10device_ptrIlEESB_jNS0_19identity_decomposerENS1_16block_id_wrapperIjLb1EEEEE10hipError_tT1_PNSt15iterator_traitsISG_E10value_typeET2_T3_PNSH_ISM_E10value_typeET4_T5_PSR_SS_PNS1_23onesweep_lookback_stateEbbT6_jjT7_P12ihipStream_tbENKUlT_T0_SG_SL_E_clIS7_S7_SB_SB_EEDaSZ_S10_SG_SL_EUlSZ_E_NS1_11comp_targetILNS1_3genE2ELNS1_11target_archE906ELNS1_3gpuE6ELNS1_3repE0EEENS1_47radix_sort_onesweep_sort_config_static_selectorELNS0_4arch9wavefront6targetE1EEEvSG_.kd
    .uniform_work_group_size: 1
    .uses_dynamic_stack: false
    .vgpr_count:     41
    .vgpr_spill_count: 0
    .wavefront_size: 64
  - .args:
      - .offset:         0
        .size:           88
        .value_kind:     by_value
    .group_segment_fixed_size: 0
    .kernarg_segment_align: 8
    .kernarg_segment_size: 88
    .language:       OpenCL C
    .language_version:
      - 2
      - 0
    .max_flat_workgroup_size: 1024
    .name:           _ZN7rocprim17ROCPRIM_400000_NS6detail17trampoline_kernelINS0_14default_configENS1_35radix_sort_onesweep_config_selectorIhlEEZZNS1_29radix_sort_onesweep_iterationIS3_Lb0EPhS7_N6thrust23THRUST_200600_302600_NS10device_ptrIlEESB_jNS0_19identity_decomposerENS1_16block_id_wrapperIjLb1EEEEE10hipError_tT1_PNSt15iterator_traitsISG_E10value_typeET2_T3_PNSH_ISM_E10value_typeET4_T5_PSR_SS_PNS1_23onesweep_lookback_stateEbbT6_jjT7_P12ihipStream_tbENKUlT_T0_SG_SL_E_clIS7_S7_SB_SB_EEDaSZ_S10_SG_SL_EUlSZ_E_NS1_11comp_targetILNS1_3genE4ELNS1_11target_archE910ELNS1_3gpuE8ELNS1_3repE0EEENS1_47radix_sort_onesweep_sort_config_static_selectorELNS0_4arch9wavefront6targetE1EEEvSG_
    .private_segment_fixed_size: 0
    .sgpr_count:     4
    .sgpr_spill_count: 0
    .symbol:         _ZN7rocprim17ROCPRIM_400000_NS6detail17trampoline_kernelINS0_14default_configENS1_35radix_sort_onesweep_config_selectorIhlEEZZNS1_29radix_sort_onesweep_iterationIS3_Lb0EPhS7_N6thrust23THRUST_200600_302600_NS10device_ptrIlEESB_jNS0_19identity_decomposerENS1_16block_id_wrapperIjLb1EEEEE10hipError_tT1_PNSt15iterator_traitsISG_E10value_typeET2_T3_PNSH_ISM_E10value_typeET4_T5_PSR_SS_PNS1_23onesweep_lookback_stateEbbT6_jjT7_P12ihipStream_tbENKUlT_T0_SG_SL_E_clIS7_S7_SB_SB_EEDaSZ_S10_SG_SL_EUlSZ_E_NS1_11comp_targetILNS1_3genE4ELNS1_11target_archE910ELNS1_3gpuE8ELNS1_3repE0EEENS1_47radix_sort_onesweep_sort_config_static_selectorELNS0_4arch9wavefront6targetE1EEEvSG_.kd
    .uniform_work_group_size: 1
    .uses_dynamic_stack: false
    .vgpr_count:     0
    .vgpr_spill_count: 0
    .wavefront_size: 64
  - .args:
      - .offset:         0
        .size:           88
        .value_kind:     by_value
    .group_segment_fixed_size: 0
    .kernarg_segment_align: 8
    .kernarg_segment_size: 88
    .language:       OpenCL C
    .language_version:
      - 2
      - 0
    .max_flat_workgroup_size: 1024
    .name:           _ZN7rocprim17ROCPRIM_400000_NS6detail17trampoline_kernelINS0_14default_configENS1_35radix_sort_onesweep_config_selectorIhlEEZZNS1_29radix_sort_onesweep_iterationIS3_Lb0EPhS7_N6thrust23THRUST_200600_302600_NS10device_ptrIlEESB_jNS0_19identity_decomposerENS1_16block_id_wrapperIjLb1EEEEE10hipError_tT1_PNSt15iterator_traitsISG_E10value_typeET2_T3_PNSH_ISM_E10value_typeET4_T5_PSR_SS_PNS1_23onesweep_lookback_stateEbbT6_jjT7_P12ihipStream_tbENKUlT_T0_SG_SL_E_clIS7_S7_SB_SB_EEDaSZ_S10_SG_SL_EUlSZ_E_NS1_11comp_targetILNS1_3genE3ELNS1_11target_archE908ELNS1_3gpuE7ELNS1_3repE0EEENS1_47radix_sort_onesweep_sort_config_static_selectorELNS0_4arch9wavefront6targetE1EEEvSG_
    .private_segment_fixed_size: 0
    .sgpr_count:     4
    .sgpr_spill_count: 0
    .symbol:         _ZN7rocprim17ROCPRIM_400000_NS6detail17trampoline_kernelINS0_14default_configENS1_35radix_sort_onesweep_config_selectorIhlEEZZNS1_29radix_sort_onesweep_iterationIS3_Lb0EPhS7_N6thrust23THRUST_200600_302600_NS10device_ptrIlEESB_jNS0_19identity_decomposerENS1_16block_id_wrapperIjLb1EEEEE10hipError_tT1_PNSt15iterator_traitsISG_E10value_typeET2_T3_PNSH_ISM_E10value_typeET4_T5_PSR_SS_PNS1_23onesweep_lookback_stateEbbT6_jjT7_P12ihipStream_tbENKUlT_T0_SG_SL_E_clIS7_S7_SB_SB_EEDaSZ_S10_SG_SL_EUlSZ_E_NS1_11comp_targetILNS1_3genE3ELNS1_11target_archE908ELNS1_3gpuE7ELNS1_3repE0EEENS1_47radix_sort_onesweep_sort_config_static_selectorELNS0_4arch9wavefront6targetE1EEEvSG_.kd
    .uniform_work_group_size: 1
    .uses_dynamic_stack: false
    .vgpr_count:     0
    .vgpr_spill_count: 0
    .wavefront_size: 64
  - .args:
      - .offset:         0
        .size:           88
        .value_kind:     by_value
    .group_segment_fixed_size: 0
    .kernarg_segment_align: 8
    .kernarg_segment_size: 88
    .language:       OpenCL C
    .language_version:
      - 2
      - 0
    .max_flat_workgroup_size: 1024
    .name:           _ZN7rocprim17ROCPRIM_400000_NS6detail17trampoline_kernelINS0_14default_configENS1_35radix_sort_onesweep_config_selectorIhlEEZZNS1_29radix_sort_onesweep_iterationIS3_Lb0EPhS7_N6thrust23THRUST_200600_302600_NS10device_ptrIlEESB_jNS0_19identity_decomposerENS1_16block_id_wrapperIjLb1EEEEE10hipError_tT1_PNSt15iterator_traitsISG_E10value_typeET2_T3_PNSH_ISM_E10value_typeET4_T5_PSR_SS_PNS1_23onesweep_lookback_stateEbbT6_jjT7_P12ihipStream_tbENKUlT_T0_SG_SL_E_clIS7_S7_SB_SB_EEDaSZ_S10_SG_SL_EUlSZ_E_NS1_11comp_targetILNS1_3genE10ELNS1_11target_archE1201ELNS1_3gpuE5ELNS1_3repE0EEENS1_47radix_sort_onesweep_sort_config_static_selectorELNS0_4arch9wavefront6targetE1EEEvSG_
    .private_segment_fixed_size: 0
    .sgpr_count:     4
    .sgpr_spill_count: 0
    .symbol:         _ZN7rocprim17ROCPRIM_400000_NS6detail17trampoline_kernelINS0_14default_configENS1_35radix_sort_onesweep_config_selectorIhlEEZZNS1_29radix_sort_onesweep_iterationIS3_Lb0EPhS7_N6thrust23THRUST_200600_302600_NS10device_ptrIlEESB_jNS0_19identity_decomposerENS1_16block_id_wrapperIjLb1EEEEE10hipError_tT1_PNSt15iterator_traitsISG_E10value_typeET2_T3_PNSH_ISM_E10value_typeET4_T5_PSR_SS_PNS1_23onesweep_lookback_stateEbbT6_jjT7_P12ihipStream_tbENKUlT_T0_SG_SL_E_clIS7_S7_SB_SB_EEDaSZ_S10_SG_SL_EUlSZ_E_NS1_11comp_targetILNS1_3genE10ELNS1_11target_archE1201ELNS1_3gpuE5ELNS1_3repE0EEENS1_47radix_sort_onesweep_sort_config_static_selectorELNS0_4arch9wavefront6targetE1EEEvSG_.kd
    .uniform_work_group_size: 1
    .uses_dynamic_stack: false
    .vgpr_count:     0
    .vgpr_spill_count: 0
    .wavefront_size: 64
  - .args:
      - .offset:         0
        .size:           88
        .value_kind:     by_value
    .group_segment_fixed_size: 0
    .kernarg_segment_align: 8
    .kernarg_segment_size: 88
    .language:       OpenCL C
    .language_version:
      - 2
      - 0
    .max_flat_workgroup_size: 1024
    .name:           _ZN7rocprim17ROCPRIM_400000_NS6detail17trampoline_kernelINS0_14default_configENS1_35radix_sort_onesweep_config_selectorIhlEEZZNS1_29radix_sort_onesweep_iterationIS3_Lb0EPhS7_N6thrust23THRUST_200600_302600_NS10device_ptrIlEESB_jNS0_19identity_decomposerENS1_16block_id_wrapperIjLb1EEEEE10hipError_tT1_PNSt15iterator_traitsISG_E10value_typeET2_T3_PNSH_ISM_E10value_typeET4_T5_PSR_SS_PNS1_23onesweep_lookback_stateEbbT6_jjT7_P12ihipStream_tbENKUlT_T0_SG_SL_E_clIS7_S7_SB_SB_EEDaSZ_S10_SG_SL_EUlSZ_E_NS1_11comp_targetILNS1_3genE9ELNS1_11target_archE1100ELNS1_3gpuE3ELNS1_3repE0EEENS1_47radix_sort_onesweep_sort_config_static_selectorELNS0_4arch9wavefront6targetE1EEEvSG_
    .private_segment_fixed_size: 0
    .sgpr_count:     4
    .sgpr_spill_count: 0
    .symbol:         _ZN7rocprim17ROCPRIM_400000_NS6detail17trampoline_kernelINS0_14default_configENS1_35radix_sort_onesweep_config_selectorIhlEEZZNS1_29radix_sort_onesweep_iterationIS3_Lb0EPhS7_N6thrust23THRUST_200600_302600_NS10device_ptrIlEESB_jNS0_19identity_decomposerENS1_16block_id_wrapperIjLb1EEEEE10hipError_tT1_PNSt15iterator_traitsISG_E10value_typeET2_T3_PNSH_ISM_E10value_typeET4_T5_PSR_SS_PNS1_23onesweep_lookback_stateEbbT6_jjT7_P12ihipStream_tbENKUlT_T0_SG_SL_E_clIS7_S7_SB_SB_EEDaSZ_S10_SG_SL_EUlSZ_E_NS1_11comp_targetILNS1_3genE9ELNS1_11target_archE1100ELNS1_3gpuE3ELNS1_3repE0EEENS1_47radix_sort_onesweep_sort_config_static_selectorELNS0_4arch9wavefront6targetE1EEEvSG_.kd
    .uniform_work_group_size: 1
    .uses_dynamic_stack: false
    .vgpr_count:     0
    .vgpr_spill_count: 0
    .wavefront_size: 64
  - .args:
      - .offset:         0
        .size:           88
        .value_kind:     by_value
    .group_segment_fixed_size: 0
    .kernarg_segment_align: 8
    .kernarg_segment_size: 88
    .language:       OpenCL C
    .language_version:
      - 2
      - 0
    .max_flat_workgroup_size: 1024
    .name:           _ZN7rocprim17ROCPRIM_400000_NS6detail17trampoline_kernelINS0_14default_configENS1_35radix_sort_onesweep_config_selectorIhlEEZZNS1_29radix_sort_onesweep_iterationIS3_Lb0EPhS7_N6thrust23THRUST_200600_302600_NS10device_ptrIlEESB_jNS0_19identity_decomposerENS1_16block_id_wrapperIjLb1EEEEE10hipError_tT1_PNSt15iterator_traitsISG_E10value_typeET2_T3_PNSH_ISM_E10value_typeET4_T5_PSR_SS_PNS1_23onesweep_lookback_stateEbbT6_jjT7_P12ihipStream_tbENKUlT_T0_SG_SL_E_clIS7_S7_SB_SB_EEDaSZ_S10_SG_SL_EUlSZ_E_NS1_11comp_targetILNS1_3genE8ELNS1_11target_archE1030ELNS1_3gpuE2ELNS1_3repE0EEENS1_47radix_sort_onesweep_sort_config_static_selectorELNS0_4arch9wavefront6targetE1EEEvSG_
    .private_segment_fixed_size: 0
    .sgpr_count:     4
    .sgpr_spill_count: 0
    .symbol:         _ZN7rocprim17ROCPRIM_400000_NS6detail17trampoline_kernelINS0_14default_configENS1_35radix_sort_onesweep_config_selectorIhlEEZZNS1_29radix_sort_onesweep_iterationIS3_Lb0EPhS7_N6thrust23THRUST_200600_302600_NS10device_ptrIlEESB_jNS0_19identity_decomposerENS1_16block_id_wrapperIjLb1EEEEE10hipError_tT1_PNSt15iterator_traitsISG_E10value_typeET2_T3_PNSH_ISM_E10value_typeET4_T5_PSR_SS_PNS1_23onesweep_lookback_stateEbbT6_jjT7_P12ihipStream_tbENKUlT_T0_SG_SL_E_clIS7_S7_SB_SB_EEDaSZ_S10_SG_SL_EUlSZ_E_NS1_11comp_targetILNS1_3genE8ELNS1_11target_archE1030ELNS1_3gpuE2ELNS1_3repE0EEENS1_47radix_sort_onesweep_sort_config_static_selectorELNS0_4arch9wavefront6targetE1EEEvSG_.kd
    .uniform_work_group_size: 1
    .uses_dynamic_stack: false
    .vgpr_count:     0
    .vgpr_spill_count: 0
    .wavefront_size: 64
  - .args:
      - .offset:         0
        .size:           88
        .value_kind:     by_value
    .group_segment_fixed_size: 0
    .kernarg_segment_align: 8
    .kernarg_segment_size: 88
    .language:       OpenCL C
    .language_version:
      - 2
      - 0
    .max_flat_workgroup_size: 1024
    .name:           _ZN7rocprim17ROCPRIM_400000_NS6detail17trampoline_kernelINS0_14default_configENS1_35radix_sort_onesweep_config_selectorIhlEEZZNS1_29radix_sort_onesweep_iterationIS3_Lb0EPhS7_N6thrust23THRUST_200600_302600_NS10device_ptrIlEESB_jNS0_19identity_decomposerENS1_16block_id_wrapperIjLb1EEEEE10hipError_tT1_PNSt15iterator_traitsISG_E10value_typeET2_T3_PNSH_ISM_E10value_typeET4_T5_PSR_SS_PNS1_23onesweep_lookback_stateEbbT6_jjT7_P12ihipStream_tbENKUlT_T0_SG_SL_E_clIS7_S7_SB_PlEEDaSZ_S10_SG_SL_EUlSZ_E_NS1_11comp_targetILNS1_3genE0ELNS1_11target_archE4294967295ELNS1_3gpuE0ELNS1_3repE0EEENS1_47radix_sort_onesweep_sort_config_static_selectorELNS0_4arch9wavefront6targetE1EEEvSG_
    .private_segment_fixed_size: 0
    .sgpr_count:     4
    .sgpr_spill_count: 0
    .symbol:         _ZN7rocprim17ROCPRIM_400000_NS6detail17trampoline_kernelINS0_14default_configENS1_35radix_sort_onesweep_config_selectorIhlEEZZNS1_29radix_sort_onesweep_iterationIS3_Lb0EPhS7_N6thrust23THRUST_200600_302600_NS10device_ptrIlEESB_jNS0_19identity_decomposerENS1_16block_id_wrapperIjLb1EEEEE10hipError_tT1_PNSt15iterator_traitsISG_E10value_typeET2_T3_PNSH_ISM_E10value_typeET4_T5_PSR_SS_PNS1_23onesweep_lookback_stateEbbT6_jjT7_P12ihipStream_tbENKUlT_T0_SG_SL_E_clIS7_S7_SB_PlEEDaSZ_S10_SG_SL_EUlSZ_E_NS1_11comp_targetILNS1_3genE0ELNS1_11target_archE4294967295ELNS1_3gpuE0ELNS1_3repE0EEENS1_47radix_sort_onesweep_sort_config_static_selectorELNS0_4arch9wavefront6targetE1EEEvSG_.kd
    .uniform_work_group_size: 1
    .uses_dynamic_stack: false
    .vgpr_count:     0
    .vgpr_spill_count: 0
    .wavefront_size: 64
  - .args:
      - .offset:         0
        .size:           88
        .value_kind:     by_value
    .group_segment_fixed_size: 0
    .kernarg_segment_align: 8
    .kernarg_segment_size: 88
    .language:       OpenCL C
    .language_version:
      - 2
      - 0
    .max_flat_workgroup_size: 1024
    .name:           _ZN7rocprim17ROCPRIM_400000_NS6detail17trampoline_kernelINS0_14default_configENS1_35radix_sort_onesweep_config_selectorIhlEEZZNS1_29radix_sort_onesweep_iterationIS3_Lb0EPhS7_N6thrust23THRUST_200600_302600_NS10device_ptrIlEESB_jNS0_19identity_decomposerENS1_16block_id_wrapperIjLb1EEEEE10hipError_tT1_PNSt15iterator_traitsISG_E10value_typeET2_T3_PNSH_ISM_E10value_typeET4_T5_PSR_SS_PNS1_23onesweep_lookback_stateEbbT6_jjT7_P12ihipStream_tbENKUlT_T0_SG_SL_E_clIS7_S7_SB_PlEEDaSZ_S10_SG_SL_EUlSZ_E_NS1_11comp_targetILNS1_3genE6ELNS1_11target_archE950ELNS1_3gpuE13ELNS1_3repE0EEENS1_47radix_sort_onesweep_sort_config_static_selectorELNS0_4arch9wavefront6targetE1EEEvSG_
    .private_segment_fixed_size: 0
    .sgpr_count:     4
    .sgpr_spill_count: 0
    .symbol:         _ZN7rocprim17ROCPRIM_400000_NS6detail17trampoline_kernelINS0_14default_configENS1_35radix_sort_onesweep_config_selectorIhlEEZZNS1_29radix_sort_onesweep_iterationIS3_Lb0EPhS7_N6thrust23THRUST_200600_302600_NS10device_ptrIlEESB_jNS0_19identity_decomposerENS1_16block_id_wrapperIjLb1EEEEE10hipError_tT1_PNSt15iterator_traitsISG_E10value_typeET2_T3_PNSH_ISM_E10value_typeET4_T5_PSR_SS_PNS1_23onesweep_lookback_stateEbbT6_jjT7_P12ihipStream_tbENKUlT_T0_SG_SL_E_clIS7_S7_SB_PlEEDaSZ_S10_SG_SL_EUlSZ_E_NS1_11comp_targetILNS1_3genE6ELNS1_11target_archE950ELNS1_3gpuE13ELNS1_3repE0EEENS1_47radix_sort_onesweep_sort_config_static_selectorELNS0_4arch9wavefront6targetE1EEEvSG_.kd
    .uniform_work_group_size: 1
    .uses_dynamic_stack: false
    .vgpr_count:     0
    .vgpr_spill_count: 0
    .wavefront_size: 64
  - .args:
      - .offset:         0
        .size:           88
        .value_kind:     by_value
    .group_segment_fixed_size: 0
    .kernarg_segment_align: 8
    .kernarg_segment_size: 88
    .language:       OpenCL C
    .language_version:
      - 2
      - 0
    .max_flat_workgroup_size: 1024
    .name:           _ZN7rocprim17ROCPRIM_400000_NS6detail17trampoline_kernelINS0_14default_configENS1_35radix_sort_onesweep_config_selectorIhlEEZZNS1_29radix_sort_onesweep_iterationIS3_Lb0EPhS7_N6thrust23THRUST_200600_302600_NS10device_ptrIlEESB_jNS0_19identity_decomposerENS1_16block_id_wrapperIjLb1EEEEE10hipError_tT1_PNSt15iterator_traitsISG_E10value_typeET2_T3_PNSH_ISM_E10value_typeET4_T5_PSR_SS_PNS1_23onesweep_lookback_stateEbbT6_jjT7_P12ihipStream_tbENKUlT_T0_SG_SL_E_clIS7_S7_SB_PlEEDaSZ_S10_SG_SL_EUlSZ_E_NS1_11comp_targetILNS1_3genE5ELNS1_11target_archE942ELNS1_3gpuE9ELNS1_3repE0EEENS1_47radix_sort_onesweep_sort_config_static_selectorELNS0_4arch9wavefront6targetE1EEEvSG_
    .private_segment_fixed_size: 0
    .sgpr_count:     4
    .sgpr_spill_count: 0
    .symbol:         _ZN7rocprim17ROCPRIM_400000_NS6detail17trampoline_kernelINS0_14default_configENS1_35radix_sort_onesweep_config_selectorIhlEEZZNS1_29radix_sort_onesweep_iterationIS3_Lb0EPhS7_N6thrust23THRUST_200600_302600_NS10device_ptrIlEESB_jNS0_19identity_decomposerENS1_16block_id_wrapperIjLb1EEEEE10hipError_tT1_PNSt15iterator_traitsISG_E10value_typeET2_T3_PNSH_ISM_E10value_typeET4_T5_PSR_SS_PNS1_23onesweep_lookback_stateEbbT6_jjT7_P12ihipStream_tbENKUlT_T0_SG_SL_E_clIS7_S7_SB_PlEEDaSZ_S10_SG_SL_EUlSZ_E_NS1_11comp_targetILNS1_3genE5ELNS1_11target_archE942ELNS1_3gpuE9ELNS1_3repE0EEENS1_47radix_sort_onesweep_sort_config_static_selectorELNS0_4arch9wavefront6targetE1EEEvSG_.kd
    .uniform_work_group_size: 1
    .uses_dynamic_stack: false
    .vgpr_count:     0
    .vgpr_spill_count: 0
    .wavefront_size: 64
  - .args:
      - .offset:         0
        .size:           88
        .value_kind:     by_value
      - .offset:         88
        .size:           4
        .value_kind:     hidden_block_count_x
      - .offset:         92
        .size:           4
        .value_kind:     hidden_block_count_y
      - .offset:         96
        .size:           4
        .value_kind:     hidden_block_count_z
      - .offset:         100
        .size:           2
        .value_kind:     hidden_group_size_x
      - .offset:         102
        .size:           2
        .value_kind:     hidden_group_size_y
      - .offset:         104
        .size:           2
        .value_kind:     hidden_group_size_z
      - .offset:         106
        .size:           2
        .value_kind:     hidden_remainder_x
      - .offset:         108
        .size:           2
        .value_kind:     hidden_remainder_y
      - .offset:         110
        .size:           2
        .value_kind:     hidden_remainder_z
      - .offset:         128
        .size:           8
        .value_kind:     hidden_global_offset_x
      - .offset:         136
        .size:           8
        .value_kind:     hidden_global_offset_y
      - .offset:         144
        .size:           8
        .value_kind:     hidden_global_offset_z
      - .offset:         152
        .size:           2
        .value_kind:     hidden_grid_dims
    .group_segment_fixed_size: 10280
    .kernarg_segment_align: 8
    .kernarg_segment_size: 344
    .language:       OpenCL C
    .language_version:
      - 2
      - 0
    .max_flat_workgroup_size: 512
    .name:           _ZN7rocprim17ROCPRIM_400000_NS6detail17trampoline_kernelINS0_14default_configENS1_35radix_sort_onesweep_config_selectorIhlEEZZNS1_29radix_sort_onesweep_iterationIS3_Lb0EPhS7_N6thrust23THRUST_200600_302600_NS10device_ptrIlEESB_jNS0_19identity_decomposerENS1_16block_id_wrapperIjLb1EEEEE10hipError_tT1_PNSt15iterator_traitsISG_E10value_typeET2_T3_PNSH_ISM_E10value_typeET4_T5_PSR_SS_PNS1_23onesweep_lookback_stateEbbT6_jjT7_P12ihipStream_tbENKUlT_T0_SG_SL_E_clIS7_S7_SB_PlEEDaSZ_S10_SG_SL_EUlSZ_E_NS1_11comp_targetILNS1_3genE2ELNS1_11target_archE906ELNS1_3gpuE6ELNS1_3repE0EEENS1_47radix_sort_onesweep_sort_config_static_selectorELNS0_4arch9wavefront6targetE1EEEvSG_
    .private_segment_fixed_size: 32
    .sgpr_count:     60
    .sgpr_spill_count: 0
    .symbol:         _ZN7rocprim17ROCPRIM_400000_NS6detail17trampoline_kernelINS0_14default_configENS1_35radix_sort_onesweep_config_selectorIhlEEZZNS1_29radix_sort_onesweep_iterationIS3_Lb0EPhS7_N6thrust23THRUST_200600_302600_NS10device_ptrIlEESB_jNS0_19identity_decomposerENS1_16block_id_wrapperIjLb1EEEEE10hipError_tT1_PNSt15iterator_traitsISG_E10value_typeET2_T3_PNSH_ISM_E10value_typeET4_T5_PSR_SS_PNS1_23onesweep_lookback_stateEbbT6_jjT7_P12ihipStream_tbENKUlT_T0_SG_SL_E_clIS7_S7_SB_PlEEDaSZ_S10_SG_SL_EUlSZ_E_NS1_11comp_targetILNS1_3genE2ELNS1_11target_archE906ELNS1_3gpuE6ELNS1_3repE0EEENS1_47radix_sort_onesweep_sort_config_static_selectorELNS0_4arch9wavefront6targetE1EEEvSG_.kd
    .uniform_work_group_size: 1
    .uses_dynamic_stack: false
    .vgpr_count:     41
    .vgpr_spill_count: 0
    .wavefront_size: 64
  - .args:
      - .offset:         0
        .size:           88
        .value_kind:     by_value
    .group_segment_fixed_size: 0
    .kernarg_segment_align: 8
    .kernarg_segment_size: 88
    .language:       OpenCL C
    .language_version:
      - 2
      - 0
    .max_flat_workgroup_size: 1024
    .name:           _ZN7rocprim17ROCPRIM_400000_NS6detail17trampoline_kernelINS0_14default_configENS1_35radix_sort_onesweep_config_selectorIhlEEZZNS1_29radix_sort_onesweep_iterationIS3_Lb0EPhS7_N6thrust23THRUST_200600_302600_NS10device_ptrIlEESB_jNS0_19identity_decomposerENS1_16block_id_wrapperIjLb1EEEEE10hipError_tT1_PNSt15iterator_traitsISG_E10value_typeET2_T3_PNSH_ISM_E10value_typeET4_T5_PSR_SS_PNS1_23onesweep_lookback_stateEbbT6_jjT7_P12ihipStream_tbENKUlT_T0_SG_SL_E_clIS7_S7_SB_PlEEDaSZ_S10_SG_SL_EUlSZ_E_NS1_11comp_targetILNS1_3genE4ELNS1_11target_archE910ELNS1_3gpuE8ELNS1_3repE0EEENS1_47radix_sort_onesweep_sort_config_static_selectorELNS0_4arch9wavefront6targetE1EEEvSG_
    .private_segment_fixed_size: 0
    .sgpr_count:     4
    .sgpr_spill_count: 0
    .symbol:         _ZN7rocprim17ROCPRIM_400000_NS6detail17trampoline_kernelINS0_14default_configENS1_35radix_sort_onesweep_config_selectorIhlEEZZNS1_29radix_sort_onesweep_iterationIS3_Lb0EPhS7_N6thrust23THRUST_200600_302600_NS10device_ptrIlEESB_jNS0_19identity_decomposerENS1_16block_id_wrapperIjLb1EEEEE10hipError_tT1_PNSt15iterator_traitsISG_E10value_typeET2_T3_PNSH_ISM_E10value_typeET4_T5_PSR_SS_PNS1_23onesweep_lookback_stateEbbT6_jjT7_P12ihipStream_tbENKUlT_T0_SG_SL_E_clIS7_S7_SB_PlEEDaSZ_S10_SG_SL_EUlSZ_E_NS1_11comp_targetILNS1_3genE4ELNS1_11target_archE910ELNS1_3gpuE8ELNS1_3repE0EEENS1_47radix_sort_onesweep_sort_config_static_selectorELNS0_4arch9wavefront6targetE1EEEvSG_.kd
    .uniform_work_group_size: 1
    .uses_dynamic_stack: false
    .vgpr_count:     0
    .vgpr_spill_count: 0
    .wavefront_size: 64
  - .args:
      - .offset:         0
        .size:           88
        .value_kind:     by_value
    .group_segment_fixed_size: 0
    .kernarg_segment_align: 8
    .kernarg_segment_size: 88
    .language:       OpenCL C
    .language_version:
      - 2
      - 0
    .max_flat_workgroup_size: 1024
    .name:           _ZN7rocprim17ROCPRIM_400000_NS6detail17trampoline_kernelINS0_14default_configENS1_35radix_sort_onesweep_config_selectorIhlEEZZNS1_29radix_sort_onesweep_iterationIS3_Lb0EPhS7_N6thrust23THRUST_200600_302600_NS10device_ptrIlEESB_jNS0_19identity_decomposerENS1_16block_id_wrapperIjLb1EEEEE10hipError_tT1_PNSt15iterator_traitsISG_E10value_typeET2_T3_PNSH_ISM_E10value_typeET4_T5_PSR_SS_PNS1_23onesweep_lookback_stateEbbT6_jjT7_P12ihipStream_tbENKUlT_T0_SG_SL_E_clIS7_S7_SB_PlEEDaSZ_S10_SG_SL_EUlSZ_E_NS1_11comp_targetILNS1_3genE3ELNS1_11target_archE908ELNS1_3gpuE7ELNS1_3repE0EEENS1_47radix_sort_onesweep_sort_config_static_selectorELNS0_4arch9wavefront6targetE1EEEvSG_
    .private_segment_fixed_size: 0
    .sgpr_count:     4
    .sgpr_spill_count: 0
    .symbol:         _ZN7rocprim17ROCPRIM_400000_NS6detail17trampoline_kernelINS0_14default_configENS1_35radix_sort_onesweep_config_selectorIhlEEZZNS1_29radix_sort_onesweep_iterationIS3_Lb0EPhS7_N6thrust23THRUST_200600_302600_NS10device_ptrIlEESB_jNS0_19identity_decomposerENS1_16block_id_wrapperIjLb1EEEEE10hipError_tT1_PNSt15iterator_traitsISG_E10value_typeET2_T3_PNSH_ISM_E10value_typeET4_T5_PSR_SS_PNS1_23onesweep_lookback_stateEbbT6_jjT7_P12ihipStream_tbENKUlT_T0_SG_SL_E_clIS7_S7_SB_PlEEDaSZ_S10_SG_SL_EUlSZ_E_NS1_11comp_targetILNS1_3genE3ELNS1_11target_archE908ELNS1_3gpuE7ELNS1_3repE0EEENS1_47radix_sort_onesweep_sort_config_static_selectorELNS0_4arch9wavefront6targetE1EEEvSG_.kd
    .uniform_work_group_size: 1
    .uses_dynamic_stack: false
    .vgpr_count:     0
    .vgpr_spill_count: 0
    .wavefront_size: 64
  - .args:
      - .offset:         0
        .size:           88
        .value_kind:     by_value
    .group_segment_fixed_size: 0
    .kernarg_segment_align: 8
    .kernarg_segment_size: 88
    .language:       OpenCL C
    .language_version:
      - 2
      - 0
    .max_flat_workgroup_size: 1024
    .name:           _ZN7rocprim17ROCPRIM_400000_NS6detail17trampoline_kernelINS0_14default_configENS1_35radix_sort_onesweep_config_selectorIhlEEZZNS1_29radix_sort_onesweep_iterationIS3_Lb0EPhS7_N6thrust23THRUST_200600_302600_NS10device_ptrIlEESB_jNS0_19identity_decomposerENS1_16block_id_wrapperIjLb1EEEEE10hipError_tT1_PNSt15iterator_traitsISG_E10value_typeET2_T3_PNSH_ISM_E10value_typeET4_T5_PSR_SS_PNS1_23onesweep_lookback_stateEbbT6_jjT7_P12ihipStream_tbENKUlT_T0_SG_SL_E_clIS7_S7_SB_PlEEDaSZ_S10_SG_SL_EUlSZ_E_NS1_11comp_targetILNS1_3genE10ELNS1_11target_archE1201ELNS1_3gpuE5ELNS1_3repE0EEENS1_47radix_sort_onesweep_sort_config_static_selectorELNS0_4arch9wavefront6targetE1EEEvSG_
    .private_segment_fixed_size: 0
    .sgpr_count:     4
    .sgpr_spill_count: 0
    .symbol:         _ZN7rocprim17ROCPRIM_400000_NS6detail17trampoline_kernelINS0_14default_configENS1_35radix_sort_onesweep_config_selectorIhlEEZZNS1_29radix_sort_onesweep_iterationIS3_Lb0EPhS7_N6thrust23THRUST_200600_302600_NS10device_ptrIlEESB_jNS0_19identity_decomposerENS1_16block_id_wrapperIjLb1EEEEE10hipError_tT1_PNSt15iterator_traitsISG_E10value_typeET2_T3_PNSH_ISM_E10value_typeET4_T5_PSR_SS_PNS1_23onesweep_lookback_stateEbbT6_jjT7_P12ihipStream_tbENKUlT_T0_SG_SL_E_clIS7_S7_SB_PlEEDaSZ_S10_SG_SL_EUlSZ_E_NS1_11comp_targetILNS1_3genE10ELNS1_11target_archE1201ELNS1_3gpuE5ELNS1_3repE0EEENS1_47radix_sort_onesweep_sort_config_static_selectorELNS0_4arch9wavefront6targetE1EEEvSG_.kd
    .uniform_work_group_size: 1
    .uses_dynamic_stack: false
    .vgpr_count:     0
    .vgpr_spill_count: 0
    .wavefront_size: 64
  - .args:
      - .offset:         0
        .size:           88
        .value_kind:     by_value
    .group_segment_fixed_size: 0
    .kernarg_segment_align: 8
    .kernarg_segment_size: 88
    .language:       OpenCL C
    .language_version:
      - 2
      - 0
    .max_flat_workgroup_size: 1024
    .name:           _ZN7rocprim17ROCPRIM_400000_NS6detail17trampoline_kernelINS0_14default_configENS1_35radix_sort_onesweep_config_selectorIhlEEZZNS1_29radix_sort_onesweep_iterationIS3_Lb0EPhS7_N6thrust23THRUST_200600_302600_NS10device_ptrIlEESB_jNS0_19identity_decomposerENS1_16block_id_wrapperIjLb1EEEEE10hipError_tT1_PNSt15iterator_traitsISG_E10value_typeET2_T3_PNSH_ISM_E10value_typeET4_T5_PSR_SS_PNS1_23onesweep_lookback_stateEbbT6_jjT7_P12ihipStream_tbENKUlT_T0_SG_SL_E_clIS7_S7_SB_PlEEDaSZ_S10_SG_SL_EUlSZ_E_NS1_11comp_targetILNS1_3genE9ELNS1_11target_archE1100ELNS1_3gpuE3ELNS1_3repE0EEENS1_47radix_sort_onesweep_sort_config_static_selectorELNS0_4arch9wavefront6targetE1EEEvSG_
    .private_segment_fixed_size: 0
    .sgpr_count:     4
    .sgpr_spill_count: 0
    .symbol:         _ZN7rocprim17ROCPRIM_400000_NS6detail17trampoline_kernelINS0_14default_configENS1_35radix_sort_onesweep_config_selectorIhlEEZZNS1_29radix_sort_onesweep_iterationIS3_Lb0EPhS7_N6thrust23THRUST_200600_302600_NS10device_ptrIlEESB_jNS0_19identity_decomposerENS1_16block_id_wrapperIjLb1EEEEE10hipError_tT1_PNSt15iterator_traitsISG_E10value_typeET2_T3_PNSH_ISM_E10value_typeET4_T5_PSR_SS_PNS1_23onesweep_lookback_stateEbbT6_jjT7_P12ihipStream_tbENKUlT_T0_SG_SL_E_clIS7_S7_SB_PlEEDaSZ_S10_SG_SL_EUlSZ_E_NS1_11comp_targetILNS1_3genE9ELNS1_11target_archE1100ELNS1_3gpuE3ELNS1_3repE0EEENS1_47radix_sort_onesweep_sort_config_static_selectorELNS0_4arch9wavefront6targetE1EEEvSG_.kd
    .uniform_work_group_size: 1
    .uses_dynamic_stack: false
    .vgpr_count:     0
    .vgpr_spill_count: 0
    .wavefront_size: 64
  - .args:
      - .offset:         0
        .size:           88
        .value_kind:     by_value
    .group_segment_fixed_size: 0
    .kernarg_segment_align: 8
    .kernarg_segment_size: 88
    .language:       OpenCL C
    .language_version:
      - 2
      - 0
    .max_flat_workgroup_size: 1024
    .name:           _ZN7rocprim17ROCPRIM_400000_NS6detail17trampoline_kernelINS0_14default_configENS1_35radix_sort_onesweep_config_selectorIhlEEZZNS1_29radix_sort_onesweep_iterationIS3_Lb0EPhS7_N6thrust23THRUST_200600_302600_NS10device_ptrIlEESB_jNS0_19identity_decomposerENS1_16block_id_wrapperIjLb1EEEEE10hipError_tT1_PNSt15iterator_traitsISG_E10value_typeET2_T3_PNSH_ISM_E10value_typeET4_T5_PSR_SS_PNS1_23onesweep_lookback_stateEbbT6_jjT7_P12ihipStream_tbENKUlT_T0_SG_SL_E_clIS7_S7_SB_PlEEDaSZ_S10_SG_SL_EUlSZ_E_NS1_11comp_targetILNS1_3genE8ELNS1_11target_archE1030ELNS1_3gpuE2ELNS1_3repE0EEENS1_47radix_sort_onesweep_sort_config_static_selectorELNS0_4arch9wavefront6targetE1EEEvSG_
    .private_segment_fixed_size: 0
    .sgpr_count:     4
    .sgpr_spill_count: 0
    .symbol:         _ZN7rocprim17ROCPRIM_400000_NS6detail17trampoline_kernelINS0_14default_configENS1_35radix_sort_onesweep_config_selectorIhlEEZZNS1_29radix_sort_onesweep_iterationIS3_Lb0EPhS7_N6thrust23THRUST_200600_302600_NS10device_ptrIlEESB_jNS0_19identity_decomposerENS1_16block_id_wrapperIjLb1EEEEE10hipError_tT1_PNSt15iterator_traitsISG_E10value_typeET2_T3_PNSH_ISM_E10value_typeET4_T5_PSR_SS_PNS1_23onesweep_lookback_stateEbbT6_jjT7_P12ihipStream_tbENKUlT_T0_SG_SL_E_clIS7_S7_SB_PlEEDaSZ_S10_SG_SL_EUlSZ_E_NS1_11comp_targetILNS1_3genE8ELNS1_11target_archE1030ELNS1_3gpuE2ELNS1_3repE0EEENS1_47radix_sort_onesweep_sort_config_static_selectorELNS0_4arch9wavefront6targetE1EEEvSG_.kd
    .uniform_work_group_size: 1
    .uses_dynamic_stack: false
    .vgpr_count:     0
    .vgpr_spill_count: 0
    .wavefront_size: 64
  - .args:
      - .offset:         0
        .size:           88
        .value_kind:     by_value
    .group_segment_fixed_size: 0
    .kernarg_segment_align: 8
    .kernarg_segment_size: 88
    .language:       OpenCL C
    .language_version:
      - 2
      - 0
    .max_flat_workgroup_size: 1024
    .name:           _ZN7rocprim17ROCPRIM_400000_NS6detail17trampoline_kernelINS0_14default_configENS1_35radix_sort_onesweep_config_selectorIhlEEZZNS1_29radix_sort_onesweep_iterationIS3_Lb0EPhS7_N6thrust23THRUST_200600_302600_NS10device_ptrIlEESB_jNS0_19identity_decomposerENS1_16block_id_wrapperIjLb1EEEEE10hipError_tT1_PNSt15iterator_traitsISG_E10value_typeET2_T3_PNSH_ISM_E10value_typeET4_T5_PSR_SS_PNS1_23onesweep_lookback_stateEbbT6_jjT7_P12ihipStream_tbENKUlT_T0_SG_SL_E_clIS7_S7_PlSB_EEDaSZ_S10_SG_SL_EUlSZ_E_NS1_11comp_targetILNS1_3genE0ELNS1_11target_archE4294967295ELNS1_3gpuE0ELNS1_3repE0EEENS1_47radix_sort_onesweep_sort_config_static_selectorELNS0_4arch9wavefront6targetE1EEEvSG_
    .private_segment_fixed_size: 0
    .sgpr_count:     4
    .sgpr_spill_count: 0
    .symbol:         _ZN7rocprim17ROCPRIM_400000_NS6detail17trampoline_kernelINS0_14default_configENS1_35radix_sort_onesweep_config_selectorIhlEEZZNS1_29radix_sort_onesweep_iterationIS3_Lb0EPhS7_N6thrust23THRUST_200600_302600_NS10device_ptrIlEESB_jNS0_19identity_decomposerENS1_16block_id_wrapperIjLb1EEEEE10hipError_tT1_PNSt15iterator_traitsISG_E10value_typeET2_T3_PNSH_ISM_E10value_typeET4_T5_PSR_SS_PNS1_23onesweep_lookback_stateEbbT6_jjT7_P12ihipStream_tbENKUlT_T0_SG_SL_E_clIS7_S7_PlSB_EEDaSZ_S10_SG_SL_EUlSZ_E_NS1_11comp_targetILNS1_3genE0ELNS1_11target_archE4294967295ELNS1_3gpuE0ELNS1_3repE0EEENS1_47radix_sort_onesweep_sort_config_static_selectorELNS0_4arch9wavefront6targetE1EEEvSG_.kd
    .uniform_work_group_size: 1
    .uses_dynamic_stack: false
    .vgpr_count:     0
    .vgpr_spill_count: 0
    .wavefront_size: 64
  - .args:
      - .offset:         0
        .size:           88
        .value_kind:     by_value
    .group_segment_fixed_size: 0
    .kernarg_segment_align: 8
    .kernarg_segment_size: 88
    .language:       OpenCL C
    .language_version:
      - 2
      - 0
    .max_flat_workgroup_size: 1024
    .name:           _ZN7rocprim17ROCPRIM_400000_NS6detail17trampoline_kernelINS0_14default_configENS1_35radix_sort_onesweep_config_selectorIhlEEZZNS1_29radix_sort_onesweep_iterationIS3_Lb0EPhS7_N6thrust23THRUST_200600_302600_NS10device_ptrIlEESB_jNS0_19identity_decomposerENS1_16block_id_wrapperIjLb1EEEEE10hipError_tT1_PNSt15iterator_traitsISG_E10value_typeET2_T3_PNSH_ISM_E10value_typeET4_T5_PSR_SS_PNS1_23onesweep_lookback_stateEbbT6_jjT7_P12ihipStream_tbENKUlT_T0_SG_SL_E_clIS7_S7_PlSB_EEDaSZ_S10_SG_SL_EUlSZ_E_NS1_11comp_targetILNS1_3genE6ELNS1_11target_archE950ELNS1_3gpuE13ELNS1_3repE0EEENS1_47radix_sort_onesweep_sort_config_static_selectorELNS0_4arch9wavefront6targetE1EEEvSG_
    .private_segment_fixed_size: 0
    .sgpr_count:     4
    .sgpr_spill_count: 0
    .symbol:         _ZN7rocprim17ROCPRIM_400000_NS6detail17trampoline_kernelINS0_14default_configENS1_35radix_sort_onesweep_config_selectorIhlEEZZNS1_29radix_sort_onesweep_iterationIS3_Lb0EPhS7_N6thrust23THRUST_200600_302600_NS10device_ptrIlEESB_jNS0_19identity_decomposerENS1_16block_id_wrapperIjLb1EEEEE10hipError_tT1_PNSt15iterator_traitsISG_E10value_typeET2_T3_PNSH_ISM_E10value_typeET4_T5_PSR_SS_PNS1_23onesweep_lookback_stateEbbT6_jjT7_P12ihipStream_tbENKUlT_T0_SG_SL_E_clIS7_S7_PlSB_EEDaSZ_S10_SG_SL_EUlSZ_E_NS1_11comp_targetILNS1_3genE6ELNS1_11target_archE950ELNS1_3gpuE13ELNS1_3repE0EEENS1_47radix_sort_onesweep_sort_config_static_selectorELNS0_4arch9wavefront6targetE1EEEvSG_.kd
    .uniform_work_group_size: 1
    .uses_dynamic_stack: false
    .vgpr_count:     0
    .vgpr_spill_count: 0
    .wavefront_size: 64
  - .args:
      - .offset:         0
        .size:           88
        .value_kind:     by_value
    .group_segment_fixed_size: 0
    .kernarg_segment_align: 8
    .kernarg_segment_size: 88
    .language:       OpenCL C
    .language_version:
      - 2
      - 0
    .max_flat_workgroup_size: 1024
    .name:           _ZN7rocprim17ROCPRIM_400000_NS6detail17trampoline_kernelINS0_14default_configENS1_35radix_sort_onesweep_config_selectorIhlEEZZNS1_29radix_sort_onesweep_iterationIS3_Lb0EPhS7_N6thrust23THRUST_200600_302600_NS10device_ptrIlEESB_jNS0_19identity_decomposerENS1_16block_id_wrapperIjLb1EEEEE10hipError_tT1_PNSt15iterator_traitsISG_E10value_typeET2_T3_PNSH_ISM_E10value_typeET4_T5_PSR_SS_PNS1_23onesweep_lookback_stateEbbT6_jjT7_P12ihipStream_tbENKUlT_T0_SG_SL_E_clIS7_S7_PlSB_EEDaSZ_S10_SG_SL_EUlSZ_E_NS1_11comp_targetILNS1_3genE5ELNS1_11target_archE942ELNS1_3gpuE9ELNS1_3repE0EEENS1_47radix_sort_onesweep_sort_config_static_selectorELNS0_4arch9wavefront6targetE1EEEvSG_
    .private_segment_fixed_size: 0
    .sgpr_count:     4
    .sgpr_spill_count: 0
    .symbol:         _ZN7rocprim17ROCPRIM_400000_NS6detail17trampoline_kernelINS0_14default_configENS1_35radix_sort_onesweep_config_selectorIhlEEZZNS1_29radix_sort_onesweep_iterationIS3_Lb0EPhS7_N6thrust23THRUST_200600_302600_NS10device_ptrIlEESB_jNS0_19identity_decomposerENS1_16block_id_wrapperIjLb1EEEEE10hipError_tT1_PNSt15iterator_traitsISG_E10value_typeET2_T3_PNSH_ISM_E10value_typeET4_T5_PSR_SS_PNS1_23onesweep_lookback_stateEbbT6_jjT7_P12ihipStream_tbENKUlT_T0_SG_SL_E_clIS7_S7_PlSB_EEDaSZ_S10_SG_SL_EUlSZ_E_NS1_11comp_targetILNS1_3genE5ELNS1_11target_archE942ELNS1_3gpuE9ELNS1_3repE0EEENS1_47radix_sort_onesweep_sort_config_static_selectorELNS0_4arch9wavefront6targetE1EEEvSG_.kd
    .uniform_work_group_size: 1
    .uses_dynamic_stack: false
    .vgpr_count:     0
    .vgpr_spill_count: 0
    .wavefront_size: 64
  - .args:
      - .offset:         0
        .size:           88
        .value_kind:     by_value
      - .offset:         88
        .size:           4
        .value_kind:     hidden_block_count_x
      - .offset:         92
        .size:           4
        .value_kind:     hidden_block_count_y
      - .offset:         96
        .size:           4
        .value_kind:     hidden_block_count_z
      - .offset:         100
        .size:           2
        .value_kind:     hidden_group_size_x
      - .offset:         102
        .size:           2
        .value_kind:     hidden_group_size_y
      - .offset:         104
        .size:           2
        .value_kind:     hidden_group_size_z
      - .offset:         106
        .size:           2
        .value_kind:     hidden_remainder_x
      - .offset:         108
        .size:           2
        .value_kind:     hidden_remainder_y
      - .offset:         110
        .size:           2
        .value_kind:     hidden_remainder_z
      - .offset:         128
        .size:           8
        .value_kind:     hidden_global_offset_x
      - .offset:         136
        .size:           8
        .value_kind:     hidden_global_offset_y
      - .offset:         144
        .size:           8
        .value_kind:     hidden_global_offset_z
      - .offset:         152
        .size:           2
        .value_kind:     hidden_grid_dims
    .group_segment_fixed_size: 10280
    .kernarg_segment_align: 8
    .kernarg_segment_size: 344
    .language:       OpenCL C
    .language_version:
      - 2
      - 0
    .max_flat_workgroup_size: 512
    .name:           _ZN7rocprim17ROCPRIM_400000_NS6detail17trampoline_kernelINS0_14default_configENS1_35radix_sort_onesweep_config_selectorIhlEEZZNS1_29radix_sort_onesweep_iterationIS3_Lb0EPhS7_N6thrust23THRUST_200600_302600_NS10device_ptrIlEESB_jNS0_19identity_decomposerENS1_16block_id_wrapperIjLb1EEEEE10hipError_tT1_PNSt15iterator_traitsISG_E10value_typeET2_T3_PNSH_ISM_E10value_typeET4_T5_PSR_SS_PNS1_23onesweep_lookback_stateEbbT6_jjT7_P12ihipStream_tbENKUlT_T0_SG_SL_E_clIS7_S7_PlSB_EEDaSZ_S10_SG_SL_EUlSZ_E_NS1_11comp_targetILNS1_3genE2ELNS1_11target_archE906ELNS1_3gpuE6ELNS1_3repE0EEENS1_47radix_sort_onesweep_sort_config_static_selectorELNS0_4arch9wavefront6targetE1EEEvSG_
    .private_segment_fixed_size: 32
    .sgpr_count:     60
    .sgpr_spill_count: 0
    .symbol:         _ZN7rocprim17ROCPRIM_400000_NS6detail17trampoline_kernelINS0_14default_configENS1_35radix_sort_onesweep_config_selectorIhlEEZZNS1_29radix_sort_onesweep_iterationIS3_Lb0EPhS7_N6thrust23THRUST_200600_302600_NS10device_ptrIlEESB_jNS0_19identity_decomposerENS1_16block_id_wrapperIjLb1EEEEE10hipError_tT1_PNSt15iterator_traitsISG_E10value_typeET2_T3_PNSH_ISM_E10value_typeET4_T5_PSR_SS_PNS1_23onesweep_lookback_stateEbbT6_jjT7_P12ihipStream_tbENKUlT_T0_SG_SL_E_clIS7_S7_PlSB_EEDaSZ_S10_SG_SL_EUlSZ_E_NS1_11comp_targetILNS1_3genE2ELNS1_11target_archE906ELNS1_3gpuE6ELNS1_3repE0EEENS1_47radix_sort_onesweep_sort_config_static_selectorELNS0_4arch9wavefront6targetE1EEEvSG_.kd
    .uniform_work_group_size: 1
    .uses_dynamic_stack: false
    .vgpr_count:     41
    .vgpr_spill_count: 0
    .wavefront_size: 64
  - .args:
      - .offset:         0
        .size:           88
        .value_kind:     by_value
    .group_segment_fixed_size: 0
    .kernarg_segment_align: 8
    .kernarg_segment_size: 88
    .language:       OpenCL C
    .language_version:
      - 2
      - 0
    .max_flat_workgroup_size: 1024
    .name:           _ZN7rocprim17ROCPRIM_400000_NS6detail17trampoline_kernelINS0_14default_configENS1_35radix_sort_onesweep_config_selectorIhlEEZZNS1_29radix_sort_onesweep_iterationIS3_Lb0EPhS7_N6thrust23THRUST_200600_302600_NS10device_ptrIlEESB_jNS0_19identity_decomposerENS1_16block_id_wrapperIjLb1EEEEE10hipError_tT1_PNSt15iterator_traitsISG_E10value_typeET2_T3_PNSH_ISM_E10value_typeET4_T5_PSR_SS_PNS1_23onesweep_lookback_stateEbbT6_jjT7_P12ihipStream_tbENKUlT_T0_SG_SL_E_clIS7_S7_PlSB_EEDaSZ_S10_SG_SL_EUlSZ_E_NS1_11comp_targetILNS1_3genE4ELNS1_11target_archE910ELNS1_3gpuE8ELNS1_3repE0EEENS1_47radix_sort_onesweep_sort_config_static_selectorELNS0_4arch9wavefront6targetE1EEEvSG_
    .private_segment_fixed_size: 0
    .sgpr_count:     4
    .sgpr_spill_count: 0
    .symbol:         _ZN7rocprim17ROCPRIM_400000_NS6detail17trampoline_kernelINS0_14default_configENS1_35radix_sort_onesweep_config_selectorIhlEEZZNS1_29radix_sort_onesweep_iterationIS3_Lb0EPhS7_N6thrust23THRUST_200600_302600_NS10device_ptrIlEESB_jNS0_19identity_decomposerENS1_16block_id_wrapperIjLb1EEEEE10hipError_tT1_PNSt15iterator_traitsISG_E10value_typeET2_T3_PNSH_ISM_E10value_typeET4_T5_PSR_SS_PNS1_23onesweep_lookback_stateEbbT6_jjT7_P12ihipStream_tbENKUlT_T0_SG_SL_E_clIS7_S7_PlSB_EEDaSZ_S10_SG_SL_EUlSZ_E_NS1_11comp_targetILNS1_3genE4ELNS1_11target_archE910ELNS1_3gpuE8ELNS1_3repE0EEENS1_47radix_sort_onesweep_sort_config_static_selectorELNS0_4arch9wavefront6targetE1EEEvSG_.kd
    .uniform_work_group_size: 1
    .uses_dynamic_stack: false
    .vgpr_count:     0
    .vgpr_spill_count: 0
    .wavefront_size: 64
  - .args:
      - .offset:         0
        .size:           88
        .value_kind:     by_value
    .group_segment_fixed_size: 0
    .kernarg_segment_align: 8
    .kernarg_segment_size: 88
    .language:       OpenCL C
    .language_version:
      - 2
      - 0
    .max_flat_workgroup_size: 1024
    .name:           _ZN7rocprim17ROCPRIM_400000_NS6detail17trampoline_kernelINS0_14default_configENS1_35radix_sort_onesweep_config_selectorIhlEEZZNS1_29radix_sort_onesweep_iterationIS3_Lb0EPhS7_N6thrust23THRUST_200600_302600_NS10device_ptrIlEESB_jNS0_19identity_decomposerENS1_16block_id_wrapperIjLb1EEEEE10hipError_tT1_PNSt15iterator_traitsISG_E10value_typeET2_T3_PNSH_ISM_E10value_typeET4_T5_PSR_SS_PNS1_23onesweep_lookback_stateEbbT6_jjT7_P12ihipStream_tbENKUlT_T0_SG_SL_E_clIS7_S7_PlSB_EEDaSZ_S10_SG_SL_EUlSZ_E_NS1_11comp_targetILNS1_3genE3ELNS1_11target_archE908ELNS1_3gpuE7ELNS1_3repE0EEENS1_47radix_sort_onesweep_sort_config_static_selectorELNS0_4arch9wavefront6targetE1EEEvSG_
    .private_segment_fixed_size: 0
    .sgpr_count:     4
    .sgpr_spill_count: 0
    .symbol:         _ZN7rocprim17ROCPRIM_400000_NS6detail17trampoline_kernelINS0_14default_configENS1_35radix_sort_onesweep_config_selectorIhlEEZZNS1_29radix_sort_onesweep_iterationIS3_Lb0EPhS7_N6thrust23THRUST_200600_302600_NS10device_ptrIlEESB_jNS0_19identity_decomposerENS1_16block_id_wrapperIjLb1EEEEE10hipError_tT1_PNSt15iterator_traitsISG_E10value_typeET2_T3_PNSH_ISM_E10value_typeET4_T5_PSR_SS_PNS1_23onesweep_lookback_stateEbbT6_jjT7_P12ihipStream_tbENKUlT_T0_SG_SL_E_clIS7_S7_PlSB_EEDaSZ_S10_SG_SL_EUlSZ_E_NS1_11comp_targetILNS1_3genE3ELNS1_11target_archE908ELNS1_3gpuE7ELNS1_3repE0EEENS1_47radix_sort_onesweep_sort_config_static_selectorELNS0_4arch9wavefront6targetE1EEEvSG_.kd
    .uniform_work_group_size: 1
    .uses_dynamic_stack: false
    .vgpr_count:     0
    .vgpr_spill_count: 0
    .wavefront_size: 64
  - .args:
      - .offset:         0
        .size:           88
        .value_kind:     by_value
    .group_segment_fixed_size: 0
    .kernarg_segment_align: 8
    .kernarg_segment_size: 88
    .language:       OpenCL C
    .language_version:
      - 2
      - 0
    .max_flat_workgroup_size: 1024
    .name:           _ZN7rocprim17ROCPRIM_400000_NS6detail17trampoline_kernelINS0_14default_configENS1_35radix_sort_onesweep_config_selectorIhlEEZZNS1_29radix_sort_onesweep_iterationIS3_Lb0EPhS7_N6thrust23THRUST_200600_302600_NS10device_ptrIlEESB_jNS0_19identity_decomposerENS1_16block_id_wrapperIjLb1EEEEE10hipError_tT1_PNSt15iterator_traitsISG_E10value_typeET2_T3_PNSH_ISM_E10value_typeET4_T5_PSR_SS_PNS1_23onesweep_lookback_stateEbbT6_jjT7_P12ihipStream_tbENKUlT_T0_SG_SL_E_clIS7_S7_PlSB_EEDaSZ_S10_SG_SL_EUlSZ_E_NS1_11comp_targetILNS1_3genE10ELNS1_11target_archE1201ELNS1_3gpuE5ELNS1_3repE0EEENS1_47radix_sort_onesweep_sort_config_static_selectorELNS0_4arch9wavefront6targetE1EEEvSG_
    .private_segment_fixed_size: 0
    .sgpr_count:     4
    .sgpr_spill_count: 0
    .symbol:         _ZN7rocprim17ROCPRIM_400000_NS6detail17trampoline_kernelINS0_14default_configENS1_35radix_sort_onesweep_config_selectorIhlEEZZNS1_29radix_sort_onesweep_iterationIS3_Lb0EPhS7_N6thrust23THRUST_200600_302600_NS10device_ptrIlEESB_jNS0_19identity_decomposerENS1_16block_id_wrapperIjLb1EEEEE10hipError_tT1_PNSt15iterator_traitsISG_E10value_typeET2_T3_PNSH_ISM_E10value_typeET4_T5_PSR_SS_PNS1_23onesweep_lookback_stateEbbT6_jjT7_P12ihipStream_tbENKUlT_T0_SG_SL_E_clIS7_S7_PlSB_EEDaSZ_S10_SG_SL_EUlSZ_E_NS1_11comp_targetILNS1_3genE10ELNS1_11target_archE1201ELNS1_3gpuE5ELNS1_3repE0EEENS1_47radix_sort_onesweep_sort_config_static_selectorELNS0_4arch9wavefront6targetE1EEEvSG_.kd
    .uniform_work_group_size: 1
    .uses_dynamic_stack: false
    .vgpr_count:     0
    .vgpr_spill_count: 0
    .wavefront_size: 64
  - .args:
      - .offset:         0
        .size:           88
        .value_kind:     by_value
    .group_segment_fixed_size: 0
    .kernarg_segment_align: 8
    .kernarg_segment_size: 88
    .language:       OpenCL C
    .language_version:
      - 2
      - 0
    .max_flat_workgroup_size: 1024
    .name:           _ZN7rocprim17ROCPRIM_400000_NS6detail17trampoline_kernelINS0_14default_configENS1_35radix_sort_onesweep_config_selectorIhlEEZZNS1_29radix_sort_onesweep_iterationIS3_Lb0EPhS7_N6thrust23THRUST_200600_302600_NS10device_ptrIlEESB_jNS0_19identity_decomposerENS1_16block_id_wrapperIjLb1EEEEE10hipError_tT1_PNSt15iterator_traitsISG_E10value_typeET2_T3_PNSH_ISM_E10value_typeET4_T5_PSR_SS_PNS1_23onesweep_lookback_stateEbbT6_jjT7_P12ihipStream_tbENKUlT_T0_SG_SL_E_clIS7_S7_PlSB_EEDaSZ_S10_SG_SL_EUlSZ_E_NS1_11comp_targetILNS1_3genE9ELNS1_11target_archE1100ELNS1_3gpuE3ELNS1_3repE0EEENS1_47radix_sort_onesweep_sort_config_static_selectorELNS0_4arch9wavefront6targetE1EEEvSG_
    .private_segment_fixed_size: 0
    .sgpr_count:     4
    .sgpr_spill_count: 0
    .symbol:         _ZN7rocprim17ROCPRIM_400000_NS6detail17trampoline_kernelINS0_14default_configENS1_35radix_sort_onesweep_config_selectorIhlEEZZNS1_29radix_sort_onesweep_iterationIS3_Lb0EPhS7_N6thrust23THRUST_200600_302600_NS10device_ptrIlEESB_jNS0_19identity_decomposerENS1_16block_id_wrapperIjLb1EEEEE10hipError_tT1_PNSt15iterator_traitsISG_E10value_typeET2_T3_PNSH_ISM_E10value_typeET4_T5_PSR_SS_PNS1_23onesweep_lookback_stateEbbT6_jjT7_P12ihipStream_tbENKUlT_T0_SG_SL_E_clIS7_S7_PlSB_EEDaSZ_S10_SG_SL_EUlSZ_E_NS1_11comp_targetILNS1_3genE9ELNS1_11target_archE1100ELNS1_3gpuE3ELNS1_3repE0EEENS1_47radix_sort_onesweep_sort_config_static_selectorELNS0_4arch9wavefront6targetE1EEEvSG_.kd
    .uniform_work_group_size: 1
    .uses_dynamic_stack: false
    .vgpr_count:     0
    .vgpr_spill_count: 0
    .wavefront_size: 64
  - .args:
      - .offset:         0
        .size:           88
        .value_kind:     by_value
    .group_segment_fixed_size: 0
    .kernarg_segment_align: 8
    .kernarg_segment_size: 88
    .language:       OpenCL C
    .language_version:
      - 2
      - 0
    .max_flat_workgroup_size: 1024
    .name:           _ZN7rocprim17ROCPRIM_400000_NS6detail17trampoline_kernelINS0_14default_configENS1_35radix_sort_onesweep_config_selectorIhlEEZZNS1_29radix_sort_onesweep_iterationIS3_Lb0EPhS7_N6thrust23THRUST_200600_302600_NS10device_ptrIlEESB_jNS0_19identity_decomposerENS1_16block_id_wrapperIjLb1EEEEE10hipError_tT1_PNSt15iterator_traitsISG_E10value_typeET2_T3_PNSH_ISM_E10value_typeET4_T5_PSR_SS_PNS1_23onesweep_lookback_stateEbbT6_jjT7_P12ihipStream_tbENKUlT_T0_SG_SL_E_clIS7_S7_PlSB_EEDaSZ_S10_SG_SL_EUlSZ_E_NS1_11comp_targetILNS1_3genE8ELNS1_11target_archE1030ELNS1_3gpuE2ELNS1_3repE0EEENS1_47radix_sort_onesweep_sort_config_static_selectorELNS0_4arch9wavefront6targetE1EEEvSG_
    .private_segment_fixed_size: 0
    .sgpr_count:     4
    .sgpr_spill_count: 0
    .symbol:         _ZN7rocprim17ROCPRIM_400000_NS6detail17trampoline_kernelINS0_14default_configENS1_35radix_sort_onesweep_config_selectorIhlEEZZNS1_29radix_sort_onesweep_iterationIS3_Lb0EPhS7_N6thrust23THRUST_200600_302600_NS10device_ptrIlEESB_jNS0_19identity_decomposerENS1_16block_id_wrapperIjLb1EEEEE10hipError_tT1_PNSt15iterator_traitsISG_E10value_typeET2_T3_PNSH_ISM_E10value_typeET4_T5_PSR_SS_PNS1_23onesweep_lookback_stateEbbT6_jjT7_P12ihipStream_tbENKUlT_T0_SG_SL_E_clIS7_S7_PlSB_EEDaSZ_S10_SG_SL_EUlSZ_E_NS1_11comp_targetILNS1_3genE8ELNS1_11target_archE1030ELNS1_3gpuE2ELNS1_3repE0EEENS1_47radix_sort_onesweep_sort_config_static_selectorELNS0_4arch9wavefront6targetE1EEEvSG_.kd
    .uniform_work_group_size: 1
    .uses_dynamic_stack: false
    .vgpr_count:     0
    .vgpr_spill_count: 0
    .wavefront_size: 64
  - .args:
      - .offset:         0
        .size:           88
        .value_kind:     by_value
    .group_segment_fixed_size: 0
    .kernarg_segment_align: 8
    .kernarg_segment_size: 88
    .language:       OpenCL C
    .language_version:
      - 2
      - 0
    .max_flat_workgroup_size: 1024
    .name:           _ZN7rocprim17ROCPRIM_400000_NS6detail17trampoline_kernelINS0_14default_configENS1_35radix_sort_onesweep_config_selectorIhlEEZZNS1_29radix_sort_onesweep_iterationIS3_Lb0EPhS7_N6thrust23THRUST_200600_302600_NS10device_ptrIlEESB_jNS0_19identity_decomposerENS1_16block_id_wrapperIjLb0EEEEE10hipError_tT1_PNSt15iterator_traitsISG_E10value_typeET2_T3_PNSH_ISM_E10value_typeET4_T5_PSR_SS_PNS1_23onesweep_lookback_stateEbbT6_jjT7_P12ihipStream_tbENKUlT_T0_SG_SL_E_clIS7_S7_SB_SB_EEDaSZ_S10_SG_SL_EUlSZ_E_NS1_11comp_targetILNS1_3genE0ELNS1_11target_archE4294967295ELNS1_3gpuE0ELNS1_3repE0EEENS1_47radix_sort_onesweep_sort_config_static_selectorELNS0_4arch9wavefront6targetE1EEEvSG_
    .private_segment_fixed_size: 0
    .sgpr_count:     4
    .sgpr_spill_count: 0
    .symbol:         _ZN7rocprim17ROCPRIM_400000_NS6detail17trampoline_kernelINS0_14default_configENS1_35radix_sort_onesweep_config_selectorIhlEEZZNS1_29radix_sort_onesweep_iterationIS3_Lb0EPhS7_N6thrust23THRUST_200600_302600_NS10device_ptrIlEESB_jNS0_19identity_decomposerENS1_16block_id_wrapperIjLb0EEEEE10hipError_tT1_PNSt15iterator_traitsISG_E10value_typeET2_T3_PNSH_ISM_E10value_typeET4_T5_PSR_SS_PNS1_23onesweep_lookback_stateEbbT6_jjT7_P12ihipStream_tbENKUlT_T0_SG_SL_E_clIS7_S7_SB_SB_EEDaSZ_S10_SG_SL_EUlSZ_E_NS1_11comp_targetILNS1_3genE0ELNS1_11target_archE4294967295ELNS1_3gpuE0ELNS1_3repE0EEENS1_47radix_sort_onesweep_sort_config_static_selectorELNS0_4arch9wavefront6targetE1EEEvSG_.kd
    .uniform_work_group_size: 1
    .uses_dynamic_stack: false
    .vgpr_count:     0
    .vgpr_spill_count: 0
    .wavefront_size: 64
  - .args:
      - .offset:         0
        .size:           88
        .value_kind:     by_value
    .group_segment_fixed_size: 0
    .kernarg_segment_align: 8
    .kernarg_segment_size: 88
    .language:       OpenCL C
    .language_version:
      - 2
      - 0
    .max_flat_workgroup_size: 1024
    .name:           _ZN7rocprim17ROCPRIM_400000_NS6detail17trampoline_kernelINS0_14default_configENS1_35radix_sort_onesweep_config_selectorIhlEEZZNS1_29radix_sort_onesweep_iterationIS3_Lb0EPhS7_N6thrust23THRUST_200600_302600_NS10device_ptrIlEESB_jNS0_19identity_decomposerENS1_16block_id_wrapperIjLb0EEEEE10hipError_tT1_PNSt15iterator_traitsISG_E10value_typeET2_T3_PNSH_ISM_E10value_typeET4_T5_PSR_SS_PNS1_23onesweep_lookback_stateEbbT6_jjT7_P12ihipStream_tbENKUlT_T0_SG_SL_E_clIS7_S7_SB_SB_EEDaSZ_S10_SG_SL_EUlSZ_E_NS1_11comp_targetILNS1_3genE6ELNS1_11target_archE950ELNS1_3gpuE13ELNS1_3repE0EEENS1_47radix_sort_onesweep_sort_config_static_selectorELNS0_4arch9wavefront6targetE1EEEvSG_
    .private_segment_fixed_size: 0
    .sgpr_count:     4
    .sgpr_spill_count: 0
    .symbol:         _ZN7rocprim17ROCPRIM_400000_NS6detail17trampoline_kernelINS0_14default_configENS1_35radix_sort_onesweep_config_selectorIhlEEZZNS1_29radix_sort_onesweep_iterationIS3_Lb0EPhS7_N6thrust23THRUST_200600_302600_NS10device_ptrIlEESB_jNS0_19identity_decomposerENS1_16block_id_wrapperIjLb0EEEEE10hipError_tT1_PNSt15iterator_traitsISG_E10value_typeET2_T3_PNSH_ISM_E10value_typeET4_T5_PSR_SS_PNS1_23onesweep_lookback_stateEbbT6_jjT7_P12ihipStream_tbENKUlT_T0_SG_SL_E_clIS7_S7_SB_SB_EEDaSZ_S10_SG_SL_EUlSZ_E_NS1_11comp_targetILNS1_3genE6ELNS1_11target_archE950ELNS1_3gpuE13ELNS1_3repE0EEENS1_47radix_sort_onesweep_sort_config_static_selectorELNS0_4arch9wavefront6targetE1EEEvSG_.kd
    .uniform_work_group_size: 1
    .uses_dynamic_stack: false
    .vgpr_count:     0
    .vgpr_spill_count: 0
    .wavefront_size: 64
  - .args:
      - .offset:         0
        .size:           88
        .value_kind:     by_value
    .group_segment_fixed_size: 0
    .kernarg_segment_align: 8
    .kernarg_segment_size: 88
    .language:       OpenCL C
    .language_version:
      - 2
      - 0
    .max_flat_workgroup_size: 1024
    .name:           _ZN7rocprim17ROCPRIM_400000_NS6detail17trampoline_kernelINS0_14default_configENS1_35radix_sort_onesweep_config_selectorIhlEEZZNS1_29radix_sort_onesweep_iterationIS3_Lb0EPhS7_N6thrust23THRUST_200600_302600_NS10device_ptrIlEESB_jNS0_19identity_decomposerENS1_16block_id_wrapperIjLb0EEEEE10hipError_tT1_PNSt15iterator_traitsISG_E10value_typeET2_T3_PNSH_ISM_E10value_typeET4_T5_PSR_SS_PNS1_23onesweep_lookback_stateEbbT6_jjT7_P12ihipStream_tbENKUlT_T0_SG_SL_E_clIS7_S7_SB_SB_EEDaSZ_S10_SG_SL_EUlSZ_E_NS1_11comp_targetILNS1_3genE5ELNS1_11target_archE942ELNS1_3gpuE9ELNS1_3repE0EEENS1_47radix_sort_onesweep_sort_config_static_selectorELNS0_4arch9wavefront6targetE1EEEvSG_
    .private_segment_fixed_size: 0
    .sgpr_count:     4
    .sgpr_spill_count: 0
    .symbol:         _ZN7rocprim17ROCPRIM_400000_NS6detail17trampoline_kernelINS0_14default_configENS1_35radix_sort_onesweep_config_selectorIhlEEZZNS1_29radix_sort_onesweep_iterationIS3_Lb0EPhS7_N6thrust23THRUST_200600_302600_NS10device_ptrIlEESB_jNS0_19identity_decomposerENS1_16block_id_wrapperIjLb0EEEEE10hipError_tT1_PNSt15iterator_traitsISG_E10value_typeET2_T3_PNSH_ISM_E10value_typeET4_T5_PSR_SS_PNS1_23onesweep_lookback_stateEbbT6_jjT7_P12ihipStream_tbENKUlT_T0_SG_SL_E_clIS7_S7_SB_SB_EEDaSZ_S10_SG_SL_EUlSZ_E_NS1_11comp_targetILNS1_3genE5ELNS1_11target_archE942ELNS1_3gpuE9ELNS1_3repE0EEENS1_47radix_sort_onesweep_sort_config_static_selectorELNS0_4arch9wavefront6targetE1EEEvSG_.kd
    .uniform_work_group_size: 1
    .uses_dynamic_stack: false
    .vgpr_count:     0
    .vgpr_spill_count: 0
    .wavefront_size: 64
  - .args:
      - .offset:         0
        .size:           88
        .value_kind:     by_value
      - .offset:         88
        .size:           4
        .value_kind:     hidden_block_count_x
      - .offset:         92
        .size:           4
        .value_kind:     hidden_block_count_y
      - .offset:         96
        .size:           4
        .value_kind:     hidden_block_count_z
      - .offset:         100
        .size:           2
        .value_kind:     hidden_group_size_x
      - .offset:         102
        .size:           2
        .value_kind:     hidden_group_size_y
      - .offset:         104
        .size:           2
        .value_kind:     hidden_group_size_z
      - .offset:         106
        .size:           2
        .value_kind:     hidden_remainder_x
      - .offset:         108
        .size:           2
        .value_kind:     hidden_remainder_y
      - .offset:         110
        .size:           2
        .value_kind:     hidden_remainder_z
      - .offset:         128
        .size:           8
        .value_kind:     hidden_global_offset_x
      - .offset:         136
        .size:           8
        .value_kind:     hidden_global_offset_y
      - .offset:         144
        .size:           8
        .value_kind:     hidden_global_offset_z
      - .offset:         152
        .size:           2
        .value_kind:     hidden_grid_dims
    .group_segment_fixed_size: 10280
    .kernarg_segment_align: 8
    .kernarg_segment_size: 344
    .language:       OpenCL C
    .language_version:
      - 2
      - 0
    .max_flat_workgroup_size: 512
    .name:           _ZN7rocprim17ROCPRIM_400000_NS6detail17trampoline_kernelINS0_14default_configENS1_35radix_sort_onesweep_config_selectorIhlEEZZNS1_29radix_sort_onesweep_iterationIS3_Lb0EPhS7_N6thrust23THRUST_200600_302600_NS10device_ptrIlEESB_jNS0_19identity_decomposerENS1_16block_id_wrapperIjLb0EEEEE10hipError_tT1_PNSt15iterator_traitsISG_E10value_typeET2_T3_PNSH_ISM_E10value_typeET4_T5_PSR_SS_PNS1_23onesweep_lookback_stateEbbT6_jjT7_P12ihipStream_tbENKUlT_T0_SG_SL_E_clIS7_S7_SB_SB_EEDaSZ_S10_SG_SL_EUlSZ_E_NS1_11comp_targetILNS1_3genE2ELNS1_11target_archE906ELNS1_3gpuE6ELNS1_3repE0EEENS1_47radix_sort_onesweep_sort_config_static_selectorELNS0_4arch9wavefront6targetE1EEEvSG_
    .private_segment_fixed_size: 32
    .sgpr_count:     57
    .sgpr_spill_count: 0
    .symbol:         _ZN7rocprim17ROCPRIM_400000_NS6detail17trampoline_kernelINS0_14default_configENS1_35radix_sort_onesweep_config_selectorIhlEEZZNS1_29radix_sort_onesweep_iterationIS3_Lb0EPhS7_N6thrust23THRUST_200600_302600_NS10device_ptrIlEESB_jNS0_19identity_decomposerENS1_16block_id_wrapperIjLb0EEEEE10hipError_tT1_PNSt15iterator_traitsISG_E10value_typeET2_T3_PNSH_ISM_E10value_typeET4_T5_PSR_SS_PNS1_23onesweep_lookback_stateEbbT6_jjT7_P12ihipStream_tbENKUlT_T0_SG_SL_E_clIS7_S7_SB_SB_EEDaSZ_S10_SG_SL_EUlSZ_E_NS1_11comp_targetILNS1_3genE2ELNS1_11target_archE906ELNS1_3gpuE6ELNS1_3repE0EEENS1_47radix_sort_onesweep_sort_config_static_selectorELNS0_4arch9wavefront6targetE1EEEvSG_.kd
    .uniform_work_group_size: 1
    .uses_dynamic_stack: false
    .vgpr_count:     41
    .vgpr_spill_count: 0
    .wavefront_size: 64
  - .args:
      - .offset:         0
        .size:           88
        .value_kind:     by_value
    .group_segment_fixed_size: 0
    .kernarg_segment_align: 8
    .kernarg_segment_size: 88
    .language:       OpenCL C
    .language_version:
      - 2
      - 0
    .max_flat_workgroup_size: 1024
    .name:           _ZN7rocprim17ROCPRIM_400000_NS6detail17trampoline_kernelINS0_14default_configENS1_35radix_sort_onesweep_config_selectorIhlEEZZNS1_29radix_sort_onesweep_iterationIS3_Lb0EPhS7_N6thrust23THRUST_200600_302600_NS10device_ptrIlEESB_jNS0_19identity_decomposerENS1_16block_id_wrapperIjLb0EEEEE10hipError_tT1_PNSt15iterator_traitsISG_E10value_typeET2_T3_PNSH_ISM_E10value_typeET4_T5_PSR_SS_PNS1_23onesweep_lookback_stateEbbT6_jjT7_P12ihipStream_tbENKUlT_T0_SG_SL_E_clIS7_S7_SB_SB_EEDaSZ_S10_SG_SL_EUlSZ_E_NS1_11comp_targetILNS1_3genE4ELNS1_11target_archE910ELNS1_3gpuE8ELNS1_3repE0EEENS1_47radix_sort_onesweep_sort_config_static_selectorELNS0_4arch9wavefront6targetE1EEEvSG_
    .private_segment_fixed_size: 0
    .sgpr_count:     4
    .sgpr_spill_count: 0
    .symbol:         _ZN7rocprim17ROCPRIM_400000_NS6detail17trampoline_kernelINS0_14default_configENS1_35radix_sort_onesweep_config_selectorIhlEEZZNS1_29radix_sort_onesweep_iterationIS3_Lb0EPhS7_N6thrust23THRUST_200600_302600_NS10device_ptrIlEESB_jNS0_19identity_decomposerENS1_16block_id_wrapperIjLb0EEEEE10hipError_tT1_PNSt15iterator_traitsISG_E10value_typeET2_T3_PNSH_ISM_E10value_typeET4_T5_PSR_SS_PNS1_23onesweep_lookback_stateEbbT6_jjT7_P12ihipStream_tbENKUlT_T0_SG_SL_E_clIS7_S7_SB_SB_EEDaSZ_S10_SG_SL_EUlSZ_E_NS1_11comp_targetILNS1_3genE4ELNS1_11target_archE910ELNS1_3gpuE8ELNS1_3repE0EEENS1_47radix_sort_onesweep_sort_config_static_selectorELNS0_4arch9wavefront6targetE1EEEvSG_.kd
    .uniform_work_group_size: 1
    .uses_dynamic_stack: false
    .vgpr_count:     0
    .vgpr_spill_count: 0
    .wavefront_size: 64
  - .args:
      - .offset:         0
        .size:           88
        .value_kind:     by_value
    .group_segment_fixed_size: 0
    .kernarg_segment_align: 8
    .kernarg_segment_size: 88
    .language:       OpenCL C
    .language_version:
      - 2
      - 0
    .max_flat_workgroup_size: 1024
    .name:           _ZN7rocprim17ROCPRIM_400000_NS6detail17trampoline_kernelINS0_14default_configENS1_35radix_sort_onesweep_config_selectorIhlEEZZNS1_29radix_sort_onesweep_iterationIS3_Lb0EPhS7_N6thrust23THRUST_200600_302600_NS10device_ptrIlEESB_jNS0_19identity_decomposerENS1_16block_id_wrapperIjLb0EEEEE10hipError_tT1_PNSt15iterator_traitsISG_E10value_typeET2_T3_PNSH_ISM_E10value_typeET4_T5_PSR_SS_PNS1_23onesweep_lookback_stateEbbT6_jjT7_P12ihipStream_tbENKUlT_T0_SG_SL_E_clIS7_S7_SB_SB_EEDaSZ_S10_SG_SL_EUlSZ_E_NS1_11comp_targetILNS1_3genE3ELNS1_11target_archE908ELNS1_3gpuE7ELNS1_3repE0EEENS1_47radix_sort_onesweep_sort_config_static_selectorELNS0_4arch9wavefront6targetE1EEEvSG_
    .private_segment_fixed_size: 0
    .sgpr_count:     4
    .sgpr_spill_count: 0
    .symbol:         _ZN7rocprim17ROCPRIM_400000_NS6detail17trampoline_kernelINS0_14default_configENS1_35radix_sort_onesweep_config_selectorIhlEEZZNS1_29radix_sort_onesweep_iterationIS3_Lb0EPhS7_N6thrust23THRUST_200600_302600_NS10device_ptrIlEESB_jNS0_19identity_decomposerENS1_16block_id_wrapperIjLb0EEEEE10hipError_tT1_PNSt15iterator_traitsISG_E10value_typeET2_T3_PNSH_ISM_E10value_typeET4_T5_PSR_SS_PNS1_23onesweep_lookback_stateEbbT6_jjT7_P12ihipStream_tbENKUlT_T0_SG_SL_E_clIS7_S7_SB_SB_EEDaSZ_S10_SG_SL_EUlSZ_E_NS1_11comp_targetILNS1_3genE3ELNS1_11target_archE908ELNS1_3gpuE7ELNS1_3repE0EEENS1_47radix_sort_onesweep_sort_config_static_selectorELNS0_4arch9wavefront6targetE1EEEvSG_.kd
    .uniform_work_group_size: 1
    .uses_dynamic_stack: false
    .vgpr_count:     0
    .vgpr_spill_count: 0
    .wavefront_size: 64
  - .args:
      - .offset:         0
        .size:           88
        .value_kind:     by_value
    .group_segment_fixed_size: 0
    .kernarg_segment_align: 8
    .kernarg_segment_size: 88
    .language:       OpenCL C
    .language_version:
      - 2
      - 0
    .max_flat_workgroup_size: 1024
    .name:           _ZN7rocprim17ROCPRIM_400000_NS6detail17trampoline_kernelINS0_14default_configENS1_35radix_sort_onesweep_config_selectorIhlEEZZNS1_29radix_sort_onesweep_iterationIS3_Lb0EPhS7_N6thrust23THRUST_200600_302600_NS10device_ptrIlEESB_jNS0_19identity_decomposerENS1_16block_id_wrapperIjLb0EEEEE10hipError_tT1_PNSt15iterator_traitsISG_E10value_typeET2_T3_PNSH_ISM_E10value_typeET4_T5_PSR_SS_PNS1_23onesweep_lookback_stateEbbT6_jjT7_P12ihipStream_tbENKUlT_T0_SG_SL_E_clIS7_S7_SB_SB_EEDaSZ_S10_SG_SL_EUlSZ_E_NS1_11comp_targetILNS1_3genE10ELNS1_11target_archE1201ELNS1_3gpuE5ELNS1_3repE0EEENS1_47radix_sort_onesweep_sort_config_static_selectorELNS0_4arch9wavefront6targetE1EEEvSG_
    .private_segment_fixed_size: 0
    .sgpr_count:     4
    .sgpr_spill_count: 0
    .symbol:         _ZN7rocprim17ROCPRIM_400000_NS6detail17trampoline_kernelINS0_14default_configENS1_35radix_sort_onesweep_config_selectorIhlEEZZNS1_29radix_sort_onesweep_iterationIS3_Lb0EPhS7_N6thrust23THRUST_200600_302600_NS10device_ptrIlEESB_jNS0_19identity_decomposerENS1_16block_id_wrapperIjLb0EEEEE10hipError_tT1_PNSt15iterator_traitsISG_E10value_typeET2_T3_PNSH_ISM_E10value_typeET4_T5_PSR_SS_PNS1_23onesweep_lookback_stateEbbT6_jjT7_P12ihipStream_tbENKUlT_T0_SG_SL_E_clIS7_S7_SB_SB_EEDaSZ_S10_SG_SL_EUlSZ_E_NS1_11comp_targetILNS1_3genE10ELNS1_11target_archE1201ELNS1_3gpuE5ELNS1_3repE0EEENS1_47radix_sort_onesweep_sort_config_static_selectorELNS0_4arch9wavefront6targetE1EEEvSG_.kd
    .uniform_work_group_size: 1
    .uses_dynamic_stack: false
    .vgpr_count:     0
    .vgpr_spill_count: 0
    .wavefront_size: 64
  - .args:
      - .offset:         0
        .size:           88
        .value_kind:     by_value
    .group_segment_fixed_size: 0
    .kernarg_segment_align: 8
    .kernarg_segment_size: 88
    .language:       OpenCL C
    .language_version:
      - 2
      - 0
    .max_flat_workgroup_size: 1024
    .name:           _ZN7rocprim17ROCPRIM_400000_NS6detail17trampoline_kernelINS0_14default_configENS1_35radix_sort_onesweep_config_selectorIhlEEZZNS1_29radix_sort_onesweep_iterationIS3_Lb0EPhS7_N6thrust23THRUST_200600_302600_NS10device_ptrIlEESB_jNS0_19identity_decomposerENS1_16block_id_wrapperIjLb0EEEEE10hipError_tT1_PNSt15iterator_traitsISG_E10value_typeET2_T3_PNSH_ISM_E10value_typeET4_T5_PSR_SS_PNS1_23onesweep_lookback_stateEbbT6_jjT7_P12ihipStream_tbENKUlT_T0_SG_SL_E_clIS7_S7_SB_SB_EEDaSZ_S10_SG_SL_EUlSZ_E_NS1_11comp_targetILNS1_3genE9ELNS1_11target_archE1100ELNS1_3gpuE3ELNS1_3repE0EEENS1_47radix_sort_onesweep_sort_config_static_selectorELNS0_4arch9wavefront6targetE1EEEvSG_
    .private_segment_fixed_size: 0
    .sgpr_count:     4
    .sgpr_spill_count: 0
    .symbol:         _ZN7rocprim17ROCPRIM_400000_NS6detail17trampoline_kernelINS0_14default_configENS1_35radix_sort_onesweep_config_selectorIhlEEZZNS1_29radix_sort_onesweep_iterationIS3_Lb0EPhS7_N6thrust23THRUST_200600_302600_NS10device_ptrIlEESB_jNS0_19identity_decomposerENS1_16block_id_wrapperIjLb0EEEEE10hipError_tT1_PNSt15iterator_traitsISG_E10value_typeET2_T3_PNSH_ISM_E10value_typeET4_T5_PSR_SS_PNS1_23onesweep_lookback_stateEbbT6_jjT7_P12ihipStream_tbENKUlT_T0_SG_SL_E_clIS7_S7_SB_SB_EEDaSZ_S10_SG_SL_EUlSZ_E_NS1_11comp_targetILNS1_3genE9ELNS1_11target_archE1100ELNS1_3gpuE3ELNS1_3repE0EEENS1_47radix_sort_onesweep_sort_config_static_selectorELNS0_4arch9wavefront6targetE1EEEvSG_.kd
    .uniform_work_group_size: 1
    .uses_dynamic_stack: false
    .vgpr_count:     0
    .vgpr_spill_count: 0
    .wavefront_size: 64
  - .args:
      - .offset:         0
        .size:           88
        .value_kind:     by_value
    .group_segment_fixed_size: 0
    .kernarg_segment_align: 8
    .kernarg_segment_size: 88
    .language:       OpenCL C
    .language_version:
      - 2
      - 0
    .max_flat_workgroup_size: 1024
    .name:           _ZN7rocprim17ROCPRIM_400000_NS6detail17trampoline_kernelINS0_14default_configENS1_35radix_sort_onesweep_config_selectorIhlEEZZNS1_29radix_sort_onesweep_iterationIS3_Lb0EPhS7_N6thrust23THRUST_200600_302600_NS10device_ptrIlEESB_jNS0_19identity_decomposerENS1_16block_id_wrapperIjLb0EEEEE10hipError_tT1_PNSt15iterator_traitsISG_E10value_typeET2_T3_PNSH_ISM_E10value_typeET4_T5_PSR_SS_PNS1_23onesweep_lookback_stateEbbT6_jjT7_P12ihipStream_tbENKUlT_T0_SG_SL_E_clIS7_S7_SB_SB_EEDaSZ_S10_SG_SL_EUlSZ_E_NS1_11comp_targetILNS1_3genE8ELNS1_11target_archE1030ELNS1_3gpuE2ELNS1_3repE0EEENS1_47radix_sort_onesweep_sort_config_static_selectorELNS0_4arch9wavefront6targetE1EEEvSG_
    .private_segment_fixed_size: 0
    .sgpr_count:     4
    .sgpr_spill_count: 0
    .symbol:         _ZN7rocprim17ROCPRIM_400000_NS6detail17trampoline_kernelINS0_14default_configENS1_35radix_sort_onesweep_config_selectorIhlEEZZNS1_29radix_sort_onesweep_iterationIS3_Lb0EPhS7_N6thrust23THRUST_200600_302600_NS10device_ptrIlEESB_jNS0_19identity_decomposerENS1_16block_id_wrapperIjLb0EEEEE10hipError_tT1_PNSt15iterator_traitsISG_E10value_typeET2_T3_PNSH_ISM_E10value_typeET4_T5_PSR_SS_PNS1_23onesweep_lookback_stateEbbT6_jjT7_P12ihipStream_tbENKUlT_T0_SG_SL_E_clIS7_S7_SB_SB_EEDaSZ_S10_SG_SL_EUlSZ_E_NS1_11comp_targetILNS1_3genE8ELNS1_11target_archE1030ELNS1_3gpuE2ELNS1_3repE0EEENS1_47radix_sort_onesweep_sort_config_static_selectorELNS0_4arch9wavefront6targetE1EEEvSG_.kd
    .uniform_work_group_size: 1
    .uses_dynamic_stack: false
    .vgpr_count:     0
    .vgpr_spill_count: 0
    .wavefront_size: 64
  - .args:
      - .offset:         0
        .size:           88
        .value_kind:     by_value
    .group_segment_fixed_size: 0
    .kernarg_segment_align: 8
    .kernarg_segment_size: 88
    .language:       OpenCL C
    .language_version:
      - 2
      - 0
    .max_flat_workgroup_size: 1024
    .name:           _ZN7rocprim17ROCPRIM_400000_NS6detail17trampoline_kernelINS0_14default_configENS1_35radix_sort_onesweep_config_selectorIhlEEZZNS1_29radix_sort_onesweep_iterationIS3_Lb0EPhS7_N6thrust23THRUST_200600_302600_NS10device_ptrIlEESB_jNS0_19identity_decomposerENS1_16block_id_wrapperIjLb0EEEEE10hipError_tT1_PNSt15iterator_traitsISG_E10value_typeET2_T3_PNSH_ISM_E10value_typeET4_T5_PSR_SS_PNS1_23onesweep_lookback_stateEbbT6_jjT7_P12ihipStream_tbENKUlT_T0_SG_SL_E_clIS7_S7_SB_PlEEDaSZ_S10_SG_SL_EUlSZ_E_NS1_11comp_targetILNS1_3genE0ELNS1_11target_archE4294967295ELNS1_3gpuE0ELNS1_3repE0EEENS1_47radix_sort_onesweep_sort_config_static_selectorELNS0_4arch9wavefront6targetE1EEEvSG_
    .private_segment_fixed_size: 0
    .sgpr_count:     4
    .sgpr_spill_count: 0
    .symbol:         _ZN7rocprim17ROCPRIM_400000_NS6detail17trampoline_kernelINS0_14default_configENS1_35radix_sort_onesweep_config_selectorIhlEEZZNS1_29radix_sort_onesweep_iterationIS3_Lb0EPhS7_N6thrust23THRUST_200600_302600_NS10device_ptrIlEESB_jNS0_19identity_decomposerENS1_16block_id_wrapperIjLb0EEEEE10hipError_tT1_PNSt15iterator_traitsISG_E10value_typeET2_T3_PNSH_ISM_E10value_typeET4_T5_PSR_SS_PNS1_23onesweep_lookback_stateEbbT6_jjT7_P12ihipStream_tbENKUlT_T0_SG_SL_E_clIS7_S7_SB_PlEEDaSZ_S10_SG_SL_EUlSZ_E_NS1_11comp_targetILNS1_3genE0ELNS1_11target_archE4294967295ELNS1_3gpuE0ELNS1_3repE0EEENS1_47radix_sort_onesweep_sort_config_static_selectorELNS0_4arch9wavefront6targetE1EEEvSG_.kd
    .uniform_work_group_size: 1
    .uses_dynamic_stack: false
    .vgpr_count:     0
    .vgpr_spill_count: 0
    .wavefront_size: 64
  - .args:
      - .offset:         0
        .size:           88
        .value_kind:     by_value
    .group_segment_fixed_size: 0
    .kernarg_segment_align: 8
    .kernarg_segment_size: 88
    .language:       OpenCL C
    .language_version:
      - 2
      - 0
    .max_flat_workgroup_size: 1024
    .name:           _ZN7rocprim17ROCPRIM_400000_NS6detail17trampoline_kernelINS0_14default_configENS1_35radix_sort_onesweep_config_selectorIhlEEZZNS1_29radix_sort_onesweep_iterationIS3_Lb0EPhS7_N6thrust23THRUST_200600_302600_NS10device_ptrIlEESB_jNS0_19identity_decomposerENS1_16block_id_wrapperIjLb0EEEEE10hipError_tT1_PNSt15iterator_traitsISG_E10value_typeET2_T3_PNSH_ISM_E10value_typeET4_T5_PSR_SS_PNS1_23onesweep_lookback_stateEbbT6_jjT7_P12ihipStream_tbENKUlT_T0_SG_SL_E_clIS7_S7_SB_PlEEDaSZ_S10_SG_SL_EUlSZ_E_NS1_11comp_targetILNS1_3genE6ELNS1_11target_archE950ELNS1_3gpuE13ELNS1_3repE0EEENS1_47radix_sort_onesweep_sort_config_static_selectorELNS0_4arch9wavefront6targetE1EEEvSG_
    .private_segment_fixed_size: 0
    .sgpr_count:     4
    .sgpr_spill_count: 0
    .symbol:         _ZN7rocprim17ROCPRIM_400000_NS6detail17trampoline_kernelINS0_14default_configENS1_35radix_sort_onesweep_config_selectorIhlEEZZNS1_29radix_sort_onesweep_iterationIS3_Lb0EPhS7_N6thrust23THRUST_200600_302600_NS10device_ptrIlEESB_jNS0_19identity_decomposerENS1_16block_id_wrapperIjLb0EEEEE10hipError_tT1_PNSt15iterator_traitsISG_E10value_typeET2_T3_PNSH_ISM_E10value_typeET4_T5_PSR_SS_PNS1_23onesweep_lookback_stateEbbT6_jjT7_P12ihipStream_tbENKUlT_T0_SG_SL_E_clIS7_S7_SB_PlEEDaSZ_S10_SG_SL_EUlSZ_E_NS1_11comp_targetILNS1_3genE6ELNS1_11target_archE950ELNS1_3gpuE13ELNS1_3repE0EEENS1_47radix_sort_onesweep_sort_config_static_selectorELNS0_4arch9wavefront6targetE1EEEvSG_.kd
    .uniform_work_group_size: 1
    .uses_dynamic_stack: false
    .vgpr_count:     0
    .vgpr_spill_count: 0
    .wavefront_size: 64
  - .args:
      - .offset:         0
        .size:           88
        .value_kind:     by_value
    .group_segment_fixed_size: 0
    .kernarg_segment_align: 8
    .kernarg_segment_size: 88
    .language:       OpenCL C
    .language_version:
      - 2
      - 0
    .max_flat_workgroup_size: 1024
    .name:           _ZN7rocprim17ROCPRIM_400000_NS6detail17trampoline_kernelINS0_14default_configENS1_35radix_sort_onesweep_config_selectorIhlEEZZNS1_29radix_sort_onesweep_iterationIS3_Lb0EPhS7_N6thrust23THRUST_200600_302600_NS10device_ptrIlEESB_jNS0_19identity_decomposerENS1_16block_id_wrapperIjLb0EEEEE10hipError_tT1_PNSt15iterator_traitsISG_E10value_typeET2_T3_PNSH_ISM_E10value_typeET4_T5_PSR_SS_PNS1_23onesweep_lookback_stateEbbT6_jjT7_P12ihipStream_tbENKUlT_T0_SG_SL_E_clIS7_S7_SB_PlEEDaSZ_S10_SG_SL_EUlSZ_E_NS1_11comp_targetILNS1_3genE5ELNS1_11target_archE942ELNS1_3gpuE9ELNS1_3repE0EEENS1_47radix_sort_onesweep_sort_config_static_selectorELNS0_4arch9wavefront6targetE1EEEvSG_
    .private_segment_fixed_size: 0
    .sgpr_count:     4
    .sgpr_spill_count: 0
    .symbol:         _ZN7rocprim17ROCPRIM_400000_NS6detail17trampoline_kernelINS0_14default_configENS1_35radix_sort_onesweep_config_selectorIhlEEZZNS1_29radix_sort_onesweep_iterationIS3_Lb0EPhS7_N6thrust23THRUST_200600_302600_NS10device_ptrIlEESB_jNS0_19identity_decomposerENS1_16block_id_wrapperIjLb0EEEEE10hipError_tT1_PNSt15iterator_traitsISG_E10value_typeET2_T3_PNSH_ISM_E10value_typeET4_T5_PSR_SS_PNS1_23onesweep_lookback_stateEbbT6_jjT7_P12ihipStream_tbENKUlT_T0_SG_SL_E_clIS7_S7_SB_PlEEDaSZ_S10_SG_SL_EUlSZ_E_NS1_11comp_targetILNS1_3genE5ELNS1_11target_archE942ELNS1_3gpuE9ELNS1_3repE0EEENS1_47radix_sort_onesweep_sort_config_static_selectorELNS0_4arch9wavefront6targetE1EEEvSG_.kd
    .uniform_work_group_size: 1
    .uses_dynamic_stack: false
    .vgpr_count:     0
    .vgpr_spill_count: 0
    .wavefront_size: 64
  - .args:
      - .offset:         0
        .size:           88
        .value_kind:     by_value
      - .offset:         88
        .size:           4
        .value_kind:     hidden_block_count_x
      - .offset:         92
        .size:           4
        .value_kind:     hidden_block_count_y
      - .offset:         96
        .size:           4
        .value_kind:     hidden_block_count_z
      - .offset:         100
        .size:           2
        .value_kind:     hidden_group_size_x
      - .offset:         102
        .size:           2
        .value_kind:     hidden_group_size_y
      - .offset:         104
        .size:           2
        .value_kind:     hidden_group_size_z
      - .offset:         106
        .size:           2
        .value_kind:     hidden_remainder_x
      - .offset:         108
        .size:           2
        .value_kind:     hidden_remainder_y
      - .offset:         110
        .size:           2
        .value_kind:     hidden_remainder_z
      - .offset:         128
        .size:           8
        .value_kind:     hidden_global_offset_x
      - .offset:         136
        .size:           8
        .value_kind:     hidden_global_offset_y
      - .offset:         144
        .size:           8
        .value_kind:     hidden_global_offset_z
      - .offset:         152
        .size:           2
        .value_kind:     hidden_grid_dims
    .group_segment_fixed_size: 10280
    .kernarg_segment_align: 8
    .kernarg_segment_size: 344
    .language:       OpenCL C
    .language_version:
      - 2
      - 0
    .max_flat_workgroup_size: 512
    .name:           _ZN7rocprim17ROCPRIM_400000_NS6detail17trampoline_kernelINS0_14default_configENS1_35radix_sort_onesweep_config_selectorIhlEEZZNS1_29radix_sort_onesweep_iterationIS3_Lb0EPhS7_N6thrust23THRUST_200600_302600_NS10device_ptrIlEESB_jNS0_19identity_decomposerENS1_16block_id_wrapperIjLb0EEEEE10hipError_tT1_PNSt15iterator_traitsISG_E10value_typeET2_T3_PNSH_ISM_E10value_typeET4_T5_PSR_SS_PNS1_23onesweep_lookback_stateEbbT6_jjT7_P12ihipStream_tbENKUlT_T0_SG_SL_E_clIS7_S7_SB_PlEEDaSZ_S10_SG_SL_EUlSZ_E_NS1_11comp_targetILNS1_3genE2ELNS1_11target_archE906ELNS1_3gpuE6ELNS1_3repE0EEENS1_47radix_sort_onesweep_sort_config_static_selectorELNS0_4arch9wavefront6targetE1EEEvSG_
    .private_segment_fixed_size: 32
    .sgpr_count:     57
    .sgpr_spill_count: 0
    .symbol:         _ZN7rocprim17ROCPRIM_400000_NS6detail17trampoline_kernelINS0_14default_configENS1_35radix_sort_onesweep_config_selectorIhlEEZZNS1_29radix_sort_onesweep_iterationIS3_Lb0EPhS7_N6thrust23THRUST_200600_302600_NS10device_ptrIlEESB_jNS0_19identity_decomposerENS1_16block_id_wrapperIjLb0EEEEE10hipError_tT1_PNSt15iterator_traitsISG_E10value_typeET2_T3_PNSH_ISM_E10value_typeET4_T5_PSR_SS_PNS1_23onesweep_lookback_stateEbbT6_jjT7_P12ihipStream_tbENKUlT_T0_SG_SL_E_clIS7_S7_SB_PlEEDaSZ_S10_SG_SL_EUlSZ_E_NS1_11comp_targetILNS1_3genE2ELNS1_11target_archE906ELNS1_3gpuE6ELNS1_3repE0EEENS1_47radix_sort_onesweep_sort_config_static_selectorELNS0_4arch9wavefront6targetE1EEEvSG_.kd
    .uniform_work_group_size: 1
    .uses_dynamic_stack: false
    .vgpr_count:     41
    .vgpr_spill_count: 0
    .wavefront_size: 64
  - .args:
      - .offset:         0
        .size:           88
        .value_kind:     by_value
    .group_segment_fixed_size: 0
    .kernarg_segment_align: 8
    .kernarg_segment_size: 88
    .language:       OpenCL C
    .language_version:
      - 2
      - 0
    .max_flat_workgroup_size: 1024
    .name:           _ZN7rocprim17ROCPRIM_400000_NS6detail17trampoline_kernelINS0_14default_configENS1_35radix_sort_onesweep_config_selectorIhlEEZZNS1_29radix_sort_onesweep_iterationIS3_Lb0EPhS7_N6thrust23THRUST_200600_302600_NS10device_ptrIlEESB_jNS0_19identity_decomposerENS1_16block_id_wrapperIjLb0EEEEE10hipError_tT1_PNSt15iterator_traitsISG_E10value_typeET2_T3_PNSH_ISM_E10value_typeET4_T5_PSR_SS_PNS1_23onesweep_lookback_stateEbbT6_jjT7_P12ihipStream_tbENKUlT_T0_SG_SL_E_clIS7_S7_SB_PlEEDaSZ_S10_SG_SL_EUlSZ_E_NS1_11comp_targetILNS1_3genE4ELNS1_11target_archE910ELNS1_3gpuE8ELNS1_3repE0EEENS1_47radix_sort_onesweep_sort_config_static_selectorELNS0_4arch9wavefront6targetE1EEEvSG_
    .private_segment_fixed_size: 0
    .sgpr_count:     4
    .sgpr_spill_count: 0
    .symbol:         _ZN7rocprim17ROCPRIM_400000_NS6detail17trampoline_kernelINS0_14default_configENS1_35radix_sort_onesweep_config_selectorIhlEEZZNS1_29radix_sort_onesweep_iterationIS3_Lb0EPhS7_N6thrust23THRUST_200600_302600_NS10device_ptrIlEESB_jNS0_19identity_decomposerENS1_16block_id_wrapperIjLb0EEEEE10hipError_tT1_PNSt15iterator_traitsISG_E10value_typeET2_T3_PNSH_ISM_E10value_typeET4_T5_PSR_SS_PNS1_23onesweep_lookback_stateEbbT6_jjT7_P12ihipStream_tbENKUlT_T0_SG_SL_E_clIS7_S7_SB_PlEEDaSZ_S10_SG_SL_EUlSZ_E_NS1_11comp_targetILNS1_3genE4ELNS1_11target_archE910ELNS1_3gpuE8ELNS1_3repE0EEENS1_47radix_sort_onesweep_sort_config_static_selectorELNS0_4arch9wavefront6targetE1EEEvSG_.kd
    .uniform_work_group_size: 1
    .uses_dynamic_stack: false
    .vgpr_count:     0
    .vgpr_spill_count: 0
    .wavefront_size: 64
  - .args:
      - .offset:         0
        .size:           88
        .value_kind:     by_value
    .group_segment_fixed_size: 0
    .kernarg_segment_align: 8
    .kernarg_segment_size: 88
    .language:       OpenCL C
    .language_version:
      - 2
      - 0
    .max_flat_workgroup_size: 1024
    .name:           _ZN7rocprim17ROCPRIM_400000_NS6detail17trampoline_kernelINS0_14default_configENS1_35radix_sort_onesweep_config_selectorIhlEEZZNS1_29radix_sort_onesweep_iterationIS3_Lb0EPhS7_N6thrust23THRUST_200600_302600_NS10device_ptrIlEESB_jNS0_19identity_decomposerENS1_16block_id_wrapperIjLb0EEEEE10hipError_tT1_PNSt15iterator_traitsISG_E10value_typeET2_T3_PNSH_ISM_E10value_typeET4_T5_PSR_SS_PNS1_23onesweep_lookback_stateEbbT6_jjT7_P12ihipStream_tbENKUlT_T0_SG_SL_E_clIS7_S7_SB_PlEEDaSZ_S10_SG_SL_EUlSZ_E_NS1_11comp_targetILNS1_3genE3ELNS1_11target_archE908ELNS1_3gpuE7ELNS1_3repE0EEENS1_47radix_sort_onesweep_sort_config_static_selectorELNS0_4arch9wavefront6targetE1EEEvSG_
    .private_segment_fixed_size: 0
    .sgpr_count:     4
    .sgpr_spill_count: 0
    .symbol:         _ZN7rocprim17ROCPRIM_400000_NS6detail17trampoline_kernelINS0_14default_configENS1_35radix_sort_onesweep_config_selectorIhlEEZZNS1_29radix_sort_onesweep_iterationIS3_Lb0EPhS7_N6thrust23THRUST_200600_302600_NS10device_ptrIlEESB_jNS0_19identity_decomposerENS1_16block_id_wrapperIjLb0EEEEE10hipError_tT1_PNSt15iterator_traitsISG_E10value_typeET2_T3_PNSH_ISM_E10value_typeET4_T5_PSR_SS_PNS1_23onesweep_lookback_stateEbbT6_jjT7_P12ihipStream_tbENKUlT_T0_SG_SL_E_clIS7_S7_SB_PlEEDaSZ_S10_SG_SL_EUlSZ_E_NS1_11comp_targetILNS1_3genE3ELNS1_11target_archE908ELNS1_3gpuE7ELNS1_3repE0EEENS1_47radix_sort_onesweep_sort_config_static_selectorELNS0_4arch9wavefront6targetE1EEEvSG_.kd
    .uniform_work_group_size: 1
    .uses_dynamic_stack: false
    .vgpr_count:     0
    .vgpr_spill_count: 0
    .wavefront_size: 64
  - .args:
      - .offset:         0
        .size:           88
        .value_kind:     by_value
    .group_segment_fixed_size: 0
    .kernarg_segment_align: 8
    .kernarg_segment_size: 88
    .language:       OpenCL C
    .language_version:
      - 2
      - 0
    .max_flat_workgroup_size: 1024
    .name:           _ZN7rocprim17ROCPRIM_400000_NS6detail17trampoline_kernelINS0_14default_configENS1_35radix_sort_onesweep_config_selectorIhlEEZZNS1_29radix_sort_onesweep_iterationIS3_Lb0EPhS7_N6thrust23THRUST_200600_302600_NS10device_ptrIlEESB_jNS0_19identity_decomposerENS1_16block_id_wrapperIjLb0EEEEE10hipError_tT1_PNSt15iterator_traitsISG_E10value_typeET2_T3_PNSH_ISM_E10value_typeET4_T5_PSR_SS_PNS1_23onesweep_lookback_stateEbbT6_jjT7_P12ihipStream_tbENKUlT_T0_SG_SL_E_clIS7_S7_SB_PlEEDaSZ_S10_SG_SL_EUlSZ_E_NS1_11comp_targetILNS1_3genE10ELNS1_11target_archE1201ELNS1_3gpuE5ELNS1_3repE0EEENS1_47radix_sort_onesweep_sort_config_static_selectorELNS0_4arch9wavefront6targetE1EEEvSG_
    .private_segment_fixed_size: 0
    .sgpr_count:     4
    .sgpr_spill_count: 0
    .symbol:         _ZN7rocprim17ROCPRIM_400000_NS6detail17trampoline_kernelINS0_14default_configENS1_35radix_sort_onesweep_config_selectorIhlEEZZNS1_29radix_sort_onesweep_iterationIS3_Lb0EPhS7_N6thrust23THRUST_200600_302600_NS10device_ptrIlEESB_jNS0_19identity_decomposerENS1_16block_id_wrapperIjLb0EEEEE10hipError_tT1_PNSt15iterator_traitsISG_E10value_typeET2_T3_PNSH_ISM_E10value_typeET4_T5_PSR_SS_PNS1_23onesweep_lookback_stateEbbT6_jjT7_P12ihipStream_tbENKUlT_T0_SG_SL_E_clIS7_S7_SB_PlEEDaSZ_S10_SG_SL_EUlSZ_E_NS1_11comp_targetILNS1_3genE10ELNS1_11target_archE1201ELNS1_3gpuE5ELNS1_3repE0EEENS1_47radix_sort_onesweep_sort_config_static_selectorELNS0_4arch9wavefront6targetE1EEEvSG_.kd
    .uniform_work_group_size: 1
    .uses_dynamic_stack: false
    .vgpr_count:     0
    .vgpr_spill_count: 0
    .wavefront_size: 64
  - .args:
      - .offset:         0
        .size:           88
        .value_kind:     by_value
    .group_segment_fixed_size: 0
    .kernarg_segment_align: 8
    .kernarg_segment_size: 88
    .language:       OpenCL C
    .language_version:
      - 2
      - 0
    .max_flat_workgroup_size: 1024
    .name:           _ZN7rocprim17ROCPRIM_400000_NS6detail17trampoline_kernelINS0_14default_configENS1_35radix_sort_onesweep_config_selectorIhlEEZZNS1_29radix_sort_onesweep_iterationIS3_Lb0EPhS7_N6thrust23THRUST_200600_302600_NS10device_ptrIlEESB_jNS0_19identity_decomposerENS1_16block_id_wrapperIjLb0EEEEE10hipError_tT1_PNSt15iterator_traitsISG_E10value_typeET2_T3_PNSH_ISM_E10value_typeET4_T5_PSR_SS_PNS1_23onesweep_lookback_stateEbbT6_jjT7_P12ihipStream_tbENKUlT_T0_SG_SL_E_clIS7_S7_SB_PlEEDaSZ_S10_SG_SL_EUlSZ_E_NS1_11comp_targetILNS1_3genE9ELNS1_11target_archE1100ELNS1_3gpuE3ELNS1_3repE0EEENS1_47radix_sort_onesweep_sort_config_static_selectorELNS0_4arch9wavefront6targetE1EEEvSG_
    .private_segment_fixed_size: 0
    .sgpr_count:     4
    .sgpr_spill_count: 0
    .symbol:         _ZN7rocprim17ROCPRIM_400000_NS6detail17trampoline_kernelINS0_14default_configENS1_35radix_sort_onesweep_config_selectorIhlEEZZNS1_29radix_sort_onesweep_iterationIS3_Lb0EPhS7_N6thrust23THRUST_200600_302600_NS10device_ptrIlEESB_jNS0_19identity_decomposerENS1_16block_id_wrapperIjLb0EEEEE10hipError_tT1_PNSt15iterator_traitsISG_E10value_typeET2_T3_PNSH_ISM_E10value_typeET4_T5_PSR_SS_PNS1_23onesweep_lookback_stateEbbT6_jjT7_P12ihipStream_tbENKUlT_T0_SG_SL_E_clIS7_S7_SB_PlEEDaSZ_S10_SG_SL_EUlSZ_E_NS1_11comp_targetILNS1_3genE9ELNS1_11target_archE1100ELNS1_3gpuE3ELNS1_3repE0EEENS1_47radix_sort_onesweep_sort_config_static_selectorELNS0_4arch9wavefront6targetE1EEEvSG_.kd
    .uniform_work_group_size: 1
    .uses_dynamic_stack: false
    .vgpr_count:     0
    .vgpr_spill_count: 0
    .wavefront_size: 64
  - .args:
      - .offset:         0
        .size:           88
        .value_kind:     by_value
    .group_segment_fixed_size: 0
    .kernarg_segment_align: 8
    .kernarg_segment_size: 88
    .language:       OpenCL C
    .language_version:
      - 2
      - 0
    .max_flat_workgroup_size: 1024
    .name:           _ZN7rocprim17ROCPRIM_400000_NS6detail17trampoline_kernelINS0_14default_configENS1_35radix_sort_onesweep_config_selectorIhlEEZZNS1_29radix_sort_onesweep_iterationIS3_Lb0EPhS7_N6thrust23THRUST_200600_302600_NS10device_ptrIlEESB_jNS0_19identity_decomposerENS1_16block_id_wrapperIjLb0EEEEE10hipError_tT1_PNSt15iterator_traitsISG_E10value_typeET2_T3_PNSH_ISM_E10value_typeET4_T5_PSR_SS_PNS1_23onesweep_lookback_stateEbbT6_jjT7_P12ihipStream_tbENKUlT_T0_SG_SL_E_clIS7_S7_SB_PlEEDaSZ_S10_SG_SL_EUlSZ_E_NS1_11comp_targetILNS1_3genE8ELNS1_11target_archE1030ELNS1_3gpuE2ELNS1_3repE0EEENS1_47radix_sort_onesweep_sort_config_static_selectorELNS0_4arch9wavefront6targetE1EEEvSG_
    .private_segment_fixed_size: 0
    .sgpr_count:     4
    .sgpr_spill_count: 0
    .symbol:         _ZN7rocprim17ROCPRIM_400000_NS6detail17trampoline_kernelINS0_14default_configENS1_35radix_sort_onesweep_config_selectorIhlEEZZNS1_29radix_sort_onesweep_iterationIS3_Lb0EPhS7_N6thrust23THRUST_200600_302600_NS10device_ptrIlEESB_jNS0_19identity_decomposerENS1_16block_id_wrapperIjLb0EEEEE10hipError_tT1_PNSt15iterator_traitsISG_E10value_typeET2_T3_PNSH_ISM_E10value_typeET4_T5_PSR_SS_PNS1_23onesweep_lookback_stateEbbT6_jjT7_P12ihipStream_tbENKUlT_T0_SG_SL_E_clIS7_S7_SB_PlEEDaSZ_S10_SG_SL_EUlSZ_E_NS1_11comp_targetILNS1_3genE8ELNS1_11target_archE1030ELNS1_3gpuE2ELNS1_3repE0EEENS1_47radix_sort_onesweep_sort_config_static_selectorELNS0_4arch9wavefront6targetE1EEEvSG_.kd
    .uniform_work_group_size: 1
    .uses_dynamic_stack: false
    .vgpr_count:     0
    .vgpr_spill_count: 0
    .wavefront_size: 64
  - .args:
      - .offset:         0
        .size:           88
        .value_kind:     by_value
    .group_segment_fixed_size: 0
    .kernarg_segment_align: 8
    .kernarg_segment_size: 88
    .language:       OpenCL C
    .language_version:
      - 2
      - 0
    .max_flat_workgroup_size: 1024
    .name:           _ZN7rocprim17ROCPRIM_400000_NS6detail17trampoline_kernelINS0_14default_configENS1_35radix_sort_onesweep_config_selectorIhlEEZZNS1_29radix_sort_onesweep_iterationIS3_Lb0EPhS7_N6thrust23THRUST_200600_302600_NS10device_ptrIlEESB_jNS0_19identity_decomposerENS1_16block_id_wrapperIjLb0EEEEE10hipError_tT1_PNSt15iterator_traitsISG_E10value_typeET2_T3_PNSH_ISM_E10value_typeET4_T5_PSR_SS_PNS1_23onesweep_lookback_stateEbbT6_jjT7_P12ihipStream_tbENKUlT_T0_SG_SL_E_clIS7_S7_PlSB_EEDaSZ_S10_SG_SL_EUlSZ_E_NS1_11comp_targetILNS1_3genE0ELNS1_11target_archE4294967295ELNS1_3gpuE0ELNS1_3repE0EEENS1_47radix_sort_onesweep_sort_config_static_selectorELNS0_4arch9wavefront6targetE1EEEvSG_
    .private_segment_fixed_size: 0
    .sgpr_count:     4
    .sgpr_spill_count: 0
    .symbol:         _ZN7rocprim17ROCPRIM_400000_NS6detail17trampoline_kernelINS0_14default_configENS1_35radix_sort_onesweep_config_selectorIhlEEZZNS1_29radix_sort_onesweep_iterationIS3_Lb0EPhS7_N6thrust23THRUST_200600_302600_NS10device_ptrIlEESB_jNS0_19identity_decomposerENS1_16block_id_wrapperIjLb0EEEEE10hipError_tT1_PNSt15iterator_traitsISG_E10value_typeET2_T3_PNSH_ISM_E10value_typeET4_T5_PSR_SS_PNS1_23onesweep_lookback_stateEbbT6_jjT7_P12ihipStream_tbENKUlT_T0_SG_SL_E_clIS7_S7_PlSB_EEDaSZ_S10_SG_SL_EUlSZ_E_NS1_11comp_targetILNS1_3genE0ELNS1_11target_archE4294967295ELNS1_3gpuE0ELNS1_3repE0EEENS1_47radix_sort_onesweep_sort_config_static_selectorELNS0_4arch9wavefront6targetE1EEEvSG_.kd
    .uniform_work_group_size: 1
    .uses_dynamic_stack: false
    .vgpr_count:     0
    .vgpr_spill_count: 0
    .wavefront_size: 64
  - .args:
      - .offset:         0
        .size:           88
        .value_kind:     by_value
    .group_segment_fixed_size: 0
    .kernarg_segment_align: 8
    .kernarg_segment_size: 88
    .language:       OpenCL C
    .language_version:
      - 2
      - 0
    .max_flat_workgroup_size: 1024
    .name:           _ZN7rocprim17ROCPRIM_400000_NS6detail17trampoline_kernelINS0_14default_configENS1_35radix_sort_onesweep_config_selectorIhlEEZZNS1_29radix_sort_onesweep_iterationIS3_Lb0EPhS7_N6thrust23THRUST_200600_302600_NS10device_ptrIlEESB_jNS0_19identity_decomposerENS1_16block_id_wrapperIjLb0EEEEE10hipError_tT1_PNSt15iterator_traitsISG_E10value_typeET2_T3_PNSH_ISM_E10value_typeET4_T5_PSR_SS_PNS1_23onesweep_lookback_stateEbbT6_jjT7_P12ihipStream_tbENKUlT_T0_SG_SL_E_clIS7_S7_PlSB_EEDaSZ_S10_SG_SL_EUlSZ_E_NS1_11comp_targetILNS1_3genE6ELNS1_11target_archE950ELNS1_3gpuE13ELNS1_3repE0EEENS1_47radix_sort_onesweep_sort_config_static_selectorELNS0_4arch9wavefront6targetE1EEEvSG_
    .private_segment_fixed_size: 0
    .sgpr_count:     4
    .sgpr_spill_count: 0
    .symbol:         _ZN7rocprim17ROCPRIM_400000_NS6detail17trampoline_kernelINS0_14default_configENS1_35radix_sort_onesweep_config_selectorIhlEEZZNS1_29radix_sort_onesweep_iterationIS3_Lb0EPhS7_N6thrust23THRUST_200600_302600_NS10device_ptrIlEESB_jNS0_19identity_decomposerENS1_16block_id_wrapperIjLb0EEEEE10hipError_tT1_PNSt15iterator_traitsISG_E10value_typeET2_T3_PNSH_ISM_E10value_typeET4_T5_PSR_SS_PNS1_23onesweep_lookback_stateEbbT6_jjT7_P12ihipStream_tbENKUlT_T0_SG_SL_E_clIS7_S7_PlSB_EEDaSZ_S10_SG_SL_EUlSZ_E_NS1_11comp_targetILNS1_3genE6ELNS1_11target_archE950ELNS1_3gpuE13ELNS1_3repE0EEENS1_47radix_sort_onesweep_sort_config_static_selectorELNS0_4arch9wavefront6targetE1EEEvSG_.kd
    .uniform_work_group_size: 1
    .uses_dynamic_stack: false
    .vgpr_count:     0
    .vgpr_spill_count: 0
    .wavefront_size: 64
  - .args:
      - .offset:         0
        .size:           88
        .value_kind:     by_value
    .group_segment_fixed_size: 0
    .kernarg_segment_align: 8
    .kernarg_segment_size: 88
    .language:       OpenCL C
    .language_version:
      - 2
      - 0
    .max_flat_workgroup_size: 1024
    .name:           _ZN7rocprim17ROCPRIM_400000_NS6detail17trampoline_kernelINS0_14default_configENS1_35radix_sort_onesweep_config_selectorIhlEEZZNS1_29radix_sort_onesweep_iterationIS3_Lb0EPhS7_N6thrust23THRUST_200600_302600_NS10device_ptrIlEESB_jNS0_19identity_decomposerENS1_16block_id_wrapperIjLb0EEEEE10hipError_tT1_PNSt15iterator_traitsISG_E10value_typeET2_T3_PNSH_ISM_E10value_typeET4_T5_PSR_SS_PNS1_23onesweep_lookback_stateEbbT6_jjT7_P12ihipStream_tbENKUlT_T0_SG_SL_E_clIS7_S7_PlSB_EEDaSZ_S10_SG_SL_EUlSZ_E_NS1_11comp_targetILNS1_3genE5ELNS1_11target_archE942ELNS1_3gpuE9ELNS1_3repE0EEENS1_47radix_sort_onesweep_sort_config_static_selectorELNS0_4arch9wavefront6targetE1EEEvSG_
    .private_segment_fixed_size: 0
    .sgpr_count:     4
    .sgpr_spill_count: 0
    .symbol:         _ZN7rocprim17ROCPRIM_400000_NS6detail17trampoline_kernelINS0_14default_configENS1_35radix_sort_onesweep_config_selectorIhlEEZZNS1_29radix_sort_onesweep_iterationIS3_Lb0EPhS7_N6thrust23THRUST_200600_302600_NS10device_ptrIlEESB_jNS0_19identity_decomposerENS1_16block_id_wrapperIjLb0EEEEE10hipError_tT1_PNSt15iterator_traitsISG_E10value_typeET2_T3_PNSH_ISM_E10value_typeET4_T5_PSR_SS_PNS1_23onesweep_lookback_stateEbbT6_jjT7_P12ihipStream_tbENKUlT_T0_SG_SL_E_clIS7_S7_PlSB_EEDaSZ_S10_SG_SL_EUlSZ_E_NS1_11comp_targetILNS1_3genE5ELNS1_11target_archE942ELNS1_3gpuE9ELNS1_3repE0EEENS1_47radix_sort_onesweep_sort_config_static_selectorELNS0_4arch9wavefront6targetE1EEEvSG_.kd
    .uniform_work_group_size: 1
    .uses_dynamic_stack: false
    .vgpr_count:     0
    .vgpr_spill_count: 0
    .wavefront_size: 64
  - .args:
      - .offset:         0
        .size:           88
        .value_kind:     by_value
      - .offset:         88
        .size:           4
        .value_kind:     hidden_block_count_x
      - .offset:         92
        .size:           4
        .value_kind:     hidden_block_count_y
      - .offset:         96
        .size:           4
        .value_kind:     hidden_block_count_z
      - .offset:         100
        .size:           2
        .value_kind:     hidden_group_size_x
      - .offset:         102
        .size:           2
        .value_kind:     hidden_group_size_y
      - .offset:         104
        .size:           2
        .value_kind:     hidden_group_size_z
      - .offset:         106
        .size:           2
        .value_kind:     hidden_remainder_x
      - .offset:         108
        .size:           2
        .value_kind:     hidden_remainder_y
      - .offset:         110
        .size:           2
        .value_kind:     hidden_remainder_z
      - .offset:         128
        .size:           8
        .value_kind:     hidden_global_offset_x
      - .offset:         136
        .size:           8
        .value_kind:     hidden_global_offset_y
      - .offset:         144
        .size:           8
        .value_kind:     hidden_global_offset_z
      - .offset:         152
        .size:           2
        .value_kind:     hidden_grid_dims
    .group_segment_fixed_size: 10280
    .kernarg_segment_align: 8
    .kernarg_segment_size: 344
    .language:       OpenCL C
    .language_version:
      - 2
      - 0
    .max_flat_workgroup_size: 512
    .name:           _ZN7rocprim17ROCPRIM_400000_NS6detail17trampoline_kernelINS0_14default_configENS1_35radix_sort_onesweep_config_selectorIhlEEZZNS1_29radix_sort_onesweep_iterationIS3_Lb0EPhS7_N6thrust23THRUST_200600_302600_NS10device_ptrIlEESB_jNS0_19identity_decomposerENS1_16block_id_wrapperIjLb0EEEEE10hipError_tT1_PNSt15iterator_traitsISG_E10value_typeET2_T3_PNSH_ISM_E10value_typeET4_T5_PSR_SS_PNS1_23onesweep_lookback_stateEbbT6_jjT7_P12ihipStream_tbENKUlT_T0_SG_SL_E_clIS7_S7_PlSB_EEDaSZ_S10_SG_SL_EUlSZ_E_NS1_11comp_targetILNS1_3genE2ELNS1_11target_archE906ELNS1_3gpuE6ELNS1_3repE0EEENS1_47radix_sort_onesweep_sort_config_static_selectorELNS0_4arch9wavefront6targetE1EEEvSG_
    .private_segment_fixed_size: 32
    .sgpr_count:     57
    .sgpr_spill_count: 0
    .symbol:         _ZN7rocprim17ROCPRIM_400000_NS6detail17trampoline_kernelINS0_14default_configENS1_35radix_sort_onesweep_config_selectorIhlEEZZNS1_29radix_sort_onesweep_iterationIS3_Lb0EPhS7_N6thrust23THRUST_200600_302600_NS10device_ptrIlEESB_jNS0_19identity_decomposerENS1_16block_id_wrapperIjLb0EEEEE10hipError_tT1_PNSt15iterator_traitsISG_E10value_typeET2_T3_PNSH_ISM_E10value_typeET4_T5_PSR_SS_PNS1_23onesweep_lookback_stateEbbT6_jjT7_P12ihipStream_tbENKUlT_T0_SG_SL_E_clIS7_S7_PlSB_EEDaSZ_S10_SG_SL_EUlSZ_E_NS1_11comp_targetILNS1_3genE2ELNS1_11target_archE906ELNS1_3gpuE6ELNS1_3repE0EEENS1_47radix_sort_onesweep_sort_config_static_selectorELNS0_4arch9wavefront6targetE1EEEvSG_.kd
    .uniform_work_group_size: 1
    .uses_dynamic_stack: false
    .vgpr_count:     41
    .vgpr_spill_count: 0
    .wavefront_size: 64
  - .args:
      - .offset:         0
        .size:           88
        .value_kind:     by_value
    .group_segment_fixed_size: 0
    .kernarg_segment_align: 8
    .kernarg_segment_size: 88
    .language:       OpenCL C
    .language_version:
      - 2
      - 0
    .max_flat_workgroup_size: 1024
    .name:           _ZN7rocprim17ROCPRIM_400000_NS6detail17trampoline_kernelINS0_14default_configENS1_35radix_sort_onesweep_config_selectorIhlEEZZNS1_29radix_sort_onesweep_iterationIS3_Lb0EPhS7_N6thrust23THRUST_200600_302600_NS10device_ptrIlEESB_jNS0_19identity_decomposerENS1_16block_id_wrapperIjLb0EEEEE10hipError_tT1_PNSt15iterator_traitsISG_E10value_typeET2_T3_PNSH_ISM_E10value_typeET4_T5_PSR_SS_PNS1_23onesweep_lookback_stateEbbT6_jjT7_P12ihipStream_tbENKUlT_T0_SG_SL_E_clIS7_S7_PlSB_EEDaSZ_S10_SG_SL_EUlSZ_E_NS1_11comp_targetILNS1_3genE4ELNS1_11target_archE910ELNS1_3gpuE8ELNS1_3repE0EEENS1_47radix_sort_onesweep_sort_config_static_selectorELNS0_4arch9wavefront6targetE1EEEvSG_
    .private_segment_fixed_size: 0
    .sgpr_count:     4
    .sgpr_spill_count: 0
    .symbol:         _ZN7rocprim17ROCPRIM_400000_NS6detail17trampoline_kernelINS0_14default_configENS1_35radix_sort_onesweep_config_selectorIhlEEZZNS1_29radix_sort_onesweep_iterationIS3_Lb0EPhS7_N6thrust23THRUST_200600_302600_NS10device_ptrIlEESB_jNS0_19identity_decomposerENS1_16block_id_wrapperIjLb0EEEEE10hipError_tT1_PNSt15iterator_traitsISG_E10value_typeET2_T3_PNSH_ISM_E10value_typeET4_T5_PSR_SS_PNS1_23onesweep_lookback_stateEbbT6_jjT7_P12ihipStream_tbENKUlT_T0_SG_SL_E_clIS7_S7_PlSB_EEDaSZ_S10_SG_SL_EUlSZ_E_NS1_11comp_targetILNS1_3genE4ELNS1_11target_archE910ELNS1_3gpuE8ELNS1_3repE0EEENS1_47radix_sort_onesweep_sort_config_static_selectorELNS0_4arch9wavefront6targetE1EEEvSG_.kd
    .uniform_work_group_size: 1
    .uses_dynamic_stack: false
    .vgpr_count:     0
    .vgpr_spill_count: 0
    .wavefront_size: 64
  - .args:
      - .offset:         0
        .size:           88
        .value_kind:     by_value
    .group_segment_fixed_size: 0
    .kernarg_segment_align: 8
    .kernarg_segment_size: 88
    .language:       OpenCL C
    .language_version:
      - 2
      - 0
    .max_flat_workgroup_size: 1024
    .name:           _ZN7rocprim17ROCPRIM_400000_NS6detail17trampoline_kernelINS0_14default_configENS1_35radix_sort_onesweep_config_selectorIhlEEZZNS1_29radix_sort_onesweep_iterationIS3_Lb0EPhS7_N6thrust23THRUST_200600_302600_NS10device_ptrIlEESB_jNS0_19identity_decomposerENS1_16block_id_wrapperIjLb0EEEEE10hipError_tT1_PNSt15iterator_traitsISG_E10value_typeET2_T3_PNSH_ISM_E10value_typeET4_T5_PSR_SS_PNS1_23onesweep_lookback_stateEbbT6_jjT7_P12ihipStream_tbENKUlT_T0_SG_SL_E_clIS7_S7_PlSB_EEDaSZ_S10_SG_SL_EUlSZ_E_NS1_11comp_targetILNS1_3genE3ELNS1_11target_archE908ELNS1_3gpuE7ELNS1_3repE0EEENS1_47radix_sort_onesweep_sort_config_static_selectorELNS0_4arch9wavefront6targetE1EEEvSG_
    .private_segment_fixed_size: 0
    .sgpr_count:     4
    .sgpr_spill_count: 0
    .symbol:         _ZN7rocprim17ROCPRIM_400000_NS6detail17trampoline_kernelINS0_14default_configENS1_35radix_sort_onesweep_config_selectorIhlEEZZNS1_29radix_sort_onesweep_iterationIS3_Lb0EPhS7_N6thrust23THRUST_200600_302600_NS10device_ptrIlEESB_jNS0_19identity_decomposerENS1_16block_id_wrapperIjLb0EEEEE10hipError_tT1_PNSt15iterator_traitsISG_E10value_typeET2_T3_PNSH_ISM_E10value_typeET4_T5_PSR_SS_PNS1_23onesweep_lookback_stateEbbT6_jjT7_P12ihipStream_tbENKUlT_T0_SG_SL_E_clIS7_S7_PlSB_EEDaSZ_S10_SG_SL_EUlSZ_E_NS1_11comp_targetILNS1_3genE3ELNS1_11target_archE908ELNS1_3gpuE7ELNS1_3repE0EEENS1_47radix_sort_onesweep_sort_config_static_selectorELNS0_4arch9wavefront6targetE1EEEvSG_.kd
    .uniform_work_group_size: 1
    .uses_dynamic_stack: false
    .vgpr_count:     0
    .vgpr_spill_count: 0
    .wavefront_size: 64
  - .args:
      - .offset:         0
        .size:           88
        .value_kind:     by_value
    .group_segment_fixed_size: 0
    .kernarg_segment_align: 8
    .kernarg_segment_size: 88
    .language:       OpenCL C
    .language_version:
      - 2
      - 0
    .max_flat_workgroup_size: 1024
    .name:           _ZN7rocprim17ROCPRIM_400000_NS6detail17trampoline_kernelINS0_14default_configENS1_35radix_sort_onesweep_config_selectorIhlEEZZNS1_29radix_sort_onesweep_iterationIS3_Lb0EPhS7_N6thrust23THRUST_200600_302600_NS10device_ptrIlEESB_jNS0_19identity_decomposerENS1_16block_id_wrapperIjLb0EEEEE10hipError_tT1_PNSt15iterator_traitsISG_E10value_typeET2_T3_PNSH_ISM_E10value_typeET4_T5_PSR_SS_PNS1_23onesweep_lookback_stateEbbT6_jjT7_P12ihipStream_tbENKUlT_T0_SG_SL_E_clIS7_S7_PlSB_EEDaSZ_S10_SG_SL_EUlSZ_E_NS1_11comp_targetILNS1_3genE10ELNS1_11target_archE1201ELNS1_3gpuE5ELNS1_3repE0EEENS1_47radix_sort_onesweep_sort_config_static_selectorELNS0_4arch9wavefront6targetE1EEEvSG_
    .private_segment_fixed_size: 0
    .sgpr_count:     4
    .sgpr_spill_count: 0
    .symbol:         _ZN7rocprim17ROCPRIM_400000_NS6detail17trampoline_kernelINS0_14default_configENS1_35radix_sort_onesweep_config_selectorIhlEEZZNS1_29radix_sort_onesweep_iterationIS3_Lb0EPhS7_N6thrust23THRUST_200600_302600_NS10device_ptrIlEESB_jNS0_19identity_decomposerENS1_16block_id_wrapperIjLb0EEEEE10hipError_tT1_PNSt15iterator_traitsISG_E10value_typeET2_T3_PNSH_ISM_E10value_typeET4_T5_PSR_SS_PNS1_23onesweep_lookback_stateEbbT6_jjT7_P12ihipStream_tbENKUlT_T0_SG_SL_E_clIS7_S7_PlSB_EEDaSZ_S10_SG_SL_EUlSZ_E_NS1_11comp_targetILNS1_3genE10ELNS1_11target_archE1201ELNS1_3gpuE5ELNS1_3repE0EEENS1_47radix_sort_onesweep_sort_config_static_selectorELNS0_4arch9wavefront6targetE1EEEvSG_.kd
    .uniform_work_group_size: 1
    .uses_dynamic_stack: false
    .vgpr_count:     0
    .vgpr_spill_count: 0
    .wavefront_size: 64
  - .args:
      - .offset:         0
        .size:           88
        .value_kind:     by_value
    .group_segment_fixed_size: 0
    .kernarg_segment_align: 8
    .kernarg_segment_size: 88
    .language:       OpenCL C
    .language_version:
      - 2
      - 0
    .max_flat_workgroup_size: 1024
    .name:           _ZN7rocprim17ROCPRIM_400000_NS6detail17trampoline_kernelINS0_14default_configENS1_35radix_sort_onesweep_config_selectorIhlEEZZNS1_29radix_sort_onesweep_iterationIS3_Lb0EPhS7_N6thrust23THRUST_200600_302600_NS10device_ptrIlEESB_jNS0_19identity_decomposerENS1_16block_id_wrapperIjLb0EEEEE10hipError_tT1_PNSt15iterator_traitsISG_E10value_typeET2_T3_PNSH_ISM_E10value_typeET4_T5_PSR_SS_PNS1_23onesweep_lookback_stateEbbT6_jjT7_P12ihipStream_tbENKUlT_T0_SG_SL_E_clIS7_S7_PlSB_EEDaSZ_S10_SG_SL_EUlSZ_E_NS1_11comp_targetILNS1_3genE9ELNS1_11target_archE1100ELNS1_3gpuE3ELNS1_3repE0EEENS1_47radix_sort_onesweep_sort_config_static_selectorELNS0_4arch9wavefront6targetE1EEEvSG_
    .private_segment_fixed_size: 0
    .sgpr_count:     4
    .sgpr_spill_count: 0
    .symbol:         _ZN7rocprim17ROCPRIM_400000_NS6detail17trampoline_kernelINS0_14default_configENS1_35radix_sort_onesweep_config_selectorIhlEEZZNS1_29radix_sort_onesweep_iterationIS3_Lb0EPhS7_N6thrust23THRUST_200600_302600_NS10device_ptrIlEESB_jNS0_19identity_decomposerENS1_16block_id_wrapperIjLb0EEEEE10hipError_tT1_PNSt15iterator_traitsISG_E10value_typeET2_T3_PNSH_ISM_E10value_typeET4_T5_PSR_SS_PNS1_23onesweep_lookback_stateEbbT6_jjT7_P12ihipStream_tbENKUlT_T0_SG_SL_E_clIS7_S7_PlSB_EEDaSZ_S10_SG_SL_EUlSZ_E_NS1_11comp_targetILNS1_3genE9ELNS1_11target_archE1100ELNS1_3gpuE3ELNS1_3repE0EEENS1_47radix_sort_onesweep_sort_config_static_selectorELNS0_4arch9wavefront6targetE1EEEvSG_.kd
    .uniform_work_group_size: 1
    .uses_dynamic_stack: false
    .vgpr_count:     0
    .vgpr_spill_count: 0
    .wavefront_size: 64
  - .args:
      - .offset:         0
        .size:           88
        .value_kind:     by_value
    .group_segment_fixed_size: 0
    .kernarg_segment_align: 8
    .kernarg_segment_size: 88
    .language:       OpenCL C
    .language_version:
      - 2
      - 0
    .max_flat_workgroup_size: 1024
    .name:           _ZN7rocprim17ROCPRIM_400000_NS6detail17trampoline_kernelINS0_14default_configENS1_35radix_sort_onesweep_config_selectorIhlEEZZNS1_29radix_sort_onesweep_iterationIS3_Lb0EPhS7_N6thrust23THRUST_200600_302600_NS10device_ptrIlEESB_jNS0_19identity_decomposerENS1_16block_id_wrapperIjLb0EEEEE10hipError_tT1_PNSt15iterator_traitsISG_E10value_typeET2_T3_PNSH_ISM_E10value_typeET4_T5_PSR_SS_PNS1_23onesweep_lookback_stateEbbT6_jjT7_P12ihipStream_tbENKUlT_T0_SG_SL_E_clIS7_S7_PlSB_EEDaSZ_S10_SG_SL_EUlSZ_E_NS1_11comp_targetILNS1_3genE8ELNS1_11target_archE1030ELNS1_3gpuE2ELNS1_3repE0EEENS1_47radix_sort_onesweep_sort_config_static_selectorELNS0_4arch9wavefront6targetE1EEEvSG_
    .private_segment_fixed_size: 0
    .sgpr_count:     4
    .sgpr_spill_count: 0
    .symbol:         _ZN7rocprim17ROCPRIM_400000_NS6detail17trampoline_kernelINS0_14default_configENS1_35radix_sort_onesweep_config_selectorIhlEEZZNS1_29radix_sort_onesweep_iterationIS3_Lb0EPhS7_N6thrust23THRUST_200600_302600_NS10device_ptrIlEESB_jNS0_19identity_decomposerENS1_16block_id_wrapperIjLb0EEEEE10hipError_tT1_PNSt15iterator_traitsISG_E10value_typeET2_T3_PNSH_ISM_E10value_typeET4_T5_PSR_SS_PNS1_23onesweep_lookback_stateEbbT6_jjT7_P12ihipStream_tbENKUlT_T0_SG_SL_E_clIS7_S7_PlSB_EEDaSZ_S10_SG_SL_EUlSZ_E_NS1_11comp_targetILNS1_3genE8ELNS1_11target_archE1030ELNS1_3gpuE2ELNS1_3repE0EEENS1_47radix_sort_onesweep_sort_config_static_selectorELNS0_4arch9wavefront6targetE1EEEvSG_.kd
    .uniform_work_group_size: 1
    .uses_dynamic_stack: false
    .vgpr_count:     0
    .vgpr_spill_count: 0
    .wavefront_size: 64
  - .args:
      - .offset:         0
        .size:           56
        .value_kind:     by_value
    .group_segment_fixed_size: 0
    .kernarg_segment_align: 8
    .kernarg_segment_size: 56
    .language:       OpenCL C
    .language_version:
      - 2
      - 0
    .max_flat_workgroup_size: 256
    .name:           _ZN7rocprim17ROCPRIM_400000_NS6detail17trampoline_kernelINS0_14default_configENS1_22reduce_config_selectorIiEEZNS1_11reduce_implILb1ES3_PiS7_iN6thrust23THRUST_200600_302600_NS4plusIiEEEE10hipError_tPvRmT1_T2_T3_mT4_P12ihipStream_tbEUlT_E0_NS1_11comp_targetILNS1_3genE0ELNS1_11target_archE4294967295ELNS1_3gpuE0ELNS1_3repE0EEENS1_30default_config_static_selectorELNS0_4arch9wavefront6targetE1EEEvSF_
    .private_segment_fixed_size: 0
    .sgpr_count:     4
    .sgpr_spill_count: 0
    .symbol:         _ZN7rocprim17ROCPRIM_400000_NS6detail17trampoline_kernelINS0_14default_configENS1_22reduce_config_selectorIiEEZNS1_11reduce_implILb1ES3_PiS7_iN6thrust23THRUST_200600_302600_NS4plusIiEEEE10hipError_tPvRmT1_T2_T3_mT4_P12ihipStream_tbEUlT_E0_NS1_11comp_targetILNS1_3genE0ELNS1_11target_archE4294967295ELNS1_3gpuE0ELNS1_3repE0EEENS1_30default_config_static_selectorELNS0_4arch9wavefront6targetE1EEEvSF_.kd
    .uniform_work_group_size: 1
    .uses_dynamic_stack: false
    .vgpr_count:     0
    .vgpr_spill_count: 0
    .wavefront_size: 64
  - .args:
      - .offset:         0
        .size:           56
        .value_kind:     by_value
    .group_segment_fixed_size: 0
    .kernarg_segment_align: 8
    .kernarg_segment_size: 56
    .language:       OpenCL C
    .language_version:
      - 2
      - 0
    .max_flat_workgroup_size: 256
    .name:           _ZN7rocprim17ROCPRIM_400000_NS6detail17trampoline_kernelINS0_14default_configENS1_22reduce_config_selectorIiEEZNS1_11reduce_implILb1ES3_PiS7_iN6thrust23THRUST_200600_302600_NS4plusIiEEEE10hipError_tPvRmT1_T2_T3_mT4_P12ihipStream_tbEUlT_E0_NS1_11comp_targetILNS1_3genE5ELNS1_11target_archE942ELNS1_3gpuE9ELNS1_3repE0EEENS1_30default_config_static_selectorELNS0_4arch9wavefront6targetE1EEEvSF_
    .private_segment_fixed_size: 0
    .sgpr_count:     4
    .sgpr_spill_count: 0
    .symbol:         _ZN7rocprim17ROCPRIM_400000_NS6detail17trampoline_kernelINS0_14default_configENS1_22reduce_config_selectorIiEEZNS1_11reduce_implILb1ES3_PiS7_iN6thrust23THRUST_200600_302600_NS4plusIiEEEE10hipError_tPvRmT1_T2_T3_mT4_P12ihipStream_tbEUlT_E0_NS1_11comp_targetILNS1_3genE5ELNS1_11target_archE942ELNS1_3gpuE9ELNS1_3repE0EEENS1_30default_config_static_selectorELNS0_4arch9wavefront6targetE1EEEvSF_.kd
    .uniform_work_group_size: 1
    .uses_dynamic_stack: false
    .vgpr_count:     0
    .vgpr_spill_count: 0
    .wavefront_size: 64
  - .args:
      - .offset:         0
        .size:           56
        .value_kind:     by_value
    .group_segment_fixed_size: 0
    .kernarg_segment_align: 8
    .kernarg_segment_size: 56
    .language:       OpenCL C
    .language_version:
      - 2
      - 0
    .max_flat_workgroup_size: 128
    .name:           _ZN7rocprim17ROCPRIM_400000_NS6detail17trampoline_kernelINS0_14default_configENS1_22reduce_config_selectorIiEEZNS1_11reduce_implILb1ES3_PiS7_iN6thrust23THRUST_200600_302600_NS4plusIiEEEE10hipError_tPvRmT1_T2_T3_mT4_P12ihipStream_tbEUlT_E0_NS1_11comp_targetILNS1_3genE4ELNS1_11target_archE910ELNS1_3gpuE8ELNS1_3repE0EEENS1_30default_config_static_selectorELNS0_4arch9wavefront6targetE1EEEvSF_
    .private_segment_fixed_size: 0
    .sgpr_count:     4
    .sgpr_spill_count: 0
    .symbol:         _ZN7rocprim17ROCPRIM_400000_NS6detail17trampoline_kernelINS0_14default_configENS1_22reduce_config_selectorIiEEZNS1_11reduce_implILb1ES3_PiS7_iN6thrust23THRUST_200600_302600_NS4plusIiEEEE10hipError_tPvRmT1_T2_T3_mT4_P12ihipStream_tbEUlT_E0_NS1_11comp_targetILNS1_3genE4ELNS1_11target_archE910ELNS1_3gpuE8ELNS1_3repE0EEENS1_30default_config_static_selectorELNS0_4arch9wavefront6targetE1EEEvSF_.kd
    .uniform_work_group_size: 1
    .uses_dynamic_stack: false
    .vgpr_count:     0
    .vgpr_spill_count: 0
    .wavefront_size: 64
  - .args:
      - .offset:         0
        .size:           56
        .value_kind:     by_value
    .group_segment_fixed_size: 0
    .kernarg_segment_align: 8
    .kernarg_segment_size: 56
    .language:       OpenCL C
    .language_version:
      - 2
      - 0
    .max_flat_workgroup_size: 256
    .name:           _ZN7rocprim17ROCPRIM_400000_NS6detail17trampoline_kernelINS0_14default_configENS1_22reduce_config_selectorIiEEZNS1_11reduce_implILb1ES3_PiS7_iN6thrust23THRUST_200600_302600_NS4plusIiEEEE10hipError_tPvRmT1_T2_T3_mT4_P12ihipStream_tbEUlT_E0_NS1_11comp_targetILNS1_3genE3ELNS1_11target_archE908ELNS1_3gpuE7ELNS1_3repE0EEENS1_30default_config_static_selectorELNS0_4arch9wavefront6targetE1EEEvSF_
    .private_segment_fixed_size: 0
    .sgpr_count:     4
    .sgpr_spill_count: 0
    .symbol:         _ZN7rocprim17ROCPRIM_400000_NS6detail17trampoline_kernelINS0_14default_configENS1_22reduce_config_selectorIiEEZNS1_11reduce_implILb1ES3_PiS7_iN6thrust23THRUST_200600_302600_NS4plusIiEEEE10hipError_tPvRmT1_T2_T3_mT4_P12ihipStream_tbEUlT_E0_NS1_11comp_targetILNS1_3genE3ELNS1_11target_archE908ELNS1_3gpuE7ELNS1_3repE0EEENS1_30default_config_static_selectorELNS0_4arch9wavefront6targetE1EEEvSF_.kd
    .uniform_work_group_size: 1
    .uses_dynamic_stack: false
    .vgpr_count:     0
    .vgpr_spill_count: 0
    .wavefront_size: 64
  - .args:
      - .offset:         0
        .size:           56
        .value_kind:     by_value
    .group_segment_fixed_size: 32
    .kernarg_segment_align: 8
    .kernarg_segment_size: 56
    .language:       OpenCL C
    .language_version:
      - 2
      - 0
    .max_flat_workgroup_size: 256
    .name:           _ZN7rocprim17ROCPRIM_400000_NS6detail17trampoline_kernelINS0_14default_configENS1_22reduce_config_selectorIiEEZNS1_11reduce_implILb1ES3_PiS7_iN6thrust23THRUST_200600_302600_NS4plusIiEEEE10hipError_tPvRmT1_T2_T3_mT4_P12ihipStream_tbEUlT_E0_NS1_11comp_targetILNS1_3genE2ELNS1_11target_archE906ELNS1_3gpuE6ELNS1_3repE0EEENS1_30default_config_static_selectorELNS0_4arch9wavefront6targetE1EEEvSF_
    .private_segment_fixed_size: 0
    .sgpr_count:     24
    .sgpr_spill_count: 0
    .symbol:         _ZN7rocprim17ROCPRIM_400000_NS6detail17trampoline_kernelINS0_14default_configENS1_22reduce_config_selectorIiEEZNS1_11reduce_implILb1ES3_PiS7_iN6thrust23THRUST_200600_302600_NS4plusIiEEEE10hipError_tPvRmT1_T2_T3_mT4_P12ihipStream_tbEUlT_E0_NS1_11comp_targetILNS1_3genE2ELNS1_11target_archE906ELNS1_3gpuE6ELNS1_3repE0EEENS1_30default_config_static_selectorELNS0_4arch9wavefront6targetE1EEEvSF_.kd
    .uniform_work_group_size: 1
    .uses_dynamic_stack: false
    .vgpr_count:     11
    .vgpr_spill_count: 0
    .wavefront_size: 64
  - .args:
      - .offset:         0
        .size:           56
        .value_kind:     by_value
    .group_segment_fixed_size: 0
    .kernarg_segment_align: 8
    .kernarg_segment_size: 56
    .language:       OpenCL C
    .language_version:
      - 2
      - 0
    .max_flat_workgroup_size: 256
    .name:           _ZN7rocprim17ROCPRIM_400000_NS6detail17trampoline_kernelINS0_14default_configENS1_22reduce_config_selectorIiEEZNS1_11reduce_implILb1ES3_PiS7_iN6thrust23THRUST_200600_302600_NS4plusIiEEEE10hipError_tPvRmT1_T2_T3_mT4_P12ihipStream_tbEUlT_E0_NS1_11comp_targetILNS1_3genE10ELNS1_11target_archE1201ELNS1_3gpuE5ELNS1_3repE0EEENS1_30default_config_static_selectorELNS0_4arch9wavefront6targetE1EEEvSF_
    .private_segment_fixed_size: 0
    .sgpr_count:     4
    .sgpr_spill_count: 0
    .symbol:         _ZN7rocprim17ROCPRIM_400000_NS6detail17trampoline_kernelINS0_14default_configENS1_22reduce_config_selectorIiEEZNS1_11reduce_implILb1ES3_PiS7_iN6thrust23THRUST_200600_302600_NS4plusIiEEEE10hipError_tPvRmT1_T2_T3_mT4_P12ihipStream_tbEUlT_E0_NS1_11comp_targetILNS1_3genE10ELNS1_11target_archE1201ELNS1_3gpuE5ELNS1_3repE0EEENS1_30default_config_static_selectorELNS0_4arch9wavefront6targetE1EEEvSF_.kd
    .uniform_work_group_size: 1
    .uses_dynamic_stack: false
    .vgpr_count:     0
    .vgpr_spill_count: 0
    .wavefront_size: 64
  - .args:
      - .offset:         0
        .size:           56
        .value_kind:     by_value
    .group_segment_fixed_size: 0
    .kernarg_segment_align: 8
    .kernarg_segment_size: 56
    .language:       OpenCL C
    .language_version:
      - 2
      - 0
    .max_flat_workgroup_size: 256
    .name:           _ZN7rocprim17ROCPRIM_400000_NS6detail17trampoline_kernelINS0_14default_configENS1_22reduce_config_selectorIiEEZNS1_11reduce_implILb1ES3_PiS7_iN6thrust23THRUST_200600_302600_NS4plusIiEEEE10hipError_tPvRmT1_T2_T3_mT4_P12ihipStream_tbEUlT_E0_NS1_11comp_targetILNS1_3genE10ELNS1_11target_archE1200ELNS1_3gpuE4ELNS1_3repE0EEENS1_30default_config_static_selectorELNS0_4arch9wavefront6targetE1EEEvSF_
    .private_segment_fixed_size: 0
    .sgpr_count:     4
    .sgpr_spill_count: 0
    .symbol:         _ZN7rocprim17ROCPRIM_400000_NS6detail17trampoline_kernelINS0_14default_configENS1_22reduce_config_selectorIiEEZNS1_11reduce_implILb1ES3_PiS7_iN6thrust23THRUST_200600_302600_NS4plusIiEEEE10hipError_tPvRmT1_T2_T3_mT4_P12ihipStream_tbEUlT_E0_NS1_11comp_targetILNS1_3genE10ELNS1_11target_archE1200ELNS1_3gpuE4ELNS1_3repE0EEENS1_30default_config_static_selectorELNS0_4arch9wavefront6targetE1EEEvSF_.kd
    .uniform_work_group_size: 1
    .uses_dynamic_stack: false
    .vgpr_count:     0
    .vgpr_spill_count: 0
    .wavefront_size: 64
  - .args:
      - .offset:         0
        .size:           56
        .value_kind:     by_value
    .group_segment_fixed_size: 0
    .kernarg_segment_align: 8
    .kernarg_segment_size: 56
    .language:       OpenCL C
    .language_version:
      - 2
      - 0
    .max_flat_workgroup_size: 256
    .name:           _ZN7rocprim17ROCPRIM_400000_NS6detail17trampoline_kernelINS0_14default_configENS1_22reduce_config_selectorIiEEZNS1_11reduce_implILb1ES3_PiS7_iN6thrust23THRUST_200600_302600_NS4plusIiEEEE10hipError_tPvRmT1_T2_T3_mT4_P12ihipStream_tbEUlT_E0_NS1_11comp_targetILNS1_3genE9ELNS1_11target_archE1100ELNS1_3gpuE3ELNS1_3repE0EEENS1_30default_config_static_selectorELNS0_4arch9wavefront6targetE1EEEvSF_
    .private_segment_fixed_size: 0
    .sgpr_count:     4
    .sgpr_spill_count: 0
    .symbol:         _ZN7rocprim17ROCPRIM_400000_NS6detail17trampoline_kernelINS0_14default_configENS1_22reduce_config_selectorIiEEZNS1_11reduce_implILb1ES3_PiS7_iN6thrust23THRUST_200600_302600_NS4plusIiEEEE10hipError_tPvRmT1_T2_T3_mT4_P12ihipStream_tbEUlT_E0_NS1_11comp_targetILNS1_3genE9ELNS1_11target_archE1100ELNS1_3gpuE3ELNS1_3repE0EEENS1_30default_config_static_selectorELNS0_4arch9wavefront6targetE1EEEvSF_.kd
    .uniform_work_group_size: 1
    .uses_dynamic_stack: false
    .vgpr_count:     0
    .vgpr_spill_count: 0
    .wavefront_size: 64
  - .args:
      - .offset:         0
        .size:           56
        .value_kind:     by_value
    .group_segment_fixed_size: 0
    .kernarg_segment_align: 8
    .kernarg_segment_size: 56
    .language:       OpenCL C
    .language_version:
      - 2
      - 0
    .max_flat_workgroup_size: 256
    .name:           _ZN7rocprim17ROCPRIM_400000_NS6detail17trampoline_kernelINS0_14default_configENS1_22reduce_config_selectorIiEEZNS1_11reduce_implILb1ES3_PiS7_iN6thrust23THRUST_200600_302600_NS4plusIiEEEE10hipError_tPvRmT1_T2_T3_mT4_P12ihipStream_tbEUlT_E0_NS1_11comp_targetILNS1_3genE8ELNS1_11target_archE1030ELNS1_3gpuE2ELNS1_3repE0EEENS1_30default_config_static_selectorELNS0_4arch9wavefront6targetE1EEEvSF_
    .private_segment_fixed_size: 0
    .sgpr_count:     4
    .sgpr_spill_count: 0
    .symbol:         _ZN7rocprim17ROCPRIM_400000_NS6detail17trampoline_kernelINS0_14default_configENS1_22reduce_config_selectorIiEEZNS1_11reduce_implILb1ES3_PiS7_iN6thrust23THRUST_200600_302600_NS4plusIiEEEE10hipError_tPvRmT1_T2_T3_mT4_P12ihipStream_tbEUlT_E0_NS1_11comp_targetILNS1_3genE8ELNS1_11target_archE1030ELNS1_3gpuE2ELNS1_3repE0EEENS1_30default_config_static_selectorELNS0_4arch9wavefront6targetE1EEEvSF_.kd
    .uniform_work_group_size: 1
    .uses_dynamic_stack: false
    .vgpr_count:     0
    .vgpr_spill_count: 0
    .wavefront_size: 64
  - .args:
      - .offset:         0
        .size:           40
        .value_kind:     by_value
    .group_segment_fixed_size: 0
    .kernarg_segment_align: 8
    .kernarg_segment_size: 40
    .language:       OpenCL C
    .language_version:
      - 2
      - 0
    .max_flat_workgroup_size: 256
    .name:           _ZN7rocprim17ROCPRIM_400000_NS6detail17trampoline_kernelINS0_14default_configENS1_22reduce_config_selectorIiEEZNS1_11reduce_implILb1ES3_PiS7_iN6thrust23THRUST_200600_302600_NS4plusIiEEEE10hipError_tPvRmT1_T2_T3_mT4_P12ihipStream_tbEUlT_E1_NS1_11comp_targetILNS1_3genE0ELNS1_11target_archE4294967295ELNS1_3gpuE0ELNS1_3repE0EEENS1_30default_config_static_selectorELNS0_4arch9wavefront6targetE1EEEvSF_
    .private_segment_fixed_size: 0
    .sgpr_count:     4
    .sgpr_spill_count: 0
    .symbol:         _ZN7rocprim17ROCPRIM_400000_NS6detail17trampoline_kernelINS0_14default_configENS1_22reduce_config_selectorIiEEZNS1_11reduce_implILb1ES3_PiS7_iN6thrust23THRUST_200600_302600_NS4plusIiEEEE10hipError_tPvRmT1_T2_T3_mT4_P12ihipStream_tbEUlT_E1_NS1_11comp_targetILNS1_3genE0ELNS1_11target_archE4294967295ELNS1_3gpuE0ELNS1_3repE0EEENS1_30default_config_static_selectorELNS0_4arch9wavefront6targetE1EEEvSF_.kd
    .uniform_work_group_size: 1
    .uses_dynamic_stack: false
    .vgpr_count:     0
    .vgpr_spill_count: 0
    .wavefront_size: 64
  - .args:
      - .offset:         0
        .size:           40
        .value_kind:     by_value
    .group_segment_fixed_size: 0
    .kernarg_segment_align: 8
    .kernarg_segment_size: 40
    .language:       OpenCL C
    .language_version:
      - 2
      - 0
    .max_flat_workgroup_size: 256
    .name:           _ZN7rocprim17ROCPRIM_400000_NS6detail17trampoline_kernelINS0_14default_configENS1_22reduce_config_selectorIiEEZNS1_11reduce_implILb1ES3_PiS7_iN6thrust23THRUST_200600_302600_NS4plusIiEEEE10hipError_tPvRmT1_T2_T3_mT4_P12ihipStream_tbEUlT_E1_NS1_11comp_targetILNS1_3genE5ELNS1_11target_archE942ELNS1_3gpuE9ELNS1_3repE0EEENS1_30default_config_static_selectorELNS0_4arch9wavefront6targetE1EEEvSF_
    .private_segment_fixed_size: 0
    .sgpr_count:     4
    .sgpr_spill_count: 0
    .symbol:         _ZN7rocprim17ROCPRIM_400000_NS6detail17trampoline_kernelINS0_14default_configENS1_22reduce_config_selectorIiEEZNS1_11reduce_implILb1ES3_PiS7_iN6thrust23THRUST_200600_302600_NS4plusIiEEEE10hipError_tPvRmT1_T2_T3_mT4_P12ihipStream_tbEUlT_E1_NS1_11comp_targetILNS1_3genE5ELNS1_11target_archE942ELNS1_3gpuE9ELNS1_3repE0EEENS1_30default_config_static_selectorELNS0_4arch9wavefront6targetE1EEEvSF_.kd
    .uniform_work_group_size: 1
    .uses_dynamic_stack: false
    .vgpr_count:     0
    .vgpr_spill_count: 0
    .wavefront_size: 64
  - .args:
      - .offset:         0
        .size:           40
        .value_kind:     by_value
    .group_segment_fixed_size: 0
    .kernarg_segment_align: 8
    .kernarg_segment_size: 40
    .language:       OpenCL C
    .language_version:
      - 2
      - 0
    .max_flat_workgroup_size: 128
    .name:           _ZN7rocprim17ROCPRIM_400000_NS6detail17trampoline_kernelINS0_14default_configENS1_22reduce_config_selectorIiEEZNS1_11reduce_implILb1ES3_PiS7_iN6thrust23THRUST_200600_302600_NS4plusIiEEEE10hipError_tPvRmT1_T2_T3_mT4_P12ihipStream_tbEUlT_E1_NS1_11comp_targetILNS1_3genE4ELNS1_11target_archE910ELNS1_3gpuE8ELNS1_3repE0EEENS1_30default_config_static_selectorELNS0_4arch9wavefront6targetE1EEEvSF_
    .private_segment_fixed_size: 0
    .sgpr_count:     4
    .sgpr_spill_count: 0
    .symbol:         _ZN7rocprim17ROCPRIM_400000_NS6detail17trampoline_kernelINS0_14default_configENS1_22reduce_config_selectorIiEEZNS1_11reduce_implILb1ES3_PiS7_iN6thrust23THRUST_200600_302600_NS4plusIiEEEE10hipError_tPvRmT1_T2_T3_mT4_P12ihipStream_tbEUlT_E1_NS1_11comp_targetILNS1_3genE4ELNS1_11target_archE910ELNS1_3gpuE8ELNS1_3repE0EEENS1_30default_config_static_selectorELNS0_4arch9wavefront6targetE1EEEvSF_.kd
    .uniform_work_group_size: 1
    .uses_dynamic_stack: false
    .vgpr_count:     0
    .vgpr_spill_count: 0
    .wavefront_size: 64
  - .args:
      - .offset:         0
        .size:           40
        .value_kind:     by_value
    .group_segment_fixed_size: 0
    .kernarg_segment_align: 8
    .kernarg_segment_size: 40
    .language:       OpenCL C
    .language_version:
      - 2
      - 0
    .max_flat_workgroup_size: 256
    .name:           _ZN7rocprim17ROCPRIM_400000_NS6detail17trampoline_kernelINS0_14default_configENS1_22reduce_config_selectorIiEEZNS1_11reduce_implILb1ES3_PiS7_iN6thrust23THRUST_200600_302600_NS4plusIiEEEE10hipError_tPvRmT1_T2_T3_mT4_P12ihipStream_tbEUlT_E1_NS1_11comp_targetILNS1_3genE3ELNS1_11target_archE908ELNS1_3gpuE7ELNS1_3repE0EEENS1_30default_config_static_selectorELNS0_4arch9wavefront6targetE1EEEvSF_
    .private_segment_fixed_size: 0
    .sgpr_count:     4
    .sgpr_spill_count: 0
    .symbol:         _ZN7rocprim17ROCPRIM_400000_NS6detail17trampoline_kernelINS0_14default_configENS1_22reduce_config_selectorIiEEZNS1_11reduce_implILb1ES3_PiS7_iN6thrust23THRUST_200600_302600_NS4plusIiEEEE10hipError_tPvRmT1_T2_T3_mT4_P12ihipStream_tbEUlT_E1_NS1_11comp_targetILNS1_3genE3ELNS1_11target_archE908ELNS1_3gpuE7ELNS1_3repE0EEENS1_30default_config_static_selectorELNS0_4arch9wavefront6targetE1EEEvSF_.kd
    .uniform_work_group_size: 1
    .uses_dynamic_stack: false
    .vgpr_count:     0
    .vgpr_spill_count: 0
    .wavefront_size: 64
  - .args:
      - .offset:         0
        .size:           40
        .value_kind:     by_value
    .group_segment_fixed_size: 112
    .kernarg_segment_align: 8
    .kernarg_segment_size: 40
    .language:       OpenCL C
    .language_version:
      - 2
      - 0
    .max_flat_workgroup_size: 256
    .name:           _ZN7rocprim17ROCPRIM_400000_NS6detail17trampoline_kernelINS0_14default_configENS1_22reduce_config_selectorIiEEZNS1_11reduce_implILb1ES3_PiS7_iN6thrust23THRUST_200600_302600_NS4plusIiEEEE10hipError_tPvRmT1_T2_T3_mT4_P12ihipStream_tbEUlT_E1_NS1_11comp_targetILNS1_3genE2ELNS1_11target_archE906ELNS1_3gpuE6ELNS1_3repE0EEENS1_30default_config_static_selectorELNS0_4arch9wavefront6targetE1EEEvSF_
    .private_segment_fixed_size: 0
    .sgpr_count:     47
    .sgpr_spill_count: 0
    .symbol:         _ZN7rocprim17ROCPRIM_400000_NS6detail17trampoline_kernelINS0_14default_configENS1_22reduce_config_selectorIiEEZNS1_11reduce_implILb1ES3_PiS7_iN6thrust23THRUST_200600_302600_NS4plusIiEEEE10hipError_tPvRmT1_T2_T3_mT4_P12ihipStream_tbEUlT_E1_NS1_11comp_targetILNS1_3genE2ELNS1_11target_archE906ELNS1_3gpuE6ELNS1_3repE0EEENS1_30default_config_static_selectorELNS0_4arch9wavefront6targetE1EEEvSF_.kd
    .uniform_work_group_size: 1
    .uses_dynamic_stack: false
    .vgpr_count:     39
    .vgpr_spill_count: 0
    .wavefront_size: 64
  - .args:
      - .offset:         0
        .size:           40
        .value_kind:     by_value
    .group_segment_fixed_size: 0
    .kernarg_segment_align: 8
    .kernarg_segment_size: 40
    .language:       OpenCL C
    .language_version:
      - 2
      - 0
    .max_flat_workgroup_size: 256
    .name:           _ZN7rocprim17ROCPRIM_400000_NS6detail17trampoline_kernelINS0_14default_configENS1_22reduce_config_selectorIiEEZNS1_11reduce_implILb1ES3_PiS7_iN6thrust23THRUST_200600_302600_NS4plusIiEEEE10hipError_tPvRmT1_T2_T3_mT4_P12ihipStream_tbEUlT_E1_NS1_11comp_targetILNS1_3genE10ELNS1_11target_archE1201ELNS1_3gpuE5ELNS1_3repE0EEENS1_30default_config_static_selectorELNS0_4arch9wavefront6targetE1EEEvSF_
    .private_segment_fixed_size: 0
    .sgpr_count:     4
    .sgpr_spill_count: 0
    .symbol:         _ZN7rocprim17ROCPRIM_400000_NS6detail17trampoline_kernelINS0_14default_configENS1_22reduce_config_selectorIiEEZNS1_11reduce_implILb1ES3_PiS7_iN6thrust23THRUST_200600_302600_NS4plusIiEEEE10hipError_tPvRmT1_T2_T3_mT4_P12ihipStream_tbEUlT_E1_NS1_11comp_targetILNS1_3genE10ELNS1_11target_archE1201ELNS1_3gpuE5ELNS1_3repE0EEENS1_30default_config_static_selectorELNS0_4arch9wavefront6targetE1EEEvSF_.kd
    .uniform_work_group_size: 1
    .uses_dynamic_stack: false
    .vgpr_count:     0
    .vgpr_spill_count: 0
    .wavefront_size: 64
  - .args:
      - .offset:         0
        .size:           40
        .value_kind:     by_value
    .group_segment_fixed_size: 0
    .kernarg_segment_align: 8
    .kernarg_segment_size: 40
    .language:       OpenCL C
    .language_version:
      - 2
      - 0
    .max_flat_workgroup_size: 256
    .name:           _ZN7rocprim17ROCPRIM_400000_NS6detail17trampoline_kernelINS0_14default_configENS1_22reduce_config_selectorIiEEZNS1_11reduce_implILb1ES3_PiS7_iN6thrust23THRUST_200600_302600_NS4plusIiEEEE10hipError_tPvRmT1_T2_T3_mT4_P12ihipStream_tbEUlT_E1_NS1_11comp_targetILNS1_3genE10ELNS1_11target_archE1200ELNS1_3gpuE4ELNS1_3repE0EEENS1_30default_config_static_selectorELNS0_4arch9wavefront6targetE1EEEvSF_
    .private_segment_fixed_size: 0
    .sgpr_count:     4
    .sgpr_spill_count: 0
    .symbol:         _ZN7rocprim17ROCPRIM_400000_NS6detail17trampoline_kernelINS0_14default_configENS1_22reduce_config_selectorIiEEZNS1_11reduce_implILb1ES3_PiS7_iN6thrust23THRUST_200600_302600_NS4plusIiEEEE10hipError_tPvRmT1_T2_T3_mT4_P12ihipStream_tbEUlT_E1_NS1_11comp_targetILNS1_3genE10ELNS1_11target_archE1200ELNS1_3gpuE4ELNS1_3repE0EEENS1_30default_config_static_selectorELNS0_4arch9wavefront6targetE1EEEvSF_.kd
    .uniform_work_group_size: 1
    .uses_dynamic_stack: false
    .vgpr_count:     0
    .vgpr_spill_count: 0
    .wavefront_size: 64
  - .args:
      - .offset:         0
        .size:           40
        .value_kind:     by_value
    .group_segment_fixed_size: 0
    .kernarg_segment_align: 8
    .kernarg_segment_size: 40
    .language:       OpenCL C
    .language_version:
      - 2
      - 0
    .max_flat_workgroup_size: 256
    .name:           _ZN7rocprim17ROCPRIM_400000_NS6detail17trampoline_kernelINS0_14default_configENS1_22reduce_config_selectorIiEEZNS1_11reduce_implILb1ES3_PiS7_iN6thrust23THRUST_200600_302600_NS4plusIiEEEE10hipError_tPvRmT1_T2_T3_mT4_P12ihipStream_tbEUlT_E1_NS1_11comp_targetILNS1_3genE9ELNS1_11target_archE1100ELNS1_3gpuE3ELNS1_3repE0EEENS1_30default_config_static_selectorELNS0_4arch9wavefront6targetE1EEEvSF_
    .private_segment_fixed_size: 0
    .sgpr_count:     4
    .sgpr_spill_count: 0
    .symbol:         _ZN7rocprim17ROCPRIM_400000_NS6detail17trampoline_kernelINS0_14default_configENS1_22reduce_config_selectorIiEEZNS1_11reduce_implILb1ES3_PiS7_iN6thrust23THRUST_200600_302600_NS4plusIiEEEE10hipError_tPvRmT1_T2_T3_mT4_P12ihipStream_tbEUlT_E1_NS1_11comp_targetILNS1_3genE9ELNS1_11target_archE1100ELNS1_3gpuE3ELNS1_3repE0EEENS1_30default_config_static_selectorELNS0_4arch9wavefront6targetE1EEEvSF_.kd
    .uniform_work_group_size: 1
    .uses_dynamic_stack: false
    .vgpr_count:     0
    .vgpr_spill_count: 0
    .wavefront_size: 64
  - .args:
      - .offset:         0
        .size:           40
        .value_kind:     by_value
    .group_segment_fixed_size: 0
    .kernarg_segment_align: 8
    .kernarg_segment_size: 40
    .language:       OpenCL C
    .language_version:
      - 2
      - 0
    .max_flat_workgroup_size: 256
    .name:           _ZN7rocprim17ROCPRIM_400000_NS6detail17trampoline_kernelINS0_14default_configENS1_22reduce_config_selectorIiEEZNS1_11reduce_implILb1ES3_PiS7_iN6thrust23THRUST_200600_302600_NS4plusIiEEEE10hipError_tPvRmT1_T2_T3_mT4_P12ihipStream_tbEUlT_E1_NS1_11comp_targetILNS1_3genE8ELNS1_11target_archE1030ELNS1_3gpuE2ELNS1_3repE0EEENS1_30default_config_static_selectorELNS0_4arch9wavefront6targetE1EEEvSF_
    .private_segment_fixed_size: 0
    .sgpr_count:     4
    .sgpr_spill_count: 0
    .symbol:         _ZN7rocprim17ROCPRIM_400000_NS6detail17trampoline_kernelINS0_14default_configENS1_22reduce_config_selectorIiEEZNS1_11reduce_implILb1ES3_PiS7_iN6thrust23THRUST_200600_302600_NS4plusIiEEEE10hipError_tPvRmT1_T2_T3_mT4_P12ihipStream_tbEUlT_E1_NS1_11comp_targetILNS1_3genE8ELNS1_11target_archE1030ELNS1_3gpuE2ELNS1_3repE0EEENS1_30default_config_static_selectorELNS0_4arch9wavefront6targetE1EEEvSF_.kd
    .uniform_work_group_size: 1
    .uses_dynamic_stack: false
    .vgpr_count:     0
    .vgpr_spill_count: 0
    .wavefront_size: 64
  - .args:
      - .offset:         0
        .size:           72
        .value_kind:     by_value
    .group_segment_fixed_size: 0
    .kernarg_segment_align: 8
    .kernarg_segment_size: 72
    .language:       OpenCL C
    .language_version:
      - 2
      - 0
    .max_flat_workgroup_size: 256
    .name:           _ZN7rocprim17ROCPRIM_400000_NS6detail17trampoline_kernelINS0_14default_configENS1_22reduce_config_selectorIiEEZNS1_11reduce_implILb1ES3_N6thrust23THRUST_200600_302600_NS11hip_rocprim35transform_pair_of_input_iterators_tIiPhSB_NS8_12not_equal_toIhEEEEPiiNS8_4plusIiEEEE10hipError_tPvRmT1_T2_T3_mT4_P12ihipStream_tbEUlT_E0_NS1_11comp_targetILNS1_3genE0ELNS1_11target_archE4294967295ELNS1_3gpuE0ELNS1_3repE0EEENS1_30default_config_static_selectorELNS0_4arch9wavefront6targetE1EEEvSL_
    .private_segment_fixed_size: 0
    .sgpr_count:     4
    .sgpr_spill_count: 0
    .symbol:         _ZN7rocprim17ROCPRIM_400000_NS6detail17trampoline_kernelINS0_14default_configENS1_22reduce_config_selectorIiEEZNS1_11reduce_implILb1ES3_N6thrust23THRUST_200600_302600_NS11hip_rocprim35transform_pair_of_input_iterators_tIiPhSB_NS8_12not_equal_toIhEEEEPiiNS8_4plusIiEEEE10hipError_tPvRmT1_T2_T3_mT4_P12ihipStream_tbEUlT_E0_NS1_11comp_targetILNS1_3genE0ELNS1_11target_archE4294967295ELNS1_3gpuE0ELNS1_3repE0EEENS1_30default_config_static_selectorELNS0_4arch9wavefront6targetE1EEEvSL_.kd
    .uniform_work_group_size: 1
    .uses_dynamic_stack: false
    .vgpr_count:     0
    .vgpr_spill_count: 0
    .wavefront_size: 64
  - .args:
      - .offset:         0
        .size:           72
        .value_kind:     by_value
    .group_segment_fixed_size: 0
    .kernarg_segment_align: 8
    .kernarg_segment_size: 72
    .language:       OpenCL C
    .language_version:
      - 2
      - 0
    .max_flat_workgroup_size: 256
    .name:           _ZN7rocprim17ROCPRIM_400000_NS6detail17trampoline_kernelINS0_14default_configENS1_22reduce_config_selectorIiEEZNS1_11reduce_implILb1ES3_N6thrust23THRUST_200600_302600_NS11hip_rocprim35transform_pair_of_input_iterators_tIiPhSB_NS8_12not_equal_toIhEEEEPiiNS8_4plusIiEEEE10hipError_tPvRmT1_T2_T3_mT4_P12ihipStream_tbEUlT_E0_NS1_11comp_targetILNS1_3genE5ELNS1_11target_archE942ELNS1_3gpuE9ELNS1_3repE0EEENS1_30default_config_static_selectorELNS0_4arch9wavefront6targetE1EEEvSL_
    .private_segment_fixed_size: 0
    .sgpr_count:     4
    .sgpr_spill_count: 0
    .symbol:         _ZN7rocprim17ROCPRIM_400000_NS6detail17trampoline_kernelINS0_14default_configENS1_22reduce_config_selectorIiEEZNS1_11reduce_implILb1ES3_N6thrust23THRUST_200600_302600_NS11hip_rocprim35transform_pair_of_input_iterators_tIiPhSB_NS8_12not_equal_toIhEEEEPiiNS8_4plusIiEEEE10hipError_tPvRmT1_T2_T3_mT4_P12ihipStream_tbEUlT_E0_NS1_11comp_targetILNS1_3genE5ELNS1_11target_archE942ELNS1_3gpuE9ELNS1_3repE0EEENS1_30default_config_static_selectorELNS0_4arch9wavefront6targetE1EEEvSL_.kd
    .uniform_work_group_size: 1
    .uses_dynamic_stack: false
    .vgpr_count:     0
    .vgpr_spill_count: 0
    .wavefront_size: 64
  - .args:
      - .offset:         0
        .size:           72
        .value_kind:     by_value
    .group_segment_fixed_size: 0
    .kernarg_segment_align: 8
    .kernarg_segment_size: 72
    .language:       OpenCL C
    .language_version:
      - 2
      - 0
    .max_flat_workgroup_size: 128
    .name:           _ZN7rocprim17ROCPRIM_400000_NS6detail17trampoline_kernelINS0_14default_configENS1_22reduce_config_selectorIiEEZNS1_11reduce_implILb1ES3_N6thrust23THRUST_200600_302600_NS11hip_rocprim35transform_pair_of_input_iterators_tIiPhSB_NS8_12not_equal_toIhEEEEPiiNS8_4plusIiEEEE10hipError_tPvRmT1_T2_T3_mT4_P12ihipStream_tbEUlT_E0_NS1_11comp_targetILNS1_3genE4ELNS1_11target_archE910ELNS1_3gpuE8ELNS1_3repE0EEENS1_30default_config_static_selectorELNS0_4arch9wavefront6targetE1EEEvSL_
    .private_segment_fixed_size: 0
    .sgpr_count:     4
    .sgpr_spill_count: 0
    .symbol:         _ZN7rocprim17ROCPRIM_400000_NS6detail17trampoline_kernelINS0_14default_configENS1_22reduce_config_selectorIiEEZNS1_11reduce_implILb1ES3_N6thrust23THRUST_200600_302600_NS11hip_rocprim35transform_pair_of_input_iterators_tIiPhSB_NS8_12not_equal_toIhEEEEPiiNS8_4plusIiEEEE10hipError_tPvRmT1_T2_T3_mT4_P12ihipStream_tbEUlT_E0_NS1_11comp_targetILNS1_3genE4ELNS1_11target_archE910ELNS1_3gpuE8ELNS1_3repE0EEENS1_30default_config_static_selectorELNS0_4arch9wavefront6targetE1EEEvSL_.kd
    .uniform_work_group_size: 1
    .uses_dynamic_stack: false
    .vgpr_count:     0
    .vgpr_spill_count: 0
    .wavefront_size: 64
  - .args:
      - .offset:         0
        .size:           72
        .value_kind:     by_value
    .group_segment_fixed_size: 0
    .kernarg_segment_align: 8
    .kernarg_segment_size: 72
    .language:       OpenCL C
    .language_version:
      - 2
      - 0
    .max_flat_workgroup_size: 256
    .name:           _ZN7rocprim17ROCPRIM_400000_NS6detail17trampoline_kernelINS0_14default_configENS1_22reduce_config_selectorIiEEZNS1_11reduce_implILb1ES3_N6thrust23THRUST_200600_302600_NS11hip_rocprim35transform_pair_of_input_iterators_tIiPhSB_NS8_12not_equal_toIhEEEEPiiNS8_4plusIiEEEE10hipError_tPvRmT1_T2_T3_mT4_P12ihipStream_tbEUlT_E0_NS1_11comp_targetILNS1_3genE3ELNS1_11target_archE908ELNS1_3gpuE7ELNS1_3repE0EEENS1_30default_config_static_selectorELNS0_4arch9wavefront6targetE1EEEvSL_
    .private_segment_fixed_size: 0
    .sgpr_count:     4
    .sgpr_spill_count: 0
    .symbol:         _ZN7rocprim17ROCPRIM_400000_NS6detail17trampoline_kernelINS0_14default_configENS1_22reduce_config_selectorIiEEZNS1_11reduce_implILb1ES3_N6thrust23THRUST_200600_302600_NS11hip_rocprim35transform_pair_of_input_iterators_tIiPhSB_NS8_12not_equal_toIhEEEEPiiNS8_4plusIiEEEE10hipError_tPvRmT1_T2_T3_mT4_P12ihipStream_tbEUlT_E0_NS1_11comp_targetILNS1_3genE3ELNS1_11target_archE908ELNS1_3gpuE7ELNS1_3repE0EEENS1_30default_config_static_selectorELNS0_4arch9wavefront6targetE1EEEvSL_.kd
    .uniform_work_group_size: 1
    .uses_dynamic_stack: false
    .vgpr_count:     0
    .vgpr_spill_count: 0
    .wavefront_size: 64
  - .args:
      - .offset:         0
        .size:           72
        .value_kind:     by_value
    .group_segment_fixed_size: 32
    .kernarg_segment_align: 8
    .kernarg_segment_size: 72
    .language:       OpenCL C
    .language_version:
      - 2
      - 0
    .max_flat_workgroup_size: 256
    .name:           _ZN7rocprim17ROCPRIM_400000_NS6detail17trampoline_kernelINS0_14default_configENS1_22reduce_config_selectorIiEEZNS1_11reduce_implILb1ES3_N6thrust23THRUST_200600_302600_NS11hip_rocprim35transform_pair_of_input_iterators_tIiPhSB_NS8_12not_equal_toIhEEEEPiiNS8_4plusIiEEEE10hipError_tPvRmT1_T2_T3_mT4_P12ihipStream_tbEUlT_E0_NS1_11comp_targetILNS1_3genE2ELNS1_11target_archE906ELNS1_3gpuE6ELNS1_3repE0EEENS1_30default_config_static_selectorELNS0_4arch9wavefront6targetE1EEEvSL_
    .private_segment_fixed_size: 0
    .sgpr_count:     28
    .sgpr_spill_count: 0
    .symbol:         _ZN7rocprim17ROCPRIM_400000_NS6detail17trampoline_kernelINS0_14default_configENS1_22reduce_config_selectorIiEEZNS1_11reduce_implILb1ES3_N6thrust23THRUST_200600_302600_NS11hip_rocprim35transform_pair_of_input_iterators_tIiPhSB_NS8_12not_equal_toIhEEEEPiiNS8_4plusIiEEEE10hipError_tPvRmT1_T2_T3_mT4_P12ihipStream_tbEUlT_E0_NS1_11comp_targetILNS1_3genE2ELNS1_11target_archE906ELNS1_3gpuE6ELNS1_3repE0EEENS1_30default_config_static_selectorELNS0_4arch9wavefront6targetE1EEEvSL_.kd
    .uniform_work_group_size: 1
    .uses_dynamic_stack: false
    .vgpr_count:     12
    .vgpr_spill_count: 0
    .wavefront_size: 64
  - .args:
      - .offset:         0
        .size:           72
        .value_kind:     by_value
    .group_segment_fixed_size: 0
    .kernarg_segment_align: 8
    .kernarg_segment_size: 72
    .language:       OpenCL C
    .language_version:
      - 2
      - 0
    .max_flat_workgroup_size: 256
    .name:           _ZN7rocprim17ROCPRIM_400000_NS6detail17trampoline_kernelINS0_14default_configENS1_22reduce_config_selectorIiEEZNS1_11reduce_implILb1ES3_N6thrust23THRUST_200600_302600_NS11hip_rocprim35transform_pair_of_input_iterators_tIiPhSB_NS8_12not_equal_toIhEEEEPiiNS8_4plusIiEEEE10hipError_tPvRmT1_T2_T3_mT4_P12ihipStream_tbEUlT_E0_NS1_11comp_targetILNS1_3genE10ELNS1_11target_archE1201ELNS1_3gpuE5ELNS1_3repE0EEENS1_30default_config_static_selectorELNS0_4arch9wavefront6targetE1EEEvSL_
    .private_segment_fixed_size: 0
    .sgpr_count:     4
    .sgpr_spill_count: 0
    .symbol:         _ZN7rocprim17ROCPRIM_400000_NS6detail17trampoline_kernelINS0_14default_configENS1_22reduce_config_selectorIiEEZNS1_11reduce_implILb1ES3_N6thrust23THRUST_200600_302600_NS11hip_rocprim35transform_pair_of_input_iterators_tIiPhSB_NS8_12not_equal_toIhEEEEPiiNS8_4plusIiEEEE10hipError_tPvRmT1_T2_T3_mT4_P12ihipStream_tbEUlT_E0_NS1_11comp_targetILNS1_3genE10ELNS1_11target_archE1201ELNS1_3gpuE5ELNS1_3repE0EEENS1_30default_config_static_selectorELNS0_4arch9wavefront6targetE1EEEvSL_.kd
    .uniform_work_group_size: 1
    .uses_dynamic_stack: false
    .vgpr_count:     0
    .vgpr_spill_count: 0
    .wavefront_size: 64
  - .args:
      - .offset:         0
        .size:           72
        .value_kind:     by_value
    .group_segment_fixed_size: 0
    .kernarg_segment_align: 8
    .kernarg_segment_size: 72
    .language:       OpenCL C
    .language_version:
      - 2
      - 0
    .max_flat_workgroup_size: 256
    .name:           _ZN7rocprim17ROCPRIM_400000_NS6detail17trampoline_kernelINS0_14default_configENS1_22reduce_config_selectorIiEEZNS1_11reduce_implILb1ES3_N6thrust23THRUST_200600_302600_NS11hip_rocprim35transform_pair_of_input_iterators_tIiPhSB_NS8_12not_equal_toIhEEEEPiiNS8_4plusIiEEEE10hipError_tPvRmT1_T2_T3_mT4_P12ihipStream_tbEUlT_E0_NS1_11comp_targetILNS1_3genE10ELNS1_11target_archE1200ELNS1_3gpuE4ELNS1_3repE0EEENS1_30default_config_static_selectorELNS0_4arch9wavefront6targetE1EEEvSL_
    .private_segment_fixed_size: 0
    .sgpr_count:     4
    .sgpr_spill_count: 0
    .symbol:         _ZN7rocprim17ROCPRIM_400000_NS6detail17trampoline_kernelINS0_14default_configENS1_22reduce_config_selectorIiEEZNS1_11reduce_implILb1ES3_N6thrust23THRUST_200600_302600_NS11hip_rocprim35transform_pair_of_input_iterators_tIiPhSB_NS8_12not_equal_toIhEEEEPiiNS8_4plusIiEEEE10hipError_tPvRmT1_T2_T3_mT4_P12ihipStream_tbEUlT_E0_NS1_11comp_targetILNS1_3genE10ELNS1_11target_archE1200ELNS1_3gpuE4ELNS1_3repE0EEENS1_30default_config_static_selectorELNS0_4arch9wavefront6targetE1EEEvSL_.kd
    .uniform_work_group_size: 1
    .uses_dynamic_stack: false
    .vgpr_count:     0
    .vgpr_spill_count: 0
    .wavefront_size: 64
  - .args:
      - .offset:         0
        .size:           72
        .value_kind:     by_value
    .group_segment_fixed_size: 0
    .kernarg_segment_align: 8
    .kernarg_segment_size: 72
    .language:       OpenCL C
    .language_version:
      - 2
      - 0
    .max_flat_workgroup_size: 256
    .name:           _ZN7rocprim17ROCPRIM_400000_NS6detail17trampoline_kernelINS0_14default_configENS1_22reduce_config_selectorIiEEZNS1_11reduce_implILb1ES3_N6thrust23THRUST_200600_302600_NS11hip_rocprim35transform_pair_of_input_iterators_tIiPhSB_NS8_12not_equal_toIhEEEEPiiNS8_4plusIiEEEE10hipError_tPvRmT1_T2_T3_mT4_P12ihipStream_tbEUlT_E0_NS1_11comp_targetILNS1_3genE9ELNS1_11target_archE1100ELNS1_3gpuE3ELNS1_3repE0EEENS1_30default_config_static_selectorELNS0_4arch9wavefront6targetE1EEEvSL_
    .private_segment_fixed_size: 0
    .sgpr_count:     4
    .sgpr_spill_count: 0
    .symbol:         _ZN7rocprim17ROCPRIM_400000_NS6detail17trampoline_kernelINS0_14default_configENS1_22reduce_config_selectorIiEEZNS1_11reduce_implILb1ES3_N6thrust23THRUST_200600_302600_NS11hip_rocprim35transform_pair_of_input_iterators_tIiPhSB_NS8_12not_equal_toIhEEEEPiiNS8_4plusIiEEEE10hipError_tPvRmT1_T2_T3_mT4_P12ihipStream_tbEUlT_E0_NS1_11comp_targetILNS1_3genE9ELNS1_11target_archE1100ELNS1_3gpuE3ELNS1_3repE0EEENS1_30default_config_static_selectorELNS0_4arch9wavefront6targetE1EEEvSL_.kd
    .uniform_work_group_size: 1
    .uses_dynamic_stack: false
    .vgpr_count:     0
    .vgpr_spill_count: 0
    .wavefront_size: 64
  - .args:
      - .offset:         0
        .size:           72
        .value_kind:     by_value
    .group_segment_fixed_size: 0
    .kernarg_segment_align: 8
    .kernarg_segment_size: 72
    .language:       OpenCL C
    .language_version:
      - 2
      - 0
    .max_flat_workgroup_size: 256
    .name:           _ZN7rocprim17ROCPRIM_400000_NS6detail17trampoline_kernelINS0_14default_configENS1_22reduce_config_selectorIiEEZNS1_11reduce_implILb1ES3_N6thrust23THRUST_200600_302600_NS11hip_rocprim35transform_pair_of_input_iterators_tIiPhSB_NS8_12not_equal_toIhEEEEPiiNS8_4plusIiEEEE10hipError_tPvRmT1_T2_T3_mT4_P12ihipStream_tbEUlT_E0_NS1_11comp_targetILNS1_3genE8ELNS1_11target_archE1030ELNS1_3gpuE2ELNS1_3repE0EEENS1_30default_config_static_selectorELNS0_4arch9wavefront6targetE1EEEvSL_
    .private_segment_fixed_size: 0
    .sgpr_count:     4
    .sgpr_spill_count: 0
    .symbol:         _ZN7rocprim17ROCPRIM_400000_NS6detail17trampoline_kernelINS0_14default_configENS1_22reduce_config_selectorIiEEZNS1_11reduce_implILb1ES3_N6thrust23THRUST_200600_302600_NS11hip_rocprim35transform_pair_of_input_iterators_tIiPhSB_NS8_12not_equal_toIhEEEEPiiNS8_4plusIiEEEE10hipError_tPvRmT1_T2_T3_mT4_P12ihipStream_tbEUlT_E0_NS1_11comp_targetILNS1_3genE8ELNS1_11target_archE1030ELNS1_3gpuE2ELNS1_3repE0EEENS1_30default_config_static_selectorELNS0_4arch9wavefront6targetE1EEEvSL_.kd
    .uniform_work_group_size: 1
    .uses_dynamic_stack: false
    .vgpr_count:     0
    .vgpr_spill_count: 0
    .wavefront_size: 64
  - .args:
      - .offset:         0
        .size:           56
        .value_kind:     by_value
    .group_segment_fixed_size: 0
    .kernarg_segment_align: 8
    .kernarg_segment_size: 56
    .language:       OpenCL C
    .language_version:
      - 2
      - 0
    .max_flat_workgroup_size: 256
    .name:           _ZN7rocprim17ROCPRIM_400000_NS6detail17trampoline_kernelINS0_14default_configENS1_22reduce_config_selectorIiEEZNS1_11reduce_implILb1ES3_N6thrust23THRUST_200600_302600_NS11hip_rocprim35transform_pair_of_input_iterators_tIiPhSB_NS8_12not_equal_toIhEEEEPiiNS8_4plusIiEEEE10hipError_tPvRmT1_T2_T3_mT4_P12ihipStream_tbEUlT_E1_NS1_11comp_targetILNS1_3genE0ELNS1_11target_archE4294967295ELNS1_3gpuE0ELNS1_3repE0EEENS1_30default_config_static_selectorELNS0_4arch9wavefront6targetE1EEEvSL_
    .private_segment_fixed_size: 0
    .sgpr_count:     4
    .sgpr_spill_count: 0
    .symbol:         _ZN7rocprim17ROCPRIM_400000_NS6detail17trampoline_kernelINS0_14default_configENS1_22reduce_config_selectorIiEEZNS1_11reduce_implILb1ES3_N6thrust23THRUST_200600_302600_NS11hip_rocprim35transform_pair_of_input_iterators_tIiPhSB_NS8_12not_equal_toIhEEEEPiiNS8_4plusIiEEEE10hipError_tPvRmT1_T2_T3_mT4_P12ihipStream_tbEUlT_E1_NS1_11comp_targetILNS1_3genE0ELNS1_11target_archE4294967295ELNS1_3gpuE0ELNS1_3repE0EEENS1_30default_config_static_selectorELNS0_4arch9wavefront6targetE1EEEvSL_.kd
    .uniform_work_group_size: 1
    .uses_dynamic_stack: false
    .vgpr_count:     0
    .vgpr_spill_count: 0
    .wavefront_size: 64
  - .args:
      - .offset:         0
        .size:           56
        .value_kind:     by_value
    .group_segment_fixed_size: 0
    .kernarg_segment_align: 8
    .kernarg_segment_size: 56
    .language:       OpenCL C
    .language_version:
      - 2
      - 0
    .max_flat_workgroup_size: 256
    .name:           _ZN7rocprim17ROCPRIM_400000_NS6detail17trampoline_kernelINS0_14default_configENS1_22reduce_config_selectorIiEEZNS1_11reduce_implILb1ES3_N6thrust23THRUST_200600_302600_NS11hip_rocprim35transform_pair_of_input_iterators_tIiPhSB_NS8_12not_equal_toIhEEEEPiiNS8_4plusIiEEEE10hipError_tPvRmT1_T2_T3_mT4_P12ihipStream_tbEUlT_E1_NS1_11comp_targetILNS1_3genE5ELNS1_11target_archE942ELNS1_3gpuE9ELNS1_3repE0EEENS1_30default_config_static_selectorELNS0_4arch9wavefront6targetE1EEEvSL_
    .private_segment_fixed_size: 0
    .sgpr_count:     4
    .sgpr_spill_count: 0
    .symbol:         _ZN7rocprim17ROCPRIM_400000_NS6detail17trampoline_kernelINS0_14default_configENS1_22reduce_config_selectorIiEEZNS1_11reduce_implILb1ES3_N6thrust23THRUST_200600_302600_NS11hip_rocprim35transform_pair_of_input_iterators_tIiPhSB_NS8_12not_equal_toIhEEEEPiiNS8_4plusIiEEEE10hipError_tPvRmT1_T2_T3_mT4_P12ihipStream_tbEUlT_E1_NS1_11comp_targetILNS1_3genE5ELNS1_11target_archE942ELNS1_3gpuE9ELNS1_3repE0EEENS1_30default_config_static_selectorELNS0_4arch9wavefront6targetE1EEEvSL_.kd
    .uniform_work_group_size: 1
    .uses_dynamic_stack: false
    .vgpr_count:     0
    .vgpr_spill_count: 0
    .wavefront_size: 64
  - .args:
      - .offset:         0
        .size:           56
        .value_kind:     by_value
    .group_segment_fixed_size: 0
    .kernarg_segment_align: 8
    .kernarg_segment_size: 56
    .language:       OpenCL C
    .language_version:
      - 2
      - 0
    .max_flat_workgroup_size: 128
    .name:           _ZN7rocprim17ROCPRIM_400000_NS6detail17trampoline_kernelINS0_14default_configENS1_22reduce_config_selectorIiEEZNS1_11reduce_implILb1ES3_N6thrust23THRUST_200600_302600_NS11hip_rocprim35transform_pair_of_input_iterators_tIiPhSB_NS8_12not_equal_toIhEEEEPiiNS8_4plusIiEEEE10hipError_tPvRmT1_T2_T3_mT4_P12ihipStream_tbEUlT_E1_NS1_11comp_targetILNS1_3genE4ELNS1_11target_archE910ELNS1_3gpuE8ELNS1_3repE0EEENS1_30default_config_static_selectorELNS0_4arch9wavefront6targetE1EEEvSL_
    .private_segment_fixed_size: 0
    .sgpr_count:     4
    .sgpr_spill_count: 0
    .symbol:         _ZN7rocprim17ROCPRIM_400000_NS6detail17trampoline_kernelINS0_14default_configENS1_22reduce_config_selectorIiEEZNS1_11reduce_implILb1ES3_N6thrust23THRUST_200600_302600_NS11hip_rocprim35transform_pair_of_input_iterators_tIiPhSB_NS8_12not_equal_toIhEEEEPiiNS8_4plusIiEEEE10hipError_tPvRmT1_T2_T3_mT4_P12ihipStream_tbEUlT_E1_NS1_11comp_targetILNS1_3genE4ELNS1_11target_archE910ELNS1_3gpuE8ELNS1_3repE0EEENS1_30default_config_static_selectorELNS0_4arch9wavefront6targetE1EEEvSL_.kd
    .uniform_work_group_size: 1
    .uses_dynamic_stack: false
    .vgpr_count:     0
    .vgpr_spill_count: 0
    .wavefront_size: 64
  - .args:
      - .offset:         0
        .size:           56
        .value_kind:     by_value
    .group_segment_fixed_size: 0
    .kernarg_segment_align: 8
    .kernarg_segment_size: 56
    .language:       OpenCL C
    .language_version:
      - 2
      - 0
    .max_flat_workgroup_size: 256
    .name:           _ZN7rocprim17ROCPRIM_400000_NS6detail17trampoline_kernelINS0_14default_configENS1_22reduce_config_selectorIiEEZNS1_11reduce_implILb1ES3_N6thrust23THRUST_200600_302600_NS11hip_rocprim35transform_pair_of_input_iterators_tIiPhSB_NS8_12not_equal_toIhEEEEPiiNS8_4plusIiEEEE10hipError_tPvRmT1_T2_T3_mT4_P12ihipStream_tbEUlT_E1_NS1_11comp_targetILNS1_3genE3ELNS1_11target_archE908ELNS1_3gpuE7ELNS1_3repE0EEENS1_30default_config_static_selectorELNS0_4arch9wavefront6targetE1EEEvSL_
    .private_segment_fixed_size: 0
    .sgpr_count:     4
    .sgpr_spill_count: 0
    .symbol:         _ZN7rocprim17ROCPRIM_400000_NS6detail17trampoline_kernelINS0_14default_configENS1_22reduce_config_selectorIiEEZNS1_11reduce_implILb1ES3_N6thrust23THRUST_200600_302600_NS11hip_rocprim35transform_pair_of_input_iterators_tIiPhSB_NS8_12not_equal_toIhEEEEPiiNS8_4plusIiEEEE10hipError_tPvRmT1_T2_T3_mT4_P12ihipStream_tbEUlT_E1_NS1_11comp_targetILNS1_3genE3ELNS1_11target_archE908ELNS1_3gpuE7ELNS1_3repE0EEENS1_30default_config_static_selectorELNS0_4arch9wavefront6targetE1EEEvSL_.kd
    .uniform_work_group_size: 1
    .uses_dynamic_stack: false
    .vgpr_count:     0
    .vgpr_spill_count: 0
    .wavefront_size: 64
  - .args:
      - .offset:         0
        .size:           56
        .value_kind:     by_value
    .group_segment_fixed_size: 112
    .kernarg_segment_align: 8
    .kernarg_segment_size: 56
    .language:       OpenCL C
    .language_version:
      - 2
      - 0
    .max_flat_workgroup_size: 256
    .name:           _ZN7rocprim17ROCPRIM_400000_NS6detail17trampoline_kernelINS0_14default_configENS1_22reduce_config_selectorIiEEZNS1_11reduce_implILb1ES3_N6thrust23THRUST_200600_302600_NS11hip_rocprim35transform_pair_of_input_iterators_tIiPhSB_NS8_12not_equal_toIhEEEEPiiNS8_4plusIiEEEE10hipError_tPvRmT1_T2_T3_mT4_P12ihipStream_tbEUlT_E1_NS1_11comp_targetILNS1_3genE2ELNS1_11target_archE906ELNS1_3gpuE6ELNS1_3repE0EEENS1_30default_config_static_selectorELNS0_4arch9wavefront6targetE1EEEvSL_
    .private_segment_fixed_size: 0
    .sgpr_count:     55
    .sgpr_spill_count: 0
    .symbol:         _ZN7rocprim17ROCPRIM_400000_NS6detail17trampoline_kernelINS0_14default_configENS1_22reduce_config_selectorIiEEZNS1_11reduce_implILb1ES3_N6thrust23THRUST_200600_302600_NS11hip_rocprim35transform_pair_of_input_iterators_tIiPhSB_NS8_12not_equal_toIhEEEEPiiNS8_4plusIiEEEE10hipError_tPvRmT1_T2_T3_mT4_P12ihipStream_tbEUlT_E1_NS1_11comp_targetILNS1_3genE2ELNS1_11target_archE906ELNS1_3gpuE6ELNS1_3repE0EEENS1_30default_config_static_selectorELNS0_4arch9wavefront6targetE1EEEvSL_.kd
    .uniform_work_group_size: 1
    .uses_dynamic_stack: false
    .vgpr_count:     35
    .vgpr_spill_count: 0
    .wavefront_size: 64
  - .args:
      - .offset:         0
        .size:           56
        .value_kind:     by_value
    .group_segment_fixed_size: 0
    .kernarg_segment_align: 8
    .kernarg_segment_size: 56
    .language:       OpenCL C
    .language_version:
      - 2
      - 0
    .max_flat_workgroup_size: 256
    .name:           _ZN7rocprim17ROCPRIM_400000_NS6detail17trampoline_kernelINS0_14default_configENS1_22reduce_config_selectorIiEEZNS1_11reduce_implILb1ES3_N6thrust23THRUST_200600_302600_NS11hip_rocprim35transform_pair_of_input_iterators_tIiPhSB_NS8_12not_equal_toIhEEEEPiiNS8_4plusIiEEEE10hipError_tPvRmT1_T2_T3_mT4_P12ihipStream_tbEUlT_E1_NS1_11comp_targetILNS1_3genE10ELNS1_11target_archE1201ELNS1_3gpuE5ELNS1_3repE0EEENS1_30default_config_static_selectorELNS0_4arch9wavefront6targetE1EEEvSL_
    .private_segment_fixed_size: 0
    .sgpr_count:     4
    .sgpr_spill_count: 0
    .symbol:         _ZN7rocprim17ROCPRIM_400000_NS6detail17trampoline_kernelINS0_14default_configENS1_22reduce_config_selectorIiEEZNS1_11reduce_implILb1ES3_N6thrust23THRUST_200600_302600_NS11hip_rocprim35transform_pair_of_input_iterators_tIiPhSB_NS8_12not_equal_toIhEEEEPiiNS8_4plusIiEEEE10hipError_tPvRmT1_T2_T3_mT4_P12ihipStream_tbEUlT_E1_NS1_11comp_targetILNS1_3genE10ELNS1_11target_archE1201ELNS1_3gpuE5ELNS1_3repE0EEENS1_30default_config_static_selectorELNS0_4arch9wavefront6targetE1EEEvSL_.kd
    .uniform_work_group_size: 1
    .uses_dynamic_stack: false
    .vgpr_count:     0
    .vgpr_spill_count: 0
    .wavefront_size: 64
  - .args:
      - .offset:         0
        .size:           56
        .value_kind:     by_value
    .group_segment_fixed_size: 0
    .kernarg_segment_align: 8
    .kernarg_segment_size: 56
    .language:       OpenCL C
    .language_version:
      - 2
      - 0
    .max_flat_workgroup_size: 256
    .name:           _ZN7rocprim17ROCPRIM_400000_NS6detail17trampoline_kernelINS0_14default_configENS1_22reduce_config_selectorIiEEZNS1_11reduce_implILb1ES3_N6thrust23THRUST_200600_302600_NS11hip_rocprim35transform_pair_of_input_iterators_tIiPhSB_NS8_12not_equal_toIhEEEEPiiNS8_4plusIiEEEE10hipError_tPvRmT1_T2_T3_mT4_P12ihipStream_tbEUlT_E1_NS1_11comp_targetILNS1_3genE10ELNS1_11target_archE1200ELNS1_3gpuE4ELNS1_3repE0EEENS1_30default_config_static_selectorELNS0_4arch9wavefront6targetE1EEEvSL_
    .private_segment_fixed_size: 0
    .sgpr_count:     4
    .sgpr_spill_count: 0
    .symbol:         _ZN7rocprim17ROCPRIM_400000_NS6detail17trampoline_kernelINS0_14default_configENS1_22reduce_config_selectorIiEEZNS1_11reduce_implILb1ES3_N6thrust23THRUST_200600_302600_NS11hip_rocprim35transform_pair_of_input_iterators_tIiPhSB_NS8_12not_equal_toIhEEEEPiiNS8_4plusIiEEEE10hipError_tPvRmT1_T2_T3_mT4_P12ihipStream_tbEUlT_E1_NS1_11comp_targetILNS1_3genE10ELNS1_11target_archE1200ELNS1_3gpuE4ELNS1_3repE0EEENS1_30default_config_static_selectorELNS0_4arch9wavefront6targetE1EEEvSL_.kd
    .uniform_work_group_size: 1
    .uses_dynamic_stack: false
    .vgpr_count:     0
    .vgpr_spill_count: 0
    .wavefront_size: 64
  - .args:
      - .offset:         0
        .size:           56
        .value_kind:     by_value
    .group_segment_fixed_size: 0
    .kernarg_segment_align: 8
    .kernarg_segment_size: 56
    .language:       OpenCL C
    .language_version:
      - 2
      - 0
    .max_flat_workgroup_size: 256
    .name:           _ZN7rocprim17ROCPRIM_400000_NS6detail17trampoline_kernelINS0_14default_configENS1_22reduce_config_selectorIiEEZNS1_11reduce_implILb1ES3_N6thrust23THRUST_200600_302600_NS11hip_rocprim35transform_pair_of_input_iterators_tIiPhSB_NS8_12not_equal_toIhEEEEPiiNS8_4plusIiEEEE10hipError_tPvRmT1_T2_T3_mT4_P12ihipStream_tbEUlT_E1_NS1_11comp_targetILNS1_3genE9ELNS1_11target_archE1100ELNS1_3gpuE3ELNS1_3repE0EEENS1_30default_config_static_selectorELNS0_4arch9wavefront6targetE1EEEvSL_
    .private_segment_fixed_size: 0
    .sgpr_count:     4
    .sgpr_spill_count: 0
    .symbol:         _ZN7rocprim17ROCPRIM_400000_NS6detail17trampoline_kernelINS0_14default_configENS1_22reduce_config_selectorIiEEZNS1_11reduce_implILb1ES3_N6thrust23THRUST_200600_302600_NS11hip_rocprim35transform_pair_of_input_iterators_tIiPhSB_NS8_12not_equal_toIhEEEEPiiNS8_4plusIiEEEE10hipError_tPvRmT1_T2_T3_mT4_P12ihipStream_tbEUlT_E1_NS1_11comp_targetILNS1_3genE9ELNS1_11target_archE1100ELNS1_3gpuE3ELNS1_3repE0EEENS1_30default_config_static_selectorELNS0_4arch9wavefront6targetE1EEEvSL_.kd
    .uniform_work_group_size: 1
    .uses_dynamic_stack: false
    .vgpr_count:     0
    .vgpr_spill_count: 0
    .wavefront_size: 64
  - .args:
      - .offset:         0
        .size:           56
        .value_kind:     by_value
    .group_segment_fixed_size: 0
    .kernarg_segment_align: 8
    .kernarg_segment_size: 56
    .language:       OpenCL C
    .language_version:
      - 2
      - 0
    .max_flat_workgroup_size: 256
    .name:           _ZN7rocprim17ROCPRIM_400000_NS6detail17trampoline_kernelINS0_14default_configENS1_22reduce_config_selectorIiEEZNS1_11reduce_implILb1ES3_N6thrust23THRUST_200600_302600_NS11hip_rocprim35transform_pair_of_input_iterators_tIiPhSB_NS8_12not_equal_toIhEEEEPiiNS8_4plusIiEEEE10hipError_tPvRmT1_T2_T3_mT4_P12ihipStream_tbEUlT_E1_NS1_11comp_targetILNS1_3genE8ELNS1_11target_archE1030ELNS1_3gpuE2ELNS1_3repE0EEENS1_30default_config_static_selectorELNS0_4arch9wavefront6targetE1EEEvSL_
    .private_segment_fixed_size: 0
    .sgpr_count:     4
    .sgpr_spill_count: 0
    .symbol:         _ZN7rocprim17ROCPRIM_400000_NS6detail17trampoline_kernelINS0_14default_configENS1_22reduce_config_selectorIiEEZNS1_11reduce_implILb1ES3_N6thrust23THRUST_200600_302600_NS11hip_rocprim35transform_pair_of_input_iterators_tIiPhSB_NS8_12not_equal_toIhEEEEPiiNS8_4plusIiEEEE10hipError_tPvRmT1_T2_T3_mT4_P12ihipStream_tbEUlT_E1_NS1_11comp_targetILNS1_3genE8ELNS1_11target_archE1030ELNS1_3gpuE2ELNS1_3repE0EEENS1_30default_config_static_selectorELNS0_4arch9wavefront6targetE1EEEvSL_.kd
    .uniform_work_group_size: 1
    .uses_dynamic_stack: false
    .vgpr_count:     0
    .vgpr_spill_count: 0
    .wavefront_size: 64
  - .args:
      - .offset:         0
        .size:           48
        .value_kind:     by_value
    .group_segment_fixed_size: 0
    .kernarg_segment_align: 8
    .kernarg_segment_size: 48
    .language:       OpenCL C
    .language_version:
      - 2
      - 0
    .max_flat_workgroup_size: 128
    .name:           _ZN7rocprim17ROCPRIM_400000_NS6detail17trampoline_kernelINS0_14default_configENS1_25transform_config_selectorImLb0EEEZNS1_14transform_implILb0ES3_S5_NS0_17constant_iteratorImlEEPmNS0_8identityImEEEE10hipError_tT2_T3_mT4_P12ihipStream_tbEUlT_E_NS1_11comp_targetILNS1_3genE0ELNS1_11target_archE4294967295ELNS1_3gpuE0ELNS1_3repE0EEENS1_30default_config_static_selectorELNS0_4arch9wavefront6targetE1EEEvT1_
    .private_segment_fixed_size: 0
    .sgpr_count:     4
    .sgpr_spill_count: 0
    .symbol:         _ZN7rocprim17ROCPRIM_400000_NS6detail17trampoline_kernelINS0_14default_configENS1_25transform_config_selectorImLb0EEEZNS1_14transform_implILb0ES3_S5_NS0_17constant_iteratorImlEEPmNS0_8identityImEEEE10hipError_tT2_T3_mT4_P12ihipStream_tbEUlT_E_NS1_11comp_targetILNS1_3genE0ELNS1_11target_archE4294967295ELNS1_3gpuE0ELNS1_3repE0EEENS1_30default_config_static_selectorELNS0_4arch9wavefront6targetE1EEEvT1_.kd
    .uniform_work_group_size: 1
    .uses_dynamic_stack: false
    .vgpr_count:     0
    .vgpr_spill_count: 0
    .wavefront_size: 64
  - .args:
      - .offset:         0
        .size:           48
        .value_kind:     by_value
    .group_segment_fixed_size: 0
    .kernarg_segment_align: 8
    .kernarg_segment_size: 48
    .language:       OpenCL C
    .language_version:
      - 2
      - 0
    .max_flat_workgroup_size: 512
    .name:           _ZN7rocprim17ROCPRIM_400000_NS6detail17trampoline_kernelINS0_14default_configENS1_25transform_config_selectorImLb0EEEZNS1_14transform_implILb0ES3_S5_NS0_17constant_iteratorImlEEPmNS0_8identityImEEEE10hipError_tT2_T3_mT4_P12ihipStream_tbEUlT_E_NS1_11comp_targetILNS1_3genE5ELNS1_11target_archE942ELNS1_3gpuE9ELNS1_3repE0EEENS1_30default_config_static_selectorELNS0_4arch9wavefront6targetE1EEEvT1_
    .private_segment_fixed_size: 0
    .sgpr_count:     4
    .sgpr_spill_count: 0
    .symbol:         _ZN7rocprim17ROCPRIM_400000_NS6detail17trampoline_kernelINS0_14default_configENS1_25transform_config_selectorImLb0EEEZNS1_14transform_implILb0ES3_S5_NS0_17constant_iteratorImlEEPmNS0_8identityImEEEE10hipError_tT2_T3_mT4_P12ihipStream_tbEUlT_E_NS1_11comp_targetILNS1_3genE5ELNS1_11target_archE942ELNS1_3gpuE9ELNS1_3repE0EEENS1_30default_config_static_selectorELNS0_4arch9wavefront6targetE1EEEvT1_.kd
    .uniform_work_group_size: 1
    .uses_dynamic_stack: false
    .vgpr_count:     0
    .vgpr_spill_count: 0
    .wavefront_size: 64
  - .args:
      - .offset:         0
        .size:           48
        .value_kind:     by_value
    .group_segment_fixed_size: 0
    .kernarg_segment_align: 8
    .kernarg_segment_size: 48
    .language:       OpenCL C
    .language_version:
      - 2
      - 0
    .max_flat_workgroup_size: 256
    .name:           _ZN7rocprim17ROCPRIM_400000_NS6detail17trampoline_kernelINS0_14default_configENS1_25transform_config_selectorImLb0EEEZNS1_14transform_implILb0ES3_S5_NS0_17constant_iteratorImlEEPmNS0_8identityImEEEE10hipError_tT2_T3_mT4_P12ihipStream_tbEUlT_E_NS1_11comp_targetILNS1_3genE4ELNS1_11target_archE910ELNS1_3gpuE8ELNS1_3repE0EEENS1_30default_config_static_selectorELNS0_4arch9wavefront6targetE1EEEvT1_
    .private_segment_fixed_size: 0
    .sgpr_count:     4
    .sgpr_spill_count: 0
    .symbol:         _ZN7rocprim17ROCPRIM_400000_NS6detail17trampoline_kernelINS0_14default_configENS1_25transform_config_selectorImLb0EEEZNS1_14transform_implILb0ES3_S5_NS0_17constant_iteratorImlEEPmNS0_8identityImEEEE10hipError_tT2_T3_mT4_P12ihipStream_tbEUlT_E_NS1_11comp_targetILNS1_3genE4ELNS1_11target_archE910ELNS1_3gpuE8ELNS1_3repE0EEENS1_30default_config_static_selectorELNS0_4arch9wavefront6targetE1EEEvT1_.kd
    .uniform_work_group_size: 1
    .uses_dynamic_stack: false
    .vgpr_count:     0
    .vgpr_spill_count: 0
    .wavefront_size: 64
  - .args:
      - .offset:         0
        .size:           48
        .value_kind:     by_value
    .group_segment_fixed_size: 0
    .kernarg_segment_align: 8
    .kernarg_segment_size: 48
    .language:       OpenCL C
    .language_version:
      - 2
      - 0
    .max_flat_workgroup_size: 128
    .name:           _ZN7rocprim17ROCPRIM_400000_NS6detail17trampoline_kernelINS0_14default_configENS1_25transform_config_selectorImLb0EEEZNS1_14transform_implILb0ES3_S5_NS0_17constant_iteratorImlEEPmNS0_8identityImEEEE10hipError_tT2_T3_mT4_P12ihipStream_tbEUlT_E_NS1_11comp_targetILNS1_3genE3ELNS1_11target_archE908ELNS1_3gpuE7ELNS1_3repE0EEENS1_30default_config_static_selectorELNS0_4arch9wavefront6targetE1EEEvT1_
    .private_segment_fixed_size: 0
    .sgpr_count:     4
    .sgpr_spill_count: 0
    .symbol:         _ZN7rocprim17ROCPRIM_400000_NS6detail17trampoline_kernelINS0_14default_configENS1_25transform_config_selectorImLb0EEEZNS1_14transform_implILb0ES3_S5_NS0_17constant_iteratorImlEEPmNS0_8identityImEEEE10hipError_tT2_T3_mT4_P12ihipStream_tbEUlT_E_NS1_11comp_targetILNS1_3genE3ELNS1_11target_archE908ELNS1_3gpuE7ELNS1_3repE0EEENS1_30default_config_static_selectorELNS0_4arch9wavefront6targetE1EEEvT1_.kd
    .uniform_work_group_size: 1
    .uses_dynamic_stack: false
    .vgpr_count:     0
    .vgpr_spill_count: 0
    .wavefront_size: 64
  - .args:
      - .offset:         0
        .size:           48
        .value_kind:     by_value
      - .offset:         48
        .size:           4
        .value_kind:     hidden_block_count_x
      - .offset:         52
        .size:           4
        .value_kind:     hidden_block_count_y
      - .offset:         56
        .size:           4
        .value_kind:     hidden_block_count_z
      - .offset:         60
        .size:           2
        .value_kind:     hidden_group_size_x
      - .offset:         62
        .size:           2
        .value_kind:     hidden_group_size_y
      - .offset:         64
        .size:           2
        .value_kind:     hidden_group_size_z
      - .offset:         66
        .size:           2
        .value_kind:     hidden_remainder_x
      - .offset:         68
        .size:           2
        .value_kind:     hidden_remainder_y
      - .offset:         70
        .size:           2
        .value_kind:     hidden_remainder_z
      - .offset:         88
        .size:           8
        .value_kind:     hidden_global_offset_x
      - .offset:         96
        .size:           8
        .value_kind:     hidden_global_offset_y
      - .offset:         104
        .size:           8
        .value_kind:     hidden_global_offset_z
      - .offset:         112
        .size:           2
        .value_kind:     hidden_grid_dims
    .group_segment_fixed_size: 0
    .kernarg_segment_align: 8
    .kernarg_segment_size: 304
    .language:       OpenCL C
    .language_version:
      - 2
      - 0
    .max_flat_workgroup_size: 512
    .name:           _ZN7rocprim17ROCPRIM_400000_NS6detail17trampoline_kernelINS0_14default_configENS1_25transform_config_selectorImLb0EEEZNS1_14transform_implILb0ES3_S5_NS0_17constant_iteratorImlEEPmNS0_8identityImEEEE10hipError_tT2_T3_mT4_P12ihipStream_tbEUlT_E_NS1_11comp_targetILNS1_3genE2ELNS1_11target_archE906ELNS1_3gpuE6ELNS1_3repE0EEENS1_30default_config_static_selectorELNS0_4arch9wavefront6targetE1EEEvT1_
    .private_segment_fixed_size: 0
    .sgpr_count:     14
    .sgpr_spill_count: 0
    .symbol:         _ZN7rocprim17ROCPRIM_400000_NS6detail17trampoline_kernelINS0_14default_configENS1_25transform_config_selectorImLb0EEEZNS1_14transform_implILb0ES3_S5_NS0_17constant_iteratorImlEEPmNS0_8identityImEEEE10hipError_tT2_T3_mT4_P12ihipStream_tbEUlT_E_NS1_11comp_targetILNS1_3genE2ELNS1_11target_archE906ELNS1_3gpuE6ELNS1_3repE0EEENS1_30default_config_static_selectorELNS0_4arch9wavefront6targetE1EEEvT1_.kd
    .uniform_work_group_size: 1
    .uses_dynamic_stack: false
    .vgpr_count:     3
    .vgpr_spill_count: 0
    .wavefront_size: 64
  - .args:
      - .offset:         0
        .size:           48
        .value_kind:     by_value
    .group_segment_fixed_size: 0
    .kernarg_segment_align: 8
    .kernarg_segment_size: 48
    .language:       OpenCL C
    .language_version:
      - 2
      - 0
    .max_flat_workgroup_size: 1024
    .name:           _ZN7rocprim17ROCPRIM_400000_NS6detail17trampoline_kernelINS0_14default_configENS1_25transform_config_selectorImLb0EEEZNS1_14transform_implILb0ES3_S5_NS0_17constant_iteratorImlEEPmNS0_8identityImEEEE10hipError_tT2_T3_mT4_P12ihipStream_tbEUlT_E_NS1_11comp_targetILNS1_3genE10ELNS1_11target_archE1201ELNS1_3gpuE5ELNS1_3repE0EEENS1_30default_config_static_selectorELNS0_4arch9wavefront6targetE1EEEvT1_
    .private_segment_fixed_size: 0
    .sgpr_count:     4
    .sgpr_spill_count: 0
    .symbol:         _ZN7rocprim17ROCPRIM_400000_NS6detail17trampoline_kernelINS0_14default_configENS1_25transform_config_selectorImLb0EEEZNS1_14transform_implILb0ES3_S5_NS0_17constant_iteratorImlEEPmNS0_8identityImEEEE10hipError_tT2_T3_mT4_P12ihipStream_tbEUlT_E_NS1_11comp_targetILNS1_3genE10ELNS1_11target_archE1201ELNS1_3gpuE5ELNS1_3repE0EEENS1_30default_config_static_selectorELNS0_4arch9wavefront6targetE1EEEvT1_.kd
    .uniform_work_group_size: 1
    .uses_dynamic_stack: false
    .vgpr_count:     0
    .vgpr_spill_count: 0
    .wavefront_size: 64
  - .args:
      - .offset:         0
        .size:           48
        .value_kind:     by_value
    .group_segment_fixed_size: 0
    .kernarg_segment_align: 8
    .kernarg_segment_size: 48
    .language:       OpenCL C
    .language_version:
      - 2
      - 0
    .max_flat_workgroup_size: 512
    .name:           _ZN7rocprim17ROCPRIM_400000_NS6detail17trampoline_kernelINS0_14default_configENS1_25transform_config_selectorImLb0EEEZNS1_14transform_implILb0ES3_S5_NS0_17constant_iteratorImlEEPmNS0_8identityImEEEE10hipError_tT2_T3_mT4_P12ihipStream_tbEUlT_E_NS1_11comp_targetILNS1_3genE10ELNS1_11target_archE1200ELNS1_3gpuE4ELNS1_3repE0EEENS1_30default_config_static_selectorELNS0_4arch9wavefront6targetE1EEEvT1_
    .private_segment_fixed_size: 0
    .sgpr_count:     4
    .sgpr_spill_count: 0
    .symbol:         _ZN7rocprim17ROCPRIM_400000_NS6detail17trampoline_kernelINS0_14default_configENS1_25transform_config_selectorImLb0EEEZNS1_14transform_implILb0ES3_S5_NS0_17constant_iteratorImlEEPmNS0_8identityImEEEE10hipError_tT2_T3_mT4_P12ihipStream_tbEUlT_E_NS1_11comp_targetILNS1_3genE10ELNS1_11target_archE1200ELNS1_3gpuE4ELNS1_3repE0EEENS1_30default_config_static_selectorELNS0_4arch9wavefront6targetE1EEEvT1_.kd
    .uniform_work_group_size: 1
    .uses_dynamic_stack: false
    .vgpr_count:     0
    .vgpr_spill_count: 0
    .wavefront_size: 64
  - .args:
      - .offset:         0
        .size:           48
        .value_kind:     by_value
    .group_segment_fixed_size: 0
    .kernarg_segment_align: 8
    .kernarg_segment_size: 48
    .language:       OpenCL C
    .language_version:
      - 2
      - 0
    .max_flat_workgroup_size: 512
    .name:           _ZN7rocprim17ROCPRIM_400000_NS6detail17trampoline_kernelINS0_14default_configENS1_25transform_config_selectorImLb0EEEZNS1_14transform_implILb0ES3_S5_NS0_17constant_iteratorImlEEPmNS0_8identityImEEEE10hipError_tT2_T3_mT4_P12ihipStream_tbEUlT_E_NS1_11comp_targetILNS1_3genE9ELNS1_11target_archE1100ELNS1_3gpuE3ELNS1_3repE0EEENS1_30default_config_static_selectorELNS0_4arch9wavefront6targetE1EEEvT1_
    .private_segment_fixed_size: 0
    .sgpr_count:     4
    .sgpr_spill_count: 0
    .symbol:         _ZN7rocprim17ROCPRIM_400000_NS6detail17trampoline_kernelINS0_14default_configENS1_25transform_config_selectorImLb0EEEZNS1_14transform_implILb0ES3_S5_NS0_17constant_iteratorImlEEPmNS0_8identityImEEEE10hipError_tT2_T3_mT4_P12ihipStream_tbEUlT_E_NS1_11comp_targetILNS1_3genE9ELNS1_11target_archE1100ELNS1_3gpuE3ELNS1_3repE0EEENS1_30default_config_static_selectorELNS0_4arch9wavefront6targetE1EEEvT1_.kd
    .uniform_work_group_size: 1
    .uses_dynamic_stack: false
    .vgpr_count:     0
    .vgpr_spill_count: 0
    .wavefront_size: 64
  - .args:
      - .offset:         0
        .size:           48
        .value_kind:     by_value
    .group_segment_fixed_size: 0
    .kernarg_segment_align: 8
    .kernarg_segment_size: 48
    .language:       OpenCL C
    .language_version:
      - 2
      - 0
    .max_flat_workgroup_size: 512
    .name:           _ZN7rocprim17ROCPRIM_400000_NS6detail17trampoline_kernelINS0_14default_configENS1_25transform_config_selectorImLb0EEEZNS1_14transform_implILb0ES3_S5_NS0_17constant_iteratorImlEEPmNS0_8identityImEEEE10hipError_tT2_T3_mT4_P12ihipStream_tbEUlT_E_NS1_11comp_targetILNS1_3genE8ELNS1_11target_archE1030ELNS1_3gpuE2ELNS1_3repE0EEENS1_30default_config_static_selectorELNS0_4arch9wavefront6targetE1EEEvT1_
    .private_segment_fixed_size: 0
    .sgpr_count:     4
    .sgpr_spill_count: 0
    .symbol:         _ZN7rocprim17ROCPRIM_400000_NS6detail17trampoline_kernelINS0_14default_configENS1_25transform_config_selectorImLb0EEEZNS1_14transform_implILb0ES3_S5_NS0_17constant_iteratorImlEEPmNS0_8identityImEEEE10hipError_tT2_T3_mT4_P12ihipStream_tbEUlT_E_NS1_11comp_targetILNS1_3genE8ELNS1_11target_archE1030ELNS1_3gpuE2ELNS1_3repE0EEENS1_30default_config_static_selectorELNS0_4arch9wavefront6targetE1EEEvT1_.kd
    .uniform_work_group_size: 1
    .uses_dynamic_stack: false
    .vgpr_count:     0
    .vgpr_spill_count: 0
    .wavefront_size: 64
  - .args:
      - .offset:         0
        .size:           24
        .value_kind:     by_value
      - .offset:         24
        .size:           4
        .value_kind:     by_value
      - .offset:         28
        .size:           1
        .value_kind:     by_value
      - .offset:         32
        .size:           4
        .value_kind:     by_value
      - .address_space:  global
        .offset:         40
        .size:           8
        .value_kind:     global_buffer
      - .address_space:  global
        .offset:         48
        .size:           8
        .value_kind:     global_buffer
      - .offset:         56
        .size:           1
        .value_kind:     by_value
      - .offset:         64
        .size:           4
        .value_kind:     hidden_block_count_x
      - .offset:         68
        .size:           4
        .value_kind:     hidden_block_count_y
      - .offset:         72
        .size:           4
        .value_kind:     hidden_block_count_z
      - .offset:         76
        .size:           2
        .value_kind:     hidden_group_size_x
      - .offset:         78
        .size:           2
        .value_kind:     hidden_group_size_y
      - .offset:         80
        .size:           2
        .value_kind:     hidden_group_size_z
      - .offset:         82
        .size:           2
        .value_kind:     hidden_remainder_x
      - .offset:         84
        .size:           2
        .value_kind:     hidden_remainder_y
      - .offset:         86
        .size:           2
        .value_kind:     hidden_remainder_z
      - .offset:         104
        .size:           8
        .value_kind:     hidden_global_offset_x
      - .offset:         112
        .size:           8
        .value_kind:     hidden_global_offset_y
      - .offset:         120
        .size:           8
        .value_kind:     hidden_global_offset_z
      - .offset:         128
        .size:           2
        .value_kind:     hidden_grid_dims
    .group_segment_fixed_size: 0
    .kernarg_segment_align: 8
    .kernarg_segment_size: 320
    .language:       OpenCL C
    .language_version:
      - 2
      - 0
    .max_flat_workgroup_size: 256
    .name:           _ZN7rocprim17ROCPRIM_400000_NS6detail25reduce_by_key_init_kernelINS1_19lookback_scan_stateINS0_5tupleIJjlEEELb0ELb0EEElNS1_16block_id_wrapperIjLb0EEEEEvT_jbjPmPT0_T1_
    .private_segment_fixed_size: 0
    .sgpr_count:     24
    .sgpr_spill_count: 0
    .symbol:         _ZN7rocprim17ROCPRIM_400000_NS6detail25reduce_by_key_init_kernelINS1_19lookback_scan_stateINS0_5tupleIJjlEEELb0ELb0EEElNS1_16block_id_wrapperIjLb0EEEEEvT_jbjPmPT0_T1_.kd
    .uniform_work_group_size: 1
    .uses_dynamic_stack: false
    .vgpr_count:     7
    .vgpr_spill_count: 0
    .wavefront_size: 64
  - .args:
      - .offset:         0
        .size:           144
        .value_kind:     by_value
    .group_segment_fixed_size: 0
    .kernarg_segment_align: 8
    .kernarg_segment_size: 144
    .language:       OpenCL C
    .language_version:
      - 2
      - 0
    .max_flat_workgroup_size: 256
    .name:           _ZN7rocprim17ROCPRIM_400000_NS6detail17trampoline_kernelINS0_14default_configENS1_29reduce_by_key_config_selectorIhlN6thrust23THRUST_200600_302600_NS4plusIlEEEEZZNS1_33reduce_by_key_impl_wrapped_configILNS1_25lookback_scan_determinismE0ES3_S9_PhNS6_17constant_iteratorIiNS6_11use_defaultESE_EENS6_10device_ptrIhEENSG_IlEEPmS8_NS6_8equal_toIhEEEE10hipError_tPvRmT2_T3_mT4_T5_T6_T7_T8_P12ihipStream_tbENKUlT_T0_E_clISt17integral_constantIbLb0EES13_EEDaSY_SZ_EUlSY_E_NS1_11comp_targetILNS1_3genE0ELNS1_11target_archE4294967295ELNS1_3gpuE0ELNS1_3repE0EEENS1_30default_config_static_selectorELNS0_4arch9wavefront6targetE1EEEvT1_
    .private_segment_fixed_size: 0
    .sgpr_count:     4
    .sgpr_spill_count: 0
    .symbol:         _ZN7rocprim17ROCPRIM_400000_NS6detail17trampoline_kernelINS0_14default_configENS1_29reduce_by_key_config_selectorIhlN6thrust23THRUST_200600_302600_NS4plusIlEEEEZZNS1_33reduce_by_key_impl_wrapped_configILNS1_25lookback_scan_determinismE0ES3_S9_PhNS6_17constant_iteratorIiNS6_11use_defaultESE_EENS6_10device_ptrIhEENSG_IlEEPmS8_NS6_8equal_toIhEEEE10hipError_tPvRmT2_T3_mT4_T5_T6_T7_T8_P12ihipStream_tbENKUlT_T0_E_clISt17integral_constantIbLb0EES13_EEDaSY_SZ_EUlSY_E_NS1_11comp_targetILNS1_3genE0ELNS1_11target_archE4294967295ELNS1_3gpuE0ELNS1_3repE0EEENS1_30default_config_static_selectorELNS0_4arch9wavefront6targetE1EEEvT1_.kd
    .uniform_work_group_size: 1
    .uses_dynamic_stack: false
    .vgpr_count:     0
    .vgpr_spill_count: 0
    .wavefront_size: 64
  - .args:
      - .offset:         0
        .size:           144
        .value_kind:     by_value
    .group_segment_fixed_size: 0
    .kernarg_segment_align: 8
    .kernarg_segment_size: 144
    .language:       OpenCL C
    .language_version:
      - 2
      - 0
    .max_flat_workgroup_size: 256
    .name:           _ZN7rocprim17ROCPRIM_400000_NS6detail17trampoline_kernelINS0_14default_configENS1_29reduce_by_key_config_selectorIhlN6thrust23THRUST_200600_302600_NS4plusIlEEEEZZNS1_33reduce_by_key_impl_wrapped_configILNS1_25lookback_scan_determinismE0ES3_S9_PhNS6_17constant_iteratorIiNS6_11use_defaultESE_EENS6_10device_ptrIhEENSG_IlEEPmS8_NS6_8equal_toIhEEEE10hipError_tPvRmT2_T3_mT4_T5_T6_T7_T8_P12ihipStream_tbENKUlT_T0_E_clISt17integral_constantIbLb0EES13_EEDaSY_SZ_EUlSY_E_NS1_11comp_targetILNS1_3genE5ELNS1_11target_archE942ELNS1_3gpuE9ELNS1_3repE0EEENS1_30default_config_static_selectorELNS0_4arch9wavefront6targetE1EEEvT1_
    .private_segment_fixed_size: 0
    .sgpr_count:     4
    .sgpr_spill_count: 0
    .symbol:         _ZN7rocprim17ROCPRIM_400000_NS6detail17trampoline_kernelINS0_14default_configENS1_29reduce_by_key_config_selectorIhlN6thrust23THRUST_200600_302600_NS4plusIlEEEEZZNS1_33reduce_by_key_impl_wrapped_configILNS1_25lookback_scan_determinismE0ES3_S9_PhNS6_17constant_iteratorIiNS6_11use_defaultESE_EENS6_10device_ptrIhEENSG_IlEEPmS8_NS6_8equal_toIhEEEE10hipError_tPvRmT2_T3_mT4_T5_T6_T7_T8_P12ihipStream_tbENKUlT_T0_E_clISt17integral_constantIbLb0EES13_EEDaSY_SZ_EUlSY_E_NS1_11comp_targetILNS1_3genE5ELNS1_11target_archE942ELNS1_3gpuE9ELNS1_3repE0EEENS1_30default_config_static_selectorELNS0_4arch9wavefront6targetE1EEEvT1_.kd
    .uniform_work_group_size: 1
    .uses_dynamic_stack: false
    .vgpr_count:     0
    .vgpr_spill_count: 0
    .wavefront_size: 64
  - .args:
      - .offset:         0
        .size:           144
        .value_kind:     by_value
    .group_segment_fixed_size: 0
    .kernarg_segment_align: 8
    .kernarg_segment_size: 144
    .language:       OpenCL C
    .language_version:
      - 2
      - 0
    .max_flat_workgroup_size: 256
    .name:           _ZN7rocprim17ROCPRIM_400000_NS6detail17trampoline_kernelINS0_14default_configENS1_29reduce_by_key_config_selectorIhlN6thrust23THRUST_200600_302600_NS4plusIlEEEEZZNS1_33reduce_by_key_impl_wrapped_configILNS1_25lookback_scan_determinismE0ES3_S9_PhNS6_17constant_iteratorIiNS6_11use_defaultESE_EENS6_10device_ptrIhEENSG_IlEEPmS8_NS6_8equal_toIhEEEE10hipError_tPvRmT2_T3_mT4_T5_T6_T7_T8_P12ihipStream_tbENKUlT_T0_E_clISt17integral_constantIbLb0EES13_EEDaSY_SZ_EUlSY_E_NS1_11comp_targetILNS1_3genE4ELNS1_11target_archE910ELNS1_3gpuE8ELNS1_3repE0EEENS1_30default_config_static_selectorELNS0_4arch9wavefront6targetE1EEEvT1_
    .private_segment_fixed_size: 0
    .sgpr_count:     4
    .sgpr_spill_count: 0
    .symbol:         _ZN7rocprim17ROCPRIM_400000_NS6detail17trampoline_kernelINS0_14default_configENS1_29reduce_by_key_config_selectorIhlN6thrust23THRUST_200600_302600_NS4plusIlEEEEZZNS1_33reduce_by_key_impl_wrapped_configILNS1_25lookback_scan_determinismE0ES3_S9_PhNS6_17constant_iteratorIiNS6_11use_defaultESE_EENS6_10device_ptrIhEENSG_IlEEPmS8_NS6_8equal_toIhEEEE10hipError_tPvRmT2_T3_mT4_T5_T6_T7_T8_P12ihipStream_tbENKUlT_T0_E_clISt17integral_constantIbLb0EES13_EEDaSY_SZ_EUlSY_E_NS1_11comp_targetILNS1_3genE4ELNS1_11target_archE910ELNS1_3gpuE8ELNS1_3repE0EEENS1_30default_config_static_selectorELNS0_4arch9wavefront6targetE1EEEvT1_.kd
    .uniform_work_group_size: 1
    .uses_dynamic_stack: false
    .vgpr_count:     0
    .vgpr_spill_count: 0
    .wavefront_size: 64
  - .args:
      - .offset:         0
        .size:           144
        .value_kind:     by_value
    .group_segment_fixed_size: 0
    .kernarg_segment_align: 8
    .kernarg_segment_size: 144
    .language:       OpenCL C
    .language_version:
      - 2
      - 0
    .max_flat_workgroup_size: 256
    .name:           _ZN7rocprim17ROCPRIM_400000_NS6detail17trampoline_kernelINS0_14default_configENS1_29reduce_by_key_config_selectorIhlN6thrust23THRUST_200600_302600_NS4plusIlEEEEZZNS1_33reduce_by_key_impl_wrapped_configILNS1_25lookback_scan_determinismE0ES3_S9_PhNS6_17constant_iteratorIiNS6_11use_defaultESE_EENS6_10device_ptrIhEENSG_IlEEPmS8_NS6_8equal_toIhEEEE10hipError_tPvRmT2_T3_mT4_T5_T6_T7_T8_P12ihipStream_tbENKUlT_T0_E_clISt17integral_constantIbLb0EES13_EEDaSY_SZ_EUlSY_E_NS1_11comp_targetILNS1_3genE3ELNS1_11target_archE908ELNS1_3gpuE7ELNS1_3repE0EEENS1_30default_config_static_selectorELNS0_4arch9wavefront6targetE1EEEvT1_
    .private_segment_fixed_size: 0
    .sgpr_count:     4
    .sgpr_spill_count: 0
    .symbol:         _ZN7rocprim17ROCPRIM_400000_NS6detail17trampoline_kernelINS0_14default_configENS1_29reduce_by_key_config_selectorIhlN6thrust23THRUST_200600_302600_NS4plusIlEEEEZZNS1_33reduce_by_key_impl_wrapped_configILNS1_25lookback_scan_determinismE0ES3_S9_PhNS6_17constant_iteratorIiNS6_11use_defaultESE_EENS6_10device_ptrIhEENSG_IlEEPmS8_NS6_8equal_toIhEEEE10hipError_tPvRmT2_T3_mT4_T5_T6_T7_T8_P12ihipStream_tbENKUlT_T0_E_clISt17integral_constantIbLb0EES13_EEDaSY_SZ_EUlSY_E_NS1_11comp_targetILNS1_3genE3ELNS1_11target_archE908ELNS1_3gpuE7ELNS1_3repE0EEENS1_30default_config_static_selectorELNS0_4arch9wavefront6targetE1EEEvT1_.kd
    .uniform_work_group_size: 1
    .uses_dynamic_stack: false
    .vgpr_count:     0
    .vgpr_spill_count: 0
    .wavefront_size: 64
  - .args:
      - .offset:         0
        .size:           144
        .value_kind:     by_value
    .group_segment_fixed_size: 30720
    .kernarg_segment_align: 8
    .kernarg_segment_size: 144
    .language:       OpenCL C
    .language_version:
      - 2
      - 0
    .max_flat_workgroup_size: 256
    .name:           _ZN7rocprim17ROCPRIM_400000_NS6detail17trampoline_kernelINS0_14default_configENS1_29reduce_by_key_config_selectorIhlN6thrust23THRUST_200600_302600_NS4plusIlEEEEZZNS1_33reduce_by_key_impl_wrapped_configILNS1_25lookback_scan_determinismE0ES3_S9_PhNS6_17constant_iteratorIiNS6_11use_defaultESE_EENS6_10device_ptrIhEENSG_IlEEPmS8_NS6_8equal_toIhEEEE10hipError_tPvRmT2_T3_mT4_T5_T6_T7_T8_P12ihipStream_tbENKUlT_T0_E_clISt17integral_constantIbLb0EES13_EEDaSY_SZ_EUlSY_E_NS1_11comp_targetILNS1_3genE2ELNS1_11target_archE906ELNS1_3gpuE6ELNS1_3repE0EEENS1_30default_config_static_selectorELNS0_4arch9wavefront6targetE1EEEvT1_
    .private_segment_fixed_size: 64
    .sgpr_count:     70
    .sgpr_spill_count: 0
    .symbol:         _ZN7rocprim17ROCPRIM_400000_NS6detail17trampoline_kernelINS0_14default_configENS1_29reduce_by_key_config_selectorIhlN6thrust23THRUST_200600_302600_NS4plusIlEEEEZZNS1_33reduce_by_key_impl_wrapped_configILNS1_25lookback_scan_determinismE0ES3_S9_PhNS6_17constant_iteratorIiNS6_11use_defaultESE_EENS6_10device_ptrIhEENSG_IlEEPmS8_NS6_8equal_toIhEEEE10hipError_tPvRmT2_T3_mT4_T5_T6_T7_T8_P12ihipStream_tbENKUlT_T0_E_clISt17integral_constantIbLb0EES13_EEDaSY_SZ_EUlSY_E_NS1_11comp_targetILNS1_3genE2ELNS1_11target_archE906ELNS1_3gpuE6ELNS1_3repE0EEENS1_30default_config_static_selectorELNS0_4arch9wavefront6targetE1EEEvT1_.kd
    .uniform_work_group_size: 1
    .uses_dynamic_stack: false
    .vgpr_count:     115
    .vgpr_spill_count: 0
    .wavefront_size: 64
  - .args:
      - .offset:         0
        .size:           144
        .value_kind:     by_value
    .group_segment_fixed_size: 0
    .kernarg_segment_align: 8
    .kernarg_segment_size: 144
    .language:       OpenCL C
    .language_version:
      - 2
      - 0
    .max_flat_workgroup_size: 256
    .name:           _ZN7rocprim17ROCPRIM_400000_NS6detail17trampoline_kernelINS0_14default_configENS1_29reduce_by_key_config_selectorIhlN6thrust23THRUST_200600_302600_NS4plusIlEEEEZZNS1_33reduce_by_key_impl_wrapped_configILNS1_25lookback_scan_determinismE0ES3_S9_PhNS6_17constant_iteratorIiNS6_11use_defaultESE_EENS6_10device_ptrIhEENSG_IlEEPmS8_NS6_8equal_toIhEEEE10hipError_tPvRmT2_T3_mT4_T5_T6_T7_T8_P12ihipStream_tbENKUlT_T0_E_clISt17integral_constantIbLb0EES13_EEDaSY_SZ_EUlSY_E_NS1_11comp_targetILNS1_3genE10ELNS1_11target_archE1201ELNS1_3gpuE5ELNS1_3repE0EEENS1_30default_config_static_selectorELNS0_4arch9wavefront6targetE1EEEvT1_
    .private_segment_fixed_size: 0
    .sgpr_count:     4
    .sgpr_spill_count: 0
    .symbol:         _ZN7rocprim17ROCPRIM_400000_NS6detail17trampoline_kernelINS0_14default_configENS1_29reduce_by_key_config_selectorIhlN6thrust23THRUST_200600_302600_NS4plusIlEEEEZZNS1_33reduce_by_key_impl_wrapped_configILNS1_25lookback_scan_determinismE0ES3_S9_PhNS6_17constant_iteratorIiNS6_11use_defaultESE_EENS6_10device_ptrIhEENSG_IlEEPmS8_NS6_8equal_toIhEEEE10hipError_tPvRmT2_T3_mT4_T5_T6_T7_T8_P12ihipStream_tbENKUlT_T0_E_clISt17integral_constantIbLb0EES13_EEDaSY_SZ_EUlSY_E_NS1_11comp_targetILNS1_3genE10ELNS1_11target_archE1201ELNS1_3gpuE5ELNS1_3repE0EEENS1_30default_config_static_selectorELNS0_4arch9wavefront6targetE1EEEvT1_.kd
    .uniform_work_group_size: 1
    .uses_dynamic_stack: false
    .vgpr_count:     0
    .vgpr_spill_count: 0
    .wavefront_size: 64
  - .args:
      - .offset:         0
        .size:           144
        .value_kind:     by_value
    .group_segment_fixed_size: 0
    .kernarg_segment_align: 8
    .kernarg_segment_size: 144
    .language:       OpenCL C
    .language_version:
      - 2
      - 0
    .max_flat_workgroup_size: 256
    .name:           _ZN7rocprim17ROCPRIM_400000_NS6detail17trampoline_kernelINS0_14default_configENS1_29reduce_by_key_config_selectorIhlN6thrust23THRUST_200600_302600_NS4plusIlEEEEZZNS1_33reduce_by_key_impl_wrapped_configILNS1_25lookback_scan_determinismE0ES3_S9_PhNS6_17constant_iteratorIiNS6_11use_defaultESE_EENS6_10device_ptrIhEENSG_IlEEPmS8_NS6_8equal_toIhEEEE10hipError_tPvRmT2_T3_mT4_T5_T6_T7_T8_P12ihipStream_tbENKUlT_T0_E_clISt17integral_constantIbLb0EES13_EEDaSY_SZ_EUlSY_E_NS1_11comp_targetILNS1_3genE10ELNS1_11target_archE1200ELNS1_3gpuE4ELNS1_3repE0EEENS1_30default_config_static_selectorELNS0_4arch9wavefront6targetE1EEEvT1_
    .private_segment_fixed_size: 0
    .sgpr_count:     4
    .sgpr_spill_count: 0
    .symbol:         _ZN7rocprim17ROCPRIM_400000_NS6detail17trampoline_kernelINS0_14default_configENS1_29reduce_by_key_config_selectorIhlN6thrust23THRUST_200600_302600_NS4plusIlEEEEZZNS1_33reduce_by_key_impl_wrapped_configILNS1_25lookback_scan_determinismE0ES3_S9_PhNS6_17constant_iteratorIiNS6_11use_defaultESE_EENS6_10device_ptrIhEENSG_IlEEPmS8_NS6_8equal_toIhEEEE10hipError_tPvRmT2_T3_mT4_T5_T6_T7_T8_P12ihipStream_tbENKUlT_T0_E_clISt17integral_constantIbLb0EES13_EEDaSY_SZ_EUlSY_E_NS1_11comp_targetILNS1_3genE10ELNS1_11target_archE1200ELNS1_3gpuE4ELNS1_3repE0EEENS1_30default_config_static_selectorELNS0_4arch9wavefront6targetE1EEEvT1_.kd
    .uniform_work_group_size: 1
    .uses_dynamic_stack: false
    .vgpr_count:     0
    .vgpr_spill_count: 0
    .wavefront_size: 64
  - .args:
      - .offset:         0
        .size:           144
        .value_kind:     by_value
    .group_segment_fixed_size: 0
    .kernarg_segment_align: 8
    .kernarg_segment_size: 144
    .language:       OpenCL C
    .language_version:
      - 2
      - 0
    .max_flat_workgroup_size: 256
    .name:           _ZN7rocprim17ROCPRIM_400000_NS6detail17trampoline_kernelINS0_14default_configENS1_29reduce_by_key_config_selectorIhlN6thrust23THRUST_200600_302600_NS4plusIlEEEEZZNS1_33reduce_by_key_impl_wrapped_configILNS1_25lookback_scan_determinismE0ES3_S9_PhNS6_17constant_iteratorIiNS6_11use_defaultESE_EENS6_10device_ptrIhEENSG_IlEEPmS8_NS6_8equal_toIhEEEE10hipError_tPvRmT2_T3_mT4_T5_T6_T7_T8_P12ihipStream_tbENKUlT_T0_E_clISt17integral_constantIbLb0EES13_EEDaSY_SZ_EUlSY_E_NS1_11comp_targetILNS1_3genE9ELNS1_11target_archE1100ELNS1_3gpuE3ELNS1_3repE0EEENS1_30default_config_static_selectorELNS0_4arch9wavefront6targetE1EEEvT1_
    .private_segment_fixed_size: 0
    .sgpr_count:     4
    .sgpr_spill_count: 0
    .symbol:         _ZN7rocprim17ROCPRIM_400000_NS6detail17trampoline_kernelINS0_14default_configENS1_29reduce_by_key_config_selectorIhlN6thrust23THRUST_200600_302600_NS4plusIlEEEEZZNS1_33reduce_by_key_impl_wrapped_configILNS1_25lookback_scan_determinismE0ES3_S9_PhNS6_17constant_iteratorIiNS6_11use_defaultESE_EENS6_10device_ptrIhEENSG_IlEEPmS8_NS6_8equal_toIhEEEE10hipError_tPvRmT2_T3_mT4_T5_T6_T7_T8_P12ihipStream_tbENKUlT_T0_E_clISt17integral_constantIbLb0EES13_EEDaSY_SZ_EUlSY_E_NS1_11comp_targetILNS1_3genE9ELNS1_11target_archE1100ELNS1_3gpuE3ELNS1_3repE0EEENS1_30default_config_static_selectorELNS0_4arch9wavefront6targetE1EEEvT1_.kd
    .uniform_work_group_size: 1
    .uses_dynamic_stack: false
    .vgpr_count:     0
    .vgpr_spill_count: 0
    .wavefront_size: 64
  - .args:
      - .offset:         0
        .size:           144
        .value_kind:     by_value
    .group_segment_fixed_size: 0
    .kernarg_segment_align: 8
    .kernarg_segment_size: 144
    .language:       OpenCL C
    .language_version:
      - 2
      - 0
    .max_flat_workgroup_size: 256
    .name:           _ZN7rocprim17ROCPRIM_400000_NS6detail17trampoline_kernelINS0_14default_configENS1_29reduce_by_key_config_selectorIhlN6thrust23THRUST_200600_302600_NS4plusIlEEEEZZNS1_33reduce_by_key_impl_wrapped_configILNS1_25lookback_scan_determinismE0ES3_S9_PhNS6_17constant_iteratorIiNS6_11use_defaultESE_EENS6_10device_ptrIhEENSG_IlEEPmS8_NS6_8equal_toIhEEEE10hipError_tPvRmT2_T3_mT4_T5_T6_T7_T8_P12ihipStream_tbENKUlT_T0_E_clISt17integral_constantIbLb0EES13_EEDaSY_SZ_EUlSY_E_NS1_11comp_targetILNS1_3genE8ELNS1_11target_archE1030ELNS1_3gpuE2ELNS1_3repE0EEENS1_30default_config_static_selectorELNS0_4arch9wavefront6targetE1EEEvT1_
    .private_segment_fixed_size: 0
    .sgpr_count:     4
    .sgpr_spill_count: 0
    .symbol:         _ZN7rocprim17ROCPRIM_400000_NS6detail17trampoline_kernelINS0_14default_configENS1_29reduce_by_key_config_selectorIhlN6thrust23THRUST_200600_302600_NS4plusIlEEEEZZNS1_33reduce_by_key_impl_wrapped_configILNS1_25lookback_scan_determinismE0ES3_S9_PhNS6_17constant_iteratorIiNS6_11use_defaultESE_EENS6_10device_ptrIhEENSG_IlEEPmS8_NS6_8equal_toIhEEEE10hipError_tPvRmT2_T3_mT4_T5_T6_T7_T8_P12ihipStream_tbENKUlT_T0_E_clISt17integral_constantIbLb0EES13_EEDaSY_SZ_EUlSY_E_NS1_11comp_targetILNS1_3genE8ELNS1_11target_archE1030ELNS1_3gpuE2ELNS1_3repE0EEENS1_30default_config_static_selectorELNS0_4arch9wavefront6targetE1EEEvT1_.kd
    .uniform_work_group_size: 1
    .uses_dynamic_stack: false
    .vgpr_count:     0
    .vgpr_spill_count: 0
    .wavefront_size: 64
  - .args:
      - .offset:         0
        .size:           24
        .value_kind:     by_value
      - .offset:         24
        .size:           4
        .value_kind:     by_value
      - .offset:         28
        .size:           1
        .value_kind:     by_value
      - .offset:         32
        .size:           4
        .value_kind:     by_value
      - .address_space:  global
        .offset:         40
        .size:           8
        .value_kind:     global_buffer
      - .address_space:  global
        .offset:         48
        .size:           8
        .value_kind:     global_buffer
      - .address_space:  global
        .offset:         56
        .size:           8
        .value_kind:     global_buffer
      - .offset:         64
        .size:           4
        .value_kind:     hidden_block_count_x
      - .offset:         68
        .size:           4
        .value_kind:     hidden_block_count_y
      - .offset:         72
        .size:           4
        .value_kind:     hidden_block_count_z
      - .offset:         76
        .size:           2
        .value_kind:     hidden_group_size_x
      - .offset:         78
        .size:           2
        .value_kind:     hidden_group_size_y
      - .offset:         80
        .size:           2
        .value_kind:     hidden_group_size_z
      - .offset:         82
        .size:           2
        .value_kind:     hidden_remainder_x
      - .offset:         84
        .size:           2
        .value_kind:     hidden_remainder_y
      - .offset:         86
        .size:           2
        .value_kind:     hidden_remainder_z
      - .offset:         104
        .size:           8
        .value_kind:     hidden_global_offset_x
      - .offset:         112
        .size:           8
        .value_kind:     hidden_global_offset_y
      - .offset:         120
        .size:           8
        .value_kind:     hidden_global_offset_z
      - .offset:         128
        .size:           2
        .value_kind:     hidden_grid_dims
    .group_segment_fixed_size: 0
    .kernarg_segment_align: 8
    .kernarg_segment_size: 320
    .language:       OpenCL C
    .language_version:
      - 2
      - 0
    .max_flat_workgroup_size: 256
    .name:           _ZN7rocprim17ROCPRIM_400000_NS6detail25reduce_by_key_init_kernelINS1_19lookback_scan_stateINS0_5tupleIJjlEEELb1ELb0EEElNS1_16block_id_wrapperIjLb1EEEEEvT_jbjPmPT0_T1_
    .private_segment_fixed_size: 0
    .sgpr_count:     26
    .sgpr_spill_count: 0
    .symbol:         _ZN7rocprim17ROCPRIM_400000_NS6detail25reduce_by_key_init_kernelINS1_19lookback_scan_stateINS0_5tupleIJjlEEELb1ELb0EEElNS1_16block_id_wrapperIjLb1EEEEEvT_jbjPmPT0_T1_.kd
    .uniform_work_group_size: 1
    .uses_dynamic_stack: false
    .vgpr_count:     7
    .vgpr_spill_count: 0
    .wavefront_size: 64
  - .args:
      - .offset:         0
        .size:           144
        .value_kind:     by_value
    .group_segment_fixed_size: 0
    .kernarg_segment_align: 8
    .kernarg_segment_size: 144
    .language:       OpenCL C
    .language_version:
      - 2
      - 0
    .max_flat_workgroup_size: 256
    .name:           _ZN7rocprim17ROCPRIM_400000_NS6detail17trampoline_kernelINS0_14default_configENS1_29reduce_by_key_config_selectorIhlN6thrust23THRUST_200600_302600_NS4plusIlEEEEZZNS1_33reduce_by_key_impl_wrapped_configILNS1_25lookback_scan_determinismE0ES3_S9_PhNS6_17constant_iteratorIiNS6_11use_defaultESE_EENS6_10device_ptrIhEENSG_IlEEPmS8_NS6_8equal_toIhEEEE10hipError_tPvRmT2_T3_mT4_T5_T6_T7_T8_P12ihipStream_tbENKUlT_T0_E_clISt17integral_constantIbLb1EES13_EEDaSY_SZ_EUlSY_E_NS1_11comp_targetILNS1_3genE0ELNS1_11target_archE4294967295ELNS1_3gpuE0ELNS1_3repE0EEENS1_30default_config_static_selectorELNS0_4arch9wavefront6targetE1EEEvT1_
    .private_segment_fixed_size: 0
    .sgpr_count:     4
    .sgpr_spill_count: 0
    .symbol:         _ZN7rocprim17ROCPRIM_400000_NS6detail17trampoline_kernelINS0_14default_configENS1_29reduce_by_key_config_selectorIhlN6thrust23THRUST_200600_302600_NS4plusIlEEEEZZNS1_33reduce_by_key_impl_wrapped_configILNS1_25lookback_scan_determinismE0ES3_S9_PhNS6_17constant_iteratorIiNS6_11use_defaultESE_EENS6_10device_ptrIhEENSG_IlEEPmS8_NS6_8equal_toIhEEEE10hipError_tPvRmT2_T3_mT4_T5_T6_T7_T8_P12ihipStream_tbENKUlT_T0_E_clISt17integral_constantIbLb1EES13_EEDaSY_SZ_EUlSY_E_NS1_11comp_targetILNS1_3genE0ELNS1_11target_archE4294967295ELNS1_3gpuE0ELNS1_3repE0EEENS1_30default_config_static_selectorELNS0_4arch9wavefront6targetE1EEEvT1_.kd
    .uniform_work_group_size: 1
    .uses_dynamic_stack: false
    .vgpr_count:     0
    .vgpr_spill_count: 0
    .wavefront_size: 64
  - .args:
      - .offset:         0
        .size:           144
        .value_kind:     by_value
    .group_segment_fixed_size: 0
    .kernarg_segment_align: 8
    .kernarg_segment_size: 144
    .language:       OpenCL C
    .language_version:
      - 2
      - 0
    .max_flat_workgroup_size: 256
    .name:           _ZN7rocprim17ROCPRIM_400000_NS6detail17trampoline_kernelINS0_14default_configENS1_29reduce_by_key_config_selectorIhlN6thrust23THRUST_200600_302600_NS4plusIlEEEEZZNS1_33reduce_by_key_impl_wrapped_configILNS1_25lookback_scan_determinismE0ES3_S9_PhNS6_17constant_iteratorIiNS6_11use_defaultESE_EENS6_10device_ptrIhEENSG_IlEEPmS8_NS6_8equal_toIhEEEE10hipError_tPvRmT2_T3_mT4_T5_T6_T7_T8_P12ihipStream_tbENKUlT_T0_E_clISt17integral_constantIbLb1EES13_EEDaSY_SZ_EUlSY_E_NS1_11comp_targetILNS1_3genE5ELNS1_11target_archE942ELNS1_3gpuE9ELNS1_3repE0EEENS1_30default_config_static_selectorELNS0_4arch9wavefront6targetE1EEEvT1_
    .private_segment_fixed_size: 0
    .sgpr_count:     4
    .sgpr_spill_count: 0
    .symbol:         _ZN7rocprim17ROCPRIM_400000_NS6detail17trampoline_kernelINS0_14default_configENS1_29reduce_by_key_config_selectorIhlN6thrust23THRUST_200600_302600_NS4plusIlEEEEZZNS1_33reduce_by_key_impl_wrapped_configILNS1_25lookback_scan_determinismE0ES3_S9_PhNS6_17constant_iteratorIiNS6_11use_defaultESE_EENS6_10device_ptrIhEENSG_IlEEPmS8_NS6_8equal_toIhEEEE10hipError_tPvRmT2_T3_mT4_T5_T6_T7_T8_P12ihipStream_tbENKUlT_T0_E_clISt17integral_constantIbLb1EES13_EEDaSY_SZ_EUlSY_E_NS1_11comp_targetILNS1_3genE5ELNS1_11target_archE942ELNS1_3gpuE9ELNS1_3repE0EEENS1_30default_config_static_selectorELNS0_4arch9wavefront6targetE1EEEvT1_.kd
    .uniform_work_group_size: 1
    .uses_dynamic_stack: false
    .vgpr_count:     0
    .vgpr_spill_count: 0
    .wavefront_size: 64
  - .args:
      - .offset:         0
        .size:           144
        .value_kind:     by_value
    .group_segment_fixed_size: 0
    .kernarg_segment_align: 8
    .kernarg_segment_size: 144
    .language:       OpenCL C
    .language_version:
      - 2
      - 0
    .max_flat_workgroup_size: 256
    .name:           _ZN7rocprim17ROCPRIM_400000_NS6detail17trampoline_kernelINS0_14default_configENS1_29reduce_by_key_config_selectorIhlN6thrust23THRUST_200600_302600_NS4plusIlEEEEZZNS1_33reduce_by_key_impl_wrapped_configILNS1_25lookback_scan_determinismE0ES3_S9_PhNS6_17constant_iteratorIiNS6_11use_defaultESE_EENS6_10device_ptrIhEENSG_IlEEPmS8_NS6_8equal_toIhEEEE10hipError_tPvRmT2_T3_mT4_T5_T6_T7_T8_P12ihipStream_tbENKUlT_T0_E_clISt17integral_constantIbLb1EES13_EEDaSY_SZ_EUlSY_E_NS1_11comp_targetILNS1_3genE4ELNS1_11target_archE910ELNS1_3gpuE8ELNS1_3repE0EEENS1_30default_config_static_selectorELNS0_4arch9wavefront6targetE1EEEvT1_
    .private_segment_fixed_size: 0
    .sgpr_count:     4
    .sgpr_spill_count: 0
    .symbol:         _ZN7rocprim17ROCPRIM_400000_NS6detail17trampoline_kernelINS0_14default_configENS1_29reduce_by_key_config_selectorIhlN6thrust23THRUST_200600_302600_NS4plusIlEEEEZZNS1_33reduce_by_key_impl_wrapped_configILNS1_25lookback_scan_determinismE0ES3_S9_PhNS6_17constant_iteratorIiNS6_11use_defaultESE_EENS6_10device_ptrIhEENSG_IlEEPmS8_NS6_8equal_toIhEEEE10hipError_tPvRmT2_T3_mT4_T5_T6_T7_T8_P12ihipStream_tbENKUlT_T0_E_clISt17integral_constantIbLb1EES13_EEDaSY_SZ_EUlSY_E_NS1_11comp_targetILNS1_3genE4ELNS1_11target_archE910ELNS1_3gpuE8ELNS1_3repE0EEENS1_30default_config_static_selectorELNS0_4arch9wavefront6targetE1EEEvT1_.kd
    .uniform_work_group_size: 1
    .uses_dynamic_stack: false
    .vgpr_count:     0
    .vgpr_spill_count: 0
    .wavefront_size: 64
  - .args:
      - .offset:         0
        .size:           144
        .value_kind:     by_value
    .group_segment_fixed_size: 0
    .kernarg_segment_align: 8
    .kernarg_segment_size: 144
    .language:       OpenCL C
    .language_version:
      - 2
      - 0
    .max_flat_workgroup_size: 256
    .name:           _ZN7rocprim17ROCPRIM_400000_NS6detail17trampoline_kernelINS0_14default_configENS1_29reduce_by_key_config_selectorIhlN6thrust23THRUST_200600_302600_NS4plusIlEEEEZZNS1_33reduce_by_key_impl_wrapped_configILNS1_25lookback_scan_determinismE0ES3_S9_PhNS6_17constant_iteratorIiNS6_11use_defaultESE_EENS6_10device_ptrIhEENSG_IlEEPmS8_NS6_8equal_toIhEEEE10hipError_tPvRmT2_T3_mT4_T5_T6_T7_T8_P12ihipStream_tbENKUlT_T0_E_clISt17integral_constantIbLb1EES13_EEDaSY_SZ_EUlSY_E_NS1_11comp_targetILNS1_3genE3ELNS1_11target_archE908ELNS1_3gpuE7ELNS1_3repE0EEENS1_30default_config_static_selectorELNS0_4arch9wavefront6targetE1EEEvT1_
    .private_segment_fixed_size: 0
    .sgpr_count:     4
    .sgpr_spill_count: 0
    .symbol:         _ZN7rocprim17ROCPRIM_400000_NS6detail17trampoline_kernelINS0_14default_configENS1_29reduce_by_key_config_selectorIhlN6thrust23THRUST_200600_302600_NS4plusIlEEEEZZNS1_33reduce_by_key_impl_wrapped_configILNS1_25lookback_scan_determinismE0ES3_S9_PhNS6_17constant_iteratorIiNS6_11use_defaultESE_EENS6_10device_ptrIhEENSG_IlEEPmS8_NS6_8equal_toIhEEEE10hipError_tPvRmT2_T3_mT4_T5_T6_T7_T8_P12ihipStream_tbENKUlT_T0_E_clISt17integral_constantIbLb1EES13_EEDaSY_SZ_EUlSY_E_NS1_11comp_targetILNS1_3genE3ELNS1_11target_archE908ELNS1_3gpuE7ELNS1_3repE0EEENS1_30default_config_static_selectorELNS0_4arch9wavefront6targetE1EEEvT1_.kd
    .uniform_work_group_size: 1
    .uses_dynamic_stack: false
    .vgpr_count:     0
    .vgpr_spill_count: 0
    .wavefront_size: 64
  - .args:
      - .offset:         0
        .size:           144
        .value_kind:     by_value
    .group_segment_fixed_size: 0
    .kernarg_segment_align: 8
    .kernarg_segment_size: 144
    .language:       OpenCL C
    .language_version:
      - 2
      - 0
    .max_flat_workgroup_size: 256
    .name:           _ZN7rocprim17ROCPRIM_400000_NS6detail17trampoline_kernelINS0_14default_configENS1_29reduce_by_key_config_selectorIhlN6thrust23THRUST_200600_302600_NS4plusIlEEEEZZNS1_33reduce_by_key_impl_wrapped_configILNS1_25lookback_scan_determinismE0ES3_S9_PhNS6_17constant_iteratorIiNS6_11use_defaultESE_EENS6_10device_ptrIhEENSG_IlEEPmS8_NS6_8equal_toIhEEEE10hipError_tPvRmT2_T3_mT4_T5_T6_T7_T8_P12ihipStream_tbENKUlT_T0_E_clISt17integral_constantIbLb1EES13_EEDaSY_SZ_EUlSY_E_NS1_11comp_targetILNS1_3genE2ELNS1_11target_archE906ELNS1_3gpuE6ELNS1_3repE0EEENS1_30default_config_static_selectorELNS0_4arch9wavefront6targetE1EEEvT1_
    .private_segment_fixed_size: 0
    .sgpr_count:     4
    .sgpr_spill_count: 0
    .symbol:         _ZN7rocprim17ROCPRIM_400000_NS6detail17trampoline_kernelINS0_14default_configENS1_29reduce_by_key_config_selectorIhlN6thrust23THRUST_200600_302600_NS4plusIlEEEEZZNS1_33reduce_by_key_impl_wrapped_configILNS1_25lookback_scan_determinismE0ES3_S9_PhNS6_17constant_iteratorIiNS6_11use_defaultESE_EENS6_10device_ptrIhEENSG_IlEEPmS8_NS6_8equal_toIhEEEE10hipError_tPvRmT2_T3_mT4_T5_T6_T7_T8_P12ihipStream_tbENKUlT_T0_E_clISt17integral_constantIbLb1EES13_EEDaSY_SZ_EUlSY_E_NS1_11comp_targetILNS1_3genE2ELNS1_11target_archE906ELNS1_3gpuE6ELNS1_3repE0EEENS1_30default_config_static_selectorELNS0_4arch9wavefront6targetE1EEEvT1_.kd
    .uniform_work_group_size: 1
    .uses_dynamic_stack: false
    .vgpr_count:     0
    .vgpr_spill_count: 0
    .wavefront_size: 64
  - .args:
      - .offset:         0
        .size:           144
        .value_kind:     by_value
    .group_segment_fixed_size: 0
    .kernarg_segment_align: 8
    .kernarg_segment_size: 144
    .language:       OpenCL C
    .language_version:
      - 2
      - 0
    .max_flat_workgroup_size: 256
    .name:           _ZN7rocprim17ROCPRIM_400000_NS6detail17trampoline_kernelINS0_14default_configENS1_29reduce_by_key_config_selectorIhlN6thrust23THRUST_200600_302600_NS4plusIlEEEEZZNS1_33reduce_by_key_impl_wrapped_configILNS1_25lookback_scan_determinismE0ES3_S9_PhNS6_17constant_iteratorIiNS6_11use_defaultESE_EENS6_10device_ptrIhEENSG_IlEEPmS8_NS6_8equal_toIhEEEE10hipError_tPvRmT2_T3_mT4_T5_T6_T7_T8_P12ihipStream_tbENKUlT_T0_E_clISt17integral_constantIbLb1EES13_EEDaSY_SZ_EUlSY_E_NS1_11comp_targetILNS1_3genE10ELNS1_11target_archE1201ELNS1_3gpuE5ELNS1_3repE0EEENS1_30default_config_static_selectorELNS0_4arch9wavefront6targetE1EEEvT1_
    .private_segment_fixed_size: 0
    .sgpr_count:     4
    .sgpr_spill_count: 0
    .symbol:         _ZN7rocprim17ROCPRIM_400000_NS6detail17trampoline_kernelINS0_14default_configENS1_29reduce_by_key_config_selectorIhlN6thrust23THRUST_200600_302600_NS4plusIlEEEEZZNS1_33reduce_by_key_impl_wrapped_configILNS1_25lookback_scan_determinismE0ES3_S9_PhNS6_17constant_iteratorIiNS6_11use_defaultESE_EENS6_10device_ptrIhEENSG_IlEEPmS8_NS6_8equal_toIhEEEE10hipError_tPvRmT2_T3_mT4_T5_T6_T7_T8_P12ihipStream_tbENKUlT_T0_E_clISt17integral_constantIbLb1EES13_EEDaSY_SZ_EUlSY_E_NS1_11comp_targetILNS1_3genE10ELNS1_11target_archE1201ELNS1_3gpuE5ELNS1_3repE0EEENS1_30default_config_static_selectorELNS0_4arch9wavefront6targetE1EEEvT1_.kd
    .uniform_work_group_size: 1
    .uses_dynamic_stack: false
    .vgpr_count:     0
    .vgpr_spill_count: 0
    .wavefront_size: 64
  - .args:
      - .offset:         0
        .size:           144
        .value_kind:     by_value
    .group_segment_fixed_size: 0
    .kernarg_segment_align: 8
    .kernarg_segment_size: 144
    .language:       OpenCL C
    .language_version:
      - 2
      - 0
    .max_flat_workgroup_size: 256
    .name:           _ZN7rocprim17ROCPRIM_400000_NS6detail17trampoline_kernelINS0_14default_configENS1_29reduce_by_key_config_selectorIhlN6thrust23THRUST_200600_302600_NS4plusIlEEEEZZNS1_33reduce_by_key_impl_wrapped_configILNS1_25lookback_scan_determinismE0ES3_S9_PhNS6_17constant_iteratorIiNS6_11use_defaultESE_EENS6_10device_ptrIhEENSG_IlEEPmS8_NS6_8equal_toIhEEEE10hipError_tPvRmT2_T3_mT4_T5_T6_T7_T8_P12ihipStream_tbENKUlT_T0_E_clISt17integral_constantIbLb1EES13_EEDaSY_SZ_EUlSY_E_NS1_11comp_targetILNS1_3genE10ELNS1_11target_archE1200ELNS1_3gpuE4ELNS1_3repE0EEENS1_30default_config_static_selectorELNS0_4arch9wavefront6targetE1EEEvT1_
    .private_segment_fixed_size: 0
    .sgpr_count:     4
    .sgpr_spill_count: 0
    .symbol:         _ZN7rocprim17ROCPRIM_400000_NS6detail17trampoline_kernelINS0_14default_configENS1_29reduce_by_key_config_selectorIhlN6thrust23THRUST_200600_302600_NS4plusIlEEEEZZNS1_33reduce_by_key_impl_wrapped_configILNS1_25lookback_scan_determinismE0ES3_S9_PhNS6_17constant_iteratorIiNS6_11use_defaultESE_EENS6_10device_ptrIhEENSG_IlEEPmS8_NS6_8equal_toIhEEEE10hipError_tPvRmT2_T3_mT4_T5_T6_T7_T8_P12ihipStream_tbENKUlT_T0_E_clISt17integral_constantIbLb1EES13_EEDaSY_SZ_EUlSY_E_NS1_11comp_targetILNS1_3genE10ELNS1_11target_archE1200ELNS1_3gpuE4ELNS1_3repE0EEENS1_30default_config_static_selectorELNS0_4arch9wavefront6targetE1EEEvT1_.kd
    .uniform_work_group_size: 1
    .uses_dynamic_stack: false
    .vgpr_count:     0
    .vgpr_spill_count: 0
    .wavefront_size: 64
  - .args:
      - .offset:         0
        .size:           144
        .value_kind:     by_value
    .group_segment_fixed_size: 0
    .kernarg_segment_align: 8
    .kernarg_segment_size: 144
    .language:       OpenCL C
    .language_version:
      - 2
      - 0
    .max_flat_workgroup_size: 256
    .name:           _ZN7rocprim17ROCPRIM_400000_NS6detail17trampoline_kernelINS0_14default_configENS1_29reduce_by_key_config_selectorIhlN6thrust23THRUST_200600_302600_NS4plusIlEEEEZZNS1_33reduce_by_key_impl_wrapped_configILNS1_25lookback_scan_determinismE0ES3_S9_PhNS6_17constant_iteratorIiNS6_11use_defaultESE_EENS6_10device_ptrIhEENSG_IlEEPmS8_NS6_8equal_toIhEEEE10hipError_tPvRmT2_T3_mT4_T5_T6_T7_T8_P12ihipStream_tbENKUlT_T0_E_clISt17integral_constantIbLb1EES13_EEDaSY_SZ_EUlSY_E_NS1_11comp_targetILNS1_3genE9ELNS1_11target_archE1100ELNS1_3gpuE3ELNS1_3repE0EEENS1_30default_config_static_selectorELNS0_4arch9wavefront6targetE1EEEvT1_
    .private_segment_fixed_size: 0
    .sgpr_count:     4
    .sgpr_spill_count: 0
    .symbol:         _ZN7rocprim17ROCPRIM_400000_NS6detail17trampoline_kernelINS0_14default_configENS1_29reduce_by_key_config_selectorIhlN6thrust23THRUST_200600_302600_NS4plusIlEEEEZZNS1_33reduce_by_key_impl_wrapped_configILNS1_25lookback_scan_determinismE0ES3_S9_PhNS6_17constant_iteratorIiNS6_11use_defaultESE_EENS6_10device_ptrIhEENSG_IlEEPmS8_NS6_8equal_toIhEEEE10hipError_tPvRmT2_T3_mT4_T5_T6_T7_T8_P12ihipStream_tbENKUlT_T0_E_clISt17integral_constantIbLb1EES13_EEDaSY_SZ_EUlSY_E_NS1_11comp_targetILNS1_3genE9ELNS1_11target_archE1100ELNS1_3gpuE3ELNS1_3repE0EEENS1_30default_config_static_selectorELNS0_4arch9wavefront6targetE1EEEvT1_.kd
    .uniform_work_group_size: 1
    .uses_dynamic_stack: false
    .vgpr_count:     0
    .vgpr_spill_count: 0
    .wavefront_size: 64
  - .args:
      - .offset:         0
        .size:           144
        .value_kind:     by_value
    .group_segment_fixed_size: 0
    .kernarg_segment_align: 8
    .kernarg_segment_size: 144
    .language:       OpenCL C
    .language_version:
      - 2
      - 0
    .max_flat_workgroup_size: 256
    .name:           _ZN7rocprim17ROCPRIM_400000_NS6detail17trampoline_kernelINS0_14default_configENS1_29reduce_by_key_config_selectorIhlN6thrust23THRUST_200600_302600_NS4plusIlEEEEZZNS1_33reduce_by_key_impl_wrapped_configILNS1_25lookback_scan_determinismE0ES3_S9_PhNS6_17constant_iteratorIiNS6_11use_defaultESE_EENS6_10device_ptrIhEENSG_IlEEPmS8_NS6_8equal_toIhEEEE10hipError_tPvRmT2_T3_mT4_T5_T6_T7_T8_P12ihipStream_tbENKUlT_T0_E_clISt17integral_constantIbLb1EES13_EEDaSY_SZ_EUlSY_E_NS1_11comp_targetILNS1_3genE8ELNS1_11target_archE1030ELNS1_3gpuE2ELNS1_3repE0EEENS1_30default_config_static_selectorELNS0_4arch9wavefront6targetE1EEEvT1_
    .private_segment_fixed_size: 0
    .sgpr_count:     4
    .sgpr_spill_count: 0
    .symbol:         _ZN7rocprim17ROCPRIM_400000_NS6detail17trampoline_kernelINS0_14default_configENS1_29reduce_by_key_config_selectorIhlN6thrust23THRUST_200600_302600_NS4plusIlEEEEZZNS1_33reduce_by_key_impl_wrapped_configILNS1_25lookback_scan_determinismE0ES3_S9_PhNS6_17constant_iteratorIiNS6_11use_defaultESE_EENS6_10device_ptrIhEENSG_IlEEPmS8_NS6_8equal_toIhEEEE10hipError_tPvRmT2_T3_mT4_T5_T6_T7_T8_P12ihipStream_tbENKUlT_T0_E_clISt17integral_constantIbLb1EES13_EEDaSY_SZ_EUlSY_E_NS1_11comp_targetILNS1_3genE8ELNS1_11target_archE1030ELNS1_3gpuE2ELNS1_3repE0EEENS1_30default_config_static_selectorELNS0_4arch9wavefront6targetE1EEEvT1_.kd
    .uniform_work_group_size: 1
    .uses_dynamic_stack: false
    .vgpr_count:     0
    .vgpr_spill_count: 0
    .wavefront_size: 64
  - .args:
      - .offset:         0
        .size:           24
        .value_kind:     by_value
      - .offset:         24
        .size:           4
        .value_kind:     by_value
      - .offset:         28
        .size:           1
        .value_kind:     by_value
      - .offset:         32
        .size:           4
        .value_kind:     by_value
      - .address_space:  global
        .offset:         40
        .size:           8
        .value_kind:     global_buffer
      - .address_space:  global
        .offset:         48
        .size:           8
        .value_kind:     global_buffer
      - .offset:         56
        .size:           1
        .value_kind:     by_value
      - .offset:         64
        .size:           4
        .value_kind:     hidden_block_count_x
      - .offset:         68
        .size:           4
        .value_kind:     hidden_block_count_y
      - .offset:         72
        .size:           4
        .value_kind:     hidden_block_count_z
      - .offset:         76
        .size:           2
        .value_kind:     hidden_group_size_x
      - .offset:         78
        .size:           2
        .value_kind:     hidden_group_size_y
      - .offset:         80
        .size:           2
        .value_kind:     hidden_group_size_z
      - .offset:         82
        .size:           2
        .value_kind:     hidden_remainder_x
      - .offset:         84
        .size:           2
        .value_kind:     hidden_remainder_y
      - .offset:         86
        .size:           2
        .value_kind:     hidden_remainder_z
      - .offset:         104
        .size:           8
        .value_kind:     hidden_global_offset_x
      - .offset:         112
        .size:           8
        .value_kind:     hidden_global_offset_y
      - .offset:         120
        .size:           8
        .value_kind:     hidden_global_offset_z
      - .offset:         128
        .size:           2
        .value_kind:     hidden_grid_dims
    .group_segment_fixed_size: 0
    .kernarg_segment_align: 8
    .kernarg_segment_size: 320
    .language:       OpenCL C
    .language_version:
      - 2
      - 0
    .max_flat_workgroup_size: 256
    .name:           _ZN7rocprim17ROCPRIM_400000_NS6detail25reduce_by_key_init_kernelINS1_19lookback_scan_stateINS0_5tupleIJjlEEELb1ELb0EEElNS1_16block_id_wrapperIjLb0EEEEEvT_jbjPmPT0_T1_
    .private_segment_fixed_size: 0
    .sgpr_count:     24
    .sgpr_spill_count: 0
    .symbol:         _ZN7rocprim17ROCPRIM_400000_NS6detail25reduce_by_key_init_kernelINS1_19lookback_scan_stateINS0_5tupleIJjlEEELb1ELb0EEElNS1_16block_id_wrapperIjLb0EEEEEvT_jbjPmPT0_T1_.kd
    .uniform_work_group_size: 1
    .uses_dynamic_stack: false
    .vgpr_count:     7
    .vgpr_spill_count: 0
    .wavefront_size: 64
  - .args:
      - .offset:         0
        .size:           144
        .value_kind:     by_value
    .group_segment_fixed_size: 0
    .kernarg_segment_align: 8
    .kernarg_segment_size: 144
    .language:       OpenCL C
    .language_version:
      - 2
      - 0
    .max_flat_workgroup_size: 256
    .name:           _ZN7rocprim17ROCPRIM_400000_NS6detail17trampoline_kernelINS0_14default_configENS1_29reduce_by_key_config_selectorIhlN6thrust23THRUST_200600_302600_NS4plusIlEEEEZZNS1_33reduce_by_key_impl_wrapped_configILNS1_25lookback_scan_determinismE0ES3_S9_PhNS6_17constant_iteratorIiNS6_11use_defaultESE_EENS6_10device_ptrIhEENSG_IlEEPmS8_NS6_8equal_toIhEEEE10hipError_tPvRmT2_T3_mT4_T5_T6_T7_T8_P12ihipStream_tbENKUlT_T0_E_clISt17integral_constantIbLb1EES12_IbLb0EEEEDaSY_SZ_EUlSY_E_NS1_11comp_targetILNS1_3genE0ELNS1_11target_archE4294967295ELNS1_3gpuE0ELNS1_3repE0EEENS1_30default_config_static_selectorELNS0_4arch9wavefront6targetE1EEEvT1_
    .private_segment_fixed_size: 0
    .sgpr_count:     4
    .sgpr_spill_count: 0
    .symbol:         _ZN7rocprim17ROCPRIM_400000_NS6detail17trampoline_kernelINS0_14default_configENS1_29reduce_by_key_config_selectorIhlN6thrust23THRUST_200600_302600_NS4plusIlEEEEZZNS1_33reduce_by_key_impl_wrapped_configILNS1_25lookback_scan_determinismE0ES3_S9_PhNS6_17constant_iteratorIiNS6_11use_defaultESE_EENS6_10device_ptrIhEENSG_IlEEPmS8_NS6_8equal_toIhEEEE10hipError_tPvRmT2_T3_mT4_T5_T6_T7_T8_P12ihipStream_tbENKUlT_T0_E_clISt17integral_constantIbLb1EES12_IbLb0EEEEDaSY_SZ_EUlSY_E_NS1_11comp_targetILNS1_3genE0ELNS1_11target_archE4294967295ELNS1_3gpuE0ELNS1_3repE0EEENS1_30default_config_static_selectorELNS0_4arch9wavefront6targetE1EEEvT1_.kd
    .uniform_work_group_size: 1
    .uses_dynamic_stack: false
    .vgpr_count:     0
    .vgpr_spill_count: 0
    .wavefront_size: 64
  - .args:
      - .offset:         0
        .size:           144
        .value_kind:     by_value
    .group_segment_fixed_size: 0
    .kernarg_segment_align: 8
    .kernarg_segment_size: 144
    .language:       OpenCL C
    .language_version:
      - 2
      - 0
    .max_flat_workgroup_size: 256
    .name:           _ZN7rocprim17ROCPRIM_400000_NS6detail17trampoline_kernelINS0_14default_configENS1_29reduce_by_key_config_selectorIhlN6thrust23THRUST_200600_302600_NS4plusIlEEEEZZNS1_33reduce_by_key_impl_wrapped_configILNS1_25lookback_scan_determinismE0ES3_S9_PhNS6_17constant_iteratorIiNS6_11use_defaultESE_EENS6_10device_ptrIhEENSG_IlEEPmS8_NS6_8equal_toIhEEEE10hipError_tPvRmT2_T3_mT4_T5_T6_T7_T8_P12ihipStream_tbENKUlT_T0_E_clISt17integral_constantIbLb1EES12_IbLb0EEEEDaSY_SZ_EUlSY_E_NS1_11comp_targetILNS1_3genE5ELNS1_11target_archE942ELNS1_3gpuE9ELNS1_3repE0EEENS1_30default_config_static_selectorELNS0_4arch9wavefront6targetE1EEEvT1_
    .private_segment_fixed_size: 0
    .sgpr_count:     4
    .sgpr_spill_count: 0
    .symbol:         _ZN7rocprim17ROCPRIM_400000_NS6detail17trampoline_kernelINS0_14default_configENS1_29reduce_by_key_config_selectorIhlN6thrust23THRUST_200600_302600_NS4plusIlEEEEZZNS1_33reduce_by_key_impl_wrapped_configILNS1_25lookback_scan_determinismE0ES3_S9_PhNS6_17constant_iteratorIiNS6_11use_defaultESE_EENS6_10device_ptrIhEENSG_IlEEPmS8_NS6_8equal_toIhEEEE10hipError_tPvRmT2_T3_mT4_T5_T6_T7_T8_P12ihipStream_tbENKUlT_T0_E_clISt17integral_constantIbLb1EES12_IbLb0EEEEDaSY_SZ_EUlSY_E_NS1_11comp_targetILNS1_3genE5ELNS1_11target_archE942ELNS1_3gpuE9ELNS1_3repE0EEENS1_30default_config_static_selectorELNS0_4arch9wavefront6targetE1EEEvT1_.kd
    .uniform_work_group_size: 1
    .uses_dynamic_stack: false
    .vgpr_count:     0
    .vgpr_spill_count: 0
    .wavefront_size: 64
  - .args:
      - .offset:         0
        .size:           144
        .value_kind:     by_value
    .group_segment_fixed_size: 0
    .kernarg_segment_align: 8
    .kernarg_segment_size: 144
    .language:       OpenCL C
    .language_version:
      - 2
      - 0
    .max_flat_workgroup_size: 256
    .name:           _ZN7rocprim17ROCPRIM_400000_NS6detail17trampoline_kernelINS0_14default_configENS1_29reduce_by_key_config_selectorIhlN6thrust23THRUST_200600_302600_NS4plusIlEEEEZZNS1_33reduce_by_key_impl_wrapped_configILNS1_25lookback_scan_determinismE0ES3_S9_PhNS6_17constant_iteratorIiNS6_11use_defaultESE_EENS6_10device_ptrIhEENSG_IlEEPmS8_NS6_8equal_toIhEEEE10hipError_tPvRmT2_T3_mT4_T5_T6_T7_T8_P12ihipStream_tbENKUlT_T0_E_clISt17integral_constantIbLb1EES12_IbLb0EEEEDaSY_SZ_EUlSY_E_NS1_11comp_targetILNS1_3genE4ELNS1_11target_archE910ELNS1_3gpuE8ELNS1_3repE0EEENS1_30default_config_static_selectorELNS0_4arch9wavefront6targetE1EEEvT1_
    .private_segment_fixed_size: 0
    .sgpr_count:     4
    .sgpr_spill_count: 0
    .symbol:         _ZN7rocprim17ROCPRIM_400000_NS6detail17trampoline_kernelINS0_14default_configENS1_29reduce_by_key_config_selectorIhlN6thrust23THRUST_200600_302600_NS4plusIlEEEEZZNS1_33reduce_by_key_impl_wrapped_configILNS1_25lookback_scan_determinismE0ES3_S9_PhNS6_17constant_iteratorIiNS6_11use_defaultESE_EENS6_10device_ptrIhEENSG_IlEEPmS8_NS6_8equal_toIhEEEE10hipError_tPvRmT2_T3_mT4_T5_T6_T7_T8_P12ihipStream_tbENKUlT_T0_E_clISt17integral_constantIbLb1EES12_IbLb0EEEEDaSY_SZ_EUlSY_E_NS1_11comp_targetILNS1_3genE4ELNS1_11target_archE910ELNS1_3gpuE8ELNS1_3repE0EEENS1_30default_config_static_selectorELNS0_4arch9wavefront6targetE1EEEvT1_.kd
    .uniform_work_group_size: 1
    .uses_dynamic_stack: false
    .vgpr_count:     0
    .vgpr_spill_count: 0
    .wavefront_size: 64
  - .args:
      - .offset:         0
        .size:           144
        .value_kind:     by_value
    .group_segment_fixed_size: 0
    .kernarg_segment_align: 8
    .kernarg_segment_size: 144
    .language:       OpenCL C
    .language_version:
      - 2
      - 0
    .max_flat_workgroup_size: 256
    .name:           _ZN7rocprim17ROCPRIM_400000_NS6detail17trampoline_kernelINS0_14default_configENS1_29reduce_by_key_config_selectorIhlN6thrust23THRUST_200600_302600_NS4plusIlEEEEZZNS1_33reduce_by_key_impl_wrapped_configILNS1_25lookback_scan_determinismE0ES3_S9_PhNS6_17constant_iteratorIiNS6_11use_defaultESE_EENS6_10device_ptrIhEENSG_IlEEPmS8_NS6_8equal_toIhEEEE10hipError_tPvRmT2_T3_mT4_T5_T6_T7_T8_P12ihipStream_tbENKUlT_T0_E_clISt17integral_constantIbLb1EES12_IbLb0EEEEDaSY_SZ_EUlSY_E_NS1_11comp_targetILNS1_3genE3ELNS1_11target_archE908ELNS1_3gpuE7ELNS1_3repE0EEENS1_30default_config_static_selectorELNS0_4arch9wavefront6targetE1EEEvT1_
    .private_segment_fixed_size: 0
    .sgpr_count:     4
    .sgpr_spill_count: 0
    .symbol:         _ZN7rocprim17ROCPRIM_400000_NS6detail17trampoline_kernelINS0_14default_configENS1_29reduce_by_key_config_selectorIhlN6thrust23THRUST_200600_302600_NS4plusIlEEEEZZNS1_33reduce_by_key_impl_wrapped_configILNS1_25lookback_scan_determinismE0ES3_S9_PhNS6_17constant_iteratorIiNS6_11use_defaultESE_EENS6_10device_ptrIhEENSG_IlEEPmS8_NS6_8equal_toIhEEEE10hipError_tPvRmT2_T3_mT4_T5_T6_T7_T8_P12ihipStream_tbENKUlT_T0_E_clISt17integral_constantIbLb1EES12_IbLb0EEEEDaSY_SZ_EUlSY_E_NS1_11comp_targetILNS1_3genE3ELNS1_11target_archE908ELNS1_3gpuE7ELNS1_3repE0EEENS1_30default_config_static_selectorELNS0_4arch9wavefront6targetE1EEEvT1_.kd
    .uniform_work_group_size: 1
    .uses_dynamic_stack: false
    .vgpr_count:     0
    .vgpr_spill_count: 0
    .wavefront_size: 64
  - .args:
      - .offset:         0
        .size:           144
        .value_kind:     by_value
    .group_segment_fixed_size: 0
    .kernarg_segment_align: 8
    .kernarg_segment_size: 144
    .language:       OpenCL C
    .language_version:
      - 2
      - 0
    .max_flat_workgroup_size: 256
    .name:           _ZN7rocprim17ROCPRIM_400000_NS6detail17trampoline_kernelINS0_14default_configENS1_29reduce_by_key_config_selectorIhlN6thrust23THRUST_200600_302600_NS4plusIlEEEEZZNS1_33reduce_by_key_impl_wrapped_configILNS1_25lookback_scan_determinismE0ES3_S9_PhNS6_17constant_iteratorIiNS6_11use_defaultESE_EENS6_10device_ptrIhEENSG_IlEEPmS8_NS6_8equal_toIhEEEE10hipError_tPvRmT2_T3_mT4_T5_T6_T7_T8_P12ihipStream_tbENKUlT_T0_E_clISt17integral_constantIbLb1EES12_IbLb0EEEEDaSY_SZ_EUlSY_E_NS1_11comp_targetILNS1_3genE2ELNS1_11target_archE906ELNS1_3gpuE6ELNS1_3repE0EEENS1_30default_config_static_selectorELNS0_4arch9wavefront6targetE1EEEvT1_
    .private_segment_fixed_size: 0
    .sgpr_count:     4
    .sgpr_spill_count: 0
    .symbol:         _ZN7rocprim17ROCPRIM_400000_NS6detail17trampoline_kernelINS0_14default_configENS1_29reduce_by_key_config_selectorIhlN6thrust23THRUST_200600_302600_NS4plusIlEEEEZZNS1_33reduce_by_key_impl_wrapped_configILNS1_25lookback_scan_determinismE0ES3_S9_PhNS6_17constant_iteratorIiNS6_11use_defaultESE_EENS6_10device_ptrIhEENSG_IlEEPmS8_NS6_8equal_toIhEEEE10hipError_tPvRmT2_T3_mT4_T5_T6_T7_T8_P12ihipStream_tbENKUlT_T0_E_clISt17integral_constantIbLb1EES12_IbLb0EEEEDaSY_SZ_EUlSY_E_NS1_11comp_targetILNS1_3genE2ELNS1_11target_archE906ELNS1_3gpuE6ELNS1_3repE0EEENS1_30default_config_static_selectorELNS0_4arch9wavefront6targetE1EEEvT1_.kd
    .uniform_work_group_size: 1
    .uses_dynamic_stack: false
    .vgpr_count:     0
    .vgpr_spill_count: 0
    .wavefront_size: 64
  - .args:
      - .offset:         0
        .size:           144
        .value_kind:     by_value
    .group_segment_fixed_size: 0
    .kernarg_segment_align: 8
    .kernarg_segment_size: 144
    .language:       OpenCL C
    .language_version:
      - 2
      - 0
    .max_flat_workgroup_size: 256
    .name:           _ZN7rocprim17ROCPRIM_400000_NS6detail17trampoline_kernelINS0_14default_configENS1_29reduce_by_key_config_selectorIhlN6thrust23THRUST_200600_302600_NS4plusIlEEEEZZNS1_33reduce_by_key_impl_wrapped_configILNS1_25lookback_scan_determinismE0ES3_S9_PhNS6_17constant_iteratorIiNS6_11use_defaultESE_EENS6_10device_ptrIhEENSG_IlEEPmS8_NS6_8equal_toIhEEEE10hipError_tPvRmT2_T3_mT4_T5_T6_T7_T8_P12ihipStream_tbENKUlT_T0_E_clISt17integral_constantIbLb1EES12_IbLb0EEEEDaSY_SZ_EUlSY_E_NS1_11comp_targetILNS1_3genE10ELNS1_11target_archE1201ELNS1_3gpuE5ELNS1_3repE0EEENS1_30default_config_static_selectorELNS0_4arch9wavefront6targetE1EEEvT1_
    .private_segment_fixed_size: 0
    .sgpr_count:     4
    .sgpr_spill_count: 0
    .symbol:         _ZN7rocprim17ROCPRIM_400000_NS6detail17trampoline_kernelINS0_14default_configENS1_29reduce_by_key_config_selectorIhlN6thrust23THRUST_200600_302600_NS4plusIlEEEEZZNS1_33reduce_by_key_impl_wrapped_configILNS1_25lookback_scan_determinismE0ES3_S9_PhNS6_17constant_iteratorIiNS6_11use_defaultESE_EENS6_10device_ptrIhEENSG_IlEEPmS8_NS6_8equal_toIhEEEE10hipError_tPvRmT2_T3_mT4_T5_T6_T7_T8_P12ihipStream_tbENKUlT_T0_E_clISt17integral_constantIbLb1EES12_IbLb0EEEEDaSY_SZ_EUlSY_E_NS1_11comp_targetILNS1_3genE10ELNS1_11target_archE1201ELNS1_3gpuE5ELNS1_3repE0EEENS1_30default_config_static_selectorELNS0_4arch9wavefront6targetE1EEEvT1_.kd
    .uniform_work_group_size: 1
    .uses_dynamic_stack: false
    .vgpr_count:     0
    .vgpr_spill_count: 0
    .wavefront_size: 64
  - .args:
      - .offset:         0
        .size:           144
        .value_kind:     by_value
    .group_segment_fixed_size: 0
    .kernarg_segment_align: 8
    .kernarg_segment_size: 144
    .language:       OpenCL C
    .language_version:
      - 2
      - 0
    .max_flat_workgroup_size: 256
    .name:           _ZN7rocprim17ROCPRIM_400000_NS6detail17trampoline_kernelINS0_14default_configENS1_29reduce_by_key_config_selectorIhlN6thrust23THRUST_200600_302600_NS4plusIlEEEEZZNS1_33reduce_by_key_impl_wrapped_configILNS1_25lookback_scan_determinismE0ES3_S9_PhNS6_17constant_iteratorIiNS6_11use_defaultESE_EENS6_10device_ptrIhEENSG_IlEEPmS8_NS6_8equal_toIhEEEE10hipError_tPvRmT2_T3_mT4_T5_T6_T7_T8_P12ihipStream_tbENKUlT_T0_E_clISt17integral_constantIbLb1EES12_IbLb0EEEEDaSY_SZ_EUlSY_E_NS1_11comp_targetILNS1_3genE10ELNS1_11target_archE1200ELNS1_3gpuE4ELNS1_3repE0EEENS1_30default_config_static_selectorELNS0_4arch9wavefront6targetE1EEEvT1_
    .private_segment_fixed_size: 0
    .sgpr_count:     4
    .sgpr_spill_count: 0
    .symbol:         _ZN7rocprim17ROCPRIM_400000_NS6detail17trampoline_kernelINS0_14default_configENS1_29reduce_by_key_config_selectorIhlN6thrust23THRUST_200600_302600_NS4plusIlEEEEZZNS1_33reduce_by_key_impl_wrapped_configILNS1_25lookback_scan_determinismE0ES3_S9_PhNS6_17constant_iteratorIiNS6_11use_defaultESE_EENS6_10device_ptrIhEENSG_IlEEPmS8_NS6_8equal_toIhEEEE10hipError_tPvRmT2_T3_mT4_T5_T6_T7_T8_P12ihipStream_tbENKUlT_T0_E_clISt17integral_constantIbLb1EES12_IbLb0EEEEDaSY_SZ_EUlSY_E_NS1_11comp_targetILNS1_3genE10ELNS1_11target_archE1200ELNS1_3gpuE4ELNS1_3repE0EEENS1_30default_config_static_selectorELNS0_4arch9wavefront6targetE1EEEvT1_.kd
    .uniform_work_group_size: 1
    .uses_dynamic_stack: false
    .vgpr_count:     0
    .vgpr_spill_count: 0
    .wavefront_size: 64
  - .args:
      - .offset:         0
        .size:           144
        .value_kind:     by_value
    .group_segment_fixed_size: 0
    .kernarg_segment_align: 8
    .kernarg_segment_size: 144
    .language:       OpenCL C
    .language_version:
      - 2
      - 0
    .max_flat_workgroup_size: 256
    .name:           _ZN7rocprim17ROCPRIM_400000_NS6detail17trampoline_kernelINS0_14default_configENS1_29reduce_by_key_config_selectorIhlN6thrust23THRUST_200600_302600_NS4plusIlEEEEZZNS1_33reduce_by_key_impl_wrapped_configILNS1_25lookback_scan_determinismE0ES3_S9_PhNS6_17constant_iteratorIiNS6_11use_defaultESE_EENS6_10device_ptrIhEENSG_IlEEPmS8_NS6_8equal_toIhEEEE10hipError_tPvRmT2_T3_mT4_T5_T6_T7_T8_P12ihipStream_tbENKUlT_T0_E_clISt17integral_constantIbLb1EES12_IbLb0EEEEDaSY_SZ_EUlSY_E_NS1_11comp_targetILNS1_3genE9ELNS1_11target_archE1100ELNS1_3gpuE3ELNS1_3repE0EEENS1_30default_config_static_selectorELNS0_4arch9wavefront6targetE1EEEvT1_
    .private_segment_fixed_size: 0
    .sgpr_count:     4
    .sgpr_spill_count: 0
    .symbol:         _ZN7rocprim17ROCPRIM_400000_NS6detail17trampoline_kernelINS0_14default_configENS1_29reduce_by_key_config_selectorIhlN6thrust23THRUST_200600_302600_NS4plusIlEEEEZZNS1_33reduce_by_key_impl_wrapped_configILNS1_25lookback_scan_determinismE0ES3_S9_PhNS6_17constant_iteratorIiNS6_11use_defaultESE_EENS6_10device_ptrIhEENSG_IlEEPmS8_NS6_8equal_toIhEEEE10hipError_tPvRmT2_T3_mT4_T5_T6_T7_T8_P12ihipStream_tbENKUlT_T0_E_clISt17integral_constantIbLb1EES12_IbLb0EEEEDaSY_SZ_EUlSY_E_NS1_11comp_targetILNS1_3genE9ELNS1_11target_archE1100ELNS1_3gpuE3ELNS1_3repE0EEENS1_30default_config_static_selectorELNS0_4arch9wavefront6targetE1EEEvT1_.kd
    .uniform_work_group_size: 1
    .uses_dynamic_stack: false
    .vgpr_count:     0
    .vgpr_spill_count: 0
    .wavefront_size: 64
  - .args:
      - .offset:         0
        .size:           144
        .value_kind:     by_value
    .group_segment_fixed_size: 0
    .kernarg_segment_align: 8
    .kernarg_segment_size: 144
    .language:       OpenCL C
    .language_version:
      - 2
      - 0
    .max_flat_workgroup_size: 256
    .name:           _ZN7rocprim17ROCPRIM_400000_NS6detail17trampoline_kernelINS0_14default_configENS1_29reduce_by_key_config_selectorIhlN6thrust23THRUST_200600_302600_NS4plusIlEEEEZZNS1_33reduce_by_key_impl_wrapped_configILNS1_25lookback_scan_determinismE0ES3_S9_PhNS6_17constant_iteratorIiNS6_11use_defaultESE_EENS6_10device_ptrIhEENSG_IlEEPmS8_NS6_8equal_toIhEEEE10hipError_tPvRmT2_T3_mT4_T5_T6_T7_T8_P12ihipStream_tbENKUlT_T0_E_clISt17integral_constantIbLb1EES12_IbLb0EEEEDaSY_SZ_EUlSY_E_NS1_11comp_targetILNS1_3genE8ELNS1_11target_archE1030ELNS1_3gpuE2ELNS1_3repE0EEENS1_30default_config_static_selectorELNS0_4arch9wavefront6targetE1EEEvT1_
    .private_segment_fixed_size: 0
    .sgpr_count:     4
    .sgpr_spill_count: 0
    .symbol:         _ZN7rocprim17ROCPRIM_400000_NS6detail17trampoline_kernelINS0_14default_configENS1_29reduce_by_key_config_selectorIhlN6thrust23THRUST_200600_302600_NS4plusIlEEEEZZNS1_33reduce_by_key_impl_wrapped_configILNS1_25lookback_scan_determinismE0ES3_S9_PhNS6_17constant_iteratorIiNS6_11use_defaultESE_EENS6_10device_ptrIhEENSG_IlEEPmS8_NS6_8equal_toIhEEEE10hipError_tPvRmT2_T3_mT4_T5_T6_T7_T8_P12ihipStream_tbENKUlT_T0_E_clISt17integral_constantIbLb1EES12_IbLb0EEEEDaSY_SZ_EUlSY_E_NS1_11comp_targetILNS1_3genE8ELNS1_11target_archE1030ELNS1_3gpuE2ELNS1_3repE0EEENS1_30default_config_static_selectorELNS0_4arch9wavefront6targetE1EEEvT1_.kd
    .uniform_work_group_size: 1
    .uses_dynamic_stack: false
    .vgpr_count:     0
    .vgpr_spill_count: 0
    .wavefront_size: 64
  - .args:
      - .offset:         0
        .size:           24
        .value_kind:     by_value
      - .offset:         24
        .size:           4
        .value_kind:     by_value
      - .offset:         28
        .size:           1
        .value_kind:     by_value
      - .offset:         32
        .size:           4
        .value_kind:     by_value
      - .address_space:  global
        .offset:         40
        .size:           8
        .value_kind:     global_buffer
      - .address_space:  global
        .offset:         48
        .size:           8
        .value_kind:     global_buffer
      - .address_space:  global
        .offset:         56
        .size:           8
        .value_kind:     global_buffer
      - .offset:         64
        .size:           4
        .value_kind:     hidden_block_count_x
      - .offset:         68
        .size:           4
        .value_kind:     hidden_block_count_y
      - .offset:         72
        .size:           4
        .value_kind:     hidden_block_count_z
      - .offset:         76
        .size:           2
        .value_kind:     hidden_group_size_x
      - .offset:         78
        .size:           2
        .value_kind:     hidden_group_size_y
      - .offset:         80
        .size:           2
        .value_kind:     hidden_group_size_z
      - .offset:         82
        .size:           2
        .value_kind:     hidden_remainder_x
      - .offset:         84
        .size:           2
        .value_kind:     hidden_remainder_y
      - .offset:         86
        .size:           2
        .value_kind:     hidden_remainder_z
      - .offset:         104
        .size:           8
        .value_kind:     hidden_global_offset_x
      - .offset:         112
        .size:           8
        .value_kind:     hidden_global_offset_y
      - .offset:         120
        .size:           8
        .value_kind:     hidden_global_offset_z
      - .offset:         128
        .size:           2
        .value_kind:     hidden_grid_dims
    .group_segment_fixed_size: 0
    .kernarg_segment_align: 8
    .kernarg_segment_size: 320
    .language:       OpenCL C
    .language_version:
      - 2
      - 0
    .max_flat_workgroup_size: 256
    .name:           _ZN7rocprim17ROCPRIM_400000_NS6detail25reduce_by_key_init_kernelINS1_19lookback_scan_stateINS0_5tupleIJjlEEELb0ELb0EEElNS1_16block_id_wrapperIjLb1EEEEEvT_jbjPmPT0_T1_
    .private_segment_fixed_size: 0
    .sgpr_count:     26
    .sgpr_spill_count: 0
    .symbol:         _ZN7rocprim17ROCPRIM_400000_NS6detail25reduce_by_key_init_kernelINS1_19lookback_scan_stateINS0_5tupleIJjlEEELb0ELb0EEElNS1_16block_id_wrapperIjLb1EEEEEvT_jbjPmPT0_T1_.kd
    .uniform_work_group_size: 1
    .uses_dynamic_stack: false
    .vgpr_count:     7
    .vgpr_spill_count: 0
    .wavefront_size: 64
  - .args:
      - .offset:         0
        .size:           144
        .value_kind:     by_value
    .group_segment_fixed_size: 0
    .kernarg_segment_align: 8
    .kernarg_segment_size: 144
    .language:       OpenCL C
    .language_version:
      - 2
      - 0
    .max_flat_workgroup_size: 256
    .name:           _ZN7rocprim17ROCPRIM_400000_NS6detail17trampoline_kernelINS0_14default_configENS1_29reduce_by_key_config_selectorIhlN6thrust23THRUST_200600_302600_NS4plusIlEEEEZZNS1_33reduce_by_key_impl_wrapped_configILNS1_25lookback_scan_determinismE0ES3_S9_PhNS6_17constant_iteratorIiNS6_11use_defaultESE_EENS6_10device_ptrIhEENSG_IlEEPmS8_NS6_8equal_toIhEEEE10hipError_tPvRmT2_T3_mT4_T5_T6_T7_T8_P12ihipStream_tbENKUlT_T0_E_clISt17integral_constantIbLb0EES12_IbLb1EEEEDaSY_SZ_EUlSY_E_NS1_11comp_targetILNS1_3genE0ELNS1_11target_archE4294967295ELNS1_3gpuE0ELNS1_3repE0EEENS1_30default_config_static_selectorELNS0_4arch9wavefront6targetE1EEEvT1_
    .private_segment_fixed_size: 0
    .sgpr_count:     4
    .sgpr_spill_count: 0
    .symbol:         _ZN7rocprim17ROCPRIM_400000_NS6detail17trampoline_kernelINS0_14default_configENS1_29reduce_by_key_config_selectorIhlN6thrust23THRUST_200600_302600_NS4plusIlEEEEZZNS1_33reduce_by_key_impl_wrapped_configILNS1_25lookback_scan_determinismE0ES3_S9_PhNS6_17constant_iteratorIiNS6_11use_defaultESE_EENS6_10device_ptrIhEENSG_IlEEPmS8_NS6_8equal_toIhEEEE10hipError_tPvRmT2_T3_mT4_T5_T6_T7_T8_P12ihipStream_tbENKUlT_T0_E_clISt17integral_constantIbLb0EES12_IbLb1EEEEDaSY_SZ_EUlSY_E_NS1_11comp_targetILNS1_3genE0ELNS1_11target_archE4294967295ELNS1_3gpuE0ELNS1_3repE0EEENS1_30default_config_static_selectorELNS0_4arch9wavefront6targetE1EEEvT1_.kd
    .uniform_work_group_size: 1
    .uses_dynamic_stack: false
    .vgpr_count:     0
    .vgpr_spill_count: 0
    .wavefront_size: 64
  - .args:
      - .offset:         0
        .size:           144
        .value_kind:     by_value
    .group_segment_fixed_size: 0
    .kernarg_segment_align: 8
    .kernarg_segment_size: 144
    .language:       OpenCL C
    .language_version:
      - 2
      - 0
    .max_flat_workgroup_size: 256
    .name:           _ZN7rocprim17ROCPRIM_400000_NS6detail17trampoline_kernelINS0_14default_configENS1_29reduce_by_key_config_selectorIhlN6thrust23THRUST_200600_302600_NS4plusIlEEEEZZNS1_33reduce_by_key_impl_wrapped_configILNS1_25lookback_scan_determinismE0ES3_S9_PhNS6_17constant_iteratorIiNS6_11use_defaultESE_EENS6_10device_ptrIhEENSG_IlEEPmS8_NS6_8equal_toIhEEEE10hipError_tPvRmT2_T3_mT4_T5_T6_T7_T8_P12ihipStream_tbENKUlT_T0_E_clISt17integral_constantIbLb0EES12_IbLb1EEEEDaSY_SZ_EUlSY_E_NS1_11comp_targetILNS1_3genE5ELNS1_11target_archE942ELNS1_3gpuE9ELNS1_3repE0EEENS1_30default_config_static_selectorELNS0_4arch9wavefront6targetE1EEEvT1_
    .private_segment_fixed_size: 0
    .sgpr_count:     4
    .sgpr_spill_count: 0
    .symbol:         _ZN7rocprim17ROCPRIM_400000_NS6detail17trampoline_kernelINS0_14default_configENS1_29reduce_by_key_config_selectorIhlN6thrust23THRUST_200600_302600_NS4plusIlEEEEZZNS1_33reduce_by_key_impl_wrapped_configILNS1_25lookback_scan_determinismE0ES3_S9_PhNS6_17constant_iteratorIiNS6_11use_defaultESE_EENS6_10device_ptrIhEENSG_IlEEPmS8_NS6_8equal_toIhEEEE10hipError_tPvRmT2_T3_mT4_T5_T6_T7_T8_P12ihipStream_tbENKUlT_T0_E_clISt17integral_constantIbLb0EES12_IbLb1EEEEDaSY_SZ_EUlSY_E_NS1_11comp_targetILNS1_3genE5ELNS1_11target_archE942ELNS1_3gpuE9ELNS1_3repE0EEENS1_30default_config_static_selectorELNS0_4arch9wavefront6targetE1EEEvT1_.kd
    .uniform_work_group_size: 1
    .uses_dynamic_stack: false
    .vgpr_count:     0
    .vgpr_spill_count: 0
    .wavefront_size: 64
  - .args:
      - .offset:         0
        .size:           144
        .value_kind:     by_value
    .group_segment_fixed_size: 0
    .kernarg_segment_align: 8
    .kernarg_segment_size: 144
    .language:       OpenCL C
    .language_version:
      - 2
      - 0
    .max_flat_workgroup_size: 256
    .name:           _ZN7rocprim17ROCPRIM_400000_NS6detail17trampoline_kernelINS0_14default_configENS1_29reduce_by_key_config_selectorIhlN6thrust23THRUST_200600_302600_NS4plusIlEEEEZZNS1_33reduce_by_key_impl_wrapped_configILNS1_25lookback_scan_determinismE0ES3_S9_PhNS6_17constant_iteratorIiNS6_11use_defaultESE_EENS6_10device_ptrIhEENSG_IlEEPmS8_NS6_8equal_toIhEEEE10hipError_tPvRmT2_T3_mT4_T5_T6_T7_T8_P12ihipStream_tbENKUlT_T0_E_clISt17integral_constantIbLb0EES12_IbLb1EEEEDaSY_SZ_EUlSY_E_NS1_11comp_targetILNS1_3genE4ELNS1_11target_archE910ELNS1_3gpuE8ELNS1_3repE0EEENS1_30default_config_static_selectorELNS0_4arch9wavefront6targetE1EEEvT1_
    .private_segment_fixed_size: 0
    .sgpr_count:     4
    .sgpr_spill_count: 0
    .symbol:         _ZN7rocprim17ROCPRIM_400000_NS6detail17trampoline_kernelINS0_14default_configENS1_29reduce_by_key_config_selectorIhlN6thrust23THRUST_200600_302600_NS4plusIlEEEEZZNS1_33reduce_by_key_impl_wrapped_configILNS1_25lookback_scan_determinismE0ES3_S9_PhNS6_17constant_iteratorIiNS6_11use_defaultESE_EENS6_10device_ptrIhEENSG_IlEEPmS8_NS6_8equal_toIhEEEE10hipError_tPvRmT2_T3_mT4_T5_T6_T7_T8_P12ihipStream_tbENKUlT_T0_E_clISt17integral_constantIbLb0EES12_IbLb1EEEEDaSY_SZ_EUlSY_E_NS1_11comp_targetILNS1_3genE4ELNS1_11target_archE910ELNS1_3gpuE8ELNS1_3repE0EEENS1_30default_config_static_selectorELNS0_4arch9wavefront6targetE1EEEvT1_.kd
    .uniform_work_group_size: 1
    .uses_dynamic_stack: false
    .vgpr_count:     0
    .vgpr_spill_count: 0
    .wavefront_size: 64
  - .args:
      - .offset:         0
        .size:           144
        .value_kind:     by_value
    .group_segment_fixed_size: 0
    .kernarg_segment_align: 8
    .kernarg_segment_size: 144
    .language:       OpenCL C
    .language_version:
      - 2
      - 0
    .max_flat_workgroup_size: 256
    .name:           _ZN7rocprim17ROCPRIM_400000_NS6detail17trampoline_kernelINS0_14default_configENS1_29reduce_by_key_config_selectorIhlN6thrust23THRUST_200600_302600_NS4plusIlEEEEZZNS1_33reduce_by_key_impl_wrapped_configILNS1_25lookback_scan_determinismE0ES3_S9_PhNS6_17constant_iteratorIiNS6_11use_defaultESE_EENS6_10device_ptrIhEENSG_IlEEPmS8_NS6_8equal_toIhEEEE10hipError_tPvRmT2_T3_mT4_T5_T6_T7_T8_P12ihipStream_tbENKUlT_T0_E_clISt17integral_constantIbLb0EES12_IbLb1EEEEDaSY_SZ_EUlSY_E_NS1_11comp_targetILNS1_3genE3ELNS1_11target_archE908ELNS1_3gpuE7ELNS1_3repE0EEENS1_30default_config_static_selectorELNS0_4arch9wavefront6targetE1EEEvT1_
    .private_segment_fixed_size: 0
    .sgpr_count:     4
    .sgpr_spill_count: 0
    .symbol:         _ZN7rocprim17ROCPRIM_400000_NS6detail17trampoline_kernelINS0_14default_configENS1_29reduce_by_key_config_selectorIhlN6thrust23THRUST_200600_302600_NS4plusIlEEEEZZNS1_33reduce_by_key_impl_wrapped_configILNS1_25lookback_scan_determinismE0ES3_S9_PhNS6_17constant_iteratorIiNS6_11use_defaultESE_EENS6_10device_ptrIhEENSG_IlEEPmS8_NS6_8equal_toIhEEEE10hipError_tPvRmT2_T3_mT4_T5_T6_T7_T8_P12ihipStream_tbENKUlT_T0_E_clISt17integral_constantIbLb0EES12_IbLb1EEEEDaSY_SZ_EUlSY_E_NS1_11comp_targetILNS1_3genE3ELNS1_11target_archE908ELNS1_3gpuE7ELNS1_3repE0EEENS1_30default_config_static_selectorELNS0_4arch9wavefront6targetE1EEEvT1_.kd
    .uniform_work_group_size: 1
    .uses_dynamic_stack: false
    .vgpr_count:     0
    .vgpr_spill_count: 0
    .wavefront_size: 64
  - .args:
      - .offset:         0
        .size:           144
        .value_kind:     by_value
    .group_segment_fixed_size: 30720
    .kernarg_segment_align: 8
    .kernarg_segment_size: 144
    .language:       OpenCL C
    .language_version:
      - 2
      - 0
    .max_flat_workgroup_size: 256
    .name:           _ZN7rocprim17ROCPRIM_400000_NS6detail17trampoline_kernelINS0_14default_configENS1_29reduce_by_key_config_selectorIhlN6thrust23THRUST_200600_302600_NS4plusIlEEEEZZNS1_33reduce_by_key_impl_wrapped_configILNS1_25lookback_scan_determinismE0ES3_S9_PhNS6_17constant_iteratorIiNS6_11use_defaultESE_EENS6_10device_ptrIhEENSG_IlEEPmS8_NS6_8equal_toIhEEEE10hipError_tPvRmT2_T3_mT4_T5_T6_T7_T8_P12ihipStream_tbENKUlT_T0_E_clISt17integral_constantIbLb0EES12_IbLb1EEEEDaSY_SZ_EUlSY_E_NS1_11comp_targetILNS1_3genE2ELNS1_11target_archE906ELNS1_3gpuE6ELNS1_3repE0EEENS1_30default_config_static_selectorELNS0_4arch9wavefront6targetE1EEEvT1_
    .private_segment_fixed_size: 64
    .sgpr_count:     72
    .sgpr_spill_count: 0
    .symbol:         _ZN7rocprim17ROCPRIM_400000_NS6detail17trampoline_kernelINS0_14default_configENS1_29reduce_by_key_config_selectorIhlN6thrust23THRUST_200600_302600_NS4plusIlEEEEZZNS1_33reduce_by_key_impl_wrapped_configILNS1_25lookback_scan_determinismE0ES3_S9_PhNS6_17constant_iteratorIiNS6_11use_defaultESE_EENS6_10device_ptrIhEENSG_IlEEPmS8_NS6_8equal_toIhEEEE10hipError_tPvRmT2_T3_mT4_T5_T6_T7_T8_P12ihipStream_tbENKUlT_T0_E_clISt17integral_constantIbLb0EES12_IbLb1EEEEDaSY_SZ_EUlSY_E_NS1_11comp_targetILNS1_3genE2ELNS1_11target_archE906ELNS1_3gpuE6ELNS1_3repE0EEENS1_30default_config_static_selectorELNS0_4arch9wavefront6targetE1EEEvT1_.kd
    .uniform_work_group_size: 1
    .uses_dynamic_stack: false
    .vgpr_count:     115
    .vgpr_spill_count: 0
    .wavefront_size: 64
  - .args:
      - .offset:         0
        .size:           144
        .value_kind:     by_value
    .group_segment_fixed_size: 0
    .kernarg_segment_align: 8
    .kernarg_segment_size: 144
    .language:       OpenCL C
    .language_version:
      - 2
      - 0
    .max_flat_workgroup_size: 256
    .name:           _ZN7rocprim17ROCPRIM_400000_NS6detail17trampoline_kernelINS0_14default_configENS1_29reduce_by_key_config_selectorIhlN6thrust23THRUST_200600_302600_NS4plusIlEEEEZZNS1_33reduce_by_key_impl_wrapped_configILNS1_25lookback_scan_determinismE0ES3_S9_PhNS6_17constant_iteratorIiNS6_11use_defaultESE_EENS6_10device_ptrIhEENSG_IlEEPmS8_NS6_8equal_toIhEEEE10hipError_tPvRmT2_T3_mT4_T5_T6_T7_T8_P12ihipStream_tbENKUlT_T0_E_clISt17integral_constantIbLb0EES12_IbLb1EEEEDaSY_SZ_EUlSY_E_NS1_11comp_targetILNS1_3genE10ELNS1_11target_archE1201ELNS1_3gpuE5ELNS1_3repE0EEENS1_30default_config_static_selectorELNS0_4arch9wavefront6targetE1EEEvT1_
    .private_segment_fixed_size: 0
    .sgpr_count:     4
    .sgpr_spill_count: 0
    .symbol:         _ZN7rocprim17ROCPRIM_400000_NS6detail17trampoline_kernelINS0_14default_configENS1_29reduce_by_key_config_selectorIhlN6thrust23THRUST_200600_302600_NS4plusIlEEEEZZNS1_33reduce_by_key_impl_wrapped_configILNS1_25lookback_scan_determinismE0ES3_S9_PhNS6_17constant_iteratorIiNS6_11use_defaultESE_EENS6_10device_ptrIhEENSG_IlEEPmS8_NS6_8equal_toIhEEEE10hipError_tPvRmT2_T3_mT4_T5_T6_T7_T8_P12ihipStream_tbENKUlT_T0_E_clISt17integral_constantIbLb0EES12_IbLb1EEEEDaSY_SZ_EUlSY_E_NS1_11comp_targetILNS1_3genE10ELNS1_11target_archE1201ELNS1_3gpuE5ELNS1_3repE0EEENS1_30default_config_static_selectorELNS0_4arch9wavefront6targetE1EEEvT1_.kd
    .uniform_work_group_size: 1
    .uses_dynamic_stack: false
    .vgpr_count:     0
    .vgpr_spill_count: 0
    .wavefront_size: 64
  - .args:
      - .offset:         0
        .size:           144
        .value_kind:     by_value
    .group_segment_fixed_size: 0
    .kernarg_segment_align: 8
    .kernarg_segment_size: 144
    .language:       OpenCL C
    .language_version:
      - 2
      - 0
    .max_flat_workgroup_size: 256
    .name:           _ZN7rocprim17ROCPRIM_400000_NS6detail17trampoline_kernelINS0_14default_configENS1_29reduce_by_key_config_selectorIhlN6thrust23THRUST_200600_302600_NS4plusIlEEEEZZNS1_33reduce_by_key_impl_wrapped_configILNS1_25lookback_scan_determinismE0ES3_S9_PhNS6_17constant_iteratorIiNS6_11use_defaultESE_EENS6_10device_ptrIhEENSG_IlEEPmS8_NS6_8equal_toIhEEEE10hipError_tPvRmT2_T3_mT4_T5_T6_T7_T8_P12ihipStream_tbENKUlT_T0_E_clISt17integral_constantIbLb0EES12_IbLb1EEEEDaSY_SZ_EUlSY_E_NS1_11comp_targetILNS1_3genE10ELNS1_11target_archE1200ELNS1_3gpuE4ELNS1_3repE0EEENS1_30default_config_static_selectorELNS0_4arch9wavefront6targetE1EEEvT1_
    .private_segment_fixed_size: 0
    .sgpr_count:     4
    .sgpr_spill_count: 0
    .symbol:         _ZN7rocprim17ROCPRIM_400000_NS6detail17trampoline_kernelINS0_14default_configENS1_29reduce_by_key_config_selectorIhlN6thrust23THRUST_200600_302600_NS4plusIlEEEEZZNS1_33reduce_by_key_impl_wrapped_configILNS1_25lookback_scan_determinismE0ES3_S9_PhNS6_17constant_iteratorIiNS6_11use_defaultESE_EENS6_10device_ptrIhEENSG_IlEEPmS8_NS6_8equal_toIhEEEE10hipError_tPvRmT2_T3_mT4_T5_T6_T7_T8_P12ihipStream_tbENKUlT_T0_E_clISt17integral_constantIbLb0EES12_IbLb1EEEEDaSY_SZ_EUlSY_E_NS1_11comp_targetILNS1_3genE10ELNS1_11target_archE1200ELNS1_3gpuE4ELNS1_3repE0EEENS1_30default_config_static_selectorELNS0_4arch9wavefront6targetE1EEEvT1_.kd
    .uniform_work_group_size: 1
    .uses_dynamic_stack: false
    .vgpr_count:     0
    .vgpr_spill_count: 0
    .wavefront_size: 64
  - .args:
      - .offset:         0
        .size:           144
        .value_kind:     by_value
    .group_segment_fixed_size: 0
    .kernarg_segment_align: 8
    .kernarg_segment_size: 144
    .language:       OpenCL C
    .language_version:
      - 2
      - 0
    .max_flat_workgroup_size: 256
    .name:           _ZN7rocprim17ROCPRIM_400000_NS6detail17trampoline_kernelINS0_14default_configENS1_29reduce_by_key_config_selectorIhlN6thrust23THRUST_200600_302600_NS4plusIlEEEEZZNS1_33reduce_by_key_impl_wrapped_configILNS1_25lookback_scan_determinismE0ES3_S9_PhNS6_17constant_iteratorIiNS6_11use_defaultESE_EENS6_10device_ptrIhEENSG_IlEEPmS8_NS6_8equal_toIhEEEE10hipError_tPvRmT2_T3_mT4_T5_T6_T7_T8_P12ihipStream_tbENKUlT_T0_E_clISt17integral_constantIbLb0EES12_IbLb1EEEEDaSY_SZ_EUlSY_E_NS1_11comp_targetILNS1_3genE9ELNS1_11target_archE1100ELNS1_3gpuE3ELNS1_3repE0EEENS1_30default_config_static_selectorELNS0_4arch9wavefront6targetE1EEEvT1_
    .private_segment_fixed_size: 0
    .sgpr_count:     4
    .sgpr_spill_count: 0
    .symbol:         _ZN7rocprim17ROCPRIM_400000_NS6detail17trampoline_kernelINS0_14default_configENS1_29reduce_by_key_config_selectorIhlN6thrust23THRUST_200600_302600_NS4plusIlEEEEZZNS1_33reduce_by_key_impl_wrapped_configILNS1_25lookback_scan_determinismE0ES3_S9_PhNS6_17constant_iteratorIiNS6_11use_defaultESE_EENS6_10device_ptrIhEENSG_IlEEPmS8_NS6_8equal_toIhEEEE10hipError_tPvRmT2_T3_mT4_T5_T6_T7_T8_P12ihipStream_tbENKUlT_T0_E_clISt17integral_constantIbLb0EES12_IbLb1EEEEDaSY_SZ_EUlSY_E_NS1_11comp_targetILNS1_3genE9ELNS1_11target_archE1100ELNS1_3gpuE3ELNS1_3repE0EEENS1_30default_config_static_selectorELNS0_4arch9wavefront6targetE1EEEvT1_.kd
    .uniform_work_group_size: 1
    .uses_dynamic_stack: false
    .vgpr_count:     0
    .vgpr_spill_count: 0
    .wavefront_size: 64
  - .args:
      - .offset:         0
        .size:           144
        .value_kind:     by_value
    .group_segment_fixed_size: 0
    .kernarg_segment_align: 8
    .kernarg_segment_size: 144
    .language:       OpenCL C
    .language_version:
      - 2
      - 0
    .max_flat_workgroup_size: 256
    .name:           _ZN7rocprim17ROCPRIM_400000_NS6detail17trampoline_kernelINS0_14default_configENS1_29reduce_by_key_config_selectorIhlN6thrust23THRUST_200600_302600_NS4plusIlEEEEZZNS1_33reduce_by_key_impl_wrapped_configILNS1_25lookback_scan_determinismE0ES3_S9_PhNS6_17constant_iteratorIiNS6_11use_defaultESE_EENS6_10device_ptrIhEENSG_IlEEPmS8_NS6_8equal_toIhEEEE10hipError_tPvRmT2_T3_mT4_T5_T6_T7_T8_P12ihipStream_tbENKUlT_T0_E_clISt17integral_constantIbLb0EES12_IbLb1EEEEDaSY_SZ_EUlSY_E_NS1_11comp_targetILNS1_3genE8ELNS1_11target_archE1030ELNS1_3gpuE2ELNS1_3repE0EEENS1_30default_config_static_selectorELNS0_4arch9wavefront6targetE1EEEvT1_
    .private_segment_fixed_size: 0
    .sgpr_count:     4
    .sgpr_spill_count: 0
    .symbol:         _ZN7rocprim17ROCPRIM_400000_NS6detail17trampoline_kernelINS0_14default_configENS1_29reduce_by_key_config_selectorIhlN6thrust23THRUST_200600_302600_NS4plusIlEEEEZZNS1_33reduce_by_key_impl_wrapped_configILNS1_25lookback_scan_determinismE0ES3_S9_PhNS6_17constant_iteratorIiNS6_11use_defaultESE_EENS6_10device_ptrIhEENSG_IlEEPmS8_NS6_8equal_toIhEEEE10hipError_tPvRmT2_T3_mT4_T5_T6_T7_T8_P12ihipStream_tbENKUlT_T0_E_clISt17integral_constantIbLb0EES12_IbLb1EEEEDaSY_SZ_EUlSY_E_NS1_11comp_targetILNS1_3genE8ELNS1_11target_archE1030ELNS1_3gpuE2ELNS1_3repE0EEENS1_30default_config_static_selectorELNS0_4arch9wavefront6targetE1EEEvT1_.kd
    .uniform_work_group_size: 1
    .uses_dynamic_stack: false
    .vgpr_count:     0
    .vgpr_spill_count: 0
    .wavefront_size: 64
  - .args:
      - .offset:         0
        .size:           72
        .value_kind:     by_value
    .group_segment_fixed_size: 0
    .kernarg_segment_align: 8
    .kernarg_segment_size: 72
    .language:       OpenCL C
    .language_version:
      - 2
      - 0
    .max_flat_workgroup_size: 128
    .name:           _ZN7rocprim17ROCPRIM_400000_NS6detail17trampoline_kernelINS0_14default_configENS1_22reduce_config_selectorIN6thrust23THRUST_200600_302600_NS5tupleIllNS6_9null_typeES8_S8_S8_S8_S8_S8_S8_EEEEZNS1_11reduce_implILb0ES3_PS9_SC_S9_NS6_11hip_rocprim9__extrema9arg_max_fIllNS6_4lessIlEEEEEE10hipError_tPvRmT1_T2_T3_mT4_P12ihipStream_tbEUlT_E0_NS1_11comp_targetILNS1_3genE0ELNS1_11target_archE4294967295ELNS1_3gpuE0ELNS1_3repE0EEENS1_30default_config_static_selectorELNS0_4arch9wavefront6targetE1EEEvSM_
    .private_segment_fixed_size: 0
    .sgpr_count:     4
    .sgpr_spill_count: 0
    .symbol:         _ZN7rocprim17ROCPRIM_400000_NS6detail17trampoline_kernelINS0_14default_configENS1_22reduce_config_selectorIN6thrust23THRUST_200600_302600_NS5tupleIllNS6_9null_typeES8_S8_S8_S8_S8_S8_S8_EEEEZNS1_11reduce_implILb0ES3_PS9_SC_S9_NS6_11hip_rocprim9__extrema9arg_max_fIllNS6_4lessIlEEEEEE10hipError_tPvRmT1_T2_T3_mT4_P12ihipStream_tbEUlT_E0_NS1_11comp_targetILNS1_3genE0ELNS1_11target_archE4294967295ELNS1_3gpuE0ELNS1_3repE0EEENS1_30default_config_static_selectorELNS0_4arch9wavefront6targetE1EEEvSM_.kd
    .uniform_work_group_size: 1
    .uses_dynamic_stack: false
    .vgpr_count:     0
    .vgpr_spill_count: 0
    .wavefront_size: 64
  - .args:
      - .offset:         0
        .size:           72
        .value_kind:     by_value
    .group_segment_fixed_size: 0
    .kernarg_segment_align: 8
    .kernarg_segment_size: 72
    .language:       OpenCL C
    .language_version:
      - 2
      - 0
    .max_flat_workgroup_size: 256
    .name:           _ZN7rocprim17ROCPRIM_400000_NS6detail17trampoline_kernelINS0_14default_configENS1_22reduce_config_selectorIN6thrust23THRUST_200600_302600_NS5tupleIllNS6_9null_typeES8_S8_S8_S8_S8_S8_S8_EEEEZNS1_11reduce_implILb0ES3_PS9_SC_S9_NS6_11hip_rocprim9__extrema9arg_max_fIllNS6_4lessIlEEEEEE10hipError_tPvRmT1_T2_T3_mT4_P12ihipStream_tbEUlT_E0_NS1_11comp_targetILNS1_3genE5ELNS1_11target_archE942ELNS1_3gpuE9ELNS1_3repE0EEENS1_30default_config_static_selectorELNS0_4arch9wavefront6targetE1EEEvSM_
    .private_segment_fixed_size: 0
    .sgpr_count:     4
    .sgpr_spill_count: 0
    .symbol:         _ZN7rocprim17ROCPRIM_400000_NS6detail17trampoline_kernelINS0_14default_configENS1_22reduce_config_selectorIN6thrust23THRUST_200600_302600_NS5tupleIllNS6_9null_typeES8_S8_S8_S8_S8_S8_S8_EEEEZNS1_11reduce_implILb0ES3_PS9_SC_S9_NS6_11hip_rocprim9__extrema9arg_max_fIllNS6_4lessIlEEEEEE10hipError_tPvRmT1_T2_T3_mT4_P12ihipStream_tbEUlT_E0_NS1_11comp_targetILNS1_3genE5ELNS1_11target_archE942ELNS1_3gpuE9ELNS1_3repE0EEENS1_30default_config_static_selectorELNS0_4arch9wavefront6targetE1EEEvSM_.kd
    .uniform_work_group_size: 1
    .uses_dynamic_stack: false
    .vgpr_count:     0
    .vgpr_spill_count: 0
    .wavefront_size: 64
  - .args:
      - .offset:         0
        .size:           72
        .value_kind:     by_value
    .group_segment_fixed_size: 0
    .kernarg_segment_align: 8
    .kernarg_segment_size: 72
    .language:       OpenCL C
    .language_version:
      - 2
      - 0
    .max_flat_workgroup_size: 256
    .name:           _ZN7rocprim17ROCPRIM_400000_NS6detail17trampoline_kernelINS0_14default_configENS1_22reduce_config_selectorIN6thrust23THRUST_200600_302600_NS5tupleIllNS6_9null_typeES8_S8_S8_S8_S8_S8_S8_EEEEZNS1_11reduce_implILb0ES3_PS9_SC_S9_NS6_11hip_rocprim9__extrema9arg_max_fIllNS6_4lessIlEEEEEE10hipError_tPvRmT1_T2_T3_mT4_P12ihipStream_tbEUlT_E0_NS1_11comp_targetILNS1_3genE4ELNS1_11target_archE910ELNS1_3gpuE8ELNS1_3repE0EEENS1_30default_config_static_selectorELNS0_4arch9wavefront6targetE1EEEvSM_
    .private_segment_fixed_size: 0
    .sgpr_count:     4
    .sgpr_spill_count: 0
    .symbol:         _ZN7rocprim17ROCPRIM_400000_NS6detail17trampoline_kernelINS0_14default_configENS1_22reduce_config_selectorIN6thrust23THRUST_200600_302600_NS5tupleIllNS6_9null_typeES8_S8_S8_S8_S8_S8_S8_EEEEZNS1_11reduce_implILb0ES3_PS9_SC_S9_NS6_11hip_rocprim9__extrema9arg_max_fIllNS6_4lessIlEEEEEE10hipError_tPvRmT1_T2_T3_mT4_P12ihipStream_tbEUlT_E0_NS1_11comp_targetILNS1_3genE4ELNS1_11target_archE910ELNS1_3gpuE8ELNS1_3repE0EEENS1_30default_config_static_selectorELNS0_4arch9wavefront6targetE1EEEvSM_.kd
    .uniform_work_group_size: 1
    .uses_dynamic_stack: false
    .vgpr_count:     0
    .vgpr_spill_count: 0
    .wavefront_size: 64
  - .args:
      - .offset:         0
        .size:           72
        .value_kind:     by_value
    .group_segment_fixed_size: 0
    .kernarg_segment_align: 8
    .kernarg_segment_size: 72
    .language:       OpenCL C
    .language_version:
      - 2
      - 0
    .max_flat_workgroup_size: 128
    .name:           _ZN7rocprim17ROCPRIM_400000_NS6detail17trampoline_kernelINS0_14default_configENS1_22reduce_config_selectorIN6thrust23THRUST_200600_302600_NS5tupleIllNS6_9null_typeES8_S8_S8_S8_S8_S8_S8_EEEEZNS1_11reduce_implILb0ES3_PS9_SC_S9_NS6_11hip_rocprim9__extrema9arg_max_fIllNS6_4lessIlEEEEEE10hipError_tPvRmT1_T2_T3_mT4_P12ihipStream_tbEUlT_E0_NS1_11comp_targetILNS1_3genE3ELNS1_11target_archE908ELNS1_3gpuE7ELNS1_3repE0EEENS1_30default_config_static_selectorELNS0_4arch9wavefront6targetE1EEEvSM_
    .private_segment_fixed_size: 0
    .sgpr_count:     4
    .sgpr_spill_count: 0
    .symbol:         _ZN7rocprim17ROCPRIM_400000_NS6detail17trampoline_kernelINS0_14default_configENS1_22reduce_config_selectorIN6thrust23THRUST_200600_302600_NS5tupleIllNS6_9null_typeES8_S8_S8_S8_S8_S8_S8_EEEEZNS1_11reduce_implILb0ES3_PS9_SC_S9_NS6_11hip_rocprim9__extrema9arg_max_fIllNS6_4lessIlEEEEEE10hipError_tPvRmT1_T2_T3_mT4_P12ihipStream_tbEUlT_E0_NS1_11comp_targetILNS1_3genE3ELNS1_11target_archE908ELNS1_3gpuE7ELNS1_3repE0EEENS1_30default_config_static_selectorELNS0_4arch9wavefront6targetE1EEEvSM_.kd
    .uniform_work_group_size: 1
    .uses_dynamic_stack: false
    .vgpr_count:     0
    .vgpr_spill_count: 0
    .wavefront_size: 64
  - .args:
      - .offset:         0
        .size:           72
        .value_kind:     by_value
    .group_segment_fixed_size: 64
    .kernarg_segment_align: 8
    .kernarg_segment_size: 72
    .language:       OpenCL C
    .language_version:
      - 2
      - 0
    .max_flat_workgroup_size: 128
    .name:           _ZN7rocprim17ROCPRIM_400000_NS6detail17trampoline_kernelINS0_14default_configENS1_22reduce_config_selectorIN6thrust23THRUST_200600_302600_NS5tupleIllNS6_9null_typeES8_S8_S8_S8_S8_S8_S8_EEEEZNS1_11reduce_implILb0ES3_PS9_SC_S9_NS6_11hip_rocprim9__extrema9arg_max_fIllNS6_4lessIlEEEEEE10hipError_tPvRmT1_T2_T3_mT4_P12ihipStream_tbEUlT_E0_NS1_11comp_targetILNS1_3genE2ELNS1_11target_archE906ELNS1_3gpuE6ELNS1_3repE0EEENS1_30default_config_static_selectorELNS0_4arch9wavefront6targetE1EEEvSM_
    .private_segment_fixed_size: 0
    .sgpr_count:     28
    .sgpr_spill_count: 0
    .symbol:         _ZN7rocprim17ROCPRIM_400000_NS6detail17trampoline_kernelINS0_14default_configENS1_22reduce_config_selectorIN6thrust23THRUST_200600_302600_NS5tupleIllNS6_9null_typeES8_S8_S8_S8_S8_S8_S8_EEEEZNS1_11reduce_implILb0ES3_PS9_SC_S9_NS6_11hip_rocprim9__extrema9arg_max_fIllNS6_4lessIlEEEEEE10hipError_tPvRmT1_T2_T3_mT4_P12ihipStream_tbEUlT_E0_NS1_11comp_targetILNS1_3genE2ELNS1_11target_archE906ELNS1_3gpuE6ELNS1_3repE0EEENS1_30default_config_static_selectorELNS0_4arch9wavefront6targetE1EEEvSM_.kd
    .uniform_work_group_size: 1
    .uses_dynamic_stack: false
    .vgpr_count:     15
    .vgpr_spill_count: 0
    .wavefront_size: 64
  - .args:
      - .offset:         0
        .size:           72
        .value_kind:     by_value
    .group_segment_fixed_size: 0
    .kernarg_segment_align: 8
    .kernarg_segment_size: 72
    .language:       OpenCL C
    .language_version:
      - 2
      - 0
    .max_flat_workgroup_size: 256
    .name:           _ZN7rocprim17ROCPRIM_400000_NS6detail17trampoline_kernelINS0_14default_configENS1_22reduce_config_selectorIN6thrust23THRUST_200600_302600_NS5tupleIllNS6_9null_typeES8_S8_S8_S8_S8_S8_S8_EEEEZNS1_11reduce_implILb0ES3_PS9_SC_S9_NS6_11hip_rocprim9__extrema9arg_max_fIllNS6_4lessIlEEEEEE10hipError_tPvRmT1_T2_T3_mT4_P12ihipStream_tbEUlT_E0_NS1_11comp_targetILNS1_3genE10ELNS1_11target_archE1201ELNS1_3gpuE5ELNS1_3repE0EEENS1_30default_config_static_selectorELNS0_4arch9wavefront6targetE1EEEvSM_
    .private_segment_fixed_size: 0
    .sgpr_count:     4
    .sgpr_spill_count: 0
    .symbol:         _ZN7rocprim17ROCPRIM_400000_NS6detail17trampoline_kernelINS0_14default_configENS1_22reduce_config_selectorIN6thrust23THRUST_200600_302600_NS5tupleIllNS6_9null_typeES8_S8_S8_S8_S8_S8_S8_EEEEZNS1_11reduce_implILb0ES3_PS9_SC_S9_NS6_11hip_rocprim9__extrema9arg_max_fIllNS6_4lessIlEEEEEE10hipError_tPvRmT1_T2_T3_mT4_P12ihipStream_tbEUlT_E0_NS1_11comp_targetILNS1_3genE10ELNS1_11target_archE1201ELNS1_3gpuE5ELNS1_3repE0EEENS1_30default_config_static_selectorELNS0_4arch9wavefront6targetE1EEEvSM_.kd
    .uniform_work_group_size: 1
    .uses_dynamic_stack: false
    .vgpr_count:     0
    .vgpr_spill_count: 0
    .wavefront_size: 64
  - .args:
      - .offset:         0
        .size:           72
        .value_kind:     by_value
    .group_segment_fixed_size: 0
    .kernarg_segment_align: 8
    .kernarg_segment_size: 72
    .language:       OpenCL C
    .language_version:
      - 2
      - 0
    .max_flat_workgroup_size: 256
    .name:           _ZN7rocprim17ROCPRIM_400000_NS6detail17trampoline_kernelINS0_14default_configENS1_22reduce_config_selectorIN6thrust23THRUST_200600_302600_NS5tupleIllNS6_9null_typeES8_S8_S8_S8_S8_S8_S8_EEEEZNS1_11reduce_implILb0ES3_PS9_SC_S9_NS6_11hip_rocprim9__extrema9arg_max_fIllNS6_4lessIlEEEEEE10hipError_tPvRmT1_T2_T3_mT4_P12ihipStream_tbEUlT_E0_NS1_11comp_targetILNS1_3genE10ELNS1_11target_archE1200ELNS1_3gpuE4ELNS1_3repE0EEENS1_30default_config_static_selectorELNS0_4arch9wavefront6targetE1EEEvSM_
    .private_segment_fixed_size: 0
    .sgpr_count:     4
    .sgpr_spill_count: 0
    .symbol:         _ZN7rocprim17ROCPRIM_400000_NS6detail17trampoline_kernelINS0_14default_configENS1_22reduce_config_selectorIN6thrust23THRUST_200600_302600_NS5tupleIllNS6_9null_typeES8_S8_S8_S8_S8_S8_S8_EEEEZNS1_11reduce_implILb0ES3_PS9_SC_S9_NS6_11hip_rocprim9__extrema9arg_max_fIllNS6_4lessIlEEEEEE10hipError_tPvRmT1_T2_T3_mT4_P12ihipStream_tbEUlT_E0_NS1_11comp_targetILNS1_3genE10ELNS1_11target_archE1200ELNS1_3gpuE4ELNS1_3repE0EEENS1_30default_config_static_selectorELNS0_4arch9wavefront6targetE1EEEvSM_.kd
    .uniform_work_group_size: 1
    .uses_dynamic_stack: false
    .vgpr_count:     0
    .vgpr_spill_count: 0
    .wavefront_size: 64
  - .args:
      - .offset:         0
        .size:           72
        .value_kind:     by_value
    .group_segment_fixed_size: 0
    .kernarg_segment_align: 8
    .kernarg_segment_size: 72
    .language:       OpenCL C
    .language_version:
      - 2
      - 0
    .max_flat_workgroup_size: 256
    .name:           _ZN7rocprim17ROCPRIM_400000_NS6detail17trampoline_kernelINS0_14default_configENS1_22reduce_config_selectorIN6thrust23THRUST_200600_302600_NS5tupleIllNS6_9null_typeES8_S8_S8_S8_S8_S8_S8_EEEEZNS1_11reduce_implILb0ES3_PS9_SC_S9_NS6_11hip_rocprim9__extrema9arg_max_fIllNS6_4lessIlEEEEEE10hipError_tPvRmT1_T2_T3_mT4_P12ihipStream_tbEUlT_E0_NS1_11comp_targetILNS1_3genE9ELNS1_11target_archE1100ELNS1_3gpuE3ELNS1_3repE0EEENS1_30default_config_static_selectorELNS0_4arch9wavefront6targetE1EEEvSM_
    .private_segment_fixed_size: 0
    .sgpr_count:     4
    .sgpr_spill_count: 0
    .symbol:         _ZN7rocprim17ROCPRIM_400000_NS6detail17trampoline_kernelINS0_14default_configENS1_22reduce_config_selectorIN6thrust23THRUST_200600_302600_NS5tupleIllNS6_9null_typeES8_S8_S8_S8_S8_S8_S8_EEEEZNS1_11reduce_implILb0ES3_PS9_SC_S9_NS6_11hip_rocprim9__extrema9arg_max_fIllNS6_4lessIlEEEEEE10hipError_tPvRmT1_T2_T3_mT4_P12ihipStream_tbEUlT_E0_NS1_11comp_targetILNS1_3genE9ELNS1_11target_archE1100ELNS1_3gpuE3ELNS1_3repE0EEENS1_30default_config_static_selectorELNS0_4arch9wavefront6targetE1EEEvSM_.kd
    .uniform_work_group_size: 1
    .uses_dynamic_stack: false
    .vgpr_count:     0
    .vgpr_spill_count: 0
    .wavefront_size: 64
  - .args:
      - .offset:         0
        .size:           72
        .value_kind:     by_value
    .group_segment_fixed_size: 0
    .kernarg_segment_align: 8
    .kernarg_segment_size: 72
    .language:       OpenCL C
    .language_version:
      - 2
      - 0
    .max_flat_workgroup_size: 256
    .name:           _ZN7rocprim17ROCPRIM_400000_NS6detail17trampoline_kernelINS0_14default_configENS1_22reduce_config_selectorIN6thrust23THRUST_200600_302600_NS5tupleIllNS6_9null_typeES8_S8_S8_S8_S8_S8_S8_EEEEZNS1_11reduce_implILb0ES3_PS9_SC_S9_NS6_11hip_rocprim9__extrema9arg_max_fIllNS6_4lessIlEEEEEE10hipError_tPvRmT1_T2_T3_mT4_P12ihipStream_tbEUlT_E0_NS1_11comp_targetILNS1_3genE8ELNS1_11target_archE1030ELNS1_3gpuE2ELNS1_3repE0EEENS1_30default_config_static_selectorELNS0_4arch9wavefront6targetE1EEEvSM_
    .private_segment_fixed_size: 0
    .sgpr_count:     4
    .sgpr_spill_count: 0
    .symbol:         _ZN7rocprim17ROCPRIM_400000_NS6detail17trampoline_kernelINS0_14default_configENS1_22reduce_config_selectorIN6thrust23THRUST_200600_302600_NS5tupleIllNS6_9null_typeES8_S8_S8_S8_S8_S8_S8_EEEEZNS1_11reduce_implILb0ES3_PS9_SC_S9_NS6_11hip_rocprim9__extrema9arg_max_fIllNS6_4lessIlEEEEEE10hipError_tPvRmT1_T2_T3_mT4_P12ihipStream_tbEUlT_E0_NS1_11comp_targetILNS1_3genE8ELNS1_11target_archE1030ELNS1_3gpuE2ELNS1_3repE0EEENS1_30default_config_static_selectorELNS0_4arch9wavefront6targetE1EEEvSM_.kd
    .uniform_work_group_size: 1
    .uses_dynamic_stack: false
    .vgpr_count:     0
    .vgpr_spill_count: 0
    .wavefront_size: 64
  - .args:
      - .offset:         0
        .size:           56
        .value_kind:     by_value
    .group_segment_fixed_size: 0
    .kernarg_segment_align: 8
    .kernarg_segment_size: 56
    .language:       OpenCL C
    .language_version:
      - 2
      - 0
    .max_flat_workgroup_size: 128
    .name:           _ZN7rocprim17ROCPRIM_400000_NS6detail17trampoline_kernelINS0_14default_configENS1_22reduce_config_selectorIN6thrust23THRUST_200600_302600_NS5tupleIllNS6_9null_typeES8_S8_S8_S8_S8_S8_S8_EEEEZNS1_11reduce_implILb0ES3_PS9_SC_S9_NS6_11hip_rocprim9__extrema9arg_max_fIllNS6_4lessIlEEEEEE10hipError_tPvRmT1_T2_T3_mT4_P12ihipStream_tbEUlT_E1_NS1_11comp_targetILNS1_3genE0ELNS1_11target_archE4294967295ELNS1_3gpuE0ELNS1_3repE0EEENS1_30default_config_static_selectorELNS0_4arch9wavefront6targetE1EEEvSM_
    .private_segment_fixed_size: 0
    .sgpr_count:     4
    .sgpr_spill_count: 0
    .symbol:         _ZN7rocprim17ROCPRIM_400000_NS6detail17trampoline_kernelINS0_14default_configENS1_22reduce_config_selectorIN6thrust23THRUST_200600_302600_NS5tupleIllNS6_9null_typeES8_S8_S8_S8_S8_S8_S8_EEEEZNS1_11reduce_implILb0ES3_PS9_SC_S9_NS6_11hip_rocprim9__extrema9arg_max_fIllNS6_4lessIlEEEEEE10hipError_tPvRmT1_T2_T3_mT4_P12ihipStream_tbEUlT_E1_NS1_11comp_targetILNS1_3genE0ELNS1_11target_archE4294967295ELNS1_3gpuE0ELNS1_3repE0EEENS1_30default_config_static_selectorELNS0_4arch9wavefront6targetE1EEEvSM_.kd
    .uniform_work_group_size: 1
    .uses_dynamic_stack: false
    .vgpr_count:     0
    .vgpr_spill_count: 0
    .wavefront_size: 64
  - .args:
      - .offset:         0
        .size:           56
        .value_kind:     by_value
    .group_segment_fixed_size: 0
    .kernarg_segment_align: 8
    .kernarg_segment_size: 56
    .language:       OpenCL C
    .language_version:
      - 2
      - 0
    .max_flat_workgroup_size: 256
    .name:           _ZN7rocprim17ROCPRIM_400000_NS6detail17trampoline_kernelINS0_14default_configENS1_22reduce_config_selectorIN6thrust23THRUST_200600_302600_NS5tupleIllNS6_9null_typeES8_S8_S8_S8_S8_S8_S8_EEEEZNS1_11reduce_implILb0ES3_PS9_SC_S9_NS6_11hip_rocprim9__extrema9arg_max_fIllNS6_4lessIlEEEEEE10hipError_tPvRmT1_T2_T3_mT4_P12ihipStream_tbEUlT_E1_NS1_11comp_targetILNS1_3genE5ELNS1_11target_archE942ELNS1_3gpuE9ELNS1_3repE0EEENS1_30default_config_static_selectorELNS0_4arch9wavefront6targetE1EEEvSM_
    .private_segment_fixed_size: 0
    .sgpr_count:     4
    .sgpr_spill_count: 0
    .symbol:         _ZN7rocprim17ROCPRIM_400000_NS6detail17trampoline_kernelINS0_14default_configENS1_22reduce_config_selectorIN6thrust23THRUST_200600_302600_NS5tupleIllNS6_9null_typeES8_S8_S8_S8_S8_S8_S8_EEEEZNS1_11reduce_implILb0ES3_PS9_SC_S9_NS6_11hip_rocprim9__extrema9arg_max_fIllNS6_4lessIlEEEEEE10hipError_tPvRmT1_T2_T3_mT4_P12ihipStream_tbEUlT_E1_NS1_11comp_targetILNS1_3genE5ELNS1_11target_archE942ELNS1_3gpuE9ELNS1_3repE0EEENS1_30default_config_static_selectorELNS0_4arch9wavefront6targetE1EEEvSM_.kd
    .uniform_work_group_size: 1
    .uses_dynamic_stack: false
    .vgpr_count:     0
    .vgpr_spill_count: 0
    .wavefront_size: 64
  - .args:
      - .offset:         0
        .size:           56
        .value_kind:     by_value
    .group_segment_fixed_size: 0
    .kernarg_segment_align: 8
    .kernarg_segment_size: 56
    .language:       OpenCL C
    .language_version:
      - 2
      - 0
    .max_flat_workgroup_size: 256
    .name:           _ZN7rocprim17ROCPRIM_400000_NS6detail17trampoline_kernelINS0_14default_configENS1_22reduce_config_selectorIN6thrust23THRUST_200600_302600_NS5tupleIllNS6_9null_typeES8_S8_S8_S8_S8_S8_S8_EEEEZNS1_11reduce_implILb0ES3_PS9_SC_S9_NS6_11hip_rocprim9__extrema9arg_max_fIllNS6_4lessIlEEEEEE10hipError_tPvRmT1_T2_T3_mT4_P12ihipStream_tbEUlT_E1_NS1_11comp_targetILNS1_3genE4ELNS1_11target_archE910ELNS1_3gpuE8ELNS1_3repE0EEENS1_30default_config_static_selectorELNS0_4arch9wavefront6targetE1EEEvSM_
    .private_segment_fixed_size: 0
    .sgpr_count:     4
    .sgpr_spill_count: 0
    .symbol:         _ZN7rocprim17ROCPRIM_400000_NS6detail17trampoline_kernelINS0_14default_configENS1_22reduce_config_selectorIN6thrust23THRUST_200600_302600_NS5tupleIllNS6_9null_typeES8_S8_S8_S8_S8_S8_S8_EEEEZNS1_11reduce_implILb0ES3_PS9_SC_S9_NS6_11hip_rocprim9__extrema9arg_max_fIllNS6_4lessIlEEEEEE10hipError_tPvRmT1_T2_T3_mT4_P12ihipStream_tbEUlT_E1_NS1_11comp_targetILNS1_3genE4ELNS1_11target_archE910ELNS1_3gpuE8ELNS1_3repE0EEENS1_30default_config_static_selectorELNS0_4arch9wavefront6targetE1EEEvSM_.kd
    .uniform_work_group_size: 1
    .uses_dynamic_stack: false
    .vgpr_count:     0
    .vgpr_spill_count: 0
    .wavefront_size: 64
  - .args:
      - .offset:         0
        .size:           56
        .value_kind:     by_value
    .group_segment_fixed_size: 0
    .kernarg_segment_align: 8
    .kernarg_segment_size: 56
    .language:       OpenCL C
    .language_version:
      - 2
      - 0
    .max_flat_workgroup_size: 128
    .name:           _ZN7rocprim17ROCPRIM_400000_NS6detail17trampoline_kernelINS0_14default_configENS1_22reduce_config_selectorIN6thrust23THRUST_200600_302600_NS5tupleIllNS6_9null_typeES8_S8_S8_S8_S8_S8_S8_EEEEZNS1_11reduce_implILb0ES3_PS9_SC_S9_NS6_11hip_rocprim9__extrema9arg_max_fIllNS6_4lessIlEEEEEE10hipError_tPvRmT1_T2_T3_mT4_P12ihipStream_tbEUlT_E1_NS1_11comp_targetILNS1_3genE3ELNS1_11target_archE908ELNS1_3gpuE7ELNS1_3repE0EEENS1_30default_config_static_selectorELNS0_4arch9wavefront6targetE1EEEvSM_
    .private_segment_fixed_size: 0
    .sgpr_count:     4
    .sgpr_spill_count: 0
    .symbol:         _ZN7rocprim17ROCPRIM_400000_NS6detail17trampoline_kernelINS0_14default_configENS1_22reduce_config_selectorIN6thrust23THRUST_200600_302600_NS5tupleIllNS6_9null_typeES8_S8_S8_S8_S8_S8_S8_EEEEZNS1_11reduce_implILb0ES3_PS9_SC_S9_NS6_11hip_rocprim9__extrema9arg_max_fIllNS6_4lessIlEEEEEE10hipError_tPvRmT1_T2_T3_mT4_P12ihipStream_tbEUlT_E1_NS1_11comp_targetILNS1_3genE3ELNS1_11target_archE908ELNS1_3gpuE7ELNS1_3repE0EEENS1_30default_config_static_selectorELNS0_4arch9wavefront6targetE1EEEvSM_.kd
    .uniform_work_group_size: 1
    .uses_dynamic_stack: false
    .vgpr_count:     0
    .vgpr_spill_count: 0
    .wavefront_size: 64
  - .args:
      - .offset:         0
        .size:           56
        .value_kind:     by_value
    .group_segment_fixed_size: 160
    .kernarg_segment_align: 8
    .kernarg_segment_size: 56
    .language:       OpenCL C
    .language_version:
      - 2
      - 0
    .max_flat_workgroup_size: 128
    .name:           _ZN7rocprim17ROCPRIM_400000_NS6detail17trampoline_kernelINS0_14default_configENS1_22reduce_config_selectorIN6thrust23THRUST_200600_302600_NS5tupleIllNS6_9null_typeES8_S8_S8_S8_S8_S8_S8_EEEEZNS1_11reduce_implILb0ES3_PS9_SC_S9_NS6_11hip_rocprim9__extrema9arg_max_fIllNS6_4lessIlEEEEEE10hipError_tPvRmT1_T2_T3_mT4_P12ihipStream_tbEUlT_E1_NS1_11comp_targetILNS1_3genE2ELNS1_11target_archE906ELNS1_3gpuE6ELNS1_3repE0EEENS1_30default_config_static_selectorELNS0_4arch9wavefront6targetE1EEEvSM_
    .private_segment_fixed_size: 0
    .sgpr_count:     36
    .sgpr_spill_count: 0
    .symbol:         _ZN7rocprim17ROCPRIM_400000_NS6detail17trampoline_kernelINS0_14default_configENS1_22reduce_config_selectorIN6thrust23THRUST_200600_302600_NS5tupleIllNS6_9null_typeES8_S8_S8_S8_S8_S8_S8_EEEEZNS1_11reduce_implILb0ES3_PS9_SC_S9_NS6_11hip_rocprim9__extrema9arg_max_fIllNS6_4lessIlEEEEEE10hipError_tPvRmT1_T2_T3_mT4_P12ihipStream_tbEUlT_E1_NS1_11comp_targetILNS1_3genE2ELNS1_11target_archE906ELNS1_3gpuE6ELNS1_3repE0EEENS1_30default_config_static_selectorELNS0_4arch9wavefront6targetE1EEEvSM_.kd
    .uniform_work_group_size: 1
    .uses_dynamic_stack: false
    .vgpr_count:     35
    .vgpr_spill_count: 0
    .wavefront_size: 64
  - .args:
      - .offset:         0
        .size:           56
        .value_kind:     by_value
    .group_segment_fixed_size: 0
    .kernarg_segment_align: 8
    .kernarg_segment_size: 56
    .language:       OpenCL C
    .language_version:
      - 2
      - 0
    .max_flat_workgroup_size: 256
    .name:           _ZN7rocprim17ROCPRIM_400000_NS6detail17trampoline_kernelINS0_14default_configENS1_22reduce_config_selectorIN6thrust23THRUST_200600_302600_NS5tupleIllNS6_9null_typeES8_S8_S8_S8_S8_S8_S8_EEEEZNS1_11reduce_implILb0ES3_PS9_SC_S9_NS6_11hip_rocprim9__extrema9arg_max_fIllNS6_4lessIlEEEEEE10hipError_tPvRmT1_T2_T3_mT4_P12ihipStream_tbEUlT_E1_NS1_11comp_targetILNS1_3genE10ELNS1_11target_archE1201ELNS1_3gpuE5ELNS1_3repE0EEENS1_30default_config_static_selectorELNS0_4arch9wavefront6targetE1EEEvSM_
    .private_segment_fixed_size: 0
    .sgpr_count:     4
    .sgpr_spill_count: 0
    .symbol:         _ZN7rocprim17ROCPRIM_400000_NS6detail17trampoline_kernelINS0_14default_configENS1_22reduce_config_selectorIN6thrust23THRUST_200600_302600_NS5tupleIllNS6_9null_typeES8_S8_S8_S8_S8_S8_S8_EEEEZNS1_11reduce_implILb0ES3_PS9_SC_S9_NS6_11hip_rocprim9__extrema9arg_max_fIllNS6_4lessIlEEEEEE10hipError_tPvRmT1_T2_T3_mT4_P12ihipStream_tbEUlT_E1_NS1_11comp_targetILNS1_3genE10ELNS1_11target_archE1201ELNS1_3gpuE5ELNS1_3repE0EEENS1_30default_config_static_selectorELNS0_4arch9wavefront6targetE1EEEvSM_.kd
    .uniform_work_group_size: 1
    .uses_dynamic_stack: false
    .vgpr_count:     0
    .vgpr_spill_count: 0
    .wavefront_size: 64
  - .args:
      - .offset:         0
        .size:           56
        .value_kind:     by_value
    .group_segment_fixed_size: 0
    .kernarg_segment_align: 8
    .kernarg_segment_size: 56
    .language:       OpenCL C
    .language_version:
      - 2
      - 0
    .max_flat_workgroup_size: 256
    .name:           _ZN7rocprim17ROCPRIM_400000_NS6detail17trampoline_kernelINS0_14default_configENS1_22reduce_config_selectorIN6thrust23THRUST_200600_302600_NS5tupleIllNS6_9null_typeES8_S8_S8_S8_S8_S8_S8_EEEEZNS1_11reduce_implILb0ES3_PS9_SC_S9_NS6_11hip_rocprim9__extrema9arg_max_fIllNS6_4lessIlEEEEEE10hipError_tPvRmT1_T2_T3_mT4_P12ihipStream_tbEUlT_E1_NS1_11comp_targetILNS1_3genE10ELNS1_11target_archE1200ELNS1_3gpuE4ELNS1_3repE0EEENS1_30default_config_static_selectorELNS0_4arch9wavefront6targetE1EEEvSM_
    .private_segment_fixed_size: 0
    .sgpr_count:     4
    .sgpr_spill_count: 0
    .symbol:         _ZN7rocprim17ROCPRIM_400000_NS6detail17trampoline_kernelINS0_14default_configENS1_22reduce_config_selectorIN6thrust23THRUST_200600_302600_NS5tupleIllNS6_9null_typeES8_S8_S8_S8_S8_S8_S8_EEEEZNS1_11reduce_implILb0ES3_PS9_SC_S9_NS6_11hip_rocprim9__extrema9arg_max_fIllNS6_4lessIlEEEEEE10hipError_tPvRmT1_T2_T3_mT4_P12ihipStream_tbEUlT_E1_NS1_11comp_targetILNS1_3genE10ELNS1_11target_archE1200ELNS1_3gpuE4ELNS1_3repE0EEENS1_30default_config_static_selectorELNS0_4arch9wavefront6targetE1EEEvSM_.kd
    .uniform_work_group_size: 1
    .uses_dynamic_stack: false
    .vgpr_count:     0
    .vgpr_spill_count: 0
    .wavefront_size: 64
  - .args:
      - .offset:         0
        .size:           56
        .value_kind:     by_value
    .group_segment_fixed_size: 0
    .kernarg_segment_align: 8
    .kernarg_segment_size: 56
    .language:       OpenCL C
    .language_version:
      - 2
      - 0
    .max_flat_workgroup_size: 256
    .name:           _ZN7rocprim17ROCPRIM_400000_NS6detail17trampoline_kernelINS0_14default_configENS1_22reduce_config_selectorIN6thrust23THRUST_200600_302600_NS5tupleIllNS6_9null_typeES8_S8_S8_S8_S8_S8_S8_EEEEZNS1_11reduce_implILb0ES3_PS9_SC_S9_NS6_11hip_rocprim9__extrema9arg_max_fIllNS6_4lessIlEEEEEE10hipError_tPvRmT1_T2_T3_mT4_P12ihipStream_tbEUlT_E1_NS1_11comp_targetILNS1_3genE9ELNS1_11target_archE1100ELNS1_3gpuE3ELNS1_3repE0EEENS1_30default_config_static_selectorELNS0_4arch9wavefront6targetE1EEEvSM_
    .private_segment_fixed_size: 0
    .sgpr_count:     4
    .sgpr_spill_count: 0
    .symbol:         _ZN7rocprim17ROCPRIM_400000_NS6detail17trampoline_kernelINS0_14default_configENS1_22reduce_config_selectorIN6thrust23THRUST_200600_302600_NS5tupleIllNS6_9null_typeES8_S8_S8_S8_S8_S8_S8_EEEEZNS1_11reduce_implILb0ES3_PS9_SC_S9_NS6_11hip_rocprim9__extrema9arg_max_fIllNS6_4lessIlEEEEEE10hipError_tPvRmT1_T2_T3_mT4_P12ihipStream_tbEUlT_E1_NS1_11comp_targetILNS1_3genE9ELNS1_11target_archE1100ELNS1_3gpuE3ELNS1_3repE0EEENS1_30default_config_static_selectorELNS0_4arch9wavefront6targetE1EEEvSM_.kd
    .uniform_work_group_size: 1
    .uses_dynamic_stack: false
    .vgpr_count:     0
    .vgpr_spill_count: 0
    .wavefront_size: 64
  - .args:
      - .offset:         0
        .size:           56
        .value_kind:     by_value
    .group_segment_fixed_size: 0
    .kernarg_segment_align: 8
    .kernarg_segment_size: 56
    .language:       OpenCL C
    .language_version:
      - 2
      - 0
    .max_flat_workgroup_size: 256
    .name:           _ZN7rocprim17ROCPRIM_400000_NS6detail17trampoline_kernelINS0_14default_configENS1_22reduce_config_selectorIN6thrust23THRUST_200600_302600_NS5tupleIllNS6_9null_typeES8_S8_S8_S8_S8_S8_S8_EEEEZNS1_11reduce_implILb0ES3_PS9_SC_S9_NS6_11hip_rocprim9__extrema9arg_max_fIllNS6_4lessIlEEEEEE10hipError_tPvRmT1_T2_T3_mT4_P12ihipStream_tbEUlT_E1_NS1_11comp_targetILNS1_3genE8ELNS1_11target_archE1030ELNS1_3gpuE2ELNS1_3repE0EEENS1_30default_config_static_selectorELNS0_4arch9wavefront6targetE1EEEvSM_
    .private_segment_fixed_size: 0
    .sgpr_count:     4
    .sgpr_spill_count: 0
    .symbol:         _ZN7rocprim17ROCPRIM_400000_NS6detail17trampoline_kernelINS0_14default_configENS1_22reduce_config_selectorIN6thrust23THRUST_200600_302600_NS5tupleIllNS6_9null_typeES8_S8_S8_S8_S8_S8_S8_EEEEZNS1_11reduce_implILb0ES3_PS9_SC_S9_NS6_11hip_rocprim9__extrema9arg_max_fIllNS6_4lessIlEEEEEE10hipError_tPvRmT1_T2_T3_mT4_P12ihipStream_tbEUlT_E1_NS1_11comp_targetILNS1_3genE8ELNS1_11target_archE1030ELNS1_3gpuE2ELNS1_3repE0EEENS1_30default_config_static_selectorELNS0_4arch9wavefront6targetE1EEEvSM_.kd
    .uniform_work_group_size: 1
    .uses_dynamic_stack: false
    .vgpr_count:     0
    .vgpr_spill_count: 0
    .wavefront_size: 64
  - .args:
      - .offset:         0
        .size:           80
        .value_kind:     by_value
    .group_segment_fixed_size: 0
    .kernarg_segment_align: 8
    .kernarg_segment_size: 80
    .language:       OpenCL C
    .language_version:
      - 2
      - 0
    .max_flat_workgroup_size: 128
    .name:           _ZN7rocprim17ROCPRIM_400000_NS6detail17trampoline_kernelINS0_14default_configENS1_22reduce_config_selectorIN6thrust23THRUST_200600_302600_NS5tupleIllNS6_9null_typeES8_S8_S8_S8_S8_S8_S8_EEEEZNS1_11reduce_implILb0ES3_NS6_12zip_iteratorINS7_INS6_10device_ptrIlEENS6_11hip_rocprim19counting_iterator_tIlEES8_S8_S8_S8_S8_S8_S8_S8_EEEEPS9_S9_NSF_9__extrema9arg_max_fIllNS6_4lessIlEEEEEE10hipError_tPvRmT1_T2_T3_mT4_P12ihipStream_tbEUlT_E0_NS1_11comp_targetILNS1_3genE0ELNS1_11target_archE4294967295ELNS1_3gpuE0ELNS1_3repE0EEENS1_30default_config_static_selectorELNS0_4arch9wavefront6targetE1EEEvST_
    .private_segment_fixed_size: 0
    .sgpr_count:     4
    .sgpr_spill_count: 0
    .symbol:         _ZN7rocprim17ROCPRIM_400000_NS6detail17trampoline_kernelINS0_14default_configENS1_22reduce_config_selectorIN6thrust23THRUST_200600_302600_NS5tupleIllNS6_9null_typeES8_S8_S8_S8_S8_S8_S8_EEEEZNS1_11reduce_implILb0ES3_NS6_12zip_iteratorINS7_INS6_10device_ptrIlEENS6_11hip_rocprim19counting_iterator_tIlEES8_S8_S8_S8_S8_S8_S8_S8_EEEEPS9_S9_NSF_9__extrema9arg_max_fIllNS6_4lessIlEEEEEE10hipError_tPvRmT1_T2_T3_mT4_P12ihipStream_tbEUlT_E0_NS1_11comp_targetILNS1_3genE0ELNS1_11target_archE4294967295ELNS1_3gpuE0ELNS1_3repE0EEENS1_30default_config_static_selectorELNS0_4arch9wavefront6targetE1EEEvST_.kd
    .uniform_work_group_size: 1
    .uses_dynamic_stack: false
    .vgpr_count:     0
    .vgpr_spill_count: 0
    .wavefront_size: 64
  - .args:
      - .offset:         0
        .size:           80
        .value_kind:     by_value
    .group_segment_fixed_size: 0
    .kernarg_segment_align: 8
    .kernarg_segment_size: 80
    .language:       OpenCL C
    .language_version:
      - 2
      - 0
    .max_flat_workgroup_size: 256
    .name:           _ZN7rocprim17ROCPRIM_400000_NS6detail17trampoline_kernelINS0_14default_configENS1_22reduce_config_selectorIN6thrust23THRUST_200600_302600_NS5tupleIllNS6_9null_typeES8_S8_S8_S8_S8_S8_S8_EEEEZNS1_11reduce_implILb0ES3_NS6_12zip_iteratorINS7_INS6_10device_ptrIlEENS6_11hip_rocprim19counting_iterator_tIlEES8_S8_S8_S8_S8_S8_S8_S8_EEEEPS9_S9_NSF_9__extrema9arg_max_fIllNS6_4lessIlEEEEEE10hipError_tPvRmT1_T2_T3_mT4_P12ihipStream_tbEUlT_E0_NS1_11comp_targetILNS1_3genE5ELNS1_11target_archE942ELNS1_3gpuE9ELNS1_3repE0EEENS1_30default_config_static_selectorELNS0_4arch9wavefront6targetE1EEEvST_
    .private_segment_fixed_size: 0
    .sgpr_count:     4
    .sgpr_spill_count: 0
    .symbol:         _ZN7rocprim17ROCPRIM_400000_NS6detail17trampoline_kernelINS0_14default_configENS1_22reduce_config_selectorIN6thrust23THRUST_200600_302600_NS5tupleIllNS6_9null_typeES8_S8_S8_S8_S8_S8_S8_EEEEZNS1_11reduce_implILb0ES3_NS6_12zip_iteratorINS7_INS6_10device_ptrIlEENS6_11hip_rocprim19counting_iterator_tIlEES8_S8_S8_S8_S8_S8_S8_S8_EEEEPS9_S9_NSF_9__extrema9arg_max_fIllNS6_4lessIlEEEEEE10hipError_tPvRmT1_T2_T3_mT4_P12ihipStream_tbEUlT_E0_NS1_11comp_targetILNS1_3genE5ELNS1_11target_archE942ELNS1_3gpuE9ELNS1_3repE0EEENS1_30default_config_static_selectorELNS0_4arch9wavefront6targetE1EEEvST_.kd
    .uniform_work_group_size: 1
    .uses_dynamic_stack: false
    .vgpr_count:     0
    .vgpr_spill_count: 0
    .wavefront_size: 64
  - .args:
      - .offset:         0
        .size:           80
        .value_kind:     by_value
    .group_segment_fixed_size: 0
    .kernarg_segment_align: 8
    .kernarg_segment_size: 80
    .language:       OpenCL C
    .language_version:
      - 2
      - 0
    .max_flat_workgroup_size: 256
    .name:           _ZN7rocprim17ROCPRIM_400000_NS6detail17trampoline_kernelINS0_14default_configENS1_22reduce_config_selectorIN6thrust23THRUST_200600_302600_NS5tupleIllNS6_9null_typeES8_S8_S8_S8_S8_S8_S8_EEEEZNS1_11reduce_implILb0ES3_NS6_12zip_iteratorINS7_INS6_10device_ptrIlEENS6_11hip_rocprim19counting_iterator_tIlEES8_S8_S8_S8_S8_S8_S8_S8_EEEEPS9_S9_NSF_9__extrema9arg_max_fIllNS6_4lessIlEEEEEE10hipError_tPvRmT1_T2_T3_mT4_P12ihipStream_tbEUlT_E0_NS1_11comp_targetILNS1_3genE4ELNS1_11target_archE910ELNS1_3gpuE8ELNS1_3repE0EEENS1_30default_config_static_selectorELNS0_4arch9wavefront6targetE1EEEvST_
    .private_segment_fixed_size: 0
    .sgpr_count:     4
    .sgpr_spill_count: 0
    .symbol:         _ZN7rocprim17ROCPRIM_400000_NS6detail17trampoline_kernelINS0_14default_configENS1_22reduce_config_selectorIN6thrust23THRUST_200600_302600_NS5tupleIllNS6_9null_typeES8_S8_S8_S8_S8_S8_S8_EEEEZNS1_11reduce_implILb0ES3_NS6_12zip_iteratorINS7_INS6_10device_ptrIlEENS6_11hip_rocprim19counting_iterator_tIlEES8_S8_S8_S8_S8_S8_S8_S8_EEEEPS9_S9_NSF_9__extrema9arg_max_fIllNS6_4lessIlEEEEEE10hipError_tPvRmT1_T2_T3_mT4_P12ihipStream_tbEUlT_E0_NS1_11comp_targetILNS1_3genE4ELNS1_11target_archE910ELNS1_3gpuE8ELNS1_3repE0EEENS1_30default_config_static_selectorELNS0_4arch9wavefront6targetE1EEEvST_.kd
    .uniform_work_group_size: 1
    .uses_dynamic_stack: false
    .vgpr_count:     0
    .vgpr_spill_count: 0
    .wavefront_size: 64
  - .args:
      - .offset:         0
        .size:           80
        .value_kind:     by_value
    .group_segment_fixed_size: 0
    .kernarg_segment_align: 8
    .kernarg_segment_size: 80
    .language:       OpenCL C
    .language_version:
      - 2
      - 0
    .max_flat_workgroup_size: 128
    .name:           _ZN7rocprim17ROCPRIM_400000_NS6detail17trampoline_kernelINS0_14default_configENS1_22reduce_config_selectorIN6thrust23THRUST_200600_302600_NS5tupleIllNS6_9null_typeES8_S8_S8_S8_S8_S8_S8_EEEEZNS1_11reduce_implILb0ES3_NS6_12zip_iteratorINS7_INS6_10device_ptrIlEENS6_11hip_rocprim19counting_iterator_tIlEES8_S8_S8_S8_S8_S8_S8_S8_EEEEPS9_S9_NSF_9__extrema9arg_max_fIllNS6_4lessIlEEEEEE10hipError_tPvRmT1_T2_T3_mT4_P12ihipStream_tbEUlT_E0_NS1_11comp_targetILNS1_3genE3ELNS1_11target_archE908ELNS1_3gpuE7ELNS1_3repE0EEENS1_30default_config_static_selectorELNS0_4arch9wavefront6targetE1EEEvST_
    .private_segment_fixed_size: 0
    .sgpr_count:     4
    .sgpr_spill_count: 0
    .symbol:         _ZN7rocprim17ROCPRIM_400000_NS6detail17trampoline_kernelINS0_14default_configENS1_22reduce_config_selectorIN6thrust23THRUST_200600_302600_NS5tupleIllNS6_9null_typeES8_S8_S8_S8_S8_S8_S8_EEEEZNS1_11reduce_implILb0ES3_NS6_12zip_iteratorINS7_INS6_10device_ptrIlEENS6_11hip_rocprim19counting_iterator_tIlEES8_S8_S8_S8_S8_S8_S8_S8_EEEEPS9_S9_NSF_9__extrema9arg_max_fIllNS6_4lessIlEEEEEE10hipError_tPvRmT1_T2_T3_mT4_P12ihipStream_tbEUlT_E0_NS1_11comp_targetILNS1_3genE3ELNS1_11target_archE908ELNS1_3gpuE7ELNS1_3repE0EEENS1_30default_config_static_selectorELNS0_4arch9wavefront6targetE1EEEvST_.kd
    .uniform_work_group_size: 1
    .uses_dynamic_stack: false
    .vgpr_count:     0
    .vgpr_spill_count: 0
    .wavefront_size: 64
  - .args:
      - .offset:         0
        .size:           80
        .value_kind:     by_value
    .group_segment_fixed_size: 64
    .kernarg_segment_align: 8
    .kernarg_segment_size: 80
    .language:       OpenCL C
    .language_version:
      - 2
      - 0
    .max_flat_workgroup_size: 128
    .name:           _ZN7rocprim17ROCPRIM_400000_NS6detail17trampoline_kernelINS0_14default_configENS1_22reduce_config_selectorIN6thrust23THRUST_200600_302600_NS5tupleIllNS6_9null_typeES8_S8_S8_S8_S8_S8_S8_EEEEZNS1_11reduce_implILb0ES3_NS6_12zip_iteratorINS7_INS6_10device_ptrIlEENS6_11hip_rocprim19counting_iterator_tIlEES8_S8_S8_S8_S8_S8_S8_S8_EEEEPS9_S9_NSF_9__extrema9arg_max_fIllNS6_4lessIlEEEEEE10hipError_tPvRmT1_T2_T3_mT4_P12ihipStream_tbEUlT_E0_NS1_11comp_targetILNS1_3genE2ELNS1_11target_archE906ELNS1_3gpuE6ELNS1_3repE0EEENS1_30default_config_static_selectorELNS0_4arch9wavefront6targetE1EEEvST_
    .private_segment_fixed_size: 0
    .sgpr_count:     30
    .sgpr_spill_count: 0
    .symbol:         _ZN7rocprim17ROCPRIM_400000_NS6detail17trampoline_kernelINS0_14default_configENS1_22reduce_config_selectorIN6thrust23THRUST_200600_302600_NS5tupleIllNS6_9null_typeES8_S8_S8_S8_S8_S8_S8_EEEEZNS1_11reduce_implILb0ES3_NS6_12zip_iteratorINS7_INS6_10device_ptrIlEENS6_11hip_rocprim19counting_iterator_tIlEES8_S8_S8_S8_S8_S8_S8_S8_EEEEPS9_S9_NSF_9__extrema9arg_max_fIllNS6_4lessIlEEEEEE10hipError_tPvRmT1_T2_T3_mT4_P12ihipStream_tbEUlT_E0_NS1_11comp_targetILNS1_3genE2ELNS1_11target_archE906ELNS1_3gpuE6ELNS1_3repE0EEENS1_30default_config_static_selectorELNS0_4arch9wavefront6targetE1EEEvST_.kd
    .uniform_work_group_size: 1
    .uses_dynamic_stack: false
    .vgpr_count:     15
    .vgpr_spill_count: 0
    .wavefront_size: 64
  - .args:
      - .offset:         0
        .size:           80
        .value_kind:     by_value
    .group_segment_fixed_size: 0
    .kernarg_segment_align: 8
    .kernarg_segment_size: 80
    .language:       OpenCL C
    .language_version:
      - 2
      - 0
    .max_flat_workgroup_size: 256
    .name:           _ZN7rocprim17ROCPRIM_400000_NS6detail17trampoline_kernelINS0_14default_configENS1_22reduce_config_selectorIN6thrust23THRUST_200600_302600_NS5tupleIllNS6_9null_typeES8_S8_S8_S8_S8_S8_S8_EEEEZNS1_11reduce_implILb0ES3_NS6_12zip_iteratorINS7_INS6_10device_ptrIlEENS6_11hip_rocprim19counting_iterator_tIlEES8_S8_S8_S8_S8_S8_S8_S8_EEEEPS9_S9_NSF_9__extrema9arg_max_fIllNS6_4lessIlEEEEEE10hipError_tPvRmT1_T2_T3_mT4_P12ihipStream_tbEUlT_E0_NS1_11comp_targetILNS1_3genE10ELNS1_11target_archE1201ELNS1_3gpuE5ELNS1_3repE0EEENS1_30default_config_static_selectorELNS0_4arch9wavefront6targetE1EEEvST_
    .private_segment_fixed_size: 0
    .sgpr_count:     4
    .sgpr_spill_count: 0
    .symbol:         _ZN7rocprim17ROCPRIM_400000_NS6detail17trampoline_kernelINS0_14default_configENS1_22reduce_config_selectorIN6thrust23THRUST_200600_302600_NS5tupleIllNS6_9null_typeES8_S8_S8_S8_S8_S8_S8_EEEEZNS1_11reduce_implILb0ES3_NS6_12zip_iteratorINS7_INS6_10device_ptrIlEENS6_11hip_rocprim19counting_iterator_tIlEES8_S8_S8_S8_S8_S8_S8_S8_EEEEPS9_S9_NSF_9__extrema9arg_max_fIllNS6_4lessIlEEEEEE10hipError_tPvRmT1_T2_T3_mT4_P12ihipStream_tbEUlT_E0_NS1_11comp_targetILNS1_3genE10ELNS1_11target_archE1201ELNS1_3gpuE5ELNS1_3repE0EEENS1_30default_config_static_selectorELNS0_4arch9wavefront6targetE1EEEvST_.kd
    .uniform_work_group_size: 1
    .uses_dynamic_stack: false
    .vgpr_count:     0
    .vgpr_spill_count: 0
    .wavefront_size: 64
  - .args:
      - .offset:         0
        .size:           80
        .value_kind:     by_value
    .group_segment_fixed_size: 0
    .kernarg_segment_align: 8
    .kernarg_segment_size: 80
    .language:       OpenCL C
    .language_version:
      - 2
      - 0
    .max_flat_workgroup_size: 256
    .name:           _ZN7rocprim17ROCPRIM_400000_NS6detail17trampoline_kernelINS0_14default_configENS1_22reduce_config_selectorIN6thrust23THRUST_200600_302600_NS5tupleIllNS6_9null_typeES8_S8_S8_S8_S8_S8_S8_EEEEZNS1_11reduce_implILb0ES3_NS6_12zip_iteratorINS7_INS6_10device_ptrIlEENS6_11hip_rocprim19counting_iterator_tIlEES8_S8_S8_S8_S8_S8_S8_S8_EEEEPS9_S9_NSF_9__extrema9arg_max_fIllNS6_4lessIlEEEEEE10hipError_tPvRmT1_T2_T3_mT4_P12ihipStream_tbEUlT_E0_NS1_11comp_targetILNS1_3genE10ELNS1_11target_archE1200ELNS1_3gpuE4ELNS1_3repE0EEENS1_30default_config_static_selectorELNS0_4arch9wavefront6targetE1EEEvST_
    .private_segment_fixed_size: 0
    .sgpr_count:     4
    .sgpr_spill_count: 0
    .symbol:         _ZN7rocprim17ROCPRIM_400000_NS6detail17trampoline_kernelINS0_14default_configENS1_22reduce_config_selectorIN6thrust23THRUST_200600_302600_NS5tupleIllNS6_9null_typeES8_S8_S8_S8_S8_S8_S8_EEEEZNS1_11reduce_implILb0ES3_NS6_12zip_iteratorINS7_INS6_10device_ptrIlEENS6_11hip_rocprim19counting_iterator_tIlEES8_S8_S8_S8_S8_S8_S8_S8_EEEEPS9_S9_NSF_9__extrema9arg_max_fIllNS6_4lessIlEEEEEE10hipError_tPvRmT1_T2_T3_mT4_P12ihipStream_tbEUlT_E0_NS1_11comp_targetILNS1_3genE10ELNS1_11target_archE1200ELNS1_3gpuE4ELNS1_3repE0EEENS1_30default_config_static_selectorELNS0_4arch9wavefront6targetE1EEEvST_.kd
    .uniform_work_group_size: 1
    .uses_dynamic_stack: false
    .vgpr_count:     0
    .vgpr_spill_count: 0
    .wavefront_size: 64
  - .args:
      - .offset:         0
        .size:           80
        .value_kind:     by_value
    .group_segment_fixed_size: 0
    .kernarg_segment_align: 8
    .kernarg_segment_size: 80
    .language:       OpenCL C
    .language_version:
      - 2
      - 0
    .max_flat_workgroup_size: 256
    .name:           _ZN7rocprim17ROCPRIM_400000_NS6detail17trampoline_kernelINS0_14default_configENS1_22reduce_config_selectorIN6thrust23THRUST_200600_302600_NS5tupleIllNS6_9null_typeES8_S8_S8_S8_S8_S8_S8_EEEEZNS1_11reduce_implILb0ES3_NS6_12zip_iteratorINS7_INS6_10device_ptrIlEENS6_11hip_rocprim19counting_iterator_tIlEES8_S8_S8_S8_S8_S8_S8_S8_EEEEPS9_S9_NSF_9__extrema9arg_max_fIllNS6_4lessIlEEEEEE10hipError_tPvRmT1_T2_T3_mT4_P12ihipStream_tbEUlT_E0_NS1_11comp_targetILNS1_3genE9ELNS1_11target_archE1100ELNS1_3gpuE3ELNS1_3repE0EEENS1_30default_config_static_selectorELNS0_4arch9wavefront6targetE1EEEvST_
    .private_segment_fixed_size: 0
    .sgpr_count:     4
    .sgpr_spill_count: 0
    .symbol:         _ZN7rocprim17ROCPRIM_400000_NS6detail17trampoline_kernelINS0_14default_configENS1_22reduce_config_selectorIN6thrust23THRUST_200600_302600_NS5tupleIllNS6_9null_typeES8_S8_S8_S8_S8_S8_S8_EEEEZNS1_11reduce_implILb0ES3_NS6_12zip_iteratorINS7_INS6_10device_ptrIlEENS6_11hip_rocprim19counting_iterator_tIlEES8_S8_S8_S8_S8_S8_S8_S8_EEEEPS9_S9_NSF_9__extrema9arg_max_fIllNS6_4lessIlEEEEEE10hipError_tPvRmT1_T2_T3_mT4_P12ihipStream_tbEUlT_E0_NS1_11comp_targetILNS1_3genE9ELNS1_11target_archE1100ELNS1_3gpuE3ELNS1_3repE0EEENS1_30default_config_static_selectorELNS0_4arch9wavefront6targetE1EEEvST_.kd
    .uniform_work_group_size: 1
    .uses_dynamic_stack: false
    .vgpr_count:     0
    .vgpr_spill_count: 0
    .wavefront_size: 64
  - .args:
      - .offset:         0
        .size:           80
        .value_kind:     by_value
    .group_segment_fixed_size: 0
    .kernarg_segment_align: 8
    .kernarg_segment_size: 80
    .language:       OpenCL C
    .language_version:
      - 2
      - 0
    .max_flat_workgroup_size: 256
    .name:           _ZN7rocprim17ROCPRIM_400000_NS6detail17trampoline_kernelINS0_14default_configENS1_22reduce_config_selectorIN6thrust23THRUST_200600_302600_NS5tupleIllNS6_9null_typeES8_S8_S8_S8_S8_S8_S8_EEEEZNS1_11reduce_implILb0ES3_NS6_12zip_iteratorINS7_INS6_10device_ptrIlEENS6_11hip_rocprim19counting_iterator_tIlEES8_S8_S8_S8_S8_S8_S8_S8_EEEEPS9_S9_NSF_9__extrema9arg_max_fIllNS6_4lessIlEEEEEE10hipError_tPvRmT1_T2_T3_mT4_P12ihipStream_tbEUlT_E0_NS1_11comp_targetILNS1_3genE8ELNS1_11target_archE1030ELNS1_3gpuE2ELNS1_3repE0EEENS1_30default_config_static_selectorELNS0_4arch9wavefront6targetE1EEEvST_
    .private_segment_fixed_size: 0
    .sgpr_count:     4
    .sgpr_spill_count: 0
    .symbol:         _ZN7rocprim17ROCPRIM_400000_NS6detail17trampoline_kernelINS0_14default_configENS1_22reduce_config_selectorIN6thrust23THRUST_200600_302600_NS5tupleIllNS6_9null_typeES8_S8_S8_S8_S8_S8_S8_EEEEZNS1_11reduce_implILb0ES3_NS6_12zip_iteratorINS7_INS6_10device_ptrIlEENS6_11hip_rocprim19counting_iterator_tIlEES8_S8_S8_S8_S8_S8_S8_S8_EEEEPS9_S9_NSF_9__extrema9arg_max_fIllNS6_4lessIlEEEEEE10hipError_tPvRmT1_T2_T3_mT4_P12ihipStream_tbEUlT_E0_NS1_11comp_targetILNS1_3genE8ELNS1_11target_archE1030ELNS1_3gpuE2ELNS1_3repE0EEENS1_30default_config_static_selectorELNS0_4arch9wavefront6targetE1EEEvST_.kd
    .uniform_work_group_size: 1
    .uses_dynamic_stack: false
    .vgpr_count:     0
    .vgpr_spill_count: 0
    .wavefront_size: 64
  - .args:
      - .offset:         0
        .size:           64
        .value_kind:     by_value
    .group_segment_fixed_size: 0
    .kernarg_segment_align: 8
    .kernarg_segment_size: 64
    .language:       OpenCL C
    .language_version:
      - 2
      - 0
    .max_flat_workgroup_size: 128
    .name:           _ZN7rocprim17ROCPRIM_400000_NS6detail17trampoline_kernelINS0_14default_configENS1_22reduce_config_selectorIN6thrust23THRUST_200600_302600_NS5tupleIllNS6_9null_typeES8_S8_S8_S8_S8_S8_S8_EEEEZNS1_11reduce_implILb0ES3_NS6_12zip_iteratorINS7_INS6_10device_ptrIlEENS6_11hip_rocprim19counting_iterator_tIlEES8_S8_S8_S8_S8_S8_S8_S8_EEEEPS9_S9_NSF_9__extrema9arg_max_fIllNS6_4lessIlEEEEEE10hipError_tPvRmT1_T2_T3_mT4_P12ihipStream_tbEUlT_E1_NS1_11comp_targetILNS1_3genE0ELNS1_11target_archE4294967295ELNS1_3gpuE0ELNS1_3repE0EEENS1_30default_config_static_selectorELNS0_4arch9wavefront6targetE1EEEvST_
    .private_segment_fixed_size: 0
    .sgpr_count:     4
    .sgpr_spill_count: 0
    .symbol:         _ZN7rocprim17ROCPRIM_400000_NS6detail17trampoline_kernelINS0_14default_configENS1_22reduce_config_selectorIN6thrust23THRUST_200600_302600_NS5tupleIllNS6_9null_typeES8_S8_S8_S8_S8_S8_S8_EEEEZNS1_11reduce_implILb0ES3_NS6_12zip_iteratorINS7_INS6_10device_ptrIlEENS6_11hip_rocprim19counting_iterator_tIlEES8_S8_S8_S8_S8_S8_S8_S8_EEEEPS9_S9_NSF_9__extrema9arg_max_fIllNS6_4lessIlEEEEEE10hipError_tPvRmT1_T2_T3_mT4_P12ihipStream_tbEUlT_E1_NS1_11comp_targetILNS1_3genE0ELNS1_11target_archE4294967295ELNS1_3gpuE0ELNS1_3repE0EEENS1_30default_config_static_selectorELNS0_4arch9wavefront6targetE1EEEvST_.kd
    .uniform_work_group_size: 1
    .uses_dynamic_stack: false
    .vgpr_count:     0
    .vgpr_spill_count: 0
    .wavefront_size: 64
  - .args:
      - .offset:         0
        .size:           64
        .value_kind:     by_value
    .group_segment_fixed_size: 0
    .kernarg_segment_align: 8
    .kernarg_segment_size: 64
    .language:       OpenCL C
    .language_version:
      - 2
      - 0
    .max_flat_workgroup_size: 256
    .name:           _ZN7rocprim17ROCPRIM_400000_NS6detail17trampoline_kernelINS0_14default_configENS1_22reduce_config_selectorIN6thrust23THRUST_200600_302600_NS5tupleIllNS6_9null_typeES8_S8_S8_S8_S8_S8_S8_EEEEZNS1_11reduce_implILb0ES3_NS6_12zip_iteratorINS7_INS6_10device_ptrIlEENS6_11hip_rocprim19counting_iterator_tIlEES8_S8_S8_S8_S8_S8_S8_S8_EEEEPS9_S9_NSF_9__extrema9arg_max_fIllNS6_4lessIlEEEEEE10hipError_tPvRmT1_T2_T3_mT4_P12ihipStream_tbEUlT_E1_NS1_11comp_targetILNS1_3genE5ELNS1_11target_archE942ELNS1_3gpuE9ELNS1_3repE0EEENS1_30default_config_static_selectorELNS0_4arch9wavefront6targetE1EEEvST_
    .private_segment_fixed_size: 0
    .sgpr_count:     4
    .sgpr_spill_count: 0
    .symbol:         _ZN7rocprim17ROCPRIM_400000_NS6detail17trampoline_kernelINS0_14default_configENS1_22reduce_config_selectorIN6thrust23THRUST_200600_302600_NS5tupleIllNS6_9null_typeES8_S8_S8_S8_S8_S8_S8_EEEEZNS1_11reduce_implILb0ES3_NS6_12zip_iteratorINS7_INS6_10device_ptrIlEENS6_11hip_rocprim19counting_iterator_tIlEES8_S8_S8_S8_S8_S8_S8_S8_EEEEPS9_S9_NSF_9__extrema9arg_max_fIllNS6_4lessIlEEEEEE10hipError_tPvRmT1_T2_T3_mT4_P12ihipStream_tbEUlT_E1_NS1_11comp_targetILNS1_3genE5ELNS1_11target_archE942ELNS1_3gpuE9ELNS1_3repE0EEENS1_30default_config_static_selectorELNS0_4arch9wavefront6targetE1EEEvST_.kd
    .uniform_work_group_size: 1
    .uses_dynamic_stack: false
    .vgpr_count:     0
    .vgpr_spill_count: 0
    .wavefront_size: 64
  - .args:
      - .offset:         0
        .size:           64
        .value_kind:     by_value
    .group_segment_fixed_size: 0
    .kernarg_segment_align: 8
    .kernarg_segment_size: 64
    .language:       OpenCL C
    .language_version:
      - 2
      - 0
    .max_flat_workgroup_size: 256
    .name:           _ZN7rocprim17ROCPRIM_400000_NS6detail17trampoline_kernelINS0_14default_configENS1_22reduce_config_selectorIN6thrust23THRUST_200600_302600_NS5tupleIllNS6_9null_typeES8_S8_S8_S8_S8_S8_S8_EEEEZNS1_11reduce_implILb0ES3_NS6_12zip_iteratorINS7_INS6_10device_ptrIlEENS6_11hip_rocprim19counting_iterator_tIlEES8_S8_S8_S8_S8_S8_S8_S8_EEEEPS9_S9_NSF_9__extrema9arg_max_fIllNS6_4lessIlEEEEEE10hipError_tPvRmT1_T2_T3_mT4_P12ihipStream_tbEUlT_E1_NS1_11comp_targetILNS1_3genE4ELNS1_11target_archE910ELNS1_3gpuE8ELNS1_3repE0EEENS1_30default_config_static_selectorELNS0_4arch9wavefront6targetE1EEEvST_
    .private_segment_fixed_size: 0
    .sgpr_count:     4
    .sgpr_spill_count: 0
    .symbol:         _ZN7rocprim17ROCPRIM_400000_NS6detail17trampoline_kernelINS0_14default_configENS1_22reduce_config_selectorIN6thrust23THRUST_200600_302600_NS5tupleIllNS6_9null_typeES8_S8_S8_S8_S8_S8_S8_EEEEZNS1_11reduce_implILb0ES3_NS6_12zip_iteratorINS7_INS6_10device_ptrIlEENS6_11hip_rocprim19counting_iterator_tIlEES8_S8_S8_S8_S8_S8_S8_S8_EEEEPS9_S9_NSF_9__extrema9arg_max_fIllNS6_4lessIlEEEEEE10hipError_tPvRmT1_T2_T3_mT4_P12ihipStream_tbEUlT_E1_NS1_11comp_targetILNS1_3genE4ELNS1_11target_archE910ELNS1_3gpuE8ELNS1_3repE0EEENS1_30default_config_static_selectorELNS0_4arch9wavefront6targetE1EEEvST_.kd
    .uniform_work_group_size: 1
    .uses_dynamic_stack: false
    .vgpr_count:     0
    .vgpr_spill_count: 0
    .wavefront_size: 64
  - .args:
      - .offset:         0
        .size:           64
        .value_kind:     by_value
    .group_segment_fixed_size: 0
    .kernarg_segment_align: 8
    .kernarg_segment_size: 64
    .language:       OpenCL C
    .language_version:
      - 2
      - 0
    .max_flat_workgroup_size: 128
    .name:           _ZN7rocprim17ROCPRIM_400000_NS6detail17trampoline_kernelINS0_14default_configENS1_22reduce_config_selectorIN6thrust23THRUST_200600_302600_NS5tupleIllNS6_9null_typeES8_S8_S8_S8_S8_S8_S8_EEEEZNS1_11reduce_implILb0ES3_NS6_12zip_iteratorINS7_INS6_10device_ptrIlEENS6_11hip_rocprim19counting_iterator_tIlEES8_S8_S8_S8_S8_S8_S8_S8_EEEEPS9_S9_NSF_9__extrema9arg_max_fIllNS6_4lessIlEEEEEE10hipError_tPvRmT1_T2_T3_mT4_P12ihipStream_tbEUlT_E1_NS1_11comp_targetILNS1_3genE3ELNS1_11target_archE908ELNS1_3gpuE7ELNS1_3repE0EEENS1_30default_config_static_selectorELNS0_4arch9wavefront6targetE1EEEvST_
    .private_segment_fixed_size: 0
    .sgpr_count:     4
    .sgpr_spill_count: 0
    .symbol:         _ZN7rocprim17ROCPRIM_400000_NS6detail17trampoline_kernelINS0_14default_configENS1_22reduce_config_selectorIN6thrust23THRUST_200600_302600_NS5tupleIllNS6_9null_typeES8_S8_S8_S8_S8_S8_S8_EEEEZNS1_11reduce_implILb0ES3_NS6_12zip_iteratorINS7_INS6_10device_ptrIlEENS6_11hip_rocprim19counting_iterator_tIlEES8_S8_S8_S8_S8_S8_S8_S8_EEEEPS9_S9_NSF_9__extrema9arg_max_fIllNS6_4lessIlEEEEEE10hipError_tPvRmT1_T2_T3_mT4_P12ihipStream_tbEUlT_E1_NS1_11comp_targetILNS1_3genE3ELNS1_11target_archE908ELNS1_3gpuE7ELNS1_3repE0EEENS1_30default_config_static_selectorELNS0_4arch9wavefront6targetE1EEEvST_.kd
    .uniform_work_group_size: 1
    .uses_dynamic_stack: false
    .vgpr_count:     0
    .vgpr_spill_count: 0
    .wavefront_size: 64
  - .args:
      - .offset:         0
        .size:           64
        .value_kind:     by_value
    .group_segment_fixed_size: 160
    .kernarg_segment_align: 8
    .kernarg_segment_size: 64
    .language:       OpenCL C
    .language_version:
      - 2
      - 0
    .max_flat_workgroup_size: 128
    .name:           _ZN7rocprim17ROCPRIM_400000_NS6detail17trampoline_kernelINS0_14default_configENS1_22reduce_config_selectorIN6thrust23THRUST_200600_302600_NS5tupleIllNS6_9null_typeES8_S8_S8_S8_S8_S8_S8_EEEEZNS1_11reduce_implILb0ES3_NS6_12zip_iteratorINS7_INS6_10device_ptrIlEENS6_11hip_rocprim19counting_iterator_tIlEES8_S8_S8_S8_S8_S8_S8_S8_EEEEPS9_S9_NSF_9__extrema9arg_max_fIllNS6_4lessIlEEEEEE10hipError_tPvRmT1_T2_T3_mT4_P12ihipStream_tbEUlT_E1_NS1_11comp_targetILNS1_3genE2ELNS1_11target_archE906ELNS1_3gpuE6ELNS1_3repE0EEENS1_30default_config_static_selectorELNS0_4arch9wavefront6targetE1EEEvST_
    .private_segment_fixed_size: 0
    .sgpr_count:     39
    .sgpr_spill_count: 0
    .symbol:         _ZN7rocprim17ROCPRIM_400000_NS6detail17trampoline_kernelINS0_14default_configENS1_22reduce_config_selectorIN6thrust23THRUST_200600_302600_NS5tupleIllNS6_9null_typeES8_S8_S8_S8_S8_S8_S8_EEEEZNS1_11reduce_implILb0ES3_NS6_12zip_iteratorINS7_INS6_10device_ptrIlEENS6_11hip_rocprim19counting_iterator_tIlEES8_S8_S8_S8_S8_S8_S8_S8_EEEEPS9_S9_NSF_9__extrema9arg_max_fIllNS6_4lessIlEEEEEE10hipError_tPvRmT1_T2_T3_mT4_P12ihipStream_tbEUlT_E1_NS1_11comp_targetILNS1_3genE2ELNS1_11target_archE906ELNS1_3gpuE6ELNS1_3repE0EEENS1_30default_config_static_selectorELNS0_4arch9wavefront6targetE1EEEvST_.kd
    .uniform_work_group_size: 1
    .uses_dynamic_stack: false
    .vgpr_count:     35
    .vgpr_spill_count: 0
    .wavefront_size: 64
  - .args:
      - .offset:         0
        .size:           64
        .value_kind:     by_value
    .group_segment_fixed_size: 0
    .kernarg_segment_align: 8
    .kernarg_segment_size: 64
    .language:       OpenCL C
    .language_version:
      - 2
      - 0
    .max_flat_workgroup_size: 256
    .name:           _ZN7rocprim17ROCPRIM_400000_NS6detail17trampoline_kernelINS0_14default_configENS1_22reduce_config_selectorIN6thrust23THRUST_200600_302600_NS5tupleIllNS6_9null_typeES8_S8_S8_S8_S8_S8_S8_EEEEZNS1_11reduce_implILb0ES3_NS6_12zip_iteratorINS7_INS6_10device_ptrIlEENS6_11hip_rocprim19counting_iterator_tIlEES8_S8_S8_S8_S8_S8_S8_S8_EEEEPS9_S9_NSF_9__extrema9arg_max_fIllNS6_4lessIlEEEEEE10hipError_tPvRmT1_T2_T3_mT4_P12ihipStream_tbEUlT_E1_NS1_11comp_targetILNS1_3genE10ELNS1_11target_archE1201ELNS1_3gpuE5ELNS1_3repE0EEENS1_30default_config_static_selectorELNS0_4arch9wavefront6targetE1EEEvST_
    .private_segment_fixed_size: 0
    .sgpr_count:     4
    .sgpr_spill_count: 0
    .symbol:         _ZN7rocprim17ROCPRIM_400000_NS6detail17trampoline_kernelINS0_14default_configENS1_22reduce_config_selectorIN6thrust23THRUST_200600_302600_NS5tupleIllNS6_9null_typeES8_S8_S8_S8_S8_S8_S8_EEEEZNS1_11reduce_implILb0ES3_NS6_12zip_iteratorINS7_INS6_10device_ptrIlEENS6_11hip_rocprim19counting_iterator_tIlEES8_S8_S8_S8_S8_S8_S8_S8_EEEEPS9_S9_NSF_9__extrema9arg_max_fIllNS6_4lessIlEEEEEE10hipError_tPvRmT1_T2_T3_mT4_P12ihipStream_tbEUlT_E1_NS1_11comp_targetILNS1_3genE10ELNS1_11target_archE1201ELNS1_3gpuE5ELNS1_3repE0EEENS1_30default_config_static_selectorELNS0_4arch9wavefront6targetE1EEEvST_.kd
    .uniform_work_group_size: 1
    .uses_dynamic_stack: false
    .vgpr_count:     0
    .vgpr_spill_count: 0
    .wavefront_size: 64
  - .args:
      - .offset:         0
        .size:           64
        .value_kind:     by_value
    .group_segment_fixed_size: 0
    .kernarg_segment_align: 8
    .kernarg_segment_size: 64
    .language:       OpenCL C
    .language_version:
      - 2
      - 0
    .max_flat_workgroup_size: 256
    .name:           _ZN7rocprim17ROCPRIM_400000_NS6detail17trampoline_kernelINS0_14default_configENS1_22reduce_config_selectorIN6thrust23THRUST_200600_302600_NS5tupleIllNS6_9null_typeES8_S8_S8_S8_S8_S8_S8_EEEEZNS1_11reduce_implILb0ES3_NS6_12zip_iteratorINS7_INS6_10device_ptrIlEENS6_11hip_rocprim19counting_iterator_tIlEES8_S8_S8_S8_S8_S8_S8_S8_EEEEPS9_S9_NSF_9__extrema9arg_max_fIllNS6_4lessIlEEEEEE10hipError_tPvRmT1_T2_T3_mT4_P12ihipStream_tbEUlT_E1_NS1_11comp_targetILNS1_3genE10ELNS1_11target_archE1200ELNS1_3gpuE4ELNS1_3repE0EEENS1_30default_config_static_selectorELNS0_4arch9wavefront6targetE1EEEvST_
    .private_segment_fixed_size: 0
    .sgpr_count:     4
    .sgpr_spill_count: 0
    .symbol:         _ZN7rocprim17ROCPRIM_400000_NS6detail17trampoline_kernelINS0_14default_configENS1_22reduce_config_selectorIN6thrust23THRUST_200600_302600_NS5tupleIllNS6_9null_typeES8_S8_S8_S8_S8_S8_S8_EEEEZNS1_11reduce_implILb0ES3_NS6_12zip_iteratorINS7_INS6_10device_ptrIlEENS6_11hip_rocprim19counting_iterator_tIlEES8_S8_S8_S8_S8_S8_S8_S8_EEEEPS9_S9_NSF_9__extrema9arg_max_fIllNS6_4lessIlEEEEEE10hipError_tPvRmT1_T2_T3_mT4_P12ihipStream_tbEUlT_E1_NS1_11comp_targetILNS1_3genE10ELNS1_11target_archE1200ELNS1_3gpuE4ELNS1_3repE0EEENS1_30default_config_static_selectorELNS0_4arch9wavefront6targetE1EEEvST_.kd
    .uniform_work_group_size: 1
    .uses_dynamic_stack: false
    .vgpr_count:     0
    .vgpr_spill_count: 0
    .wavefront_size: 64
  - .args:
      - .offset:         0
        .size:           64
        .value_kind:     by_value
    .group_segment_fixed_size: 0
    .kernarg_segment_align: 8
    .kernarg_segment_size: 64
    .language:       OpenCL C
    .language_version:
      - 2
      - 0
    .max_flat_workgroup_size: 256
    .name:           _ZN7rocprim17ROCPRIM_400000_NS6detail17trampoline_kernelINS0_14default_configENS1_22reduce_config_selectorIN6thrust23THRUST_200600_302600_NS5tupleIllNS6_9null_typeES8_S8_S8_S8_S8_S8_S8_EEEEZNS1_11reduce_implILb0ES3_NS6_12zip_iteratorINS7_INS6_10device_ptrIlEENS6_11hip_rocprim19counting_iterator_tIlEES8_S8_S8_S8_S8_S8_S8_S8_EEEEPS9_S9_NSF_9__extrema9arg_max_fIllNS6_4lessIlEEEEEE10hipError_tPvRmT1_T2_T3_mT4_P12ihipStream_tbEUlT_E1_NS1_11comp_targetILNS1_3genE9ELNS1_11target_archE1100ELNS1_3gpuE3ELNS1_3repE0EEENS1_30default_config_static_selectorELNS0_4arch9wavefront6targetE1EEEvST_
    .private_segment_fixed_size: 0
    .sgpr_count:     4
    .sgpr_spill_count: 0
    .symbol:         _ZN7rocprim17ROCPRIM_400000_NS6detail17trampoline_kernelINS0_14default_configENS1_22reduce_config_selectorIN6thrust23THRUST_200600_302600_NS5tupleIllNS6_9null_typeES8_S8_S8_S8_S8_S8_S8_EEEEZNS1_11reduce_implILb0ES3_NS6_12zip_iteratorINS7_INS6_10device_ptrIlEENS6_11hip_rocprim19counting_iterator_tIlEES8_S8_S8_S8_S8_S8_S8_S8_EEEEPS9_S9_NSF_9__extrema9arg_max_fIllNS6_4lessIlEEEEEE10hipError_tPvRmT1_T2_T3_mT4_P12ihipStream_tbEUlT_E1_NS1_11comp_targetILNS1_3genE9ELNS1_11target_archE1100ELNS1_3gpuE3ELNS1_3repE0EEENS1_30default_config_static_selectorELNS0_4arch9wavefront6targetE1EEEvST_.kd
    .uniform_work_group_size: 1
    .uses_dynamic_stack: false
    .vgpr_count:     0
    .vgpr_spill_count: 0
    .wavefront_size: 64
  - .args:
      - .offset:         0
        .size:           64
        .value_kind:     by_value
    .group_segment_fixed_size: 0
    .kernarg_segment_align: 8
    .kernarg_segment_size: 64
    .language:       OpenCL C
    .language_version:
      - 2
      - 0
    .max_flat_workgroup_size: 256
    .name:           _ZN7rocprim17ROCPRIM_400000_NS6detail17trampoline_kernelINS0_14default_configENS1_22reduce_config_selectorIN6thrust23THRUST_200600_302600_NS5tupleIllNS6_9null_typeES8_S8_S8_S8_S8_S8_S8_EEEEZNS1_11reduce_implILb0ES3_NS6_12zip_iteratorINS7_INS6_10device_ptrIlEENS6_11hip_rocprim19counting_iterator_tIlEES8_S8_S8_S8_S8_S8_S8_S8_EEEEPS9_S9_NSF_9__extrema9arg_max_fIllNS6_4lessIlEEEEEE10hipError_tPvRmT1_T2_T3_mT4_P12ihipStream_tbEUlT_E1_NS1_11comp_targetILNS1_3genE8ELNS1_11target_archE1030ELNS1_3gpuE2ELNS1_3repE0EEENS1_30default_config_static_selectorELNS0_4arch9wavefront6targetE1EEEvST_
    .private_segment_fixed_size: 0
    .sgpr_count:     4
    .sgpr_spill_count: 0
    .symbol:         _ZN7rocprim17ROCPRIM_400000_NS6detail17trampoline_kernelINS0_14default_configENS1_22reduce_config_selectorIN6thrust23THRUST_200600_302600_NS5tupleIllNS6_9null_typeES8_S8_S8_S8_S8_S8_S8_EEEEZNS1_11reduce_implILb0ES3_NS6_12zip_iteratorINS7_INS6_10device_ptrIlEENS6_11hip_rocprim19counting_iterator_tIlEES8_S8_S8_S8_S8_S8_S8_S8_EEEEPS9_S9_NSF_9__extrema9arg_max_fIllNS6_4lessIlEEEEEE10hipError_tPvRmT1_T2_T3_mT4_P12ihipStream_tbEUlT_E1_NS1_11comp_targetILNS1_3genE8ELNS1_11target_archE1030ELNS1_3gpuE2ELNS1_3repE0EEENS1_30default_config_static_selectorELNS0_4arch9wavefront6targetE1EEEvST_.kd
    .uniform_work_group_size: 1
    .uses_dynamic_stack: false
    .vgpr_count:     0
    .vgpr_spill_count: 0
    .wavefront_size: 64
  - .args:
      - .offset:         0
        .size:           16
        .value_kind:     by_value
      - .offset:         16
        .size:           8
        .value_kind:     by_value
      - .offset:         24
        .size:           8
        .value_kind:     by_value
    .group_segment_fixed_size: 0
    .kernarg_segment_align: 8
    .kernarg_segment_size: 32
    .language:       OpenCL C
    .language_version:
      - 2
      - 0
    .max_flat_workgroup_size: 256
    .name:           _ZN6thrust23THRUST_200600_302600_NS11hip_rocprim14__parallel_for6kernelILj256ENS1_10for_each_fINS0_7pointerINS0_5tupleIllNS0_9null_typeES7_S7_S7_S7_S7_S7_S7_EENS0_6detail22execute_with_allocatorIRN2at4cuda15ThrustAllocatorENS1_22execute_on_stream_baseEEENS0_11use_defaultESH_EENS9_16wrapped_functionINS9_23allocator_traits_detail24construct1_via_allocatorINS9_18no_throw_allocatorINS9_19temporary_allocatorIS8_SG_EEEEEEvEEEEmLj1EEEvT0_T1_SU_
    .private_segment_fixed_size: 0
    .sgpr_count:     16
    .sgpr_spill_count: 0
    .symbol:         _ZN6thrust23THRUST_200600_302600_NS11hip_rocprim14__parallel_for6kernelILj256ENS1_10for_each_fINS0_7pointerINS0_5tupleIllNS0_9null_typeES7_S7_S7_S7_S7_S7_S7_EENS0_6detail22execute_with_allocatorIRN2at4cuda15ThrustAllocatorENS1_22execute_on_stream_baseEEENS0_11use_defaultESH_EENS9_16wrapped_functionINS9_23allocator_traits_detail24construct1_via_allocatorINS9_18no_throw_allocatorINS9_19temporary_allocatorIS8_SG_EEEEEEvEEEEmLj1EEEvT0_T1_SU_.kd
    .uniform_work_group_size: 1
    .uses_dynamic_stack: false
    .vgpr_count:     7
    .vgpr_spill_count: 0
    .wavefront_size: 64
  - .args:
      - .offset:         0
        .size:           16
        .value_kind:     by_value
      - .offset:         16
        .size:           8
        .value_kind:     by_value
      - .offset:         24
        .size:           8
        .value_kind:     by_value
    .group_segment_fixed_size: 0
    .kernarg_segment_align: 8
    .kernarg_segment_size: 32
    .language:       OpenCL C
    .language_version:
      - 2
      - 0
    .max_flat_workgroup_size: 256
    .name:           _ZN6thrust23THRUST_200600_302600_NS11hip_rocprim14__parallel_for6kernelILj256ENS1_10for_each_fINS0_7pointerINS0_5tupleIllNS0_9null_typeES7_S7_S7_S7_S7_S7_S7_EENS0_6detail22execute_with_allocatorIRN2at4cuda15ThrustAllocatorENS1_22execute_on_stream_baseEEENS0_11use_defaultESH_EENS9_16wrapped_functionINS9_23allocator_traits_detail5gozerEvEEEElLj1EEEvT0_T1_SP_
    .private_segment_fixed_size: 0
    .sgpr_count:     4
    .sgpr_spill_count: 0
    .symbol:         _ZN6thrust23THRUST_200600_302600_NS11hip_rocprim14__parallel_for6kernelILj256ENS1_10for_each_fINS0_7pointerINS0_5tupleIllNS0_9null_typeES7_S7_S7_S7_S7_S7_S7_EENS0_6detail22execute_with_allocatorIRN2at4cuda15ThrustAllocatorENS1_22execute_on_stream_baseEEENS0_11use_defaultESH_EENS9_16wrapped_functionINS9_23allocator_traits_detail5gozerEvEEEElLj1EEEvT0_T1_SP_.kd
    .uniform_work_group_size: 1
    .uses_dynamic_stack: false
    .vgpr_count:     0
    .vgpr_spill_count: 0
    .wavefront_size: 64
  - .args:
      - .offset:         0
        .size:           16
        .value_kind:     by_value
      - .offset:         16
        .size:           8
        .value_kind:     by_value
      - .offset:         24
        .size:           8
        .value_kind:     by_value
    .group_segment_fixed_size: 0
    .kernarg_segment_align: 8
    .kernarg_segment_size: 32
    .language:       OpenCL C
    .language_version:
      - 2
      - 0
    .max_flat_workgroup_size: 256
    .name:           _ZN6thrust23THRUST_200600_302600_NS11hip_rocprim14__parallel_for6kernelILj256ENS1_20__uninitialized_copy7functorIPNS0_5tupleIllNS0_9null_typeES7_S7_S7_S7_S7_S7_S7_EENS0_7pointerIS8_NS0_6detail22execute_with_allocatorIRN2at4cuda15ThrustAllocatorENS1_22execute_on_stream_baseEEENS0_11use_defaultESJ_EEEEmLj1EEEvT0_T1_SN_
    .private_segment_fixed_size: 0
    .sgpr_count:     20
    .sgpr_spill_count: 0
    .symbol:         _ZN6thrust23THRUST_200600_302600_NS11hip_rocprim14__parallel_for6kernelILj256ENS1_20__uninitialized_copy7functorIPNS0_5tupleIllNS0_9null_typeES7_S7_S7_S7_S7_S7_S7_EENS0_7pointerIS8_NS0_6detail22execute_with_allocatorIRN2at4cuda15ThrustAllocatorENS1_22execute_on_stream_baseEEENS0_11use_defaultESJ_EEEEmLj1EEEvT0_T1_SN_.kd
    .uniform_work_group_size: 1
    .uses_dynamic_stack: false
    .vgpr_count:     7
    .vgpr_spill_count: 0
    .wavefront_size: 64
  - .args:
      - .offset:         0
        .size:           88
        .value_kind:     by_value
    .group_segment_fixed_size: 0
    .kernarg_segment_align: 8
    .kernarg_segment_size: 88
    .language:       OpenCL C
    .language_version:
      - 2
      - 0
    .max_flat_workgroup_size: 128
    .name:           _ZN7rocprim17ROCPRIM_400000_NS6detail17trampoline_kernelINS0_14default_configENS1_22reduce_config_selectorIN6thrust23THRUST_200600_302600_NS5tupleIblNS6_9null_typeES8_S8_S8_S8_S8_S8_S8_EEEEZNS1_11reduce_implILb1ES3_NS6_12zip_iteratorINS7_INS6_11hip_rocprim26transform_input_iterator_tIbPhNS6_6detail10functional5actorINSH_9compositeIJNSH_27transparent_binary_operatorINS6_8equal_toIvEEEENSI_INSH_8argumentILj0EEEEENSH_5valueIhEEEEEEEEENSD_19counting_iterator_tIlEES8_S8_S8_S8_S8_S8_S8_S8_EEEEPS9_S9_NSD_9__find_if7functorIS9_EEEE10hipError_tPvRmT1_T2_T3_mT4_P12ihipStream_tbEUlT_E0_NS1_11comp_targetILNS1_3genE0ELNS1_11target_archE4294967295ELNS1_3gpuE0ELNS1_3repE0EEENS1_30default_config_static_selectorELNS0_4arch9wavefront6targetE1EEEvS17_
    .private_segment_fixed_size: 0
    .sgpr_count:     4
    .sgpr_spill_count: 0
    .symbol:         _ZN7rocprim17ROCPRIM_400000_NS6detail17trampoline_kernelINS0_14default_configENS1_22reduce_config_selectorIN6thrust23THRUST_200600_302600_NS5tupleIblNS6_9null_typeES8_S8_S8_S8_S8_S8_S8_EEEEZNS1_11reduce_implILb1ES3_NS6_12zip_iteratorINS7_INS6_11hip_rocprim26transform_input_iterator_tIbPhNS6_6detail10functional5actorINSH_9compositeIJNSH_27transparent_binary_operatorINS6_8equal_toIvEEEENSI_INSH_8argumentILj0EEEEENSH_5valueIhEEEEEEEEENSD_19counting_iterator_tIlEES8_S8_S8_S8_S8_S8_S8_S8_EEEEPS9_S9_NSD_9__find_if7functorIS9_EEEE10hipError_tPvRmT1_T2_T3_mT4_P12ihipStream_tbEUlT_E0_NS1_11comp_targetILNS1_3genE0ELNS1_11target_archE4294967295ELNS1_3gpuE0ELNS1_3repE0EEENS1_30default_config_static_selectorELNS0_4arch9wavefront6targetE1EEEvS17_.kd
    .uniform_work_group_size: 1
    .uses_dynamic_stack: false
    .vgpr_count:     0
    .vgpr_spill_count: 0
    .wavefront_size: 64
  - .args:
      - .offset:         0
        .size:           88
        .value_kind:     by_value
    .group_segment_fixed_size: 0
    .kernarg_segment_align: 8
    .kernarg_segment_size: 88
    .language:       OpenCL C
    .language_version:
      - 2
      - 0
    .max_flat_workgroup_size: 256
    .name:           _ZN7rocprim17ROCPRIM_400000_NS6detail17trampoline_kernelINS0_14default_configENS1_22reduce_config_selectorIN6thrust23THRUST_200600_302600_NS5tupleIblNS6_9null_typeES8_S8_S8_S8_S8_S8_S8_EEEEZNS1_11reduce_implILb1ES3_NS6_12zip_iteratorINS7_INS6_11hip_rocprim26transform_input_iterator_tIbPhNS6_6detail10functional5actorINSH_9compositeIJNSH_27transparent_binary_operatorINS6_8equal_toIvEEEENSI_INSH_8argumentILj0EEEEENSH_5valueIhEEEEEEEEENSD_19counting_iterator_tIlEES8_S8_S8_S8_S8_S8_S8_S8_EEEEPS9_S9_NSD_9__find_if7functorIS9_EEEE10hipError_tPvRmT1_T2_T3_mT4_P12ihipStream_tbEUlT_E0_NS1_11comp_targetILNS1_3genE5ELNS1_11target_archE942ELNS1_3gpuE9ELNS1_3repE0EEENS1_30default_config_static_selectorELNS0_4arch9wavefront6targetE1EEEvS17_
    .private_segment_fixed_size: 0
    .sgpr_count:     4
    .sgpr_spill_count: 0
    .symbol:         _ZN7rocprim17ROCPRIM_400000_NS6detail17trampoline_kernelINS0_14default_configENS1_22reduce_config_selectorIN6thrust23THRUST_200600_302600_NS5tupleIblNS6_9null_typeES8_S8_S8_S8_S8_S8_S8_EEEEZNS1_11reduce_implILb1ES3_NS6_12zip_iteratorINS7_INS6_11hip_rocprim26transform_input_iterator_tIbPhNS6_6detail10functional5actorINSH_9compositeIJNSH_27transparent_binary_operatorINS6_8equal_toIvEEEENSI_INSH_8argumentILj0EEEEENSH_5valueIhEEEEEEEEENSD_19counting_iterator_tIlEES8_S8_S8_S8_S8_S8_S8_S8_EEEEPS9_S9_NSD_9__find_if7functorIS9_EEEE10hipError_tPvRmT1_T2_T3_mT4_P12ihipStream_tbEUlT_E0_NS1_11comp_targetILNS1_3genE5ELNS1_11target_archE942ELNS1_3gpuE9ELNS1_3repE0EEENS1_30default_config_static_selectorELNS0_4arch9wavefront6targetE1EEEvS17_.kd
    .uniform_work_group_size: 1
    .uses_dynamic_stack: false
    .vgpr_count:     0
    .vgpr_spill_count: 0
    .wavefront_size: 64
  - .args:
      - .offset:         0
        .size:           88
        .value_kind:     by_value
    .group_segment_fixed_size: 0
    .kernarg_segment_align: 8
    .kernarg_segment_size: 88
    .language:       OpenCL C
    .language_version:
      - 2
      - 0
    .max_flat_workgroup_size: 256
    .name:           _ZN7rocprim17ROCPRIM_400000_NS6detail17trampoline_kernelINS0_14default_configENS1_22reduce_config_selectorIN6thrust23THRUST_200600_302600_NS5tupleIblNS6_9null_typeES8_S8_S8_S8_S8_S8_S8_EEEEZNS1_11reduce_implILb1ES3_NS6_12zip_iteratorINS7_INS6_11hip_rocprim26transform_input_iterator_tIbPhNS6_6detail10functional5actorINSH_9compositeIJNSH_27transparent_binary_operatorINS6_8equal_toIvEEEENSI_INSH_8argumentILj0EEEEENSH_5valueIhEEEEEEEEENSD_19counting_iterator_tIlEES8_S8_S8_S8_S8_S8_S8_S8_EEEEPS9_S9_NSD_9__find_if7functorIS9_EEEE10hipError_tPvRmT1_T2_T3_mT4_P12ihipStream_tbEUlT_E0_NS1_11comp_targetILNS1_3genE4ELNS1_11target_archE910ELNS1_3gpuE8ELNS1_3repE0EEENS1_30default_config_static_selectorELNS0_4arch9wavefront6targetE1EEEvS17_
    .private_segment_fixed_size: 0
    .sgpr_count:     4
    .sgpr_spill_count: 0
    .symbol:         _ZN7rocprim17ROCPRIM_400000_NS6detail17trampoline_kernelINS0_14default_configENS1_22reduce_config_selectorIN6thrust23THRUST_200600_302600_NS5tupleIblNS6_9null_typeES8_S8_S8_S8_S8_S8_S8_EEEEZNS1_11reduce_implILb1ES3_NS6_12zip_iteratorINS7_INS6_11hip_rocprim26transform_input_iterator_tIbPhNS6_6detail10functional5actorINSH_9compositeIJNSH_27transparent_binary_operatorINS6_8equal_toIvEEEENSI_INSH_8argumentILj0EEEEENSH_5valueIhEEEEEEEEENSD_19counting_iterator_tIlEES8_S8_S8_S8_S8_S8_S8_S8_EEEEPS9_S9_NSD_9__find_if7functorIS9_EEEE10hipError_tPvRmT1_T2_T3_mT4_P12ihipStream_tbEUlT_E0_NS1_11comp_targetILNS1_3genE4ELNS1_11target_archE910ELNS1_3gpuE8ELNS1_3repE0EEENS1_30default_config_static_selectorELNS0_4arch9wavefront6targetE1EEEvS17_.kd
    .uniform_work_group_size: 1
    .uses_dynamic_stack: false
    .vgpr_count:     0
    .vgpr_spill_count: 0
    .wavefront_size: 64
  - .args:
      - .offset:         0
        .size:           88
        .value_kind:     by_value
    .group_segment_fixed_size: 0
    .kernarg_segment_align: 8
    .kernarg_segment_size: 88
    .language:       OpenCL C
    .language_version:
      - 2
      - 0
    .max_flat_workgroup_size: 128
    .name:           _ZN7rocprim17ROCPRIM_400000_NS6detail17trampoline_kernelINS0_14default_configENS1_22reduce_config_selectorIN6thrust23THRUST_200600_302600_NS5tupleIblNS6_9null_typeES8_S8_S8_S8_S8_S8_S8_EEEEZNS1_11reduce_implILb1ES3_NS6_12zip_iteratorINS7_INS6_11hip_rocprim26transform_input_iterator_tIbPhNS6_6detail10functional5actorINSH_9compositeIJNSH_27transparent_binary_operatorINS6_8equal_toIvEEEENSI_INSH_8argumentILj0EEEEENSH_5valueIhEEEEEEEEENSD_19counting_iterator_tIlEES8_S8_S8_S8_S8_S8_S8_S8_EEEEPS9_S9_NSD_9__find_if7functorIS9_EEEE10hipError_tPvRmT1_T2_T3_mT4_P12ihipStream_tbEUlT_E0_NS1_11comp_targetILNS1_3genE3ELNS1_11target_archE908ELNS1_3gpuE7ELNS1_3repE0EEENS1_30default_config_static_selectorELNS0_4arch9wavefront6targetE1EEEvS17_
    .private_segment_fixed_size: 0
    .sgpr_count:     4
    .sgpr_spill_count: 0
    .symbol:         _ZN7rocprim17ROCPRIM_400000_NS6detail17trampoline_kernelINS0_14default_configENS1_22reduce_config_selectorIN6thrust23THRUST_200600_302600_NS5tupleIblNS6_9null_typeES8_S8_S8_S8_S8_S8_S8_EEEEZNS1_11reduce_implILb1ES3_NS6_12zip_iteratorINS7_INS6_11hip_rocprim26transform_input_iterator_tIbPhNS6_6detail10functional5actorINSH_9compositeIJNSH_27transparent_binary_operatorINS6_8equal_toIvEEEENSI_INSH_8argumentILj0EEEEENSH_5valueIhEEEEEEEEENSD_19counting_iterator_tIlEES8_S8_S8_S8_S8_S8_S8_S8_EEEEPS9_S9_NSD_9__find_if7functorIS9_EEEE10hipError_tPvRmT1_T2_T3_mT4_P12ihipStream_tbEUlT_E0_NS1_11comp_targetILNS1_3genE3ELNS1_11target_archE908ELNS1_3gpuE7ELNS1_3repE0EEENS1_30default_config_static_selectorELNS0_4arch9wavefront6targetE1EEEvS17_.kd
    .uniform_work_group_size: 1
    .uses_dynamic_stack: false
    .vgpr_count:     0
    .vgpr_spill_count: 0
    .wavefront_size: 64
  - .args:
      - .offset:         0
        .size:           88
        .value_kind:     by_value
    .group_segment_fixed_size: 64
    .kernarg_segment_align: 8
    .kernarg_segment_size: 88
    .language:       OpenCL C
    .language_version:
      - 2
      - 0
    .max_flat_workgroup_size: 128
    .name:           _ZN7rocprim17ROCPRIM_400000_NS6detail17trampoline_kernelINS0_14default_configENS1_22reduce_config_selectorIN6thrust23THRUST_200600_302600_NS5tupleIblNS6_9null_typeES8_S8_S8_S8_S8_S8_S8_EEEEZNS1_11reduce_implILb1ES3_NS6_12zip_iteratorINS7_INS6_11hip_rocprim26transform_input_iterator_tIbPhNS6_6detail10functional5actorINSH_9compositeIJNSH_27transparent_binary_operatorINS6_8equal_toIvEEEENSI_INSH_8argumentILj0EEEEENSH_5valueIhEEEEEEEEENSD_19counting_iterator_tIlEES8_S8_S8_S8_S8_S8_S8_S8_EEEEPS9_S9_NSD_9__find_if7functorIS9_EEEE10hipError_tPvRmT1_T2_T3_mT4_P12ihipStream_tbEUlT_E0_NS1_11comp_targetILNS1_3genE2ELNS1_11target_archE906ELNS1_3gpuE6ELNS1_3repE0EEENS1_30default_config_static_selectorELNS0_4arch9wavefront6targetE1EEEvS17_
    .private_segment_fixed_size: 0
    .sgpr_count:     32
    .sgpr_spill_count: 0
    .symbol:         _ZN7rocprim17ROCPRIM_400000_NS6detail17trampoline_kernelINS0_14default_configENS1_22reduce_config_selectorIN6thrust23THRUST_200600_302600_NS5tupleIblNS6_9null_typeES8_S8_S8_S8_S8_S8_S8_EEEEZNS1_11reduce_implILb1ES3_NS6_12zip_iteratorINS7_INS6_11hip_rocprim26transform_input_iterator_tIbPhNS6_6detail10functional5actorINSH_9compositeIJNSH_27transparent_binary_operatorINS6_8equal_toIvEEEENSI_INSH_8argumentILj0EEEEENSH_5valueIhEEEEEEEEENSD_19counting_iterator_tIlEES8_S8_S8_S8_S8_S8_S8_S8_EEEEPS9_S9_NSD_9__find_if7functorIS9_EEEE10hipError_tPvRmT1_T2_T3_mT4_P12ihipStream_tbEUlT_E0_NS1_11comp_targetILNS1_3genE2ELNS1_11target_archE906ELNS1_3gpuE6ELNS1_3repE0EEENS1_30default_config_static_selectorELNS0_4arch9wavefront6targetE1EEEvS17_.kd
    .uniform_work_group_size: 1
    .uses_dynamic_stack: false
    .vgpr_count:     12
    .vgpr_spill_count: 0
    .wavefront_size: 64
  - .args:
      - .offset:         0
        .size:           88
        .value_kind:     by_value
    .group_segment_fixed_size: 0
    .kernarg_segment_align: 8
    .kernarg_segment_size: 88
    .language:       OpenCL C
    .language_version:
      - 2
      - 0
    .max_flat_workgroup_size: 256
    .name:           _ZN7rocprim17ROCPRIM_400000_NS6detail17trampoline_kernelINS0_14default_configENS1_22reduce_config_selectorIN6thrust23THRUST_200600_302600_NS5tupleIblNS6_9null_typeES8_S8_S8_S8_S8_S8_S8_EEEEZNS1_11reduce_implILb1ES3_NS6_12zip_iteratorINS7_INS6_11hip_rocprim26transform_input_iterator_tIbPhNS6_6detail10functional5actorINSH_9compositeIJNSH_27transparent_binary_operatorINS6_8equal_toIvEEEENSI_INSH_8argumentILj0EEEEENSH_5valueIhEEEEEEEEENSD_19counting_iterator_tIlEES8_S8_S8_S8_S8_S8_S8_S8_EEEEPS9_S9_NSD_9__find_if7functorIS9_EEEE10hipError_tPvRmT1_T2_T3_mT4_P12ihipStream_tbEUlT_E0_NS1_11comp_targetILNS1_3genE10ELNS1_11target_archE1201ELNS1_3gpuE5ELNS1_3repE0EEENS1_30default_config_static_selectorELNS0_4arch9wavefront6targetE1EEEvS17_
    .private_segment_fixed_size: 0
    .sgpr_count:     4
    .sgpr_spill_count: 0
    .symbol:         _ZN7rocprim17ROCPRIM_400000_NS6detail17trampoline_kernelINS0_14default_configENS1_22reduce_config_selectorIN6thrust23THRUST_200600_302600_NS5tupleIblNS6_9null_typeES8_S8_S8_S8_S8_S8_S8_EEEEZNS1_11reduce_implILb1ES3_NS6_12zip_iteratorINS7_INS6_11hip_rocprim26transform_input_iterator_tIbPhNS6_6detail10functional5actorINSH_9compositeIJNSH_27transparent_binary_operatorINS6_8equal_toIvEEEENSI_INSH_8argumentILj0EEEEENSH_5valueIhEEEEEEEEENSD_19counting_iterator_tIlEES8_S8_S8_S8_S8_S8_S8_S8_EEEEPS9_S9_NSD_9__find_if7functorIS9_EEEE10hipError_tPvRmT1_T2_T3_mT4_P12ihipStream_tbEUlT_E0_NS1_11comp_targetILNS1_3genE10ELNS1_11target_archE1201ELNS1_3gpuE5ELNS1_3repE0EEENS1_30default_config_static_selectorELNS0_4arch9wavefront6targetE1EEEvS17_.kd
    .uniform_work_group_size: 1
    .uses_dynamic_stack: false
    .vgpr_count:     0
    .vgpr_spill_count: 0
    .wavefront_size: 64
  - .args:
      - .offset:         0
        .size:           88
        .value_kind:     by_value
    .group_segment_fixed_size: 0
    .kernarg_segment_align: 8
    .kernarg_segment_size: 88
    .language:       OpenCL C
    .language_version:
      - 2
      - 0
    .max_flat_workgroup_size: 256
    .name:           _ZN7rocprim17ROCPRIM_400000_NS6detail17trampoline_kernelINS0_14default_configENS1_22reduce_config_selectorIN6thrust23THRUST_200600_302600_NS5tupleIblNS6_9null_typeES8_S8_S8_S8_S8_S8_S8_EEEEZNS1_11reduce_implILb1ES3_NS6_12zip_iteratorINS7_INS6_11hip_rocprim26transform_input_iterator_tIbPhNS6_6detail10functional5actorINSH_9compositeIJNSH_27transparent_binary_operatorINS6_8equal_toIvEEEENSI_INSH_8argumentILj0EEEEENSH_5valueIhEEEEEEEEENSD_19counting_iterator_tIlEES8_S8_S8_S8_S8_S8_S8_S8_EEEEPS9_S9_NSD_9__find_if7functorIS9_EEEE10hipError_tPvRmT1_T2_T3_mT4_P12ihipStream_tbEUlT_E0_NS1_11comp_targetILNS1_3genE10ELNS1_11target_archE1200ELNS1_3gpuE4ELNS1_3repE0EEENS1_30default_config_static_selectorELNS0_4arch9wavefront6targetE1EEEvS17_
    .private_segment_fixed_size: 0
    .sgpr_count:     4
    .sgpr_spill_count: 0
    .symbol:         _ZN7rocprim17ROCPRIM_400000_NS6detail17trampoline_kernelINS0_14default_configENS1_22reduce_config_selectorIN6thrust23THRUST_200600_302600_NS5tupleIblNS6_9null_typeES8_S8_S8_S8_S8_S8_S8_EEEEZNS1_11reduce_implILb1ES3_NS6_12zip_iteratorINS7_INS6_11hip_rocprim26transform_input_iterator_tIbPhNS6_6detail10functional5actorINSH_9compositeIJNSH_27transparent_binary_operatorINS6_8equal_toIvEEEENSI_INSH_8argumentILj0EEEEENSH_5valueIhEEEEEEEEENSD_19counting_iterator_tIlEES8_S8_S8_S8_S8_S8_S8_S8_EEEEPS9_S9_NSD_9__find_if7functorIS9_EEEE10hipError_tPvRmT1_T2_T3_mT4_P12ihipStream_tbEUlT_E0_NS1_11comp_targetILNS1_3genE10ELNS1_11target_archE1200ELNS1_3gpuE4ELNS1_3repE0EEENS1_30default_config_static_selectorELNS0_4arch9wavefront6targetE1EEEvS17_.kd
    .uniform_work_group_size: 1
    .uses_dynamic_stack: false
    .vgpr_count:     0
    .vgpr_spill_count: 0
    .wavefront_size: 64
  - .args:
      - .offset:         0
        .size:           88
        .value_kind:     by_value
    .group_segment_fixed_size: 0
    .kernarg_segment_align: 8
    .kernarg_segment_size: 88
    .language:       OpenCL C
    .language_version:
      - 2
      - 0
    .max_flat_workgroup_size: 256
    .name:           _ZN7rocprim17ROCPRIM_400000_NS6detail17trampoline_kernelINS0_14default_configENS1_22reduce_config_selectorIN6thrust23THRUST_200600_302600_NS5tupleIblNS6_9null_typeES8_S8_S8_S8_S8_S8_S8_EEEEZNS1_11reduce_implILb1ES3_NS6_12zip_iteratorINS7_INS6_11hip_rocprim26transform_input_iterator_tIbPhNS6_6detail10functional5actorINSH_9compositeIJNSH_27transparent_binary_operatorINS6_8equal_toIvEEEENSI_INSH_8argumentILj0EEEEENSH_5valueIhEEEEEEEEENSD_19counting_iterator_tIlEES8_S8_S8_S8_S8_S8_S8_S8_EEEEPS9_S9_NSD_9__find_if7functorIS9_EEEE10hipError_tPvRmT1_T2_T3_mT4_P12ihipStream_tbEUlT_E0_NS1_11comp_targetILNS1_3genE9ELNS1_11target_archE1100ELNS1_3gpuE3ELNS1_3repE0EEENS1_30default_config_static_selectorELNS0_4arch9wavefront6targetE1EEEvS17_
    .private_segment_fixed_size: 0
    .sgpr_count:     4
    .sgpr_spill_count: 0
    .symbol:         _ZN7rocprim17ROCPRIM_400000_NS6detail17trampoline_kernelINS0_14default_configENS1_22reduce_config_selectorIN6thrust23THRUST_200600_302600_NS5tupleIblNS6_9null_typeES8_S8_S8_S8_S8_S8_S8_EEEEZNS1_11reduce_implILb1ES3_NS6_12zip_iteratorINS7_INS6_11hip_rocprim26transform_input_iterator_tIbPhNS6_6detail10functional5actorINSH_9compositeIJNSH_27transparent_binary_operatorINS6_8equal_toIvEEEENSI_INSH_8argumentILj0EEEEENSH_5valueIhEEEEEEEEENSD_19counting_iterator_tIlEES8_S8_S8_S8_S8_S8_S8_S8_EEEEPS9_S9_NSD_9__find_if7functorIS9_EEEE10hipError_tPvRmT1_T2_T3_mT4_P12ihipStream_tbEUlT_E0_NS1_11comp_targetILNS1_3genE9ELNS1_11target_archE1100ELNS1_3gpuE3ELNS1_3repE0EEENS1_30default_config_static_selectorELNS0_4arch9wavefront6targetE1EEEvS17_.kd
    .uniform_work_group_size: 1
    .uses_dynamic_stack: false
    .vgpr_count:     0
    .vgpr_spill_count: 0
    .wavefront_size: 64
  - .args:
      - .offset:         0
        .size:           88
        .value_kind:     by_value
    .group_segment_fixed_size: 0
    .kernarg_segment_align: 8
    .kernarg_segment_size: 88
    .language:       OpenCL C
    .language_version:
      - 2
      - 0
    .max_flat_workgroup_size: 256
    .name:           _ZN7rocprim17ROCPRIM_400000_NS6detail17trampoline_kernelINS0_14default_configENS1_22reduce_config_selectorIN6thrust23THRUST_200600_302600_NS5tupleIblNS6_9null_typeES8_S8_S8_S8_S8_S8_S8_EEEEZNS1_11reduce_implILb1ES3_NS6_12zip_iteratorINS7_INS6_11hip_rocprim26transform_input_iterator_tIbPhNS6_6detail10functional5actorINSH_9compositeIJNSH_27transparent_binary_operatorINS6_8equal_toIvEEEENSI_INSH_8argumentILj0EEEEENSH_5valueIhEEEEEEEEENSD_19counting_iterator_tIlEES8_S8_S8_S8_S8_S8_S8_S8_EEEEPS9_S9_NSD_9__find_if7functorIS9_EEEE10hipError_tPvRmT1_T2_T3_mT4_P12ihipStream_tbEUlT_E0_NS1_11comp_targetILNS1_3genE8ELNS1_11target_archE1030ELNS1_3gpuE2ELNS1_3repE0EEENS1_30default_config_static_selectorELNS0_4arch9wavefront6targetE1EEEvS17_
    .private_segment_fixed_size: 0
    .sgpr_count:     4
    .sgpr_spill_count: 0
    .symbol:         _ZN7rocprim17ROCPRIM_400000_NS6detail17trampoline_kernelINS0_14default_configENS1_22reduce_config_selectorIN6thrust23THRUST_200600_302600_NS5tupleIblNS6_9null_typeES8_S8_S8_S8_S8_S8_S8_EEEEZNS1_11reduce_implILb1ES3_NS6_12zip_iteratorINS7_INS6_11hip_rocprim26transform_input_iterator_tIbPhNS6_6detail10functional5actorINSH_9compositeIJNSH_27transparent_binary_operatorINS6_8equal_toIvEEEENSI_INSH_8argumentILj0EEEEENSH_5valueIhEEEEEEEEENSD_19counting_iterator_tIlEES8_S8_S8_S8_S8_S8_S8_S8_EEEEPS9_S9_NSD_9__find_if7functorIS9_EEEE10hipError_tPvRmT1_T2_T3_mT4_P12ihipStream_tbEUlT_E0_NS1_11comp_targetILNS1_3genE8ELNS1_11target_archE1030ELNS1_3gpuE2ELNS1_3repE0EEENS1_30default_config_static_selectorELNS0_4arch9wavefront6targetE1EEEvS17_.kd
    .uniform_work_group_size: 1
    .uses_dynamic_stack: false
    .vgpr_count:     0
    .vgpr_spill_count: 0
    .wavefront_size: 64
  - .args:
      - .offset:         0
        .size:           72
        .value_kind:     by_value
    .group_segment_fixed_size: 0
    .kernarg_segment_align: 8
    .kernarg_segment_size: 72
    .language:       OpenCL C
    .language_version:
      - 2
      - 0
    .max_flat_workgroup_size: 128
    .name:           _ZN7rocprim17ROCPRIM_400000_NS6detail17trampoline_kernelINS0_14default_configENS1_22reduce_config_selectorIN6thrust23THRUST_200600_302600_NS5tupleIblNS6_9null_typeES8_S8_S8_S8_S8_S8_S8_EEEEZNS1_11reduce_implILb1ES3_NS6_12zip_iteratorINS7_INS6_11hip_rocprim26transform_input_iterator_tIbPhNS6_6detail10functional5actorINSH_9compositeIJNSH_27transparent_binary_operatorINS6_8equal_toIvEEEENSI_INSH_8argumentILj0EEEEENSH_5valueIhEEEEEEEEENSD_19counting_iterator_tIlEES8_S8_S8_S8_S8_S8_S8_S8_EEEEPS9_S9_NSD_9__find_if7functorIS9_EEEE10hipError_tPvRmT1_T2_T3_mT4_P12ihipStream_tbEUlT_E1_NS1_11comp_targetILNS1_3genE0ELNS1_11target_archE4294967295ELNS1_3gpuE0ELNS1_3repE0EEENS1_30default_config_static_selectorELNS0_4arch9wavefront6targetE1EEEvS17_
    .private_segment_fixed_size: 0
    .sgpr_count:     4
    .sgpr_spill_count: 0
    .symbol:         _ZN7rocprim17ROCPRIM_400000_NS6detail17trampoline_kernelINS0_14default_configENS1_22reduce_config_selectorIN6thrust23THRUST_200600_302600_NS5tupleIblNS6_9null_typeES8_S8_S8_S8_S8_S8_S8_EEEEZNS1_11reduce_implILb1ES3_NS6_12zip_iteratorINS7_INS6_11hip_rocprim26transform_input_iterator_tIbPhNS6_6detail10functional5actorINSH_9compositeIJNSH_27transparent_binary_operatorINS6_8equal_toIvEEEENSI_INSH_8argumentILj0EEEEENSH_5valueIhEEEEEEEEENSD_19counting_iterator_tIlEES8_S8_S8_S8_S8_S8_S8_S8_EEEEPS9_S9_NSD_9__find_if7functorIS9_EEEE10hipError_tPvRmT1_T2_T3_mT4_P12ihipStream_tbEUlT_E1_NS1_11comp_targetILNS1_3genE0ELNS1_11target_archE4294967295ELNS1_3gpuE0ELNS1_3repE0EEENS1_30default_config_static_selectorELNS0_4arch9wavefront6targetE1EEEvS17_.kd
    .uniform_work_group_size: 1
    .uses_dynamic_stack: false
    .vgpr_count:     0
    .vgpr_spill_count: 0
    .wavefront_size: 64
  - .args:
      - .offset:         0
        .size:           72
        .value_kind:     by_value
    .group_segment_fixed_size: 0
    .kernarg_segment_align: 8
    .kernarg_segment_size: 72
    .language:       OpenCL C
    .language_version:
      - 2
      - 0
    .max_flat_workgroup_size: 256
    .name:           _ZN7rocprim17ROCPRIM_400000_NS6detail17trampoline_kernelINS0_14default_configENS1_22reduce_config_selectorIN6thrust23THRUST_200600_302600_NS5tupleIblNS6_9null_typeES8_S8_S8_S8_S8_S8_S8_EEEEZNS1_11reduce_implILb1ES3_NS6_12zip_iteratorINS7_INS6_11hip_rocprim26transform_input_iterator_tIbPhNS6_6detail10functional5actorINSH_9compositeIJNSH_27transparent_binary_operatorINS6_8equal_toIvEEEENSI_INSH_8argumentILj0EEEEENSH_5valueIhEEEEEEEEENSD_19counting_iterator_tIlEES8_S8_S8_S8_S8_S8_S8_S8_EEEEPS9_S9_NSD_9__find_if7functorIS9_EEEE10hipError_tPvRmT1_T2_T3_mT4_P12ihipStream_tbEUlT_E1_NS1_11comp_targetILNS1_3genE5ELNS1_11target_archE942ELNS1_3gpuE9ELNS1_3repE0EEENS1_30default_config_static_selectorELNS0_4arch9wavefront6targetE1EEEvS17_
    .private_segment_fixed_size: 0
    .sgpr_count:     4
    .sgpr_spill_count: 0
    .symbol:         _ZN7rocprim17ROCPRIM_400000_NS6detail17trampoline_kernelINS0_14default_configENS1_22reduce_config_selectorIN6thrust23THRUST_200600_302600_NS5tupleIblNS6_9null_typeES8_S8_S8_S8_S8_S8_S8_EEEEZNS1_11reduce_implILb1ES3_NS6_12zip_iteratorINS7_INS6_11hip_rocprim26transform_input_iterator_tIbPhNS6_6detail10functional5actorINSH_9compositeIJNSH_27transparent_binary_operatorINS6_8equal_toIvEEEENSI_INSH_8argumentILj0EEEEENSH_5valueIhEEEEEEEEENSD_19counting_iterator_tIlEES8_S8_S8_S8_S8_S8_S8_S8_EEEEPS9_S9_NSD_9__find_if7functorIS9_EEEE10hipError_tPvRmT1_T2_T3_mT4_P12ihipStream_tbEUlT_E1_NS1_11comp_targetILNS1_3genE5ELNS1_11target_archE942ELNS1_3gpuE9ELNS1_3repE0EEENS1_30default_config_static_selectorELNS0_4arch9wavefront6targetE1EEEvS17_.kd
    .uniform_work_group_size: 1
    .uses_dynamic_stack: false
    .vgpr_count:     0
    .vgpr_spill_count: 0
    .wavefront_size: 64
  - .args:
      - .offset:         0
        .size:           72
        .value_kind:     by_value
    .group_segment_fixed_size: 0
    .kernarg_segment_align: 8
    .kernarg_segment_size: 72
    .language:       OpenCL C
    .language_version:
      - 2
      - 0
    .max_flat_workgroup_size: 256
    .name:           _ZN7rocprim17ROCPRIM_400000_NS6detail17trampoline_kernelINS0_14default_configENS1_22reduce_config_selectorIN6thrust23THRUST_200600_302600_NS5tupleIblNS6_9null_typeES8_S8_S8_S8_S8_S8_S8_EEEEZNS1_11reduce_implILb1ES3_NS6_12zip_iteratorINS7_INS6_11hip_rocprim26transform_input_iterator_tIbPhNS6_6detail10functional5actorINSH_9compositeIJNSH_27transparent_binary_operatorINS6_8equal_toIvEEEENSI_INSH_8argumentILj0EEEEENSH_5valueIhEEEEEEEEENSD_19counting_iterator_tIlEES8_S8_S8_S8_S8_S8_S8_S8_EEEEPS9_S9_NSD_9__find_if7functorIS9_EEEE10hipError_tPvRmT1_T2_T3_mT4_P12ihipStream_tbEUlT_E1_NS1_11comp_targetILNS1_3genE4ELNS1_11target_archE910ELNS1_3gpuE8ELNS1_3repE0EEENS1_30default_config_static_selectorELNS0_4arch9wavefront6targetE1EEEvS17_
    .private_segment_fixed_size: 0
    .sgpr_count:     4
    .sgpr_spill_count: 0
    .symbol:         _ZN7rocprim17ROCPRIM_400000_NS6detail17trampoline_kernelINS0_14default_configENS1_22reduce_config_selectorIN6thrust23THRUST_200600_302600_NS5tupleIblNS6_9null_typeES8_S8_S8_S8_S8_S8_S8_EEEEZNS1_11reduce_implILb1ES3_NS6_12zip_iteratorINS7_INS6_11hip_rocprim26transform_input_iterator_tIbPhNS6_6detail10functional5actorINSH_9compositeIJNSH_27transparent_binary_operatorINS6_8equal_toIvEEEENSI_INSH_8argumentILj0EEEEENSH_5valueIhEEEEEEEEENSD_19counting_iterator_tIlEES8_S8_S8_S8_S8_S8_S8_S8_EEEEPS9_S9_NSD_9__find_if7functorIS9_EEEE10hipError_tPvRmT1_T2_T3_mT4_P12ihipStream_tbEUlT_E1_NS1_11comp_targetILNS1_3genE4ELNS1_11target_archE910ELNS1_3gpuE8ELNS1_3repE0EEENS1_30default_config_static_selectorELNS0_4arch9wavefront6targetE1EEEvS17_.kd
    .uniform_work_group_size: 1
    .uses_dynamic_stack: false
    .vgpr_count:     0
    .vgpr_spill_count: 0
    .wavefront_size: 64
  - .args:
      - .offset:         0
        .size:           72
        .value_kind:     by_value
    .group_segment_fixed_size: 0
    .kernarg_segment_align: 8
    .kernarg_segment_size: 72
    .language:       OpenCL C
    .language_version:
      - 2
      - 0
    .max_flat_workgroup_size: 128
    .name:           _ZN7rocprim17ROCPRIM_400000_NS6detail17trampoline_kernelINS0_14default_configENS1_22reduce_config_selectorIN6thrust23THRUST_200600_302600_NS5tupleIblNS6_9null_typeES8_S8_S8_S8_S8_S8_S8_EEEEZNS1_11reduce_implILb1ES3_NS6_12zip_iteratorINS7_INS6_11hip_rocprim26transform_input_iterator_tIbPhNS6_6detail10functional5actorINSH_9compositeIJNSH_27transparent_binary_operatorINS6_8equal_toIvEEEENSI_INSH_8argumentILj0EEEEENSH_5valueIhEEEEEEEEENSD_19counting_iterator_tIlEES8_S8_S8_S8_S8_S8_S8_S8_EEEEPS9_S9_NSD_9__find_if7functorIS9_EEEE10hipError_tPvRmT1_T2_T3_mT4_P12ihipStream_tbEUlT_E1_NS1_11comp_targetILNS1_3genE3ELNS1_11target_archE908ELNS1_3gpuE7ELNS1_3repE0EEENS1_30default_config_static_selectorELNS0_4arch9wavefront6targetE1EEEvS17_
    .private_segment_fixed_size: 0
    .sgpr_count:     4
    .sgpr_spill_count: 0
    .symbol:         _ZN7rocprim17ROCPRIM_400000_NS6detail17trampoline_kernelINS0_14default_configENS1_22reduce_config_selectorIN6thrust23THRUST_200600_302600_NS5tupleIblNS6_9null_typeES8_S8_S8_S8_S8_S8_S8_EEEEZNS1_11reduce_implILb1ES3_NS6_12zip_iteratorINS7_INS6_11hip_rocprim26transform_input_iterator_tIbPhNS6_6detail10functional5actorINSH_9compositeIJNSH_27transparent_binary_operatorINS6_8equal_toIvEEEENSI_INSH_8argumentILj0EEEEENSH_5valueIhEEEEEEEEENSD_19counting_iterator_tIlEES8_S8_S8_S8_S8_S8_S8_S8_EEEEPS9_S9_NSD_9__find_if7functorIS9_EEEE10hipError_tPvRmT1_T2_T3_mT4_P12ihipStream_tbEUlT_E1_NS1_11comp_targetILNS1_3genE3ELNS1_11target_archE908ELNS1_3gpuE7ELNS1_3repE0EEENS1_30default_config_static_selectorELNS0_4arch9wavefront6targetE1EEEvS17_.kd
    .uniform_work_group_size: 1
    .uses_dynamic_stack: false
    .vgpr_count:     0
    .vgpr_spill_count: 0
    .wavefront_size: 64
  - .args:
      - .offset:         0
        .size:           72
        .value_kind:     by_value
    .group_segment_fixed_size: 160
    .kernarg_segment_align: 8
    .kernarg_segment_size: 72
    .language:       OpenCL C
    .language_version:
      - 2
      - 0
    .max_flat_workgroup_size: 128
    .name:           _ZN7rocprim17ROCPRIM_400000_NS6detail17trampoline_kernelINS0_14default_configENS1_22reduce_config_selectorIN6thrust23THRUST_200600_302600_NS5tupleIblNS6_9null_typeES8_S8_S8_S8_S8_S8_S8_EEEEZNS1_11reduce_implILb1ES3_NS6_12zip_iteratorINS7_INS6_11hip_rocprim26transform_input_iterator_tIbPhNS6_6detail10functional5actorINSH_9compositeIJNSH_27transparent_binary_operatorINS6_8equal_toIvEEEENSI_INSH_8argumentILj0EEEEENSH_5valueIhEEEEEEEEENSD_19counting_iterator_tIlEES8_S8_S8_S8_S8_S8_S8_S8_EEEEPS9_S9_NSD_9__find_if7functorIS9_EEEE10hipError_tPvRmT1_T2_T3_mT4_P12ihipStream_tbEUlT_E1_NS1_11comp_targetILNS1_3genE2ELNS1_11target_archE906ELNS1_3gpuE6ELNS1_3repE0EEENS1_30default_config_static_selectorELNS0_4arch9wavefront6targetE1EEEvS17_
    .private_segment_fixed_size: 0
    .sgpr_count:     44
    .sgpr_spill_count: 0
    .symbol:         _ZN7rocprim17ROCPRIM_400000_NS6detail17trampoline_kernelINS0_14default_configENS1_22reduce_config_selectorIN6thrust23THRUST_200600_302600_NS5tupleIblNS6_9null_typeES8_S8_S8_S8_S8_S8_S8_EEEEZNS1_11reduce_implILb1ES3_NS6_12zip_iteratorINS7_INS6_11hip_rocprim26transform_input_iterator_tIbPhNS6_6detail10functional5actorINSH_9compositeIJNSH_27transparent_binary_operatorINS6_8equal_toIvEEEENSI_INSH_8argumentILj0EEEEENSH_5valueIhEEEEEEEEENSD_19counting_iterator_tIlEES8_S8_S8_S8_S8_S8_S8_S8_EEEEPS9_S9_NSD_9__find_if7functorIS9_EEEE10hipError_tPvRmT1_T2_T3_mT4_P12ihipStream_tbEUlT_E1_NS1_11comp_targetILNS1_3genE2ELNS1_11target_archE906ELNS1_3gpuE6ELNS1_3repE0EEENS1_30default_config_static_selectorELNS0_4arch9wavefront6targetE1EEEvS17_.kd
    .uniform_work_group_size: 1
    .uses_dynamic_stack: false
    .vgpr_count:     26
    .vgpr_spill_count: 0
    .wavefront_size: 64
  - .args:
      - .offset:         0
        .size:           72
        .value_kind:     by_value
    .group_segment_fixed_size: 0
    .kernarg_segment_align: 8
    .kernarg_segment_size: 72
    .language:       OpenCL C
    .language_version:
      - 2
      - 0
    .max_flat_workgroup_size: 256
    .name:           _ZN7rocprim17ROCPRIM_400000_NS6detail17trampoline_kernelINS0_14default_configENS1_22reduce_config_selectorIN6thrust23THRUST_200600_302600_NS5tupleIblNS6_9null_typeES8_S8_S8_S8_S8_S8_S8_EEEEZNS1_11reduce_implILb1ES3_NS6_12zip_iteratorINS7_INS6_11hip_rocprim26transform_input_iterator_tIbPhNS6_6detail10functional5actorINSH_9compositeIJNSH_27transparent_binary_operatorINS6_8equal_toIvEEEENSI_INSH_8argumentILj0EEEEENSH_5valueIhEEEEEEEEENSD_19counting_iterator_tIlEES8_S8_S8_S8_S8_S8_S8_S8_EEEEPS9_S9_NSD_9__find_if7functorIS9_EEEE10hipError_tPvRmT1_T2_T3_mT4_P12ihipStream_tbEUlT_E1_NS1_11comp_targetILNS1_3genE10ELNS1_11target_archE1201ELNS1_3gpuE5ELNS1_3repE0EEENS1_30default_config_static_selectorELNS0_4arch9wavefront6targetE1EEEvS17_
    .private_segment_fixed_size: 0
    .sgpr_count:     4
    .sgpr_spill_count: 0
    .symbol:         _ZN7rocprim17ROCPRIM_400000_NS6detail17trampoline_kernelINS0_14default_configENS1_22reduce_config_selectorIN6thrust23THRUST_200600_302600_NS5tupleIblNS6_9null_typeES8_S8_S8_S8_S8_S8_S8_EEEEZNS1_11reduce_implILb1ES3_NS6_12zip_iteratorINS7_INS6_11hip_rocprim26transform_input_iterator_tIbPhNS6_6detail10functional5actorINSH_9compositeIJNSH_27transparent_binary_operatorINS6_8equal_toIvEEEENSI_INSH_8argumentILj0EEEEENSH_5valueIhEEEEEEEEENSD_19counting_iterator_tIlEES8_S8_S8_S8_S8_S8_S8_S8_EEEEPS9_S9_NSD_9__find_if7functorIS9_EEEE10hipError_tPvRmT1_T2_T3_mT4_P12ihipStream_tbEUlT_E1_NS1_11comp_targetILNS1_3genE10ELNS1_11target_archE1201ELNS1_3gpuE5ELNS1_3repE0EEENS1_30default_config_static_selectorELNS0_4arch9wavefront6targetE1EEEvS17_.kd
    .uniform_work_group_size: 1
    .uses_dynamic_stack: false
    .vgpr_count:     0
    .vgpr_spill_count: 0
    .wavefront_size: 64
  - .args:
      - .offset:         0
        .size:           72
        .value_kind:     by_value
    .group_segment_fixed_size: 0
    .kernarg_segment_align: 8
    .kernarg_segment_size: 72
    .language:       OpenCL C
    .language_version:
      - 2
      - 0
    .max_flat_workgroup_size: 256
    .name:           _ZN7rocprim17ROCPRIM_400000_NS6detail17trampoline_kernelINS0_14default_configENS1_22reduce_config_selectorIN6thrust23THRUST_200600_302600_NS5tupleIblNS6_9null_typeES8_S8_S8_S8_S8_S8_S8_EEEEZNS1_11reduce_implILb1ES3_NS6_12zip_iteratorINS7_INS6_11hip_rocprim26transform_input_iterator_tIbPhNS6_6detail10functional5actorINSH_9compositeIJNSH_27transparent_binary_operatorINS6_8equal_toIvEEEENSI_INSH_8argumentILj0EEEEENSH_5valueIhEEEEEEEEENSD_19counting_iterator_tIlEES8_S8_S8_S8_S8_S8_S8_S8_EEEEPS9_S9_NSD_9__find_if7functorIS9_EEEE10hipError_tPvRmT1_T2_T3_mT4_P12ihipStream_tbEUlT_E1_NS1_11comp_targetILNS1_3genE10ELNS1_11target_archE1200ELNS1_3gpuE4ELNS1_3repE0EEENS1_30default_config_static_selectorELNS0_4arch9wavefront6targetE1EEEvS17_
    .private_segment_fixed_size: 0
    .sgpr_count:     4
    .sgpr_spill_count: 0
    .symbol:         _ZN7rocprim17ROCPRIM_400000_NS6detail17trampoline_kernelINS0_14default_configENS1_22reduce_config_selectorIN6thrust23THRUST_200600_302600_NS5tupleIblNS6_9null_typeES8_S8_S8_S8_S8_S8_S8_EEEEZNS1_11reduce_implILb1ES3_NS6_12zip_iteratorINS7_INS6_11hip_rocprim26transform_input_iterator_tIbPhNS6_6detail10functional5actorINSH_9compositeIJNSH_27transparent_binary_operatorINS6_8equal_toIvEEEENSI_INSH_8argumentILj0EEEEENSH_5valueIhEEEEEEEEENSD_19counting_iterator_tIlEES8_S8_S8_S8_S8_S8_S8_S8_EEEEPS9_S9_NSD_9__find_if7functorIS9_EEEE10hipError_tPvRmT1_T2_T3_mT4_P12ihipStream_tbEUlT_E1_NS1_11comp_targetILNS1_3genE10ELNS1_11target_archE1200ELNS1_3gpuE4ELNS1_3repE0EEENS1_30default_config_static_selectorELNS0_4arch9wavefront6targetE1EEEvS17_.kd
    .uniform_work_group_size: 1
    .uses_dynamic_stack: false
    .vgpr_count:     0
    .vgpr_spill_count: 0
    .wavefront_size: 64
  - .args:
      - .offset:         0
        .size:           72
        .value_kind:     by_value
    .group_segment_fixed_size: 0
    .kernarg_segment_align: 8
    .kernarg_segment_size: 72
    .language:       OpenCL C
    .language_version:
      - 2
      - 0
    .max_flat_workgroup_size: 256
    .name:           _ZN7rocprim17ROCPRIM_400000_NS6detail17trampoline_kernelINS0_14default_configENS1_22reduce_config_selectorIN6thrust23THRUST_200600_302600_NS5tupleIblNS6_9null_typeES8_S8_S8_S8_S8_S8_S8_EEEEZNS1_11reduce_implILb1ES3_NS6_12zip_iteratorINS7_INS6_11hip_rocprim26transform_input_iterator_tIbPhNS6_6detail10functional5actorINSH_9compositeIJNSH_27transparent_binary_operatorINS6_8equal_toIvEEEENSI_INSH_8argumentILj0EEEEENSH_5valueIhEEEEEEEEENSD_19counting_iterator_tIlEES8_S8_S8_S8_S8_S8_S8_S8_EEEEPS9_S9_NSD_9__find_if7functorIS9_EEEE10hipError_tPvRmT1_T2_T3_mT4_P12ihipStream_tbEUlT_E1_NS1_11comp_targetILNS1_3genE9ELNS1_11target_archE1100ELNS1_3gpuE3ELNS1_3repE0EEENS1_30default_config_static_selectorELNS0_4arch9wavefront6targetE1EEEvS17_
    .private_segment_fixed_size: 0
    .sgpr_count:     4
    .sgpr_spill_count: 0
    .symbol:         _ZN7rocprim17ROCPRIM_400000_NS6detail17trampoline_kernelINS0_14default_configENS1_22reduce_config_selectorIN6thrust23THRUST_200600_302600_NS5tupleIblNS6_9null_typeES8_S8_S8_S8_S8_S8_S8_EEEEZNS1_11reduce_implILb1ES3_NS6_12zip_iteratorINS7_INS6_11hip_rocprim26transform_input_iterator_tIbPhNS6_6detail10functional5actorINSH_9compositeIJNSH_27transparent_binary_operatorINS6_8equal_toIvEEEENSI_INSH_8argumentILj0EEEEENSH_5valueIhEEEEEEEEENSD_19counting_iterator_tIlEES8_S8_S8_S8_S8_S8_S8_S8_EEEEPS9_S9_NSD_9__find_if7functorIS9_EEEE10hipError_tPvRmT1_T2_T3_mT4_P12ihipStream_tbEUlT_E1_NS1_11comp_targetILNS1_3genE9ELNS1_11target_archE1100ELNS1_3gpuE3ELNS1_3repE0EEENS1_30default_config_static_selectorELNS0_4arch9wavefront6targetE1EEEvS17_.kd
    .uniform_work_group_size: 1
    .uses_dynamic_stack: false
    .vgpr_count:     0
    .vgpr_spill_count: 0
    .wavefront_size: 64
  - .args:
      - .offset:         0
        .size:           72
        .value_kind:     by_value
    .group_segment_fixed_size: 0
    .kernarg_segment_align: 8
    .kernarg_segment_size: 72
    .language:       OpenCL C
    .language_version:
      - 2
      - 0
    .max_flat_workgroup_size: 256
    .name:           _ZN7rocprim17ROCPRIM_400000_NS6detail17trampoline_kernelINS0_14default_configENS1_22reduce_config_selectorIN6thrust23THRUST_200600_302600_NS5tupleIblNS6_9null_typeES8_S8_S8_S8_S8_S8_S8_EEEEZNS1_11reduce_implILb1ES3_NS6_12zip_iteratorINS7_INS6_11hip_rocprim26transform_input_iterator_tIbPhNS6_6detail10functional5actorINSH_9compositeIJNSH_27transparent_binary_operatorINS6_8equal_toIvEEEENSI_INSH_8argumentILj0EEEEENSH_5valueIhEEEEEEEEENSD_19counting_iterator_tIlEES8_S8_S8_S8_S8_S8_S8_S8_EEEEPS9_S9_NSD_9__find_if7functorIS9_EEEE10hipError_tPvRmT1_T2_T3_mT4_P12ihipStream_tbEUlT_E1_NS1_11comp_targetILNS1_3genE8ELNS1_11target_archE1030ELNS1_3gpuE2ELNS1_3repE0EEENS1_30default_config_static_selectorELNS0_4arch9wavefront6targetE1EEEvS17_
    .private_segment_fixed_size: 0
    .sgpr_count:     4
    .sgpr_spill_count: 0
    .symbol:         _ZN7rocprim17ROCPRIM_400000_NS6detail17trampoline_kernelINS0_14default_configENS1_22reduce_config_selectorIN6thrust23THRUST_200600_302600_NS5tupleIblNS6_9null_typeES8_S8_S8_S8_S8_S8_S8_EEEEZNS1_11reduce_implILb1ES3_NS6_12zip_iteratorINS7_INS6_11hip_rocprim26transform_input_iterator_tIbPhNS6_6detail10functional5actorINSH_9compositeIJNSH_27transparent_binary_operatorINS6_8equal_toIvEEEENSI_INSH_8argumentILj0EEEEENSH_5valueIhEEEEEEEEENSD_19counting_iterator_tIlEES8_S8_S8_S8_S8_S8_S8_S8_EEEEPS9_S9_NSD_9__find_if7functorIS9_EEEE10hipError_tPvRmT1_T2_T3_mT4_P12ihipStream_tbEUlT_E1_NS1_11comp_targetILNS1_3genE8ELNS1_11target_archE1030ELNS1_3gpuE2ELNS1_3repE0EEENS1_30default_config_static_selectorELNS0_4arch9wavefront6targetE1EEEvS17_.kd
    .uniform_work_group_size: 1
    .uses_dynamic_stack: false
    .vgpr_count:     0
    .vgpr_spill_count: 0
    .wavefront_size: 64
  - .args:
      - .offset:         0
        .size:           48
        .value_kind:     by_value
    .group_segment_fixed_size: 0
    .kernarg_segment_align: 8
    .kernarg_segment_size: 48
    .language:       OpenCL C
    .language_version:
      - 2
      - 0
    .max_flat_workgroup_size: 256
    .name:           _ZN7rocprim17ROCPRIM_400000_NS6detail17trampoline_kernelINS0_13kernel_configILj256ELj4ELj4294967295EEENS1_37radix_sort_block_sort_config_selectorIalEEZNS1_21radix_sort_block_sortIS4_Lb0EPaS8_N6thrust23THRUST_200600_302600_NS10device_ptrIlEESC_NS0_19identity_decomposerEEE10hipError_tT1_T2_T3_T4_jRjT5_jjP12ihipStream_tbEUlT_E_NS1_11comp_targetILNS1_3genE0ELNS1_11target_archE4294967295ELNS1_3gpuE0ELNS1_3repE0EEENS1_44radix_sort_block_sort_config_static_selectorELNS0_4arch9wavefront6targetE1EEEvSF_
    .private_segment_fixed_size: 0
    .sgpr_count:     4
    .sgpr_spill_count: 0
    .symbol:         _ZN7rocprim17ROCPRIM_400000_NS6detail17trampoline_kernelINS0_13kernel_configILj256ELj4ELj4294967295EEENS1_37radix_sort_block_sort_config_selectorIalEEZNS1_21radix_sort_block_sortIS4_Lb0EPaS8_N6thrust23THRUST_200600_302600_NS10device_ptrIlEESC_NS0_19identity_decomposerEEE10hipError_tT1_T2_T3_T4_jRjT5_jjP12ihipStream_tbEUlT_E_NS1_11comp_targetILNS1_3genE0ELNS1_11target_archE4294967295ELNS1_3gpuE0ELNS1_3repE0EEENS1_44radix_sort_block_sort_config_static_selectorELNS0_4arch9wavefront6targetE1EEEvSF_.kd
    .uniform_work_group_size: 1
    .uses_dynamic_stack: false
    .vgpr_count:     0
    .vgpr_spill_count: 0
    .wavefront_size: 64
  - .args:
      - .offset:         0
        .size:           48
        .value_kind:     by_value
    .group_segment_fixed_size: 0
    .kernarg_segment_align: 8
    .kernarg_segment_size: 48
    .language:       OpenCL C
    .language_version:
      - 2
      - 0
    .max_flat_workgroup_size: 256
    .name:           _ZN7rocprim17ROCPRIM_400000_NS6detail17trampoline_kernelINS0_13kernel_configILj256ELj4ELj4294967295EEENS1_37radix_sort_block_sort_config_selectorIalEEZNS1_21radix_sort_block_sortIS4_Lb0EPaS8_N6thrust23THRUST_200600_302600_NS10device_ptrIlEESC_NS0_19identity_decomposerEEE10hipError_tT1_T2_T3_T4_jRjT5_jjP12ihipStream_tbEUlT_E_NS1_11comp_targetILNS1_3genE5ELNS1_11target_archE942ELNS1_3gpuE9ELNS1_3repE0EEENS1_44radix_sort_block_sort_config_static_selectorELNS0_4arch9wavefront6targetE1EEEvSF_
    .private_segment_fixed_size: 0
    .sgpr_count:     4
    .sgpr_spill_count: 0
    .symbol:         _ZN7rocprim17ROCPRIM_400000_NS6detail17trampoline_kernelINS0_13kernel_configILj256ELj4ELj4294967295EEENS1_37radix_sort_block_sort_config_selectorIalEEZNS1_21radix_sort_block_sortIS4_Lb0EPaS8_N6thrust23THRUST_200600_302600_NS10device_ptrIlEESC_NS0_19identity_decomposerEEE10hipError_tT1_T2_T3_T4_jRjT5_jjP12ihipStream_tbEUlT_E_NS1_11comp_targetILNS1_3genE5ELNS1_11target_archE942ELNS1_3gpuE9ELNS1_3repE0EEENS1_44radix_sort_block_sort_config_static_selectorELNS0_4arch9wavefront6targetE1EEEvSF_.kd
    .uniform_work_group_size: 1
    .uses_dynamic_stack: false
    .vgpr_count:     0
    .vgpr_spill_count: 0
    .wavefront_size: 64
  - .args:
      - .offset:         0
        .size:           48
        .value_kind:     by_value
    .group_segment_fixed_size: 0
    .kernarg_segment_align: 8
    .kernarg_segment_size: 48
    .language:       OpenCL C
    .language_version:
      - 2
      - 0
    .max_flat_workgroup_size: 256
    .name:           _ZN7rocprim17ROCPRIM_400000_NS6detail17trampoline_kernelINS0_13kernel_configILj256ELj4ELj4294967295EEENS1_37radix_sort_block_sort_config_selectorIalEEZNS1_21radix_sort_block_sortIS4_Lb0EPaS8_N6thrust23THRUST_200600_302600_NS10device_ptrIlEESC_NS0_19identity_decomposerEEE10hipError_tT1_T2_T3_T4_jRjT5_jjP12ihipStream_tbEUlT_E_NS1_11comp_targetILNS1_3genE4ELNS1_11target_archE910ELNS1_3gpuE8ELNS1_3repE0EEENS1_44radix_sort_block_sort_config_static_selectorELNS0_4arch9wavefront6targetE1EEEvSF_
    .private_segment_fixed_size: 0
    .sgpr_count:     4
    .sgpr_spill_count: 0
    .symbol:         _ZN7rocprim17ROCPRIM_400000_NS6detail17trampoline_kernelINS0_13kernel_configILj256ELj4ELj4294967295EEENS1_37radix_sort_block_sort_config_selectorIalEEZNS1_21radix_sort_block_sortIS4_Lb0EPaS8_N6thrust23THRUST_200600_302600_NS10device_ptrIlEESC_NS0_19identity_decomposerEEE10hipError_tT1_T2_T3_T4_jRjT5_jjP12ihipStream_tbEUlT_E_NS1_11comp_targetILNS1_3genE4ELNS1_11target_archE910ELNS1_3gpuE8ELNS1_3repE0EEENS1_44radix_sort_block_sort_config_static_selectorELNS0_4arch9wavefront6targetE1EEEvSF_.kd
    .uniform_work_group_size: 1
    .uses_dynamic_stack: false
    .vgpr_count:     0
    .vgpr_spill_count: 0
    .wavefront_size: 64
  - .args:
      - .offset:         0
        .size:           48
        .value_kind:     by_value
    .group_segment_fixed_size: 0
    .kernarg_segment_align: 8
    .kernarg_segment_size: 48
    .language:       OpenCL C
    .language_version:
      - 2
      - 0
    .max_flat_workgroup_size: 256
    .name:           _ZN7rocprim17ROCPRIM_400000_NS6detail17trampoline_kernelINS0_13kernel_configILj256ELj4ELj4294967295EEENS1_37radix_sort_block_sort_config_selectorIalEEZNS1_21radix_sort_block_sortIS4_Lb0EPaS8_N6thrust23THRUST_200600_302600_NS10device_ptrIlEESC_NS0_19identity_decomposerEEE10hipError_tT1_T2_T3_T4_jRjT5_jjP12ihipStream_tbEUlT_E_NS1_11comp_targetILNS1_3genE3ELNS1_11target_archE908ELNS1_3gpuE7ELNS1_3repE0EEENS1_44radix_sort_block_sort_config_static_selectorELNS0_4arch9wavefront6targetE1EEEvSF_
    .private_segment_fixed_size: 0
    .sgpr_count:     4
    .sgpr_spill_count: 0
    .symbol:         _ZN7rocprim17ROCPRIM_400000_NS6detail17trampoline_kernelINS0_13kernel_configILj256ELj4ELj4294967295EEENS1_37radix_sort_block_sort_config_selectorIalEEZNS1_21radix_sort_block_sortIS4_Lb0EPaS8_N6thrust23THRUST_200600_302600_NS10device_ptrIlEESC_NS0_19identity_decomposerEEE10hipError_tT1_T2_T3_T4_jRjT5_jjP12ihipStream_tbEUlT_E_NS1_11comp_targetILNS1_3genE3ELNS1_11target_archE908ELNS1_3gpuE7ELNS1_3repE0EEENS1_44radix_sort_block_sort_config_static_selectorELNS0_4arch9wavefront6targetE1EEEvSF_.kd
    .uniform_work_group_size: 1
    .uses_dynamic_stack: false
    .vgpr_count:     0
    .vgpr_spill_count: 0
    .wavefront_size: 64
  - .args:
      - .offset:         0
        .size:           48
        .value_kind:     by_value
      - .offset:         48
        .size:           4
        .value_kind:     hidden_block_count_x
      - .offset:         52
        .size:           4
        .value_kind:     hidden_block_count_y
      - .offset:         56
        .size:           4
        .value_kind:     hidden_block_count_z
      - .offset:         60
        .size:           2
        .value_kind:     hidden_group_size_x
      - .offset:         62
        .size:           2
        .value_kind:     hidden_group_size_y
      - .offset:         64
        .size:           2
        .value_kind:     hidden_group_size_z
      - .offset:         66
        .size:           2
        .value_kind:     hidden_remainder_x
      - .offset:         68
        .size:           2
        .value_kind:     hidden_remainder_y
      - .offset:         70
        .size:           2
        .value_kind:     hidden_remainder_z
      - .offset:         88
        .size:           8
        .value_kind:     hidden_global_offset_x
      - .offset:         96
        .size:           8
        .value_kind:     hidden_global_offset_y
      - .offset:         104
        .size:           8
        .value_kind:     hidden_global_offset_z
      - .offset:         112
        .size:           2
        .value_kind:     hidden_grid_dims
    .group_segment_fixed_size: 8192
    .kernarg_segment_align: 8
    .kernarg_segment_size: 304
    .language:       OpenCL C
    .language_version:
      - 2
      - 0
    .max_flat_workgroup_size: 256
    .name:           _ZN7rocprim17ROCPRIM_400000_NS6detail17trampoline_kernelINS0_13kernel_configILj256ELj4ELj4294967295EEENS1_37radix_sort_block_sort_config_selectorIalEEZNS1_21radix_sort_block_sortIS4_Lb0EPaS8_N6thrust23THRUST_200600_302600_NS10device_ptrIlEESC_NS0_19identity_decomposerEEE10hipError_tT1_T2_T3_T4_jRjT5_jjP12ihipStream_tbEUlT_E_NS1_11comp_targetILNS1_3genE2ELNS1_11target_archE906ELNS1_3gpuE6ELNS1_3repE0EEENS1_44radix_sort_block_sort_config_static_selectorELNS0_4arch9wavefront6targetE1EEEvSF_
    .private_segment_fixed_size: 0
    .sgpr_count:     50
    .sgpr_spill_count: 0
    .symbol:         _ZN7rocprim17ROCPRIM_400000_NS6detail17trampoline_kernelINS0_13kernel_configILj256ELj4ELj4294967295EEENS1_37radix_sort_block_sort_config_selectorIalEEZNS1_21radix_sort_block_sortIS4_Lb0EPaS8_N6thrust23THRUST_200600_302600_NS10device_ptrIlEESC_NS0_19identity_decomposerEEE10hipError_tT1_T2_T3_T4_jRjT5_jjP12ihipStream_tbEUlT_E_NS1_11comp_targetILNS1_3genE2ELNS1_11target_archE906ELNS1_3gpuE6ELNS1_3repE0EEENS1_44radix_sort_block_sort_config_static_selectorELNS0_4arch9wavefront6targetE1EEEvSF_.kd
    .uniform_work_group_size: 1
    .uses_dynamic_stack: false
    .vgpr_count:     45
    .vgpr_spill_count: 0
    .wavefront_size: 64
  - .args:
      - .offset:         0
        .size:           48
        .value_kind:     by_value
    .group_segment_fixed_size: 0
    .kernarg_segment_align: 8
    .kernarg_segment_size: 48
    .language:       OpenCL C
    .language_version:
      - 2
      - 0
    .max_flat_workgroup_size: 256
    .name:           _ZN7rocprim17ROCPRIM_400000_NS6detail17trampoline_kernelINS0_13kernel_configILj256ELj4ELj4294967295EEENS1_37radix_sort_block_sort_config_selectorIalEEZNS1_21radix_sort_block_sortIS4_Lb0EPaS8_N6thrust23THRUST_200600_302600_NS10device_ptrIlEESC_NS0_19identity_decomposerEEE10hipError_tT1_T2_T3_T4_jRjT5_jjP12ihipStream_tbEUlT_E_NS1_11comp_targetILNS1_3genE10ELNS1_11target_archE1201ELNS1_3gpuE5ELNS1_3repE0EEENS1_44radix_sort_block_sort_config_static_selectorELNS0_4arch9wavefront6targetE1EEEvSF_
    .private_segment_fixed_size: 0
    .sgpr_count:     4
    .sgpr_spill_count: 0
    .symbol:         _ZN7rocprim17ROCPRIM_400000_NS6detail17trampoline_kernelINS0_13kernel_configILj256ELj4ELj4294967295EEENS1_37radix_sort_block_sort_config_selectorIalEEZNS1_21radix_sort_block_sortIS4_Lb0EPaS8_N6thrust23THRUST_200600_302600_NS10device_ptrIlEESC_NS0_19identity_decomposerEEE10hipError_tT1_T2_T3_T4_jRjT5_jjP12ihipStream_tbEUlT_E_NS1_11comp_targetILNS1_3genE10ELNS1_11target_archE1201ELNS1_3gpuE5ELNS1_3repE0EEENS1_44radix_sort_block_sort_config_static_selectorELNS0_4arch9wavefront6targetE1EEEvSF_.kd
    .uniform_work_group_size: 1
    .uses_dynamic_stack: false
    .vgpr_count:     0
    .vgpr_spill_count: 0
    .wavefront_size: 64
  - .args:
      - .offset:         0
        .size:           48
        .value_kind:     by_value
    .group_segment_fixed_size: 0
    .kernarg_segment_align: 8
    .kernarg_segment_size: 48
    .language:       OpenCL C
    .language_version:
      - 2
      - 0
    .max_flat_workgroup_size: 256
    .name:           _ZN7rocprim17ROCPRIM_400000_NS6detail17trampoline_kernelINS0_13kernel_configILj256ELj4ELj4294967295EEENS1_37radix_sort_block_sort_config_selectorIalEEZNS1_21radix_sort_block_sortIS4_Lb0EPaS8_N6thrust23THRUST_200600_302600_NS10device_ptrIlEESC_NS0_19identity_decomposerEEE10hipError_tT1_T2_T3_T4_jRjT5_jjP12ihipStream_tbEUlT_E_NS1_11comp_targetILNS1_3genE10ELNS1_11target_archE1200ELNS1_3gpuE4ELNS1_3repE0EEENS1_44radix_sort_block_sort_config_static_selectorELNS0_4arch9wavefront6targetE1EEEvSF_
    .private_segment_fixed_size: 0
    .sgpr_count:     4
    .sgpr_spill_count: 0
    .symbol:         _ZN7rocprim17ROCPRIM_400000_NS6detail17trampoline_kernelINS0_13kernel_configILj256ELj4ELj4294967295EEENS1_37radix_sort_block_sort_config_selectorIalEEZNS1_21radix_sort_block_sortIS4_Lb0EPaS8_N6thrust23THRUST_200600_302600_NS10device_ptrIlEESC_NS0_19identity_decomposerEEE10hipError_tT1_T2_T3_T4_jRjT5_jjP12ihipStream_tbEUlT_E_NS1_11comp_targetILNS1_3genE10ELNS1_11target_archE1200ELNS1_3gpuE4ELNS1_3repE0EEENS1_44radix_sort_block_sort_config_static_selectorELNS0_4arch9wavefront6targetE1EEEvSF_.kd
    .uniform_work_group_size: 1
    .uses_dynamic_stack: false
    .vgpr_count:     0
    .vgpr_spill_count: 0
    .wavefront_size: 64
  - .args:
      - .offset:         0
        .size:           48
        .value_kind:     by_value
    .group_segment_fixed_size: 0
    .kernarg_segment_align: 8
    .kernarg_segment_size: 48
    .language:       OpenCL C
    .language_version:
      - 2
      - 0
    .max_flat_workgroup_size: 256
    .name:           _ZN7rocprim17ROCPRIM_400000_NS6detail17trampoline_kernelINS0_13kernel_configILj256ELj4ELj4294967295EEENS1_37radix_sort_block_sort_config_selectorIalEEZNS1_21radix_sort_block_sortIS4_Lb0EPaS8_N6thrust23THRUST_200600_302600_NS10device_ptrIlEESC_NS0_19identity_decomposerEEE10hipError_tT1_T2_T3_T4_jRjT5_jjP12ihipStream_tbEUlT_E_NS1_11comp_targetILNS1_3genE9ELNS1_11target_archE1100ELNS1_3gpuE3ELNS1_3repE0EEENS1_44radix_sort_block_sort_config_static_selectorELNS0_4arch9wavefront6targetE1EEEvSF_
    .private_segment_fixed_size: 0
    .sgpr_count:     4
    .sgpr_spill_count: 0
    .symbol:         _ZN7rocprim17ROCPRIM_400000_NS6detail17trampoline_kernelINS0_13kernel_configILj256ELj4ELj4294967295EEENS1_37radix_sort_block_sort_config_selectorIalEEZNS1_21radix_sort_block_sortIS4_Lb0EPaS8_N6thrust23THRUST_200600_302600_NS10device_ptrIlEESC_NS0_19identity_decomposerEEE10hipError_tT1_T2_T3_T4_jRjT5_jjP12ihipStream_tbEUlT_E_NS1_11comp_targetILNS1_3genE9ELNS1_11target_archE1100ELNS1_3gpuE3ELNS1_3repE0EEENS1_44radix_sort_block_sort_config_static_selectorELNS0_4arch9wavefront6targetE1EEEvSF_.kd
    .uniform_work_group_size: 1
    .uses_dynamic_stack: false
    .vgpr_count:     0
    .vgpr_spill_count: 0
    .wavefront_size: 64
  - .args:
      - .offset:         0
        .size:           48
        .value_kind:     by_value
    .group_segment_fixed_size: 0
    .kernarg_segment_align: 8
    .kernarg_segment_size: 48
    .language:       OpenCL C
    .language_version:
      - 2
      - 0
    .max_flat_workgroup_size: 256
    .name:           _ZN7rocprim17ROCPRIM_400000_NS6detail17trampoline_kernelINS0_13kernel_configILj256ELj4ELj4294967295EEENS1_37radix_sort_block_sort_config_selectorIalEEZNS1_21radix_sort_block_sortIS4_Lb0EPaS8_N6thrust23THRUST_200600_302600_NS10device_ptrIlEESC_NS0_19identity_decomposerEEE10hipError_tT1_T2_T3_T4_jRjT5_jjP12ihipStream_tbEUlT_E_NS1_11comp_targetILNS1_3genE8ELNS1_11target_archE1030ELNS1_3gpuE2ELNS1_3repE0EEENS1_44radix_sort_block_sort_config_static_selectorELNS0_4arch9wavefront6targetE1EEEvSF_
    .private_segment_fixed_size: 0
    .sgpr_count:     4
    .sgpr_spill_count: 0
    .symbol:         _ZN7rocprim17ROCPRIM_400000_NS6detail17trampoline_kernelINS0_13kernel_configILj256ELj4ELj4294967295EEENS1_37radix_sort_block_sort_config_selectorIalEEZNS1_21radix_sort_block_sortIS4_Lb0EPaS8_N6thrust23THRUST_200600_302600_NS10device_ptrIlEESC_NS0_19identity_decomposerEEE10hipError_tT1_T2_T3_T4_jRjT5_jjP12ihipStream_tbEUlT_E_NS1_11comp_targetILNS1_3genE8ELNS1_11target_archE1030ELNS1_3gpuE2ELNS1_3repE0EEENS1_44radix_sort_block_sort_config_static_selectorELNS0_4arch9wavefront6targetE1EEEvSF_.kd
    .uniform_work_group_size: 1
    .uses_dynamic_stack: false
    .vgpr_count:     0
    .vgpr_spill_count: 0
    .wavefront_size: 64
  - .args:           []
    .group_segment_fixed_size: 0
    .kernarg_segment_align: 4
    .kernarg_segment_size: 0
    .language:       OpenCL C
    .language_version:
      - 2
      - 0
    .max_flat_workgroup_size: 1024
    .name:           _ZN7rocprim17ROCPRIM_400000_NS6detail44device_merge_sort_compile_time_verifier_archINS1_11comp_targetILNS1_3genE0ELNS1_11target_archE4294967295ELNS1_3gpuE0ELNS1_3repE0EEES8_NS1_28merge_sort_block_sort_configILj256ELj4ELNS0_20block_sort_algorithmE0EEENS0_14default_configENS1_37merge_sort_block_sort_config_selectorIalEENS1_38merge_sort_block_merge_config_selectorIalEEEEvv
    .private_segment_fixed_size: 0
    .sgpr_count:     4
    .sgpr_spill_count: 0
    .symbol:         _ZN7rocprim17ROCPRIM_400000_NS6detail44device_merge_sort_compile_time_verifier_archINS1_11comp_targetILNS1_3genE0ELNS1_11target_archE4294967295ELNS1_3gpuE0ELNS1_3repE0EEES8_NS1_28merge_sort_block_sort_configILj256ELj4ELNS0_20block_sort_algorithmE0EEENS0_14default_configENS1_37merge_sort_block_sort_config_selectorIalEENS1_38merge_sort_block_merge_config_selectorIalEEEEvv.kd
    .uniform_work_group_size: 1
    .uses_dynamic_stack: false
    .vgpr_count:     0
    .vgpr_spill_count: 0
    .wavefront_size: 64
  - .args:           []
    .group_segment_fixed_size: 0
    .kernarg_segment_align: 4
    .kernarg_segment_size: 0
    .language:       OpenCL C
    .language_version:
      - 2
      - 0
    .max_flat_workgroup_size: 1024
    .name:           _ZN7rocprim17ROCPRIM_400000_NS6detail44device_merge_sort_compile_time_verifier_archINS1_11comp_targetILNS1_3genE5ELNS1_11target_archE942ELNS1_3gpuE9ELNS1_3repE0EEES8_NS1_28merge_sort_block_sort_configILj256ELj4ELNS0_20block_sort_algorithmE0EEENS0_14default_configENS1_37merge_sort_block_sort_config_selectorIalEENS1_38merge_sort_block_merge_config_selectorIalEEEEvv
    .private_segment_fixed_size: 0
    .sgpr_count:     4
    .sgpr_spill_count: 0
    .symbol:         _ZN7rocprim17ROCPRIM_400000_NS6detail44device_merge_sort_compile_time_verifier_archINS1_11comp_targetILNS1_3genE5ELNS1_11target_archE942ELNS1_3gpuE9ELNS1_3repE0EEES8_NS1_28merge_sort_block_sort_configILj256ELj4ELNS0_20block_sort_algorithmE0EEENS0_14default_configENS1_37merge_sort_block_sort_config_selectorIalEENS1_38merge_sort_block_merge_config_selectorIalEEEEvv.kd
    .uniform_work_group_size: 1
    .uses_dynamic_stack: false
    .vgpr_count:     0
    .vgpr_spill_count: 0
    .wavefront_size: 64
  - .args:           []
    .group_segment_fixed_size: 0
    .kernarg_segment_align: 4
    .kernarg_segment_size: 0
    .language:       OpenCL C
    .language_version:
      - 2
      - 0
    .max_flat_workgroup_size: 1024
    .name:           _ZN7rocprim17ROCPRIM_400000_NS6detail44device_merge_sort_compile_time_verifier_archINS1_11comp_targetILNS1_3genE4ELNS1_11target_archE910ELNS1_3gpuE8ELNS1_3repE0EEES8_NS1_28merge_sort_block_sort_configILj256ELj4ELNS0_20block_sort_algorithmE0EEENS0_14default_configENS1_37merge_sort_block_sort_config_selectorIalEENS1_38merge_sort_block_merge_config_selectorIalEEEEvv
    .private_segment_fixed_size: 0
    .sgpr_count:     4
    .sgpr_spill_count: 0
    .symbol:         _ZN7rocprim17ROCPRIM_400000_NS6detail44device_merge_sort_compile_time_verifier_archINS1_11comp_targetILNS1_3genE4ELNS1_11target_archE910ELNS1_3gpuE8ELNS1_3repE0EEES8_NS1_28merge_sort_block_sort_configILj256ELj4ELNS0_20block_sort_algorithmE0EEENS0_14default_configENS1_37merge_sort_block_sort_config_selectorIalEENS1_38merge_sort_block_merge_config_selectorIalEEEEvv.kd
    .uniform_work_group_size: 1
    .uses_dynamic_stack: false
    .vgpr_count:     0
    .vgpr_spill_count: 0
    .wavefront_size: 64
  - .args:           []
    .group_segment_fixed_size: 0
    .kernarg_segment_align: 4
    .kernarg_segment_size: 0
    .language:       OpenCL C
    .language_version:
      - 2
      - 0
    .max_flat_workgroup_size: 1024
    .name:           _ZN7rocprim17ROCPRIM_400000_NS6detail44device_merge_sort_compile_time_verifier_archINS1_11comp_targetILNS1_3genE3ELNS1_11target_archE908ELNS1_3gpuE7ELNS1_3repE0EEES8_NS1_28merge_sort_block_sort_configILj256ELj4ELNS0_20block_sort_algorithmE0EEENS0_14default_configENS1_37merge_sort_block_sort_config_selectorIalEENS1_38merge_sort_block_merge_config_selectorIalEEEEvv
    .private_segment_fixed_size: 0
    .sgpr_count:     4
    .sgpr_spill_count: 0
    .symbol:         _ZN7rocprim17ROCPRIM_400000_NS6detail44device_merge_sort_compile_time_verifier_archINS1_11comp_targetILNS1_3genE3ELNS1_11target_archE908ELNS1_3gpuE7ELNS1_3repE0EEES8_NS1_28merge_sort_block_sort_configILj256ELj4ELNS0_20block_sort_algorithmE0EEENS0_14default_configENS1_37merge_sort_block_sort_config_selectorIalEENS1_38merge_sort_block_merge_config_selectorIalEEEEvv.kd
    .uniform_work_group_size: 1
    .uses_dynamic_stack: false
    .vgpr_count:     0
    .vgpr_spill_count: 0
    .wavefront_size: 64
  - .args:           []
    .group_segment_fixed_size: 0
    .kernarg_segment_align: 4
    .kernarg_segment_size: 0
    .language:       OpenCL C
    .language_version:
      - 2
      - 0
    .max_flat_workgroup_size: 1024
    .name:           _ZN7rocprim17ROCPRIM_400000_NS6detail44device_merge_sort_compile_time_verifier_archINS1_11comp_targetILNS1_3genE2ELNS1_11target_archE906ELNS1_3gpuE6ELNS1_3repE0EEES8_NS1_28merge_sort_block_sort_configILj256ELj4ELNS0_20block_sort_algorithmE0EEENS0_14default_configENS1_37merge_sort_block_sort_config_selectorIalEENS1_38merge_sort_block_merge_config_selectorIalEEEEvv
    .private_segment_fixed_size: 0
    .sgpr_count:     4
    .sgpr_spill_count: 0
    .symbol:         _ZN7rocprim17ROCPRIM_400000_NS6detail44device_merge_sort_compile_time_verifier_archINS1_11comp_targetILNS1_3genE2ELNS1_11target_archE906ELNS1_3gpuE6ELNS1_3repE0EEES8_NS1_28merge_sort_block_sort_configILj256ELj4ELNS0_20block_sort_algorithmE0EEENS0_14default_configENS1_37merge_sort_block_sort_config_selectorIalEENS1_38merge_sort_block_merge_config_selectorIalEEEEvv.kd
    .uniform_work_group_size: 1
    .uses_dynamic_stack: false
    .vgpr_count:     0
    .vgpr_spill_count: 0
    .wavefront_size: 64
  - .args:           []
    .group_segment_fixed_size: 0
    .kernarg_segment_align: 4
    .kernarg_segment_size: 0
    .language:       OpenCL C
    .language_version:
      - 2
      - 0
    .max_flat_workgroup_size: 1024
    .name:           _ZN7rocprim17ROCPRIM_400000_NS6detail44device_merge_sort_compile_time_verifier_archINS1_11comp_targetILNS1_3genE10ELNS1_11target_archE1201ELNS1_3gpuE5ELNS1_3repE0EEES8_NS1_28merge_sort_block_sort_configILj256ELj4ELNS0_20block_sort_algorithmE0EEENS0_14default_configENS1_37merge_sort_block_sort_config_selectorIalEENS1_38merge_sort_block_merge_config_selectorIalEEEEvv
    .private_segment_fixed_size: 0
    .sgpr_count:     4
    .sgpr_spill_count: 0
    .symbol:         _ZN7rocprim17ROCPRIM_400000_NS6detail44device_merge_sort_compile_time_verifier_archINS1_11comp_targetILNS1_3genE10ELNS1_11target_archE1201ELNS1_3gpuE5ELNS1_3repE0EEES8_NS1_28merge_sort_block_sort_configILj256ELj4ELNS0_20block_sort_algorithmE0EEENS0_14default_configENS1_37merge_sort_block_sort_config_selectorIalEENS1_38merge_sort_block_merge_config_selectorIalEEEEvv.kd
    .uniform_work_group_size: 1
    .uses_dynamic_stack: false
    .vgpr_count:     0
    .vgpr_spill_count: 0
    .wavefront_size: 64
  - .args:           []
    .group_segment_fixed_size: 0
    .kernarg_segment_align: 4
    .kernarg_segment_size: 0
    .language:       OpenCL C
    .language_version:
      - 2
      - 0
    .max_flat_workgroup_size: 1024
    .name:           _ZN7rocprim17ROCPRIM_400000_NS6detail44device_merge_sort_compile_time_verifier_archINS1_11comp_targetILNS1_3genE10ELNS1_11target_archE1200ELNS1_3gpuE4ELNS1_3repE0EEENS3_ILS4_10ELS5_1201ELS6_5ELS7_0EEENS1_28merge_sort_block_sort_configILj256ELj4ELNS0_20block_sort_algorithmE0EEENS0_14default_configENS1_37merge_sort_block_sort_config_selectorIalEENS1_38merge_sort_block_merge_config_selectorIalEEEEvv
    .private_segment_fixed_size: 0
    .sgpr_count:     4
    .sgpr_spill_count: 0
    .symbol:         _ZN7rocprim17ROCPRIM_400000_NS6detail44device_merge_sort_compile_time_verifier_archINS1_11comp_targetILNS1_3genE10ELNS1_11target_archE1200ELNS1_3gpuE4ELNS1_3repE0EEENS3_ILS4_10ELS5_1201ELS6_5ELS7_0EEENS1_28merge_sort_block_sort_configILj256ELj4ELNS0_20block_sort_algorithmE0EEENS0_14default_configENS1_37merge_sort_block_sort_config_selectorIalEENS1_38merge_sort_block_merge_config_selectorIalEEEEvv.kd
    .uniform_work_group_size: 1
    .uses_dynamic_stack: false
    .vgpr_count:     0
    .vgpr_spill_count: 0
    .wavefront_size: 64
  - .args:           []
    .group_segment_fixed_size: 0
    .kernarg_segment_align: 4
    .kernarg_segment_size: 0
    .language:       OpenCL C
    .language_version:
      - 2
      - 0
    .max_flat_workgroup_size: 1024
    .name:           _ZN7rocprim17ROCPRIM_400000_NS6detail44device_merge_sort_compile_time_verifier_archINS1_11comp_targetILNS1_3genE9ELNS1_11target_archE1100ELNS1_3gpuE3ELNS1_3repE0EEES8_NS1_28merge_sort_block_sort_configILj256ELj4ELNS0_20block_sort_algorithmE0EEENS0_14default_configENS1_37merge_sort_block_sort_config_selectorIalEENS1_38merge_sort_block_merge_config_selectorIalEEEEvv
    .private_segment_fixed_size: 0
    .sgpr_count:     4
    .sgpr_spill_count: 0
    .symbol:         _ZN7rocprim17ROCPRIM_400000_NS6detail44device_merge_sort_compile_time_verifier_archINS1_11comp_targetILNS1_3genE9ELNS1_11target_archE1100ELNS1_3gpuE3ELNS1_3repE0EEES8_NS1_28merge_sort_block_sort_configILj256ELj4ELNS0_20block_sort_algorithmE0EEENS0_14default_configENS1_37merge_sort_block_sort_config_selectorIalEENS1_38merge_sort_block_merge_config_selectorIalEEEEvv.kd
    .uniform_work_group_size: 1
    .uses_dynamic_stack: false
    .vgpr_count:     0
    .vgpr_spill_count: 0
    .wavefront_size: 64
  - .args:           []
    .group_segment_fixed_size: 0
    .kernarg_segment_align: 4
    .kernarg_segment_size: 0
    .language:       OpenCL C
    .language_version:
      - 2
      - 0
    .max_flat_workgroup_size: 1024
    .name:           _ZN7rocprim17ROCPRIM_400000_NS6detail44device_merge_sort_compile_time_verifier_archINS1_11comp_targetILNS1_3genE8ELNS1_11target_archE1030ELNS1_3gpuE2ELNS1_3repE0EEES8_NS1_28merge_sort_block_sort_configILj256ELj4ELNS0_20block_sort_algorithmE0EEENS0_14default_configENS1_37merge_sort_block_sort_config_selectorIalEENS1_38merge_sort_block_merge_config_selectorIalEEEEvv
    .private_segment_fixed_size: 0
    .sgpr_count:     4
    .sgpr_spill_count: 0
    .symbol:         _ZN7rocprim17ROCPRIM_400000_NS6detail44device_merge_sort_compile_time_verifier_archINS1_11comp_targetILNS1_3genE8ELNS1_11target_archE1030ELNS1_3gpuE2ELNS1_3repE0EEES8_NS1_28merge_sort_block_sort_configILj256ELj4ELNS0_20block_sort_algorithmE0EEENS0_14default_configENS1_37merge_sort_block_sort_config_selectorIalEENS1_38merge_sort_block_merge_config_selectorIalEEEEvv.kd
    .uniform_work_group_size: 1
    .uses_dynamic_stack: false
    .vgpr_count:     0
    .vgpr_spill_count: 0
    .wavefront_size: 64
  - .args:
      - .offset:         0
        .size:           40
        .value_kind:     by_value
    .group_segment_fixed_size: 0
    .kernarg_segment_align: 8
    .kernarg_segment_size: 40
    .language:       OpenCL C
    .language_version:
      - 2
      - 0
    .max_flat_workgroup_size: 128
    .name:           _ZN7rocprim17ROCPRIM_400000_NS6detail17trampoline_kernelINS0_14default_configENS1_38merge_sort_block_merge_config_selectorIalEEZZNS1_27merge_sort_block_merge_implIS3_PaN6thrust23THRUST_200600_302600_NS10device_ptrIlEEjNS1_19radix_merge_compareILb0ELb0EaNS0_19identity_decomposerEEEEE10hipError_tT0_T1_T2_jT3_P12ihipStream_tbPNSt15iterator_traitsISG_E10value_typeEPNSM_ISH_E10value_typeEPSI_NS1_7vsmem_tEENKUlT_SG_SH_SI_E_clIS7_S7_PlSB_EESF_SV_SG_SH_SI_EUlSV_E_NS1_11comp_targetILNS1_3genE0ELNS1_11target_archE4294967295ELNS1_3gpuE0ELNS1_3repE0EEENS1_48merge_mergepath_partition_config_static_selectorELNS0_4arch9wavefront6targetE1EEEvSH_
    .private_segment_fixed_size: 0
    .sgpr_count:     4
    .sgpr_spill_count: 0
    .symbol:         _ZN7rocprim17ROCPRIM_400000_NS6detail17trampoline_kernelINS0_14default_configENS1_38merge_sort_block_merge_config_selectorIalEEZZNS1_27merge_sort_block_merge_implIS3_PaN6thrust23THRUST_200600_302600_NS10device_ptrIlEEjNS1_19radix_merge_compareILb0ELb0EaNS0_19identity_decomposerEEEEE10hipError_tT0_T1_T2_jT3_P12ihipStream_tbPNSt15iterator_traitsISG_E10value_typeEPNSM_ISH_E10value_typeEPSI_NS1_7vsmem_tEENKUlT_SG_SH_SI_E_clIS7_S7_PlSB_EESF_SV_SG_SH_SI_EUlSV_E_NS1_11comp_targetILNS1_3genE0ELNS1_11target_archE4294967295ELNS1_3gpuE0ELNS1_3repE0EEENS1_48merge_mergepath_partition_config_static_selectorELNS0_4arch9wavefront6targetE1EEEvSH_.kd
    .uniform_work_group_size: 1
    .uses_dynamic_stack: false
    .vgpr_count:     0
    .vgpr_spill_count: 0
    .wavefront_size: 64
  - .args:
      - .offset:         0
        .size:           40
        .value_kind:     by_value
    .group_segment_fixed_size: 0
    .kernarg_segment_align: 8
    .kernarg_segment_size: 40
    .language:       OpenCL C
    .language_version:
      - 2
      - 0
    .max_flat_workgroup_size: 128
    .name:           _ZN7rocprim17ROCPRIM_400000_NS6detail17trampoline_kernelINS0_14default_configENS1_38merge_sort_block_merge_config_selectorIalEEZZNS1_27merge_sort_block_merge_implIS3_PaN6thrust23THRUST_200600_302600_NS10device_ptrIlEEjNS1_19radix_merge_compareILb0ELb0EaNS0_19identity_decomposerEEEEE10hipError_tT0_T1_T2_jT3_P12ihipStream_tbPNSt15iterator_traitsISG_E10value_typeEPNSM_ISH_E10value_typeEPSI_NS1_7vsmem_tEENKUlT_SG_SH_SI_E_clIS7_S7_PlSB_EESF_SV_SG_SH_SI_EUlSV_E_NS1_11comp_targetILNS1_3genE10ELNS1_11target_archE1201ELNS1_3gpuE5ELNS1_3repE0EEENS1_48merge_mergepath_partition_config_static_selectorELNS0_4arch9wavefront6targetE1EEEvSH_
    .private_segment_fixed_size: 0
    .sgpr_count:     4
    .sgpr_spill_count: 0
    .symbol:         _ZN7rocprim17ROCPRIM_400000_NS6detail17trampoline_kernelINS0_14default_configENS1_38merge_sort_block_merge_config_selectorIalEEZZNS1_27merge_sort_block_merge_implIS3_PaN6thrust23THRUST_200600_302600_NS10device_ptrIlEEjNS1_19radix_merge_compareILb0ELb0EaNS0_19identity_decomposerEEEEE10hipError_tT0_T1_T2_jT3_P12ihipStream_tbPNSt15iterator_traitsISG_E10value_typeEPNSM_ISH_E10value_typeEPSI_NS1_7vsmem_tEENKUlT_SG_SH_SI_E_clIS7_S7_PlSB_EESF_SV_SG_SH_SI_EUlSV_E_NS1_11comp_targetILNS1_3genE10ELNS1_11target_archE1201ELNS1_3gpuE5ELNS1_3repE0EEENS1_48merge_mergepath_partition_config_static_selectorELNS0_4arch9wavefront6targetE1EEEvSH_.kd
    .uniform_work_group_size: 1
    .uses_dynamic_stack: false
    .vgpr_count:     0
    .vgpr_spill_count: 0
    .wavefront_size: 64
  - .args:
      - .offset:         0
        .size:           40
        .value_kind:     by_value
    .group_segment_fixed_size: 0
    .kernarg_segment_align: 8
    .kernarg_segment_size: 40
    .language:       OpenCL C
    .language_version:
      - 2
      - 0
    .max_flat_workgroup_size: 128
    .name:           _ZN7rocprim17ROCPRIM_400000_NS6detail17trampoline_kernelINS0_14default_configENS1_38merge_sort_block_merge_config_selectorIalEEZZNS1_27merge_sort_block_merge_implIS3_PaN6thrust23THRUST_200600_302600_NS10device_ptrIlEEjNS1_19radix_merge_compareILb0ELb0EaNS0_19identity_decomposerEEEEE10hipError_tT0_T1_T2_jT3_P12ihipStream_tbPNSt15iterator_traitsISG_E10value_typeEPNSM_ISH_E10value_typeEPSI_NS1_7vsmem_tEENKUlT_SG_SH_SI_E_clIS7_S7_PlSB_EESF_SV_SG_SH_SI_EUlSV_E_NS1_11comp_targetILNS1_3genE5ELNS1_11target_archE942ELNS1_3gpuE9ELNS1_3repE0EEENS1_48merge_mergepath_partition_config_static_selectorELNS0_4arch9wavefront6targetE1EEEvSH_
    .private_segment_fixed_size: 0
    .sgpr_count:     4
    .sgpr_spill_count: 0
    .symbol:         _ZN7rocprim17ROCPRIM_400000_NS6detail17trampoline_kernelINS0_14default_configENS1_38merge_sort_block_merge_config_selectorIalEEZZNS1_27merge_sort_block_merge_implIS3_PaN6thrust23THRUST_200600_302600_NS10device_ptrIlEEjNS1_19radix_merge_compareILb0ELb0EaNS0_19identity_decomposerEEEEE10hipError_tT0_T1_T2_jT3_P12ihipStream_tbPNSt15iterator_traitsISG_E10value_typeEPNSM_ISH_E10value_typeEPSI_NS1_7vsmem_tEENKUlT_SG_SH_SI_E_clIS7_S7_PlSB_EESF_SV_SG_SH_SI_EUlSV_E_NS1_11comp_targetILNS1_3genE5ELNS1_11target_archE942ELNS1_3gpuE9ELNS1_3repE0EEENS1_48merge_mergepath_partition_config_static_selectorELNS0_4arch9wavefront6targetE1EEEvSH_.kd
    .uniform_work_group_size: 1
    .uses_dynamic_stack: false
    .vgpr_count:     0
    .vgpr_spill_count: 0
    .wavefront_size: 64
  - .args:
      - .offset:         0
        .size:           40
        .value_kind:     by_value
    .group_segment_fixed_size: 0
    .kernarg_segment_align: 8
    .kernarg_segment_size: 40
    .language:       OpenCL C
    .language_version:
      - 2
      - 0
    .max_flat_workgroup_size: 128
    .name:           _ZN7rocprim17ROCPRIM_400000_NS6detail17trampoline_kernelINS0_14default_configENS1_38merge_sort_block_merge_config_selectorIalEEZZNS1_27merge_sort_block_merge_implIS3_PaN6thrust23THRUST_200600_302600_NS10device_ptrIlEEjNS1_19radix_merge_compareILb0ELb0EaNS0_19identity_decomposerEEEEE10hipError_tT0_T1_T2_jT3_P12ihipStream_tbPNSt15iterator_traitsISG_E10value_typeEPNSM_ISH_E10value_typeEPSI_NS1_7vsmem_tEENKUlT_SG_SH_SI_E_clIS7_S7_PlSB_EESF_SV_SG_SH_SI_EUlSV_E_NS1_11comp_targetILNS1_3genE4ELNS1_11target_archE910ELNS1_3gpuE8ELNS1_3repE0EEENS1_48merge_mergepath_partition_config_static_selectorELNS0_4arch9wavefront6targetE1EEEvSH_
    .private_segment_fixed_size: 0
    .sgpr_count:     4
    .sgpr_spill_count: 0
    .symbol:         _ZN7rocprim17ROCPRIM_400000_NS6detail17trampoline_kernelINS0_14default_configENS1_38merge_sort_block_merge_config_selectorIalEEZZNS1_27merge_sort_block_merge_implIS3_PaN6thrust23THRUST_200600_302600_NS10device_ptrIlEEjNS1_19radix_merge_compareILb0ELb0EaNS0_19identity_decomposerEEEEE10hipError_tT0_T1_T2_jT3_P12ihipStream_tbPNSt15iterator_traitsISG_E10value_typeEPNSM_ISH_E10value_typeEPSI_NS1_7vsmem_tEENKUlT_SG_SH_SI_E_clIS7_S7_PlSB_EESF_SV_SG_SH_SI_EUlSV_E_NS1_11comp_targetILNS1_3genE4ELNS1_11target_archE910ELNS1_3gpuE8ELNS1_3repE0EEENS1_48merge_mergepath_partition_config_static_selectorELNS0_4arch9wavefront6targetE1EEEvSH_.kd
    .uniform_work_group_size: 1
    .uses_dynamic_stack: false
    .vgpr_count:     0
    .vgpr_spill_count: 0
    .wavefront_size: 64
  - .args:
      - .offset:         0
        .size:           40
        .value_kind:     by_value
    .group_segment_fixed_size: 0
    .kernarg_segment_align: 8
    .kernarg_segment_size: 40
    .language:       OpenCL C
    .language_version:
      - 2
      - 0
    .max_flat_workgroup_size: 128
    .name:           _ZN7rocprim17ROCPRIM_400000_NS6detail17trampoline_kernelINS0_14default_configENS1_38merge_sort_block_merge_config_selectorIalEEZZNS1_27merge_sort_block_merge_implIS3_PaN6thrust23THRUST_200600_302600_NS10device_ptrIlEEjNS1_19radix_merge_compareILb0ELb0EaNS0_19identity_decomposerEEEEE10hipError_tT0_T1_T2_jT3_P12ihipStream_tbPNSt15iterator_traitsISG_E10value_typeEPNSM_ISH_E10value_typeEPSI_NS1_7vsmem_tEENKUlT_SG_SH_SI_E_clIS7_S7_PlSB_EESF_SV_SG_SH_SI_EUlSV_E_NS1_11comp_targetILNS1_3genE3ELNS1_11target_archE908ELNS1_3gpuE7ELNS1_3repE0EEENS1_48merge_mergepath_partition_config_static_selectorELNS0_4arch9wavefront6targetE1EEEvSH_
    .private_segment_fixed_size: 0
    .sgpr_count:     4
    .sgpr_spill_count: 0
    .symbol:         _ZN7rocprim17ROCPRIM_400000_NS6detail17trampoline_kernelINS0_14default_configENS1_38merge_sort_block_merge_config_selectorIalEEZZNS1_27merge_sort_block_merge_implIS3_PaN6thrust23THRUST_200600_302600_NS10device_ptrIlEEjNS1_19radix_merge_compareILb0ELb0EaNS0_19identity_decomposerEEEEE10hipError_tT0_T1_T2_jT3_P12ihipStream_tbPNSt15iterator_traitsISG_E10value_typeEPNSM_ISH_E10value_typeEPSI_NS1_7vsmem_tEENKUlT_SG_SH_SI_E_clIS7_S7_PlSB_EESF_SV_SG_SH_SI_EUlSV_E_NS1_11comp_targetILNS1_3genE3ELNS1_11target_archE908ELNS1_3gpuE7ELNS1_3repE0EEENS1_48merge_mergepath_partition_config_static_selectorELNS0_4arch9wavefront6targetE1EEEvSH_.kd
    .uniform_work_group_size: 1
    .uses_dynamic_stack: false
    .vgpr_count:     0
    .vgpr_spill_count: 0
    .wavefront_size: 64
  - .args:
      - .offset:         0
        .size:           40
        .value_kind:     by_value
    .group_segment_fixed_size: 0
    .kernarg_segment_align: 8
    .kernarg_segment_size: 40
    .language:       OpenCL C
    .language_version:
      - 2
      - 0
    .max_flat_workgroup_size: 128
    .name:           _ZN7rocprim17ROCPRIM_400000_NS6detail17trampoline_kernelINS0_14default_configENS1_38merge_sort_block_merge_config_selectorIalEEZZNS1_27merge_sort_block_merge_implIS3_PaN6thrust23THRUST_200600_302600_NS10device_ptrIlEEjNS1_19radix_merge_compareILb0ELb0EaNS0_19identity_decomposerEEEEE10hipError_tT0_T1_T2_jT3_P12ihipStream_tbPNSt15iterator_traitsISG_E10value_typeEPNSM_ISH_E10value_typeEPSI_NS1_7vsmem_tEENKUlT_SG_SH_SI_E_clIS7_S7_PlSB_EESF_SV_SG_SH_SI_EUlSV_E_NS1_11comp_targetILNS1_3genE2ELNS1_11target_archE906ELNS1_3gpuE6ELNS1_3repE0EEENS1_48merge_mergepath_partition_config_static_selectorELNS0_4arch9wavefront6targetE1EEEvSH_
    .private_segment_fixed_size: 0
    .sgpr_count:     12
    .sgpr_spill_count: 0
    .symbol:         _ZN7rocprim17ROCPRIM_400000_NS6detail17trampoline_kernelINS0_14default_configENS1_38merge_sort_block_merge_config_selectorIalEEZZNS1_27merge_sort_block_merge_implIS3_PaN6thrust23THRUST_200600_302600_NS10device_ptrIlEEjNS1_19radix_merge_compareILb0ELb0EaNS0_19identity_decomposerEEEEE10hipError_tT0_T1_T2_jT3_P12ihipStream_tbPNSt15iterator_traitsISG_E10value_typeEPNSM_ISH_E10value_typeEPSI_NS1_7vsmem_tEENKUlT_SG_SH_SI_E_clIS7_S7_PlSB_EESF_SV_SG_SH_SI_EUlSV_E_NS1_11comp_targetILNS1_3genE2ELNS1_11target_archE906ELNS1_3gpuE6ELNS1_3repE0EEENS1_48merge_mergepath_partition_config_static_selectorELNS0_4arch9wavefront6targetE1EEEvSH_.kd
    .uniform_work_group_size: 1
    .uses_dynamic_stack: false
    .vgpr_count:     16
    .vgpr_spill_count: 0
    .wavefront_size: 64
  - .args:
      - .offset:         0
        .size:           40
        .value_kind:     by_value
    .group_segment_fixed_size: 0
    .kernarg_segment_align: 8
    .kernarg_segment_size: 40
    .language:       OpenCL C
    .language_version:
      - 2
      - 0
    .max_flat_workgroup_size: 128
    .name:           _ZN7rocprim17ROCPRIM_400000_NS6detail17trampoline_kernelINS0_14default_configENS1_38merge_sort_block_merge_config_selectorIalEEZZNS1_27merge_sort_block_merge_implIS3_PaN6thrust23THRUST_200600_302600_NS10device_ptrIlEEjNS1_19radix_merge_compareILb0ELb0EaNS0_19identity_decomposerEEEEE10hipError_tT0_T1_T2_jT3_P12ihipStream_tbPNSt15iterator_traitsISG_E10value_typeEPNSM_ISH_E10value_typeEPSI_NS1_7vsmem_tEENKUlT_SG_SH_SI_E_clIS7_S7_PlSB_EESF_SV_SG_SH_SI_EUlSV_E_NS1_11comp_targetILNS1_3genE9ELNS1_11target_archE1100ELNS1_3gpuE3ELNS1_3repE0EEENS1_48merge_mergepath_partition_config_static_selectorELNS0_4arch9wavefront6targetE1EEEvSH_
    .private_segment_fixed_size: 0
    .sgpr_count:     4
    .sgpr_spill_count: 0
    .symbol:         _ZN7rocprim17ROCPRIM_400000_NS6detail17trampoline_kernelINS0_14default_configENS1_38merge_sort_block_merge_config_selectorIalEEZZNS1_27merge_sort_block_merge_implIS3_PaN6thrust23THRUST_200600_302600_NS10device_ptrIlEEjNS1_19radix_merge_compareILb0ELb0EaNS0_19identity_decomposerEEEEE10hipError_tT0_T1_T2_jT3_P12ihipStream_tbPNSt15iterator_traitsISG_E10value_typeEPNSM_ISH_E10value_typeEPSI_NS1_7vsmem_tEENKUlT_SG_SH_SI_E_clIS7_S7_PlSB_EESF_SV_SG_SH_SI_EUlSV_E_NS1_11comp_targetILNS1_3genE9ELNS1_11target_archE1100ELNS1_3gpuE3ELNS1_3repE0EEENS1_48merge_mergepath_partition_config_static_selectorELNS0_4arch9wavefront6targetE1EEEvSH_.kd
    .uniform_work_group_size: 1
    .uses_dynamic_stack: false
    .vgpr_count:     0
    .vgpr_spill_count: 0
    .wavefront_size: 64
  - .args:
      - .offset:         0
        .size:           40
        .value_kind:     by_value
    .group_segment_fixed_size: 0
    .kernarg_segment_align: 8
    .kernarg_segment_size: 40
    .language:       OpenCL C
    .language_version:
      - 2
      - 0
    .max_flat_workgroup_size: 128
    .name:           _ZN7rocprim17ROCPRIM_400000_NS6detail17trampoline_kernelINS0_14default_configENS1_38merge_sort_block_merge_config_selectorIalEEZZNS1_27merge_sort_block_merge_implIS3_PaN6thrust23THRUST_200600_302600_NS10device_ptrIlEEjNS1_19radix_merge_compareILb0ELb0EaNS0_19identity_decomposerEEEEE10hipError_tT0_T1_T2_jT3_P12ihipStream_tbPNSt15iterator_traitsISG_E10value_typeEPNSM_ISH_E10value_typeEPSI_NS1_7vsmem_tEENKUlT_SG_SH_SI_E_clIS7_S7_PlSB_EESF_SV_SG_SH_SI_EUlSV_E_NS1_11comp_targetILNS1_3genE8ELNS1_11target_archE1030ELNS1_3gpuE2ELNS1_3repE0EEENS1_48merge_mergepath_partition_config_static_selectorELNS0_4arch9wavefront6targetE1EEEvSH_
    .private_segment_fixed_size: 0
    .sgpr_count:     4
    .sgpr_spill_count: 0
    .symbol:         _ZN7rocprim17ROCPRIM_400000_NS6detail17trampoline_kernelINS0_14default_configENS1_38merge_sort_block_merge_config_selectorIalEEZZNS1_27merge_sort_block_merge_implIS3_PaN6thrust23THRUST_200600_302600_NS10device_ptrIlEEjNS1_19radix_merge_compareILb0ELb0EaNS0_19identity_decomposerEEEEE10hipError_tT0_T1_T2_jT3_P12ihipStream_tbPNSt15iterator_traitsISG_E10value_typeEPNSM_ISH_E10value_typeEPSI_NS1_7vsmem_tEENKUlT_SG_SH_SI_E_clIS7_S7_PlSB_EESF_SV_SG_SH_SI_EUlSV_E_NS1_11comp_targetILNS1_3genE8ELNS1_11target_archE1030ELNS1_3gpuE2ELNS1_3repE0EEENS1_48merge_mergepath_partition_config_static_selectorELNS0_4arch9wavefront6targetE1EEEvSH_.kd
    .uniform_work_group_size: 1
    .uses_dynamic_stack: false
    .vgpr_count:     0
    .vgpr_spill_count: 0
    .wavefront_size: 64
  - .args:
      - .offset:         0
        .size:           64
        .value_kind:     by_value
    .group_segment_fixed_size: 0
    .kernarg_segment_align: 8
    .kernarg_segment_size: 64
    .language:       OpenCL C
    .language_version:
      - 2
      - 0
    .max_flat_workgroup_size: 512
    .name:           _ZN7rocprim17ROCPRIM_400000_NS6detail17trampoline_kernelINS0_14default_configENS1_38merge_sort_block_merge_config_selectorIalEEZZNS1_27merge_sort_block_merge_implIS3_PaN6thrust23THRUST_200600_302600_NS10device_ptrIlEEjNS1_19radix_merge_compareILb0ELb0EaNS0_19identity_decomposerEEEEE10hipError_tT0_T1_T2_jT3_P12ihipStream_tbPNSt15iterator_traitsISG_E10value_typeEPNSM_ISH_E10value_typeEPSI_NS1_7vsmem_tEENKUlT_SG_SH_SI_E_clIS7_S7_PlSB_EESF_SV_SG_SH_SI_EUlSV_E0_NS1_11comp_targetILNS1_3genE0ELNS1_11target_archE4294967295ELNS1_3gpuE0ELNS1_3repE0EEENS1_38merge_mergepath_config_static_selectorELNS0_4arch9wavefront6targetE1EEEvSH_
    .private_segment_fixed_size: 0
    .sgpr_count:     4
    .sgpr_spill_count: 0
    .symbol:         _ZN7rocprim17ROCPRIM_400000_NS6detail17trampoline_kernelINS0_14default_configENS1_38merge_sort_block_merge_config_selectorIalEEZZNS1_27merge_sort_block_merge_implIS3_PaN6thrust23THRUST_200600_302600_NS10device_ptrIlEEjNS1_19radix_merge_compareILb0ELb0EaNS0_19identity_decomposerEEEEE10hipError_tT0_T1_T2_jT3_P12ihipStream_tbPNSt15iterator_traitsISG_E10value_typeEPNSM_ISH_E10value_typeEPSI_NS1_7vsmem_tEENKUlT_SG_SH_SI_E_clIS7_S7_PlSB_EESF_SV_SG_SH_SI_EUlSV_E0_NS1_11comp_targetILNS1_3genE0ELNS1_11target_archE4294967295ELNS1_3gpuE0ELNS1_3repE0EEENS1_38merge_mergepath_config_static_selectorELNS0_4arch9wavefront6targetE1EEEvSH_.kd
    .uniform_work_group_size: 1
    .uses_dynamic_stack: false
    .vgpr_count:     0
    .vgpr_spill_count: 0
    .wavefront_size: 64
  - .args:
      - .offset:         0
        .size:           64
        .value_kind:     by_value
    .group_segment_fixed_size: 0
    .kernarg_segment_align: 8
    .kernarg_segment_size: 64
    .language:       OpenCL C
    .language_version:
      - 2
      - 0
    .max_flat_workgroup_size: 128
    .name:           _ZN7rocprim17ROCPRIM_400000_NS6detail17trampoline_kernelINS0_14default_configENS1_38merge_sort_block_merge_config_selectorIalEEZZNS1_27merge_sort_block_merge_implIS3_PaN6thrust23THRUST_200600_302600_NS10device_ptrIlEEjNS1_19radix_merge_compareILb0ELb0EaNS0_19identity_decomposerEEEEE10hipError_tT0_T1_T2_jT3_P12ihipStream_tbPNSt15iterator_traitsISG_E10value_typeEPNSM_ISH_E10value_typeEPSI_NS1_7vsmem_tEENKUlT_SG_SH_SI_E_clIS7_S7_PlSB_EESF_SV_SG_SH_SI_EUlSV_E0_NS1_11comp_targetILNS1_3genE10ELNS1_11target_archE1201ELNS1_3gpuE5ELNS1_3repE0EEENS1_38merge_mergepath_config_static_selectorELNS0_4arch9wavefront6targetE1EEEvSH_
    .private_segment_fixed_size: 0
    .sgpr_count:     4
    .sgpr_spill_count: 0
    .symbol:         _ZN7rocprim17ROCPRIM_400000_NS6detail17trampoline_kernelINS0_14default_configENS1_38merge_sort_block_merge_config_selectorIalEEZZNS1_27merge_sort_block_merge_implIS3_PaN6thrust23THRUST_200600_302600_NS10device_ptrIlEEjNS1_19radix_merge_compareILb0ELb0EaNS0_19identity_decomposerEEEEE10hipError_tT0_T1_T2_jT3_P12ihipStream_tbPNSt15iterator_traitsISG_E10value_typeEPNSM_ISH_E10value_typeEPSI_NS1_7vsmem_tEENKUlT_SG_SH_SI_E_clIS7_S7_PlSB_EESF_SV_SG_SH_SI_EUlSV_E0_NS1_11comp_targetILNS1_3genE10ELNS1_11target_archE1201ELNS1_3gpuE5ELNS1_3repE0EEENS1_38merge_mergepath_config_static_selectorELNS0_4arch9wavefront6targetE1EEEvSH_.kd
    .uniform_work_group_size: 1
    .uses_dynamic_stack: false
    .vgpr_count:     0
    .vgpr_spill_count: 0
    .wavefront_size: 64
  - .args:
      - .offset:         0
        .size:           64
        .value_kind:     by_value
    .group_segment_fixed_size: 0
    .kernarg_segment_align: 8
    .kernarg_segment_size: 64
    .language:       OpenCL C
    .language_version:
      - 2
      - 0
    .max_flat_workgroup_size: 128
    .name:           _ZN7rocprim17ROCPRIM_400000_NS6detail17trampoline_kernelINS0_14default_configENS1_38merge_sort_block_merge_config_selectorIalEEZZNS1_27merge_sort_block_merge_implIS3_PaN6thrust23THRUST_200600_302600_NS10device_ptrIlEEjNS1_19radix_merge_compareILb0ELb0EaNS0_19identity_decomposerEEEEE10hipError_tT0_T1_T2_jT3_P12ihipStream_tbPNSt15iterator_traitsISG_E10value_typeEPNSM_ISH_E10value_typeEPSI_NS1_7vsmem_tEENKUlT_SG_SH_SI_E_clIS7_S7_PlSB_EESF_SV_SG_SH_SI_EUlSV_E0_NS1_11comp_targetILNS1_3genE5ELNS1_11target_archE942ELNS1_3gpuE9ELNS1_3repE0EEENS1_38merge_mergepath_config_static_selectorELNS0_4arch9wavefront6targetE1EEEvSH_
    .private_segment_fixed_size: 0
    .sgpr_count:     4
    .sgpr_spill_count: 0
    .symbol:         _ZN7rocprim17ROCPRIM_400000_NS6detail17trampoline_kernelINS0_14default_configENS1_38merge_sort_block_merge_config_selectorIalEEZZNS1_27merge_sort_block_merge_implIS3_PaN6thrust23THRUST_200600_302600_NS10device_ptrIlEEjNS1_19radix_merge_compareILb0ELb0EaNS0_19identity_decomposerEEEEE10hipError_tT0_T1_T2_jT3_P12ihipStream_tbPNSt15iterator_traitsISG_E10value_typeEPNSM_ISH_E10value_typeEPSI_NS1_7vsmem_tEENKUlT_SG_SH_SI_E_clIS7_S7_PlSB_EESF_SV_SG_SH_SI_EUlSV_E0_NS1_11comp_targetILNS1_3genE5ELNS1_11target_archE942ELNS1_3gpuE9ELNS1_3repE0EEENS1_38merge_mergepath_config_static_selectorELNS0_4arch9wavefront6targetE1EEEvSH_.kd
    .uniform_work_group_size: 1
    .uses_dynamic_stack: false
    .vgpr_count:     0
    .vgpr_spill_count: 0
    .wavefront_size: 64
  - .args:
      - .offset:         0
        .size:           64
        .value_kind:     by_value
    .group_segment_fixed_size: 0
    .kernarg_segment_align: 8
    .kernarg_segment_size: 64
    .language:       OpenCL C
    .language_version:
      - 2
      - 0
    .max_flat_workgroup_size: 256
    .name:           _ZN7rocprim17ROCPRIM_400000_NS6detail17trampoline_kernelINS0_14default_configENS1_38merge_sort_block_merge_config_selectorIalEEZZNS1_27merge_sort_block_merge_implIS3_PaN6thrust23THRUST_200600_302600_NS10device_ptrIlEEjNS1_19radix_merge_compareILb0ELb0EaNS0_19identity_decomposerEEEEE10hipError_tT0_T1_T2_jT3_P12ihipStream_tbPNSt15iterator_traitsISG_E10value_typeEPNSM_ISH_E10value_typeEPSI_NS1_7vsmem_tEENKUlT_SG_SH_SI_E_clIS7_S7_PlSB_EESF_SV_SG_SH_SI_EUlSV_E0_NS1_11comp_targetILNS1_3genE4ELNS1_11target_archE910ELNS1_3gpuE8ELNS1_3repE0EEENS1_38merge_mergepath_config_static_selectorELNS0_4arch9wavefront6targetE1EEEvSH_
    .private_segment_fixed_size: 0
    .sgpr_count:     4
    .sgpr_spill_count: 0
    .symbol:         _ZN7rocprim17ROCPRIM_400000_NS6detail17trampoline_kernelINS0_14default_configENS1_38merge_sort_block_merge_config_selectorIalEEZZNS1_27merge_sort_block_merge_implIS3_PaN6thrust23THRUST_200600_302600_NS10device_ptrIlEEjNS1_19radix_merge_compareILb0ELb0EaNS0_19identity_decomposerEEEEE10hipError_tT0_T1_T2_jT3_P12ihipStream_tbPNSt15iterator_traitsISG_E10value_typeEPNSM_ISH_E10value_typeEPSI_NS1_7vsmem_tEENKUlT_SG_SH_SI_E_clIS7_S7_PlSB_EESF_SV_SG_SH_SI_EUlSV_E0_NS1_11comp_targetILNS1_3genE4ELNS1_11target_archE910ELNS1_3gpuE8ELNS1_3repE0EEENS1_38merge_mergepath_config_static_selectorELNS0_4arch9wavefront6targetE1EEEvSH_.kd
    .uniform_work_group_size: 1
    .uses_dynamic_stack: false
    .vgpr_count:     0
    .vgpr_spill_count: 0
    .wavefront_size: 64
  - .args:
      - .offset:         0
        .size:           64
        .value_kind:     by_value
    .group_segment_fixed_size: 0
    .kernarg_segment_align: 8
    .kernarg_segment_size: 64
    .language:       OpenCL C
    .language_version:
      - 2
      - 0
    .max_flat_workgroup_size: 512
    .name:           _ZN7rocprim17ROCPRIM_400000_NS6detail17trampoline_kernelINS0_14default_configENS1_38merge_sort_block_merge_config_selectorIalEEZZNS1_27merge_sort_block_merge_implIS3_PaN6thrust23THRUST_200600_302600_NS10device_ptrIlEEjNS1_19radix_merge_compareILb0ELb0EaNS0_19identity_decomposerEEEEE10hipError_tT0_T1_T2_jT3_P12ihipStream_tbPNSt15iterator_traitsISG_E10value_typeEPNSM_ISH_E10value_typeEPSI_NS1_7vsmem_tEENKUlT_SG_SH_SI_E_clIS7_S7_PlSB_EESF_SV_SG_SH_SI_EUlSV_E0_NS1_11comp_targetILNS1_3genE3ELNS1_11target_archE908ELNS1_3gpuE7ELNS1_3repE0EEENS1_38merge_mergepath_config_static_selectorELNS0_4arch9wavefront6targetE1EEEvSH_
    .private_segment_fixed_size: 0
    .sgpr_count:     4
    .sgpr_spill_count: 0
    .symbol:         _ZN7rocprim17ROCPRIM_400000_NS6detail17trampoline_kernelINS0_14default_configENS1_38merge_sort_block_merge_config_selectorIalEEZZNS1_27merge_sort_block_merge_implIS3_PaN6thrust23THRUST_200600_302600_NS10device_ptrIlEEjNS1_19radix_merge_compareILb0ELb0EaNS0_19identity_decomposerEEEEE10hipError_tT0_T1_T2_jT3_P12ihipStream_tbPNSt15iterator_traitsISG_E10value_typeEPNSM_ISH_E10value_typeEPSI_NS1_7vsmem_tEENKUlT_SG_SH_SI_E_clIS7_S7_PlSB_EESF_SV_SG_SH_SI_EUlSV_E0_NS1_11comp_targetILNS1_3genE3ELNS1_11target_archE908ELNS1_3gpuE7ELNS1_3repE0EEENS1_38merge_mergepath_config_static_selectorELNS0_4arch9wavefront6targetE1EEEvSH_.kd
    .uniform_work_group_size: 1
    .uses_dynamic_stack: false
    .vgpr_count:     0
    .vgpr_spill_count: 0
    .wavefront_size: 64
  - .args:
      - .offset:         0
        .size:           64
        .value_kind:     by_value
      - .offset:         64
        .size:           4
        .value_kind:     hidden_block_count_x
      - .offset:         68
        .size:           4
        .value_kind:     hidden_block_count_y
      - .offset:         72
        .size:           4
        .value_kind:     hidden_block_count_z
      - .offset:         76
        .size:           2
        .value_kind:     hidden_group_size_x
      - .offset:         78
        .size:           2
        .value_kind:     hidden_group_size_y
      - .offset:         80
        .size:           2
        .value_kind:     hidden_group_size_z
      - .offset:         82
        .size:           2
        .value_kind:     hidden_remainder_x
      - .offset:         84
        .size:           2
        .value_kind:     hidden_remainder_y
      - .offset:         86
        .size:           2
        .value_kind:     hidden_remainder_z
      - .offset:         104
        .size:           8
        .value_kind:     hidden_global_offset_x
      - .offset:         112
        .size:           8
        .value_kind:     hidden_global_offset_y
      - .offset:         120
        .size:           8
        .value_kind:     hidden_global_offset_z
      - .offset:         128
        .size:           2
        .value_kind:     hidden_grid_dims
    .group_segment_fixed_size: 8448
    .kernarg_segment_align: 8
    .kernarg_segment_size: 320
    .language:       OpenCL C
    .language_version:
      - 2
      - 0
    .max_flat_workgroup_size: 256
    .name:           _ZN7rocprim17ROCPRIM_400000_NS6detail17trampoline_kernelINS0_14default_configENS1_38merge_sort_block_merge_config_selectorIalEEZZNS1_27merge_sort_block_merge_implIS3_PaN6thrust23THRUST_200600_302600_NS10device_ptrIlEEjNS1_19radix_merge_compareILb0ELb0EaNS0_19identity_decomposerEEEEE10hipError_tT0_T1_T2_jT3_P12ihipStream_tbPNSt15iterator_traitsISG_E10value_typeEPNSM_ISH_E10value_typeEPSI_NS1_7vsmem_tEENKUlT_SG_SH_SI_E_clIS7_S7_PlSB_EESF_SV_SG_SH_SI_EUlSV_E0_NS1_11comp_targetILNS1_3genE2ELNS1_11target_archE906ELNS1_3gpuE6ELNS1_3repE0EEENS1_38merge_mergepath_config_static_selectorELNS0_4arch9wavefront6targetE1EEEvSH_
    .private_segment_fixed_size: 0
    .sgpr_count:     33
    .sgpr_spill_count: 0
    .symbol:         _ZN7rocprim17ROCPRIM_400000_NS6detail17trampoline_kernelINS0_14default_configENS1_38merge_sort_block_merge_config_selectorIalEEZZNS1_27merge_sort_block_merge_implIS3_PaN6thrust23THRUST_200600_302600_NS10device_ptrIlEEjNS1_19radix_merge_compareILb0ELb0EaNS0_19identity_decomposerEEEEE10hipError_tT0_T1_T2_jT3_P12ihipStream_tbPNSt15iterator_traitsISG_E10value_typeEPNSM_ISH_E10value_typeEPSI_NS1_7vsmem_tEENKUlT_SG_SH_SI_E_clIS7_S7_PlSB_EESF_SV_SG_SH_SI_EUlSV_E0_NS1_11comp_targetILNS1_3genE2ELNS1_11target_archE906ELNS1_3gpuE6ELNS1_3repE0EEENS1_38merge_mergepath_config_static_selectorELNS0_4arch9wavefront6targetE1EEEvSH_.kd
    .uniform_work_group_size: 1
    .uses_dynamic_stack: false
    .vgpr_count:     35
    .vgpr_spill_count: 0
    .wavefront_size: 64
  - .args:
      - .offset:         0
        .size:           64
        .value_kind:     by_value
    .group_segment_fixed_size: 0
    .kernarg_segment_align: 8
    .kernarg_segment_size: 64
    .language:       OpenCL C
    .language_version:
      - 2
      - 0
    .max_flat_workgroup_size: 512
    .name:           _ZN7rocprim17ROCPRIM_400000_NS6detail17trampoline_kernelINS0_14default_configENS1_38merge_sort_block_merge_config_selectorIalEEZZNS1_27merge_sort_block_merge_implIS3_PaN6thrust23THRUST_200600_302600_NS10device_ptrIlEEjNS1_19radix_merge_compareILb0ELb0EaNS0_19identity_decomposerEEEEE10hipError_tT0_T1_T2_jT3_P12ihipStream_tbPNSt15iterator_traitsISG_E10value_typeEPNSM_ISH_E10value_typeEPSI_NS1_7vsmem_tEENKUlT_SG_SH_SI_E_clIS7_S7_PlSB_EESF_SV_SG_SH_SI_EUlSV_E0_NS1_11comp_targetILNS1_3genE9ELNS1_11target_archE1100ELNS1_3gpuE3ELNS1_3repE0EEENS1_38merge_mergepath_config_static_selectorELNS0_4arch9wavefront6targetE1EEEvSH_
    .private_segment_fixed_size: 0
    .sgpr_count:     4
    .sgpr_spill_count: 0
    .symbol:         _ZN7rocprim17ROCPRIM_400000_NS6detail17trampoline_kernelINS0_14default_configENS1_38merge_sort_block_merge_config_selectorIalEEZZNS1_27merge_sort_block_merge_implIS3_PaN6thrust23THRUST_200600_302600_NS10device_ptrIlEEjNS1_19radix_merge_compareILb0ELb0EaNS0_19identity_decomposerEEEEE10hipError_tT0_T1_T2_jT3_P12ihipStream_tbPNSt15iterator_traitsISG_E10value_typeEPNSM_ISH_E10value_typeEPSI_NS1_7vsmem_tEENKUlT_SG_SH_SI_E_clIS7_S7_PlSB_EESF_SV_SG_SH_SI_EUlSV_E0_NS1_11comp_targetILNS1_3genE9ELNS1_11target_archE1100ELNS1_3gpuE3ELNS1_3repE0EEENS1_38merge_mergepath_config_static_selectorELNS0_4arch9wavefront6targetE1EEEvSH_.kd
    .uniform_work_group_size: 1
    .uses_dynamic_stack: false
    .vgpr_count:     0
    .vgpr_spill_count: 0
    .wavefront_size: 64
  - .args:
      - .offset:         0
        .size:           64
        .value_kind:     by_value
    .group_segment_fixed_size: 0
    .kernarg_segment_align: 8
    .kernarg_segment_size: 64
    .language:       OpenCL C
    .language_version:
      - 2
      - 0
    .max_flat_workgroup_size: 1024
    .name:           _ZN7rocprim17ROCPRIM_400000_NS6detail17trampoline_kernelINS0_14default_configENS1_38merge_sort_block_merge_config_selectorIalEEZZNS1_27merge_sort_block_merge_implIS3_PaN6thrust23THRUST_200600_302600_NS10device_ptrIlEEjNS1_19radix_merge_compareILb0ELb0EaNS0_19identity_decomposerEEEEE10hipError_tT0_T1_T2_jT3_P12ihipStream_tbPNSt15iterator_traitsISG_E10value_typeEPNSM_ISH_E10value_typeEPSI_NS1_7vsmem_tEENKUlT_SG_SH_SI_E_clIS7_S7_PlSB_EESF_SV_SG_SH_SI_EUlSV_E0_NS1_11comp_targetILNS1_3genE8ELNS1_11target_archE1030ELNS1_3gpuE2ELNS1_3repE0EEENS1_38merge_mergepath_config_static_selectorELNS0_4arch9wavefront6targetE1EEEvSH_
    .private_segment_fixed_size: 0
    .sgpr_count:     4
    .sgpr_spill_count: 0
    .symbol:         _ZN7rocprim17ROCPRIM_400000_NS6detail17trampoline_kernelINS0_14default_configENS1_38merge_sort_block_merge_config_selectorIalEEZZNS1_27merge_sort_block_merge_implIS3_PaN6thrust23THRUST_200600_302600_NS10device_ptrIlEEjNS1_19radix_merge_compareILb0ELb0EaNS0_19identity_decomposerEEEEE10hipError_tT0_T1_T2_jT3_P12ihipStream_tbPNSt15iterator_traitsISG_E10value_typeEPNSM_ISH_E10value_typeEPSI_NS1_7vsmem_tEENKUlT_SG_SH_SI_E_clIS7_S7_PlSB_EESF_SV_SG_SH_SI_EUlSV_E0_NS1_11comp_targetILNS1_3genE8ELNS1_11target_archE1030ELNS1_3gpuE2ELNS1_3repE0EEENS1_38merge_mergepath_config_static_selectorELNS0_4arch9wavefront6targetE1EEEvSH_.kd
    .uniform_work_group_size: 1
    .uses_dynamic_stack: false
    .vgpr_count:     0
    .vgpr_spill_count: 0
    .wavefront_size: 64
  - .args:
      - .offset:         0
        .size:           48
        .value_kind:     by_value
    .group_segment_fixed_size: 0
    .kernarg_segment_align: 8
    .kernarg_segment_size: 48
    .language:       OpenCL C
    .language_version:
      - 2
      - 0
    .max_flat_workgroup_size: 256
    .name:           _ZN7rocprim17ROCPRIM_400000_NS6detail17trampoline_kernelINS0_14default_configENS1_38merge_sort_block_merge_config_selectorIalEEZZNS1_27merge_sort_block_merge_implIS3_PaN6thrust23THRUST_200600_302600_NS10device_ptrIlEEjNS1_19radix_merge_compareILb0ELb0EaNS0_19identity_decomposerEEEEE10hipError_tT0_T1_T2_jT3_P12ihipStream_tbPNSt15iterator_traitsISG_E10value_typeEPNSM_ISH_E10value_typeEPSI_NS1_7vsmem_tEENKUlT_SG_SH_SI_E_clIS7_S7_PlSB_EESF_SV_SG_SH_SI_EUlSV_E1_NS1_11comp_targetILNS1_3genE0ELNS1_11target_archE4294967295ELNS1_3gpuE0ELNS1_3repE0EEENS1_36merge_oddeven_config_static_selectorELNS0_4arch9wavefront6targetE1EEEvSH_
    .private_segment_fixed_size: 0
    .sgpr_count:     4
    .sgpr_spill_count: 0
    .symbol:         _ZN7rocprim17ROCPRIM_400000_NS6detail17trampoline_kernelINS0_14default_configENS1_38merge_sort_block_merge_config_selectorIalEEZZNS1_27merge_sort_block_merge_implIS3_PaN6thrust23THRUST_200600_302600_NS10device_ptrIlEEjNS1_19radix_merge_compareILb0ELb0EaNS0_19identity_decomposerEEEEE10hipError_tT0_T1_T2_jT3_P12ihipStream_tbPNSt15iterator_traitsISG_E10value_typeEPNSM_ISH_E10value_typeEPSI_NS1_7vsmem_tEENKUlT_SG_SH_SI_E_clIS7_S7_PlSB_EESF_SV_SG_SH_SI_EUlSV_E1_NS1_11comp_targetILNS1_3genE0ELNS1_11target_archE4294967295ELNS1_3gpuE0ELNS1_3repE0EEENS1_36merge_oddeven_config_static_selectorELNS0_4arch9wavefront6targetE1EEEvSH_.kd
    .uniform_work_group_size: 1
    .uses_dynamic_stack: false
    .vgpr_count:     0
    .vgpr_spill_count: 0
    .wavefront_size: 64
  - .args:
      - .offset:         0
        .size:           48
        .value_kind:     by_value
    .group_segment_fixed_size: 0
    .kernarg_segment_align: 8
    .kernarg_segment_size: 48
    .language:       OpenCL C
    .language_version:
      - 2
      - 0
    .max_flat_workgroup_size: 256
    .name:           _ZN7rocprim17ROCPRIM_400000_NS6detail17trampoline_kernelINS0_14default_configENS1_38merge_sort_block_merge_config_selectorIalEEZZNS1_27merge_sort_block_merge_implIS3_PaN6thrust23THRUST_200600_302600_NS10device_ptrIlEEjNS1_19radix_merge_compareILb0ELb0EaNS0_19identity_decomposerEEEEE10hipError_tT0_T1_T2_jT3_P12ihipStream_tbPNSt15iterator_traitsISG_E10value_typeEPNSM_ISH_E10value_typeEPSI_NS1_7vsmem_tEENKUlT_SG_SH_SI_E_clIS7_S7_PlSB_EESF_SV_SG_SH_SI_EUlSV_E1_NS1_11comp_targetILNS1_3genE10ELNS1_11target_archE1201ELNS1_3gpuE5ELNS1_3repE0EEENS1_36merge_oddeven_config_static_selectorELNS0_4arch9wavefront6targetE1EEEvSH_
    .private_segment_fixed_size: 0
    .sgpr_count:     4
    .sgpr_spill_count: 0
    .symbol:         _ZN7rocprim17ROCPRIM_400000_NS6detail17trampoline_kernelINS0_14default_configENS1_38merge_sort_block_merge_config_selectorIalEEZZNS1_27merge_sort_block_merge_implIS3_PaN6thrust23THRUST_200600_302600_NS10device_ptrIlEEjNS1_19radix_merge_compareILb0ELb0EaNS0_19identity_decomposerEEEEE10hipError_tT0_T1_T2_jT3_P12ihipStream_tbPNSt15iterator_traitsISG_E10value_typeEPNSM_ISH_E10value_typeEPSI_NS1_7vsmem_tEENKUlT_SG_SH_SI_E_clIS7_S7_PlSB_EESF_SV_SG_SH_SI_EUlSV_E1_NS1_11comp_targetILNS1_3genE10ELNS1_11target_archE1201ELNS1_3gpuE5ELNS1_3repE0EEENS1_36merge_oddeven_config_static_selectorELNS0_4arch9wavefront6targetE1EEEvSH_.kd
    .uniform_work_group_size: 1
    .uses_dynamic_stack: false
    .vgpr_count:     0
    .vgpr_spill_count: 0
    .wavefront_size: 64
  - .args:
      - .offset:         0
        .size:           48
        .value_kind:     by_value
    .group_segment_fixed_size: 0
    .kernarg_segment_align: 8
    .kernarg_segment_size: 48
    .language:       OpenCL C
    .language_version:
      - 2
      - 0
    .max_flat_workgroup_size: 256
    .name:           _ZN7rocprim17ROCPRIM_400000_NS6detail17trampoline_kernelINS0_14default_configENS1_38merge_sort_block_merge_config_selectorIalEEZZNS1_27merge_sort_block_merge_implIS3_PaN6thrust23THRUST_200600_302600_NS10device_ptrIlEEjNS1_19radix_merge_compareILb0ELb0EaNS0_19identity_decomposerEEEEE10hipError_tT0_T1_T2_jT3_P12ihipStream_tbPNSt15iterator_traitsISG_E10value_typeEPNSM_ISH_E10value_typeEPSI_NS1_7vsmem_tEENKUlT_SG_SH_SI_E_clIS7_S7_PlSB_EESF_SV_SG_SH_SI_EUlSV_E1_NS1_11comp_targetILNS1_3genE5ELNS1_11target_archE942ELNS1_3gpuE9ELNS1_3repE0EEENS1_36merge_oddeven_config_static_selectorELNS0_4arch9wavefront6targetE1EEEvSH_
    .private_segment_fixed_size: 0
    .sgpr_count:     4
    .sgpr_spill_count: 0
    .symbol:         _ZN7rocprim17ROCPRIM_400000_NS6detail17trampoline_kernelINS0_14default_configENS1_38merge_sort_block_merge_config_selectorIalEEZZNS1_27merge_sort_block_merge_implIS3_PaN6thrust23THRUST_200600_302600_NS10device_ptrIlEEjNS1_19radix_merge_compareILb0ELb0EaNS0_19identity_decomposerEEEEE10hipError_tT0_T1_T2_jT3_P12ihipStream_tbPNSt15iterator_traitsISG_E10value_typeEPNSM_ISH_E10value_typeEPSI_NS1_7vsmem_tEENKUlT_SG_SH_SI_E_clIS7_S7_PlSB_EESF_SV_SG_SH_SI_EUlSV_E1_NS1_11comp_targetILNS1_3genE5ELNS1_11target_archE942ELNS1_3gpuE9ELNS1_3repE0EEENS1_36merge_oddeven_config_static_selectorELNS0_4arch9wavefront6targetE1EEEvSH_.kd
    .uniform_work_group_size: 1
    .uses_dynamic_stack: false
    .vgpr_count:     0
    .vgpr_spill_count: 0
    .wavefront_size: 64
  - .args:
      - .offset:         0
        .size:           48
        .value_kind:     by_value
    .group_segment_fixed_size: 0
    .kernarg_segment_align: 8
    .kernarg_segment_size: 48
    .language:       OpenCL C
    .language_version:
      - 2
      - 0
    .max_flat_workgroup_size: 256
    .name:           _ZN7rocprim17ROCPRIM_400000_NS6detail17trampoline_kernelINS0_14default_configENS1_38merge_sort_block_merge_config_selectorIalEEZZNS1_27merge_sort_block_merge_implIS3_PaN6thrust23THRUST_200600_302600_NS10device_ptrIlEEjNS1_19radix_merge_compareILb0ELb0EaNS0_19identity_decomposerEEEEE10hipError_tT0_T1_T2_jT3_P12ihipStream_tbPNSt15iterator_traitsISG_E10value_typeEPNSM_ISH_E10value_typeEPSI_NS1_7vsmem_tEENKUlT_SG_SH_SI_E_clIS7_S7_PlSB_EESF_SV_SG_SH_SI_EUlSV_E1_NS1_11comp_targetILNS1_3genE4ELNS1_11target_archE910ELNS1_3gpuE8ELNS1_3repE0EEENS1_36merge_oddeven_config_static_selectorELNS0_4arch9wavefront6targetE1EEEvSH_
    .private_segment_fixed_size: 0
    .sgpr_count:     4
    .sgpr_spill_count: 0
    .symbol:         _ZN7rocprim17ROCPRIM_400000_NS6detail17trampoline_kernelINS0_14default_configENS1_38merge_sort_block_merge_config_selectorIalEEZZNS1_27merge_sort_block_merge_implIS3_PaN6thrust23THRUST_200600_302600_NS10device_ptrIlEEjNS1_19radix_merge_compareILb0ELb0EaNS0_19identity_decomposerEEEEE10hipError_tT0_T1_T2_jT3_P12ihipStream_tbPNSt15iterator_traitsISG_E10value_typeEPNSM_ISH_E10value_typeEPSI_NS1_7vsmem_tEENKUlT_SG_SH_SI_E_clIS7_S7_PlSB_EESF_SV_SG_SH_SI_EUlSV_E1_NS1_11comp_targetILNS1_3genE4ELNS1_11target_archE910ELNS1_3gpuE8ELNS1_3repE0EEENS1_36merge_oddeven_config_static_selectorELNS0_4arch9wavefront6targetE1EEEvSH_.kd
    .uniform_work_group_size: 1
    .uses_dynamic_stack: false
    .vgpr_count:     0
    .vgpr_spill_count: 0
    .wavefront_size: 64
  - .args:
      - .offset:         0
        .size:           48
        .value_kind:     by_value
    .group_segment_fixed_size: 0
    .kernarg_segment_align: 8
    .kernarg_segment_size: 48
    .language:       OpenCL C
    .language_version:
      - 2
      - 0
    .max_flat_workgroup_size: 256
    .name:           _ZN7rocprim17ROCPRIM_400000_NS6detail17trampoline_kernelINS0_14default_configENS1_38merge_sort_block_merge_config_selectorIalEEZZNS1_27merge_sort_block_merge_implIS3_PaN6thrust23THRUST_200600_302600_NS10device_ptrIlEEjNS1_19radix_merge_compareILb0ELb0EaNS0_19identity_decomposerEEEEE10hipError_tT0_T1_T2_jT3_P12ihipStream_tbPNSt15iterator_traitsISG_E10value_typeEPNSM_ISH_E10value_typeEPSI_NS1_7vsmem_tEENKUlT_SG_SH_SI_E_clIS7_S7_PlSB_EESF_SV_SG_SH_SI_EUlSV_E1_NS1_11comp_targetILNS1_3genE3ELNS1_11target_archE908ELNS1_3gpuE7ELNS1_3repE0EEENS1_36merge_oddeven_config_static_selectorELNS0_4arch9wavefront6targetE1EEEvSH_
    .private_segment_fixed_size: 0
    .sgpr_count:     4
    .sgpr_spill_count: 0
    .symbol:         _ZN7rocprim17ROCPRIM_400000_NS6detail17trampoline_kernelINS0_14default_configENS1_38merge_sort_block_merge_config_selectorIalEEZZNS1_27merge_sort_block_merge_implIS3_PaN6thrust23THRUST_200600_302600_NS10device_ptrIlEEjNS1_19radix_merge_compareILb0ELb0EaNS0_19identity_decomposerEEEEE10hipError_tT0_T1_T2_jT3_P12ihipStream_tbPNSt15iterator_traitsISG_E10value_typeEPNSM_ISH_E10value_typeEPSI_NS1_7vsmem_tEENKUlT_SG_SH_SI_E_clIS7_S7_PlSB_EESF_SV_SG_SH_SI_EUlSV_E1_NS1_11comp_targetILNS1_3genE3ELNS1_11target_archE908ELNS1_3gpuE7ELNS1_3repE0EEENS1_36merge_oddeven_config_static_selectorELNS0_4arch9wavefront6targetE1EEEvSH_.kd
    .uniform_work_group_size: 1
    .uses_dynamic_stack: false
    .vgpr_count:     0
    .vgpr_spill_count: 0
    .wavefront_size: 64
  - .args:
      - .offset:         0
        .size:           48
        .value_kind:     by_value
    .group_segment_fixed_size: 0
    .kernarg_segment_align: 8
    .kernarg_segment_size: 48
    .language:       OpenCL C
    .language_version:
      - 2
      - 0
    .max_flat_workgroup_size: 256
    .name:           _ZN7rocprim17ROCPRIM_400000_NS6detail17trampoline_kernelINS0_14default_configENS1_38merge_sort_block_merge_config_selectorIalEEZZNS1_27merge_sort_block_merge_implIS3_PaN6thrust23THRUST_200600_302600_NS10device_ptrIlEEjNS1_19radix_merge_compareILb0ELb0EaNS0_19identity_decomposerEEEEE10hipError_tT0_T1_T2_jT3_P12ihipStream_tbPNSt15iterator_traitsISG_E10value_typeEPNSM_ISH_E10value_typeEPSI_NS1_7vsmem_tEENKUlT_SG_SH_SI_E_clIS7_S7_PlSB_EESF_SV_SG_SH_SI_EUlSV_E1_NS1_11comp_targetILNS1_3genE2ELNS1_11target_archE906ELNS1_3gpuE6ELNS1_3repE0EEENS1_36merge_oddeven_config_static_selectorELNS0_4arch9wavefront6targetE1EEEvSH_
    .private_segment_fixed_size: 0
    .sgpr_count:     26
    .sgpr_spill_count: 0
    .symbol:         _ZN7rocprim17ROCPRIM_400000_NS6detail17trampoline_kernelINS0_14default_configENS1_38merge_sort_block_merge_config_selectorIalEEZZNS1_27merge_sort_block_merge_implIS3_PaN6thrust23THRUST_200600_302600_NS10device_ptrIlEEjNS1_19radix_merge_compareILb0ELb0EaNS0_19identity_decomposerEEEEE10hipError_tT0_T1_T2_jT3_P12ihipStream_tbPNSt15iterator_traitsISG_E10value_typeEPNSM_ISH_E10value_typeEPSI_NS1_7vsmem_tEENKUlT_SG_SH_SI_E_clIS7_S7_PlSB_EESF_SV_SG_SH_SI_EUlSV_E1_NS1_11comp_targetILNS1_3genE2ELNS1_11target_archE906ELNS1_3gpuE6ELNS1_3repE0EEENS1_36merge_oddeven_config_static_selectorELNS0_4arch9wavefront6targetE1EEEvSH_.kd
    .uniform_work_group_size: 1
    .uses_dynamic_stack: false
    .vgpr_count:     10
    .vgpr_spill_count: 0
    .wavefront_size: 64
  - .args:
      - .offset:         0
        .size:           48
        .value_kind:     by_value
    .group_segment_fixed_size: 0
    .kernarg_segment_align: 8
    .kernarg_segment_size: 48
    .language:       OpenCL C
    .language_version:
      - 2
      - 0
    .max_flat_workgroup_size: 256
    .name:           _ZN7rocprim17ROCPRIM_400000_NS6detail17trampoline_kernelINS0_14default_configENS1_38merge_sort_block_merge_config_selectorIalEEZZNS1_27merge_sort_block_merge_implIS3_PaN6thrust23THRUST_200600_302600_NS10device_ptrIlEEjNS1_19radix_merge_compareILb0ELb0EaNS0_19identity_decomposerEEEEE10hipError_tT0_T1_T2_jT3_P12ihipStream_tbPNSt15iterator_traitsISG_E10value_typeEPNSM_ISH_E10value_typeEPSI_NS1_7vsmem_tEENKUlT_SG_SH_SI_E_clIS7_S7_PlSB_EESF_SV_SG_SH_SI_EUlSV_E1_NS1_11comp_targetILNS1_3genE9ELNS1_11target_archE1100ELNS1_3gpuE3ELNS1_3repE0EEENS1_36merge_oddeven_config_static_selectorELNS0_4arch9wavefront6targetE1EEEvSH_
    .private_segment_fixed_size: 0
    .sgpr_count:     4
    .sgpr_spill_count: 0
    .symbol:         _ZN7rocprim17ROCPRIM_400000_NS6detail17trampoline_kernelINS0_14default_configENS1_38merge_sort_block_merge_config_selectorIalEEZZNS1_27merge_sort_block_merge_implIS3_PaN6thrust23THRUST_200600_302600_NS10device_ptrIlEEjNS1_19radix_merge_compareILb0ELb0EaNS0_19identity_decomposerEEEEE10hipError_tT0_T1_T2_jT3_P12ihipStream_tbPNSt15iterator_traitsISG_E10value_typeEPNSM_ISH_E10value_typeEPSI_NS1_7vsmem_tEENKUlT_SG_SH_SI_E_clIS7_S7_PlSB_EESF_SV_SG_SH_SI_EUlSV_E1_NS1_11comp_targetILNS1_3genE9ELNS1_11target_archE1100ELNS1_3gpuE3ELNS1_3repE0EEENS1_36merge_oddeven_config_static_selectorELNS0_4arch9wavefront6targetE1EEEvSH_.kd
    .uniform_work_group_size: 1
    .uses_dynamic_stack: false
    .vgpr_count:     0
    .vgpr_spill_count: 0
    .wavefront_size: 64
  - .args:
      - .offset:         0
        .size:           48
        .value_kind:     by_value
    .group_segment_fixed_size: 0
    .kernarg_segment_align: 8
    .kernarg_segment_size: 48
    .language:       OpenCL C
    .language_version:
      - 2
      - 0
    .max_flat_workgroup_size: 256
    .name:           _ZN7rocprim17ROCPRIM_400000_NS6detail17trampoline_kernelINS0_14default_configENS1_38merge_sort_block_merge_config_selectorIalEEZZNS1_27merge_sort_block_merge_implIS3_PaN6thrust23THRUST_200600_302600_NS10device_ptrIlEEjNS1_19radix_merge_compareILb0ELb0EaNS0_19identity_decomposerEEEEE10hipError_tT0_T1_T2_jT3_P12ihipStream_tbPNSt15iterator_traitsISG_E10value_typeEPNSM_ISH_E10value_typeEPSI_NS1_7vsmem_tEENKUlT_SG_SH_SI_E_clIS7_S7_PlSB_EESF_SV_SG_SH_SI_EUlSV_E1_NS1_11comp_targetILNS1_3genE8ELNS1_11target_archE1030ELNS1_3gpuE2ELNS1_3repE0EEENS1_36merge_oddeven_config_static_selectorELNS0_4arch9wavefront6targetE1EEEvSH_
    .private_segment_fixed_size: 0
    .sgpr_count:     4
    .sgpr_spill_count: 0
    .symbol:         _ZN7rocprim17ROCPRIM_400000_NS6detail17trampoline_kernelINS0_14default_configENS1_38merge_sort_block_merge_config_selectorIalEEZZNS1_27merge_sort_block_merge_implIS3_PaN6thrust23THRUST_200600_302600_NS10device_ptrIlEEjNS1_19radix_merge_compareILb0ELb0EaNS0_19identity_decomposerEEEEE10hipError_tT0_T1_T2_jT3_P12ihipStream_tbPNSt15iterator_traitsISG_E10value_typeEPNSM_ISH_E10value_typeEPSI_NS1_7vsmem_tEENKUlT_SG_SH_SI_E_clIS7_S7_PlSB_EESF_SV_SG_SH_SI_EUlSV_E1_NS1_11comp_targetILNS1_3genE8ELNS1_11target_archE1030ELNS1_3gpuE2ELNS1_3repE0EEENS1_36merge_oddeven_config_static_selectorELNS0_4arch9wavefront6targetE1EEEvSH_.kd
    .uniform_work_group_size: 1
    .uses_dynamic_stack: false
    .vgpr_count:     0
    .vgpr_spill_count: 0
    .wavefront_size: 64
  - .args:
      - .offset:         0
        .size:           40
        .value_kind:     by_value
    .group_segment_fixed_size: 0
    .kernarg_segment_align: 8
    .kernarg_segment_size: 40
    .language:       OpenCL C
    .language_version:
      - 2
      - 0
    .max_flat_workgroup_size: 128
    .name:           _ZN7rocprim17ROCPRIM_400000_NS6detail17trampoline_kernelINS0_14default_configENS1_38merge_sort_block_merge_config_selectorIalEEZZNS1_27merge_sort_block_merge_implIS3_PaN6thrust23THRUST_200600_302600_NS10device_ptrIlEEjNS1_19radix_merge_compareILb0ELb0EaNS0_19identity_decomposerEEEEE10hipError_tT0_T1_T2_jT3_P12ihipStream_tbPNSt15iterator_traitsISG_E10value_typeEPNSM_ISH_E10value_typeEPSI_NS1_7vsmem_tEENKUlT_SG_SH_SI_E_clIS7_S7_SB_PlEESF_SV_SG_SH_SI_EUlSV_E_NS1_11comp_targetILNS1_3genE0ELNS1_11target_archE4294967295ELNS1_3gpuE0ELNS1_3repE0EEENS1_48merge_mergepath_partition_config_static_selectorELNS0_4arch9wavefront6targetE1EEEvSH_
    .private_segment_fixed_size: 0
    .sgpr_count:     4
    .sgpr_spill_count: 0
    .symbol:         _ZN7rocprim17ROCPRIM_400000_NS6detail17trampoline_kernelINS0_14default_configENS1_38merge_sort_block_merge_config_selectorIalEEZZNS1_27merge_sort_block_merge_implIS3_PaN6thrust23THRUST_200600_302600_NS10device_ptrIlEEjNS1_19radix_merge_compareILb0ELb0EaNS0_19identity_decomposerEEEEE10hipError_tT0_T1_T2_jT3_P12ihipStream_tbPNSt15iterator_traitsISG_E10value_typeEPNSM_ISH_E10value_typeEPSI_NS1_7vsmem_tEENKUlT_SG_SH_SI_E_clIS7_S7_SB_PlEESF_SV_SG_SH_SI_EUlSV_E_NS1_11comp_targetILNS1_3genE0ELNS1_11target_archE4294967295ELNS1_3gpuE0ELNS1_3repE0EEENS1_48merge_mergepath_partition_config_static_selectorELNS0_4arch9wavefront6targetE1EEEvSH_.kd
    .uniform_work_group_size: 1
    .uses_dynamic_stack: false
    .vgpr_count:     0
    .vgpr_spill_count: 0
    .wavefront_size: 64
  - .args:
      - .offset:         0
        .size:           40
        .value_kind:     by_value
    .group_segment_fixed_size: 0
    .kernarg_segment_align: 8
    .kernarg_segment_size: 40
    .language:       OpenCL C
    .language_version:
      - 2
      - 0
    .max_flat_workgroup_size: 128
    .name:           _ZN7rocprim17ROCPRIM_400000_NS6detail17trampoline_kernelINS0_14default_configENS1_38merge_sort_block_merge_config_selectorIalEEZZNS1_27merge_sort_block_merge_implIS3_PaN6thrust23THRUST_200600_302600_NS10device_ptrIlEEjNS1_19radix_merge_compareILb0ELb0EaNS0_19identity_decomposerEEEEE10hipError_tT0_T1_T2_jT3_P12ihipStream_tbPNSt15iterator_traitsISG_E10value_typeEPNSM_ISH_E10value_typeEPSI_NS1_7vsmem_tEENKUlT_SG_SH_SI_E_clIS7_S7_SB_PlEESF_SV_SG_SH_SI_EUlSV_E_NS1_11comp_targetILNS1_3genE10ELNS1_11target_archE1201ELNS1_3gpuE5ELNS1_3repE0EEENS1_48merge_mergepath_partition_config_static_selectorELNS0_4arch9wavefront6targetE1EEEvSH_
    .private_segment_fixed_size: 0
    .sgpr_count:     4
    .sgpr_spill_count: 0
    .symbol:         _ZN7rocprim17ROCPRIM_400000_NS6detail17trampoline_kernelINS0_14default_configENS1_38merge_sort_block_merge_config_selectorIalEEZZNS1_27merge_sort_block_merge_implIS3_PaN6thrust23THRUST_200600_302600_NS10device_ptrIlEEjNS1_19radix_merge_compareILb0ELb0EaNS0_19identity_decomposerEEEEE10hipError_tT0_T1_T2_jT3_P12ihipStream_tbPNSt15iterator_traitsISG_E10value_typeEPNSM_ISH_E10value_typeEPSI_NS1_7vsmem_tEENKUlT_SG_SH_SI_E_clIS7_S7_SB_PlEESF_SV_SG_SH_SI_EUlSV_E_NS1_11comp_targetILNS1_3genE10ELNS1_11target_archE1201ELNS1_3gpuE5ELNS1_3repE0EEENS1_48merge_mergepath_partition_config_static_selectorELNS0_4arch9wavefront6targetE1EEEvSH_.kd
    .uniform_work_group_size: 1
    .uses_dynamic_stack: false
    .vgpr_count:     0
    .vgpr_spill_count: 0
    .wavefront_size: 64
  - .args:
      - .offset:         0
        .size:           40
        .value_kind:     by_value
    .group_segment_fixed_size: 0
    .kernarg_segment_align: 8
    .kernarg_segment_size: 40
    .language:       OpenCL C
    .language_version:
      - 2
      - 0
    .max_flat_workgroup_size: 128
    .name:           _ZN7rocprim17ROCPRIM_400000_NS6detail17trampoline_kernelINS0_14default_configENS1_38merge_sort_block_merge_config_selectorIalEEZZNS1_27merge_sort_block_merge_implIS3_PaN6thrust23THRUST_200600_302600_NS10device_ptrIlEEjNS1_19radix_merge_compareILb0ELb0EaNS0_19identity_decomposerEEEEE10hipError_tT0_T1_T2_jT3_P12ihipStream_tbPNSt15iterator_traitsISG_E10value_typeEPNSM_ISH_E10value_typeEPSI_NS1_7vsmem_tEENKUlT_SG_SH_SI_E_clIS7_S7_SB_PlEESF_SV_SG_SH_SI_EUlSV_E_NS1_11comp_targetILNS1_3genE5ELNS1_11target_archE942ELNS1_3gpuE9ELNS1_3repE0EEENS1_48merge_mergepath_partition_config_static_selectorELNS0_4arch9wavefront6targetE1EEEvSH_
    .private_segment_fixed_size: 0
    .sgpr_count:     4
    .sgpr_spill_count: 0
    .symbol:         _ZN7rocprim17ROCPRIM_400000_NS6detail17trampoline_kernelINS0_14default_configENS1_38merge_sort_block_merge_config_selectorIalEEZZNS1_27merge_sort_block_merge_implIS3_PaN6thrust23THRUST_200600_302600_NS10device_ptrIlEEjNS1_19radix_merge_compareILb0ELb0EaNS0_19identity_decomposerEEEEE10hipError_tT0_T1_T2_jT3_P12ihipStream_tbPNSt15iterator_traitsISG_E10value_typeEPNSM_ISH_E10value_typeEPSI_NS1_7vsmem_tEENKUlT_SG_SH_SI_E_clIS7_S7_SB_PlEESF_SV_SG_SH_SI_EUlSV_E_NS1_11comp_targetILNS1_3genE5ELNS1_11target_archE942ELNS1_3gpuE9ELNS1_3repE0EEENS1_48merge_mergepath_partition_config_static_selectorELNS0_4arch9wavefront6targetE1EEEvSH_.kd
    .uniform_work_group_size: 1
    .uses_dynamic_stack: false
    .vgpr_count:     0
    .vgpr_spill_count: 0
    .wavefront_size: 64
  - .args:
      - .offset:         0
        .size:           40
        .value_kind:     by_value
    .group_segment_fixed_size: 0
    .kernarg_segment_align: 8
    .kernarg_segment_size: 40
    .language:       OpenCL C
    .language_version:
      - 2
      - 0
    .max_flat_workgroup_size: 128
    .name:           _ZN7rocprim17ROCPRIM_400000_NS6detail17trampoline_kernelINS0_14default_configENS1_38merge_sort_block_merge_config_selectorIalEEZZNS1_27merge_sort_block_merge_implIS3_PaN6thrust23THRUST_200600_302600_NS10device_ptrIlEEjNS1_19radix_merge_compareILb0ELb0EaNS0_19identity_decomposerEEEEE10hipError_tT0_T1_T2_jT3_P12ihipStream_tbPNSt15iterator_traitsISG_E10value_typeEPNSM_ISH_E10value_typeEPSI_NS1_7vsmem_tEENKUlT_SG_SH_SI_E_clIS7_S7_SB_PlEESF_SV_SG_SH_SI_EUlSV_E_NS1_11comp_targetILNS1_3genE4ELNS1_11target_archE910ELNS1_3gpuE8ELNS1_3repE0EEENS1_48merge_mergepath_partition_config_static_selectorELNS0_4arch9wavefront6targetE1EEEvSH_
    .private_segment_fixed_size: 0
    .sgpr_count:     4
    .sgpr_spill_count: 0
    .symbol:         _ZN7rocprim17ROCPRIM_400000_NS6detail17trampoline_kernelINS0_14default_configENS1_38merge_sort_block_merge_config_selectorIalEEZZNS1_27merge_sort_block_merge_implIS3_PaN6thrust23THRUST_200600_302600_NS10device_ptrIlEEjNS1_19radix_merge_compareILb0ELb0EaNS0_19identity_decomposerEEEEE10hipError_tT0_T1_T2_jT3_P12ihipStream_tbPNSt15iterator_traitsISG_E10value_typeEPNSM_ISH_E10value_typeEPSI_NS1_7vsmem_tEENKUlT_SG_SH_SI_E_clIS7_S7_SB_PlEESF_SV_SG_SH_SI_EUlSV_E_NS1_11comp_targetILNS1_3genE4ELNS1_11target_archE910ELNS1_3gpuE8ELNS1_3repE0EEENS1_48merge_mergepath_partition_config_static_selectorELNS0_4arch9wavefront6targetE1EEEvSH_.kd
    .uniform_work_group_size: 1
    .uses_dynamic_stack: false
    .vgpr_count:     0
    .vgpr_spill_count: 0
    .wavefront_size: 64
  - .args:
      - .offset:         0
        .size:           40
        .value_kind:     by_value
    .group_segment_fixed_size: 0
    .kernarg_segment_align: 8
    .kernarg_segment_size: 40
    .language:       OpenCL C
    .language_version:
      - 2
      - 0
    .max_flat_workgroup_size: 128
    .name:           _ZN7rocprim17ROCPRIM_400000_NS6detail17trampoline_kernelINS0_14default_configENS1_38merge_sort_block_merge_config_selectorIalEEZZNS1_27merge_sort_block_merge_implIS3_PaN6thrust23THRUST_200600_302600_NS10device_ptrIlEEjNS1_19radix_merge_compareILb0ELb0EaNS0_19identity_decomposerEEEEE10hipError_tT0_T1_T2_jT3_P12ihipStream_tbPNSt15iterator_traitsISG_E10value_typeEPNSM_ISH_E10value_typeEPSI_NS1_7vsmem_tEENKUlT_SG_SH_SI_E_clIS7_S7_SB_PlEESF_SV_SG_SH_SI_EUlSV_E_NS1_11comp_targetILNS1_3genE3ELNS1_11target_archE908ELNS1_3gpuE7ELNS1_3repE0EEENS1_48merge_mergepath_partition_config_static_selectorELNS0_4arch9wavefront6targetE1EEEvSH_
    .private_segment_fixed_size: 0
    .sgpr_count:     4
    .sgpr_spill_count: 0
    .symbol:         _ZN7rocprim17ROCPRIM_400000_NS6detail17trampoline_kernelINS0_14default_configENS1_38merge_sort_block_merge_config_selectorIalEEZZNS1_27merge_sort_block_merge_implIS3_PaN6thrust23THRUST_200600_302600_NS10device_ptrIlEEjNS1_19radix_merge_compareILb0ELb0EaNS0_19identity_decomposerEEEEE10hipError_tT0_T1_T2_jT3_P12ihipStream_tbPNSt15iterator_traitsISG_E10value_typeEPNSM_ISH_E10value_typeEPSI_NS1_7vsmem_tEENKUlT_SG_SH_SI_E_clIS7_S7_SB_PlEESF_SV_SG_SH_SI_EUlSV_E_NS1_11comp_targetILNS1_3genE3ELNS1_11target_archE908ELNS1_3gpuE7ELNS1_3repE0EEENS1_48merge_mergepath_partition_config_static_selectorELNS0_4arch9wavefront6targetE1EEEvSH_.kd
    .uniform_work_group_size: 1
    .uses_dynamic_stack: false
    .vgpr_count:     0
    .vgpr_spill_count: 0
    .wavefront_size: 64
  - .args:
      - .offset:         0
        .size:           40
        .value_kind:     by_value
    .group_segment_fixed_size: 0
    .kernarg_segment_align: 8
    .kernarg_segment_size: 40
    .language:       OpenCL C
    .language_version:
      - 2
      - 0
    .max_flat_workgroup_size: 128
    .name:           _ZN7rocprim17ROCPRIM_400000_NS6detail17trampoline_kernelINS0_14default_configENS1_38merge_sort_block_merge_config_selectorIalEEZZNS1_27merge_sort_block_merge_implIS3_PaN6thrust23THRUST_200600_302600_NS10device_ptrIlEEjNS1_19radix_merge_compareILb0ELb0EaNS0_19identity_decomposerEEEEE10hipError_tT0_T1_T2_jT3_P12ihipStream_tbPNSt15iterator_traitsISG_E10value_typeEPNSM_ISH_E10value_typeEPSI_NS1_7vsmem_tEENKUlT_SG_SH_SI_E_clIS7_S7_SB_PlEESF_SV_SG_SH_SI_EUlSV_E_NS1_11comp_targetILNS1_3genE2ELNS1_11target_archE906ELNS1_3gpuE6ELNS1_3repE0EEENS1_48merge_mergepath_partition_config_static_selectorELNS0_4arch9wavefront6targetE1EEEvSH_
    .private_segment_fixed_size: 0
    .sgpr_count:     12
    .sgpr_spill_count: 0
    .symbol:         _ZN7rocprim17ROCPRIM_400000_NS6detail17trampoline_kernelINS0_14default_configENS1_38merge_sort_block_merge_config_selectorIalEEZZNS1_27merge_sort_block_merge_implIS3_PaN6thrust23THRUST_200600_302600_NS10device_ptrIlEEjNS1_19radix_merge_compareILb0ELb0EaNS0_19identity_decomposerEEEEE10hipError_tT0_T1_T2_jT3_P12ihipStream_tbPNSt15iterator_traitsISG_E10value_typeEPNSM_ISH_E10value_typeEPSI_NS1_7vsmem_tEENKUlT_SG_SH_SI_E_clIS7_S7_SB_PlEESF_SV_SG_SH_SI_EUlSV_E_NS1_11comp_targetILNS1_3genE2ELNS1_11target_archE906ELNS1_3gpuE6ELNS1_3repE0EEENS1_48merge_mergepath_partition_config_static_selectorELNS0_4arch9wavefront6targetE1EEEvSH_.kd
    .uniform_work_group_size: 1
    .uses_dynamic_stack: false
    .vgpr_count:     16
    .vgpr_spill_count: 0
    .wavefront_size: 64
  - .args:
      - .offset:         0
        .size:           40
        .value_kind:     by_value
    .group_segment_fixed_size: 0
    .kernarg_segment_align: 8
    .kernarg_segment_size: 40
    .language:       OpenCL C
    .language_version:
      - 2
      - 0
    .max_flat_workgroup_size: 128
    .name:           _ZN7rocprim17ROCPRIM_400000_NS6detail17trampoline_kernelINS0_14default_configENS1_38merge_sort_block_merge_config_selectorIalEEZZNS1_27merge_sort_block_merge_implIS3_PaN6thrust23THRUST_200600_302600_NS10device_ptrIlEEjNS1_19radix_merge_compareILb0ELb0EaNS0_19identity_decomposerEEEEE10hipError_tT0_T1_T2_jT3_P12ihipStream_tbPNSt15iterator_traitsISG_E10value_typeEPNSM_ISH_E10value_typeEPSI_NS1_7vsmem_tEENKUlT_SG_SH_SI_E_clIS7_S7_SB_PlEESF_SV_SG_SH_SI_EUlSV_E_NS1_11comp_targetILNS1_3genE9ELNS1_11target_archE1100ELNS1_3gpuE3ELNS1_3repE0EEENS1_48merge_mergepath_partition_config_static_selectorELNS0_4arch9wavefront6targetE1EEEvSH_
    .private_segment_fixed_size: 0
    .sgpr_count:     4
    .sgpr_spill_count: 0
    .symbol:         _ZN7rocprim17ROCPRIM_400000_NS6detail17trampoline_kernelINS0_14default_configENS1_38merge_sort_block_merge_config_selectorIalEEZZNS1_27merge_sort_block_merge_implIS3_PaN6thrust23THRUST_200600_302600_NS10device_ptrIlEEjNS1_19radix_merge_compareILb0ELb0EaNS0_19identity_decomposerEEEEE10hipError_tT0_T1_T2_jT3_P12ihipStream_tbPNSt15iterator_traitsISG_E10value_typeEPNSM_ISH_E10value_typeEPSI_NS1_7vsmem_tEENKUlT_SG_SH_SI_E_clIS7_S7_SB_PlEESF_SV_SG_SH_SI_EUlSV_E_NS1_11comp_targetILNS1_3genE9ELNS1_11target_archE1100ELNS1_3gpuE3ELNS1_3repE0EEENS1_48merge_mergepath_partition_config_static_selectorELNS0_4arch9wavefront6targetE1EEEvSH_.kd
    .uniform_work_group_size: 1
    .uses_dynamic_stack: false
    .vgpr_count:     0
    .vgpr_spill_count: 0
    .wavefront_size: 64
  - .args:
      - .offset:         0
        .size:           40
        .value_kind:     by_value
    .group_segment_fixed_size: 0
    .kernarg_segment_align: 8
    .kernarg_segment_size: 40
    .language:       OpenCL C
    .language_version:
      - 2
      - 0
    .max_flat_workgroup_size: 128
    .name:           _ZN7rocprim17ROCPRIM_400000_NS6detail17trampoline_kernelINS0_14default_configENS1_38merge_sort_block_merge_config_selectorIalEEZZNS1_27merge_sort_block_merge_implIS3_PaN6thrust23THRUST_200600_302600_NS10device_ptrIlEEjNS1_19radix_merge_compareILb0ELb0EaNS0_19identity_decomposerEEEEE10hipError_tT0_T1_T2_jT3_P12ihipStream_tbPNSt15iterator_traitsISG_E10value_typeEPNSM_ISH_E10value_typeEPSI_NS1_7vsmem_tEENKUlT_SG_SH_SI_E_clIS7_S7_SB_PlEESF_SV_SG_SH_SI_EUlSV_E_NS1_11comp_targetILNS1_3genE8ELNS1_11target_archE1030ELNS1_3gpuE2ELNS1_3repE0EEENS1_48merge_mergepath_partition_config_static_selectorELNS0_4arch9wavefront6targetE1EEEvSH_
    .private_segment_fixed_size: 0
    .sgpr_count:     4
    .sgpr_spill_count: 0
    .symbol:         _ZN7rocprim17ROCPRIM_400000_NS6detail17trampoline_kernelINS0_14default_configENS1_38merge_sort_block_merge_config_selectorIalEEZZNS1_27merge_sort_block_merge_implIS3_PaN6thrust23THRUST_200600_302600_NS10device_ptrIlEEjNS1_19radix_merge_compareILb0ELb0EaNS0_19identity_decomposerEEEEE10hipError_tT0_T1_T2_jT3_P12ihipStream_tbPNSt15iterator_traitsISG_E10value_typeEPNSM_ISH_E10value_typeEPSI_NS1_7vsmem_tEENKUlT_SG_SH_SI_E_clIS7_S7_SB_PlEESF_SV_SG_SH_SI_EUlSV_E_NS1_11comp_targetILNS1_3genE8ELNS1_11target_archE1030ELNS1_3gpuE2ELNS1_3repE0EEENS1_48merge_mergepath_partition_config_static_selectorELNS0_4arch9wavefront6targetE1EEEvSH_.kd
    .uniform_work_group_size: 1
    .uses_dynamic_stack: false
    .vgpr_count:     0
    .vgpr_spill_count: 0
    .wavefront_size: 64
  - .args:
      - .offset:         0
        .size:           64
        .value_kind:     by_value
    .group_segment_fixed_size: 0
    .kernarg_segment_align: 8
    .kernarg_segment_size: 64
    .language:       OpenCL C
    .language_version:
      - 2
      - 0
    .max_flat_workgroup_size: 512
    .name:           _ZN7rocprim17ROCPRIM_400000_NS6detail17trampoline_kernelINS0_14default_configENS1_38merge_sort_block_merge_config_selectorIalEEZZNS1_27merge_sort_block_merge_implIS3_PaN6thrust23THRUST_200600_302600_NS10device_ptrIlEEjNS1_19radix_merge_compareILb0ELb0EaNS0_19identity_decomposerEEEEE10hipError_tT0_T1_T2_jT3_P12ihipStream_tbPNSt15iterator_traitsISG_E10value_typeEPNSM_ISH_E10value_typeEPSI_NS1_7vsmem_tEENKUlT_SG_SH_SI_E_clIS7_S7_SB_PlEESF_SV_SG_SH_SI_EUlSV_E0_NS1_11comp_targetILNS1_3genE0ELNS1_11target_archE4294967295ELNS1_3gpuE0ELNS1_3repE0EEENS1_38merge_mergepath_config_static_selectorELNS0_4arch9wavefront6targetE1EEEvSH_
    .private_segment_fixed_size: 0
    .sgpr_count:     4
    .sgpr_spill_count: 0
    .symbol:         _ZN7rocprim17ROCPRIM_400000_NS6detail17trampoline_kernelINS0_14default_configENS1_38merge_sort_block_merge_config_selectorIalEEZZNS1_27merge_sort_block_merge_implIS3_PaN6thrust23THRUST_200600_302600_NS10device_ptrIlEEjNS1_19radix_merge_compareILb0ELb0EaNS0_19identity_decomposerEEEEE10hipError_tT0_T1_T2_jT3_P12ihipStream_tbPNSt15iterator_traitsISG_E10value_typeEPNSM_ISH_E10value_typeEPSI_NS1_7vsmem_tEENKUlT_SG_SH_SI_E_clIS7_S7_SB_PlEESF_SV_SG_SH_SI_EUlSV_E0_NS1_11comp_targetILNS1_3genE0ELNS1_11target_archE4294967295ELNS1_3gpuE0ELNS1_3repE0EEENS1_38merge_mergepath_config_static_selectorELNS0_4arch9wavefront6targetE1EEEvSH_.kd
    .uniform_work_group_size: 1
    .uses_dynamic_stack: false
    .vgpr_count:     0
    .vgpr_spill_count: 0
    .wavefront_size: 64
  - .args:
      - .offset:         0
        .size:           64
        .value_kind:     by_value
    .group_segment_fixed_size: 0
    .kernarg_segment_align: 8
    .kernarg_segment_size: 64
    .language:       OpenCL C
    .language_version:
      - 2
      - 0
    .max_flat_workgroup_size: 128
    .name:           _ZN7rocprim17ROCPRIM_400000_NS6detail17trampoline_kernelINS0_14default_configENS1_38merge_sort_block_merge_config_selectorIalEEZZNS1_27merge_sort_block_merge_implIS3_PaN6thrust23THRUST_200600_302600_NS10device_ptrIlEEjNS1_19radix_merge_compareILb0ELb0EaNS0_19identity_decomposerEEEEE10hipError_tT0_T1_T2_jT3_P12ihipStream_tbPNSt15iterator_traitsISG_E10value_typeEPNSM_ISH_E10value_typeEPSI_NS1_7vsmem_tEENKUlT_SG_SH_SI_E_clIS7_S7_SB_PlEESF_SV_SG_SH_SI_EUlSV_E0_NS1_11comp_targetILNS1_3genE10ELNS1_11target_archE1201ELNS1_3gpuE5ELNS1_3repE0EEENS1_38merge_mergepath_config_static_selectorELNS0_4arch9wavefront6targetE1EEEvSH_
    .private_segment_fixed_size: 0
    .sgpr_count:     4
    .sgpr_spill_count: 0
    .symbol:         _ZN7rocprim17ROCPRIM_400000_NS6detail17trampoline_kernelINS0_14default_configENS1_38merge_sort_block_merge_config_selectorIalEEZZNS1_27merge_sort_block_merge_implIS3_PaN6thrust23THRUST_200600_302600_NS10device_ptrIlEEjNS1_19radix_merge_compareILb0ELb0EaNS0_19identity_decomposerEEEEE10hipError_tT0_T1_T2_jT3_P12ihipStream_tbPNSt15iterator_traitsISG_E10value_typeEPNSM_ISH_E10value_typeEPSI_NS1_7vsmem_tEENKUlT_SG_SH_SI_E_clIS7_S7_SB_PlEESF_SV_SG_SH_SI_EUlSV_E0_NS1_11comp_targetILNS1_3genE10ELNS1_11target_archE1201ELNS1_3gpuE5ELNS1_3repE0EEENS1_38merge_mergepath_config_static_selectorELNS0_4arch9wavefront6targetE1EEEvSH_.kd
    .uniform_work_group_size: 1
    .uses_dynamic_stack: false
    .vgpr_count:     0
    .vgpr_spill_count: 0
    .wavefront_size: 64
  - .args:
      - .offset:         0
        .size:           64
        .value_kind:     by_value
    .group_segment_fixed_size: 0
    .kernarg_segment_align: 8
    .kernarg_segment_size: 64
    .language:       OpenCL C
    .language_version:
      - 2
      - 0
    .max_flat_workgroup_size: 128
    .name:           _ZN7rocprim17ROCPRIM_400000_NS6detail17trampoline_kernelINS0_14default_configENS1_38merge_sort_block_merge_config_selectorIalEEZZNS1_27merge_sort_block_merge_implIS3_PaN6thrust23THRUST_200600_302600_NS10device_ptrIlEEjNS1_19radix_merge_compareILb0ELb0EaNS0_19identity_decomposerEEEEE10hipError_tT0_T1_T2_jT3_P12ihipStream_tbPNSt15iterator_traitsISG_E10value_typeEPNSM_ISH_E10value_typeEPSI_NS1_7vsmem_tEENKUlT_SG_SH_SI_E_clIS7_S7_SB_PlEESF_SV_SG_SH_SI_EUlSV_E0_NS1_11comp_targetILNS1_3genE5ELNS1_11target_archE942ELNS1_3gpuE9ELNS1_3repE0EEENS1_38merge_mergepath_config_static_selectorELNS0_4arch9wavefront6targetE1EEEvSH_
    .private_segment_fixed_size: 0
    .sgpr_count:     4
    .sgpr_spill_count: 0
    .symbol:         _ZN7rocprim17ROCPRIM_400000_NS6detail17trampoline_kernelINS0_14default_configENS1_38merge_sort_block_merge_config_selectorIalEEZZNS1_27merge_sort_block_merge_implIS3_PaN6thrust23THRUST_200600_302600_NS10device_ptrIlEEjNS1_19radix_merge_compareILb0ELb0EaNS0_19identity_decomposerEEEEE10hipError_tT0_T1_T2_jT3_P12ihipStream_tbPNSt15iterator_traitsISG_E10value_typeEPNSM_ISH_E10value_typeEPSI_NS1_7vsmem_tEENKUlT_SG_SH_SI_E_clIS7_S7_SB_PlEESF_SV_SG_SH_SI_EUlSV_E0_NS1_11comp_targetILNS1_3genE5ELNS1_11target_archE942ELNS1_3gpuE9ELNS1_3repE0EEENS1_38merge_mergepath_config_static_selectorELNS0_4arch9wavefront6targetE1EEEvSH_.kd
    .uniform_work_group_size: 1
    .uses_dynamic_stack: false
    .vgpr_count:     0
    .vgpr_spill_count: 0
    .wavefront_size: 64
  - .args:
      - .offset:         0
        .size:           64
        .value_kind:     by_value
    .group_segment_fixed_size: 0
    .kernarg_segment_align: 8
    .kernarg_segment_size: 64
    .language:       OpenCL C
    .language_version:
      - 2
      - 0
    .max_flat_workgroup_size: 256
    .name:           _ZN7rocprim17ROCPRIM_400000_NS6detail17trampoline_kernelINS0_14default_configENS1_38merge_sort_block_merge_config_selectorIalEEZZNS1_27merge_sort_block_merge_implIS3_PaN6thrust23THRUST_200600_302600_NS10device_ptrIlEEjNS1_19radix_merge_compareILb0ELb0EaNS0_19identity_decomposerEEEEE10hipError_tT0_T1_T2_jT3_P12ihipStream_tbPNSt15iterator_traitsISG_E10value_typeEPNSM_ISH_E10value_typeEPSI_NS1_7vsmem_tEENKUlT_SG_SH_SI_E_clIS7_S7_SB_PlEESF_SV_SG_SH_SI_EUlSV_E0_NS1_11comp_targetILNS1_3genE4ELNS1_11target_archE910ELNS1_3gpuE8ELNS1_3repE0EEENS1_38merge_mergepath_config_static_selectorELNS0_4arch9wavefront6targetE1EEEvSH_
    .private_segment_fixed_size: 0
    .sgpr_count:     4
    .sgpr_spill_count: 0
    .symbol:         _ZN7rocprim17ROCPRIM_400000_NS6detail17trampoline_kernelINS0_14default_configENS1_38merge_sort_block_merge_config_selectorIalEEZZNS1_27merge_sort_block_merge_implIS3_PaN6thrust23THRUST_200600_302600_NS10device_ptrIlEEjNS1_19radix_merge_compareILb0ELb0EaNS0_19identity_decomposerEEEEE10hipError_tT0_T1_T2_jT3_P12ihipStream_tbPNSt15iterator_traitsISG_E10value_typeEPNSM_ISH_E10value_typeEPSI_NS1_7vsmem_tEENKUlT_SG_SH_SI_E_clIS7_S7_SB_PlEESF_SV_SG_SH_SI_EUlSV_E0_NS1_11comp_targetILNS1_3genE4ELNS1_11target_archE910ELNS1_3gpuE8ELNS1_3repE0EEENS1_38merge_mergepath_config_static_selectorELNS0_4arch9wavefront6targetE1EEEvSH_.kd
    .uniform_work_group_size: 1
    .uses_dynamic_stack: false
    .vgpr_count:     0
    .vgpr_spill_count: 0
    .wavefront_size: 64
  - .args:
      - .offset:         0
        .size:           64
        .value_kind:     by_value
    .group_segment_fixed_size: 0
    .kernarg_segment_align: 8
    .kernarg_segment_size: 64
    .language:       OpenCL C
    .language_version:
      - 2
      - 0
    .max_flat_workgroup_size: 512
    .name:           _ZN7rocprim17ROCPRIM_400000_NS6detail17trampoline_kernelINS0_14default_configENS1_38merge_sort_block_merge_config_selectorIalEEZZNS1_27merge_sort_block_merge_implIS3_PaN6thrust23THRUST_200600_302600_NS10device_ptrIlEEjNS1_19radix_merge_compareILb0ELb0EaNS0_19identity_decomposerEEEEE10hipError_tT0_T1_T2_jT3_P12ihipStream_tbPNSt15iterator_traitsISG_E10value_typeEPNSM_ISH_E10value_typeEPSI_NS1_7vsmem_tEENKUlT_SG_SH_SI_E_clIS7_S7_SB_PlEESF_SV_SG_SH_SI_EUlSV_E0_NS1_11comp_targetILNS1_3genE3ELNS1_11target_archE908ELNS1_3gpuE7ELNS1_3repE0EEENS1_38merge_mergepath_config_static_selectorELNS0_4arch9wavefront6targetE1EEEvSH_
    .private_segment_fixed_size: 0
    .sgpr_count:     4
    .sgpr_spill_count: 0
    .symbol:         _ZN7rocprim17ROCPRIM_400000_NS6detail17trampoline_kernelINS0_14default_configENS1_38merge_sort_block_merge_config_selectorIalEEZZNS1_27merge_sort_block_merge_implIS3_PaN6thrust23THRUST_200600_302600_NS10device_ptrIlEEjNS1_19radix_merge_compareILb0ELb0EaNS0_19identity_decomposerEEEEE10hipError_tT0_T1_T2_jT3_P12ihipStream_tbPNSt15iterator_traitsISG_E10value_typeEPNSM_ISH_E10value_typeEPSI_NS1_7vsmem_tEENKUlT_SG_SH_SI_E_clIS7_S7_SB_PlEESF_SV_SG_SH_SI_EUlSV_E0_NS1_11comp_targetILNS1_3genE3ELNS1_11target_archE908ELNS1_3gpuE7ELNS1_3repE0EEENS1_38merge_mergepath_config_static_selectorELNS0_4arch9wavefront6targetE1EEEvSH_.kd
    .uniform_work_group_size: 1
    .uses_dynamic_stack: false
    .vgpr_count:     0
    .vgpr_spill_count: 0
    .wavefront_size: 64
  - .args:
      - .offset:         0
        .size:           64
        .value_kind:     by_value
      - .offset:         64
        .size:           4
        .value_kind:     hidden_block_count_x
      - .offset:         68
        .size:           4
        .value_kind:     hidden_block_count_y
      - .offset:         72
        .size:           4
        .value_kind:     hidden_block_count_z
      - .offset:         76
        .size:           2
        .value_kind:     hidden_group_size_x
      - .offset:         78
        .size:           2
        .value_kind:     hidden_group_size_y
      - .offset:         80
        .size:           2
        .value_kind:     hidden_group_size_z
      - .offset:         82
        .size:           2
        .value_kind:     hidden_remainder_x
      - .offset:         84
        .size:           2
        .value_kind:     hidden_remainder_y
      - .offset:         86
        .size:           2
        .value_kind:     hidden_remainder_z
      - .offset:         104
        .size:           8
        .value_kind:     hidden_global_offset_x
      - .offset:         112
        .size:           8
        .value_kind:     hidden_global_offset_y
      - .offset:         120
        .size:           8
        .value_kind:     hidden_global_offset_z
      - .offset:         128
        .size:           2
        .value_kind:     hidden_grid_dims
    .group_segment_fixed_size: 8448
    .kernarg_segment_align: 8
    .kernarg_segment_size: 320
    .language:       OpenCL C
    .language_version:
      - 2
      - 0
    .max_flat_workgroup_size: 256
    .name:           _ZN7rocprim17ROCPRIM_400000_NS6detail17trampoline_kernelINS0_14default_configENS1_38merge_sort_block_merge_config_selectorIalEEZZNS1_27merge_sort_block_merge_implIS3_PaN6thrust23THRUST_200600_302600_NS10device_ptrIlEEjNS1_19radix_merge_compareILb0ELb0EaNS0_19identity_decomposerEEEEE10hipError_tT0_T1_T2_jT3_P12ihipStream_tbPNSt15iterator_traitsISG_E10value_typeEPNSM_ISH_E10value_typeEPSI_NS1_7vsmem_tEENKUlT_SG_SH_SI_E_clIS7_S7_SB_PlEESF_SV_SG_SH_SI_EUlSV_E0_NS1_11comp_targetILNS1_3genE2ELNS1_11target_archE906ELNS1_3gpuE6ELNS1_3repE0EEENS1_38merge_mergepath_config_static_selectorELNS0_4arch9wavefront6targetE1EEEvSH_
    .private_segment_fixed_size: 0
    .sgpr_count:     33
    .sgpr_spill_count: 0
    .symbol:         _ZN7rocprim17ROCPRIM_400000_NS6detail17trampoline_kernelINS0_14default_configENS1_38merge_sort_block_merge_config_selectorIalEEZZNS1_27merge_sort_block_merge_implIS3_PaN6thrust23THRUST_200600_302600_NS10device_ptrIlEEjNS1_19radix_merge_compareILb0ELb0EaNS0_19identity_decomposerEEEEE10hipError_tT0_T1_T2_jT3_P12ihipStream_tbPNSt15iterator_traitsISG_E10value_typeEPNSM_ISH_E10value_typeEPSI_NS1_7vsmem_tEENKUlT_SG_SH_SI_E_clIS7_S7_SB_PlEESF_SV_SG_SH_SI_EUlSV_E0_NS1_11comp_targetILNS1_3genE2ELNS1_11target_archE906ELNS1_3gpuE6ELNS1_3repE0EEENS1_38merge_mergepath_config_static_selectorELNS0_4arch9wavefront6targetE1EEEvSH_.kd
    .uniform_work_group_size: 1
    .uses_dynamic_stack: false
    .vgpr_count:     35
    .vgpr_spill_count: 0
    .wavefront_size: 64
  - .args:
      - .offset:         0
        .size:           64
        .value_kind:     by_value
    .group_segment_fixed_size: 0
    .kernarg_segment_align: 8
    .kernarg_segment_size: 64
    .language:       OpenCL C
    .language_version:
      - 2
      - 0
    .max_flat_workgroup_size: 512
    .name:           _ZN7rocprim17ROCPRIM_400000_NS6detail17trampoline_kernelINS0_14default_configENS1_38merge_sort_block_merge_config_selectorIalEEZZNS1_27merge_sort_block_merge_implIS3_PaN6thrust23THRUST_200600_302600_NS10device_ptrIlEEjNS1_19radix_merge_compareILb0ELb0EaNS0_19identity_decomposerEEEEE10hipError_tT0_T1_T2_jT3_P12ihipStream_tbPNSt15iterator_traitsISG_E10value_typeEPNSM_ISH_E10value_typeEPSI_NS1_7vsmem_tEENKUlT_SG_SH_SI_E_clIS7_S7_SB_PlEESF_SV_SG_SH_SI_EUlSV_E0_NS1_11comp_targetILNS1_3genE9ELNS1_11target_archE1100ELNS1_3gpuE3ELNS1_3repE0EEENS1_38merge_mergepath_config_static_selectorELNS0_4arch9wavefront6targetE1EEEvSH_
    .private_segment_fixed_size: 0
    .sgpr_count:     4
    .sgpr_spill_count: 0
    .symbol:         _ZN7rocprim17ROCPRIM_400000_NS6detail17trampoline_kernelINS0_14default_configENS1_38merge_sort_block_merge_config_selectorIalEEZZNS1_27merge_sort_block_merge_implIS3_PaN6thrust23THRUST_200600_302600_NS10device_ptrIlEEjNS1_19radix_merge_compareILb0ELb0EaNS0_19identity_decomposerEEEEE10hipError_tT0_T1_T2_jT3_P12ihipStream_tbPNSt15iterator_traitsISG_E10value_typeEPNSM_ISH_E10value_typeEPSI_NS1_7vsmem_tEENKUlT_SG_SH_SI_E_clIS7_S7_SB_PlEESF_SV_SG_SH_SI_EUlSV_E0_NS1_11comp_targetILNS1_3genE9ELNS1_11target_archE1100ELNS1_3gpuE3ELNS1_3repE0EEENS1_38merge_mergepath_config_static_selectorELNS0_4arch9wavefront6targetE1EEEvSH_.kd
    .uniform_work_group_size: 1
    .uses_dynamic_stack: false
    .vgpr_count:     0
    .vgpr_spill_count: 0
    .wavefront_size: 64
  - .args:
      - .offset:         0
        .size:           64
        .value_kind:     by_value
    .group_segment_fixed_size: 0
    .kernarg_segment_align: 8
    .kernarg_segment_size: 64
    .language:       OpenCL C
    .language_version:
      - 2
      - 0
    .max_flat_workgroup_size: 1024
    .name:           _ZN7rocprim17ROCPRIM_400000_NS6detail17trampoline_kernelINS0_14default_configENS1_38merge_sort_block_merge_config_selectorIalEEZZNS1_27merge_sort_block_merge_implIS3_PaN6thrust23THRUST_200600_302600_NS10device_ptrIlEEjNS1_19radix_merge_compareILb0ELb0EaNS0_19identity_decomposerEEEEE10hipError_tT0_T1_T2_jT3_P12ihipStream_tbPNSt15iterator_traitsISG_E10value_typeEPNSM_ISH_E10value_typeEPSI_NS1_7vsmem_tEENKUlT_SG_SH_SI_E_clIS7_S7_SB_PlEESF_SV_SG_SH_SI_EUlSV_E0_NS1_11comp_targetILNS1_3genE8ELNS1_11target_archE1030ELNS1_3gpuE2ELNS1_3repE0EEENS1_38merge_mergepath_config_static_selectorELNS0_4arch9wavefront6targetE1EEEvSH_
    .private_segment_fixed_size: 0
    .sgpr_count:     4
    .sgpr_spill_count: 0
    .symbol:         _ZN7rocprim17ROCPRIM_400000_NS6detail17trampoline_kernelINS0_14default_configENS1_38merge_sort_block_merge_config_selectorIalEEZZNS1_27merge_sort_block_merge_implIS3_PaN6thrust23THRUST_200600_302600_NS10device_ptrIlEEjNS1_19radix_merge_compareILb0ELb0EaNS0_19identity_decomposerEEEEE10hipError_tT0_T1_T2_jT3_P12ihipStream_tbPNSt15iterator_traitsISG_E10value_typeEPNSM_ISH_E10value_typeEPSI_NS1_7vsmem_tEENKUlT_SG_SH_SI_E_clIS7_S7_SB_PlEESF_SV_SG_SH_SI_EUlSV_E0_NS1_11comp_targetILNS1_3genE8ELNS1_11target_archE1030ELNS1_3gpuE2ELNS1_3repE0EEENS1_38merge_mergepath_config_static_selectorELNS0_4arch9wavefront6targetE1EEEvSH_.kd
    .uniform_work_group_size: 1
    .uses_dynamic_stack: false
    .vgpr_count:     0
    .vgpr_spill_count: 0
    .wavefront_size: 64
  - .args:
      - .offset:         0
        .size:           48
        .value_kind:     by_value
    .group_segment_fixed_size: 0
    .kernarg_segment_align: 8
    .kernarg_segment_size: 48
    .language:       OpenCL C
    .language_version:
      - 2
      - 0
    .max_flat_workgroup_size: 256
    .name:           _ZN7rocprim17ROCPRIM_400000_NS6detail17trampoline_kernelINS0_14default_configENS1_38merge_sort_block_merge_config_selectorIalEEZZNS1_27merge_sort_block_merge_implIS3_PaN6thrust23THRUST_200600_302600_NS10device_ptrIlEEjNS1_19radix_merge_compareILb0ELb0EaNS0_19identity_decomposerEEEEE10hipError_tT0_T1_T2_jT3_P12ihipStream_tbPNSt15iterator_traitsISG_E10value_typeEPNSM_ISH_E10value_typeEPSI_NS1_7vsmem_tEENKUlT_SG_SH_SI_E_clIS7_S7_SB_PlEESF_SV_SG_SH_SI_EUlSV_E1_NS1_11comp_targetILNS1_3genE0ELNS1_11target_archE4294967295ELNS1_3gpuE0ELNS1_3repE0EEENS1_36merge_oddeven_config_static_selectorELNS0_4arch9wavefront6targetE1EEEvSH_
    .private_segment_fixed_size: 0
    .sgpr_count:     4
    .sgpr_spill_count: 0
    .symbol:         _ZN7rocprim17ROCPRIM_400000_NS6detail17trampoline_kernelINS0_14default_configENS1_38merge_sort_block_merge_config_selectorIalEEZZNS1_27merge_sort_block_merge_implIS3_PaN6thrust23THRUST_200600_302600_NS10device_ptrIlEEjNS1_19radix_merge_compareILb0ELb0EaNS0_19identity_decomposerEEEEE10hipError_tT0_T1_T2_jT3_P12ihipStream_tbPNSt15iterator_traitsISG_E10value_typeEPNSM_ISH_E10value_typeEPSI_NS1_7vsmem_tEENKUlT_SG_SH_SI_E_clIS7_S7_SB_PlEESF_SV_SG_SH_SI_EUlSV_E1_NS1_11comp_targetILNS1_3genE0ELNS1_11target_archE4294967295ELNS1_3gpuE0ELNS1_3repE0EEENS1_36merge_oddeven_config_static_selectorELNS0_4arch9wavefront6targetE1EEEvSH_.kd
    .uniform_work_group_size: 1
    .uses_dynamic_stack: false
    .vgpr_count:     0
    .vgpr_spill_count: 0
    .wavefront_size: 64
  - .args:
      - .offset:         0
        .size:           48
        .value_kind:     by_value
    .group_segment_fixed_size: 0
    .kernarg_segment_align: 8
    .kernarg_segment_size: 48
    .language:       OpenCL C
    .language_version:
      - 2
      - 0
    .max_flat_workgroup_size: 256
    .name:           _ZN7rocprim17ROCPRIM_400000_NS6detail17trampoline_kernelINS0_14default_configENS1_38merge_sort_block_merge_config_selectorIalEEZZNS1_27merge_sort_block_merge_implIS3_PaN6thrust23THRUST_200600_302600_NS10device_ptrIlEEjNS1_19radix_merge_compareILb0ELb0EaNS0_19identity_decomposerEEEEE10hipError_tT0_T1_T2_jT3_P12ihipStream_tbPNSt15iterator_traitsISG_E10value_typeEPNSM_ISH_E10value_typeEPSI_NS1_7vsmem_tEENKUlT_SG_SH_SI_E_clIS7_S7_SB_PlEESF_SV_SG_SH_SI_EUlSV_E1_NS1_11comp_targetILNS1_3genE10ELNS1_11target_archE1201ELNS1_3gpuE5ELNS1_3repE0EEENS1_36merge_oddeven_config_static_selectorELNS0_4arch9wavefront6targetE1EEEvSH_
    .private_segment_fixed_size: 0
    .sgpr_count:     4
    .sgpr_spill_count: 0
    .symbol:         _ZN7rocprim17ROCPRIM_400000_NS6detail17trampoline_kernelINS0_14default_configENS1_38merge_sort_block_merge_config_selectorIalEEZZNS1_27merge_sort_block_merge_implIS3_PaN6thrust23THRUST_200600_302600_NS10device_ptrIlEEjNS1_19radix_merge_compareILb0ELb0EaNS0_19identity_decomposerEEEEE10hipError_tT0_T1_T2_jT3_P12ihipStream_tbPNSt15iterator_traitsISG_E10value_typeEPNSM_ISH_E10value_typeEPSI_NS1_7vsmem_tEENKUlT_SG_SH_SI_E_clIS7_S7_SB_PlEESF_SV_SG_SH_SI_EUlSV_E1_NS1_11comp_targetILNS1_3genE10ELNS1_11target_archE1201ELNS1_3gpuE5ELNS1_3repE0EEENS1_36merge_oddeven_config_static_selectorELNS0_4arch9wavefront6targetE1EEEvSH_.kd
    .uniform_work_group_size: 1
    .uses_dynamic_stack: false
    .vgpr_count:     0
    .vgpr_spill_count: 0
    .wavefront_size: 64
  - .args:
      - .offset:         0
        .size:           48
        .value_kind:     by_value
    .group_segment_fixed_size: 0
    .kernarg_segment_align: 8
    .kernarg_segment_size: 48
    .language:       OpenCL C
    .language_version:
      - 2
      - 0
    .max_flat_workgroup_size: 256
    .name:           _ZN7rocprim17ROCPRIM_400000_NS6detail17trampoline_kernelINS0_14default_configENS1_38merge_sort_block_merge_config_selectorIalEEZZNS1_27merge_sort_block_merge_implIS3_PaN6thrust23THRUST_200600_302600_NS10device_ptrIlEEjNS1_19radix_merge_compareILb0ELb0EaNS0_19identity_decomposerEEEEE10hipError_tT0_T1_T2_jT3_P12ihipStream_tbPNSt15iterator_traitsISG_E10value_typeEPNSM_ISH_E10value_typeEPSI_NS1_7vsmem_tEENKUlT_SG_SH_SI_E_clIS7_S7_SB_PlEESF_SV_SG_SH_SI_EUlSV_E1_NS1_11comp_targetILNS1_3genE5ELNS1_11target_archE942ELNS1_3gpuE9ELNS1_3repE0EEENS1_36merge_oddeven_config_static_selectorELNS0_4arch9wavefront6targetE1EEEvSH_
    .private_segment_fixed_size: 0
    .sgpr_count:     4
    .sgpr_spill_count: 0
    .symbol:         _ZN7rocprim17ROCPRIM_400000_NS6detail17trampoline_kernelINS0_14default_configENS1_38merge_sort_block_merge_config_selectorIalEEZZNS1_27merge_sort_block_merge_implIS3_PaN6thrust23THRUST_200600_302600_NS10device_ptrIlEEjNS1_19radix_merge_compareILb0ELb0EaNS0_19identity_decomposerEEEEE10hipError_tT0_T1_T2_jT3_P12ihipStream_tbPNSt15iterator_traitsISG_E10value_typeEPNSM_ISH_E10value_typeEPSI_NS1_7vsmem_tEENKUlT_SG_SH_SI_E_clIS7_S7_SB_PlEESF_SV_SG_SH_SI_EUlSV_E1_NS1_11comp_targetILNS1_3genE5ELNS1_11target_archE942ELNS1_3gpuE9ELNS1_3repE0EEENS1_36merge_oddeven_config_static_selectorELNS0_4arch9wavefront6targetE1EEEvSH_.kd
    .uniform_work_group_size: 1
    .uses_dynamic_stack: false
    .vgpr_count:     0
    .vgpr_spill_count: 0
    .wavefront_size: 64
  - .args:
      - .offset:         0
        .size:           48
        .value_kind:     by_value
    .group_segment_fixed_size: 0
    .kernarg_segment_align: 8
    .kernarg_segment_size: 48
    .language:       OpenCL C
    .language_version:
      - 2
      - 0
    .max_flat_workgroup_size: 256
    .name:           _ZN7rocprim17ROCPRIM_400000_NS6detail17trampoline_kernelINS0_14default_configENS1_38merge_sort_block_merge_config_selectorIalEEZZNS1_27merge_sort_block_merge_implIS3_PaN6thrust23THRUST_200600_302600_NS10device_ptrIlEEjNS1_19radix_merge_compareILb0ELb0EaNS0_19identity_decomposerEEEEE10hipError_tT0_T1_T2_jT3_P12ihipStream_tbPNSt15iterator_traitsISG_E10value_typeEPNSM_ISH_E10value_typeEPSI_NS1_7vsmem_tEENKUlT_SG_SH_SI_E_clIS7_S7_SB_PlEESF_SV_SG_SH_SI_EUlSV_E1_NS1_11comp_targetILNS1_3genE4ELNS1_11target_archE910ELNS1_3gpuE8ELNS1_3repE0EEENS1_36merge_oddeven_config_static_selectorELNS0_4arch9wavefront6targetE1EEEvSH_
    .private_segment_fixed_size: 0
    .sgpr_count:     4
    .sgpr_spill_count: 0
    .symbol:         _ZN7rocprim17ROCPRIM_400000_NS6detail17trampoline_kernelINS0_14default_configENS1_38merge_sort_block_merge_config_selectorIalEEZZNS1_27merge_sort_block_merge_implIS3_PaN6thrust23THRUST_200600_302600_NS10device_ptrIlEEjNS1_19radix_merge_compareILb0ELb0EaNS0_19identity_decomposerEEEEE10hipError_tT0_T1_T2_jT3_P12ihipStream_tbPNSt15iterator_traitsISG_E10value_typeEPNSM_ISH_E10value_typeEPSI_NS1_7vsmem_tEENKUlT_SG_SH_SI_E_clIS7_S7_SB_PlEESF_SV_SG_SH_SI_EUlSV_E1_NS1_11comp_targetILNS1_3genE4ELNS1_11target_archE910ELNS1_3gpuE8ELNS1_3repE0EEENS1_36merge_oddeven_config_static_selectorELNS0_4arch9wavefront6targetE1EEEvSH_.kd
    .uniform_work_group_size: 1
    .uses_dynamic_stack: false
    .vgpr_count:     0
    .vgpr_spill_count: 0
    .wavefront_size: 64
  - .args:
      - .offset:         0
        .size:           48
        .value_kind:     by_value
    .group_segment_fixed_size: 0
    .kernarg_segment_align: 8
    .kernarg_segment_size: 48
    .language:       OpenCL C
    .language_version:
      - 2
      - 0
    .max_flat_workgroup_size: 256
    .name:           _ZN7rocprim17ROCPRIM_400000_NS6detail17trampoline_kernelINS0_14default_configENS1_38merge_sort_block_merge_config_selectorIalEEZZNS1_27merge_sort_block_merge_implIS3_PaN6thrust23THRUST_200600_302600_NS10device_ptrIlEEjNS1_19radix_merge_compareILb0ELb0EaNS0_19identity_decomposerEEEEE10hipError_tT0_T1_T2_jT3_P12ihipStream_tbPNSt15iterator_traitsISG_E10value_typeEPNSM_ISH_E10value_typeEPSI_NS1_7vsmem_tEENKUlT_SG_SH_SI_E_clIS7_S7_SB_PlEESF_SV_SG_SH_SI_EUlSV_E1_NS1_11comp_targetILNS1_3genE3ELNS1_11target_archE908ELNS1_3gpuE7ELNS1_3repE0EEENS1_36merge_oddeven_config_static_selectorELNS0_4arch9wavefront6targetE1EEEvSH_
    .private_segment_fixed_size: 0
    .sgpr_count:     4
    .sgpr_spill_count: 0
    .symbol:         _ZN7rocprim17ROCPRIM_400000_NS6detail17trampoline_kernelINS0_14default_configENS1_38merge_sort_block_merge_config_selectorIalEEZZNS1_27merge_sort_block_merge_implIS3_PaN6thrust23THRUST_200600_302600_NS10device_ptrIlEEjNS1_19radix_merge_compareILb0ELb0EaNS0_19identity_decomposerEEEEE10hipError_tT0_T1_T2_jT3_P12ihipStream_tbPNSt15iterator_traitsISG_E10value_typeEPNSM_ISH_E10value_typeEPSI_NS1_7vsmem_tEENKUlT_SG_SH_SI_E_clIS7_S7_SB_PlEESF_SV_SG_SH_SI_EUlSV_E1_NS1_11comp_targetILNS1_3genE3ELNS1_11target_archE908ELNS1_3gpuE7ELNS1_3repE0EEENS1_36merge_oddeven_config_static_selectorELNS0_4arch9wavefront6targetE1EEEvSH_.kd
    .uniform_work_group_size: 1
    .uses_dynamic_stack: false
    .vgpr_count:     0
    .vgpr_spill_count: 0
    .wavefront_size: 64
  - .args:
      - .offset:         0
        .size:           48
        .value_kind:     by_value
    .group_segment_fixed_size: 0
    .kernarg_segment_align: 8
    .kernarg_segment_size: 48
    .language:       OpenCL C
    .language_version:
      - 2
      - 0
    .max_flat_workgroup_size: 256
    .name:           _ZN7rocprim17ROCPRIM_400000_NS6detail17trampoline_kernelINS0_14default_configENS1_38merge_sort_block_merge_config_selectorIalEEZZNS1_27merge_sort_block_merge_implIS3_PaN6thrust23THRUST_200600_302600_NS10device_ptrIlEEjNS1_19radix_merge_compareILb0ELb0EaNS0_19identity_decomposerEEEEE10hipError_tT0_T1_T2_jT3_P12ihipStream_tbPNSt15iterator_traitsISG_E10value_typeEPNSM_ISH_E10value_typeEPSI_NS1_7vsmem_tEENKUlT_SG_SH_SI_E_clIS7_S7_SB_PlEESF_SV_SG_SH_SI_EUlSV_E1_NS1_11comp_targetILNS1_3genE2ELNS1_11target_archE906ELNS1_3gpuE6ELNS1_3repE0EEENS1_36merge_oddeven_config_static_selectorELNS0_4arch9wavefront6targetE1EEEvSH_
    .private_segment_fixed_size: 0
    .sgpr_count:     26
    .sgpr_spill_count: 0
    .symbol:         _ZN7rocprim17ROCPRIM_400000_NS6detail17trampoline_kernelINS0_14default_configENS1_38merge_sort_block_merge_config_selectorIalEEZZNS1_27merge_sort_block_merge_implIS3_PaN6thrust23THRUST_200600_302600_NS10device_ptrIlEEjNS1_19radix_merge_compareILb0ELb0EaNS0_19identity_decomposerEEEEE10hipError_tT0_T1_T2_jT3_P12ihipStream_tbPNSt15iterator_traitsISG_E10value_typeEPNSM_ISH_E10value_typeEPSI_NS1_7vsmem_tEENKUlT_SG_SH_SI_E_clIS7_S7_SB_PlEESF_SV_SG_SH_SI_EUlSV_E1_NS1_11comp_targetILNS1_3genE2ELNS1_11target_archE906ELNS1_3gpuE6ELNS1_3repE0EEENS1_36merge_oddeven_config_static_selectorELNS0_4arch9wavefront6targetE1EEEvSH_.kd
    .uniform_work_group_size: 1
    .uses_dynamic_stack: false
    .vgpr_count:     10
    .vgpr_spill_count: 0
    .wavefront_size: 64
  - .args:
      - .offset:         0
        .size:           48
        .value_kind:     by_value
    .group_segment_fixed_size: 0
    .kernarg_segment_align: 8
    .kernarg_segment_size: 48
    .language:       OpenCL C
    .language_version:
      - 2
      - 0
    .max_flat_workgroup_size: 256
    .name:           _ZN7rocprim17ROCPRIM_400000_NS6detail17trampoline_kernelINS0_14default_configENS1_38merge_sort_block_merge_config_selectorIalEEZZNS1_27merge_sort_block_merge_implIS3_PaN6thrust23THRUST_200600_302600_NS10device_ptrIlEEjNS1_19radix_merge_compareILb0ELb0EaNS0_19identity_decomposerEEEEE10hipError_tT0_T1_T2_jT3_P12ihipStream_tbPNSt15iterator_traitsISG_E10value_typeEPNSM_ISH_E10value_typeEPSI_NS1_7vsmem_tEENKUlT_SG_SH_SI_E_clIS7_S7_SB_PlEESF_SV_SG_SH_SI_EUlSV_E1_NS1_11comp_targetILNS1_3genE9ELNS1_11target_archE1100ELNS1_3gpuE3ELNS1_3repE0EEENS1_36merge_oddeven_config_static_selectorELNS0_4arch9wavefront6targetE1EEEvSH_
    .private_segment_fixed_size: 0
    .sgpr_count:     4
    .sgpr_spill_count: 0
    .symbol:         _ZN7rocprim17ROCPRIM_400000_NS6detail17trampoline_kernelINS0_14default_configENS1_38merge_sort_block_merge_config_selectorIalEEZZNS1_27merge_sort_block_merge_implIS3_PaN6thrust23THRUST_200600_302600_NS10device_ptrIlEEjNS1_19radix_merge_compareILb0ELb0EaNS0_19identity_decomposerEEEEE10hipError_tT0_T1_T2_jT3_P12ihipStream_tbPNSt15iterator_traitsISG_E10value_typeEPNSM_ISH_E10value_typeEPSI_NS1_7vsmem_tEENKUlT_SG_SH_SI_E_clIS7_S7_SB_PlEESF_SV_SG_SH_SI_EUlSV_E1_NS1_11comp_targetILNS1_3genE9ELNS1_11target_archE1100ELNS1_3gpuE3ELNS1_3repE0EEENS1_36merge_oddeven_config_static_selectorELNS0_4arch9wavefront6targetE1EEEvSH_.kd
    .uniform_work_group_size: 1
    .uses_dynamic_stack: false
    .vgpr_count:     0
    .vgpr_spill_count: 0
    .wavefront_size: 64
  - .args:
      - .offset:         0
        .size:           48
        .value_kind:     by_value
    .group_segment_fixed_size: 0
    .kernarg_segment_align: 8
    .kernarg_segment_size: 48
    .language:       OpenCL C
    .language_version:
      - 2
      - 0
    .max_flat_workgroup_size: 256
    .name:           _ZN7rocprim17ROCPRIM_400000_NS6detail17trampoline_kernelINS0_14default_configENS1_38merge_sort_block_merge_config_selectorIalEEZZNS1_27merge_sort_block_merge_implIS3_PaN6thrust23THRUST_200600_302600_NS10device_ptrIlEEjNS1_19radix_merge_compareILb0ELb0EaNS0_19identity_decomposerEEEEE10hipError_tT0_T1_T2_jT3_P12ihipStream_tbPNSt15iterator_traitsISG_E10value_typeEPNSM_ISH_E10value_typeEPSI_NS1_7vsmem_tEENKUlT_SG_SH_SI_E_clIS7_S7_SB_PlEESF_SV_SG_SH_SI_EUlSV_E1_NS1_11comp_targetILNS1_3genE8ELNS1_11target_archE1030ELNS1_3gpuE2ELNS1_3repE0EEENS1_36merge_oddeven_config_static_selectorELNS0_4arch9wavefront6targetE1EEEvSH_
    .private_segment_fixed_size: 0
    .sgpr_count:     4
    .sgpr_spill_count: 0
    .symbol:         _ZN7rocprim17ROCPRIM_400000_NS6detail17trampoline_kernelINS0_14default_configENS1_38merge_sort_block_merge_config_selectorIalEEZZNS1_27merge_sort_block_merge_implIS3_PaN6thrust23THRUST_200600_302600_NS10device_ptrIlEEjNS1_19radix_merge_compareILb0ELb0EaNS0_19identity_decomposerEEEEE10hipError_tT0_T1_T2_jT3_P12ihipStream_tbPNSt15iterator_traitsISG_E10value_typeEPNSM_ISH_E10value_typeEPSI_NS1_7vsmem_tEENKUlT_SG_SH_SI_E_clIS7_S7_SB_PlEESF_SV_SG_SH_SI_EUlSV_E1_NS1_11comp_targetILNS1_3genE8ELNS1_11target_archE1030ELNS1_3gpuE2ELNS1_3repE0EEENS1_36merge_oddeven_config_static_selectorELNS0_4arch9wavefront6targetE1EEEvSH_.kd
    .uniform_work_group_size: 1
    .uses_dynamic_stack: false
    .vgpr_count:     0
    .vgpr_spill_count: 0
    .wavefront_size: 64
  - .args:
      - .offset:         0
        .size:           40
        .value_kind:     by_value
    .group_segment_fixed_size: 0
    .kernarg_segment_align: 8
    .kernarg_segment_size: 40
    .language:       OpenCL C
    .language_version:
      - 2
      - 0
    .max_flat_workgroup_size: 128
    .name:           _ZN7rocprim17ROCPRIM_400000_NS6detail17trampoline_kernelINS0_14default_configENS1_25transform_config_selectorIaLb1EEEZNS1_14transform_implILb1ES3_S5_PaS7_NS0_8identityIaEEEE10hipError_tT2_T3_mT4_P12ihipStream_tbEUlT_E_NS1_11comp_targetILNS1_3genE0ELNS1_11target_archE4294967295ELNS1_3gpuE0ELNS1_3repE0EEENS1_30default_config_static_selectorELNS0_4arch9wavefront6targetE1EEEvT1_
    .private_segment_fixed_size: 0
    .sgpr_count:     4
    .sgpr_spill_count: 0
    .symbol:         _ZN7rocprim17ROCPRIM_400000_NS6detail17trampoline_kernelINS0_14default_configENS1_25transform_config_selectorIaLb1EEEZNS1_14transform_implILb1ES3_S5_PaS7_NS0_8identityIaEEEE10hipError_tT2_T3_mT4_P12ihipStream_tbEUlT_E_NS1_11comp_targetILNS1_3genE0ELNS1_11target_archE4294967295ELNS1_3gpuE0ELNS1_3repE0EEENS1_30default_config_static_selectorELNS0_4arch9wavefront6targetE1EEEvT1_.kd
    .uniform_work_group_size: 1
    .uses_dynamic_stack: false
    .vgpr_count:     0
    .vgpr_spill_count: 0
    .wavefront_size: 64
  - .args:
      - .offset:         0
        .size:           40
        .value_kind:     by_value
    .group_segment_fixed_size: 0
    .kernarg_segment_align: 8
    .kernarg_segment_size: 40
    .language:       OpenCL C
    .language_version:
      - 2
      - 0
    .max_flat_workgroup_size: 1024
    .name:           _ZN7rocprim17ROCPRIM_400000_NS6detail17trampoline_kernelINS0_14default_configENS1_25transform_config_selectorIaLb1EEEZNS1_14transform_implILb1ES3_S5_PaS7_NS0_8identityIaEEEE10hipError_tT2_T3_mT4_P12ihipStream_tbEUlT_E_NS1_11comp_targetILNS1_3genE10ELNS1_11target_archE1201ELNS1_3gpuE5ELNS1_3repE0EEENS1_30default_config_static_selectorELNS0_4arch9wavefront6targetE1EEEvT1_
    .private_segment_fixed_size: 0
    .sgpr_count:     4
    .sgpr_spill_count: 0
    .symbol:         _ZN7rocprim17ROCPRIM_400000_NS6detail17trampoline_kernelINS0_14default_configENS1_25transform_config_selectorIaLb1EEEZNS1_14transform_implILb1ES3_S5_PaS7_NS0_8identityIaEEEE10hipError_tT2_T3_mT4_P12ihipStream_tbEUlT_E_NS1_11comp_targetILNS1_3genE10ELNS1_11target_archE1201ELNS1_3gpuE5ELNS1_3repE0EEENS1_30default_config_static_selectorELNS0_4arch9wavefront6targetE1EEEvT1_.kd
    .uniform_work_group_size: 1
    .uses_dynamic_stack: false
    .vgpr_count:     0
    .vgpr_spill_count: 0
    .wavefront_size: 64
  - .args:
      - .offset:         0
        .size:           40
        .value_kind:     by_value
    .group_segment_fixed_size: 0
    .kernarg_segment_align: 8
    .kernarg_segment_size: 40
    .language:       OpenCL C
    .language_version:
      - 2
      - 0
    .max_flat_workgroup_size: 256
    .name:           _ZN7rocprim17ROCPRIM_400000_NS6detail17trampoline_kernelINS0_14default_configENS1_25transform_config_selectorIaLb1EEEZNS1_14transform_implILb1ES3_S5_PaS7_NS0_8identityIaEEEE10hipError_tT2_T3_mT4_P12ihipStream_tbEUlT_E_NS1_11comp_targetILNS1_3genE5ELNS1_11target_archE942ELNS1_3gpuE9ELNS1_3repE0EEENS1_30default_config_static_selectorELNS0_4arch9wavefront6targetE1EEEvT1_
    .private_segment_fixed_size: 0
    .sgpr_count:     4
    .sgpr_spill_count: 0
    .symbol:         _ZN7rocprim17ROCPRIM_400000_NS6detail17trampoline_kernelINS0_14default_configENS1_25transform_config_selectorIaLb1EEEZNS1_14transform_implILb1ES3_S5_PaS7_NS0_8identityIaEEEE10hipError_tT2_T3_mT4_P12ihipStream_tbEUlT_E_NS1_11comp_targetILNS1_3genE5ELNS1_11target_archE942ELNS1_3gpuE9ELNS1_3repE0EEENS1_30default_config_static_selectorELNS0_4arch9wavefront6targetE1EEEvT1_.kd
    .uniform_work_group_size: 1
    .uses_dynamic_stack: false
    .vgpr_count:     0
    .vgpr_spill_count: 0
    .wavefront_size: 64
  - .args:
      - .offset:         0
        .size:           40
        .value_kind:     by_value
    .group_segment_fixed_size: 0
    .kernarg_segment_align: 8
    .kernarg_segment_size: 40
    .language:       OpenCL C
    .language_version:
      - 2
      - 0
    .max_flat_workgroup_size: 1024
    .name:           _ZN7rocprim17ROCPRIM_400000_NS6detail17trampoline_kernelINS0_14default_configENS1_25transform_config_selectorIaLb1EEEZNS1_14transform_implILb1ES3_S5_PaS7_NS0_8identityIaEEEE10hipError_tT2_T3_mT4_P12ihipStream_tbEUlT_E_NS1_11comp_targetILNS1_3genE4ELNS1_11target_archE910ELNS1_3gpuE8ELNS1_3repE0EEENS1_30default_config_static_selectorELNS0_4arch9wavefront6targetE1EEEvT1_
    .private_segment_fixed_size: 0
    .sgpr_count:     4
    .sgpr_spill_count: 0
    .symbol:         _ZN7rocprim17ROCPRIM_400000_NS6detail17trampoline_kernelINS0_14default_configENS1_25transform_config_selectorIaLb1EEEZNS1_14transform_implILb1ES3_S5_PaS7_NS0_8identityIaEEEE10hipError_tT2_T3_mT4_P12ihipStream_tbEUlT_E_NS1_11comp_targetILNS1_3genE4ELNS1_11target_archE910ELNS1_3gpuE8ELNS1_3repE0EEENS1_30default_config_static_selectorELNS0_4arch9wavefront6targetE1EEEvT1_.kd
    .uniform_work_group_size: 1
    .uses_dynamic_stack: false
    .vgpr_count:     0
    .vgpr_spill_count: 0
    .wavefront_size: 64
  - .args:
      - .offset:         0
        .size:           40
        .value_kind:     by_value
    .group_segment_fixed_size: 0
    .kernarg_segment_align: 8
    .kernarg_segment_size: 40
    .language:       OpenCL C
    .language_version:
      - 2
      - 0
    .max_flat_workgroup_size: 128
    .name:           _ZN7rocprim17ROCPRIM_400000_NS6detail17trampoline_kernelINS0_14default_configENS1_25transform_config_selectorIaLb1EEEZNS1_14transform_implILb1ES3_S5_PaS7_NS0_8identityIaEEEE10hipError_tT2_T3_mT4_P12ihipStream_tbEUlT_E_NS1_11comp_targetILNS1_3genE3ELNS1_11target_archE908ELNS1_3gpuE7ELNS1_3repE0EEENS1_30default_config_static_selectorELNS0_4arch9wavefront6targetE1EEEvT1_
    .private_segment_fixed_size: 0
    .sgpr_count:     4
    .sgpr_spill_count: 0
    .symbol:         _ZN7rocprim17ROCPRIM_400000_NS6detail17trampoline_kernelINS0_14default_configENS1_25transform_config_selectorIaLb1EEEZNS1_14transform_implILb1ES3_S5_PaS7_NS0_8identityIaEEEE10hipError_tT2_T3_mT4_P12ihipStream_tbEUlT_E_NS1_11comp_targetILNS1_3genE3ELNS1_11target_archE908ELNS1_3gpuE7ELNS1_3repE0EEENS1_30default_config_static_selectorELNS0_4arch9wavefront6targetE1EEEvT1_.kd
    .uniform_work_group_size: 1
    .uses_dynamic_stack: false
    .vgpr_count:     0
    .vgpr_spill_count: 0
    .wavefront_size: 64
  - .args:
      - .offset:         0
        .size:           40
        .value_kind:     by_value
      - .offset:         40
        .size:           4
        .value_kind:     hidden_block_count_x
      - .offset:         44
        .size:           4
        .value_kind:     hidden_block_count_y
      - .offset:         48
        .size:           4
        .value_kind:     hidden_block_count_z
      - .offset:         52
        .size:           2
        .value_kind:     hidden_group_size_x
      - .offset:         54
        .size:           2
        .value_kind:     hidden_group_size_y
      - .offset:         56
        .size:           2
        .value_kind:     hidden_group_size_z
      - .offset:         58
        .size:           2
        .value_kind:     hidden_remainder_x
      - .offset:         60
        .size:           2
        .value_kind:     hidden_remainder_y
      - .offset:         62
        .size:           2
        .value_kind:     hidden_remainder_z
      - .offset:         80
        .size:           8
        .value_kind:     hidden_global_offset_x
      - .offset:         88
        .size:           8
        .value_kind:     hidden_global_offset_y
      - .offset:         96
        .size:           8
        .value_kind:     hidden_global_offset_z
      - .offset:         104
        .size:           2
        .value_kind:     hidden_grid_dims
    .group_segment_fixed_size: 0
    .kernarg_segment_align: 8
    .kernarg_segment_size: 296
    .language:       OpenCL C
    .language_version:
      - 2
      - 0
    .max_flat_workgroup_size: 512
    .name:           _ZN7rocprim17ROCPRIM_400000_NS6detail17trampoline_kernelINS0_14default_configENS1_25transform_config_selectorIaLb1EEEZNS1_14transform_implILb1ES3_S5_PaS7_NS0_8identityIaEEEE10hipError_tT2_T3_mT4_P12ihipStream_tbEUlT_E_NS1_11comp_targetILNS1_3genE2ELNS1_11target_archE906ELNS1_3gpuE6ELNS1_3repE0EEENS1_30default_config_static_selectorELNS0_4arch9wavefront6targetE1EEEvT1_
    .private_segment_fixed_size: 0
    .sgpr_count:     27
    .sgpr_spill_count: 0
    .symbol:         _ZN7rocprim17ROCPRIM_400000_NS6detail17trampoline_kernelINS0_14default_configENS1_25transform_config_selectorIaLb1EEEZNS1_14transform_implILb1ES3_S5_PaS7_NS0_8identityIaEEEE10hipError_tT2_T3_mT4_P12ihipStream_tbEUlT_E_NS1_11comp_targetILNS1_3genE2ELNS1_11target_archE906ELNS1_3gpuE6ELNS1_3repE0EEENS1_30default_config_static_selectorELNS0_4arch9wavefront6targetE1EEEvT1_.kd
    .uniform_work_group_size: 1
    .uses_dynamic_stack: false
    .vgpr_count:     16
    .vgpr_spill_count: 0
    .wavefront_size: 64
  - .args:
      - .offset:         0
        .size:           40
        .value_kind:     by_value
    .group_segment_fixed_size: 0
    .kernarg_segment_align: 8
    .kernarg_segment_size: 40
    .language:       OpenCL C
    .language_version:
      - 2
      - 0
    .max_flat_workgroup_size: 1024
    .name:           _ZN7rocprim17ROCPRIM_400000_NS6detail17trampoline_kernelINS0_14default_configENS1_25transform_config_selectorIaLb1EEEZNS1_14transform_implILb1ES3_S5_PaS7_NS0_8identityIaEEEE10hipError_tT2_T3_mT4_P12ihipStream_tbEUlT_E_NS1_11comp_targetILNS1_3genE9ELNS1_11target_archE1100ELNS1_3gpuE3ELNS1_3repE0EEENS1_30default_config_static_selectorELNS0_4arch9wavefront6targetE1EEEvT1_
    .private_segment_fixed_size: 0
    .sgpr_count:     4
    .sgpr_spill_count: 0
    .symbol:         _ZN7rocprim17ROCPRIM_400000_NS6detail17trampoline_kernelINS0_14default_configENS1_25transform_config_selectorIaLb1EEEZNS1_14transform_implILb1ES3_S5_PaS7_NS0_8identityIaEEEE10hipError_tT2_T3_mT4_P12ihipStream_tbEUlT_E_NS1_11comp_targetILNS1_3genE9ELNS1_11target_archE1100ELNS1_3gpuE3ELNS1_3repE0EEENS1_30default_config_static_selectorELNS0_4arch9wavefront6targetE1EEEvT1_.kd
    .uniform_work_group_size: 1
    .uses_dynamic_stack: false
    .vgpr_count:     0
    .vgpr_spill_count: 0
    .wavefront_size: 64
  - .args:
      - .offset:         0
        .size:           40
        .value_kind:     by_value
    .group_segment_fixed_size: 0
    .kernarg_segment_align: 8
    .kernarg_segment_size: 40
    .language:       OpenCL C
    .language_version:
      - 2
      - 0
    .max_flat_workgroup_size: 1024
    .name:           _ZN7rocprim17ROCPRIM_400000_NS6detail17trampoline_kernelINS0_14default_configENS1_25transform_config_selectorIaLb1EEEZNS1_14transform_implILb1ES3_S5_PaS7_NS0_8identityIaEEEE10hipError_tT2_T3_mT4_P12ihipStream_tbEUlT_E_NS1_11comp_targetILNS1_3genE8ELNS1_11target_archE1030ELNS1_3gpuE2ELNS1_3repE0EEENS1_30default_config_static_selectorELNS0_4arch9wavefront6targetE1EEEvT1_
    .private_segment_fixed_size: 0
    .sgpr_count:     4
    .sgpr_spill_count: 0
    .symbol:         _ZN7rocprim17ROCPRIM_400000_NS6detail17trampoline_kernelINS0_14default_configENS1_25transform_config_selectorIaLb1EEEZNS1_14transform_implILb1ES3_S5_PaS7_NS0_8identityIaEEEE10hipError_tT2_T3_mT4_P12ihipStream_tbEUlT_E_NS1_11comp_targetILNS1_3genE8ELNS1_11target_archE1030ELNS1_3gpuE2ELNS1_3repE0EEENS1_30default_config_static_selectorELNS0_4arch9wavefront6targetE1EEEvT1_.kd
    .uniform_work_group_size: 1
    .uses_dynamic_stack: false
    .vgpr_count:     0
    .vgpr_spill_count: 0
    .wavefront_size: 64
  - .args:
      - .offset:         0
        .size:           40
        .value_kind:     by_value
    .group_segment_fixed_size: 0
    .kernarg_segment_align: 8
    .kernarg_segment_size: 40
    .language:       OpenCL C
    .language_version:
      - 2
      - 0
    .max_flat_workgroup_size: 128
    .name:           _ZN7rocprim17ROCPRIM_400000_NS6detail17trampoline_kernelINS0_14default_configENS1_38merge_sort_block_merge_config_selectorIalEEZZNS1_27merge_sort_block_merge_implIS3_PaN6thrust23THRUST_200600_302600_NS10device_ptrIlEEjNS1_19radix_merge_compareILb0ELb1EaNS0_19identity_decomposerEEEEE10hipError_tT0_T1_T2_jT3_P12ihipStream_tbPNSt15iterator_traitsISG_E10value_typeEPNSM_ISH_E10value_typeEPSI_NS1_7vsmem_tEENKUlT_SG_SH_SI_E_clIS7_S7_PlSB_EESF_SV_SG_SH_SI_EUlSV_E_NS1_11comp_targetILNS1_3genE0ELNS1_11target_archE4294967295ELNS1_3gpuE0ELNS1_3repE0EEENS1_48merge_mergepath_partition_config_static_selectorELNS0_4arch9wavefront6targetE1EEEvSH_
    .private_segment_fixed_size: 0
    .sgpr_count:     4
    .sgpr_spill_count: 0
    .symbol:         _ZN7rocprim17ROCPRIM_400000_NS6detail17trampoline_kernelINS0_14default_configENS1_38merge_sort_block_merge_config_selectorIalEEZZNS1_27merge_sort_block_merge_implIS3_PaN6thrust23THRUST_200600_302600_NS10device_ptrIlEEjNS1_19radix_merge_compareILb0ELb1EaNS0_19identity_decomposerEEEEE10hipError_tT0_T1_T2_jT3_P12ihipStream_tbPNSt15iterator_traitsISG_E10value_typeEPNSM_ISH_E10value_typeEPSI_NS1_7vsmem_tEENKUlT_SG_SH_SI_E_clIS7_S7_PlSB_EESF_SV_SG_SH_SI_EUlSV_E_NS1_11comp_targetILNS1_3genE0ELNS1_11target_archE4294967295ELNS1_3gpuE0ELNS1_3repE0EEENS1_48merge_mergepath_partition_config_static_selectorELNS0_4arch9wavefront6targetE1EEEvSH_.kd
    .uniform_work_group_size: 1
    .uses_dynamic_stack: false
    .vgpr_count:     0
    .vgpr_spill_count: 0
    .wavefront_size: 64
  - .args:
      - .offset:         0
        .size:           40
        .value_kind:     by_value
    .group_segment_fixed_size: 0
    .kernarg_segment_align: 8
    .kernarg_segment_size: 40
    .language:       OpenCL C
    .language_version:
      - 2
      - 0
    .max_flat_workgroup_size: 128
    .name:           _ZN7rocprim17ROCPRIM_400000_NS6detail17trampoline_kernelINS0_14default_configENS1_38merge_sort_block_merge_config_selectorIalEEZZNS1_27merge_sort_block_merge_implIS3_PaN6thrust23THRUST_200600_302600_NS10device_ptrIlEEjNS1_19radix_merge_compareILb0ELb1EaNS0_19identity_decomposerEEEEE10hipError_tT0_T1_T2_jT3_P12ihipStream_tbPNSt15iterator_traitsISG_E10value_typeEPNSM_ISH_E10value_typeEPSI_NS1_7vsmem_tEENKUlT_SG_SH_SI_E_clIS7_S7_PlSB_EESF_SV_SG_SH_SI_EUlSV_E_NS1_11comp_targetILNS1_3genE10ELNS1_11target_archE1201ELNS1_3gpuE5ELNS1_3repE0EEENS1_48merge_mergepath_partition_config_static_selectorELNS0_4arch9wavefront6targetE1EEEvSH_
    .private_segment_fixed_size: 0
    .sgpr_count:     4
    .sgpr_spill_count: 0
    .symbol:         _ZN7rocprim17ROCPRIM_400000_NS6detail17trampoline_kernelINS0_14default_configENS1_38merge_sort_block_merge_config_selectorIalEEZZNS1_27merge_sort_block_merge_implIS3_PaN6thrust23THRUST_200600_302600_NS10device_ptrIlEEjNS1_19radix_merge_compareILb0ELb1EaNS0_19identity_decomposerEEEEE10hipError_tT0_T1_T2_jT3_P12ihipStream_tbPNSt15iterator_traitsISG_E10value_typeEPNSM_ISH_E10value_typeEPSI_NS1_7vsmem_tEENKUlT_SG_SH_SI_E_clIS7_S7_PlSB_EESF_SV_SG_SH_SI_EUlSV_E_NS1_11comp_targetILNS1_3genE10ELNS1_11target_archE1201ELNS1_3gpuE5ELNS1_3repE0EEENS1_48merge_mergepath_partition_config_static_selectorELNS0_4arch9wavefront6targetE1EEEvSH_.kd
    .uniform_work_group_size: 1
    .uses_dynamic_stack: false
    .vgpr_count:     0
    .vgpr_spill_count: 0
    .wavefront_size: 64
  - .args:
      - .offset:         0
        .size:           40
        .value_kind:     by_value
    .group_segment_fixed_size: 0
    .kernarg_segment_align: 8
    .kernarg_segment_size: 40
    .language:       OpenCL C
    .language_version:
      - 2
      - 0
    .max_flat_workgroup_size: 128
    .name:           _ZN7rocprim17ROCPRIM_400000_NS6detail17trampoline_kernelINS0_14default_configENS1_38merge_sort_block_merge_config_selectorIalEEZZNS1_27merge_sort_block_merge_implIS3_PaN6thrust23THRUST_200600_302600_NS10device_ptrIlEEjNS1_19radix_merge_compareILb0ELb1EaNS0_19identity_decomposerEEEEE10hipError_tT0_T1_T2_jT3_P12ihipStream_tbPNSt15iterator_traitsISG_E10value_typeEPNSM_ISH_E10value_typeEPSI_NS1_7vsmem_tEENKUlT_SG_SH_SI_E_clIS7_S7_PlSB_EESF_SV_SG_SH_SI_EUlSV_E_NS1_11comp_targetILNS1_3genE5ELNS1_11target_archE942ELNS1_3gpuE9ELNS1_3repE0EEENS1_48merge_mergepath_partition_config_static_selectorELNS0_4arch9wavefront6targetE1EEEvSH_
    .private_segment_fixed_size: 0
    .sgpr_count:     4
    .sgpr_spill_count: 0
    .symbol:         _ZN7rocprim17ROCPRIM_400000_NS6detail17trampoline_kernelINS0_14default_configENS1_38merge_sort_block_merge_config_selectorIalEEZZNS1_27merge_sort_block_merge_implIS3_PaN6thrust23THRUST_200600_302600_NS10device_ptrIlEEjNS1_19radix_merge_compareILb0ELb1EaNS0_19identity_decomposerEEEEE10hipError_tT0_T1_T2_jT3_P12ihipStream_tbPNSt15iterator_traitsISG_E10value_typeEPNSM_ISH_E10value_typeEPSI_NS1_7vsmem_tEENKUlT_SG_SH_SI_E_clIS7_S7_PlSB_EESF_SV_SG_SH_SI_EUlSV_E_NS1_11comp_targetILNS1_3genE5ELNS1_11target_archE942ELNS1_3gpuE9ELNS1_3repE0EEENS1_48merge_mergepath_partition_config_static_selectorELNS0_4arch9wavefront6targetE1EEEvSH_.kd
    .uniform_work_group_size: 1
    .uses_dynamic_stack: false
    .vgpr_count:     0
    .vgpr_spill_count: 0
    .wavefront_size: 64
  - .args:
      - .offset:         0
        .size:           40
        .value_kind:     by_value
    .group_segment_fixed_size: 0
    .kernarg_segment_align: 8
    .kernarg_segment_size: 40
    .language:       OpenCL C
    .language_version:
      - 2
      - 0
    .max_flat_workgroup_size: 128
    .name:           _ZN7rocprim17ROCPRIM_400000_NS6detail17trampoline_kernelINS0_14default_configENS1_38merge_sort_block_merge_config_selectorIalEEZZNS1_27merge_sort_block_merge_implIS3_PaN6thrust23THRUST_200600_302600_NS10device_ptrIlEEjNS1_19radix_merge_compareILb0ELb1EaNS0_19identity_decomposerEEEEE10hipError_tT0_T1_T2_jT3_P12ihipStream_tbPNSt15iterator_traitsISG_E10value_typeEPNSM_ISH_E10value_typeEPSI_NS1_7vsmem_tEENKUlT_SG_SH_SI_E_clIS7_S7_PlSB_EESF_SV_SG_SH_SI_EUlSV_E_NS1_11comp_targetILNS1_3genE4ELNS1_11target_archE910ELNS1_3gpuE8ELNS1_3repE0EEENS1_48merge_mergepath_partition_config_static_selectorELNS0_4arch9wavefront6targetE1EEEvSH_
    .private_segment_fixed_size: 0
    .sgpr_count:     4
    .sgpr_spill_count: 0
    .symbol:         _ZN7rocprim17ROCPRIM_400000_NS6detail17trampoline_kernelINS0_14default_configENS1_38merge_sort_block_merge_config_selectorIalEEZZNS1_27merge_sort_block_merge_implIS3_PaN6thrust23THRUST_200600_302600_NS10device_ptrIlEEjNS1_19radix_merge_compareILb0ELb1EaNS0_19identity_decomposerEEEEE10hipError_tT0_T1_T2_jT3_P12ihipStream_tbPNSt15iterator_traitsISG_E10value_typeEPNSM_ISH_E10value_typeEPSI_NS1_7vsmem_tEENKUlT_SG_SH_SI_E_clIS7_S7_PlSB_EESF_SV_SG_SH_SI_EUlSV_E_NS1_11comp_targetILNS1_3genE4ELNS1_11target_archE910ELNS1_3gpuE8ELNS1_3repE0EEENS1_48merge_mergepath_partition_config_static_selectorELNS0_4arch9wavefront6targetE1EEEvSH_.kd
    .uniform_work_group_size: 1
    .uses_dynamic_stack: false
    .vgpr_count:     0
    .vgpr_spill_count: 0
    .wavefront_size: 64
  - .args:
      - .offset:         0
        .size:           40
        .value_kind:     by_value
    .group_segment_fixed_size: 0
    .kernarg_segment_align: 8
    .kernarg_segment_size: 40
    .language:       OpenCL C
    .language_version:
      - 2
      - 0
    .max_flat_workgroup_size: 128
    .name:           _ZN7rocprim17ROCPRIM_400000_NS6detail17trampoline_kernelINS0_14default_configENS1_38merge_sort_block_merge_config_selectorIalEEZZNS1_27merge_sort_block_merge_implIS3_PaN6thrust23THRUST_200600_302600_NS10device_ptrIlEEjNS1_19radix_merge_compareILb0ELb1EaNS0_19identity_decomposerEEEEE10hipError_tT0_T1_T2_jT3_P12ihipStream_tbPNSt15iterator_traitsISG_E10value_typeEPNSM_ISH_E10value_typeEPSI_NS1_7vsmem_tEENKUlT_SG_SH_SI_E_clIS7_S7_PlSB_EESF_SV_SG_SH_SI_EUlSV_E_NS1_11comp_targetILNS1_3genE3ELNS1_11target_archE908ELNS1_3gpuE7ELNS1_3repE0EEENS1_48merge_mergepath_partition_config_static_selectorELNS0_4arch9wavefront6targetE1EEEvSH_
    .private_segment_fixed_size: 0
    .sgpr_count:     4
    .sgpr_spill_count: 0
    .symbol:         _ZN7rocprim17ROCPRIM_400000_NS6detail17trampoline_kernelINS0_14default_configENS1_38merge_sort_block_merge_config_selectorIalEEZZNS1_27merge_sort_block_merge_implIS3_PaN6thrust23THRUST_200600_302600_NS10device_ptrIlEEjNS1_19radix_merge_compareILb0ELb1EaNS0_19identity_decomposerEEEEE10hipError_tT0_T1_T2_jT3_P12ihipStream_tbPNSt15iterator_traitsISG_E10value_typeEPNSM_ISH_E10value_typeEPSI_NS1_7vsmem_tEENKUlT_SG_SH_SI_E_clIS7_S7_PlSB_EESF_SV_SG_SH_SI_EUlSV_E_NS1_11comp_targetILNS1_3genE3ELNS1_11target_archE908ELNS1_3gpuE7ELNS1_3repE0EEENS1_48merge_mergepath_partition_config_static_selectorELNS0_4arch9wavefront6targetE1EEEvSH_.kd
    .uniform_work_group_size: 1
    .uses_dynamic_stack: false
    .vgpr_count:     0
    .vgpr_spill_count: 0
    .wavefront_size: 64
  - .args:
      - .offset:         0
        .size:           40
        .value_kind:     by_value
    .group_segment_fixed_size: 0
    .kernarg_segment_align: 8
    .kernarg_segment_size: 40
    .language:       OpenCL C
    .language_version:
      - 2
      - 0
    .max_flat_workgroup_size: 128
    .name:           _ZN7rocprim17ROCPRIM_400000_NS6detail17trampoline_kernelINS0_14default_configENS1_38merge_sort_block_merge_config_selectorIalEEZZNS1_27merge_sort_block_merge_implIS3_PaN6thrust23THRUST_200600_302600_NS10device_ptrIlEEjNS1_19radix_merge_compareILb0ELb1EaNS0_19identity_decomposerEEEEE10hipError_tT0_T1_T2_jT3_P12ihipStream_tbPNSt15iterator_traitsISG_E10value_typeEPNSM_ISH_E10value_typeEPSI_NS1_7vsmem_tEENKUlT_SG_SH_SI_E_clIS7_S7_PlSB_EESF_SV_SG_SH_SI_EUlSV_E_NS1_11comp_targetILNS1_3genE2ELNS1_11target_archE906ELNS1_3gpuE6ELNS1_3repE0EEENS1_48merge_mergepath_partition_config_static_selectorELNS0_4arch9wavefront6targetE1EEEvSH_
    .private_segment_fixed_size: 0
    .sgpr_count:     14
    .sgpr_spill_count: 0
    .symbol:         _ZN7rocprim17ROCPRIM_400000_NS6detail17trampoline_kernelINS0_14default_configENS1_38merge_sort_block_merge_config_selectorIalEEZZNS1_27merge_sort_block_merge_implIS3_PaN6thrust23THRUST_200600_302600_NS10device_ptrIlEEjNS1_19radix_merge_compareILb0ELb1EaNS0_19identity_decomposerEEEEE10hipError_tT0_T1_T2_jT3_P12ihipStream_tbPNSt15iterator_traitsISG_E10value_typeEPNSM_ISH_E10value_typeEPSI_NS1_7vsmem_tEENKUlT_SG_SH_SI_E_clIS7_S7_PlSB_EESF_SV_SG_SH_SI_EUlSV_E_NS1_11comp_targetILNS1_3genE2ELNS1_11target_archE906ELNS1_3gpuE6ELNS1_3repE0EEENS1_48merge_mergepath_partition_config_static_selectorELNS0_4arch9wavefront6targetE1EEEvSH_.kd
    .uniform_work_group_size: 1
    .uses_dynamic_stack: false
    .vgpr_count:     16
    .vgpr_spill_count: 0
    .wavefront_size: 64
  - .args:
      - .offset:         0
        .size:           40
        .value_kind:     by_value
    .group_segment_fixed_size: 0
    .kernarg_segment_align: 8
    .kernarg_segment_size: 40
    .language:       OpenCL C
    .language_version:
      - 2
      - 0
    .max_flat_workgroup_size: 128
    .name:           _ZN7rocprim17ROCPRIM_400000_NS6detail17trampoline_kernelINS0_14default_configENS1_38merge_sort_block_merge_config_selectorIalEEZZNS1_27merge_sort_block_merge_implIS3_PaN6thrust23THRUST_200600_302600_NS10device_ptrIlEEjNS1_19radix_merge_compareILb0ELb1EaNS0_19identity_decomposerEEEEE10hipError_tT0_T1_T2_jT3_P12ihipStream_tbPNSt15iterator_traitsISG_E10value_typeEPNSM_ISH_E10value_typeEPSI_NS1_7vsmem_tEENKUlT_SG_SH_SI_E_clIS7_S7_PlSB_EESF_SV_SG_SH_SI_EUlSV_E_NS1_11comp_targetILNS1_3genE9ELNS1_11target_archE1100ELNS1_3gpuE3ELNS1_3repE0EEENS1_48merge_mergepath_partition_config_static_selectorELNS0_4arch9wavefront6targetE1EEEvSH_
    .private_segment_fixed_size: 0
    .sgpr_count:     4
    .sgpr_spill_count: 0
    .symbol:         _ZN7rocprim17ROCPRIM_400000_NS6detail17trampoline_kernelINS0_14default_configENS1_38merge_sort_block_merge_config_selectorIalEEZZNS1_27merge_sort_block_merge_implIS3_PaN6thrust23THRUST_200600_302600_NS10device_ptrIlEEjNS1_19radix_merge_compareILb0ELb1EaNS0_19identity_decomposerEEEEE10hipError_tT0_T1_T2_jT3_P12ihipStream_tbPNSt15iterator_traitsISG_E10value_typeEPNSM_ISH_E10value_typeEPSI_NS1_7vsmem_tEENKUlT_SG_SH_SI_E_clIS7_S7_PlSB_EESF_SV_SG_SH_SI_EUlSV_E_NS1_11comp_targetILNS1_3genE9ELNS1_11target_archE1100ELNS1_3gpuE3ELNS1_3repE0EEENS1_48merge_mergepath_partition_config_static_selectorELNS0_4arch9wavefront6targetE1EEEvSH_.kd
    .uniform_work_group_size: 1
    .uses_dynamic_stack: false
    .vgpr_count:     0
    .vgpr_spill_count: 0
    .wavefront_size: 64
  - .args:
      - .offset:         0
        .size:           40
        .value_kind:     by_value
    .group_segment_fixed_size: 0
    .kernarg_segment_align: 8
    .kernarg_segment_size: 40
    .language:       OpenCL C
    .language_version:
      - 2
      - 0
    .max_flat_workgroup_size: 128
    .name:           _ZN7rocprim17ROCPRIM_400000_NS6detail17trampoline_kernelINS0_14default_configENS1_38merge_sort_block_merge_config_selectorIalEEZZNS1_27merge_sort_block_merge_implIS3_PaN6thrust23THRUST_200600_302600_NS10device_ptrIlEEjNS1_19radix_merge_compareILb0ELb1EaNS0_19identity_decomposerEEEEE10hipError_tT0_T1_T2_jT3_P12ihipStream_tbPNSt15iterator_traitsISG_E10value_typeEPNSM_ISH_E10value_typeEPSI_NS1_7vsmem_tEENKUlT_SG_SH_SI_E_clIS7_S7_PlSB_EESF_SV_SG_SH_SI_EUlSV_E_NS1_11comp_targetILNS1_3genE8ELNS1_11target_archE1030ELNS1_3gpuE2ELNS1_3repE0EEENS1_48merge_mergepath_partition_config_static_selectorELNS0_4arch9wavefront6targetE1EEEvSH_
    .private_segment_fixed_size: 0
    .sgpr_count:     4
    .sgpr_spill_count: 0
    .symbol:         _ZN7rocprim17ROCPRIM_400000_NS6detail17trampoline_kernelINS0_14default_configENS1_38merge_sort_block_merge_config_selectorIalEEZZNS1_27merge_sort_block_merge_implIS3_PaN6thrust23THRUST_200600_302600_NS10device_ptrIlEEjNS1_19radix_merge_compareILb0ELb1EaNS0_19identity_decomposerEEEEE10hipError_tT0_T1_T2_jT3_P12ihipStream_tbPNSt15iterator_traitsISG_E10value_typeEPNSM_ISH_E10value_typeEPSI_NS1_7vsmem_tEENKUlT_SG_SH_SI_E_clIS7_S7_PlSB_EESF_SV_SG_SH_SI_EUlSV_E_NS1_11comp_targetILNS1_3genE8ELNS1_11target_archE1030ELNS1_3gpuE2ELNS1_3repE0EEENS1_48merge_mergepath_partition_config_static_selectorELNS0_4arch9wavefront6targetE1EEEvSH_.kd
    .uniform_work_group_size: 1
    .uses_dynamic_stack: false
    .vgpr_count:     0
    .vgpr_spill_count: 0
    .wavefront_size: 64
  - .args:
      - .offset:         0
        .size:           64
        .value_kind:     by_value
    .group_segment_fixed_size: 0
    .kernarg_segment_align: 8
    .kernarg_segment_size: 64
    .language:       OpenCL C
    .language_version:
      - 2
      - 0
    .max_flat_workgroup_size: 512
    .name:           _ZN7rocprim17ROCPRIM_400000_NS6detail17trampoline_kernelINS0_14default_configENS1_38merge_sort_block_merge_config_selectorIalEEZZNS1_27merge_sort_block_merge_implIS3_PaN6thrust23THRUST_200600_302600_NS10device_ptrIlEEjNS1_19radix_merge_compareILb0ELb1EaNS0_19identity_decomposerEEEEE10hipError_tT0_T1_T2_jT3_P12ihipStream_tbPNSt15iterator_traitsISG_E10value_typeEPNSM_ISH_E10value_typeEPSI_NS1_7vsmem_tEENKUlT_SG_SH_SI_E_clIS7_S7_PlSB_EESF_SV_SG_SH_SI_EUlSV_E0_NS1_11comp_targetILNS1_3genE0ELNS1_11target_archE4294967295ELNS1_3gpuE0ELNS1_3repE0EEENS1_38merge_mergepath_config_static_selectorELNS0_4arch9wavefront6targetE1EEEvSH_
    .private_segment_fixed_size: 0
    .sgpr_count:     4
    .sgpr_spill_count: 0
    .symbol:         _ZN7rocprim17ROCPRIM_400000_NS6detail17trampoline_kernelINS0_14default_configENS1_38merge_sort_block_merge_config_selectorIalEEZZNS1_27merge_sort_block_merge_implIS3_PaN6thrust23THRUST_200600_302600_NS10device_ptrIlEEjNS1_19radix_merge_compareILb0ELb1EaNS0_19identity_decomposerEEEEE10hipError_tT0_T1_T2_jT3_P12ihipStream_tbPNSt15iterator_traitsISG_E10value_typeEPNSM_ISH_E10value_typeEPSI_NS1_7vsmem_tEENKUlT_SG_SH_SI_E_clIS7_S7_PlSB_EESF_SV_SG_SH_SI_EUlSV_E0_NS1_11comp_targetILNS1_3genE0ELNS1_11target_archE4294967295ELNS1_3gpuE0ELNS1_3repE0EEENS1_38merge_mergepath_config_static_selectorELNS0_4arch9wavefront6targetE1EEEvSH_.kd
    .uniform_work_group_size: 1
    .uses_dynamic_stack: false
    .vgpr_count:     0
    .vgpr_spill_count: 0
    .wavefront_size: 64
  - .args:
      - .offset:         0
        .size:           64
        .value_kind:     by_value
    .group_segment_fixed_size: 0
    .kernarg_segment_align: 8
    .kernarg_segment_size: 64
    .language:       OpenCL C
    .language_version:
      - 2
      - 0
    .max_flat_workgroup_size: 128
    .name:           _ZN7rocprim17ROCPRIM_400000_NS6detail17trampoline_kernelINS0_14default_configENS1_38merge_sort_block_merge_config_selectorIalEEZZNS1_27merge_sort_block_merge_implIS3_PaN6thrust23THRUST_200600_302600_NS10device_ptrIlEEjNS1_19radix_merge_compareILb0ELb1EaNS0_19identity_decomposerEEEEE10hipError_tT0_T1_T2_jT3_P12ihipStream_tbPNSt15iterator_traitsISG_E10value_typeEPNSM_ISH_E10value_typeEPSI_NS1_7vsmem_tEENKUlT_SG_SH_SI_E_clIS7_S7_PlSB_EESF_SV_SG_SH_SI_EUlSV_E0_NS1_11comp_targetILNS1_3genE10ELNS1_11target_archE1201ELNS1_3gpuE5ELNS1_3repE0EEENS1_38merge_mergepath_config_static_selectorELNS0_4arch9wavefront6targetE1EEEvSH_
    .private_segment_fixed_size: 0
    .sgpr_count:     4
    .sgpr_spill_count: 0
    .symbol:         _ZN7rocprim17ROCPRIM_400000_NS6detail17trampoline_kernelINS0_14default_configENS1_38merge_sort_block_merge_config_selectorIalEEZZNS1_27merge_sort_block_merge_implIS3_PaN6thrust23THRUST_200600_302600_NS10device_ptrIlEEjNS1_19radix_merge_compareILb0ELb1EaNS0_19identity_decomposerEEEEE10hipError_tT0_T1_T2_jT3_P12ihipStream_tbPNSt15iterator_traitsISG_E10value_typeEPNSM_ISH_E10value_typeEPSI_NS1_7vsmem_tEENKUlT_SG_SH_SI_E_clIS7_S7_PlSB_EESF_SV_SG_SH_SI_EUlSV_E0_NS1_11comp_targetILNS1_3genE10ELNS1_11target_archE1201ELNS1_3gpuE5ELNS1_3repE0EEENS1_38merge_mergepath_config_static_selectorELNS0_4arch9wavefront6targetE1EEEvSH_.kd
    .uniform_work_group_size: 1
    .uses_dynamic_stack: false
    .vgpr_count:     0
    .vgpr_spill_count: 0
    .wavefront_size: 64
  - .args:
      - .offset:         0
        .size:           64
        .value_kind:     by_value
    .group_segment_fixed_size: 0
    .kernarg_segment_align: 8
    .kernarg_segment_size: 64
    .language:       OpenCL C
    .language_version:
      - 2
      - 0
    .max_flat_workgroup_size: 128
    .name:           _ZN7rocprim17ROCPRIM_400000_NS6detail17trampoline_kernelINS0_14default_configENS1_38merge_sort_block_merge_config_selectorIalEEZZNS1_27merge_sort_block_merge_implIS3_PaN6thrust23THRUST_200600_302600_NS10device_ptrIlEEjNS1_19radix_merge_compareILb0ELb1EaNS0_19identity_decomposerEEEEE10hipError_tT0_T1_T2_jT3_P12ihipStream_tbPNSt15iterator_traitsISG_E10value_typeEPNSM_ISH_E10value_typeEPSI_NS1_7vsmem_tEENKUlT_SG_SH_SI_E_clIS7_S7_PlSB_EESF_SV_SG_SH_SI_EUlSV_E0_NS1_11comp_targetILNS1_3genE5ELNS1_11target_archE942ELNS1_3gpuE9ELNS1_3repE0EEENS1_38merge_mergepath_config_static_selectorELNS0_4arch9wavefront6targetE1EEEvSH_
    .private_segment_fixed_size: 0
    .sgpr_count:     4
    .sgpr_spill_count: 0
    .symbol:         _ZN7rocprim17ROCPRIM_400000_NS6detail17trampoline_kernelINS0_14default_configENS1_38merge_sort_block_merge_config_selectorIalEEZZNS1_27merge_sort_block_merge_implIS3_PaN6thrust23THRUST_200600_302600_NS10device_ptrIlEEjNS1_19radix_merge_compareILb0ELb1EaNS0_19identity_decomposerEEEEE10hipError_tT0_T1_T2_jT3_P12ihipStream_tbPNSt15iterator_traitsISG_E10value_typeEPNSM_ISH_E10value_typeEPSI_NS1_7vsmem_tEENKUlT_SG_SH_SI_E_clIS7_S7_PlSB_EESF_SV_SG_SH_SI_EUlSV_E0_NS1_11comp_targetILNS1_3genE5ELNS1_11target_archE942ELNS1_3gpuE9ELNS1_3repE0EEENS1_38merge_mergepath_config_static_selectorELNS0_4arch9wavefront6targetE1EEEvSH_.kd
    .uniform_work_group_size: 1
    .uses_dynamic_stack: false
    .vgpr_count:     0
    .vgpr_spill_count: 0
    .wavefront_size: 64
  - .args:
      - .offset:         0
        .size:           64
        .value_kind:     by_value
    .group_segment_fixed_size: 0
    .kernarg_segment_align: 8
    .kernarg_segment_size: 64
    .language:       OpenCL C
    .language_version:
      - 2
      - 0
    .max_flat_workgroup_size: 256
    .name:           _ZN7rocprim17ROCPRIM_400000_NS6detail17trampoline_kernelINS0_14default_configENS1_38merge_sort_block_merge_config_selectorIalEEZZNS1_27merge_sort_block_merge_implIS3_PaN6thrust23THRUST_200600_302600_NS10device_ptrIlEEjNS1_19radix_merge_compareILb0ELb1EaNS0_19identity_decomposerEEEEE10hipError_tT0_T1_T2_jT3_P12ihipStream_tbPNSt15iterator_traitsISG_E10value_typeEPNSM_ISH_E10value_typeEPSI_NS1_7vsmem_tEENKUlT_SG_SH_SI_E_clIS7_S7_PlSB_EESF_SV_SG_SH_SI_EUlSV_E0_NS1_11comp_targetILNS1_3genE4ELNS1_11target_archE910ELNS1_3gpuE8ELNS1_3repE0EEENS1_38merge_mergepath_config_static_selectorELNS0_4arch9wavefront6targetE1EEEvSH_
    .private_segment_fixed_size: 0
    .sgpr_count:     4
    .sgpr_spill_count: 0
    .symbol:         _ZN7rocprim17ROCPRIM_400000_NS6detail17trampoline_kernelINS0_14default_configENS1_38merge_sort_block_merge_config_selectorIalEEZZNS1_27merge_sort_block_merge_implIS3_PaN6thrust23THRUST_200600_302600_NS10device_ptrIlEEjNS1_19radix_merge_compareILb0ELb1EaNS0_19identity_decomposerEEEEE10hipError_tT0_T1_T2_jT3_P12ihipStream_tbPNSt15iterator_traitsISG_E10value_typeEPNSM_ISH_E10value_typeEPSI_NS1_7vsmem_tEENKUlT_SG_SH_SI_E_clIS7_S7_PlSB_EESF_SV_SG_SH_SI_EUlSV_E0_NS1_11comp_targetILNS1_3genE4ELNS1_11target_archE910ELNS1_3gpuE8ELNS1_3repE0EEENS1_38merge_mergepath_config_static_selectorELNS0_4arch9wavefront6targetE1EEEvSH_.kd
    .uniform_work_group_size: 1
    .uses_dynamic_stack: false
    .vgpr_count:     0
    .vgpr_spill_count: 0
    .wavefront_size: 64
  - .args:
      - .offset:         0
        .size:           64
        .value_kind:     by_value
    .group_segment_fixed_size: 0
    .kernarg_segment_align: 8
    .kernarg_segment_size: 64
    .language:       OpenCL C
    .language_version:
      - 2
      - 0
    .max_flat_workgroup_size: 512
    .name:           _ZN7rocprim17ROCPRIM_400000_NS6detail17trampoline_kernelINS0_14default_configENS1_38merge_sort_block_merge_config_selectorIalEEZZNS1_27merge_sort_block_merge_implIS3_PaN6thrust23THRUST_200600_302600_NS10device_ptrIlEEjNS1_19radix_merge_compareILb0ELb1EaNS0_19identity_decomposerEEEEE10hipError_tT0_T1_T2_jT3_P12ihipStream_tbPNSt15iterator_traitsISG_E10value_typeEPNSM_ISH_E10value_typeEPSI_NS1_7vsmem_tEENKUlT_SG_SH_SI_E_clIS7_S7_PlSB_EESF_SV_SG_SH_SI_EUlSV_E0_NS1_11comp_targetILNS1_3genE3ELNS1_11target_archE908ELNS1_3gpuE7ELNS1_3repE0EEENS1_38merge_mergepath_config_static_selectorELNS0_4arch9wavefront6targetE1EEEvSH_
    .private_segment_fixed_size: 0
    .sgpr_count:     4
    .sgpr_spill_count: 0
    .symbol:         _ZN7rocprim17ROCPRIM_400000_NS6detail17trampoline_kernelINS0_14default_configENS1_38merge_sort_block_merge_config_selectorIalEEZZNS1_27merge_sort_block_merge_implIS3_PaN6thrust23THRUST_200600_302600_NS10device_ptrIlEEjNS1_19radix_merge_compareILb0ELb1EaNS0_19identity_decomposerEEEEE10hipError_tT0_T1_T2_jT3_P12ihipStream_tbPNSt15iterator_traitsISG_E10value_typeEPNSM_ISH_E10value_typeEPSI_NS1_7vsmem_tEENKUlT_SG_SH_SI_E_clIS7_S7_PlSB_EESF_SV_SG_SH_SI_EUlSV_E0_NS1_11comp_targetILNS1_3genE3ELNS1_11target_archE908ELNS1_3gpuE7ELNS1_3repE0EEENS1_38merge_mergepath_config_static_selectorELNS0_4arch9wavefront6targetE1EEEvSH_.kd
    .uniform_work_group_size: 1
    .uses_dynamic_stack: false
    .vgpr_count:     0
    .vgpr_spill_count: 0
    .wavefront_size: 64
  - .args:
      - .offset:         0
        .size:           64
        .value_kind:     by_value
      - .offset:         64
        .size:           4
        .value_kind:     hidden_block_count_x
      - .offset:         68
        .size:           4
        .value_kind:     hidden_block_count_y
      - .offset:         72
        .size:           4
        .value_kind:     hidden_block_count_z
      - .offset:         76
        .size:           2
        .value_kind:     hidden_group_size_x
      - .offset:         78
        .size:           2
        .value_kind:     hidden_group_size_y
      - .offset:         80
        .size:           2
        .value_kind:     hidden_group_size_z
      - .offset:         82
        .size:           2
        .value_kind:     hidden_remainder_x
      - .offset:         84
        .size:           2
        .value_kind:     hidden_remainder_y
      - .offset:         86
        .size:           2
        .value_kind:     hidden_remainder_z
      - .offset:         104
        .size:           8
        .value_kind:     hidden_global_offset_x
      - .offset:         112
        .size:           8
        .value_kind:     hidden_global_offset_y
      - .offset:         120
        .size:           8
        .value_kind:     hidden_global_offset_z
      - .offset:         128
        .size:           2
        .value_kind:     hidden_grid_dims
    .group_segment_fixed_size: 8448
    .kernarg_segment_align: 8
    .kernarg_segment_size: 320
    .language:       OpenCL C
    .language_version:
      - 2
      - 0
    .max_flat_workgroup_size: 256
    .name:           _ZN7rocprim17ROCPRIM_400000_NS6detail17trampoline_kernelINS0_14default_configENS1_38merge_sort_block_merge_config_selectorIalEEZZNS1_27merge_sort_block_merge_implIS3_PaN6thrust23THRUST_200600_302600_NS10device_ptrIlEEjNS1_19radix_merge_compareILb0ELb1EaNS0_19identity_decomposerEEEEE10hipError_tT0_T1_T2_jT3_P12ihipStream_tbPNSt15iterator_traitsISG_E10value_typeEPNSM_ISH_E10value_typeEPSI_NS1_7vsmem_tEENKUlT_SG_SH_SI_E_clIS7_S7_PlSB_EESF_SV_SG_SH_SI_EUlSV_E0_NS1_11comp_targetILNS1_3genE2ELNS1_11target_archE906ELNS1_3gpuE6ELNS1_3repE0EEENS1_38merge_mergepath_config_static_selectorELNS0_4arch9wavefront6targetE1EEEvSH_
    .private_segment_fixed_size: 0
    .sgpr_count:     35
    .sgpr_spill_count: 0
    .symbol:         _ZN7rocprim17ROCPRIM_400000_NS6detail17trampoline_kernelINS0_14default_configENS1_38merge_sort_block_merge_config_selectorIalEEZZNS1_27merge_sort_block_merge_implIS3_PaN6thrust23THRUST_200600_302600_NS10device_ptrIlEEjNS1_19radix_merge_compareILb0ELb1EaNS0_19identity_decomposerEEEEE10hipError_tT0_T1_T2_jT3_P12ihipStream_tbPNSt15iterator_traitsISG_E10value_typeEPNSM_ISH_E10value_typeEPSI_NS1_7vsmem_tEENKUlT_SG_SH_SI_E_clIS7_S7_PlSB_EESF_SV_SG_SH_SI_EUlSV_E0_NS1_11comp_targetILNS1_3genE2ELNS1_11target_archE906ELNS1_3gpuE6ELNS1_3repE0EEENS1_38merge_mergepath_config_static_selectorELNS0_4arch9wavefront6targetE1EEEvSH_.kd
    .uniform_work_group_size: 1
    .uses_dynamic_stack: false
    .vgpr_count:     35
    .vgpr_spill_count: 0
    .wavefront_size: 64
  - .args:
      - .offset:         0
        .size:           64
        .value_kind:     by_value
    .group_segment_fixed_size: 0
    .kernarg_segment_align: 8
    .kernarg_segment_size: 64
    .language:       OpenCL C
    .language_version:
      - 2
      - 0
    .max_flat_workgroup_size: 512
    .name:           _ZN7rocprim17ROCPRIM_400000_NS6detail17trampoline_kernelINS0_14default_configENS1_38merge_sort_block_merge_config_selectorIalEEZZNS1_27merge_sort_block_merge_implIS3_PaN6thrust23THRUST_200600_302600_NS10device_ptrIlEEjNS1_19radix_merge_compareILb0ELb1EaNS0_19identity_decomposerEEEEE10hipError_tT0_T1_T2_jT3_P12ihipStream_tbPNSt15iterator_traitsISG_E10value_typeEPNSM_ISH_E10value_typeEPSI_NS1_7vsmem_tEENKUlT_SG_SH_SI_E_clIS7_S7_PlSB_EESF_SV_SG_SH_SI_EUlSV_E0_NS1_11comp_targetILNS1_3genE9ELNS1_11target_archE1100ELNS1_3gpuE3ELNS1_3repE0EEENS1_38merge_mergepath_config_static_selectorELNS0_4arch9wavefront6targetE1EEEvSH_
    .private_segment_fixed_size: 0
    .sgpr_count:     4
    .sgpr_spill_count: 0
    .symbol:         _ZN7rocprim17ROCPRIM_400000_NS6detail17trampoline_kernelINS0_14default_configENS1_38merge_sort_block_merge_config_selectorIalEEZZNS1_27merge_sort_block_merge_implIS3_PaN6thrust23THRUST_200600_302600_NS10device_ptrIlEEjNS1_19radix_merge_compareILb0ELb1EaNS0_19identity_decomposerEEEEE10hipError_tT0_T1_T2_jT3_P12ihipStream_tbPNSt15iterator_traitsISG_E10value_typeEPNSM_ISH_E10value_typeEPSI_NS1_7vsmem_tEENKUlT_SG_SH_SI_E_clIS7_S7_PlSB_EESF_SV_SG_SH_SI_EUlSV_E0_NS1_11comp_targetILNS1_3genE9ELNS1_11target_archE1100ELNS1_3gpuE3ELNS1_3repE0EEENS1_38merge_mergepath_config_static_selectorELNS0_4arch9wavefront6targetE1EEEvSH_.kd
    .uniform_work_group_size: 1
    .uses_dynamic_stack: false
    .vgpr_count:     0
    .vgpr_spill_count: 0
    .wavefront_size: 64
  - .args:
      - .offset:         0
        .size:           64
        .value_kind:     by_value
    .group_segment_fixed_size: 0
    .kernarg_segment_align: 8
    .kernarg_segment_size: 64
    .language:       OpenCL C
    .language_version:
      - 2
      - 0
    .max_flat_workgroup_size: 1024
    .name:           _ZN7rocprim17ROCPRIM_400000_NS6detail17trampoline_kernelINS0_14default_configENS1_38merge_sort_block_merge_config_selectorIalEEZZNS1_27merge_sort_block_merge_implIS3_PaN6thrust23THRUST_200600_302600_NS10device_ptrIlEEjNS1_19radix_merge_compareILb0ELb1EaNS0_19identity_decomposerEEEEE10hipError_tT0_T1_T2_jT3_P12ihipStream_tbPNSt15iterator_traitsISG_E10value_typeEPNSM_ISH_E10value_typeEPSI_NS1_7vsmem_tEENKUlT_SG_SH_SI_E_clIS7_S7_PlSB_EESF_SV_SG_SH_SI_EUlSV_E0_NS1_11comp_targetILNS1_3genE8ELNS1_11target_archE1030ELNS1_3gpuE2ELNS1_3repE0EEENS1_38merge_mergepath_config_static_selectorELNS0_4arch9wavefront6targetE1EEEvSH_
    .private_segment_fixed_size: 0
    .sgpr_count:     4
    .sgpr_spill_count: 0
    .symbol:         _ZN7rocprim17ROCPRIM_400000_NS6detail17trampoline_kernelINS0_14default_configENS1_38merge_sort_block_merge_config_selectorIalEEZZNS1_27merge_sort_block_merge_implIS3_PaN6thrust23THRUST_200600_302600_NS10device_ptrIlEEjNS1_19radix_merge_compareILb0ELb1EaNS0_19identity_decomposerEEEEE10hipError_tT0_T1_T2_jT3_P12ihipStream_tbPNSt15iterator_traitsISG_E10value_typeEPNSM_ISH_E10value_typeEPSI_NS1_7vsmem_tEENKUlT_SG_SH_SI_E_clIS7_S7_PlSB_EESF_SV_SG_SH_SI_EUlSV_E0_NS1_11comp_targetILNS1_3genE8ELNS1_11target_archE1030ELNS1_3gpuE2ELNS1_3repE0EEENS1_38merge_mergepath_config_static_selectorELNS0_4arch9wavefront6targetE1EEEvSH_.kd
    .uniform_work_group_size: 1
    .uses_dynamic_stack: false
    .vgpr_count:     0
    .vgpr_spill_count: 0
    .wavefront_size: 64
  - .args:
      - .offset:         0
        .size:           48
        .value_kind:     by_value
    .group_segment_fixed_size: 0
    .kernarg_segment_align: 8
    .kernarg_segment_size: 48
    .language:       OpenCL C
    .language_version:
      - 2
      - 0
    .max_flat_workgroup_size: 256
    .name:           _ZN7rocprim17ROCPRIM_400000_NS6detail17trampoline_kernelINS0_14default_configENS1_38merge_sort_block_merge_config_selectorIalEEZZNS1_27merge_sort_block_merge_implIS3_PaN6thrust23THRUST_200600_302600_NS10device_ptrIlEEjNS1_19radix_merge_compareILb0ELb1EaNS0_19identity_decomposerEEEEE10hipError_tT0_T1_T2_jT3_P12ihipStream_tbPNSt15iterator_traitsISG_E10value_typeEPNSM_ISH_E10value_typeEPSI_NS1_7vsmem_tEENKUlT_SG_SH_SI_E_clIS7_S7_PlSB_EESF_SV_SG_SH_SI_EUlSV_E1_NS1_11comp_targetILNS1_3genE0ELNS1_11target_archE4294967295ELNS1_3gpuE0ELNS1_3repE0EEENS1_36merge_oddeven_config_static_selectorELNS0_4arch9wavefront6targetE1EEEvSH_
    .private_segment_fixed_size: 0
    .sgpr_count:     4
    .sgpr_spill_count: 0
    .symbol:         _ZN7rocprim17ROCPRIM_400000_NS6detail17trampoline_kernelINS0_14default_configENS1_38merge_sort_block_merge_config_selectorIalEEZZNS1_27merge_sort_block_merge_implIS3_PaN6thrust23THRUST_200600_302600_NS10device_ptrIlEEjNS1_19radix_merge_compareILb0ELb1EaNS0_19identity_decomposerEEEEE10hipError_tT0_T1_T2_jT3_P12ihipStream_tbPNSt15iterator_traitsISG_E10value_typeEPNSM_ISH_E10value_typeEPSI_NS1_7vsmem_tEENKUlT_SG_SH_SI_E_clIS7_S7_PlSB_EESF_SV_SG_SH_SI_EUlSV_E1_NS1_11comp_targetILNS1_3genE0ELNS1_11target_archE4294967295ELNS1_3gpuE0ELNS1_3repE0EEENS1_36merge_oddeven_config_static_selectorELNS0_4arch9wavefront6targetE1EEEvSH_.kd
    .uniform_work_group_size: 1
    .uses_dynamic_stack: false
    .vgpr_count:     0
    .vgpr_spill_count: 0
    .wavefront_size: 64
  - .args:
      - .offset:         0
        .size:           48
        .value_kind:     by_value
    .group_segment_fixed_size: 0
    .kernarg_segment_align: 8
    .kernarg_segment_size: 48
    .language:       OpenCL C
    .language_version:
      - 2
      - 0
    .max_flat_workgroup_size: 256
    .name:           _ZN7rocprim17ROCPRIM_400000_NS6detail17trampoline_kernelINS0_14default_configENS1_38merge_sort_block_merge_config_selectorIalEEZZNS1_27merge_sort_block_merge_implIS3_PaN6thrust23THRUST_200600_302600_NS10device_ptrIlEEjNS1_19radix_merge_compareILb0ELb1EaNS0_19identity_decomposerEEEEE10hipError_tT0_T1_T2_jT3_P12ihipStream_tbPNSt15iterator_traitsISG_E10value_typeEPNSM_ISH_E10value_typeEPSI_NS1_7vsmem_tEENKUlT_SG_SH_SI_E_clIS7_S7_PlSB_EESF_SV_SG_SH_SI_EUlSV_E1_NS1_11comp_targetILNS1_3genE10ELNS1_11target_archE1201ELNS1_3gpuE5ELNS1_3repE0EEENS1_36merge_oddeven_config_static_selectorELNS0_4arch9wavefront6targetE1EEEvSH_
    .private_segment_fixed_size: 0
    .sgpr_count:     4
    .sgpr_spill_count: 0
    .symbol:         _ZN7rocprim17ROCPRIM_400000_NS6detail17trampoline_kernelINS0_14default_configENS1_38merge_sort_block_merge_config_selectorIalEEZZNS1_27merge_sort_block_merge_implIS3_PaN6thrust23THRUST_200600_302600_NS10device_ptrIlEEjNS1_19radix_merge_compareILb0ELb1EaNS0_19identity_decomposerEEEEE10hipError_tT0_T1_T2_jT3_P12ihipStream_tbPNSt15iterator_traitsISG_E10value_typeEPNSM_ISH_E10value_typeEPSI_NS1_7vsmem_tEENKUlT_SG_SH_SI_E_clIS7_S7_PlSB_EESF_SV_SG_SH_SI_EUlSV_E1_NS1_11comp_targetILNS1_3genE10ELNS1_11target_archE1201ELNS1_3gpuE5ELNS1_3repE0EEENS1_36merge_oddeven_config_static_selectorELNS0_4arch9wavefront6targetE1EEEvSH_.kd
    .uniform_work_group_size: 1
    .uses_dynamic_stack: false
    .vgpr_count:     0
    .vgpr_spill_count: 0
    .wavefront_size: 64
  - .args:
      - .offset:         0
        .size:           48
        .value_kind:     by_value
    .group_segment_fixed_size: 0
    .kernarg_segment_align: 8
    .kernarg_segment_size: 48
    .language:       OpenCL C
    .language_version:
      - 2
      - 0
    .max_flat_workgroup_size: 256
    .name:           _ZN7rocprim17ROCPRIM_400000_NS6detail17trampoline_kernelINS0_14default_configENS1_38merge_sort_block_merge_config_selectorIalEEZZNS1_27merge_sort_block_merge_implIS3_PaN6thrust23THRUST_200600_302600_NS10device_ptrIlEEjNS1_19radix_merge_compareILb0ELb1EaNS0_19identity_decomposerEEEEE10hipError_tT0_T1_T2_jT3_P12ihipStream_tbPNSt15iterator_traitsISG_E10value_typeEPNSM_ISH_E10value_typeEPSI_NS1_7vsmem_tEENKUlT_SG_SH_SI_E_clIS7_S7_PlSB_EESF_SV_SG_SH_SI_EUlSV_E1_NS1_11comp_targetILNS1_3genE5ELNS1_11target_archE942ELNS1_3gpuE9ELNS1_3repE0EEENS1_36merge_oddeven_config_static_selectorELNS0_4arch9wavefront6targetE1EEEvSH_
    .private_segment_fixed_size: 0
    .sgpr_count:     4
    .sgpr_spill_count: 0
    .symbol:         _ZN7rocprim17ROCPRIM_400000_NS6detail17trampoline_kernelINS0_14default_configENS1_38merge_sort_block_merge_config_selectorIalEEZZNS1_27merge_sort_block_merge_implIS3_PaN6thrust23THRUST_200600_302600_NS10device_ptrIlEEjNS1_19radix_merge_compareILb0ELb1EaNS0_19identity_decomposerEEEEE10hipError_tT0_T1_T2_jT3_P12ihipStream_tbPNSt15iterator_traitsISG_E10value_typeEPNSM_ISH_E10value_typeEPSI_NS1_7vsmem_tEENKUlT_SG_SH_SI_E_clIS7_S7_PlSB_EESF_SV_SG_SH_SI_EUlSV_E1_NS1_11comp_targetILNS1_3genE5ELNS1_11target_archE942ELNS1_3gpuE9ELNS1_3repE0EEENS1_36merge_oddeven_config_static_selectorELNS0_4arch9wavefront6targetE1EEEvSH_.kd
    .uniform_work_group_size: 1
    .uses_dynamic_stack: false
    .vgpr_count:     0
    .vgpr_spill_count: 0
    .wavefront_size: 64
  - .args:
      - .offset:         0
        .size:           48
        .value_kind:     by_value
    .group_segment_fixed_size: 0
    .kernarg_segment_align: 8
    .kernarg_segment_size: 48
    .language:       OpenCL C
    .language_version:
      - 2
      - 0
    .max_flat_workgroup_size: 256
    .name:           _ZN7rocprim17ROCPRIM_400000_NS6detail17trampoline_kernelINS0_14default_configENS1_38merge_sort_block_merge_config_selectorIalEEZZNS1_27merge_sort_block_merge_implIS3_PaN6thrust23THRUST_200600_302600_NS10device_ptrIlEEjNS1_19radix_merge_compareILb0ELb1EaNS0_19identity_decomposerEEEEE10hipError_tT0_T1_T2_jT3_P12ihipStream_tbPNSt15iterator_traitsISG_E10value_typeEPNSM_ISH_E10value_typeEPSI_NS1_7vsmem_tEENKUlT_SG_SH_SI_E_clIS7_S7_PlSB_EESF_SV_SG_SH_SI_EUlSV_E1_NS1_11comp_targetILNS1_3genE4ELNS1_11target_archE910ELNS1_3gpuE8ELNS1_3repE0EEENS1_36merge_oddeven_config_static_selectorELNS0_4arch9wavefront6targetE1EEEvSH_
    .private_segment_fixed_size: 0
    .sgpr_count:     4
    .sgpr_spill_count: 0
    .symbol:         _ZN7rocprim17ROCPRIM_400000_NS6detail17trampoline_kernelINS0_14default_configENS1_38merge_sort_block_merge_config_selectorIalEEZZNS1_27merge_sort_block_merge_implIS3_PaN6thrust23THRUST_200600_302600_NS10device_ptrIlEEjNS1_19radix_merge_compareILb0ELb1EaNS0_19identity_decomposerEEEEE10hipError_tT0_T1_T2_jT3_P12ihipStream_tbPNSt15iterator_traitsISG_E10value_typeEPNSM_ISH_E10value_typeEPSI_NS1_7vsmem_tEENKUlT_SG_SH_SI_E_clIS7_S7_PlSB_EESF_SV_SG_SH_SI_EUlSV_E1_NS1_11comp_targetILNS1_3genE4ELNS1_11target_archE910ELNS1_3gpuE8ELNS1_3repE0EEENS1_36merge_oddeven_config_static_selectorELNS0_4arch9wavefront6targetE1EEEvSH_.kd
    .uniform_work_group_size: 1
    .uses_dynamic_stack: false
    .vgpr_count:     0
    .vgpr_spill_count: 0
    .wavefront_size: 64
  - .args:
      - .offset:         0
        .size:           48
        .value_kind:     by_value
    .group_segment_fixed_size: 0
    .kernarg_segment_align: 8
    .kernarg_segment_size: 48
    .language:       OpenCL C
    .language_version:
      - 2
      - 0
    .max_flat_workgroup_size: 256
    .name:           _ZN7rocprim17ROCPRIM_400000_NS6detail17trampoline_kernelINS0_14default_configENS1_38merge_sort_block_merge_config_selectorIalEEZZNS1_27merge_sort_block_merge_implIS3_PaN6thrust23THRUST_200600_302600_NS10device_ptrIlEEjNS1_19radix_merge_compareILb0ELb1EaNS0_19identity_decomposerEEEEE10hipError_tT0_T1_T2_jT3_P12ihipStream_tbPNSt15iterator_traitsISG_E10value_typeEPNSM_ISH_E10value_typeEPSI_NS1_7vsmem_tEENKUlT_SG_SH_SI_E_clIS7_S7_PlSB_EESF_SV_SG_SH_SI_EUlSV_E1_NS1_11comp_targetILNS1_3genE3ELNS1_11target_archE908ELNS1_3gpuE7ELNS1_3repE0EEENS1_36merge_oddeven_config_static_selectorELNS0_4arch9wavefront6targetE1EEEvSH_
    .private_segment_fixed_size: 0
    .sgpr_count:     4
    .sgpr_spill_count: 0
    .symbol:         _ZN7rocprim17ROCPRIM_400000_NS6detail17trampoline_kernelINS0_14default_configENS1_38merge_sort_block_merge_config_selectorIalEEZZNS1_27merge_sort_block_merge_implIS3_PaN6thrust23THRUST_200600_302600_NS10device_ptrIlEEjNS1_19radix_merge_compareILb0ELb1EaNS0_19identity_decomposerEEEEE10hipError_tT0_T1_T2_jT3_P12ihipStream_tbPNSt15iterator_traitsISG_E10value_typeEPNSM_ISH_E10value_typeEPSI_NS1_7vsmem_tEENKUlT_SG_SH_SI_E_clIS7_S7_PlSB_EESF_SV_SG_SH_SI_EUlSV_E1_NS1_11comp_targetILNS1_3genE3ELNS1_11target_archE908ELNS1_3gpuE7ELNS1_3repE0EEENS1_36merge_oddeven_config_static_selectorELNS0_4arch9wavefront6targetE1EEEvSH_.kd
    .uniform_work_group_size: 1
    .uses_dynamic_stack: false
    .vgpr_count:     0
    .vgpr_spill_count: 0
    .wavefront_size: 64
  - .args:
      - .offset:         0
        .size:           48
        .value_kind:     by_value
    .group_segment_fixed_size: 0
    .kernarg_segment_align: 8
    .kernarg_segment_size: 48
    .language:       OpenCL C
    .language_version:
      - 2
      - 0
    .max_flat_workgroup_size: 256
    .name:           _ZN7rocprim17ROCPRIM_400000_NS6detail17trampoline_kernelINS0_14default_configENS1_38merge_sort_block_merge_config_selectorIalEEZZNS1_27merge_sort_block_merge_implIS3_PaN6thrust23THRUST_200600_302600_NS10device_ptrIlEEjNS1_19radix_merge_compareILb0ELb1EaNS0_19identity_decomposerEEEEE10hipError_tT0_T1_T2_jT3_P12ihipStream_tbPNSt15iterator_traitsISG_E10value_typeEPNSM_ISH_E10value_typeEPSI_NS1_7vsmem_tEENKUlT_SG_SH_SI_E_clIS7_S7_PlSB_EESF_SV_SG_SH_SI_EUlSV_E1_NS1_11comp_targetILNS1_3genE2ELNS1_11target_archE906ELNS1_3gpuE6ELNS1_3repE0EEENS1_36merge_oddeven_config_static_selectorELNS0_4arch9wavefront6targetE1EEEvSH_
    .private_segment_fixed_size: 0
    .sgpr_count:     28
    .sgpr_spill_count: 0
    .symbol:         _ZN7rocprim17ROCPRIM_400000_NS6detail17trampoline_kernelINS0_14default_configENS1_38merge_sort_block_merge_config_selectorIalEEZZNS1_27merge_sort_block_merge_implIS3_PaN6thrust23THRUST_200600_302600_NS10device_ptrIlEEjNS1_19radix_merge_compareILb0ELb1EaNS0_19identity_decomposerEEEEE10hipError_tT0_T1_T2_jT3_P12ihipStream_tbPNSt15iterator_traitsISG_E10value_typeEPNSM_ISH_E10value_typeEPSI_NS1_7vsmem_tEENKUlT_SG_SH_SI_E_clIS7_S7_PlSB_EESF_SV_SG_SH_SI_EUlSV_E1_NS1_11comp_targetILNS1_3genE2ELNS1_11target_archE906ELNS1_3gpuE6ELNS1_3repE0EEENS1_36merge_oddeven_config_static_selectorELNS0_4arch9wavefront6targetE1EEEvSH_.kd
    .uniform_work_group_size: 1
    .uses_dynamic_stack: false
    .vgpr_count:     11
    .vgpr_spill_count: 0
    .wavefront_size: 64
  - .args:
      - .offset:         0
        .size:           48
        .value_kind:     by_value
    .group_segment_fixed_size: 0
    .kernarg_segment_align: 8
    .kernarg_segment_size: 48
    .language:       OpenCL C
    .language_version:
      - 2
      - 0
    .max_flat_workgroup_size: 256
    .name:           _ZN7rocprim17ROCPRIM_400000_NS6detail17trampoline_kernelINS0_14default_configENS1_38merge_sort_block_merge_config_selectorIalEEZZNS1_27merge_sort_block_merge_implIS3_PaN6thrust23THRUST_200600_302600_NS10device_ptrIlEEjNS1_19radix_merge_compareILb0ELb1EaNS0_19identity_decomposerEEEEE10hipError_tT0_T1_T2_jT3_P12ihipStream_tbPNSt15iterator_traitsISG_E10value_typeEPNSM_ISH_E10value_typeEPSI_NS1_7vsmem_tEENKUlT_SG_SH_SI_E_clIS7_S7_PlSB_EESF_SV_SG_SH_SI_EUlSV_E1_NS1_11comp_targetILNS1_3genE9ELNS1_11target_archE1100ELNS1_3gpuE3ELNS1_3repE0EEENS1_36merge_oddeven_config_static_selectorELNS0_4arch9wavefront6targetE1EEEvSH_
    .private_segment_fixed_size: 0
    .sgpr_count:     4
    .sgpr_spill_count: 0
    .symbol:         _ZN7rocprim17ROCPRIM_400000_NS6detail17trampoline_kernelINS0_14default_configENS1_38merge_sort_block_merge_config_selectorIalEEZZNS1_27merge_sort_block_merge_implIS3_PaN6thrust23THRUST_200600_302600_NS10device_ptrIlEEjNS1_19radix_merge_compareILb0ELb1EaNS0_19identity_decomposerEEEEE10hipError_tT0_T1_T2_jT3_P12ihipStream_tbPNSt15iterator_traitsISG_E10value_typeEPNSM_ISH_E10value_typeEPSI_NS1_7vsmem_tEENKUlT_SG_SH_SI_E_clIS7_S7_PlSB_EESF_SV_SG_SH_SI_EUlSV_E1_NS1_11comp_targetILNS1_3genE9ELNS1_11target_archE1100ELNS1_3gpuE3ELNS1_3repE0EEENS1_36merge_oddeven_config_static_selectorELNS0_4arch9wavefront6targetE1EEEvSH_.kd
    .uniform_work_group_size: 1
    .uses_dynamic_stack: false
    .vgpr_count:     0
    .vgpr_spill_count: 0
    .wavefront_size: 64
  - .args:
      - .offset:         0
        .size:           48
        .value_kind:     by_value
    .group_segment_fixed_size: 0
    .kernarg_segment_align: 8
    .kernarg_segment_size: 48
    .language:       OpenCL C
    .language_version:
      - 2
      - 0
    .max_flat_workgroup_size: 256
    .name:           _ZN7rocprim17ROCPRIM_400000_NS6detail17trampoline_kernelINS0_14default_configENS1_38merge_sort_block_merge_config_selectorIalEEZZNS1_27merge_sort_block_merge_implIS3_PaN6thrust23THRUST_200600_302600_NS10device_ptrIlEEjNS1_19radix_merge_compareILb0ELb1EaNS0_19identity_decomposerEEEEE10hipError_tT0_T1_T2_jT3_P12ihipStream_tbPNSt15iterator_traitsISG_E10value_typeEPNSM_ISH_E10value_typeEPSI_NS1_7vsmem_tEENKUlT_SG_SH_SI_E_clIS7_S7_PlSB_EESF_SV_SG_SH_SI_EUlSV_E1_NS1_11comp_targetILNS1_3genE8ELNS1_11target_archE1030ELNS1_3gpuE2ELNS1_3repE0EEENS1_36merge_oddeven_config_static_selectorELNS0_4arch9wavefront6targetE1EEEvSH_
    .private_segment_fixed_size: 0
    .sgpr_count:     4
    .sgpr_spill_count: 0
    .symbol:         _ZN7rocprim17ROCPRIM_400000_NS6detail17trampoline_kernelINS0_14default_configENS1_38merge_sort_block_merge_config_selectorIalEEZZNS1_27merge_sort_block_merge_implIS3_PaN6thrust23THRUST_200600_302600_NS10device_ptrIlEEjNS1_19radix_merge_compareILb0ELb1EaNS0_19identity_decomposerEEEEE10hipError_tT0_T1_T2_jT3_P12ihipStream_tbPNSt15iterator_traitsISG_E10value_typeEPNSM_ISH_E10value_typeEPSI_NS1_7vsmem_tEENKUlT_SG_SH_SI_E_clIS7_S7_PlSB_EESF_SV_SG_SH_SI_EUlSV_E1_NS1_11comp_targetILNS1_3genE8ELNS1_11target_archE1030ELNS1_3gpuE2ELNS1_3repE0EEENS1_36merge_oddeven_config_static_selectorELNS0_4arch9wavefront6targetE1EEEvSH_.kd
    .uniform_work_group_size: 1
    .uses_dynamic_stack: false
    .vgpr_count:     0
    .vgpr_spill_count: 0
    .wavefront_size: 64
  - .args:
      - .offset:         0
        .size:           40
        .value_kind:     by_value
    .group_segment_fixed_size: 0
    .kernarg_segment_align: 8
    .kernarg_segment_size: 40
    .language:       OpenCL C
    .language_version:
      - 2
      - 0
    .max_flat_workgroup_size: 128
    .name:           _ZN7rocprim17ROCPRIM_400000_NS6detail17trampoline_kernelINS0_14default_configENS1_38merge_sort_block_merge_config_selectorIalEEZZNS1_27merge_sort_block_merge_implIS3_PaN6thrust23THRUST_200600_302600_NS10device_ptrIlEEjNS1_19radix_merge_compareILb0ELb1EaNS0_19identity_decomposerEEEEE10hipError_tT0_T1_T2_jT3_P12ihipStream_tbPNSt15iterator_traitsISG_E10value_typeEPNSM_ISH_E10value_typeEPSI_NS1_7vsmem_tEENKUlT_SG_SH_SI_E_clIS7_S7_SB_PlEESF_SV_SG_SH_SI_EUlSV_E_NS1_11comp_targetILNS1_3genE0ELNS1_11target_archE4294967295ELNS1_3gpuE0ELNS1_3repE0EEENS1_48merge_mergepath_partition_config_static_selectorELNS0_4arch9wavefront6targetE1EEEvSH_
    .private_segment_fixed_size: 0
    .sgpr_count:     4
    .sgpr_spill_count: 0
    .symbol:         _ZN7rocprim17ROCPRIM_400000_NS6detail17trampoline_kernelINS0_14default_configENS1_38merge_sort_block_merge_config_selectorIalEEZZNS1_27merge_sort_block_merge_implIS3_PaN6thrust23THRUST_200600_302600_NS10device_ptrIlEEjNS1_19radix_merge_compareILb0ELb1EaNS0_19identity_decomposerEEEEE10hipError_tT0_T1_T2_jT3_P12ihipStream_tbPNSt15iterator_traitsISG_E10value_typeEPNSM_ISH_E10value_typeEPSI_NS1_7vsmem_tEENKUlT_SG_SH_SI_E_clIS7_S7_SB_PlEESF_SV_SG_SH_SI_EUlSV_E_NS1_11comp_targetILNS1_3genE0ELNS1_11target_archE4294967295ELNS1_3gpuE0ELNS1_3repE0EEENS1_48merge_mergepath_partition_config_static_selectorELNS0_4arch9wavefront6targetE1EEEvSH_.kd
    .uniform_work_group_size: 1
    .uses_dynamic_stack: false
    .vgpr_count:     0
    .vgpr_spill_count: 0
    .wavefront_size: 64
  - .args:
      - .offset:         0
        .size:           40
        .value_kind:     by_value
    .group_segment_fixed_size: 0
    .kernarg_segment_align: 8
    .kernarg_segment_size: 40
    .language:       OpenCL C
    .language_version:
      - 2
      - 0
    .max_flat_workgroup_size: 128
    .name:           _ZN7rocprim17ROCPRIM_400000_NS6detail17trampoline_kernelINS0_14default_configENS1_38merge_sort_block_merge_config_selectorIalEEZZNS1_27merge_sort_block_merge_implIS3_PaN6thrust23THRUST_200600_302600_NS10device_ptrIlEEjNS1_19radix_merge_compareILb0ELb1EaNS0_19identity_decomposerEEEEE10hipError_tT0_T1_T2_jT3_P12ihipStream_tbPNSt15iterator_traitsISG_E10value_typeEPNSM_ISH_E10value_typeEPSI_NS1_7vsmem_tEENKUlT_SG_SH_SI_E_clIS7_S7_SB_PlEESF_SV_SG_SH_SI_EUlSV_E_NS1_11comp_targetILNS1_3genE10ELNS1_11target_archE1201ELNS1_3gpuE5ELNS1_3repE0EEENS1_48merge_mergepath_partition_config_static_selectorELNS0_4arch9wavefront6targetE1EEEvSH_
    .private_segment_fixed_size: 0
    .sgpr_count:     4
    .sgpr_spill_count: 0
    .symbol:         _ZN7rocprim17ROCPRIM_400000_NS6detail17trampoline_kernelINS0_14default_configENS1_38merge_sort_block_merge_config_selectorIalEEZZNS1_27merge_sort_block_merge_implIS3_PaN6thrust23THRUST_200600_302600_NS10device_ptrIlEEjNS1_19radix_merge_compareILb0ELb1EaNS0_19identity_decomposerEEEEE10hipError_tT0_T1_T2_jT3_P12ihipStream_tbPNSt15iterator_traitsISG_E10value_typeEPNSM_ISH_E10value_typeEPSI_NS1_7vsmem_tEENKUlT_SG_SH_SI_E_clIS7_S7_SB_PlEESF_SV_SG_SH_SI_EUlSV_E_NS1_11comp_targetILNS1_3genE10ELNS1_11target_archE1201ELNS1_3gpuE5ELNS1_3repE0EEENS1_48merge_mergepath_partition_config_static_selectorELNS0_4arch9wavefront6targetE1EEEvSH_.kd
    .uniform_work_group_size: 1
    .uses_dynamic_stack: false
    .vgpr_count:     0
    .vgpr_spill_count: 0
    .wavefront_size: 64
  - .args:
      - .offset:         0
        .size:           40
        .value_kind:     by_value
    .group_segment_fixed_size: 0
    .kernarg_segment_align: 8
    .kernarg_segment_size: 40
    .language:       OpenCL C
    .language_version:
      - 2
      - 0
    .max_flat_workgroup_size: 128
    .name:           _ZN7rocprim17ROCPRIM_400000_NS6detail17trampoline_kernelINS0_14default_configENS1_38merge_sort_block_merge_config_selectorIalEEZZNS1_27merge_sort_block_merge_implIS3_PaN6thrust23THRUST_200600_302600_NS10device_ptrIlEEjNS1_19radix_merge_compareILb0ELb1EaNS0_19identity_decomposerEEEEE10hipError_tT0_T1_T2_jT3_P12ihipStream_tbPNSt15iterator_traitsISG_E10value_typeEPNSM_ISH_E10value_typeEPSI_NS1_7vsmem_tEENKUlT_SG_SH_SI_E_clIS7_S7_SB_PlEESF_SV_SG_SH_SI_EUlSV_E_NS1_11comp_targetILNS1_3genE5ELNS1_11target_archE942ELNS1_3gpuE9ELNS1_3repE0EEENS1_48merge_mergepath_partition_config_static_selectorELNS0_4arch9wavefront6targetE1EEEvSH_
    .private_segment_fixed_size: 0
    .sgpr_count:     4
    .sgpr_spill_count: 0
    .symbol:         _ZN7rocprim17ROCPRIM_400000_NS6detail17trampoline_kernelINS0_14default_configENS1_38merge_sort_block_merge_config_selectorIalEEZZNS1_27merge_sort_block_merge_implIS3_PaN6thrust23THRUST_200600_302600_NS10device_ptrIlEEjNS1_19radix_merge_compareILb0ELb1EaNS0_19identity_decomposerEEEEE10hipError_tT0_T1_T2_jT3_P12ihipStream_tbPNSt15iterator_traitsISG_E10value_typeEPNSM_ISH_E10value_typeEPSI_NS1_7vsmem_tEENKUlT_SG_SH_SI_E_clIS7_S7_SB_PlEESF_SV_SG_SH_SI_EUlSV_E_NS1_11comp_targetILNS1_3genE5ELNS1_11target_archE942ELNS1_3gpuE9ELNS1_3repE0EEENS1_48merge_mergepath_partition_config_static_selectorELNS0_4arch9wavefront6targetE1EEEvSH_.kd
    .uniform_work_group_size: 1
    .uses_dynamic_stack: false
    .vgpr_count:     0
    .vgpr_spill_count: 0
    .wavefront_size: 64
  - .args:
      - .offset:         0
        .size:           40
        .value_kind:     by_value
    .group_segment_fixed_size: 0
    .kernarg_segment_align: 8
    .kernarg_segment_size: 40
    .language:       OpenCL C
    .language_version:
      - 2
      - 0
    .max_flat_workgroup_size: 128
    .name:           _ZN7rocprim17ROCPRIM_400000_NS6detail17trampoline_kernelINS0_14default_configENS1_38merge_sort_block_merge_config_selectorIalEEZZNS1_27merge_sort_block_merge_implIS3_PaN6thrust23THRUST_200600_302600_NS10device_ptrIlEEjNS1_19radix_merge_compareILb0ELb1EaNS0_19identity_decomposerEEEEE10hipError_tT0_T1_T2_jT3_P12ihipStream_tbPNSt15iterator_traitsISG_E10value_typeEPNSM_ISH_E10value_typeEPSI_NS1_7vsmem_tEENKUlT_SG_SH_SI_E_clIS7_S7_SB_PlEESF_SV_SG_SH_SI_EUlSV_E_NS1_11comp_targetILNS1_3genE4ELNS1_11target_archE910ELNS1_3gpuE8ELNS1_3repE0EEENS1_48merge_mergepath_partition_config_static_selectorELNS0_4arch9wavefront6targetE1EEEvSH_
    .private_segment_fixed_size: 0
    .sgpr_count:     4
    .sgpr_spill_count: 0
    .symbol:         _ZN7rocprim17ROCPRIM_400000_NS6detail17trampoline_kernelINS0_14default_configENS1_38merge_sort_block_merge_config_selectorIalEEZZNS1_27merge_sort_block_merge_implIS3_PaN6thrust23THRUST_200600_302600_NS10device_ptrIlEEjNS1_19radix_merge_compareILb0ELb1EaNS0_19identity_decomposerEEEEE10hipError_tT0_T1_T2_jT3_P12ihipStream_tbPNSt15iterator_traitsISG_E10value_typeEPNSM_ISH_E10value_typeEPSI_NS1_7vsmem_tEENKUlT_SG_SH_SI_E_clIS7_S7_SB_PlEESF_SV_SG_SH_SI_EUlSV_E_NS1_11comp_targetILNS1_3genE4ELNS1_11target_archE910ELNS1_3gpuE8ELNS1_3repE0EEENS1_48merge_mergepath_partition_config_static_selectorELNS0_4arch9wavefront6targetE1EEEvSH_.kd
    .uniform_work_group_size: 1
    .uses_dynamic_stack: false
    .vgpr_count:     0
    .vgpr_spill_count: 0
    .wavefront_size: 64
  - .args:
      - .offset:         0
        .size:           40
        .value_kind:     by_value
    .group_segment_fixed_size: 0
    .kernarg_segment_align: 8
    .kernarg_segment_size: 40
    .language:       OpenCL C
    .language_version:
      - 2
      - 0
    .max_flat_workgroup_size: 128
    .name:           _ZN7rocprim17ROCPRIM_400000_NS6detail17trampoline_kernelINS0_14default_configENS1_38merge_sort_block_merge_config_selectorIalEEZZNS1_27merge_sort_block_merge_implIS3_PaN6thrust23THRUST_200600_302600_NS10device_ptrIlEEjNS1_19radix_merge_compareILb0ELb1EaNS0_19identity_decomposerEEEEE10hipError_tT0_T1_T2_jT3_P12ihipStream_tbPNSt15iterator_traitsISG_E10value_typeEPNSM_ISH_E10value_typeEPSI_NS1_7vsmem_tEENKUlT_SG_SH_SI_E_clIS7_S7_SB_PlEESF_SV_SG_SH_SI_EUlSV_E_NS1_11comp_targetILNS1_3genE3ELNS1_11target_archE908ELNS1_3gpuE7ELNS1_3repE0EEENS1_48merge_mergepath_partition_config_static_selectorELNS0_4arch9wavefront6targetE1EEEvSH_
    .private_segment_fixed_size: 0
    .sgpr_count:     4
    .sgpr_spill_count: 0
    .symbol:         _ZN7rocprim17ROCPRIM_400000_NS6detail17trampoline_kernelINS0_14default_configENS1_38merge_sort_block_merge_config_selectorIalEEZZNS1_27merge_sort_block_merge_implIS3_PaN6thrust23THRUST_200600_302600_NS10device_ptrIlEEjNS1_19radix_merge_compareILb0ELb1EaNS0_19identity_decomposerEEEEE10hipError_tT0_T1_T2_jT3_P12ihipStream_tbPNSt15iterator_traitsISG_E10value_typeEPNSM_ISH_E10value_typeEPSI_NS1_7vsmem_tEENKUlT_SG_SH_SI_E_clIS7_S7_SB_PlEESF_SV_SG_SH_SI_EUlSV_E_NS1_11comp_targetILNS1_3genE3ELNS1_11target_archE908ELNS1_3gpuE7ELNS1_3repE0EEENS1_48merge_mergepath_partition_config_static_selectorELNS0_4arch9wavefront6targetE1EEEvSH_.kd
    .uniform_work_group_size: 1
    .uses_dynamic_stack: false
    .vgpr_count:     0
    .vgpr_spill_count: 0
    .wavefront_size: 64
  - .args:
      - .offset:         0
        .size:           40
        .value_kind:     by_value
    .group_segment_fixed_size: 0
    .kernarg_segment_align: 8
    .kernarg_segment_size: 40
    .language:       OpenCL C
    .language_version:
      - 2
      - 0
    .max_flat_workgroup_size: 128
    .name:           _ZN7rocprim17ROCPRIM_400000_NS6detail17trampoline_kernelINS0_14default_configENS1_38merge_sort_block_merge_config_selectorIalEEZZNS1_27merge_sort_block_merge_implIS3_PaN6thrust23THRUST_200600_302600_NS10device_ptrIlEEjNS1_19radix_merge_compareILb0ELb1EaNS0_19identity_decomposerEEEEE10hipError_tT0_T1_T2_jT3_P12ihipStream_tbPNSt15iterator_traitsISG_E10value_typeEPNSM_ISH_E10value_typeEPSI_NS1_7vsmem_tEENKUlT_SG_SH_SI_E_clIS7_S7_SB_PlEESF_SV_SG_SH_SI_EUlSV_E_NS1_11comp_targetILNS1_3genE2ELNS1_11target_archE906ELNS1_3gpuE6ELNS1_3repE0EEENS1_48merge_mergepath_partition_config_static_selectorELNS0_4arch9wavefront6targetE1EEEvSH_
    .private_segment_fixed_size: 0
    .sgpr_count:     14
    .sgpr_spill_count: 0
    .symbol:         _ZN7rocprim17ROCPRIM_400000_NS6detail17trampoline_kernelINS0_14default_configENS1_38merge_sort_block_merge_config_selectorIalEEZZNS1_27merge_sort_block_merge_implIS3_PaN6thrust23THRUST_200600_302600_NS10device_ptrIlEEjNS1_19radix_merge_compareILb0ELb1EaNS0_19identity_decomposerEEEEE10hipError_tT0_T1_T2_jT3_P12ihipStream_tbPNSt15iterator_traitsISG_E10value_typeEPNSM_ISH_E10value_typeEPSI_NS1_7vsmem_tEENKUlT_SG_SH_SI_E_clIS7_S7_SB_PlEESF_SV_SG_SH_SI_EUlSV_E_NS1_11comp_targetILNS1_3genE2ELNS1_11target_archE906ELNS1_3gpuE6ELNS1_3repE0EEENS1_48merge_mergepath_partition_config_static_selectorELNS0_4arch9wavefront6targetE1EEEvSH_.kd
    .uniform_work_group_size: 1
    .uses_dynamic_stack: false
    .vgpr_count:     16
    .vgpr_spill_count: 0
    .wavefront_size: 64
  - .args:
      - .offset:         0
        .size:           40
        .value_kind:     by_value
    .group_segment_fixed_size: 0
    .kernarg_segment_align: 8
    .kernarg_segment_size: 40
    .language:       OpenCL C
    .language_version:
      - 2
      - 0
    .max_flat_workgroup_size: 128
    .name:           _ZN7rocprim17ROCPRIM_400000_NS6detail17trampoline_kernelINS0_14default_configENS1_38merge_sort_block_merge_config_selectorIalEEZZNS1_27merge_sort_block_merge_implIS3_PaN6thrust23THRUST_200600_302600_NS10device_ptrIlEEjNS1_19radix_merge_compareILb0ELb1EaNS0_19identity_decomposerEEEEE10hipError_tT0_T1_T2_jT3_P12ihipStream_tbPNSt15iterator_traitsISG_E10value_typeEPNSM_ISH_E10value_typeEPSI_NS1_7vsmem_tEENKUlT_SG_SH_SI_E_clIS7_S7_SB_PlEESF_SV_SG_SH_SI_EUlSV_E_NS1_11comp_targetILNS1_3genE9ELNS1_11target_archE1100ELNS1_3gpuE3ELNS1_3repE0EEENS1_48merge_mergepath_partition_config_static_selectorELNS0_4arch9wavefront6targetE1EEEvSH_
    .private_segment_fixed_size: 0
    .sgpr_count:     4
    .sgpr_spill_count: 0
    .symbol:         _ZN7rocprim17ROCPRIM_400000_NS6detail17trampoline_kernelINS0_14default_configENS1_38merge_sort_block_merge_config_selectorIalEEZZNS1_27merge_sort_block_merge_implIS3_PaN6thrust23THRUST_200600_302600_NS10device_ptrIlEEjNS1_19radix_merge_compareILb0ELb1EaNS0_19identity_decomposerEEEEE10hipError_tT0_T1_T2_jT3_P12ihipStream_tbPNSt15iterator_traitsISG_E10value_typeEPNSM_ISH_E10value_typeEPSI_NS1_7vsmem_tEENKUlT_SG_SH_SI_E_clIS7_S7_SB_PlEESF_SV_SG_SH_SI_EUlSV_E_NS1_11comp_targetILNS1_3genE9ELNS1_11target_archE1100ELNS1_3gpuE3ELNS1_3repE0EEENS1_48merge_mergepath_partition_config_static_selectorELNS0_4arch9wavefront6targetE1EEEvSH_.kd
    .uniform_work_group_size: 1
    .uses_dynamic_stack: false
    .vgpr_count:     0
    .vgpr_spill_count: 0
    .wavefront_size: 64
  - .args:
      - .offset:         0
        .size:           40
        .value_kind:     by_value
    .group_segment_fixed_size: 0
    .kernarg_segment_align: 8
    .kernarg_segment_size: 40
    .language:       OpenCL C
    .language_version:
      - 2
      - 0
    .max_flat_workgroup_size: 128
    .name:           _ZN7rocprim17ROCPRIM_400000_NS6detail17trampoline_kernelINS0_14default_configENS1_38merge_sort_block_merge_config_selectorIalEEZZNS1_27merge_sort_block_merge_implIS3_PaN6thrust23THRUST_200600_302600_NS10device_ptrIlEEjNS1_19radix_merge_compareILb0ELb1EaNS0_19identity_decomposerEEEEE10hipError_tT0_T1_T2_jT3_P12ihipStream_tbPNSt15iterator_traitsISG_E10value_typeEPNSM_ISH_E10value_typeEPSI_NS1_7vsmem_tEENKUlT_SG_SH_SI_E_clIS7_S7_SB_PlEESF_SV_SG_SH_SI_EUlSV_E_NS1_11comp_targetILNS1_3genE8ELNS1_11target_archE1030ELNS1_3gpuE2ELNS1_3repE0EEENS1_48merge_mergepath_partition_config_static_selectorELNS0_4arch9wavefront6targetE1EEEvSH_
    .private_segment_fixed_size: 0
    .sgpr_count:     4
    .sgpr_spill_count: 0
    .symbol:         _ZN7rocprim17ROCPRIM_400000_NS6detail17trampoline_kernelINS0_14default_configENS1_38merge_sort_block_merge_config_selectorIalEEZZNS1_27merge_sort_block_merge_implIS3_PaN6thrust23THRUST_200600_302600_NS10device_ptrIlEEjNS1_19radix_merge_compareILb0ELb1EaNS0_19identity_decomposerEEEEE10hipError_tT0_T1_T2_jT3_P12ihipStream_tbPNSt15iterator_traitsISG_E10value_typeEPNSM_ISH_E10value_typeEPSI_NS1_7vsmem_tEENKUlT_SG_SH_SI_E_clIS7_S7_SB_PlEESF_SV_SG_SH_SI_EUlSV_E_NS1_11comp_targetILNS1_3genE8ELNS1_11target_archE1030ELNS1_3gpuE2ELNS1_3repE0EEENS1_48merge_mergepath_partition_config_static_selectorELNS0_4arch9wavefront6targetE1EEEvSH_.kd
    .uniform_work_group_size: 1
    .uses_dynamic_stack: false
    .vgpr_count:     0
    .vgpr_spill_count: 0
    .wavefront_size: 64
  - .args:
      - .offset:         0
        .size:           64
        .value_kind:     by_value
    .group_segment_fixed_size: 0
    .kernarg_segment_align: 8
    .kernarg_segment_size: 64
    .language:       OpenCL C
    .language_version:
      - 2
      - 0
    .max_flat_workgroup_size: 512
    .name:           _ZN7rocprim17ROCPRIM_400000_NS6detail17trampoline_kernelINS0_14default_configENS1_38merge_sort_block_merge_config_selectorIalEEZZNS1_27merge_sort_block_merge_implIS3_PaN6thrust23THRUST_200600_302600_NS10device_ptrIlEEjNS1_19radix_merge_compareILb0ELb1EaNS0_19identity_decomposerEEEEE10hipError_tT0_T1_T2_jT3_P12ihipStream_tbPNSt15iterator_traitsISG_E10value_typeEPNSM_ISH_E10value_typeEPSI_NS1_7vsmem_tEENKUlT_SG_SH_SI_E_clIS7_S7_SB_PlEESF_SV_SG_SH_SI_EUlSV_E0_NS1_11comp_targetILNS1_3genE0ELNS1_11target_archE4294967295ELNS1_3gpuE0ELNS1_3repE0EEENS1_38merge_mergepath_config_static_selectorELNS0_4arch9wavefront6targetE1EEEvSH_
    .private_segment_fixed_size: 0
    .sgpr_count:     4
    .sgpr_spill_count: 0
    .symbol:         _ZN7rocprim17ROCPRIM_400000_NS6detail17trampoline_kernelINS0_14default_configENS1_38merge_sort_block_merge_config_selectorIalEEZZNS1_27merge_sort_block_merge_implIS3_PaN6thrust23THRUST_200600_302600_NS10device_ptrIlEEjNS1_19radix_merge_compareILb0ELb1EaNS0_19identity_decomposerEEEEE10hipError_tT0_T1_T2_jT3_P12ihipStream_tbPNSt15iterator_traitsISG_E10value_typeEPNSM_ISH_E10value_typeEPSI_NS1_7vsmem_tEENKUlT_SG_SH_SI_E_clIS7_S7_SB_PlEESF_SV_SG_SH_SI_EUlSV_E0_NS1_11comp_targetILNS1_3genE0ELNS1_11target_archE4294967295ELNS1_3gpuE0ELNS1_3repE0EEENS1_38merge_mergepath_config_static_selectorELNS0_4arch9wavefront6targetE1EEEvSH_.kd
    .uniform_work_group_size: 1
    .uses_dynamic_stack: false
    .vgpr_count:     0
    .vgpr_spill_count: 0
    .wavefront_size: 64
  - .args:
      - .offset:         0
        .size:           64
        .value_kind:     by_value
    .group_segment_fixed_size: 0
    .kernarg_segment_align: 8
    .kernarg_segment_size: 64
    .language:       OpenCL C
    .language_version:
      - 2
      - 0
    .max_flat_workgroup_size: 128
    .name:           _ZN7rocprim17ROCPRIM_400000_NS6detail17trampoline_kernelINS0_14default_configENS1_38merge_sort_block_merge_config_selectorIalEEZZNS1_27merge_sort_block_merge_implIS3_PaN6thrust23THRUST_200600_302600_NS10device_ptrIlEEjNS1_19radix_merge_compareILb0ELb1EaNS0_19identity_decomposerEEEEE10hipError_tT0_T1_T2_jT3_P12ihipStream_tbPNSt15iterator_traitsISG_E10value_typeEPNSM_ISH_E10value_typeEPSI_NS1_7vsmem_tEENKUlT_SG_SH_SI_E_clIS7_S7_SB_PlEESF_SV_SG_SH_SI_EUlSV_E0_NS1_11comp_targetILNS1_3genE10ELNS1_11target_archE1201ELNS1_3gpuE5ELNS1_3repE0EEENS1_38merge_mergepath_config_static_selectorELNS0_4arch9wavefront6targetE1EEEvSH_
    .private_segment_fixed_size: 0
    .sgpr_count:     4
    .sgpr_spill_count: 0
    .symbol:         _ZN7rocprim17ROCPRIM_400000_NS6detail17trampoline_kernelINS0_14default_configENS1_38merge_sort_block_merge_config_selectorIalEEZZNS1_27merge_sort_block_merge_implIS3_PaN6thrust23THRUST_200600_302600_NS10device_ptrIlEEjNS1_19radix_merge_compareILb0ELb1EaNS0_19identity_decomposerEEEEE10hipError_tT0_T1_T2_jT3_P12ihipStream_tbPNSt15iterator_traitsISG_E10value_typeEPNSM_ISH_E10value_typeEPSI_NS1_7vsmem_tEENKUlT_SG_SH_SI_E_clIS7_S7_SB_PlEESF_SV_SG_SH_SI_EUlSV_E0_NS1_11comp_targetILNS1_3genE10ELNS1_11target_archE1201ELNS1_3gpuE5ELNS1_3repE0EEENS1_38merge_mergepath_config_static_selectorELNS0_4arch9wavefront6targetE1EEEvSH_.kd
    .uniform_work_group_size: 1
    .uses_dynamic_stack: false
    .vgpr_count:     0
    .vgpr_spill_count: 0
    .wavefront_size: 64
  - .args:
      - .offset:         0
        .size:           64
        .value_kind:     by_value
    .group_segment_fixed_size: 0
    .kernarg_segment_align: 8
    .kernarg_segment_size: 64
    .language:       OpenCL C
    .language_version:
      - 2
      - 0
    .max_flat_workgroup_size: 128
    .name:           _ZN7rocprim17ROCPRIM_400000_NS6detail17trampoline_kernelINS0_14default_configENS1_38merge_sort_block_merge_config_selectorIalEEZZNS1_27merge_sort_block_merge_implIS3_PaN6thrust23THRUST_200600_302600_NS10device_ptrIlEEjNS1_19radix_merge_compareILb0ELb1EaNS0_19identity_decomposerEEEEE10hipError_tT0_T1_T2_jT3_P12ihipStream_tbPNSt15iterator_traitsISG_E10value_typeEPNSM_ISH_E10value_typeEPSI_NS1_7vsmem_tEENKUlT_SG_SH_SI_E_clIS7_S7_SB_PlEESF_SV_SG_SH_SI_EUlSV_E0_NS1_11comp_targetILNS1_3genE5ELNS1_11target_archE942ELNS1_3gpuE9ELNS1_3repE0EEENS1_38merge_mergepath_config_static_selectorELNS0_4arch9wavefront6targetE1EEEvSH_
    .private_segment_fixed_size: 0
    .sgpr_count:     4
    .sgpr_spill_count: 0
    .symbol:         _ZN7rocprim17ROCPRIM_400000_NS6detail17trampoline_kernelINS0_14default_configENS1_38merge_sort_block_merge_config_selectorIalEEZZNS1_27merge_sort_block_merge_implIS3_PaN6thrust23THRUST_200600_302600_NS10device_ptrIlEEjNS1_19radix_merge_compareILb0ELb1EaNS0_19identity_decomposerEEEEE10hipError_tT0_T1_T2_jT3_P12ihipStream_tbPNSt15iterator_traitsISG_E10value_typeEPNSM_ISH_E10value_typeEPSI_NS1_7vsmem_tEENKUlT_SG_SH_SI_E_clIS7_S7_SB_PlEESF_SV_SG_SH_SI_EUlSV_E0_NS1_11comp_targetILNS1_3genE5ELNS1_11target_archE942ELNS1_3gpuE9ELNS1_3repE0EEENS1_38merge_mergepath_config_static_selectorELNS0_4arch9wavefront6targetE1EEEvSH_.kd
    .uniform_work_group_size: 1
    .uses_dynamic_stack: false
    .vgpr_count:     0
    .vgpr_spill_count: 0
    .wavefront_size: 64
  - .args:
      - .offset:         0
        .size:           64
        .value_kind:     by_value
    .group_segment_fixed_size: 0
    .kernarg_segment_align: 8
    .kernarg_segment_size: 64
    .language:       OpenCL C
    .language_version:
      - 2
      - 0
    .max_flat_workgroup_size: 256
    .name:           _ZN7rocprim17ROCPRIM_400000_NS6detail17trampoline_kernelINS0_14default_configENS1_38merge_sort_block_merge_config_selectorIalEEZZNS1_27merge_sort_block_merge_implIS3_PaN6thrust23THRUST_200600_302600_NS10device_ptrIlEEjNS1_19radix_merge_compareILb0ELb1EaNS0_19identity_decomposerEEEEE10hipError_tT0_T1_T2_jT3_P12ihipStream_tbPNSt15iterator_traitsISG_E10value_typeEPNSM_ISH_E10value_typeEPSI_NS1_7vsmem_tEENKUlT_SG_SH_SI_E_clIS7_S7_SB_PlEESF_SV_SG_SH_SI_EUlSV_E0_NS1_11comp_targetILNS1_3genE4ELNS1_11target_archE910ELNS1_3gpuE8ELNS1_3repE0EEENS1_38merge_mergepath_config_static_selectorELNS0_4arch9wavefront6targetE1EEEvSH_
    .private_segment_fixed_size: 0
    .sgpr_count:     4
    .sgpr_spill_count: 0
    .symbol:         _ZN7rocprim17ROCPRIM_400000_NS6detail17trampoline_kernelINS0_14default_configENS1_38merge_sort_block_merge_config_selectorIalEEZZNS1_27merge_sort_block_merge_implIS3_PaN6thrust23THRUST_200600_302600_NS10device_ptrIlEEjNS1_19radix_merge_compareILb0ELb1EaNS0_19identity_decomposerEEEEE10hipError_tT0_T1_T2_jT3_P12ihipStream_tbPNSt15iterator_traitsISG_E10value_typeEPNSM_ISH_E10value_typeEPSI_NS1_7vsmem_tEENKUlT_SG_SH_SI_E_clIS7_S7_SB_PlEESF_SV_SG_SH_SI_EUlSV_E0_NS1_11comp_targetILNS1_3genE4ELNS1_11target_archE910ELNS1_3gpuE8ELNS1_3repE0EEENS1_38merge_mergepath_config_static_selectorELNS0_4arch9wavefront6targetE1EEEvSH_.kd
    .uniform_work_group_size: 1
    .uses_dynamic_stack: false
    .vgpr_count:     0
    .vgpr_spill_count: 0
    .wavefront_size: 64
  - .args:
      - .offset:         0
        .size:           64
        .value_kind:     by_value
    .group_segment_fixed_size: 0
    .kernarg_segment_align: 8
    .kernarg_segment_size: 64
    .language:       OpenCL C
    .language_version:
      - 2
      - 0
    .max_flat_workgroup_size: 512
    .name:           _ZN7rocprim17ROCPRIM_400000_NS6detail17trampoline_kernelINS0_14default_configENS1_38merge_sort_block_merge_config_selectorIalEEZZNS1_27merge_sort_block_merge_implIS3_PaN6thrust23THRUST_200600_302600_NS10device_ptrIlEEjNS1_19radix_merge_compareILb0ELb1EaNS0_19identity_decomposerEEEEE10hipError_tT0_T1_T2_jT3_P12ihipStream_tbPNSt15iterator_traitsISG_E10value_typeEPNSM_ISH_E10value_typeEPSI_NS1_7vsmem_tEENKUlT_SG_SH_SI_E_clIS7_S7_SB_PlEESF_SV_SG_SH_SI_EUlSV_E0_NS1_11comp_targetILNS1_3genE3ELNS1_11target_archE908ELNS1_3gpuE7ELNS1_3repE0EEENS1_38merge_mergepath_config_static_selectorELNS0_4arch9wavefront6targetE1EEEvSH_
    .private_segment_fixed_size: 0
    .sgpr_count:     4
    .sgpr_spill_count: 0
    .symbol:         _ZN7rocprim17ROCPRIM_400000_NS6detail17trampoline_kernelINS0_14default_configENS1_38merge_sort_block_merge_config_selectorIalEEZZNS1_27merge_sort_block_merge_implIS3_PaN6thrust23THRUST_200600_302600_NS10device_ptrIlEEjNS1_19radix_merge_compareILb0ELb1EaNS0_19identity_decomposerEEEEE10hipError_tT0_T1_T2_jT3_P12ihipStream_tbPNSt15iterator_traitsISG_E10value_typeEPNSM_ISH_E10value_typeEPSI_NS1_7vsmem_tEENKUlT_SG_SH_SI_E_clIS7_S7_SB_PlEESF_SV_SG_SH_SI_EUlSV_E0_NS1_11comp_targetILNS1_3genE3ELNS1_11target_archE908ELNS1_3gpuE7ELNS1_3repE0EEENS1_38merge_mergepath_config_static_selectorELNS0_4arch9wavefront6targetE1EEEvSH_.kd
    .uniform_work_group_size: 1
    .uses_dynamic_stack: false
    .vgpr_count:     0
    .vgpr_spill_count: 0
    .wavefront_size: 64
  - .args:
      - .offset:         0
        .size:           64
        .value_kind:     by_value
      - .offset:         64
        .size:           4
        .value_kind:     hidden_block_count_x
      - .offset:         68
        .size:           4
        .value_kind:     hidden_block_count_y
      - .offset:         72
        .size:           4
        .value_kind:     hidden_block_count_z
      - .offset:         76
        .size:           2
        .value_kind:     hidden_group_size_x
      - .offset:         78
        .size:           2
        .value_kind:     hidden_group_size_y
      - .offset:         80
        .size:           2
        .value_kind:     hidden_group_size_z
      - .offset:         82
        .size:           2
        .value_kind:     hidden_remainder_x
      - .offset:         84
        .size:           2
        .value_kind:     hidden_remainder_y
      - .offset:         86
        .size:           2
        .value_kind:     hidden_remainder_z
      - .offset:         104
        .size:           8
        .value_kind:     hidden_global_offset_x
      - .offset:         112
        .size:           8
        .value_kind:     hidden_global_offset_y
      - .offset:         120
        .size:           8
        .value_kind:     hidden_global_offset_z
      - .offset:         128
        .size:           2
        .value_kind:     hidden_grid_dims
    .group_segment_fixed_size: 8448
    .kernarg_segment_align: 8
    .kernarg_segment_size: 320
    .language:       OpenCL C
    .language_version:
      - 2
      - 0
    .max_flat_workgroup_size: 256
    .name:           _ZN7rocprim17ROCPRIM_400000_NS6detail17trampoline_kernelINS0_14default_configENS1_38merge_sort_block_merge_config_selectorIalEEZZNS1_27merge_sort_block_merge_implIS3_PaN6thrust23THRUST_200600_302600_NS10device_ptrIlEEjNS1_19radix_merge_compareILb0ELb1EaNS0_19identity_decomposerEEEEE10hipError_tT0_T1_T2_jT3_P12ihipStream_tbPNSt15iterator_traitsISG_E10value_typeEPNSM_ISH_E10value_typeEPSI_NS1_7vsmem_tEENKUlT_SG_SH_SI_E_clIS7_S7_SB_PlEESF_SV_SG_SH_SI_EUlSV_E0_NS1_11comp_targetILNS1_3genE2ELNS1_11target_archE906ELNS1_3gpuE6ELNS1_3repE0EEENS1_38merge_mergepath_config_static_selectorELNS0_4arch9wavefront6targetE1EEEvSH_
    .private_segment_fixed_size: 0
    .sgpr_count:     35
    .sgpr_spill_count: 0
    .symbol:         _ZN7rocprim17ROCPRIM_400000_NS6detail17trampoline_kernelINS0_14default_configENS1_38merge_sort_block_merge_config_selectorIalEEZZNS1_27merge_sort_block_merge_implIS3_PaN6thrust23THRUST_200600_302600_NS10device_ptrIlEEjNS1_19radix_merge_compareILb0ELb1EaNS0_19identity_decomposerEEEEE10hipError_tT0_T1_T2_jT3_P12ihipStream_tbPNSt15iterator_traitsISG_E10value_typeEPNSM_ISH_E10value_typeEPSI_NS1_7vsmem_tEENKUlT_SG_SH_SI_E_clIS7_S7_SB_PlEESF_SV_SG_SH_SI_EUlSV_E0_NS1_11comp_targetILNS1_3genE2ELNS1_11target_archE906ELNS1_3gpuE6ELNS1_3repE0EEENS1_38merge_mergepath_config_static_selectorELNS0_4arch9wavefront6targetE1EEEvSH_.kd
    .uniform_work_group_size: 1
    .uses_dynamic_stack: false
    .vgpr_count:     35
    .vgpr_spill_count: 0
    .wavefront_size: 64
  - .args:
      - .offset:         0
        .size:           64
        .value_kind:     by_value
    .group_segment_fixed_size: 0
    .kernarg_segment_align: 8
    .kernarg_segment_size: 64
    .language:       OpenCL C
    .language_version:
      - 2
      - 0
    .max_flat_workgroup_size: 512
    .name:           _ZN7rocprim17ROCPRIM_400000_NS6detail17trampoline_kernelINS0_14default_configENS1_38merge_sort_block_merge_config_selectorIalEEZZNS1_27merge_sort_block_merge_implIS3_PaN6thrust23THRUST_200600_302600_NS10device_ptrIlEEjNS1_19radix_merge_compareILb0ELb1EaNS0_19identity_decomposerEEEEE10hipError_tT0_T1_T2_jT3_P12ihipStream_tbPNSt15iterator_traitsISG_E10value_typeEPNSM_ISH_E10value_typeEPSI_NS1_7vsmem_tEENKUlT_SG_SH_SI_E_clIS7_S7_SB_PlEESF_SV_SG_SH_SI_EUlSV_E0_NS1_11comp_targetILNS1_3genE9ELNS1_11target_archE1100ELNS1_3gpuE3ELNS1_3repE0EEENS1_38merge_mergepath_config_static_selectorELNS0_4arch9wavefront6targetE1EEEvSH_
    .private_segment_fixed_size: 0
    .sgpr_count:     4
    .sgpr_spill_count: 0
    .symbol:         _ZN7rocprim17ROCPRIM_400000_NS6detail17trampoline_kernelINS0_14default_configENS1_38merge_sort_block_merge_config_selectorIalEEZZNS1_27merge_sort_block_merge_implIS3_PaN6thrust23THRUST_200600_302600_NS10device_ptrIlEEjNS1_19radix_merge_compareILb0ELb1EaNS0_19identity_decomposerEEEEE10hipError_tT0_T1_T2_jT3_P12ihipStream_tbPNSt15iterator_traitsISG_E10value_typeEPNSM_ISH_E10value_typeEPSI_NS1_7vsmem_tEENKUlT_SG_SH_SI_E_clIS7_S7_SB_PlEESF_SV_SG_SH_SI_EUlSV_E0_NS1_11comp_targetILNS1_3genE9ELNS1_11target_archE1100ELNS1_3gpuE3ELNS1_3repE0EEENS1_38merge_mergepath_config_static_selectorELNS0_4arch9wavefront6targetE1EEEvSH_.kd
    .uniform_work_group_size: 1
    .uses_dynamic_stack: false
    .vgpr_count:     0
    .vgpr_spill_count: 0
    .wavefront_size: 64
  - .args:
      - .offset:         0
        .size:           64
        .value_kind:     by_value
    .group_segment_fixed_size: 0
    .kernarg_segment_align: 8
    .kernarg_segment_size: 64
    .language:       OpenCL C
    .language_version:
      - 2
      - 0
    .max_flat_workgroup_size: 1024
    .name:           _ZN7rocprim17ROCPRIM_400000_NS6detail17trampoline_kernelINS0_14default_configENS1_38merge_sort_block_merge_config_selectorIalEEZZNS1_27merge_sort_block_merge_implIS3_PaN6thrust23THRUST_200600_302600_NS10device_ptrIlEEjNS1_19radix_merge_compareILb0ELb1EaNS0_19identity_decomposerEEEEE10hipError_tT0_T1_T2_jT3_P12ihipStream_tbPNSt15iterator_traitsISG_E10value_typeEPNSM_ISH_E10value_typeEPSI_NS1_7vsmem_tEENKUlT_SG_SH_SI_E_clIS7_S7_SB_PlEESF_SV_SG_SH_SI_EUlSV_E0_NS1_11comp_targetILNS1_3genE8ELNS1_11target_archE1030ELNS1_3gpuE2ELNS1_3repE0EEENS1_38merge_mergepath_config_static_selectorELNS0_4arch9wavefront6targetE1EEEvSH_
    .private_segment_fixed_size: 0
    .sgpr_count:     4
    .sgpr_spill_count: 0
    .symbol:         _ZN7rocprim17ROCPRIM_400000_NS6detail17trampoline_kernelINS0_14default_configENS1_38merge_sort_block_merge_config_selectorIalEEZZNS1_27merge_sort_block_merge_implIS3_PaN6thrust23THRUST_200600_302600_NS10device_ptrIlEEjNS1_19radix_merge_compareILb0ELb1EaNS0_19identity_decomposerEEEEE10hipError_tT0_T1_T2_jT3_P12ihipStream_tbPNSt15iterator_traitsISG_E10value_typeEPNSM_ISH_E10value_typeEPSI_NS1_7vsmem_tEENKUlT_SG_SH_SI_E_clIS7_S7_SB_PlEESF_SV_SG_SH_SI_EUlSV_E0_NS1_11comp_targetILNS1_3genE8ELNS1_11target_archE1030ELNS1_3gpuE2ELNS1_3repE0EEENS1_38merge_mergepath_config_static_selectorELNS0_4arch9wavefront6targetE1EEEvSH_.kd
    .uniform_work_group_size: 1
    .uses_dynamic_stack: false
    .vgpr_count:     0
    .vgpr_spill_count: 0
    .wavefront_size: 64
  - .args:
      - .offset:         0
        .size:           48
        .value_kind:     by_value
    .group_segment_fixed_size: 0
    .kernarg_segment_align: 8
    .kernarg_segment_size: 48
    .language:       OpenCL C
    .language_version:
      - 2
      - 0
    .max_flat_workgroup_size: 256
    .name:           _ZN7rocprim17ROCPRIM_400000_NS6detail17trampoline_kernelINS0_14default_configENS1_38merge_sort_block_merge_config_selectorIalEEZZNS1_27merge_sort_block_merge_implIS3_PaN6thrust23THRUST_200600_302600_NS10device_ptrIlEEjNS1_19radix_merge_compareILb0ELb1EaNS0_19identity_decomposerEEEEE10hipError_tT0_T1_T2_jT3_P12ihipStream_tbPNSt15iterator_traitsISG_E10value_typeEPNSM_ISH_E10value_typeEPSI_NS1_7vsmem_tEENKUlT_SG_SH_SI_E_clIS7_S7_SB_PlEESF_SV_SG_SH_SI_EUlSV_E1_NS1_11comp_targetILNS1_3genE0ELNS1_11target_archE4294967295ELNS1_3gpuE0ELNS1_3repE0EEENS1_36merge_oddeven_config_static_selectorELNS0_4arch9wavefront6targetE1EEEvSH_
    .private_segment_fixed_size: 0
    .sgpr_count:     4
    .sgpr_spill_count: 0
    .symbol:         _ZN7rocprim17ROCPRIM_400000_NS6detail17trampoline_kernelINS0_14default_configENS1_38merge_sort_block_merge_config_selectorIalEEZZNS1_27merge_sort_block_merge_implIS3_PaN6thrust23THRUST_200600_302600_NS10device_ptrIlEEjNS1_19radix_merge_compareILb0ELb1EaNS0_19identity_decomposerEEEEE10hipError_tT0_T1_T2_jT3_P12ihipStream_tbPNSt15iterator_traitsISG_E10value_typeEPNSM_ISH_E10value_typeEPSI_NS1_7vsmem_tEENKUlT_SG_SH_SI_E_clIS7_S7_SB_PlEESF_SV_SG_SH_SI_EUlSV_E1_NS1_11comp_targetILNS1_3genE0ELNS1_11target_archE4294967295ELNS1_3gpuE0ELNS1_3repE0EEENS1_36merge_oddeven_config_static_selectorELNS0_4arch9wavefront6targetE1EEEvSH_.kd
    .uniform_work_group_size: 1
    .uses_dynamic_stack: false
    .vgpr_count:     0
    .vgpr_spill_count: 0
    .wavefront_size: 64
  - .args:
      - .offset:         0
        .size:           48
        .value_kind:     by_value
    .group_segment_fixed_size: 0
    .kernarg_segment_align: 8
    .kernarg_segment_size: 48
    .language:       OpenCL C
    .language_version:
      - 2
      - 0
    .max_flat_workgroup_size: 256
    .name:           _ZN7rocprim17ROCPRIM_400000_NS6detail17trampoline_kernelINS0_14default_configENS1_38merge_sort_block_merge_config_selectorIalEEZZNS1_27merge_sort_block_merge_implIS3_PaN6thrust23THRUST_200600_302600_NS10device_ptrIlEEjNS1_19radix_merge_compareILb0ELb1EaNS0_19identity_decomposerEEEEE10hipError_tT0_T1_T2_jT3_P12ihipStream_tbPNSt15iterator_traitsISG_E10value_typeEPNSM_ISH_E10value_typeEPSI_NS1_7vsmem_tEENKUlT_SG_SH_SI_E_clIS7_S7_SB_PlEESF_SV_SG_SH_SI_EUlSV_E1_NS1_11comp_targetILNS1_3genE10ELNS1_11target_archE1201ELNS1_3gpuE5ELNS1_3repE0EEENS1_36merge_oddeven_config_static_selectorELNS0_4arch9wavefront6targetE1EEEvSH_
    .private_segment_fixed_size: 0
    .sgpr_count:     4
    .sgpr_spill_count: 0
    .symbol:         _ZN7rocprim17ROCPRIM_400000_NS6detail17trampoline_kernelINS0_14default_configENS1_38merge_sort_block_merge_config_selectorIalEEZZNS1_27merge_sort_block_merge_implIS3_PaN6thrust23THRUST_200600_302600_NS10device_ptrIlEEjNS1_19radix_merge_compareILb0ELb1EaNS0_19identity_decomposerEEEEE10hipError_tT0_T1_T2_jT3_P12ihipStream_tbPNSt15iterator_traitsISG_E10value_typeEPNSM_ISH_E10value_typeEPSI_NS1_7vsmem_tEENKUlT_SG_SH_SI_E_clIS7_S7_SB_PlEESF_SV_SG_SH_SI_EUlSV_E1_NS1_11comp_targetILNS1_3genE10ELNS1_11target_archE1201ELNS1_3gpuE5ELNS1_3repE0EEENS1_36merge_oddeven_config_static_selectorELNS0_4arch9wavefront6targetE1EEEvSH_.kd
    .uniform_work_group_size: 1
    .uses_dynamic_stack: false
    .vgpr_count:     0
    .vgpr_spill_count: 0
    .wavefront_size: 64
  - .args:
      - .offset:         0
        .size:           48
        .value_kind:     by_value
    .group_segment_fixed_size: 0
    .kernarg_segment_align: 8
    .kernarg_segment_size: 48
    .language:       OpenCL C
    .language_version:
      - 2
      - 0
    .max_flat_workgroup_size: 256
    .name:           _ZN7rocprim17ROCPRIM_400000_NS6detail17trampoline_kernelINS0_14default_configENS1_38merge_sort_block_merge_config_selectorIalEEZZNS1_27merge_sort_block_merge_implIS3_PaN6thrust23THRUST_200600_302600_NS10device_ptrIlEEjNS1_19radix_merge_compareILb0ELb1EaNS0_19identity_decomposerEEEEE10hipError_tT0_T1_T2_jT3_P12ihipStream_tbPNSt15iterator_traitsISG_E10value_typeEPNSM_ISH_E10value_typeEPSI_NS1_7vsmem_tEENKUlT_SG_SH_SI_E_clIS7_S7_SB_PlEESF_SV_SG_SH_SI_EUlSV_E1_NS1_11comp_targetILNS1_3genE5ELNS1_11target_archE942ELNS1_3gpuE9ELNS1_3repE0EEENS1_36merge_oddeven_config_static_selectorELNS0_4arch9wavefront6targetE1EEEvSH_
    .private_segment_fixed_size: 0
    .sgpr_count:     4
    .sgpr_spill_count: 0
    .symbol:         _ZN7rocprim17ROCPRIM_400000_NS6detail17trampoline_kernelINS0_14default_configENS1_38merge_sort_block_merge_config_selectorIalEEZZNS1_27merge_sort_block_merge_implIS3_PaN6thrust23THRUST_200600_302600_NS10device_ptrIlEEjNS1_19radix_merge_compareILb0ELb1EaNS0_19identity_decomposerEEEEE10hipError_tT0_T1_T2_jT3_P12ihipStream_tbPNSt15iterator_traitsISG_E10value_typeEPNSM_ISH_E10value_typeEPSI_NS1_7vsmem_tEENKUlT_SG_SH_SI_E_clIS7_S7_SB_PlEESF_SV_SG_SH_SI_EUlSV_E1_NS1_11comp_targetILNS1_3genE5ELNS1_11target_archE942ELNS1_3gpuE9ELNS1_3repE0EEENS1_36merge_oddeven_config_static_selectorELNS0_4arch9wavefront6targetE1EEEvSH_.kd
    .uniform_work_group_size: 1
    .uses_dynamic_stack: false
    .vgpr_count:     0
    .vgpr_spill_count: 0
    .wavefront_size: 64
  - .args:
      - .offset:         0
        .size:           48
        .value_kind:     by_value
    .group_segment_fixed_size: 0
    .kernarg_segment_align: 8
    .kernarg_segment_size: 48
    .language:       OpenCL C
    .language_version:
      - 2
      - 0
    .max_flat_workgroup_size: 256
    .name:           _ZN7rocprim17ROCPRIM_400000_NS6detail17trampoline_kernelINS0_14default_configENS1_38merge_sort_block_merge_config_selectorIalEEZZNS1_27merge_sort_block_merge_implIS3_PaN6thrust23THRUST_200600_302600_NS10device_ptrIlEEjNS1_19radix_merge_compareILb0ELb1EaNS0_19identity_decomposerEEEEE10hipError_tT0_T1_T2_jT3_P12ihipStream_tbPNSt15iterator_traitsISG_E10value_typeEPNSM_ISH_E10value_typeEPSI_NS1_7vsmem_tEENKUlT_SG_SH_SI_E_clIS7_S7_SB_PlEESF_SV_SG_SH_SI_EUlSV_E1_NS1_11comp_targetILNS1_3genE4ELNS1_11target_archE910ELNS1_3gpuE8ELNS1_3repE0EEENS1_36merge_oddeven_config_static_selectorELNS0_4arch9wavefront6targetE1EEEvSH_
    .private_segment_fixed_size: 0
    .sgpr_count:     4
    .sgpr_spill_count: 0
    .symbol:         _ZN7rocprim17ROCPRIM_400000_NS6detail17trampoline_kernelINS0_14default_configENS1_38merge_sort_block_merge_config_selectorIalEEZZNS1_27merge_sort_block_merge_implIS3_PaN6thrust23THRUST_200600_302600_NS10device_ptrIlEEjNS1_19radix_merge_compareILb0ELb1EaNS0_19identity_decomposerEEEEE10hipError_tT0_T1_T2_jT3_P12ihipStream_tbPNSt15iterator_traitsISG_E10value_typeEPNSM_ISH_E10value_typeEPSI_NS1_7vsmem_tEENKUlT_SG_SH_SI_E_clIS7_S7_SB_PlEESF_SV_SG_SH_SI_EUlSV_E1_NS1_11comp_targetILNS1_3genE4ELNS1_11target_archE910ELNS1_3gpuE8ELNS1_3repE0EEENS1_36merge_oddeven_config_static_selectorELNS0_4arch9wavefront6targetE1EEEvSH_.kd
    .uniform_work_group_size: 1
    .uses_dynamic_stack: false
    .vgpr_count:     0
    .vgpr_spill_count: 0
    .wavefront_size: 64
  - .args:
      - .offset:         0
        .size:           48
        .value_kind:     by_value
    .group_segment_fixed_size: 0
    .kernarg_segment_align: 8
    .kernarg_segment_size: 48
    .language:       OpenCL C
    .language_version:
      - 2
      - 0
    .max_flat_workgroup_size: 256
    .name:           _ZN7rocprim17ROCPRIM_400000_NS6detail17trampoline_kernelINS0_14default_configENS1_38merge_sort_block_merge_config_selectorIalEEZZNS1_27merge_sort_block_merge_implIS3_PaN6thrust23THRUST_200600_302600_NS10device_ptrIlEEjNS1_19radix_merge_compareILb0ELb1EaNS0_19identity_decomposerEEEEE10hipError_tT0_T1_T2_jT3_P12ihipStream_tbPNSt15iterator_traitsISG_E10value_typeEPNSM_ISH_E10value_typeEPSI_NS1_7vsmem_tEENKUlT_SG_SH_SI_E_clIS7_S7_SB_PlEESF_SV_SG_SH_SI_EUlSV_E1_NS1_11comp_targetILNS1_3genE3ELNS1_11target_archE908ELNS1_3gpuE7ELNS1_3repE0EEENS1_36merge_oddeven_config_static_selectorELNS0_4arch9wavefront6targetE1EEEvSH_
    .private_segment_fixed_size: 0
    .sgpr_count:     4
    .sgpr_spill_count: 0
    .symbol:         _ZN7rocprim17ROCPRIM_400000_NS6detail17trampoline_kernelINS0_14default_configENS1_38merge_sort_block_merge_config_selectorIalEEZZNS1_27merge_sort_block_merge_implIS3_PaN6thrust23THRUST_200600_302600_NS10device_ptrIlEEjNS1_19radix_merge_compareILb0ELb1EaNS0_19identity_decomposerEEEEE10hipError_tT0_T1_T2_jT3_P12ihipStream_tbPNSt15iterator_traitsISG_E10value_typeEPNSM_ISH_E10value_typeEPSI_NS1_7vsmem_tEENKUlT_SG_SH_SI_E_clIS7_S7_SB_PlEESF_SV_SG_SH_SI_EUlSV_E1_NS1_11comp_targetILNS1_3genE3ELNS1_11target_archE908ELNS1_3gpuE7ELNS1_3repE0EEENS1_36merge_oddeven_config_static_selectorELNS0_4arch9wavefront6targetE1EEEvSH_.kd
    .uniform_work_group_size: 1
    .uses_dynamic_stack: false
    .vgpr_count:     0
    .vgpr_spill_count: 0
    .wavefront_size: 64
  - .args:
      - .offset:         0
        .size:           48
        .value_kind:     by_value
    .group_segment_fixed_size: 0
    .kernarg_segment_align: 8
    .kernarg_segment_size: 48
    .language:       OpenCL C
    .language_version:
      - 2
      - 0
    .max_flat_workgroup_size: 256
    .name:           _ZN7rocprim17ROCPRIM_400000_NS6detail17trampoline_kernelINS0_14default_configENS1_38merge_sort_block_merge_config_selectorIalEEZZNS1_27merge_sort_block_merge_implIS3_PaN6thrust23THRUST_200600_302600_NS10device_ptrIlEEjNS1_19radix_merge_compareILb0ELb1EaNS0_19identity_decomposerEEEEE10hipError_tT0_T1_T2_jT3_P12ihipStream_tbPNSt15iterator_traitsISG_E10value_typeEPNSM_ISH_E10value_typeEPSI_NS1_7vsmem_tEENKUlT_SG_SH_SI_E_clIS7_S7_SB_PlEESF_SV_SG_SH_SI_EUlSV_E1_NS1_11comp_targetILNS1_3genE2ELNS1_11target_archE906ELNS1_3gpuE6ELNS1_3repE0EEENS1_36merge_oddeven_config_static_selectorELNS0_4arch9wavefront6targetE1EEEvSH_
    .private_segment_fixed_size: 0
    .sgpr_count:     28
    .sgpr_spill_count: 0
    .symbol:         _ZN7rocprim17ROCPRIM_400000_NS6detail17trampoline_kernelINS0_14default_configENS1_38merge_sort_block_merge_config_selectorIalEEZZNS1_27merge_sort_block_merge_implIS3_PaN6thrust23THRUST_200600_302600_NS10device_ptrIlEEjNS1_19radix_merge_compareILb0ELb1EaNS0_19identity_decomposerEEEEE10hipError_tT0_T1_T2_jT3_P12ihipStream_tbPNSt15iterator_traitsISG_E10value_typeEPNSM_ISH_E10value_typeEPSI_NS1_7vsmem_tEENKUlT_SG_SH_SI_E_clIS7_S7_SB_PlEESF_SV_SG_SH_SI_EUlSV_E1_NS1_11comp_targetILNS1_3genE2ELNS1_11target_archE906ELNS1_3gpuE6ELNS1_3repE0EEENS1_36merge_oddeven_config_static_selectorELNS0_4arch9wavefront6targetE1EEEvSH_.kd
    .uniform_work_group_size: 1
    .uses_dynamic_stack: false
    .vgpr_count:     11
    .vgpr_spill_count: 0
    .wavefront_size: 64
  - .args:
      - .offset:         0
        .size:           48
        .value_kind:     by_value
    .group_segment_fixed_size: 0
    .kernarg_segment_align: 8
    .kernarg_segment_size: 48
    .language:       OpenCL C
    .language_version:
      - 2
      - 0
    .max_flat_workgroup_size: 256
    .name:           _ZN7rocprim17ROCPRIM_400000_NS6detail17trampoline_kernelINS0_14default_configENS1_38merge_sort_block_merge_config_selectorIalEEZZNS1_27merge_sort_block_merge_implIS3_PaN6thrust23THRUST_200600_302600_NS10device_ptrIlEEjNS1_19radix_merge_compareILb0ELb1EaNS0_19identity_decomposerEEEEE10hipError_tT0_T1_T2_jT3_P12ihipStream_tbPNSt15iterator_traitsISG_E10value_typeEPNSM_ISH_E10value_typeEPSI_NS1_7vsmem_tEENKUlT_SG_SH_SI_E_clIS7_S7_SB_PlEESF_SV_SG_SH_SI_EUlSV_E1_NS1_11comp_targetILNS1_3genE9ELNS1_11target_archE1100ELNS1_3gpuE3ELNS1_3repE0EEENS1_36merge_oddeven_config_static_selectorELNS0_4arch9wavefront6targetE1EEEvSH_
    .private_segment_fixed_size: 0
    .sgpr_count:     4
    .sgpr_spill_count: 0
    .symbol:         _ZN7rocprim17ROCPRIM_400000_NS6detail17trampoline_kernelINS0_14default_configENS1_38merge_sort_block_merge_config_selectorIalEEZZNS1_27merge_sort_block_merge_implIS3_PaN6thrust23THRUST_200600_302600_NS10device_ptrIlEEjNS1_19radix_merge_compareILb0ELb1EaNS0_19identity_decomposerEEEEE10hipError_tT0_T1_T2_jT3_P12ihipStream_tbPNSt15iterator_traitsISG_E10value_typeEPNSM_ISH_E10value_typeEPSI_NS1_7vsmem_tEENKUlT_SG_SH_SI_E_clIS7_S7_SB_PlEESF_SV_SG_SH_SI_EUlSV_E1_NS1_11comp_targetILNS1_3genE9ELNS1_11target_archE1100ELNS1_3gpuE3ELNS1_3repE0EEENS1_36merge_oddeven_config_static_selectorELNS0_4arch9wavefront6targetE1EEEvSH_.kd
    .uniform_work_group_size: 1
    .uses_dynamic_stack: false
    .vgpr_count:     0
    .vgpr_spill_count: 0
    .wavefront_size: 64
  - .args:
      - .offset:         0
        .size:           48
        .value_kind:     by_value
    .group_segment_fixed_size: 0
    .kernarg_segment_align: 8
    .kernarg_segment_size: 48
    .language:       OpenCL C
    .language_version:
      - 2
      - 0
    .max_flat_workgroup_size: 256
    .name:           _ZN7rocprim17ROCPRIM_400000_NS6detail17trampoline_kernelINS0_14default_configENS1_38merge_sort_block_merge_config_selectorIalEEZZNS1_27merge_sort_block_merge_implIS3_PaN6thrust23THRUST_200600_302600_NS10device_ptrIlEEjNS1_19radix_merge_compareILb0ELb1EaNS0_19identity_decomposerEEEEE10hipError_tT0_T1_T2_jT3_P12ihipStream_tbPNSt15iterator_traitsISG_E10value_typeEPNSM_ISH_E10value_typeEPSI_NS1_7vsmem_tEENKUlT_SG_SH_SI_E_clIS7_S7_SB_PlEESF_SV_SG_SH_SI_EUlSV_E1_NS1_11comp_targetILNS1_3genE8ELNS1_11target_archE1030ELNS1_3gpuE2ELNS1_3repE0EEENS1_36merge_oddeven_config_static_selectorELNS0_4arch9wavefront6targetE1EEEvSH_
    .private_segment_fixed_size: 0
    .sgpr_count:     4
    .sgpr_spill_count: 0
    .symbol:         _ZN7rocprim17ROCPRIM_400000_NS6detail17trampoline_kernelINS0_14default_configENS1_38merge_sort_block_merge_config_selectorIalEEZZNS1_27merge_sort_block_merge_implIS3_PaN6thrust23THRUST_200600_302600_NS10device_ptrIlEEjNS1_19radix_merge_compareILb0ELb1EaNS0_19identity_decomposerEEEEE10hipError_tT0_T1_T2_jT3_P12ihipStream_tbPNSt15iterator_traitsISG_E10value_typeEPNSM_ISH_E10value_typeEPSI_NS1_7vsmem_tEENKUlT_SG_SH_SI_E_clIS7_S7_SB_PlEESF_SV_SG_SH_SI_EUlSV_E1_NS1_11comp_targetILNS1_3genE8ELNS1_11target_archE1030ELNS1_3gpuE2ELNS1_3repE0EEENS1_36merge_oddeven_config_static_selectorELNS0_4arch9wavefront6targetE1EEEvSH_.kd
    .uniform_work_group_size: 1
    .uses_dynamic_stack: false
    .vgpr_count:     0
    .vgpr_spill_count: 0
    .wavefront_size: 64
  - .args:
      - .offset:         0
        .size:           40
        .value_kind:     by_value
    .group_segment_fixed_size: 0
    .kernarg_segment_align: 8
    .kernarg_segment_size: 40
    .language:       OpenCL C
    .language_version:
      - 2
      - 0
    .max_flat_workgroup_size: 1024
    .name:           _ZN7rocprim17ROCPRIM_400000_NS6detail17trampoline_kernelINS0_14default_configENS1_35radix_sort_onesweep_config_selectorIalEEZNS1_34radix_sort_onesweep_global_offsetsIS3_Lb0EPaN6thrust23THRUST_200600_302600_NS10device_ptrIlEEjNS0_19identity_decomposerEEE10hipError_tT1_T2_PT3_SG_jT4_jjP12ihipStream_tbEUlT_E_NS1_11comp_targetILNS1_3genE0ELNS1_11target_archE4294967295ELNS1_3gpuE0ELNS1_3repE0EEENS1_52radix_sort_onesweep_histogram_config_static_selectorELNS0_4arch9wavefront6targetE1EEEvSE_
    .private_segment_fixed_size: 0
    .sgpr_count:     4
    .sgpr_spill_count: 0
    .symbol:         _ZN7rocprim17ROCPRIM_400000_NS6detail17trampoline_kernelINS0_14default_configENS1_35radix_sort_onesweep_config_selectorIalEEZNS1_34radix_sort_onesweep_global_offsetsIS3_Lb0EPaN6thrust23THRUST_200600_302600_NS10device_ptrIlEEjNS0_19identity_decomposerEEE10hipError_tT1_T2_PT3_SG_jT4_jjP12ihipStream_tbEUlT_E_NS1_11comp_targetILNS1_3genE0ELNS1_11target_archE4294967295ELNS1_3gpuE0ELNS1_3repE0EEENS1_52radix_sort_onesweep_histogram_config_static_selectorELNS0_4arch9wavefront6targetE1EEEvSE_.kd
    .uniform_work_group_size: 1
    .uses_dynamic_stack: false
    .vgpr_count:     0
    .vgpr_spill_count: 0
    .wavefront_size: 64
  - .args:
      - .offset:         0
        .size:           40
        .value_kind:     by_value
    .group_segment_fixed_size: 0
    .kernarg_segment_align: 8
    .kernarg_segment_size: 40
    .language:       OpenCL C
    .language_version:
      - 2
      - 0
    .max_flat_workgroup_size: 1024
    .name:           _ZN7rocprim17ROCPRIM_400000_NS6detail17trampoline_kernelINS0_14default_configENS1_35radix_sort_onesweep_config_selectorIalEEZNS1_34radix_sort_onesweep_global_offsetsIS3_Lb0EPaN6thrust23THRUST_200600_302600_NS10device_ptrIlEEjNS0_19identity_decomposerEEE10hipError_tT1_T2_PT3_SG_jT4_jjP12ihipStream_tbEUlT_E_NS1_11comp_targetILNS1_3genE6ELNS1_11target_archE950ELNS1_3gpuE13ELNS1_3repE0EEENS1_52radix_sort_onesweep_histogram_config_static_selectorELNS0_4arch9wavefront6targetE1EEEvSE_
    .private_segment_fixed_size: 0
    .sgpr_count:     4
    .sgpr_spill_count: 0
    .symbol:         _ZN7rocprim17ROCPRIM_400000_NS6detail17trampoline_kernelINS0_14default_configENS1_35radix_sort_onesweep_config_selectorIalEEZNS1_34radix_sort_onesweep_global_offsetsIS3_Lb0EPaN6thrust23THRUST_200600_302600_NS10device_ptrIlEEjNS0_19identity_decomposerEEE10hipError_tT1_T2_PT3_SG_jT4_jjP12ihipStream_tbEUlT_E_NS1_11comp_targetILNS1_3genE6ELNS1_11target_archE950ELNS1_3gpuE13ELNS1_3repE0EEENS1_52radix_sort_onesweep_histogram_config_static_selectorELNS0_4arch9wavefront6targetE1EEEvSE_.kd
    .uniform_work_group_size: 1
    .uses_dynamic_stack: false
    .vgpr_count:     0
    .vgpr_spill_count: 0
    .wavefront_size: 64
  - .args:
      - .offset:         0
        .size:           40
        .value_kind:     by_value
    .group_segment_fixed_size: 0
    .kernarg_segment_align: 8
    .kernarg_segment_size: 40
    .language:       OpenCL C
    .language_version:
      - 2
      - 0
    .max_flat_workgroup_size: 1024
    .name:           _ZN7rocprim17ROCPRIM_400000_NS6detail17trampoline_kernelINS0_14default_configENS1_35radix_sort_onesweep_config_selectorIalEEZNS1_34radix_sort_onesweep_global_offsetsIS3_Lb0EPaN6thrust23THRUST_200600_302600_NS10device_ptrIlEEjNS0_19identity_decomposerEEE10hipError_tT1_T2_PT3_SG_jT4_jjP12ihipStream_tbEUlT_E_NS1_11comp_targetILNS1_3genE5ELNS1_11target_archE942ELNS1_3gpuE9ELNS1_3repE0EEENS1_52radix_sort_onesweep_histogram_config_static_selectorELNS0_4arch9wavefront6targetE1EEEvSE_
    .private_segment_fixed_size: 0
    .sgpr_count:     4
    .sgpr_spill_count: 0
    .symbol:         _ZN7rocprim17ROCPRIM_400000_NS6detail17trampoline_kernelINS0_14default_configENS1_35radix_sort_onesweep_config_selectorIalEEZNS1_34radix_sort_onesweep_global_offsetsIS3_Lb0EPaN6thrust23THRUST_200600_302600_NS10device_ptrIlEEjNS0_19identity_decomposerEEE10hipError_tT1_T2_PT3_SG_jT4_jjP12ihipStream_tbEUlT_E_NS1_11comp_targetILNS1_3genE5ELNS1_11target_archE942ELNS1_3gpuE9ELNS1_3repE0EEENS1_52radix_sort_onesweep_histogram_config_static_selectorELNS0_4arch9wavefront6targetE1EEEvSE_.kd
    .uniform_work_group_size: 1
    .uses_dynamic_stack: false
    .vgpr_count:     0
    .vgpr_spill_count: 0
    .wavefront_size: 64
  - .args:
      - .offset:         0
        .size:           40
        .value_kind:     by_value
    .group_segment_fixed_size: 4096
    .kernarg_segment_align: 8
    .kernarg_segment_size: 40
    .language:       OpenCL C
    .language_version:
      - 2
      - 0
    .max_flat_workgroup_size: 512
    .name:           _ZN7rocprim17ROCPRIM_400000_NS6detail17trampoline_kernelINS0_14default_configENS1_35radix_sort_onesweep_config_selectorIalEEZNS1_34radix_sort_onesweep_global_offsetsIS3_Lb0EPaN6thrust23THRUST_200600_302600_NS10device_ptrIlEEjNS0_19identity_decomposerEEE10hipError_tT1_T2_PT3_SG_jT4_jjP12ihipStream_tbEUlT_E_NS1_11comp_targetILNS1_3genE2ELNS1_11target_archE906ELNS1_3gpuE6ELNS1_3repE0EEENS1_52radix_sort_onesweep_histogram_config_static_selectorELNS0_4arch9wavefront6targetE1EEEvSE_
    .private_segment_fixed_size: 0
    .sgpr_count:     20
    .sgpr_spill_count: 0
    .symbol:         _ZN7rocprim17ROCPRIM_400000_NS6detail17trampoline_kernelINS0_14default_configENS1_35radix_sort_onesweep_config_selectorIalEEZNS1_34radix_sort_onesweep_global_offsetsIS3_Lb0EPaN6thrust23THRUST_200600_302600_NS10device_ptrIlEEjNS0_19identity_decomposerEEE10hipError_tT1_T2_PT3_SG_jT4_jjP12ihipStream_tbEUlT_E_NS1_11comp_targetILNS1_3genE2ELNS1_11target_archE906ELNS1_3gpuE6ELNS1_3repE0EEENS1_52radix_sort_onesweep_histogram_config_static_selectorELNS0_4arch9wavefront6targetE1EEEvSE_.kd
    .uniform_work_group_size: 1
    .uses_dynamic_stack: false
    .vgpr_count:     18
    .vgpr_spill_count: 0
    .wavefront_size: 64
  - .args:
      - .offset:         0
        .size:           40
        .value_kind:     by_value
    .group_segment_fixed_size: 0
    .kernarg_segment_align: 8
    .kernarg_segment_size: 40
    .language:       OpenCL C
    .language_version:
      - 2
      - 0
    .max_flat_workgroup_size: 1024
    .name:           _ZN7rocprim17ROCPRIM_400000_NS6detail17trampoline_kernelINS0_14default_configENS1_35radix_sort_onesweep_config_selectorIalEEZNS1_34radix_sort_onesweep_global_offsetsIS3_Lb0EPaN6thrust23THRUST_200600_302600_NS10device_ptrIlEEjNS0_19identity_decomposerEEE10hipError_tT1_T2_PT3_SG_jT4_jjP12ihipStream_tbEUlT_E_NS1_11comp_targetILNS1_3genE4ELNS1_11target_archE910ELNS1_3gpuE8ELNS1_3repE0EEENS1_52radix_sort_onesweep_histogram_config_static_selectorELNS0_4arch9wavefront6targetE1EEEvSE_
    .private_segment_fixed_size: 0
    .sgpr_count:     4
    .sgpr_spill_count: 0
    .symbol:         _ZN7rocprim17ROCPRIM_400000_NS6detail17trampoline_kernelINS0_14default_configENS1_35radix_sort_onesweep_config_selectorIalEEZNS1_34radix_sort_onesweep_global_offsetsIS3_Lb0EPaN6thrust23THRUST_200600_302600_NS10device_ptrIlEEjNS0_19identity_decomposerEEE10hipError_tT1_T2_PT3_SG_jT4_jjP12ihipStream_tbEUlT_E_NS1_11comp_targetILNS1_3genE4ELNS1_11target_archE910ELNS1_3gpuE8ELNS1_3repE0EEENS1_52radix_sort_onesweep_histogram_config_static_selectorELNS0_4arch9wavefront6targetE1EEEvSE_.kd
    .uniform_work_group_size: 1
    .uses_dynamic_stack: false
    .vgpr_count:     0
    .vgpr_spill_count: 0
    .wavefront_size: 64
  - .args:
      - .offset:         0
        .size:           40
        .value_kind:     by_value
    .group_segment_fixed_size: 0
    .kernarg_segment_align: 8
    .kernarg_segment_size: 40
    .language:       OpenCL C
    .language_version:
      - 2
      - 0
    .max_flat_workgroup_size: 1024
    .name:           _ZN7rocprim17ROCPRIM_400000_NS6detail17trampoline_kernelINS0_14default_configENS1_35radix_sort_onesweep_config_selectorIalEEZNS1_34radix_sort_onesweep_global_offsetsIS3_Lb0EPaN6thrust23THRUST_200600_302600_NS10device_ptrIlEEjNS0_19identity_decomposerEEE10hipError_tT1_T2_PT3_SG_jT4_jjP12ihipStream_tbEUlT_E_NS1_11comp_targetILNS1_3genE3ELNS1_11target_archE908ELNS1_3gpuE7ELNS1_3repE0EEENS1_52radix_sort_onesweep_histogram_config_static_selectorELNS0_4arch9wavefront6targetE1EEEvSE_
    .private_segment_fixed_size: 0
    .sgpr_count:     4
    .sgpr_spill_count: 0
    .symbol:         _ZN7rocprim17ROCPRIM_400000_NS6detail17trampoline_kernelINS0_14default_configENS1_35radix_sort_onesweep_config_selectorIalEEZNS1_34radix_sort_onesweep_global_offsetsIS3_Lb0EPaN6thrust23THRUST_200600_302600_NS10device_ptrIlEEjNS0_19identity_decomposerEEE10hipError_tT1_T2_PT3_SG_jT4_jjP12ihipStream_tbEUlT_E_NS1_11comp_targetILNS1_3genE3ELNS1_11target_archE908ELNS1_3gpuE7ELNS1_3repE0EEENS1_52radix_sort_onesweep_histogram_config_static_selectorELNS0_4arch9wavefront6targetE1EEEvSE_.kd
    .uniform_work_group_size: 1
    .uses_dynamic_stack: false
    .vgpr_count:     0
    .vgpr_spill_count: 0
    .wavefront_size: 64
  - .args:
      - .offset:         0
        .size:           40
        .value_kind:     by_value
    .group_segment_fixed_size: 0
    .kernarg_segment_align: 8
    .kernarg_segment_size: 40
    .language:       OpenCL C
    .language_version:
      - 2
      - 0
    .max_flat_workgroup_size: 1024
    .name:           _ZN7rocprim17ROCPRIM_400000_NS6detail17trampoline_kernelINS0_14default_configENS1_35radix_sort_onesweep_config_selectorIalEEZNS1_34radix_sort_onesweep_global_offsetsIS3_Lb0EPaN6thrust23THRUST_200600_302600_NS10device_ptrIlEEjNS0_19identity_decomposerEEE10hipError_tT1_T2_PT3_SG_jT4_jjP12ihipStream_tbEUlT_E_NS1_11comp_targetILNS1_3genE10ELNS1_11target_archE1201ELNS1_3gpuE5ELNS1_3repE0EEENS1_52radix_sort_onesweep_histogram_config_static_selectorELNS0_4arch9wavefront6targetE1EEEvSE_
    .private_segment_fixed_size: 0
    .sgpr_count:     4
    .sgpr_spill_count: 0
    .symbol:         _ZN7rocprim17ROCPRIM_400000_NS6detail17trampoline_kernelINS0_14default_configENS1_35radix_sort_onesweep_config_selectorIalEEZNS1_34radix_sort_onesweep_global_offsetsIS3_Lb0EPaN6thrust23THRUST_200600_302600_NS10device_ptrIlEEjNS0_19identity_decomposerEEE10hipError_tT1_T2_PT3_SG_jT4_jjP12ihipStream_tbEUlT_E_NS1_11comp_targetILNS1_3genE10ELNS1_11target_archE1201ELNS1_3gpuE5ELNS1_3repE0EEENS1_52radix_sort_onesweep_histogram_config_static_selectorELNS0_4arch9wavefront6targetE1EEEvSE_.kd
    .uniform_work_group_size: 1
    .uses_dynamic_stack: false
    .vgpr_count:     0
    .vgpr_spill_count: 0
    .wavefront_size: 64
  - .args:
      - .offset:         0
        .size:           40
        .value_kind:     by_value
    .group_segment_fixed_size: 0
    .kernarg_segment_align: 8
    .kernarg_segment_size: 40
    .language:       OpenCL C
    .language_version:
      - 2
      - 0
    .max_flat_workgroup_size: 1024
    .name:           _ZN7rocprim17ROCPRIM_400000_NS6detail17trampoline_kernelINS0_14default_configENS1_35radix_sort_onesweep_config_selectorIalEEZNS1_34radix_sort_onesweep_global_offsetsIS3_Lb0EPaN6thrust23THRUST_200600_302600_NS10device_ptrIlEEjNS0_19identity_decomposerEEE10hipError_tT1_T2_PT3_SG_jT4_jjP12ihipStream_tbEUlT_E_NS1_11comp_targetILNS1_3genE9ELNS1_11target_archE1100ELNS1_3gpuE3ELNS1_3repE0EEENS1_52radix_sort_onesweep_histogram_config_static_selectorELNS0_4arch9wavefront6targetE1EEEvSE_
    .private_segment_fixed_size: 0
    .sgpr_count:     4
    .sgpr_spill_count: 0
    .symbol:         _ZN7rocprim17ROCPRIM_400000_NS6detail17trampoline_kernelINS0_14default_configENS1_35radix_sort_onesweep_config_selectorIalEEZNS1_34radix_sort_onesweep_global_offsetsIS3_Lb0EPaN6thrust23THRUST_200600_302600_NS10device_ptrIlEEjNS0_19identity_decomposerEEE10hipError_tT1_T2_PT3_SG_jT4_jjP12ihipStream_tbEUlT_E_NS1_11comp_targetILNS1_3genE9ELNS1_11target_archE1100ELNS1_3gpuE3ELNS1_3repE0EEENS1_52radix_sort_onesweep_histogram_config_static_selectorELNS0_4arch9wavefront6targetE1EEEvSE_.kd
    .uniform_work_group_size: 1
    .uses_dynamic_stack: false
    .vgpr_count:     0
    .vgpr_spill_count: 0
    .wavefront_size: 64
  - .args:
      - .offset:         0
        .size:           40
        .value_kind:     by_value
    .group_segment_fixed_size: 0
    .kernarg_segment_align: 8
    .kernarg_segment_size: 40
    .language:       OpenCL C
    .language_version:
      - 2
      - 0
    .max_flat_workgroup_size: 1024
    .name:           _ZN7rocprim17ROCPRIM_400000_NS6detail17trampoline_kernelINS0_14default_configENS1_35radix_sort_onesweep_config_selectorIalEEZNS1_34radix_sort_onesweep_global_offsetsIS3_Lb0EPaN6thrust23THRUST_200600_302600_NS10device_ptrIlEEjNS0_19identity_decomposerEEE10hipError_tT1_T2_PT3_SG_jT4_jjP12ihipStream_tbEUlT_E_NS1_11comp_targetILNS1_3genE8ELNS1_11target_archE1030ELNS1_3gpuE2ELNS1_3repE0EEENS1_52radix_sort_onesweep_histogram_config_static_selectorELNS0_4arch9wavefront6targetE1EEEvSE_
    .private_segment_fixed_size: 0
    .sgpr_count:     4
    .sgpr_spill_count: 0
    .symbol:         _ZN7rocprim17ROCPRIM_400000_NS6detail17trampoline_kernelINS0_14default_configENS1_35radix_sort_onesweep_config_selectorIalEEZNS1_34radix_sort_onesweep_global_offsetsIS3_Lb0EPaN6thrust23THRUST_200600_302600_NS10device_ptrIlEEjNS0_19identity_decomposerEEE10hipError_tT1_T2_PT3_SG_jT4_jjP12ihipStream_tbEUlT_E_NS1_11comp_targetILNS1_3genE8ELNS1_11target_archE1030ELNS1_3gpuE2ELNS1_3repE0EEENS1_52radix_sort_onesweep_histogram_config_static_selectorELNS0_4arch9wavefront6targetE1EEEvSE_.kd
    .uniform_work_group_size: 1
    .uses_dynamic_stack: false
    .vgpr_count:     0
    .vgpr_spill_count: 0
    .wavefront_size: 64
  - .args:
      - .address_space:  global
        .offset:         0
        .size:           8
        .value_kind:     global_buffer
    .group_segment_fixed_size: 0
    .kernarg_segment_align: 8
    .kernarg_segment_size: 8
    .language:       OpenCL C
    .language_version:
      - 2
      - 0
    .max_flat_workgroup_size: 1024
    .name:           _ZN7rocprim17ROCPRIM_400000_NS6detail17trampoline_kernelINS0_14default_configENS1_35radix_sort_onesweep_config_selectorIalEEZNS1_34radix_sort_onesweep_global_offsetsIS3_Lb0EPaN6thrust23THRUST_200600_302600_NS10device_ptrIlEEjNS0_19identity_decomposerEEE10hipError_tT1_T2_PT3_SG_jT4_jjP12ihipStream_tbEUlT_E0_NS1_11comp_targetILNS1_3genE0ELNS1_11target_archE4294967295ELNS1_3gpuE0ELNS1_3repE0EEENS1_52radix_sort_onesweep_histogram_config_static_selectorELNS0_4arch9wavefront6targetE1EEEvSE_
    .private_segment_fixed_size: 0
    .sgpr_count:     4
    .sgpr_spill_count: 0
    .symbol:         _ZN7rocprim17ROCPRIM_400000_NS6detail17trampoline_kernelINS0_14default_configENS1_35radix_sort_onesweep_config_selectorIalEEZNS1_34radix_sort_onesweep_global_offsetsIS3_Lb0EPaN6thrust23THRUST_200600_302600_NS10device_ptrIlEEjNS0_19identity_decomposerEEE10hipError_tT1_T2_PT3_SG_jT4_jjP12ihipStream_tbEUlT_E0_NS1_11comp_targetILNS1_3genE0ELNS1_11target_archE4294967295ELNS1_3gpuE0ELNS1_3repE0EEENS1_52radix_sort_onesweep_histogram_config_static_selectorELNS0_4arch9wavefront6targetE1EEEvSE_.kd
    .uniform_work_group_size: 1
    .uses_dynamic_stack: false
    .vgpr_count:     0
    .vgpr_spill_count: 0
    .wavefront_size: 64
  - .args:
      - .address_space:  global
        .offset:         0
        .size:           8
        .value_kind:     global_buffer
    .group_segment_fixed_size: 0
    .kernarg_segment_align: 8
    .kernarg_segment_size: 8
    .language:       OpenCL C
    .language_version:
      - 2
      - 0
    .max_flat_workgroup_size: 1024
    .name:           _ZN7rocprim17ROCPRIM_400000_NS6detail17trampoline_kernelINS0_14default_configENS1_35radix_sort_onesweep_config_selectorIalEEZNS1_34radix_sort_onesweep_global_offsetsIS3_Lb0EPaN6thrust23THRUST_200600_302600_NS10device_ptrIlEEjNS0_19identity_decomposerEEE10hipError_tT1_T2_PT3_SG_jT4_jjP12ihipStream_tbEUlT_E0_NS1_11comp_targetILNS1_3genE6ELNS1_11target_archE950ELNS1_3gpuE13ELNS1_3repE0EEENS1_52radix_sort_onesweep_histogram_config_static_selectorELNS0_4arch9wavefront6targetE1EEEvSE_
    .private_segment_fixed_size: 0
    .sgpr_count:     4
    .sgpr_spill_count: 0
    .symbol:         _ZN7rocprim17ROCPRIM_400000_NS6detail17trampoline_kernelINS0_14default_configENS1_35radix_sort_onesweep_config_selectorIalEEZNS1_34radix_sort_onesweep_global_offsetsIS3_Lb0EPaN6thrust23THRUST_200600_302600_NS10device_ptrIlEEjNS0_19identity_decomposerEEE10hipError_tT1_T2_PT3_SG_jT4_jjP12ihipStream_tbEUlT_E0_NS1_11comp_targetILNS1_3genE6ELNS1_11target_archE950ELNS1_3gpuE13ELNS1_3repE0EEENS1_52radix_sort_onesweep_histogram_config_static_selectorELNS0_4arch9wavefront6targetE1EEEvSE_.kd
    .uniform_work_group_size: 1
    .uses_dynamic_stack: false
    .vgpr_count:     0
    .vgpr_spill_count: 0
    .wavefront_size: 64
  - .args:
      - .address_space:  global
        .offset:         0
        .size:           8
        .value_kind:     global_buffer
    .group_segment_fixed_size: 0
    .kernarg_segment_align: 8
    .kernarg_segment_size: 8
    .language:       OpenCL C
    .language_version:
      - 2
      - 0
    .max_flat_workgroup_size: 1024
    .name:           _ZN7rocprim17ROCPRIM_400000_NS6detail17trampoline_kernelINS0_14default_configENS1_35radix_sort_onesweep_config_selectorIalEEZNS1_34radix_sort_onesweep_global_offsetsIS3_Lb0EPaN6thrust23THRUST_200600_302600_NS10device_ptrIlEEjNS0_19identity_decomposerEEE10hipError_tT1_T2_PT3_SG_jT4_jjP12ihipStream_tbEUlT_E0_NS1_11comp_targetILNS1_3genE5ELNS1_11target_archE942ELNS1_3gpuE9ELNS1_3repE0EEENS1_52radix_sort_onesweep_histogram_config_static_selectorELNS0_4arch9wavefront6targetE1EEEvSE_
    .private_segment_fixed_size: 0
    .sgpr_count:     4
    .sgpr_spill_count: 0
    .symbol:         _ZN7rocprim17ROCPRIM_400000_NS6detail17trampoline_kernelINS0_14default_configENS1_35radix_sort_onesweep_config_selectorIalEEZNS1_34radix_sort_onesweep_global_offsetsIS3_Lb0EPaN6thrust23THRUST_200600_302600_NS10device_ptrIlEEjNS0_19identity_decomposerEEE10hipError_tT1_T2_PT3_SG_jT4_jjP12ihipStream_tbEUlT_E0_NS1_11comp_targetILNS1_3genE5ELNS1_11target_archE942ELNS1_3gpuE9ELNS1_3repE0EEENS1_52radix_sort_onesweep_histogram_config_static_selectorELNS0_4arch9wavefront6targetE1EEEvSE_.kd
    .uniform_work_group_size: 1
    .uses_dynamic_stack: false
    .vgpr_count:     0
    .vgpr_spill_count: 0
    .wavefront_size: 64
  - .args:
      - .address_space:  global
        .offset:         0
        .size:           8
        .value_kind:     global_buffer
    .group_segment_fixed_size: 32
    .kernarg_segment_align: 8
    .kernarg_segment_size: 8
    .language:       OpenCL C
    .language_version:
      - 2
      - 0
    .max_flat_workgroup_size: 512
    .name:           _ZN7rocprim17ROCPRIM_400000_NS6detail17trampoline_kernelINS0_14default_configENS1_35radix_sort_onesweep_config_selectorIalEEZNS1_34radix_sort_onesweep_global_offsetsIS3_Lb0EPaN6thrust23THRUST_200600_302600_NS10device_ptrIlEEjNS0_19identity_decomposerEEE10hipError_tT1_T2_PT3_SG_jT4_jjP12ihipStream_tbEUlT_E0_NS1_11comp_targetILNS1_3genE2ELNS1_11target_archE906ELNS1_3gpuE6ELNS1_3repE0EEENS1_52radix_sort_onesweep_histogram_config_static_selectorELNS0_4arch9wavefront6targetE1EEEvSE_
    .private_segment_fixed_size: 0
    .sgpr_count:     11
    .sgpr_spill_count: 0
    .symbol:         _ZN7rocprim17ROCPRIM_400000_NS6detail17trampoline_kernelINS0_14default_configENS1_35radix_sort_onesweep_config_selectorIalEEZNS1_34radix_sort_onesweep_global_offsetsIS3_Lb0EPaN6thrust23THRUST_200600_302600_NS10device_ptrIlEEjNS0_19identity_decomposerEEE10hipError_tT1_T2_PT3_SG_jT4_jjP12ihipStream_tbEUlT_E0_NS1_11comp_targetILNS1_3genE2ELNS1_11target_archE906ELNS1_3gpuE6ELNS1_3repE0EEENS1_52radix_sort_onesweep_histogram_config_static_selectorELNS0_4arch9wavefront6targetE1EEEvSE_.kd
    .uniform_work_group_size: 1
    .uses_dynamic_stack: false
    .vgpr_count:     8
    .vgpr_spill_count: 0
    .wavefront_size: 64
  - .args:
      - .address_space:  global
        .offset:         0
        .size:           8
        .value_kind:     global_buffer
    .group_segment_fixed_size: 0
    .kernarg_segment_align: 8
    .kernarg_segment_size: 8
    .language:       OpenCL C
    .language_version:
      - 2
      - 0
    .max_flat_workgroup_size: 1024
    .name:           _ZN7rocprim17ROCPRIM_400000_NS6detail17trampoline_kernelINS0_14default_configENS1_35radix_sort_onesweep_config_selectorIalEEZNS1_34radix_sort_onesweep_global_offsetsIS3_Lb0EPaN6thrust23THRUST_200600_302600_NS10device_ptrIlEEjNS0_19identity_decomposerEEE10hipError_tT1_T2_PT3_SG_jT4_jjP12ihipStream_tbEUlT_E0_NS1_11comp_targetILNS1_3genE4ELNS1_11target_archE910ELNS1_3gpuE8ELNS1_3repE0EEENS1_52radix_sort_onesweep_histogram_config_static_selectorELNS0_4arch9wavefront6targetE1EEEvSE_
    .private_segment_fixed_size: 0
    .sgpr_count:     4
    .sgpr_spill_count: 0
    .symbol:         _ZN7rocprim17ROCPRIM_400000_NS6detail17trampoline_kernelINS0_14default_configENS1_35radix_sort_onesweep_config_selectorIalEEZNS1_34radix_sort_onesweep_global_offsetsIS3_Lb0EPaN6thrust23THRUST_200600_302600_NS10device_ptrIlEEjNS0_19identity_decomposerEEE10hipError_tT1_T2_PT3_SG_jT4_jjP12ihipStream_tbEUlT_E0_NS1_11comp_targetILNS1_3genE4ELNS1_11target_archE910ELNS1_3gpuE8ELNS1_3repE0EEENS1_52radix_sort_onesweep_histogram_config_static_selectorELNS0_4arch9wavefront6targetE1EEEvSE_.kd
    .uniform_work_group_size: 1
    .uses_dynamic_stack: false
    .vgpr_count:     0
    .vgpr_spill_count: 0
    .wavefront_size: 64
  - .args:
      - .address_space:  global
        .offset:         0
        .size:           8
        .value_kind:     global_buffer
    .group_segment_fixed_size: 0
    .kernarg_segment_align: 8
    .kernarg_segment_size: 8
    .language:       OpenCL C
    .language_version:
      - 2
      - 0
    .max_flat_workgroup_size: 1024
    .name:           _ZN7rocprim17ROCPRIM_400000_NS6detail17trampoline_kernelINS0_14default_configENS1_35radix_sort_onesweep_config_selectorIalEEZNS1_34radix_sort_onesweep_global_offsetsIS3_Lb0EPaN6thrust23THRUST_200600_302600_NS10device_ptrIlEEjNS0_19identity_decomposerEEE10hipError_tT1_T2_PT3_SG_jT4_jjP12ihipStream_tbEUlT_E0_NS1_11comp_targetILNS1_3genE3ELNS1_11target_archE908ELNS1_3gpuE7ELNS1_3repE0EEENS1_52radix_sort_onesweep_histogram_config_static_selectorELNS0_4arch9wavefront6targetE1EEEvSE_
    .private_segment_fixed_size: 0
    .sgpr_count:     4
    .sgpr_spill_count: 0
    .symbol:         _ZN7rocprim17ROCPRIM_400000_NS6detail17trampoline_kernelINS0_14default_configENS1_35radix_sort_onesweep_config_selectorIalEEZNS1_34radix_sort_onesweep_global_offsetsIS3_Lb0EPaN6thrust23THRUST_200600_302600_NS10device_ptrIlEEjNS0_19identity_decomposerEEE10hipError_tT1_T2_PT3_SG_jT4_jjP12ihipStream_tbEUlT_E0_NS1_11comp_targetILNS1_3genE3ELNS1_11target_archE908ELNS1_3gpuE7ELNS1_3repE0EEENS1_52radix_sort_onesweep_histogram_config_static_selectorELNS0_4arch9wavefront6targetE1EEEvSE_.kd
    .uniform_work_group_size: 1
    .uses_dynamic_stack: false
    .vgpr_count:     0
    .vgpr_spill_count: 0
    .wavefront_size: 64
  - .args:
      - .address_space:  global
        .offset:         0
        .size:           8
        .value_kind:     global_buffer
    .group_segment_fixed_size: 0
    .kernarg_segment_align: 8
    .kernarg_segment_size: 8
    .language:       OpenCL C
    .language_version:
      - 2
      - 0
    .max_flat_workgroup_size: 1024
    .name:           _ZN7rocprim17ROCPRIM_400000_NS6detail17trampoline_kernelINS0_14default_configENS1_35radix_sort_onesweep_config_selectorIalEEZNS1_34radix_sort_onesweep_global_offsetsIS3_Lb0EPaN6thrust23THRUST_200600_302600_NS10device_ptrIlEEjNS0_19identity_decomposerEEE10hipError_tT1_T2_PT3_SG_jT4_jjP12ihipStream_tbEUlT_E0_NS1_11comp_targetILNS1_3genE10ELNS1_11target_archE1201ELNS1_3gpuE5ELNS1_3repE0EEENS1_52radix_sort_onesweep_histogram_config_static_selectorELNS0_4arch9wavefront6targetE1EEEvSE_
    .private_segment_fixed_size: 0
    .sgpr_count:     4
    .sgpr_spill_count: 0
    .symbol:         _ZN7rocprim17ROCPRIM_400000_NS6detail17trampoline_kernelINS0_14default_configENS1_35radix_sort_onesweep_config_selectorIalEEZNS1_34radix_sort_onesweep_global_offsetsIS3_Lb0EPaN6thrust23THRUST_200600_302600_NS10device_ptrIlEEjNS0_19identity_decomposerEEE10hipError_tT1_T2_PT3_SG_jT4_jjP12ihipStream_tbEUlT_E0_NS1_11comp_targetILNS1_3genE10ELNS1_11target_archE1201ELNS1_3gpuE5ELNS1_3repE0EEENS1_52radix_sort_onesweep_histogram_config_static_selectorELNS0_4arch9wavefront6targetE1EEEvSE_.kd
    .uniform_work_group_size: 1
    .uses_dynamic_stack: false
    .vgpr_count:     0
    .vgpr_spill_count: 0
    .wavefront_size: 64
  - .args:
      - .address_space:  global
        .offset:         0
        .size:           8
        .value_kind:     global_buffer
    .group_segment_fixed_size: 0
    .kernarg_segment_align: 8
    .kernarg_segment_size: 8
    .language:       OpenCL C
    .language_version:
      - 2
      - 0
    .max_flat_workgroup_size: 1024
    .name:           _ZN7rocprim17ROCPRIM_400000_NS6detail17trampoline_kernelINS0_14default_configENS1_35radix_sort_onesweep_config_selectorIalEEZNS1_34radix_sort_onesweep_global_offsetsIS3_Lb0EPaN6thrust23THRUST_200600_302600_NS10device_ptrIlEEjNS0_19identity_decomposerEEE10hipError_tT1_T2_PT3_SG_jT4_jjP12ihipStream_tbEUlT_E0_NS1_11comp_targetILNS1_3genE9ELNS1_11target_archE1100ELNS1_3gpuE3ELNS1_3repE0EEENS1_52radix_sort_onesweep_histogram_config_static_selectorELNS0_4arch9wavefront6targetE1EEEvSE_
    .private_segment_fixed_size: 0
    .sgpr_count:     4
    .sgpr_spill_count: 0
    .symbol:         _ZN7rocprim17ROCPRIM_400000_NS6detail17trampoline_kernelINS0_14default_configENS1_35radix_sort_onesweep_config_selectorIalEEZNS1_34radix_sort_onesweep_global_offsetsIS3_Lb0EPaN6thrust23THRUST_200600_302600_NS10device_ptrIlEEjNS0_19identity_decomposerEEE10hipError_tT1_T2_PT3_SG_jT4_jjP12ihipStream_tbEUlT_E0_NS1_11comp_targetILNS1_3genE9ELNS1_11target_archE1100ELNS1_3gpuE3ELNS1_3repE0EEENS1_52radix_sort_onesweep_histogram_config_static_selectorELNS0_4arch9wavefront6targetE1EEEvSE_.kd
    .uniform_work_group_size: 1
    .uses_dynamic_stack: false
    .vgpr_count:     0
    .vgpr_spill_count: 0
    .wavefront_size: 64
  - .args:
      - .address_space:  global
        .offset:         0
        .size:           8
        .value_kind:     global_buffer
    .group_segment_fixed_size: 0
    .kernarg_segment_align: 8
    .kernarg_segment_size: 8
    .language:       OpenCL C
    .language_version:
      - 2
      - 0
    .max_flat_workgroup_size: 1024
    .name:           _ZN7rocprim17ROCPRIM_400000_NS6detail17trampoline_kernelINS0_14default_configENS1_35radix_sort_onesweep_config_selectorIalEEZNS1_34radix_sort_onesweep_global_offsetsIS3_Lb0EPaN6thrust23THRUST_200600_302600_NS10device_ptrIlEEjNS0_19identity_decomposerEEE10hipError_tT1_T2_PT3_SG_jT4_jjP12ihipStream_tbEUlT_E0_NS1_11comp_targetILNS1_3genE8ELNS1_11target_archE1030ELNS1_3gpuE2ELNS1_3repE0EEENS1_52radix_sort_onesweep_histogram_config_static_selectorELNS0_4arch9wavefront6targetE1EEEvSE_
    .private_segment_fixed_size: 0
    .sgpr_count:     4
    .sgpr_spill_count: 0
    .symbol:         _ZN7rocprim17ROCPRIM_400000_NS6detail17trampoline_kernelINS0_14default_configENS1_35radix_sort_onesweep_config_selectorIalEEZNS1_34radix_sort_onesweep_global_offsetsIS3_Lb0EPaN6thrust23THRUST_200600_302600_NS10device_ptrIlEEjNS0_19identity_decomposerEEE10hipError_tT1_T2_PT3_SG_jT4_jjP12ihipStream_tbEUlT_E0_NS1_11comp_targetILNS1_3genE8ELNS1_11target_archE1030ELNS1_3gpuE2ELNS1_3repE0EEENS1_52radix_sort_onesweep_histogram_config_static_selectorELNS0_4arch9wavefront6targetE1EEEvSE_.kd
    .uniform_work_group_size: 1
    .uses_dynamic_stack: false
    .vgpr_count:     0
    .vgpr_spill_count: 0
    .wavefront_size: 64
  - .args:
      - .offset:         0
        .size:           88
        .value_kind:     by_value
    .group_segment_fixed_size: 0
    .kernarg_segment_align: 8
    .kernarg_segment_size: 88
    .language:       OpenCL C
    .language_version:
      - 2
      - 0
    .max_flat_workgroup_size: 1024
    .name:           _ZN7rocprim17ROCPRIM_400000_NS6detail17trampoline_kernelINS0_14default_configENS1_35radix_sort_onesweep_config_selectorIalEEZZNS1_29radix_sort_onesweep_iterationIS3_Lb0EPaS7_N6thrust23THRUST_200600_302600_NS10device_ptrIlEESB_jNS0_19identity_decomposerENS1_16block_id_wrapperIjLb1EEEEE10hipError_tT1_PNSt15iterator_traitsISG_E10value_typeET2_T3_PNSH_ISM_E10value_typeET4_T5_PSR_SS_PNS1_23onesweep_lookback_stateEbbT6_jjT7_P12ihipStream_tbENKUlT_T0_SG_SL_E_clIS7_S7_SB_SB_EEDaSZ_S10_SG_SL_EUlSZ_E_NS1_11comp_targetILNS1_3genE0ELNS1_11target_archE4294967295ELNS1_3gpuE0ELNS1_3repE0EEENS1_47radix_sort_onesweep_sort_config_static_selectorELNS0_4arch9wavefront6targetE1EEEvSG_
    .private_segment_fixed_size: 0
    .sgpr_count:     4
    .sgpr_spill_count: 0
    .symbol:         _ZN7rocprim17ROCPRIM_400000_NS6detail17trampoline_kernelINS0_14default_configENS1_35radix_sort_onesweep_config_selectorIalEEZZNS1_29radix_sort_onesweep_iterationIS3_Lb0EPaS7_N6thrust23THRUST_200600_302600_NS10device_ptrIlEESB_jNS0_19identity_decomposerENS1_16block_id_wrapperIjLb1EEEEE10hipError_tT1_PNSt15iterator_traitsISG_E10value_typeET2_T3_PNSH_ISM_E10value_typeET4_T5_PSR_SS_PNS1_23onesweep_lookback_stateEbbT6_jjT7_P12ihipStream_tbENKUlT_T0_SG_SL_E_clIS7_S7_SB_SB_EEDaSZ_S10_SG_SL_EUlSZ_E_NS1_11comp_targetILNS1_3genE0ELNS1_11target_archE4294967295ELNS1_3gpuE0ELNS1_3repE0EEENS1_47radix_sort_onesweep_sort_config_static_selectorELNS0_4arch9wavefront6targetE1EEEvSG_.kd
    .uniform_work_group_size: 1
    .uses_dynamic_stack: false
    .vgpr_count:     0
    .vgpr_spill_count: 0
    .wavefront_size: 64
  - .args:
      - .offset:         0
        .size:           88
        .value_kind:     by_value
    .group_segment_fixed_size: 0
    .kernarg_segment_align: 8
    .kernarg_segment_size: 88
    .language:       OpenCL C
    .language_version:
      - 2
      - 0
    .max_flat_workgroup_size: 1024
    .name:           _ZN7rocprim17ROCPRIM_400000_NS6detail17trampoline_kernelINS0_14default_configENS1_35radix_sort_onesweep_config_selectorIalEEZZNS1_29radix_sort_onesweep_iterationIS3_Lb0EPaS7_N6thrust23THRUST_200600_302600_NS10device_ptrIlEESB_jNS0_19identity_decomposerENS1_16block_id_wrapperIjLb1EEEEE10hipError_tT1_PNSt15iterator_traitsISG_E10value_typeET2_T3_PNSH_ISM_E10value_typeET4_T5_PSR_SS_PNS1_23onesweep_lookback_stateEbbT6_jjT7_P12ihipStream_tbENKUlT_T0_SG_SL_E_clIS7_S7_SB_SB_EEDaSZ_S10_SG_SL_EUlSZ_E_NS1_11comp_targetILNS1_3genE6ELNS1_11target_archE950ELNS1_3gpuE13ELNS1_3repE0EEENS1_47radix_sort_onesweep_sort_config_static_selectorELNS0_4arch9wavefront6targetE1EEEvSG_
    .private_segment_fixed_size: 0
    .sgpr_count:     4
    .sgpr_spill_count: 0
    .symbol:         _ZN7rocprim17ROCPRIM_400000_NS6detail17trampoline_kernelINS0_14default_configENS1_35radix_sort_onesweep_config_selectorIalEEZZNS1_29radix_sort_onesweep_iterationIS3_Lb0EPaS7_N6thrust23THRUST_200600_302600_NS10device_ptrIlEESB_jNS0_19identity_decomposerENS1_16block_id_wrapperIjLb1EEEEE10hipError_tT1_PNSt15iterator_traitsISG_E10value_typeET2_T3_PNSH_ISM_E10value_typeET4_T5_PSR_SS_PNS1_23onesweep_lookback_stateEbbT6_jjT7_P12ihipStream_tbENKUlT_T0_SG_SL_E_clIS7_S7_SB_SB_EEDaSZ_S10_SG_SL_EUlSZ_E_NS1_11comp_targetILNS1_3genE6ELNS1_11target_archE950ELNS1_3gpuE13ELNS1_3repE0EEENS1_47radix_sort_onesweep_sort_config_static_selectorELNS0_4arch9wavefront6targetE1EEEvSG_.kd
    .uniform_work_group_size: 1
    .uses_dynamic_stack: false
    .vgpr_count:     0
    .vgpr_spill_count: 0
    .wavefront_size: 64
  - .args:
      - .offset:         0
        .size:           88
        .value_kind:     by_value
    .group_segment_fixed_size: 0
    .kernarg_segment_align: 8
    .kernarg_segment_size: 88
    .language:       OpenCL C
    .language_version:
      - 2
      - 0
    .max_flat_workgroup_size: 1024
    .name:           _ZN7rocprim17ROCPRIM_400000_NS6detail17trampoline_kernelINS0_14default_configENS1_35radix_sort_onesweep_config_selectorIalEEZZNS1_29radix_sort_onesweep_iterationIS3_Lb0EPaS7_N6thrust23THRUST_200600_302600_NS10device_ptrIlEESB_jNS0_19identity_decomposerENS1_16block_id_wrapperIjLb1EEEEE10hipError_tT1_PNSt15iterator_traitsISG_E10value_typeET2_T3_PNSH_ISM_E10value_typeET4_T5_PSR_SS_PNS1_23onesweep_lookback_stateEbbT6_jjT7_P12ihipStream_tbENKUlT_T0_SG_SL_E_clIS7_S7_SB_SB_EEDaSZ_S10_SG_SL_EUlSZ_E_NS1_11comp_targetILNS1_3genE5ELNS1_11target_archE942ELNS1_3gpuE9ELNS1_3repE0EEENS1_47radix_sort_onesweep_sort_config_static_selectorELNS0_4arch9wavefront6targetE1EEEvSG_
    .private_segment_fixed_size: 0
    .sgpr_count:     4
    .sgpr_spill_count: 0
    .symbol:         _ZN7rocprim17ROCPRIM_400000_NS6detail17trampoline_kernelINS0_14default_configENS1_35radix_sort_onesweep_config_selectorIalEEZZNS1_29radix_sort_onesweep_iterationIS3_Lb0EPaS7_N6thrust23THRUST_200600_302600_NS10device_ptrIlEESB_jNS0_19identity_decomposerENS1_16block_id_wrapperIjLb1EEEEE10hipError_tT1_PNSt15iterator_traitsISG_E10value_typeET2_T3_PNSH_ISM_E10value_typeET4_T5_PSR_SS_PNS1_23onesweep_lookback_stateEbbT6_jjT7_P12ihipStream_tbENKUlT_T0_SG_SL_E_clIS7_S7_SB_SB_EEDaSZ_S10_SG_SL_EUlSZ_E_NS1_11comp_targetILNS1_3genE5ELNS1_11target_archE942ELNS1_3gpuE9ELNS1_3repE0EEENS1_47radix_sort_onesweep_sort_config_static_selectorELNS0_4arch9wavefront6targetE1EEEvSG_.kd
    .uniform_work_group_size: 1
    .uses_dynamic_stack: false
    .vgpr_count:     0
    .vgpr_spill_count: 0
    .wavefront_size: 64
  - .args:
      - .offset:         0
        .size:           88
        .value_kind:     by_value
      - .offset:         88
        .size:           4
        .value_kind:     hidden_block_count_x
      - .offset:         92
        .size:           4
        .value_kind:     hidden_block_count_y
      - .offset:         96
        .size:           4
        .value_kind:     hidden_block_count_z
      - .offset:         100
        .size:           2
        .value_kind:     hidden_group_size_x
      - .offset:         102
        .size:           2
        .value_kind:     hidden_group_size_y
      - .offset:         104
        .size:           2
        .value_kind:     hidden_group_size_z
      - .offset:         106
        .size:           2
        .value_kind:     hidden_remainder_x
      - .offset:         108
        .size:           2
        .value_kind:     hidden_remainder_y
      - .offset:         110
        .size:           2
        .value_kind:     hidden_remainder_z
      - .offset:         128
        .size:           8
        .value_kind:     hidden_global_offset_x
      - .offset:         136
        .size:           8
        .value_kind:     hidden_global_offset_y
      - .offset:         144
        .size:           8
        .value_kind:     hidden_global_offset_z
      - .offset:         152
        .size:           2
        .value_kind:     hidden_grid_dims
    .group_segment_fixed_size: 10280
    .kernarg_segment_align: 8
    .kernarg_segment_size: 344
    .language:       OpenCL C
    .language_version:
      - 2
      - 0
    .max_flat_workgroup_size: 512
    .name:           _ZN7rocprim17ROCPRIM_400000_NS6detail17trampoline_kernelINS0_14default_configENS1_35radix_sort_onesweep_config_selectorIalEEZZNS1_29radix_sort_onesweep_iterationIS3_Lb0EPaS7_N6thrust23THRUST_200600_302600_NS10device_ptrIlEESB_jNS0_19identity_decomposerENS1_16block_id_wrapperIjLb1EEEEE10hipError_tT1_PNSt15iterator_traitsISG_E10value_typeET2_T3_PNSH_ISM_E10value_typeET4_T5_PSR_SS_PNS1_23onesweep_lookback_stateEbbT6_jjT7_P12ihipStream_tbENKUlT_T0_SG_SL_E_clIS7_S7_SB_SB_EEDaSZ_S10_SG_SL_EUlSZ_E_NS1_11comp_targetILNS1_3genE2ELNS1_11target_archE906ELNS1_3gpuE6ELNS1_3repE0EEENS1_47radix_sort_onesweep_sort_config_static_selectorELNS0_4arch9wavefront6targetE1EEEvSG_
    .private_segment_fixed_size: 32
    .sgpr_count:     60
    .sgpr_spill_count: 0
    .symbol:         _ZN7rocprim17ROCPRIM_400000_NS6detail17trampoline_kernelINS0_14default_configENS1_35radix_sort_onesweep_config_selectorIalEEZZNS1_29radix_sort_onesweep_iterationIS3_Lb0EPaS7_N6thrust23THRUST_200600_302600_NS10device_ptrIlEESB_jNS0_19identity_decomposerENS1_16block_id_wrapperIjLb1EEEEE10hipError_tT1_PNSt15iterator_traitsISG_E10value_typeET2_T3_PNSH_ISM_E10value_typeET4_T5_PSR_SS_PNS1_23onesweep_lookback_stateEbbT6_jjT7_P12ihipStream_tbENKUlT_T0_SG_SL_E_clIS7_S7_SB_SB_EEDaSZ_S10_SG_SL_EUlSZ_E_NS1_11comp_targetILNS1_3genE2ELNS1_11target_archE906ELNS1_3gpuE6ELNS1_3repE0EEENS1_47radix_sort_onesweep_sort_config_static_selectorELNS0_4arch9wavefront6targetE1EEEvSG_.kd
    .uniform_work_group_size: 1
    .uses_dynamic_stack: false
    .vgpr_count:     41
    .vgpr_spill_count: 0
    .wavefront_size: 64
  - .args:
      - .offset:         0
        .size:           88
        .value_kind:     by_value
    .group_segment_fixed_size: 0
    .kernarg_segment_align: 8
    .kernarg_segment_size: 88
    .language:       OpenCL C
    .language_version:
      - 2
      - 0
    .max_flat_workgroup_size: 1024
    .name:           _ZN7rocprim17ROCPRIM_400000_NS6detail17trampoline_kernelINS0_14default_configENS1_35radix_sort_onesweep_config_selectorIalEEZZNS1_29radix_sort_onesweep_iterationIS3_Lb0EPaS7_N6thrust23THRUST_200600_302600_NS10device_ptrIlEESB_jNS0_19identity_decomposerENS1_16block_id_wrapperIjLb1EEEEE10hipError_tT1_PNSt15iterator_traitsISG_E10value_typeET2_T3_PNSH_ISM_E10value_typeET4_T5_PSR_SS_PNS1_23onesweep_lookback_stateEbbT6_jjT7_P12ihipStream_tbENKUlT_T0_SG_SL_E_clIS7_S7_SB_SB_EEDaSZ_S10_SG_SL_EUlSZ_E_NS1_11comp_targetILNS1_3genE4ELNS1_11target_archE910ELNS1_3gpuE8ELNS1_3repE0EEENS1_47radix_sort_onesweep_sort_config_static_selectorELNS0_4arch9wavefront6targetE1EEEvSG_
    .private_segment_fixed_size: 0
    .sgpr_count:     4
    .sgpr_spill_count: 0
    .symbol:         _ZN7rocprim17ROCPRIM_400000_NS6detail17trampoline_kernelINS0_14default_configENS1_35radix_sort_onesweep_config_selectorIalEEZZNS1_29radix_sort_onesweep_iterationIS3_Lb0EPaS7_N6thrust23THRUST_200600_302600_NS10device_ptrIlEESB_jNS0_19identity_decomposerENS1_16block_id_wrapperIjLb1EEEEE10hipError_tT1_PNSt15iterator_traitsISG_E10value_typeET2_T3_PNSH_ISM_E10value_typeET4_T5_PSR_SS_PNS1_23onesweep_lookback_stateEbbT6_jjT7_P12ihipStream_tbENKUlT_T0_SG_SL_E_clIS7_S7_SB_SB_EEDaSZ_S10_SG_SL_EUlSZ_E_NS1_11comp_targetILNS1_3genE4ELNS1_11target_archE910ELNS1_3gpuE8ELNS1_3repE0EEENS1_47radix_sort_onesweep_sort_config_static_selectorELNS0_4arch9wavefront6targetE1EEEvSG_.kd
    .uniform_work_group_size: 1
    .uses_dynamic_stack: false
    .vgpr_count:     0
    .vgpr_spill_count: 0
    .wavefront_size: 64
  - .args:
      - .offset:         0
        .size:           88
        .value_kind:     by_value
    .group_segment_fixed_size: 0
    .kernarg_segment_align: 8
    .kernarg_segment_size: 88
    .language:       OpenCL C
    .language_version:
      - 2
      - 0
    .max_flat_workgroup_size: 1024
    .name:           _ZN7rocprim17ROCPRIM_400000_NS6detail17trampoline_kernelINS0_14default_configENS1_35radix_sort_onesweep_config_selectorIalEEZZNS1_29radix_sort_onesweep_iterationIS3_Lb0EPaS7_N6thrust23THRUST_200600_302600_NS10device_ptrIlEESB_jNS0_19identity_decomposerENS1_16block_id_wrapperIjLb1EEEEE10hipError_tT1_PNSt15iterator_traitsISG_E10value_typeET2_T3_PNSH_ISM_E10value_typeET4_T5_PSR_SS_PNS1_23onesweep_lookback_stateEbbT6_jjT7_P12ihipStream_tbENKUlT_T0_SG_SL_E_clIS7_S7_SB_SB_EEDaSZ_S10_SG_SL_EUlSZ_E_NS1_11comp_targetILNS1_3genE3ELNS1_11target_archE908ELNS1_3gpuE7ELNS1_3repE0EEENS1_47radix_sort_onesweep_sort_config_static_selectorELNS0_4arch9wavefront6targetE1EEEvSG_
    .private_segment_fixed_size: 0
    .sgpr_count:     4
    .sgpr_spill_count: 0
    .symbol:         _ZN7rocprim17ROCPRIM_400000_NS6detail17trampoline_kernelINS0_14default_configENS1_35radix_sort_onesweep_config_selectorIalEEZZNS1_29radix_sort_onesweep_iterationIS3_Lb0EPaS7_N6thrust23THRUST_200600_302600_NS10device_ptrIlEESB_jNS0_19identity_decomposerENS1_16block_id_wrapperIjLb1EEEEE10hipError_tT1_PNSt15iterator_traitsISG_E10value_typeET2_T3_PNSH_ISM_E10value_typeET4_T5_PSR_SS_PNS1_23onesweep_lookback_stateEbbT6_jjT7_P12ihipStream_tbENKUlT_T0_SG_SL_E_clIS7_S7_SB_SB_EEDaSZ_S10_SG_SL_EUlSZ_E_NS1_11comp_targetILNS1_3genE3ELNS1_11target_archE908ELNS1_3gpuE7ELNS1_3repE0EEENS1_47radix_sort_onesweep_sort_config_static_selectorELNS0_4arch9wavefront6targetE1EEEvSG_.kd
    .uniform_work_group_size: 1
    .uses_dynamic_stack: false
    .vgpr_count:     0
    .vgpr_spill_count: 0
    .wavefront_size: 64
  - .args:
      - .offset:         0
        .size:           88
        .value_kind:     by_value
    .group_segment_fixed_size: 0
    .kernarg_segment_align: 8
    .kernarg_segment_size: 88
    .language:       OpenCL C
    .language_version:
      - 2
      - 0
    .max_flat_workgroup_size: 1024
    .name:           _ZN7rocprim17ROCPRIM_400000_NS6detail17trampoline_kernelINS0_14default_configENS1_35radix_sort_onesweep_config_selectorIalEEZZNS1_29radix_sort_onesweep_iterationIS3_Lb0EPaS7_N6thrust23THRUST_200600_302600_NS10device_ptrIlEESB_jNS0_19identity_decomposerENS1_16block_id_wrapperIjLb1EEEEE10hipError_tT1_PNSt15iterator_traitsISG_E10value_typeET2_T3_PNSH_ISM_E10value_typeET4_T5_PSR_SS_PNS1_23onesweep_lookback_stateEbbT6_jjT7_P12ihipStream_tbENKUlT_T0_SG_SL_E_clIS7_S7_SB_SB_EEDaSZ_S10_SG_SL_EUlSZ_E_NS1_11comp_targetILNS1_3genE10ELNS1_11target_archE1201ELNS1_3gpuE5ELNS1_3repE0EEENS1_47radix_sort_onesweep_sort_config_static_selectorELNS0_4arch9wavefront6targetE1EEEvSG_
    .private_segment_fixed_size: 0
    .sgpr_count:     4
    .sgpr_spill_count: 0
    .symbol:         _ZN7rocprim17ROCPRIM_400000_NS6detail17trampoline_kernelINS0_14default_configENS1_35radix_sort_onesweep_config_selectorIalEEZZNS1_29radix_sort_onesweep_iterationIS3_Lb0EPaS7_N6thrust23THRUST_200600_302600_NS10device_ptrIlEESB_jNS0_19identity_decomposerENS1_16block_id_wrapperIjLb1EEEEE10hipError_tT1_PNSt15iterator_traitsISG_E10value_typeET2_T3_PNSH_ISM_E10value_typeET4_T5_PSR_SS_PNS1_23onesweep_lookback_stateEbbT6_jjT7_P12ihipStream_tbENKUlT_T0_SG_SL_E_clIS7_S7_SB_SB_EEDaSZ_S10_SG_SL_EUlSZ_E_NS1_11comp_targetILNS1_3genE10ELNS1_11target_archE1201ELNS1_3gpuE5ELNS1_3repE0EEENS1_47radix_sort_onesweep_sort_config_static_selectorELNS0_4arch9wavefront6targetE1EEEvSG_.kd
    .uniform_work_group_size: 1
    .uses_dynamic_stack: false
    .vgpr_count:     0
    .vgpr_spill_count: 0
    .wavefront_size: 64
  - .args:
      - .offset:         0
        .size:           88
        .value_kind:     by_value
    .group_segment_fixed_size: 0
    .kernarg_segment_align: 8
    .kernarg_segment_size: 88
    .language:       OpenCL C
    .language_version:
      - 2
      - 0
    .max_flat_workgroup_size: 1024
    .name:           _ZN7rocprim17ROCPRIM_400000_NS6detail17trampoline_kernelINS0_14default_configENS1_35radix_sort_onesweep_config_selectorIalEEZZNS1_29radix_sort_onesweep_iterationIS3_Lb0EPaS7_N6thrust23THRUST_200600_302600_NS10device_ptrIlEESB_jNS0_19identity_decomposerENS1_16block_id_wrapperIjLb1EEEEE10hipError_tT1_PNSt15iterator_traitsISG_E10value_typeET2_T3_PNSH_ISM_E10value_typeET4_T5_PSR_SS_PNS1_23onesweep_lookback_stateEbbT6_jjT7_P12ihipStream_tbENKUlT_T0_SG_SL_E_clIS7_S7_SB_SB_EEDaSZ_S10_SG_SL_EUlSZ_E_NS1_11comp_targetILNS1_3genE9ELNS1_11target_archE1100ELNS1_3gpuE3ELNS1_3repE0EEENS1_47radix_sort_onesweep_sort_config_static_selectorELNS0_4arch9wavefront6targetE1EEEvSG_
    .private_segment_fixed_size: 0
    .sgpr_count:     4
    .sgpr_spill_count: 0
    .symbol:         _ZN7rocprim17ROCPRIM_400000_NS6detail17trampoline_kernelINS0_14default_configENS1_35radix_sort_onesweep_config_selectorIalEEZZNS1_29radix_sort_onesweep_iterationIS3_Lb0EPaS7_N6thrust23THRUST_200600_302600_NS10device_ptrIlEESB_jNS0_19identity_decomposerENS1_16block_id_wrapperIjLb1EEEEE10hipError_tT1_PNSt15iterator_traitsISG_E10value_typeET2_T3_PNSH_ISM_E10value_typeET4_T5_PSR_SS_PNS1_23onesweep_lookback_stateEbbT6_jjT7_P12ihipStream_tbENKUlT_T0_SG_SL_E_clIS7_S7_SB_SB_EEDaSZ_S10_SG_SL_EUlSZ_E_NS1_11comp_targetILNS1_3genE9ELNS1_11target_archE1100ELNS1_3gpuE3ELNS1_3repE0EEENS1_47radix_sort_onesweep_sort_config_static_selectorELNS0_4arch9wavefront6targetE1EEEvSG_.kd
    .uniform_work_group_size: 1
    .uses_dynamic_stack: false
    .vgpr_count:     0
    .vgpr_spill_count: 0
    .wavefront_size: 64
  - .args:
      - .offset:         0
        .size:           88
        .value_kind:     by_value
    .group_segment_fixed_size: 0
    .kernarg_segment_align: 8
    .kernarg_segment_size: 88
    .language:       OpenCL C
    .language_version:
      - 2
      - 0
    .max_flat_workgroup_size: 1024
    .name:           _ZN7rocprim17ROCPRIM_400000_NS6detail17trampoline_kernelINS0_14default_configENS1_35radix_sort_onesweep_config_selectorIalEEZZNS1_29radix_sort_onesweep_iterationIS3_Lb0EPaS7_N6thrust23THRUST_200600_302600_NS10device_ptrIlEESB_jNS0_19identity_decomposerENS1_16block_id_wrapperIjLb1EEEEE10hipError_tT1_PNSt15iterator_traitsISG_E10value_typeET2_T3_PNSH_ISM_E10value_typeET4_T5_PSR_SS_PNS1_23onesweep_lookback_stateEbbT6_jjT7_P12ihipStream_tbENKUlT_T0_SG_SL_E_clIS7_S7_SB_SB_EEDaSZ_S10_SG_SL_EUlSZ_E_NS1_11comp_targetILNS1_3genE8ELNS1_11target_archE1030ELNS1_3gpuE2ELNS1_3repE0EEENS1_47radix_sort_onesweep_sort_config_static_selectorELNS0_4arch9wavefront6targetE1EEEvSG_
    .private_segment_fixed_size: 0
    .sgpr_count:     4
    .sgpr_spill_count: 0
    .symbol:         _ZN7rocprim17ROCPRIM_400000_NS6detail17trampoline_kernelINS0_14default_configENS1_35radix_sort_onesweep_config_selectorIalEEZZNS1_29radix_sort_onesweep_iterationIS3_Lb0EPaS7_N6thrust23THRUST_200600_302600_NS10device_ptrIlEESB_jNS0_19identity_decomposerENS1_16block_id_wrapperIjLb1EEEEE10hipError_tT1_PNSt15iterator_traitsISG_E10value_typeET2_T3_PNSH_ISM_E10value_typeET4_T5_PSR_SS_PNS1_23onesweep_lookback_stateEbbT6_jjT7_P12ihipStream_tbENKUlT_T0_SG_SL_E_clIS7_S7_SB_SB_EEDaSZ_S10_SG_SL_EUlSZ_E_NS1_11comp_targetILNS1_3genE8ELNS1_11target_archE1030ELNS1_3gpuE2ELNS1_3repE0EEENS1_47radix_sort_onesweep_sort_config_static_selectorELNS0_4arch9wavefront6targetE1EEEvSG_.kd
    .uniform_work_group_size: 1
    .uses_dynamic_stack: false
    .vgpr_count:     0
    .vgpr_spill_count: 0
    .wavefront_size: 64
  - .args:
      - .offset:         0
        .size:           88
        .value_kind:     by_value
    .group_segment_fixed_size: 0
    .kernarg_segment_align: 8
    .kernarg_segment_size: 88
    .language:       OpenCL C
    .language_version:
      - 2
      - 0
    .max_flat_workgroup_size: 1024
    .name:           _ZN7rocprim17ROCPRIM_400000_NS6detail17trampoline_kernelINS0_14default_configENS1_35radix_sort_onesweep_config_selectorIalEEZZNS1_29radix_sort_onesweep_iterationIS3_Lb0EPaS7_N6thrust23THRUST_200600_302600_NS10device_ptrIlEESB_jNS0_19identity_decomposerENS1_16block_id_wrapperIjLb1EEEEE10hipError_tT1_PNSt15iterator_traitsISG_E10value_typeET2_T3_PNSH_ISM_E10value_typeET4_T5_PSR_SS_PNS1_23onesweep_lookback_stateEbbT6_jjT7_P12ihipStream_tbENKUlT_T0_SG_SL_E_clIS7_S7_SB_PlEEDaSZ_S10_SG_SL_EUlSZ_E_NS1_11comp_targetILNS1_3genE0ELNS1_11target_archE4294967295ELNS1_3gpuE0ELNS1_3repE0EEENS1_47radix_sort_onesweep_sort_config_static_selectorELNS0_4arch9wavefront6targetE1EEEvSG_
    .private_segment_fixed_size: 0
    .sgpr_count:     4
    .sgpr_spill_count: 0
    .symbol:         _ZN7rocprim17ROCPRIM_400000_NS6detail17trampoline_kernelINS0_14default_configENS1_35radix_sort_onesweep_config_selectorIalEEZZNS1_29radix_sort_onesweep_iterationIS3_Lb0EPaS7_N6thrust23THRUST_200600_302600_NS10device_ptrIlEESB_jNS0_19identity_decomposerENS1_16block_id_wrapperIjLb1EEEEE10hipError_tT1_PNSt15iterator_traitsISG_E10value_typeET2_T3_PNSH_ISM_E10value_typeET4_T5_PSR_SS_PNS1_23onesweep_lookback_stateEbbT6_jjT7_P12ihipStream_tbENKUlT_T0_SG_SL_E_clIS7_S7_SB_PlEEDaSZ_S10_SG_SL_EUlSZ_E_NS1_11comp_targetILNS1_3genE0ELNS1_11target_archE4294967295ELNS1_3gpuE0ELNS1_3repE0EEENS1_47radix_sort_onesweep_sort_config_static_selectorELNS0_4arch9wavefront6targetE1EEEvSG_.kd
    .uniform_work_group_size: 1
    .uses_dynamic_stack: false
    .vgpr_count:     0
    .vgpr_spill_count: 0
    .wavefront_size: 64
  - .args:
      - .offset:         0
        .size:           88
        .value_kind:     by_value
    .group_segment_fixed_size: 0
    .kernarg_segment_align: 8
    .kernarg_segment_size: 88
    .language:       OpenCL C
    .language_version:
      - 2
      - 0
    .max_flat_workgroup_size: 1024
    .name:           _ZN7rocprim17ROCPRIM_400000_NS6detail17trampoline_kernelINS0_14default_configENS1_35radix_sort_onesweep_config_selectorIalEEZZNS1_29radix_sort_onesweep_iterationIS3_Lb0EPaS7_N6thrust23THRUST_200600_302600_NS10device_ptrIlEESB_jNS0_19identity_decomposerENS1_16block_id_wrapperIjLb1EEEEE10hipError_tT1_PNSt15iterator_traitsISG_E10value_typeET2_T3_PNSH_ISM_E10value_typeET4_T5_PSR_SS_PNS1_23onesweep_lookback_stateEbbT6_jjT7_P12ihipStream_tbENKUlT_T0_SG_SL_E_clIS7_S7_SB_PlEEDaSZ_S10_SG_SL_EUlSZ_E_NS1_11comp_targetILNS1_3genE6ELNS1_11target_archE950ELNS1_3gpuE13ELNS1_3repE0EEENS1_47radix_sort_onesweep_sort_config_static_selectorELNS0_4arch9wavefront6targetE1EEEvSG_
    .private_segment_fixed_size: 0
    .sgpr_count:     4
    .sgpr_spill_count: 0
    .symbol:         _ZN7rocprim17ROCPRIM_400000_NS6detail17trampoline_kernelINS0_14default_configENS1_35radix_sort_onesweep_config_selectorIalEEZZNS1_29radix_sort_onesweep_iterationIS3_Lb0EPaS7_N6thrust23THRUST_200600_302600_NS10device_ptrIlEESB_jNS0_19identity_decomposerENS1_16block_id_wrapperIjLb1EEEEE10hipError_tT1_PNSt15iterator_traitsISG_E10value_typeET2_T3_PNSH_ISM_E10value_typeET4_T5_PSR_SS_PNS1_23onesweep_lookback_stateEbbT6_jjT7_P12ihipStream_tbENKUlT_T0_SG_SL_E_clIS7_S7_SB_PlEEDaSZ_S10_SG_SL_EUlSZ_E_NS1_11comp_targetILNS1_3genE6ELNS1_11target_archE950ELNS1_3gpuE13ELNS1_3repE0EEENS1_47radix_sort_onesweep_sort_config_static_selectorELNS0_4arch9wavefront6targetE1EEEvSG_.kd
    .uniform_work_group_size: 1
    .uses_dynamic_stack: false
    .vgpr_count:     0
    .vgpr_spill_count: 0
    .wavefront_size: 64
  - .args:
      - .offset:         0
        .size:           88
        .value_kind:     by_value
    .group_segment_fixed_size: 0
    .kernarg_segment_align: 8
    .kernarg_segment_size: 88
    .language:       OpenCL C
    .language_version:
      - 2
      - 0
    .max_flat_workgroup_size: 1024
    .name:           _ZN7rocprim17ROCPRIM_400000_NS6detail17trampoline_kernelINS0_14default_configENS1_35radix_sort_onesweep_config_selectorIalEEZZNS1_29radix_sort_onesweep_iterationIS3_Lb0EPaS7_N6thrust23THRUST_200600_302600_NS10device_ptrIlEESB_jNS0_19identity_decomposerENS1_16block_id_wrapperIjLb1EEEEE10hipError_tT1_PNSt15iterator_traitsISG_E10value_typeET2_T3_PNSH_ISM_E10value_typeET4_T5_PSR_SS_PNS1_23onesweep_lookback_stateEbbT6_jjT7_P12ihipStream_tbENKUlT_T0_SG_SL_E_clIS7_S7_SB_PlEEDaSZ_S10_SG_SL_EUlSZ_E_NS1_11comp_targetILNS1_3genE5ELNS1_11target_archE942ELNS1_3gpuE9ELNS1_3repE0EEENS1_47radix_sort_onesweep_sort_config_static_selectorELNS0_4arch9wavefront6targetE1EEEvSG_
    .private_segment_fixed_size: 0
    .sgpr_count:     4
    .sgpr_spill_count: 0
    .symbol:         _ZN7rocprim17ROCPRIM_400000_NS6detail17trampoline_kernelINS0_14default_configENS1_35radix_sort_onesweep_config_selectorIalEEZZNS1_29radix_sort_onesweep_iterationIS3_Lb0EPaS7_N6thrust23THRUST_200600_302600_NS10device_ptrIlEESB_jNS0_19identity_decomposerENS1_16block_id_wrapperIjLb1EEEEE10hipError_tT1_PNSt15iterator_traitsISG_E10value_typeET2_T3_PNSH_ISM_E10value_typeET4_T5_PSR_SS_PNS1_23onesweep_lookback_stateEbbT6_jjT7_P12ihipStream_tbENKUlT_T0_SG_SL_E_clIS7_S7_SB_PlEEDaSZ_S10_SG_SL_EUlSZ_E_NS1_11comp_targetILNS1_3genE5ELNS1_11target_archE942ELNS1_3gpuE9ELNS1_3repE0EEENS1_47radix_sort_onesweep_sort_config_static_selectorELNS0_4arch9wavefront6targetE1EEEvSG_.kd
    .uniform_work_group_size: 1
    .uses_dynamic_stack: false
    .vgpr_count:     0
    .vgpr_spill_count: 0
    .wavefront_size: 64
  - .args:
      - .offset:         0
        .size:           88
        .value_kind:     by_value
      - .offset:         88
        .size:           4
        .value_kind:     hidden_block_count_x
      - .offset:         92
        .size:           4
        .value_kind:     hidden_block_count_y
      - .offset:         96
        .size:           4
        .value_kind:     hidden_block_count_z
      - .offset:         100
        .size:           2
        .value_kind:     hidden_group_size_x
      - .offset:         102
        .size:           2
        .value_kind:     hidden_group_size_y
      - .offset:         104
        .size:           2
        .value_kind:     hidden_group_size_z
      - .offset:         106
        .size:           2
        .value_kind:     hidden_remainder_x
      - .offset:         108
        .size:           2
        .value_kind:     hidden_remainder_y
      - .offset:         110
        .size:           2
        .value_kind:     hidden_remainder_z
      - .offset:         128
        .size:           8
        .value_kind:     hidden_global_offset_x
      - .offset:         136
        .size:           8
        .value_kind:     hidden_global_offset_y
      - .offset:         144
        .size:           8
        .value_kind:     hidden_global_offset_z
      - .offset:         152
        .size:           2
        .value_kind:     hidden_grid_dims
    .group_segment_fixed_size: 10280
    .kernarg_segment_align: 8
    .kernarg_segment_size: 344
    .language:       OpenCL C
    .language_version:
      - 2
      - 0
    .max_flat_workgroup_size: 512
    .name:           _ZN7rocprim17ROCPRIM_400000_NS6detail17trampoline_kernelINS0_14default_configENS1_35radix_sort_onesweep_config_selectorIalEEZZNS1_29radix_sort_onesweep_iterationIS3_Lb0EPaS7_N6thrust23THRUST_200600_302600_NS10device_ptrIlEESB_jNS0_19identity_decomposerENS1_16block_id_wrapperIjLb1EEEEE10hipError_tT1_PNSt15iterator_traitsISG_E10value_typeET2_T3_PNSH_ISM_E10value_typeET4_T5_PSR_SS_PNS1_23onesweep_lookback_stateEbbT6_jjT7_P12ihipStream_tbENKUlT_T0_SG_SL_E_clIS7_S7_SB_PlEEDaSZ_S10_SG_SL_EUlSZ_E_NS1_11comp_targetILNS1_3genE2ELNS1_11target_archE906ELNS1_3gpuE6ELNS1_3repE0EEENS1_47radix_sort_onesweep_sort_config_static_selectorELNS0_4arch9wavefront6targetE1EEEvSG_
    .private_segment_fixed_size: 32
    .sgpr_count:     60
    .sgpr_spill_count: 0
    .symbol:         _ZN7rocprim17ROCPRIM_400000_NS6detail17trampoline_kernelINS0_14default_configENS1_35radix_sort_onesweep_config_selectorIalEEZZNS1_29radix_sort_onesweep_iterationIS3_Lb0EPaS7_N6thrust23THRUST_200600_302600_NS10device_ptrIlEESB_jNS0_19identity_decomposerENS1_16block_id_wrapperIjLb1EEEEE10hipError_tT1_PNSt15iterator_traitsISG_E10value_typeET2_T3_PNSH_ISM_E10value_typeET4_T5_PSR_SS_PNS1_23onesweep_lookback_stateEbbT6_jjT7_P12ihipStream_tbENKUlT_T0_SG_SL_E_clIS7_S7_SB_PlEEDaSZ_S10_SG_SL_EUlSZ_E_NS1_11comp_targetILNS1_3genE2ELNS1_11target_archE906ELNS1_3gpuE6ELNS1_3repE0EEENS1_47radix_sort_onesweep_sort_config_static_selectorELNS0_4arch9wavefront6targetE1EEEvSG_.kd
    .uniform_work_group_size: 1
    .uses_dynamic_stack: false
    .vgpr_count:     41
    .vgpr_spill_count: 0
    .wavefront_size: 64
  - .args:
      - .offset:         0
        .size:           88
        .value_kind:     by_value
    .group_segment_fixed_size: 0
    .kernarg_segment_align: 8
    .kernarg_segment_size: 88
    .language:       OpenCL C
    .language_version:
      - 2
      - 0
    .max_flat_workgroup_size: 1024
    .name:           _ZN7rocprim17ROCPRIM_400000_NS6detail17trampoline_kernelINS0_14default_configENS1_35radix_sort_onesweep_config_selectorIalEEZZNS1_29radix_sort_onesweep_iterationIS3_Lb0EPaS7_N6thrust23THRUST_200600_302600_NS10device_ptrIlEESB_jNS0_19identity_decomposerENS1_16block_id_wrapperIjLb1EEEEE10hipError_tT1_PNSt15iterator_traitsISG_E10value_typeET2_T3_PNSH_ISM_E10value_typeET4_T5_PSR_SS_PNS1_23onesweep_lookback_stateEbbT6_jjT7_P12ihipStream_tbENKUlT_T0_SG_SL_E_clIS7_S7_SB_PlEEDaSZ_S10_SG_SL_EUlSZ_E_NS1_11comp_targetILNS1_3genE4ELNS1_11target_archE910ELNS1_3gpuE8ELNS1_3repE0EEENS1_47radix_sort_onesweep_sort_config_static_selectorELNS0_4arch9wavefront6targetE1EEEvSG_
    .private_segment_fixed_size: 0
    .sgpr_count:     4
    .sgpr_spill_count: 0
    .symbol:         _ZN7rocprim17ROCPRIM_400000_NS6detail17trampoline_kernelINS0_14default_configENS1_35radix_sort_onesweep_config_selectorIalEEZZNS1_29radix_sort_onesweep_iterationIS3_Lb0EPaS7_N6thrust23THRUST_200600_302600_NS10device_ptrIlEESB_jNS0_19identity_decomposerENS1_16block_id_wrapperIjLb1EEEEE10hipError_tT1_PNSt15iterator_traitsISG_E10value_typeET2_T3_PNSH_ISM_E10value_typeET4_T5_PSR_SS_PNS1_23onesweep_lookback_stateEbbT6_jjT7_P12ihipStream_tbENKUlT_T0_SG_SL_E_clIS7_S7_SB_PlEEDaSZ_S10_SG_SL_EUlSZ_E_NS1_11comp_targetILNS1_3genE4ELNS1_11target_archE910ELNS1_3gpuE8ELNS1_3repE0EEENS1_47radix_sort_onesweep_sort_config_static_selectorELNS0_4arch9wavefront6targetE1EEEvSG_.kd
    .uniform_work_group_size: 1
    .uses_dynamic_stack: false
    .vgpr_count:     0
    .vgpr_spill_count: 0
    .wavefront_size: 64
  - .args:
      - .offset:         0
        .size:           88
        .value_kind:     by_value
    .group_segment_fixed_size: 0
    .kernarg_segment_align: 8
    .kernarg_segment_size: 88
    .language:       OpenCL C
    .language_version:
      - 2
      - 0
    .max_flat_workgroup_size: 1024
    .name:           _ZN7rocprim17ROCPRIM_400000_NS6detail17trampoline_kernelINS0_14default_configENS1_35radix_sort_onesweep_config_selectorIalEEZZNS1_29radix_sort_onesweep_iterationIS3_Lb0EPaS7_N6thrust23THRUST_200600_302600_NS10device_ptrIlEESB_jNS0_19identity_decomposerENS1_16block_id_wrapperIjLb1EEEEE10hipError_tT1_PNSt15iterator_traitsISG_E10value_typeET2_T3_PNSH_ISM_E10value_typeET4_T5_PSR_SS_PNS1_23onesweep_lookback_stateEbbT6_jjT7_P12ihipStream_tbENKUlT_T0_SG_SL_E_clIS7_S7_SB_PlEEDaSZ_S10_SG_SL_EUlSZ_E_NS1_11comp_targetILNS1_3genE3ELNS1_11target_archE908ELNS1_3gpuE7ELNS1_3repE0EEENS1_47radix_sort_onesweep_sort_config_static_selectorELNS0_4arch9wavefront6targetE1EEEvSG_
    .private_segment_fixed_size: 0
    .sgpr_count:     4
    .sgpr_spill_count: 0
    .symbol:         _ZN7rocprim17ROCPRIM_400000_NS6detail17trampoline_kernelINS0_14default_configENS1_35radix_sort_onesweep_config_selectorIalEEZZNS1_29radix_sort_onesweep_iterationIS3_Lb0EPaS7_N6thrust23THRUST_200600_302600_NS10device_ptrIlEESB_jNS0_19identity_decomposerENS1_16block_id_wrapperIjLb1EEEEE10hipError_tT1_PNSt15iterator_traitsISG_E10value_typeET2_T3_PNSH_ISM_E10value_typeET4_T5_PSR_SS_PNS1_23onesweep_lookback_stateEbbT6_jjT7_P12ihipStream_tbENKUlT_T0_SG_SL_E_clIS7_S7_SB_PlEEDaSZ_S10_SG_SL_EUlSZ_E_NS1_11comp_targetILNS1_3genE3ELNS1_11target_archE908ELNS1_3gpuE7ELNS1_3repE0EEENS1_47radix_sort_onesweep_sort_config_static_selectorELNS0_4arch9wavefront6targetE1EEEvSG_.kd
    .uniform_work_group_size: 1
    .uses_dynamic_stack: false
    .vgpr_count:     0
    .vgpr_spill_count: 0
    .wavefront_size: 64
  - .args:
      - .offset:         0
        .size:           88
        .value_kind:     by_value
    .group_segment_fixed_size: 0
    .kernarg_segment_align: 8
    .kernarg_segment_size: 88
    .language:       OpenCL C
    .language_version:
      - 2
      - 0
    .max_flat_workgroup_size: 1024
    .name:           _ZN7rocprim17ROCPRIM_400000_NS6detail17trampoline_kernelINS0_14default_configENS1_35radix_sort_onesweep_config_selectorIalEEZZNS1_29radix_sort_onesweep_iterationIS3_Lb0EPaS7_N6thrust23THRUST_200600_302600_NS10device_ptrIlEESB_jNS0_19identity_decomposerENS1_16block_id_wrapperIjLb1EEEEE10hipError_tT1_PNSt15iterator_traitsISG_E10value_typeET2_T3_PNSH_ISM_E10value_typeET4_T5_PSR_SS_PNS1_23onesweep_lookback_stateEbbT6_jjT7_P12ihipStream_tbENKUlT_T0_SG_SL_E_clIS7_S7_SB_PlEEDaSZ_S10_SG_SL_EUlSZ_E_NS1_11comp_targetILNS1_3genE10ELNS1_11target_archE1201ELNS1_3gpuE5ELNS1_3repE0EEENS1_47radix_sort_onesweep_sort_config_static_selectorELNS0_4arch9wavefront6targetE1EEEvSG_
    .private_segment_fixed_size: 0
    .sgpr_count:     4
    .sgpr_spill_count: 0
    .symbol:         _ZN7rocprim17ROCPRIM_400000_NS6detail17trampoline_kernelINS0_14default_configENS1_35radix_sort_onesweep_config_selectorIalEEZZNS1_29radix_sort_onesweep_iterationIS3_Lb0EPaS7_N6thrust23THRUST_200600_302600_NS10device_ptrIlEESB_jNS0_19identity_decomposerENS1_16block_id_wrapperIjLb1EEEEE10hipError_tT1_PNSt15iterator_traitsISG_E10value_typeET2_T3_PNSH_ISM_E10value_typeET4_T5_PSR_SS_PNS1_23onesweep_lookback_stateEbbT6_jjT7_P12ihipStream_tbENKUlT_T0_SG_SL_E_clIS7_S7_SB_PlEEDaSZ_S10_SG_SL_EUlSZ_E_NS1_11comp_targetILNS1_3genE10ELNS1_11target_archE1201ELNS1_3gpuE5ELNS1_3repE0EEENS1_47radix_sort_onesweep_sort_config_static_selectorELNS0_4arch9wavefront6targetE1EEEvSG_.kd
    .uniform_work_group_size: 1
    .uses_dynamic_stack: false
    .vgpr_count:     0
    .vgpr_spill_count: 0
    .wavefront_size: 64
  - .args:
      - .offset:         0
        .size:           88
        .value_kind:     by_value
    .group_segment_fixed_size: 0
    .kernarg_segment_align: 8
    .kernarg_segment_size: 88
    .language:       OpenCL C
    .language_version:
      - 2
      - 0
    .max_flat_workgroup_size: 1024
    .name:           _ZN7rocprim17ROCPRIM_400000_NS6detail17trampoline_kernelINS0_14default_configENS1_35radix_sort_onesweep_config_selectorIalEEZZNS1_29radix_sort_onesweep_iterationIS3_Lb0EPaS7_N6thrust23THRUST_200600_302600_NS10device_ptrIlEESB_jNS0_19identity_decomposerENS1_16block_id_wrapperIjLb1EEEEE10hipError_tT1_PNSt15iterator_traitsISG_E10value_typeET2_T3_PNSH_ISM_E10value_typeET4_T5_PSR_SS_PNS1_23onesweep_lookback_stateEbbT6_jjT7_P12ihipStream_tbENKUlT_T0_SG_SL_E_clIS7_S7_SB_PlEEDaSZ_S10_SG_SL_EUlSZ_E_NS1_11comp_targetILNS1_3genE9ELNS1_11target_archE1100ELNS1_3gpuE3ELNS1_3repE0EEENS1_47radix_sort_onesweep_sort_config_static_selectorELNS0_4arch9wavefront6targetE1EEEvSG_
    .private_segment_fixed_size: 0
    .sgpr_count:     4
    .sgpr_spill_count: 0
    .symbol:         _ZN7rocprim17ROCPRIM_400000_NS6detail17trampoline_kernelINS0_14default_configENS1_35radix_sort_onesweep_config_selectorIalEEZZNS1_29radix_sort_onesweep_iterationIS3_Lb0EPaS7_N6thrust23THRUST_200600_302600_NS10device_ptrIlEESB_jNS0_19identity_decomposerENS1_16block_id_wrapperIjLb1EEEEE10hipError_tT1_PNSt15iterator_traitsISG_E10value_typeET2_T3_PNSH_ISM_E10value_typeET4_T5_PSR_SS_PNS1_23onesweep_lookback_stateEbbT6_jjT7_P12ihipStream_tbENKUlT_T0_SG_SL_E_clIS7_S7_SB_PlEEDaSZ_S10_SG_SL_EUlSZ_E_NS1_11comp_targetILNS1_3genE9ELNS1_11target_archE1100ELNS1_3gpuE3ELNS1_3repE0EEENS1_47radix_sort_onesweep_sort_config_static_selectorELNS0_4arch9wavefront6targetE1EEEvSG_.kd
    .uniform_work_group_size: 1
    .uses_dynamic_stack: false
    .vgpr_count:     0
    .vgpr_spill_count: 0
    .wavefront_size: 64
  - .args:
      - .offset:         0
        .size:           88
        .value_kind:     by_value
    .group_segment_fixed_size: 0
    .kernarg_segment_align: 8
    .kernarg_segment_size: 88
    .language:       OpenCL C
    .language_version:
      - 2
      - 0
    .max_flat_workgroup_size: 1024
    .name:           _ZN7rocprim17ROCPRIM_400000_NS6detail17trampoline_kernelINS0_14default_configENS1_35radix_sort_onesweep_config_selectorIalEEZZNS1_29radix_sort_onesweep_iterationIS3_Lb0EPaS7_N6thrust23THRUST_200600_302600_NS10device_ptrIlEESB_jNS0_19identity_decomposerENS1_16block_id_wrapperIjLb1EEEEE10hipError_tT1_PNSt15iterator_traitsISG_E10value_typeET2_T3_PNSH_ISM_E10value_typeET4_T5_PSR_SS_PNS1_23onesweep_lookback_stateEbbT6_jjT7_P12ihipStream_tbENKUlT_T0_SG_SL_E_clIS7_S7_SB_PlEEDaSZ_S10_SG_SL_EUlSZ_E_NS1_11comp_targetILNS1_3genE8ELNS1_11target_archE1030ELNS1_3gpuE2ELNS1_3repE0EEENS1_47radix_sort_onesweep_sort_config_static_selectorELNS0_4arch9wavefront6targetE1EEEvSG_
    .private_segment_fixed_size: 0
    .sgpr_count:     4
    .sgpr_spill_count: 0
    .symbol:         _ZN7rocprim17ROCPRIM_400000_NS6detail17trampoline_kernelINS0_14default_configENS1_35radix_sort_onesweep_config_selectorIalEEZZNS1_29radix_sort_onesweep_iterationIS3_Lb0EPaS7_N6thrust23THRUST_200600_302600_NS10device_ptrIlEESB_jNS0_19identity_decomposerENS1_16block_id_wrapperIjLb1EEEEE10hipError_tT1_PNSt15iterator_traitsISG_E10value_typeET2_T3_PNSH_ISM_E10value_typeET4_T5_PSR_SS_PNS1_23onesweep_lookback_stateEbbT6_jjT7_P12ihipStream_tbENKUlT_T0_SG_SL_E_clIS7_S7_SB_PlEEDaSZ_S10_SG_SL_EUlSZ_E_NS1_11comp_targetILNS1_3genE8ELNS1_11target_archE1030ELNS1_3gpuE2ELNS1_3repE0EEENS1_47radix_sort_onesweep_sort_config_static_selectorELNS0_4arch9wavefront6targetE1EEEvSG_.kd
    .uniform_work_group_size: 1
    .uses_dynamic_stack: false
    .vgpr_count:     0
    .vgpr_spill_count: 0
    .wavefront_size: 64
  - .args:
      - .offset:         0
        .size:           88
        .value_kind:     by_value
    .group_segment_fixed_size: 0
    .kernarg_segment_align: 8
    .kernarg_segment_size: 88
    .language:       OpenCL C
    .language_version:
      - 2
      - 0
    .max_flat_workgroup_size: 1024
    .name:           _ZN7rocprim17ROCPRIM_400000_NS6detail17trampoline_kernelINS0_14default_configENS1_35radix_sort_onesweep_config_selectorIalEEZZNS1_29radix_sort_onesweep_iterationIS3_Lb0EPaS7_N6thrust23THRUST_200600_302600_NS10device_ptrIlEESB_jNS0_19identity_decomposerENS1_16block_id_wrapperIjLb1EEEEE10hipError_tT1_PNSt15iterator_traitsISG_E10value_typeET2_T3_PNSH_ISM_E10value_typeET4_T5_PSR_SS_PNS1_23onesweep_lookback_stateEbbT6_jjT7_P12ihipStream_tbENKUlT_T0_SG_SL_E_clIS7_S7_PlSB_EEDaSZ_S10_SG_SL_EUlSZ_E_NS1_11comp_targetILNS1_3genE0ELNS1_11target_archE4294967295ELNS1_3gpuE0ELNS1_3repE0EEENS1_47radix_sort_onesweep_sort_config_static_selectorELNS0_4arch9wavefront6targetE1EEEvSG_
    .private_segment_fixed_size: 0
    .sgpr_count:     4
    .sgpr_spill_count: 0
    .symbol:         _ZN7rocprim17ROCPRIM_400000_NS6detail17trampoline_kernelINS0_14default_configENS1_35radix_sort_onesweep_config_selectorIalEEZZNS1_29radix_sort_onesweep_iterationIS3_Lb0EPaS7_N6thrust23THRUST_200600_302600_NS10device_ptrIlEESB_jNS0_19identity_decomposerENS1_16block_id_wrapperIjLb1EEEEE10hipError_tT1_PNSt15iterator_traitsISG_E10value_typeET2_T3_PNSH_ISM_E10value_typeET4_T5_PSR_SS_PNS1_23onesweep_lookback_stateEbbT6_jjT7_P12ihipStream_tbENKUlT_T0_SG_SL_E_clIS7_S7_PlSB_EEDaSZ_S10_SG_SL_EUlSZ_E_NS1_11comp_targetILNS1_3genE0ELNS1_11target_archE4294967295ELNS1_3gpuE0ELNS1_3repE0EEENS1_47radix_sort_onesweep_sort_config_static_selectorELNS0_4arch9wavefront6targetE1EEEvSG_.kd
    .uniform_work_group_size: 1
    .uses_dynamic_stack: false
    .vgpr_count:     0
    .vgpr_spill_count: 0
    .wavefront_size: 64
  - .args:
      - .offset:         0
        .size:           88
        .value_kind:     by_value
    .group_segment_fixed_size: 0
    .kernarg_segment_align: 8
    .kernarg_segment_size: 88
    .language:       OpenCL C
    .language_version:
      - 2
      - 0
    .max_flat_workgroup_size: 1024
    .name:           _ZN7rocprim17ROCPRIM_400000_NS6detail17trampoline_kernelINS0_14default_configENS1_35radix_sort_onesweep_config_selectorIalEEZZNS1_29radix_sort_onesweep_iterationIS3_Lb0EPaS7_N6thrust23THRUST_200600_302600_NS10device_ptrIlEESB_jNS0_19identity_decomposerENS1_16block_id_wrapperIjLb1EEEEE10hipError_tT1_PNSt15iterator_traitsISG_E10value_typeET2_T3_PNSH_ISM_E10value_typeET4_T5_PSR_SS_PNS1_23onesweep_lookback_stateEbbT6_jjT7_P12ihipStream_tbENKUlT_T0_SG_SL_E_clIS7_S7_PlSB_EEDaSZ_S10_SG_SL_EUlSZ_E_NS1_11comp_targetILNS1_3genE6ELNS1_11target_archE950ELNS1_3gpuE13ELNS1_3repE0EEENS1_47radix_sort_onesweep_sort_config_static_selectorELNS0_4arch9wavefront6targetE1EEEvSG_
    .private_segment_fixed_size: 0
    .sgpr_count:     4
    .sgpr_spill_count: 0
    .symbol:         _ZN7rocprim17ROCPRIM_400000_NS6detail17trampoline_kernelINS0_14default_configENS1_35radix_sort_onesweep_config_selectorIalEEZZNS1_29radix_sort_onesweep_iterationIS3_Lb0EPaS7_N6thrust23THRUST_200600_302600_NS10device_ptrIlEESB_jNS0_19identity_decomposerENS1_16block_id_wrapperIjLb1EEEEE10hipError_tT1_PNSt15iterator_traitsISG_E10value_typeET2_T3_PNSH_ISM_E10value_typeET4_T5_PSR_SS_PNS1_23onesweep_lookback_stateEbbT6_jjT7_P12ihipStream_tbENKUlT_T0_SG_SL_E_clIS7_S7_PlSB_EEDaSZ_S10_SG_SL_EUlSZ_E_NS1_11comp_targetILNS1_3genE6ELNS1_11target_archE950ELNS1_3gpuE13ELNS1_3repE0EEENS1_47radix_sort_onesweep_sort_config_static_selectorELNS0_4arch9wavefront6targetE1EEEvSG_.kd
    .uniform_work_group_size: 1
    .uses_dynamic_stack: false
    .vgpr_count:     0
    .vgpr_spill_count: 0
    .wavefront_size: 64
  - .args:
      - .offset:         0
        .size:           88
        .value_kind:     by_value
    .group_segment_fixed_size: 0
    .kernarg_segment_align: 8
    .kernarg_segment_size: 88
    .language:       OpenCL C
    .language_version:
      - 2
      - 0
    .max_flat_workgroup_size: 1024
    .name:           _ZN7rocprim17ROCPRIM_400000_NS6detail17trampoline_kernelINS0_14default_configENS1_35radix_sort_onesweep_config_selectorIalEEZZNS1_29radix_sort_onesweep_iterationIS3_Lb0EPaS7_N6thrust23THRUST_200600_302600_NS10device_ptrIlEESB_jNS0_19identity_decomposerENS1_16block_id_wrapperIjLb1EEEEE10hipError_tT1_PNSt15iterator_traitsISG_E10value_typeET2_T3_PNSH_ISM_E10value_typeET4_T5_PSR_SS_PNS1_23onesweep_lookback_stateEbbT6_jjT7_P12ihipStream_tbENKUlT_T0_SG_SL_E_clIS7_S7_PlSB_EEDaSZ_S10_SG_SL_EUlSZ_E_NS1_11comp_targetILNS1_3genE5ELNS1_11target_archE942ELNS1_3gpuE9ELNS1_3repE0EEENS1_47radix_sort_onesweep_sort_config_static_selectorELNS0_4arch9wavefront6targetE1EEEvSG_
    .private_segment_fixed_size: 0
    .sgpr_count:     4
    .sgpr_spill_count: 0
    .symbol:         _ZN7rocprim17ROCPRIM_400000_NS6detail17trampoline_kernelINS0_14default_configENS1_35radix_sort_onesweep_config_selectorIalEEZZNS1_29radix_sort_onesweep_iterationIS3_Lb0EPaS7_N6thrust23THRUST_200600_302600_NS10device_ptrIlEESB_jNS0_19identity_decomposerENS1_16block_id_wrapperIjLb1EEEEE10hipError_tT1_PNSt15iterator_traitsISG_E10value_typeET2_T3_PNSH_ISM_E10value_typeET4_T5_PSR_SS_PNS1_23onesweep_lookback_stateEbbT6_jjT7_P12ihipStream_tbENKUlT_T0_SG_SL_E_clIS7_S7_PlSB_EEDaSZ_S10_SG_SL_EUlSZ_E_NS1_11comp_targetILNS1_3genE5ELNS1_11target_archE942ELNS1_3gpuE9ELNS1_3repE0EEENS1_47radix_sort_onesweep_sort_config_static_selectorELNS0_4arch9wavefront6targetE1EEEvSG_.kd
    .uniform_work_group_size: 1
    .uses_dynamic_stack: false
    .vgpr_count:     0
    .vgpr_spill_count: 0
    .wavefront_size: 64
  - .args:
      - .offset:         0
        .size:           88
        .value_kind:     by_value
      - .offset:         88
        .size:           4
        .value_kind:     hidden_block_count_x
      - .offset:         92
        .size:           4
        .value_kind:     hidden_block_count_y
      - .offset:         96
        .size:           4
        .value_kind:     hidden_block_count_z
      - .offset:         100
        .size:           2
        .value_kind:     hidden_group_size_x
      - .offset:         102
        .size:           2
        .value_kind:     hidden_group_size_y
      - .offset:         104
        .size:           2
        .value_kind:     hidden_group_size_z
      - .offset:         106
        .size:           2
        .value_kind:     hidden_remainder_x
      - .offset:         108
        .size:           2
        .value_kind:     hidden_remainder_y
      - .offset:         110
        .size:           2
        .value_kind:     hidden_remainder_z
      - .offset:         128
        .size:           8
        .value_kind:     hidden_global_offset_x
      - .offset:         136
        .size:           8
        .value_kind:     hidden_global_offset_y
      - .offset:         144
        .size:           8
        .value_kind:     hidden_global_offset_z
      - .offset:         152
        .size:           2
        .value_kind:     hidden_grid_dims
    .group_segment_fixed_size: 10280
    .kernarg_segment_align: 8
    .kernarg_segment_size: 344
    .language:       OpenCL C
    .language_version:
      - 2
      - 0
    .max_flat_workgroup_size: 512
    .name:           _ZN7rocprim17ROCPRIM_400000_NS6detail17trampoline_kernelINS0_14default_configENS1_35radix_sort_onesweep_config_selectorIalEEZZNS1_29radix_sort_onesweep_iterationIS3_Lb0EPaS7_N6thrust23THRUST_200600_302600_NS10device_ptrIlEESB_jNS0_19identity_decomposerENS1_16block_id_wrapperIjLb1EEEEE10hipError_tT1_PNSt15iterator_traitsISG_E10value_typeET2_T3_PNSH_ISM_E10value_typeET4_T5_PSR_SS_PNS1_23onesweep_lookback_stateEbbT6_jjT7_P12ihipStream_tbENKUlT_T0_SG_SL_E_clIS7_S7_PlSB_EEDaSZ_S10_SG_SL_EUlSZ_E_NS1_11comp_targetILNS1_3genE2ELNS1_11target_archE906ELNS1_3gpuE6ELNS1_3repE0EEENS1_47radix_sort_onesweep_sort_config_static_selectorELNS0_4arch9wavefront6targetE1EEEvSG_
    .private_segment_fixed_size: 32
    .sgpr_count:     60
    .sgpr_spill_count: 0
    .symbol:         _ZN7rocprim17ROCPRIM_400000_NS6detail17trampoline_kernelINS0_14default_configENS1_35radix_sort_onesweep_config_selectorIalEEZZNS1_29radix_sort_onesweep_iterationIS3_Lb0EPaS7_N6thrust23THRUST_200600_302600_NS10device_ptrIlEESB_jNS0_19identity_decomposerENS1_16block_id_wrapperIjLb1EEEEE10hipError_tT1_PNSt15iterator_traitsISG_E10value_typeET2_T3_PNSH_ISM_E10value_typeET4_T5_PSR_SS_PNS1_23onesweep_lookback_stateEbbT6_jjT7_P12ihipStream_tbENKUlT_T0_SG_SL_E_clIS7_S7_PlSB_EEDaSZ_S10_SG_SL_EUlSZ_E_NS1_11comp_targetILNS1_3genE2ELNS1_11target_archE906ELNS1_3gpuE6ELNS1_3repE0EEENS1_47radix_sort_onesweep_sort_config_static_selectorELNS0_4arch9wavefront6targetE1EEEvSG_.kd
    .uniform_work_group_size: 1
    .uses_dynamic_stack: false
    .vgpr_count:     41
    .vgpr_spill_count: 0
    .wavefront_size: 64
  - .args:
      - .offset:         0
        .size:           88
        .value_kind:     by_value
    .group_segment_fixed_size: 0
    .kernarg_segment_align: 8
    .kernarg_segment_size: 88
    .language:       OpenCL C
    .language_version:
      - 2
      - 0
    .max_flat_workgroup_size: 1024
    .name:           _ZN7rocprim17ROCPRIM_400000_NS6detail17trampoline_kernelINS0_14default_configENS1_35radix_sort_onesweep_config_selectorIalEEZZNS1_29radix_sort_onesweep_iterationIS3_Lb0EPaS7_N6thrust23THRUST_200600_302600_NS10device_ptrIlEESB_jNS0_19identity_decomposerENS1_16block_id_wrapperIjLb1EEEEE10hipError_tT1_PNSt15iterator_traitsISG_E10value_typeET2_T3_PNSH_ISM_E10value_typeET4_T5_PSR_SS_PNS1_23onesweep_lookback_stateEbbT6_jjT7_P12ihipStream_tbENKUlT_T0_SG_SL_E_clIS7_S7_PlSB_EEDaSZ_S10_SG_SL_EUlSZ_E_NS1_11comp_targetILNS1_3genE4ELNS1_11target_archE910ELNS1_3gpuE8ELNS1_3repE0EEENS1_47radix_sort_onesweep_sort_config_static_selectorELNS0_4arch9wavefront6targetE1EEEvSG_
    .private_segment_fixed_size: 0
    .sgpr_count:     4
    .sgpr_spill_count: 0
    .symbol:         _ZN7rocprim17ROCPRIM_400000_NS6detail17trampoline_kernelINS0_14default_configENS1_35radix_sort_onesweep_config_selectorIalEEZZNS1_29radix_sort_onesweep_iterationIS3_Lb0EPaS7_N6thrust23THRUST_200600_302600_NS10device_ptrIlEESB_jNS0_19identity_decomposerENS1_16block_id_wrapperIjLb1EEEEE10hipError_tT1_PNSt15iterator_traitsISG_E10value_typeET2_T3_PNSH_ISM_E10value_typeET4_T5_PSR_SS_PNS1_23onesweep_lookback_stateEbbT6_jjT7_P12ihipStream_tbENKUlT_T0_SG_SL_E_clIS7_S7_PlSB_EEDaSZ_S10_SG_SL_EUlSZ_E_NS1_11comp_targetILNS1_3genE4ELNS1_11target_archE910ELNS1_3gpuE8ELNS1_3repE0EEENS1_47radix_sort_onesweep_sort_config_static_selectorELNS0_4arch9wavefront6targetE1EEEvSG_.kd
    .uniform_work_group_size: 1
    .uses_dynamic_stack: false
    .vgpr_count:     0
    .vgpr_spill_count: 0
    .wavefront_size: 64
  - .args:
      - .offset:         0
        .size:           88
        .value_kind:     by_value
    .group_segment_fixed_size: 0
    .kernarg_segment_align: 8
    .kernarg_segment_size: 88
    .language:       OpenCL C
    .language_version:
      - 2
      - 0
    .max_flat_workgroup_size: 1024
    .name:           _ZN7rocprim17ROCPRIM_400000_NS6detail17trampoline_kernelINS0_14default_configENS1_35radix_sort_onesweep_config_selectorIalEEZZNS1_29radix_sort_onesweep_iterationIS3_Lb0EPaS7_N6thrust23THRUST_200600_302600_NS10device_ptrIlEESB_jNS0_19identity_decomposerENS1_16block_id_wrapperIjLb1EEEEE10hipError_tT1_PNSt15iterator_traitsISG_E10value_typeET2_T3_PNSH_ISM_E10value_typeET4_T5_PSR_SS_PNS1_23onesweep_lookback_stateEbbT6_jjT7_P12ihipStream_tbENKUlT_T0_SG_SL_E_clIS7_S7_PlSB_EEDaSZ_S10_SG_SL_EUlSZ_E_NS1_11comp_targetILNS1_3genE3ELNS1_11target_archE908ELNS1_3gpuE7ELNS1_3repE0EEENS1_47radix_sort_onesweep_sort_config_static_selectorELNS0_4arch9wavefront6targetE1EEEvSG_
    .private_segment_fixed_size: 0
    .sgpr_count:     4
    .sgpr_spill_count: 0
    .symbol:         _ZN7rocprim17ROCPRIM_400000_NS6detail17trampoline_kernelINS0_14default_configENS1_35radix_sort_onesweep_config_selectorIalEEZZNS1_29radix_sort_onesweep_iterationIS3_Lb0EPaS7_N6thrust23THRUST_200600_302600_NS10device_ptrIlEESB_jNS0_19identity_decomposerENS1_16block_id_wrapperIjLb1EEEEE10hipError_tT1_PNSt15iterator_traitsISG_E10value_typeET2_T3_PNSH_ISM_E10value_typeET4_T5_PSR_SS_PNS1_23onesweep_lookback_stateEbbT6_jjT7_P12ihipStream_tbENKUlT_T0_SG_SL_E_clIS7_S7_PlSB_EEDaSZ_S10_SG_SL_EUlSZ_E_NS1_11comp_targetILNS1_3genE3ELNS1_11target_archE908ELNS1_3gpuE7ELNS1_3repE0EEENS1_47radix_sort_onesweep_sort_config_static_selectorELNS0_4arch9wavefront6targetE1EEEvSG_.kd
    .uniform_work_group_size: 1
    .uses_dynamic_stack: false
    .vgpr_count:     0
    .vgpr_spill_count: 0
    .wavefront_size: 64
  - .args:
      - .offset:         0
        .size:           88
        .value_kind:     by_value
    .group_segment_fixed_size: 0
    .kernarg_segment_align: 8
    .kernarg_segment_size: 88
    .language:       OpenCL C
    .language_version:
      - 2
      - 0
    .max_flat_workgroup_size: 1024
    .name:           _ZN7rocprim17ROCPRIM_400000_NS6detail17trampoline_kernelINS0_14default_configENS1_35radix_sort_onesweep_config_selectorIalEEZZNS1_29radix_sort_onesweep_iterationIS3_Lb0EPaS7_N6thrust23THRUST_200600_302600_NS10device_ptrIlEESB_jNS0_19identity_decomposerENS1_16block_id_wrapperIjLb1EEEEE10hipError_tT1_PNSt15iterator_traitsISG_E10value_typeET2_T3_PNSH_ISM_E10value_typeET4_T5_PSR_SS_PNS1_23onesweep_lookback_stateEbbT6_jjT7_P12ihipStream_tbENKUlT_T0_SG_SL_E_clIS7_S7_PlSB_EEDaSZ_S10_SG_SL_EUlSZ_E_NS1_11comp_targetILNS1_3genE10ELNS1_11target_archE1201ELNS1_3gpuE5ELNS1_3repE0EEENS1_47radix_sort_onesweep_sort_config_static_selectorELNS0_4arch9wavefront6targetE1EEEvSG_
    .private_segment_fixed_size: 0
    .sgpr_count:     4
    .sgpr_spill_count: 0
    .symbol:         _ZN7rocprim17ROCPRIM_400000_NS6detail17trampoline_kernelINS0_14default_configENS1_35radix_sort_onesweep_config_selectorIalEEZZNS1_29radix_sort_onesweep_iterationIS3_Lb0EPaS7_N6thrust23THRUST_200600_302600_NS10device_ptrIlEESB_jNS0_19identity_decomposerENS1_16block_id_wrapperIjLb1EEEEE10hipError_tT1_PNSt15iterator_traitsISG_E10value_typeET2_T3_PNSH_ISM_E10value_typeET4_T5_PSR_SS_PNS1_23onesweep_lookback_stateEbbT6_jjT7_P12ihipStream_tbENKUlT_T0_SG_SL_E_clIS7_S7_PlSB_EEDaSZ_S10_SG_SL_EUlSZ_E_NS1_11comp_targetILNS1_3genE10ELNS1_11target_archE1201ELNS1_3gpuE5ELNS1_3repE0EEENS1_47radix_sort_onesweep_sort_config_static_selectorELNS0_4arch9wavefront6targetE1EEEvSG_.kd
    .uniform_work_group_size: 1
    .uses_dynamic_stack: false
    .vgpr_count:     0
    .vgpr_spill_count: 0
    .wavefront_size: 64
  - .args:
      - .offset:         0
        .size:           88
        .value_kind:     by_value
    .group_segment_fixed_size: 0
    .kernarg_segment_align: 8
    .kernarg_segment_size: 88
    .language:       OpenCL C
    .language_version:
      - 2
      - 0
    .max_flat_workgroup_size: 1024
    .name:           _ZN7rocprim17ROCPRIM_400000_NS6detail17trampoline_kernelINS0_14default_configENS1_35radix_sort_onesweep_config_selectorIalEEZZNS1_29radix_sort_onesweep_iterationIS3_Lb0EPaS7_N6thrust23THRUST_200600_302600_NS10device_ptrIlEESB_jNS0_19identity_decomposerENS1_16block_id_wrapperIjLb1EEEEE10hipError_tT1_PNSt15iterator_traitsISG_E10value_typeET2_T3_PNSH_ISM_E10value_typeET4_T5_PSR_SS_PNS1_23onesweep_lookback_stateEbbT6_jjT7_P12ihipStream_tbENKUlT_T0_SG_SL_E_clIS7_S7_PlSB_EEDaSZ_S10_SG_SL_EUlSZ_E_NS1_11comp_targetILNS1_3genE9ELNS1_11target_archE1100ELNS1_3gpuE3ELNS1_3repE0EEENS1_47radix_sort_onesweep_sort_config_static_selectorELNS0_4arch9wavefront6targetE1EEEvSG_
    .private_segment_fixed_size: 0
    .sgpr_count:     4
    .sgpr_spill_count: 0
    .symbol:         _ZN7rocprim17ROCPRIM_400000_NS6detail17trampoline_kernelINS0_14default_configENS1_35radix_sort_onesweep_config_selectorIalEEZZNS1_29radix_sort_onesweep_iterationIS3_Lb0EPaS7_N6thrust23THRUST_200600_302600_NS10device_ptrIlEESB_jNS0_19identity_decomposerENS1_16block_id_wrapperIjLb1EEEEE10hipError_tT1_PNSt15iterator_traitsISG_E10value_typeET2_T3_PNSH_ISM_E10value_typeET4_T5_PSR_SS_PNS1_23onesweep_lookback_stateEbbT6_jjT7_P12ihipStream_tbENKUlT_T0_SG_SL_E_clIS7_S7_PlSB_EEDaSZ_S10_SG_SL_EUlSZ_E_NS1_11comp_targetILNS1_3genE9ELNS1_11target_archE1100ELNS1_3gpuE3ELNS1_3repE0EEENS1_47radix_sort_onesweep_sort_config_static_selectorELNS0_4arch9wavefront6targetE1EEEvSG_.kd
    .uniform_work_group_size: 1
    .uses_dynamic_stack: false
    .vgpr_count:     0
    .vgpr_spill_count: 0
    .wavefront_size: 64
  - .args:
      - .offset:         0
        .size:           88
        .value_kind:     by_value
    .group_segment_fixed_size: 0
    .kernarg_segment_align: 8
    .kernarg_segment_size: 88
    .language:       OpenCL C
    .language_version:
      - 2
      - 0
    .max_flat_workgroup_size: 1024
    .name:           _ZN7rocprim17ROCPRIM_400000_NS6detail17trampoline_kernelINS0_14default_configENS1_35radix_sort_onesweep_config_selectorIalEEZZNS1_29radix_sort_onesweep_iterationIS3_Lb0EPaS7_N6thrust23THRUST_200600_302600_NS10device_ptrIlEESB_jNS0_19identity_decomposerENS1_16block_id_wrapperIjLb1EEEEE10hipError_tT1_PNSt15iterator_traitsISG_E10value_typeET2_T3_PNSH_ISM_E10value_typeET4_T5_PSR_SS_PNS1_23onesweep_lookback_stateEbbT6_jjT7_P12ihipStream_tbENKUlT_T0_SG_SL_E_clIS7_S7_PlSB_EEDaSZ_S10_SG_SL_EUlSZ_E_NS1_11comp_targetILNS1_3genE8ELNS1_11target_archE1030ELNS1_3gpuE2ELNS1_3repE0EEENS1_47radix_sort_onesweep_sort_config_static_selectorELNS0_4arch9wavefront6targetE1EEEvSG_
    .private_segment_fixed_size: 0
    .sgpr_count:     4
    .sgpr_spill_count: 0
    .symbol:         _ZN7rocprim17ROCPRIM_400000_NS6detail17trampoline_kernelINS0_14default_configENS1_35radix_sort_onesweep_config_selectorIalEEZZNS1_29radix_sort_onesweep_iterationIS3_Lb0EPaS7_N6thrust23THRUST_200600_302600_NS10device_ptrIlEESB_jNS0_19identity_decomposerENS1_16block_id_wrapperIjLb1EEEEE10hipError_tT1_PNSt15iterator_traitsISG_E10value_typeET2_T3_PNSH_ISM_E10value_typeET4_T5_PSR_SS_PNS1_23onesweep_lookback_stateEbbT6_jjT7_P12ihipStream_tbENKUlT_T0_SG_SL_E_clIS7_S7_PlSB_EEDaSZ_S10_SG_SL_EUlSZ_E_NS1_11comp_targetILNS1_3genE8ELNS1_11target_archE1030ELNS1_3gpuE2ELNS1_3repE0EEENS1_47radix_sort_onesweep_sort_config_static_selectorELNS0_4arch9wavefront6targetE1EEEvSG_.kd
    .uniform_work_group_size: 1
    .uses_dynamic_stack: false
    .vgpr_count:     0
    .vgpr_spill_count: 0
    .wavefront_size: 64
  - .args:
      - .offset:         0
        .size:           88
        .value_kind:     by_value
    .group_segment_fixed_size: 0
    .kernarg_segment_align: 8
    .kernarg_segment_size: 88
    .language:       OpenCL C
    .language_version:
      - 2
      - 0
    .max_flat_workgroup_size: 1024
    .name:           _ZN7rocprim17ROCPRIM_400000_NS6detail17trampoline_kernelINS0_14default_configENS1_35radix_sort_onesweep_config_selectorIalEEZZNS1_29radix_sort_onesweep_iterationIS3_Lb0EPaS7_N6thrust23THRUST_200600_302600_NS10device_ptrIlEESB_jNS0_19identity_decomposerENS1_16block_id_wrapperIjLb0EEEEE10hipError_tT1_PNSt15iterator_traitsISG_E10value_typeET2_T3_PNSH_ISM_E10value_typeET4_T5_PSR_SS_PNS1_23onesweep_lookback_stateEbbT6_jjT7_P12ihipStream_tbENKUlT_T0_SG_SL_E_clIS7_S7_SB_SB_EEDaSZ_S10_SG_SL_EUlSZ_E_NS1_11comp_targetILNS1_3genE0ELNS1_11target_archE4294967295ELNS1_3gpuE0ELNS1_3repE0EEENS1_47radix_sort_onesweep_sort_config_static_selectorELNS0_4arch9wavefront6targetE1EEEvSG_
    .private_segment_fixed_size: 0
    .sgpr_count:     4
    .sgpr_spill_count: 0
    .symbol:         _ZN7rocprim17ROCPRIM_400000_NS6detail17trampoline_kernelINS0_14default_configENS1_35radix_sort_onesweep_config_selectorIalEEZZNS1_29radix_sort_onesweep_iterationIS3_Lb0EPaS7_N6thrust23THRUST_200600_302600_NS10device_ptrIlEESB_jNS0_19identity_decomposerENS1_16block_id_wrapperIjLb0EEEEE10hipError_tT1_PNSt15iterator_traitsISG_E10value_typeET2_T3_PNSH_ISM_E10value_typeET4_T5_PSR_SS_PNS1_23onesweep_lookback_stateEbbT6_jjT7_P12ihipStream_tbENKUlT_T0_SG_SL_E_clIS7_S7_SB_SB_EEDaSZ_S10_SG_SL_EUlSZ_E_NS1_11comp_targetILNS1_3genE0ELNS1_11target_archE4294967295ELNS1_3gpuE0ELNS1_3repE0EEENS1_47radix_sort_onesweep_sort_config_static_selectorELNS0_4arch9wavefront6targetE1EEEvSG_.kd
    .uniform_work_group_size: 1
    .uses_dynamic_stack: false
    .vgpr_count:     0
    .vgpr_spill_count: 0
    .wavefront_size: 64
  - .args:
      - .offset:         0
        .size:           88
        .value_kind:     by_value
    .group_segment_fixed_size: 0
    .kernarg_segment_align: 8
    .kernarg_segment_size: 88
    .language:       OpenCL C
    .language_version:
      - 2
      - 0
    .max_flat_workgroup_size: 1024
    .name:           _ZN7rocprim17ROCPRIM_400000_NS6detail17trampoline_kernelINS0_14default_configENS1_35radix_sort_onesweep_config_selectorIalEEZZNS1_29radix_sort_onesweep_iterationIS3_Lb0EPaS7_N6thrust23THRUST_200600_302600_NS10device_ptrIlEESB_jNS0_19identity_decomposerENS1_16block_id_wrapperIjLb0EEEEE10hipError_tT1_PNSt15iterator_traitsISG_E10value_typeET2_T3_PNSH_ISM_E10value_typeET4_T5_PSR_SS_PNS1_23onesweep_lookback_stateEbbT6_jjT7_P12ihipStream_tbENKUlT_T0_SG_SL_E_clIS7_S7_SB_SB_EEDaSZ_S10_SG_SL_EUlSZ_E_NS1_11comp_targetILNS1_3genE6ELNS1_11target_archE950ELNS1_3gpuE13ELNS1_3repE0EEENS1_47radix_sort_onesweep_sort_config_static_selectorELNS0_4arch9wavefront6targetE1EEEvSG_
    .private_segment_fixed_size: 0
    .sgpr_count:     4
    .sgpr_spill_count: 0
    .symbol:         _ZN7rocprim17ROCPRIM_400000_NS6detail17trampoline_kernelINS0_14default_configENS1_35radix_sort_onesweep_config_selectorIalEEZZNS1_29radix_sort_onesweep_iterationIS3_Lb0EPaS7_N6thrust23THRUST_200600_302600_NS10device_ptrIlEESB_jNS0_19identity_decomposerENS1_16block_id_wrapperIjLb0EEEEE10hipError_tT1_PNSt15iterator_traitsISG_E10value_typeET2_T3_PNSH_ISM_E10value_typeET4_T5_PSR_SS_PNS1_23onesweep_lookback_stateEbbT6_jjT7_P12ihipStream_tbENKUlT_T0_SG_SL_E_clIS7_S7_SB_SB_EEDaSZ_S10_SG_SL_EUlSZ_E_NS1_11comp_targetILNS1_3genE6ELNS1_11target_archE950ELNS1_3gpuE13ELNS1_3repE0EEENS1_47radix_sort_onesweep_sort_config_static_selectorELNS0_4arch9wavefront6targetE1EEEvSG_.kd
    .uniform_work_group_size: 1
    .uses_dynamic_stack: false
    .vgpr_count:     0
    .vgpr_spill_count: 0
    .wavefront_size: 64
  - .args:
      - .offset:         0
        .size:           88
        .value_kind:     by_value
    .group_segment_fixed_size: 0
    .kernarg_segment_align: 8
    .kernarg_segment_size: 88
    .language:       OpenCL C
    .language_version:
      - 2
      - 0
    .max_flat_workgroup_size: 1024
    .name:           _ZN7rocprim17ROCPRIM_400000_NS6detail17trampoline_kernelINS0_14default_configENS1_35radix_sort_onesweep_config_selectorIalEEZZNS1_29radix_sort_onesweep_iterationIS3_Lb0EPaS7_N6thrust23THRUST_200600_302600_NS10device_ptrIlEESB_jNS0_19identity_decomposerENS1_16block_id_wrapperIjLb0EEEEE10hipError_tT1_PNSt15iterator_traitsISG_E10value_typeET2_T3_PNSH_ISM_E10value_typeET4_T5_PSR_SS_PNS1_23onesweep_lookback_stateEbbT6_jjT7_P12ihipStream_tbENKUlT_T0_SG_SL_E_clIS7_S7_SB_SB_EEDaSZ_S10_SG_SL_EUlSZ_E_NS1_11comp_targetILNS1_3genE5ELNS1_11target_archE942ELNS1_3gpuE9ELNS1_3repE0EEENS1_47radix_sort_onesweep_sort_config_static_selectorELNS0_4arch9wavefront6targetE1EEEvSG_
    .private_segment_fixed_size: 0
    .sgpr_count:     4
    .sgpr_spill_count: 0
    .symbol:         _ZN7rocprim17ROCPRIM_400000_NS6detail17trampoline_kernelINS0_14default_configENS1_35radix_sort_onesweep_config_selectorIalEEZZNS1_29radix_sort_onesweep_iterationIS3_Lb0EPaS7_N6thrust23THRUST_200600_302600_NS10device_ptrIlEESB_jNS0_19identity_decomposerENS1_16block_id_wrapperIjLb0EEEEE10hipError_tT1_PNSt15iterator_traitsISG_E10value_typeET2_T3_PNSH_ISM_E10value_typeET4_T5_PSR_SS_PNS1_23onesweep_lookback_stateEbbT6_jjT7_P12ihipStream_tbENKUlT_T0_SG_SL_E_clIS7_S7_SB_SB_EEDaSZ_S10_SG_SL_EUlSZ_E_NS1_11comp_targetILNS1_3genE5ELNS1_11target_archE942ELNS1_3gpuE9ELNS1_3repE0EEENS1_47radix_sort_onesweep_sort_config_static_selectorELNS0_4arch9wavefront6targetE1EEEvSG_.kd
    .uniform_work_group_size: 1
    .uses_dynamic_stack: false
    .vgpr_count:     0
    .vgpr_spill_count: 0
    .wavefront_size: 64
  - .args:
      - .offset:         0
        .size:           88
        .value_kind:     by_value
      - .offset:         88
        .size:           4
        .value_kind:     hidden_block_count_x
      - .offset:         92
        .size:           4
        .value_kind:     hidden_block_count_y
      - .offset:         96
        .size:           4
        .value_kind:     hidden_block_count_z
      - .offset:         100
        .size:           2
        .value_kind:     hidden_group_size_x
      - .offset:         102
        .size:           2
        .value_kind:     hidden_group_size_y
      - .offset:         104
        .size:           2
        .value_kind:     hidden_group_size_z
      - .offset:         106
        .size:           2
        .value_kind:     hidden_remainder_x
      - .offset:         108
        .size:           2
        .value_kind:     hidden_remainder_y
      - .offset:         110
        .size:           2
        .value_kind:     hidden_remainder_z
      - .offset:         128
        .size:           8
        .value_kind:     hidden_global_offset_x
      - .offset:         136
        .size:           8
        .value_kind:     hidden_global_offset_y
      - .offset:         144
        .size:           8
        .value_kind:     hidden_global_offset_z
      - .offset:         152
        .size:           2
        .value_kind:     hidden_grid_dims
    .group_segment_fixed_size: 10280
    .kernarg_segment_align: 8
    .kernarg_segment_size: 344
    .language:       OpenCL C
    .language_version:
      - 2
      - 0
    .max_flat_workgroup_size: 512
    .name:           _ZN7rocprim17ROCPRIM_400000_NS6detail17trampoline_kernelINS0_14default_configENS1_35radix_sort_onesweep_config_selectorIalEEZZNS1_29radix_sort_onesweep_iterationIS3_Lb0EPaS7_N6thrust23THRUST_200600_302600_NS10device_ptrIlEESB_jNS0_19identity_decomposerENS1_16block_id_wrapperIjLb0EEEEE10hipError_tT1_PNSt15iterator_traitsISG_E10value_typeET2_T3_PNSH_ISM_E10value_typeET4_T5_PSR_SS_PNS1_23onesweep_lookback_stateEbbT6_jjT7_P12ihipStream_tbENKUlT_T0_SG_SL_E_clIS7_S7_SB_SB_EEDaSZ_S10_SG_SL_EUlSZ_E_NS1_11comp_targetILNS1_3genE2ELNS1_11target_archE906ELNS1_3gpuE6ELNS1_3repE0EEENS1_47radix_sort_onesweep_sort_config_static_selectorELNS0_4arch9wavefront6targetE1EEEvSG_
    .private_segment_fixed_size: 32
    .sgpr_count:     57
    .sgpr_spill_count: 0
    .symbol:         _ZN7rocprim17ROCPRIM_400000_NS6detail17trampoline_kernelINS0_14default_configENS1_35radix_sort_onesweep_config_selectorIalEEZZNS1_29radix_sort_onesweep_iterationIS3_Lb0EPaS7_N6thrust23THRUST_200600_302600_NS10device_ptrIlEESB_jNS0_19identity_decomposerENS1_16block_id_wrapperIjLb0EEEEE10hipError_tT1_PNSt15iterator_traitsISG_E10value_typeET2_T3_PNSH_ISM_E10value_typeET4_T5_PSR_SS_PNS1_23onesweep_lookback_stateEbbT6_jjT7_P12ihipStream_tbENKUlT_T0_SG_SL_E_clIS7_S7_SB_SB_EEDaSZ_S10_SG_SL_EUlSZ_E_NS1_11comp_targetILNS1_3genE2ELNS1_11target_archE906ELNS1_3gpuE6ELNS1_3repE0EEENS1_47radix_sort_onesweep_sort_config_static_selectorELNS0_4arch9wavefront6targetE1EEEvSG_.kd
    .uniform_work_group_size: 1
    .uses_dynamic_stack: false
    .vgpr_count:     41
    .vgpr_spill_count: 0
    .wavefront_size: 64
  - .args:
      - .offset:         0
        .size:           88
        .value_kind:     by_value
    .group_segment_fixed_size: 0
    .kernarg_segment_align: 8
    .kernarg_segment_size: 88
    .language:       OpenCL C
    .language_version:
      - 2
      - 0
    .max_flat_workgroup_size: 1024
    .name:           _ZN7rocprim17ROCPRIM_400000_NS6detail17trampoline_kernelINS0_14default_configENS1_35radix_sort_onesweep_config_selectorIalEEZZNS1_29radix_sort_onesweep_iterationIS3_Lb0EPaS7_N6thrust23THRUST_200600_302600_NS10device_ptrIlEESB_jNS0_19identity_decomposerENS1_16block_id_wrapperIjLb0EEEEE10hipError_tT1_PNSt15iterator_traitsISG_E10value_typeET2_T3_PNSH_ISM_E10value_typeET4_T5_PSR_SS_PNS1_23onesweep_lookback_stateEbbT6_jjT7_P12ihipStream_tbENKUlT_T0_SG_SL_E_clIS7_S7_SB_SB_EEDaSZ_S10_SG_SL_EUlSZ_E_NS1_11comp_targetILNS1_3genE4ELNS1_11target_archE910ELNS1_3gpuE8ELNS1_3repE0EEENS1_47radix_sort_onesweep_sort_config_static_selectorELNS0_4arch9wavefront6targetE1EEEvSG_
    .private_segment_fixed_size: 0
    .sgpr_count:     4
    .sgpr_spill_count: 0
    .symbol:         _ZN7rocprim17ROCPRIM_400000_NS6detail17trampoline_kernelINS0_14default_configENS1_35radix_sort_onesweep_config_selectorIalEEZZNS1_29radix_sort_onesweep_iterationIS3_Lb0EPaS7_N6thrust23THRUST_200600_302600_NS10device_ptrIlEESB_jNS0_19identity_decomposerENS1_16block_id_wrapperIjLb0EEEEE10hipError_tT1_PNSt15iterator_traitsISG_E10value_typeET2_T3_PNSH_ISM_E10value_typeET4_T5_PSR_SS_PNS1_23onesweep_lookback_stateEbbT6_jjT7_P12ihipStream_tbENKUlT_T0_SG_SL_E_clIS7_S7_SB_SB_EEDaSZ_S10_SG_SL_EUlSZ_E_NS1_11comp_targetILNS1_3genE4ELNS1_11target_archE910ELNS1_3gpuE8ELNS1_3repE0EEENS1_47radix_sort_onesweep_sort_config_static_selectorELNS0_4arch9wavefront6targetE1EEEvSG_.kd
    .uniform_work_group_size: 1
    .uses_dynamic_stack: false
    .vgpr_count:     0
    .vgpr_spill_count: 0
    .wavefront_size: 64
  - .args:
      - .offset:         0
        .size:           88
        .value_kind:     by_value
    .group_segment_fixed_size: 0
    .kernarg_segment_align: 8
    .kernarg_segment_size: 88
    .language:       OpenCL C
    .language_version:
      - 2
      - 0
    .max_flat_workgroup_size: 1024
    .name:           _ZN7rocprim17ROCPRIM_400000_NS6detail17trampoline_kernelINS0_14default_configENS1_35radix_sort_onesweep_config_selectorIalEEZZNS1_29radix_sort_onesweep_iterationIS3_Lb0EPaS7_N6thrust23THRUST_200600_302600_NS10device_ptrIlEESB_jNS0_19identity_decomposerENS1_16block_id_wrapperIjLb0EEEEE10hipError_tT1_PNSt15iterator_traitsISG_E10value_typeET2_T3_PNSH_ISM_E10value_typeET4_T5_PSR_SS_PNS1_23onesweep_lookback_stateEbbT6_jjT7_P12ihipStream_tbENKUlT_T0_SG_SL_E_clIS7_S7_SB_SB_EEDaSZ_S10_SG_SL_EUlSZ_E_NS1_11comp_targetILNS1_3genE3ELNS1_11target_archE908ELNS1_3gpuE7ELNS1_3repE0EEENS1_47radix_sort_onesweep_sort_config_static_selectorELNS0_4arch9wavefront6targetE1EEEvSG_
    .private_segment_fixed_size: 0
    .sgpr_count:     4
    .sgpr_spill_count: 0
    .symbol:         _ZN7rocprim17ROCPRIM_400000_NS6detail17trampoline_kernelINS0_14default_configENS1_35radix_sort_onesweep_config_selectorIalEEZZNS1_29radix_sort_onesweep_iterationIS3_Lb0EPaS7_N6thrust23THRUST_200600_302600_NS10device_ptrIlEESB_jNS0_19identity_decomposerENS1_16block_id_wrapperIjLb0EEEEE10hipError_tT1_PNSt15iterator_traitsISG_E10value_typeET2_T3_PNSH_ISM_E10value_typeET4_T5_PSR_SS_PNS1_23onesweep_lookback_stateEbbT6_jjT7_P12ihipStream_tbENKUlT_T0_SG_SL_E_clIS7_S7_SB_SB_EEDaSZ_S10_SG_SL_EUlSZ_E_NS1_11comp_targetILNS1_3genE3ELNS1_11target_archE908ELNS1_3gpuE7ELNS1_3repE0EEENS1_47radix_sort_onesweep_sort_config_static_selectorELNS0_4arch9wavefront6targetE1EEEvSG_.kd
    .uniform_work_group_size: 1
    .uses_dynamic_stack: false
    .vgpr_count:     0
    .vgpr_spill_count: 0
    .wavefront_size: 64
  - .args:
      - .offset:         0
        .size:           88
        .value_kind:     by_value
    .group_segment_fixed_size: 0
    .kernarg_segment_align: 8
    .kernarg_segment_size: 88
    .language:       OpenCL C
    .language_version:
      - 2
      - 0
    .max_flat_workgroup_size: 1024
    .name:           _ZN7rocprim17ROCPRIM_400000_NS6detail17trampoline_kernelINS0_14default_configENS1_35radix_sort_onesweep_config_selectorIalEEZZNS1_29radix_sort_onesweep_iterationIS3_Lb0EPaS7_N6thrust23THRUST_200600_302600_NS10device_ptrIlEESB_jNS0_19identity_decomposerENS1_16block_id_wrapperIjLb0EEEEE10hipError_tT1_PNSt15iterator_traitsISG_E10value_typeET2_T3_PNSH_ISM_E10value_typeET4_T5_PSR_SS_PNS1_23onesweep_lookback_stateEbbT6_jjT7_P12ihipStream_tbENKUlT_T0_SG_SL_E_clIS7_S7_SB_SB_EEDaSZ_S10_SG_SL_EUlSZ_E_NS1_11comp_targetILNS1_3genE10ELNS1_11target_archE1201ELNS1_3gpuE5ELNS1_3repE0EEENS1_47radix_sort_onesweep_sort_config_static_selectorELNS0_4arch9wavefront6targetE1EEEvSG_
    .private_segment_fixed_size: 0
    .sgpr_count:     4
    .sgpr_spill_count: 0
    .symbol:         _ZN7rocprim17ROCPRIM_400000_NS6detail17trampoline_kernelINS0_14default_configENS1_35radix_sort_onesweep_config_selectorIalEEZZNS1_29radix_sort_onesweep_iterationIS3_Lb0EPaS7_N6thrust23THRUST_200600_302600_NS10device_ptrIlEESB_jNS0_19identity_decomposerENS1_16block_id_wrapperIjLb0EEEEE10hipError_tT1_PNSt15iterator_traitsISG_E10value_typeET2_T3_PNSH_ISM_E10value_typeET4_T5_PSR_SS_PNS1_23onesweep_lookback_stateEbbT6_jjT7_P12ihipStream_tbENKUlT_T0_SG_SL_E_clIS7_S7_SB_SB_EEDaSZ_S10_SG_SL_EUlSZ_E_NS1_11comp_targetILNS1_3genE10ELNS1_11target_archE1201ELNS1_3gpuE5ELNS1_3repE0EEENS1_47radix_sort_onesweep_sort_config_static_selectorELNS0_4arch9wavefront6targetE1EEEvSG_.kd
    .uniform_work_group_size: 1
    .uses_dynamic_stack: false
    .vgpr_count:     0
    .vgpr_spill_count: 0
    .wavefront_size: 64
  - .args:
      - .offset:         0
        .size:           88
        .value_kind:     by_value
    .group_segment_fixed_size: 0
    .kernarg_segment_align: 8
    .kernarg_segment_size: 88
    .language:       OpenCL C
    .language_version:
      - 2
      - 0
    .max_flat_workgroup_size: 1024
    .name:           _ZN7rocprim17ROCPRIM_400000_NS6detail17trampoline_kernelINS0_14default_configENS1_35radix_sort_onesweep_config_selectorIalEEZZNS1_29radix_sort_onesweep_iterationIS3_Lb0EPaS7_N6thrust23THRUST_200600_302600_NS10device_ptrIlEESB_jNS0_19identity_decomposerENS1_16block_id_wrapperIjLb0EEEEE10hipError_tT1_PNSt15iterator_traitsISG_E10value_typeET2_T3_PNSH_ISM_E10value_typeET4_T5_PSR_SS_PNS1_23onesweep_lookback_stateEbbT6_jjT7_P12ihipStream_tbENKUlT_T0_SG_SL_E_clIS7_S7_SB_SB_EEDaSZ_S10_SG_SL_EUlSZ_E_NS1_11comp_targetILNS1_3genE9ELNS1_11target_archE1100ELNS1_3gpuE3ELNS1_3repE0EEENS1_47radix_sort_onesweep_sort_config_static_selectorELNS0_4arch9wavefront6targetE1EEEvSG_
    .private_segment_fixed_size: 0
    .sgpr_count:     4
    .sgpr_spill_count: 0
    .symbol:         _ZN7rocprim17ROCPRIM_400000_NS6detail17trampoline_kernelINS0_14default_configENS1_35radix_sort_onesweep_config_selectorIalEEZZNS1_29radix_sort_onesweep_iterationIS3_Lb0EPaS7_N6thrust23THRUST_200600_302600_NS10device_ptrIlEESB_jNS0_19identity_decomposerENS1_16block_id_wrapperIjLb0EEEEE10hipError_tT1_PNSt15iterator_traitsISG_E10value_typeET2_T3_PNSH_ISM_E10value_typeET4_T5_PSR_SS_PNS1_23onesweep_lookback_stateEbbT6_jjT7_P12ihipStream_tbENKUlT_T0_SG_SL_E_clIS7_S7_SB_SB_EEDaSZ_S10_SG_SL_EUlSZ_E_NS1_11comp_targetILNS1_3genE9ELNS1_11target_archE1100ELNS1_3gpuE3ELNS1_3repE0EEENS1_47radix_sort_onesweep_sort_config_static_selectorELNS0_4arch9wavefront6targetE1EEEvSG_.kd
    .uniform_work_group_size: 1
    .uses_dynamic_stack: false
    .vgpr_count:     0
    .vgpr_spill_count: 0
    .wavefront_size: 64
  - .args:
      - .offset:         0
        .size:           88
        .value_kind:     by_value
    .group_segment_fixed_size: 0
    .kernarg_segment_align: 8
    .kernarg_segment_size: 88
    .language:       OpenCL C
    .language_version:
      - 2
      - 0
    .max_flat_workgroup_size: 1024
    .name:           _ZN7rocprim17ROCPRIM_400000_NS6detail17trampoline_kernelINS0_14default_configENS1_35radix_sort_onesweep_config_selectorIalEEZZNS1_29radix_sort_onesweep_iterationIS3_Lb0EPaS7_N6thrust23THRUST_200600_302600_NS10device_ptrIlEESB_jNS0_19identity_decomposerENS1_16block_id_wrapperIjLb0EEEEE10hipError_tT1_PNSt15iterator_traitsISG_E10value_typeET2_T3_PNSH_ISM_E10value_typeET4_T5_PSR_SS_PNS1_23onesweep_lookback_stateEbbT6_jjT7_P12ihipStream_tbENKUlT_T0_SG_SL_E_clIS7_S7_SB_SB_EEDaSZ_S10_SG_SL_EUlSZ_E_NS1_11comp_targetILNS1_3genE8ELNS1_11target_archE1030ELNS1_3gpuE2ELNS1_3repE0EEENS1_47radix_sort_onesweep_sort_config_static_selectorELNS0_4arch9wavefront6targetE1EEEvSG_
    .private_segment_fixed_size: 0
    .sgpr_count:     4
    .sgpr_spill_count: 0
    .symbol:         _ZN7rocprim17ROCPRIM_400000_NS6detail17trampoline_kernelINS0_14default_configENS1_35radix_sort_onesweep_config_selectorIalEEZZNS1_29radix_sort_onesweep_iterationIS3_Lb0EPaS7_N6thrust23THRUST_200600_302600_NS10device_ptrIlEESB_jNS0_19identity_decomposerENS1_16block_id_wrapperIjLb0EEEEE10hipError_tT1_PNSt15iterator_traitsISG_E10value_typeET2_T3_PNSH_ISM_E10value_typeET4_T5_PSR_SS_PNS1_23onesweep_lookback_stateEbbT6_jjT7_P12ihipStream_tbENKUlT_T0_SG_SL_E_clIS7_S7_SB_SB_EEDaSZ_S10_SG_SL_EUlSZ_E_NS1_11comp_targetILNS1_3genE8ELNS1_11target_archE1030ELNS1_3gpuE2ELNS1_3repE0EEENS1_47radix_sort_onesweep_sort_config_static_selectorELNS0_4arch9wavefront6targetE1EEEvSG_.kd
    .uniform_work_group_size: 1
    .uses_dynamic_stack: false
    .vgpr_count:     0
    .vgpr_spill_count: 0
    .wavefront_size: 64
  - .args:
      - .offset:         0
        .size:           88
        .value_kind:     by_value
    .group_segment_fixed_size: 0
    .kernarg_segment_align: 8
    .kernarg_segment_size: 88
    .language:       OpenCL C
    .language_version:
      - 2
      - 0
    .max_flat_workgroup_size: 1024
    .name:           _ZN7rocprim17ROCPRIM_400000_NS6detail17trampoline_kernelINS0_14default_configENS1_35radix_sort_onesweep_config_selectorIalEEZZNS1_29radix_sort_onesweep_iterationIS3_Lb0EPaS7_N6thrust23THRUST_200600_302600_NS10device_ptrIlEESB_jNS0_19identity_decomposerENS1_16block_id_wrapperIjLb0EEEEE10hipError_tT1_PNSt15iterator_traitsISG_E10value_typeET2_T3_PNSH_ISM_E10value_typeET4_T5_PSR_SS_PNS1_23onesweep_lookback_stateEbbT6_jjT7_P12ihipStream_tbENKUlT_T0_SG_SL_E_clIS7_S7_SB_PlEEDaSZ_S10_SG_SL_EUlSZ_E_NS1_11comp_targetILNS1_3genE0ELNS1_11target_archE4294967295ELNS1_3gpuE0ELNS1_3repE0EEENS1_47radix_sort_onesweep_sort_config_static_selectorELNS0_4arch9wavefront6targetE1EEEvSG_
    .private_segment_fixed_size: 0
    .sgpr_count:     4
    .sgpr_spill_count: 0
    .symbol:         _ZN7rocprim17ROCPRIM_400000_NS6detail17trampoline_kernelINS0_14default_configENS1_35radix_sort_onesweep_config_selectorIalEEZZNS1_29radix_sort_onesweep_iterationIS3_Lb0EPaS7_N6thrust23THRUST_200600_302600_NS10device_ptrIlEESB_jNS0_19identity_decomposerENS1_16block_id_wrapperIjLb0EEEEE10hipError_tT1_PNSt15iterator_traitsISG_E10value_typeET2_T3_PNSH_ISM_E10value_typeET4_T5_PSR_SS_PNS1_23onesweep_lookback_stateEbbT6_jjT7_P12ihipStream_tbENKUlT_T0_SG_SL_E_clIS7_S7_SB_PlEEDaSZ_S10_SG_SL_EUlSZ_E_NS1_11comp_targetILNS1_3genE0ELNS1_11target_archE4294967295ELNS1_3gpuE0ELNS1_3repE0EEENS1_47radix_sort_onesweep_sort_config_static_selectorELNS0_4arch9wavefront6targetE1EEEvSG_.kd
    .uniform_work_group_size: 1
    .uses_dynamic_stack: false
    .vgpr_count:     0
    .vgpr_spill_count: 0
    .wavefront_size: 64
  - .args:
      - .offset:         0
        .size:           88
        .value_kind:     by_value
    .group_segment_fixed_size: 0
    .kernarg_segment_align: 8
    .kernarg_segment_size: 88
    .language:       OpenCL C
    .language_version:
      - 2
      - 0
    .max_flat_workgroup_size: 1024
    .name:           _ZN7rocprim17ROCPRIM_400000_NS6detail17trampoline_kernelINS0_14default_configENS1_35radix_sort_onesweep_config_selectorIalEEZZNS1_29radix_sort_onesweep_iterationIS3_Lb0EPaS7_N6thrust23THRUST_200600_302600_NS10device_ptrIlEESB_jNS0_19identity_decomposerENS1_16block_id_wrapperIjLb0EEEEE10hipError_tT1_PNSt15iterator_traitsISG_E10value_typeET2_T3_PNSH_ISM_E10value_typeET4_T5_PSR_SS_PNS1_23onesweep_lookback_stateEbbT6_jjT7_P12ihipStream_tbENKUlT_T0_SG_SL_E_clIS7_S7_SB_PlEEDaSZ_S10_SG_SL_EUlSZ_E_NS1_11comp_targetILNS1_3genE6ELNS1_11target_archE950ELNS1_3gpuE13ELNS1_3repE0EEENS1_47radix_sort_onesweep_sort_config_static_selectorELNS0_4arch9wavefront6targetE1EEEvSG_
    .private_segment_fixed_size: 0
    .sgpr_count:     4
    .sgpr_spill_count: 0
    .symbol:         _ZN7rocprim17ROCPRIM_400000_NS6detail17trampoline_kernelINS0_14default_configENS1_35radix_sort_onesweep_config_selectorIalEEZZNS1_29radix_sort_onesweep_iterationIS3_Lb0EPaS7_N6thrust23THRUST_200600_302600_NS10device_ptrIlEESB_jNS0_19identity_decomposerENS1_16block_id_wrapperIjLb0EEEEE10hipError_tT1_PNSt15iterator_traitsISG_E10value_typeET2_T3_PNSH_ISM_E10value_typeET4_T5_PSR_SS_PNS1_23onesweep_lookback_stateEbbT6_jjT7_P12ihipStream_tbENKUlT_T0_SG_SL_E_clIS7_S7_SB_PlEEDaSZ_S10_SG_SL_EUlSZ_E_NS1_11comp_targetILNS1_3genE6ELNS1_11target_archE950ELNS1_3gpuE13ELNS1_3repE0EEENS1_47radix_sort_onesweep_sort_config_static_selectorELNS0_4arch9wavefront6targetE1EEEvSG_.kd
    .uniform_work_group_size: 1
    .uses_dynamic_stack: false
    .vgpr_count:     0
    .vgpr_spill_count: 0
    .wavefront_size: 64
  - .args:
      - .offset:         0
        .size:           88
        .value_kind:     by_value
    .group_segment_fixed_size: 0
    .kernarg_segment_align: 8
    .kernarg_segment_size: 88
    .language:       OpenCL C
    .language_version:
      - 2
      - 0
    .max_flat_workgroup_size: 1024
    .name:           _ZN7rocprim17ROCPRIM_400000_NS6detail17trampoline_kernelINS0_14default_configENS1_35radix_sort_onesweep_config_selectorIalEEZZNS1_29radix_sort_onesweep_iterationIS3_Lb0EPaS7_N6thrust23THRUST_200600_302600_NS10device_ptrIlEESB_jNS0_19identity_decomposerENS1_16block_id_wrapperIjLb0EEEEE10hipError_tT1_PNSt15iterator_traitsISG_E10value_typeET2_T3_PNSH_ISM_E10value_typeET4_T5_PSR_SS_PNS1_23onesweep_lookback_stateEbbT6_jjT7_P12ihipStream_tbENKUlT_T0_SG_SL_E_clIS7_S7_SB_PlEEDaSZ_S10_SG_SL_EUlSZ_E_NS1_11comp_targetILNS1_3genE5ELNS1_11target_archE942ELNS1_3gpuE9ELNS1_3repE0EEENS1_47radix_sort_onesweep_sort_config_static_selectorELNS0_4arch9wavefront6targetE1EEEvSG_
    .private_segment_fixed_size: 0
    .sgpr_count:     4
    .sgpr_spill_count: 0
    .symbol:         _ZN7rocprim17ROCPRIM_400000_NS6detail17trampoline_kernelINS0_14default_configENS1_35radix_sort_onesweep_config_selectorIalEEZZNS1_29radix_sort_onesweep_iterationIS3_Lb0EPaS7_N6thrust23THRUST_200600_302600_NS10device_ptrIlEESB_jNS0_19identity_decomposerENS1_16block_id_wrapperIjLb0EEEEE10hipError_tT1_PNSt15iterator_traitsISG_E10value_typeET2_T3_PNSH_ISM_E10value_typeET4_T5_PSR_SS_PNS1_23onesweep_lookback_stateEbbT6_jjT7_P12ihipStream_tbENKUlT_T0_SG_SL_E_clIS7_S7_SB_PlEEDaSZ_S10_SG_SL_EUlSZ_E_NS1_11comp_targetILNS1_3genE5ELNS1_11target_archE942ELNS1_3gpuE9ELNS1_3repE0EEENS1_47radix_sort_onesweep_sort_config_static_selectorELNS0_4arch9wavefront6targetE1EEEvSG_.kd
    .uniform_work_group_size: 1
    .uses_dynamic_stack: false
    .vgpr_count:     0
    .vgpr_spill_count: 0
    .wavefront_size: 64
  - .args:
      - .offset:         0
        .size:           88
        .value_kind:     by_value
      - .offset:         88
        .size:           4
        .value_kind:     hidden_block_count_x
      - .offset:         92
        .size:           4
        .value_kind:     hidden_block_count_y
      - .offset:         96
        .size:           4
        .value_kind:     hidden_block_count_z
      - .offset:         100
        .size:           2
        .value_kind:     hidden_group_size_x
      - .offset:         102
        .size:           2
        .value_kind:     hidden_group_size_y
      - .offset:         104
        .size:           2
        .value_kind:     hidden_group_size_z
      - .offset:         106
        .size:           2
        .value_kind:     hidden_remainder_x
      - .offset:         108
        .size:           2
        .value_kind:     hidden_remainder_y
      - .offset:         110
        .size:           2
        .value_kind:     hidden_remainder_z
      - .offset:         128
        .size:           8
        .value_kind:     hidden_global_offset_x
      - .offset:         136
        .size:           8
        .value_kind:     hidden_global_offset_y
      - .offset:         144
        .size:           8
        .value_kind:     hidden_global_offset_z
      - .offset:         152
        .size:           2
        .value_kind:     hidden_grid_dims
    .group_segment_fixed_size: 10280
    .kernarg_segment_align: 8
    .kernarg_segment_size: 344
    .language:       OpenCL C
    .language_version:
      - 2
      - 0
    .max_flat_workgroup_size: 512
    .name:           _ZN7rocprim17ROCPRIM_400000_NS6detail17trampoline_kernelINS0_14default_configENS1_35radix_sort_onesweep_config_selectorIalEEZZNS1_29radix_sort_onesweep_iterationIS3_Lb0EPaS7_N6thrust23THRUST_200600_302600_NS10device_ptrIlEESB_jNS0_19identity_decomposerENS1_16block_id_wrapperIjLb0EEEEE10hipError_tT1_PNSt15iterator_traitsISG_E10value_typeET2_T3_PNSH_ISM_E10value_typeET4_T5_PSR_SS_PNS1_23onesweep_lookback_stateEbbT6_jjT7_P12ihipStream_tbENKUlT_T0_SG_SL_E_clIS7_S7_SB_PlEEDaSZ_S10_SG_SL_EUlSZ_E_NS1_11comp_targetILNS1_3genE2ELNS1_11target_archE906ELNS1_3gpuE6ELNS1_3repE0EEENS1_47radix_sort_onesweep_sort_config_static_selectorELNS0_4arch9wavefront6targetE1EEEvSG_
    .private_segment_fixed_size: 32
    .sgpr_count:     57
    .sgpr_spill_count: 0
    .symbol:         _ZN7rocprim17ROCPRIM_400000_NS6detail17trampoline_kernelINS0_14default_configENS1_35radix_sort_onesweep_config_selectorIalEEZZNS1_29radix_sort_onesweep_iterationIS3_Lb0EPaS7_N6thrust23THRUST_200600_302600_NS10device_ptrIlEESB_jNS0_19identity_decomposerENS1_16block_id_wrapperIjLb0EEEEE10hipError_tT1_PNSt15iterator_traitsISG_E10value_typeET2_T3_PNSH_ISM_E10value_typeET4_T5_PSR_SS_PNS1_23onesweep_lookback_stateEbbT6_jjT7_P12ihipStream_tbENKUlT_T0_SG_SL_E_clIS7_S7_SB_PlEEDaSZ_S10_SG_SL_EUlSZ_E_NS1_11comp_targetILNS1_3genE2ELNS1_11target_archE906ELNS1_3gpuE6ELNS1_3repE0EEENS1_47radix_sort_onesweep_sort_config_static_selectorELNS0_4arch9wavefront6targetE1EEEvSG_.kd
    .uniform_work_group_size: 1
    .uses_dynamic_stack: false
    .vgpr_count:     41
    .vgpr_spill_count: 0
    .wavefront_size: 64
  - .args:
      - .offset:         0
        .size:           88
        .value_kind:     by_value
    .group_segment_fixed_size: 0
    .kernarg_segment_align: 8
    .kernarg_segment_size: 88
    .language:       OpenCL C
    .language_version:
      - 2
      - 0
    .max_flat_workgroup_size: 1024
    .name:           _ZN7rocprim17ROCPRIM_400000_NS6detail17trampoline_kernelINS0_14default_configENS1_35radix_sort_onesweep_config_selectorIalEEZZNS1_29radix_sort_onesweep_iterationIS3_Lb0EPaS7_N6thrust23THRUST_200600_302600_NS10device_ptrIlEESB_jNS0_19identity_decomposerENS1_16block_id_wrapperIjLb0EEEEE10hipError_tT1_PNSt15iterator_traitsISG_E10value_typeET2_T3_PNSH_ISM_E10value_typeET4_T5_PSR_SS_PNS1_23onesweep_lookback_stateEbbT6_jjT7_P12ihipStream_tbENKUlT_T0_SG_SL_E_clIS7_S7_SB_PlEEDaSZ_S10_SG_SL_EUlSZ_E_NS1_11comp_targetILNS1_3genE4ELNS1_11target_archE910ELNS1_3gpuE8ELNS1_3repE0EEENS1_47radix_sort_onesweep_sort_config_static_selectorELNS0_4arch9wavefront6targetE1EEEvSG_
    .private_segment_fixed_size: 0
    .sgpr_count:     4
    .sgpr_spill_count: 0
    .symbol:         _ZN7rocprim17ROCPRIM_400000_NS6detail17trampoline_kernelINS0_14default_configENS1_35radix_sort_onesweep_config_selectorIalEEZZNS1_29radix_sort_onesweep_iterationIS3_Lb0EPaS7_N6thrust23THRUST_200600_302600_NS10device_ptrIlEESB_jNS0_19identity_decomposerENS1_16block_id_wrapperIjLb0EEEEE10hipError_tT1_PNSt15iterator_traitsISG_E10value_typeET2_T3_PNSH_ISM_E10value_typeET4_T5_PSR_SS_PNS1_23onesweep_lookback_stateEbbT6_jjT7_P12ihipStream_tbENKUlT_T0_SG_SL_E_clIS7_S7_SB_PlEEDaSZ_S10_SG_SL_EUlSZ_E_NS1_11comp_targetILNS1_3genE4ELNS1_11target_archE910ELNS1_3gpuE8ELNS1_3repE0EEENS1_47radix_sort_onesweep_sort_config_static_selectorELNS0_4arch9wavefront6targetE1EEEvSG_.kd
    .uniform_work_group_size: 1
    .uses_dynamic_stack: false
    .vgpr_count:     0
    .vgpr_spill_count: 0
    .wavefront_size: 64
  - .args:
      - .offset:         0
        .size:           88
        .value_kind:     by_value
    .group_segment_fixed_size: 0
    .kernarg_segment_align: 8
    .kernarg_segment_size: 88
    .language:       OpenCL C
    .language_version:
      - 2
      - 0
    .max_flat_workgroup_size: 1024
    .name:           _ZN7rocprim17ROCPRIM_400000_NS6detail17trampoline_kernelINS0_14default_configENS1_35radix_sort_onesweep_config_selectorIalEEZZNS1_29radix_sort_onesweep_iterationIS3_Lb0EPaS7_N6thrust23THRUST_200600_302600_NS10device_ptrIlEESB_jNS0_19identity_decomposerENS1_16block_id_wrapperIjLb0EEEEE10hipError_tT1_PNSt15iterator_traitsISG_E10value_typeET2_T3_PNSH_ISM_E10value_typeET4_T5_PSR_SS_PNS1_23onesweep_lookback_stateEbbT6_jjT7_P12ihipStream_tbENKUlT_T0_SG_SL_E_clIS7_S7_SB_PlEEDaSZ_S10_SG_SL_EUlSZ_E_NS1_11comp_targetILNS1_3genE3ELNS1_11target_archE908ELNS1_3gpuE7ELNS1_3repE0EEENS1_47radix_sort_onesweep_sort_config_static_selectorELNS0_4arch9wavefront6targetE1EEEvSG_
    .private_segment_fixed_size: 0
    .sgpr_count:     4
    .sgpr_spill_count: 0
    .symbol:         _ZN7rocprim17ROCPRIM_400000_NS6detail17trampoline_kernelINS0_14default_configENS1_35radix_sort_onesweep_config_selectorIalEEZZNS1_29radix_sort_onesweep_iterationIS3_Lb0EPaS7_N6thrust23THRUST_200600_302600_NS10device_ptrIlEESB_jNS0_19identity_decomposerENS1_16block_id_wrapperIjLb0EEEEE10hipError_tT1_PNSt15iterator_traitsISG_E10value_typeET2_T3_PNSH_ISM_E10value_typeET4_T5_PSR_SS_PNS1_23onesweep_lookback_stateEbbT6_jjT7_P12ihipStream_tbENKUlT_T0_SG_SL_E_clIS7_S7_SB_PlEEDaSZ_S10_SG_SL_EUlSZ_E_NS1_11comp_targetILNS1_3genE3ELNS1_11target_archE908ELNS1_3gpuE7ELNS1_3repE0EEENS1_47radix_sort_onesweep_sort_config_static_selectorELNS0_4arch9wavefront6targetE1EEEvSG_.kd
    .uniform_work_group_size: 1
    .uses_dynamic_stack: false
    .vgpr_count:     0
    .vgpr_spill_count: 0
    .wavefront_size: 64
  - .args:
      - .offset:         0
        .size:           88
        .value_kind:     by_value
    .group_segment_fixed_size: 0
    .kernarg_segment_align: 8
    .kernarg_segment_size: 88
    .language:       OpenCL C
    .language_version:
      - 2
      - 0
    .max_flat_workgroup_size: 1024
    .name:           _ZN7rocprim17ROCPRIM_400000_NS6detail17trampoline_kernelINS0_14default_configENS1_35radix_sort_onesweep_config_selectorIalEEZZNS1_29radix_sort_onesweep_iterationIS3_Lb0EPaS7_N6thrust23THRUST_200600_302600_NS10device_ptrIlEESB_jNS0_19identity_decomposerENS1_16block_id_wrapperIjLb0EEEEE10hipError_tT1_PNSt15iterator_traitsISG_E10value_typeET2_T3_PNSH_ISM_E10value_typeET4_T5_PSR_SS_PNS1_23onesweep_lookback_stateEbbT6_jjT7_P12ihipStream_tbENKUlT_T0_SG_SL_E_clIS7_S7_SB_PlEEDaSZ_S10_SG_SL_EUlSZ_E_NS1_11comp_targetILNS1_3genE10ELNS1_11target_archE1201ELNS1_3gpuE5ELNS1_3repE0EEENS1_47radix_sort_onesweep_sort_config_static_selectorELNS0_4arch9wavefront6targetE1EEEvSG_
    .private_segment_fixed_size: 0
    .sgpr_count:     4
    .sgpr_spill_count: 0
    .symbol:         _ZN7rocprim17ROCPRIM_400000_NS6detail17trampoline_kernelINS0_14default_configENS1_35radix_sort_onesweep_config_selectorIalEEZZNS1_29radix_sort_onesweep_iterationIS3_Lb0EPaS7_N6thrust23THRUST_200600_302600_NS10device_ptrIlEESB_jNS0_19identity_decomposerENS1_16block_id_wrapperIjLb0EEEEE10hipError_tT1_PNSt15iterator_traitsISG_E10value_typeET2_T3_PNSH_ISM_E10value_typeET4_T5_PSR_SS_PNS1_23onesweep_lookback_stateEbbT6_jjT7_P12ihipStream_tbENKUlT_T0_SG_SL_E_clIS7_S7_SB_PlEEDaSZ_S10_SG_SL_EUlSZ_E_NS1_11comp_targetILNS1_3genE10ELNS1_11target_archE1201ELNS1_3gpuE5ELNS1_3repE0EEENS1_47radix_sort_onesweep_sort_config_static_selectorELNS0_4arch9wavefront6targetE1EEEvSG_.kd
    .uniform_work_group_size: 1
    .uses_dynamic_stack: false
    .vgpr_count:     0
    .vgpr_spill_count: 0
    .wavefront_size: 64
  - .args:
      - .offset:         0
        .size:           88
        .value_kind:     by_value
    .group_segment_fixed_size: 0
    .kernarg_segment_align: 8
    .kernarg_segment_size: 88
    .language:       OpenCL C
    .language_version:
      - 2
      - 0
    .max_flat_workgroup_size: 1024
    .name:           _ZN7rocprim17ROCPRIM_400000_NS6detail17trampoline_kernelINS0_14default_configENS1_35radix_sort_onesweep_config_selectorIalEEZZNS1_29radix_sort_onesweep_iterationIS3_Lb0EPaS7_N6thrust23THRUST_200600_302600_NS10device_ptrIlEESB_jNS0_19identity_decomposerENS1_16block_id_wrapperIjLb0EEEEE10hipError_tT1_PNSt15iterator_traitsISG_E10value_typeET2_T3_PNSH_ISM_E10value_typeET4_T5_PSR_SS_PNS1_23onesweep_lookback_stateEbbT6_jjT7_P12ihipStream_tbENKUlT_T0_SG_SL_E_clIS7_S7_SB_PlEEDaSZ_S10_SG_SL_EUlSZ_E_NS1_11comp_targetILNS1_3genE9ELNS1_11target_archE1100ELNS1_3gpuE3ELNS1_3repE0EEENS1_47radix_sort_onesweep_sort_config_static_selectorELNS0_4arch9wavefront6targetE1EEEvSG_
    .private_segment_fixed_size: 0
    .sgpr_count:     4
    .sgpr_spill_count: 0
    .symbol:         _ZN7rocprim17ROCPRIM_400000_NS6detail17trampoline_kernelINS0_14default_configENS1_35radix_sort_onesweep_config_selectorIalEEZZNS1_29radix_sort_onesweep_iterationIS3_Lb0EPaS7_N6thrust23THRUST_200600_302600_NS10device_ptrIlEESB_jNS0_19identity_decomposerENS1_16block_id_wrapperIjLb0EEEEE10hipError_tT1_PNSt15iterator_traitsISG_E10value_typeET2_T3_PNSH_ISM_E10value_typeET4_T5_PSR_SS_PNS1_23onesweep_lookback_stateEbbT6_jjT7_P12ihipStream_tbENKUlT_T0_SG_SL_E_clIS7_S7_SB_PlEEDaSZ_S10_SG_SL_EUlSZ_E_NS1_11comp_targetILNS1_3genE9ELNS1_11target_archE1100ELNS1_3gpuE3ELNS1_3repE0EEENS1_47radix_sort_onesweep_sort_config_static_selectorELNS0_4arch9wavefront6targetE1EEEvSG_.kd
    .uniform_work_group_size: 1
    .uses_dynamic_stack: false
    .vgpr_count:     0
    .vgpr_spill_count: 0
    .wavefront_size: 64
  - .args:
      - .offset:         0
        .size:           88
        .value_kind:     by_value
    .group_segment_fixed_size: 0
    .kernarg_segment_align: 8
    .kernarg_segment_size: 88
    .language:       OpenCL C
    .language_version:
      - 2
      - 0
    .max_flat_workgroup_size: 1024
    .name:           _ZN7rocprim17ROCPRIM_400000_NS6detail17trampoline_kernelINS0_14default_configENS1_35radix_sort_onesweep_config_selectorIalEEZZNS1_29radix_sort_onesweep_iterationIS3_Lb0EPaS7_N6thrust23THRUST_200600_302600_NS10device_ptrIlEESB_jNS0_19identity_decomposerENS1_16block_id_wrapperIjLb0EEEEE10hipError_tT1_PNSt15iterator_traitsISG_E10value_typeET2_T3_PNSH_ISM_E10value_typeET4_T5_PSR_SS_PNS1_23onesweep_lookback_stateEbbT6_jjT7_P12ihipStream_tbENKUlT_T0_SG_SL_E_clIS7_S7_SB_PlEEDaSZ_S10_SG_SL_EUlSZ_E_NS1_11comp_targetILNS1_3genE8ELNS1_11target_archE1030ELNS1_3gpuE2ELNS1_3repE0EEENS1_47radix_sort_onesweep_sort_config_static_selectorELNS0_4arch9wavefront6targetE1EEEvSG_
    .private_segment_fixed_size: 0
    .sgpr_count:     4
    .sgpr_spill_count: 0
    .symbol:         _ZN7rocprim17ROCPRIM_400000_NS6detail17trampoline_kernelINS0_14default_configENS1_35radix_sort_onesweep_config_selectorIalEEZZNS1_29radix_sort_onesweep_iterationIS3_Lb0EPaS7_N6thrust23THRUST_200600_302600_NS10device_ptrIlEESB_jNS0_19identity_decomposerENS1_16block_id_wrapperIjLb0EEEEE10hipError_tT1_PNSt15iterator_traitsISG_E10value_typeET2_T3_PNSH_ISM_E10value_typeET4_T5_PSR_SS_PNS1_23onesweep_lookback_stateEbbT6_jjT7_P12ihipStream_tbENKUlT_T0_SG_SL_E_clIS7_S7_SB_PlEEDaSZ_S10_SG_SL_EUlSZ_E_NS1_11comp_targetILNS1_3genE8ELNS1_11target_archE1030ELNS1_3gpuE2ELNS1_3repE0EEENS1_47radix_sort_onesweep_sort_config_static_selectorELNS0_4arch9wavefront6targetE1EEEvSG_.kd
    .uniform_work_group_size: 1
    .uses_dynamic_stack: false
    .vgpr_count:     0
    .vgpr_spill_count: 0
    .wavefront_size: 64
  - .args:
      - .offset:         0
        .size:           88
        .value_kind:     by_value
    .group_segment_fixed_size: 0
    .kernarg_segment_align: 8
    .kernarg_segment_size: 88
    .language:       OpenCL C
    .language_version:
      - 2
      - 0
    .max_flat_workgroup_size: 1024
    .name:           _ZN7rocprim17ROCPRIM_400000_NS6detail17trampoline_kernelINS0_14default_configENS1_35radix_sort_onesweep_config_selectorIalEEZZNS1_29radix_sort_onesweep_iterationIS3_Lb0EPaS7_N6thrust23THRUST_200600_302600_NS10device_ptrIlEESB_jNS0_19identity_decomposerENS1_16block_id_wrapperIjLb0EEEEE10hipError_tT1_PNSt15iterator_traitsISG_E10value_typeET2_T3_PNSH_ISM_E10value_typeET4_T5_PSR_SS_PNS1_23onesweep_lookback_stateEbbT6_jjT7_P12ihipStream_tbENKUlT_T0_SG_SL_E_clIS7_S7_PlSB_EEDaSZ_S10_SG_SL_EUlSZ_E_NS1_11comp_targetILNS1_3genE0ELNS1_11target_archE4294967295ELNS1_3gpuE0ELNS1_3repE0EEENS1_47radix_sort_onesweep_sort_config_static_selectorELNS0_4arch9wavefront6targetE1EEEvSG_
    .private_segment_fixed_size: 0
    .sgpr_count:     4
    .sgpr_spill_count: 0
    .symbol:         _ZN7rocprim17ROCPRIM_400000_NS6detail17trampoline_kernelINS0_14default_configENS1_35radix_sort_onesweep_config_selectorIalEEZZNS1_29radix_sort_onesweep_iterationIS3_Lb0EPaS7_N6thrust23THRUST_200600_302600_NS10device_ptrIlEESB_jNS0_19identity_decomposerENS1_16block_id_wrapperIjLb0EEEEE10hipError_tT1_PNSt15iterator_traitsISG_E10value_typeET2_T3_PNSH_ISM_E10value_typeET4_T5_PSR_SS_PNS1_23onesweep_lookback_stateEbbT6_jjT7_P12ihipStream_tbENKUlT_T0_SG_SL_E_clIS7_S7_PlSB_EEDaSZ_S10_SG_SL_EUlSZ_E_NS1_11comp_targetILNS1_3genE0ELNS1_11target_archE4294967295ELNS1_3gpuE0ELNS1_3repE0EEENS1_47radix_sort_onesweep_sort_config_static_selectorELNS0_4arch9wavefront6targetE1EEEvSG_.kd
    .uniform_work_group_size: 1
    .uses_dynamic_stack: false
    .vgpr_count:     0
    .vgpr_spill_count: 0
    .wavefront_size: 64
  - .args:
      - .offset:         0
        .size:           88
        .value_kind:     by_value
    .group_segment_fixed_size: 0
    .kernarg_segment_align: 8
    .kernarg_segment_size: 88
    .language:       OpenCL C
    .language_version:
      - 2
      - 0
    .max_flat_workgroup_size: 1024
    .name:           _ZN7rocprim17ROCPRIM_400000_NS6detail17trampoline_kernelINS0_14default_configENS1_35radix_sort_onesweep_config_selectorIalEEZZNS1_29radix_sort_onesweep_iterationIS3_Lb0EPaS7_N6thrust23THRUST_200600_302600_NS10device_ptrIlEESB_jNS0_19identity_decomposerENS1_16block_id_wrapperIjLb0EEEEE10hipError_tT1_PNSt15iterator_traitsISG_E10value_typeET2_T3_PNSH_ISM_E10value_typeET4_T5_PSR_SS_PNS1_23onesweep_lookback_stateEbbT6_jjT7_P12ihipStream_tbENKUlT_T0_SG_SL_E_clIS7_S7_PlSB_EEDaSZ_S10_SG_SL_EUlSZ_E_NS1_11comp_targetILNS1_3genE6ELNS1_11target_archE950ELNS1_3gpuE13ELNS1_3repE0EEENS1_47radix_sort_onesweep_sort_config_static_selectorELNS0_4arch9wavefront6targetE1EEEvSG_
    .private_segment_fixed_size: 0
    .sgpr_count:     4
    .sgpr_spill_count: 0
    .symbol:         _ZN7rocprim17ROCPRIM_400000_NS6detail17trampoline_kernelINS0_14default_configENS1_35radix_sort_onesweep_config_selectorIalEEZZNS1_29radix_sort_onesweep_iterationIS3_Lb0EPaS7_N6thrust23THRUST_200600_302600_NS10device_ptrIlEESB_jNS0_19identity_decomposerENS1_16block_id_wrapperIjLb0EEEEE10hipError_tT1_PNSt15iterator_traitsISG_E10value_typeET2_T3_PNSH_ISM_E10value_typeET4_T5_PSR_SS_PNS1_23onesweep_lookback_stateEbbT6_jjT7_P12ihipStream_tbENKUlT_T0_SG_SL_E_clIS7_S7_PlSB_EEDaSZ_S10_SG_SL_EUlSZ_E_NS1_11comp_targetILNS1_3genE6ELNS1_11target_archE950ELNS1_3gpuE13ELNS1_3repE0EEENS1_47radix_sort_onesweep_sort_config_static_selectorELNS0_4arch9wavefront6targetE1EEEvSG_.kd
    .uniform_work_group_size: 1
    .uses_dynamic_stack: false
    .vgpr_count:     0
    .vgpr_spill_count: 0
    .wavefront_size: 64
  - .args:
      - .offset:         0
        .size:           88
        .value_kind:     by_value
    .group_segment_fixed_size: 0
    .kernarg_segment_align: 8
    .kernarg_segment_size: 88
    .language:       OpenCL C
    .language_version:
      - 2
      - 0
    .max_flat_workgroup_size: 1024
    .name:           _ZN7rocprim17ROCPRIM_400000_NS6detail17trampoline_kernelINS0_14default_configENS1_35radix_sort_onesweep_config_selectorIalEEZZNS1_29radix_sort_onesweep_iterationIS3_Lb0EPaS7_N6thrust23THRUST_200600_302600_NS10device_ptrIlEESB_jNS0_19identity_decomposerENS1_16block_id_wrapperIjLb0EEEEE10hipError_tT1_PNSt15iterator_traitsISG_E10value_typeET2_T3_PNSH_ISM_E10value_typeET4_T5_PSR_SS_PNS1_23onesweep_lookback_stateEbbT6_jjT7_P12ihipStream_tbENKUlT_T0_SG_SL_E_clIS7_S7_PlSB_EEDaSZ_S10_SG_SL_EUlSZ_E_NS1_11comp_targetILNS1_3genE5ELNS1_11target_archE942ELNS1_3gpuE9ELNS1_3repE0EEENS1_47radix_sort_onesweep_sort_config_static_selectorELNS0_4arch9wavefront6targetE1EEEvSG_
    .private_segment_fixed_size: 0
    .sgpr_count:     4
    .sgpr_spill_count: 0
    .symbol:         _ZN7rocprim17ROCPRIM_400000_NS6detail17trampoline_kernelINS0_14default_configENS1_35radix_sort_onesweep_config_selectorIalEEZZNS1_29radix_sort_onesweep_iterationIS3_Lb0EPaS7_N6thrust23THRUST_200600_302600_NS10device_ptrIlEESB_jNS0_19identity_decomposerENS1_16block_id_wrapperIjLb0EEEEE10hipError_tT1_PNSt15iterator_traitsISG_E10value_typeET2_T3_PNSH_ISM_E10value_typeET4_T5_PSR_SS_PNS1_23onesweep_lookback_stateEbbT6_jjT7_P12ihipStream_tbENKUlT_T0_SG_SL_E_clIS7_S7_PlSB_EEDaSZ_S10_SG_SL_EUlSZ_E_NS1_11comp_targetILNS1_3genE5ELNS1_11target_archE942ELNS1_3gpuE9ELNS1_3repE0EEENS1_47radix_sort_onesweep_sort_config_static_selectorELNS0_4arch9wavefront6targetE1EEEvSG_.kd
    .uniform_work_group_size: 1
    .uses_dynamic_stack: false
    .vgpr_count:     0
    .vgpr_spill_count: 0
    .wavefront_size: 64
  - .args:
      - .offset:         0
        .size:           88
        .value_kind:     by_value
      - .offset:         88
        .size:           4
        .value_kind:     hidden_block_count_x
      - .offset:         92
        .size:           4
        .value_kind:     hidden_block_count_y
      - .offset:         96
        .size:           4
        .value_kind:     hidden_block_count_z
      - .offset:         100
        .size:           2
        .value_kind:     hidden_group_size_x
      - .offset:         102
        .size:           2
        .value_kind:     hidden_group_size_y
      - .offset:         104
        .size:           2
        .value_kind:     hidden_group_size_z
      - .offset:         106
        .size:           2
        .value_kind:     hidden_remainder_x
      - .offset:         108
        .size:           2
        .value_kind:     hidden_remainder_y
      - .offset:         110
        .size:           2
        .value_kind:     hidden_remainder_z
      - .offset:         128
        .size:           8
        .value_kind:     hidden_global_offset_x
      - .offset:         136
        .size:           8
        .value_kind:     hidden_global_offset_y
      - .offset:         144
        .size:           8
        .value_kind:     hidden_global_offset_z
      - .offset:         152
        .size:           2
        .value_kind:     hidden_grid_dims
    .group_segment_fixed_size: 10280
    .kernarg_segment_align: 8
    .kernarg_segment_size: 344
    .language:       OpenCL C
    .language_version:
      - 2
      - 0
    .max_flat_workgroup_size: 512
    .name:           _ZN7rocprim17ROCPRIM_400000_NS6detail17trampoline_kernelINS0_14default_configENS1_35radix_sort_onesweep_config_selectorIalEEZZNS1_29radix_sort_onesweep_iterationIS3_Lb0EPaS7_N6thrust23THRUST_200600_302600_NS10device_ptrIlEESB_jNS0_19identity_decomposerENS1_16block_id_wrapperIjLb0EEEEE10hipError_tT1_PNSt15iterator_traitsISG_E10value_typeET2_T3_PNSH_ISM_E10value_typeET4_T5_PSR_SS_PNS1_23onesweep_lookback_stateEbbT6_jjT7_P12ihipStream_tbENKUlT_T0_SG_SL_E_clIS7_S7_PlSB_EEDaSZ_S10_SG_SL_EUlSZ_E_NS1_11comp_targetILNS1_3genE2ELNS1_11target_archE906ELNS1_3gpuE6ELNS1_3repE0EEENS1_47radix_sort_onesweep_sort_config_static_selectorELNS0_4arch9wavefront6targetE1EEEvSG_
    .private_segment_fixed_size: 32
    .sgpr_count:     57
    .sgpr_spill_count: 0
    .symbol:         _ZN7rocprim17ROCPRIM_400000_NS6detail17trampoline_kernelINS0_14default_configENS1_35radix_sort_onesweep_config_selectorIalEEZZNS1_29radix_sort_onesweep_iterationIS3_Lb0EPaS7_N6thrust23THRUST_200600_302600_NS10device_ptrIlEESB_jNS0_19identity_decomposerENS1_16block_id_wrapperIjLb0EEEEE10hipError_tT1_PNSt15iterator_traitsISG_E10value_typeET2_T3_PNSH_ISM_E10value_typeET4_T5_PSR_SS_PNS1_23onesweep_lookback_stateEbbT6_jjT7_P12ihipStream_tbENKUlT_T0_SG_SL_E_clIS7_S7_PlSB_EEDaSZ_S10_SG_SL_EUlSZ_E_NS1_11comp_targetILNS1_3genE2ELNS1_11target_archE906ELNS1_3gpuE6ELNS1_3repE0EEENS1_47radix_sort_onesweep_sort_config_static_selectorELNS0_4arch9wavefront6targetE1EEEvSG_.kd
    .uniform_work_group_size: 1
    .uses_dynamic_stack: false
    .vgpr_count:     41
    .vgpr_spill_count: 0
    .wavefront_size: 64
  - .args:
      - .offset:         0
        .size:           88
        .value_kind:     by_value
    .group_segment_fixed_size: 0
    .kernarg_segment_align: 8
    .kernarg_segment_size: 88
    .language:       OpenCL C
    .language_version:
      - 2
      - 0
    .max_flat_workgroup_size: 1024
    .name:           _ZN7rocprim17ROCPRIM_400000_NS6detail17trampoline_kernelINS0_14default_configENS1_35radix_sort_onesweep_config_selectorIalEEZZNS1_29radix_sort_onesweep_iterationIS3_Lb0EPaS7_N6thrust23THRUST_200600_302600_NS10device_ptrIlEESB_jNS0_19identity_decomposerENS1_16block_id_wrapperIjLb0EEEEE10hipError_tT1_PNSt15iterator_traitsISG_E10value_typeET2_T3_PNSH_ISM_E10value_typeET4_T5_PSR_SS_PNS1_23onesweep_lookback_stateEbbT6_jjT7_P12ihipStream_tbENKUlT_T0_SG_SL_E_clIS7_S7_PlSB_EEDaSZ_S10_SG_SL_EUlSZ_E_NS1_11comp_targetILNS1_3genE4ELNS1_11target_archE910ELNS1_3gpuE8ELNS1_3repE0EEENS1_47radix_sort_onesweep_sort_config_static_selectorELNS0_4arch9wavefront6targetE1EEEvSG_
    .private_segment_fixed_size: 0
    .sgpr_count:     4
    .sgpr_spill_count: 0
    .symbol:         _ZN7rocprim17ROCPRIM_400000_NS6detail17trampoline_kernelINS0_14default_configENS1_35radix_sort_onesweep_config_selectorIalEEZZNS1_29radix_sort_onesweep_iterationIS3_Lb0EPaS7_N6thrust23THRUST_200600_302600_NS10device_ptrIlEESB_jNS0_19identity_decomposerENS1_16block_id_wrapperIjLb0EEEEE10hipError_tT1_PNSt15iterator_traitsISG_E10value_typeET2_T3_PNSH_ISM_E10value_typeET4_T5_PSR_SS_PNS1_23onesweep_lookback_stateEbbT6_jjT7_P12ihipStream_tbENKUlT_T0_SG_SL_E_clIS7_S7_PlSB_EEDaSZ_S10_SG_SL_EUlSZ_E_NS1_11comp_targetILNS1_3genE4ELNS1_11target_archE910ELNS1_3gpuE8ELNS1_3repE0EEENS1_47radix_sort_onesweep_sort_config_static_selectorELNS0_4arch9wavefront6targetE1EEEvSG_.kd
    .uniform_work_group_size: 1
    .uses_dynamic_stack: false
    .vgpr_count:     0
    .vgpr_spill_count: 0
    .wavefront_size: 64
  - .args:
      - .offset:         0
        .size:           88
        .value_kind:     by_value
    .group_segment_fixed_size: 0
    .kernarg_segment_align: 8
    .kernarg_segment_size: 88
    .language:       OpenCL C
    .language_version:
      - 2
      - 0
    .max_flat_workgroup_size: 1024
    .name:           _ZN7rocprim17ROCPRIM_400000_NS6detail17trampoline_kernelINS0_14default_configENS1_35radix_sort_onesweep_config_selectorIalEEZZNS1_29radix_sort_onesweep_iterationIS3_Lb0EPaS7_N6thrust23THRUST_200600_302600_NS10device_ptrIlEESB_jNS0_19identity_decomposerENS1_16block_id_wrapperIjLb0EEEEE10hipError_tT1_PNSt15iterator_traitsISG_E10value_typeET2_T3_PNSH_ISM_E10value_typeET4_T5_PSR_SS_PNS1_23onesweep_lookback_stateEbbT6_jjT7_P12ihipStream_tbENKUlT_T0_SG_SL_E_clIS7_S7_PlSB_EEDaSZ_S10_SG_SL_EUlSZ_E_NS1_11comp_targetILNS1_3genE3ELNS1_11target_archE908ELNS1_3gpuE7ELNS1_3repE0EEENS1_47radix_sort_onesweep_sort_config_static_selectorELNS0_4arch9wavefront6targetE1EEEvSG_
    .private_segment_fixed_size: 0
    .sgpr_count:     4
    .sgpr_spill_count: 0
    .symbol:         _ZN7rocprim17ROCPRIM_400000_NS6detail17trampoline_kernelINS0_14default_configENS1_35radix_sort_onesweep_config_selectorIalEEZZNS1_29radix_sort_onesweep_iterationIS3_Lb0EPaS7_N6thrust23THRUST_200600_302600_NS10device_ptrIlEESB_jNS0_19identity_decomposerENS1_16block_id_wrapperIjLb0EEEEE10hipError_tT1_PNSt15iterator_traitsISG_E10value_typeET2_T3_PNSH_ISM_E10value_typeET4_T5_PSR_SS_PNS1_23onesweep_lookback_stateEbbT6_jjT7_P12ihipStream_tbENKUlT_T0_SG_SL_E_clIS7_S7_PlSB_EEDaSZ_S10_SG_SL_EUlSZ_E_NS1_11comp_targetILNS1_3genE3ELNS1_11target_archE908ELNS1_3gpuE7ELNS1_3repE0EEENS1_47radix_sort_onesweep_sort_config_static_selectorELNS0_4arch9wavefront6targetE1EEEvSG_.kd
    .uniform_work_group_size: 1
    .uses_dynamic_stack: false
    .vgpr_count:     0
    .vgpr_spill_count: 0
    .wavefront_size: 64
  - .args:
      - .offset:         0
        .size:           88
        .value_kind:     by_value
    .group_segment_fixed_size: 0
    .kernarg_segment_align: 8
    .kernarg_segment_size: 88
    .language:       OpenCL C
    .language_version:
      - 2
      - 0
    .max_flat_workgroup_size: 1024
    .name:           _ZN7rocprim17ROCPRIM_400000_NS6detail17trampoline_kernelINS0_14default_configENS1_35radix_sort_onesweep_config_selectorIalEEZZNS1_29radix_sort_onesweep_iterationIS3_Lb0EPaS7_N6thrust23THRUST_200600_302600_NS10device_ptrIlEESB_jNS0_19identity_decomposerENS1_16block_id_wrapperIjLb0EEEEE10hipError_tT1_PNSt15iterator_traitsISG_E10value_typeET2_T3_PNSH_ISM_E10value_typeET4_T5_PSR_SS_PNS1_23onesweep_lookback_stateEbbT6_jjT7_P12ihipStream_tbENKUlT_T0_SG_SL_E_clIS7_S7_PlSB_EEDaSZ_S10_SG_SL_EUlSZ_E_NS1_11comp_targetILNS1_3genE10ELNS1_11target_archE1201ELNS1_3gpuE5ELNS1_3repE0EEENS1_47radix_sort_onesweep_sort_config_static_selectorELNS0_4arch9wavefront6targetE1EEEvSG_
    .private_segment_fixed_size: 0
    .sgpr_count:     4
    .sgpr_spill_count: 0
    .symbol:         _ZN7rocprim17ROCPRIM_400000_NS6detail17trampoline_kernelINS0_14default_configENS1_35radix_sort_onesweep_config_selectorIalEEZZNS1_29radix_sort_onesweep_iterationIS3_Lb0EPaS7_N6thrust23THRUST_200600_302600_NS10device_ptrIlEESB_jNS0_19identity_decomposerENS1_16block_id_wrapperIjLb0EEEEE10hipError_tT1_PNSt15iterator_traitsISG_E10value_typeET2_T3_PNSH_ISM_E10value_typeET4_T5_PSR_SS_PNS1_23onesweep_lookback_stateEbbT6_jjT7_P12ihipStream_tbENKUlT_T0_SG_SL_E_clIS7_S7_PlSB_EEDaSZ_S10_SG_SL_EUlSZ_E_NS1_11comp_targetILNS1_3genE10ELNS1_11target_archE1201ELNS1_3gpuE5ELNS1_3repE0EEENS1_47radix_sort_onesweep_sort_config_static_selectorELNS0_4arch9wavefront6targetE1EEEvSG_.kd
    .uniform_work_group_size: 1
    .uses_dynamic_stack: false
    .vgpr_count:     0
    .vgpr_spill_count: 0
    .wavefront_size: 64
  - .args:
      - .offset:         0
        .size:           88
        .value_kind:     by_value
    .group_segment_fixed_size: 0
    .kernarg_segment_align: 8
    .kernarg_segment_size: 88
    .language:       OpenCL C
    .language_version:
      - 2
      - 0
    .max_flat_workgroup_size: 1024
    .name:           _ZN7rocprim17ROCPRIM_400000_NS6detail17trampoline_kernelINS0_14default_configENS1_35radix_sort_onesweep_config_selectorIalEEZZNS1_29radix_sort_onesweep_iterationIS3_Lb0EPaS7_N6thrust23THRUST_200600_302600_NS10device_ptrIlEESB_jNS0_19identity_decomposerENS1_16block_id_wrapperIjLb0EEEEE10hipError_tT1_PNSt15iterator_traitsISG_E10value_typeET2_T3_PNSH_ISM_E10value_typeET4_T5_PSR_SS_PNS1_23onesweep_lookback_stateEbbT6_jjT7_P12ihipStream_tbENKUlT_T0_SG_SL_E_clIS7_S7_PlSB_EEDaSZ_S10_SG_SL_EUlSZ_E_NS1_11comp_targetILNS1_3genE9ELNS1_11target_archE1100ELNS1_3gpuE3ELNS1_3repE0EEENS1_47radix_sort_onesweep_sort_config_static_selectorELNS0_4arch9wavefront6targetE1EEEvSG_
    .private_segment_fixed_size: 0
    .sgpr_count:     4
    .sgpr_spill_count: 0
    .symbol:         _ZN7rocprim17ROCPRIM_400000_NS6detail17trampoline_kernelINS0_14default_configENS1_35radix_sort_onesweep_config_selectorIalEEZZNS1_29radix_sort_onesweep_iterationIS3_Lb0EPaS7_N6thrust23THRUST_200600_302600_NS10device_ptrIlEESB_jNS0_19identity_decomposerENS1_16block_id_wrapperIjLb0EEEEE10hipError_tT1_PNSt15iterator_traitsISG_E10value_typeET2_T3_PNSH_ISM_E10value_typeET4_T5_PSR_SS_PNS1_23onesweep_lookback_stateEbbT6_jjT7_P12ihipStream_tbENKUlT_T0_SG_SL_E_clIS7_S7_PlSB_EEDaSZ_S10_SG_SL_EUlSZ_E_NS1_11comp_targetILNS1_3genE9ELNS1_11target_archE1100ELNS1_3gpuE3ELNS1_3repE0EEENS1_47radix_sort_onesweep_sort_config_static_selectorELNS0_4arch9wavefront6targetE1EEEvSG_.kd
    .uniform_work_group_size: 1
    .uses_dynamic_stack: false
    .vgpr_count:     0
    .vgpr_spill_count: 0
    .wavefront_size: 64
  - .args:
      - .offset:         0
        .size:           88
        .value_kind:     by_value
    .group_segment_fixed_size: 0
    .kernarg_segment_align: 8
    .kernarg_segment_size: 88
    .language:       OpenCL C
    .language_version:
      - 2
      - 0
    .max_flat_workgroup_size: 1024
    .name:           _ZN7rocprim17ROCPRIM_400000_NS6detail17trampoline_kernelINS0_14default_configENS1_35radix_sort_onesweep_config_selectorIalEEZZNS1_29radix_sort_onesweep_iterationIS3_Lb0EPaS7_N6thrust23THRUST_200600_302600_NS10device_ptrIlEESB_jNS0_19identity_decomposerENS1_16block_id_wrapperIjLb0EEEEE10hipError_tT1_PNSt15iterator_traitsISG_E10value_typeET2_T3_PNSH_ISM_E10value_typeET4_T5_PSR_SS_PNS1_23onesweep_lookback_stateEbbT6_jjT7_P12ihipStream_tbENKUlT_T0_SG_SL_E_clIS7_S7_PlSB_EEDaSZ_S10_SG_SL_EUlSZ_E_NS1_11comp_targetILNS1_3genE8ELNS1_11target_archE1030ELNS1_3gpuE2ELNS1_3repE0EEENS1_47radix_sort_onesweep_sort_config_static_selectorELNS0_4arch9wavefront6targetE1EEEvSG_
    .private_segment_fixed_size: 0
    .sgpr_count:     4
    .sgpr_spill_count: 0
    .symbol:         _ZN7rocprim17ROCPRIM_400000_NS6detail17trampoline_kernelINS0_14default_configENS1_35radix_sort_onesweep_config_selectorIalEEZZNS1_29radix_sort_onesweep_iterationIS3_Lb0EPaS7_N6thrust23THRUST_200600_302600_NS10device_ptrIlEESB_jNS0_19identity_decomposerENS1_16block_id_wrapperIjLb0EEEEE10hipError_tT1_PNSt15iterator_traitsISG_E10value_typeET2_T3_PNSH_ISM_E10value_typeET4_T5_PSR_SS_PNS1_23onesweep_lookback_stateEbbT6_jjT7_P12ihipStream_tbENKUlT_T0_SG_SL_E_clIS7_S7_PlSB_EEDaSZ_S10_SG_SL_EUlSZ_E_NS1_11comp_targetILNS1_3genE8ELNS1_11target_archE1030ELNS1_3gpuE2ELNS1_3repE0EEENS1_47radix_sort_onesweep_sort_config_static_selectorELNS0_4arch9wavefront6targetE1EEEvSG_.kd
    .uniform_work_group_size: 1
    .uses_dynamic_stack: false
    .vgpr_count:     0
    .vgpr_spill_count: 0
    .wavefront_size: 64
  - .args:
      - .offset:         0
        .size:           72
        .value_kind:     by_value
    .group_segment_fixed_size: 0
    .kernarg_segment_align: 8
    .kernarg_segment_size: 72
    .language:       OpenCL C
    .language_version:
      - 2
      - 0
    .max_flat_workgroup_size: 256
    .name:           _ZN7rocprim17ROCPRIM_400000_NS6detail17trampoline_kernelINS0_14default_configENS1_22reduce_config_selectorIiEEZNS1_11reduce_implILb1ES3_N6thrust23THRUST_200600_302600_NS11hip_rocprim35transform_pair_of_input_iterators_tIiPaSB_NS8_12not_equal_toIaEEEEPiiNS8_4plusIiEEEE10hipError_tPvRmT1_T2_T3_mT4_P12ihipStream_tbEUlT_E0_NS1_11comp_targetILNS1_3genE0ELNS1_11target_archE4294967295ELNS1_3gpuE0ELNS1_3repE0EEENS1_30default_config_static_selectorELNS0_4arch9wavefront6targetE1EEEvSL_
    .private_segment_fixed_size: 0
    .sgpr_count:     4
    .sgpr_spill_count: 0
    .symbol:         _ZN7rocprim17ROCPRIM_400000_NS6detail17trampoline_kernelINS0_14default_configENS1_22reduce_config_selectorIiEEZNS1_11reduce_implILb1ES3_N6thrust23THRUST_200600_302600_NS11hip_rocprim35transform_pair_of_input_iterators_tIiPaSB_NS8_12not_equal_toIaEEEEPiiNS8_4plusIiEEEE10hipError_tPvRmT1_T2_T3_mT4_P12ihipStream_tbEUlT_E0_NS1_11comp_targetILNS1_3genE0ELNS1_11target_archE4294967295ELNS1_3gpuE0ELNS1_3repE0EEENS1_30default_config_static_selectorELNS0_4arch9wavefront6targetE1EEEvSL_.kd
    .uniform_work_group_size: 1
    .uses_dynamic_stack: false
    .vgpr_count:     0
    .vgpr_spill_count: 0
    .wavefront_size: 64
  - .args:
      - .offset:         0
        .size:           72
        .value_kind:     by_value
    .group_segment_fixed_size: 0
    .kernarg_segment_align: 8
    .kernarg_segment_size: 72
    .language:       OpenCL C
    .language_version:
      - 2
      - 0
    .max_flat_workgroup_size: 256
    .name:           _ZN7rocprim17ROCPRIM_400000_NS6detail17trampoline_kernelINS0_14default_configENS1_22reduce_config_selectorIiEEZNS1_11reduce_implILb1ES3_N6thrust23THRUST_200600_302600_NS11hip_rocprim35transform_pair_of_input_iterators_tIiPaSB_NS8_12not_equal_toIaEEEEPiiNS8_4plusIiEEEE10hipError_tPvRmT1_T2_T3_mT4_P12ihipStream_tbEUlT_E0_NS1_11comp_targetILNS1_3genE5ELNS1_11target_archE942ELNS1_3gpuE9ELNS1_3repE0EEENS1_30default_config_static_selectorELNS0_4arch9wavefront6targetE1EEEvSL_
    .private_segment_fixed_size: 0
    .sgpr_count:     4
    .sgpr_spill_count: 0
    .symbol:         _ZN7rocprim17ROCPRIM_400000_NS6detail17trampoline_kernelINS0_14default_configENS1_22reduce_config_selectorIiEEZNS1_11reduce_implILb1ES3_N6thrust23THRUST_200600_302600_NS11hip_rocprim35transform_pair_of_input_iterators_tIiPaSB_NS8_12not_equal_toIaEEEEPiiNS8_4plusIiEEEE10hipError_tPvRmT1_T2_T3_mT4_P12ihipStream_tbEUlT_E0_NS1_11comp_targetILNS1_3genE5ELNS1_11target_archE942ELNS1_3gpuE9ELNS1_3repE0EEENS1_30default_config_static_selectorELNS0_4arch9wavefront6targetE1EEEvSL_.kd
    .uniform_work_group_size: 1
    .uses_dynamic_stack: false
    .vgpr_count:     0
    .vgpr_spill_count: 0
    .wavefront_size: 64
  - .args:
      - .offset:         0
        .size:           72
        .value_kind:     by_value
    .group_segment_fixed_size: 0
    .kernarg_segment_align: 8
    .kernarg_segment_size: 72
    .language:       OpenCL C
    .language_version:
      - 2
      - 0
    .max_flat_workgroup_size: 128
    .name:           _ZN7rocprim17ROCPRIM_400000_NS6detail17trampoline_kernelINS0_14default_configENS1_22reduce_config_selectorIiEEZNS1_11reduce_implILb1ES3_N6thrust23THRUST_200600_302600_NS11hip_rocprim35transform_pair_of_input_iterators_tIiPaSB_NS8_12not_equal_toIaEEEEPiiNS8_4plusIiEEEE10hipError_tPvRmT1_T2_T3_mT4_P12ihipStream_tbEUlT_E0_NS1_11comp_targetILNS1_3genE4ELNS1_11target_archE910ELNS1_3gpuE8ELNS1_3repE0EEENS1_30default_config_static_selectorELNS0_4arch9wavefront6targetE1EEEvSL_
    .private_segment_fixed_size: 0
    .sgpr_count:     4
    .sgpr_spill_count: 0
    .symbol:         _ZN7rocprim17ROCPRIM_400000_NS6detail17trampoline_kernelINS0_14default_configENS1_22reduce_config_selectorIiEEZNS1_11reduce_implILb1ES3_N6thrust23THRUST_200600_302600_NS11hip_rocprim35transform_pair_of_input_iterators_tIiPaSB_NS8_12not_equal_toIaEEEEPiiNS8_4plusIiEEEE10hipError_tPvRmT1_T2_T3_mT4_P12ihipStream_tbEUlT_E0_NS1_11comp_targetILNS1_3genE4ELNS1_11target_archE910ELNS1_3gpuE8ELNS1_3repE0EEENS1_30default_config_static_selectorELNS0_4arch9wavefront6targetE1EEEvSL_.kd
    .uniform_work_group_size: 1
    .uses_dynamic_stack: false
    .vgpr_count:     0
    .vgpr_spill_count: 0
    .wavefront_size: 64
  - .args:
      - .offset:         0
        .size:           72
        .value_kind:     by_value
    .group_segment_fixed_size: 0
    .kernarg_segment_align: 8
    .kernarg_segment_size: 72
    .language:       OpenCL C
    .language_version:
      - 2
      - 0
    .max_flat_workgroup_size: 256
    .name:           _ZN7rocprim17ROCPRIM_400000_NS6detail17trampoline_kernelINS0_14default_configENS1_22reduce_config_selectorIiEEZNS1_11reduce_implILb1ES3_N6thrust23THRUST_200600_302600_NS11hip_rocprim35transform_pair_of_input_iterators_tIiPaSB_NS8_12not_equal_toIaEEEEPiiNS8_4plusIiEEEE10hipError_tPvRmT1_T2_T3_mT4_P12ihipStream_tbEUlT_E0_NS1_11comp_targetILNS1_3genE3ELNS1_11target_archE908ELNS1_3gpuE7ELNS1_3repE0EEENS1_30default_config_static_selectorELNS0_4arch9wavefront6targetE1EEEvSL_
    .private_segment_fixed_size: 0
    .sgpr_count:     4
    .sgpr_spill_count: 0
    .symbol:         _ZN7rocprim17ROCPRIM_400000_NS6detail17trampoline_kernelINS0_14default_configENS1_22reduce_config_selectorIiEEZNS1_11reduce_implILb1ES3_N6thrust23THRUST_200600_302600_NS11hip_rocprim35transform_pair_of_input_iterators_tIiPaSB_NS8_12not_equal_toIaEEEEPiiNS8_4plusIiEEEE10hipError_tPvRmT1_T2_T3_mT4_P12ihipStream_tbEUlT_E0_NS1_11comp_targetILNS1_3genE3ELNS1_11target_archE908ELNS1_3gpuE7ELNS1_3repE0EEENS1_30default_config_static_selectorELNS0_4arch9wavefront6targetE1EEEvSL_.kd
    .uniform_work_group_size: 1
    .uses_dynamic_stack: false
    .vgpr_count:     0
    .vgpr_spill_count: 0
    .wavefront_size: 64
  - .args:
      - .offset:         0
        .size:           72
        .value_kind:     by_value
    .group_segment_fixed_size: 32
    .kernarg_segment_align: 8
    .kernarg_segment_size: 72
    .language:       OpenCL C
    .language_version:
      - 2
      - 0
    .max_flat_workgroup_size: 256
    .name:           _ZN7rocprim17ROCPRIM_400000_NS6detail17trampoline_kernelINS0_14default_configENS1_22reduce_config_selectorIiEEZNS1_11reduce_implILb1ES3_N6thrust23THRUST_200600_302600_NS11hip_rocprim35transform_pair_of_input_iterators_tIiPaSB_NS8_12not_equal_toIaEEEEPiiNS8_4plusIiEEEE10hipError_tPvRmT1_T2_T3_mT4_P12ihipStream_tbEUlT_E0_NS1_11comp_targetILNS1_3genE2ELNS1_11target_archE906ELNS1_3gpuE6ELNS1_3repE0EEENS1_30default_config_static_selectorELNS0_4arch9wavefront6targetE1EEEvSL_
    .private_segment_fixed_size: 0
    .sgpr_count:     28
    .sgpr_spill_count: 0
    .symbol:         _ZN7rocprim17ROCPRIM_400000_NS6detail17trampoline_kernelINS0_14default_configENS1_22reduce_config_selectorIiEEZNS1_11reduce_implILb1ES3_N6thrust23THRUST_200600_302600_NS11hip_rocprim35transform_pair_of_input_iterators_tIiPaSB_NS8_12not_equal_toIaEEEEPiiNS8_4plusIiEEEE10hipError_tPvRmT1_T2_T3_mT4_P12ihipStream_tbEUlT_E0_NS1_11comp_targetILNS1_3genE2ELNS1_11target_archE906ELNS1_3gpuE6ELNS1_3repE0EEENS1_30default_config_static_selectorELNS0_4arch9wavefront6targetE1EEEvSL_.kd
    .uniform_work_group_size: 1
    .uses_dynamic_stack: false
    .vgpr_count:     12
    .vgpr_spill_count: 0
    .wavefront_size: 64
  - .args:
      - .offset:         0
        .size:           72
        .value_kind:     by_value
    .group_segment_fixed_size: 0
    .kernarg_segment_align: 8
    .kernarg_segment_size: 72
    .language:       OpenCL C
    .language_version:
      - 2
      - 0
    .max_flat_workgroup_size: 256
    .name:           _ZN7rocprim17ROCPRIM_400000_NS6detail17trampoline_kernelINS0_14default_configENS1_22reduce_config_selectorIiEEZNS1_11reduce_implILb1ES3_N6thrust23THRUST_200600_302600_NS11hip_rocprim35transform_pair_of_input_iterators_tIiPaSB_NS8_12not_equal_toIaEEEEPiiNS8_4plusIiEEEE10hipError_tPvRmT1_T2_T3_mT4_P12ihipStream_tbEUlT_E0_NS1_11comp_targetILNS1_3genE10ELNS1_11target_archE1201ELNS1_3gpuE5ELNS1_3repE0EEENS1_30default_config_static_selectorELNS0_4arch9wavefront6targetE1EEEvSL_
    .private_segment_fixed_size: 0
    .sgpr_count:     4
    .sgpr_spill_count: 0
    .symbol:         _ZN7rocprim17ROCPRIM_400000_NS6detail17trampoline_kernelINS0_14default_configENS1_22reduce_config_selectorIiEEZNS1_11reduce_implILb1ES3_N6thrust23THRUST_200600_302600_NS11hip_rocprim35transform_pair_of_input_iterators_tIiPaSB_NS8_12not_equal_toIaEEEEPiiNS8_4plusIiEEEE10hipError_tPvRmT1_T2_T3_mT4_P12ihipStream_tbEUlT_E0_NS1_11comp_targetILNS1_3genE10ELNS1_11target_archE1201ELNS1_3gpuE5ELNS1_3repE0EEENS1_30default_config_static_selectorELNS0_4arch9wavefront6targetE1EEEvSL_.kd
    .uniform_work_group_size: 1
    .uses_dynamic_stack: false
    .vgpr_count:     0
    .vgpr_spill_count: 0
    .wavefront_size: 64
  - .args:
      - .offset:         0
        .size:           72
        .value_kind:     by_value
    .group_segment_fixed_size: 0
    .kernarg_segment_align: 8
    .kernarg_segment_size: 72
    .language:       OpenCL C
    .language_version:
      - 2
      - 0
    .max_flat_workgroup_size: 256
    .name:           _ZN7rocprim17ROCPRIM_400000_NS6detail17trampoline_kernelINS0_14default_configENS1_22reduce_config_selectorIiEEZNS1_11reduce_implILb1ES3_N6thrust23THRUST_200600_302600_NS11hip_rocprim35transform_pair_of_input_iterators_tIiPaSB_NS8_12not_equal_toIaEEEEPiiNS8_4plusIiEEEE10hipError_tPvRmT1_T2_T3_mT4_P12ihipStream_tbEUlT_E0_NS1_11comp_targetILNS1_3genE10ELNS1_11target_archE1200ELNS1_3gpuE4ELNS1_3repE0EEENS1_30default_config_static_selectorELNS0_4arch9wavefront6targetE1EEEvSL_
    .private_segment_fixed_size: 0
    .sgpr_count:     4
    .sgpr_spill_count: 0
    .symbol:         _ZN7rocprim17ROCPRIM_400000_NS6detail17trampoline_kernelINS0_14default_configENS1_22reduce_config_selectorIiEEZNS1_11reduce_implILb1ES3_N6thrust23THRUST_200600_302600_NS11hip_rocprim35transform_pair_of_input_iterators_tIiPaSB_NS8_12not_equal_toIaEEEEPiiNS8_4plusIiEEEE10hipError_tPvRmT1_T2_T3_mT4_P12ihipStream_tbEUlT_E0_NS1_11comp_targetILNS1_3genE10ELNS1_11target_archE1200ELNS1_3gpuE4ELNS1_3repE0EEENS1_30default_config_static_selectorELNS0_4arch9wavefront6targetE1EEEvSL_.kd
    .uniform_work_group_size: 1
    .uses_dynamic_stack: false
    .vgpr_count:     0
    .vgpr_spill_count: 0
    .wavefront_size: 64
  - .args:
      - .offset:         0
        .size:           72
        .value_kind:     by_value
    .group_segment_fixed_size: 0
    .kernarg_segment_align: 8
    .kernarg_segment_size: 72
    .language:       OpenCL C
    .language_version:
      - 2
      - 0
    .max_flat_workgroup_size: 256
    .name:           _ZN7rocprim17ROCPRIM_400000_NS6detail17trampoline_kernelINS0_14default_configENS1_22reduce_config_selectorIiEEZNS1_11reduce_implILb1ES3_N6thrust23THRUST_200600_302600_NS11hip_rocprim35transform_pair_of_input_iterators_tIiPaSB_NS8_12not_equal_toIaEEEEPiiNS8_4plusIiEEEE10hipError_tPvRmT1_T2_T3_mT4_P12ihipStream_tbEUlT_E0_NS1_11comp_targetILNS1_3genE9ELNS1_11target_archE1100ELNS1_3gpuE3ELNS1_3repE0EEENS1_30default_config_static_selectorELNS0_4arch9wavefront6targetE1EEEvSL_
    .private_segment_fixed_size: 0
    .sgpr_count:     4
    .sgpr_spill_count: 0
    .symbol:         _ZN7rocprim17ROCPRIM_400000_NS6detail17trampoline_kernelINS0_14default_configENS1_22reduce_config_selectorIiEEZNS1_11reduce_implILb1ES3_N6thrust23THRUST_200600_302600_NS11hip_rocprim35transform_pair_of_input_iterators_tIiPaSB_NS8_12not_equal_toIaEEEEPiiNS8_4plusIiEEEE10hipError_tPvRmT1_T2_T3_mT4_P12ihipStream_tbEUlT_E0_NS1_11comp_targetILNS1_3genE9ELNS1_11target_archE1100ELNS1_3gpuE3ELNS1_3repE0EEENS1_30default_config_static_selectorELNS0_4arch9wavefront6targetE1EEEvSL_.kd
    .uniform_work_group_size: 1
    .uses_dynamic_stack: false
    .vgpr_count:     0
    .vgpr_spill_count: 0
    .wavefront_size: 64
  - .args:
      - .offset:         0
        .size:           72
        .value_kind:     by_value
    .group_segment_fixed_size: 0
    .kernarg_segment_align: 8
    .kernarg_segment_size: 72
    .language:       OpenCL C
    .language_version:
      - 2
      - 0
    .max_flat_workgroup_size: 256
    .name:           _ZN7rocprim17ROCPRIM_400000_NS6detail17trampoline_kernelINS0_14default_configENS1_22reduce_config_selectorIiEEZNS1_11reduce_implILb1ES3_N6thrust23THRUST_200600_302600_NS11hip_rocprim35transform_pair_of_input_iterators_tIiPaSB_NS8_12not_equal_toIaEEEEPiiNS8_4plusIiEEEE10hipError_tPvRmT1_T2_T3_mT4_P12ihipStream_tbEUlT_E0_NS1_11comp_targetILNS1_3genE8ELNS1_11target_archE1030ELNS1_3gpuE2ELNS1_3repE0EEENS1_30default_config_static_selectorELNS0_4arch9wavefront6targetE1EEEvSL_
    .private_segment_fixed_size: 0
    .sgpr_count:     4
    .sgpr_spill_count: 0
    .symbol:         _ZN7rocprim17ROCPRIM_400000_NS6detail17trampoline_kernelINS0_14default_configENS1_22reduce_config_selectorIiEEZNS1_11reduce_implILb1ES3_N6thrust23THRUST_200600_302600_NS11hip_rocprim35transform_pair_of_input_iterators_tIiPaSB_NS8_12not_equal_toIaEEEEPiiNS8_4plusIiEEEE10hipError_tPvRmT1_T2_T3_mT4_P12ihipStream_tbEUlT_E0_NS1_11comp_targetILNS1_3genE8ELNS1_11target_archE1030ELNS1_3gpuE2ELNS1_3repE0EEENS1_30default_config_static_selectorELNS0_4arch9wavefront6targetE1EEEvSL_.kd
    .uniform_work_group_size: 1
    .uses_dynamic_stack: false
    .vgpr_count:     0
    .vgpr_spill_count: 0
    .wavefront_size: 64
  - .args:
      - .offset:         0
        .size:           56
        .value_kind:     by_value
    .group_segment_fixed_size: 0
    .kernarg_segment_align: 8
    .kernarg_segment_size: 56
    .language:       OpenCL C
    .language_version:
      - 2
      - 0
    .max_flat_workgroup_size: 256
    .name:           _ZN7rocprim17ROCPRIM_400000_NS6detail17trampoline_kernelINS0_14default_configENS1_22reduce_config_selectorIiEEZNS1_11reduce_implILb1ES3_N6thrust23THRUST_200600_302600_NS11hip_rocprim35transform_pair_of_input_iterators_tIiPaSB_NS8_12not_equal_toIaEEEEPiiNS8_4plusIiEEEE10hipError_tPvRmT1_T2_T3_mT4_P12ihipStream_tbEUlT_E1_NS1_11comp_targetILNS1_3genE0ELNS1_11target_archE4294967295ELNS1_3gpuE0ELNS1_3repE0EEENS1_30default_config_static_selectorELNS0_4arch9wavefront6targetE1EEEvSL_
    .private_segment_fixed_size: 0
    .sgpr_count:     4
    .sgpr_spill_count: 0
    .symbol:         _ZN7rocprim17ROCPRIM_400000_NS6detail17trampoline_kernelINS0_14default_configENS1_22reduce_config_selectorIiEEZNS1_11reduce_implILb1ES3_N6thrust23THRUST_200600_302600_NS11hip_rocprim35transform_pair_of_input_iterators_tIiPaSB_NS8_12not_equal_toIaEEEEPiiNS8_4plusIiEEEE10hipError_tPvRmT1_T2_T3_mT4_P12ihipStream_tbEUlT_E1_NS1_11comp_targetILNS1_3genE0ELNS1_11target_archE4294967295ELNS1_3gpuE0ELNS1_3repE0EEENS1_30default_config_static_selectorELNS0_4arch9wavefront6targetE1EEEvSL_.kd
    .uniform_work_group_size: 1
    .uses_dynamic_stack: false
    .vgpr_count:     0
    .vgpr_spill_count: 0
    .wavefront_size: 64
  - .args:
      - .offset:         0
        .size:           56
        .value_kind:     by_value
    .group_segment_fixed_size: 0
    .kernarg_segment_align: 8
    .kernarg_segment_size: 56
    .language:       OpenCL C
    .language_version:
      - 2
      - 0
    .max_flat_workgroup_size: 256
    .name:           _ZN7rocprim17ROCPRIM_400000_NS6detail17trampoline_kernelINS0_14default_configENS1_22reduce_config_selectorIiEEZNS1_11reduce_implILb1ES3_N6thrust23THRUST_200600_302600_NS11hip_rocprim35transform_pair_of_input_iterators_tIiPaSB_NS8_12not_equal_toIaEEEEPiiNS8_4plusIiEEEE10hipError_tPvRmT1_T2_T3_mT4_P12ihipStream_tbEUlT_E1_NS1_11comp_targetILNS1_3genE5ELNS1_11target_archE942ELNS1_3gpuE9ELNS1_3repE0EEENS1_30default_config_static_selectorELNS0_4arch9wavefront6targetE1EEEvSL_
    .private_segment_fixed_size: 0
    .sgpr_count:     4
    .sgpr_spill_count: 0
    .symbol:         _ZN7rocprim17ROCPRIM_400000_NS6detail17trampoline_kernelINS0_14default_configENS1_22reduce_config_selectorIiEEZNS1_11reduce_implILb1ES3_N6thrust23THRUST_200600_302600_NS11hip_rocprim35transform_pair_of_input_iterators_tIiPaSB_NS8_12not_equal_toIaEEEEPiiNS8_4plusIiEEEE10hipError_tPvRmT1_T2_T3_mT4_P12ihipStream_tbEUlT_E1_NS1_11comp_targetILNS1_3genE5ELNS1_11target_archE942ELNS1_3gpuE9ELNS1_3repE0EEENS1_30default_config_static_selectorELNS0_4arch9wavefront6targetE1EEEvSL_.kd
    .uniform_work_group_size: 1
    .uses_dynamic_stack: false
    .vgpr_count:     0
    .vgpr_spill_count: 0
    .wavefront_size: 64
  - .args:
      - .offset:         0
        .size:           56
        .value_kind:     by_value
    .group_segment_fixed_size: 0
    .kernarg_segment_align: 8
    .kernarg_segment_size: 56
    .language:       OpenCL C
    .language_version:
      - 2
      - 0
    .max_flat_workgroup_size: 128
    .name:           _ZN7rocprim17ROCPRIM_400000_NS6detail17trampoline_kernelINS0_14default_configENS1_22reduce_config_selectorIiEEZNS1_11reduce_implILb1ES3_N6thrust23THRUST_200600_302600_NS11hip_rocprim35transform_pair_of_input_iterators_tIiPaSB_NS8_12not_equal_toIaEEEEPiiNS8_4plusIiEEEE10hipError_tPvRmT1_T2_T3_mT4_P12ihipStream_tbEUlT_E1_NS1_11comp_targetILNS1_3genE4ELNS1_11target_archE910ELNS1_3gpuE8ELNS1_3repE0EEENS1_30default_config_static_selectorELNS0_4arch9wavefront6targetE1EEEvSL_
    .private_segment_fixed_size: 0
    .sgpr_count:     4
    .sgpr_spill_count: 0
    .symbol:         _ZN7rocprim17ROCPRIM_400000_NS6detail17trampoline_kernelINS0_14default_configENS1_22reduce_config_selectorIiEEZNS1_11reduce_implILb1ES3_N6thrust23THRUST_200600_302600_NS11hip_rocprim35transform_pair_of_input_iterators_tIiPaSB_NS8_12not_equal_toIaEEEEPiiNS8_4plusIiEEEE10hipError_tPvRmT1_T2_T3_mT4_P12ihipStream_tbEUlT_E1_NS1_11comp_targetILNS1_3genE4ELNS1_11target_archE910ELNS1_3gpuE8ELNS1_3repE0EEENS1_30default_config_static_selectorELNS0_4arch9wavefront6targetE1EEEvSL_.kd
    .uniform_work_group_size: 1
    .uses_dynamic_stack: false
    .vgpr_count:     0
    .vgpr_spill_count: 0
    .wavefront_size: 64
  - .args:
      - .offset:         0
        .size:           56
        .value_kind:     by_value
    .group_segment_fixed_size: 0
    .kernarg_segment_align: 8
    .kernarg_segment_size: 56
    .language:       OpenCL C
    .language_version:
      - 2
      - 0
    .max_flat_workgroup_size: 256
    .name:           _ZN7rocprim17ROCPRIM_400000_NS6detail17trampoline_kernelINS0_14default_configENS1_22reduce_config_selectorIiEEZNS1_11reduce_implILb1ES3_N6thrust23THRUST_200600_302600_NS11hip_rocprim35transform_pair_of_input_iterators_tIiPaSB_NS8_12not_equal_toIaEEEEPiiNS8_4plusIiEEEE10hipError_tPvRmT1_T2_T3_mT4_P12ihipStream_tbEUlT_E1_NS1_11comp_targetILNS1_3genE3ELNS1_11target_archE908ELNS1_3gpuE7ELNS1_3repE0EEENS1_30default_config_static_selectorELNS0_4arch9wavefront6targetE1EEEvSL_
    .private_segment_fixed_size: 0
    .sgpr_count:     4
    .sgpr_spill_count: 0
    .symbol:         _ZN7rocprim17ROCPRIM_400000_NS6detail17trampoline_kernelINS0_14default_configENS1_22reduce_config_selectorIiEEZNS1_11reduce_implILb1ES3_N6thrust23THRUST_200600_302600_NS11hip_rocprim35transform_pair_of_input_iterators_tIiPaSB_NS8_12not_equal_toIaEEEEPiiNS8_4plusIiEEEE10hipError_tPvRmT1_T2_T3_mT4_P12ihipStream_tbEUlT_E1_NS1_11comp_targetILNS1_3genE3ELNS1_11target_archE908ELNS1_3gpuE7ELNS1_3repE0EEENS1_30default_config_static_selectorELNS0_4arch9wavefront6targetE1EEEvSL_.kd
    .uniform_work_group_size: 1
    .uses_dynamic_stack: false
    .vgpr_count:     0
    .vgpr_spill_count: 0
    .wavefront_size: 64
  - .args:
      - .offset:         0
        .size:           56
        .value_kind:     by_value
    .group_segment_fixed_size: 112
    .kernarg_segment_align: 8
    .kernarg_segment_size: 56
    .language:       OpenCL C
    .language_version:
      - 2
      - 0
    .max_flat_workgroup_size: 256
    .name:           _ZN7rocprim17ROCPRIM_400000_NS6detail17trampoline_kernelINS0_14default_configENS1_22reduce_config_selectorIiEEZNS1_11reduce_implILb1ES3_N6thrust23THRUST_200600_302600_NS11hip_rocprim35transform_pair_of_input_iterators_tIiPaSB_NS8_12not_equal_toIaEEEEPiiNS8_4plusIiEEEE10hipError_tPvRmT1_T2_T3_mT4_P12ihipStream_tbEUlT_E1_NS1_11comp_targetILNS1_3genE2ELNS1_11target_archE906ELNS1_3gpuE6ELNS1_3repE0EEENS1_30default_config_static_selectorELNS0_4arch9wavefront6targetE1EEEvSL_
    .private_segment_fixed_size: 0
    .sgpr_count:     55
    .sgpr_spill_count: 0
    .symbol:         _ZN7rocprim17ROCPRIM_400000_NS6detail17trampoline_kernelINS0_14default_configENS1_22reduce_config_selectorIiEEZNS1_11reduce_implILb1ES3_N6thrust23THRUST_200600_302600_NS11hip_rocprim35transform_pair_of_input_iterators_tIiPaSB_NS8_12not_equal_toIaEEEEPiiNS8_4plusIiEEEE10hipError_tPvRmT1_T2_T3_mT4_P12ihipStream_tbEUlT_E1_NS1_11comp_targetILNS1_3genE2ELNS1_11target_archE906ELNS1_3gpuE6ELNS1_3repE0EEENS1_30default_config_static_selectorELNS0_4arch9wavefront6targetE1EEEvSL_.kd
    .uniform_work_group_size: 1
    .uses_dynamic_stack: false
    .vgpr_count:     35
    .vgpr_spill_count: 0
    .wavefront_size: 64
  - .args:
      - .offset:         0
        .size:           56
        .value_kind:     by_value
    .group_segment_fixed_size: 0
    .kernarg_segment_align: 8
    .kernarg_segment_size: 56
    .language:       OpenCL C
    .language_version:
      - 2
      - 0
    .max_flat_workgroup_size: 256
    .name:           _ZN7rocprim17ROCPRIM_400000_NS6detail17trampoline_kernelINS0_14default_configENS1_22reduce_config_selectorIiEEZNS1_11reduce_implILb1ES3_N6thrust23THRUST_200600_302600_NS11hip_rocprim35transform_pair_of_input_iterators_tIiPaSB_NS8_12not_equal_toIaEEEEPiiNS8_4plusIiEEEE10hipError_tPvRmT1_T2_T3_mT4_P12ihipStream_tbEUlT_E1_NS1_11comp_targetILNS1_3genE10ELNS1_11target_archE1201ELNS1_3gpuE5ELNS1_3repE0EEENS1_30default_config_static_selectorELNS0_4arch9wavefront6targetE1EEEvSL_
    .private_segment_fixed_size: 0
    .sgpr_count:     4
    .sgpr_spill_count: 0
    .symbol:         _ZN7rocprim17ROCPRIM_400000_NS6detail17trampoline_kernelINS0_14default_configENS1_22reduce_config_selectorIiEEZNS1_11reduce_implILb1ES3_N6thrust23THRUST_200600_302600_NS11hip_rocprim35transform_pair_of_input_iterators_tIiPaSB_NS8_12not_equal_toIaEEEEPiiNS8_4plusIiEEEE10hipError_tPvRmT1_T2_T3_mT4_P12ihipStream_tbEUlT_E1_NS1_11comp_targetILNS1_3genE10ELNS1_11target_archE1201ELNS1_3gpuE5ELNS1_3repE0EEENS1_30default_config_static_selectorELNS0_4arch9wavefront6targetE1EEEvSL_.kd
    .uniform_work_group_size: 1
    .uses_dynamic_stack: false
    .vgpr_count:     0
    .vgpr_spill_count: 0
    .wavefront_size: 64
  - .args:
      - .offset:         0
        .size:           56
        .value_kind:     by_value
    .group_segment_fixed_size: 0
    .kernarg_segment_align: 8
    .kernarg_segment_size: 56
    .language:       OpenCL C
    .language_version:
      - 2
      - 0
    .max_flat_workgroup_size: 256
    .name:           _ZN7rocprim17ROCPRIM_400000_NS6detail17trampoline_kernelINS0_14default_configENS1_22reduce_config_selectorIiEEZNS1_11reduce_implILb1ES3_N6thrust23THRUST_200600_302600_NS11hip_rocprim35transform_pair_of_input_iterators_tIiPaSB_NS8_12not_equal_toIaEEEEPiiNS8_4plusIiEEEE10hipError_tPvRmT1_T2_T3_mT4_P12ihipStream_tbEUlT_E1_NS1_11comp_targetILNS1_3genE10ELNS1_11target_archE1200ELNS1_3gpuE4ELNS1_3repE0EEENS1_30default_config_static_selectorELNS0_4arch9wavefront6targetE1EEEvSL_
    .private_segment_fixed_size: 0
    .sgpr_count:     4
    .sgpr_spill_count: 0
    .symbol:         _ZN7rocprim17ROCPRIM_400000_NS6detail17trampoline_kernelINS0_14default_configENS1_22reduce_config_selectorIiEEZNS1_11reduce_implILb1ES3_N6thrust23THRUST_200600_302600_NS11hip_rocprim35transform_pair_of_input_iterators_tIiPaSB_NS8_12not_equal_toIaEEEEPiiNS8_4plusIiEEEE10hipError_tPvRmT1_T2_T3_mT4_P12ihipStream_tbEUlT_E1_NS1_11comp_targetILNS1_3genE10ELNS1_11target_archE1200ELNS1_3gpuE4ELNS1_3repE0EEENS1_30default_config_static_selectorELNS0_4arch9wavefront6targetE1EEEvSL_.kd
    .uniform_work_group_size: 1
    .uses_dynamic_stack: false
    .vgpr_count:     0
    .vgpr_spill_count: 0
    .wavefront_size: 64
  - .args:
      - .offset:         0
        .size:           56
        .value_kind:     by_value
    .group_segment_fixed_size: 0
    .kernarg_segment_align: 8
    .kernarg_segment_size: 56
    .language:       OpenCL C
    .language_version:
      - 2
      - 0
    .max_flat_workgroup_size: 256
    .name:           _ZN7rocprim17ROCPRIM_400000_NS6detail17trampoline_kernelINS0_14default_configENS1_22reduce_config_selectorIiEEZNS1_11reduce_implILb1ES3_N6thrust23THRUST_200600_302600_NS11hip_rocprim35transform_pair_of_input_iterators_tIiPaSB_NS8_12not_equal_toIaEEEEPiiNS8_4plusIiEEEE10hipError_tPvRmT1_T2_T3_mT4_P12ihipStream_tbEUlT_E1_NS1_11comp_targetILNS1_3genE9ELNS1_11target_archE1100ELNS1_3gpuE3ELNS1_3repE0EEENS1_30default_config_static_selectorELNS0_4arch9wavefront6targetE1EEEvSL_
    .private_segment_fixed_size: 0
    .sgpr_count:     4
    .sgpr_spill_count: 0
    .symbol:         _ZN7rocprim17ROCPRIM_400000_NS6detail17trampoline_kernelINS0_14default_configENS1_22reduce_config_selectorIiEEZNS1_11reduce_implILb1ES3_N6thrust23THRUST_200600_302600_NS11hip_rocprim35transform_pair_of_input_iterators_tIiPaSB_NS8_12not_equal_toIaEEEEPiiNS8_4plusIiEEEE10hipError_tPvRmT1_T2_T3_mT4_P12ihipStream_tbEUlT_E1_NS1_11comp_targetILNS1_3genE9ELNS1_11target_archE1100ELNS1_3gpuE3ELNS1_3repE0EEENS1_30default_config_static_selectorELNS0_4arch9wavefront6targetE1EEEvSL_.kd
    .uniform_work_group_size: 1
    .uses_dynamic_stack: false
    .vgpr_count:     0
    .vgpr_spill_count: 0
    .wavefront_size: 64
  - .args:
      - .offset:         0
        .size:           56
        .value_kind:     by_value
    .group_segment_fixed_size: 0
    .kernarg_segment_align: 8
    .kernarg_segment_size: 56
    .language:       OpenCL C
    .language_version:
      - 2
      - 0
    .max_flat_workgroup_size: 256
    .name:           _ZN7rocprim17ROCPRIM_400000_NS6detail17trampoline_kernelINS0_14default_configENS1_22reduce_config_selectorIiEEZNS1_11reduce_implILb1ES3_N6thrust23THRUST_200600_302600_NS11hip_rocprim35transform_pair_of_input_iterators_tIiPaSB_NS8_12not_equal_toIaEEEEPiiNS8_4plusIiEEEE10hipError_tPvRmT1_T2_T3_mT4_P12ihipStream_tbEUlT_E1_NS1_11comp_targetILNS1_3genE8ELNS1_11target_archE1030ELNS1_3gpuE2ELNS1_3repE0EEENS1_30default_config_static_selectorELNS0_4arch9wavefront6targetE1EEEvSL_
    .private_segment_fixed_size: 0
    .sgpr_count:     4
    .sgpr_spill_count: 0
    .symbol:         _ZN7rocprim17ROCPRIM_400000_NS6detail17trampoline_kernelINS0_14default_configENS1_22reduce_config_selectorIiEEZNS1_11reduce_implILb1ES3_N6thrust23THRUST_200600_302600_NS11hip_rocprim35transform_pair_of_input_iterators_tIiPaSB_NS8_12not_equal_toIaEEEEPiiNS8_4plusIiEEEE10hipError_tPvRmT1_T2_T3_mT4_P12ihipStream_tbEUlT_E1_NS1_11comp_targetILNS1_3genE8ELNS1_11target_archE1030ELNS1_3gpuE2ELNS1_3repE0EEENS1_30default_config_static_selectorELNS0_4arch9wavefront6targetE1EEEvSL_.kd
    .uniform_work_group_size: 1
    .uses_dynamic_stack: false
    .vgpr_count:     0
    .vgpr_spill_count: 0
    .wavefront_size: 64
  - .args:
      - .offset:         0
        .size:           144
        .value_kind:     by_value
    .group_segment_fixed_size: 0
    .kernarg_segment_align: 8
    .kernarg_segment_size: 144
    .language:       OpenCL C
    .language_version:
      - 2
      - 0
    .max_flat_workgroup_size: 256
    .name:           _ZN7rocprim17ROCPRIM_400000_NS6detail17trampoline_kernelINS0_14default_configENS1_29reduce_by_key_config_selectorIalN6thrust23THRUST_200600_302600_NS4plusIlEEEEZZNS1_33reduce_by_key_impl_wrapped_configILNS1_25lookback_scan_determinismE0ES3_S9_PaNS6_17constant_iteratorIiNS6_11use_defaultESE_EENS6_10device_ptrIaEENSG_IlEEPmS8_NS6_8equal_toIaEEEE10hipError_tPvRmT2_T3_mT4_T5_T6_T7_T8_P12ihipStream_tbENKUlT_T0_E_clISt17integral_constantIbLb0EES13_EEDaSY_SZ_EUlSY_E_NS1_11comp_targetILNS1_3genE0ELNS1_11target_archE4294967295ELNS1_3gpuE0ELNS1_3repE0EEENS1_30default_config_static_selectorELNS0_4arch9wavefront6targetE1EEEvT1_
    .private_segment_fixed_size: 0
    .sgpr_count:     4
    .sgpr_spill_count: 0
    .symbol:         _ZN7rocprim17ROCPRIM_400000_NS6detail17trampoline_kernelINS0_14default_configENS1_29reduce_by_key_config_selectorIalN6thrust23THRUST_200600_302600_NS4plusIlEEEEZZNS1_33reduce_by_key_impl_wrapped_configILNS1_25lookback_scan_determinismE0ES3_S9_PaNS6_17constant_iteratorIiNS6_11use_defaultESE_EENS6_10device_ptrIaEENSG_IlEEPmS8_NS6_8equal_toIaEEEE10hipError_tPvRmT2_T3_mT4_T5_T6_T7_T8_P12ihipStream_tbENKUlT_T0_E_clISt17integral_constantIbLb0EES13_EEDaSY_SZ_EUlSY_E_NS1_11comp_targetILNS1_3genE0ELNS1_11target_archE4294967295ELNS1_3gpuE0ELNS1_3repE0EEENS1_30default_config_static_selectorELNS0_4arch9wavefront6targetE1EEEvT1_.kd
    .uniform_work_group_size: 1
    .uses_dynamic_stack: false
    .vgpr_count:     0
    .vgpr_spill_count: 0
    .wavefront_size: 64
  - .args:
      - .offset:         0
        .size:           144
        .value_kind:     by_value
    .group_segment_fixed_size: 0
    .kernarg_segment_align: 8
    .kernarg_segment_size: 144
    .language:       OpenCL C
    .language_version:
      - 2
      - 0
    .max_flat_workgroup_size: 256
    .name:           _ZN7rocprim17ROCPRIM_400000_NS6detail17trampoline_kernelINS0_14default_configENS1_29reduce_by_key_config_selectorIalN6thrust23THRUST_200600_302600_NS4plusIlEEEEZZNS1_33reduce_by_key_impl_wrapped_configILNS1_25lookback_scan_determinismE0ES3_S9_PaNS6_17constant_iteratorIiNS6_11use_defaultESE_EENS6_10device_ptrIaEENSG_IlEEPmS8_NS6_8equal_toIaEEEE10hipError_tPvRmT2_T3_mT4_T5_T6_T7_T8_P12ihipStream_tbENKUlT_T0_E_clISt17integral_constantIbLb0EES13_EEDaSY_SZ_EUlSY_E_NS1_11comp_targetILNS1_3genE5ELNS1_11target_archE942ELNS1_3gpuE9ELNS1_3repE0EEENS1_30default_config_static_selectorELNS0_4arch9wavefront6targetE1EEEvT1_
    .private_segment_fixed_size: 0
    .sgpr_count:     4
    .sgpr_spill_count: 0
    .symbol:         _ZN7rocprim17ROCPRIM_400000_NS6detail17trampoline_kernelINS0_14default_configENS1_29reduce_by_key_config_selectorIalN6thrust23THRUST_200600_302600_NS4plusIlEEEEZZNS1_33reduce_by_key_impl_wrapped_configILNS1_25lookback_scan_determinismE0ES3_S9_PaNS6_17constant_iteratorIiNS6_11use_defaultESE_EENS6_10device_ptrIaEENSG_IlEEPmS8_NS6_8equal_toIaEEEE10hipError_tPvRmT2_T3_mT4_T5_T6_T7_T8_P12ihipStream_tbENKUlT_T0_E_clISt17integral_constantIbLb0EES13_EEDaSY_SZ_EUlSY_E_NS1_11comp_targetILNS1_3genE5ELNS1_11target_archE942ELNS1_3gpuE9ELNS1_3repE0EEENS1_30default_config_static_selectorELNS0_4arch9wavefront6targetE1EEEvT1_.kd
    .uniform_work_group_size: 1
    .uses_dynamic_stack: false
    .vgpr_count:     0
    .vgpr_spill_count: 0
    .wavefront_size: 64
  - .args:
      - .offset:         0
        .size:           144
        .value_kind:     by_value
    .group_segment_fixed_size: 0
    .kernarg_segment_align: 8
    .kernarg_segment_size: 144
    .language:       OpenCL C
    .language_version:
      - 2
      - 0
    .max_flat_workgroup_size: 256
    .name:           _ZN7rocprim17ROCPRIM_400000_NS6detail17trampoline_kernelINS0_14default_configENS1_29reduce_by_key_config_selectorIalN6thrust23THRUST_200600_302600_NS4plusIlEEEEZZNS1_33reduce_by_key_impl_wrapped_configILNS1_25lookback_scan_determinismE0ES3_S9_PaNS6_17constant_iteratorIiNS6_11use_defaultESE_EENS6_10device_ptrIaEENSG_IlEEPmS8_NS6_8equal_toIaEEEE10hipError_tPvRmT2_T3_mT4_T5_T6_T7_T8_P12ihipStream_tbENKUlT_T0_E_clISt17integral_constantIbLb0EES13_EEDaSY_SZ_EUlSY_E_NS1_11comp_targetILNS1_3genE4ELNS1_11target_archE910ELNS1_3gpuE8ELNS1_3repE0EEENS1_30default_config_static_selectorELNS0_4arch9wavefront6targetE1EEEvT1_
    .private_segment_fixed_size: 0
    .sgpr_count:     4
    .sgpr_spill_count: 0
    .symbol:         _ZN7rocprim17ROCPRIM_400000_NS6detail17trampoline_kernelINS0_14default_configENS1_29reduce_by_key_config_selectorIalN6thrust23THRUST_200600_302600_NS4plusIlEEEEZZNS1_33reduce_by_key_impl_wrapped_configILNS1_25lookback_scan_determinismE0ES3_S9_PaNS6_17constant_iteratorIiNS6_11use_defaultESE_EENS6_10device_ptrIaEENSG_IlEEPmS8_NS6_8equal_toIaEEEE10hipError_tPvRmT2_T3_mT4_T5_T6_T7_T8_P12ihipStream_tbENKUlT_T0_E_clISt17integral_constantIbLb0EES13_EEDaSY_SZ_EUlSY_E_NS1_11comp_targetILNS1_3genE4ELNS1_11target_archE910ELNS1_3gpuE8ELNS1_3repE0EEENS1_30default_config_static_selectorELNS0_4arch9wavefront6targetE1EEEvT1_.kd
    .uniform_work_group_size: 1
    .uses_dynamic_stack: false
    .vgpr_count:     0
    .vgpr_spill_count: 0
    .wavefront_size: 64
  - .args:
      - .offset:         0
        .size:           144
        .value_kind:     by_value
    .group_segment_fixed_size: 0
    .kernarg_segment_align: 8
    .kernarg_segment_size: 144
    .language:       OpenCL C
    .language_version:
      - 2
      - 0
    .max_flat_workgroup_size: 256
    .name:           _ZN7rocprim17ROCPRIM_400000_NS6detail17trampoline_kernelINS0_14default_configENS1_29reduce_by_key_config_selectorIalN6thrust23THRUST_200600_302600_NS4plusIlEEEEZZNS1_33reduce_by_key_impl_wrapped_configILNS1_25lookback_scan_determinismE0ES3_S9_PaNS6_17constant_iteratorIiNS6_11use_defaultESE_EENS6_10device_ptrIaEENSG_IlEEPmS8_NS6_8equal_toIaEEEE10hipError_tPvRmT2_T3_mT4_T5_T6_T7_T8_P12ihipStream_tbENKUlT_T0_E_clISt17integral_constantIbLb0EES13_EEDaSY_SZ_EUlSY_E_NS1_11comp_targetILNS1_3genE3ELNS1_11target_archE908ELNS1_3gpuE7ELNS1_3repE0EEENS1_30default_config_static_selectorELNS0_4arch9wavefront6targetE1EEEvT1_
    .private_segment_fixed_size: 0
    .sgpr_count:     4
    .sgpr_spill_count: 0
    .symbol:         _ZN7rocprim17ROCPRIM_400000_NS6detail17trampoline_kernelINS0_14default_configENS1_29reduce_by_key_config_selectorIalN6thrust23THRUST_200600_302600_NS4plusIlEEEEZZNS1_33reduce_by_key_impl_wrapped_configILNS1_25lookback_scan_determinismE0ES3_S9_PaNS6_17constant_iteratorIiNS6_11use_defaultESE_EENS6_10device_ptrIaEENSG_IlEEPmS8_NS6_8equal_toIaEEEE10hipError_tPvRmT2_T3_mT4_T5_T6_T7_T8_P12ihipStream_tbENKUlT_T0_E_clISt17integral_constantIbLb0EES13_EEDaSY_SZ_EUlSY_E_NS1_11comp_targetILNS1_3genE3ELNS1_11target_archE908ELNS1_3gpuE7ELNS1_3repE0EEENS1_30default_config_static_selectorELNS0_4arch9wavefront6targetE1EEEvT1_.kd
    .uniform_work_group_size: 1
    .uses_dynamic_stack: false
    .vgpr_count:     0
    .vgpr_spill_count: 0
    .wavefront_size: 64
  - .args:
      - .offset:         0
        .size:           144
        .value_kind:     by_value
    .group_segment_fixed_size: 30720
    .kernarg_segment_align: 8
    .kernarg_segment_size: 144
    .language:       OpenCL C
    .language_version:
      - 2
      - 0
    .max_flat_workgroup_size: 256
    .name:           _ZN7rocprim17ROCPRIM_400000_NS6detail17trampoline_kernelINS0_14default_configENS1_29reduce_by_key_config_selectorIalN6thrust23THRUST_200600_302600_NS4plusIlEEEEZZNS1_33reduce_by_key_impl_wrapped_configILNS1_25lookback_scan_determinismE0ES3_S9_PaNS6_17constant_iteratorIiNS6_11use_defaultESE_EENS6_10device_ptrIaEENSG_IlEEPmS8_NS6_8equal_toIaEEEE10hipError_tPvRmT2_T3_mT4_T5_T6_T7_T8_P12ihipStream_tbENKUlT_T0_E_clISt17integral_constantIbLb0EES13_EEDaSY_SZ_EUlSY_E_NS1_11comp_targetILNS1_3genE2ELNS1_11target_archE906ELNS1_3gpuE6ELNS1_3repE0EEENS1_30default_config_static_selectorELNS0_4arch9wavefront6targetE1EEEvT1_
    .private_segment_fixed_size: 64
    .sgpr_count:     70
    .sgpr_spill_count: 0
    .symbol:         _ZN7rocprim17ROCPRIM_400000_NS6detail17trampoline_kernelINS0_14default_configENS1_29reduce_by_key_config_selectorIalN6thrust23THRUST_200600_302600_NS4plusIlEEEEZZNS1_33reduce_by_key_impl_wrapped_configILNS1_25lookback_scan_determinismE0ES3_S9_PaNS6_17constant_iteratorIiNS6_11use_defaultESE_EENS6_10device_ptrIaEENSG_IlEEPmS8_NS6_8equal_toIaEEEE10hipError_tPvRmT2_T3_mT4_T5_T6_T7_T8_P12ihipStream_tbENKUlT_T0_E_clISt17integral_constantIbLb0EES13_EEDaSY_SZ_EUlSY_E_NS1_11comp_targetILNS1_3genE2ELNS1_11target_archE906ELNS1_3gpuE6ELNS1_3repE0EEENS1_30default_config_static_selectorELNS0_4arch9wavefront6targetE1EEEvT1_.kd
    .uniform_work_group_size: 1
    .uses_dynamic_stack: false
    .vgpr_count:     115
    .vgpr_spill_count: 0
    .wavefront_size: 64
  - .args:
      - .offset:         0
        .size:           144
        .value_kind:     by_value
    .group_segment_fixed_size: 0
    .kernarg_segment_align: 8
    .kernarg_segment_size: 144
    .language:       OpenCL C
    .language_version:
      - 2
      - 0
    .max_flat_workgroup_size: 256
    .name:           _ZN7rocprim17ROCPRIM_400000_NS6detail17trampoline_kernelINS0_14default_configENS1_29reduce_by_key_config_selectorIalN6thrust23THRUST_200600_302600_NS4plusIlEEEEZZNS1_33reduce_by_key_impl_wrapped_configILNS1_25lookback_scan_determinismE0ES3_S9_PaNS6_17constant_iteratorIiNS6_11use_defaultESE_EENS6_10device_ptrIaEENSG_IlEEPmS8_NS6_8equal_toIaEEEE10hipError_tPvRmT2_T3_mT4_T5_T6_T7_T8_P12ihipStream_tbENKUlT_T0_E_clISt17integral_constantIbLb0EES13_EEDaSY_SZ_EUlSY_E_NS1_11comp_targetILNS1_3genE10ELNS1_11target_archE1201ELNS1_3gpuE5ELNS1_3repE0EEENS1_30default_config_static_selectorELNS0_4arch9wavefront6targetE1EEEvT1_
    .private_segment_fixed_size: 0
    .sgpr_count:     4
    .sgpr_spill_count: 0
    .symbol:         _ZN7rocprim17ROCPRIM_400000_NS6detail17trampoline_kernelINS0_14default_configENS1_29reduce_by_key_config_selectorIalN6thrust23THRUST_200600_302600_NS4plusIlEEEEZZNS1_33reduce_by_key_impl_wrapped_configILNS1_25lookback_scan_determinismE0ES3_S9_PaNS6_17constant_iteratorIiNS6_11use_defaultESE_EENS6_10device_ptrIaEENSG_IlEEPmS8_NS6_8equal_toIaEEEE10hipError_tPvRmT2_T3_mT4_T5_T6_T7_T8_P12ihipStream_tbENKUlT_T0_E_clISt17integral_constantIbLb0EES13_EEDaSY_SZ_EUlSY_E_NS1_11comp_targetILNS1_3genE10ELNS1_11target_archE1201ELNS1_3gpuE5ELNS1_3repE0EEENS1_30default_config_static_selectorELNS0_4arch9wavefront6targetE1EEEvT1_.kd
    .uniform_work_group_size: 1
    .uses_dynamic_stack: false
    .vgpr_count:     0
    .vgpr_spill_count: 0
    .wavefront_size: 64
  - .args:
      - .offset:         0
        .size:           144
        .value_kind:     by_value
    .group_segment_fixed_size: 0
    .kernarg_segment_align: 8
    .kernarg_segment_size: 144
    .language:       OpenCL C
    .language_version:
      - 2
      - 0
    .max_flat_workgroup_size: 256
    .name:           _ZN7rocprim17ROCPRIM_400000_NS6detail17trampoline_kernelINS0_14default_configENS1_29reduce_by_key_config_selectorIalN6thrust23THRUST_200600_302600_NS4plusIlEEEEZZNS1_33reduce_by_key_impl_wrapped_configILNS1_25lookback_scan_determinismE0ES3_S9_PaNS6_17constant_iteratorIiNS6_11use_defaultESE_EENS6_10device_ptrIaEENSG_IlEEPmS8_NS6_8equal_toIaEEEE10hipError_tPvRmT2_T3_mT4_T5_T6_T7_T8_P12ihipStream_tbENKUlT_T0_E_clISt17integral_constantIbLb0EES13_EEDaSY_SZ_EUlSY_E_NS1_11comp_targetILNS1_3genE10ELNS1_11target_archE1200ELNS1_3gpuE4ELNS1_3repE0EEENS1_30default_config_static_selectorELNS0_4arch9wavefront6targetE1EEEvT1_
    .private_segment_fixed_size: 0
    .sgpr_count:     4
    .sgpr_spill_count: 0
    .symbol:         _ZN7rocprim17ROCPRIM_400000_NS6detail17trampoline_kernelINS0_14default_configENS1_29reduce_by_key_config_selectorIalN6thrust23THRUST_200600_302600_NS4plusIlEEEEZZNS1_33reduce_by_key_impl_wrapped_configILNS1_25lookback_scan_determinismE0ES3_S9_PaNS6_17constant_iteratorIiNS6_11use_defaultESE_EENS6_10device_ptrIaEENSG_IlEEPmS8_NS6_8equal_toIaEEEE10hipError_tPvRmT2_T3_mT4_T5_T6_T7_T8_P12ihipStream_tbENKUlT_T0_E_clISt17integral_constantIbLb0EES13_EEDaSY_SZ_EUlSY_E_NS1_11comp_targetILNS1_3genE10ELNS1_11target_archE1200ELNS1_3gpuE4ELNS1_3repE0EEENS1_30default_config_static_selectorELNS0_4arch9wavefront6targetE1EEEvT1_.kd
    .uniform_work_group_size: 1
    .uses_dynamic_stack: false
    .vgpr_count:     0
    .vgpr_spill_count: 0
    .wavefront_size: 64
  - .args:
      - .offset:         0
        .size:           144
        .value_kind:     by_value
    .group_segment_fixed_size: 0
    .kernarg_segment_align: 8
    .kernarg_segment_size: 144
    .language:       OpenCL C
    .language_version:
      - 2
      - 0
    .max_flat_workgroup_size: 256
    .name:           _ZN7rocprim17ROCPRIM_400000_NS6detail17trampoline_kernelINS0_14default_configENS1_29reduce_by_key_config_selectorIalN6thrust23THRUST_200600_302600_NS4plusIlEEEEZZNS1_33reduce_by_key_impl_wrapped_configILNS1_25lookback_scan_determinismE0ES3_S9_PaNS6_17constant_iteratorIiNS6_11use_defaultESE_EENS6_10device_ptrIaEENSG_IlEEPmS8_NS6_8equal_toIaEEEE10hipError_tPvRmT2_T3_mT4_T5_T6_T7_T8_P12ihipStream_tbENKUlT_T0_E_clISt17integral_constantIbLb0EES13_EEDaSY_SZ_EUlSY_E_NS1_11comp_targetILNS1_3genE9ELNS1_11target_archE1100ELNS1_3gpuE3ELNS1_3repE0EEENS1_30default_config_static_selectorELNS0_4arch9wavefront6targetE1EEEvT1_
    .private_segment_fixed_size: 0
    .sgpr_count:     4
    .sgpr_spill_count: 0
    .symbol:         _ZN7rocprim17ROCPRIM_400000_NS6detail17trampoline_kernelINS0_14default_configENS1_29reduce_by_key_config_selectorIalN6thrust23THRUST_200600_302600_NS4plusIlEEEEZZNS1_33reduce_by_key_impl_wrapped_configILNS1_25lookback_scan_determinismE0ES3_S9_PaNS6_17constant_iteratorIiNS6_11use_defaultESE_EENS6_10device_ptrIaEENSG_IlEEPmS8_NS6_8equal_toIaEEEE10hipError_tPvRmT2_T3_mT4_T5_T6_T7_T8_P12ihipStream_tbENKUlT_T0_E_clISt17integral_constantIbLb0EES13_EEDaSY_SZ_EUlSY_E_NS1_11comp_targetILNS1_3genE9ELNS1_11target_archE1100ELNS1_3gpuE3ELNS1_3repE0EEENS1_30default_config_static_selectorELNS0_4arch9wavefront6targetE1EEEvT1_.kd
    .uniform_work_group_size: 1
    .uses_dynamic_stack: false
    .vgpr_count:     0
    .vgpr_spill_count: 0
    .wavefront_size: 64
  - .args:
      - .offset:         0
        .size:           144
        .value_kind:     by_value
    .group_segment_fixed_size: 0
    .kernarg_segment_align: 8
    .kernarg_segment_size: 144
    .language:       OpenCL C
    .language_version:
      - 2
      - 0
    .max_flat_workgroup_size: 256
    .name:           _ZN7rocprim17ROCPRIM_400000_NS6detail17trampoline_kernelINS0_14default_configENS1_29reduce_by_key_config_selectorIalN6thrust23THRUST_200600_302600_NS4plusIlEEEEZZNS1_33reduce_by_key_impl_wrapped_configILNS1_25lookback_scan_determinismE0ES3_S9_PaNS6_17constant_iteratorIiNS6_11use_defaultESE_EENS6_10device_ptrIaEENSG_IlEEPmS8_NS6_8equal_toIaEEEE10hipError_tPvRmT2_T3_mT4_T5_T6_T7_T8_P12ihipStream_tbENKUlT_T0_E_clISt17integral_constantIbLb0EES13_EEDaSY_SZ_EUlSY_E_NS1_11comp_targetILNS1_3genE8ELNS1_11target_archE1030ELNS1_3gpuE2ELNS1_3repE0EEENS1_30default_config_static_selectorELNS0_4arch9wavefront6targetE1EEEvT1_
    .private_segment_fixed_size: 0
    .sgpr_count:     4
    .sgpr_spill_count: 0
    .symbol:         _ZN7rocprim17ROCPRIM_400000_NS6detail17trampoline_kernelINS0_14default_configENS1_29reduce_by_key_config_selectorIalN6thrust23THRUST_200600_302600_NS4plusIlEEEEZZNS1_33reduce_by_key_impl_wrapped_configILNS1_25lookback_scan_determinismE0ES3_S9_PaNS6_17constant_iteratorIiNS6_11use_defaultESE_EENS6_10device_ptrIaEENSG_IlEEPmS8_NS6_8equal_toIaEEEE10hipError_tPvRmT2_T3_mT4_T5_T6_T7_T8_P12ihipStream_tbENKUlT_T0_E_clISt17integral_constantIbLb0EES13_EEDaSY_SZ_EUlSY_E_NS1_11comp_targetILNS1_3genE8ELNS1_11target_archE1030ELNS1_3gpuE2ELNS1_3repE0EEENS1_30default_config_static_selectorELNS0_4arch9wavefront6targetE1EEEvT1_.kd
    .uniform_work_group_size: 1
    .uses_dynamic_stack: false
    .vgpr_count:     0
    .vgpr_spill_count: 0
    .wavefront_size: 64
  - .args:
      - .offset:         0
        .size:           144
        .value_kind:     by_value
    .group_segment_fixed_size: 0
    .kernarg_segment_align: 8
    .kernarg_segment_size: 144
    .language:       OpenCL C
    .language_version:
      - 2
      - 0
    .max_flat_workgroup_size: 256
    .name:           _ZN7rocprim17ROCPRIM_400000_NS6detail17trampoline_kernelINS0_14default_configENS1_29reduce_by_key_config_selectorIalN6thrust23THRUST_200600_302600_NS4plusIlEEEEZZNS1_33reduce_by_key_impl_wrapped_configILNS1_25lookback_scan_determinismE0ES3_S9_PaNS6_17constant_iteratorIiNS6_11use_defaultESE_EENS6_10device_ptrIaEENSG_IlEEPmS8_NS6_8equal_toIaEEEE10hipError_tPvRmT2_T3_mT4_T5_T6_T7_T8_P12ihipStream_tbENKUlT_T0_E_clISt17integral_constantIbLb1EES13_EEDaSY_SZ_EUlSY_E_NS1_11comp_targetILNS1_3genE0ELNS1_11target_archE4294967295ELNS1_3gpuE0ELNS1_3repE0EEENS1_30default_config_static_selectorELNS0_4arch9wavefront6targetE1EEEvT1_
    .private_segment_fixed_size: 0
    .sgpr_count:     4
    .sgpr_spill_count: 0
    .symbol:         _ZN7rocprim17ROCPRIM_400000_NS6detail17trampoline_kernelINS0_14default_configENS1_29reduce_by_key_config_selectorIalN6thrust23THRUST_200600_302600_NS4plusIlEEEEZZNS1_33reduce_by_key_impl_wrapped_configILNS1_25lookback_scan_determinismE0ES3_S9_PaNS6_17constant_iteratorIiNS6_11use_defaultESE_EENS6_10device_ptrIaEENSG_IlEEPmS8_NS6_8equal_toIaEEEE10hipError_tPvRmT2_T3_mT4_T5_T6_T7_T8_P12ihipStream_tbENKUlT_T0_E_clISt17integral_constantIbLb1EES13_EEDaSY_SZ_EUlSY_E_NS1_11comp_targetILNS1_3genE0ELNS1_11target_archE4294967295ELNS1_3gpuE0ELNS1_3repE0EEENS1_30default_config_static_selectorELNS0_4arch9wavefront6targetE1EEEvT1_.kd
    .uniform_work_group_size: 1
    .uses_dynamic_stack: false
    .vgpr_count:     0
    .vgpr_spill_count: 0
    .wavefront_size: 64
  - .args:
      - .offset:         0
        .size:           144
        .value_kind:     by_value
    .group_segment_fixed_size: 0
    .kernarg_segment_align: 8
    .kernarg_segment_size: 144
    .language:       OpenCL C
    .language_version:
      - 2
      - 0
    .max_flat_workgroup_size: 256
    .name:           _ZN7rocprim17ROCPRIM_400000_NS6detail17trampoline_kernelINS0_14default_configENS1_29reduce_by_key_config_selectorIalN6thrust23THRUST_200600_302600_NS4plusIlEEEEZZNS1_33reduce_by_key_impl_wrapped_configILNS1_25lookback_scan_determinismE0ES3_S9_PaNS6_17constant_iteratorIiNS6_11use_defaultESE_EENS6_10device_ptrIaEENSG_IlEEPmS8_NS6_8equal_toIaEEEE10hipError_tPvRmT2_T3_mT4_T5_T6_T7_T8_P12ihipStream_tbENKUlT_T0_E_clISt17integral_constantIbLb1EES13_EEDaSY_SZ_EUlSY_E_NS1_11comp_targetILNS1_3genE5ELNS1_11target_archE942ELNS1_3gpuE9ELNS1_3repE0EEENS1_30default_config_static_selectorELNS0_4arch9wavefront6targetE1EEEvT1_
    .private_segment_fixed_size: 0
    .sgpr_count:     4
    .sgpr_spill_count: 0
    .symbol:         _ZN7rocprim17ROCPRIM_400000_NS6detail17trampoline_kernelINS0_14default_configENS1_29reduce_by_key_config_selectorIalN6thrust23THRUST_200600_302600_NS4plusIlEEEEZZNS1_33reduce_by_key_impl_wrapped_configILNS1_25lookback_scan_determinismE0ES3_S9_PaNS6_17constant_iteratorIiNS6_11use_defaultESE_EENS6_10device_ptrIaEENSG_IlEEPmS8_NS6_8equal_toIaEEEE10hipError_tPvRmT2_T3_mT4_T5_T6_T7_T8_P12ihipStream_tbENKUlT_T0_E_clISt17integral_constantIbLb1EES13_EEDaSY_SZ_EUlSY_E_NS1_11comp_targetILNS1_3genE5ELNS1_11target_archE942ELNS1_3gpuE9ELNS1_3repE0EEENS1_30default_config_static_selectorELNS0_4arch9wavefront6targetE1EEEvT1_.kd
    .uniform_work_group_size: 1
    .uses_dynamic_stack: false
    .vgpr_count:     0
    .vgpr_spill_count: 0
    .wavefront_size: 64
  - .args:
      - .offset:         0
        .size:           144
        .value_kind:     by_value
    .group_segment_fixed_size: 0
    .kernarg_segment_align: 8
    .kernarg_segment_size: 144
    .language:       OpenCL C
    .language_version:
      - 2
      - 0
    .max_flat_workgroup_size: 256
    .name:           _ZN7rocprim17ROCPRIM_400000_NS6detail17trampoline_kernelINS0_14default_configENS1_29reduce_by_key_config_selectorIalN6thrust23THRUST_200600_302600_NS4plusIlEEEEZZNS1_33reduce_by_key_impl_wrapped_configILNS1_25lookback_scan_determinismE0ES3_S9_PaNS6_17constant_iteratorIiNS6_11use_defaultESE_EENS6_10device_ptrIaEENSG_IlEEPmS8_NS6_8equal_toIaEEEE10hipError_tPvRmT2_T3_mT4_T5_T6_T7_T8_P12ihipStream_tbENKUlT_T0_E_clISt17integral_constantIbLb1EES13_EEDaSY_SZ_EUlSY_E_NS1_11comp_targetILNS1_3genE4ELNS1_11target_archE910ELNS1_3gpuE8ELNS1_3repE0EEENS1_30default_config_static_selectorELNS0_4arch9wavefront6targetE1EEEvT1_
    .private_segment_fixed_size: 0
    .sgpr_count:     4
    .sgpr_spill_count: 0
    .symbol:         _ZN7rocprim17ROCPRIM_400000_NS6detail17trampoline_kernelINS0_14default_configENS1_29reduce_by_key_config_selectorIalN6thrust23THRUST_200600_302600_NS4plusIlEEEEZZNS1_33reduce_by_key_impl_wrapped_configILNS1_25lookback_scan_determinismE0ES3_S9_PaNS6_17constant_iteratorIiNS6_11use_defaultESE_EENS6_10device_ptrIaEENSG_IlEEPmS8_NS6_8equal_toIaEEEE10hipError_tPvRmT2_T3_mT4_T5_T6_T7_T8_P12ihipStream_tbENKUlT_T0_E_clISt17integral_constantIbLb1EES13_EEDaSY_SZ_EUlSY_E_NS1_11comp_targetILNS1_3genE4ELNS1_11target_archE910ELNS1_3gpuE8ELNS1_3repE0EEENS1_30default_config_static_selectorELNS0_4arch9wavefront6targetE1EEEvT1_.kd
    .uniform_work_group_size: 1
    .uses_dynamic_stack: false
    .vgpr_count:     0
    .vgpr_spill_count: 0
    .wavefront_size: 64
  - .args:
      - .offset:         0
        .size:           144
        .value_kind:     by_value
    .group_segment_fixed_size: 0
    .kernarg_segment_align: 8
    .kernarg_segment_size: 144
    .language:       OpenCL C
    .language_version:
      - 2
      - 0
    .max_flat_workgroup_size: 256
    .name:           _ZN7rocprim17ROCPRIM_400000_NS6detail17trampoline_kernelINS0_14default_configENS1_29reduce_by_key_config_selectorIalN6thrust23THRUST_200600_302600_NS4plusIlEEEEZZNS1_33reduce_by_key_impl_wrapped_configILNS1_25lookback_scan_determinismE0ES3_S9_PaNS6_17constant_iteratorIiNS6_11use_defaultESE_EENS6_10device_ptrIaEENSG_IlEEPmS8_NS6_8equal_toIaEEEE10hipError_tPvRmT2_T3_mT4_T5_T6_T7_T8_P12ihipStream_tbENKUlT_T0_E_clISt17integral_constantIbLb1EES13_EEDaSY_SZ_EUlSY_E_NS1_11comp_targetILNS1_3genE3ELNS1_11target_archE908ELNS1_3gpuE7ELNS1_3repE0EEENS1_30default_config_static_selectorELNS0_4arch9wavefront6targetE1EEEvT1_
    .private_segment_fixed_size: 0
    .sgpr_count:     4
    .sgpr_spill_count: 0
    .symbol:         _ZN7rocprim17ROCPRIM_400000_NS6detail17trampoline_kernelINS0_14default_configENS1_29reduce_by_key_config_selectorIalN6thrust23THRUST_200600_302600_NS4plusIlEEEEZZNS1_33reduce_by_key_impl_wrapped_configILNS1_25lookback_scan_determinismE0ES3_S9_PaNS6_17constant_iteratorIiNS6_11use_defaultESE_EENS6_10device_ptrIaEENSG_IlEEPmS8_NS6_8equal_toIaEEEE10hipError_tPvRmT2_T3_mT4_T5_T6_T7_T8_P12ihipStream_tbENKUlT_T0_E_clISt17integral_constantIbLb1EES13_EEDaSY_SZ_EUlSY_E_NS1_11comp_targetILNS1_3genE3ELNS1_11target_archE908ELNS1_3gpuE7ELNS1_3repE0EEENS1_30default_config_static_selectorELNS0_4arch9wavefront6targetE1EEEvT1_.kd
    .uniform_work_group_size: 1
    .uses_dynamic_stack: false
    .vgpr_count:     0
    .vgpr_spill_count: 0
    .wavefront_size: 64
  - .args:
      - .offset:         0
        .size:           144
        .value_kind:     by_value
    .group_segment_fixed_size: 0
    .kernarg_segment_align: 8
    .kernarg_segment_size: 144
    .language:       OpenCL C
    .language_version:
      - 2
      - 0
    .max_flat_workgroup_size: 256
    .name:           _ZN7rocprim17ROCPRIM_400000_NS6detail17trampoline_kernelINS0_14default_configENS1_29reduce_by_key_config_selectorIalN6thrust23THRUST_200600_302600_NS4plusIlEEEEZZNS1_33reduce_by_key_impl_wrapped_configILNS1_25lookback_scan_determinismE0ES3_S9_PaNS6_17constant_iteratorIiNS6_11use_defaultESE_EENS6_10device_ptrIaEENSG_IlEEPmS8_NS6_8equal_toIaEEEE10hipError_tPvRmT2_T3_mT4_T5_T6_T7_T8_P12ihipStream_tbENKUlT_T0_E_clISt17integral_constantIbLb1EES13_EEDaSY_SZ_EUlSY_E_NS1_11comp_targetILNS1_3genE2ELNS1_11target_archE906ELNS1_3gpuE6ELNS1_3repE0EEENS1_30default_config_static_selectorELNS0_4arch9wavefront6targetE1EEEvT1_
    .private_segment_fixed_size: 0
    .sgpr_count:     4
    .sgpr_spill_count: 0
    .symbol:         _ZN7rocprim17ROCPRIM_400000_NS6detail17trampoline_kernelINS0_14default_configENS1_29reduce_by_key_config_selectorIalN6thrust23THRUST_200600_302600_NS4plusIlEEEEZZNS1_33reduce_by_key_impl_wrapped_configILNS1_25lookback_scan_determinismE0ES3_S9_PaNS6_17constant_iteratorIiNS6_11use_defaultESE_EENS6_10device_ptrIaEENSG_IlEEPmS8_NS6_8equal_toIaEEEE10hipError_tPvRmT2_T3_mT4_T5_T6_T7_T8_P12ihipStream_tbENKUlT_T0_E_clISt17integral_constantIbLb1EES13_EEDaSY_SZ_EUlSY_E_NS1_11comp_targetILNS1_3genE2ELNS1_11target_archE906ELNS1_3gpuE6ELNS1_3repE0EEENS1_30default_config_static_selectorELNS0_4arch9wavefront6targetE1EEEvT1_.kd
    .uniform_work_group_size: 1
    .uses_dynamic_stack: false
    .vgpr_count:     0
    .vgpr_spill_count: 0
    .wavefront_size: 64
  - .args:
      - .offset:         0
        .size:           144
        .value_kind:     by_value
    .group_segment_fixed_size: 0
    .kernarg_segment_align: 8
    .kernarg_segment_size: 144
    .language:       OpenCL C
    .language_version:
      - 2
      - 0
    .max_flat_workgroup_size: 256
    .name:           _ZN7rocprim17ROCPRIM_400000_NS6detail17trampoline_kernelINS0_14default_configENS1_29reduce_by_key_config_selectorIalN6thrust23THRUST_200600_302600_NS4plusIlEEEEZZNS1_33reduce_by_key_impl_wrapped_configILNS1_25lookback_scan_determinismE0ES3_S9_PaNS6_17constant_iteratorIiNS6_11use_defaultESE_EENS6_10device_ptrIaEENSG_IlEEPmS8_NS6_8equal_toIaEEEE10hipError_tPvRmT2_T3_mT4_T5_T6_T7_T8_P12ihipStream_tbENKUlT_T0_E_clISt17integral_constantIbLb1EES13_EEDaSY_SZ_EUlSY_E_NS1_11comp_targetILNS1_3genE10ELNS1_11target_archE1201ELNS1_3gpuE5ELNS1_3repE0EEENS1_30default_config_static_selectorELNS0_4arch9wavefront6targetE1EEEvT1_
    .private_segment_fixed_size: 0
    .sgpr_count:     4
    .sgpr_spill_count: 0
    .symbol:         _ZN7rocprim17ROCPRIM_400000_NS6detail17trampoline_kernelINS0_14default_configENS1_29reduce_by_key_config_selectorIalN6thrust23THRUST_200600_302600_NS4plusIlEEEEZZNS1_33reduce_by_key_impl_wrapped_configILNS1_25lookback_scan_determinismE0ES3_S9_PaNS6_17constant_iteratorIiNS6_11use_defaultESE_EENS6_10device_ptrIaEENSG_IlEEPmS8_NS6_8equal_toIaEEEE10hipError_tPvRmT2_T3_mT4_T5_T6_T7_T8_P12ihipStream_tbENKUlT_T0_E_clISt17integral_constantIbLb1EES13_EEDaSY_SZ_EUlSY_E_NS1_11comp_targetILNS1_3genE10ELNS1_11target_archE1201ELNS1_3gpuE5ELNS1_3repE0EEENS1_30default_config_static_selectorELNS0_4arch9wavefront6targetE1EEEvT1_.kd
    .uniform_work_group_size: 1
    .uses_dynamic_stack: false
    .vgpr_count:     0
    .vgpr_spill_count: 0
    .wavefront_size: 64
  - .args:
      - .offset:         0
        .size:           144
        .value_kind:     by_value
    .group_segment_fixed_size: 0
    .kernarg_segment_align: 8
    .kernarg_segment_size: 144
    .language:       OpenCL C
    .language_version:
      - 2
      - 0
    .max_flat_workgroup_size: 256
    .name:           _ZN7rocprim17ROCPRIM_400000_NS6detail17trampoline_kernelINS0_14default_configENS1_29reduce_by_key_config_selectorIalN6thrust23THRUST_200600_302600_NS4plusIlEEEEZZNS1_33reduce_by_key_impl_wrapped_configILNS1_25lookback_scan_determinismE0ES3_S9_PaNS6_17constant_iteratorIiNS6_11use_defaultESE_EENS6_10device_ptrIaEENSG_IlEEPmS8_NS6_8equal_toIaEEEE10hipError_tPvRmT2_T3_mT4_T5_T6_T7_T8_P12ihipStream_tbENKUlT_T0_E_clISt17integral_constantIbLb1EES13_EEDaSY_SZ_EUlSY_E_NS1_11comp_targetILNS1_3genE10ELNS1_11target_archE1200ELNS1_3gpuE4ELNS1_3repE0EEENS1_30default_config_static_selectorELNS0_4arch9wavefront6targetE1EEEvT1_
    .private_segment_fixed_size: 0
    .sgpr_count:     4
    .sgpr_spill_count: 0
    .symbol:         _ZN7rocprim17ROCPRIM_400000_NS6detail17trampoline_kernelINS0_14default_configENS1_29reduce_by_key_config_selectorIalN6thrust23THRUST_200600_302600_NS4plusIlEEEEZZNS1_33reduce_by_key_impl_wrapped_configILNS1_25lookback_scan_determinismE0ES3_S9_PaNS6_17constant_iteratorIiNS6_11use_defaultESE_EENS6_10device_ptrIaEENSG_IlEEPmS8_NS6_8equal_toIaEEEE10hipError_tPvRmT2_T3_mT4_T5_T6_T7_T8_P12ihipStream_tbENKUlT_T0_E_clISt17integral_constantIbLb1EES13_EEDaSY_SZ_EUlSY_E_NS1_11comp_targetILNS1_3genE10ELNS1_11target_archE1200ELNS1_3gpuE4ELNS1_3repE0EEENS1_30default_config_static_selectorELNS0_4arch9wavefront6targetE1EEEvT1_.kd
    .uniform_work_group_size: 1
    .uses_dynamic_stack: false
    .vgpr_count:     0
    .vgpr_spill_count: 0
    .wavefront_size: 64
  - .args:
      - .offset:         0
        .size:           144
        .value_kind:     by_value
    .group_segment_fixed_size: 0
    .kernarg_segment_align: 8
    .kernarg_segment_size: 144
    .language:       OpenCL C
    .language_version:
      - 2
      - 0
    .max_flat_workgroup_size: 256
    .name:           _ZN7rocprim17ROCPRIM_400000_NS6detail17trampoline_kernelINS0_14default_configENS1_29reduce_by_key_config_selectorIalN6thrust23THRUST_200600_302600_NS4plusIlEEEEZZNS1_33reduce_by_key_impl_wrapped_configILNS1_25lookback_scan_determinismE0ES3_S9_PaNS6_17constant_iteratorIiNS6_11use_defaultESE_EENS6_10device_ptrIaEENSG_IlEEPmS8_NS6_8equal_toIaEEEE10hipError_tPvRmT2_T3_mT4_T5_T6_T7_T8_P12ihipStream_tbENKUlT_T0_E_clISt17integral_constantIbLb1EES13_EEDaSY_SZ_EUlSY_E_NS1_11comp_targetILNS1_3genE9ELNS1_11target_archE1100ELNS1_3gpuE3ELNS1_3repE0EEENS1_30default_config_static_selectorELNS0_4arch9wavefront6targetE1EEEvT1_
    .private_segment_fixed_size: 0
    .sgpr_count:     4
    .sgpr_spill_count: 0
    .symbol:         _ZN7rocprim17ROCPRIM_400000_NS6detail17trampoline_kernelINS0_14default_configENS1_29reduce_by_key_config_selectorIalN6thrust23THRUST_200600_302600_NS4plusIlEEEEZZNS1_33reduce_by_key_impl_wrapped_configILNS1_25lookback_scan_determinismE0ES3_S9_PaNS6_17constant_iteratorIiNS6_11use_defaultESE_EENS6_10device_ptrIaEENSG_IlEEPmS8_NS6_8equal_toIaEEEE10hipError_tPvRmT2_T3_mT4_T5_T6_T7_T8_P12ihipStream_tbENKUlT_T0_E_clISt17integral_constantIbLb1EES13_EEDaSY_SZ_EUlSY_E_NS1_11comp_targetILNS1_3genE9ELNS1_11target_archE1100ELNS1_3gpuE3ELNS1_3repE0EEENS1_30default_config_static_selectorELNS0_4arch9wavefront6targetE1EEEvT1_.kd
    .uniform_work_group_size: 1
    .uses_dynamic_stack: false
    .vgpr_count:     0
    .vgpr_spill_count: 0
    .wavefront_size: 64
  - .args:
      - .offset:         0
        .size:           144
        .value_kind:     by_value
    .group_segment_fixed_size: 0
    .kernarg_segment_align: 8
    .kernarg_segment_size: 144
    .language:       OpenCL C
    .language_version:
      - 2
      - 0
    .max_flat_workgroup_size: 256
    .name:           _ZN7rocprim17ROCPRIM_400000_NS6detail17trampoline_kernelINS0_14default_configENS1_29reduce_by_key_config_selectorIalN6thrust23THRUST_200600_302600_NS4plusIlEEEEZZNS1_33reduce_by_key_impl_wrapped_configILNS1_25lookback_scan_determinismE0ES3_S9_PaNS6_17constant_iteratorIiNS6_11use_defaultESE_EENS6_10device_ptrIaEENSG_IlEEPmS8_NS6_8equal_toIaEEEE10hipError_tPvRmT2_T3_mT4_T5_T6_T7_T8_P12ihipStream_tbENKUlT_T0_E_clISt17integral_constantIbLb1EES13_EEDaSY_SZ_EUlSY_E_NS1_11comp_targetILNS1_3genE8ELNS1_11target_archE1030ELNS1_3gpuE2ELNS1_3repE0EEENS1_30default_config_static_selectorELNS0_4arch9wavefront6targetE1EEEvT1_
    .private_segment_fixed_size: 0
    .sgpr_count:     4
    .sgpr_spill_count: 0
    .symbol:         _ZN7rocprim17ROCPRIM_400000_NS6detail17trampoline_kernelINS0_14default_configENS1_29reduce_by_key_config_selectorIalN6thrust23THRUST_200600_302600_NS4plusIlEEEEZZNS1_33reduce_by_key_impl_wrapped_configILNS1_25lookback_scan_determinismE0ES3_S9_PaNS6_17constant_iteratorIiNS6_11use_defaultESE_EENS6_10device_ptrIaEENSG_IlEEPmS8_NS6_8equal_toIaEEEE10hipError_tPvRmT2_T3_mT4_T5_T6_T7_T8_P12ihipStream_tbENKUlT_T0_E_clISt17integral_constantIbLb1EES13_EEDaSY_SZ_EUlSY_E_NS1_11comp_targetILNS1_3genE8ELNS1_11target_archE1030ELNS1_3gpuE2ELNS1_3repE0EEENS1_30default_config_static_selectorELNS0_4arch9wavefront6targetE1EEEvT1_.kd
    .uniform_work_group_size: 1
    .uses_dynamic_stack: false
    .vgpr_count:     0
    .vgpr_spill_count: 0
    .wavefront_size: 64
  - .args:
      - .offset:         0
        .size:           144
        .value_kind:     by_value
    .group_segment_fixed_size: 0
    .kernarg_segment_align: 8
    .kernarg_segment_size: 144
    .language:       OpenCL C
    .language_version:
      - 2
      - 0
    .max_flat_workgroup_size: 256
    .name:           _ZN7rocprim17ROCPRIM_400000_NS6detail17trampoline_kernelINS0_14default_configENS1_29reduce_by_key_config_selectorIalN6thrust23THRUST_200600_302600_NS4plusIlEEEEZZNS1_33reduce_by_key_impl_wrapped_configILNS1_25lookback_scan_determinismE0ES3_S9_PaNS6_17constant_iteratorIiNS6_11use_defaultESE_EENS6_10device_ptrIaEENSG_IlEEPmS8_NS6_8equal_toIaEEEE10hipError_tPvRmT2_T3_mT4_T5_T6_T7_T8_P12ihipStream_tbENKUlT_T0_E_clISt17integral_constantIbLb1EES12_IbLb0EEEEDaSY_SZ_EUlSY_E_NS1_11comp_targetILNS1_3genE0ELNS1_11target_archE4294967295ELNS1_3gpuE0ELNS1_3repE0EEENS1_30default_config_static_selectorELNS0_4arch9wavefront6targetE1EEEvT1_
    .private_segment_fixed_size: 0
    .sgpr_count:     4
    .sgpr_spill_count: 0
    .symbol:         _ZN7rocprim17ROCPRIM_400000_NS6detail17trampoline_kernelINS0_14default_configENS1_29reduce_by_key_config_selectorIalN6thrust23THRUST_200600_302600_NS4plusIlEEEEZZNS1_33reduce_by_key_impl_wrapped_configILNS1_25lookback_scan_determinismE0ES3_S9_PaNS6_17constant_iteratorIiNS6_11use_defaultESE_EENS6_10device_ptrIaEENSG_IlEEPmS8_NS6_8equal_toIaEEEE10hipError_tPvRmT2_T3_mT4_T5_T6_T7_T8_P12ihipStream_tbENKUlT_T0_E_clISt17integral_constantIbLb1EES12_IbLb0EEEEDaSY_SZ_EUlSY_E_NS1_11comp_targetILNS1_3genE0ELNS1_11target_archE4294967295ELNS1_3gpuE0ELNS1_3repE0EEENS1_30default_config_static_selectorELNS0_4arch9wavefront6targetE1EEEvT1_.kd
    .uniform_work_group_size: 1
    .uses_dynamic_stack: false
    .vgpr_count:     0
    .vgpr_spill_count: 0
    .wavefront_size: 64
  - .args:
      - .offset:         0
        .size:           144
        .value_kind:     by_value
    .group_segment_fixed_size: 0
    .kernarg_segment_align: 8
    .kernarg_segment_size: 144
    .language:       OpenCL C
    .language_version:
      - 2
      - 0
    .max_flat_workgroup_size: 256
    .name:           _ZN7rocprim17ROCPRIM_400000_NS6detail17trampoline_kernelINS0_14default_configENS1_29reduce_by_key_config_selectorIalN6thrust23THRUST_200600_302600_NS4plusIlEEEEZZNS1_33reduce_by_key_impl_wrapped_configILNS1_25lookback_scan_determinismE0ES3_S9_PaNS6_17constant_iteratorIiNS6_11use_defaultESE_EENS6_10device_ptrIaEENSG_IlEEPmS8_NS6_8equal_toIaEEEE10hipError_tPvRmT2_T3_mT4_T5_T6_T7_T8_P12ihipStream_tbENKUlT_T0_E_clISt17integral_constantIbLb1EES12_IbLb0EEEEDaSY_SZ_EUlSY_E_NS1_11comp_targetILNS1_3genE5ELNS1_11target_archE942ELNS1_3gpuE9ELNS1_3repE0EEENS1_30default_config_static_selectorELNS0_4arch9wavefront6targetE1EEEvT1_
    .private_segment_fixed_size: 0
    .sgpr_count:     4
    .sgpr_spill_count: 0
    .symbol:         _ZN7rocprim17ROCPRIM_400000_NS6detail17trampoline_kernelINS0_14default_configENS1_29reduce_by_key_config_selectorIalN6thrust23THRUST_200600_302600_NS4plusIlEEEEZZNS1_33reduce_by_key_impl_wrapped_configILNS1_25lookback_scan_determinismE0ES3_S9_PaNS6_17constant_iteratorIiNS6_11use_defaultESE_EENS6_10device_ptrIaEENSG_IlEEPmS8_NS6_8equal_toIaEEEE10hipError_tPvRmT2_T3_mT4_T5_T6_T7_T8_P12ihipStream_tbENKUlT_T0_E_clISt17integral_constantIbLb1EES12_IbLb0EEEEDaSY_SZ_EUlSY_E_NS1_11comp_targetILNS1_3genE5ELNS1_11target_archE942ELNS1_3gpuE9ELNS1_3repE0EEENS1_30default_config_static_selectorELNS0_4arch9wavefront6targetE1EEEvT1_.kd
    .uniform_work_group_size: 1
    .uses_dynamic_stack: false
    .vgpr_count:     0
    .vgpr_spill_count: 0
    .wavefront_size: 64
  - .args:
      - .offset:         0
        .size:           144
        .value_kind:     by_value
    .group_segment_fixed_size: 0
    .kernarg_segment_align: 8
    .kernarg_segment_size: 144
    .language:       OpenCL C
    .language_version:
      - 2
      - 0
    .max_flat_workgroup_size: 256
    .name:           _ZN7rocprim17ROCPRIM_400000_NS6detail17trampoline_kernelINS0_14default_configENS1_29reduce_by_key_config_selectorIalN6thrust23THRUST_200600_302600_NS4plusIlEEEEZZNS1_33reduce_by_key_impl_wrapped_configILNS1_25lookback_scan_determinismE0ES3_S9_PaNS6_17constant_iteratorIiNS6_11use_defaultESE_EENS6_10device_ptrIaEENSG_IlEEPmS8_NS6_8equal_toIaEEEE10hipError_tPvRmT2_T3_mT4_T5_T6_T7_T8_P12ihipStream_tbENKUlT_T0_E_clISt17integral_constantIbLb1EES12_IbLb0EEEEDaSY_SZ_EUlSY_E_NS1_11comp_targetILNS1_3genE4ELNS1_11target_archE910ELNS1_3gpuE8ELNS1_3repE0EEENS1_30default_config_static_selectorELNS0_4arch9wavefront6targetE1EEEvT1_
    .private_segment_fixed_size: 0
    .sgpr_count:     4
    .sgpr_spill_count: 0
    .symbol:         _ZN7rocprim17ROCPRIM_400000_NS6detail17trampoline_kernelINS0_14default_configENS1_29reduce_by_key_config_selectorIalN6thrust23THRUST_200600_302600_NS4plusIlEEEEZZNS1_33reduce_by_key_impl_wrapped_configILNS1_25lookback_scan_determinismE0ES3_S9_PaNS6_17constant_iteratorIiNS6_11use_defaultESE_EENS6_10device_ptrIaEENSG_IlEEPmS8_NS6_8equal_toIaEEEE10hipError_tPvRmT2_T3_mT4_T5_T6_T7_T8_P12ihipStream_tbENKUlT_T0_E_clISt17integral_constantIbLb1EES12_IbLb0EEEEDaSY_SZ_EUlSY_E_NS1_11comp_targetILNS1_3genE4ELNS1_11target_archE910ELNS1_3gpuE8ELNS1_3repE0EEENS1_30default_config_static_selectorELNS0_4arch9wavefront6targetE1EEEvT1_.kd
    .uniform_work_group_size: 1
    .uses_dynamic_stack: false
    .vgpr_count:     0
    .vgpr_spill_count: 0
    .wavefront_size: 64
  - .args:
      - .offset:         0
        .size:           144
        .value_kind:     by_value
    .group_segment_fixed_size: 0
    .kernarg_segment_align: 8
    .kernarg_segment_size: 144
    .language:       OpenCL C
    .language_version:
      - 2
      - 0
    .max_flat_workgroup_size: 256
    .name:           _ZN7rocprim17ROCPRIM_400000_NS6detail17trampoline_kernelINS0_14default_configENS1_29reduce_by_key_config_selectorIalN6thrust23THRUST_200600_302600_NS4plusIlEEEEZZNS1_33reduce_by_key_impl_wrapped_configILNS1_25lookback_scan_determinismE0ES3_S9_PaNS6_17constant_iteratorIiNS6_11use_defaultESE_EENS6_10device_ptrIaEENSG_IlEEPmS8_NS6_8equal_toIaEEEE10hipError_tPvRmT2_T3_mT4_T5_T6_T7_T8_P12ihipStream_tbENKUlT_T0_E_clISt17integral_constantIbLb1EES12_IbLb0EEEEDaSY_SZ_EUlSY_E_NS1_11comp_targetILNS1_3genE3ELNS1_11target_archE908ELNS1_3gpuE7ELNS1_3repE0EEENS1_30default_config_static_selectorELNS0_4arch9wavefront6targetE1EEEvT1_
    .private_segment_fixed_size: 0
    .sgpr_count:     4
    .sgpr_spill_count: 0
    .symbol:         _ZN7rocprim17ROCPRIM_400000_NS6detail17trampoline_kernelINS0_14default_configENS1_29reduce_by_key_config_selectorIalN6thrust23THRUST_200600_302600_NS4plusIlEEEEZZNS1_33reduce_by_key_impl_wrapped_configILNS1_25lookback_scan_determinismE0ES3_S9_PaNS6_17constant_iteratorIiNS6_11use_defaultESE_EENS6_10device_ptrIaEENSG_IlEEPmS8_NS6_8equal_toIaEEEE10hipError_tPvRmT2_T3_mT4_T5_T6_T7_T8_P12ihipStream_tbENKUlT_T0_E_clISt17integral_constantIbLb1EES12_IbLb0EEEEDaSY_SZ_EUlSY_E_NS1_11comp_targetILNS1_3genE3ELNS1_11target_archE908ELNS1_3gpuE7ELNS1_3repE0EEENS1_30default_config_static_selectorELNS0_4arch9wavefront6targetE1EEEvT1_.kd
    .uniform_work_group_size: 1
    .uses_dynamic_stack: false
    .vgpr_count:     0
    .vgpr_spill_count: 0
    .wavefront_size: 64
  - .args:
      - .offset:         0
        .size:           144
        .value_kind:     by_value
    .group_segment_fixed_size: 0
    .kernarg_segment_align: 8
    .kernarg_segment_size: 144
    .language:       OpenCL C
    .language_version:
      - 2
      - 0
    .max_flat_workgroup_size: 256
    .name:           _ZN7rocprim17ROCPRIM_400000_NS6detail17trampoline_kernelINS0_14default_configENS1_29reduce_by_key_config_selectorIalN6thrust23THRUST_200600_302600_NS4plusIlEEEEZZNS1_33reduce_by_key_impl_wrapped_configILNS1_25lookback_scan_determinismE0ES3_S9_PaNS6_17constant_iteratorIiNS6_11use_defaultESE_EENS6_10device_ptrIaEENSG_IlEEPmS8_NS6_8equal_toIaEEEE10hipError_tPvRmT2_T3_mT4_T5_T6_T7_T8_P12ihipStream_tbENKUlT_T0_E_clISt17integral_constantIbLb1EES12_IbLb0EEEEDaSY_SZ_EUlSY_E_NS1_11comp_targetILNS1_3genE2ELNS1_11target_archE906ELNS1_3gpuE6ELNS1_3repE0EEENS1_30default_config_static_selectorELNS0_4arch9wavefront6targetE1EEEvT1_
    .private_segment_fixed_size: 0
    .sgpr_count:     4
    .sgpr_spill_count: 0
    .symbol:         _ZN7rocprim17ROCPRIM_400000_NS6detail17trampoline_kernelINS0_14default_configENS1_29reduce_by_key_config_selectorIalN6thrust23THRUST_200600_302600_NS4plusIlEEEEZZNS1_33reduce_by_key_impl_wrapped_configILNS1_25lookback_scan_determinismE0ES3_S9_PaNS6_17constant_iteratorIiNS6_11use_defaultESE_EENS6_10device_ptrIaEENSG_IlEEPmS8_NS6_8equal_toIaEEEE10hipError_tPvRmT2_T3_mT4_T5_T6_T7_T8_P12ihipStream_tbENKUlT_T0_E_clISt17integral_constantIbLb1EES12_IbLb0EEEEDaSY_SZ_EUlSY_E_NS1_11comp_targetILNS1_3genE2ELNS1_11target_archE906ELNS1_3gpuE6ELNS1_3repE0EEENS1_30default_config_static_selectorELNS0_4arch9wavefront6targetE1EEEvT1_.kd
    .uniform_work_group_size: 1
    .uses_dynamic_stack: false
    .vgpr_count:     0
    .vgpr_spill_count: 0
    .wavefront_size: 64
  - .args:
      - .offset:         0
        .size:           144
        .value_kind:     by_value
    .group_segment_fixed_size: 0
    .kernarg_segment_align: 8
    .kernarg_segment_size: 144
    .language:       OpenCL C
    .language_version:
      - 2
      - 0
    .max_flat_workgroup_size: 256
    .name:           _ZN7rocprim17ROCPRIM_400000_NS6detail17trampoline_kernelINS0_14default_configENS1_29reduce_by_key_config_selectorIalN6thrust23THRUST_200600_302600_NS4plusIlEEEEZZNS1_33reduce_by_key_impl_wrapped_configILNS1_25lookback_scan_determinismE0ES3_S9_PaNS6_17constant_iteratorIiNS6_11use_defaultESE_EENS6_10device_ptrIaEENSG_IlEEPmS8_NS6_8equal_toIaEEEE10hipError_tPvRmT2_T3_mT4_T5_T6_T7_T8_P12ihipStream_tbENKUlT_T0_E_clISt17integral_constantIbLb1EES12_IbLb0EEEEDaSY_SZ_EUlSY_E_NS1_11comp_targetILNS1_3genE10ELNS1_11target_archE1201ELNS1_3gpuE5ELNS1_3repE0EEENS1_30default_config_static_selectorELNS0_4arch9wavefront6targetE1EEEvT1_
    .private_segment_fixed_size: 0
    .sgpr_count:     4
    .sgpr_spill_count: 0
    .symbol:         _ZN7rocprim17ROCPRIM_400000_NS6detail17trampoline_kernelINS0_14default_configENS1_29reduce_by_key_config_selectorIalN6thrust23THRUST_200600_302600_NS4plusIlEEEEZZNS1_33reduce_by_key_impl_wrapped_configILNS1_25lookback_scan_determinismE0ES3_S9_PaNS6_17constant_iteratorIiNS6_11use_defaultESE_EENS6_10device_ptrIaEENSG_IlEEPmS8_NS6_8equal_toIaEEEE10hipError_tPvRmT2_T3_mT4_T5_T6_T7_T8_P12ihipStream_tbENKUlT_T0_E_clISt17integral_constantIbLb1EES12_IbLb0EEEEDaSY_SZ_EUlSY_E_NS1_11comp_targetILNS1_3genE10ELNS1_11target_archE1201ELNS1_3gpuE5ELNS1_3repE0EEENS1_30default_config_static_selectorELNS0_4arch9wavefront6targetE1EEEvT1_.kd
    .uniform_work_group_size: 1
    .uses_dynamic_stack: false
    .vgpr_count:     0
    .vgpr_spill_count: 0
    .wavefront_size: 64
  - .args:
      - .offset:         0
        .size:           144
        .value_kind:     by_value
    .group_segment_fixed_size: 0
    .kernarg_segment_align: 8
    .kernarg_segment_size: 144
    .language:       OpenCL C
    .language_version:
      - 2
      - 0
    .max_flat_workgroup_size: 256
    .name:           _ZN7rocprim17ROCPRIM_400000_NS6detail17trampoline_kernelINS0_14default_configENS1_29reduce_by_key_config_selectorIalN6thrust23THRUST_200600_302600_NS4plusIlEEEEZZNS1_33reduce_by_key_impl_wrapped_configILNS1_25lookback_scan_determinismE0ES3_S9_PaNS6_17constant_iteratorIiNS6_11use_defaultESE_EENS6_10device_ptrIaEENSG_IlEEPmS8_NS6_8equal_toIaEEEE10hipError_tPvRmT2_T3_mT4_T5_T6_T7_T8_P12ihipStream_tbENKUlT_T0_E_clISt17integral_constantIbLb1EES12_IbLb0EEEEDaSY_SZ_EUlSY_E_NS1_11comp_targetILNS1_3genE10ELNS1_11target_archE1200ELNS1_3gpuE4ELNS1_3repE0EEENS1_30default_config_static_selectorELNS0_4arch9wavefront6targetE1EEEvT1_
    .private_segment_fixed_size: 0
    .sgpr_count:     4
    .sgpr_spill_count: 0
    .symbol:         _ZN7rocprim17ROCPRIM_400000_NS6detail17trampoline_kernelINS0_14default_configENS1_29reduce_by_key_config_selectorIalN6thrust23THRUST_200600_302600_NS4plusIlEEEEZZNS1_33reduce_by_key_impl_wrapped_configILNS1_25lookback_scan_determinismE0ES3_S9_PaNS6_17constant_iteratorIiNS6_11use_defaultESE_EENS6_10device_ptrIaEENSG_IlEEPmS8_NS6_8equal_toIaEEEE10hipError_tPvRmT2_T3_mT4_T5_T6_T7_T8_P12ihipStream_tbENKUlT_T0_E_clISt17integral_constantIbLb1EES12_IbLb0EEEEDaSY_SZ_EUlSY_E_NS1_11comp_targetILNS1_3genE10ELNS1_11target_archE1200ELNS1_3gpuE4ELNS1_3repE0EEENS1_30default_config_static_selectorELNS0_4arch9wavefront6targetE1EEEvT1_.kd
    .uniform_work_group_size: 1
    .uses_dynamic_stack: false
    .vgpr_count:     0
    .vgpr_spill_count: 0
    .wavefront_size: 64
  - .args:
      - .offset:         0
        .size:           144
        .value_kind:     by_value
    .group_segment_fixed_size: 0
    .kernarg_segment_align: 8
    .kernarg_segment_size: 144
    .language:       OpenCL C
    .language_version:
      - 2
      - 0
    .max_flat_workgroup_size: 256
    .name:           _ZN7rocprim17ROCPRIM_400000_NS6detail17trampoline_kernelINS0_14default_configENS1_29reduce_by_key_config_selectorIalN6thrust23THRUST_200600_302600_NS4plusIlEEEEZZNS1_33reduce_by_key_impl_wrapped_configILNS1_25lookback_scan_determinismE0ES3_S9_PaNS6_17constant_iteratorIiNS6_11use_defaultESE_EENS6_10device_ptrIaEENSG_IlEEPmS8_NS6_8equal_toIaEEEE10hipError_tPvRmT2_T3_mT4_T5_T6_T7_T8_P12ihipStream_tbENKUlT_T0_E_clISt17integral_constantIbLb1EES12_IbLb0EEEEDaSY_SZ_EUlSY_E_NS1_11comp_targetILNS1_3genE9ELNS1_11target_archE1100ELNS1_3gpuE3ELNS1_3repE0EEENS1_30default_config_static_selectorELNS0_4arch9wavefront6targetE1EEEvT1_
    .private_segment_fixed_size: 0
    .sgpr_count:     4
    .sgpr_spill_count: 0
    .symbol:         _ZN7rocprim17ROCPRIM_400000_NS6detail17trampoline_kernelINS0_14default_configENS1_29reduce_by_key_config_selectorIalN6thrust23THRUST_200600_302600_NS4plusIlEEEEZZNS1_33reduce_by_key_impl_wrapped_configILNS1_25lookback_scan_determinismE0ES3_S9_PaNS6_17constant_iteratorIiNS6_11use_defaultESE_EENS6_10device_ptrIaEENSG_IlEEPmS8_NS6_8equal_toIaEEEE10hipError_tPvRmT2_T3_mT4_T5_T6_T7_T8_P12ihipStream_tbENKUlT_T0_E_clISt17integral_constantIbLb1EES12_IbLb0EEEEDaSY_SZ_EUlSY_E_NS1_11comp_targetILNS1_3genE9ELNS1_11target_archE1100ELNS1_3gpuE3ELNS1_3repE0EEENS1_30default_config_static_selectorELNS0_4arch9wavefront6targetE1EEEvT1_.kd
    .uniform_work_group_size: 1
    .uses_dynamic_stack: false
    .vgpr_count:     0
    .vgpr_spill_count: 0
    .wavefront_size: 64
  - .args:
      - .offset:         0
        .size:           144
        .value_kind:     by_value
    .group_segment_fixed_size: 0
    .kernarg_segment_align: 8
    .kernarg_segment_size: 144
    .language:       OpenCL C
    .language_version:
      - 2
      - 0
    .max_flat_workgroup_size: 256
    .name:           _ZN7rocprim17ROCPRIM_400000_NS6detail17trampoline_kernelINS0_14default_configENS1_29reduce_by_key_config_selectorIalN6thrust23THRUST_200600_302600_NS4plusIlEEEEZZNS1_33reduce_by_key_impl_wrapped_configILNS1_25lookback_scan_determinismE0ES3_S9_PaNS6_17constant_iteratorIiNS6_11use_defaultESE_EENS6_10device_ptrIaEENSG_IlEEPmS8_NS6_8equal_toIaEEEE10hipError_tPvRmT2_T3_mT4_T5_T6_T7_T8_P12ihipStream_tbENKUlT_T0_E_clISt17integral_constantIbLb1EES12_IbLb0EEEEDaSY_SZ_EUlSY_E_NS1_11comp_targetILNS1_3genE8ELNS1_11target_archE1030ELNS1_3gpuE2ELNS1_3repE0EEENS1_30default_config_static_selectorELNS0_4arch9wavefront6targetE1EEEvT1_
    .private_segment_fixed_size: 0
    .sgpr_count:     4
    .sgpr_spill_count: 0
    .symbol:         _ZN7rocprim17ROCPRIM_400000_NS6detail17trampoline_kernelINS0_14default_configENS1_29reduce_by_key_config_selectorIalN6thrust23THRUST_200600_302600_NS4plusIlEEEEZZNS1_33reduce_by_key_impl_wrapped_configILNS1_25lookback_scan_determinismE0ES3_S9_PaNS6_17constant_iteratorIiNS6_11use_defaultESE_EENS6_10device_ptrIaEENSG_IlEEPmS8_NS6_8equal_toIaEEEE10hipError_tPvRmT2_T3_mT4_T5_T6_T7_T8_P12ihipStream_tbENKUlT_T0_E_clISt17integral_constantIbLb1EES12_IbLb0EEEEDaSY_SZ_EUlSY_E_NS1_11comp_targetILNS1_3genE8ELNS1_11target_archE1030ELNS1_3gpuE2ELNS1_3repE0EEENS1_30default_config_static_selectorELNS0_4arch9wavefront6targetE1EEEvT1_.kd
    .uniform_work_group_size: 1
    .uses_dynamic_stack: false
    .vgpr_count:     0
    .vgpr_spill_count: 0
    .wavefront_size: 64
  - .args:
      - .offset:         0
        .size:           144
        .value_kind:     by_value
    .group_segment_fixed_size: 0
    .kernarg_segment_align: 8
    .kernarg_segment_size: 144
    .language:       OpenCL C
    .language_version:
      - 2
      - 0
    .max_flat_workgroup_size: 256
    .name:           _ZN7rocprim17ROCPRIM_400000_NS6detail17trampoline_kernelINS0_14default_configENS1_29reduce_by_key_config_selectorIalN6thrust23THRUST_200600_302600_NS4plusIlEEEEZZNS1_33reduce_by_key_impl_wrapped_configILNS1_25lookback_scan_determinismE0ES3_S9_PaNS6_17constant_iteratorIiNS6_11use_defaultESE_EENS6_10device_ptrIaEENSG_IlEEPmS8_NS6_8equal_toIaEEEE10hipError_tPvRmT2_T3_mT4_T5_T6_T7_T8_P12ihipStream_tbENKUlT_T0_E_clISt17integral_constantIbLb0EES12_IbLb1EEEEDaSY_SZ_EUlSY_E_NS1_11comp_targetILNS1_3genE0ELNS1_11target_archE4294967295ELNS1_3gpuE0ELNS1_3repE0EEENS1_30default_config_static_selectorELNS0_4arch9wavefront6targetE1EEEvT1_
    .private_segment_fixed_size: 0
    .sgpr_count:     4
    .sgpr_spill_count: 0
    .symbol:         _ZN7rocprim17ROCPRIM_400000_NS6detail17trampoline_kernelINS0_14default_configENS1_29reduce_by_key_config_selectorIalN6thrust23THRUST_200600_302600_NS4plusIlEEEEZZNS1_33reduce_by_key_impl_wrapped_configILNS1_25lookback_scan_determinismE0ES3_S9_PaNS6_17constant_iteratorIiNS6_11use_defaultESE_EENS6_10device_ptrIaEENSG_IlEEPmS8_NS6_8equal_toIaEEEE10hipError_tPvRmT2_T3_mT4_T5_T6_T7_T8_P12ihipStream_tbENKUlT_T0_E_clISt17integral_constantIbLb0EES12_IbLb1EEEEDaSY_SZ_EUlSY_E_NS1_11comp_targetILNS1_3genE0ELNS1_11target_archE4294967295ELNS1_3gpuE0ELNS1_3repE0EEENS1_30default_config_static_selectorELNS0_4arch9wavefront6targetE1EEEvT1_.kd
    .uniform_work_group_size: 1
    .uses_dynamic_stack: false
    .vgpr_count:     0
    .vgpr_spill_count: 0
    .wavefront_size: 64
  - .args:
      - .offset:         0
        .size:           144
        .value_kind:     by_value
    .group_segment_fixed_size: 0
    .kernarg_segment_align: 8
    .kernarg_segment_size: 144
    .language:       OpenCL C
    .language_version:
      - 2
      - 0
    .max_flat_workgroup_size: 256
    .name:           _ZN7rocprim17ROCPRIM_400000_NS6detail17trampoline_kernelINS0_14default_configENS1_29reduce_by_key_config_selectorIalN6thrust23THRUST_200600_302600_NS4plusIlEEEEZZNS1_33reduce_by_key_impl_wrapped_configILNS1_25lookback_scan_determinismE0ES3_S9_PaNS6_17constant_iteratorIiNS6_11use_defaultESE_EENS6_10device_ptrIaEENSG_IlEEPmS8_NS6_8equal_toIaEEEE10hipError_tPvRmT2_T3_mT4_T5_T6_T7_T8_P12ihipStream_tbENKUlT_T0_E_clISt17integral_constantIbLb0EES12_IbLb1EEEEDaSY_SZ_EUlSY_E_NS1_11comp_targetILNS1_3genE5ELNS1_11target_archE942ELNS1_3gpuE9ELNS1_3repE0EEENS1_30default_config_static_selectorELNS0_4arch9wavefront6targetE1EEEvT1_
    .private_segment_fixed_size: 0
    .sgpr_count:     4
    .sgpr_spill_count: 0
    .symbol:         _ZN7rocprim17ROCPRIM_400000_NS6detail17trampoline_kernelINS0_14default_configENS1_29reduce_by_key_config_selectorIalN6thrust23THRUST_200600_302600_NS4plusIlEEEEZZNS1_33reduce_by_key_impl_wrapped_configILNS1_25lookback_scan_determinismE0ES3_S9_PaNS6_17constant_iteratorIiNS6_11use_defaultESE_EENS6_10device_ptrIaEENSG_IlEEPmS8_NS6_8equal_toIaEEEE10hipError_tPvRmT2_T3_mT4_T5_T6_T7_T8_P12ihipStream_tbENKUlT_T0_E_clISt17integral_constantIbLb0EES12_IbLb1EEEEDaSY_SZ_EUlSY_E_NS1_11comp_targetILNS1_3genE5ELNS1_11target_archE942ELNS1_3gpuE9ELNS1_3repE0EEENS1_30default_config_static_selectorELNS0_4arch9wavefront6targetE1EEEvT1_.kd
    .uniform_work_group_size: 1
    .uses_dynamic_stack: false
    .vgpr_count:     0
    .vgpr_spill_count: 0
    .wavefront_size: 64
  - .args:
      - .offset:         0
        .size:           144
        .value_kind:     by_value
    .group_segment_fixed_size: 0
    .kernarg_segment_align: 8
    .kernarg_segment_size: 144
    .language:       OpenCL C
    .language_version:
      - 2
      - 0
    .max_flat_workgroup_size: 256
    .name:           _ZN7rocprim17ROCPRIM_400000_NS6detail17trampoline_kernelINS0_14default_configENS1_29reduce_by_key_config_selectorIalN6thrust23THRUST_200600_302600_NS4plusIlEEEEZZNS1_33reduce_by_key_impl_wrapped_configILNS1_25lookback_scan_determinismE0ES3_S9_PaNS6_17constant_iteratorIiNS6_11use_defaultESE_EENS6_10device_ptrIaEENSG_IlEEPmS8_NS6_8equal_toIaEEEE10hipError_tPvRmT2_T3_mT4_T5_T6_T7_T8_P12ihipStream_tbENKUlT_T0_E_clISt17integral_constantIbLb0EES12_IbLb1EEEEDaSY_SZ_EUlSY_E_NS1_11comp_targetILNS1_3genE4ELNS1_11target_archE910ELNS1_3gpuE8ELNS1_3repE0EEENS1_30default_config_static_selectorELNS0_4arch9wavefront6targetE1EEEvT1_
    .private_segment_fixed_size: 0
    .sgpr_count:     4
    .sgpr_spill_count: 0
    .symbol:         _ZN7rocprim17ROCPRIM_400000_NS6detail17trampoline_kernelINS0_14default_configENS1_29reduce_by_key_config_selectorIalN6thrust23THRUST_200600_302600_NS4plusIlEEEEZZNS1_33reduce_by_key_impl_wrapped_configILNS1_25lookback_scan_determinismE0ES3_S9_PaNS6_17constant_iteratorIiNS6_11use_defaultESE_EENS6_10device_ptrIaEENSG_IlEEPmS8_NS6_8equal_toIaEEEE10hipError_tPvRmT2_T3_mT4_T5_T6_T7_T8_P12ihipStream_tbENKUlT_T0_E_clISt17integral_constantIbLb0EES12_IbLb1EEEEDaSY_SZ_EUlSY_E_NS1_11comp_targetILNS1_3genE4ELNS1_11target_archE910ELNS1_3gpuE8ELNS1_3repE0EEENS1_30default_config_static_selectorELNS0_4arch9wavefront6targetE1EEEvT1_.kd
    .uniform_work_group_size: 1
    .uses_dynamic_stack: false
    .vgpr_count:     0
    .vgpr_spill_count: 0
    .wavefront_size: 64
  - .args:
      - .offset:         0
        .size:           144
        .value_kind:     by_value
    .group_segment_fixed_size: 0
    .kernarg_segment_align: 8
    .kernarg_segment_size: 144
    .language:       OpenCL C
    .language_version:
      - 2
      - 0
    .max_flat_workgroup_size: 256
    .name:           _ZN7rocprim17ROCPRIM_400000_NS6detail17trampoline_kernelINS0_14default_configENS1_29reduce_by_key_config_selectorIalN6thrust23THRUST_200600_302600_NS4plusIlEEEEZZNS1_33reduce_by_key_impl_wrapped_configILNS1_25lookback_scan_determinismE0ES3_S9_PaNS6_17constant_iteratorIiNS6_11use_defaultESE_EENS6_10device_ptrIaEENSG_IlEEPmS8_NS6_8equal_toIaEEEE10hipError_tPvRmT2_T3_mT4_T5_T6_T7_T8_P12ihipStream_tbENKUlT_T0_E_clISt17integral_constantIbLb0EES12_IbLb1EEEEDaSY_SZ_EUlSY_E_NS1_11comp_targetILNS1_3genE3ELNS1_11target_archE908ELNS1_3gpuE7ELNS1_3repE0EEENS1_30default_config_static_selectorELNS0_4arch9wavefront6targetE1EEEvT1_
    .private_segment_fixed_size: 0
    .sgpr_count:     4
    .sgpr_spill_count: 0
    .symbol:         _ZN7rocprim17ROCPRIM_400000_NS6detail17trampoline_kernelINS0_14default_configENS1_29reduce_by_key_config_selectorIalN6thrust23THRUST_200600_302600_NS4plusIlEEEEZZNS1_33reduce_by_key_impl_wrapped_configILNS1_25lookback_scan_determinismE0ES3_S9_PaNS6_17constant_iteratorIiNS6_11use_defaultESE_EENS6_10device_ptrIaEENSG_IlEEPmS8_NS6_8equal_toIaEEEE10hipError_tPvRmT2_T3_mT4_T5_T6_T7_T8_P12ihipStream_tbENKUlT_T0_E_clISt17integral_constantIbLb0EES12_IbLb1EEEEDaSY_SZ_EUlSY_E_NS1_11comp_targetILNS1_3genE3ELNS1_11target_archE908ELNS1_3gpuE7ELNS1_3repE0EEENS1_30default_config_static_selectorELNS0_4arch9wavefront6targetE1EEEvT1_.kd
    .uniform_work_group_size: 1
    .uses_dynamic_stack: false
    .vgpr_count:     0
    .vgpr_spill_count: 0
    .wavefront_size: 64
  - .args:
      - .offset:         0
        .size:           144
        .value_kind:     by_value
    .group_segment_fixed_size: 30720
    .kernarg_segment_align: 8
    .kernarg_segment_size: 144
    .language:       OpenCL C
    .language_version:
      - 2
      - 0
    .max_flat_workgroup_size: 256
    .name:           _ZN7rocprim17ROCPRIM_400000_NS6detail17trampoline_kernelINS0_14default_configENS1_29reduce_by_key_config_selectorIalN6thrust23THRUST_200600_302600_NS4plusIlEEEEZZNS1_33reduce_by_key_impl_wrapped_configILNS1_25lookback_scan_determinismE0ES3_S9_PaNS6_17constant_iteratorIiNS6_11use_defaultESE_EENS6_10device_ptrIaEENSG_IlEEPmS8_NS6_8equal_toIaEEEE10hipError_tPvRmT2_T3_mT4_T5_T6_T7_T8_P12ihipStream_tbENKUlT_T0_E_clISt17integral_constantIbLb0EES12_IbLb1EEEEDaSY_SZ_EUlSY_E_NS1_11comp_targetILNS1_3genE2ELNS1_11target_archE906ELNS1_3gpuE6ELNS1_3repE0EEENS1_30default_config_static_selectorELNS0_4arch9wavefront6targetE1EEEvT1_
    .private_segment_fixed_size: 64
    .sgpr_count:     72
    .sgpr_spill_count: 0
    .symbol:         _ZN7rocprim17ROCPRIM_400000_NS6detail17trampoline_kernelINS0_14default_configENS1_29reduce_by_key_config_selectorIalN6thrust23THRUST_200600_302600_NS4plusIlEEEEZZNS1_33reduce_by_key_impl_wrapped_configILNS1_25lookback_scan_determinismE0ES3_S9_PaNS6_17constant_iteratorIiNS6_11use_defaultESE_EENS6_10device_ptrIaEENSG_IlEEPmS8_NS6_8equal_toIaEEEE10hipError_tPvRmT2_T3_mT4_T5_T6_T7_T8_P12ihipStream_tbENKUlT_T0_E_clISt17integral_constantIbLb0EES12_IbLb1EEEEDaSY_SZ_EUlSY_E_NS1_11comp_targetILNS1_3genE2ELNS1_11target_archE906ELNS1_3gpuE6ELNS1_3repE0EEENS1_30default_config_static_selectorELNS0_4arch9wavefront6targetE1EEEvT1_.kd
    .uniform_work_group_size: 1
    .uses_dynamic_stack: false
    .vgpr_count:     115
    .vgpr_spill_count: 0
    .wavefront_size: 64
  - .args:
      - .offset:         0
        .size:           144
        .value_kind:     by_value
    .group_segment_fixed_size: 0
    .kernarg_segment_align: 8
    .kernarg_segment_size: 144
    .language:       OpenCL C
    .language_version:
      - 2
      - 0
    .max_flat_workgroup_size: 256
    .name:           _ZN7rocprim17ROCPRIM_400000_NS6detail17trampoline_kernelINS0_14default_configENS1_29reduce_by_key_config_selectorIalN6thrust23THRUST_200600_302600_NS4plusIlEEEEZZNS1_33reduce_by_key_impl_wrapped_configILNS1_25lookback_scan_determinismE0ES3_S9_PaNS6_17constant_iteratorIiNS6_11use_defaultESE_EENS6_10device_ptrIaEENSG_IlEEPmS8_NS6_8equal_toIaEEEE10hipError_tPvRmT2_T3_mT4_T5_T6_T7_T8_P12ihipStream_tbENKUlT_T0_E_clISt17integral_constantIbLb0EES12_IbLb1EEEEDaSY_SZ_EUlSY_E_NS1_11comp_targetILNS1_3genE10ELNS1_11target_archE1201ELNS1_3gpuE5ELNS1_3repE0EEENS1_30default_config_static_selectorELNS0_4arch9wavefront6targetE1EEEvT1_
    .private_segment_fixed_size: 0
    .sgpr_count:     4
    .sgpr_spill_count: 0
    .symbol:         _ZN7rocprim17ROCPRIM_400000_NS6detail17trampoline_kernelINS0_14default_configENS1_29reduce_by_key_config_selectorIalN6thrust23THRUST_200600_302600_NS4plusIlEEEEZZNS1_33reduce_by_key_impl_wrapped_configILNS1_25lookback_scan_determinismE0ES3_S9_PaNS6_17constant_iteratorIiNS6_11use_defaultESE_EENS6_10device_ptrIaEENSG_IlEEPmS8_NS6_8equal_toIaEEEE10hipError_tPvRmT2_T3_mT4_T5_T6_T7_T8_P12ihipStream_tbENKUlT_T0_E_clISt17integral_constantIbLb0EES12_IbLb1EEEEDaSY_SZ_EUlSY_E_NS1_11comp_targetILNS1_3genE10ELNS1_11target_archE1201ELNS1_3gpuE5ELNS1_3repE0EEENS1_30default_config_static_selectorELNS0_4arch9wavefront6targetE1EEEvT1_.kd
    .uniform_work_group_size: 1
    .uses_dynamic_stack: false
    .vgpr_count:     0
    .vgpr_spill_count: 0
    .wavefront_size: 64
  - .args:
      - .offset:         0
        .size:           144
        .value_kind:     by_value
    .group_segment_fixed_size: 0
    .kernarg_segment_align: 8
    .kernarg_segment_size: 144
    .language:       OpenCL C
    .language_version:
      - 2
      - 0
    .max_flat_workgroup_size: 256
    .name:           _ZN7rocprim17ROCPRIM_400000_NS6detail17trampoline_kernelINS0_14default_configENS1_29reduce_by_key_config_selectorIalN6thrust23THRUST_200600_302600_NS4plusIlEEEEZZNS1_33reduce_by_key_impl_wrapped_configILNS1_25lookback_scan_determinismE0ES3_S9_PaNS6_17constant_iteratorIiNS6_11use_defaultESE_EENS6_10device_ptrIaEENSG_IlEEPmS8_NS6_8equal_toIaEEEE10hipError_tPvRmT2_T3_mT4_T5_T6_T7_T8_P12ihipStream_tbENKUlT_T0_E_clISt17integral_constantIbLb0EES12_IbLb1EEEEDaSY_SZ_EUlSY_E_NS1_11comp_targetILNS1_3genE10ELNS1_11target_archE1200ELNS1_3gpuE4ELNS1_3repE0EEENS1_30default_config_static_selectorELNS0_4arch9wavefront6targetE1EEEvT1_
    .private_segment_fixed_size: 0
    .sgpr_count:     4
    .sgpr_spill_count: 0
    .symbol:         _ZN7rocprim17ROCPRIM_400000_NS6detail17trampoline_kernelINS0_14default_configENS1_29reduce_by_key_config_selectorIalN6thrust23THRUST_200600_302600_NS4plusIlEEEEZZNS1_33reduce_by_key_impl_wrapped_configILNS1_25lookback_scan_determinismE0ES3_S9_PaNS6_17constant_iteratorIiNS6_11use_defaultESE_EENS6_10device_ptrIaEENSG_IlEEPmS8_NS6_8equal_toIaEEEE10hipError_tPvRmT2_T3_mT4_T5_T6_T7_T8_P12ihipStream_tbENKUlT_T0_E_clISt17integral_constantIbLb0EES12_IbLb1EEEEDaSY_SZ_EUlSY_E_NS1_11comp_targetILNS1_3genE10ELNS1_11target_archE1200ELNS1_3gpuE4ELNS1_3repE0EEENS1_30default_config_static_selectorELNS0_4arch9wavefront6targetE1EEEvT1_.kd
    .uniform_work_group_size: 1
    .uses_dynamic_stack: false
    .vgpr_count:     0
    .vgpr_spill_count: 0
    .wavefront_size: 64
  - .args:
      - .offset:         0
        .size:           144
        .value_kind:     by_value
    .group_segment_fixed_size: 0
    .kernarg_segment_align: 8
    .kernarg_segment_size: 144
    .language:       OpenCL C
    .language_version:
      - 2
      - 0
    .max_flat_workgroup_size: 256
    .name:           _ZN7rocprim17ROCPRIM_400000_NS6detail17trampoline_kernelINS0_14default_configENS1_29reduce_by_key_config_selectorIalN6thrust23THRUST_200600_302600_NS4plusIlEEEEZZNS1_33reduce_by_key_impl_wrapped_configILNS1_25lookback_scan_determinismE0ES3_S9_PaNS6_17constant_iteratorIiNS6_11use_defaultESE_EENS6_10device_ptrIaEENSG_IlEEPmS8_NS6_8equal_toIaEEEE10hipError_tPvRmT2_T3_mT4_T5_T6_T7_T8_P12ihipStream_tbENKUlT_T0_E_clISt17integral_constantIbLb0EES12_IbLb1EEEEDaSY_SZ_EUlSY_E_NS1_11comp_targetILNS1_3genE9ELNS1_11target_archE1100ELNS1_3gpuE3ELNS1_3repE0EEENS1_30default_config_static_selectorELNS0_4arch9wavefront6targetE1EEEvT1_
    .private_segment_fixed_size: 0
    .sgpr_count:     4
    .sgpr_spill_count: 0
    .symbol:         _ZN7rocprim17ROCPRIM_400000_NS6detail17trampoline_kernelINS0_14default_configENS1_29reduce_by_key_config_selectorIalN6thrust23THRUST_200600_302600_NS4plusIlEEEEZZNS1_33reduce_by_key_impl_wrapped_configILNS1_25lookback_scan_determinismE0ES3_S9_PaNS6_17constant_iteratorIiNS6_11use_defaultESE_EENS6_10device_ptrIaEENSG_IlEEPmS8_NS6_8equal_toIaEEEE10hipError_tPvRmT2_T3_mT4_T5_T6_T7_T8_P12ihipStream_tbENKUlT_T0_E_clISt17integral_constantIbLb0EES12_IbLb1EEEEDaSY_SZ_EUlSY_E_NS1_11comp_targetILNS1_3genE9ELNS1_11target_archE1100ELNS1_3gpuE3ELNS1_3repE0EEENS1_30default_config_static_selectorELNS0_4arch9wavefront6targetE1EEEvT1_.kd
    .uniform_work_group_size: 1
    .uses_dynamic_stack: false
    .vgpr_count:     0
    .vgpr_spill_count: 0
    .wavefront_size: 64
  - .args:
      - .offset:         0
        .size:           144
        .value_kind:     by_value
    .group_segment_fixed_size: 0
    .kernarg_segment_align: 8
    .kernarg_segment_size: 144
    .language:       OpenCL C
    .language_version:
      - 2
      - 0
    .max_flat_workgroup_size: 256
    .name:           _ZN7rocprim17ROCPRIM_400000_NS6detail17trampoline_kernelINS0_14default_configENS1_29reduce_by_key_config_selectorIalN6thrust23THRUST_200600_302600_NS4plusIlEEEEZZNS1_33reduce_by_key_impl_wrapped_configILNS1_25lookback_scan_determinismE0ES3_S9_PaNS6_17constant_iteratorIiNS6_11use_defaultESE_EENS6_10device_ptrIaEENSG_IlEEPmS8_NS6_8equal_toIaEEEE10hipError_tPvRmT2_T3_mT4_T5_T6_T7_T8_P12ihipStream_tbENKUlT_T0_E_clISt17integral_constantIbLb0EES12_IbLb1EEEEDaSY_SZ_EUlSY_E_NS1_11comp_targetILNS1_3genE8ELNS1_11target_archE1030ELNS1_3gpuE2ELNS1_3repE0EEENS1_30default_config_static_selectorELNS0_4arch9wavefront6targetE1EEEvT1_
    .private_segment_fixed_size: 0
    .sgpr_count:     4
    .sgpr_spill_count: 0
    .symbol:         _ZN7rocprim17ROCPRIM_400000_NS6detail17trampoline_kernelINS0_14default_configENS1_29reduce_by_key_config_selectorIalN6thrust23THRUST_200600_302600_NS4plusIlEEEEZZNS1_33reduce_by_key_impl_wrapped_configILNS1_25lookback_scan_determinismE0ES3_S9_PaNS6_17constant_iteratorIiNS6_11use_defaultESE_EENS6_10device_ptrIaEENSG_IlEEPmS8_NS6_8equal_toIaEEEE10hipError_tPvRmT2_T3_mT4_T5_T6_T7_T8_P12ihipStream_tbENKUlT_T0_E_clISt17integral_constantIbLb0EES12_IbLb1EEEEDaSY_SZ_EUlSY_E_NS1_11comp_targetILNS1_3genE8ELNS1_11target_archE1030ELNS1_3gpuE2ELNS1_3repE0EEENS1_30default_config_static_selectorELNS0_4arch9wavefront6targetE1EEEvT1_.kd
    .uniform_work_group_size: 1
    .uses_dynamic_stack: false
    .vgpr_count:     0
    .vgpr_spill_count: 0
    .wavefront_size: 64
  - .args:
      - .offset:         0
        .size:           88
        .value_kind:     by_value
    .group_segment_fixed_size: 0
    .kernarg_segment_align: 8
    .kernarg_segment_size: 88
    .language:       OpenCL C
    .language_version:
      - 2
      - 0
    .max_flat_workgroup_size: 128
    .name:           _ZN7rocprim17ROCPRIM_400000_NS6detail17trampoline_kernelINS0_14default_configENS1_22reduce_config_selectorIN6thrust23THRUST_200600_302600_NS5tupleIblNS6_9null_typeES8_S8_S8_S8_S8_S8_S8_EEEEZNS1_11reduce_implILb1ES3_NS6_12zip_iteratorINS7_INS6_11hip_rocprim26transform_input_iterator_tIbPaNS6_6detail10functional5actorINSH_9compositeIJNSH_27transparent_binary_operatorINS6_8equal_toIvEEEENSI_INSH_8argumentILj0EEEEENSH_5valueIaEEEEEEEEENSD_19counting_iterator_tIlEES8_S8_S8_S8_S8_S8_S8_S8_EEEEPS9_S9_NSD_9__find_if7functorIS9_EEEE10hipError_tPvRmT1_T2_T3_mT4_P12ihipStream_tbEUlT_E0_NS1_11comp_targetILNS1_3genE0ELNS1_11target_archE4294967295ELNS1_3gpuE0ELNS1_3repE0EEENS1_30default_config_static_selectorELNS0_4arch9wavefront6targetE1EEEvS17_
    .private_segment_fixed_size: 0
    .sgpr_count:     4
    .sgpr_spill_count: 0
    .symbol:         _ZN7rocprim17ROCPRIM_400000_NS6detail17trampoline_kernelINS0_14default_configENS1_22reduce_config_selectorIN6thrust23THRUST_200600_302600_NS5tupleIblNS6_9null_typeES8_S8_S8_S8_S8_S8_S8_EEEEZNS1_11reduce_implILb1ES3_NS6_12zip_iteratorINS7_INS6_11hip_rocprim26transform_input_iterator_tIbPaNS6_6detail10functional5actorINSH_9compositeIJNSH_27transparent_binary_operatorINS6_8equal_toIvEEEENSI_INSH_8argumentILj0EEEEENSH_5valueIaEEEEEEEEENSD_19counting_iterator_tIlEES8_S8_S8_S8_S8_S8_S8_S8_EEEEPS9_S9_NSD_9__find_if7functorIS9_EEEE10hipError_tPvRmT1_T2_T3_mT4_P12ihipStream_tbEUlT_E0_NS1_11comp_targetILNS1_3genE0ELNS1_11target_archE4294967295ELNS1_3gpuE0ELNS1_3repE0EEENS1_30default_config_static_selectorELNS0_4arch9wavefront6targetE1EEEvS17_.kd
    .uniform_work_group_size: 1
    .uses_dynamic_stack: false
    .vgpr_count:     0
    .vgpr_spill_count: 0
    .wavefront_size: 64
  - .args:
      - .offset:         0
        .size:           88
        .value_kind:     by_value
    .group_segment_fixed_size: 0
    .kernarg_segment_align: 8
    .kernarg_segment_size: 88
    .language:       OpenCL C
    .language_version:
      - 2
      - 0
    .max_flat_workgroup_size: 256
    .name:           _ZN7rocprim17ROCPRIM_400000_NS6detail17trampoline_kernelINS0_14default_configENS1_22reduce_config_selectorIN6thrust23THRUST_200600_302600_NS5tupleIblNS6_9null_typeES8_S8_S8_S8_S8_S8_S8_EEEEZNS1_11reduce_implILb1ES3_NS6_12zip_iteratorINS7_INS6_11hip_rocprim26transform_input_iterator_tIbPaNS6_6detail10functional5actorINSH_9compositeIJNSH_27transparent_binary_operatorINS6_8equal_toIvEEEENSI_INSH_8argumentILj0EEEEENSH_5valueIaEEEEEEEEENSD_19counting_iterator_tIlEES8_S8_S8_S8_S8_S8_S8_S8_EEEEPS9_S9_NSD_9__find_if7functorIS9_EEEE10hipError_tPvRmT1_T2_T3_mT4_P12ihipStream_tbEUlT_E0_NS1_11comp_targetILNS1_3genE5ELNS1_11target_archE942ELNS1_3gpuE9ELNS1_3repE0EEENS1_30default_config_static_selectorELNS0_4arch9wavefront6targetE1EEEvS17_
    .private_segment_fixed_size: 0
    .sgpr_count:     4
    .sgpr_spill_count: 0
    .symbol:         _ZN7rocprim17ROCPRIM_400000_NS6detail17trampoline_kernelINS0_14default_configENS1_22reduce_config_selectorIN6thrust23THRUST_200600_302600_NS5tupleIblNS6_9null_typeES8_S8_S8_S8_S8_S8_S8_EEEEZNS1_11reduce_implILb1ES3_NS6_12zip_iteratorINS7_INS6_11hip_rocprim26transform_input_iterator_tIbPaNS6_6detail10functional5actorINSH_9compositeIJNSH_27transparent_binary_operatorINS6_8equal_toIvEEEENSI_INSH_8argumentILj0EEEEENSH_5valueIaEEEEEEEEENSD_19counting_iterator_tIlEES8_S8_S8_S8_S8_S8_S8_S8_EEEEPS9_S9_NSD_9__find_if7functorIS9_EEEE10hipError_tPvRmT1_T2_T3_mT4_P12ihipStream_tbEUlT_E0_NS1_11comp_targetILNS1_3genE5ELNS1_11target_archE942ELNS1_3gpuE9ELNS1_3repE0EEENS1_30default_config_static_selectorELNS0_4arch9wavefront6targetE1EEEvS17_.kd
    .uniform_work_group_size: 1
    .uses_dynamic_stack: false
    .vgpr_count:     0
    .vgpr_spill_count: 0
    .wavefront_size: 64
  - .args:
      - .offset:         0
        .size:           88
        .value_kind:     by_value
    .group_segment_fixed_size: 0
    .kernarg_segment_align: 8
    .kernarg_segment_size: 88
    .language:       OpenCL C
    .language_version:
      - 2
      - 0
    .max_flat_workgroup_size: 256
    .name:           _ZN7rocprim17ROCPRIM_400000_NS6detail17trampoline_kernelINS0_14default_configENS1_22reduce_config_selectorIN6thrust23THRUST_200600_302600_NS5tupleIblNS6_9null_typeES8_S8_S8_S8_S8_S8_S8_EEEEZNS1_11reduce_implILb1ES3_NS6_12zip_iteratorINS7_INS6_11hip_rocprim26transform_input_iterator_tIbPaNS6_6detail10functional5actorINSH_9compositeIJNSH_27transparent_binary_operatorINS6_8equal_toIvEEEENSI_INSH_8argumentILj0EEEEENSH_5valueIaEEEEEEEEENSD_19counting_iterator_tIlEES8_S8_S8_S8_S8_S8_S8_S8_EEEEPS9_S9_NSD_9__find_if7functorIS9_EEEE10hipError_tPvRmT1_T2_T3_mT4_P12ihipStream_tbEUlT_E0_NS1_11comp_targetILNS1_3genE4ELNS1_11target_archE910ELNS1_3gpuE8ELNS1_3repE0EEENS1_30default_config_static_selectorELNS0_4arch9wavefront6targetE1EEEvS17_
    .private_segment_fixed_size: 0
    .sgpr_count:     4
    .sgpr_spill_count: 0
    .symbol:         _ZN7rocprim17ROCPRIM_400000_NS6detail17trampoline_kernelINS0_14default_configENS1_22reduce_config_selectorIN6thrust23THRUST_200600_302600_NS5tupleIblNS6_9null_typeES8_S8_S8_S8_S8_S8_S8_EEEEZNS1_11reduce_implILb1ES3_NS6_12zip_iteratorINS7_INS6_11hip_rocprim26transform_input_iterator_tIbPaNS6_6detail10functional5actorINSH_9compositeIJNSH_27transparent_binary_operatorINS6_8equal_toIvEEEENSI_INSH_8argumentILj0EEEEENSH_5valueIaEEEEEEEEENSD_19counting_iterator_tIlEES8_S8_S8_S8_S8_S8_S8_S8_EEEEPS9_S9_NSD_9__find_if7functorIS9_EEEE10hipError_tPvRmT1_T2_T3_mT4_P12ihipStream_tbEUlT_E0_NS1_11comp_targetILNS1_3genE4ELNS1_11target_archE910ELNS1_3gpuE8ELNS1_3repE0EEENS1_30default_config_static_selectorELNS0_4arch9wavefront6targetE1EEEvS17_.kd
    .uniform_work_group_size: 1
    .uses_dynamic_stack: false
    .vgpr_count:     0
    .vgpr_spill_count: 0
    .wavefront_size: 64
  - .args:
      - .offset:         0
        .size:           88
        .value_kind:     by_value
    .group_segment_fixed_size: 0
    .kernarg_segment_align: 8
    .kernarg_segment_size: 88
    .language:       OpenCL C
    .language_version:
      - 2
      - 0
    .max_flat_workgroup_size: 128
    .name:           _ZN7rocprim17ROCPRIM_400000_NS6detail17trampoline_kernelINS0_14default_configENS1_22reduce_config_selectorIN6thrust23THRUST_200600_302600_NS5tupleIblNS6_9null_typeES8_S8_S8_S8_S8_S8_S8_EEEEZNS1_11reduce_implILb1ES3_NS6_12zip_iteratorINS7_INS6_11hip_rocprim26transform_input_iterator_tIbPaNS6_6detail10functional5actorINSH_9compositeIJNSH_27transparent_binary_operatorINS6_8equal_toIvEEEENSI_INSH_8argumentILj0EEEEENSH_5valueIaEEEEEEEEENSD_19counting_iterator_tIlEES8_S8_S8_S8_S8_S8_S8_S8_EEEEPS9_S9_NSD_9__find_if7functorIS9_EEEE10hipError_tPvRmT1_T2_T3_mT4_P12ihipStream_tbEUlT_E0_NS1_11comp_targetILNS1_3genE3ELNS1_11target_archE908ELNS1_3gpuE7ELNS1_3repE0EEENS1_30default_config_static_selectorELNS0_4arch9wavefront6targetE1EEEvS17_
    .private_segment_fixed_size: 0
    .sgpr_count:     4
    .sgpr_spill_count: 0
    .symbol:         _ZN7rocprim17ROCPRIM_400000_NS6detail17trampoline_kernelINS0_14default_configENS1_22reduce_config_selectorIN6thrust23THRUST_200600_302600_NS5tupleIblNS6_9null_typeES8_S8_S8_S8_S8_S8_S8_EEEEZNS1_11reduce_implILb1ES3_NS6_12zip_iteratorINS7_INS6_11hip_rocprim26transform_input_iterator_tIbPaNS6_6detail10functional5actorINSH_9compositeIJNSH_27transparent_binary_operatorINS6_8equal_toIvEEEENSI_INSH_8argumentILj0EEEEENSH_5valueIaEEEEEEEEENSD_19counting_iterator_tIlEES8_S8_S8_S8_S8_S8_S8_S8_EEEEPS9_S9_NSD_9__find_if7functorIS9_EEEE10hipError_tPvRmT1_T2_T3_mT4_P12ihipStream_tbEUlT_E0_NS1_11comp_targetILNS1_3genE3ELNS1_11target_archE908ELNS1_3gpuE7ELNS1_3repE0EEENS1_30default_config_static_selectorELNS0_4arch9wavefront6targetE1EEEvS17_.kd
    .uniform_work_group_size: 1
    .uses_dynamic_stack: false
    .vgpr_count:     0
    .vgpr_spill_count: 0
    .wavefront_size: 64
  - .args:
      - .offset:         0
        .size:           88
        .value_kind:     by_value
    .group_segment_fixed_size: 64
    .kernarg_segment_align: 8
    .kernarg_segment_size: 88
    .language:       OpenCL C
    .language_version:
      - 2
      - 0
    .max_flat_workgroup_size: 128
    .name:           _ZN7rocprim17ROCPRIM_400000_NS6detail17trampoline_kernelINS0_14default_configENS1_22reduce_config_selectorIN6thrust23THRUST_200600_302600_NS5tupleIblNS6_9null_typeES8_S8_S8_S8_S8_S8_S8_EEEEZNS1_11reduce_implILb1ES3_NS6_12zip_iteratorINS7_INS6_11hip_rocprim26transform_input_iterator_tIbPaNS6_6detail10functional5actorINSH_9compositeIJNSH_27transparent_binary_operatorINS6_8equal_toIvEEEENSI_INSH_8argumentILj0EEEEENSH_5valueIaEEEEEEEEENSD_19counting_iterator_tIlEES8_S8_S8_S8_S8_S8_S8_S8_EEEEPS9_S9_NSD_9__find_if7functorIS9_EEEE10hipError_tPvRmT1_T2_T3_mT4_P12ihipStream_tbEUlT_E0_NS1_11comp_targetILNS1_3genE2ELNS1_11target_archE906ELNS1_3gpuE6ELNS1_3repE0EEENS1_30default_config_static_selectorELNS0_4arch9wavefront6targetE1EEEvS17_
    .private_segment_fixed_size: 0
    .sgpr_count:     32
    .sgpr_spill_count: 0
    .symbol:         _ZN7rocprim17ROCPRIM_400000_NS6detail17trampoline_kernelINS0_14default_configENS1_22reduce_config_selectorIN6thrust23THRUST_200600_302600_NS5tupleIblNS6_9null_typeES8_S8_S8_S8_S8_S8_S8_EEEEZNS1_11reduce_implILb1ES3_NS6_12zip_iteratorINS7_INS6_11hip_rocprim26transform_input_iterator_tIbPaNS6_6detail10functional5actorINSH_9compositeIJNSH_27transparent_binary_operatorINS6_8equal_toIvEEEENSI_INSH_8argumentILj0EEEEENSH_5valueIaEEEEEEEEENSD_19counting_iterator_tIlEES8_S8_S8_S8_S8_S8_S8_S8_EEEEPS9_S9_NSD_9__find_if7functorIS9_EEEE10hipError_tPvRmT1_T2_T3_mT4_P12ihipStream_tbEUlT_E0_NS1_11comp_targetILNS1_3genE2ELNS1_11target_archE906ELNS1_3gpuE6ELNS1_3repE0EEENS1_30default_config_static_selectorELNS0_4arch9wavefront6targetE1EEEvS17_.kd
    .uniform_work_group_size: 1
    .uses_dynamic_stack: false
    .vgpr_count:     12
    .vgpr_spill_count: 0
    .wavefront_size: 64
  - .args:
      - .offset:         0
        .size:           88
        .value_kind:     by_value
    .group_segment_fixed_size: 0
    .kernarg_segment_align: 8
    .kernarg_segment_size: 88
    .language:       OpenCL C
    .language_version:
      - 2
      - 0
    .max_flat_workgroup_size: 256
    .name:           _ZN7rocprim17ROCPRIM_400000_NS6detail17trampoline_kernelINS0_14default_configENS1_22reduce_config_selectorIN6thrust23THRUST_200600_302600_NS5tupleIblNS6_9null_typeES8_S8_S8_S8_S8_S8_S8_EEEEZNS1_11reduce_implILb1ES3_NS6_12zip_iteratorINS7_INS6_11hip_rocprim26transform_input_iterator_tIbPaNS6_6detail10functional5actorINSH_9compositeIJNSH_27transparent_binary_operatorINS6_8equal_toIvEEEENSI_INSH_8argumentILj0EEEEENSH_5valueIaEEEEEEEEENSD_19counting_iterator_tIlEES8_S8_S8_S8_S8_S8_S8_S8_EEEEPS9_S9_NSD_9__find_if7functorIS9_EEEE10hipError_tPvRmT1_T2_T3_mT4_P12ihipStream_tbEUlT_E0_NS1_11comp_targetILNS1_3genE10ELNS1_11target_archE1201ELNS1_3gpuE5ELNS1_3repE0EEENS1_30default_config_static_selectorELNS0_4arch9wavefront6targetE1EEEvS17_
    .private_segment_fixed_size: 0
    .sgpr_count:     4
    .sgpr_spill_count: 0
    .symbol:         _ZN7rocprim17ROCPRIM_400000_NS6detail17trampoline_kernelINS0_14default_configENS1_22reduce_config_selectorIN6thrust23THRUST_200600_302600_NS5tupleIblNS6_9null_typeES8_S8_S8_S8_S8_S8_S8_EEEEZNS1_11reduce_implILb1ES3_NS6_12zip_iteratorINS7_INS6_11hip_rocprim26transform_input_iterator_tIbPaNS6_6detail10functional5actorINSH_9compositeIJNSH_27transparent_binary_operatorINS6_8equal_toIvEEEENSI_INSH_8argumentILj0EEEEENSH_5valueIaEEEEEEEEENSD_19counting_iterator_tIlEES8_S8_S8_S8_S8_S8_S8_S8_EEEEPS9_S9_NSD_9__find_if7functorIS9_EEEE10hipError_tPvRmT1_T2_T3_mT4_P12ihipStream_tbEUlT_E0_NS1_11comp_targetILNS1_3genE10ELNS1_11target_archE1201ELNS1_3gpuE5ELNS1_3repE0EEENS1_30default_config_static_selectorELNS0_4arch9wavefront6targetE1EEEvS17_.kd
    .uniform_work_group_size: 1
    .uses_dynamic_stack: false
    .vgpr_count:     0
    .vgpr_spill_count: 0
    .wavefront_size: 64
  - .args:
      - .offset:         0
        .size:           88
        .value_kind:     by_value
    .group_segment_fixed_size: 0
    .kernarg_segment_align: 8
    .kernarg_segment_size: 88
    .language:       OpenCL C
    .language_version:
      - 2
      - 0
    .max_flat_workgroup_size: 256
    .name:           _ZN7rocprim17ROCPRIM_400000_NS6detail17trampoline_kernelINS0_14default_configENS1_22reduce_config_selectorIN6thrust23THRUST_200600_302600_NS5tupleIblNS6_9null_typeES8_S8_S8_S8_S8_S8_S8_EEEEZNS1_11reduce_implILb1ES3_NS6_12zip_iteratorINS7_INS6_11hip_rocprim26transform_input_iterator_tIbPaNS6_6detail10functional5actorINSH_9compositeIJNSH_27transparent_binary_operatorINS6_8equal_toIvEEEENSI_INSH_8argumentILj0EEEEENSH_5valueIaEEEEEEEEENSD_19counting_iterator_tIlEES8_S8_S8_S8_S8_S8_S8_S8_EEEEPS9_S9_NSD_9__find_if7functorIS9_EEEE10hipError_tPvRmT1_T2_T3_mT4_P12ihipStream_tbEUlT_E0_NS1_11comp_targetILNS1_3genE10ELNS1_11target_archE1200ELNS1_3gpuE4ELNS1_3repE0EEENS1_30default_config_static_selectorELNS0_4arch9wavefront6targetE1EEEvS17_
    .private_segment_fixed_size: 0
    .sgpr_count:     4
    .sgpr_spill_count: 0
    .symbol:         _ZN7rocprim17ROCPRIM_400000_NS6detail17trampoline_kernelINS0_14default_configENS1_22reduce_config_selectorIN6thrust23THRUST_200600_302600_NS5tupleIblNS6_9null_typeES8_S8_S8_S8_S8_S8_S8_EEEEZNS1_11reduce_implILb1ES3_NS6_12zip_iteratorINS7_INS6_11hip_rocprim26transform_input_iterator_tIbPaNS6_6detail10functional5actorINSH_9compositeIJNSH_27transparent_binary_operatorINS6_8equal_toIvEEEENSI_INSH_8argumentILj0EEEEENSH_5valueIaEEEEEEEEENSD_19counting_iterator_tIlEES8_S8_S8_S8_S8_S8_S8_S8_EEEEPS9_S9_NSD_9__find_if7functorIS9_EEEE10hipError_tPvRmT1_T2_T3_mT4_P12ihipStream_tbEUlT_E0_NS1_11comp_targetILNS1_3genE10ELNS1_11target_archE1200ELNS1_3gpuE4ELNS1_3repE0EEENS1_30default_config_static_selectorELNS0_4arch9wavefront6targetE1EEEvS17_.kd
    .uniform_work_group_size: 1
    .uses_dynamic_stack: false
    .vgpr_count:     0
    .vgpr_spill_count: 0
    .wavefront_size: 64
  - .args:
      - .offset:         0
        .size:           88
        .value_kind:     by_value
    .group_segment_fixed_size: 0
    .kernarg_segment_align: 8
    .kernarg_segment_size: 88
    .language:       OpenCL C
    .language_version:
      - 2
      - 0
    .max_flat_workgroup_size: 256
    .name:           _ZN7rocprim17ROCPRIM_400000_NS6detail17trampoline_kernelINS0_14default_configENS1_22reduce_config_selectorIN6thrust23THRUST_200600_302600_NS5tupleIblNS6_9null_typeES8_S8_S8_S8_S8_S8_S8_EEEEZNS1_11reduce_implILb1ES3_NS6_12zip_iteratorINS7_INS6_11hip_rocprim26transform_input_iterator_tIbPaNS6_6detail10functional5actorINSH_9compositeIJNSH_27transparent_binary_operatorINS6_8equal_toIvEEEENSI_INSH_8argumentILj0EEEEENSH_5valueIaEEEEEEEEENSD_19counting_iterator_tIlEES8_S8_S8_S8_S8_S8_S8_S8_EEEEPS9_S9_NSD_9__find_if7functorIS9_EEEE10hipError_tPvRmT1_T2_T3_mT4_P12ihipStream_tbEUlT_E0_NS1_11comp_targetILNS1_3genE9ELNS1_11target_archE1100ELNS1_3gpuE3ELNS1_3repE0EEENS1_30default_config_static_selectorELNS0_4arch9wavefront6targetE1EEEvS17_
    .private_segment_fixed_size: 0
    .sgpr_count:     4
    .sgpr_spill_count: 0
    .symbol:         _ZN7rocprim17ROCPRIM_400000_NS6detail17trampoline_kernelINS0_14default_configENS1_22reduce_config_selectorIN6thrust23THRUST_200600_302600_NS5tupleIblNS6_9null_typeES8_S8_S8_S8_S8_S8_S8_EEEEZNS1_11reduce_implILb1ES3_NS6_12zip_iteratorINS7_INS6_11hip_rocprim26transform_input_iterator_tIbPaNS6_6detail10functional5actorINSH_9compositeIJNSH_27transparent_binary_operatorINS6_8equal_toIvEEEENSI_INSH_8argumentILj0EEEEENSH_5valueIaEEEEEEEEENSD_19counting_iterator_tIlEES8_S8_S8_S8_S8_S8_S8_S8_EEEEPS9_S9_NSD_9__find_if7functorIS9_EEEE10hipError_tPvRmT1_T2_T3_mT4_P12ihipStream_tbEUlT_E0_NS1_11comp_targetILNS1_3genE9ELNS1_11target_archE1100ELNS1_3gpuE3ELNS1_3repE0EEENS1_30default_config_static_selectorELNS0_4arch9wavefront6targetE1EEEvS17_.kd
    .uniform_work_group_size: 1
    .uses_dynamic_stack: false
    .vgpr_count:     0
    .vgpr_spill_count: 0
    .wavefront_size: 64
  - .args:
      - .offset:         0
        .size:           88
        .value_kind:     by_value
    .group_segment_fixed_size: 0
    .kernarg_segment_align: 8
    .kernarg_segment_size: 88
    .language:       OpenCL C
    .language_version:
      - 2
      - 0
    .max_flat_workgroup_size: 256
    .name:           _ZN7rocprim17ROCPRIM_400000_NS6detail17trampoline_kernelINS0_14default_configENS1_22reduce_config_selectorIN6thrust23THRUST_200600_302600_NS5tupleIblNS6_9null_typeES8_S8_S8_S8_S8_S8_S8_EEEEZNS1_11reduce_implILb1ES3_NS6_12zip_iteratorINS7_INS6_11hip_rocprim26transform_input_iterator_tIbPaNS6_6detail10functional5actorINSH_9compositeIJNSH_27transparent_binary_operatorINS6_8equal_toIvEEEENSI_INSH_8argumentILj0EEEEENSH_5valueIaEEEEEEEEENSD_19counting_iterator_tIlEES8_S8_S8_S8_S8_S8_S8_S8_EEEEPS9_S9_NSD_9__find_if7functorIS9_EEEE10hipError_tPvRmT1_T2_T3_mT4_P12ihipStream_tbEUlT_E0_NS1_11comp_targetILNS1_3genE8ELNS1_11target_archE1030ELNS1_3gpuE2ELNS1_3repE0EEENS1_30default_config_static_selectorELNS0_4arch9wavefront6targetE1EEEvS17_
    .private_segment_fixed_size: 0
    .sgpr_count:     4
    .sgpr_spill_count: 0
    .symbol:         _ZN7rocprim17ROCPRIM_400000_NS6detail17trampoline_kernelINS0_14default_configENS1_22reduce_config_selectorIN6thrust23THRUST_200600_302600_NS5tupleIblNS6_9null_typeES8_S8_S8_S8_S8_S8_S8_EEEEZNS1_11reduce_implILb1ES3_NS6_12zip_iteratorINS7_INS6_11hip_rocprim26transform_input_iterator_tIbPaNS6_6detail10functional5actorINSH_9compositeIJNSH_27transparent_binary_operatorINS6_8equal_toIvEEEENSI_INSH_8argumentILj0EEEEENSH_5valueIaEEEEEEEEENSD_19counting_iterator_tIlEES8_S8_S8_S8_S8_S8_S8_S8_EEEEPS9_S9_NSD_9__find_if7functorIS9_EEEE10hipError_tPvRmT1_T2_T3_mT4_P12ihipStream_tbEUlT_E0_NS1_11comp_targetILNS1_3genE8ELNS1_11target_archE1030ELNS1_3gpuE2ELNS1_3repE0EEENS1_30default_config_static_selectorELNS0_4arch9wavefront6targetE1EEEvS17_.kd
    .uniform_work_group_size: 1
    .uses_dynamic_stack: false
    .vgpr_count:     0
    .vgpr_spill_count: 0
    .wavefront_size: 64
  - .args:
      - .offset:         0
        .size:           72
        .value_kind:     by_value
    .group_segment_fixed_size: 0
    .kernarg_segment_align: 8
    .kernarg_segment_size: 72
    .language:       OpenCL C
    .language_version:
      - 2
      - 0
    .max_flat_workgroup_size: 128
    .name:           _ZN7rocprim17ROCPRIM_400000_NS6detail17trampoline_kernelINS0_14default_configENS1_22reduce_config_selectorIN6thrust23THRUST_200600_302600_NS5tupleIblNS6_9null_typeES8_S8_S8_S8_S8_S8_S8_EEEEZNS1_11reduce_implILb1ES3_NS6_12zip_iteratorINS7_INS6_11hip_rocprim26transform_input_iterator_tIbPaNS6_6detail10functional5actorINSH_9compositeIJNSH_27transparent_binary_operatorINS6_8equal_toIvEEEENSI_INSH_8argumentILj0EEEEENSH_5valueIaEEEEEEEEENSD_19counting_iterator_tIlEES8_S8_S8_S8_S8_S8_S8_S8_EEEEPS9_S9_NSD_9__find_if7functorIS9_EEEE10hipError_tPvRmT1_T2_T3_mT4_P12ihipStream_tbEUlT_E1_NS1_11comp_targetILNS1_3genE0ELNS1_11target_archE4294967295ELNS1_3gpuE0ELNS1_3repE0EEENS1_30default_config_static_selectorELNS0_4arch9wavefront6targetE1EEEvS17_
    .private_segment_fixed_size: 0
    .sgpr_count:     4
    .sgpr_spill_count: 0
    .symbol:         _ZN7rocprim17ROCPRIM_400000_NS6detail17trampoline_kernelINS0_14default_configENS1_22reduce_config_selectorIN6thrust23THRUST_200600_302600_NS5tupleIblNS6_9null_typeES8_S8_S8_S8_S8_S8_S8_EEEEZNS1_11reduce_implILb1ES3_NS6_12zip_iteratorINS7_INS6_11hip_rocprim26transform_input_iterator_tIbPaNS6_6detail10functional5actorINSH_9compositeIJNSH_27transparent_binary_operatorINS6_8equal_toIvEEEENSI_INSH_8argumentILj0EEEEENSH_5valueIaEEEEEEEEENSD_19counting_iterator_tIlEES8_S8_S8_S8_S8_S8_S8_S8_EEEEPS9_S9_NSD_9__find_if7functorIS9_EEEE10hipError_tPvRmT1_T2_T3_mT4_P12ihipStream_tbEUlT_E1_NS1_11comp_targetILNS1_3genE0ELNS1_11target_archE4294967295ELNS1_3gpuE0ELNS1_3repE0EEENS1_30default_config_static_selectorELNS0_4arch9wavefront6targetE1EEEvS17_.kd
    .uniform_work_group_size: 1
    .uses_dynamic_stack: false
    .vgpr_count:     0
    .vgpr_spill_count: 0
    .wavefront_size: 64
  - .args:
      - .offset:         0
        .size:           72
        .value_kind:     by_value
    .group_segment_fixed_size: 0
    .kernarg_segment_align: 8
    .kernarg_segment_size: 72
    .language:       OpenCL C
    .language_version:
      - 2
      - 0
    .max_flat_workgroup_size: 256
    .name:           _ZN7rocprim17ROCPRIM_400000_NS6detail17trampoline_kernelINS0_14default_configENS1_22reduce_config_selectorIN6thrust23THRUST_200600_302600_NS5tupleIblNS6_9null_typeES8_S8_S8_S8_S8_S8_S8_EEEEZNS1_11reduce_implILb1ES3_NS6_12zip_iteratorINS7_INS6_11hip_rocprim26transform_input_iterator_tIbPaNS6_6detail10functional5actorINSH_9compositeIJNSH_27transparent_binary_operatorINS6_8equal_toIvEEEENSI_INSH_8argumentILj0EEEEENSH_5valueIaEEEEEEEEENSD_19counting_iterator_tIlEES8_S8_S8_S8_S8_S8_S8_S8_EEEEPS9_S9_NSD_9__find_if7functorIS9_EEEE10hipError_tPvRmT1_T2_T3_mT4_P12ihipStream_tbEUlT_E1_NS1_11comp_targetILNS1_3genE5ELNS1_11target_archE942ELNS1_3gpuE9ELNS1_3repE0EEENS1_30default_config_static_selectorELNS0_4arch9wavefront6targetE1EEEvS17_
    .private_segment_fixed_size: 0
    .sgpr_count:     4
    .sgpr_spill_count: 0
    .symbol:         _ZN7rocprim17ROCPRIM_400000_NS6detail17trampoline_kernelINS0_14default_configENS1_22reduce_config_selectorIN6thrust23THRUST_200600_302600_NS5tupleIblNS6_9null_typeES8_S8_S8_S8_S8_S8_S8_EEEEZNS1_11reduce_implILb1ES3_NS6_12zip_iteratorINS7_INS6_11hip_rocprim26transform_input_iterator_tIbPaNS6_6detail10functional5actorINSH_9compositeIJNSH_27transparent_binary_operatorINS6_8equal_toIvEEEENSI_INSH_8argumentILj0EEEEENSH_5valueIaEEEEEEEEENSD_19counting_iterator_tIlEES8_S8_S8_S8_S8_S8_S8_S8_EEEEPS9_S9_NSD_9__find_if7functorIS9_EEEE10hipError_tPvRmT1_T2_T3_mT4_P12ihipStream_tbEUlT_E1_NS1_11comp_targetILNS1_3genE5ELNS1_11target_archE942ELNS1_3gpuE9ELNS1_3repE0EEENS1_30default_config_static_selectorELNS0_4arch9wavefront6targetE1EEEvS17_.kd
    .uniform_work_group_size: 1
    .uses_dynamic_stack: false
    .vgpr_count:     0
    .vgpr_spill_count: 0
    .wavefront_size: 64
  - .args:
      - .offset:         0
        .size:           72
        .value_kind:     by_value
    .group_segment_fixed_size: 0
    .kernarg_segment_align: 8
    .kernarg_segment_size: 72
    .language:       OpenCL C
    .language_version:
      - 2
      - 0
    .max_flat_workgroup_size: 256
    .name:           _ZN7rocprim17ROCPRIM_400000_NS6detail17trampoline_kernelINS0_14default_configENS1_22reduce_config_selectorIN6thrust23THRUST_200600_302600_NS5tupleIblNS6_9null_typeES8_S8_S8_S8_S8_S8_S8_EEEEZNS1_11reduce_implILb1ES3_NS6_12zip_iteratorINS7_INS6_11hip_rocprim26transform_input_iterator_tIbPaNS6_6detail10functional5actorINSH_9compositeIJNSH_27transparent_binary_operatorINS6_8equal_toIvEEEENSI_INSH_8argumentILj0EEEEENSH_5valueIaEEEEEEEEENSD_19counting_iterator_tIlEES8_S8_S8_S8_S8_S8_S8_S8_EEEEPS9_S9_NSD_9__find_if7functorIS9_EEEE10hipError_tPvRmT1_T2_T3_mT4_P12ihipStream_tbEUlT_E1_NS1_11comp_targetILNS1_3genE4ELNS1_11target_archE910ELNS1_3gpuE8ELNS1_3repE0EEENS1_30default_config_static_selectorELNS0_4arch9wavefront6targetE1EEEvS17_
    .private_segment_fixed_size: 0
    .sgpr_count:     4
    .sgpr_spill_count: 0
    .symbol:         _ZN7rocprim17ROCPRIM_400000_NS6detail17trampoline_kernelINS0_14default_configENS1_22reduce_config_selectorIN6thrust23THRUST_200600_302600_NS5tupleIblNS6_9null_typeES8_S8_S8_S8_S8_S8_S8_EEEEZNS1_11reduce_implILb1ES3_NS6_12zip_iteratorINS7_INS6_11hip_rocprim26transform_input_iterator_tIbPaNS6_6detail10functional5actorINSH_9compositeIJNSH_27transparent_binary_operatorINS6_8equal_toIvEEEENSI_INSH_8argumentILj0EEEEENSH_5valueIaEEEEEEEEENSD_19counting_iterator_tIlEES8_S8_S8_S8_S8_S8_S8_S8_EEEEPS9_S9_NSD_9__find_if7functorIS9_EEEE10hipError_tPvRmT1_T2_T3_mT4_P12ihipStream_tbEUlT_E1_NS1_11comp_targetILNS1_3genE4ELNS1_11target_archE910ELNS1_3gpuE8ELNS1_3repE0EEENS1_30default_config_static_selectorELNS0_4arch9wavefront6targetE1EEEvS17_.kd
    .uniform_work_group_size: 1
    .uses_dynamic_stack: false
    .vgpr_count:     0
    .vgpr_spill_count: 0
    .wavefront_size: 64
  - .args:
      - .offset:         0
        .size:           72
        .value_kind:     by_value
    .group_segment_fixed_size: 0
    .kernarg_segment_align: 8
    .kernarg_segment_size: 72
    .language:       OpenCL C
    .language_version:
      - 2
      - 0
    .max_flat_workgroup_size: 128
    .name:           _ZN7rocprim17ROCPRIM_400000_NS6detail17trampoline_kernelINS0_14default_configENS1_22reduce_config_selectorIN6thrust23THRUST_200600_302600_NS5tupleIblNS6_9null_typeES8_S8_S8_S8_S8_S8_S8_EEEEZNS1_11reduce_implILb1ES3_NS6_12zip_iteratorINS7_INS6_11hip_rocprim26transform_input_iterator_tIbPaNS6_6detail10functional5actorINSH_9compositeIJNSH_27transparent_binary_operatorINS6_8equal_toIvEEEENSI_INSH_8argumentILj0EEEEENSH_5valueIaEEEEEEEEENSD_19counting_iterator_tIlEES8_S8_S8_S8_S8_S8_S8_S8_EEEEPS9_S9_NSD_9__find_if7functorIS9_EEEE10hipError_tPvRmT1_T2_T3_mT4_P12ihipStream_tbEUlT_E1_NS1_11comp_targetILNS1_3genE3ELNS1_11target_archE908ELNS1_3gpuE7ELNS1_3repE0EEENS1_30default_config_static_selectorELNS0_4arch9wavefront6targetE1EEEvS17_
    .private_segment_fixed_size: 0
    .sgpr_count:     4
    .sgpr_spill_count: 0
    .symbol:         _ZN7rocprim17ROCPRIM_400000_NS6detail17trampoline_kernelINS0_14default_configENS1_22reduce_config_selectorIN6thrust23THRUST_200600_302600_NS5tupleIblNS6_9null_typeES8_S8_S8_S8_S8_S8_S8_EEEEZNS1_11reduce_implILb1ES3_NS6_12zip_iteratorINS7_INS6_11hip_rocprim26transform_input_iterator_tIbPaNS6_6detail10functional5actorINSH_9compositeIJNSH_27transparent_binary_operatorINS6_8equal_toIvEEEENSI_INSH_8argumentILj0EEEEENSH_5valueIaEEEEEEEEENSD_19counting_iterator_tIlEES8_S8_S8_S8_S8_S8_S8_S8_EEEEPS9_S9_NSD_9__find_if7functorIS9_EEEE10hipError_tPvRmT1_T2_T3_mT4_P12ihipStream_tbEUlT_E1_NS1_11comp_targetILNS1_3genE3ELNS1_11target_archE908ELNS1_3gpuE7ELNS1_3repE0EEENS1_30default_config_static_selectorELNS0_4arch9wavefront6targetE1EEEvS17_.kd
    .uniform_work_group_size: 1
    .uses_dynamic_stack: false
    .vgpr_count:     0
    .vgpr_spill_count: 0
    .wavefront_size: 64
  - .args:
      - .offset:         0
        .size:           72
        .value_kind:     by_value
    .group_segment_fixed_size: 160
    .kernarg_segment_align: 8
    .kernarg_segment_size: 72
    .language:       OpenCL C
    .language_version:
      - 2
      - 0
    .max_flat_workgroup_size: 128
    .name:           _ZN7rocprim17ROCPRIM_400000_NS6detail17trampoline_kernelINS0_14default_configENS1_22reduce_config_selectorIN6thrust23THRUST_200600_302600_NS5tupleIblNS6_9null_typeES8_S8_S8_S8_S8_S8_S8_EEEEZNS1_11reduce_implILb1ES3_NS6_12zip_iteratorINS7_INS6_11hip_rocprim26transform_input_iterator_tIbPaNS6_6detail10functional5actorINSH_9compositeIJNSH_27transparent_binary_operatorINS6_8equal_toIvEEEENSI_INSH_8argumentILj0EEEEENSH_5valueIaEEEEEEEEENSD_19counting_iterator_tIlEES8_S8_S8_S8_S8_S8_S8_S8_EEEEPS9_S9_NSD_9__find_if7functorIS9_EEEE10hipError_tPvRmT1_T2_T3_mT4_P12ihipStream_tbEUlT_E1_NS1_11comp_targetILNS1_3genE2ELNS1_11target_archE906ELNS1_3gpuE6ELNS1_3repE0EEENS1_30default_config_static_selectorELNS0_4arch9wavefront6targetE1EEEvS17_
    .private_segment_fixed_size: 0
    .sgpr_count:     44
    .sgpr_spill_count: 0
    .symbol:         _ZN7rocprim17ROCPRIM_400000_NS6detail17trampoline_kernelINS0_14default_configENS1_22reduce_config_selectorIN6thrust23THRUST_200600_302600_NS5tupleIblNS6_9null_typeES8_S8_S8_S8_S8_S8_S8_EEEEZNS1_11reduce_implILb1ES3_NS6_12zip_iteratorINS7_INS6_11hip_rocprim26transform_input_iterator_tIbPaNS6_6detail10functional5actorINSH_9compositeIJNSH_27transparent_binary_operatorINS6_8equal_toIvEEEENSI_INSH_8argumentILj0EEEEENSH_5valueIaEEEEEEEEENSD_19counting_iterator_tIlEES8_S8_S8_S8_S8_S8_S8_S8_EEEEPS9_S9_NSD_9__find_if7functorIS9_EEEE10hipError_tPvRmT1_T2_T3_mT4_P12ihipStream_tbEUlT_E1_NS1_11comp_targetILNS1_3genE2ELNS1_11target_archE906ELNS1_3gpuE6ELNS1_3repE0EEENS1_30default_config_static_selectorELNS0_4arch9wavefront6targetE1EEEvS17_.kd
    .uniform_work_group_size: 1
    .uses_dynamic_stack: false
    .vgpr_count:     26
    .vgpr_spill_count: 0
    .wavefront_size: 64
  - .args:
      - .offset:         0
        .size:           72
        .value_kind:     by_value
    .group_segment_fixed_size: 0
    .kernarg_segment_align: 8
    .kernarg_segment_size: 72
    .language:       OpenCL C
    .language_version:
      - 2
      - 0
    .max_flat_workgroup_size: 256
    .name:           _ZN7rocprim17ROCPRIM_400000_NS6detail17trampoline_kernelINS0_14default_configENS1_22reduce_config_selectorIN6thrust23THRUST_200600_302600_NS5tupleIblNS6_9null_typeES8_S8_S8_S8_S8_S8_S8_EEEEZNS1_11reduce_implILb1ES3_NS6_12zip_iteratorINS7_INS6_11hip_rocprim26transform_input_iterator_tIbPaNS6_6detail10functional5actorINSH_9compositeIJNSH_27transparent_binary_operatorINS6_8equal_toIvEEEENSI_INSH_8argumentILj0EEEEENSH_5valueIaEEEEEEEEENSD_19counting_iterator_tIlEES8_S8_S8_S8_S8_S8_S8_S8_EEEEPS9_S9_NSD_9__find_if7functorIS9_EEEE10hipError_tPvRmT1_T2_T3_mT4_P12ihipStream_tbEUlT_E1_NS1_11comp_targetILNS1_3genE10ELNS1_11target_archE1201ELNS1_3gpuE5ELNS1_3repE0EEENS1_30default_config_static_selectorELNS0_4arch9wavefront6targetE1EEEvS17_
    .private_segment_fixed_size: 0
    .sgpr_count:     4
    .sgpr_spill_count: 0
    .symbol:         _ZN7rocprim17ROCPRIM_400000_NS6detail17trampoline_kernelINS0_14default_configENS1_22reduce_config_selectorIN6thrust23THRUST_200600_302600_NS5tupleIblNS6_9null_typeES8_S8_S8_S8_S8_S8_S8_EEEEZNS1_11reduce_implILb1ES3_NS6_12zip_iteratorINS7_INS6_11hip_rocprim26transform_input_iterator_tIbPaNS6_6detail10functional5actorINSH_9compositeIJNSH_27transparent_binary_operatorINS6_8equal_toIvEEEENSI_INSH_8argumentILj0EEEEENSH_5valueIaEEEEEEEEENSD_19counting_iterator_tIlEES8_S8_S8_S8_S8_S8_S8_S8_EEEEPS9_S9_NSD_9__find_if7functorIS9_EEEE10hipError_tPvRmT1_T2_T3_mT4_P12ihipStream_tbEUlT_E1_NS1_11comp_targetILNS1_3genE10ELNS1_11target_archE1201ELNS1_3gpuE5ELNS1_3repE0EEENS1_30default_config_static_selectorELNS0_4arch9wavefront6targetE1EEEvS17_.kd
    .uniform_work_group_size: 1
    .uses_dynamic_stack: false
    .vgpr_count:     0
    .vgpr_spill_count: 0
    .wavefront_size: 64
  - .args:
      - .offset:         0
        .size:           72
        .value_kind:     by_value
    .group_segment_fixed_size: 0
    .kernarg_segment_align: 8
    .kernarg_segment_size: 72
    .language:       OpenCL C
    .language_version:
      - 2
      - 0
    .max_flat_workgroup_size: 256
    .name:           _ZN7rocprim17ROCPRIM_400000_NS6detail17trampoline_kernelINS0_14default_configENS1_22reduce_config_selectorIN6thrust23THRUST_200600_302600_NS5tupleIblNS6_9null_typeES8_S8_S8_S8_S8_S8_S8_EEEEZNS1_11reduce_implILb1ES3_NS6_12zip_iteratorINS7_INS6_11hip_rocprim26transform_input_iterator_tIbPaNS6_6detail10functional5actorINSH_9compositeIJNSH_27transparent_binary_operatorINS6_8equal_toIvEEEENSI_INSH_8argumentILj0EEEEENSH_5valueIaEEEEEEEEENSD_19counting_iterator_tIlEES8_S8_S8_S8_S8_S8_S8_S8_EEEEPS9_S9_NSD_9__find_if7functorIS9_EEEE10hipError_tPvRmT1_T2_T3_mT4_P12ihipStream_tbEUlT_E1_NS1_11comp_targetILNS1_3genE10ELNS1_11target_archE1200ELNS1_3gpuE4ELNS1_3repE0EEENS1_30default_config_static_selectorELNS0_4arch9wavefront6targetE1EEEvS17_
    .private_segment_fixed_size: 0
    .sgpr_count:     4
    .sgpr_spill_count: 0
    .symbol:         _ZN7rocprim17ROCPRIM_400000_NS6detail17trampoline_kernelINS0_14default_configENS1_22reduce_config_selectorIN6thrust23THRUST_200600_302600_NS5tupleIblNS6_9null_typeES8_S8_S8_S8_S8_S8_S8_EEEEZNS1_11reduce_implILb1ES3_NS6_12zip_iteratorINS7_INS6_11hip_rocprim26transform_input_iterator_tIbPaNS6_6detail10functional5actorINSH_9compositeIJNSH_27transparent_binary_operatorINS6_8equal_toIvEEEENSI_INSH_8argumentILj0EEEEENSH_5valueIaEEEEEEEEENSD_19counting_iterator_tIlEES8_S8_S8_S8_S8_S8_S8_S8_EEEEPS9_S9_NSD_9__find_if7functorIS9_EEEE10hipError_tPvRmT1_T2_T3_mT4_P12ihipStream_tbEUlT_E1_NS1_11comp_targetILNS1_3genE10ELNS1_11target_archE1200ELNS1_3gpuE4ELNS1_3repE0EEENS1_30default_config_static_selectorELNS0_4arch9wavefront6targetE1EEEvS17_.kd
    .uniform_work_group_size: 1
    .uses_dynamic_stack: false
    .vgpr_count:     0
    .vgpr_spill_count: 0
    .wavefront_size: 64
  - .args:
      - .offset:         0
        .size:           72
        .value_kind:     by_value
    .group_segment_fixed_size: 0
    .kernarg_segment_align: 8
    .kernarg_segment_size: 72
    .language:       OpenCL C
    .language_version:
      - 2
      - 0
    .max_flat_workgroup_size: 256
    .name:           _ZN7rocprim17ROCPRIM_400000_NS6detail17trampoline_kernelINS0_14default_configENS1_22reduce_config_selectorIN6thrust23THRUST_200600_302600_NS5tupleIblNS6_9null_typeES8_S8_S8_S8_S8_S8_S8_EEEEZNS1_11reduce_implILb1ES3_NS6_12zip_iteratorINS7_INS6_11hip_rocprim26transform_input_iterator_tIbPaNS6_6detail10functional5actorINSH_9compositeIJNSH_27transparent_binary_operatorINS6_8equal_toIvEEEENSI_INSH_8argumentILj0EEEEENSH_5valueIaEEEEEEEEENSD_19counting_iterator_tIlEES8_S8_S8_S8_S8_S8_S8_S8_EEEEPS9_S9_NSD_9__find_if7functorIS9_EEEE10hipError_tPvRmT1_T2_T3_mT4_P12ihipStream_tbEUlT_E1_NS1_11comp_targetILNS1_3genE9ELNS1_11target_archE1100ELNS1_3gpuE3ELNS1_3repE0EEENS1_30default_config_static_selectorELNS0_4arch9wavefront6targetE1EEEvS17_
    .private_segment_fixed_size: 0
    .sgpr_count:     4
    .sgpr_spill_count: 0
    .symbol:         _ZN7rocprim17ROCPRIM_400000_NS6detail17trampoline_kernelINS0_14default_configENS1_22reduce_config_selectorIN6thrust23THRUST_200600_302600_NS5tupleIblNS6_9null_typeES8_S8_S8_S8_S8_S8_S8_EEEEZNS1_11reduce_implILb1ES3_NS6_12zip_iteratorINS7_INS6_11hip_rocprim26transform_input_iterator_tIbPaNS6_6detail10functional5actorINSH_9compositeIJNSH_27transparent_binary_operatorINS6_8equal_toIvEEEENSI_INSH_8argumentILj0EEEEENSH_5valueIaEEEEEEEEENSD_19counting_iterator_tIlEES8_S8_S8_S8_S8_S8_S8_S8_EEEEPS9_S9_NSD_9__find_if7functorIS9_EEEE10hipError_tPvRmT1_T2_T3_mT4_P12ihipStream_tbEUlT_E1_NS1_11comp_targetILNS1_3genE9ELNS1_11target_archE1100ELNS1_3gpuE3ELNS1_3repE0EEENS1_30default_config_static_selectorELNS0_4arch9wavefront6targetE1EEEvS17_.kd
    .uniform_work_group_size: 1
    .uses_dynamic_stack: false
    .vgpr_count:     0
    .vgpr_spill_count: 0
    .wavefront_size: 64
  - .args:
      - .offset:         0
        .size:           72
        .value_kind:     by_value
    .group_segment_fixed_size: 0
    .kernarg_segment_align: 8
    .kernarg_segment_size: 72
    .language:       OpenCL C
    .language_version:
      - 2
      - 0
    .max_flat_workgroup_size: 256
    .name:           _ZN7rocprim17ROCPRIM_400000_NS6detail17trampoline_kernelINS0_14default_configENS1_22reduce_config_selectorIN6thrust23THRUST_200600_302600_NS5tupleIblNS6_9null_typeES8_S8_S8_S8_S8_S8_S8_EEEEZNS1_11reduce_implILb1ES3_NS6_12zip_iteratorINS7_INS6_11hip_rocprim26transform_input_iterator_tIbPaNS6_6detail10functional5actorINSH_9compositeIJNSH_27transparent_binary_operatorINS6_8equal_toIvEEEENSI_INSH_8argumentILj0EEEEENSH_5valueIaEEEEEEEEENSD_19counting_iterator_tIlEES8_S8_S8_S8_S8_S8_S8_S8_EEEEPS9_S9_NSD_9__find_if7functorIS9_EEEE10hipError_tPvRmT1_T2_T3_mT4_P12ihipStream_tbEUlT_E1_NS1_11comp_targetILNS1_3genE8ELNS1_11target_archE1030ELNS1_3gpuE2ELNS1_3repE0EEENS1_30default_config_static_selectorELNS0_4arch9wavefront6targetE1EEEvS17_
    .private_segment_fixed_size: 0
    .sgpr_count:     4
    .sgpr_spill_count: 0
    .symbol:         _ZN7rocprim17ROCPRIM_400000_NS6detail17trampoline_kernelINS0_14default_configENS1_22reduce_config_selectorIN6thrust23THRUST_200600_302600_NS5tupleIblNS6_9null_typeES8_S8_S8_S8_S8_S8_S8_EEEEZNS1_11reduce_implILb1ES3_NS6_12zip_iteratorINS7_INS6_11hip_rocprim26transform_input_iterator_tIbPaNS6_6detail10functional5actorINSH_9compositeIJNSH_27transparent_binary_operatorINS6_8equal_toIvEEEENSI_INSH_8argumentILj0EEEEENSH_5valueIaEEEEEEEEENSD_19counting_iterator_tIlEES8_S8_S8_S8_S8_S8_S8_S8_EEEEPS9_S9_NSD_9__find_if7functorIS9_EEEE10hipError_tPvRmT1_T2_T3_mT4_P12ihipStream_tbEUlT_E1_NS1_11comp_targetILNS1_3genE8ELNS1_11target_archE1030ELNS1_3gpuE2ELNS1_3repE0EEENS1_30default_config_static_selectorELNS0_4arch9wavefront6targetE1EEEvS17_.kd
    .uniform_work_group_size: 1
    .uses_dynamic_stack: false
    .vgpr_count:     0
    .vgpr_spill_count: 0
    .wavefront_size: 64
  - .args:
      - .offset:         0
        .size:           48
        .value_kind:     by_value
    .group_segment_fixed_size: 0
    .kernarg_segment_align: 8
    .kernarg_segment_size: 48
    .language:       OpenCL C
    .language_version:
      - 2
      - 0
    .max_flat_workgroup_size: 256
    .name:           _ZN7rocprim17ROCPRIM_400000_NS6detail17trampoline_kernelINS0_13kernel_configILj256ELj4ELj4294967295EEENS1_37radix_sort_block_sort_config_selectorIilEEZNS1_21radix_sort_block_sortIS4_Lb0EPiS8_N6thrust23THRUST_200600_302600_NS10device_ptrIlEESC_NS0_19identity_decomposerEEE10hipError_tT1_T2_T3_T4_jRjT5_jjP12ihipStream_tbEUlT_E_NS1_11comp_targetILNS1_3genE0ELNS1_11target_archE4294967295ELNS1_3gpuE0ELNS1_3repE0EEENS1_44radix_sort_block_sort_config_static_selectorELNS0_4arch9wavefront6targetE1EEEvSF_
    .private_segment_fixed_size: 0
    .sgpr_count:     4
    .sgpr_spill_count: 0
    .symbol:         _ZN7rocprim17ROCPRIM_400000_NS6detail17trampoline_kernelINS0_13kernel_configILj256ELj4ELj4294967295EEENS1_37radix_sort_block_sort_config_selectorIilEEZNS1_21radix_sort_block_sortIS4_Lb0EPiS8_N6thrust23THRUST_200600_302600_NS10device_ptrIlEESC_NS0_19identity_decomposerEEE10hipError_tT1_T2_T3_T4_jRjT5_jjP12ihipStream_tbEUlT_E_NS1_11comp_targetILNS1_3genE0ELNS1_11target_archE4294967295ELNS1_3gpuE0ELNS1_3repE0EEENS1_44radix_sort_block_sort_config_static_selectorELNS0_4arch9wavefront6targetE1EEEvSF_.kd
    .uniform_work_group_size: 1
    .uses_dynamic_stack: false
    .vgpr_count:     0
    .vgpr_spill_count: 0
    .wavefront_size: 64
  - .args:
      - .offset:         0
        .size:           48
        .value_kind:     by_value
    .group_segment_fixed_size: 0
    .kernarg_segment_align: 8
    .kernarg_segment_size: 48
    .language:       OpenCL C
    .language_version:
      - 2
      - 0
    .max_flat_workgroup_size: 256
    .name:           _ZN7rocprim17ROCPRIM_400000_NS6detail17trampoline_kernelINS0_13kernel_configILj256ELj4ELj4294967295EEENS1_37radix_sort_block_sort_config_selectorIilEEZNS1_21radix_sort_block_sortIS4_Lb0EPiS8_N6thrust23THRUST_200600_302600_NS10device_ptrIlEESC_NS0_19identity_decomposerEEE10hipError_tT1_T2_T3_T4_jRjT5_jjP12ihipStream_tbEUlT_E_NS1_11comp_targetILNS1_3genE5ELNS1_11target_archE942ELNS1_3gpuE9ELNS1_3repE0EEENS1_44radix_sort_block_sort_config_static_selectorELNS0_4arch9wavefront6targetE1EEEvSF_
    .private_segment_fixed_size: 0
    .sgpr_count:     4
    .sgpr_spill_count: 0
    .symbol:         _ZN7rocprim17ROCPRIM_400000_NS6detail17trampoline_kernelINS0_13kernel_configILj256ELj4ELj4294967295EEENS1_37radix_sort_block_sort_config_selectorIilEEZNS1_21radix_sort_block_sortIS4_Lb0EPiS8_N6thrust23THRUST_200600_302600_NS10device_ptrIlEESC_NS0_19identity_decomposerEEE10hipError_tT1_T2_T3_T4_jRjT5_jjP12ihipStream_tbEUlT_E_NS1_11comp_targetILNS1_3genE5ELNS1_11target_archE942ELNS1_3gpuE9ELNS1_3repE0EEENS1_44radix_sort_block_sort_config_static_selectorELNS0_4arch9wavefront6targetE1EEEvSF_.kd
    .uniform_work_group_size: 1
    .uses_dynamic_stack: false
    .vgpr_count:     0
    .vgpr_spill_count: 0
    .wavefront_size: 64
  - .args:
      - .offset:         0
        .size:           48
        .value_kind:     by_value
    .group_segment_fixed_size: 0
    .kernarg_segment_align: 8
    .kernarg_segment_size: 48
    .language:       OpenCL C
    .language_version:
      - 2
      - 0
    .max_flat_workgroup_size: 256
    .name:           _ZN7rocprim17ROCPRIM_400000_NS6detail17trampoline_kernelINS0_13kernel_configILj256ELj4ELj4294967295EEENS1_37radix_sort_block_sort_config_selectorIilEEZNS1_21radix_sort_block_sortIS4_Lb0EPiS8_N6thrust23THRUST_200600_302600_NS10device_ptrIlEESC_NS0_19identity_decomposerEEE10hipError_tT1_T2_T3_T4_jRjT5_jjP12ihipStream_tbEUlT_E_NS1_11comp_targetILNS1_3genE4ELNS1_11target_archE910ELNS1_3gpuE8ELNS1_3repE0EEENS1_44radix_sort_block_sort_config_static_selectorELNS0_4arch9wavefront6targetE1EEEvSF_
    .private_segment_fixed_size: 0
    .sgpr_count:     4
    .sgpr_spill_count: 0
    .symbol:         _ZN7rocprim17ROCPRIM_400000_NS6detail17trampoline_kernelINS0_13kernel_configILj256ELj4ELj4294967295EEENS1_37radix_sort_block_sort_config_selectorIilEEZNS1_21radix_sort_block_sortIS4_Lb0EPiS8_N6thrust23THRUST_200600_302600_NS10device_ptrIlEESC_NS0_19identity_decomposerEEE10hipError_tT1_T2_T3_T4_jRjT5_jjP12ihipStream_tbEUlT_E_NS1_11comp_targetILNS1_3genE4ELNS1_11target_archE910ELNS1_3gpuE8ELNS1_3repE0EEENS1_44radix_sort_block_sort_config_static_selectorELNS0_4arch9wavefront6targetE1EEEvSF_.kd
    .uniform_work_group_size: 1
    .uses_dynamic_stack: false
    .vgpr_count:     0
    .vgpr_spill_count: 0
    .wavefront_size: 64
  - .args:
      - .offset:         0
        .size:           48
        .value_kind:     by_value
    .group_segment_fixed_size: 0
    .kernarg_segment_align: 8
    .kernarg_segment_size: 48
    .language:       OpenCL C
    .language_version:
      - 2
      - 0
    .max_flat_workgroup_size: 256
    .name:           _ZN7rocprim17ROCPRIM_400000_NS6detail17trampoline_kernelINS0_13kernel_configILj256ELj4ELj4294967295EEENS1_37radix_sort_block_sort_config_selectorIilEEZNS1_21radix_sort_block_sortIS4_Lb0EPiS8_N6thrust23THRUST_200600_302600_NS10device_ptrIlEESC_NS0_19identity_decomposerEEE10hipError_tT1_T2_T3_T4_jRjT5_jjP12ihipStream_tbEUlT_E_NS1_11comp_targetILNS1_3genE3ELNS1_11target_archE908ELNS1_3gpuE7ELNS1_3repE0EEENS1_44radix_sort_block_sort_config_static_selectorELNS0_4arch9wavefront6targetE1EEEvSF_
    .private_segment_fixed_size: 0
    .sgpr_count:     4
    .sgpr_spill_count: 0
    .symbol:         _ZN7rocprim17ROCPRIM_400000_NS6detail17trampoline_kernelINS0_13kernel_configILj256ELj4ELj4294967295EEENS1_37radix_sort_block_sort_config_selectorIilEEZNS1_21radix_sort_block_sortIS4_Lb0EPiS8_N6thrust23THRUST_200600_302600_NS10device_ptrIlEESC_NS0_19identity_decomposerEEE10hipError_tT1_T2_T3_T4_jRjT5_jjP12ihipStream_tbEUlT_E_NS1_11comp_targetILNS1_3genE3ELNS1_11target_archE908ELNS1_3gpuE7ELNS1_3repE0EEENS1_44radix_sort_block_sort_config_static_selectorELNS0_4arch9wavefront6targetE1EEEvSF_.kd
    .uniform_work_group_size: 1
    .uses_dynamic_stack: false
    .vgpr_count:     0
    .vgpr_spill_count: 0
    .wavefront_size: 64
  - .args:
      - .offset:         0
        .size:           48
        .value_kind:     by_value
      - .offset:         48
        .size:           4
        .value_kind:     hidden_block_count_x
      - .offset:         52
        .size:           4
        .value_kind:     hidden_block_count_y
      - .offset:         56
        .size:           4
        .value_kind:     hidden_block_count_z
      - .offset:         60
        .size:           2
        .value_kind:     hidden_group_size_x
      - .offset:         62
        .size:           2
        .value_kind:     hidden_group_size_y
      - .offset:         64
        .size:           2
        .value_kind:     hidden_group_size_z
      - .offset:         66
        .size:           2
        .value_kind:     hidden_remainder_x
      - .offset:         68
        .size:           2
        .value_kind:     hidden_remainder_y
      - .offset:         70
        .size:           2
        .value_kind:     hidden_remainder_z
      - .offset:         88
        .size:           8
        .value_kind:     hidden_global_offset_x
      - .offset:         96
        .size:           8
        .value_kind:     hidden_global_offset_y
      - .offset:         104
        .size:           8
        .value_kind:     hidden_global_offset_z
      - .offset:         112
        .size:           2
        .value_kind:     hidden_grid_dims
    .group_segment_fixed_size: 8192
    .kernarg_segment_align: 8
    .kernarg_segment_size: 304
    .language:       OpenCL C
    .language_version:
      - 2
      - 0
    .max_flat_workgroup_size: 256
    .name:           _ZN7rocprim17ROCPRIM_400000_NS6detail17trampoline_kernelINS0_13kernel_configILj256ELj4ELj4294967295EEENS1_37radix_sort_block_sort_config_selectorIilEEZNS1_21radix_sort_block_sortIS4_Lb0EPiS8_N6thrust23THRUST_200600_302600_NS10device_ptrIlEESC_NS0_19identity_decomposerEEE10hipError_tT1_T2_T3_T4_jRjT5_jjP12ihipStream_tbEUlT_E_NS1_11comp_targetILNS1_3genE2ELNS1_11target_archE906ELNS1_3gpuE6ELNS1_3repE0EEENS1_44radix_sort_block_sort_config_static_selectorELNS0_4arch9wavefront6targetE1EEEvSF_
    .private_segment_fixed_size: 0
    .sgpr_count:     52
    .sgpr_spill_count: 0
    .symbol:         _ZN7rocprim17ROCPRIM_400000_NS6detail17trampoline_kernelINS0_13kernel_configILj256ELj4ELj4294967295EEENS1_37radix_sort_block_sort_config_selectorIilEEZNS1_21radix_sort_block_sortIS4_Lb0EPiS8_N6thrust23THRUST_200600_302600_NS10device_ptrIlEESC_NS0_19identity_decomposerEEE10hipError_tT1_T2_T3_T4_jRjT5_jjP12ihipStream_tbEUlT_E_NS1_11comp_targetILNS1_3genE2ELNS1_11target_archE906ELNS1_3gpuE6ELNS1_3repE0EEENS1_44radix_sort_block_sort_config_static_selectorELNS0_4arch9wavefront6targetE1EEEvSF_.kd
    .uniform_work_group_size: 1
    .uses_dynamic_stack: false
    .vgpr_count:     47
    .vgpr_spill_count: 0
    .wavefront_size: 64
  - .args:
      - .offset:         0
        .size:           48
        .value_kind:     by_value
    .group_segment_fixed_size: 0
    .kernarg_segment_align: 8
    .kernarg_segment_size: 48
    .language:       OpenCL C
    .language_version:
      - 2
      - 0
    .max_flat_workgroup_size: 256
    .name:           _ZN7rocprim17ROCPRIM_400000_NS6detail17trampoline_kernelINS0_13kernel_configILj256ELj4ELj4294967295EEENS1_37radix_sort_block_sort_config_selectorIilEEZNS1_21radix_sort_block_sortIS4_Lb0EPiS8_N6thrust23THRUST_200600_302600_NS10device_ptrIlEESC_NS0_19identity_decomposerEEE10hipError_tT1_T2_T3_T4_jRjT5_jjP12ihipStream_tbEUlT_E_NS1_11comp_targetILNS1_3genE10ELNS1_11target_archE1201ELNS1_3gpuE5ELNS1_3repE0EEENS1_44radix_sort_block_sort_config_static_selectorELNS0_4arch9wavefront6targetE1EEEvSF_
    .private_segment_fixed_size: 0
    .sgpr_count:     4
    .sgpr_spill_count: 0
    .symbol:         _ZN7rocprim17ROCPRIM_400000_NS6detail17trampoline_kernelINS0_13kernel_configILj256ELj4ELj4294967295EEENS1_37radix_sort_block_sort_config_selectorIilEEZNS1_21radix_sort_block_sortIS4_Lb0EPiS8_N6thrust23THRUST_200600_302600_NS10device_ptrIlEESC_NS0_19identity_decomposerEEE10hipError_tT1_T2_T3_T4_jRjT5_jjP12ihipStream_tbEUlT_E_NS1_11comp_targetILNS1_3genE10ELNS1_11target_archE1201ELNS1_3gpuE5ELNS1_3repE0EEENS1_44radix_sort_block_sort_config_static_selectorELNS0_4arch9wavefront6targetE1EEEvSF_.kd
    .uniform_work_group_size: 1
    .uses_dynamic_stack: false
    .vgpr_count:     0
    .vgpr_spill_count: 0
    .wavefront_size: 64
  - .args:
      - .offset:         0
        .size:           48
        .value_kind:     by_value
    .group_segment_fixed_size: 0
    .kernarg_segment_align: 8
    .kernarg_segment_size: 48
    .language:       OpenCL C
    .language_version:
      - 2
      - 0
    .max_flat_workgroup_size: 256
    .name:           _ZN7rocprim17ROCPRIM_400000_NS6detail17trampoline_kernelINS0_13kernel_configILj256ELj4ELj4294967295EEENS1_37radix_sort_block_sort_config_selectorIilEEZNS1_21radix_sort_block_sortIS4_Lb0EPiS8_N6thrust23THRUST_200600_302600_NS10device_ptrIlEESC_NS0_19identity_decomposerEEE10hipError_tT1_T2_T3_T4_jRjT5_jjP12ihipStream_tbEUlT_E_NS1_11comp_targetILNS1_3genE10ELNS1_11target_archE1200ELNS1_3gpuE4ELNS1_3repE0EEENS1_44radix_sort_block_sort_config_static_selectorELNS0_4arch9wavefront6targetE1EEEvSF_
    .private_segment_fixed_size: 0
    .sgpr_count:     4
    .sgpr_spill_count: 0
    .symbol:         _ZN7rocprim17ROCPRIM_400000_NS6detail17trampoline_kernelINS0_13kernel_configILj256ELj4ELj4294967295EEENS1_37radix_sort_block_sort_config_selectorIilEEZNS1_21radix_sort_block_sortIS4_Lb0EPiS8_N6thrust23THRUST_200600_302600_NS10device_ptrIlEESC_NS0_19identity_decomposerEEE10hipError_tT1_T2_T3_T4_jRjT5_jjP12ihipStream_tbEUlT_E_NS1_11comp_targetILNS1_3genE10ELNS1_11target_archE1200ELNS1_3gpuE4ELNS1_3repE0EEENS1_44radix_sort_block_sort_config_static_selectorELNS0_4arch9wavefront6targetE1EEEvSF_.kd
    .uniform_work_group_size: 1
    .uses_dynamic_stack: false
    .vgpr_count:     0
    .vgpr_spill_count: 0
    .wavefront_size: 64
  - .args:
      - .offset:         0
        .size:           48
        .value_kind:     by_value
    .group_segment_fixed_size: 0
    .kernarg_segment_align: 8
    .kernarg_segment_size: 48
    .language:       OpenCL C
    .language_version:
      - 2
      - 0
    .max_flat_workgroup_size: 256
    .name:           _ZN7rocprim17ROCPRIM_400000_NS6detail17trampoline_kernelINS0_13kernel_configILj256ELj4ELj4294967295EEENS1_37radix_sort_block_sort_config_selectorIilEEZNS1_21radix_sort_block_sortIS4_Lb0EPiS8_N6thrust23THRUST_200600_302600_NS10device_ptrIlEESC_NS0_19identity_decomposerEEE10hipError_tT1_T2_T3_T4_jRjT5_jjP12ihipStream_tbEUlT_E_NS1_11comp_targetILNS1_3genE9ELNS1_11target_archE1100ELNS1_3gpuE3ELNS1_3repE0EEENS1_44radix_sort_block_sort_config_static_selectorELNS0_4arch9wavefront6targetE1EEEvSF_
    .private_segment_fixed_size: 0
    .sgpr_count:     4
    .sgpr_spill_count: 0
    .symbol:         _ZN7rocprim17ROCPRIM_400000_NS6detail17trampoline_kernelINS0_13kernel_configILj256ELj4ELj4294967295EEENS1_37radix_sort_block_sort_config_selectorIilEEZNS1_21radix_sort_block_sortIS4_Lb0EPiS8_N6thrust23THRUST_200600_302600_NS10device_ptrIlEESC_NS0_19identity_decomposerEEE10hipError_tT1_T2_T3_T4_jRjT5_jjP12ihipStream_tbEUlT_E_NS1_11comp_targetILNS1_3genE9ELNS1_11target_archE1100ELNS1_3gpuE3ELNS1_3repE0EEENS1_44radix_sort_block_sort_config_static_selectorELNS0_4arch9wavefront6targetE1EEEvSF_.kd
    .uniform_work_group_size: 1
    .uses_dynamic_stack: false
    .vgpr_count:     0
    .vgpr_spill_count: 0
    .wavefront_size: 64
  - .args:
      - .offset:         0
        .size:           48
        .value_kind:     by_value
    .group_segment_fixed_size: 0
    .kernarg_segment_align: 8
    .kernarg_segment_size: 48
    .language:       OpenCL C
    .language_version:
      - 2
      - 0
    .max_flat_workgroup_size: 256
    .name:           _ZN7rocprim17ROCPRIM_400000_NS6detail17trampoline_kernelINS0_13kernel_configILj256ELj4ELj4294967295EEENS1_37radix_sort_block_sort_config_selectorIilEEZNS1_21radix_sort_block_sortIS4_Lb0EPiS8_N6thrust23THRUST_200600_302600_NS10device_ptrIlEESC_NS0_19identity_decomposerEEE10hipError_tT1_T2_T3_T4_jRjT5_jjP12ihipStream_tbEUlT_E_NS1_11comp_targetILNS1_3genE8ELNS1_11target_archE1030ELNS1_3gpuE2ELNS1_3repE0EEENS1_44radix_sort_block_sort_config_static_selectorELNS0_4arch9wavefront6targetE1EEEvSF_
    .private_segment_fixed_size: 0
    .sgpr_count:     4
    .sgpr_spill_count: 0
    .symbol:         _ZN7rocprim17ROCPRIM_400000_NS6detail17trampoline_kernelINS0_13kernel_configILj256ELj4ELj4294967295EEENS1_37radix_sort_block_sort_config_selectorIilEEZNS1_21radix_sort_block_sortIS4_Lb0EPiS8_N6thrust23THRUST_200600_302600_NS10device_ptrIlEESC_NS0_19identity_decomposerEEE10hipError_tT1_T2_T3_T4_jRjT5_jjP12ihipStream_tbEUlT_E_NS1_11comp_targetILNS1_3genE8ELNS1_11target_archE1030ELNS1_3gpuE2ELNS1_3repE0EEENS1_44radix_sort_block_sort_config_static_selectorELNS0_4arch9wavefront6targetE1EEEvSF_.kd
    .uniform_work_group_size: 1
    .uses_dynamic_stack: false
    .vgpr_count:     0
    .vgpr_spill_count: 0
    .wavefront_size: 64
  - .args:           []
    .group_segment_fixed_size: 0
    .kernarg_segment_align: 4
    .kernarg_segment_size: 0
    .language:       OpenCL C
    .language_version:
      - 2
      - 0
    .max_flat_workgroup_size: 1024
    .name:           _ZN7rocprim17ROCPRIM_400000_NS6detail44device_merge_sort_compile_time_verifier_archINS1_11comp_targetILNS1_3genE0ELNS1_11target_archE4294967295ELNS1_3gpuE0ELNS1_3repE0EEES8_NS1_28merge_sort_block_sort_configILj256ELj4ELNS0_20block_sort_algorithmE0EEENS0_14default_configENS1_37merge_sort_block_sort_config_selectorIilEENS1_38merge_sort_block_merge_config_selectorIilEEEEvv
    .private_segment_fixed_size: 0
    .sgpr_count:     4
    .sgpr_spill_count: 0
    .symbol:         _ZN7rocprim17ROCPRIM_400000_NS6detail44device_merge_sort_compile_time_verifier_archINS1_11comp_targetILNS1_3genE0ELNS1_11target_archE4294967295ELNS1_3gpuE0ELNS1_3repE0EEES8_NS1_28merge_sort_block_sort_configILj256ELj4ELNS0_20block_sort_algorithmE0EEENS0_14default_configENS1_37merge_sort_block_sort_config_selectorIilEENS1_38merge_sort_block_merge_config_selectorIilEEEEvv.kd
    .uniform_work_group_size: 1
    .uses_dynamic_stack: false
    .vgpr_count:     0
    .vgpr_spill_count: 0
    .wavefront_size: 64
  - .args:           []
    .group_segment_fixed_size: 0
    .kernarg_segment_align: 4
    .kernarg_segment_size: 0
    .language:       OpenCL C
    .language_version:
      - 2
      - 0
    .max_flat_workgroup_size: 1024
    .name:           _ZN7rocprim17ROCPRIM_400000_NS6detail44device_merge_sort_compile_time_verifier_archINS1_11comp_targetILNS1_3genE5ELNS1_11target_archE942ELNS1_3gpuE9ELNS1_3repE0EEES8_NS1_28merge_sort_block_sort_configILj256ELj4ELNS0_20block_sort_algorithmE0EEENS0_14default_configENS1_37merge_sort_block_sort_config_selectorIilEENS1_38merge_sort_block_merge_config_selectorIilEEEEvv
    .private_segment_fixed_size: 0
    .sgpr_count:     4
    .sgpr_spill_count: 0
    .symbol:         _ZN7rocprim17ROCPRIM_400000_NS6detail44device_merge_sort_compile_time_verifier_archINS1_11comp_targetILNS1_3genE5ELNS1_11target_archE942ELNS1_3gpuE9ELNS1_3repE0EEES8_NS1_28merge_sort_block_sort_configILj256ELj4ELNS0_20block_sort_algorithmE0EEENS0_14default_configENS1_37merge_sort_block_sort_config_selectorIilEENS1_38merge_sort_block_merge_config_selectorIilEEEEvv.kd
    .uniform_work_group_size: 1
    .uses_dynamic_stack: false
    .vgpr_count:     0
    .vgpr_spill_count: 0
    .wavefront_size: 64
  - .args:           []
    .group_segment_fixed_size: 0
    .kernarg_segment_align: 4
    .kernarg_segment_size: 0
    .language:       OpenCL C
    .language_version:
      - 2
      - 0
    .max_flat_workgroup_size: 1024
    .name:           _ZN7rocprim17ROCPRIM_400000_NS6detail44device_merge_sort_compile_time_verifier_archINS1_11comp_targetILNS1_3genE4ELNS1_11target_archE910ELNS1_3gpuE8ELNS1_3repE0EEES8_NS1_28merge_sort_block_sort_configILj256ELj4ELNS0_20block_sort_algorithmE0EEENS0_14default_configENS1_37merge_sort_block_sort_config_selectorIilEENS1_38merge_sort_block_merge_config_selectorIilEEEEvv
    .private_segment_fixed_size: 0
    .sgpr_count:     4
    .sgpr_spill_count: 0
    .symbol:         _ZN7rocprim17ROCPRIM_400000_NS6detail44device_merge_sort_compile_time_verifier_archINS1_11comp_targetILNS1_3genE4ELNS1_11target_archE910ELNS1_3gpuE8ELNS1_3repE0EEES8_NS1_28merge_sort_block_sort_configILj256ELj4ELNS0_20block_sort_algorithmE0EEENS0_14default_configENS1_37merge_sort_block_sort_config_selectorIilEENS1_38merge_sort_block_merge_config_selectorIilEEEEvv.kd
    .uniform_work_group_size: 1
    .uses_dynamic_stack: false
    .vgpr_count:     0
    .vgpr_spill_count: 0
    .wavefront_size: 64
  - .args:           []
    .group_segment_fixed_size: 0
    .kernarg_segment_align: 4
    .kernarg_segment_size: 0
    .language:       OpenCL C
    .language_version:
      - 2
      - 0
    .max_flat_workgroup_size: 1024
    .name:           _ZN7rocprim17ROCPRIM_400000_NS6detail44device_merge_sort_compile_time_verifier_archINS1_11comp_targetILNS1_3genE3ELNS1_11target_archE908ELNS1_3gpuE7ELNS1_3repE0EEES8_NS1_28merge_sort_block_sort_configILj256ELj4ELNS0_20block_sort_algorithmE0EEENS0_14default_configENS1_37merge_sort_block_sort_config_selectorIilEENS1_38merge_sort_block_merge_config_selectorIilEEEEvv
    .private_segment_fixed_size: 0
    .sgpr_count:     4
    .sgpr_spill_count: 0
    .symbol:         _ZN7rocprim17ROCPRIM_400000_NS6detail44device_merge_sort_compile_time_verifier_archINS1_11comp_targetILNS1_3genE3ELNS1_11target_archE908ELNS1_3gpuE7ELNS1_3repE0EEES8_NS1_28merge_sort_block_sort_configILj256ELj4ELNS0_20block_sort_algorithmE0EEENS0_14default_configENS1_37merge_sort_block_sort_config_selectorIilEENS1_38merge_sort_block_merge_config_selectorIilEEEEvv.kd
    .uniform_work_group_size: 1
    .uses_dynamic_stack: false
    .vgpr_count:     0
    .vgpr_spill_count: 0
    .wavefront_size: 64
  - .args:           []
    .group_segment_fixed_size: 0
    .kernarg_segment_align: 4
    .kernarg_segment_size: 0
    .language:       OpenCL C
    .language_version:
      - 2
      - 0
    .max_flat_workgroup_size: 1024
    .name:           _ZN7rocprim17ROCPRIM_400000_NS6detail44device_merge_sort_compile_time_verifier_archINS1_11comp_targetILNS1_3genE2ELNS1_11target_archE906ELNS1_3gpuE6ELNS1_3repE0EEES8_NS1_28merge_sort_block_sort_configILj256ELj4ELNS0_20block_sort_algorithmE0EEENS0_14default_configENS1_37merge_sort_block_sort_config_selectorIilEENS1_38merge_sort_block_merge_config_selectorIilEEEEvv
    .private_segment_fixed_size: 0
    .sgpr_count:     4
    .sgpr_spill_count: 0
    .symbol:         _ZN7rocprim17ROCPRIM_400000_NS6detail44device_merge_sort_compile_time_verifier_archINS1_11comp_targetILNS1_3genE2ELNS1_11target_archE906ELNS1_3gpuE6ELNS1_3repE0EEES8_NS1_28merge_sort_block_sort_configILj256ELj4ELNS0_20block_sort_algorithmE0EEENS0_14default_configENS1_37merge_sort_block_sort_config_selectorIilEENS1_38merge_sort_block_merge_config_selectorIilEEEEvv.kd
    .uniform_work_group_size: 1
    .uses_dynamic_stack: false
    .vgpr_count:     0
    .vgpr_spill_count: 0
    .wavefront_size: 64
  - .args:           []
    .group_segment_fixed_size: 0
    .kernarg_segment_align: 4
    .kernarg_segment_size: 0
    .language:       OpenCL C
    .language_version:
      - 2
      - 0
    .max_flat_workgroup_size: 1024
    .name:           _ZN7rocprim17ROCPRIM_400000_NS6detail44device_merge_sort_compile_time_verifier_archINS1_11comp_targetILNS1_3genE10ELNS1_11target_archE1201ELNS1_3gpuE5ELNS1_3repE0EEES8_NS1_28merge_sort_block_sort_configILj256ELj4ELNS0_20block_sort_algorithmE0EEENS0_14default_configENS1_37merge_sort_block_sort_config_selectorIilEENS1_38merge_sort_block_merge_config_selectorIilEEEEvv
    .private_segment_fixed_size: 0
    .sgpr_count:     4
    .sgpr_spill_count: 0
    .symbol:         _ZN7rocprim17ROCPRIM_400000_NS6detail44device_merge_sort_compile_time_verifier_archINS1_11comp_targetILNS1_3genE10ELNS1_11target_archE1201ELNS1_3gpuE5ELNS1_3repE0EEES8_NS1_28merge_sort_block_sort_configILj256ELj4ELNS0_20block_sort_algorithmE0EEENS0_14default_configENS1_37merge_sort_block_sort_config_selectorIilEENS1_38merge_sort_block_merge_config_selectorIilEEEEvv.kd
    .uniform_work_group_size: 1
    .uses_dynamic_stack: false
    .vgpr_count:     0
    .vgpr_spill_count: 0
    .wavefront_size: 64
  - .args:           []
    .group_segment_fixed_size: 0
    .kernarg_segment_align: 4
    .kernarg_segment_size: 0
    .language:       OpenCL C
    .language_version:
      - 2
      - 0
    .max_flat_workgroup_size: 1024
    .name:           _ZN7rocprim17ROCPRIM_400000_NS6detail44device_merge_sort_compile_time_verifier_archINS1_11comp_targetILNS1_3genE10ELNS1_11target_archE1200ELNS1_3gpuE4ELNS1_3repE0EEENS3_ILS4_10ELS5_1201ELS6_5ELS7_0EEENS1_28merge_sort_block_sort_configILj256ELj4ELNS0_20block_sort_algorithmE0EEENS0_14default_configENS1_37merge_sort_block_sort_config_selectorIilEENS1_38merge_sort_block_merge_config_selectorIilEEEEvv
    .private_segment_fixed_size: 0
    .sgpr_count:     4
    .sgpr_spill_count: 0
    .symbol:         _ZN7rocprim17ROCPRIM_400000_NS6detail44device_merge_sort_compile_time_verifier_archINS1_11comp_targetILNS1_3genE10ELNS1_11target_archE1200ELNS1_3gpuE4ELNS1_3repE0EEENS3_ILS4_10ELS5_1201ELS6_5ELS7_0EEENS1_28merge_sort_block_sort_configILj256ELj4ELNS0_20block_sort_algorithmE0EEENS0_14default_configENS1_37merge_sort_block_sort_config_selectorIilEENS1_38merge_sort_block_merge_config_selectorIilEEEEvv.kd
    .uniform_work_group_size: 1
    .uses_dynamic_stack: false
    .vgpr_count:     0
    .vgpr_spill_count: 0
    .wavefront_size: 64
  - .args:           []
    .group_segment_fixed_size: 0
    .kernarg_segment_align: 4
    .kernarg_segment_size: 0
    .language:       OpenCL C
    .language_version:
      - 2
      - 0
    .max_flat_workgroup_size: 1024
    .name:           _ZN7rocprim17ROCPRIM_400000_NS6detail44device_merge_sort_compile_time_verifier_archINS1_11comp_targetILNS1_3genE9ELNS1_11target_archE1100ELNS1_3gpuE3ELNS1_3repE0EEES8_NS1_28merge_sort_block_sort_configILj256ELj4ELNS0_20block_sort_algorithmE0EEENS0_14default_configENS1_37merge_sort_block_sort_config_selectorIilEENS1_38merge_sort_block_merge_config_selectorIilEEEEvv
    .private_segment_fixed_size: 0
    .sgpr_count:     4
    .sgpr_spill_count: 0
    .symbol:         _ZN7rocprim17ROCPRIM_400000_NS6detail44device_merge_sort_compile_time_verifier_archINS1_11comp_targetILNS1_3genE9ELNS1_11target_archE1100ELNS1_3gpuE3ELNS1_3repE0EEES8_NS1_28merge_sort_block_sort_configILj256ELj4ELNS0_20block_sort_algorithmE0EEENS0_14default_configENS1_37merge_sort_block_sort_config_selectorIilEENS1_38merge_sort_block_merge_config_selectorIilEEEEvv.kd
    .uniform_work_group_size: 1
    .uses_dynamic_stack: false
    .vgpr_count:     0
    .vgpr_spill_count: 0
    .wavefront_size: 64
  - .args:           []
    .group_segment_fixed_size: 0
    .kernarg_segment_align: 4
    .kernarg_segment_size: 0
    .language:       OpenCL C
    .language_version:
      - 2
      - 0
    .max_flat_workgroup_size: 1024
    .name:           _ZN7rocprim17ROCPRIM_400000_NS6detail44device_merge_sort_compile_time_verifier_archINS1_11comp_targetILNS1_3genE8ELNS1_11target_archE1030ELNS1_3gpuE2ELNS1_3repE0EEES8_NS1_28merge_sort_block_sort_configILj256ELj4ELNS0_20block_sort_algorithmE0EEENS0_14default_configENS1_37merge_sort_block_sort_config_selectorIilEENS1_38merge_sort_block_merge_config_selectorIilEEEEvv
    .private_segment_fixed_size: 0
    .sgpr_count:     4
    .sgpr_spill_count: 0
    .symbol:         _ZN7rocprim17ROCPRIM_400000_NS6detail44device_merge_sort_compile_time_verifier_archINS1_11comp_targetILNS1_3genE8ELNS1_11target_archE1030ELNS1_3gpuE2ELNS1_3repE0EEES8_NS1_28merge_sort_block_sort_configILj256ELj4ELNS0_20block_sort_algorithmE0EEENS0_14default_configENS1_37merge_sort_block_sort_config_selectorIilEENS1_38merge_sort_block_merge_config_selectorIilEEEEvv.kd
    .uniform_work_group_size: 1
    .uses_dynamic_stack: false
    .vgpr_count:     0
    .vgpr_spill_count: 0
    .wavefront_size: 64
  - .args:
      - .offset:         0
        .size:           40
        .value_kind:     by_value
    .group_segment_fixed_size: 0
    .kernarg_segment_align: 8
    .kernarg_segment_size: 40
    .language:       OpenCL C
    .language_version:
      - 2
      - 0
    .max_flat_workgroup_size: 128
    .name:           _ZN7rocprim17ROCPRIM_400000_NS6detail17trampoline_kernelINS0_14default_configENS1_38merge_sort_block_merge_config_selectorIilEEZZNS1_27merge_sort_block_merge_implIS3_PiN6thrust23THRUST_200600_302600_NS10device_ptrIlEEjNS1_19radix_merge_compareILb0ELb0EiNS0_19identity_decomposerEEEEE10hipError_tT0_T1_T2_jT3_P12ihipStream_tbPNSt15iterator_traitsISG_E10value_typeEPNSM_ISH_E10value_typeEPSI_NS1_7vsmem_tEENKUlT_SG_SH_SI_E_clIS7_S7_PlSB_EESF_SV_SG_SH_SI_EUlSV_E_NS1_11comp_targetILNS1_3genE0ELNS1_11target_archE4294967295ELNS1_3gpuE0ELNS1_3repE0EEENS1_48merge_mergepath_partition_config_static_selectorELNS0_4arch9wavefront6targetE1EEEvSH_
    .private_segment_fixed_size: 0
    .sgpr_count:     4
    .sgpr_spill_count: 0
    .symbol:         _ZN7rocprim17ROCPRIM_400000_NS6detail17trampoline_kernelINS0_14default_configENS1_38merge_sort_block_merge_config_selectorIilEEZZNS1_27merge_sort_block_merge_implIS3_PiN6thrust23THRUST_200600_302600_NS10device_ptrIlEEjNS1_19radix_merge_compareILb0ELb0EiNS0_19identity_decomposerEEEEE10hipError_tT0_T1_T2_jT3_P12ihipStream_tbPNSt15iterator_traitsISG_E10value_typeEPNSM_ISH_E10value_typeEPSI_NS1_7vsmem_tEENKUlT_SG_SH_SI_E_clIS7_S7_PlSB_EESF_SV_SG_SH_SI_EUlSV_E_NS1_11comp_targetILNS1_3genE0ELNS1_11target_archE4294967295ELNS1_3gpuE0ELNS1_3repE0EEENS1_48merge_mergepath_partition_config_static_selectorELNS0_4arch9wavefront6targetE1EEEvSH_.kd
    .uniform_work_group_size: 1
    .uses_dynamic_stack: false
    .vgpr_count:     0
    .vgpr_spill_count: 0
    .wavefront_size: 64
  - .args:
      - .offset:         0
        .size:           40
        .value_kind:     by_value
    .group_segment_fixed_size: 0
    .kernarg_segment_align: 8
    .kernarg_segment_size: 40
    .language:       OpenCL C
    .language_version:
      - 2
      - 0
    .max_flat_workgroup_size: 128
    .name:           _ZN7rocprim17ROCPRIM_400000_NS6detail17trampoline_kernelINS0_14default_configENS1_38merge_sort_block_merge_config_selectorIilEEZZNS1_27merge_sort_block_merge_implIS3_PiN6thrust23THRUST_200600_302600_NS10device_ptrIlEEjNS1_19radix_merge_compareILb0ELb0EiNS0_19identity_decomposerEEEEE10hipError_tT0_T1_T2_jT3_P12ihipStream_tbPNSt15iterator_traitsISG_E10value_typeEPNSM_ISH_E10value_typeEPSI_NS1_7vsmem_tEENKUlT_SG_SH_SI_E_clIS7_S7_PlSB_EESF_SV_SG_SH_SI_EUlSV_E_NS1_11comp_targetILNS1_3genE10ELNS1_11target_archE1201ELNS1_3gpuE5ELNS1_3repE0EEENS1_48merge_mergepath_partition_config_static_selectorELNS0_4arch9wavefront6targetE1EEEvSH_
    .private_segment_fixed_size: 0
    .sgpr_count:     4
    .sgpr_spill_count: 0
    .symbol:         _ZN7rocprim17ROCPRIM_400000_NS6detail17trampoline_kernelINS0_14default_configENS1_38merge_sort_block_merge_config_selectorIilEEZZNS1_27merge_sort_block_merge_implIS3_PiN6thrust23THRUST_200600_302600_NS10device_ptrIlEEjNS1_19radix_merge_compareILb0ELb0EiNS0_19identity_decomposerEEEEE10hipError_tT0_T1_T2_jT3_P12ihipStream_tbPNSt15iterator_traitsISG_E10value_typeEPNSM_ISH_E10value_typeEPSI_NS1_7vsmem_tEENKUlT_SG_SH_SI_E_clIS7_S7_PlSB_EESF_SV_SG_SH_SI_EUlSV_E_NS1_11comp_targetILNS1_3genE10ELNS1_11target_archE1201ELNS1_3gpuE5ELNS1_3repE0EEENS1_48merge_mergepath_partition_config_static_selectorELNS0_4arch9wavefront6targetE1EEEvSH_.kd
    .uniform_work_group_size: 1
    .uses_dynamic_stack: false
    .vgpr_count:     0
    .vgpr_spill_count: 0
    .wavefront_size: 64
  - .args:
      - .offset:         0
        .size:           40
        .value_kind:     by_value
    .group_segment_fixed_size: 0
    .kernarg_segment_align: 8
    .kernarg_segment_size: 40
    .language:       OpenCL C
    .language_version:
      - 2
      - 0
    .max_flat_workgroup_size: 128
    .name:           _ZN7rocprim17ROCPRIM_400000_NS6detail17trampoline_kernelINS0_14default_configENS1_38merge_sort_block_merge_config_selectorIilEEZZNS1_27merge_sort_block_merge_implIS3_PiN6thrust23THRUST_200600_302600_NS10device_ptrIlEEjNS1_19radix_merge_compareILb0ELb0EiNS0_19identity_decomposerEEEEE10hipError_tT0_T1_T2_jT3_P12ihipStream_tbPNSt15iterator_traitsISG_E10value_typeEPNSM_ISH_E10value_typeEPSI_NS1_7vsmem_tEENKUlT_SG_SH_SI_E_clIS7_S7_PlSB_EESF_SV_SG_SH_SI_EUlSV_E_NS1_11comp_targetILNS1_3genE5ELNS1_11target_archE942ELNS1_3gpuE9ELNS1_3repE0EEENS1_48merge_mergepath_partition_config_static_selectorELNS0_4arch9wavefront6targetE1EEEvSH_
    .private_segment_fixed_size: 0
    .sgpr_count:     4
    .sgpr_spill_count: 0
    .symbol:         _ZN7rocprim17ROCPRIM_400000_NS6detail17trampoline_kernelINS0_14default_configENS1_38merge_sort_block_merge_config_selectorIilEEZZNS1_27merge_sort_block_merge_implIS3_PiN6thrust23THRUST_200600_302600_NS10device_ptrIlEEjNS1_19radix_merge_compareILb0ELb0EiNS0_19identity_decomposerEEEEE10hipError_tT0_T1_T2_jT3_P12ihipStream_tbPNSt15iterator_traitsISG_E10value_typeEPNSM_ISH_E10value_typeEPSI_NS1_7vsmem_tEENKUlT_SG_SH_SI_E_clIS7_S7_PlSB_EESF_SV_SG_SH_SI_EUlSV_E_NS1_11comp_targetILNS1_3genE5ELNS1_11target_archE942ELNS1_3gpuE9ELNS1_3repE0EEENS1_48merge_mergepath_partition_config_static_selectorELNS0_4arch9wavefront6targetE1EEEvSH_.kd
    .uniform_work_group_size: 1
    .uses_dynamic_stack: false
    .vgpr_count:     0
    .vgpr_spill_count: 0
    .wavefront_size: 64
  - .args:
      - .offset:         0
        .size:           40
        .value_kind:     by_value
    .group_segment_fixed_size: 0
    .kernarg_segment_align: 8
    .kernarg_segment_size: 40
    .language:       OpenCL C
    .language_version:
      - 2
      - 0
    .max_flat_workgroup_size: 128
    .name:           _ZN7rocprim17ROCPRIM_400000_NS6detail17trampoline_kernelINS0_14default_configENS1_38merge_sort_block_merge_config_selectorIilEEZZNS1_27merge_sort_block_merge_implIS3_PiN6thrust23THRUST_200600_302600_NS10device_ptrIlEEjNS1_19radix_merge_compareILb0ELb0EiNS0_19identity_decomposerEEEEE10hipError_tT0_T1_T2_jT3_P12ihipStream_tbPNSt15iterator_traitsISG_E10value_typeEPNSM_ISH_E10value_typeEPSI_NS1_7vsmem_tEENKUlT_SG_SH_SI_E_clIS7_S7_PlSB_EESF_SV_SG_SH_SI_EUlSV_E_NS1_11comp_targetILNS1_3genE4ELNS1_11target_archE910ELNS1_3gpuE8ELNS1_3repE0EEENS1_48merge_mergepath_partition_config_static_selectorELNS0_4arch9wavefront6targetE1EEEvSH_
    .private_segment_fixed_size: 0
    .sgpr_count:     4
    .sgpr_spill_count: 0
    .symbol:         _ZN7rocprim17ROCPRIM_400000_NS6detail17trampoline_kernelINS0_14default_configENS1_38merge_sort_block_merge_config_selectorIilEEZZNS1_27merge_sort_block_merge_implIS3_PiN6thrust23THRUST_200600_302600_NS10device_ptrIlEEjNS1_19radix_merge_compareILb0ELb0EiNS0_19identity_decomposerEEEEE10hipError_tT0_T1_T2_jT3_P12ihipStream_tbPNSt15iterator_traitsISG_E10value_typeEPNSM_ISH_E10value_typeEPSI_NS1_7vsmem_tEENKUlT_SG_SH_SI_E_clIS7_S7_PlSB_EESF_SV_SG_SH_SI_EUlSV_E_NS1_11comp_targetILNS1_3genE4ELNS1_11target_archE910ELNS1_3gpuE8ELNS1_3repE0EEENS1_48merge_mergepath_partition_config_static_selectorELNS0_4arch9wavefront6targetE1EEEvSH_.kd
    .uniform_work_group_size: 1
    .uses_dynamic_stack: false
    .vgpr_count:     0
    .vgpr_spill_count: 0
    .wavefront_size: 64
  - .args:
      - .offset:         0
        .size:           40
        .value_kind:     by_value
    .group_segment_fixed_size: 0
    .kernarg_segment_align: 8
    .kernarg_segment_size: 40
    .language:       OpenCL C
    .language_version:
      - 2
      - 0
    .max_flat_workgroup_size: 128
    .name:           _ZN7rocprim17ROCPRIM_400000_NS6detail17trampoline_kernelINS0_14default_configENS1_38merge_sort_block_merge_config_selectorIilEEZZNS1_27merge_sort_block_merge_implIS3_PiN6thrust23THRUST_200600_302600_NS10device_ptrIlEEjNS1_19radix_merge_compareILb0ELb0EiNS0_19identity_decomposerEEEEE10hipError_tT0_T1_T2_jT3_P12ihipStream_tbPNSt15iterator_traitsISG_E10value_typeEPNSM_ISH_E10value_typeEPSI_NS1_7vsmem_tEENKUlT_SG_SH_SI_E_clIS7_S7_PlSB_EESF_SV_SG_SH_SI_EUlSV_E_NS1_11comp_targetILNS1_3genE3ELNS1_11target_archE908ELNS1_3gpuE7ELNS1_3repE0EEENS1_48merge_mergepath_partition_config_static_selectorELNS0_4arch9wavefront6targetE1EEEvSH_
    .private_segment_fixed_size: 0
    .sgpr_count:     4
    .sgpr_spill_count: 0
    .symbol:         _ZN7rocprim17ROCPRIM_400000_NS6detail17trampoline_kernelINS0_14default_configENS1_38merge_sort_block_merge_config_selectorIilEEZZNS1_27merge_sort_block_merge_implIS3_PiN6thrust23THRUST_200600_302600_NS10device_ptrIlEEjNS1_19radix_merge_compareILb0ELb0EiNS0_19identity_decomposerEEEEE10hipError_tT0_T1_T2_jT3_P12ihipStream_tbPNSt15iterator_traitsISG_E10value_typeEPNSM_ISH_E10value_typeEPSI_NS1_7vsmem_tEENKUlT_SG_SH_SI_E_clIS7_S7_PlSB_EESF_SV_SG_SH_SI_EUlSV_E_NS1_11comp_targetILNS1_3genE3ELNS1_11target_archE908ELNS1_3gpuE7ELNS1_3repE0EEENS1_48merge_mergepath_partition_config_static_selectorELNS0_4arch9wavefront6targetE1EEEvSH_.kd
    .uniform_work_group_size: 1
    .uses_dynamic_stack: false
    .vgpr_count:     0
    .vgpr_spill_count: 0
    .wavefront_size: 64
  - .args:
      - .offset:         0
        .size:           40
        .value_kind:     by_value
    .group_segment_fixed_size: 0
    .kernarg_segment_align: 8
    .kernarg_segment_size: 40
    .language:       OpenCL C
    .language_version:
      - 2
      - 0
    .max_flat_workgroup_size: 128
    .name:           _ZN7rocprim17ROCPRIM_400000_NS6detail17trampoline_kernelINS0_14default_configENS1_38merge_sort_block_merge_config_selectorIilEEZZNS1_27merge_sort_block_merge_implIS3_PiN6thrust23THRUST_200600_302600_NS10device_ptrIlEEjNS1_19radix_merge_compareILb0ELb0EiNS0_19identity_decomposerEEEEE10hipError_tT0_T1_T2_jT3_P12ihipStream_tbPNSt15iterator_traitsISG_E10value_typeEPNSM_ISH_E10value_typeEPSI_NS1_7vsmem_tEENKUlT_SG_SH_SI_E_clIS7_S7_PlSB_EESF_SV_SG_SH_SI_EUlSV_E_NS1_11comp_targetILNS1_3genE2ELNS1_11target_archE906ELNS1_3gpuE6ELNS1_3repE0EEENS1_48merge_mergepath_partition_config_static_selectorELNS0_4arch9wavefront6targetE1EEEvSH_
    .private_segment_fixed_size: 0
    .sgpr_count:     12
    .sgpr_spill_count: 0
    .symbol:         _ZN7rocprim17ROCPRIM_400000_NS6detail17trampoline_kernelINS0_14default_configENS1_38merge_sort_block_merge_config_selectorIilEEZZNS1_27merge_sort_block_merge_implIS3_PiN6thrust23THRUST_200600_302600_NS10device_ptrIlEEjNS1_19radix_merge_compareILb0ELb0EiNS0_19identity_decomposerEEEEE10hipError_tT0_T1_T2_jT3_P12ihipStream_tbPNSt15iterator_traitsISG_E10value_typeEPNSM_ISH_E10value_typeEPSI_NS1_7vsmem_tEENKUlT_SG_SH_SI_E_clIS7_S7_PlSB_EESF_SV_SG_SH_SI_EUlSV_E_NS1_11comp_targetILNS1_3genE2ELNS1_11target_archE906ELNS1_3gpuE6ELNS1_3repE0EEENS1_48merge_mergepath_partition_config_static_selectorELNS0_4arch9wavefront6targetE1EEEvSH_.kd
    .uniform_work_group_size: 1
    .uses_dynamic_stack: false
    .vgpr_count:     17
    .vgpr_spill_count: 0
    .wavefront_size: 64
  - .args:
      - .offset:         0
        .size:           40
        .value_kind:     by_value
    .group_segment_fixed_size: 0
    .kernarg_segment_align: 8
    .kernarg_segment_size: 40
    .language:       OpenCL C
    .language_version:
      - 2
      - 0
    .max_flat_workgroup_size: 128
    .name:           _ZN7rocprim17ROCPRIM_400000_NS6detail17trampoline_kernelINS0_14default_configENS1_38merge_sort_block_merge_config_selectorIilEEZZNS1_27merge_sort_block_merge_implIS3_PiN6thrust23THRUST_200600_302600_NS10device_ptrIlEEjNS1_19radix_merge_compareILb0ELb0EiNS0_19identity_decomposerEEEEE10hipError_tT0_T1_T2_jT3_P12ihipStream_tbPNSt15iterator_traitsISG_E10value_typeEPNSM_ISH_E10value_typeEPSI_NS1_7vsmem_tEENKUlT_SG_SH_SI_E_clIS7_S7_PlSB_EESF_SV_SG_SH_SI_EUlSV_E_NS1_11comp_targetILNS1_3genE9ELNS1_11target_archE1100ELNS1_3gpuE3ELNS1_3repE0EEENS1_48merge_mergepath_partition_config_static_selectorELNS0_4arch9wavefront6targetE1EEEvSH_
    .private_segment_fixed_size: 0
    .sgpr_count:     4
    .sgpr_spill_count: 0
    .symbol:         _ZN7rocprim17ROCPRIM_400000_NS6detail17trampoline_kernelINS0_14default_configENS1_38merge_sort_block_merge_config_selectorIilEEZZNS1_27merge_sort_block_merge_implIS3_PiN6thrust23THRUST_200600_302600_NS10device_ptrIlEEjNS1_19radix_merge_compareILb0ELb0EiNS0_19identity_decomposerEEEEE10hipError_tT0_T1_T2_jT3_P12ihipStream_tbPNSt15iterator_traitsISG_E10value_typeEPNSM_ISH_E10value_typeEPSI_NS1_7vsmem_tEENKUlT_SG_SH_SI_E_clIS7_S7_PlSB_EESF_SV_SG_SH_SI_EUlSV_E_NS1_11comp_targetILNS1_3genE9ELNS1_11target_archE1100ELNS1_3gpuE3ELNS1_3repE0EEENS1_48merge_mergepath_partition_config_static_selectorELNS0_4arch9wavefront6targetE1EEEvSH_.kd
    .uniform_work_group_size: 1
    .uses_dynamic_stack: false
    .vgpr_count:     0
    .vgpr_spill_count: 0
    .wavefront_size: 64
  - .args:
      - .offset:         0
        .size:           40
        .value_kind:     by_value
    .group_segment_fixed_size: 0
    .kernarg_segment_align: 8
    .kernarg_segment_size: 40
    .language:       OpenCL C
    .language_version:
      - 2
      - 0
    .max_flat_workgroup_size: 128
    .name:           _ZN7rocprim17ROCPRIM_400000_NS6detail17trampoline_kernelINS0_14default_configENS1_38merge_sort_block_merge_config_selectorIilEEZZNS1_27merge_sort_block_merge_implIS3_PiN6thrust23THRUST_200600_302600_NS10device_ptrIlEEjNS1_19radix_merge_compareILb0ELb0EiNS0_19identity_decomposerEEEEE10hipError_tT0_T1_T2_jT3_P12ihipStream_tbPNSt15iterator_traitsISG_E10value_typeEPNSM_ISH_E10value_typeEPSI_NS1_7vsmem_tEENKUlT_SG_SH_SI_E_clIS7_S7_PlSB_EESF_SV_SG_SH_SI_EUlSV_E_NS1_11comp_targetILNS1_3genE8ELNS1_11target_archE1030ELNS1_3gpuE2ELNS1_3repE0EEENS1_48merge_mergepath_partition_config_static_selectorELNS0_4arch9wavefront6targetE1EEEvSH_
    .private_segment_fixed_size: 0
    .sgpr_count:     4
    .sgpr_spill_count: 0
    .symbol:         _ZN7rocprim17ROCPRIM_400000_NS6detail17trampoline_kernelINS0_14default_configENS1_38merge_sort_block_merge_config_selectorIilEEZZNS1_27merge_sort_block_merge_implIS3_PiN6thrust23THRUST_200600_302600_NS10device_ptrIlEEjNS1_19radix_merge_compareILb0ELb0EiNS0_19identity_decomposerEEEEE10hipError_tT0_T1_T2_jT3_P12ihipStream_tbPNSt15iterator_traitsISG_E10value_typeEPNSM_ISH_E10value_typeEPSI_NS1_7vsmem_tEENKUlT_SG_SH_SI_E_clIS7_S7_PlSB_EESF_SV_SG_SH_SI_EUlSV_E_NS1_11comp_targetILNS1_3genE8ELNS1_11target_archE1030ELNS1_3gpuE2ELNS1_3repE0EEENS1_48merge_mergepath_partition_config_static_selectorELNS0_4arch9wavefront6targetE1EEEvSH_.kd
    .uniform_work_group_size: 1
    .uses_dynamic_stack: false
    .vgpr_count:     0
    .vgpr_spill_count: 0
    .wavefront_size: 64
  - .args:
      - .offset:         0
        .size:           64
        .value_kind:     by_value
    .group_segment_fixed_size: 0
    .kernarg_segment_align: 8
    .kernarg_segment_size: 64
    .language:       OpenCL C
    .language_version:
      - 2
      - 0
    .max_flat_workgroup_size: 512
    .name:           _ZN7rocprim17ROCPRIM_400000_NS6detail17trampoline_kernelINS0_14default_configENS1_38merge_sort_block_merge_config_selectorIilEEZZNS1_27merge_sort_block_merge_implIS3_PiN6thrust23THRUST_200600_302600_NS10device_ptrIlEEjNS1_19radix_merge_compareILb0ELb0EiNS0_19identity_decomposerEEEEE10hipError_tT0_T1_T2_jT3_P12ihipStream_tbPNSt15iterator_traitsISG_E10value_typeEPNSM_ISH_E10value_typeEPSI_NS1_7vsmem_tEENKUlT_SG_SH_SI_E_clIS7_S7_PlSB_EESF_SV_SG_SH_SI_EUlSV_E0_NS1_11comp_targetILNS1_3genE0ELNS1_11target_archE4294967295ELNS1_3gpuE0ELNS1_3repE0EEENS1_38merge_mergepath_config_static_selectorELNS0_4arch9wavefront6targetE1EEEvSH_
    .private_segment_fixed_size: 0
    .sgpr_count:     4
    .sgpr_spill_count: 0
    .symbol:         _ZN7rocprim17ROCPRIM_400000_NS6detail17trampoline_kernelINS0_14default_configENS1_38merge_sort_block_merge_config_selectorIilEEZZNS1_27merge_sort_block_merge_implIS3_PiN6thrust23THRUST_200600_302600_NS10device_ptrIlEEjNS1_19radix_merge_compareILb0ELb0EiNS0_19identity_decomposerEEEEE10hipError_tT0_T1_T2_jT3_P12ihipStream_tbPNSt15iterator_traitsISG_E10value_typeEPNSM_ISH_E10value_typeEPSI_NS1_7vsmem_tEENKUlT_SG_SH_SI_E_clIS7_S7_PlSB_EESF_SV_SG_SH_SI_EUlSV_E0_NS1_11comp_targetILNS1_3genE0ELNS1_11target_archE4294967295ELNS1_3gpuE0ELNS1_3repE0EEENS1_38merge_mergepath_config_static_selectorELNS0_4arch9wavefront6targetE1EEEvSH_.kd
    .uniform_work_group_size: 1
    .uses_dynamic_stack: false
    .vgpr_count:     0
    .vgpr_spill_count: 0
    .wavefront_size: 64
  - .args:
      - .offset:         0
        .size:           64
        .value_kind:     by_value
    .group_segment_fixed_size: 0
    .kernarg_segment_align: 8
    .kernarg_segment_size: 64
    .language:       OpenCL C
    .language_version:
      - 2
      - 0
    .max_flat_workgroup_size: 512
    .name:           _ZN7rocprim17ROCPRIM_400000_NS6detail17trampoline_kernelINS0_14default_configENS1_38merge_sort_block_merge_config_selectorIilEEZZNS1_27merge_sort_block_merge_implIS3_PiN6thrust23THRUST_200600_302600_NS10device_ptrIlEEjNS1_19radix_merge_compareILb0ELb0EiNS0_19identity_decomposerEEEEE10hipError_tT0_T1_T2_jT3_P12ihipStream_tbPNSt15iterator_traitsISG_E10value_typeEPNSM_ISH_E10value_typeEPSI_NS1_7vsmem_tEENKUlT_SG_SH_SI_E_clIS7_S7_PlSB_EESF_SV_SG_SH_SI_EUlSV_E0_NS1_11comp_targetILNS1_3genE10ELNS1_11target_archE1201ELNS1_3gpuE5ELNS1_3repE0EEENS1_38merge_mergepath_config_static_selectorELNS0_4arch9wavefront6targetE1EEEvSH_
    .private_segment_fixed_size: 0
    .sgpr_count:     4
    .sgpr_spill_count: 0
    .symbol:         _ZN7rocprim17ROCPRIM_400000_NS6detail17trampoline_kernelINS0_14default_configENS1_38merge_sort_block_merge_config_selectorIilEEZZNS1_27merge_sort_block_merge_implIS3_PiN6thrust23THRUST_200600_302600_NS10device_ptrIlEEjNS1_19radix_merge_compareILb0ELb0EiNS0_19identity_decomposerEEEEE10hipError_tT0_T1_T2_jT3_P12ihipStream_tbPNSt15iterator_traitsISG_E10value_typeEPNSM_ISH_E10value_typeEPSI_NS1_7vsmem_tEENKUlT_SG_SH_SI_E_clIS7_S7_PlSB_EESF_SV_SG_SH_SI_EUlSV_E0_NS1_11comp_targetILNS1_3genE10ELNS1_11target_archE1201ELNS1_3gpuE5ELNS1_3repE0EEENS1_38merge_mergepath_config_static_selectorELNS0_4arch9wavefront6targetE1EEEvSH_.kd
    .uniform_work_group_size: 1
    .uses_dynamic_stack: false
    .vgpr_count:     0
    .vgpr_spill_count: 0
    .wavefront_size: 64
  - .args:
      - .offset:         0
        .size:           64
        .value_kind:     by_value
    .group_segment_fixed_size: 0
    .kernarg_segment_align: 8
    .kernarg_segment_size: 64
    .language:       OpenCL C
    .language_version:
      - 2
      - 0
    .max_flat_workgroup_size: 256
    .name:           _ZN7rocprim17ROCPRIM_400000_NS6detail17trampoline_kernelINS0_14default_configENS1_38merge_sort_block_merge_config_selectorIilEEZZNS1_27merge_sort_block_merge_implIS3_PiN6thrust23THRUST_200600_302600_NS10device_ptrIlEEjNS1_19radix_merge_compareILb0ELb0EiNS0_19identity_decomposerEEEEE10hipError_tT0_T1_T2_jT3_P12ihipStream_tbPNSt15iterator_traitsISG_E10value_typeEPNSM_ISH_E10value_typeEPSI_NS1_7vsmem_tEENKUlT_SG_SH_SI_E_clIS7_S7_PlSB_EESF_SV_SG_SH_SI_EUlSV_E0_NS1_11comp_targetILNS1_3genE5ELNS1_11target_archE942ELNS1_3gpuE9ELNS1_3repE0EEENS1_38merge_mergepath_config_static_selectorELNS0_4arch9wavefront6targetE1EEEvSH_
    .private_segment_fixed_size: 0
    .sgpr_count:     4
    .sgpr_spill_count: 0
    .symbol:         _ZN7rocprim17ROCPRIM_400000_NS6detail17trampoline_kernelINS0_14default_configENS1_38merge_sort_block_merge_config_selectorIilEEZZNS1_27merge_sort_block_merge_implIS3_PiN6thrust23THRUST_200600_302600_NS10device_ptrIlEEjNS1_19radix_merge_compareILb0ELb0EiNS0_19identity_decomposerEEEEE10hipError_tT0_T1_T2_jT3_P12ihipStream_tbPNSt15iterator_traitsISG_E10value_typeEPNSM_ISH_E10value_typeEPSI_NS1_7vsmem_tEENKUlT_SG_SH_SI_E_clIS7_S7_PlSB_EESF_SV_SG_SH_SI_EUlSV_E0_NS1_11comp_targetILNS1_3genE5ELNS1_11target_archE942ELNS1_3gpuE9ELNS1_3repE0EEENS1_38merge_mergepath_config_static_selectorELNS0_4arch9wavefront6targetE1EEEvSH_.kd
    .uniform_work_group_size: 1
    .uses_dynamic_stack: false
    .vgpr_count:     0
    .vgpr_spill_count: 0
    .wavefront_size: 64
  - .args:
      - .offset:         0
        .size:           64
        .value_kind:     by_value
    .group_segment_fixed_size: 0
    .kernarg_segment_align: 8
    .kernarg_segment_size: 64
    .language:       OpenCL C
    .language_version:
      - 2
      - 0
    .max_flat_workgroup_size: 256
    .name:           _ZN7rocprim17ROCPRIM_400000_NS6detail17trampoline_kernelINS0_14default_configENS1_38merge_sort_block_merge_config_selectorIilEEZZNS1_27merge_sort_block_merge_implIS3_PiN6thrust23THRUST_200600_302600_NS10device_ptrIlEEjNS1_19radix_merge_compareILb0ELb0EiNS0_19identity_decomposerEEEEE10hipError_tT0_T1_T2_jT3_P12ihipStream_tbPNSt15iterator_traitsISG_E10value_typeEPNSM_ISH_E10value_typeEPSI_NS1_7vsmem_tEENKUlT_SG_SH_SI_E_clIS7_S7_PlSB_EESF_SV_SG_SH_SI_EUlSV_E0_NS1_11comp_targetILNS1_3genE4ELNS1_11target_archE910ELNS1_3gpuE8ELNS1_3repE0EEENS1_38merge_mergepath_config_static_selectorELNS0_4arch9wavefront6targetE1EEEvSH_
    .private_segment_fixed_size: 0
    .sgpr_count:     4
    .sgpr_spill_count: 0
    .symbol:         _ZN7rocprim17ROCPRIM_400000_NS6detail17trampoline_kernelINS0_14default_configENS1_38merge_sort_block_merge_config_selectorIilEEZZNS1_27merge_sort_block_merge_implIS3_PiN6thrust23THRUST_200600_302600_NS10device_ptrIlEEjNS1_19radix_merge_compareILb0ELb0EiNS0_19identity_decomposerEEEEE10hipError_tT0_T1_T2_jT3_P12ihipStream_tbPNSt15iterator_traitsISG_E10value_typeEPNSM_ISH_E10value_typeEPSI_NS1_7vsmem_tEENKUlT_SG_SH_SI_E_clIS7_S7_PlSB_EESF_SV_SG_SH_SI_EUlSV_E0_NS1_11comp_targetILNS1_3genE4ELNS1_11target_archE910ELNS1_3gpuE8ELNS1_3repE0EEENS1_38merge_mergepath_config_static_selectorELNS0_4arch9wavefront6targetE1EEEvSH_.kd
    .uniform_work_group_size: 1
    .uses_dynamic_stack: false
    .vgpr_count:     0
    .vgpr_spill_count: 0
    .wavefront_size: 64
  - .args:
      - .offset:         0
        .size:           64
        .value_kind:     by_value
    .group_segment_fixed_size: 0
    .kernarg_segment_align: 8
    .kernarg_segment_size: 64
    .language:       OpenCL C
    .language_version:
      - 2
      - 0
    .max_flat_workgroup_size: 512
    .name:           _ZN7rocprim17ROCPRIM_400000_NS6detail17trampoline_kernelINS0_14default_configENS1_38merge_sort_block_merge_config_selectorIilEEZZNS1_27merge_sort_block_merge_implIS3_PiN6thrust23THRUST_200600_302600_NS10device_ptrIlEEjNS1_19radix_merge_compareILb0ELb0EiNS0_19identity_decomposerEEEEE10hipError_tT0_T1_T2_jT3_P12ihipStream_tbPNSt15iterator_traitsISG_E10value_typeEPNSM_ISH_E10value_typeEPSI_NS1_7vsmem_tEENKUlT_SG_SH_SI_E_clIS7_S7_PlSB_EESF_SV_SG_SH_SI_EUlSV_E0_NS1_11comp_targetILNS1_3genE3ELNS1_11target_archE908ELNS1_3gpuE7ELNS1_3repE0EEENS1_38merge_mergepath_config_static_selectorELNS0_4arch9wavefront6targetE1EEEvSH_
    .private_segment_fixed_size: 0
    .sgpr_count:     4
    .sgpr_spill_count: 0
    .symbol:         _ZN7rocprim17ROCPRIM_400000_NS6detail17trampoline_kernelINS0_14default_configENS1_38merge_sort_block_merge_config_selectorIilEEZZNS1_27merge_sort_block_merge_implIS3_PiN6thrust23THRUST_200600_302600_NS10device_ptrIlEEjNS1_19radix_merge_compareILb0ELb0EiNS0_19identity_decomposerEEEEE10hipError_tT0_T1_T2_jT3_P12ihipStream_tbPNSt15iterator_traitsISG_E10value_typeEPNSM_ISH_E10value_typeEPSI_NS1_7vsmem_tEENKUlT_SG_SH_SI_E_clIS7_S7_PlSB_EESF_SV_SG_SH_SI_EUlSV_E0_NS1_11comp_targetILNS1_3genE3ELNS1_11target_archE908ELNS1_3gpuE7ELNS1_3repE0EEENS1_38merge_mergepath_config_static_selectorELNS0_4arch9wavefront6targetE1EEEvSH_.kd
    .uniform_work_group_size: 1
    .uses_dynamic_stack: false
    .vgpr_count:     0
    .vgpr_spill_count: 0
    .wavefront_size: 64
  - .args:
      - .offset:         0
        .size:           64
        .value_kind:     by_value
      - .offset:         64
        .size:           4
        .value_kind:     hidden_block_count_x
      - .offset:         68
        .size:           4
        .value_kind:     hidden_block_count_y
      - .offset:         72
        .size:           4
        .value_kind:     hidden_block_count_z
      - .offset:         76
        .size:           2
        .value_kind:     hidden_group_size_x
      - .offset:         78
        .size:           2
        .value_kind:     hidden_group_size_y
      - .offset:         80
        .size:           2
        .value_kind:     hidden_group_size_z
      - .offset:         82
        .size:           2
        .value_kind:     hidden_remainder_x
      - .offset:         84
        .size:           2
        .value_kind:     hidden_remainder_y
      - .offset:         86
        .size:           2
        .value_kind:     hidden_remainder_z
      - .offset:         104
        .size:           8
        .value_kind:     hidden_global_offset_x
      - .offset:         112
        .size:           8
        .value_kind:     hidden_global_offset_y
      - .offset:         120
        .size:           8
        .value_kind:     hidden_global_offset_z
      - .offset:         128
        .size:           2
        .value_kind:     hidden_grid_dims
    .group_segment_fixed_size: 8448
    .kernarg_segment_align: 8
    .kernarg_segment_size: 320
    .language:       OpenCL C
    .language_version:
      - 2
      - 0
    .max_flat_workgroup_size: 256
    .name:           _ZN7rocprim17ROCPRIM_400000_NS6detail17trampoline_kernelINS0_14default_configENS1_38merge_sort_block_merge_config_selectorIilEEZZNS1_27merge_sort_block_merge_implIS3_PiN6thrust23THRUST_200600_302600_NS10device_ptrIlEEjNS1_19radix_merge_compareILb0ELb0EiNS0_19identity_decomposerEEEEE10hipError_tT0_T1_T2_jT3_P12ihipStream_tbPNSt15iterator_traitsISG_E10value_typeEPNSM_ISH_E10value_typeEPSI_NS1_7vsmem_tEENKUlT_SG_SH_SI_E_clIS7_S7_PlSB_EESF_SV_SG_SH_SI_EUlSV_E0_NS1_11comp_targetILNS1_3genE2ELNS1_11target_archE906ELNS1_3gpuE6ELNS1_3repE0EEENS1_38merge_mergepath_config_static_selectorELNS0_4arch9wavefront6targetE1EEEvSH_
    .private_segment_fixed_size: 0
    .sgpr_count:     35
    .sgpr_spill_count: 0
    .symbol:         _ZN7rocprim17ROCPRIM_400000_NS6detail17trampoline_kernelINS0_14default_configENS1_38merge_sort_block_merge_config_selectorIilEEZZNS1_27merge_sort_block_merge_implIS3_PiN6thrust23THRUST_200600_302600_NS10device_ptrIlEEjNS1_19radix_merge_compareILb0ELb0EiNS0_19identity_decomposerEEEEE10hipError_tT0_T1_T2_jT3_P12ihipStream_tbPNSt15iterator_traitsISG_E10value_typeEPNSM_ISH_E10value_typeEPSI_NS1_7vsmem_tEENKUlT_SG_SH_SI_E_clIS7_S7_PlSB_EESF_SV_SG_SH_SI_EUlSV_E0_NS1_11comp_targetILNS1_3genE2ELNS1_11target_archE906ELNS1_3gpuE6ELNS1_3repE0EEENS1_38merge_mergepath_config_static_selectorELNS0_4arch9wavefront6targetE1EEEvSH_.kd
    .uniform_work_group_size: 1
    .uses_dynamic_stack: false
    .vgpr_count:     35
    .vgpr_spill_count: 0
    .wavefront_size: 64
  - .args:
      - .offset:         0
        .size:           64
        .value_kind:     by_value
    .group_segment_fixed_size: 0
    .kernarg_segment_align: 8
    .kernarg_segment_size: 64
    .language:       OpenCL C
    .language_version:
      - 2
      - 0
    .max_flat_workgroup_size: 512
    .name:           _ZN7rocprim17ROCPRIM_400000_NS6detail17trampoline_kernelINS0_14default_configENS1_38merge_sort_block_merge_config_selectorIilEEZZNS1_27merge_sort_block_merge_implIS3_PiN6thrust23THRUST_200600_302600_NS10device_ptrIlEEjNS1_19radix_merge_compareILb0ELb0EiNS0_19identity_decomposerEEEEE10hipError_tT0_T1_T2_jT3_P12ihipStream_tbPNSt15iterator_traitsISG_E10value_typeEPNSM_ISH_E10value_typeEPSI_NS1_7vsmem_tEENKUlT_SG_SH_SI_E_clIS7_S7_PlSB_EESF_SV_SG_SH_SI_EUlSV_E0_NS1_11comp_targetILNS1_3genE9ELNS1_11target_archE1100ELNS1_3gpuE3ELNS1_3repE0EEENS1_38merge_mergepath_config_static_selectorELNS0_4arch9wavefront6targetE1EEEvSH_
    .private_segment_fixed_size: 0
    .sgpr_count:     4
    .sgpr_spill_count: 0
    .symbol:         _ZN7rocprim17ROCPRIM_400000_NS6detail17trampoline_kernelINS0_14default_configENS1_38merge_sort_block_merge_config_selectorIilEEZZNS1_27merge_sort_block_merge_implIS3_PiN6thrust23THRUST_200600_302600_NS10device_ptrIlEEjNS1_19radix_merge_compareILb0ELb0EiNS0_19identity_decomposerEEEEE10hipError_tT0_T1_T2_jT3_P12ihipStream_tbPNSt15iterator_traitsISG_E10value_typeEPNSM_ISH_E10value_typeEPSI_NS1_7vsmem_tEENKUlT_SG_SH_SI_E_clIS7_S7_PlSB_EESF_SV_SG_SH_SI_EUlSV_E0_NS1_11comp_targetILNS1_3genE9ELNS1_11target_archE1100ELNS1_3gpuE3ELNS1_3repE0EEENS1_38merge_mergepath_config_static_selectorELNS0_4arch9wavefront6targetE1EEEvSH_.kd
    .uniform_work_group_size: 1
    .uses_dynamic_stack: false
    .vgpr_count:     0
    .vgpr_spill_count: 0
    .wavefront_size: 64
  - .args:
      - .offset:         0
        .size:           64
        .value_kind:     by_value
    .group_segment_fixed_size: 0
    .kernarg_segment_align: 8
    .kernarg_segment_size: 64
    .language:       OpenCL C
    .language_version:
      - 2
      - 0
    .max_flat_workgroup_size: 1024
    .name:           _ZN7rocprim17ROCPRIM_400000_NS6detail17trampoline_kernelINS0_14default_configENS1_38merge_sort_block_merge_config_selectorIilEEZZNS1_27merge_sort_block_merge_implIS3_PiN6thrust23THRUST_200600_302600_NS10device_ptrIlEEjNS1_19radix_merge_compareILb0ELb0EiNS0_19identity_decomposerEEEEE10hipError_tT0_T1_T2_jT3_P12ihipStream_tbPNSt15iterator_traitsISG_E10value_typeEPNSM_ISH_E10value_typeEPSI_NS1_7vsmem_tEENKUlT_SG_SH_SI_E_clIS7_S7_PlSB_EESF_SV_SG_SH_SI_EUlSV_E0_NS1_11comp_targetILNS1_3genE8ELNS1_11target_archE1030ELNS1_3gpuE2ELNS1_3repE0EEENS1_38merge_mergepath_config_static_selectorELNS0_4arch9wavefront6targetE1EEEvSH_
    .private_segment_fixed_size: 0
    .sgpr_count:     4
    .sgpr_spill_count: 0
    .symbol:         _ZN7rocprim17ROCPRIM_400000_NS6detail17trampoline_kernelINS0_14default_configENS1_38merge_sort_block_merge_config_selectorIilEEZZNS1_27merge_sort_block_merge_implIS3_PiN6thrust23THRUST_200600_302600_NS10device_ptrIlEEjNS1_19radix_merge_compareILb0ELb0EiNS0_19identity_decomposerEEEEE10hipError_tT0_T1_T2_jT3_P12ihipStream_tbPNSt15iterator_traitsISG_E10value_typeEPNSM_ISH_E10value_typeEPSI_NS1_7vsmem_tEENKUlT_SG_SH_SI_E_clIS7_S7_PlSB_EESF_SV_SG_SH_SI_EUlSV_E0_NS1_11comp_targetILNS1_3genE8ELNS1_11target_archE1030ELNS1_3gpuE2ELNS1_3repE0EEENS1_38merge_mergepath_config_static_selectorELNS0_4arch9wavefront6targetE1EEEvSH_.kd
    .uniform_work_group_size: 1
    .uses_dynamic_stack: false
    .vgpr_count:     0
    .vgpr_spill_count: 0
    .wavefront_size: 64
  - .args:
      - .offset:         0
        .size:           48
        .value_kind:     by_value
    .group_segment_fixed_size: 0
    .kernarg_segment_align: 8
    .kernarg_segment_size: 48
    .language:       OpenCL C
    .language_version:
      - 2
      - 0
    .max_flat_workgroup_size: 256
    .name:           _ZN7rocprim17ROCPRIM_400000_NS6detail17trampoline_kernelINS0_14default_configENS1_38merge_sort_block_merge_config_selectorIilEEZZNS1_27merge_sort_block_merge_implIS3_PiN6thrust23THRUST_200600_302600_NS10device_ptrIlEEjNS1_19radix_merge_compareILb0ELb0EiNS0_19identity_decomposerEEEEE10hipError_tT0_T1_T2_jT3_P12ihipStream_tbPNSt15iterator_traitsISG_E10value_typeEPNSM_ISH_E10value_typeEPSI_NS1_7vsmem_tEENKUlT_SG_SH_SI_E_clIS7_S7_PlSB_EESF_SV_SG_SH_SI_EUlSV_E1_NS1_11comp_targetILNS1_3genE0ELNS1_11target_archE4294967295ELNS1_3gpuE0ELNS1_3repE0EEENS1_36merge_oddeven_config_static_selectorELNS0_4arch9wavefront6targetE1EEEvSH_
    .private_segment_fixed_size: 0
    .sgpr_count:     4
    .sgpr_spill_count: 0
    .symbol:         _ZN7rocprim17ROCPRIM_400000_NS6detail17trampoline_kernelINS0_14default_configENS1_38merge_sort_block_merge_config_selectorIilEEZZNS1_27merge_sort_block_merge_implIS3_PiN6thrust23THRUST_200600_302600_NS10device_ptrIlEEjNS1_19radix_merge_compareILb0ELb0EiNS0_19identity_decomposerEEEEE10hipError_tT0_T1_T2_jT3_P12ihipStream_tbPNSt15iterator_traitsISG_E10value_typeEPNSM_ISH_E10value_typeEPSI_NS1_7vsmem_tEENKUlT_SG_SH_SI_E_clIS7_S7_PlSB_EESF_SV_SG_SH_SI_EUlSV_E1_NS1_11comp_targetILNS1_3genE0ELNS1_11target_archE4294967295ELNS1_3gpuE0ELNS1_3repE0EEENS1_36merge_oddeven_config_static_selectorELNS0_4arch9wavefront6targetE1EEEvSH_.kd
    .uniform_work_group_size: 1
    .uses_dynamic_stack: false
    .vgpr_count:     0
    .vgpr_spill_count: 0
    .wavefront_size: 64
  - .args:
      - .offset:         0
        .size:           48
        .value_kind:     by_value
    .group_segment_fixed_size: 0
    .kernarg_segment_align: 8
    .kernarg_segment_size: 48
    .language:       OpenCL C
    .language_version:
      - 2
      - 0
    .max_flat_workgroup_size: 256
    .name:           _ZN7rocprim17ROCPRIM_400000_NS6detail17trampoline_kernelINS0_14default_configENS1_38merge_sort_block_merge_config_selectorIilEEZZNS1_27merge_sort_block_merge_implIS3_PiN6thrust23THRUST_200600_302600_NS10device_ptrIlEEjNS1_19radix_merge_compareILb0ELb0EiNS0_19identity_decomposerEEEEE10hipError_tT0_T1_T2_jT3_P12ihipStream_tbPNSt15iterator_traitsISG_E10value_typeEPNSM_ISH_E10value_typeEPSI_NS1_7vsmem_tEENKUlT_SG_SH_SI_E_clIS7_S7_PlSB_EESF_SV_SG_SH_SI_EUlSV_E1_NS1_11comp_targetILNS1_3genE10ELNS1_11target_archE1201ELNS1_3gpuE5ELNS1_3repE0EEENS1_36merge_oddeven_config_static_selectorELNS0_4arch9wavefront6targetE1EEEvSH_
    .private_segment_fixed_size: 0
    .sgpr_count:     4
    .sgpr_spill_count: 0
    .symbol:         _ZN7rocprim17ROCPRIM_400000_NS6detail17trampoline_kernelINS0_14default_configENS1_38merge_sort_block_merge_config_selectorIilEEZZNS1_27merge_sort_block_merge_implIS3_PiN6thrust23THRUST_200600_302600_NS10device_ptrIlEEjNS1_19radix_merge_compareILb0ELb0EiNS0_19identity_decomposerEEEEE10hipError_tT0_T1_T2_jT3_P12ihipStream_tbPNSt15iterator_traitsISG_E10value_typeEPNSM_ISH_E10value_typeEPSI_NS1_7vsmem_tEENKUlT_SG_SH_SI_E_clIS7_S7_PlSB_EESF_SV_SG_SH_SI_EUlSV_E1_NS1_11comp_targetILNS1_3genE10ELNS1_11target_archE1201ELNS1_3gpuE5ELNS1_3repE0EEENS1_36merge_oddeven_config_static_selectorELNS0_4arch9wavefront6targetE1EEEvSH_.kd
    .uniform_work_group_size: 1
    .uses_dynamic_stack: false
    .vgpr_count:     0
    .vgpr_spill_count: 0
    .wavefront_size: 64
  - .args:
      - .offset:         0
        .size:           48
        .value_kind:     by_value
    .group_segment_fixed_size: 0
    .kernarg_segment_align: 8
    .kernarg_segment_size: 48
    .language:       OpenCL C
    .language_version:
      - 2
      - 0
    .max_flat_workgroup_size: 256
    .name:           _ZN7rocprim17ROCPRIM_400000_NS6detail17trampoline_kernelINS0_14default_configENS1_38merge_sort_block_merge_config_selectorIilEEZZNS1_27merge_sort_block_merge_implIS3_PiN6thrust23THRUST_200600_302600_NS10device_ptrIlEEjNS1_19radix_merge_compareILb0ELb0EiNS0_19identity_decomposerEEEEE10hipError_tT0_T1_T2_jT3_P12ihipStream_tbPNSt15iterator_traitsISG_E10value_typeEPNSM_ISH_E10value_typeEPSI_NS1_7vsmem_tEENKUlT_SG_SH_SI_E_clIS7_S7_PlSB_EESF_SV_SG_SH_SI_EUlSV_E1_NS1_11comp_targetILNS1_3genE5ELNS1_11target_archE942ELNS1_3gpuE9ELNS1_3repE0EEENS1_36merge_oddeven_config_static_selectorELNS0_4arch9wavefront6targetE1EEEvSH_
    .private_segment_fixed_size: 0
    .sgpr_count:     4
    .sgpr_spill_count: 0
    .symbol:         _ZN7rocprim17ROCPRIM_400000_NS6detail17trampoline_kernelINS0_14default_configENS1_38merge_sort_block_merge_config_selectorIilEEZZNS1_27merge_sort_block_merge_implIS3_PiN6thrust23THRUST_200600_302600_NS10device_ptrIlEEjNS1_19radix_merge_compareILb0ELb0EiNS0_19identity_decomposerEEEEE10hipError_tT0_T1_T2_jT3_P12ihipStream_tbPNSt15iterator_traitsISG_E10value_typeEPNSM_ISH_E10value_typeEPSI_NS1_7vsmem_tEENKUlT_SG_SH_SI_E_clIS7_S7_PlSB_EESF_SV_SG_SH_SI_EUlSV_E1_NS1_11comp_targetILNS1_3genE5ELNS1_11target_archE942ELNS1_3gpuE9ELNS1_3repE0EEENS1_36merge_oddeven_config_static_selectorELNS0_4arch9wavefront6targetE1EEEvSH_.kd
    .uniform_work_group_size: 1
    .uses_dynamic_stack: false
    .vgpr_count:     0
    .vgpr_spill_count: 0
    .wavefront_size: 64
  - .args:
      - .offset:         0
        .size:           48
        .value_kind:     by_value
    .group_segment_fixed_size: 0
    .kernarg_segment_align: 8
    .kernarg_segment_size: 48
    .language:       OpenCL C
    .language_version:
      - 2
      - 0
    .max_flat_workgroup_size: 256
    .name:           _ZN7rocprim17ROCPRIM_400000_NS6detail17trampoline_kernelINS0_14default_configENS1_38merge_sort_block_merge_config_selectorIilEEZZNS1_27merge_sort_block_merge_implIS3_PiN6thrust23THRUST_200600_302600_NS10device_ptrIlEEjNS1_19radix_merge_compareILb0ELb0EiNS0_19identity_decomposerEEEEE10hipError_tT0_T1_T2_jT3_P12ihipStream_tbPNSt15iterator_traitsISG_E10value_typeEPNSM_ISH_E10value_typeEPSI_NS1_7vsmem_tEENKUlT_SG_SH_SI_E_clIS7_S7_PlSB_EESF_SV_SG_SH_SI_EUlSV_E1_NS1_11comp_targetILNS1_3genE4ELNS1_11target_archE910ELNS1_3gpuE8ELNS1_3repE0EEENS1_36merge_oddeven_config_static_selectorELNS0_4arch9wavefront6targetE1EEEvSH_
    .private_segment_fixed_size: 0
    .sgpr_count:     4
    .sgpr_spill_count: 0
    .symbol:         _ZN7rocprim17ROCPRIM_400000_NS6detail17trampoline_kernelINS0_14default_configENS1_38merge_sort_block_merge_config_selectorIilEEZZNS1_27merge_sort_block_merge_implIS3_PiN6thrust23THRUST_200600_302600_NS10device_ptrIlEEjNS1_19radix_merge_compareILb0ELb0EiNS0_19identity_decomposerEEEEE10hipError_tT0_T1_T2_jT3_P12ihipStream_tbPNSt15iterator_traitsISG_E10value_typeEPNSM_ISH_E10value_typeEPSI_NS1_7vsmem_tEENKUlT_SG_SH_SI_E_clIS7_S7_PlSB_EESF_SV_SG_SH_SI_EUlSV_E1_NS1_11comp_targetILNS1_3genE4ELNS1_11target_archE910ELNS1_3gpuE8ELNS1_3repE0EEENS1_36merge_oddeven_config_static_selectorELNS0_4arch9wavefront6targetE1EEEvSH_.kd
    .uniform_work_group_size: 1
    .uses_dynamic_stack: false
    .vgpr_count:     0
    .vgpr_spill_count: 0
    .wavefront_size: 64
  - .args:
      - .offset:         0
        .size:           48
        .value_kind:     by_value
    .group_segment_fixed_size: 0
    .kernarg_segment_align: 8
    .kernarg_segment_size: 48
    .language:       OpenCL C
    .language_version:
      - 2
      - 0
    .max_flat_workgroup_size: 256
    .name:           _ZN7rocprim17ROCPRIM_400000_NS6detail17trampoline_kernelINS0_14default_configENS1_38merge_sort_block_merge_config_selectorIilEEZZNS1_27merge_sort_block_merge_implIS3_PiN6thrust23THRUST_200600_302600_NS10device_ptrIlEEjNS1_19radix_merge_compareILb0ELb0EiNS0_19identity_decomposerEEEEE10hipError_tT0_T1_T2_jT3_P12ihipStream_tbPNSt15iterator_traitsISG_E10value_typeEPNSM_ISH_E10value_typeEPSI_NS1_7vsmem_tEENKUlT_SG_SH_SI_E_clIS7_S7_PlSB_EESF_SV_SG_SH_SI_EUlSV_E1_NS1_11comp_targetILNS1_3genE3ELNS1_11target_archE908ELNS1_3gpuE7ELNS1_3repE0EEENS1_36merge_oddeven_config_static_selectorELNS0_4arch9wavefront6targetE1EEEvSH_
    .private_segment_fixed_size: 0
    .sgpr_count:     4
    .sgpr_spill_count: 0
    .symbol:         _ZN7rocprim17ROCPRIM_400000_NS6detail17trampoline_kernelINS0_14default_configENS1_38merge_sort_block_merge_config_selectorIilEEZZNS1_27merge_sort_block_merge_implIS3_PiN6thrust23THRUST_200600_302600_NS10device_ptrIlEEjNS1_19radix_merge_compareILb0ELb0EiNS0_19identity_decomposerEEEEE10hipError_tT0_T1_T2_jT3_P12ihipStream_tbPNSt15iterator_traitsISG_E10value_typeEPNSM_ISH_E10value_typeEPSI_NS1_7vsmem_tEENKUlT_SG_SH_SI_E_clIS7_S7_PlSB_EESF_SV_SG_SH_SI_EUlSV_E1_NS1_11comp_targetILNS1_3genE3ELNS1_11target_archE908ELNS1_3gpuE7ELNS1_3repE0EEENS1_36merge_oddeven_config_static_selectorELNS0_4arch9wavefront6targetE1EEEvSH_.kd
    .uniform_work_group_size: 1
    .uses_dynamic_stack: false
    .vgpr_count:     0
    .vgpr_spill_count: 0
    .wavefront_size: 64
  - .args:
      - .offset:         0
        .size:           48
        .value_kind:     by_value
    .group_segment_fixed_size: 0
    .kernarg_segment_align: 8
    .kernarg_segment_size: 48
    .language:       OpenCL C
    .language_version:
      - 2
      - 0
    .max_flat_workgroup_size: 256
    .name:           _ZN7rocprim17ROCPRIM_400000_NS6detail17trampoline_kernelINS0_14default_configENS1_38merge_sort_block_merge_config_selectorIilEEZZNS1_27merge_sort_block_merge_implIS3_PiN6thrust23THRUST_200600_302600_NS10device_ptrIlEEjNS1_19radix_merge_compareILb0ELb0EiNS0_19identity_decomposerEEEEE10hipError_tT0_T1_T2_jT3_P12ihipStream_tbPNSt15iterator_traitsISG_E10value_typeEPNSM_ISH_E10value_typeEPSI_NS1_7vsmem_tEENKUlT_SG_SH_SI_E_clIS7_S7_PlSB_EESF_SV_SG_SH_SI_EUlSV_E1_NS1_11comp_targetILNS1_3genE2ELNS1_11target_archE906ELNS1_3gpuE6ELNS1_3repE0EEENS1_36merge_oddeven_config_static_selectorELNS0_4arch9wavefront6targetE1EEEvSH_
    .private_segment_fixed_size: 0
    .sgpr_count:     26
    .sgpr_spill_count: 0
    .symbol:         _ZN7rocprim17ROCPRIM_400000_NS6detail17trampoline_kernelINS0_14default_configENS1_38merge_sort_block_merge_config_selectorIilEEZZNS1_27merge_sort_block_merge_implIS3_PiN6thrust23THRUST_200600_302600_NS10device_ptrIlEEjNS1_19radix_merge_compareILb0ELb0EiNS0_19identity_decomposerEEEEE10hipError_tT0_T1_T2_jT3_P12ihipStream_tbPNSt15iterator_traitsISG_E10value_typeEPNSM_ISH_E10value_typeEPSI_NS1_7vsmem_tEENKUlT_SG_SH_SI_E_clIS7_S7_PlSB_EESF_SV_SG_SH_SI_EUlSV_E1_NS1_11comp_targetILNS1_3genE2ELNS1_11target_archE906ELNS1_3gpuE6ELNS1_3repE0EEENS1_36merge_oddeven_config_static_selectorELNS0_4arch9wavefront6targetE1EEEvSH_.kd
    .uniform_work_group_size: 1
    .uses_dynamic_stack: false
    .vgpr_count:     12
    .vgpr_spill_count: 0
    .wavefront_size: 64
  - .args:
      - .offset:         0
        .size:           48
        .value_kind:     by_value
    .group_segment_fixed_size: 0
    .kernarg_segment_align: 8
    .kernarg_segment_size: 48
    .language:       OpenCL C
    .language_version:
      - 2
      - 0
    .max_flat_workgroup_size: 256
    .name:           _ZN7rocprim17ROCPRIM_400000_NS6detail17trampoline_kernelINS0_14default_configENS1_38merge_sort_block_merge_config_selectorIilEEZZNS1_27merge_sort_block_merge_implIS3_PiN6thrust23THRUST_200600_302600_NS10device_ptrIlEEjNS1_19radix_merge_compareILb0ELb0EiNS0_19identity_decomposerEEEEE10hipError_tT0_T1_T2_jT3_P12ihipStream_tbPNSt15iterator_traitsISG_E10value_typeEPNSM_ISH_E10value_typeEPSI_NS1_7vsmem_tEENKUlT_SG_SH_SI_E_clIS7_S7_PlSB_EESF_SV_SG_SH_SI_EUlSV_E1_NS1_11comp_targetILNS1_3genE9ELNS1_11target_archE1100ELNS1_3gpuE3ELNS1_3repE0EEENS1_36merge_oddeven_config_static_selectorELNS0_4arch9wavefront6targetE1EEEvSH_
    .private_segment_fixed_size: 0
    .sgpr_count:     4
    .sgpr_spill_count: 0
    .symbol:         _ZN7rocprim17ROCPRIM_400000_NS6detail17trampoline_kernelINS0_14default_configENS1_38merge_sort_block_merge_config_selectorIilEEZZNS1_27merge_sort_block_merge_implIS3_PiN6thrust23THRUST_200600_302600_NS10device_ptrIlEEjNS1_19radix_merge_compareILb0ELb0EiNS0_19identity_decomposerEEEEE10hipError_tT0_T1_T2_jT3_P12ihipStream_tbPNSt15iterator_traitsISG_E10value_typeEPNSM_ISH_E10value_typeEPSI_NS1_7vsmem_tEENKUlT_SG_SH_SI_E_clIS7_S7_PlSB_EESF_SV_SG_SH_SI_EUlSV_E1_NS1_11comp_targetILNS1_3genE9ELNS1_11target_archE1100ELNS1_3gpuE3ELNS1_3repE0EEENS1_36merge_oddeven_config_static_selectorELNS0_4arch9wavefront6targetE1EEEvSH_.kd
    .uniform_work_group_size: 1
    .uses_dynamic_stack: false
    .vgpr_count:     0
    .vgpr_spill_count: 0
    .wavefront_size: 64
  - .args:
      - .offset:         0
        .size:           48
        .value_kind:     by_value
    .group_segment_fixed_size: 0
    .kernarg_segment_align: 8
    .kernarg_segment_size: 48
    .language:       OpenCL C
    .language_version:
      - 2
      - 0
    .max_flat_workgroup_size: 256
    .name:           _ZN7rocprim17ROCPRIM_400000_NS6detail17trampoline_kernelINS0_14default_configENS1_38merge_sort_block_merge_config_selectorIilEEZZNS1_27merge_sort_block_merge_implIS3_PiN6thrust23THRUST_200600_302600_NS10device_ptrIlEEjNS1_19radix_merge_compareILb0ELb0EiNS0_19identity_decomposerEEEEE10hipError_tT0_T1_T2_jT3_P12ihipStream_tbPNSt15iterator_traitsISG_E10value_typeEPNSM_ISH_E10value_typeEPSI_NS1_7vsmem_tEENKUlT_SG_SH_SI_E_clIS7_S7_PlSB_EESF_SV_SG_SH_SI_EUlSV_E1_NS1_11comp_targetILNS1_3genE8ELNS1_11target_archE1030ELNS1_3gpuE2ELNS1_3repE0EEENS1_36merge_oddeven_config_static_selectorELNS0_4arch9wavefront6targetE1EEEvSH_
    .private_segment_fixed_size: 0
    .sgpr_count:     4
    .sgpr_spill_count: 0
    .symbol:         _ZN7rocprim17ROCPRIM_400000_NS6detail17trampoline_kernelINS0_14default_configENS1_38merge_sort_block_merge_config_selectorIilEEZZNS1_27merge_sort_block_merge_implIS3_PiN6thrust23THRUST_200600_302600_NS10device_ptrIlEEjNS1_19radix_merge_compareILb0ELb0EiNS0_19identity_decomposerEEEEE10hipError_tT0_T1_T2_jT3_P12ihipStream_tbPNSt15iterator_traitsISG_E10value_typeEPNSM_ISH_E10value_typeEPSI_NS1_7vsmem_tEENKUlT_SG_SH_SI_E_clIS7_S7_PlSB_EESF_SV_SG_SH_SI_EUlSV_E1_NS1_11comp_targetILNS1_3genE8ELNS1_11target_archE1030ELNS1_3gpuE2ELNS1_3repE0EEENS1_36merge_oddeven_config_static_selectorELNS0_4arch9wavefront6targetE1EEEvSH_.kd
    .uniform_work_group_size: 1
    .uses_dynamic_stack: false
    .vgpr_count:     0
    .vgpr_spill_count: 0
    .wavefront_size: 64
  - .args:
      - .offset:         0
        .size:           40
        .value_kind:     by_value
    .group_segment_fixed_size: 0
    .kernarg_segment_align: 8
    .kernarg_segment_size: 40
    .language:       OpenCL C
    .language_version:
      - 2
      - 0
    .max_flat_workgroup_size: 128
    .name:           _ZN7rocprim17ROCPRIM_400000_NS6detail17trampoline_kernelINS0_14default_configENS1_38merge_sort_block_merge_config_selectorIilEEZZNS1_27merge_sort_block_merge_implIS3_PiN6thrust23THRUST_200600_302600_NS10device_ptrIlEEjNS1_19radix_merge_compareILb0ELb0EiNS0_19identity_decomposerEEEEE10hipError_tT0_T1_T2_jT3_P12ihipStream_tbPNSt15iterator_traitsISG_E10value_typeEPNSM_ISH_E10value_typeEPSI_NS1_7vsmem_tEENKUlT_SG_SH_SI_E_clIS7_S7_SB_PlEESF_SV_SG_SH_SI_EUlSV_E_NS1_11comp_targetILNS1_3genE0ELNS1_11target_archE4294967295ELNS1_3gpuE0ELNS1_3repE0EEENS1_48merge_mergepath_partition_config_static_selectorELNS0_4arch9wavefront6targetE1EEEvSH_
    .private_segment_fixed_size: 0
    .sgpr_count:     4
    .sgpr_spill_count: 0
    .symbol:         _ZN7rocprim17ROCPRIM_400000_NS6detail17trampoline_kernelINS0_14default_configENS1_38merge_sort_block_merge_config_selectorIilEEZZNS1_27merge_sort_block_merge_implIS3_PiN6thrust23THRUST_200600_302600_NS10device_ptrIlEEjNS1_19radix_merge_compareILb0ELb0EiNS0_19identity_decomposerEEEEE10hipError_tT0_T1_T2_jT3_P12ihipStream_tbPNSt15iterator_traitsISG_E10value_typeEPNSM_ISH_E10value_typeEPSI_NS1_7vsmem_tEENKUlT_SG_SH_SI_E_clIS7_S7_SB_PlEESF_SV_SG_SH_SI_EUlSV_E_NS1_11comp_targetILNS1_3genE0ELNS1_11target_archE4294967295ELNS1_3gpuE0ELNS1_3repE0EEENS1_48merge_mergepath_partition_config_static_selectorELNS0_4arch9wavefront6targetE1EEEvSH_.kd
    .uniform_work_group_size: 1
    .uses_dynamic_stack: false
    .vgpr_count:     0
    .vgpr_spill_count: 0
    .wavefront_size: 64
  - .args:
      - .offset:         0
        .size:           40
        .value_kind:     by_value
    .group_segment_fixed_size: 0
    .kernarg_segment_align: 8
    .kernarg_segment_size: 40
    .language:       OpenCL C
    .language_version:
      - 2
      - 0
    .max_flat_workgroup_size: 128
    .name:           _ZN7rocprim17ROCPRIM_400000_NS6detail17trampoline_kernelINS0_14default_configENS1_38merge_sort_block_merge_config_selectorIilEEZZNS1_27merge_sort_block_merge_implIS3_PiN6thrust23THRUST_200600_302600_NS10device_ptrIlEEjNS1_19radix_merge_compareILb0ELb0EiNS0_19identity_decomposerEEEEE10hipError_tT0_T1_T2_jT3_P12ihipStream_tbPNSt15iterator_traitsISG_E10value_typeEPNSM_ISH_E10value_typeEPSI_NS1_7vsmem_tEENKUlT_SG_SH_SI_E_clIS7_S7_SB_PlEESF_SV_SG_SH_SI_EUlSV_E_NS1_11comp_targetILNS1_3genE10ELNS1_11target_archE1201ELNS1_3gpuE5ELNS1_3repE0EEENS1_48merge_mergepath_partition_config_static_selectorELNS0_4arch9wavefront6targetE1EEEvSH_
    .private_segment_fixed_size: 0
    .sgpr_count:     4
    .sgpr_spill_count: 0
    .symbol:         _ZN7rocprim17ROCPRIM_400000_NS6detail17trampoline_kernelINS0_14default_configENS1_38merge_sort_block_merge_config_selectorIilEEZZNS1_27merge_sort_block_merge_implIS3_PiN6thrust23THRUST_200600_302600_NS10device_ptrIlEEjNS1_19radix_merge_compareILb0ELb0EiNS0_19identity_decomposerEEEEE10hipError_tT0_T1_T2_jT3_P12ihipStream_tbPNSt15iterator_traitsISG_E10value_typeEPNSM_ISH_E10value_typeEPSI_NS1_7vsmem_tEENKUlT_SG_SH_SI_E_clIS7_S7_SB_PlEESF_SV_SG_SH_SI_EUlSV_E_NS1_11comp_targetILNS1_3genE10ELNS1_11target_archE1201ELNS1_3gpuE5ELNS1_3repE0EEENS1_48merge_mergepath_partition_config_static_selectorELNS0_4arch9wavefront6targetE1EEEvSH_.kd
    .uniform_work_group_size: 1
    .uses_dynamic_stack: false
    .vgpr_count:     0
    .vgpr_spill_count: 0
    .wavefront_size: 64
  - .args:
      - .offset:         0
        .size:           40
        .value_kind:     by_value
    .group_segment_fixed_size: 0
    .kernarg_segment_align: 8
    .kernarg_segment_size: 40
    .language:       OpenCL C
    .language_version:
      - 2
      - 0
    .max_flat_workgroup_size: 128
    .name:           _ZN7rocprim17ROCPRIM_400000_NS6detail17trampoline_kernelINS0_14default_configENS1_38merge_sort_block_merge_config_selectorIilEEZZNS1_27merge_sort_block_merge_implIS3_PiN6thrust23THRUST_200600_302600_NS10device_ptrIlEEjNS1_19radix_merge_compareILb0ELb0EiNS0_19identity_decomposerEEEEE10hipError_tT0_T1_T2_jT3_P12ihipStream_tbPNSt15iterator_traitsISG_E10value_typeEPNSM_ISH_E10value_typeEPSI_NS1_7vsmem_tEENKUlT_SG_SH_SI_E_clIS7_S7_SB_PlEESF_SV_SG_SH_SI_EUlSV_E_NS1_11comp_targetILNS1_3genE5ELNS1_11target_archE942ELNS1_3gpuE9ELNS1_3repE0EEENS1_48merge_mergepath_partition_config_static_selectorELNS0_4arch9wavefront6targetE1EEEvSH_
    .private_segment_fixed_size: 0
    .sgpr_count:     4
    .sgpr_spill_count: 0
    .symbol:         _ZN7rocprim17ROCPRIM_400000_NS6detail17trampoline_kernelINS0_14default_configENS1_38merge_sort_block_merge_config_selectorIilEEZZNS1_27merge_sort_block_merge_implIS3_PiN6thrust23THRUST_200600_302600_NS10device_ptrIlEEjNS1_19radix_merge_compareILb0ELb0EiNS0_19identity_decomposerEEEEE10hipError_tT0_T1_T2_jT3_P12ihipStream_tbPNSt15iterator_traitsISG_E10value_typeEPNSM_ISH_E10value_typeEPSI_NS1_7vsmem_tEENKUlT_SG_SH_SI_E_clIS7_S7_SB_PlEESF_SV_SG_SH_SI_EUlSV_E_NS1_11comp_targetILNS1_3genE5ELNS1_11target_archE942ELNS1_3gpuE9ELNS1_3repE0EEENS1_48merge_mergepath_partition_config_static_selectorELNS0_4arch9wavefront6targetE1EEEvSH_.kd
    .uniform_work_group_size: 1
    .uses_dynamic_stack: false
    .vgpr_count:     0
    .vgpr_spill_count: 0
    .wavefront_size: 64
  - .args:
      - .offset:         0
        .size:           40
        .value_kind:     by_value
    .group_segment_fixed_size: 0
    .kernarg_segment_align: 8
    .kernarg_segment_size: 40
    .language:       OpenCL C
    .language_version:
      - 2
      - 0
    .max_flat_workgroup_size: 128
    .name:           _ZN7rocprim17ROCPRIM_400000_NS6detail17trampoline_kernelINS0_14default_configENS1_38merge_sort_block_merge_config_selectorIilEEZZNS1_27merge_sort_block_merge_implIS3_PiN6thrust23THRUST_200600_302600_NS10device_ptrIlEEjNS1_19radix_merge_compareILb0ELb0EiNS0_19identity_decomposerEEEEE10hipError_tT0_T1_T2_jT3_P12ihipStream_tbPNSt15iterator_traitsISG_E10value_typeEPNSM_ISH_E10value_typeEPSI_NS1_7vsmem_tEENKUlT_SG_SH_SI_E_clIS7_S7_SB_PlEESF_SV_SG_SH_SI_EUlSV_E_NS1_11comp_targetILNS1_3genE4ELNS1_11target_archE910ELNS1_3gpuE8ELNS1_3repE0EEENS1_48merge_mergepath_partition_config_static_selectorELNS0_4arch9wavefront6targetE1EEEvSH_
    .private_segment_fixed_size: 0
    .sgpr_count:     4
    .sgpr_spill_count: 0
    .symbol:         _ZN7rocprim17ROCPRIM_400000_NS6detail17trampoline_kernelINS0_14default_configENS1_38merge_sort_block_merge_config_selectorIilEEZZNS1_27merge_sort_block_merge_implIS3_PiN6thrust23THRUST_200600_302600_NS10device_ptrIlEEjNS1_19radix_merge_compareILb0ELb0EiNS0_19identity_decomposerEEEEE10hipError_tT0_T1_T2_jT3_P12ihipStream_tbPNSt15iterator_traitsISG_E10value_typeEPNSM_ISH_E10value_typeEPSI_NS1_7vsmem_tEENKUlT_SG_SH_SI_E_clIS7_S7_SB_PlEESF_SV_SG_SH_SI_EUlSV_E_NS1_11comp_targetILNS1_3genE4ELNS1_11target_archE910ELNS1_3gpuE8ELNS1_3repE0EEENS1_48merge_mergepath_partition_config_static_selectorELNS0_4arch9wavefront6targetE1EEEvSH_.kd
    .uniform_work_group_size: 1
    .uses_dynamic_stack: false
    .vgpr_count:     0
    .vgpr_spill_count: 0
    .wavefront_size: 64
  - .args:
      - .offset:         0
        .size:           40
        .value_kind:     by_value
    .group_segment_fixed_size: 0
    .kernarg_segment_align: 8
    .kernarg_segment_size: 40
    .language:       OpenCL C
    .language_version:
      - 2
      - 0
    .max_flat_workgroup_size: 128
    .name:           _ZN7rocprim17ROCPRIM_400000_NS6detail17trampoline_kernelINS0_14default_configENS1_38merge_sort_block_merge_config_selectorIilEEZZNS1_27merge_sort_block_merge_implIS3_PiN6thrust23THRUST_200600_302600_NS10device_ptrIlEEjNS1_19radix_merge_compareILb0ELb0EiNS0_19identity_decomposerEEEEE10hipError_tT0_T1_T2_jT3_P12ihipStream_tbPNSt15iterator_traitsISG_E10value_typeEPNSM_ISH_E10value_typeEPSI_NS1_7vsmem_tEENKUlT_SG_SH_SI_E_clIS7_S7_SB_PlEESF_SV_SG_SH_SI_EUlSV_E_NS1_11comp_targetILNS1_3genE3ELNS1_11target_archE908ELNS1_3gpuE7ELNS1_3repE0EEENS1_48merge_mergepath_partition_config_static_selectorELNS0_4arch9wavefront6targetE1EEEvSH_
    .private_segment_fixed_size: 0
    .sgpr_count:     4
    .sgpr_spill_count: 0
    .symbol:         _ZN7rocprim17ROCPRIM_400000_NS6detail17trampoline_kernelINS0_14default_configENS1_38merge_sort_block_merge_config_selectorIilEEZZNS1_27merge_sort_block_merge_implIS3_PiN6thrust23THRUST_200600_302600_NS10device_ptrIlEEjNS1_19radix_merge_compareILb0ELb0EiNS0_19identity_decomposerEEEEE10hipError_tT0_T1_T2_jT3_P12ihipStream_tbPNSt15iterator_traitsISG_E10value_typeEPNSM_ISH_E10value_typeEPSI_NS1_7vsmem_tEENKUlT_SG_SH_SI_E_clIS7_S7_SB_PlEESF_SV_SG_SH_SI_EUlSV_E_NS1_11comp_targetILNS1_3genE3ELNS1_11target_archE908ELNS1_3gpuE7ELNS1_3repE0EEENS1_48merge_mergepath_partition_config_static_selectorELNS0_4arch9wavefront6targetE1EEEvSH_.kd
    .uniform_work_group_size: 1
    .uses_dynamic_stack: false
    .vgpr_count:     0
    .vgpr_spill_count: 0
    .wavefront_size: 64
  - .args:
      - .offset:         0
        .size:           40
        .value_kind:     by_value
    .group_segment_fixed_size: 0
    .kernarg_segment_align: 8
    .kernarg_segment_size: 40
    .language:       OpenCL C
    .language_version:
      - 2
      - 0
    .max_flat_workgroup_size: 128
    .name:           _ZN7rocprim17ROCPRIM_400000_NS6detail17trampoline_kernelINS0_14default_configENS1_38merge_sort_block_merge_config_selectorIilEEZZNS1_27merge_sort_block_merge_implIS3_PiN6thrust23THRUST_200600_302600_NS10device_ptrIlEEjNS1_19radix_merge_compareILb0ELb0EiNS0_19identity_decomposerEEEEE10hipError_tT0_T1_T2_jT3_P12ihipStream_tbPNSt15iterator_traitsISG_E10value_typeEPNSM_ISH_E10value_typeEPSI_NS1_7vsmem_tEENKUlT_SG_SH_SI_E_clIS7_S7_SB_PlEESF_SV_SG_SH_SI_EUlSV_E_NS1_11comp_targetILNS1_3genE2ELNS1_11target_archE906ELNS1_3gpuE6ELNS1_3repE0EEENS1_48merge_mergepath_partition_config_static_selectorELNS0_4arch9wavefront6targetE1EEEvSH_
    .private_segment_fixed_size: 0
    .sgpr_count:     12
    .sgpr_spill_count: 0
    .symbol:         _ZN7rocprim17ROCPRIM_400000_NS6detail17trampoline_kernelINS0_14default_configENS1_38merge_sort_block_merge_config_selectorIilEEZZNS1_27merge_sort_block_merge_implIS3_PiN6thrust23THRUST_200600_302600_NS10device_ptrIlEEjNS1_19radix_merge_compareILb0ELb0EiNS0_19identity_decomposerEEEEE10hipError_tT0_T1_T2_jT3_P12ihipStream_tbPNSt15iterator_traitsISG_E10value_typeEPNSM_ISH_E10value_typeEPSI_NS1_7vsmem_tEENKUlT_SG_SH_SI_E_clIS7_S7_SB_PlEESF_SV_SG_SH_SI_EUlSV_E_NS1_11comp_targetILNS1_3genE2ELNS1_11target_archE906ELNS1_3gpuE6ELNS1_3repE0EEENS1_48merge_mergepath_partition_config_static_selectorELNS0_4arch9wavefront6targetE1EEEvSH_.kd
    .uniform_work_group_size: 1
    .uses_dynamic_stack: false
    .vgpr_count:     17
    .vgpr_spill_count: 0
    .wavefront_size: 64
  - .args:
      - .offset:         0
        .size:           40
        .value_kind:     by_value
    .group_segment_fixed_size: 0
    .kernarg_segment_align: 8
    .kernarg_segment_size: 40
    .language:       OpenCL C
    .language_version:
      - 2
      - 0
    .max_flat_workgroup_size: 128
    .name:           _ZN7rocprim17ROCPRIM_400000_NS6detail17trampoline_kernelINS0_14default_configENS1_38merge_sort_block_merge_config_selectorIilEEZZNS1_27merge_sort_block_merge_implIS3_PiN6thrust23THRUST_200600_302600_NS10device_ptrIlEEjNS1_19radix_merge_compareILb0ELb0EiNS0_19identity_decomposerEEEEE10hipError_tT0_T1_T2_jT3_P12ihipStream_tbPNSt15iterator_traitsISG_E10value_typeEPNSM_ISH_E10value_typeEPSI_NS1_7vsmem_tEENKUlT_SG_SH_SI_E_clIS7_S7_SB_PlEESF_SV_SG_SH_SI_EUlSV_E_NS1_11comp_targetILNS1_3genE9ELNS1_11target_archE1100ELNS1_3gpuE3ELNS1_3repE0EEENS1_48merge_mergepath_partition_config_static_selectorELNS0_4arch9wavefront6targetE1EEEvSH_
    .private_segment_fixed_size: 0
    .sgpr_count:     4
    .sgpr_spill_count: 0
    .symbol:         _ZN7rocprim17ROCPRIM_400000_NS6detail17trampoline_kernelINS0_14default_configENS1_38merge_sort_block_merge_config_selectorIilEEZZNS1_27merge_sort_block_merge_implIS3_PiN6thrust23THRUST_200600_302600_NS10device_ptrIlEEjNS1_19radix_merge_compareILb0ELb0EiNS0_19identity_decomposerEEEEE10hipError_tT0_T1_T2_jT3_P12ihipStream_tbPNSt15iterator_traitsISG_E10value_typeEPNSM_ISH_E10value_typeEPSI_NS1_7vsmem_tEENKUlT_SG_SH_SI_E_clIS7_S7_SB_PlEESF_SV_SG_SH_SI_EUlSV_E_NS1_11comp_targetILNS1_3genE9ELNS1_11target_archE1100ELNS1_3gpuE3ELNS1_3repE0EEENS1_48merge_mergepath_partition_config_static_selectorELNS0_4arch9wavefront6targetE1EEEvSH_.kd
    .uniform_work_group_size: 1
    .uses_dynamic_stack: false
    .vgpr_count:     0
    .vgpr_spill_count: 0
    .wavefront_size: 64
  - .args:
      - .offset:         0
        .size:           40
        .value_kind:     by_value
    .group_segment_fixed_size: 0
    .kernarg_segment_align: 8
    .kernarg_segment_size: 40
    .language:       OpenCL C
    .language_version:
      - 2
      - 0
    .max_flat_workgroup_size: 128
    .name:           _ZN7rocprim17ROCPRIM_400000_NS6detail17trampoline_kernelINS0_14default_configENS1_38merge_sort_block_merge_config_selectorIilEEZZNS1_27merge_sort_block_merge_implIS3_PiN6thrust23THRUST_200600_302600_NS10device_ptrIlEEjNS1_19radix_merge_compareILb0ELb0EiNS0_19identity_decomposerEEEEE10hipError_tT0_T1_T2_jT3_P12ihipStream_tbPNSt15iterator_traitsISG_E10value_typeEPNSM_ISH_E10value_typeEPSI_NS1_7vsmem_tEENKUlT_SG_SH_SI_E_clIS7_S7_SB_PlEESF_SV_SG_SH_SI_EUlSV_E_NS1_11comp_targetILNS1_3genE8ELNS1_11target_archE1030ELNS1_3gpuE2ELNS1_3repE0EEENS1_48merge_mergepath_partition_config_static_selectorELNS0_4arch9wavefront6targetE1EEEvSH_
    .private_segment_fixed_size: 0
    .sgpr_count:     4
    .sgpr_spill_count: 0
    .symbol:         _ZN7rocprim17ROCPRIM_400000_NS6detail17trampoline_kernelINS0_14default_configENS1_38merge_sort_block_merge_config_selectorIilEEZZNS1_27merge_sort_block_merge_implIS3_PiN6thrust23THRUST_200600_302600_NS10device_ptrIlEEjNS1_19radix_merge_compareILb0ELb0EiNS0_19identity_decomposerEEEEE10hipError_tT0_T1_T2_jT3_P12ihipStream_tbPNSt15iterator_traitsISG_E10value_typeEPNSM_ISH_E10value_typeEPSI_NS1_7vsmem_tEENKUlT_SG_SH_SI_E_clIS7_S7_SB_PlEESF_SV_SG_SH_SI_EUlSV_E_NS1_11comp_targetILNS1_3genE8ELNS1_11target_archE1030ELNS1_3gpuE2ELNS1_3repE0EEENS1_48merge_mergepath_partition_config_static_selectorELNS0_4arch9wavefront6targetE1EEEvSH_.kd
    .uniform_work_group_size: 1
    .uses_dynamic_stack: false
    .vgpr_count:     0
    .vgpr_spill_count: 0
    .wavefront_size: 64
  - .args:
      - .offset:         0
        .size:           64
        .value_kind:     by_value
    .group_segment_fixed_size: 0
    .kernarg_segment_align: 8
    .kernarg_segment_size: 64
    .language:       OpenCL C
    .language_version:
      - 2
      - 0
    .max_flat_workgroup_size: 512
    .name:           _ZN7rocprim17ROCPRIM_400000_NS6detail17trampoline_kernelINS0_14default_configENS1_38merge_sort_block_merge_config_selectorIilEEZZNS1_27merge_sort_block_merge_implIS3_PiN6thrust23THRUST_200600_302600_NS10device_ptrIlEEjNS1_19radix_merge_compareILb0ELb0EiNS0_19identity_decomposerEEEEE10hipError_tT0_T1_T2_jT3_P12ihipStream_tbPNSt15iterator_traitsISG_E10value_typeEPNSM_ISH_E10value_typeEPSI_NS1_7vsmem_tEENKUlT_SG_SH_SI_E_clIS7_S7_SB_PlEESF_SV_SG_SH_SI_EUlSV_E0_NS1_11comp_targetILNS1_3genE0ELNS1_11target_archE4294967295ELNS1_3gpuE0ELNS1_3repE0EEENS1_38merge_mergepath_config_static_selectorELNS0_4arch9wavefront6targetE1EEEvSH_
    .private_segment_fixed_size: 0
    .sgpr_count:     4
    .sgpr_spill_count: 0
    .symbol:         _ZN7rocprim17ROCPRIM_400000_NS6detail17trampoline_kernelINS0_14default_configENS1_38merge_sort_block_merge_config_selectorIilEEZZNS1_27merge_sort_block_merge_implIS3_PiN6thrust23THRUST_200600_302600_NS10device_ptrIlEEjNS1_19radix_merge_compareILb0ELb0EiNS0_19identity_decomposerEEEEE10hipError_tT0_T1_T2_jT3_P12ihipStream_tbPNSt15iterator_traitsISG_E10value_typeEPNSM_ISH_E10value_typeEPSI_NS1_7vsmem_tEENKUlT_SG_SH_SI_E_clIS7_S7_SB_PlEESF_SV_SG_SH_SI_EUlSV_E0_NS1_11comp_targetILNS1_3genE0ELNS1_11target_archE4294967295ELNS1_3gpuE0ELNS1_3repE0EEENS1_38merge_mergepath_config_static_selectorELNS0_4arch9wavefront6targetE1EEEvSH_.kd
    .uniform_work_group_size: 1
    .uses_dynamic_stack: false
    .vgpr_count:     0
    .vgpr_spill_count: 0
    .wavefront_size: 64
  - .args:
      - .offset:         0
        .size:           64
        .value_kind:     by_value
    .group_segment_fixed_size: 0
    .kernarg_segment_align: 8
    .kernarg_segment_size: 64
    .language:       OpenCL C
    .language_version:
      - 2
      - 0
    .max_flat_workgroup_size: 512
    .name:           _ZN7rocprim17ROCPRIM_400000_NS6detail17trampoline_kernelINS0_14default_configENS1_38merge_sort_block_merge_config_selectorIilEEZZNS1_27merge_sort_block_merge_implIS3_PiN6thrust23THRUST_200600_302600_NS10device_ptrIlEEjNS1_19radix_merge_compareILb0ELb0EiNS0_19identity_decomposerEEEEE10hipError_tT0_T1_T2_jT3_P12ihipStream_tbPNSt15iterator_traitsISG_E10value_typeEPNSM_ISH_E10value_typeEPSI_NS1_7vsmem_tEENKUlT_SG_SH_SI_E_clIS7_S7_SB_PlEESF_SV_SG_SH_SI_EUlSV_E0_NS1_11comp_targetILNS1_3genE10ELNS1_11target_archE1201ELNS1_3gpuE5ELNS1_3repE0EEENS1_38merge_mergepath_config_static_selectorELNS0_4arch9wavefront6targetE1EEEvSH_
    .private_segment_fixed_size: 0
    .sgpr_count:     4
    .sgpr_spill_count: 0
    .symbol:         _ZN7rocprim17ROCPRIM_400000_NS6detail17trampoline_kernelINS0_14default_configENS1_38merge_sort_block_merge_config_selectorIilEEZZNS1_27merge_sort_block_merge_implIS3_PiN6thrust23THRUST_200600_302600_NS10device_ptrIlEEjNS1_19radix_merge_compareILb0ELb0EiNS0_19identity_decomposerEEEEE10hipError_tT0_T1_T2_jT3_P12ihipStream_tbPNSt15iterator_traitsISG_E10value_typeEPNSM_ISH_E10value_typeEPSI_NS1_7vsmem_tEENKUlT_SG_SH_SI_E_clIS7_S7_SB_PlEESF_SV_SG_SH_SI_EUlSV_E0_NS1_11comp_targetILNS1_3genE10ELNS1_11target_archE1201ELNS1_3gpuE5ELNS1_3repE0EEENS1_38merge_mergepath_config_static_selectorELNS0_4arch9wavefront6targetE1EEEvSH_.kd
    .uniform_work_group_size: 1
    .uses_dynamic_stack: false
    .vgpr_count:     0
    .vgpr_spill_count: 0
    .wavefront_size: 64
  - .args:
      - .offset:         0
        .size:           64
        .value_kind:     by_value
    .group_segment_fixed_size: 0
    .kernarg_segment_align: 8
    .kernarg_segment_size: 64
    .language:       OpenCL C
    .language_version:
      - 2
      - 0
    .max_flat_workgroup_size: 256
    .name:           _ZN7rocprim17ROCPRIM_400000_NS6detail17trampoline_kernelINS0_14default_configENS1_38merge_sort_block_merge_config_selectorIilEEZZNS1_27merge_sort_block_merge_implIS3_PiN6thrust23THRUST_200600_302600_NS10device_ptrIlEEjNS1_19radix_merge_compareILb0ELb0EiNS0_19identity_decomposerEEEEE10hipError_tT0_T1_T2_jT3_P12ihipStream_tbPNSt15iterator_traitsISG_E10value_typeEPNSM_ISH_E10value_typeEPSI_NS1_7vsmem_tEENKUlT_SG_SH_SI_E_clIS7_S7_SB_PlEESF_SV_SG_SH_SI_EUlSV_E0_NS1_11comp_targetILNS1_3genE5ELNS1_11target_archE942ELNS1_3gpuE9ELNS1_3repE0EEENS1_38merge_mergepath_config_static_selectorELNS0_4arch9wavefront6targetE1EEEvSH_
    .private_segment_fixed_size: 0
    .sgpr_count:     4
    .sgpr_spill_count: 0
    .symbol:         _ZN7rocprim17ROCPRIM_400000_NS6detail17trampoline_kernelINS0_14default_configENS1_38merge_sort_block_merge_config_selectorIilEEZZNS1_27merge_sort_block_merge_implIS3_PiN6thrust23THRUST_200600_302600_NS10device_ptrIlEEjNS1_19radix_merge_compareILb0ELb0EiNS0_19identity_decomposerEEEEE10hipError_tT0_T1_T2_jT3_P12ihipStream_tbPNSt15iterator_traitsISG_E10value_typeEPNSM_ISH_E10value_typeEPSI_NS1_7vsmem_tEENKUlT_SG_SH_SI_E_clIS7_S7_SB_PlEESF_SV_SG_SH_SI_EUlSV_E0_NS1_11comp_targetILNS1_3genE5ELNS1_11target_archE942ELNS1_3gpuE9ELNS1_3repE0EEENS1_38merge_mergepath_config_static_selectorELNS0_4arch9wavefront6targetE1EEEvSH_.kd
    .uniform_work_group_size: 1
    .uses_dynamic_stack: false
    .vgpr_count:     0
    .vgpr_spill_count: 0
    .wavefront_size: 64
  - .args:
      - .offset:         0
        .size:           64
        .value_kind:     by_value
    .group_segment_fixed_size: 0
    .kernarg_segment_align: 8
    .kernarg_segment_size: 64
    .language:       OpenCL C
    .language_version:
      - 2
      - 0
    .max_flat_workgroup_size: 256
    .name:           _ZN7rocprim17ROCPRIM_400000_NS6detail17trampoline_kernelINS0_14default_configENS1_38merge_sort_block_merge_config_selectorIilEEZZNS1_27merge_sort_block_merge_implIS3_PiN6thrust23THRUST_200600_302600_NS10device_ptrIlEEjNS1_19radix_merge_compareILb0ELb0EiNS0_19identity_decomposerEEEEE10hipError_tT0_T1_T2_jT3_P12ihipStream_tbPNSt15iterator_traitsISG_E10value_typeEPNSM_ISH_E10value_typeEPSI_NS1_7vsmem_tEENKUlT_SG_SH_SI_E_clIS7_S7_SB_PlEESF_SV_SG_SH_SI_EUlSV_E0_NS1_11comp_targetILNS1_3genE4ELNS1_11target_archE910ELNS1_3gpuE8ELNS1_3repE0EEENS1_38merge_mergepath_config_static_selectorELNS0_4arch9wavefront6targetE1EEEvSH_
    .private_segment_fixed_size: 0
    .sgpr_count:     4
    .sgpr_spill_count: 0
    .symbol:         _ZN7rocprim17ROCPRIM_400000_NS6detail17trampoline_kernelINS0_14default_configENS1_38merge_sort_block_merge_config_selectorIilEEZZNS1_27merge_sort_block_merge_implIS3_PiN6thrust23THRUST_200600_302600_NS10device_ptrIlEEjNS1_19radix_merge_compareILb0ELb0EiNS0_19identity_decomposerEEEEE10hipError_tT0_T1_T2_jT3_P12ihipStream_tbPNSt15iterator_traitsISG_E10value_typeEPNSM_ISH_E10value_typeEPSI_NS1_7vsmem_tEENKUlT_SG_SH_SI_E_clIS7_S7_SB_PlEESF_SV_SG_SH_SI_EUlSV_E0_NS1_11comp_targetILNS1_3genE4ELNS1_11target_archE910ELNS1_3gpuE8ELNS1_3repE0EEENS1_38merge_mergepath_config_static_selectorELNS0_4arch9wavefront6targetE1EEEvSH_.kd
    .uniform_work_group_size: 1
    .uses_dynamic_stack: false
    .vgpr_count:     0
    .vgpr_spill_count: 0
    .wavefront_size: 64
  - .args:
      - .offset:         0
        .size:           64
        .value_kind:     by_value
    .group_segment_fixed_size: 0
    .kernarg_segment_align: 8
    .kernarg_segment_size: 64
    .language:       OpenCL C
    .language_version:
      - 2
      - 0
    .max_flat_workgroup_size: 512
    .name:           _ZN7rocprim17ROCPRIM_400000_NS6detail17trampoline_kernelINS0_14default_configENS1_38merge_sort_block_merge_config_selectorIilEEZZNS1_27merge_sort_block_merge_implIS3_PiN6thrust23THRUST_200600_302600_NS10device_ptrIlEEjNS1_19radix_merge_compareILb0ELb0EiNS0_19identity_decomposerEEEEE10hipError_tT0_T1_T2_jT3_P12ihipStream_tbPNSt15iterator_traitsISG_E10value_typeEPNSM_ISH_E10value_typeEPSI_NS1_7vsmem_tEENKUlT_SG_SH_SI_E_clIS7_S7_SB_PlEESF_SV_SG_SH_SI_EUlSV_E0_NS1_11comp_targetILNS1_3genE3ELNS1_11target_archE908ELNS1_3gpuE7ELNS1_3repE0EEENS1_38merge_mergepath_config_static_selectorELNS0_4arch9wavefront6targetE1EEEvSH_
    .private_segment_fixed_size: 0
    .sgpr_count:     4
    .sgpr_spill_count: 0
    .symbol:         _ZN7rocprim17ROCPRIM_400000_NS6detail17trampoline_kernelINS0_14default_configENS1_38merge_sort_block_merge_config_selectorIilEEZZNS1_27merge_sort_block_merge_implIS3_PiN6thrust23THRUST_200600_302600_NS10device_ptrIlEEjNS1_19radix_merge_compareILb0ELb0EiNS0_19identity_decomposerEEEEE10hipError_tT0_T1_T2_jT3_P12ihipStream_tbPNSt15iterator_traitsISG_E10value_typeEPNSM_ISH_E10value_typeEPSI_NS1_7vsmem_tEENKUlT_SG_SH_SI_E_clIS7_S7_SB_PlEESF_SV_SG_SH_SI_EUlSV_E0_NS1_11comp_targetILNS1_3genE3ELNS1_11target_archE908ELNS1_3gpuE7ELNS1_3repE0EEENS1_38merge_mergepath_config_static_selectorELNS0_4arch9wavefront6targetE1EEEvSH_.kd
    .uniform_work_group_size: 1
    .uses_dynamic_stack: false
    .vgpr_count:     0
    .vgpr_spill_count: 0
    .wavefront_size: 64
  - .args:
      - .offset:         0
        .size:           64
        .value_kind:     by_value
      - .offset:         64
        .size:           4
        .value_kind:     hidden_block_count_x
      - .offset:         68
        .size:           4
        .value_kind:     hidden_block_count_y
      - .offset:         72
        .size:           4
        .value_kind:     hidden_block_count_z
      - .offset:         76
        .size:           2
        .value_kind:     hidden_group_size_x
      - .offset:         78
        .size:           2
        .value_kind:     hidden_group_size_y
      - .offset:         80
        .size:           2
        .value_kind:     hidden_group_size_z
      - .offset:         82
        .size:           2
        .value_kind:     hidden_remainder_x
      - .offset:         84
        .size:           2
        .value_kind:     hidden_remainder_y
      - .offset:         86
        .size:           2
        .value_kind:     hidden_remainder_z
      - .offset:         104
        .size:           8
        .value_kind:     hidden_global_offset_x
      - .offset:         112
        .size:           8
        .value_kind:     hidden_global_offset_y
      - .offset:         120
        .size:           8
        .value_kind:     hidden_global_offset_z
      - .offset:         128
        .size:           2
        .value_kind:     hidden_grid_dims
    .group_segment_fixed_size: 8448
    .kernarg_segment_align: 8
    .kernarg_segment_size: 320
    .language:       OpenCL C
    .language_version:
      - 2
      - 0
    .max_flat_workgroup_size: 256
    .name:           _ZN7rocprim17ROCPRIM_400000_NS6detail17trampoline_kernelINS0_14default_configENS1_38merge_sort_block_merge_config_selectorIilEEZZNS1_27merge_sort_block_merge_implIS3_PiN6thrust23THRUST_200600_302600_NS10device_ptrIlEEjNS1_19radix_merge_compareILb0ELb0EiNS0_19identity_decomposerEEEEE10hipError_tT0_T1_T2_jT3_P12ihipStream_tbPNSt15iterator_traitsISG_E10value_typeEPNSM_ISH_E10value_typeEPSI_NS1_7vsmem_tEENKUlT_SG_SH_SI_E_clIS7_S7_SB_PlEESF_SV_SG_SH_SI_EUlSV_E0_NS1_11comp_targetILNS1_3genE2ELNS1_11target_archE906ELNS1_3gpuE6ELNS1_3repE0EEENS1_38merge_mergepath_config_static_selectorELNS0_4arch9wavefront6targetE1EEEvSH_
    .private_segment_fixed_size: 0
    .sgpr_count:     35
    .sgpr_spill_count: 0
    .symbol:         _ZN7rocprim17ROCPRIM_400000_NS6detail17trampoline_kernelINS0_14default_configENS1_38merge_sort_block_merge_config_selectorIilEEZZNS1_27merge_sort_block_merge_implIS3_PiN6thrust23THRUST_200600_302600_NS10device_ptrIlEEjNS1_19radix_merge_compareILb0ELb0EiNS0_19identity_decomposerEEEEE10hipError_tT0_T1_T2_jT3_P12ihipStream_tbPNSt15iterator_traitsISG_E10value_typeEPNSM_ISH_E10value_typeEPSI_NS1_7vsmem_tEENKUlT_SG_SH_SI_E_clIS7_S7_SB_PlEESF_SV_SG_SH_SI_EUlSV_E0_NS1_11comp_targetILNS1_3genE2ELNS1_11target_archE906ELNS1_3gpuE6ELNS1_3repE0EEENS1_38merge_mergepath_config_static_selectorELNS0_4arch9wavefront6targetE1EEEvSH_.kd
    .uniform_work_group_size: 1
    .uses_dynamic_stack: false
    .vgpr_count:     35
    .vgpr_spill_count: 0
    .wavefront_size: 64
  - .args:
      - .offset:         0
        .size:           64
        .value_kind:     by_value
    .group_segment_fixed_size: 0
    .kernarg_segment_align: 8
    .kernarg_segment_size: 64
    .language:       OpenCL C
    .language_version:
      - 2
      - 0
    .max_flat_workgroup_size: 512
    .name:           _ZN7rocprim17ROCPRIM_400000_NS6detail17trampoline_kernelINS0_14default_configENS1_38merge_sort_block_merge_config_selectorIilEEZZNS1_27merge_sort_block_merge_implIS3_PiN6thrust23THRUST_200600_302600_NS10device_ptrIlEEjNS1_19radix_merge_compareILb0ELb0EiNS0_19identity_decomposerEEEEE10hipError_tT0_T1_T2_jT3_P12ihipStream_tbPNSt15iterator_traitsISG_E10value_typeEPNSM_ISH_E10value_typeEPSI_NS1_7vsmem_tEENKUlT_SG_SH_SI_E_clIS7_S7_SB_PlEESF_SV_SG_SH_SI_EUlSV_E0_NS1_11comp_targetILNS1_3genE9ELNS1_11target_archE1100ELNS1_3gpuE3ELNS1_3repE0EEENS1_38merge_mergepath_config_static_selectorELNS0_4arch9wavefront6targetE1EEEvSH_
    .private_segment_fixed_size: 0
    .sgpr_count:     4
    .sgpr_spill_count: 0
    .symbol:         _ZN7rocprim17ROCPRIM_400000_NS6detail17trampoline_kernelINS0_14default_configENS1_38merge_sort_block_merge_config_selectorIilEEZZNS1_27merge_sort_block_merge_implIS3_PiN6thrust23THRUST_200600_302600_NS10device_ptrIlEEjNS1_19radix_merge_compareILb0ELb0EiNS0_19identity_decomposerEEEEE10hipError_tT0_T1_T2_jT3_P12ihipStream_tbPNSt15iterator_traitsISG_E10value_typeEPNSM_ISH_E10value_typeEPSI_NS1_7vsmem_tEENKUlT_SG_SH_SI_E_clIS7_S7_SB_PlEESF_SV_SG_SH_SI_EUlSV_E0_NS1_11comp_targetILNS1_3genE9ELNS1_11target_archE1100ELNS1_3gpuE3ELNS1_3repE0EEENS1_38merge_mergepath_config_static_selectorELNS0_4arch9wavefront6targetE1EEEvSH_.kd
    .uniform_work_group_size: 1
    .uses_dynamic_stack: false
    .vgpr_count:     0
    .vgpr_spill_count: 0
    .wavefront_size: 64
  - .args:
      - .offset:         0
        .size:           64
        .value_kind:     by_value
    .group_segment_fixed_size: 0
    .kernarg_segment_align: 8
    .kernarg_segment_size: 64
    .language:       OpenCL C
    .language_version:
      - 2
      - 0
    .max_flat_workgroup_size: 1024
    .name:           _ZN7rocprim17ROCPRIM_400000_NS6detail17trampoline_kernelINS0_14default_configENS1_38merge_sort_block_merge_config_selectorIilEEZZNS1_27merge_sort_block_merge_implIS3_PiN6thrust23THRUST_200600_302600_NS10device_ptrIlEEjNS1_19radix_merge_compareILb0ELb0EiNS0_19identity_decomposerEEEEE10hipError_tT0_T1_T2_jT3_P12ihipStream_tbPNSt15iterator_traitsISG_E10value_typeEPNSM_ISH_E10value_typeEPSI_NS1_7vsmem_tEENKUlT_SG_SH_SI_E_clIS7_S7_SB_PlEESF_SV_SG_SH_SI_EUlSV_E0_NS1_11comp_targetILNS1_3genE8ELNS1_11target_archE1030ELNS1_3gpuE2ELNS1_3repE0EEENS1_38merge_mergepath_config_static_selectorELNS0_4arch9wavefront6targetE1EEEvSH_
    .private_segment_fixed_size: 0
    .sgpr_count:     4
    .sgpr_spill_count: 0
    .symbol:         _ZN7rocprim17ROCPRIM_400000_NS6detail17trampoline_kernelINS0_14default_configENS1_38merge_sort_block_merge_config_selectorIilEEZZNS1_27merge_sort_block_merge_implIS3_PiN6thrust23THRUST_200600_302600_NS10device_ptrIlEEjNS1_19radix_merge_compareILb0ELb0EiNS0_19identity_decomposerEEEEE10hipError_tT0_T1_T2_jT3_P12ihipStream_tbPNSt15iterator_traitsISG_E10value_typeEPNSM_ISH_E10value_typeEPSI_NS1_7vsmem_tEENKUlT_SG_SH_SI_E_clIS7_S7_SB_PlEESF_SV_SG_SH_SI_EUlSV_E0_NS1_11comp_targetILNS1_3genE8ELNS1_11target_archE1030ELNS1_3gpuE2ELNS1_3repE0EEENS1_38merge_mergepath_config_static_selectorELNS0_4arch9wavefront6targetE1EEEvSH_.kd
    .uniform_work_group_size: 1
    .uses_dynamic_stack: false
    .vgpr_count:     0
    .vgpr_spill_count: 0
    .wavefront_size: 64
  - .args:
      - .offset:         0
        .size:           48
        .value_kind:     by_value
    .group_segment_fixed_size: 0
    .kernarg_segment_align: 8
    .kernarg_segment_size: 48
    .language:       OpenCL C
    .language_version:
      - 2
      - 0
    .max_flat_workgroup_size: 256
    .name:           _ZN7rocprim17ROCPRIM_400000_NS6detail17trampoline_kernelINS0_14default_configENS1_38merge_sort_block_merge_config_selectorIilEEZZNS1_27merge_sort_block_merge_implIS3_PiN6thrust23THRUST_200600_302600_NS10device_ptrIlEEjNS1_19radix_merge_compareILb0ELb0EiNS0_19identity_decomposerEEEEE10hipError_tT0_T1_T2_jT3_P12ihipStream_tbPNSt15iterator_traitsISG_E10value_typeEPNSM_ISH_E10value_typeEPSI_NS1_7vsmem_tEENKUlT_SG_SH_SI_E_clIS7_S7_SB_PlEESF_SV_SG_SH_SI_EUlSV_E1_NS1_11comp_targetILNS1_3genE0ELNS1_11target_archE4294967295ELNS1_3gpuE0ELNS1_3repE0EEENS1_36merge_oddeven_config_static_selectorELNS0_4arch9wavefront6targetE1EEEvSH_
    .private_segment_fixed_size: 0
    .sgpr_count:     4
    .sgpr_spill_count: 0
    .symbol:         _ZN7rocprim17ROCPRIM_400000_NS6detail17trampoline_kernelINS0_14default_configENS1_38merge_sort_block_merge_config_selectorIilEEZZNS1_27merge_sort_block_merge_implIS3_PiN6thrust23THRUST_200600_302600_NS10device_ptrIlEEjNS1_19radix_merge_compareILb0ELb0EiNS0_19identity_decomposerEEEEE10hipError_tT0_T1_T2_jT3_P12ihipStream_tbPNSt15iterator_traitsISG_E10value_typeEPNSM_ISH_E10value_typeEPSI_NS1_7vsmem_tEENKUlT_SG_SH_SI_E_clIS7_S7_SB_PlEESF_SV_SG_SH_SI_EUlSV_E1_NS1_11comp_targetILNS1_3genE0ELNS1_11target_archE4294967295ELNS1_3gpuE0ELNS1_3repE0EEENS1_36merge_oddeven_config_static_selectorELNS0_4arch9wavefront6targetE1EEEvSH_.kd
    .uniform_work_group_size: 1
    .uses_dynamic_stack: false
    .vgpr_count:     0
    .vgpr_spill_count: 0
    .wavefront_size: 64
  - .args:
      - .offset:         0
        .size:           48
        .value_kind:     by_value
    .group_segment_fixed_size: 0
    .kernarg_segment_align: 8
    .kernarg_segment_size: 48
    .language:       OpenCL C
    .language_version:
      - 2
      - 0
    .max_flat_workgroup_size: 256
    .name:           _ZN7rocprim17ROCPRIM_400000_NS6detail17trampoline_kernelINS0_14default_configENS1_38merge_sort_block_merge_config_selectorIilEEZZNS1_27merge_sort_block_merge_implIS3_PiN6thrust23THRUST_200600_302600_NS10device_ptrIlEEjNS1_19radix_merge_compareILb0ELb0EiNS0_19identity_decomposerEEEEE10hipError_tT0_T1_T2_jT3_P12ihipStream_tbPNSt15iterator_traitsISG_E10value_typeEPNSM_ISH_E10value_typeEPSI_NS1_7vsmem_tEENKUlT_SG_SH_SI_E_clIS7_S7_SB_PlEESF_SV_SG_SH_SI_EUlSV_E1_NS1_11comp_targetILNS1_3genE10ELNS1_11target_archE1201ELNS1_3gpuE5ELNS1_3repE0EEENS1_36merge_oddeven_config_static_selectorELNS0_4arch9wavefront6targetE1EEEvSH_
    .private_segment_fixed_size: 0
    .sgpr_count:     4
    .sgpr_spill_count: 0
    .symbol:         _ZN7rocprim17ROCPRIM_400000_NS6detail17trampoline_kernelINS0_14default_configENS1_38merge_sort_block_merge_config_selectorIilEEZZNS1_27merge_sort_block_merge_implIS3_PiN6thrust23THRUST_200600_302600_NS10device_ptrIlEEjNS1_19radix_merge_compareILb0ELb0EiNS0_19identity_decomposerEEEEE10hipError_tT0_T1_T2_jT3_P12ihipStream_tbPNSt15iterator_traitsISG_E10value_typeEPNSM_ISH_E10value_typeEPSI_NS1_7vsmem_tEENKUlT_SG_SH_SI_E_clIS7_S7_SB_PlEESF_SV_SG_SH_SI_EUlSV_E1_NS1_11comp_targetILNS1_3genE10ELNS1_11target_archE1201ELNS1_3gpuE5ELNS1_3repE0EEENS1_36merge_oddeven_config_static_selectorELNS0_4arch9wavefront6targetE1EEEvSH_.kd
    .uniform_work_group_size: 1
    .uses_dynamic_stack: false
    .vgpr_count:     0
    .vgpr_spill_count: 0
    .wavefront_size: 64
  - .args:
      - .offset:         0
        .size:           48
        .value_kind:     by_value
    .group_segment_fixed_size: 0
    .kernarg_segment_align: 8
    .kernarg_segment_size: 48
    .language:       OpenCL C
    .language_version:
      - 2
      - 0
    .max_flat_workgroup_size: 256
    .name:           _ZN7rocprim17ROCPRIM_400000_NS6detail17trampoline_kernelINS0_14default_configENS1_38merge_sort_block_merge_config_selectorIilEEZZNS1_27merge_sort_block_merge_implIS3_PiN6thrust23THRUST_200600_302600_NS10device_ptrIlEEjNS1_19radix_merge_compareILb0ELb0EiNS0_19identity_decomposerEEEEE10hipError_tT0_T1_T2_jT3_P12ihipStream_tbPNSt15iterator_traitsISG_E10value_typeEPNSM_ISH_E10value_typeEPSI_NS1_7vsmem_tEENKUlT_SG_SH_SI_E_clIS7_S7_SB_PlEESF_SV_SG_SH_SI_EUlSV_E1_NS1_11comp_targetILNS1_3genE5ELNS1_11target_archE942ELNS1_3gpuE9ELNS1_3repE0EEENS1_36merge_oddeven_config_static_selectorELNS0_4arch9wavefront6targetE1EEEvSH_
    .private_segment_fixed_size: 0
    .sgpr_count:     4
    .sgpr_spill_count: 0
    .symbol:         _ZN7rocprim17ROCPRIM_400000_NS6detail17trampoline_kernelINS0_14default_configENS1_38merge_sort_block_merge_config_selectorIilEEZZNS1_27merge_sort_block_merge_implIS3_PiN6thrust23THRUST_200600_302600_NS10device_ptrIlEEjNS1_19radix_merge_compareILb0ELb0EiNS0_19identity_decomposerEEEEE10hipError_tT0_T1_T2_jT3_P12ihipStream_tbPNSt15iterator_traitsISG_E10value_typeEPNSM_ISH_E10value_typeEPSI_NS1_7vsmem_tEENKUlT_SG_SH_SI_E_clIS7_S7_SB_PlEESF_SV_SG_SH_SI_EUlSV_E1_NS1_11comp_targetILNS1_3genE5ELNS1_11target_archE942ELNS1_3gpuE9ELNS1_3repE0EEENS1_36merge_oddeven_config_static_selectorELNS0_4arch9wavefront6targetE1EEEvSH_.kd
    .uniform_work_group_size: 1
    .uses_dynamic_stack: false
    .vgpr_count:     0
    .vgpr_spill_count: 0
    .wavefront_size: 64
  - .args:
      - .offset:         0
        .size:           48
        .value_kind:     by_value
    .group_segment_fixed_size: 0
    .kernarg_segment_align: 8
    .kernarg_segment_size: 48
    .language:       OpenCL C
    .language_version:
      - 2
      - 0
    .max_flat_workgroup_size: 256
    .name:           _ZN7rocprim17ROCPRIM_400000_NS6detail17trampoline_kernelINS0_14default_configENS1_38merge_sort_block_merge_config_selectorIilEEZZNS1_27merge_sort_block_merge_implIS3_PiN6thrust23THRUST_200600_302600_NS10device_ptrIlEEjNS1_19radix_merge_compareILb0ELb0EiNS0_19identity_decomposerEEEEE10hipError_tT0_T1_T2_jT3_P12ihipStream_tbPNSt15iterator_traitsISG_E10value_typeEPNSM_ISH_E10value_typeEPSI_NS1_7vsmem_tEENKUlT_SG_SH_SI_E_clIS7_S7_SB_PlEESF_SV_SG_SH_SI_EUlSV_E1_NS1_11comp_targetILNS1_3genE4ELNS1_11target_archE910ELNS1_3gpuE8ELNS1_3repE0EEENS1_36merge_oddeven_config_static_selectorELNS0_4arch9wavefront6targetE1EEEvSH_
    .private_segment_fixed_size: 0
    .sgpr_count:     4
    .sgpr_spill_count: 0
    .symbol:         _ZN7rocprim17ROCPRIM_400000_NS6detail17trampoline_kernelINS0_14default_configENS1_38merge_sort_block_merge_config_selectorIilEEZZNS1_27merge_sort_block_merge_implIS3_PiN6thrust23THRUST_200600_302600_NS10device_ptrIlEEjNS1_19radix_merge_compareILb0ELb0EiNS0_19identity_decomposerEEEEE10hipError_tT0_T1_T2_jT3_P12ihipStream_tbPNSt15iterator_traitsISG_E10value_typeEPNSM_ISH_E10value_typeEPSI_NS1_7vsmem_tEENKUlT_SG_SH_SI_E_clIS7_S7_SB_PlEESF_SV_SG_SH_SI_EUlSV_E1_NS1_11comp_targetILNS1_3genE4ELNS1_11target_archE910ELNS1_3gpuE8ELNS1_3repE0EEENS1_36merge_oddeven_config_static_selectorELNS0_4arch9wavefront6targetE1EEEvSH_.kd
    .uniform_work_group_size: 1
    .uses_dynamic_stack: false
    .vgpr_count:     0
    .vgpr_spill_count: 0
    .wavefront_size: 64
  - .args:
      - .offset:         0
        .size:           48
        .value_kind:     by_value
    .group_segment_fixed_size: 0
    .kernarg_segment_align: 8
    .kernarg_segment_size: 48
    .language:       OpenCL C
    .language_version:
      - 2
      - 0
    .max_flat_workgroup_size: 256
    .name:           _ZN7rocprim17ROCPRIM_400000_NS6detail17trampoline_kernelINS0_14default_configENS1_38merge_sort_block_merge_config_selectorIilEEZZNS1_27merge_sort_block_merge_implIS3_PiN6thrust23THRUST_200600_302600_NS10device_ptrIlEEjNS1_19radix_merge_compareILb0ELb0EiNS0_19identity_decomposerEEEEE10hipError_tT0_T1_T2_jT3_P12ihipStream_tbPNSt15iterator_traitsISG_E10value_typeEPNSM_ISH_E10value_typeEPSI_NS1_7vsmem_tEENKUlT_SG_SH_SI_E_clIS7_S7_SB_PlEESF_SV_SG_SH_SI_EUlSV_E1_NS1_11comp_targetILNS1_3genE3ELNS1_11target_archE908ELNS1_3gpuE7ELNS1_3repE0EEENS1_36merge_oddeven_config_static_selectorELNS0_4arch9wavefront6targetE1EEEvSH_
    .private_segment_fixed_size: 0
    .sgpr_count:     4
    .sgpr_spill_count: 0
    .symbol:         _ZN7rocprim17ROCPRIM_400000_NS6detail17trampoline_kernelINS0_14default_configENS1_38merge_sort_block_merge_config_selectorIilEEZZNS1_27merge_sort_block_merge_implIS3_PiN6thrust23THRUST_200600_302600_NS10device_ptrIlEEjNS1_19radix_merge_compareILb0ELb0EiNS0_19identity_decomposerEEEEE10hipError_tT0_T1_T2_jT3_P12ihipStream_tbPNSt15iterator_traitsISG_E10value_typeEPNSM_ISH_E10value_typeEPSI_NS1_7vsmem_tEENKUlT_SG_SH_SI_E_clIS7_S7_SB_PlEESF_SV_SG_SH_SI_EUlSV_E1_NS1_11comp_targetILNS1_3genE3ELNS1_11target_archE908ELNS1_3gpuE7ELNS1_3repE0EEENS1_36merge_oddeven_config_static_selectorELNS0_4arch9wavefront6targetE1EEEvSH_.kd
    .uniform_work_group_size: 1
    .uses_dynamic_stack: false
    .vgpr_count:     0
    .vgpr_spill_count: 0
    .wavefront_size: 64
  - .args:
      - .offset:         0
        .size:           48
        .value_kind:     by_value
    .group_segment_fixed_size: 0
    .kernarg_segment_align: 8
    .kernarg_segment_size: 48
    .language:       OpenCL C
    .language_version:
      - 2
      - 0
    .max_flat_workgroup_size: 256
    .name:           _ZN7rocprim17ROCPRIM_400000_NS6detail17trampoline_kernelINS0_14default_configENS1_38merge_sort_block_merge_config_selectorIilEEZZNS1_27merge_sort_block_merge_implIS3_PiN6thrust23THRUST_200600_302600_NS10device_ptrIlEEjNS1_19radix_merge_compareILb0ELb0EiNS0_19identity_decomposerEEEEE10hipError_tT0_T1_T2_jT3_P12ihipStream_tbPNSt15iterator_traitsISG_E10value_typeEPNSM_ISH_E10value_typeEPSI_NS1_7vsmem_tEENKUlT_SG_SH_SI_E_clIS7_S7_SB_PlEESF_SV_SG_SH_SI_EUlSV_E1_NS1_11comp_targetILNS1_3genE2ELNS1_11target_archE906ELNS1_3gpuE6ELNS1_3repE0EEENS1_36merge_oddeven_config_static_selectorELNS0_4arch9wavefront6targetE1EEEvSH_
    .private_segment_fixed_size: 0
    .sgpr_count:     26
    .sgpr_spill_count: 0
    .symbol:         _ZN7rocprim17ROCPRIM_400000_NS6detail17trampoline_kernelINS0_14default_configENS1_38merge_sort_block_merge_config_selectorIilEEZZNS1_27merge_sort_block_merge_implIS3_PiN6thrust23THRUST_200600_302600_NS10device_ptrIlEEjNS1_19radix_merge_compareILb0ELb0EiNS0_19identity_decomposerEEEEE10hipError_tT0_T1_T2_jT3_P12ihipStream_tbPNSt15iterator_traitsISG_E10value_typeEPNSM_ISH_E10value_typeEPSI_NS1_7vsmem_tEENKUlT_SG_SH_SI_E_clIS7_S7_SB_PlEESF_SV_SG_SH_SI_EUlSV_E1_NS1_11comp_targetILNS1_3genE2ELNS1_11target_archE906ELNS1_3gpuE6ELNS1_3repE0EEENS1_36merge_oddeven_config_static_selectorELNS0_4arch9wavefront6targetE1EEEvSH_.kd
    .uniform_work_group_size: 1
    .uses_dynamic_stack: false
    .vgpr_count:     12
    .vgpr_spill_count: 0
    .wavefront_size: 64
  - .args:
      - .offset:         0
        .size:           48
        .value_kind:     by_value
    .group_segment_fixed_size: 0
    .kernarg_segment_align: 8
    .kernarg_segment_size: 48
    .language:       OpenCL C
    .language_version:
      - 2
      - 0
    .max_flat_workgroup_size: 256
    .name:           _ZN7rocprim17ROCPRIM_400000_NS6detail17trampoline_kernelINS0_14default_configENS1_38merge_sort_block_merge_config_selectorIilEEZZNS1_27merge_sort_block_merge_implIS3_PiN6thrust23THRUST_200600_302600_NS10device_ptrIlEEjNS1_19radix_merge_compareILb0ELb0EiNS0_19identity_decomposerEEEEE10hipError_tT0_T1_T2_jT3_P12ihipStream_tbPNSt15iterator_traitsISG_E10value_typeEPNSM_ISH_E10value_typeEPSI_NS1_7vsmem_tEENKUlT_SG_SH_SI_E_clIS7_S7_SB_PlEESF_SV_SG_SH_SI_EUlSV_E1_NS1_11comp_targetILNS1_3genE9ELNS1_11target_archE1100ELNS1_3gpuE3ELNS1_3repE0EEENS1_36merge_oddeven_config_static_selectorELNS0_4arch9wavefront6targetE1EEEvSH_
    .private_segment_fixed_size: 0
    .sgpr_count:     4
    .sgpr_spill_count: 0
    .symbol:         _ZN7rocprim17ROCPRIM_400000_NS6detail17trampoline_kernelINS0_14default_configENS1_38merge_sort_block_merge_config_selectorIilEEZZNS1_27merge_sort_block_merge_implIS3_PiN6thrust23THRUST_200600_302600_NS10device_ptrIlEEjNS1_19radix_merge_compareILb0ELb0EiNS0_19identity_decomposerEEEEE10hipError_tT0_T1_T2_jT3_P12ihipStream_tbPNSt15iterator_traitsISG_E10value_typeEPNSM_ISH_E10value_typeEPSI_NS1_7vsmem_tEENKUlT_SG_SH_SI_E_clIS7_S7_SB_PlEESF_SV_SG_SH_SI_EUlSV_E1_NS1_11comp_targetILNS1_3genE9ELNS1_11target_archE1100ELNS1_3gpuE3ELNS1_3repE0EEENS1_36merge_oddeven_config_static_selectorELNS0_4arch9wavefront6targetE1EEEvSH_.kd
    .uniform_work_group_size: 1
    .uses_dynamic_stack: false
    .vgpr_count:     0
    .vgpr_spill_count: 0
    .wavefront_size: 64
  - .args:
      - .offset:         0
        .size:           48
        .value_kind:     by_value
    .group_segment_fixed_size: 0
    .kernarg_segment_align: 8
    .kernarg_segment_size: 48
    .language:       OpenCL C
    .language_version:
      - 2
      - 0
    .max_flat_workgroup_size: 256
    .name:           _ZN7rocprim17ROCPRIM_400000_NS6detail17trampoline_kernelINS0_14default_configENS1_38merge_sort_block_merge_config_selectorIilEEZZNS1_27merge_sort_block_merge_implIS3_PiN6thrust23THRUST_200600_302600_NS10device_ptrIlEEjNS1_19radix_merge_compareILb0ELb0EiNS0_19identity_decomposerEEEEE10hipError_tT0_T1_T2_jT3_P12ihipStream_tbPNSt15iterator_traitsISG_E10value_typeEPNSM_ISH_E10value_typeEPSI_NS1_7vsmem_tEENKUlT_SG_SH_SI_E_clIS7_S7_SB_PlEESF_SV_SG_SH_SI_EUlSV_E1_NS1_11comp_targetILNS1_3genE8ELNS1_11target_archE1030ELNS1_3gpuE2ELNS1_3repE0EEENS1_36merge_oddeven_config_static_selectorELNS0_4arch9wavefront6targetE1EEEvSH_
    .private_segment_fixed_size: 0
    .sgpr_count:     4
    .sgpr_spill_count: 0
    .symbol:         _ZN7rocprim17ROCPRIM_400000_NS6detail17trampoline_kernelINS0_14default_configENS1_38merge_sort_block_merge_config_selectorIilEEZZNS1_27merge_sort_block_merge_implIS3_PiN6thrust23THRUST_200600_302600_NS10device_ptrIlEEjNS1_19radix_merge_compareILb0ELb0EiNS0_19identity_decomposerEEEEE10hipError_tT0_T1_T2_jT3_P12ihipStream_tbPNSt15iterator_traitsISG_E10value_typeEPNSM_ISH_E10value_typeEPSI_NS1_7vsmem_tEENKUlT_SG_SH_SI_E_clIS7_S7_SB_PlEESF_SV_SG_SH_SI_EUlSV_E1_NS1_11comp_targetILNS1_3genE8ELNS1_11target_archE1030ELNS1_3gpuE2ELNS1_3repE0EEENS1_36merge_oddeven_config_static_selectorELNS0_4arch9wavefront6targetE1EEEvSH_.kd
    .uniform_work_group_size: 1
    .uses_dynamic_stack: false
    .vgpr_count:     0
    .vgpr_spill_count: 0
    .wavefront_size: 64
  - .args:
      - .offset:         0
        .size:           40
        .value_kind:     by_value
    .group_segment_fixed_size: 0
    .kernarg_segment_align: 8
    .kernarg_segment_size: 40
    .language:       OpenCL C
    .language_version:
      - 2
      - 0
    .max_flat_workgroup_size: 128
    .name:           _ZN7rocprim17ROCPRIM_400000_NS6detail17trampoline_kernelINS0_14default_configENS1_25transform_config_selectorIiLb1EEEZNS1_14transform_implILb1ES3_S5_PiS7_NS0_8identityIiEEEE10hipError_tT2_T3_mT4_P12ihipStream_tbEUlT_E_NS1_11comp_targetILNS1_3genE0ELNS1_11target_archE4294967295ELNS1_3gpuE0ELNS1_3repE0EEENS1_30default_config_static_selectorELNS0_4arch9wavefront6targetE1EEEvT1_
    .private_segment_fixed_size: 0
    .sgpr_count:     4
    .sgpr_spill_count: 0
    .symbol:         _ZN7rocprim17ROCPRIM_400000_NS6detail17trampoline_kernelINS0_14default_configENS1_25transform_config_selectorIiLb1EEEZNS1_14transform_implILb1ES3_S5_PiS7_NS0_8identityIiEEEE10hipError_tT2_T3_mT4_P12ihipStream_tbEUlT_E_NS1_11comp_targetILNS1_3genE0ELNS1_11target_archE4294967295ELNS1_3gpuE0ELNS1_3repE0EEENS1_30default_config_static_selectorELNS0_4arch9wavefront6targetE1EEEvT1_.kd
    .uniform_work_group_size: 1
    .uses_dynamic_stack: false
    .vgpr_count:     0
    .vgpr_spill_count: 0
    .wavefront_size: 64
  - .args:
      - .offset:         0
        .size:           40
        .value_kind:     by_value
    .group_segment_fixed_size: 0
    .kernarg_segment_align: 8
    .kernarg_segment_size: 40
    .language:       OpenCL C
    .language_version:
      - 2
      - 0
    .max_flat_workgroup_size: 1024
    .name:           _ZN7rocprim17ROCPRIM_400000_NS6detail17trampoline_kernelINS0_14default_configENS1_25transform_config_selectorIiLb1EEEZNS1_14transform_implILb1ES3_S5_PiS7_NS0_8identityIiEEEE10hipError_tT2_T3_mT4_P12ihipStream_tbEUlT_E_NS1_11comp_targetILNS1_3genE10ELNS1_11target_archE1201ELNS1_3gpuE5ELNS1_3repE0EEENS1_30default_config_static_selectorELNS0_4arch9wavefront6targetE1EEEvT1_
    .private_segment_fixed_size: 0
    .sgpr_count:     4
    .sgpr_spill_count: 0
    .symbol:         _ZN7rocprim17ROCPRIM_400000_NS6detail17trampoline_kernelINS0_14default_configENS1_25transform_config_selectorIiLb1EEEZNS1_14transform_implILb1ES3_S5_PiS7_NS0_8identityIiEEEE10hipError_tT2_T3_mT4_P12ihipStream_tbEUlT_E_NS1_11comp_targetILNS1_3genE10ELNS1_11target_archE1201ELNS1_3gpuE5ELNS1_3repE0EEENS1_30default_config_static_selectorELNS0_4arch9wavefront6targetE1EEEvT1_.kd
    .uniform_work_group_size: 1
    .uses_dynamic_stack: false
    .vgpr_count:     0
    .vgpr_spill_count: 0
    .wavefront_size: 64
  - .args:
      - .offset:         0
        .size:           40
        .value_kind:     by_value
    .group_segment_fixed_size: 0
    .kernarg_segment_align: 8
    .kernarg_segment_size: 40
    .language:       OpenCL C
    .language_version:
      - 2
      - 0
    .max_flat_workgroup_size: 256
    .name:           _ZN7rocprim17ROCPRIM_400000_NS6detail17trampoline_kernelINS0_14default_configENS1_25transform_config_selectorIiLb1EEEZNS1_14transform_implILb1ES3_S5_PiS7_NS0_8identityIiEEEE10hipError_tT2_T3_mT4_P12ihipStream_tbEUlT_E_NS1_11comp_targetILNS1_3genE5ELNS1_11target_archE942ELNS1_3gpuE9ELNS1_3repE0EEENS1_30default_config_static_selectorELNS0_4arch9wavefront6targetE1EEEvT1_
    .private_segment_fixed_size: 0
    .sgpr_count:     4
    .sgpr_spill_count: 0
    .symbol:         _ZN7rocprim17ROCPRIM_400000_NS6detail17trampoline_kernelINS0_14default_configENS1_25transform_config_selectorIiLb1EEEZNS1_14transform_implILb1ES3_S5_PiS7_NS0_8identityIiEEEE10hipError_tT2_T3_mT4_P12ihipStream_tbEUlT_E_NS1_11comp_targetILNS1_3genE5ELNS1_11target_archE942ELNS1_3gpuE9ELNS1_3repE0EEENS1_30default_config_static_selectorELNS0_4arch9wavefront6targetE1EEEvT1_.kd
    .uniform_work_group_size: 1
    .uses_dynamic_stack: false
    .vgpr_count:     0
    .vgpr_spill_count: 0
    .wavefront_size: 64
  - .args:
      - .offset:         0
        .size:           40
        .value_kind:     by_value
    .group_segment_fixed_size: 0
    .kernarg_segment_align: 8
    .kernarg_segment_size: 40
    .language:       OpenCL C
    .language_version:
      - 2
      - 0
    .max_flat_workgroup_size: 1024
    .name:           _ZN7rocprim17ROCPRIM_400000_NS6detail17trampoline_kernelINS0_14default_configENS1_25transform_config_selectorIiLb1EEEZNS1_14transform_implILb1ES3_S5_PiS7_NS0_8identityIiEEEE10hipError_tT2_T3_mT4_P12ihipStream_tbEUlT_E_NS1_11comp_targetILNS1_3genE4ELNS1_11target_archE910ELNS1_3gpuE8ELNS1_3repE0EEENS1_30default_config_static_selectorELNS0_4arch9wavefront6targetE1EEEvT1_
    .private_segment_fixed_size: 0
    .sgpr_count:     4
    .sgpr_spill_count: 0
    .symbol:         _ZN7rocprim17ROCPRIM_400000_NS6detail17trampoline_kernelINS0_14default_configENS1_25transform_config_selectorIiLb1EEEZNS1_14transform_implILb1ES3_S5_PiS7_NS0_8identityIiEEEE10hipError_tT2_T3_mT4_P12ihipStream_tbEUlT_E_NS1_11comp_targetILNS1_3genE4ELNS1_11target_archE910ELNS1_3gpuE8ELNS1_3repE0EEENS1_30default_config_static_selectorELNS0_4arch9wavefront6targetE1EEEvT1_.kd
    .uniform_work_group_size: 1
    .uses_dynamic_stack: false
    .vgpr_count:     0
    .vgpr_spill_count: 0
    .wavefront_size: 64
  - .args:
      - .offset:         0
        .size:           40
        .value_kind:     by_value
    .group_segment_fixed_size: 0
    .kernarg_segment_align: 8
    .kernarg_segment_size: 40
    .language:       OpenCL C
    .language_version:
      - 2
      - 0
    .max_flat_workgroup_size: 128
    .name:           _ZN7rocprim17ROCPRIM_400000_NS6detail17trampoline_kernelINS0_14default_configENS1_25transform_config_selectorIiLb1EEEZNS1_14transform_implILb1ES3_S5_PiS7_NS0_8identityIiEEEE10hipError_tT2_T3_mT4_P12ihipStream_tbEUlT_E_NS1_11comp_targetILNS1_3genE3ELNS1_11target_archE908ELNS1_3gpuE7ELNS1_3repE0EEENS1_30default_config_static_selectorELNS0_4arch9wavefront6targetE1EEEvT1_
    .private_segment_fixed_size: 0
    .sgpr_count:     4
    .sgpr_spill_count: 0
    .symbol:         _ZN7rocprim17ROCPRIM_400000_NS6detail17trampoline_kernelINS0_14default_configENS1_25transform_config_selectorIiLb1EEEZNS1_14transform_implILb1ES3_S5_PiS7_NS0_8identityIiEEEE10hipError_tT2_T3_mT4_P12ihipStream_tbEUlT_E_NS1_11comp_targetILNS1_3genE3ELNS1_11target_archE908ELNS1_3gpuE7ELNS1_3repE0EEENS1_30default_config_static_selectorELNS0_4arch9wavefront6targetE1EEEvT1_.kd
    .uniform_work_group_size: 1
    .uses_dynamic_stack: false
    .vgpr_count:     0
    .vgpr_spill_count: 0
    .wavefront_size: 64
  - .args:
      - .offset:         0
        .size:           40
        .value_kind:     by_value
      - .offset:         40
        .size:           4
        .value_kind:     hidden_block_count_x
      - .offset:         44
        .size:           4
        .value_kind:     hidden_block_count_y
      - .offset:         48
        .size:           4
        .value_kind:     hidden_block_count_z
      - .offset:         52
        .size:           2
        .value_kind:     hidden_group_size_x
      - .offset:         54
        .size:           2
        .value_kind:     hidden_group_size_y
      - .offset:         56
        .size:           2
        .value_kind:     hidden_group_size_z
      - .offset:         58
        .size:           2
        .value_kind:     hidden_remainder_x
      - .offset:         60
        .size:           2
        .value_kind:     hidden_remainder_y
      - .offset:         62
        .size:           2
        .value_kind:     hidden_remainder_z
      - .offset:         80
        .size:           8
        .value_kind:     hidden_global_offset_x
      - .offset:         88
        .size:           8
        .value_kind:     hidden_global_offset_y
      - .offset:         96
        .size:           8
        .value_kind:     hidden_global_offset_z
      - .offset:         104
        .size:           2
        .value_kind:     hidden_grid_dims
    .group_segment_fixed_size: 0
    .kernarg_segment_align: 8
    .kernarg_segment_size: 296
    .language:       OpenCL C
    .language_version:
      - 2
      - 0
    .max_flat_workgroup_size: 1024
    .name:           _ZN7rocprim17ROCPRIM_400000_NS6detail17trampoline_kernelINS0_14default_configENS1_25transform_config_selectorIiLb1EEEZNS1_14transform_implILb1ES3_S5_PiS7_NS0_8identityIiEEEE10hipError_tT2_T3_mT4_P12ihipStream_tbEUlT_E_NS1_11comp_targetILNS1_3genE2ELNS1_11target_archE906ELNS1_3gpuE6ELNS1_3repE0EEENS1_30default_config_static_selectorELNS0_4arch9wavefront6targetE1EEEvT1_
    .private_segment_fixed_size: 0
    .sgpr_count:     20
    .sgpr_spill_count: 0
    .symbol:         _ZN7rocprim17ROCPRIM_400000_NS6detail17trampoline_kernelINS0_14default_configENS1_25transform_config_selectorIiLb1EEEZNS1_14transform_implILb1ES3_S5_PiS7_NS0_8identityIiEEEE10hipError_tT2_T3_mT4_P12ihipStream_tbEUlT_E_NS1_11comp_targetILNS1_3genE2ELNS1_11target_archE906ELNS1_3gpuE6ELNS1_3repE0EEENS1_30default_config_static_selectorELNS0_4arch9wavefront6targetE1EEEvT1_.kd
    .uniform_work_group_size: 1
    .uses_dynamic_stack: false
    .vgpr_count:     10
    .vgpr_spill_count: 0
    .wavefront_size: 64
  - .args:
      - .offset:         0
        .size:           40
        .value_kind:     by_value
    .group_segment_fixed_size: 0
    .kernarg_segment_align: 8
    .kernarg_segment_size: 40
    .language:       OpenCL C
    .language_version:
      - 2
      - 0
    .max_flat_workgroup_size: 1024
    .name:           _ZN7rocprim17ROCPRIM_400000_NS6detail17trampoline_kernelINS0_14default_configENS1_25transform_config_selectorIiLb1EEEZNS1_14transform_implILb1ES3_S5_PiS7_NS0_8identityIiEEEE10hipError_tT2_T3_mT4_P12ihipStream_tbEUlT_E_NS1_11comp_targetILNS1_3genE9ELNS1_11target_archE1100ELNS1_3gpuE3ELNS1_3repE0EEENS1_30default_config_static_selectorELNS0_4arch9wavefront6targetE1EEEvT1_
    .private_segment_fixed_size: 0
    .sgpr_count:     4
    .sgpr_spill_count: 0
    .symbol:         _ZN7rocprim17ROCPRIM_400000_NS6detail17trampoline_kernelINS0_14default_configENS1_25transform_config_selectorIiLb1EEEZNS1_14transform_implILb1ES3_S5_PiS7_NS0_8identityIiEEEE10hipError_tT2_T3_mT4_P12ihipStream_tbEUlT_E_NS1_11comp_targetILNS1_3genE9ELNS1_11target_archE1100ELNS1_3gpuE3ELNS1_3repE0EEENS1_30default_config_static_selectorELNS0_4arch9wavefront6targetE1EEEvT1_.kd
    .uniform_work_group_size: 1
    .uses_dynamic_stack: false
    .vgpr_count:     0
    .vgpr_spill_count: 0
    .wavefront_size: 64
  - .args:
      - .offset:         0
        .size:           40
        .value_kind:     by_value
    .group_segment_fixed_size: 0
    .kernarg_segment_align: 8
    .kernarg_segment_size: 40
    .language:       OpenCL C
    .language_version:
      - 2
      - 0
    .max_flat_workgroup_size: 1024
    .name:           _ZN7rocprim17ROCPRIM_400000_NS6detail17trampoline_kernelINS0_14default_configENS1_25transform_config_selectorIiLb1EEEZNS1_14transform_implILb1ES3_S5_PiS7_NS0_8identityIiEEEE10hipError_tT2_T3_mT4_P12ihipStream_tbEUlT_E_NS1_11comp_targetILNS1_3genE8ELNS1_11target_archE1030ELNS1_3gpuE2ELNS1_3repE0EEENS1_30default_config_static_selectorELNS0_4arch9wavefront6targetE1EEEvT1_
    .private_segment_fixed_size: 0
    .sgpr_count:     4
    .sgpr_spill_count: 0
    .symbol:         _ZN7rocprim17ROCPRIM_400000_NS6detail17trampoline_kernelINS0_14default_configENS1_25transform_config_selectorIiLb1EEEZNS1_14transform_implILb1ES3_S5_PiS7_NS0_8identityIiEEEE10hipError_tT2_T3_mT4_P12ihipStream_tbEUlT_E_NS1_11comp_targetILNS1_3genE8ELNS1_11target_archE1030ELNS1_3gpuE2ELNS1_3repE0EEENS1_30default_config_static_selectorELNS0_4arch9wavefront6targetE1EEEvT1_.kd
    .uniform_work_group_size: 1
    .uses_dynamic_stack: false
    .vgpr_count:     0
    .vgpr_spill_count: 0
    .wavefront_size: 64
  - .args:
      - .offset:         0
        .size:           40
        .value_kind:     by_value
    .group_segment_fixed_size: 0
    .kernarg_segment_align: 8
    .kernarg_segment_size: 40
    .language:       OpenCL C
    .language_version:
      - 2
      - 0
    .max_flat_workgroup_size: 128
    .name:           _ZN7rocprim17ROCPRIM_400000_NS6detail17trampoline_kernelINS0_14default_configENS1_38merge_sort_block_merge_config_selectorIilEEZZNS1_27merge_sort_block_merge_implIS3_PiN6thrust23THRUST_200600_302600_NS10device_ptrIlEEjNS1_19radix_merge_compareILb0ELb1EiNS0_19identity_decomposerEEEEE10hipError_tT0_T1_T2_jT3_P12ihipStream_tbPNSt15iterator_traitsISG_E10value_typeEPNSM_ISH_E10value_typeEPSI_NS1_7vsmem_tEENKUlT_SG_SH_SI_E_clIS7_S7_PlSB_EESF_SV_SG_SH_SI_EUlSV_E_NS1_11comp_targetILNS1_3genE0ELNS1_11target_archE4294967295ELNS1_3gpuE0ELNS1_3repE0EEENS1_48merge_mergepath_partition_config_static_selectorELNS0_4arch9wavefront6targetE1EEEvSH_
    .private_segment_fixed_size: 0
    .sgpr_count:     4
    .sgpr_spill_count: 0
    .symbol:         _ZN7rocprim17ROCPRIM_400000_NS6detail17trampoline_kernelINS0_14default_configENS1_38merge_sort_block_merge_config_selectorIilEEZZNS1_27merge_sort_block_merge_implIS3_PiN6thrust23THRUST_200600_302600_NS10device_ptrIlEEjNS1_19radix_merge_compareILb0ELb1EiNS0_19identity_decomposerEEEEE10hipError_tT0_T1_T2_jT3_P12ihipStream_tbPNSt15iterator_traitsISG_E10value_typeEPNSM_ISH_E10value_typeEPSI_NS1_7vsmem_tEENKUlT_SG_SH_SI_E_clIS7_S7_PlSB_EESF_SV_SG_SH_SI_EUlSV_E_NS1_11comp_targetILNS1_3genE0ELNS1_11target_archE4294967295ELNS1_3gpuE0ELNS1_3repE0EEENS1_48merge_mergepath_partition_config_static_selectorELNS0_4arch9wavefront6targetE1EEEvSH_.kd
    .uniform_work_group_size: 1
    .uses_dynamic_stack: false
    .vgpr_count:     0
    .vgpr_spill_count: 0
    .wavefront_size: 64
  - .args:
      - .offset:         0
        .size:           40
        .value_kind:     by_value
    .group_segment_fixed_size: 0
    .kernarg_segment_align: 8
    .kernarg_segment_size: 40
    .language:       OpenCL C
    .language_version:
      - 2
      - 0
    .max_flat_workgroup_size: 128
    .name:           _ZN7rocprim17ROCPRIM_400000_NS6detail17trampoline_kernelINS0_14default_configENS1_38merge_sort_block_merge_config_selectorIilEEZZNS1_27merge_sort_block_merge_implIS3_PiN6thrust23THRUST_200600_302600_NS10device_ptrIlEEjNS1_19radix_merge_compareILb0ELb1EiNS0_19identity_decomposerEEEEE10hipError_tT0_T1_T2_jT3_P12ihipStream_tbPNSt15iterator_traitsISG_E10value_typeEPNSM_ISH_E10value_typeEPSI_NS1_7vsmem_tEENKUlT_SG_SH_SI_E_clIS7_S7_PlSB_EESF_SV_SG_SH_SI_EUlSV_E_NS1_11comp_targetILNS1_3genE10ELNS1_11target_archE1201ELNS1_3gpuE5ELNS1_3repE0EEENS1_48merge_mergepath_partition_config_static_selectorELNS0_4arch9wavefront6targetE1EEEvSH_
    .private_segment_fixed_size: 0
    .sgpr_count:     4
    .sgpr_spill_count: 0
    .symbol:         _ZN7rocprim17ROCPRIM_400000_NS6detail17trampoline_kernelINS0_14default_configENS1_38merge_sort_block_merge_config_selectorIilEEZZNS1_27merge_sort_block_merge_implIS3_PiN6thrust23THRUST_200600_302600_NS10device_ptrIlEEjNS1_19radix_merge_compareILb0ELb1EiNS0_19identity_decomposerEEEEE10hipError_tT0_T1_T2_jT3_P12ihipStream_tbPNSt15iterator_traitsISG_E10value_typeEPNSM_ISH_E10value_typeEPSI_NS1_7vsmem_tEENKUlT_SG_SH_SI_E_clIS7_S7_PlSB_EESF_SV_SG_SH_SI_EUlSV_E_NS1_11comp_targetILNS1_3genE10ELNS1_11target_archE1201ELNS1_3gpuE5ELNS1_3repE0EEENS1_48merge_mergepath_partition_config_static_selectorELNS0_4arch9wavefront6targetE1EEEvSH_.kd
    .uniform_work_group_size: 1
    .uses_dynamic_stack: false
    .vgpr_count:     0
    .vgpr_spill_count: 0
    .wavefront_size: 64
  - .args:
      - .offset:         0
        .size:           40
        .value_kind:     by_value
    .group_segment_fixed_size: 0
    .kernarg_segment_align: 8
    .kernarg_segment_size: 40
    .language:       OpenCL C
    .language_version:
      - 2
      - 0
    .max_flat_workgroup_size: 128
    .name:           _ZN7rocprim17ROCPRIM_400000_NS6detail17trampoline_kernelINS0_14default_configENS1_38merge_sort_block_merge_config_selectorIilEEZZNS1_27merge_sort_block_merge_implIS3_PiN6thrust23THRUST_200600_302600_NS10device_ptrIlEEjNS1_19radix_merge_compareILb0ELb1EiNS0_19identity_decomposerEEEEE10hipError_tT0_T1_T2_jT3_P12ihipStream_tbPNSt15iterator_traitsISG_E10value_typeEPNSM_ISH_E10value_typeEPSI_NS1_7vsmem_tEENKUlT_SG_SH_SI_E_clIS7_S7_PlSB_EESF_SV_SG_SH_SI_EUlSV_E_NS1_11comp_targetILNS1_3genE5ELNS1_11target_archE942ELNS1_3gpuE9ELNS1_3repE0EEENS1_48merge_mergepath_partition_config_static_selectorELNS0_4arch9wavefront6targetE1EEEvSH_
    .private_segment_fixed_size: 0
    .sgpr_count:     4
    .sgpr_spill_count: 0
    .symbol:         _ZN7rocprim17ROCPRIM_400000_NS6detail17trampoline_kernelINS0_14default_configENS1_38merge_sort_block_merge_config_selectorIilEEZZNS1_27merge_sort_block_merge_implIS3_PiN6thrust23THRUST_200600_302600_NS10device_ptrIlEEjNS1_19radix_merge_compareILb0ELb1EiNS0_19identity_decomposerEEEEE10hipError_tT0_T1_T2_jT3_P12ihipStream_tbPNSt15iterator_traitsISG_E10value_typeEPNSM_ISH_E10value_typeEPSI_NS1_7vsmem_tEENKUlT_SG_SH_SI_E_clIS7_S7_PlSB_EESF_SV_SG_SH_SI_EUlSV_E_NS1_11comp_targetILNS1_3genE5ELNS1_11target_archE942ELNS1_3gpuE9ELNS1_3repE0EEENS1_48merge_mergepath_partition_config_static_selectorELNS0_4arch9wavefront6targetE1EEEvSH_.kd
    .uniform_work_group_size: 1
    .uses_dynamic_stack: false
    .vgpr_count:     0
    .vgpr_spill_count: 0
    .wavefront_size: 64
  - .args:
      - .offset:         0
        .size:           40
        .value_kind:     by_value
    .group_segment_fixed_size: 0
    .kernarg_segment_align: 8
    .kernarg_segment_size: 40
    .language:       OpenCL C
    .language_version:
      - 2
      - 0
    .max_flat_workgroup_size: 128
    .name:           _ZN7rocprim17ROCPRIM_400000_NS6detail17trampoline_kernelINS0_14default_configENS1_38merge_sort_block_merge_config_selectorIilEEZZNS1_27merge_sort_block_merge_implIS3_PiN6thrust23THRUST_200600_302600_NS10device_ptrIlEEjNS1_19radix_merge_compareILb0ELb1EiNS0_19identity_decomposerEEEEE10hipError_tT0_T1_T2_jT3_P12ihipStream_tbPNSt15iterator_traitsISG_E10value_typeEPNSM_ISH_E10value_typeEPSI_NS1_7vsmem_tEENKUlT_SG_SH_SI_E_clIS7_S7_PlSB_EESF_SV_SG_SH_SI_EUlSV_E_NS1_11comp_targetILNS1_3genE4ELNS1_11target_archE910ELNS1_3gpuE8ELNS1_3repE0EEENS1_48merge_mergepath_partition_config_static_selectorELNS0_4arch9wavefront6targetE1EEEvSH_
    .private_segment_fixed_size: 0
    .sgpr_count:     4
    .sgpr_spill_count: 0
    .symbol:         _ZN7rocprim17ROCPRIM_400000_NS6detail17trampoline_kernelINS0_14default_configENS1_38merge_sort_block_merge_config_selectorIilEEZZNS1_27merge_sort_block_merge_implIS3_PiN6thrust23THRUST_200600_302600_NS10device_ptrIlEEjNS1_19radix_merge_compareILb0ELb1EiNS0_19identity_decomposerEEEEE10hipError_tT0_T1_T2_jT3_P12ihipStream_tbPNSt15iterator_traitsISG_E10value_typeEPNSM_ISH_E10value_typeEPSI_NS1_7vsmem_tEENKUlT_SG_SH_SI_E_clIS7_S7_PlSB_EESF_SV_SG_SH_SI_EUlSV_E_NS1_11comp_targetILNS1_3genE4ELNS1_11target_archE910ELNS1_3gpuE8ELNS1_3repE0EEENS1_48merge_mergepath_partition_config_static_selectorELNS0_4arch9wavefront6targetE1EEEvSH_.kd
    .uniform_work_group_size: 1
    .uses_dynamic_stack: false
    .vgpr_count:     0
    .vgpr_spill_count: 0
    .wavefront_size: 64
  - .args:
      - .offset:         0
        .size:           40
        .value_kind:     by_value
    .group_segment_fixed_size: 0
    .kernarg_segment_align: 8
    .kernarg_segment_size: 40
    .language:       OpenCL C
    .language_version:
      - 2
      - 0
    .max_flat_workgroup_size: 128
    .name:           _ZN7rocprim17ROCPRIM_400000_NS6detail17trampoline_kernelINS0_14default_configENS1_38merge_sort_block_merge_config_selectorIilEEZZNS1_27merge_sort_block_merge_implIS3_PiN6thrust23THRUST_200600_302600_NS10device_ptrIlEEjNS1_19radix_merge_compareILb0ELb1EiNS0_19identity_decomposerEEEEE10hipError_tT0_T1_T2_jT3_P12ihipStream_tbPNSt15iterator_traitsISG_E10value_typeEPNSM_ISH_E10value_typeEPSI_NS1_7vsmem_tEENKUlT_SG_SH_SI_E_clIS7_S7_PlSB_EESF_SV_SG_SH_SI_EUlSV_E_NS1_11comp_targetILNS1_3genE3ELNS1_11target_archE908ELNS1_3gpuE7ELNS1_3repE0EEENS1_48merge_mergepath_partition_config_static_selectorELNS0_4arch9wavefront6targetE1EEEvSH_
    .private_segment_fixed_size: 0
    .sgpr_count:     4
    .sgpr_spill_count: 0
    .symbol:         _ZN7rocprim17ROCPRIM_400000_NS6detail17trampoline_kernelINS0_14default_configENS1_38merge_sort_block_merge_config_selectorIilEEZZNS1_27merge_sort_block_merge_implIS3_PiN6thrust23THRUST_200600_302600_NS10device_ptrIlEEjNS1_19radix_merge_compareILb0ELb1EiNS0_19identity_decomposerEEEEE10hipError_tT0_T1_T2_jT3_P12ihipStream_tbPNSt15iterator_traitsISG_E10value_typeEPNSM_ISH_E10value_typeEPSI_NS1_7vsmem_tEENKUlT_SG_SH_SI_E_clIS7_S7_PlSB_EESF_SV_SG_SH_SI_EUlSV_E_NS1_11comp_targetILNS1_3genE3ELNS1_11target_archE908ELNS1_3gpuE7ELNS1_3repE0EEENS1_48merge_mergepath_partition_config_static_selectorELNS0_4arch9wavefront6targetE1EEEvSH_.kd
    .uniform_work_group_size: 1
    .uses_dynamic_stack: false
    .vgpr_count:     0
    .vgpr_spill_count: 0
    .wavefront_size: 64
  - .args:
      - .offset:         0
        .size:           40
        .value_kind:     by_value
    .group_segment_fixed_size: 0
    .kernarg_segment_align: 8
    .kernarg_segment_size: 40
    .language:       OpenCL C
    .language_version:
      - 2
      - 0
    .max_flat_workgroup_size: 128
    .name:           _ZN7rocprim17ROCPRIM_400000_NS6detail17trampoline_kernelINS0_14default_configENS1_38merge_sort_block_merge_config_selectorIilEEZZNS1_27merge_sort_block_merge_implIS3_PiN6thrust23THRUST_200600_302600_NS10device_ptrIlEEjNS1_19radix_merge_compareILb0ELb1EiNS0_19identity_decomposerEEEEE10hipError_tT0_T1_T2_jT3_P12ihipStream_tbPNSt15iterator_traitsISG_E10value_typeEPNSM_ISH_E10value_typeEPSI_NS1_7vsmem_tEENKUlT_SG_SH_SI_E_clIS7_S7_PlSB_EESF_SV_SG_SH_SI_EUlSV_E_NS1_11comp_targetILNS1_3genE2ELNS1_11target_archE906ELNS1_3gpuE6ELNS1_3repE0EEENS1_48merge_mergepath_partition_config_static_selectorELNS0_4arch9wavefront6targetE1EEEvSH_
    .private_segment_fixed_size: 0
    .sgpr_count:     14
    .sgpr_spill_count: 0
    .symbol:         _ZN7rocprim17ROCPRIM_400000_NS6detail17trampoline_kernelINS0_14default_configENS1_38merge_sort_block_merge_config_selectorIilEEZZNS1_27merge_sort_block_merge_implIS3_PiN6thrust23THRUST_200600_302600_NS10device_ptrIlEEjNS1_19radix_merge_compareILb0ELb1EiNS0_19identity_decomposerEEEEE10hipError_tT0_T1_T2_jT3_P12ihipStream_tbPNSt15iterator_traitsISG_E10value_typeEPNSM_ISH_E10value_typeEPSI_NS1_7vsmem_tEENKUlT_SG_SH_SI_E_clIS7_S7_PlSB_EESF_SV_SG_SH_SI_EUlSV_E_NS1_11comp_targetILNS1_3genE2ELNS1_11target_archE906ELNS1_3gpuE6ELNS1_3repE0EEENS1_48merge_mergepath_partition_config_static_selectorELNS0_4arch9wavefront6targetE1EEEvSH_.kd
    .uniform_work_group_size: 1
    .uses_dynamic_stack: false
    .vgpr_count:     17
    .vgpr_spill_count: 0
    .wavefront_size: 64
  - .args:
      - .offset:         0
        .size:           40
        .value_kind:     by_value
    .group_segment_fixed_size: 0
    .kernarg_segment_align: 8
    .kernarg_segment_size: 40
    .language:       OpenCL C
    .language_version:
      - 2
      - 0
    .max_flat_workgroup_size: 128
    .name:           _ZN7rocprim17ROCPRIM_400000_NS6detail17trampoline_kernelINS0_14default_configENS1_38merge_sort_block_merge_config_selectorIilEEZZNS1_27merge_sort_block_merge_implIS3_PiN6thrust23THRUST_200600_302600_NS10device_ptrIlEEjNS1_19radix_merge_compareILb0ELb1EiNS0_19identity_decomposerEEEEE10hipError_tT0_T1_T2_jT3_P12ihipStream_tbPNSt15iterator_traitsISG_E10value_typeEPNSM_ISH_E10value_typeEPSI_NS1_7vsmem_tEENKUlT_SG_SH_SI_E_clIS7_S7_PlSB_EESF_SV_SG_SH_SI_EUlSV_E_NS1_11comp_targetILNS1_3genE9ELNS1_11target_archE1100ELNS1_3gpuE3ELNS1_3repE0EEENS1_48merge_mergepath_partition_config_static_selectorELNS0_4arch9wavefront6targetE1EEEvSH_
    .private_segment_fixed_size: 0
    .sgpr_count:     4
    .sgpr_spill_count: 0
    .symbol:         _ZN7rocprim17ROCPRIM_400000_NS6detail17trampoline_kernelINS0_14default_configENS1_38merge_sort_block_merge_config_selectorIilEEZZNS1_27merge_sort_block_merge_implIS3_PiN6thrust23THRUST_200600_302600_NS10device_ptrIlEEjNS1_19radix_merge_compareILb0ELb1EiNS0_19identity_decomposerEEEEE10hipError_tT0_T1_T2_jT3_P12ihipStream_tbPNSt15iterator_traitsISG_E10value_typeEPNSM_ISH_E10value_typeEPSI_NS1_7vsmem_tEENKUlT_SG_SH_SI_E_clIS7_S7_PlSB_EESF_SV_SG_SH_SI_EUlSV_E_NS1_11comp_targetILNS1_3genE9ELNS1_11target_archE1100ELNS1_3gpuE3ELNS1_3repE0EEENS1_48merge_mergepath_partition_config_static_selectorELNS0_4arch9wavefront6targetE1EEEvSH_.kd
    .uniform_work_group_size: 1
    .uses_dynamic_stack: false
    .vgpr_count:     0
    .vgpr_spill_count: 0
    .wavefront_size: 64
  - .args:
      - .offset:         0
        .size:           40
        .value_kind:     by_value
    .group_segment_fixed_size: 0
    .kernarg_segment_align: 8
    .kernarg_segment_size: 40
    .language:       OpenCL C
    .language_version:
      - 2
      - 0
    .max_flat_workgroup_size: 128
    .name:           _ZN7rocprim17ROCPRIM_400000_NS6detail17trampoline_kernelINS0_14default_configENS1_38merge_sort_block_merge_config_selectorIilEEZZNS1_27merge_sort_block_merge_implIS3_PiN6thrust23THRUST_200600_302600_NS10device_ptrIlEEjNS1_19radix_merge_compareILb0ELb1EiNS0_19identity_decomposerEEEEE10hipError_tT0_T1_T2_jT3_P12ihipStream_tbPNSt15iterator_traitsISG_E10value_typeEPNSM_ISH_E10value_typeEPSI_NS1_7vsmem_tEENKUlT_SG_SH_SI_E_clIS7_S7_PlSB_EESF_SV_SG_SH_SI_EUlSV_E_NS1_11comp_targetILNS1_3genE8ELNS1_11target_archE1030ELNS1_3gpuE2ELNS1_3repE0EEENS1_48merge_mergepath_partition_config_static_selectorELNS0_4arch9wavefront6targetE1EEEvSH_
    .private_segment_fixed_size: 0
    .sgpr_count:     4
    .sgpr_spill_count: 0
    .symbol:         _ZN7rocprim17ROCPRIM_400000_NS6detail17trampoline_kernelINS0_14default_configENS1_38merge_sort_block_merge_config_selectorIilEEZZNS1_27merge_sort_block_merge_implIS3_PiN6thrust23THRUST_200600_302600_NS10device_ptrIlEEjNS1_19radix_merge_compareILb0ELb1EiNS0_19identity_decomposerEEEEE10hipError_tT0_T1_T2_jT3_P12ihipStream_tbPNSt15iterator_traitsISG_E10value_typeEPNSM_ISH_E10value_typeEPSI_NS1_7vsmem_tEENKUlT_SG_SH_SI_E_clIS7_S7_PlSB_EESF_SV_SG_SH_SI_EUlSV_E_NS1_11comp_targetILNS1_3genE8ELNS1_11target_archE1030ELNS1_3gpuE2ELNS1_3repE0EEENS1_48merge_mergepath_partition_config_static_selectorELNS0_4arch9wavefront6targetE1EEEvSH_.kd
    .uniform_work_group_size: 1
    .uses_dynamic_stack: false
    .vgpr_count:     0
    .vgpr_spill_count: 0
    .wavefront_size: 64
  - .args:
      - .offset:         0
        .size:           64
        .value_kind:     by_value
    .group_segment_fixed_size: 0
    .kernarg_segment_align: 8
    .kernarg_segment_size: 64
    .language:       OpenCL C
    .language_version:
      - 2
      - 0
    .max_flat_workgroup_size: 512
    .name:           _ZN7rocprim17ROCPRIM_400000_NS6detail17trampoline_kernelINS0_14default_configENS1_38merge_sort_block_merge_config_selectorIilEEZZNS1_27merge_sort_block_merge_implIS3_PiN6thrust23THRUST_200600_302600_NS10device_ptrIlEEjNS1_19radix_merge_compareILb0ELb1EiNS0_19identity_decomposerEEEEE10hipError_tT0_T1_T2_jT3_P12ihipStream_tbPNSt15iterator_traitsISG_E10value_typeEPNSM_ISH_E10value_typeEPSI_NS1_7vsmem_tEENKUlT_SG_SH_SI_E_clIS7_S7_PlSB_EESF_SV_SG_SH_SI_EUlSV_E0_NS1_11comp_targetILNS1_3genE0ELNS1_11target_archE4294967295ELNS1_3gpuE0ELNS1_3repE0EEENS1_38merge_mergepath_config_static_selectorELNS0_4arch9wavefront6targetE1EEEvSH_
    .private_segment_fixed_size: 0
    .sgpr_count:     4
    .sgpr_spill_count: 0
    .symbol:         _ZN7rocprim17ROCPRIM_400000_NS6detail17trampoline_kernelINS0_14default_configENS1_38merge_sort_block_merge_config_selectorIilEEZZNS1_27merge_sort_block_merge_implIS3_PiN6thrust23THRUST_200600_302600_NS10device_ptrIlEEjNS1_19radix_merge_compareILb0ELb1EiNS0_19identity_decomposerEEEEE10hipError_tT0_T1_T2_jT3_P12ihipStream_tbPNSt15iterator_traitsISG_E10value_typeEPNSM_ISH_E10value_typeEPSI_NS1_7vsmem_tEENKUlT_SG_SH_SI_E_clIS7_S7_PlSB_EESF_SV_SG_SH_SI_EUlSV_E0_NS1_11comp_targetILNS1_3genE0ELNS1_11target_archE4294967295ELNS1_3gpuE0ELNS1_3repE0EEENS1_38merge_mergepath_config_static_selectorELNS0_4arch9wavefront6targetE1EEEvSH_.kd
    .uniform_work_group_size: 1
    .uses_dynamic_stack: false
    .vgpr_count:     0
    .vgpr_spill_count: 0
    .wavefront_size: 64
  - .args:
      - .offset:         0
        .size:           64
        .value_kind:     by_value
    .group_segment_fixed_size: 0
    .kernarg_segment_align: 8
    .kernarg_segment_size: 64
    .language:       OpenCL C
    .language_version:
      - 2
      - 0
    .max_flat_workgroup_size: 512
    .name:           _ZN7rocprim17ROCPRIM_400000_NS6detail17trampoline_kernelINS0_14default_configENS1_38merge_sort_block_merge_config_selectorIilEEZZNS1_27merge_sort_block_merge_implIS3_PiN6thrust23THRUST_200600_302600_NS10device_ptrIlEEjNS1_19radix_merge_compareILb0ELb1EiNS0_19identity_decomposerEEEEE10hipError_tT0_T1_T2_jT3_P12ihipStream_tbPNSt15iterator_traitsISG_E10value_typeEPNSM_ISH_E10value_typeEPSI_NS1_7vsmem_tEENKUlT_SG_SH_SI_E_clIS7_S7_PlSB_EESF_SV_SG_SH_SI_EUlSV_E0_NS1_11comp_targetILNS1_3genE10ELNS1_11target_archE1201ELNS1_3gpuE5ELNS1_3repE0EEENS1_38merge_mergepath_config_static_selectorELNS0_4arch9wavefront6targetE1EEEvSH_
    .private_segment_fixed_size: 0
    .sgpr_count:     4
    .sgpr_spill_count: 0
    .symbol:         _ZN7rocprim17ROCPRIM_400000_NS6detail17trampoline_kernelINS0_14default_configENS1_38merge_sort_block_merge_config_selectorIilEEZZNS1_27merge_sort_block_merge_implIS3_PiN6thrust23THRUST_200600_302600_NS10device_ptrIlEEjNS1_19radix_merge_compareILb0ELb1EiNS0_19identity_decomposerEEEEE10hipError_tT0_T1_T2_jT3_P12ihipStream_tbPNSt15iterator_traitsISG_E10value_typeEPNSM_ISH_E10value_typeEPSI_NS1_7vsmem_tEENKUlT_SG_SH_SI_E_clIS7_S7_PlSB_EESF_SV_SG_SH_SI_EUlSV_E0_NS1_11comp_targetILNS1_3genE10ELNS1_11target_archE1201ELNS1_3gpuE5ELNS1_3repE0EEENS1_38merge_mergepath_config_static_selectorELNS0_4arch9wavefront6targetE1EEEvSH_.kd
    .uniform_work_group_size: 1
    .uses_dynamic_stack: false
    .vgpr_count:     0
    .vgpr_spill_count: 0
    .wavefront_size: 64
  - .args:
      - .offset:         0
        .size:           64
        .value_kind:     by_value
    .group_segment_fixed_size: 0
    .kernarg_segment_align: 8
    .kernarg_segment_size: 64
    .language:       OpenCL C
    .language_version:
      - 2
      - 0
    .max_flat_workgroup_size: 256
    .name:           _ZN7rocprim17ROCPRIM_400000_NS6detail17trampoline_kernelINS0_14default_configENS1_38merge_sort_block_merge_config_selectorIilEEZZNS1_27merge_sort_block_merge_implIS3_PiN6thrust23THRUST_200600_302600_NS10device_ptrIlEEjNS1_19radix_merge_compareILb0ELb1EiNS0_19identity_decomposerEEEEE10hipError_tT0_T1_T2_jT3_P12ihipStream_tbPNSt15iterator_traitsISG_E10value_typeEPNSM_ISH_E10value_typeEPSI_NS1_7vsmem_tEENKUlT_SG_SH_SI_E_clIS7_S7_PlSB_EESF_SV_SG_SH_SI_EUlSV_E0_NS1_11comp_targetILNS1_3genE5ELNS1_11target_archE942ELNS1_3gpuE9ELNS1_3repE0EEENS1_38merge_mergepath_config_static_selectorELNS0_4arch9wavefront6targetE1EEEvSH_
    .private_segment_fixed_size: 0
    .sgpr_count:     4
    .sgpr_spill_count: 0
    .symbol:         _ZN7rocprim17ROCPRIM_400000_NS6detail17trampoline_kernelINS0_14default_configENS1_38merge_sort_block_merge_config_selectorIilEEZZNS1_27merge_sort_block_merge_implIS3_PiN6thrust23THRUST_200600_302600_NS10device_ptrIlEEjNS1_19radix_merge_compareILb0ELb1EiNS0_19identity_decomposerEEEEE10hipError_tT0_T1_T2_jT3_P12ihipStream_tbPNSt15iterator_traitsISG_E10value_typeEPNSM_ISH_E10value_typeEPSI_NS1_7vsmem_tEENKUlT_SG_SH_SI_E_clIS7_S7_PlSB_EESF_SV_SG_SH_SI_EUlSV_E0_NS1_11comp_targetILNS1_3genE5ELNS1_11target_archE942ELNS1_3gpuE9ELNS1_3repE0EEENS1_38merge_mergepath_config_static_selectorELNS0_4arch9wavefront6targetE1EEEvSH_.kd
    .uniform_work_group_size: 1
    .uses_dynamic_stack: false
    .vgpr_count:     0
    .vgpr_spill_count: 0
    .wavefront_size: 64
  - .args:
      - .offset:         0
        .size:           64
        .value_kind:     by_value
    .group_segment_fixed_size: 0
    .kernarg_segment_align: 8
    .kernarg_segment_size: 64
    .language:       OpenCL C
    .language_version:
      - 2
      - 0
    .max_flat_workgroup_size: 256
    .name:           _ZN7rocprim17ROCPRIM_400000_NS6detail17trampoline_kernelINS0_14default_configENS1_38merge_sort_block_merge_config_selectorIilEEZZNS1_27merge_sort_block_merge_implIS3_PiN6thrust23THRUST_200600_302600_NS10device_ptrIlEEjNS1_19radix_merge_compareILb0ELb1EiNS0_19identity_decomposerEEEEE10hipError_tT0_T1_T2_jT3_P12ihipStream_tbPNSt15iterator_traitsISG_E10value_typeEPNSM_ISH_E10value_typeEPSI_NS1_7vsmem_tEENKUlT_SG_SH_SI_E_clIS7_S7_PlSB_EESF_SV_SG_SH_SI_EUlSV_E0_NS1_11comp_targetILNS1_3genE4ELNS1_11target_archE910ELNS1_3gpuE8ELNS1_3repE0EEENS1_38merge_mergepath_config_static_selectorELNS0_4arch9wavefront6targetE1EEEvSH_
    .private_segment_fixed_size: 0
    .sgpr_count:     4
    .sgpr_spill_count: 0
    .symbol:         _ZN7rocprim17ROCPRIM_400000_NS6detail17trampoline_kernelINS0_14default_configENS1_38merge_sort_block_merge_config_selectorIilEEZZNS1_27merge_sort_block_merge_implIS3_PiN6thrust23THRUST_200600_302600_NS10device_ptrIlEEjNS1_19radix_merge_compareILb0ELb1EiNS0_19identity_decomposerEEEEE10hipError_tT0_T1_T2_jT3_P12ihipStream_tbPNSt15iterator_traitsISG_E10value_typeEPNSM_ISH_E10value_typeEPSI_NS1_7vsmem_tEENKUlT_SG_SH_SI_E_clIS7_S7_PlSB_EESF_SV_SG_SH_SI_EUlSV_E0_NS1_11comp_targetILNS1_3genE4ELNS1_11target_archE910ELNS1_3gpuE8ELNS1_3repE0EEENS1_38merge_mergepath_config_static_selectorELNS0_4arch9wavefront6targetE1EEEvSH_.kd
    .uniform_work_group_size: 1
    .uses_dynamic_stack: false
    .vgpr_count:     0
    .vgpr_spill_count: 0
    .wavefront_size: 64
  - .args:
      - .offset:         0
        .size:           64
        .value_kind:     by_value
    .group_segment_fixed_size: 0
    .kernarg_segment_align: 8
    .kernarg_segment_size: 64
    .language:       OpenCL C
    .language_version:
      - 2
      - 0
    .max_flat_workgroup_size: 512
    .name:           _ZN7rocprim17ROCPRIM_400000_NS6detail17trampoline_kernelINS0_14default_configENS1_38merge_sort_block_merge_config_selectorIilEEZZNS1_27merge_sort_block_merge_implIS3_PiN6thrust23THRUST_200600_302600_NS10device_ptrIlEEjNS1_19radix_merge_compareILb0ELb1EiNS0_19identity_decomposerEEEEE10hipError_tT0_T1_T2_jT3_P12ihipStream_tbPNSt15iterator_traitsISG_E10value_typeEPNSM_ISH_E10value_typeEPSI_NS1_7vsmem_tEENKUlT_SG_SH_SI_E_clIS7_S7_PlSB_EESF_SV_SG_SH_SI_EUlSV_E0_NS1_11comp_targetILNS1_3genE3ELNS1_11target_archE908ELNS1_3gpuE7ELNS1_3repE0EEENS1_38merge_mergepath_config_static_selectorELNS0_4arch9wavefront6targetE1EEEvSH_
    .private_segment_fixed_size: 0
    .sgpr_count:     4
    .sgpr_spill_count: 0
    .symbol:         _ZN7rocprim17ROCPRIM_400000_NS6detail17trampoline_kernelINS0_14default_configENS1_38merge_sort_block_merge_config_selectorIilEEZZNS1_27merge_sort_block_merge_implIS3_PiN6thrust23THRUST_200600_302600_NS10device_ptrIlEEjNS1_19radix_merge_compareILb0ELb1EiNS0_19identity_decomposerEEEEE10hipError_tT0_T1_T2_jT3_P12ihipStream_tbPNSt15iterator_traitsISG_E10value_typeEPNSM_ISH_E10value_typeEPSI_NS1_7vsmem_tEENKUlT_SG_SH_SI_E_clIS7_S7_PlSB_EESF_SV_SG_SH_SI_EUlSV_E0_NS1_11comp_targetILNS1_3genE3ELNS1_11target_archE908ELNS1_3gpuE7ELNS1_3repE0EEENS1_38merge_mergepath_config_static_selectorELNS0_4arch9wavefront6targetE1EEEvSH_.kd
    .uniform_work_group_size: 1
    .uses_dynamic_stack: false
    .vgpr_count:     0
    .vgpr_spill_count: 0
    .wavefront_size: 64
  - .args:
      - .offset:         0
        .size:           64
        .value_kind:     by_value
      - .offset:         64
        .size:           4
        .value_kind:     hidden_block_count_x
      - .offset:         68
        .size:           4
        .value_kind:     hidden_block_count_y
      - .offset:         72
        .size:           4
        .value_kind:     hidden_block_count_z
      - .offset:         76
        .size:           2
        .value_kind:     hidden_group_size_x
      - .offset:         78
        .size:           2
        .value_kind:     hidden_group_size_y
      - .offset:         80
        .size:           2
        .value_kind:     hidden_group_size_z
      - .offset:         82
        .size:           2
        .value_kind:     hidden_remainder_x
      - .offset:         84
        .size:           2
        .value_kind:     hidden_remainder_y
      - .offset:         86
        .size:           2
        .value_kind:     hidden_remainder_z
      - .offset:         104
        .size:           8
        .value_kind:     hidden_global_offset_x
      - .offset:         112
        .size:           8
        .value_kind:     hidden_global_offset_y
      - .offset:         120
        .size:           8
        .value_kind:     hidden_global_offset_z
      - .offset:         128
        .size:           2
        .value_kind:     hidden_grid_dims
    .group_segment_fixed_size: 8448
    .kernarg_segment_align: 8
    .kernarg_segment_size: 320
    .language:       OpenCL C
    .language_version:
      - 2
      - 0
    .max_flat_workgroup_size: 256
    .name:           _ZN7rocprim17ROCPRIM_400000_NS6detail17trampoline_kernelINS0_14default_configENS1_38merge_sort_block_merge_config_selectorIilEEZZNS1_27merge_sort_block_merge_implIS3_PiN6thrust23THRUST_200600_302600_NS10device_ptrIlEEjNS1_19radix_merge_compareILb0ELb1EiNS0_19identity_decomposerEEEEE10hipError_tT0_T1_T2_jT3_P12ihipStream_tbPNSt15iterator_traitsISG_E10value_typeEPNSM_ISH_E10value_typeEPSI_NS1_7vsmem_tEENKUlT_SG_SH_SI_E_clIS7_S7_PlSB_EESF_SV_SG_SH_SI_EUlSV_E0_NS1_11comp_targetILNS1_3genE2ELNS1_11target_archE906ELNS1_3gpuE6ELNS1_3repE0EEENS1_38merge_mergepath_config_static_selectorELNS0_4arch9wavefront6targetE1EEEvSH_
    .private_segment_fixed_size: 0
    .sgpr_count:     38
    .sgpr_spill_count: 0
    .symbol:         _ZN7rocprim17ROCPRIM_400000_NS6detail17trampoline_kernelINS0_14default_configENS1_38merge_sort_block_merge_config_selectorIilEEZZNS1_27merge_sort_block_merge_implIS3_PiN6thrust23THRUST_200600_302600_NS10device_ptrIlEEjNS1_19radix_merge_compareILb0ELb1EiNS0_19identity_decomposerEEEEE10hipError_tT0_T1_T2_jT3_P12ihipStream_tbPNSt15iterator_traitsISG_E10value_typeEPNSM_ISH_E10value_typeEPSI_NS1_7vsmem_tEENKUlT_SG_SH_SI_E_clIS7_S7_PlSB_EESF_SV_SG_SH_SI_EUlSV_E0_NS1_11comp_targetILNS1_3genE2ELNS1_11target_archE906ELNS1_3gpuE6ELNS1_3repE0EEENS1_38merge_mergepath_config_static_selectorELNS0_4arch9wavefront6targetE1EEEvSH_.kd
    .uniform_work_group_size: 1
    .uses_dynamic_stack: false
    .vgpr_count:     35
    .vgpr_spill_count: 0
    .wavefront_size: 64
  - .args:
      - .offset:         0
        .size:           64
        .value_kind:     by_value
    .group_segment_fixed_size: 0
    .kernarg_segment_align: 8
    .kernarg_segment_size: 64
    .language:       OpenCL C
    .language_version:
      - 2
      - 0
    .max_flat_workgroup_size: 512
    .name:           _ZN7rocprim17ROCPRIM_400000_NS6detail17trampoline_kernelINS0_14default_configENS1_38merge_sort_block_merge_config_selectorIilEEZZNS1_27merge_sort_block_merge_implIS3_PiN6thrust23THRUST_200600_302600_NS10device_ptrIlEEjNS1_19radix_merge_compareILb0ELb1EiNS0_19identity_decomposerEEEEE10hipError_tT0_T1_T2_jT3_P12ihipStream_tbPNSt15iterator_traitsISG_E10value_typeEPNSM_ISH_E10value_typeEPSI_NS1_7vsmem_tEENKUlT_SG_SH_SI_E_clIS7_S7_PlSB_EESF_SV_SG_SH_SI_EUlSV_E0_NS1_11comp_targetILNS1_3genE9ELNS1_11target_archE1100ELNS1_3gpuE3ELNS1_3repE0EEENS1_38merge_mergepath_config_static_selectorELNS0_4arch9wavefront6targetE1EEEvSH_
    .private_segment_fixed_size: 0
    .sgpr_count:     4
    .sgpr_spill_count: 0
    .symbol:         _ZN7rocprim17ROCPRIM_400000_NS6detail17trampoline_kernelINS0_14default_configENS1_38merge_sort_block_merge_config_selectorIilEEZZNS1_27merge_sort_block_merge_implIS3_PiN6thrust23THRUST_200600_302600_NS10device_ptrIlEEjNS1_19radix_merge_compareILb0ELb1EiNS0_19identity_decomposerEEEEE10hipError_tT0_T1_T2_jT3_P12ihipStream_tbPNSt15iterator_traitsISG_E10value_typeEPNSM_ISH_E10value_typeEPSI_NS1_7vsmem_tEENKUlT_SG_SH_SI_E_clIS7_S7_PlSB_EESF_SV_SG_SH_SI_EUlSV_E0_NS1_11comp_targetILNS1_3genE9ELNS1_11target_archE1100ELNS1_3gpuE3ELNS1_3repE0EEENS1_38merge_mergepath_config_static_selectorELNS0_4arch9wavefront6targetE1EEEvSH_.kd
    .uniform_work_group_size: 1
    .uses_dynamic_stack: false
    .vgpr_count:     0
    .vgpr_spill_count: 0
    .wavefront_size: 64
  - .args:
      - .offset:         0
        .size:           64
        .value_kind:     by_value
    .group_segment_fixed_size: 0
    .kernarg_segment_align: 8
    .kernarg_segment_size: 64
    .language:       OpenCL C
    .language_version:
      - 2
      - 0
    .max_flat_workgroup_size: 1024
    .name:           _ZN7rocprim17ROCPRIM_400000_NS6detail17trampoline_kernelINS0_14default_configENS1_38merge_sort_block_merge_config_selectorIilEEZZNS1_27merge_sort_block_merge_implIS3_PiN6thrust23THRUST_200600_302600_NS10device_ptrIlEEjNS1_19radix_merge_compareILb0ELb1EiNS0_19identity_decomposerEEEEE10hipError_tT0_T1_T2_jT3_P12ihipStream_tbPNSt15iterator_traitsISG_E10value_typeEPNSM_ISH_E10value_typeEPSI_NS1_7vsmem_tEENKUlT_SG_SH_SI_E_clIS7_S7_PlSB_EESF_SV_SG_SH_SI_EUlSV_E0_NS1_11comp_targetILNS1_3genE8ELNS1_11target_archE1030ELNS1_3gpuE2ELNS1_3repE0EEENS1_38merge_mergepath_config_static_selectorELNS0_4arch9wavefront6targetE1EEEvSH_
    .private_segment_fixed_size: 0
    .sgpr_count:     4
    .sgpr_spill_count: 0
    .symbol:         _ZN7rocprim17ROCPRIM_400000_NS6detail17trampoline_kernelINS0_14default_configENS1_38merge_sort_block_merge_config_selectorIilEEZZNS1_27merge_sort_block_merge_implIS3_PiN6thrust23THRUST_200600_302600_NS10device_ptrIlEEjNS1_19radix_merge_compareILb0ELb1EiNS0_19identity_decomposerEEEEE10hipError_tT0_T1_T2_jT3_P12ihipStream_tbPNSt15iterator_traitsISG_E10value_typeEPNSM_ISH_E10value_typeEPSI_NS1_7vsmem_tEENKUlT_SG_SH_SI_E_clIS7_S7_PlSB_EESF_SV_SG_SH_SI_EUlSV_E0_NS1_11comp_targetILNS1_3genE8ELNS1_11target_archE1030ELNS1_3gpuE2ELNS1_3repE0EEENS1_38merge_mergepath_config_static_selectorELNS0_4arch9wavefront6targetE1EEEvSH_.kd
    .uniform_work_group_size: 1
    .uses_dynamic_stack: false
    .vgpr_count:     0
    .vgpr_spill_count: 0
    .wavefront_size: 64
  - .args:
      - .offset:         0
        .size:           48
        .value_kind:     by_value
    .group_segment_fixed_size: 0
    .kernarg_segment_align: 8
    .kernarg_segment_size: 48
    .language:       OpenCL C
    .language_version:
      - 2
      - 0
    .max_flat_workgroup_size: 256
    .name:           _ZN7rocprim17ROCPRIM_400000_NS6detail17trampoline_kernelINS0_14default_configENS1_38merge_sort_block_merge_config_selectorIilEEZZNS1_27merge_sort_block_merge_implIS3_PiN6thrust23THRUST_200600_302600_NS10device_ptrIlEEjNS1_19radix_merge_compareILb0ELb1EiNS0_19identity_decomposerEEEEE10hipError_tT0_T1_T2_jT3_P12ihipStream_tbPNSt15iterator_traitsISG_E10value_typeEPNSM_ISH_E10value_typeEPSI_NS1_7vsmem_tEENKUlT_SG_SH_SI_E_clIS7_S7_PlSB_EESF_SV_SG_SH_SI_EUlSV_E1_NS1_11comp_targetILNS1_3genE0ELNS1_11target_archE4294967295ELNS1_3gpuE0ELNS1_3repE0EEENS1_36merge_oddeven_config_static_selectorELNS0_4arch9wavefront6targetE1EEEvSH_
    .private_segment_fixed_size: 0
    .sgpr_count:     4
    .sgpr_spill_count: 0
    .symbol:         _ZN7rocprim17ROCPRIM_400000_NS6detail17trampoline_kernelINS0_14default_configENS1_38merge_sort_block_merge_config_selectorIilEEZZNS1_27merge_sort_block_merge_implIS3_PiN6thrust23THRUST_200600_302600_NS10device_ptrIlEEjNS1_19radix_merge_compareILb0ELb1EiNS0_19identity_decomposerEEEEE10hipError_tT0_T1_T2_jT3_P12ihipStream_tbPNSt15iterator_traitsISG_E10value_typeEPNSM_ISH_E10value_typeEPSI_NS1_7vsmem_tEENKUlT_SG_SH_SI_E_clIS7_S7_PlSB_EESF_SV_SG_SH_SI_EUlSV_E1_NS1_11comp_targetILNS1_3genE0ELNS1_11target_archE4294967295ELNS1_3gpuE0ELNS1_3repE0EEENS1_36merge_oddeven_config_static_selectorELNS0_4arch9wavefront6targetE1EEEvSH_.kd
    .uniform_work_group_size: 1
    .uses_dynamic_stack: false
    .vgpr_count:     0
    .vgpr_spill_count: 0
    .wavefront_size: 64
  - .args:
      - .offset:         0
        .size:           48
        .value_kind:     by_value
    .group_segment_fixed_size: 0
    .kernarg_segment_align: 8
    .kernarg_segment_size: 48
    .language:       OpenCL C
    .language_version:
      - 2
      - 0
    .max_flat_workgroup_size: 256
    .name:           _ZN7rocprim17ROCPRIM_400000_NS6detail17trampoline_kernelINS0_14default_configENS1_38merge_sort_block_merge_config_selectorIilEEZZNS1_27merge_sort_block_merge_implIS3_PiN6thrust23THRUST_200600_302600_NS10device_ptrIlEEjNS1_19radix_merge_compareILb0ELb1EiNS0_19identity_decomposerEEEEE10hipError_tT0_T1_T2_jT3_P12ihipStream_tbPNSt15iterator_traitsISG_E10value_typeEPNSM_ISH_E10value_typeEPSI_NS1_7vsmem_tEENKUlT_SG_SH_SI_E_clIS7_S7_PlSB_EESF_SV_SG_SH_SI_EUlSV_E1_NS1_11comp_targetILNS1_3genE10ELNS1_11target_archE1201ELNS1_3gpuE5ELNS1_3repE0EEENS1_36merge_oddeven_config_static_selectorELNS0_4arch9wavefront6targetE1EEEvSH_
    .private_segment_fixed_size: 0
    .sgpr_count:     4
    .sgpr_spill_count: 0
    .symbol:         _ZN7rocprim17ROCPRIM_400000_NS6detail17trampoline_kernelINS0_14default_configENS1_38merge_sort_block_merge_config_selectorIilEEZZNS1_27merge_sort_block_merge_implIS3_PiN6thrust23THRUST_200600_302600_NS10device_ptrIlEEjNS1_19radix_merge_compareILb0ELb1EiNS0_19identity_decomposerEEEEE10hipError_tT0_T1_T2_jT3_P12ihipStream_tbPNSt15iterator_traitsISG_E10value_typeEPNSM_ISH_E10value_typeEPSI_NS1_7vsmem_tEENKUlT_SG_SH_SI_E_clIS7_S7_PlSB_EESF_SV_SG_SH_SI_EUlSV_E1_NS1_11comp_targetILNS1_3genE10ELNS1_11target_archE1201ELNS1_3gpuE5ELNS1_3repE0EEENS1_36merge_oddeven_config_static_selectorELNS0_4arch9wavefront6targetE1EEEvSH_.kd
    .uniform_work_group_size: 1
    .uses_dynamic_stack: false
    .vgpr_count:     0
    .vgpr_spill_count: 0
    .wavefront_size: 64
  - .args:
      - .offset:         0
        .size:           48
        .value_kind:     by_value
    .group_segment_fixed_size: 0
    .kernarg_segment_align: 8
    .kernarg_segment_size: 48
    .language:       OpenCL C
    .language_version:
      - 2
      - 0
    .max_flat_workgroup_size: 256
    .name:           _ZN7rocprim17ROCPRIM_400000_NS6detail17trampoline_kernelINS0_14default_configENS1_38merge_sort_block_merge_config_selectorIilEEZZNS1_27merge_sort_block_merge_implIS3_PiN6thrust23THRUST_200600_302600_NS10device_ptrIlEEjNS1_19radix_merge_compareILb0ELb1EiNS0_19identity_decomposerEEEEE10hipError_tT0_T1_T2_jT3_P12ihipStream_tbPNSt15iterator_traitsISG_E10value_typeEPNSM_ISH_E10value_typeEPSI_NS1_7vsmem_tEENKUlT_SG_SH_SI_E_clIS7_S7_PlSB_EESF_SV_SG_SH_SI_EUlSV_E1_NS1_11comp_targetILNS1_3genE5ELNS1_11target_archE942ELNS1_3gpuE9ELNS1_3repE0EEENS1_36merge_oddeven_config_static_selectorELNS0_4arch9wavefront6targetE1EEEvSH_
    .private_segment_fixed_size: 0
    .sgpr_count:     4
    .sgpr_spill_count: 0
    .symbol:         _ZN7rocprim17ROCPRIM_400000_NS6detail17trampoline_kernelINS0_14default_configENS1_38merge_sort_block_merge_config_selectorIilEEZZNS1_27merge_sort_block_merge_implIS3_PiN6thrust23THRUST_200600_302600_NS10device_ptrIlEEjNS1_19radix_merge_compareILb0ELb1EiNS0_19identity_decomposerEEEEE10hipError_tT0_T1_T2_jT3_P12ihipStream_tbPNSt15iterator_traitsISG_E10value_typeEPNSM_ISH_E10value_typeEPSI_NS1_7vsmem_tEENKUlT_SG_SH_SI_E_clIS7_S7_PlSB_EESF_SV_SG_SH_SI_EUlSV_E1_NS1_11comp_targetILNS1_3genE5ELNS1_11target_archE942ELNS1_3gpuE9ELNS1_3repE0EEENS1_36merge_oddeven_config_static_selectorELNS0_4arch9wavefront6targetE1EEEvSH_.kd
    .uniform_work_group_size: 1
    .uses_dynamic_stack: false
    .vgpr_count:     0
    .vgpr_spill_count: 0
    .wavefront_size: 64
  - .args:
      - .offset:         0
        .size:           48
        .value_kind:     by_value
    .group_segment_fixed_size: 0
    .kernarg_segment_align: 8
    .kernarg_segment_size: 48
    .language:       OpenCL C
    .language_version:
      - 2
      - 0
    .max_flat_workgroup_size: 256
    .name:           _ZN7rocprim17ROCPRIM_400000_NS6detail17trampoline_kernelINS0_14default_configENS1_38merge_sort_block_merge_config_selectorIilEEZZNS1_27merge_sort_block_merge_implIS3_PiN6thrust23THRUST_200600_302600_NS10device_ptrIlEEjNS1_19radix_merge_compareILb0ELb1EiNS0_19identity_decomposerEEEEE10hipError_tT0_T1_T2_jT3_P12ihipStream_tbPNSt15iterator_traitsISG_E10value_typeEPNSM_ISH_E10value_typeEPSI_NS1_7vsmem_tEENKUlT_SG_SH_SI_E_clIS7_S7_PlSB_EESF_SV_SG_SH_SI_EUlSV_E1_NS1_11comp_targetILNS1_3genE4ELNS1_11target_archE910ELNS1_3gpuE8ELNS1_3repE0EEENS1_36merge_oddeven_config_static_selectorELNS0_4arch9wavefront6targetE1EEEvSH_
    .private_segment_fixed_size: 0
    .sgpr_count:     4
    .sgpr_spill_count: 0
    .symbol:         _ZN7rocprim17ROCPRIM_400000_NS6detail17trampoline_kernelINS0_14default_configENS1_38merge_sort_block_merge_config_selectorIilEEZZNS1_27merge_sort_block_merge_implIS3_PiN6thrust23THRUST_200600_302600_NS10device_ptrIlEEjNS1_19radix_merge_compareILb0ELb1EiNS0_19identity_decomposerEEEEE10hipError_tT0_T1_T2_jT3_P12ihipStream_tbPNSt15iterator_traitsISG_E10value_typeEPNSM_ISH_E10value_typeEPSI_NS1_7vsmem_tEENKUlT_SG_SH_SI_E_clIS7_S7_PlSB_EESF_SV_SG_SH_SI_EUlSV_E1_NS1_11comp_targetILNS1_3genE4ELNS1_11target_archE910ELNS1_3gpuE8ELNS1_3repE0EEENS1_36merge_oddeven_config_static_selectorELNS0_4arch9wavefront6targetE1EEEvSH_.kd
    .uniform_work_group_size: 1
    .uses_dynamic_stack: false
    .vgpr_count:     0
    .vgpr_spill_count: 0
    .wavefront_size: 64
  - .args:
      - .offset:         0
        .size:           48
        .value_kind:     by_value
    .group_segment_fixed_size: 0
    .kernarg_segment_align: 8
    .kernarg_segment_size: 48
    .language:       OpenCL C
    .language_version:
      - 2
      - 0
    .max_flat_workgroup_size: 256
    .name:           _ZN7rocprim17ROCPRIM_400000_NS6detail17trampoline_kernelINS0_14default_configENS1_38merge_sort_block_merge_config_selectorIilEEZZNS1_27merge_sort_block_merge_implIS3_PiN6thrust23THRUST_200600_302600_NS10device_ptrIlEEjNS1_19radix_merge_compareILb0ELb1EiNS0_19identity_decomposerEEEEE10hipError_tT0_T1_T2_jT3_P12ihipStream_tbPNSt15iterator_traitsISG_E10value_typeEPNSM_ISH_E10value_typeEPSI_NS1_7vsmem_tEENKUlT_SG_SH_SI_E_clIS7_S7_PlSB_EESF_SV_SG_SH_SI_EUlSV_E1_NS1_11comp_targetILNS1_3genE3ELNS1_11target_archE908ELNS1_3gpuE7ELNS1_3repE0EEENS1_36merge_oddeven_config_static_selectorELNS0_4arch9wavefront6targetE1EEEvSH_
    .private_segment_fixed_size: 0
    .sgpr_count:     4
    .sgpr_spill_count: 0
    .symbol:         _ZN7rocprim17ROCPRIM_400000_NS6detail17trampoline_kernelINS0_14default_configENS1_38merge_sort_block_merge_config_selectorIilEEZZNS1_27merge_sort_block_merge_implIS3_PiN6thrust23THRUST_200600_302600_NS10device_ptrIlEEjNS1_19radix_merge_compareILb0ELb1EiNS0_19identity_decomposerEEEEE10hipError_tT0_T1_T2_jT3_P12ihipStream_tbPNSt15iterator_traitsISG_E10value_typeEPNSM_ISH_E10value_typeEPSI_NS1_7vsmem_tEENKUlT_SG_SH_SI_E_clIS7_S7_PlSB_EESF_SV_SG_SH_SI_EUlSV_E1_NS1_11comp_targetILNS1_3genE3ELNS1_11target_archE908ELNS1_3gpuE7ELNS1_3repE0EEENS1_36merge_oddeven_config_static_selectorELNS0_4arch9wavefront6targetE1EEEvSH_.kd
    .uniform_work_group_size: 1
    .uses_dynamic_stack: false
    .vgpr_count:     0
    .vgpr_spill_count: 0
    .wavefront_size: 64
  - .args:
      - .offset:         0
        .size:           48
        .value_kind:     by_value
    .group_segment_fixed_size: 0
    .kernarg_segment_align: 8
    .kernarg_segment_size: 48
    .language:       OpenCL C
    .language_version:
      - 2
      - 0
    .max_flat_workgroup_size: 256
    .name:           _ZN7rocprim17ROCPRIM_400000_NS6detail17trampoline_kernelINS0_14default_configENS1_38merge_sort_block_merge_config_selectorIilEEZZNS1_27merge_sort_block_merge_implIS3_PiN6thrust23THRUST_200600_302600_NS10device_ptrIlEEjNS1_19radix_merge_compareILb0ELb1EiNS0_19identity_decomposerEEEEE10hipError_tT0_T1_T2_jT3_P12ihipStream_tbPNSt15iterator_traitsISG_E10value_typeEPNSM_ISH_E10value_typeEPSI_NS1_7vsmem_tEENKUlT_SG_SH_SI_E_clIS7_S7_PlSB_EESF_SV_SG_SH_SI_EUlSV_E1_NS1_11comp_targetILNS1_3genE2ELNS1_11target_archE906ELNS1_3gpuE6ELNS1_3repE0EEENS1_36merge_oddeven_config_static_selectorELNS0_4arch9wavefront6targetE1EEEvSH_
    .private_segment_fixed_size: 0
    .sgpr_count:     28
    .sgpr_spill_count: 0
    .symbol:         _ZN7rocprim17ROCPRIM_400000_NS6detail17trampoline_kernelINS0_14default_configENS1_38merge_sort_block_merge_config_selectorIilEEZZNS1_27merge_sort_block_merge_implIS3_PiN6thrust23THRUST_200600_302600_NS10device_ptrIlEEjNS1_19radix_merge_compareILb0ELb1EiNS0_19identity_decomposerEEEEE10hipError_tT0_T1_T2_jT3_P12ihipStream_tbPNSt15iterator_traitsISG_E10value_typeEPNSM_ISH_E10value_typeEPSI_NS1_7vsmem_tEENKUlT_SG_SH_SI_E_clIS7_S7_PlSB_EESF_SV_SG_SH_SI_EUlSV_E1_NS1_11comp_targetILNS1_3genE2ELNS1_11target_archE906ELNS1_3gpuE6ELNS1_3repE0EEENS1_36merge_oddeven_config_static_selectorELNS0_4arch9wavefront6targetE1EEEvSH_.kd
    .uniform_work_group_size: 1
    .uses_dynamic_stack: false
    .vgpr_count:     13
    .vgpr_spill_count: 0
    .wavefront_size: 64
  - .args:
      - .offset:         0
        .size:           48
        .value_kind:     by_value
    .group_segment_fixed_size: 0
    .kernarg_segment_align: 8
    .kernarg_segment_size: 48
    .language:       OpenCL C
    .language_version:
      - 2
      - 0
    .max_flat_workgroup_size: 256
    .name:           _ZN7rocprim17ROCPRIM_400000_NS6detail17trampoline_kernelINS0_14default_configENS1_38merge_sort_block_merge_config_selectorIilEEZZNS1_27merge_sort_block_merge_implIS3_PiN6thrust23THRUST_200600_302600_NS10device_ptrIlEEjNS1_19radix_merge_compareILb0ELb1EiNS0_19identity_decomposerEEEEE10hipError_tT0_T1_T2_jT3_P12ihipStream_tbPNSt15iterator_traitsISG_E10value_typeEPNSM_ISH_E10value_typeEPSI_NS1_7vsmem_tEENKUlT_SG_SH_SI_E_clIS7_S7_PlSB_EESF_SV_SG_SH_SI_EUlSV_E1_NS1_11comp_targetILNS1_3genE9ELNS1_11target_archE1100ELNS1_3gpuE3ELNS1_3repE0EEENS1_36merge_oddeven_config_static_selectorELNS0_4arch9wavefront6targetE1EEEvSH_
    .private_segment_fixed_size: 0
    .sgpr_count:     4
    .sgpr_spill_count: 0
    .symbol:         _ZN7rocprim17ROCPRIM_400000_NS6detail17trampoline_kernelINS0_14default_configENS1_38merge_sort_block_merge_config_selectorIilEEZZNS1_27merge_sort_block_merge_implIS3_PiN6thrust23THRUST_200600_302600_NS10device_ptrIlEEjNS1_19radix_merge_compareILb0ELb1EiNS0_19identity_decomposerEEEEE10hipError_tT0_T1_T2_jT3_P12ihipStream_tbPNSt15iterator_traitsISG_E10value_typeEPNSM_ISH_E10value_typeEPSI_NS1_7vsmem_tEENKUlT_SG_SH_SI_E_clIS7_S7_PlSB_EESF_SV_SG_SH_SI_EUlSV_E1_NS1_11comp_targetILNS1_3genE9ELNS1_11target_archE1100ELNS1_3gpuE3ELNS1_3repE0EEENS1_36merge_oddeven_config_static_selectorELNS0_4arch9wavefront6targetE1EEEvSH_.kd
    .uniform_work_group_size: 1
    .uses_dynamic_stack: false
    .vgpr_count:     0
    .vgpr_spill_count: 0
    .wavefront_size: 64
  - .args:
      - .offset:         0
        .size:           48
        .value_kind:     by_value
    .group_segment_fixed_size: 0
    .kernarg_segment_align: 8
    .kernarg_segment_size: 48
    .language:       OpenCL C
    .language_version:
      - 2
      - 0
    .max_flat_workgroup_size: 256
    .name:           _ZN7rocprim17ROCPRIM_400000_NS6detail17trampoline_kernelINS0_14default_configENS1_38merge_sort_block_merge_config_selectorIilEEZZNS1_27merge_sort_block_merge_implIS3_PiN6thrust23THRUST_200600_302600_NS10device_ptrIlEEjNS1_19radix_merge_compareILb0ELb1EiNS0_19identity_decomposerEEEEE10hipError_tT0_T1_T2_jT3_P12ihipStream_tbPNSt15iterator_traitsISG_E10value_typeEPNSM_ISH_E10value_typeEPSI_NS1_7vsmem_tEENKUlT_SG_SH_SI_E_clIS7_S7_PlSB_EESF_SV_SG_SH_SI_EUlSV_E1_NS1_11comp_targetILNS1_3genE8ELNS1_11target_archE1030ELNS1_3gpuE2ELNS1_3repE0EEENS1_36merge_oddeven_config_static_selectorELNS0_4arch9wavefront6targetE1EEEvSH_
    .private_segment_fixed_size: 0
    .sgpr_count:     4
    .sgpr_spill_count: 0
    .symbol:         _ZN7rocprim17ROCPRIM_400000_NS6detail17trampoline_kernelINS0_14default_configENS1_38merge_sort_block_merge_config_selectorIilEEZZNS1_27merge_sort_block_merge_implIS3_PiN6thrust23THRUST_200600_302600_NS10device_ptrIlEEjNS1_19radix_merge_compareILb0ELb1EiNS0_19identity_decomposerEEEEE10hipError_tT0_T1_T2_jT3_P12ihipStream_tbPNSt15iterator_traitsISG_E10value_typeEPNSM_ISH_E10value_typeEPSI_NS1_7vsmem_tEENKUlT_SG_SH_SI_E_clIS7_S7_PlSB_EESF_SV_SG_SH_SI_EUlSV_E1_NS1_11comp_targetILNS1_3genE8ELNS1_11target_archE1030ELNS1_3gpuE2ELNS1_3repE0EEENS1_36merge_oddeven_config_static_selectorELNS0_4arch9wavefront6targetE1EEEvSH_.kd
    .uniform_work_group_size: 1
    .uses_dynamic_stack: false
    .vgpr_count:     0
    .vgpr_spill_count: 0
    .wavefront_size: 64
  - .args:
      - .offset:         0
        .size:           40
        .value_kind:     by_value
    .group_segment_fixed_size: 0
    .kernarg_segment_align: 8
    .kernarg_segment_size: 40
    .language:       OpenCL C
    .language_version:
      - 2
      - 0
    .max_flat_workgroup_size: 128
    .name:           _ZN7rocprim17ROCPRIM_400000_NS6detail17trampoline_kernelINS0_14default_configENS1_38merge_sort_block_merge_config_selectorIilEEZZNS1_27merge_sort_block_merge_implIS3_PiN6thrust23THRUST_200600_302600_NS10device_ptrIlEEjNS1_19radix_merge_compareILb0ELb1EiNS0_19identity_decomposerEEEEE10hipError_tT0_T1_T2_jT3_P12ihipStream_tbPNSt15iterator_traitsISG_E10value_typeEPNSM_ISH_E10value_typeEPSI_NS1_7vsmem_tEENKUlT_SG_SH_SI_E_clIS7_S7_SB_PlEESF_SV_SG_SH_SI_EUlSV_E_NS1_11comp_targetILNS1_3genE0ELNS1_11target_archE4294967295ELNS1_3gpuE0ELNS1_3repE0EEENS1_48merge_mergepath_partition_config_static_selectorELNS0_4arch9wavefront6targetE1EEEvSH_
    .private_segment_fixed_size: 0
    .sgpr_count:     4
    .sgpr_spill_count: 0
    .symbol:         _ZN7rocprim17ROCPRIM_400000_NS6detail17trampoline_kernelINS0_14default_configENS1_38merge_sort_block_merge_config_selectorIilEEZZNS1_27merge_sort_block_merge_implIS3_PiN6thrust23THRUST_200600_302600_NS10device_ptrIlEEjNS1_19radix_merge_compareILb0ELb1EiNS0_19identity_decomposerEEEEE10hipError_tT0_T1_T2_jT3_P12ihipStream_tbPNSt15iterator_traitsISG_E10value_typeEPNSM_ISH_E10value_typeEPSI_NS1_7vsmem_tEENKUlT_SG_SH_SI_E_clIS7_S7_SB_PlEESF_SV_SG_SH_SI_EUlSV_E_NS1_11comp_targetILNS1_3genE0ELNS1_11target_archE4294967295ELNS1_3gpuE0ELNS1_3repE0EEENS1_48merge_mergepath_partition_config_static_selectorELNS0_4arch9wavefront6targetE1EEEvSH_.kd
    .uniform_work_group_size: 1
    .uses_dynamic_stack: false
    .vgpr_count:     0
    .vgpr_spill_count: 0
    .wavefront_size: 64
  - .args:
      - .offset:         0
        .size:           40
        .value_kind:     by_value
    .group_segment_fixed_size: 0
    .kernarg_segment_align: 8
    .kernarg_segment_size: 40
    .language:       OpenCL C
    .language_version:
      - 2
      - 0
    .max_flat_workgroup_size: 128
    .name:           _ZN7rocprim17ROCPRIM_400000_NS6detail17trampoline_kernelINS0_14default_configENS1_38merge_sort_block_merge_config_selectorIilEEZZNS1_27merge_sort_block_merge_implIS3_PiN6thrust23THRUST_200600_302600_NS10device_ptrIlEEjNS1_19radix_merge_compareILb0ELb1EiNS0_19identity_decomposerEEEEE10hipError_tT0_T1_T2_jT3_P12ihipStream_tbPNSt15iterator_traitsISG_E10value_typeEPNSM_ISH_E10value_typeEPSI_NS1_7vsmem_tEENKUlT_SG_SH_SI_E_clIS7_S7_SB_PlEESF_SV_SG_SH_SI_EUlSV_E_NS1_11comp_targetILNS1_3genE10ELNS1_11target_archE1201ELNS1_3gpuE5ELNS1_3repE0EEENS1_48merge_mergepath_partition_config_static_selectorELNS0_4arch9wavefront6targetE1EEEvSH_
    .private_segment_fixed_size: 0
    .sgpr_count:     4
    .sgpr_spill_count: 0
    .symbol:         _ZN7rocprim17ROCPRIM_400000_NS6detail17trampoline_kernelINS0_14default_configENS1_38merge_sort_block_merge_config_selectorIilEEZZNS1_27merge_sort_block_merge_implIS3_PiN6thrust23THRUST_200600_302600_NS10device_ptrIlEEjNS1_19radix_merge_compareILb0ELb1EiNS0_19identity_decomposerEEEEE10hipError_tT0_T1_T2_jT3_P12ihipStream_tbPNSt15iterator_traitsISG_E10value_typeEPNSM_ISH_E10value_typeEPSI_NS1_7vsmem_tEENKUlT_SG_SH_SI_E_clIS7_S7_SB_PlEESF_SV_SG_SH_SI_EUlSV_E_NS1_11comp_targetILNS1_3genE10ELNS1_11target_archE1201ELNS1_3gpuE5ELNS1_3repE0EEENS1_48merge_mergepath_partition_config_static_selectorELNS0_4arch9wavefront6targetE1EEEvSH_.kd
    .uniform_work_group_size: 1
    .uses_dynamic_stack: false
    .vgpr_count:     0
    .vgpr_spill_count: 0
    .wavefront_size: 64
  - .args:
      - .offset:         0
        .size:           40
        .value_kind:     by_value
    .group_segment_fixed_size: 0
    .kernarg_segment_align: 8
    .kernarg_segment_size: 40
    .language:       OpenCL C
    .language_version:
      - 2
      - 0
    .max_flat_workgroup_size: 128
    .name:           _ZN7rocprim17ROCPRIM_400000_NS6detail17trampoline_kernelINS0_14default_configENS1_38merge_sort_block_merge_config_selectorIilEEZZNS1_27merge_sort_block_merge_implIS3_PiN6thrust23THRUST_200600_302600_NS10device_ptrIlEEjNS1_19radix_merge_compareILb0ELb1EiNS0_19identity_decomposerEEEEE10hipError_tT0_T1_T2_jT3_P12ihipStream_tbPNSt15iterator_traitsISG_E10value_typeEPNSM_ISH_E10value_typeEPSI_NS1_7vsmem_tEENKUlT_SG_SH_SI_E_clIS7_S7_SB_PlEESF_SV_SG_SH_SI_EUlSV_E_NS1_11comp_targetILNS1_3genE5ELNS1_11target_archE942ELNS1_3gpuE9ELNS1_3repE0EEENS1_48merge_mergepath_partition_config_static_selectorELNS0_4arch9wavefront6targetE1EEEvSH_
    .private_segment_fixed_size: 0
    .sgpr_count:     4
    .sgpr_spill_count: 0
    .symbol:         _ZN7rocprim17ROCPRIM_400000_NS6detail17trampoline_kernelINS0_14default_configENS1_38merge_sort_block_merge_config_selectorIilEEZZNS1_27merge_sort_block_merge_implIS3_PiN6thrust23THRUST_200600_302600_NS10device_ptrIlEEjNS1_19radix_merge_compareILb0ELb1EiNS0_19identity_decomposerEEEEE10hipError_tT0_T1_T2_jT3_P12ihipStream_tbPNSt15iterator_traitsISG_E10value_typeEPNSM_ISH_E10value_typeEPSI_NS1_7vsmem_tEENKUlT_SG_SH_SI_E_clIS7_S7_SB_PlEESF_SV_SG_SH_SI_EUlSV_E_NS1_11comp_targetILNS1_3genE5ELNS1_11target_archE942ELNS1_3gpuE9ELNS1_3repE0EEENS1_48merge_mergepath_partition_config_static_selectorELNS0_4arch9wavefront6targetE1EEEvSH_.kd
    .uniform_work_group_size: 1
    .uses_dynamic_stack: false
    .vgpr_count:     0
    .vgpr_spill_count: 0
    .wavefront_size: 64
  - .args:
      - .offset:         0
        .size:           40
        .value_kind:     by_value
    .group_segment_fixed_size: 0
    .kernarg_segment_align: 8
    .kernarg_segment_size: 40
    .language:       OpenCL C
    .language_version:
      - 2
      - 0
    .max_flat_workgroup_size: 128
    .name:           _ZN7rocprim17ROCPRIM_400000_NS6detail17trampoline_kernelINS0_14default_configENS1_38merge_sort_block_merge_config_selectorIilEEZZNS1_27merge_sort_block_merge_implIS3_PiN6thrust23THRUST_200600_302600_NS10device_ptrIlEEjNS1_19radix_merge_compareILb0ELb1EiNS0_19identity_decomposerEEEEE10hipError_tT0_T1_T2_jT3_P12ihipStream_tbPNSt15iterator_traitsISG_E10value_typeEPNSM_ISH_E10value_typeEPSI_NS1_7vsmem_tEENKUlT_SG_SH_SI_E_clIS7_S7_SB_PlEESF_SV_SG_SH_SI_EUlSV_E_NS1_11comp_targetILNS1_3genE4ELNS1_11target_archE910ELNS1_3gpuE8ELNS1_3repE0EEENS1_48merge_mergepath_partition_config_static_selectorELNS0_4arch9wavefront6targetE1EEEvSH_
    .private_segment_fixed_size: 0
    .sgpr_count:     4
    .sgpr_spill_count: 0
    .symbol:         _ZN7rocprim17ROCPRIM_400000_NS6detail17trampoline_kernelINS0_14default_configENS1_38merge_sort_block_merge_config_selectorIilEEZZNS1_27merge_sort_block_merge_implIS3_PiN6thrust23THRUST_200600_302600_NS10device_ptrIlEEjNS1_19radix_merge_compareILb0ELb1EiNS0_19identity_decomposerEEEEE10hipError_tT0_T1_T2_jT3_P12ihipStream_tbPNSt15iterator_traitsISG_E10value_typeEPNSM_ISH_E10value_typeEPSI_NS1_7vsmem_tEENKUlT_SG_SH_SI_E_clIS7_S7_SB_PlEESF_SV_SG_SH_SI_EUlSV_E_NS1_11comp_targetILNS1_3genE4ELNS1_11target_archE910ELNS1_3gpuE8ELNS1_3repE0EEENS1_48merge_mergepath_partition_config_static_selectorELNS0_4arch9wavefront6targetE1EEEvSH_.kd
    .uniform_work_group_size: 1
    .uses_dynamic_stack: false
    .vgpr_count:     0
    .vgpr_spill_count: 0
    .wavefront_size: 64
  - .args:
      - .offset:         0
        .size:           40
        .value_kind:     by_value
    .group_segment_fixed_size: 0
    .kernarg_segment_align: 8
    .kernarg_segment_size: 40
    .language:       OpenCL C
    .language_version:
      - 2
      - 0
    .max_flat_workgroup_size: 128
    .name:           _ZN7rocprim17ROCPRIM_400000_NS6detail17trampoline_kernelINS0_14default_configENS1_38merge_sort_block_merge_config_selectorIilEEZZNS1_27merge_sort_block_merge_implIS3_PiN6thrust23THRUST_200600_302600_NS10device_ptrIlEEjNS1_19radix_merge_compareILb0ELb1EiNS0_19identity_decomposerEEEEE10hipError_tT0_T1_T2_jT3_P12ihipStream_tbPNSt15iterator_traitsISG_E10value_typeEPNSM_ISH_E10value_typeEPSI_NS1_7vsmem_tEENKUlT_SG_SH_SI_E_clIS7_S7_SB_PlEESF_SV_SG_SH_SI_EUlSV_E_NS1_11comp_targetILNS1_3genE3ELNS1_11target_archE908ELNS1_3gpuE7ELNS1_3repE0EEENS1_48merge_mergepath_partition_config_static_selectorELNS0_4arch9wavefront6targetE1EEEvSH_
    .private_segment_fixed_size: 0
    .sgpr_count:     4
    .sgpr_spill_count: 0
    .symbol:         _ZN7rocprim17ROCPRIM_400000_NS6detail17trampoline_kernelINS0_14default_configENS1_38merge_sort_block_merge_config_selectorIilEEZZNS1_27merge_sort_block_merge_implIS3_PiN6thrust23THRUST_200600_302600_NS10device_ptrIlEEjNS1_19radix_merge_compareILb0ELb1EiNS0_19identity_decomposerEEEEE10hipError_tT0_T1_T2_jT3_P12ihipStream_tbPNSt15iterator_traitsISG_E10value_typeEPNSM_ISH_E10value_typeEPSI_NS1_7vsmem_tEENKUlT_SG_SH_SI_E_clIS7_S7_SB_PlEESF_SV_SG_SH_SI_EUlSV_E_NS1_11comp_targetILNS1_3genE3ELNS1_11target_archE908ELNS1_3gpuE7ELNS1_3repE0EEENS1_48merge_mergepath_partition_config_static_selectorELNS0_4arch9wavefront6targetE1EEEvSH_.kd
    .uniform_work_group_size: 1
    .uses_dynamic_stack: false
    .vgpr_count:     0
    .vgpr_spill_count: 0
    .wavefront_size: 64
  - .args:
      - .offset:         0
        .size:           40
        .value_kind:     by_value
    .group_segment_fixed_size: 0
    .kernarg_segment_align: 8
    .kernarg_segment_size: 40
    .language:       OpenCL C
    .language_version:
      - 2
      - 0
    .max_flat_workgroup_size: 128
    .name:           _ZN7rocprim17ROCPRIM_400000_NS6detail17trampoline_kernelINS0_14default_configENS1_38merge_sort_block_merge_config_selectorIilEEZZNS1_27merge_sort_block_merge_implIS3_PiN6thrust23THRUST_200600_302600_NS10device_ptrIlEEjNS1_19radix_merge_compareILb0ELb1EiNS0_19identity_decomposerEEEEE10hipError_tT0_T1_T2_jT3_P12ihipStream_tbPNSt15iterator_traitsISG_E10value_typeEPNSM_ISH_E10value_typeEPSI_NS1_7vsmem_tEENKUlT_SG_SH_SI_E_clIS7_S7_SB_PlEESF_SV_SG_SH_SI_EUlSV_E_NS1_11comp_targetILNS1_3genE2ELNS1_11target_archE906ELNS1_3gpuE6ELNS1_3repE0EEENS1_48merge_mergepath_partition_config_static_selectorELNS0_4arch9wavefront6targetE1EEEvSH_
    .private_segment_fixed_size: 0
    .sgpr_count:     14
    .sgpr_spill_count: 0
    .symbol:         _ZN7rocprim17ROCPRIM_400000_NS6detail17trampoline_kernelINS0_14default_configENS1_38merge_sort_block_merge_config_selectorIilEEZZNS1_27merge_sort_block_merge_implIS3_PiN6thrust23THRUST_200600_302600_NS10device_ptrIlEEjNS1_19radix_merge_compareILb0ELb1EiNS0_19identity_decomposerEEEEE10hipError_tT0_T1_T2_jT3_P12ihipStream_tbPNSt15iterator_traitsISG_E10value_typeEPNSM_ISH_E10value_typeEPSI_NS1_7vsmem_tEENKUlT_SG_SH_SI_E_clIS7_S7_SB_PlEESF_SV_SG_SH_SI_EUlSV_E_NS1_11comp_targetILNS1_3genE2ELNS1_11target_archE906ELNS1_3gpuE6ELNS1_3repE0EEENS1_48merge_mergepath_partition_config_static_selectorELNS0_4arch9wavefront6targetE1EEEvSH_.kd
    .uniform_work_group_size: 1
    .uses_dynamic_stack: false
    .vgpr_count:     17
    .vgpr_spill_count: 0
    .wavefront_size: 64
  - .args:
      - .offset:         0
        .size:           40
        .value_kind:     by_value
    .group_segment_fixed_size: 0
    .kernarg_segment_align: 8
    .kernarg_segment_size: 40
    .language:       OpenCL C
    .language_version:
      - 2
      - 0
    .max_flat_workgroup_size: 128
    .name:           _ZN7rocprim17ROCPRIM_400000_NS6detail17trampoline_kernelINS0_14default_configENS1_38merge_sort_block_merge_config_selectorIilEEZZNS1_27merge_sort_block_merge_implIS3_PiN6thrust23THRUST_200600_302600_NS10device_ptrIlEEjNS1_19radix_merge_compareILb0ELb1EiNS0_19identity_decomposerEEEEE10hipError_tT0_T1_T2_jT3_P12ihipStream_tbPNSt15iterator_traitsISG_E10value_typeEPNSM_ISH_E10value_typeEPSI_NS1_7vsmem_tEENKUlT_SG_SH_SI_E_clIS7_S7_SB_PlEESF_SV_SG_SH_SI_EUlSV_E_NS1_11comp_targetILNS1_3genE9ELNS1_11target_archE1100ELNS1_3gpuE3ELNS1_3repE0EEENS1_48merge_mergepath_partition_config_static_selectorELNS0_4arch9wavefront6targetE1EEEvSH_
    .private_segment_fixed_size: 0
    .sgpr_count:     4
    .sgpr_spill_count: 0
    .symbol:         _ZN7rocprim17ROCPRIM_400000_NS6detail17trampoline_kernelINS0_14default_configENS1_38merge_sort_block_merge_config_selectorIilEEZZNS1_27merge_sort_block_merge_implIS3_PiN6thrust23THRUST_200600_302600_NS10device_ptrIlEEjNS1_19radix_merge_compareILb0ELb1EiNS0_19identity_decomposerEEEEE10hipError_tT0_T1_T2_jT3_P12ihipStream_tbPNSt15iterator_traitsISG_E10value_typeEPNSM_ISH_E10value_typeEPSI_NS1_7vsmem_tEENKUlT_SG_SH_SI_E_clIS7_S7_SB_PlEESF_SV_SG_SH_SI_EUlSV_E_NS1_11comp_targetILNS1_3genE9ELNS1_11target_archE1100ELNS1_3gpuE3ELNS1_3repE0EEENS1_48merge_mergepath_partition_config_static_selectorELNS0_4arch9wavefront6targetE1EEEvSH_.kd
    .uniform_work_group_size: 1
    .uses_dynamic_stack: false
    .vgpr_count:     0
    .vgpr_spill_count: 0
    .wavefront_size: 64
  - .args:
      - .offset:         0
        .size:           40
        .value_kind:     by_value
    .group_segment_fixed_size: 0
    .kernarg_segment_align: 8
    .kernarg_segment_size: 40
    .language:       OpenCL C
    .language_version:
      - 2
      - 0
    .max_flat_workgroup_size: 128
    .name:           _ZN7rocprim17ROCPRIM_400000_NS6detail17trampoline_kernelINS0_14default_configENS1_38merge_sort_block_merge_config_selectorIilEEZZNS1_27merge_sort_block_merge_implIS3_PiN6thrust23THRUST_200600_302600_NS10device_ptrIlEEjNS1_19radix_merge_compareILb0ELb1EiNS0_19identity_decomposerEEEEE10hipError_tT0_T1_T2_jT3_P12ihipStream_tbPNSt15iterator_traitsISG_E10value_typeEPNSM_ISH_E10value_typeEPSI_NS1_7vsmem_tEENKUlT_SG_SH_SI_E_clIS7_S7_SB_PlEESF_SV_SG_SH_SI_EUlSV_E_NS1_11comp_targetILNS1_3genE8ELNS1_11target_archE1030ELNS1_3gpuE2ELNS1_3repE0EEENS1_48merge_mergepath_partition_config_static_selectorELNS0_4arch9wavefront6targetE1EEEvSH_
    .private_segment_fixed_size: 0
    .sgpr_count:     4
    .sgpr_spill_count: 0
    .symbol:         _ZN7rocprim17ROCPRIM_400000_NS6detail17trampoline_kernelINS0_14default_configENS1_38merge_sort_block_merge_config_selectorIilEEZZNS1_27merge_sort_block_merge_implIS3_PiN6thrust23THRUST_200600_302600_NS10device_ptrIlEEjNS1_19radix_merge_compareILb0ELb1EiNS0_19identity_decomposerEEEEE10hipError_tT0_T1_T2_jT3_P12ihipStream_tbPNSt15iterator_traitsISG_E10value_typeEPNSM_ISH_E10value_typeEPSI_NS1_7vsmem_tEENKUlT_SG_SH_SI_E_clIS7_S7_SB_PlEESF_SV_SG_SH_SI_EUlSV_E_NS1_11comp_targetILNS1_3genE8ELNS1_11target_archE1030ELNS1_3gpuE2ELNS1_3repE0EEENS1_48merge_mergepath_partition_config_static_selectorELNS0_4arch9wavefront6targetE1EEEvSH_.kd
    .uniform_work_group_size: 1
    .uses_dynamic_stack: false
    .vgpr_count:     0
    .vgpr_spill_count: 0
    .wavefront_size: 64
  - .args:
      - .offset:         0
        .size:           64
        .value_kind:     by_value
    .group_segment_fixed_size: 0
    .kernarg_segment_align: 8
    .kernarg_segment_size: 64
    .language:       OpenCL C
    .language_version:
      - 2
      - 0
    .max_flat_workgroup_size: 512
    .name:           _ZN7rocprim17ROCPRIM_400000_NS6detail17trampoline_kernelINS0_14default_configENS1_38merge_sort_block_merge_config_selectorIilEEZZNS1_27merge_sort_block_merge_implIS3_PiN6thrust23THRUST_200600_302600_NS10device_ptrIlEEjNS1_19radix_merge_compareILb0ELb1EiNS0_19identity_decomposerEEEEE10hipError_tT0_T1_T2_jT3_P12ihipStream_tbPNSt15iterator_traitsISG_E10value_typeEPNSM_ISH_E10value_typeEPSI_NS1_7vsmem_tEENKUlT_SG_SH_SI_E_clIS7_S7_SB_PlEESF_SV_SG_SH_SI_EUlSV_E0_NS1_11comp_targetILNS1_3genE0ELNS1_11target_archE4294967295ELNS1_3gpuE0ELNS1_3repE0EEENS1_38merge_mergepath_config_static_selectorELNS0_4arch9wavefront6targetE1EEEvSH_
    .private_segment_fixed_size: 0
    .sgpr_count:     4
    .sgpr_spill_count: 0
    .symbol:         _ZN7rocprim17ROCPRIM_400000_NS6detail17trampoline_kernelINS0_14default_configENS1_38merge_sort_block_merge_config_selectorIilEEZZNS1_27merge_sort_block_merge_implIS3_PiN6thrust23THRUST_200600_302600_NS10device_ptrIlEEjNS1_19radix_merge_compareILb0ELb1EiNS0_19identity_decomposerEEEEE10hipError_tT0_T1_T2_jT3_P12ihipStream_tbPNSt15iterator_traitsISG_E10value_typeEPNSM_ISH_E10value_typeEPSI_NS1_7vsmem_tEENKUlT_SG_SH_SI_E_clIS7_S7_SB_PlEESF_SV_SG_SH_SI_EUlSV_E0_NS1_11comp_targetILNS1_3genE0ELNS1_11target_archE4294967295ELNS1_3gpuE0ELNS1_3repE0EEENS1_38merge_mergepath_config_static_selectorELNS0_4arch9wavefront6targetE1EEEvSH_.kd
    .uniform_work_group_size: 1
    .uses_dynamic_stack: false
    .vgpr_count:     0
    .vgpr_spill_count: 0
    .wavefront_size: 64
  - .args:
      - .offset:         0
        .size:           64
        .value_kind:     by_value
    .group_segment_fixed_size: 0
    .kernarg_segment_align: 8
    .kernarg_segment_size: 64
    .language:       OpenCL C
    .language_version:
      - 2
      - 0
    .max_flat_workgroup_size: 512
    .name:           _ZN7rocprim17ROCPRIM_400000_NS6detail17trampoline_kernelINS0_14default_configENS1_38merge_sort_block_merge_config_selectorIilEEZZNS1_27merge_sort_block_merge_implIS3_PiN6thrust23THRUST_200600_302600_NS10device_ptrIlEEjNS1_19radix_merge_compareILb0ELb1EiNS0_19identity_decomposerEEEEE10hipError_tT0_T1_T2_jT3_P12ihipStream_tbPNSt15iterator_traitsISG_E10value_typeEPNSM_ISH_E10value_typeEPSI_NS1_7vsmem_tEENKUlT_SG_SH_SI_E_clIS7_S7_SB_PlEESF_SV_SG_SH_SI_EUlSV_E0_NS1_11comp_targetILNS1_3genE10ELNS1_11target_archE1201ELNS1_3gpuE5ELNS1_3repE0EEENS1_38merge_mergepath_config_static_selectorELNS0_4arch9wavefront6targetE1EEEvSH_
    .private_segment_fixed_size: 0
    .sgpr_count:     4
    .sgpr_spill_count: 0
    .symbol:         _ZN7rocprim17ROCPRIM_400000_NS6detail17trampoline_kernelINS0_14default_configENS1_38merge_sort_block_merge_config_selectorIilEEZZNS1_27merge_sort_block_merge_implIS3_PiN6thrust23THRUST_200600_302600_NS10device_ptrIlEEjNS1_19radix_merge_compareILb0ELb1EiNS0_19identity_decomposerEEEEE10hipError_tT0_T1_T2_jT3_P12ihipStream_tbPNSt15iterator_traitsISG_E10value_typeEPNSM_ISH_E10value_typeEPSI_NS1_7vsmem_tEENKUlT_SG_SH_SI_E_clIS7_S7_SB_PlEESF_SV_SG_SH_SI_EUlSV_E0_NS1_11comp_targetILNS1_3genE10ELNS1_11target_archE1201ELNS1_3gpuE5ELNS1_3repE0EEENS1_38merge_mergepath_config_static_selectorELNS0_4arch9wavefront6targetE1EEEvSH_.kd
    .uniform_work_group_size: 1
    .uses_dynamic_stack: false
    .vgpr_count:     0
    .vgpr_spill_count: 0
    .wavefront_size: 64
  - .args:
      - .offset:         0
        .size:           64
        .value_kind:     by_value
    .group_segment_fixed_size: 0
    .kernarg_segment_align: 8
    .kernarg_segment_size: 64
    .language:       OpenCL C
    .language_version:
      - 2
      - 0
    .max_flat_workgroup_size: 256
    .name:           _ZN7rocprim17ROCPRIM_400000_NS6detail17trampoline_kernelINS0_14default_configENS1_38merge_sort_block_merge_config_selectorIilEEZZNS1_27merge_sort_block_merge_implIS3_PiN6thrust23THRUST_200600_302600_NS10device_ptrIlEEjNS1_19radix_merge_compareILb0ELb1EiNS0_19identity_decomposerEEEEE10hipError_tT0_T1_T2_jT3_P12ihipStream_tbPNSt15iterator_traitsISG_E10value_typeEPNSM_ISH_E10value_typeEPSI_NS1_7vsmem_tEENKUlT_SG_SH_SI_E_clIS7_S7_SB_PlEESF_SV_SG_SH_SI_EUlSV_E0_NS1_11comp_targetILNS1_3genE5ELNS1_11target_archE942ELNS1_3gpuE9ELNS1_3repE0EEENS1_38merge_mergepath_config_static_selectorELNS0_4arch9wavefront6targetE1EEEvSH_
    .private_segment_fixed_size: 0
    .sgpr_count:     4
    .sgpr_spill_count: 0
    .symbol:         _ZN7rocprim17ROCPRIM_400000_NS6detail17trampoline_kernelINS0_14default_configENS1_38merge_sort_block_merge_config_selectorIilEEZZNS1_27merge_sort_block_merge_implIS3_PiN6thrust23THRUST_200600_302600_NS10device_ptrIlEEjNS1_19radix_merge_compareILb0ELb1EiNS0_19identity_decomposerEEEEE10hipError_tT0_T1_T2_jT3_P12ihipStream_tbPNSt15iterator_traitsISG_E10value_typeEPNSM_ISH_E10value_typeEPSI_NS1_7vsmem_tEENKUlT_SG_SH_SI_E_clIS7_S7_SB_PlEESF_SV_SG_SH_SI_EUlSV_E0_NS1_11comp_targetILNS1_3genE5ELNS1_11target_archE942ELNS1_3gpuE9ELNS1_3repE0EEENS1_38merge_mergepath_config_static_selectorELNS0_4arch9wavefront6targetE1EEEvSH_.kd
    .uniform_work_group_size: 1
    .uses_dynamic_stack: false
    .vgpr_count:     0
    .vgpr_spill_count: 0
    .wavefront_size: 64
  - .args:
      - .offset:         0
        .size:           64
        .value_kind:     by_value
    .group_segment_fixed_size: 0
    .kernarg_segment_align: 8
    .kernarg_segment_size: 64
    .language:       OpenCL C
    .language_version:
      - 2
      - 0
    .max_flat_workgroup_size: 256
    .name:           _ZN7rocprim17ROCPRIM_400000_NS6detail17trampoline_kernelINS0_14default_configENS1_38merge_sort_block_merge_config_selectorIilEEZZNS1_27merge_sort_block_merge_implIS3_PiN6thrust23THRUST_200600_302600_NS10device_ptrIlEEjNS1_19radix_merge_compareILb0ELb1EiNS0_19identity_decomposerEEEEE10hipError_tT0_T1_T2_jT3_P12ihipStream_tbPNSt15iterator_traitsISG_E10value_typeEPNSM_ISH_E10value_typeEPSI_NS1_7vsmem_tEENKUlT_SG_SH_SI_E_clIS7_S7_SB_PlEESF_SV_SG_SH_SI_EUlSV_E0_NS1_11comp_targetILNS1_3genE4ELNS1_11target_archE910ELNS1_3gpuE8ELNS1_3repE0EEENS1_38merge_mergepath_config_static_selectorELNS0_4arch9wavefront6targetE1EEEvSH_
    .private_segment_fixed_size: 0
    .sgpr_count:     4
    .sgpr_spill_count: 0
    .symbol:         _ZN7rocprim17ROCPRIM_400000_NS6detail17trampoline_kernelINS0_14default_configENS1_38merge_sort_block_merge_config_selectorIilEEZZNS1_27merge_sort_block_merge_implIS3_PiN6thrust23THRUST_200600_302600_NS10device_ptrIlEEjNS1_19radix_merge_compareILb0ELb1EiNS0_19identity_decomposerEEEEE10hipError_tT0_T1_T2_jT3_P12ihipStream_tbPNSt15iterator_traitsISG_E10value_typeEPNSM_ISH_E10value_typeEPSI_NS1_7vsmem_tEENKUlT_SG_SH_SI_E_clIS7_S7_SB_PlEESF_SV_SG_SH_SI_EUlSV_E0_NS1_11comp_targetILNS1_3genE4ELNS1_11target_archE910ELNS1_3gpuE8ELNS1_3repE0EEENS1_38merge_mergepath_config_static_selectorELNS0_4arch9wavefront6targetE1EEEvSH_.kd
    .uniform_work_group_size: 1
    .uses_dynamic_stack: false
    .vgpr_count:     0
    .vgpr_spill_count: 0
    .wavefront_size: 64
  - .args:
      - .offset:         0
        .size:           64
        .value_kind:     by_value
    .group_segment_fixed_size: 0
    .kernarg_segment_align: 8
    .kernarg_segment_size: 64
    .language:       OpenCL C
    .language_version:
      - 2
      - 0
    .max_flat_workgroup_size: 512
    .name:           _ZN7rocprim17ROCPRIM_400000_NS6detail17trampoline_kernelINS0_14default_configENS1_38merge_sort_block_merge_config_selectorIilEEZZNS1_27merge_sort_block_merge_implIS3_PiN6thrust23THRUST_200600_302600_NS10device_ptrIlEEjNS1_19radix_merge_compareILb0ELb1EiNS0_19identity_decomposerEEEEE10hipError_tT0_T1_T2_jT3_P12ihipStream_tbPNSt15iterator_traitsISG_E10value_typeEPNSM_ISH_E10value_typeEPSI_NS1_7vsmem_tEENKUlT_SG_SH_SI_E_clIS7_S7_SB_PlEESF_SV_SG_SH_SI_EUlSV_E0_NS1_11comp_targetILNS1_3genE3ELNS1_11target_archE908ELNS1_3gpuE7ELNS1_3repE0EEENS1_38merge_mergepath_config_static_selectorELNS0_4arch9wavefront6targetE1EEEvSH_
    .private_segment_fixed_size: 0
    .sgpr_count:     4
    .sgpr_spill_count: 0
    .symbol:         _ZN7rocprim17ROCPRIM_400000_NS6detail17trampoline_kernelINS0_14default_configENS1_38merge_sort_block_merge_config_selectorIilEEZZNS1_27merge_sort_block_merge_implIS3_PiN6thrust23THRUST_200600_302600_NS10device_ptrIlEEjNS1_19radix_merge_compareILb0ELb1EiNS0_19identity_decomposerEEEEE10hipError_tT0_T1_T2_jT3_P12ihipStream_tbPNSt15iterator_traitsISG_E10value_typeEPNSM_ISH_E10value_typeEPSI_NS1_7vsmem_tEENKUlT_SG_SH_SI_E_clIS7_S7_SB_PlEESF_SV_SG_SH_SI_EUlSV_E0_NS1_11comp_targetILNS1_3genE3ELNS1_11target_archE908ELNS1_3gpuE7ELNS1_3repE0EEENS1_38merge_mergepath_config_static_selectorELNS0_4arch9wavefront6targetE1EEEvSH_.kd
    .uniform_work_group_size: 1
    .uses_dynamic_stack: false
    .vgpr_count:     0
    .vgpr_spill_count: 0
    .wavefront_size: 64
  - .args:
      - .offset:         0
        .size:           64
        .value_kind:     by_value
      - .offset:         64
        .size:           4
        .value_kind:     hidden_block_count_x
      - .offset:         68
        .size:           4
        .value_kind:     hidden_block_count_y
      - .offset:         72
        .size:           4
        .value_kind:     hidden_block_count_z
      - .offset:         76
        .size:           2
        .value_kind:     hidden_group_size_x
      - .offset:         78
        .size:           2
        .value_kind:     hidden_group_size_y
      - .offset:         80
        .size:           2
        .value_kind:     hidden_group_size_z
      - .offset:         82
        .size:           2
        .value_kind:     hidden_remainder_x
      - .offset:         84
        .size:           2
        .value_kind:     hidden_remainder_y
      - .offset:         86
        .size:           2
        .value_kind:     hidden_remainder_z
      - .offset:         104
        .size:           8
        .value_kind:     hidden_global_offset_x
      - .offset:         112
        .size:           8
        .value_kind:     hidden_global_offset_y
      - .offset:         120
        .size:           8
        .value_kind:     hidden_global_offset_z
      - .offset:         128
        .size:           2
        .value_kind:     hidden_grid_dims
    .group_segment_fixed_size: 8448
    .kernarg_segment_align: 8
    .kernarg_segment_size: 320
    .language:       OpenCL C
    .language_version:
      - 2
      - 0
    .max_flat_workgroup_size: 256
    .name:           _ZN7rocprim17ROCPRIM_400000_NS6detail17trampoline_kernelINS0_14default_configENS1_38merge_sort_block_merge_config_selectorIilEEZZNS1_27merge_sort_block_merge_implIS3_PiN6thrust23THRUST_200600_302600_NS10device_ptrIlEEjNS1_19radix_merge_compareILb0ELb1EiNS0_19identity_decomposerEEEEE10hipError_tT0_T1_T2_jT3_P12ihipStream_tbPNSt15iterator_traitsISG_E10value_typeEPNSM_ISH_E10value_typeEPSI_NS1_7vsmem_tEENKUlT_SG_SH_SI_E_clIS7_S7_SB_PlEESF_SV_SG_SH_SI_EUlSV_E0_NS1_11comp_targetILNS1_3genE2ELNS1_11target_archE906ELNS1_3gpuE6ELNS1_3repE0EEENS1_38merge_mergepath_config_static_selectorELNS0_4arch9wavefront6targetE1EEEvSH_
    .private_segment_fixed_size: 0
    .sgpr_count:     38
    .sgpr_spill_count: 0
    .symbol:         _ZN7rocprim17ROCPRIM_400000_NS6detail17trampoline_kernelINS0_14default_configENS1_38merge_sort_block_merge_config_selectorIilEEZZNS1_27merge_sort_block_merge_implIS3_PiN6thrust23THRUST_200600_302600_NS10device_ptrIlEEjNS1_19radix_merge_compareILb0ELb1EiNS0_19identity_decomposerEEEEE10hipError_tT0_T1_T2_jT3_P12ihipStream_tbPNSt15iterator_traitsISG_E10value_typeEPNSM_ISH_E10value_typeEPSI_NS1_7vsmem_tEENKUlT_SG_SH_SI_E_clIS7_S7_SB_PlEESF_SV_SG_SH_SI_EUlSV_E0_NS1_11comp_targetILNS1_3genE2ELNS1_11target_archE906ELNS1_3gpuE6ELNS1_3repE0EEENS1_38merge_mergepath_config_static_selectorELNS0_4arch9wavefront6targetE1EEEvSH_.kd
    .uniform_work_group_size: 1
    .uses_dynamic_stack: false
    .vgpr_count:     35
    .vgpr_spill_count: 0
    .wavefront_size: 64
  - .args:
      - .offset:         0
        .size:           64
        .value_kind:     by_value
    .group_segment_fixed_size: 0
    .kernarg_segment_align: 8
    .kernarg_segment_size: 64
    .language:       OpenCL C
    .language_version:
      - 2
      - 0
    .max_flat_workgroup_size: 512
    .name:           _ZN7rocprim17ROCPRIM_400000_NS6detail17trampoline_kernelINS0_14default_configENS1_38merge_sort_block_merge_config_selectorIilEEZZNS1_27merge_sort_block_merge_implIS3_PiN6thrust23THRUST_200600_302600_NS10device_ptrIlEEjNS1_19radix_merge_compareILb0ELb1EiNS0_19identity_decomposerEEEEE10hipError_tT0_T1_T2_jT3_P12ihipStream_tbPNSt15iterator_traitsISG_E10value_typeEPNSM_ISH_E10value_typeEPSI_NS1_7vsmem_tEENKUlT_SG_SH_SI_E_clIS7_S7_SB_PlEESF_SV_SG_SH_SI_EUlSV_E0_NS1_11comp_targetILNS1_3genE9ELNS1_11target_archE1100ELNS1_3gpuE3ELNS1_3repE0EEENS1_38merge_mergepath_config_static_selectorELNS0_4arch9wavefront6targetE1EEEvSH_
    .private_segment_fixed_size: 0
    .sgpr_count:     4
    .sgpr_spill_count: 0
    .symbol:         _ZN7rocprim17ROCPRIM_400000_NS6detail17trampoline_kernelINS0_14default_configENS1_38merge_sort_block_merge_config_selectorIilEEZZNS1_27merge_sort_block_merge_implIS3_PiN6thrust23THRUST_200600_302600_NS10device_ptrIlEEjNS1_19radix_merge_compareILb0ELb1EiNS0_19identity_decomposerEEEEE10hipError_tT0_T1_T2_jT3_P12ihipStream_tbPNSt15iterator_traitsISG_E10value_typeEPNSM_ISH_E10value_typeEPSI_NS1_7vsmem_tEENKUlT_SG_SH_SI_E_clIS7_S7_SB_PlEESF_SV_SG_SH_SI_EUlSV_E0_NS1_11comp_targetILNS1_3genE9ELNS1_11target_archE1100ELNS1_3gpuE3ELNS1_3repE0EEENS1_38merge_mergepath_config_static_selectorELNS0_4arch9wavefront6targetE1EEEvSH_.kd
    .uniform_work_group_size: 1
    .uses_dynamic_stack: false
    .vgpr_count:     0
    .vgpr_spill_count: 0
    .wavefront_size: 64
  - .args:
      - .offset:         0
        .size:           64
        .value_kind:     by_value
    .group_segment_fixed_size: 0
    .kernarg_segment_align: 8
    .kernarg_segment_size: 64
    .language:       OpenCL C
    .language_version:
      - 2
      - 0
    .max_flat_workgroup_size: 1024
    .name:           _ZN7rocprim17ROCPRIM_400000_NS6detail17trampoline_kernelINS0_14default_configENS1_38merge_sort_block_merge_config_selectorIilEEZZNS1_27merge_sort_block_merge_implIS3_PiN6thrust23THRUST_200600_302600_NS10device_ptrIlEEjNS1_19radix_merge_compareILb0ELb1EiNS0_19identity_decomposerEEEEE10hipError_tT0_T1_T2_jT3_P12ihipStream_tbPNSt15iterator_traitsISG_E10value_typeEPNSM_ISH_E10value_typeEPSI_NS1_7vsmem_tEENKUlT_SG_SH_SI_E_clIS7_S7_SB_PlEESF_SV_SG_SH_SI_EUlSV_E0_NS1_11comp_targetILNS1_3genE8ELNS1_11target_archE1030ELNS1_3gpuE2ELNS1_3repE0EEENS1_38merge_mergepath_config_static_selectorELNS0_4arch9wavefront6targetE1EEEvSH_
    .private_segment_fixed_size: 0
    .sgpr_count:     4
    .sgpr_spill_count: 0
    .symbol:         _ZN7rocprim17ROCPRIM_400000_NS6detail17trampoline_kernelINS0_14default_configENS1_38merge_sort_block_merge_config_selectorIilEEZZNS1_27merge_sort_block_merge_implIS3_PiN6thrust23THRUST_200600_302600_NS10device_ptrIlEEjNS1_19radix_merge_compareILb0ELb1EiNS0_19identity_decomposerEEEEE10hipError_tT0_T1_T2_jT3_P12ihipStream_tbPNSt15iterator_traitsISG_E10value_typeEPNSM_ISH_E10value_typeEPSI_NS1_7vsmem_tEENKUlT_SG_SH_SI_E_clIS7_S7_SB_PlEESF_SV_SG_SH_SI_EUlSV_E0_NS1_11comp_targetILNS1_3genE8ELNS1_11target_archE1030ELNS1_3gpuE2ELNS1_3repE0EEENS1_38merge_mergepath_config_static_selectorELNS0_4arch9wavefront6targetE1EEEvSH_.kd
    .uniform_work_group_size: 1
    .uses_dynamic_stack: false
    .vgpr_count:     0
    .vgpr_spill_count: 0
    .wavefront_size: 64
  - .args:
      - .offset:         0
        .size:           48
        .value_kind:     by_value
    .group_segment_fixed_size: 0
    .kernarg_segment_align: 8
    .kernarg_segment_size: 48
    .language:       OpenCL C
    .language_version:
      - 2
      - 0
    .max_flat_workgroup_size: 256
    .name:           _ZN7rocprim17ROCPRIM_400000_NS6detail17trampoline_kernelINS0_14default_configENS1_38merge_sort_block_merge_config_selectorIilEEZZNS1_27merge_sort_block_merge_implIS3_PiN6thrust23THRUST_200600_302600_NS10device_ptrIlEEjNS1_19radix_merge_compareILb0ELb1EiNS0_19identity_decomposerEEEEE10hipError_tT0_T1_T2_jT3_P12ihipStream_tbPNSt15iterator_traitsISG_E10value_typeEPNSM_ISH_E10value_typeEPSI_NS1_7vsmem_tEENKUlT_SG_SH_SI_E_clIS7_S7_SB_PlEESF_SV_SG_SH_SI_EUlSV_E1_NS1_11comp_targetILNS1_3genE0ELNS1_11target_archE4294967295ELNS1_3gpuE0ELNS1_3repE0EEENS1_36merge_oddeven_config_static_selectorELNS0_4arch9wavefront6targetE1EEEvSH_
    .private_segment_fixed_size: 0
    .sgpr_count:     4
    .sgpr_spill_count: 0
    .symbol:         _ZN7rocprim17ROCPRIM_400000_NS6detail17trampoline_kernelINS0_14default_configENS1_38merge_sort_block_merge_config_selectorIilEEZZNS1_27merge_sort_block_merge_implIS3_PiN6thrust23THRUST_200600_302600_NS10device_ptrIlEEjNS1_19radix_merge_compareILb0ELb1EiNS0_19identity_decomposerEEEEE10hipError_tT0_T1_T2_jT3_P12ihipStream_tbPNSt15iterator_traitsISG_E10value_typeEPNSM_ISH_E10value_typeEPSI_NS1_7vsmem_tEENKUlT_SG_SH_SI_E_clIS7_S7_SB_PlEESF_SV_SG_SH_SI_EUlSV_E1_NS1_11comp_targetILNS1_3genE0ELNS1_11target_archE4294967295ELNS1_3gpuE0ELNS1_3repE0EEENS1_36merge_oddeven_config_static_selectorELNS0_4arch9wavefront6targetE1EEEvSH_.kd
    .uniform_work_group_size: 1
    .uses_dynamic_stack: false
    .vgpr_count:     0
    .vgpr_spill_count: 0
    .wavefront_size: 64
  - .args:
      - .offset:         0
        .size:           48
        .value_kind:     by_value
    .group_segment_fixed_size: 0
    .kernarg_segment_align: 8
    .kernarg_segment_size: 48
    .language:       OpenCL C
    .language_version:
      - 2
      - 0
    .max_flat_workgroup_size: 256
    .name:           _ZN7rocprim17ROCPRIM_400000_NS6detail17trampoline_kernelINS0_14default_configENS1_38merge_sort_block_merge_config_selectorIilEEZZNS1_27merge_sort_block_merge_implIS3_PiN6thrust23THRUST_200600_302600_NS10device_ptrIlEEjNS1_19radix_merge_compareILb0ELb1EiNS0_19identity_decomposerEEEEE10hipError_tT0_T1_T2_jT3_P12ihipStream_tbPNSt15iterator_traitsISG_E10value_typeEPNSM_ISH_E10value_typeEPSI_NS1_7vsmem_tEENKUlT_SG_SH_SI_E_clIS7_S7_SB_PlEESF_SV_SG_SH_SI_EUlSV_E1_NS1_11comp_targetILNS1_3genE10ELNS1_11target_archE1201ELNS1_3gpuE5ELNS1_3repE0EEENS1_36merge_oddeven_config_static_selectorELNS0_4arch9wavefront6targetE1EEEvSH_
    .private_segment_fixed_size: 0
    .sgpr_count:     4
    .sgpr_spill_count: 0
    .symbol:         _ZN7rocprim17ROCPRIM_400000_NS6detail17trampoline_kernelINS0_14default_configENS1_38merge_sort_block_merge_config_selectorIilEEZZNS1_27merge_sort_block_merge_implIS3_PiN6thrust23THRUST_200600_302600_NS10device_ptrIlEEjNS1_19radix_merge_compareILb0ELb1EiNS0_19identity_decomposerEEEEE10hipError_tT0_T1_T2_jT3_P12ihipStream_tbPNSt15iterator_traitsISG_E10value_typeEPNSM_ISH_E10value_typeEPSI_NS1_7vsmem_tEENKUlT_SG_SH_SI_E_clIS7_S7_SB_PlEESF_SV_SG_SH_SI_EUlSV_E1_NS1_11comp_targetILNS1_3genE10ELNS1_11target_archE1201ELNS1_3gpuE5ELNS1_3repE0EEENS1_36merge_oddeven_config_static_selectorELNS0_4arch9wavefront6targetE1EEEvSH_.kd
    .uniform_work_group_size: 1
    .uses_dynamic_stack: false
    .vgpr_count:     0
    .vgpr_spill_count: 0
    .wavefront_size: 64
  - .args:
      - .offset:         0
        .size:           48
        .value_kind:     by_value
    .group_segment_fixed_size: 0
    .kernarg_segment_align: 8
    .kernarg_segment_size: 48
    .language:       OpenCL C
    .language_version:
      - 2
      - 0
    .max_flat_workgroup_size: 256
    .name:           _ZN7rocprim17ROCPRIM_400000_NS6detail17trampoline_kernelINS0_14default_configENS1_38merge_sort_block_merge_config_selectorIilEEZZNS1_27merge_sort_block_merge_implIS3_PiN6thrust23THRUST_200600_302600_NS10device_ptrIlEEjNS1_19radix_merge_compareILb0ELb1EiNS0_19identity_decomposerEEEEE10hipError_tT0_T1_T2_jT3_P12ihipStream_tbPNSt15iterator_traitsISG_E10value_typeEPNSM_ISH_E10value_typeEPSI_NS1_7vsmem_tEENKUlT_SG_SH_SI_E_clIS7_S7_SB_PlEESF_SV_SG_SH_SI_EUlSV_E1_NS1_11comp_targetILNS1_3genE5ELNS1_11target_archE942ELNS1_3gpuE9ELNS1_3repE0EEENS1_36merge_oddeven_config_static_selectorELNS0_4arch9wavefront6targetE1EEEvSH_
    .private_segment_fixed_size: 0
    .sgpr_count:     4
    .sgpr_spill_count: 0
    .symbol:         _ZN7rocprim17ROCPRIM_400000_NS6detail17trampoline_kernelINS0_14default_configENS1_38merge_sort_block_merge_config_selectorIilEEZZNS1_27merge_sort_block_merge_implIS3_PiN6thrust23THRUST_200600_302600_NS10device_ptrIlEEjNS1_19radix_merge_compareILb0ELb1EiNS0_19identity_decomposerEEEEE10hipError_tT0_T1_T2_jT3_P12ihipStream_tbPNSt15iterator_traitsISG_E10value_typeEPNSM_ISH_E10value_typeEPSI_NS1_7vsmem_tEENKUlT_SG_SH_SI_E_clIS7_S7_SB_PlEESF_SV_SG_SH_SI_EUlSV_E1_NS1_11comp_targetILNS1_3genE5ELNS1_11target_archE942ELNS1_3gpuE9ELNS1_3repE0EEENS1_36merge_oddeven_config_static_selectorELNS0_4arch9wavefront6targetE1EEEvSH_.kd
    .uniform_work_group_size: 1
    .uses_dynamic_stack: false
    .vgpr_count:     0
    .vgpr_spill_count: 0
    .wavefront_size: 64
  - .args:
      - .offset:         0
        .size:           48
        .value_kind:     by_value
    .group_segment_fixed_size: 0
    .kernarg_segment_align: 8
    .kernarg_segment_size: 48
    .language:       OpenCL C
    .language_version:
      - 2
      - 0
    .max_flat_workgroup_size: 256
    .name:           _ZN7rocprim17ROCPRIM_400000_NS6detail17trampoline_kernelINS0_14default_configENS1_38merge_sort_block_merge_config_selectorIilEEZZNS1_27merge_sort_block_merge_implIS3_PiN6thrust23THRUST_200600_302600_NS10device_ptrIlEEjNS1_19radix_merge_compareILb0ELb1EiNS0_19identity_decomposerEEEEE10hipError_tT0_T1_T2_jT3_P12ihipStream_tbPNSt15iterator_traitsISG_E10value_typeEPNSM_ISH_E10value_typeEPSI_NS1_7vsmem_tEENKUlT_SG_SH_SI_E_clIS7_S7_SB_PlEESF_SV_SG_SH_SI_EUlSV_E1_NS1_11comp_targetILNS1_3genE4ELNS1_11target_archE910ELNS1_3gpuE8ELNS1_3repE0EEENS1_36merge_oddeven_config_static_selectorELNS0_4arch9wavefront6targetE1EEEvSH_
    .private_segment_fixed_size: 0
    .sgpr_count:     4
    .sgpr_spill_count: 0
    .symbol:         _ZN7rocprim17ROCPRIM_400000_NS6detail17trampoline_kernelINS0_14default_configENS1_38merge_sort_block_merge_config_selectorIilEEZZNS1_27merge_sort_block_merge_implIS3_PiN6thrust23THRUST_200600_302600_NS10device_ptrIlEEjNS1_19radix_merge_compareILb0ELb1EiNS0_19identity_decomposerEEEEE10hipError_tT0_T1_T2_jT3_P12ihipStream_tbPNSt15iterator_traitsISG_E10value_typeEPNSM_ISH_E10value_typeEPSI_NS1_7vsmem_tEENKUlT_SG_SH_SI_E_clIS7_S7_SB_PlEESF_SV_SG_SH_SI_EUlSV_E1_NS1_11comp_targetILNS1_3genE4ELNS1_11target_archE910ELNS1_3gpuE8ELNS1_3repE0EEENS1_36merge_oddeven_config_static_selectorELNS0_4arch9wavefront6targetE1EEEvSH_.kd
    .uniform_work_group_size: 1
    .uses_dynamic_stack: false
    .vgpr_count:     0
    .vgpr_spill_count: 0
    .wavefront_size: 64
  - .args:
      - .offset:         0
        .size:           48
        .value_kind:     by_value
    .group_segment_fixed_size: 0
    .kernarg_segment_align: 8
    .kernarg_segment_size: 48
    .language:       OpenCL C
    .language_version:
      - 2
      - 0
    .max_flat_workgroup_size: 256
    .name:           _ZN7rocprim17ROCPRIM_400000_NS6detail17trampoline_kernelINS0_14default_configENS1_38merge_sort_block_merge_config_selectorIilEEZZNS1_27merge_sort_block_merge_implIS3_PiN6thrust23THRUST_200600_302600_NS10device_ptrIlEEjNS1_19radix_merge_compareILb0ELb1EiNS0_19identity_decomposerEEEEE10hipError_tT0_T1_T2_jT3_P12ihipStream_tbPNSt15iterator_traitsISG_E10value_typeEPNSM_ISH_E10value_typeEPSI_NS1_7vsmem_tEENKUlT_SG_SH_SI_E_clIS7_S7_SB_PlEESF_SV_SG_SH_SI_EUlSV_E1_NS1_11comp_targetILNS1_3genE3ELNS1_11target_archE908ELNS1_3gpuE7ELNS1_3repE0EEENS1_36merge_oddeven_config_static_selectorELNS0_4arch9wavefront6targetE1EEEvSH_
    .private_segment_fixed_size: 0
    .sgpr_count:     4
    .sgpr_spill_count: 0
    .symbol:         _ZN7rocprim17ROCPRIM_400000_NS6detail17trampoline_kernelINS0_14default_configENS1_38merge_sort_block_merge_config_selectorIilEEZZNS1_27merge_sort_block_merge_implIS3_PiN6thrust23THRUST_200600_302600_NS10device_ptrIlEEjNS1_19radix_merge_compareILb0ELb1EiNS0_19identity_decomposerEEEEE10hipError_tT0_T1_T2_jT3_P12ihipStream_tbPNSt15iterator_traitsISG_E10value_typeEPNSM_ISH_E10value_typeEPSI_NS1_7vsmem_tEENKUlT_SG_SH_SI_E_clIS7_S7_SB_PlEESF_SV_SG_SH_SI_EUlSV_E1_NS1_11comp_targetILNS1_3genE3ELNS1_11target_archE908ELNS1_3gpuE7ELNS1_3repE0EEENS1_36merge_oddeven_config_static_selectorELNS0_4arch9wavefront6targetE1EEEvSH_.kd
    .uniform_work_group_size: 1
    .uses_dynamic_stack: false
    .vgpr_count:     0
    .vgpr_spill_count: 0
    .wavefront_size: 64
  - .args:
      - .offset:         0
        .size:           48
        .value_kind:     by_value
    .group_segment_fixed_size: 0
    .kernarg_segment_align: 8
    .kernarg_segment_size: 48
    .language:       OpenCL C
    .language_version:
      - 2
      - 0
    .max_flat_workgroup_size: 256
    .name:           _ZN7rocprim17ROCPRIM_400000_NS6detail17trampoline_kernelINS0_14default_configENS1_38merge_sort_block_merge_config_selectorIilEEZZNS1_27merge_sort_block_merge_implIS3_PiN6thrust23THRUST_200600_302600_NS10device_ptrIlEEjNS1_19radix_merge_compareILb0ELb1EiNS0_19identity_decomposerEEEEE10hipError_tT0_T1_T2_jT3_P12ihipStream_tbPNSt15iterator_traitsISG_E10value_typeEPNSM_ISH_E10value_typeEPSI_NS1_7vsmem_tEENKUlT_SG_SH_SI_E_clIS7_S7_SB_PlEESF_SV_SG_SH_SI_EUlSV_E1_NS1_11comp_targetILNS1_3genE2ELNS1_11target_archE906ELNS1_3gpuE6ELNS1_3repE0EEENS1_36merge_oddeven_config_static_selectorELNS0_4arch9wavefront6targetE1EEEvSH_
    .private_segment_fixed_size: 0
    .sgpr_count:     28
    .sgpr_spill_count: 0
    .symbol:         _ZN7rocprim17ROCPRIM_400000_NS6detail17trampoline_kernelINS0_14default_configENS1_38merge_sort_block_merge_config_selectorIilEEZZNS1_27merge_sort_block_merge_implIS3_PiN6thrust23THRUST_200600_302600_NS10device_ptrIlEEjNS1_19radix_merge_compareILb0ELb1EiNS0_19identity_decomposerEEEEE10hipError_tT0_T1_T2_jT3_P12ihipStream_tbPNSt15iterator_traitsISG_E10value_typeEPNSM_ISH_E10value_typeEPSI_NS1_7vsmem_tEENKUlT_SG_SH_SI_E_clIS7_S7_SB_PlEESF_SV_SG_SH_SI_EUlSV_E1_NS1_11comp_targetILNS1_3genE2ELNS1_11target_archE906ELNS1_3gpuE6ELNS1_3repE0EEENS1_36merge_oddeven_config_static_selectorELNS0_4arch9wavefront6targetE1EEEvSH_.kd
    .uniform_work_group_size: 1
    .uses_dynamic_stack: false
    .vgpr_count:     13
    .vgpr_spill_count: 0
    .wavefront_size: 64
  - .args:
      - .offset:         0
        .size:           48
        .value_kind:     by_value
    .group_segment_fixed_size: 0
    .kernarg_segment_align: 8
    .kernarg_segment_size: 48
    .language:       OpenCL C
    .language_version:
      - 2
      - 0
    .max_flat_workgroup_size: 256
    .name:           _ZN7rocprim17ROCPRIM_400000_NS6detail17trampoline_kernelINS0_14default_configENS1_38merge_sort_block_merge_config_selectorIilEEZZNS1_27merge_sort_block_merge_implIS3_PiN6thrust23THRUST_200600_302600_NS10device_ptrIlEEjNS1_19radix_merge_compareILb0ELb1EiNS0_19identity_decomposerEEEEE10hipError_tT0_T1_T2_jT3_P12ihipStream_tbPNSt15iterator_traitsISG_E10value_typeEPNSM_ISH_E10value_typeEPSI_NS1_7vsmem_tEENKUlT_SG_SH_SI_E_clIS7_S7_SB_PlEESF_SV_SG_SH_SI_EUlSV_E1_NS1_11comp_targetILNS1_3genE9ELNS1_11target_archE1100ELNS1_3gpuE3ELNS1_3repE0EEENS1_36merge_oddeven_config_static_selectorELNS0_4arch9wavefront6targetE1EEEvSH_
    .private_segment_fixed_size: 0
    .sgpr_count:     4
    .sgpr_spill_count: 0
    .symbol:         _ZN7rocprim17ROCPRIM_400000_NS6detail17trampoline_kernelINS0_14default_configENS1_38merge_sort_block_merge_config_selectorIilEEZZNS1_27merge_sort_block_merge_implIS3_PiN6thrust23THRUST_200600_302600_NS10device_ptrIlEEjNS1_19radix_merge_compareILb0ELb1EiNS0_19identity_decomposerEEEEE10hipError_tT0_T1_T2_jT3_P12ihipStream_tbPNSt15iterator_traitsISG_E10value_typeEPNSM_ISH_E10value_typeEPSI_NS1_7vsmem_tEENKUlT_SG_SH_SI_E_clIS7_S7_SB_PlEESF_SV_SG_SH_SI_EUlSV_E1_NS1_11comp_targetILNS1_3genE9ELNS1_11target_archE1100ELNS1_3gpuE3ELNS1_3repE0EEENS1_36merge_oddeven_config_static_selectorELNS0_4arch9wavefront6targetE1EEEvSH_.kd
    .uniform_work_group_size: 1
    .uses_dynamic_stack: false
    .vgpr_count:     0
    .vgpr_spill_count: 0
    .wavefront_size: 64
  - .args:
      - .offset:         0
        .size:           48
        .value_kind:     by_value
    .group_segment_fixed_size: 0
    .kernarg_segment_align: 8
    .kernarg_segment_size: 48
    .language:       OpenCL C
    .language_version:
      - 2
      - 0
    .max_flat_workgroup_size: 256
    .name:           _ZN7rocprim17ROCPRIM_400000_NS6detail17trampoline_kernelINS0_14default_configENS1_38merge_sort_block_merge_config_selectorIilEEZZNS1_27merge_sort_block_merge_implIS3_PiN6thrust23THRUST_200600_302600_NS10device_ptrIlEEjNS1_19radix_merge_compareILb0ELb1EiNS0_19identity_decomposerEEEEE10hipError_tT0_T1_T2_jT3_P12ihipStream_tbPNSt15iterator_traitsISG_E10value_typeEPNSM_ISH_E10value_typeEPSI_NS1_7vsmem_tEENKUlT_SG_SH_SI_E_clIS7_S7_SB_PlEESF_SV_SG_SH_SI_EUlSV_E1_NS1_11comp_targetILNS1_3genE8ELNS1_11target_archE1030ELNS1_3gpuE2ELNS1_3repE0EEENS1_36merge_oddeven_config_static_selectorELNS0_4arch9wavefront6targetE1EEEvSH_
    .private_segment_fixed_size: 0
    .sgpr_count:     4
    .sgpr_spill_count: 0
    .symbol:         _ZN7rocprim17ROCPRIM_400000_NS6detail17trampoline_kernelINS0_14default_configENS1_38merge_sort_block_merge_config_selectorIilEEZZNS1_27merge_sort_block_merge_implIS3_PiN6thrust23THRUST_200600_302600_NS10device_ptrIlEEjNS1_19radix_merge_compareILb0ELb1EiNS0_19identity_decomposerEEEEE10hipError_tT0_T1_T2_jT3_P12ihipStream_tbPNSt15iterator_traitsISG_E10value_typeEPNSM_ISH_E10value_typeEPSI_NS1_7vsmem_tEENKUlT_SG_SH_SI_E_clIS7_S7_SB_PlEESF_SV_SG_SH_SI_EUlSV_E1_NS1_11comp_targetILNS1_3genE8ELNS1_11target_archE1030ELNS1_3gpuE2ELNS1_3repE0EEENS1_36merge_oddeven_config_static_selectorELNS0_4arch9wavefront6targetE1EEEvSH_.kd
    .uniform_work_group_size: 1
    .uses_dynamic_stack: false
    .vgpr_count:     0
    .vgpr_spill_count: 0
    .wavefront_size: 64
  - .args:
      - .offset:         0
        .size:           40
        .value_kind:     by_value
    .group_segment_fixed_size: 0
    .kernarg_segment_align: 8
    .kernarg_segment_size: 40
    .language:       OpenCL C
    .language_version:
      - 2
      - 0
    .max_flat_workgroup_size: 512
    .name:           _ZN7rocprim17ROCPRIM_400000_NS6detail17trampoline_kernelINS0_14default_configENS1_35radix_sort_onesweep_config_selectorIilEEZNS1_34radix_sort_onesweep_global_offsetsIS3_Lb0EPiN6thrust23THRUST_200600_302600_NS10device_ptrIlEEjNS0_19identity_decomposerEEE10hipError_tT1_T2_PT3_SG_jT4_jjP12ihipStream_tbEUlT_E_NS1_11comp_targetILNS1_3genE0ELNS1_11target_archE4294967295ELNS1_3gpuE0ELNS1_3repE0EEENS1_52radix_sort_onesweep_histogram_config_static_selectorELNS0_4arch9wavefront6targetE1EEEvSE_
    .private_segment_fixed_size: 0
    .sgpr_count:     4
    .sgpr_spill_count: 0
    .symbol:         _ZN7rocprim17ROCPRIM_400000_NS6detail17trampoline_kernelINS0_14default_configENS1_35radix_sort_onesweep_config_selectorIilEEZNS1_34radix_sort_onesweep_global_offsetsIS3_Lb0EPiN6thrust23THRUST_200600_302600_NS10device_ptrIlEEjNS0_19identity_decomposerEEE10hipError_tT1_T2_PT3_SG_jT4_jjP12ihipStream_tbEUlT_E_NS1_11comp_targetILNS1_3genE0ELNS1_11target_archE4294967295ELNS1_3gpuE0ELNS1_3repE0EEENS1_52radix_sort_onesweep_histogram_config_static_selectorELNS0_4arch9wavefront6targetE1EEEvSE_.kd
    .uniform_work_group_size: 1
    .uses_dynamic_stack: false
    .vgpr_count:     0
    .vgpr_spill_count: 0
    .wavefront_size: 64
  - .args:
      - .offset:         0
        .size:           40
        .value_kind:     by_value
    .group_segment_fixed_size: 0
    .kernarg_segment_align: 8
    .kernarg_segment_size: 40
    .language:       OpenCL C
    .language_version:
      - 2
      - 0
    .max_flat_workgroup_size: 1024
    .name:           _ZN7rocprim17ROCPRIM_400000_NS6detail17trampoline_kernelINS0_14default_configENS1_35radix_sort_onesweep_config_selectorIilEEZNS1_34radix_sort_onesweep_global_offsetsIS3_Lb0EPiN6thrust23THRUST_200600_302600_NS10device_ptrIlEEjNS0_19identity_decomposerEEE10hipError_tT1_T2_PT3_SG_jT4_jjP12ihipStream_tbEUlT_E_NS1_11comp_targetILNS1_3genE6ELNS1_11target_archE950ELNS1_3gpuE13ELNS1_3repE0EEENS1_52radix_sort_onesweep_histogram_config_static_selectorELNS0_4arch9wavefront6targetE1EEEvSE_
    .private_segment_fixed_size: 0
    .sgpr_count:     4
    .sgpr_spill_count: 0
    .symbol:         _ZN7rocprim17ROCPRIM_400000_NS6detail17trampoline_kernelINS0_14default_configENS1_35radix_sort_onesweep_config_selectorIilEEZNS1_34radix_sort_onesweep_global_offsetsIS3_Lb0EPiN6thrust23THRUST_200600_302600_NS10device_ptrIlEEjNS0_19identity_decomposerEEE10hipError_tT1_T2_PT3_SG_jT4_jjP12ihipStream_tbEUlT_E_NS1_11comp_targetILNS1_3genE6ELNS1_11target_archE950ELNS1_3gpuE13ELNS1_3repE0EEENS1_52radix_sort_onesweep_histogram_config_static_selectorELNS0_4arch9wavefront6targetE1EEEvSE_.kd
    .uniform_work_group_size: 1
    .uses_dynamic_stack: false
    .vgpr_count:     0
    .vgpr_spill_count: 0
    .wavefront_size: 64
  - .args:
      - .offset:         0
        .size:           40
        .value_kind:     by_value
    .group_segment_fixed_size: 0
    .kernarg_segment_align: 8
    .kernarg_segment_size: 40
    .language:       OpenCL C
    .language_version:
      - 2
      - 0
    .max_flat_workgroup_size: 1024
    .name:           _ZN7rocprim17ROCPRIM_400000_NS6detail17trampoline_kernelINS0_14default_configENS1_35radix_sort_onesweep_config_selectorIilEEZNS1_34radix_sort_onesweep_global_offsetsIS3_Lb0EPiN6thrust23THRUST_200600_302600_NS10device_ptrIlEEjNS0_19identity_decomposerEEE10hipError_tT1_T2_PT3_SG_jT4_jjP12ihipStream_tbEUlT_E_NS1_11comp_targetILNS1_3genE5ELNS1_11target_archE942ELNS1_3gpuE9ELNS1_3repE0EEENS1_52radix_sort_onesweep_histogram_config_static_selectorELNS0_4arch9wavefront6targetE1EEEvSE_
    .private_segment_fixed_size: 0
    .sgpr_count:     4
    .sgpr_spill_count: 0
    .symbol:         _ZN7rocprim17ROCPRIM_400000_NS6detail17trampoline_kernelINS0_14default_configENS1_35radix_sort_onesweep_config_selectorIilEEZNS1_34radix_sort_onesweep_global_offsetsIS3_Lb0EPiN6thrust23THRUST_200600_302600_NS10device_ptrIlEEjNS0_19identity_decomposerEEE10hipError_tT1_T2_PT3_SG_jT4_jjP12ihipStream_tbEUlT_E_NS1_11comp_targetILNS1_3genE5ELNS1_11target_archE942ELNS1_3gpuE9ELNS1_3repE0EEENS1_52radix_sort_onesweep_histogram_config_static_selectorELNS0_4arch9wavefront6targetE1EEEvSE_.kd
    .uniform_work_group_size: 1
    .uses_dynamic_stack: false
    .vgpr_count:     0
    .vgpr_spill_count: 0
    .wavefront_size: 64
  - .args:
      - .offset:         0
        .size:           40
        .value_kind:     by_value
    .group_segment_fixed_size: 16384
    .kernarg_segment_align: 8
    .kernarg_segment_size: 40
    .language:       OpenCL C
    .language_version:
      - 2
      - 0
    .max_flat_workgroup_size: 512
    .name:           _ZN7rocprim17ROCPRIM_400000_NS6detail17trampoline_kernelINS0_14default_configENS1_35radix_sort_onesweep_config_selectorIilEEZNS1_34radix_sort_onesweep_global_offsetsIS3_Lb0EPiN6thrust23THRUST_200600_302600_NS10device_ptrIlEEjNS0_19identity_decomposerEEE10hipError_tT1_T2_PT3_SG_jT4_jjP12ihipStream_tbEUlT_E_NS1_11comp_targetILNS1_3genE2ELNS1_11target_archE906ELNS1_3gpuE6ELNS1_3repE0EEENS1_52radix_sort_onesweep_histogram_config_static_selectorELNS0_4arch9wavefront6targetE1EEEvSE_
    .private_segment_fixed_size: 0
    .sgpr_count:     23
    .sgpr_spill_count: 0
    .symbol:         _ZN7rocprim17ROCPRIM_400000_NS6detail17trampoline_kernelINS0_14default_configENS1_35radix_sort_onesweep_config_selectorIilEEZNS1_34radix_sort_onesweep_global_offsetsIS3_Lb0EPiN6thrust23THRUST_200600_302600_NS10device_ptrIlEEjNS0_19identity_decomposerEEE10hipError_tT1_T2_PT3_SG_jT4_jjP12ihipStream_tbEUlT_E_NS1_11comp_targetILNS1_3genE2ELNS1_11target_archE906ELNS1_3gpuE6ELNS1_3repE0EEENS1_52radix_sort_onesweep_histogram_config_static_selectorELNS0_4arch9wavefront6targetE1EEEvSE_.kd
    .uniform_work_group_size: 1
    .uses_dynamic_stack: false
    .vgpr_count:     20
    .vgpr_spill_count: 0
    .wavefront_size: 64
  - .args:
      - .offset:         0
        .size:           40
        .value_kind:     by_value
    .group_segment_fixed_size: 0
    .kernarg_segment_align: 8
    .kernarg_segment_size: 40
    .language:       OpenCL C
    .language_version:
      - 2
      - 0
    .max_flat_workgroup_size: 512
    .name:           _ZN7rocprim17ROCPRIM_400000_NS6detail17trampoline_kernelINS0_14default_configENS1_35radix_sort_onesweep_config_selectorIilEEZNS1_34radix_sort_onesweep_global_offsetsIS3_Lb0EPiN6thrust23THRUST_200600_302600_NS10device_ptrIlEEjNS0_19identity_decomposerEEE10hipError_tT1_T2_PT3_SG_jT4_jjP12ihipStream_tbEUlT_E_NS1_11comp_targetILNS1_3genE4ELNS1_11target_archE910ELNS1_3gpuE8ELNS1_3repE0EEENS1_52radix_sort_onesweep_histogram_config_static_selectorELNS0_4arch9wavefront6targetE1EEEvSE_
    .private_segment_fixed_size: 0
    .sgpr_count:     4
    .sgpr_spill_count: 0
    .symbol:         _ZN7rocprim17ROCPRIM_400000_NS6detail17trampoline_kernelINS0_14default_configENS1_35radix_sort_onesweep_config_selectorIilEEZNS1_34radix_sort_onesweep_global_offsetsIS3_Lb0EPiN6thrust23THRUST_200600_302600_NS10device_ptrIlEEjNS0_19identity_decomposerEEE10hipError_tT1_T2_PT3_SG_jT4_jjP12ihipStream_tbEUlT_E_NS1_11comp_targetILNS1_3genE4ELNS1_11target_archE910ELNS1_3gpuE8ELNS1_3repE0EEENS1_52radix_sort_onesweep_histogram_config_static_selectorELNS0_4arch9wavefront6targetE1EEEvSE_.kd
    .uniform_work_group_size: 1
    .uses_dynamic_stack: false
    .vgpr_count:     0
    .vgpr_spill_count: 0
    .wavefront_size: 64
  - .args:
      - .offset:         0
        .size:           40
        .value_kind:     by_value
    .group_segment_fixed_size: 0
    .kernarg_segment_align: 8
    .kernarg_segment_size: 40
    .language:       OpenCL C
    .language_version:
      - 2
      - 0
    .max_flat_workgroup_size: 512
    .name:           _ZN7rocprim17ROCPRIM_400000_NS6detail17trampoline_kernelINS0_14default_configENS1_35radix_sort_onesweep_config_selectorIilEEZNS1_34radix_sort_onesweep_global_offsetsIS3_Lb0EPiN6thrust23THRUST_200600_302600_NS10device_ptrIlEEjNS0_19identity_decomposerEEE10hipError_tT1_T2_PT3_SG_jT4_jjP12ihipStream_tbEUlT_E_NS1_11comp_targetILNS1_3genE3ELNS1_11target_archE908ELNS1_3gpuE7ELNS1_3repE0EEENS1_52radix_sort_onesweep_histogram_config_static_selectorELNS0_4arch9wavefront6targetE1EEEvSE_
    .private_segment_fixed_size: 0
    .sgpr_count:     4
    .sgpr_spill_count: 0
    .symbol:         _ZN7rocprim17ROCPRIM_400000_NS6detail17trampoline_kernelINS0_14default_configENS1_35radix_sort_onesweep_config_selectorIilEEZNS1_34radix_sort_onesweep_global_offsetsIS3_Lb0EPiN6thrust23THRUST_200600_302600_NS10device_ptrIlEEjNS0_19identity_decomposerEEE10hipError_tT1_T2_PT3_SG_jT4_jjP12ihipStream_tbEUlT_E_NS1_11comp_targetILNS1_3genE3ELNS1_11target_archE908ELNS1_3gpuE7ELNS1_3repE0EEENS1_52radix_sort_onesweep_histogram_config_static_selectorELNS0_4arch9wavefront6targetE1EEEvSE_.kd
    .uniform_work_group_size: 1
    .uses_dynamic_stack: false
    .vgpr_count:     0
    .vgpr_spill_count: 0
    .wavefront_size: 64
  - .args:
      - .offset:         0
        .size:           40
        .value_kind:     by_value
    .group_segment_fixed_size: 0
    .kernarg_segment_align: 8
    .kernarg_segment_size: 40
    .language:       OpenCL C
    .language_version:
      - 2
      - 0
    .max_flat_workgroup_size: 1024
    .name:           _ZN7rocprim17ROCPRIM_400000_NS6detail17trampoline_kernelINS0_14default_configENS1_35radix_sort_onesweep_config_selectorIilEEZNS1_34radix_sort_onesweep_global_offsetsIS3_Lb0EPiN6thrust23THRUST_200600_302600_NS10device_ptrIlEEjNS0_19identity_decomposerEEE10hipError_tT1_T2_PT3_SG_jT4_jjP12ihipStream_tbEUlT_E_NS1_11comp_targetILNS1_3genE10ELNS1_11target_archE1201ELNS1_3gpuE5ELNS1_3repE0EEENS1_52radix_sort_onesweep_histogram_config_static_selectorELNS0_4arch9wavefront6targetE1EEEvSE_
    .private_segment_fixed_size: 0
    .sgpr_count:     4
    .sgpr_spill_count: 0
    .symbol:         _ZN7rocprim17ROCPRIM_400000_NS6detail17trampoline_kernelINS0_14default_configENS1_35radix_sort_onesweep_config_selectorIilEEZNS1_34radix_sort_onesweep_global_offsetsIS3_Lb0EPiN6thrust23THRUST_200600_302600_NS10device_ptrIlEEjNS0_19identity_decomposerEEE10hipError_tT1_T2_PT3_SG_jT4_jjP12ihipStream_tbEUlT_E_NS1_11comp_targetILNS1_3genE10ELNS1_11target_archE1201ELNS1_3gpuE5ELNS1_3repE0EEENS1_52radix_sort_onesweep_histogram_config_static_selectorELNS0_4arch9wavefront6targetE1EEEvSE_.kd
    .uniform_work_group_size: 1
    .uses_dynamic_stack: false
    .vgpr_count:     0
    .vgpr_spill_count: 0
    .wavefront_size: 64
  - .args:
      - .offset:         0
        .size:           40
        .value_kind:     by_value
    .group_segment_fixed_size: 0
    .kernarg_segment_align: 8
    .kernarg_segment_size: 40
    .language:       OpenCL C
    .language_version:
      - 2
      - 0
    .max_flat_workgroup_size: 1024
    .name:           _ZN7rocprim17ROCPRIM_400000_NS6detail17trampoline_kernelINS0_14default_configENS1_35radix_sort_onesweep_config_selectorIilEEZNS1_34radix_sort_onesweep_global_offsetsIS3_Lb0EPiN6thrust23THRUST_200600_302600_NS10device_ptrIlEEjNS0_19identity_decomposerEEE10hipError_tT1_T2_PT3_SG_jT4_jjP12ihipStream_tbEUlT_E_NS1_11comp_targetILNS1_3genE9ELNS1_11target_archE1100ELNS1_3gpuE3ELNS1_3repE0EEENS1_52radix_sort_onesweep_histogram_config_static_selectorELNS0_4arch9wavefront6targetE1EEEvSE_
    .private_segment_fixed_size: 0
    .sgpr_count:     4
    .sgpr_spill_count: 0
    .symbol:         _ZN7rocprim17ROCPRIM_400000_NS6detail17trampoline_kernelINS0_14default_configENS1_35radix_sort_onesweep_config_selectorIilEEZNS1_34radix_sort_onesweep_global_offsetsIS3_Lb0EPiN6thrust23THRUST_200600_302600_NS10device_ptrIlEEjNS0_19identity_decomposerEEE10hipError_tT1_T2_PT3_SG_jT4_jjP12ihipStream_tbEUlT_E_NS1_11comp_targetILNS1_3genE9ELNS1_11target_archE1100ELNS1_3gpuE3ELNS1_3repE0EEENS1_52radix_sort_onesweep_histogram_config_static_selectorELNS0_4arch9wavefront6targetE1EEEvSE_.kd
    .uniform_work_group_size: 1
    .uses_dynamic_stack: false
    .vgpr_count:     0
    .vgpr_spill_count: 0
    .wavefront_size: 64
  - .args:
      - .offset:         0
        .size:           40
        .value_kind:     by_value
    .group_segment_fixed_size: 0
    .kernarg_segment_align: 8
    .kernarg_segment_size: 40
    .language:       OpenCL C
    .language_version:
      - 2
      - 0
    .max_flat_workgroup_size: 1024
    .name:           _ZN7rocprim17ROCPRIM_400000_NS6detail17trampoline_kernelINS0_14default_configENS1_35radix_sort_onesweep_config_selectorIilEEZNS1_34radix_sort_onesweep_global_offsetsIS3_Lb0EPiN6thrust23THRUST_200600_302600_NS10device_ptrIlEEjNS0_19identity_decomposerEEE10hipError_tT1_T2_PT3_SG_jT4_jjP12ihipStream_tbEUlT_E_NS1_11comp_targetILNS1_3genE8ELNS1_11target_archE1030ELNS1_3gpuE2ELNS1_3repE0EEENS1_52radix_sort_onesweep_histogram_config_static_selectorELNS0_4arch9wavefront6targetE1EEEvSE_
    .private_segment_fixed_size: 0
    .sgpr_count:     4
    .sgpr_spill_count: 0
    .symbol:         _ZN7rocprim17ROCPRIM_400000_NS6detail17trampoline_kernelINS0_14default_configENS1_35radix_sort_onesweep_config_selectorIilEEZNS1_34radix_sort_onesweep_global_offsetsIS3_Lb0EPiN6thrust23THRUST_200600_302600_NS10device_ptrIlEEjNS0_19identity_decomposerEEE10hipError_tT1_T2_PT3_SG_jT4_jjP12ihipStream_tbEUlT_E_NS1_11comp_targetILNS1_3genE8ELNS1_11target_archE1030ELNS1_3gpuE2ELNS1_3repE0EEENS1_52radix_sort_onesweep_histogram_config_static_selectorELNS0_4arch9wavefront6targetE1EEEvSE_.kd
    .uniform_work_group_size: 1
    .uses_dynamic_stack: false
    .vgpr_count:     0
    .vgpr_spill_count: 0
    .wavefront_size: 64
  - .args:
      - .address_space:  global
        .offset:         0
        .size:           8
        .value_kind:     global_buffer
    .group_segment_fixed_size: 0
    .kernarg_segment_align: 8
    .kernarg_segment_size: 8
    .language:       OpenCL C
    .language_version:
      - 2
      - 0
    .max_flat_workgroup_size: 512
    .name:           _ZN7rocprim17ROCPRIM_400000_NS6detail17trampoline_kernelINS0_14default_configENS1_35radix_sort_onesweep_config_selectorIilEEZNS1_34radix_sort_onesweep_global_offsetsIS3_Lb0EPiN6thrust23THRUST_200600_302600_NS10device_ptrIlEEjNS0_19identity_decomposerEEE10hipError_tT1_T2_PT3_SG_jT4_jjP12ihipStream_tbEUlT_E0_NS1_11comp_targetILNS1_3genE0ELNS1_11target_archE4294967295ELNS1_3gpuE0ELNS1_3repE0EEENS1_52radix_sort_onesweep_histogram_config_static_selectorELNS0_4arch9wavefront6targetE1EEEvSE_
    .private_segment_fixed_size: 0
    .sgpr_count:     4
    .sgpr_spill_count: 0
    .symbol:         _ZN7rocprim17ROCPRIM_400000_NS6detail17trampoline_kernelINS0_14default_configENS1_35radix_sort_onesweep_config_selectorIilEEZNS1_34radix_sort_onesweep_global_offsetsIS3_Lb0EPiN6thrust23THRUST_200600_302600_NS10device_ptrIlEEjNS0_19identity_decomposerEEE10hipError_tT1_T2_PT3_SG_jT4_jjP12ihipStream_tbEUlT_E0_NS1_11comp_targetILNS1_3genE0ELNS1_11target_archE4294967295ELNS1_3gpuE0ELNS1_3repE0EEENS1_52radix_sort_onesweep_histogram_config_static_selectorELNS0_4arch9wavefront6targetE1EEEvSE_.kd
    .uniform_work_group_size: 1
    .uses_dynamic_stack: false
    .vgpr_count:     0
    .vgpr_spill_count: 0
    .wavefront_size: 64
  - .args:
      - .address_space:  global
        .offset:         0
        .size:           8
        .value_kind:     global_buffer
    .group_segment_fixed_size: 0
    .kernarg_segment_align: 8
    .kernarg_segment_size: 8
    .language:       OpenCL C
    .language_version:
      - 2
      - 0
    .max_flat_workgroup_size: 1024
    .name:           _ZN7rocprim17ROCPRIM_400000_NS6detail17trampoline_kernelINS0_14default_configENS1_35radix_sort_onesweep_config_selectorIilEEZNS1_34radix_sort_onesweep_global_offsetsIS3_Lb0EPiN6thrust23THRUST_200600_302600_NS10device_ptrIlEEjNS0_19identity_decomposerEEE10hipError_tT1_T2_PT3_SG_jT4_jjP12ihipStream_tbEUlT_E0_NS1_11comp_targetILNS1_3genE6ELNS1_11target_archE950ELNS1_3gpuE13ELNS1_3repE0EEENS1_52radix_sort_onesweep_histogram_config_static_selectorELNS0_4arch9wavefront6targetE1EEEvSE_
    .private_segment_fixed_size: 0
    .sgpr_count:     4
    .sgpr_spill_count: 0
    .symbol:         _ZN7rocprim17ROCPRIM_400000_NS6detail17trampoline_kernelINS0_14default_configENS1_35radix_sort_onesweep_config_selectorIilEEZNS1_34radix_sort_onesweep_global_offsetsIS3_Lb0EPiN6thrust23THRUST_200600_302600_NS10device_ptrIlEEjNS0_19identity_decomposerEEE10hipError_tT1_T2_PT3_SG_jT4_jjP12ihipStream_tbEUlT_E0_NS1_11comp_targetILNS1_3genE6ELNS1_11target_archE950ELNS1_3gpuE13ELNS1_3repE0EEENS1_52radix_sort_onesweep_histogram_config_static_selectorELNS0_4arch9wavefront6targetE1EEEvSE_.kd
    .uniform_work_group_size: 1
    .uses_dynamic_stack: false
    .vgpr_count:     0
    .vgpr_spill_count: 0
    .wavefront_size: 64
  - .args:
      - .address_space:  global
        .offset:         0
        .size:           8
        .value_kind:     global_buffer
    .group_segment_fixed_size: 0
    .kernarg_segment_align: 8
    .kernarg_segment_size: 8
    .language:       OpenCL C
    .language_version:
      - 2
      - 0
    .max_flat_workgroup_size: 1024
    .name:           _ZN7rocprim17ROCPRIM_400000_NS6detail17trampoline_kernelINS0_14default_configENS1_35radix_sort_onesweep_config_selectorIilEEZNS1_34radix_sort_onesweep_global_offsetsIS3_Lb0EPiN6thrust23THRUST_200600_302600_NS10device_ptrIlEEjNS0_19identity_decomposerEEE10hipError_tT1_T2_PT3_SG_jT4_jjP12ihipStream_tbEUlT_E0_NS1_11comp_targetILNS1_3genE5ELNS1_11target_archE942ELNS1_3gpuE9ELNS1_3repE0EEENS1_52radix_sort_onesweep_histogram_config_static_selectorELNS0_4arch9wavefront6targetE1EEEvSE_
    .private_segment_fixed_size: 0
    .sgpr_count:     4
    .sgpr_spill_count: 0
    .symbol:         _ZN7rocprim17ROCPRIM_400000_NS6detail17trampoline_kernelINS0_14default_configENS1_35radix_sort_onesweep_config_selectorIilEEZNS1_34radix_sort_onesweep_global_offsetsIS3_Lb0EPiN6thrust23THRUST_200600_302600_NS10device_ptrIlEEjNS0_19identity_decomposerEEE10hipError_tT1_T2_PT3_SG_jT4_jjP12ihipStream_tbEUlT_E0_NS1_11comp_targetILNS1_3genE5ELNS1_11target_archE942ELNS1_3gpuE9ELNS1_3repE0EEENS1_52radix_sort_onesweep_histogram_config_static_selectorELNS0_4arch9wavefront6targetE1EEEvSE_.kd
    .uniform_work_group_size: 1
    .uses_dynamic_stack: false
    .vgpr_count:     0
    .vgpr_spill_count: 0
    .wavefront_size: 64
  - .args:
      - .address_space:  global
        .offset:         0
        .size:           8
        .value_kind:     global_buffer
    .group_segment_fixed_size: 32
    .kernarg_segment_align: 8
    .kernarg_segment_size: 8
    .language:       OpenCL C
    .language_version:
      - 2
      - 0
    .max_flat_workgroup_size: 512
    .name:           _ZN7rocprim17ROCPRIM_400000_NS6detail17trampoline_kernelINS0_14default_configENS1_35radix_sort_onesweep_config_selectorIilEEZNS1_34radix_sort_onesweep_global_offsetsIS3_Lb0EPiN6thrust23THRUST_200600_302600_NS10device_ptrIlEEjNS0_19identity_decomposerEEE10hipError_tT1_T2_PT3_SG_jT4_jjP12ihipStream_tbEUlT_E0_NS1_11comp_targetILNS1_3genE2ELNS1_11target_archE906ELNS1_3gpuE6ELNS1_3repE0EEENS1_52radix_sort_onesweep_histogram_config_static_selectorELNS0_4arch9wavefront6targetE1EEEvSE_
    .private_segment_fixed_size: 0
    .sgpr_count:     11
    .sgpr_spill_count: 0
    .symbol:         _ZN7rocprim17ROCPRIM_400000_NS6detail17trampoline_kernelINS0_14default_configENS1_35radix_sort_onesweep_config_selectorIilEEZNS1_34radix_sort_onesweep_global_offsetsIS3_Lb0EPiN6thrust23THRUST_200600_302600_NS10device_ptrIlEEjNS0_19identity_decomposerEEE10hipError_tT1_T2_PT3_SG_jT4_jjP12ihipStream_tbEUlT_E0_NS1_11comp_targetILNS1_3genE2ELNS1_11target_archE906ELNS1_3gpuE6ELNS1_3repE0EEENS1_52radix_sort_onesweep_histogram_config_static_selectorELNS0_4arch9wavefront6targetE1EEEvSE_.kd
    .uniform_work_group_size: 1
    .uses_dynamic_stack: false
    .vgpr_count:     8
    .vgpr_spill_count: 0
    .wavefront_size: 64
  - .args:
      - .address_space:  global
        .offset:         0
        .size:           8
        .value_kind:     global_buffer
    .group_segment_fixed_size: 0
    .kernarg_segment_align: 8
    .kernarg_segment_size: 8
    .language:       OpenCL C
    .language_version:
      - 2
      - 0
    .max_flat_workgroup_size: 512
    .name:           _ZN7rocprim17ROCPRIM_400000_NS6detail17trampoline_kernelINS0_14default_configENS1_35radix_sort_onesweep_config_selectorIilEEZNS1_34radix_sort_onesweep_global_offsetsIS3_Lb0EPiN6thrust23THRUST_200600_302600_NS10device_ptrIlEEjNS0_19identity_decomposerEEE10hipError_tT1_T2_PT3_SG_jT4_jjP12ihipStream_tbEUlT_E0_NS1_11comp_targetILNS1_3genE4ELNS1_11target_archE910ELNS1_3gpuE8ELNS1_3repE0EEENS1_52radix_sort_onesweep_histogram_config_static_selectorELNS0_4arch9wavefront6targetE1EEEvSE_
    .private_segment_fixed_size: 0
    .sgpr_count:     4
    .sgpr_spill_count: 0
    .symbol:         _ZN7rocprim17ROCPRIM_400000_NS6detail17trampoline_kernelINS0_14default_configENS1_35radix_sort_onesweep_config_selectorIilEEZNS1_34radix_sort_onesweep_global_offsetsIS3_Lb0EPiN6thrust23THRUST_200600_302600_NS10device_ptrIlEEjNS0_19identity_decomposerEEE10hipError_tT1_T2_PT3_SG_jT4_jjP12ihipStream_tbEUlT_E0_NS1_11comp_targetILNS1_3genE4ELNS1_11target_archE910ELNS1_3gpuE8ELNS1_3repE0EEENS1_52radix_sort_onesweep_histogram_config_static_selectorELNS0_4arch9wavefront6targetE1EEEvSE_.kd
    .uniform_work_group_size: 1
    .uses_dynamic_stack: false
    .vgpr_count:     0
    .vgpr_spill_count: 0
    .wavefront_size: 64
  - .args:
      - .address_space:  global
        .offset:         0
        .size:           8
        .value_kind:     global_buffer
    .group_segment_fixed_size: 0
    .kernarg_segment_align: 8
    .kernarg_segment_size: 8
    .language:       OpenCL C
    .language_version:
      - 2
      - 0
    .max_flat_workgroup_size: 512
    .name:           _ZN7rocprim17ROCPRIM_400000_NS6detail17trampoline_kernelINS0_14default_configENS1_35radix_sort_onesweep_config_selectorIilEEZNS1_34radix_sort_onesweep_global_offsetsIS3_Lb0EPiN6thrust23THRUST_200600_302600_NS10device_ptrIlEEjNS0_19identity_decomposerEEE10hipError_tT1_T2_PT3_SG_jT4_jjP12ihipStream_tbEUlT_E0_NS1_11comp_targetILNS1_3genE3ELNS1_11target_archE908ELNS1_3gpuE7ELNS1_3repE0EEENS1_52radix_sort_onesweep_histogram_config_static_selectorELNS0_4arch9wavefront6targetE1EEEvSE_
    .private_segment_fixed_size: 0
    .sgpr_count:     4
    .sgpr_spill_count: 0
    .symbol:         _ZN7rocprim17ROCPRIM_400000_NS6detail17trampoline_kernelINS0_14default_configENS1_35radix_sort_onesweep_config_selectorIilEEZNS1_34radix_sort_onesweep_global_offsetsIS3_Lb0EPiN6thrust23THRUST_200600_302600_NS10device_ptrIlEEjNS0_19identity_decomposerEEE10hipError_tT1_T2_PT3_SG_jT4_jjP12ihipStream_tbEUlT_E0_NS1_11comp_targetILNS1_3genE3ELNS1_11target_archE908ELNS1_3gpuE7ELNS1_3repE0EEENS1_52radix_sort_onesweep_histogram_config_static_selectorELNS0_4arch9wavefront6targetE1EEEvSE_.kd
    .uniform_work_group_size: 1
    .uses_dynamic_stack: false
    .vgpr_count:     0
    .vgpr_spill_count: 0
    .wavefront_size: 64
  - .args:
      - .address_space:  global
        .offset:         0
        .size:           8
        .value_kind:     global_buffer
    .group_segment_fixed_size: 0
    .kernarg_segment_align: 8
    .kernarg_segment_size: 8
    .language:       OpenCL C
    .language_version:
      - 2
      - 0
    .max_flat_workgroup_size: 1024
    .name:           _ZN7rocprim17ROCPRIM_400000_NS6detail17trampoline_kernelINS0_14default_configENS1_35radix_sort_onesweep_config_selectorIilEEZNS1_34radix_sort_onesweep_global_offsetsIS3_Lb0EPiN6thrust23THRUST_200600_302600_NS10device_ptrIlEEjNS0_19identity_decomposerEEE10hipError_tT1_T2_PT3_SG_jT4_jjP12ihipStream_tbEUlT_E0_NS1_11comp_targetILNS1_3genE10ELNS1_11target_archE1201ELNS1_3gpuE5ELNS1_3repE0EEENS1_52radix_sort_onesweep_histogram_config_static_selectorELNS0_4arch9wavefront6targetE1EEEvSE_
    .private_segment_fixed_size: 0
    .sgpr_count:     4
    .sgpr_spill_count: 0
    .symbol:         _ZN7rocprim17ROCPRIM_400000_NS6detail17trampoline_kernelINS0_14default_configENS1_35radix_sort_onesweep_config_selectorIilEEZNS1_34radix_sort_onesweep_global_offsetsIS3_Lb0EPiN6thrust23THRUST_200600_302600_NS10device_ptrIlEEjNS0_19identity_decomposerEEE10hipError_tT1_T2_PT3_SG_jT4_jjP12ihipStream_tbEUlT_E0_NS1_11comp_targetILNS1_3genE10ELNS1_11target_archE1201ELNS1_3gpuE5ELNS1_3repE0EEENS1_52radix_sort_onesweep_histogram_config_static_selectorELNS0_4arch9wavefront6targetE1EEEvSE_.kd
    .uniform_work_group_size: 1
    .uses_dynamic_stack: false
    .vgpr_count:     0
    .vgpr_spill_count: 0
    .wavefront_size: 64
  - .args:
      - .address_space:  global
        .offset:         0
        .size:           8
        .value_kind:     global_buffer
    .group_segment_fixed_size: 0
    .kernarg_segment_align: 8
    .kernarg_segment_size: 8
    .language:       OpenCL C
    .language_version:
      - 2
      - 0
    .max_flat_workgroup_size: 1024
    .name:           _ZN7rocprim17ROCPRIM_400000_NS6detail17trampoline_kernelINS0_14default_configENS1_35radix_sort_onesweep_config_selectorIilEEZNS1_34radix_sort_onesweep_global_offsetsIS3_Lb0EPiN6thrust23THRUST_200600_302600_NS10device_ptrIlEEjNS0_19identity_decomposerEEE10hipError_tT1_T2_PT3_SG_jT4_jjP12ihipStream_tbEUlT_E0_NS1_11comp_targetILNS1_3genE9ELNS1_11target_archE1100ELNS1_3gpuE3ELNS1_3repE0EEENS1_52radix_sort_onesweep_histogram_config_static_selectorELNS0_4arch9wavefront6targetE1EEEvSE_
    .private_segment_fixed_size: 0
    .sgpr_count:     4
    .sgpr_spill_count: 0
    .symbol:         _ZN7rocprim17ROCPRIM_400000_NS6detail17trampoline_kernelINS0_14default_configENS1_35radix_sort_onesweep_config_selectorIilEEZNS1_34radix_sort_onesweep_global_offsetsIS3_Lb0EPiN6thrust23THRUST_200600_302600_NS10device_ptrIlEEjNS0_19identity_decomposerEEE10hipError_tT1_T2_PT3_SG_jT4_jjP12ihipStream_tbEUlT_E0_NS1_11comp_targetILNS1_3genE9ELNS1_11target_archE1100ELNS1_3gpuE3ELNS1_3repE0EEENS1_52radix_sort_onesweep_histogram_config_static_selectorELNS0_4arch9wavefront6targetE1EEEvSE_.kd
    .uniform_work_group_size: 1
    .uses_dynamic_stack: false
    .vgpr_count:     0
    .vgpr_spill_count: 0
    .wavefront_size: 64
  - .args:
      - .address_space:  global
        .offset:         0
        .size:           8
        .value_kind:     global_buffer
    .group_segment_fixed_size: 0
    .kernarg_segment_align: 8
    .kernarg_segment_size: 8
    .language:       OpenCL C
    .language_version:
      - 2
      - 0
    .max_flat_workgroup_size: 1024
    .name:           _ZN7rocprim17ROCPRIM_400000_NS6detail17trampoline_kernelINS0_14default_configENS1_35radix_sort_onesweep_config_selectorIilEEZNS1_34radix_sort_onesweep_global_offsetsIS3_Lb0EPiN6thrust23THRUST_200600_302600_NS10device_ptrIlEEjNS0_19identity_decomposerEEE10hipError_tT1_T2_PT3_SG_jT4_jjP12ihipStream_tbEUlT_E0_NS1_11comp_targetILNS1_3genE8ELNS1_11target_archE1030ELNS1_3gpuE2ELNS1_3repE0EEENS1_52radix_sort_onesweep_histogram_config_static_selectorELNS0_4arch9wavefront6targetE1EEEvSE_
    .private_segment_fixed_size: 0
    .sgpr_count:     4
    .sgpr_spill_count: 0
    .symbol:         _ZN7rocprim17ROCPRIM_400000_NS6detail17trampoline_kernelINS0_14default_configENS1_35radix_sort_onesweep_config_selectorIilEEZNS1_34radix_sort_onesweep_global_offsetsIS3_Lb0EPiN6thrust23THRUST_200600_302600_NS10device_ptrIlEEjNS0_19identity_decomposerEEE10hipError_tT1_T2_PT3_SG_jT4_jjP12ihipStream_tbEUlT_E0_NS1_11comp_targetILNS1_3genE8ELNS1_11target_archE1030ELNS1_3gpuE2ELNS1_3repE0EEENS1_52radix_sort_onesweep_histogram_config_static_selectorELNS0_4arch9wavefront6targetE1EEEvSE_.kd
    .uniform_work_group_size: 1
    .uses_dynamic_stack: false
    .vgpr_count:     0
    .vgpr_spill_count: 0
    .wavefront_size: 64
  - .args:
      - .offset:         0
        .size:           88
        .value_kind:     by_value
    .group_segment_fixed_size: 0
    .kernarg_segment_align: 8
    .kernarg_segment_size: 88
    .language:       OpenCL C
    .language_version:
      - 2
      - 0
    .max_flat_workgroup_size: 512
    .name:           _ZN7rocprim17ROCPRIM_400000_NS6detail17trampoline_kernelINS0_14default_configENS1_35radix_sort_onesweep_config_selectorIilEEZZNS1_29radix_sort_onesweep_iterationIS3_Lb0EPiS7_N6thrust23THRUST_200600_302600_NS10device_ptrIlEESB_jNS0_19identity_decomposerENS1_16block_id_wrapperIjLb1EEEEE10hipError_tT1_PNSt15iterator_traitsISG_E10value_typeET2_T3_PNSH_ISM_E10value_typeET4_T5_PSR_SS_PNS1_23onesweep_lookback_stateEbbT6_jjT7_P12ihipStream_tbENKUlT_T0_SG_SL_E_clIS7_S7_SB_SB_EEDaSZ_S10_SG_SL_EUlSZ_E_NS1_11comp_targetILNS1_3genE0ELNS1_11target_archE4294967295ELNS1_3gpuE0ELNS1_3repE0EEENS1_47radix_sort_onesweep_sort_config_static_selectorELNS0_4arch9wavefront6targetE1EEEvSG_
    .private_segment_fixed_size: 0
    .sgpr_count:     4
    .sgpr_spill_count: 0
    .symbol:         _ZN7rocprim17ROCPRIM_400000_NS6detail17trampoline_kernelINS0_14default_configENS1_35radix_sort_onesweep_config_selectorIilEEZZNS1_29radix_sort_onesweep_iterationIS3_Lb0EPiS7_N6thrust23THRUST_200600_302600_NS10device_ptrIlEESB_jNS0_19identity_decomposerENS1_16block_id_wrapperIjLb1EEEEE10hipError_tT1_PNSt15iterator_traitsISG_E10value_typeET2_T3_PNSH_ISM_E10value_typeET4_T5_PSR_SS_PNS1_23onesweep_lookback_stateEbbT6_jjT7_P12ihipStream_tbENKUlT_T0_SG_SL_E_clIS7_S7_SB_SB_EEDaSZ_S10_SG_SL_EUlSZ_E_NS1_11comp_targetILNS1_3genE0ELNS1_11target_archE4294967295ELNS1_3gpuE0ELNS1_3repE0EEENS1_47radix_sort_onesweep_sort_config_static_selectorELNS0_4arch9wavefront6targetE1EEEvSG_.kd
    .uniform_work_group_size: 1
    .uses_dynamic_stack: false
    .vgpr_count:     0
    .vgpr_spill_count: 0
    .wavefront_size: 64
  - .args:
      - .offset:         0
        .size:           88
        .value_kind:     by_value
    .group_segment_fixed_size: 0
    .kernarg_segment_align: 8
    .kernarg_segment_size: 88
    .language:       OpenCL C
    .language_version:
      - 2
      - 0
    .max_flat_workgroup_size: 1024
    .name:           _ZN7rocprim17ROCPRIM_400000_NS6detail17trampoline_kernelINS0_14default_configENS1_35radix_sort_onesweep_config_selectorIilEEZZNS1_29radix_sort_onesweep_iterationIS3_Lb0EPiS7_N6thrust23THRUST_200600_302600_NS10device_ptrIlEESB_jNS0_19identity_decomposerENS1_16block_id_wrapperIjLb1EEEEE10hipError_tT1_PNSt15iterator_traitsISG_E10value_typeET2_T3_PNSH_ISM_E10value_typeET4_T5_PSR_SS_PNS1_23onesweep_lookback_stateEbbT6_jjT7_P12ihipStream_tbENKUlT_T0_SG_SL_E_clIS7_S7_SB_SB_EEDaSZ_S10_SG_SL_EUlSZ_E_NS1_11comp_targetILNS1_3genE6ELNS1_11target_archE950ELNS1_3gpuE13ELNS1_3repE0EEENS1_47radix_sort_onesweep_sort_config_static_selectorELNS0_4arch9wavefront6targetE1EEEvSG_
    .private_segment_fixed_size: 0
    .sgpr_count:     4
    .sgpr_spill_count: 0
    .symbol:         _ZN7rocprim17ROCPRIM_400000_NS6detail17trampoline_kernelINS0_14default_configENS1_35radix_sort_onesweep_config_selectorIilEEZZNS1_29radix_sort_onesweep_iterationIS3_Lb0EPiS7_N6thrust23THRUST_200600_302600_NS10device_ptrIlEESB_jNS0_19identity_decomposerENS1_16block_id_wrapperIjLb1EEEEE10hipError_tT1_PNSt15iterator_traitsISG_E10value_typeET2_T3_PNSH_ISM_E10value_typeET4_T5_PSR_SS_PNS1_23onesweep_lookback_stateEbbT6_jjT7_P12ihipStream_tbENKUlT_T0_SG_SL_E_clIS7_S7_SB_SB_EEDaSZ_S10_SG_SL_EUlSZ_E_NS1_11comp_targetILNS1_3genE6ELNS1_11target_archE950ELNS1_3gpuE13ELNS1_3repE0EEENS1_47radix_sort_onesweep_sort_config_static_selectorELNS0_4arch9wavefront6targetE1EEEvSG_.kd
    .uniform_work_group_size: 1
    .uses_dynamic_stack: false
    .vgpr_count:     0
    .vgpr_spill_count: 0
    .wavefront_size: 64
  - .args:
      - .offset:         0
        .size:           88
        .value_kind:     by_value
    .group_segment_fixed_size: 0
    .kernarg_segment_align: 8
    .kernarg_segment_size: 88
    .language:       OpenCL C
    .language_version:
      - 2
      - 0
    .max_flat_workgroup_size: 1024
    .name:           _ZN7rocprim17ROCPRIM_400000_NS6detail17trampoline_kernelINS0_14default_configENS1_35radix_sort_onesweep_config_selectorIilEEZZNS1_29radix_sort_onesweep_iterationIS3_Lb0EPiS7_N6thrust23THRUST_200600_302600_NS10device_ptrIlEESB_jNS0_19identity_decomposerENS1_16block_id_wrapperIjLb1EEEEE10hipError_tT1_PNSt15iterator_traitsISG_E10value_typeET2_T3_PNSH_ISM_E10value_typeET4_T5_PSR_SS_PNS1_23onesweep_lookback_stateEbbT6_jjT7_P12ihipStream_tbENKUlT_T0_SG_SL_E_clIS7_S7_SB_SB_EEDaSZ_S10_SG_SL_EUlSZ_E_NS1_11comp_targetILNS1_3genE5ELNS1_11target_archE942ELNS1_3gpuE9ELNS1_3repE0EEENS1_47radix_sort_onesweep_sort_config_static_selectorELNS0_4arch9wavefront6targetE1EEEvSG_
    .private_segment_fixed_size: 0
    .sgpr_count:     4
    .sgpr_spill_count: 0
    .symbol:         _ZN7rocprim17ROCPRIM_400000_NS6detail17trampoline_kernelINS0_14default_configENS1_35radix_sort_onesweep_config_selectorIilEEZZNS1_29radix_sort_onesweep_iterationIS3_Lb0EPiS7_N6thrust23THRUST_200600_302600_NS10device_ptrIlEESB_jNS0_19identity_decomposerENS1_16block_id_wrapperIjLb1EEEEE10hipError_tT1_PNSt15iterator_traitsISG_E10value_typeET2_T3_PNSH_ISM_E10value_typeET4_T5_PSR_SS_PNS1_23onesweep_lookback_stateEbbT6_jjT7_P12ihipStream_tbENKUlT_T0_SG_SL_E_clIS7_S7_SB_SB_EEDaSZ_S10_SG_SL_EUlSZ_E_NS1_11comp_targetILNS1_3genE5ELNS1_11target_archE942ELNS1_3gpuE9ELNS1_3repE0EEENS1_47radix_sort_onesweep_sort_config_static_selectorELNS0_4arch9wavefront6targetE1EEEvSG_.kd
    .uniform_work_group_size: 1
    .uses_dynamic_stack: false
    .vgpr_count:     0
    .vgpr_spill_count: 0
    .wavefront_size: 64
  - .args:
      - .offset:         0
        .size:           88
        .value_kind:     by_value
      - .offset:         88
        .size:           4
        .value_kind:     hidden_block_count_x
      - .offset:         92
        .size:           4
        .value_kind:     hidden_block_count_y
      - .offset:         96
        .size:           4
        .value_kind:     hidden_block_count_z
      - .offset:         100
        .size:           2
        .value_kind:     hidden_group_size_x
      - .offset:         102
        .size:           2
        .value_kind:     hidden_group_size_y
      - .offset:         104
        .size:           2
        .value_kind:     hidden_group_size_z
      - .offset:         106
        .size:           2
        .value_kind:     hidden_remainder_x
      - .offset:         108
        .size:           2
        .value_kind:     hidden_remainder_y
      - .offset:         110
        .size:           2
        .value_kind:     hidden_remainder_z
      - .offset:         128
        .size:           8
        .value_kind:     hidden_global_offset_x
      - .offset:         136
        .size:           8
        .value_kind:     hidden_global_offset_y
      - .offset:         144
        .size:           8
        .value_kind:     hidden_global_offset_z
      - .offset:         152
        .size:           2
        .value_kind:     hidden_grid_dims
    .group_segment_fixed_size: 10280
    .kernarg_segment_align: 8
    .kernarg_segment_size: 344
    .language:       OpenCL C
    .language_version:
      - 2
      - 0
    .max_flat_workgroup_size: 512
    .name:           _ZN7rocprim17ROCPRIM_400000_NS6detail17trampoline_kernelINS0_14default_configENS1_35radix_sort_onesweep_config_selectorIilEEZZNS1_29radix_sort_onesweep_iterationIS3_Lb0EPiS7_N6thrust23THRUST_200600_302600_NS10device_ptrIlEESB_jNS0_19identity_decomposerENS1_16block_id_wrapperIjLb1EEEEE10hipError_tT1_PNSt15iterator_traitsISG_E10value_typeET2_T3_PNSH_ISM_E10value_typeET4_T5_PSR_SS_PNS1_23onesweep_lookback_stateEbbT6_jjT7_P12ihipStream_tbENKUlT_T0_SG_SL_E_clIS7_S7_SB_SB_EEDaSZ_S10_SG_SL_EUlSZ_E_NS1_11comp_targetILNS1_3genE2ELNS1_11target_archE906ELNS1_3gpuE6ELNS1_3repE0EEENS1_47radix_sort_onesweep_sort_config_static_selectorELNS0_4arch9wavefront6targetE1EEEvSG_
    .private_segment_fixed_size: 48
    .sgpr_count:     64
    .sgpr_spill_count: 0
    .symbol:         _ZN7rocprim17ROCPRIM_400000_NS6detail17trampoline_kernelINS0_14default_configENS1_35radix_sort_onesweep_config_selectorIilEEZZNS1_29radix_sort_onesweep_iterationIS3_Lb0EPiS7_N6thrust23THRUST_200600_302600_NS10device_ptrIlEESB_jNS0_19identity_decomposerENS1_16block_id_wrapperIjLb1EEEEE10hipError_tT1_PNSt15iterator_traitsISG_E10value_typeET2_T3_PNSH_ISM_E10value_typeET4_T5_PSR_SS_PNS1_23onesweep_lookback_stateEbbT6_jjT7_P12ihipStream_tbENKUlT_T0_SG_SL_E_clIS7_S7_SB_SB_EEDaSZ_S10_SG_SL_EUlSZ_E_NS1_11comp_targetILNS1_3genE2ELNS1_11target_archE906ELNS1_3gpuE6ELNS1_3repE0EEENS1_47radix_sort_onesweep_sort_config_static_selectorELNS0_4arch9wavefront6targetE1EEEvSG_.kd
    .uniform_work_group_size: 1
    .uses_dynamic_stack: false
    .vgpr_count:     57
    .vgpr_spill_count: 0
    .wavefront_size: 64
  - .args:
      - .offset:         0
        .size:           88
        .value_kind:     by_value
    .group_segment_fixed_size: 0
    .kernarg_segment_align: 8
    .kernarg_segment_size: 88
    .language:       OpenCL C
    .language_version:
      - 2
      - 0
    .max_flat_workgroup_size: 512
    .name:           _ZN7rocprim17ROCPRIM_400000_NS6detail17trampoline_kernelINS0_14default_configENS1_35radix_sort_onesweep_config_selectorIilEEZZNS1_29radix_sort_onesweep_iterationIS3_Lb0EPiS7_N6thrust23THRUST_200600_302600_NS10device_ptrIlEESB_jNS0_19identity_decomposerENS1_16block_id_wrapperIjLb1EEEEE10hipError_tT1_PNSt15iterator_traitsISG_E10value_typeET2_T3_PNSH_ISM_E10value_typeET4_T5_PSR_SS_PNS1_23onesweep_lookback_stateEbbT6_jjT7_P12ihipStream_tbENKUlT_T0_SG_SL_E_clIS7_S7_SB_SB_EEDaSZ_S10_SG_SL_EUlSZ_E_NS1_11comp_targetILNS1_3genE4ELNS1_11target_archE910ELNS1_3gpuE8ELNS1_3repE0EEENS1_47radix_sort_onesweep_sort_config_static_selectorELNS0_4arch9wavefront6targetE1EEEvSG_
    .private_segment_fixed_size: 0
    .sgpr_count:     4
    .sgpr_spill_count: 0
    .symbol:         _ZN7rocprim17ROCPRIM_400000_NS6detail17trampoline_kernelINS0_14default_configENS1_35radix_sort_onesweep_config_selectorIilEEZZNS1_29radix_sort_onesweep_iterationIS3_Lb0EPiS7_N6thrust23THRUST_200600_302600_NS10device_ptrIlEESB_jNS0_19identity_decomposerENS1_16block_id_wrapperIjLb1EEEEE10hipError_tT1_PNSt15iterator_traitsISG_E10value_typeET2_T3_PNSH_ISM_E10value_typeET4_T5_PSR_SS_PNS1_23onesweep_lookback_stateEbbT6_jjT7_P12ihipStream_tbENKUlT_T0_SG_SL_E_clIS7_S7_SB_SB_EEDaSZ_S10_SG_SL_EUlSZ_E_NS1_11comp_targetILNS1_3genE4ELNS1_11target_archE910ELNS1_3gpuE8ELNS1_3repE0EEENS1_47radix_sort_onesweep_sort_config_static_selectorELNS0_4arch9wavefront6targetE1EEEvSG_.kd
    .uniform_work_group_size: 1
    .uses_dynamic_stack: false
    .vgpr_count:     0
    .vgpr_spill_count: 0
    .wavefront_size: 64
  - .args:
      - .offset:         0
        .size:           88
        .value_kind:     by_value
    .group_segment_fixed_size: 0
    .kernarg_segment_align: 8
    .kernarg_segment_size: 88
    .language:       OpenCL C
    .language_version:
      - 2
      - 0
    .max_flat_workgroup_size: 512
    .name:           _ZN7rocprim17ROCPRIM_400000_NS6detail17trampoline_kernelINS0_14default_configENS1_35radix_sort_onesweep_config_selectorIilEEZZNS1_29radix_sort_onesweep_iterationIS3_Lb0EPiS7_N6thrust23THRUST_200600_302600_NS10device_ptrIlEESB_jNS0_19identity_decomposerENS1_16block_id_wrapperIjLb1EEEEE10hipError_tT1_PNSt15iterator_traitsISG_E10value_typeET2_T3_PNSH_ISM_E10value_typeET4_T5_PSR_SS_PNS1_23onesweep_lookback_stateEbbT6_jjT7_P12ihipStream_tbENKUlT_T0_SG_SL_E_clIS7_S7_SB_SB_EEDaSZ_S10_SG_SL_EUlSZ_E_NS1_11comp_targetILNS1_3genE3ELNS1_11target_archE908ELNS1_3gpuE7ELNS1_3repE0EEENS1_47radix_sort_onesweep_sort_config_static_selectorELNS0_4arch9wavefront6targetE1EEEvSG_
    .private_segment_fixed_size: 0
    .sgpr_count:     4
    .sgpr_spill_count: 0
    .symbol:         _ZN7rocprim17ROCPRIM_400000_NS6detail17trampoline_kernelINS0_14default_configENS1_35radix_sort_onesweep_config_selectorIilEEZZNS1_29radix_sort_onesweep_iterationIS3_Lb0EPiS7_N6thrust23THRUST_200600_302600_NS10device_ptrIlEESB_jNS0_19identity_decomposerENS1_16block_id_wrapperIjLb1EEEEE10hipError_tT1_PNSt15iterator_traitsISG_E10value_typeET2_T3_PNSH_ISM_E10value_typeET4_T5_PSR_SS_PNS1_23onesweep_lookback_stateEbbT6_jjT7_P12ihipStream_tbENKUlT_T0_SG_SL_E_clIS7_S7_SB_SB_EEDaSZ_S10_SG_SL_EUlSZ_E_NS1_11comp_targetILNS1_3genE3ELNS1_11target_archE908ELNS1_3gpuE7ELNS1_3repE0EEENS1_47radix_sort_onesweep_sort_config_static_selectorELNS0_4arch9wavefront6targetE1EEEvSG_.kd
    .uniform_work_group_size: 1
    .uses_dynamic_stack: false
    .vgpr_count:     0
    .vgpr_spill_count: 0
    .wavefront_size: 64
  - .args:
      - .offset:         0
        .size:           88
        .value_kind:     by_value
    .group_segment_fixed_size: 0
    .kernarg_segment_align: 8
    .kernarg_segment_size: 88
    .language:       OpenCL C
    .language_version:
      - 2
      - 0
    .max_flat_workgroup_size: 1024
    .name:           _ZN7rocprim17ROCPRIM_400000_NS6detail17trampoline_kernelINS0_14default_configENS1_35radix_sort_onesweep_config_selectorIilEEZZNS1_29radix_sort_onesweep_iterationIS3_Lb0EPiS7_N6thrust23THRUST_200600_302600_NS10device_ptrIlEESB_jNS0_19identity_decomposerENS1_16block_id_wrapperIjLb1EEEEE10hipError_tT1_PNSt15iterator_traitsISG_E10value_typeET2_T3_PNSH_ISM_E10value_typeET4_T5_PSR_SS_PNS1_23onesweep_lookback_stateEbbT6_jjT7_P12ihipStream_tbENKUlT_T0_SG_SL_E_clIS7_S7_SB_SB_EEDaSZ_S10_SG_SL_EUlSZ_E_NS1_11comp_targetILNS1_3genE10ELNS1_11target_archE1201ELNS1_3gpuE5ELNS1_3repE0EEENS1_47radix_sort_onesweep_sort_config_static_selectorELNS0_4arch9wavefront6targetE1EEEvSG_
    .private_segment_fixed_size: 0
    .sgpr_count:     4
    .sgpr_spill_count: 0
    .symbol:         _ZN7rocprim17ROCPRIM_400000_NS6detail17trampoline_kernelINS0_14default_configENS1_35radix_sort_onesweep_config_selectorIilEEZZNS1_29radix_sort_onesweep_iterationIS3_Lb0EPiS7_N6thrust23THRUST_200600_302600_NS10device_ptrIlEESB_jNS0_19identity_decomposerENS1_16block_id_wrapperIjLb1EEEEE10hipError_tT1_PNSt15iterator_traitsISG_E10value_typeET2_T3_PNSH_ISM_E10value_typeET4_T5_PSR_SS_PNS1_23onesweep_lookback_stateEbbT6_jjT7_P12ihipStream_tbENKUlT_T0_SG_SL_E_clIS7_S7_SB_SB_EEDaSZ_S10_SG_SL_EUlSZ_E_NS1_11comp_targetILNS1_3genE10ELNS1_11target_archE1201ELNS1_3gpuE5ELNS1_3repE0EEENS1_47radix_sort_onesweep_sort_config_static_selectorELNS0_4arch9wavefront6targetE1EEEvSG_.kd
    .uniform_work_group_size: 1
    .uses_dynamic_stack: false
    .vgpr_count:     0
    .vgpr_spill_count: 0
    .wavefront_size: 64
  - .args:
      - .offset:         0
        .size:           88
        .value_kind:     by_value
    .group_segment_fixed_size: 0
    .kernarg_segment_align: 8
    .kernarg_segment_size: 88
    .language:       OpenCL C
    .language_version:
      - 2
      - 0
    .max_flat_workgroup_size: 1024
    .name:           _ZN7rocprim17ROCPRIM_400000_NS6detail17trampoline_kernelINS0_14default_configENS1_35radix_sort_onesweep_config_selectorIilEEZZNS1_29radix_sort_onesweep_iterationIS3_Lb0EPiS7_N6thrust23THRUST_200600_302600_NS10device_ptrIlEESB_jNS0_19identity_decomposerENS1_16block_id_wrapperIjLb1EEEEE10hipError_tT1_PNSt15iterator_traitsISG_E10value_typeET2_T3_PNSH_ISM_E10value_typeET4_T5_PSR_SS_PNS1_23onesweep_lookback_stateEbbT6_jjT7_P12ihipStream_tbENKUlT_T0_SG_SL_E_clIS7_S7_SB_SB_EEDaSZ_S10_SG_SL_EUlSZ_E_NS1_11comp_targetILNS1_3genE9ELNS1_11target_archE1100ELNS1_3gpuE3ELNS1_3repE0EEENS1_47radix_sort_onesweep_sort_config_static_selectorELNS0_4arch9wavefront6targetE1EEEvSG_
    .private_segment_fixed_size: 0
    .sgpr_count:     4
    .sgpr_spill_count: 0
    .symbol:         _ZN7rocprim17ROCPRIM_400000_NS6detail17trampoline_kernelINS0_14default_configENS1_35radix_sort_onesweep_config_selectorIilEEZZNS1_29radix_sort_onesweep_iterationIS3_Lb0EPiS7_N6thrust23THRUST_200600_302600_NS10device_ptrIlEESB_jNS0_19identity_decomposerENS1_16block_id_wrapperIjLb1EEEEE10hipError_tT1_PNSt15iterator_traitsISG_E10value_typeET2_T3_PNSH_ISM_E10value_typeET4_T5_PSR_SS_PNS1_23onesweep_lookback_stateEbbT6_jjT7_P12ihipStream_tbENKUlT_T0_SG_SL_E_clIS7_S7_SB_SB_EEDaSZ_S10_SG_SL_EUlSZ_E_NS1_11comp_targetILNS1_3genE9ELNS1_11target_archE1100ELNS1_3gpuE3ELNS1_3repE0EEENS1_47radix_sort_onesweep_sort_config_static_selectorELNS0_4arch9wavefront6targetE1EEEvSG_.kd
    .uniform_work_group_size: 1
    .uses_dynamic_stack: false
    .vgpr_count:     0
    .vgpr_spill_count: 0
    .wavefront_size: 64
  - .args:
      - .offset:         0
        .size:           88
        .value_kind:     by_value
    .group_segment_fixed_size: 0
    .kernarg_segment_align: 8
    .kernarg_segment_size: 88
    .language:       OpenCL C
    .language_version:
      - 2
      - 0
    .max_flat_workgroup_size: 1024
    .name:           _ZN7rocprim17ROCPRIM_400000_NS6detail17trampoline_kernelINS0_14default_configENS1_35radix_sort_onesweep_config_selectorIilEEZZNS1_29radix_sort_onesweep_iterationIS3_Lb0EPiS7_N6thrust23THRUST_200600_302600_NS10device_ptrIlEESB_jNS0_19identity_decomposerENS1_16block_id_wrapperIjLb1EEEEE10hipError_tT1_PNSt15iterator_traitsISG_E10value_typeET2_T3_PNSH_ISM_E10value_typeET4_T5_PSR_SS_PNS1_23onesweep_lookback_stateEbbT6_jjT7_P12ihipStream_tbENKUlT_T0_SG_SL_E_clIS7_S7_SB_SB_EEDaSZ_S10_SG_SL_EUlSZ_E_NS1_11comp_targetILNS1_3genE8ELNS1_11target_archE1030ELNS1_3gpuE2ELNS1_3repE0EEENS1_47radix_sort_onesweep_sort_config_static_selectorELNS0_4arch9wavefront6targetE1EEEvSG_
    .private_segment_fixed_size: 0
    .sgpr_count:     4
    .sgpr_spill_count: 0
    .symbol:         _ZN7rocprim17ROCPRIM_400000_NS6detail17trampoline_kernelINS0_14default_configENS1_35radix_sort_onesweep_config_selectorIilEEZZNS1_29radix_sort_onesweep_iterationIS3_Lb0EPiS7_N6thrust23THRUST_200600_302600_NS10device_ptrIlEESB_jNS0_19identity_decomposerENS1_16block_id_wrapperIjLb1EEEEE10hipError_tT1_PNSt15iterator_traitsISG_E10value_typeET2_T3_PNSH_ISM_E10value_typeET4_T5_PSR_SS_PNS1_23onesweep_lookback_stateEbbT6_jjT7_P12ihipStream_tbENKUlT_T0_SG_SL_E_clIS7_S7_SB_SB_EEDaSZ_S10_SG_SL_EUlSZ_E_NS1_11comp_targetILNS1_3genE8ELNS1_11target_archE1030ELNS1_3gpuE2ELNS1_3repE0EEENS1_47radix_sort_onesweep_sort_config_static_selectorELNS0_4arch9wavefront6targetE1EEEvSG_.kd
    .uniform_work_group_size: 1
    .uses_dynamic_stack: false
    .vgpr_count:     0
    .vgpr_spill_count: 0
    .wavefront_size: 64
  - .args:
      - .offset:         0
        .size:           88
        .value_kind:     by_value
    .group_segment_fixed_size: 0
    .kernarg_segment_align: 8
    .kernarg_segment_size: 88
    .language:       OpenCL C
    .language_version:
      - 2
      - 0
    .max_flat_workgroup_size: 512
    .name:           _ZN7rocprim17ROCPRIM_400000_NS6detail17trampoline_kernelINS0_14default_configENS1_35radix_sort_onesweep_config_selectorIilEEZZNS1_29radix_sort_onesweep_iterationIS3_Lb0EPiS7_N6thrust23THRUST_200600_302600_NS10device_ptrIlEESB_jNS0_19identity_decomposerENS1_16block_id_wrapperIjLb1EEEEE10hipError_tT1_PNSt15iterator_traitsISG_E10value_typeET2_T3_PNSH_ISM_E10value_typeET4_T5_PSR_SS_PNS1_23onesweep_lookback_stateEbbT6_jjT7_P12ihipStream_tbENKUlT_T0_SG_SL_E_clIS7_S7_SB_PlEEDaSZ_S10_SG_SL_EUlSZ_E_NS1_11comp_targetILNS1_3genE0ELNS1_11target_archE4294967295ELNS1_3gpuE0ELNS1_3repE0EEENS1_47radix_sort_onesweep_sort_config_static_selectorELNS0_4arch9wavefront6targetE1EEEvSG_
    .private_segment_fixed_size: 0
    .sgpr_count:     4
    .sgpr_spill_count: 0
    .symbol:         _ZN7rocprim17ROCPRIM_400000_NS6detail17trampoline_kernelINS0_14default_configENS1_35radix_sort_onesweep_config_selectorIilEEZZNS1_29radix_sort_onesweep_iterationIS3_Lb0EPiS7_N6thrust23THRUST_200600_302600_NS10device_ptrIlEESB_jNS0_19identity_decomposerENS1_16block_id_wrapperIjLb1EEEEE10hipError_tT1_PNSt15iterator_traitsISG_E10value_typeET2_T3_PNSH_ISM_E10value_typeET4_T5_PSR_SS_PNS1_23onesweep_lookback_stateEbbT6_jjT7_P12ihipStream_tbENKUlT_T0_SG_SL_E_clIS7_S7_SB_PlEEDaSZ_S10_SG_SL_EUlSZ_E_NS1_11comp_targetILNS1_3genE0ELNS1_11target_archE4294967295ELNS1_3gpuE0ELNS1_3repE0EEENS1_47radix_sort_onesweep_sort_config_static_selectorELNS0_4arch9wavefront6targetE1EEEvSG_.kd
    .uniform_work_group_size: 1
    .uses_dynamic_stack: false
    .vgpr_count:     0
    .vgpr_spill_count: 0
    .wavefront_size: 64
  - .args:
      - .offset:         0
        .size:           88
        .value_kind:     by_value
    .group_segment_fixed_size: 0
    .kernarg_segment_align: 8
    .kernarg_segment_size: 88
    .language:       OpenCL C
    .language_version:
      - 2
      - 0
    .max_flat_workgroup_size: 1024
    .name:           _ZN7rocprim17ROCPRIM_400000_NS6detail17trampoline_kernelINS0_14default_configENS1_35radix_sort_onesweep_config_selectorIilEEZZNS1_29radix_sort_onesweep_iterationIS3_Lb0EPiS7_N6thrust23THRUST_200600_302600_NS10device_ptrIlEESB_jNS0_19identity_decomposerENS1_16block_id_wrapperIjLb1EEEEE10hipError_tT1_PNSt15iterator_traitsISG_E10value_typeET2_T3_PNSH_ISM_E10value_typeET4_T5_PSR_SS_PNS1_23onesweep_lookback_stateEbbT6_jjT7_P12ihipStream_tbENKUlT_T0_SG_SL_E_clIS7_S7_SB_PlEEDaSZ_S10_SG_SL_EUlSZ_E_NS1_11comp_targetILNS1_3genE6ELNS1_11target_archE950ELNS1_3gpuE13ELNS1_3repE0EEENS1_47radix_sort_onesweep_sort_config_static_selectorELNS0_4arch9wavefront6targetE1EEEvSG_
    .private_segment_fixed_size: 0
    .sgpr_count:     4
    .sgpr_spill_count: 0
    .symbol:         _ZN7rocprim17ROCPRIM_400000_NS6detail17trampoline_kernelINS0_14default_configENS1_35radix_sort_onesweep_config_selectorIilEEZZNS1_29radix_sort_onesweep_iterationIS3_Lb0EPiS7_N6thrust23THRUST_200600_302600_NS10device_ptrIlEESB_jNS0_19identity_decomposerENS1_16block_id_wrapperIjLb1EEEEE10hipError_tT1_PNSt15iterator_traitsISG_E10value_typeET2_T3_PNSH_ISM_E10value_typeET4_T5_PSR_SS_PNS1_23onesweep_lookback_stateEbbT6_jjT7_P12ihipStream_tbENKUlT_T0_SG_SL_E_clIS7_S7_SB_PlEEDaSZ_S10_SG_SL_EUlSZ_E_NS1_11comp_targetILNS1_3genE6ELNS1_11target_archE950ELNS1_3gpuE13ELNS1_3repE0EEENS1_47radix_sort_onesweep_sort_config_static_selectorELNS0_4arch9wavefront6targetE1EEEvSG_.kd
    .uniform_work_group_size: 1
    .uses_dynamic_stack: false
    .vgpr_count:     0
    .vgpr_spill_count: 0
    .wavefront_size: 64
  - .args:
      - .offset:         0
        .size:           88
        .value_kind:     by_value
    .group_segment_fixed_size: 0
    .kernarg_segment_align: 8
    .kernarg_segment_size: 88
    .language:       OpenCL C
    .language_version:
      - 2
      - 0
    .max_flat_workgroup_size: 1024
    .name:           _ZN7rocprim17ROCPRIM_400000_NS6detail17trampoline_kernelINS0_14default_configENS1_35radix_sort_onesweep_config_selectorIilEEZZNS1_29radix_sort_onesweep_iterationIS3_Lb0EPiS7_N6thrust23THRUST_200600_302600_NS10device_ptrIlEESB_jNS0_19identity_decomposerENS1_16block_id_wrapperIjLb1EEEEE10hipError_tT1_PNSt15iterator_traitsISG_E10value_typeET2_T3_PNSH_ISM_E10value_typeET4_T5_PSR_SS_PNS1_23onesweep_lookback_stateEbbT6_jjT7_P12ihipStream_tbENKUlT_T0_SG_SL_E_clIS7_S7_SB_PlEEDaSZ_S10_SG_SL_EUlSZ_E_NS1_11comp_targetILNS1_3genE5ELNS1_11target_archE942ELNS1_3gpuE9ELNS1_3repE0EEENS1_47radix_sort_onesweep_sort_config_static_selectorELNS0_4arch9wavefront6targetE1EEEvSG_
    .private_segment_fixed_size: 0
    .sgpr_count:     4
    .sgpr_spill_count: 0
    .symbol:         _ZN7rocprim17ROCPRIM_400000_NS6detail17trampoline_kernelINS0_14default_configENS1_35radix_sort_onesweep_config_selectorIilEEZZNS1_29radix_sort_onesweep_iterationIS3_Lb0EPiS7_N6thrust23THRUST_200600_302600_NS10device_ptrIlEESB_jNS0_19identity_decomposerENS1_16block_id_wrapperIjLb1EEEEE10hipError_tT1_PNSt15iterator_traitsISG_E10value_typeET2_T3_PNSH_ISM_E10value_typeET4_T5_PSR_SS_PNS1_23onesweep_lookback_stateEbbT6_jjT7_P12ihipStream_tbENKUlT_T0_SG_SL_E_clIS7_S7_SB_PlEEDaSZ_S10_SG_SL_EUlSZ_E_NS1_11comp_targetILNS1_3genE5ELNS1_11target_archE942ELNS1_3gpuE9ELNS1_3repE0EEENS1_47radix_sort_onesweep_sort_config_static_selectorELNS0_4arch9wavefront6targetE1EEEvSG_.kd
    .uniform_work_group_size: 1
    .uses_dynamic_stack: false
    .vgpr_count:     0
    .vgpr_spill_count: 0
    .wavefront_size: 64
  - .args:
      - .offset:         0
        .size:           88
        .value_kind:     by_value
      - .offset:         88
        .size:           4
        .value_kind:     hidden_block_count_x
      - .offset:         92
        .size:           4
        .value_kind:     hidden_block_count_y
      - .offset:         96
        .size:           4
        .value_kind:     hidden_block_count_z
      - .offset:         100
        .size:           2
        .value_kind:     hidden_group_size_x
      - .offset:         102
        .size:           2
        .value_kind:     hidden_group_size_y
      - .offset:         104
        .size:           2
        .value_kind:     hidden_group_size_z
      - .offset:         106
        .size:           2
        .value_kind:     hidden_remainder_x
      - .offset:         108
        .size:           2
        .value_kind:     hidden_remainder_y
      - .offset:         110
        .size:           2
        .value_kind:     hidden_remainder_z
      - .offset:         128
        .size:           8
        .value_kind:     hidden_global_offset_x
      - .offset:         136
        .size:           8
        .value_kind:     hidden_global_offset_y
      - .offset:         144
        .size:           8
        .value_kind:     hidden_global_offset_z
      - .offset:         152
        .size:           2
        .value_kind:     hidden_grid_dims
    .group_segment_fixed_size: 10280
    .kernarg_segment_align: 8
    .kernarg_segment_size: 344
    .language:       OpenCL C
    .language_version:
      - 2
      - 0
    .max_flat_workgroup_size: 512
    .name:           _ZN7rocprim17ROCPRIM_400000_NS6detail17trampoline_kernelINS0_14default_configENS1_35radix_sort_onesweep_config_selectorIilEEZZNS1_29radix_sort_onesweep_iterationIS3_Lb0EPiS7_N6thrust23THRUST_200600_302600_NS10device_ptrIlEESB_jNS0_19identity_decomposerENS1_16block_id_wrapperIjLb1EEEEE10hipError_tT1_PNSt15iterator_traitsISG_E10value_typeET2_T3_PNSH_ISM_E10value_typeET4_T5_PSR_SS_PNS1_23onesweep_lookback_stateEbbT6_jjT7_P12ihipStream_tbENKUlT_T0_SG_SL_E_clIS7_S7_SB_PlEEDaSZ_S10_SG_SL_EUlSZ_E_NS1_11comp_targetILNS1_3genE2ELNS1_11target_archE906ELNS1_3gpuE6ELNS1_3repE0EEENS1_47radix_sort_onesweep_sort_config_static_selectorELNS0_4arch9wavefront6targetE1EEEvSG_
    .private_segment_fixed_size: 48
    .sgpr_count:     64
    .sgpr_spill_count: 0
    .symbol:         _ZN7rocprim17ROCPRIM_400000_NS6detail17trampoline_kernelINS0_14default_configENS1_35radix_sort_onesweep_config_selectorIilEEZZNS1_29radix_sort_onesweep_iterationIS3_Lb0EPiS7_N6thrust23THRUST_200600_302600_NS10device_ptrIlEESB_jNS0_19identity_decomposerENS1_16block_id_wrapperIjLb1EEEEE10hipError_tT1_PNSt15iterator_traitsISG_E10value_typeET2_T3_PNSH_ISM_E10value_typeET4_T5_PSR_SS_PNS1_23onesweep_lookback_stateEbbT6_jjT7_P12ihipStream_tbENKUlT_T0_SG_SL_E_clIS7_S7_SB_PlEEDaSZ_S10_SG_SL_EUlSZ_E_NS1_11comp_targetILNS1_3genE2ELNS1_11target_archE906ELNS1_3gpuE6ELNS1_3repE0EEENS1_47radix_sort_onesweep_sort_config_static_selectorELNS0_4arch9wavefront6targetE1EEEvSG_.kd
    .uniform_work_group_size: 1
    .uses_dynamic_stack: false
    .vgpr_count:     57
    .vgpr_spill_count: 0
    .wavefront_size: 64
  - .args:
      - .offset:         0
        .size:           88
        .value_kind:     by_value
    .group_segment_fixed_size: 0
    .kernarg_segment_align: 8
    .kernarg_segment_size: 88
    .language:       OpenCL C
    .language_version:
      - 2
      - 0
    .max_flat_workgroup_size: 512
    .name:           _ZN7rocprim17ROCPRIM_400000_NS6detail17trampoline_kernelINS0_14default_configENS1_35radix_sort_onesweep_config_selectorIilEEZZNS1_29radix_sort_onesweep_iterationIS3_Lb0EPiS7_N6thrust23THRUST_200600_302600_NS10device_ptrIlEESB_jNS0_19identity_decomposerENS1_16block_id_wrapperIjLb1EEEEE10hipError_tT1_PNSt15iterator_traitsISG_E10value_typeET2_T3_PNSH_ISM_E10value_typeET4_T5_PSR_SS_PNS1_23onesweep_lookback_stateEbbT6_jjT7_P12ihipStream_tbENKUlT_T0_SG_SL_E_clIS7_S7_SB_PlEEDaSZ_S10_SG_SL_EUlSZ_E_NS1_11comp_targetILNS1_3genE4ELNS1_11target_archE910ELNS1_3gpuE8ELNS1_3repE0EEENS1_47radix_sort_onesweep_sort_config_static_selectorELNS0_4arch9wavefront6targetE1EEEvSG_
    .private_segment_fixed_size: 0
    .sgpr_count:     4
    .sgpr_spill_count: 0
    .symbol:         _ZN7rocprim17ROCPRIM_400000_NS6detail17trampoline_kernelINS0_14default_configENS1_35radix_sort_onesweep_config_selectorIilEEZZNS1_29radix_sort_onesweep_iterationIS3_Lb0EPiS7_N6thrust23THRUST_200600_302600_NS10device_ptrIlEESB_jNS0_19identity_decomposerENS1_16block_id_wrapperIjLb1EEEEE10hipError_tT1_PNSt15iterator_traitsISG_E10value_typeET2_T3_PNSH_ISM_E10value_typeET4_T5_PSR_SS_PNS1_23onesweep_lookback_stateEbbT6_jjT7_P12ihipStream_tbENKUlT_T0_SG_SL_E_clIS7_S7_SB_PlEEDaSZ_S10_SG_SL_EUlSZ_E_NS1_11comp_targetILNS1_3genE4ELNS1_11target_archE910ELNS1_3gpuE8ELNS1_3repE0EEENS1_47radix_sort_onesweep_sort_config_static_selectorELNS0_4arch9wavefront6targetE1EEEvSG_.kd
    .uniform_work_group_size: 1
    .uses_dynamic_stack: false
    .vgpr_count:     0
    .vgpr_spill_count: 0
    .wavefront_size: 64
  - .args:
      - .offset:         0
        .size:           88
        .value_kind:     by_value
    .group_segment_fixed_size: 0
    .kernarg_segment_align: 8
    .kernarg_segment_size: 88
    .language:       OpenCL C
    .language_version:
      - 2
      - 0
    .max_flat_workgroup_size: 512
    .name:           _ZN7rocprim17ROCPRIM_400000_NS6detail17trampoline_kernelINS0_14default_configENS1_35radix_sort_onesweep_config_selectorIilEEZZNS1_29radix_sort_onesweep_iterationIS3_Lb0EPiS7_N6thrust23THRUST_200600_302600_NS10device_ptrIlEESB_jNS0_19identity_decomposerENS1_16block_id_wrapperIjLb1EEEEE10hipError_tT1_PNSt15iterator_traitsISG_E10value_typeET2_T3_PNSH_ISM_E10value_typeET4_T5_PSR_SS_PNS1_23onesweep_lookback_stateEbbT6_jjT7_P12ihipStream_tbENKUlT_T0_SG_SL_E_clIS7_S7_SB_PlEEDaSZ_S10_SG_SL_EUlSZ_E_NS1_11comp_targetILNS1_3genE3ELNS1_11target_archE908ELNS1_3gpuE7ELNS1_3repE0EEENS1_47radix_sort_onesweep_sort_config_static_selectorELNS0_4arch9wavefront6targetE1EEEvSG_
    .private_segment_fixed_size: 0
    .sgpr_count:     4
    .sgpr_spill_count: 0
    .symbol:         _ZN7rocprim17ROCPRIM_400000_NS6detail17trampoline_kernelINS0_14default_configENS1_35radix_sort_onesweep_config_selectorIilEEZZNS1_29radix_sort_onesweep_iterationIS3_Lb0EPiS7_N6thrust23THRUST_200600_302600_NS10device_ptrIlEESB_jNS0_19identity_decomposerENS1_16block_id_wrapperIjLb1EEEEE10hipError_tT1_PNSt15iterator_traitsISG_E10value_typeET2_T3_PNSH_ISM_E10value_typeET4_T5_PSR_SS_PNS1_23onesweep_lookback_stateEbbT6_jjT7_P12ihipStream_tbENKUlT_T0_SG_SL_E_clIS7_S7_SB_PlEEDaSZ_S10_SG_SL_EUlSZ_E_NS1_11comp_targetILNS1_3genE3ELNS1_11target_archE908ELNS1_3gpuE7ELNS1_3repE0EEENS1_47radix_sort_onesweep_sort_config_static_selectorELNS0_4arch9wavefront6targetE1EEEvSG_.kd
    .uniform_work_group_size: 1
    .uses_dynamic_stack: false
    .vgpr_count:     0
    .vgpr_spill_count: 0
    .wavefront_size: 64
  - .args:
      - .offset:         0
        .size:           88
        .value_kind:     by_value
    .group_segment_fixed_size: 0
    .kernarg_segment_align: 8
    .kernarg_segment_size: 88
    .language:       OpenCL C
    .language_version:
      - 2
      - 0
    .max_flat_workgroup_size: 1024
    .name:           _ZN7rocprim17ROCPRIM_400000_NS6detail17trampoline_kernelINS0_14default_configENS1_35radix_sort_onesweep_config_selectorIilEEZZNS1_29radix_sort_onesweep_iterationIS3_Lb0EPiS7_N6thrust23THRUST_200600_302600_NS10device_ptrIlEESB_jNS0_19identity_decomposerENS1_16block_id_wrapperIjLb1EEEEE10hipError_tT1_PNSt15iterator_traitsISG_E10value_typeET2_T3_PNSH_ISM_E10value_typeET4_T5_PSR_SS_PNS1_23onesweep_lookback_stateEbbT6_jjT7_P12ihipStream_tbENKUlT_T0_SG_SL_E_clIS7_S7_SB_PlEEDaSZ_S10_SG_SL_EUlSZ_E_NS1_11comp_targetILNS1_3genE10ELNS1_11target_archE1201ELNS1_3gpuE5ELNS1_3repE0EEENS1_47radix_sort_onesweep_sort_config_static_selectorELNS0_4arch9wavefront6targetE1EEEvSG_
    .private_segment_fixed_size: 0
    .sgpr_count:     4
    .sgpr_spill_count: 0
    .symbol:         _ZN7rocprim17ROCPRIM_400000_NS6detail17trampoline_kernelINS0_14default_configENS1_35radix_sort_onesweep_config_selectorIilEEZZNS1_29radix_sort_onesweep_iterationIS3_Lb0EPiS7_N6thrust23THRUST_200600_302600_NS10device_ptrIlEESB_jNS0_19identity_decomposerENS1_16block_id_wrapperIjLb1EEEEE10hipError_tT1_PNSt15iterator_traitsISG_E10value_typeET2_T3_PNSH_ISM_E10value_typeET4_T5_PSR_SS_PNS1_23onesweep_lookback_stateEbbT6_jjT7_P12ihipStream_tbENKUlT_T0_SG_SL_E_clIS7_S7_SB_PlEEDaSZ_S10_SG_SL_EUlSZ_E_NS1_11comp_targetILNS1_3genE10ELNS1_11target_archE1201ELNS1_3gpuE5ELNS1_3repE0EEENS1_47radix_sort_onesweep_sort_config_static_selectorELNS0_4arch9wavefront6targetE1EEEvSG_.kd
    .uniform_work_group_size: 1
    .uses_dynamic_stack: false
    .vgpr_count:     0
    .vgpr_spill_count: 0
    .wavefront_size: 64
  - .args:
      - .offset:         0
        .size:           88
        .value_kind:     by_value
    .group_segment_fixed_size: 0
    .kernarg_segment_align: 8
    .kernarg_segment_size: 88
    .language:       OpenCL C
    .language_version:
      - 2
      - 0
    .max_flat_workgroup_size: 1024
    .name:           _ZN7rocprim17ROCPRIM_400000_NS6detail17trampoline_kernelINS0_14default_configENS1_35radix_sort_onesweep_config_selectorIilEEZZNS1_29radix_sort_onesweep_iterationIS3_Lb0EPiS7_N6thrust23THRUST_200600_302600_NS10device_ptrIlEESB_jNS0_19identity_decomposerENS1_16block_id_wrapperIjLb1EEEEE10hipError_tT1_PNSt15iterator_traitsISG_E10value_typeET2_T3_PNSH_ISM_E10value_typeET4_T5_PSR_SS_PNS1_23onesweep_lookback_stateEbbT6_jjT7_P12ihipStream_tbENKUlT_T0_SG_SL_E_clIS7_S7_SB_PlEEDaSZ_S10_SG_SL_EUlSZ_E_NS1_11comp_targetILNS1_3genE9ELNS1_11target_archE1100ELNS1_3gpuE3ELNS1_3repE0EEENS1_47radix_sort_onesweep_sort_config_static_selectorELNS0_4arch9wavefront6targetE1EEEvSG_
    .private_segment_fixed_size: 0
    .sgpr_count:     4
    .sgpr_spill_count: 0
    .symbol:         _ZN7rocprim17ROCPRIM_400000_NS6detail17trampoline_kernelINS0_14default_configENS1_35radix_sort_onesweep_config_selectorIilEEZZNS1_29radix_sort_onesweep_iterationIS3_Lb0EPiS7_N6thrust23THRUST_200600_302600_NS10device_ptrIlEESB_jNS0_19identity_decomposerENS1_16block_id_wrapperIjLb1EEEEE10hipError_tT1_PNSt15iterator_traitsISG_E10value_typeET2_T3_PNSH_ISM_E10value_typeET4_T5_PSR_SS_PNS1_23onesweep_lookback_stateEbbT6_jjT7_P12ihipStream_tbENKUlT_T0_SG_SL_E_clIS7_S7_SB_PlEEDaSZ_S10_SG_SL_EUlSZ_E_NS1_11comp_targetILNS1_3genE9ELNS1_11target_archE1100ELNS1_3gpuE3ELNS1_3repE0EEENS1_47radix_sort_onesweep_sort_config_static_selectorELNS0_4arch9wavefront6targetE1EEEvSG_.kd
    .uniform_work_group_size: 1
    .uses_dynamic_stack: false
    .vgpr_count:     0
    .vgpr_spill_count: 0
    .wavefront_size: 64
  - .args:
      - .offset:         0
        .size:           88
        .value_kind:     by_value
    .group_segment_fixed_size: 0
    .kernarg_segment_align: 8
    .kernarg_segment_size: 88
    .language:       OpenCL C
    .language_version:
      - 2
      - 0
    .max_flat_workgroup_size: 1024
    .name:           _ZN7rocprim17ROCPRIM_400000_NS6detail17trampoline_kernelINS0_14default_configENS1_35radix_sort_onesweep_config_selectorIilEEZZNS1_29radix_sort_onesweep_iterationIS3_Lb0EPiS7_N6thrust23THRUST_200600_302600_NS10device_ptrIlEESB_jNS0_19identity_decomposerENS1_16block_id_wrapperIjLb1EEEEE10hipError_tT1_PNSt15iterator_traitsISG_E10value_typeET2_T3_PNSH_ISM_E10value_typeET4_T5_PSR_SS_PNS1_23onesweep_lookback_stateEbbT6_jjT7_P12ihipStream_tbENKUlT_T0_SG_SL_E_clIS7_S7_SB_PlEEDaSZ_S10_SG_SL_EUlSZ_E_NS1_11comp_targetILNS1_3genE8ELNS1_11target_archE1030ELNS1_3gpuE2ELNS1_3repE0EEENS1_47radix_sort_onesweep_sort_config_static_selectorELNS0_4arch9wavefront6targetE1EEEvSG_
    .private_segment_fixed_size: 0
    .sgpr_count:     4
    .sgpr_spill_count: 0
    .symbol:         _ZN7rocprim17ROCPRIM_400000_NS6detail17trampoline_kernelINS0_14default_configENS1_35radix_sort_onesweep_config_selectorIilEEZZNS1_29radix_sort_onesweep_iterationIS3_Lb0EPiS7_N6thrust23THRUST_200600_302600_NS10device_ptrIlEESB_jNS0_19identity_decomposerENS1_16block_id_wrapperIjLb1EEEEE10hipError_tT1_PNSt15iterator_traitsISG_E10value_typeET2_T3_PNSH_ISM_E10value_typeET4_T5_PSR_SS_PNS1_23onesweep_lookback_stateEbbT6_jjT7_P12ihipStream_tbENKUlT_T0_SG_SL_E_clIS7_S7_SB_PlEEDaSZ_S10_SG_SL_EUlSZ_E_NS1_11comp_targetILNS1_3genE8ELNS1_11target_archE1030ELNS1_3gpuE2ELNS1_3repE0EEENS1_47radix_sort_onesweep_sort_config_static_selectorELNS0_4arch9wavefront6targetE1EEEvSG_.kd
    .uniform_work_group_size: 1
    .uses_dynamic_stack: false
    .vgpr_count:     0
    .vgpr_spill_count: 0
    .wavefront_size: 64
  - .args:
      - .offset:         0
        .size:           88
        .value_kind:     by_value
    .group_segment_fixed_size: 0
    .kernarg_segment_align: 8
    .kernarg_segment_size: 88
    .language:       OpenCL C
    .language_version:
      - 2
      - 0
    .max_flat_workgroup_size: 512
    .name:           _ZN7rocprim17ROCPRIM_400000_NS6detail17trampoline_kernelINS0_14default_configENS1_35radix_sort_onesweep_config_selectorIilEEZZNS1_29radix_sort_onesweep_iterationIS3_Lb0EPiS7_N6thrust23THRUST_200600_302600_NS10device_ptrIlEESB_jNS0_19identity_decomposerENS1_16block_id_wrapperIjLb1EEEEE10hipError_tT1_PNSt15iterator_traitsISG_E10value_typeET2_T3_PNSH_ISM_E10value_typeET4_T5_PSR_SS_PNS1_23onesweep_lookback_stateEbbT6_jjT7_P12ihipStream_tbENKUlT_T0_SG_SL_E_clIS7_S7_PlSB_EEDaSZ_S10_SG_SL_EUlSZ_E_NS1_11comp_targetILNS1_3genE0ELNS1_11target_archE4294967295ELNS1_3gpuE0ELNS1_3repE0EEENS1_47radix_sort_onesweep_sort_config_static_selectorELNS0_4arch9wavefront6targetE1EEEvSG_
    .private_segment_fixed_size: 0
    .sgpr_count:     4
    .sgpr_spill_count: 0
    .symbol:         _ZN7rocprim17ROCPRIM_400000_NS6detail17trampoline_kernelINS0_14default_configENS1_35radix_sort_onesweep_config_selectorIilEEZZNS1_29radix_sort_onesweep_iterationIS3_Lb0EPiS7_N6thrust23THRUST_200600_302600_NS10device_ptrIlEESB_jNS0_19identity_decomposerENS1_16block_id_wrapperIjLb1EEEEE10hipError_tT1_PNSt15iterator_traitsISG_E10value_typeET2_T3_PNSH_ISM_E10value_typeET4_T5_PSR_SS_PNS1_23onesweep_lookback_stateEbbT6_jjT7_P12ihipStream_tbENKUlT_T0_SG_SL_E_clIS7_S7_PlSB_EEDaSZ_S10_SG_SL_EUlSZ_E_NS1_11comp_targetILNS1_3genE0ELNS1_11target_archE4294967295ELNS1_3gpuE0ELNS1_3repE0EEENS1_47radix_sort_onesweep_sort_config_static_selectorELNS0_4arch9wavefront6targetE1EEEvSG_.kd
    .uniform_work_group_size: 1
    .uses_dynamic_stack: false
    .vgpr_count:     0
    .vgpr_spill_count: 0
    .wavefront_size: 64
  - .args:
      - .offset:         0
        .size:           88
        .value_kind:     by_value
    .group_segment_fixed_size: 0
    .kernarg_segment_align: 8
    .kernarg_segment_size: 88
    .language:       OpenCL C
    .language_version:
      - 2
      - 0
    .max_flat_workgroup_size: 1024
    .name:           _ZN7rocprim17ROCPRIM_400000_NS6detail17trampoline_kernelINS0_14default_configENS1_35radix_sort_onesweep_config_selectorIilEEZZNS1_29radix_sort_onesweep_iterationIS3_Lb0EPiS7_N6thrust23THRUST_200600_302600_NS10device_ptrIlEESB_jNS0_19identity_decomposerENS1_16block_id_wrapperIjLb1EEEEE10hipError_tT1_PNSt15iterator_traitsISG_E10value_typeET2_T3_PNSH_ISM_E10value_typeET4_T5_PSR_SS_PNS1_23onesweep_lookback_stateEbbT6_jjT7_P12ihipStream_tbENKUlT_T0_SG_SL_E_clIS7_S7_PlSB_EEDaSZ_S10_SG_SL_EUlSZ_E_NS1_11comp_targetILNS1_3genE6ELNS1_11target_archE950ELNS1_3gpuE13ELNS1_3repE0EEENS1_47radix_sort_onesweep_sort_config_static_selectorELNS0_4arch9wavefront6targetE1EEEvSG_
    .private_segment_fixed_size: 0
    .sgpr_count:     4
    .sgpr_spill_count: 0
    .symbol:         _ZN7rocprim17ROCPRIM_400000_NS6detail17trampoline_kernelINS0_14default_configENS1_35radix_sort_onesweep_config_selectorIilEEZZNS1_29radix_sort_onesweep_iterationIS3_Lb0EPiS7_N6thrust23THRUST_200600_302600_NS10device_ptrIlEESB_jNS0_19identity_decomposerENS1_16block_id_wrapperIjLb1EEEEE10hipError_tT1_PNSt15iterator_traitsISG_E10value_typeET2_T3_PNSH_ISM_E10value_typeET4_T5_PSR_SS_PNS1_23onesweep_lookback_stateEbbT6_jjT7_P12ihipStream_tbENKUlT_T0_SG_SL_E_clIS7_S7_PlSB_EEDaSZ_S10_SG_SL_EUlSZ_E_NS1_11comp_targetILNS1_3genE6ELNS1_11target_archE950ELNS1_3gpuE13ELNS1_3repE0EEENS1_47radix_sort_onesweep_sort_config_static_selectorELNS0_4arch9wavefront6targetE1EEEvSG_.kd
    .uniform_work_group_size: 1
    .uses_dynamic_stack: false
    .vgpr_count:     0
    .vgpr_spill_count: 0
    .wavefront_size: 64
  - .args:
      - .offset:         0
        .size:           88
        .value_kind:     by_value
    .group_segment_fixed_size: 0
    .kernarg_segment_align: 8
    .kernarg_segment_size: 88
    .language:       OpenCL C
    .language_version:
      - 2
      - 0
    .max_flat_workgroup_size: 1024
    .name:           _ZN7rocprim17ROCPRIM_400000_NS6detail17trampoline_kernelINS0_14default_configENS1_35radix_sort_onesweep_config_selectorIilEEZZNS1_29radix_sort_onesweep_iterationIS3_Lb0EPiS7_N6thrust23THRUST_200600_302600_NS10device_ptrIlEESB_jNS0_19identity_decomposerENS1_16block_id_wrapperIjLb1EEEEE10hipError_tT1_PNSt15iterator_traitsISG_E10value_typeET2_T3_PNSH_ISM_E10value_typeET4_T5_PSR_SS_PNS1_23onesweep_lookback_stateEbbT6_jjT7_P12ihipStream_tbENKUlT_T0_SG_SL_E_clIS7_S7_PlSB_EEDaSZ_S10_SG_SL_EUlSZ_E_NS1_11comp_targetILNS1_3genE5ELNS1_11target_archE942ELNS1_3gpuE9ELNS1_3repE0EEENS1_47radix_sort_onesweep_sort_config_static_selectorELNS0_4arch9wavefront6targetE1EEEvSG_
    .private_segment_fixed_size: 0
    .sgpr_count:     4
    .sgpr_spill_count: 0
    .symbol:         _ZN7rocprim17ROCPRIM_400000_NS6detail17trampoline_kernelINS0_14default_configENS1_35radix_sort_onesweep_config_selectorIilEEZZNS1_29radix_sort_onesweep_iterationIS3_Lb0EPiS7_N6thrust23THRUST_200600_302600_NS10device_ptrIlEESB_jNS0_19identity_decomposerENS1_16block_id_wrapperIjLb1EEEEE10hipError_tT1_PNSt15iterator_traitsISG_E10value_typeET2_T3_PNSH_ISM_E10value_typeET4_T5_PSR_SS_PNS1_23onesweep_lookback_stateEbbT6_jjT7_P12ihipStream_tbENKUlT_T0_SG_SL_E_clIS7_S7_PlSB_EEDaSZ_S10_SG_SL_EUlSZ_E_NS1_11comp_targetILNS1_3genE5ELNS1_11target_archE942ELNS1_3gpuE9ELNS1_3repE0EEENS1_47radix_sort_onesweep_sort_config_static_selectorELNS0_4arch9wavefront6targetE1EEEvSG_.kd
    .uniform_work_group_size: 1
    .uses_dynamic_stack: false
    .vgpr_count:     0
    .vgpr_spill_count: 0
    .wavefront_size: 64
  - .args:
      - .offset:         0
        .size:           88
        .value_kind:     by_value
      - .offset:         88
        .size:           4
        .value_kind:     hidden_block_count_x
      - .offset:         92
        .size:           4
        .value_kind:     hidden_block_count_y
      - .offset:         96
        .size:           4
        .value_kind:     hidden_block_count_z
      - .offset:         100
        .size:           2
        .value_kind:     hidden_group_size_x
      - .offset:         102
        .size:           2
        .value_kind:     hidden_group_size_y
      - .offset:         104
        .size:           2
        .value_kind:     hidden_group_size_z
      - .offset:         106
        .size:           2
        .value_kind:     hidden_remainder_x
      - .offset:         108
        .size:           2
        .value_kind:     hidden_remainder_y
      - .offset:         110
        .size:           2
        .value_kind:     hidden_remainder_z
      - .offset:         128
        .size:           8
        .value_kind:     hidden_global_offset_x
      - .offset:         136
        .size:           8
        .value_kind:     hidden_global_offset_y
      - .offset:         144
        .size:           8
        .value_kind:     hidden_global_offset_z
      - .offset:         152
        .size:           2
        .value_kind:     hidden_grid_dims
    .group_segment_fixed_size: 10280
    .kernarg_segment_align: 8
    .kernarg_segment_size: 344
    .language:       OpenCL C
    .language_version:
      - 2
      - 0
    .max_flat_workgroup_size: 512
    .name:           _ZN7rocprim17ROCPRIM_400000_NS6detail17trampoline_kernelINS0_14default_configENS1_35radix_sort_onesweep_config_selectorIilEEZZNS1_29radix_sort_onesweep_iterationIS3_Lb0EPiS7_N6thrust23THRUST_200600_302600_NS10device_ptrIlEESB_jNS0_19identity_decomposerENS1_16block_id_wrapperIjLb1EEEEE10hipError_tT1_PNSt15iterator_traitsISG_E10value_typeET2_T3_PNSH_ISM_E10value_typeET4_T5_PSR_SS_PNS1_23onesweep_lookback_stateEbbT6_jjT7_P12ihipStream_tbENKUlT_T0_SG_SL_E_clIS7_S7_PlSB_EEDaSZ_S10_SG_SL_EUlSZ_E_NS1_11comp_targetILNS1_3genE2ELNS1_11target_archE906ELNS1_3gpuE6ELNS1_3repE0EEENS1_47radix_sort_onesweep_sort_config_static_selectorELNS0_4arch9wavefront6targetE1EEEvSG_
    .private_segment_fixed_size: 48
    .sgpr_count:     64
    .sgpr_spill_count: 0
    .symbol:         _ZN7rocprim17ROCPRIM_400000_NS6detail17trampoline_kernelINS0_14default_configENS1_35radix_sort_onesweep_config_selectorIilEEZZNS1_29radix_sort_onesweep_iterationIS3_Lb0EPiS7_N6thrust23THRUST_200600_302600_NS10device_ptrIlEESB_jNS0_19identity_decomposerENS1_16block_id_wrapperIjLb1EEEEE10hipError_tT1_PNSt15iterator_traitsISG_E10value_typeET2_T3_PNSH_ISM_E10value_typeET4_T5_PSR_SS_PNS1_23onesweep_lookback_stateEbbT6_jjT7_P12ihipStream_tbENKUlT_T0_SG_SL_E_clIS7_S7_PlSB_EEDaSZ_S10_SG_SL_EUlSZ_E_NS1_11comp_targetILNS1_3genE2ELNS1_11target_archE906ELNS1_3gpuE6ELNS1_3repE0EEENS1_47radix_sort_onesweep_sort_config_static_selectorELNS0_4arch9wavefront6targetE1EEEvSG_.kd
    .uniform_work_group_size: 1
    .uses_dynamic_stack: false
    .vgpr_count:     57
    .vgpr_spill_count: 0
    .wavefront_size: 64
  - .args:
      - .offset:         0
        .size:           88
        .value_kind:     by_value
    .group_segment_fixed_size: 0
    .kernarg_segment_align: 8
    .kernarg_segment_size: 88
    .language:       OpenCL C
    .language_version:
      - 2
      - 0
    .max_flat_workgroup_size: 512
    .name:           _ZN7rocprim17ROCPRIM_400000_NS6detail17trampoline_kernelINS0_14default_configENS1_35radix_sort_onesweep_config_selectorIilEEZZNS1_29radix_sort_onesweep_iterationIS3_Lb0EPiS7_N6thrust23THRUST_200600_302600_NS10device_ptrIlEESB_jNS0_19identity_decomposerENS1_16block_id_wrapperIjLb1EEEEE10hipError_tT1_PNSt15iterator_traitsISG_E10value_typeET2_T3_PNSH_ISM_E10value_typeET4_T5_PSR_SS_PNS1_23onesweep_lookback_stateEbbT6_jjT7_P12ihipStream_tbENKUlT_T0_SG_SL_E_clIS7_S7_PlSB_EEDaSZ_S10_SG_SL_EUlSZ_E_NS1_11comp_targetILNS1_3genE4ELNS1_11target_archE910ELNS1_3gpuE8ELNS1_3repE0EEENS1_47radix_sort_onesweep_sort_config_static_selectorELNS0_4arch9wavefront6targetE1EEEvSG_
    .private_segment_fixed_size: 0
    .sgpr_count:     4
    .sgpr_spill_count: 0
    .symbol:         _ZN7rocprim17ROCPRIM_400000_NS6detail17trampoline_kernelINS0_14default_configENS1_35radix_sort_onesweep_config_selectorIilEEZZNS1_29radix_sort_onesweep_iterationIS3_Lb0EPiS7_N6thrust23THRUST_200600_302600_NS10device_ptrIlEESB_jNS0_19identity_decomposerENS1_16block_id_wrapperIjLb1EEEEE10hipError_tT1_PNSt15iterator_traitsISG_E10value_typeET2_T3_PNSH_ISM_E10value_typeET4_T5_PSR_SS_PNS1_23onesweep_lookback_stateEbbT6_jjT7_P12ihipStream_tbENKUlT_T0_SG_SL_E_clIS7_S7_PlSB_EEDaSZ_S10_SG_SL_EUlSZ_E_NS1_11comp_targetILNS1_3genE4ELNS1_11target_archE910ELNS1_3gpuE8ELNS1_3repE0EEENS1_47radix_sort_onesweep_sort_config_static_selectorELNS0_4arch9wavefront6targetE1EEEvSG_.kd
    .uniform_work_group_size: 1
    .uses_dynamic_stack: false
    .vgpr_count:     0
    .vgpr_spill_count: 0
    .wavefront_size: 64
  - .args:
      - .offset:         0
        .size:           88
        .value_kind:     by_value
    .group_segment_fixed_size: 0
    .kernarg_segment_align: 8
    .kernarg_segment_size: 88
    .language:       OpenCL C
    .language_version:
      - 2
      - 0
    .max_flat_workgroup_size: 512
    .name:           _ZN7rocprim17ROCPRIM_400000_NS6detail17trampoline_kernelINS0_14default_configENS1_35radix_sort_onesweep_config_selectorIilEEZZNS1_29radix_sort_onesweep_iterationIS3_Lb0EPiS7_N6thrust23THRUST_200600_302600_NS10device_ptrIlEESB_jNS0_19identity_decomposerENS1_16block_id_wrapperIjLb1EEEEE10hipError_tT1_PNSt15iterator_traitsISG_E10value_typeET2_T3_PNSH_ISM_E10value_typeET4_T5_PSR_SS_PNS1_23onesweep_lookback_stateEbbT6_jjT7_P12ihipStream_tbENKUlT_T0_SG_SL_E_clIS7_S7_PlSB_EEDaSZ_S10_SG_SL_EUlSZ_E_NS1_11comp_targetILNS1_3genE3ELNS1_11target_archE908ELNS1_3gpuE7ELNS1_3repE0EEENS1_47radix_sort_onesweep_sort_config_static_selectorELNS0_4arch9wavefront6targetE1EEEvSG_
    .private_segment_fixed_size: 0
    .sgpr_count:     4
    .sgpr_spill_count: 0
    .symbol:         _ZN7rocprim17ROCPRIM_400000_NS6detail17trampoline_kernelINS0_14default_configENS1_35radix_sort_onesweep_config_selectorIilEEZZNS1_29radix_sort_onesweep_iterationIS3_Lb0EPiS7_N6thrust23THRUST_200600_302600_NS10device_ptrIlEESB_jNS0_19identity_decomposerENS1_16block_id_wrapperIjLb1EEEEE10hipError_tT1_PNSt15iterator_traitsISG_E10value_typeET2_T3_PNSH_ISM_E10value_typeET4_T5_PSR_SS_PNS1_23onesweep_lookback_stateEbbT6_jjT7_P12ihipStream_tbENKUlT_T0_SG_SL_E_clIS7_S7_PlSB_EEDaSZ_S10_SG_SL_EUlSZ_E_NS1_11comp_targetILNS1_3genE3ELNS1_11target_archE908ELNS1_3gpuE7ELNS1_3repE0EEENS1_47radix_sort_onesweep_sort_config_static_selectorELNS0_4arch9wavefront6targetE1EEEvSG_.kd
    .uniform_work_group_size: 1
    .uses_dynamic_stack: false
    .vgpr_count:     0
    .vgpr_spill_count: 0
    .wavefront_size: 64
  - .args:
      - .offset:         0
        .size:           88
        .value_kind:     by_value
    .group_segment_fixed_size: 0
    .kernarg_segment_align: 8
    .kernarg_segment_size: 88
    .language:       OpenCL C
    .language_version:
      - 2
      - 0
    .max_flat_workgroup_size: 1024
    .name:           _ZN7rocprim17ROCPRIM_400000_NS6detail17trampoline_kernelINS0_14default_configENS1_35radix_sort_onesweep_config_selectorIilEEZZNS1_29radix_sort_onesweep_iterationIS3_Lb0EPiS7_N6thrust23THRUST_200600_302600_NS10device_ptrIlEESB_jNS0_19identity_decomposerENS1_16block_id_wrapperIjLb1EEEEE10hipError_tT1_PNSt15iterator_traitsISG_E10value_typeET2_T3_PNSH_ISM_E10value_typeET4_T5_PSR_SS_PNS1_23onesweep_lookback_stateEbbT6_jjT7_P12ihipStream_tbENKUlT_T0_SG_SL_E_clIS7_S7_PlSB_EEDaSZ_S10_SG_SL_EUlSZ_E_NS1_11comp_targetILNS1_3genE10ELNS1_11target_archE1201ELNS1_3gpuE5ELNS1_3repE0EEENS1_47radix_sort_onesweep_sort_config_static_selectorELNS0_4arch9wavefront6targetE1EEEvSG_
    .private_segment_fixed_size: 0
    .sgpr_count:     4
    .sgpr_spill_count: 0
    .symbol:         _ZN7rocprim17ROCPRIM_400000_NS6detail17trampoline_kernelINS0_14default_configENS1_35radix_sort_onesweep_config_selectorIilEEZZNS1_29radix_sort_onesweep_iterationIS3_Lb0EPiS7_N6thrust23THRUST_200600_302600_NS10device_ptrIlEESB_jNS0_19identity_decomposerENS1_16block_id_wrapperIjLb1EEEEE10hipError_tT1_PNSt15iterator_traitsISG_E10value_typeET2_T3_PNSH_ISM_E10value_typeET4_T5_PSR_SS_PNS1_23onesweep_lookback_stateEbbT6_jjT7_P12ihipStream_tbENKUlT_T0_SG_SL_E_clIS7_S7_PlSB_EEDaSZ_S10_SG_SL_EUlSZ_E_NS1_11comp_targetILNS1_3genE10ELNS1_11target_archE1201ELNS1_3gpuE5ELNS1_3repE0EEENS1_47radix_sort_onesweep_sort_config_static_selectorELNS0_4arch9wavefront6targetE1EEEvSG_.kd
    .uniform_work_group_size: 1
    .uses_dynamic_stack: false
    .vgpr_count:     0
    .vgpr_spill_count: 0
    .wavefront_size: 64
  - .args:
      - .offset:         0
        .size:           88
        .value_kind:     by_value
    .group_segment_fixed_size: 0
    .kernarg_segment_align: 8
    .kernarg_segment_size: 88
    .language:       OpenCL C
    .language_version:
      - 2
      - 0
    .max_flat_workgroup_size: 1024
    .name:           _ZN7rocprim17ROCPRIM_400000_NS6detail17trampoline_kernelINS0_14default_configENS1_35radix_sort_onesweep_config_selectorIilEEZZNS1_29radix_sort_onesweep_iterationIS3_Lb0EPiS7_N6thrust23THRUST_200600_302600_NS10device_ptrIlEESB_jNS0_19identity_decomposerENS1_16block_id_wrapperIjLb1EEEEE10hipError_tT1_PNSt15iterator_traitsISG_E10value_typeET2_T3_PNSH_ISM_E10value_typeET4_T5_PSR_SS_PNS1_23onesweep_lookback_stateEbbT6_jjT7_P12ihipStream_tbENKUlT_T0_SG_SL_E_clIS7_S7_PlSB_EEDaSZ_S10_SG_SL_EUlSZ_E_NS1_11comp_targetILNS1_3genE9ELNS1_11target_archE1100ELNS1_3gpuE3ELNS1_3repE0EEENS1_47radix_sort_onesweep_sort_config_static_selectorELNS0_4arch9wavefront6targetE1EEEvSG_
    .private_segment_fixed_size: 0
    .sgpr_count:     4
    .sgpr_spill_count: 0
    .symbol:         _ZN7rocprim17ROCPRIM_400000_NS6detail17trampoline_kernelINS0_14default_configENS1_35radix_sort_onesweep_config_selectorIilEEZZNS1_29radix_sort_onesweep_iterationIS3_Lb0EPiS7_N6thrust23THRUST_200600_302600_NS10device_ptrIlEESB_jNS0_19identity_decomposerENS1_16block_id_wrapperIjLb1EEEEE10hipError_tT1_PNSt15iterator_traitsISG_E10value_typeET2_T3_PNSH_ISM_E10value_typeET4_T5_PSR_SS_PNS1_23onesweep_lookback_stateEbbT6_jjT7_P12ihipStream_tbENKUlT_T0_SG_SL_E_clIS7_S7_PlSB_EEDaSZ_S10_SG_SL_EUlSZ_E_NS1_11comp_targetILNS1_3genE9ELNS1_11target_archE1100ELNS1_3gpuE3ELNS1_3repE0EEENS1_47radix_sort_onesweep_sort_config_static_selectorELNS0_4arch9wavefront6targetE1EEEvSG_.kd
    .uniform_work_group_size: 1
    .uses_dynamic_stack: false
    .vgpr_count:     0
    .vgpr_spill_count: 0
    .wavefront_size: 64
  - .args:
      - .offset:         0
        .size:           88
        .value_kind:     by_value
    .group_segment_fixed_size: 0
    .kernarg_segment_align: 8
    .kernarg_segment_size: 88
    .language:       OpenCL C
    .language_version:
      - 2
      - 0
    .max_flat_workgroup_size: 1024
    .name:           _ZN7rocprim17ROCPRIM_400000_NS6detail17trampoline_kernelINS0_14default_configENS1_35radix_sort_onesweep_config_selectorIilEEZZNS1_29radix_sort_onesweep_iterationIS3_Lb0EPiS7_N6thrust23THRUST_200600_302600_NS10device_ptrIlEESB_jNS0_19identity_decomposerENS1_16block_id_wrapperIjLb1EEEEE10hipError_tT1_PNSt15iterator_traitsISG_E10value_typeET2_T3_PNSH_ISM_E10value_typeET4_T5_PSR_SS_PNS1_23onesweep_lookback_stateEbbT6_jjT7_P12ihipStream_tbENKUlT_T0_SG_SL_E_clIS7_S7_PlSB_EEDaSZ_S10_SG_SL_EUlSZ_E_NS1_11comp_targetILNS1_3genE8ELNS1_11target_archE1030ELNS1_3gpuE2ELNS1_3repE0EEENS1_47radix_sort_onesweep_sort_config_static_selectorELNS0_4arch9wavefront6targetE1EEEvSG_
    .private_segment_fixed_size: 0
    .sgpr_count:     4
    .sgpr_spill_count: 0
    .symbol:         _ZN7rocprim17ROCPRIM_400000_NS6detail17trampoline_kernelINS0_14default_configENS1_35radix_sort_onesweep_config_selectorIilEEZZNS1_29radix_sort_onesweep_iterationIS3_Lb0EPiS7_N6thrust23THRUST_200600_302600_NS10device_ptrIlEESB_jNS0_19identity_decomposerENS1_16block_id_wrapperIjLb1EEEEE10hipError_tT1_PNSt15iterator_traitsISG_E10value_typeET2_T3_PNSH_ISM_E10value_typeET4_T5_PSR_SS_PNS1_23onesweep_lookback_stateEbbT6_jjT7_P12ihipStream_tbENKUlT_T0_SG_SL_E_clIS7_S7_PlSB_EEDaSZ_S10_SG_SL_EUlSZ_E_NS1_11comp_targetILNS1_3genE8ELNS1_11target_archE1030ELNS1_3gpuE2ELNS1_3repE0EEENS1_47radix_sort_onesweep_sort_config_static_selectorELNS0_4arch9wavefront6targetE1EEEvSG_.kd
    .uniform_work_group_size: 1
    .uses_dynamic_stack: false
    .vgpr_count:     0
    .vgpr_spill_count: 0
    .wavefront_size: 64
  - .args:
      - .offset:         0
        .size:           88
        .value_kind:     by_value
    .group_segment_fixed_size: 0
    .kernarg_segment_align: 8
    .kernarg_segment_size: 88
    .language:       OpenCL C
    .language_version:
      - 2
      - 0
    .max_flat_workgroup_size: 512
    .name:           _ZN7rocprim17ROCPRIM_400000_NS6detail17trampoline_kernelINS0_14default_configENS1_35radix_sort_onesweep_config_selectorIilEEZZNS1_29radix_sort_onesweep_iterationIS3_Lb0EPiS7_N6thrust23THRUST_200600_302600_NS10device_ptrIlEESB_jNS0_19identity_decomposerENS1_16block_id_wrapperIjLb0EEEEE10hipError_tT1_PNSt15iterator_traitsISG_E10value_typeET2_T3_PNSH_ISM_E10value_typeET4_T5_PSR_SS_PNS1_23onesweep_lookback_stateEbbT6_jjT7_P12ihipStream_tbENKUlT_T0_SG_SL_E_clIS7_S7_SB_SB_EEDaSZ_S10_SG_SL_EUlSZ_E_NS1_11comp_targetILNS1_3genE0ELNS1_11target_archE4294967295ELNS1_3gpuE0ELNS1_3repE0EEENS1_47radix_sort_onesweep_sort_config_static_selectorELNS0_4arch9wavefront6targetE1EEEvSG_
    .private_segment_fixed_size: 0
    .sgpr_count:     4
    .sgpr_spill_count: 0
    .symbol:         _ZN7rocprim17ROCPRIM_400000_NS6detail17trampoline_kernelINS0_14default_configENS1_35radix_sort_onesweep_config_selectorIilEEZZNS1_29radix_sort_onesweep_iterationIS3_Lb0EPiS7_N6thrust23THRUST_200600_302600_NS10device_ptrIlEESB_jNS0_19identity_decomposerENS1_16block_id_wrapperIjLb0EEEEE10hipError_tT1_PNSt15iterator_traitsISG_E10value_typeET2_T3_PNSH_ISM_E10value_typeET4_T5_PSR_SS_PNS1_23onesweep_lookback_stateEbbT6_jjT7_P12ihipStream_tbENKUlT_T0_SG_SL_E_clIS7_S7_SB_SB_EEDaSZ_S10_SG_SL_EUlSZ_E_NS1_11comp_targetILNS1_3genE0ELNS1_11target_archE4294967295ELNS1_3gpuE0ELNS1_3repE0EEENS1_47radix_sort_onesweep_sort_config_static_selectorELNS0_4arch9wavefront6targetE1EEEvSG_.kd
    .uniform_work_group_size: 1
    .uses_dynamic_stack: false
    .vgpr_count:     0
    .vgpr_spill_count: 0
    .wavefront_size: 64
  - .args:
      - .offset:         0
        .size:           88
        .value_kind:     by_value
    .group_segment_fixed_size: 0
    .kernarg_segment_align: 8
    .kernarg_segment_size: 88
    .language:       OpenCL C
    .language_version:
      - 2
      - 0
    .max_flat_workgroup_size: 1024
    .name:           _ZN7rocprim17ROCPRIM_400000_NS6detail17trampoline_kernelINS0_14default_configENS1_35radix_sort_onesweep_config_selectorIilEEZZNS1_29radix_sort_onesweep_iterationIS3_Lb0EPiS7_N6thrust23THRUST_200600_302600_NS10device_ptrIlEESB_jNS0_19identity_decomposerENS1_16block_id_wrapperIjLb0EEEEE10hipError_tT1_PNSt15iterator_traitsISG_E10value_typeET2_T3_PNSH_ISM_E10value_typeET4_T5_PSR_SS_PNS1_23onesweep_lookback_stateEbbT6_jjT7_P12ihipStream_tbENKUlT_T0_SG_SL_E_clIS7_S7_SB_SB_EEDaSZ_S10_SG_SL_EUlSZ_E_NS1_11comp_targetILNS1_3genE6ELNS1_11target_archE950ELNS1_3gpuE13ELNS1_3repE0EEENS1_47radix_sort_onesweep_sort_config_static_selectorELNS0_4arch9wavefront6targetE1EEEvSG_
    .private_segment_fixed_size: 0
    .sgpr_count:     4
    .sgpr_spill_count: 0
    .symbol:         _ZN7rocprim17ROCPRIM_400000_NS6detail17trampoline_kernelINS0_14default_configENS1_35radix_sort_onesweep_config_selectorIilEEZZNS1_29radix_sort_onesweep_iterationIS3_Lb0EPiS7_N6thrust23THRUST_200600_302600_NS10device_ptrIlEESB_jNS0_19identity_decomposerENS1_16block_id_wrapperIjLb0EEEEE10hipError_tT1_PNSt15iterator_traitsISG_E10value_typeET2_T3_PNSH_ISM_E10value_typeET4_T5_PSR_SS_PNS1_23onesweep_lookback_stateEbbT6_jjT7_P12ihipStream_tbENKUlT_T0_SG_SL_E_clIS7_S7_SB_SB_EEDaSZ_S10_SG_SL_EUlSZ_E_NS1_11comp_targetILNS1_3genE6ELNS1_11target_archE950ELNS1_3gpuE13ELNS1_3repE0EEENS1_47radix_sort_onesweep_sort_config_static_selectorELNS0_4arch9wavefront6targetE1EEEvSG_.kd
    .uniform_work_group_size: 1
    .uses_dynamic_stack: false
    .vgpr_count:     0
    .vgpr_spill_count: 0
    .wavefront_size: 64
  - .args:
      - .offset:         0
        .size:           88
        .value_kind:     by_value
    .group_segment_fixed_size: 0
    .kernarg_segment_align: 8
    .kernarg_segment_size: 88
    .language:       OpenCL C
    .language_version:
      - 2
      - 0
    .max_flat_workgroup_size: 1024
    .name:           _ZN7rocprim17ROCPRIM_400000_NS6detail17trampoline_kernelINS0_14default_configENS1_35radix_sort_onesweep_config_selectorIilEEZZNS1_29radix_sort_onesweep_iterationIS3_Lb0EPiS7_N6thrust23THRUST_200600_302600_NS10device_ptrIlEESB_jNS0_19identity_decomposerENS1_16block_id_wrapperIjLb0EEEEE10hipError_tT1_PNSt15iterator_traitsISG_E10value_typeET2_T3_PNSH_ISM_E10value_typeET4_T5_PSR_SS_PNS1_23onesweep_lookback_stateEbbT6_jjT7_P12ihipStream_tbENKUlT_T0_SG_SL_E_clIS7_S7_SB_SB_EEDaSZ_S10_SG_SL_EUlSZ_E_NS1_11comp_targetILNS1_3genE5ELNS1_11target_archE942ELNS1_3gpuE9ELNS1_3repE0EEENS1_47radix_sort_onesweep_sort_config_static_selectorELNS0_4arch9wavefront6targetE1EEEvSG_
    .private_segment_fixed_size: 0
    .sgpr_count:     4
    .sgpr_spill_count: 0
    .symbol:         _ZN7rocprim17ROCPRIM_400000_NS6detail17trampoline_kernelINS0_14default_configENS1_35radix_sort_onesweep_config_selectorIilEEZZNS1_29radix_sort_onesweep_iterationIS3_Lb0EPiS7_N6thrust23THRUST_200600_302600_NS10device_ptrIlEESB_jNS0_19identity_decomposerENS1_16block_id_wrapperIjLb0EEEEE10hipError_tT1_PNSt15iterator_traitsISG_E10value_typeET2_T3_PNSH_ISM_E10value_typeET4_T5_PSR_SS_PNS1_23onesweep_lookback_stateEbbT6_jjT7_P12ihipStream_tbENKUlT_T0_SG_SL_E_clIS7_S7_SB_SB_EEDaSZ_S10_SG_SL_EUlSZ_E_NS1_11comp_targetILNS1_3genE5ELNS1_11target_archE942ELNS1_3gpuE9ELNS1_3repE0EEENS1_47radix_sort_onesweep_sort_config_static_selectorELNS0_4arch9wavefront6targetE1EEEvSG_.kd
    .uniform_work_group_size: 1
    .uses_dynamic_stack: false
    .vgpr_count:     0
    .vgpr_spill_count: 0
    .wavefront_size: 64
  - .args:
      - .offset:         0
        .size:           88
        .value_kind:     by_value
      - .offset:         88
        .size:           4
        .value_kind:     hidden_block_count_x
      - .offset:         92
        .size:           4
        .value_kind:     hidden_block_count_y
      - .offset:         96
        .size:           4
        .value_kind:     hidden_block_count_z
      - .offset:         100
        .size:           2
        .value_kind:     hidden_group_size_x
      - .offset:         102
        .size:           2
        .value_kind:     hidden_group_size_y
      - .offset:         104
        .size:           2
        .value_kind:     hidden_group_size_z
      - .offset:         106
        .size:           2
        .value_kind:     hidden_remainder_x
      - .offset:         108
        .size:           2
        .value_kind:     hidden_remainder_y
      - .offset:         110
        .size:           2
        .value_kind:     hidden_remainder_z
      - .offset:         128
        .size:           8
        .value_kind:     hidden_global_offset_x
      - .offset:         136
        .size:           8
        .value_kind:     hidden_global_offset_y
      - .offset:         144
        .size:           8
        .value_kind:     hidden_global_offset_z
      - .offset:         152
        .size:           2
        .value_kind:     hidden_grid_dims
    .group_segment_fixed_size: 10280
    .kernarg_segment_align: 8
    .kernarg_segment_size: 344
    .language:       OpenCL C
    .language_version:
      - 2
      - 0
    .max_flat_workgroup_size: 512
    .name:           _ZN7rocprim17ROCPRIM_400000_NS6detail17trampoline_kernelINS0_14default_configENS1_35radix_sort_onesweep_config_selectorIilEEZZNS1_29radix_sort_onesweep_iterationIS3_Lb0EPiS7_N6thrust23THRUST_200600_302600_NS10device_ptrIlEESB_jNS0_19identity_decomposerENS1_16block_id_wrapperIjLb0EEEEE10hipError_tT1_PNSt15iterator_traitsISG_E10value_typeET2_T3_PNSH_ISM_E10value_typeET4_T5_PSR_SS_PNS1_23onesweep_lookback_stateEbbT6_jjT7_P12ihipStream_tbENKUlT_T0_SG_SL_E_clIS7_S7_SB_SB_EEDaSZ_S10_SG_SL_EUlSZ_E_NS1_11comp_targetILNS1_3genE2ELNS1_11target_archE906ELNS1_3gpuE6ELNS1_3repE0EEENS1_47radix_sort_onesweep_sort_config_static_selectorELNS0_4arch9wavefront6targetE1EEEvSG_
    .private_segment_fixed_size: 48
    .sgpr_count:     61
    .sgpr_spill_count: 0
    .symbol:         _ZN7rocprim17ROCPRIM_400000_NS6detail17trampoline_kernelINS0_14default_configENS1_35radix_sort_onesweep_config_selectorIilEEZZNS1_29radix_sort_onesweep_iterationIS3_Lb0EPiS7_N6thrust23THRUST_200600_302600_NS10device_ptrIlEESB_jNS0_19identity_decomposerENS1_16block_id_wrapperIjLb0EEEEE10hipError_tT1_PNSt15iterator_traitsISG_E10value_typeET2_T3_PNSH_ISM_E10value_typeET4_T5_PSR_SS_PNS1_23onesweep_lookback_stateEbbT6_jjT7_P12ihipStream_tbENKUlT_T0_SG_SL_E_clIS7_S7_SB_SB_EEDaSZ_S10_SG_SL_EUlSZ_E_NS1_11comp_targetILNS1_3genE2ELNS1_11target_archE906ELNS1_3gpuE6ELNS1_3repE0EEENS1_47radix_sort_onesweep_sort_config_static_selectorELNS0_4arch9wavefront6targetE1EEEvSG_.kd
    .uniform_work_group_size: 1
    .uses_dynamic_stack: false
    .vgpr_count:     57
    .vgpr_spill_count: 0
    .wavefront_size: 64
  - .args:
      - .offset:         0
        .size:           88
        .value_kind:     by_value
    .group_segment_fixed_size: 0
    .kernarg_segment_align: 8
    .kernarg_segment_size: 88
    .language:       OpenCL C
    .language_version:
      - 2
      - 0
    .max_flat_workgroup_size: 512
    .name:           _ZN7rocprim17ROCPRIM_400000_NS6detail17trampoline_kernelINS0_14default_configENS1_35radix_sort_onesweep_config_selectorIilEEZZNS1_29radix_sort_onesweep_iterationIS3_Lb0EPiS7_N6thrust23THRUST_200600_302600_NS10device_ptrIlEESB_jNS0_19identity_decomposerENS1_16block_id_wrapperIjLb0EEEEE10hipError_tT1_PNSt15iterator_traitsISG_E10value_typeET2_T3_PNSH_ISM_E10value_typeET4_T5_PSR_SS_PNS1_23onesweep_lookback_stateEbbT6_jjT7_P12ihipStream_tbENKUlT_T0_SG_SL_E_clIS7_S7_SB_SB_EEDaSZ_S10_SG_SL_EUlSZ_E_NS1_11comp_targetILNS1_3genE4ELNS1_11target_archE910ELNS1_3gpuE8ELNS1_3repE0EEENS1_47radix_sort_onesweep_sort_config_static_selectorELNS0_4arch9wavefront6targetE1EEEvSG_
    .private_segment_fixed_size: 0
    .sgpr_count:     4
    .sgpr_spill_count: 0
    .symbol:         _ZN7rocprim17ROCPRIM_400000_NS6detail17trampoline_kernelINS0_14default_configENS1_35radix_sort_onesweep_config_selectorIilEEZZNS1_29radix_sort_onesweep_iterationIS3_Lb0EPiS7_N6thrust23THRUST_200600_302600_NS10device_ptrIlEESB_jNS0_19identity_decomposerENS1_16block_id_wrapperIjLb0EEEEE10hipError_tT1_PNSt15iterator_traitsISG_E10value_typeET2_T3_PNSH_ISM_E10value_typeET4_T5_PSR_SS_PNS1_23onesweep_lookback_stateEbbT6_jjT7_P12ihipStream_tbENKUlT_T0_SG_SL_E_clIS7_S7_SB_SB_EEDaSZ_S10_SG_SL_EUlSZ_E_NS1_11comp_targetILNS1_3genE4ELNS1_11target_archE910ELNS1_3gpuE8ELNS1_3repE0EEENS1_47radix_sort_onesweep_sort_config_static_selectorELNS0_4arch9wavefront6targetE1EEEvSG_.kd
    .uniform_work_group_size: 1
    .uses_dynamic_stack: false
    .vgpr_count:     0
    .vgpr_spill_count: 0
    .wavefront_size: 64
  - .args:
      - .offset:         0
        .size:           88
        .value_kind:     by_value
    .group_segment_fixed_size: 0
    .kernarg_segment_align: 8
    .kernarg_segment_size: 88
    .language:       OpenCL C
    .language_version:
      - 2
      - 0
    .max_flat_workgroup_size: 512
    .name:           _ZN7rocprim17ROCPRIM_400000_NS6detail17trampoline_kernelINS0_14default_configENS1_35radix_sort_onesweep_config_selectorIilEEZZNS1_29radix_sort_onesweep_iterationIS3_Lb0EPiS7_N6thrust23THRUST_200600_302600_NS10device_ptrIlEESB_jNS0_19identity_decomposerENS1_16block_id_wrapperIjLb0EEEEE10hipError_tT1_PNSt15iterator_traitsISG_E10value_typeET2_T3_PNSH_ISM_E10value_typeET4_T5_PSR_SS_PNS1_23onesweep_lookback_stateEbbT6_jjT7_P12ihipStream_tbENKUlT_T0_SG_SL_E_clIS7_S7_SB_SB_EEDaSZ_S10_SG_SL_EUlSZ_E_NS1_11comp_targetILNS1_3genE3ELNS1_11target_archE908ELNS1_3gpuE7ELNS1_3repE0EEENS1_47radix_sort_onesweep_sort_config_static_selectorELNS0_4arch9wavefront6targetE1EEEvSG_
    .private_segment_fixed_size: 0
    .sgpr_count:     4
    .sgpr_spill_count: 0
    .symbol:         _ZN7rocprim17ROCPRIM_400000_NS6detail17trampoline_kernelINS0_14default_configENS1_35radix_sort_onesweep_config_selectorIilEEZZNS1_29radix_sort_onesweep_iterationIS3_Lb0EPiS7_N6thrust23THRUST_200600_302600_NS10device_ptrIlEESB_jNS0_19identity_decomposerENS1_16block_id_wrapperIjLb0EEEEE10hipError_tT1_PNSt15iterator_traitsISG_E10value_typeET2_T3_PNSH_ISM_E10value_typeET4_T5_PSR_SS_PNS1_23onesweep_lookback_stateEbbT6_jjT7_P12ihipStream_tbENKUlT_T0_SG_SL_E_clIS7_S7_SB_SB_EEDaSZ_S10_SG_SL_EUlSZ_E_NS1_11comp_targetILNS1_3genE3ELNS1_11target_archE908ELNS1_3gpuE7ELNS1_3repE0EEENS1_47radix_sort_onesweep_sort_config_static_selectorELNS0_4arch9wavefront6targetE1EEEvSG_.kd
    .uniform_work_group_size: 1
    .uses_dynamic_stack: false
    .vgpr_count:     0
    .vgpr_spill_count: 0
    .wavefront_size: 64
  - .args:
      - .offset:         0
        .size:           88
        .value_kind:     by_value
    .group_segment_fixed_size: 0
    .kernarg_segment_align: 8
    .kernarg_segment_size: 88
    .language:       OpenCL C
    .language_version:
      - 2
      - 0
    .max_flat_workgroup_size: 1024
    .name:           _ZN7rocprim17ROCPRIM_400000_NS6detail17trampoline_kernelINS0_14default_configENS1_35radix_sort_onesweep_config_selectorIilEEZZNS1_29radix_sort_onesweep_iterationIS3_Lb0EPiS7_N6thrust23THRUST_200600_302600_NS10device_ptrIlEESB_jNS0_19identity_decomposerENS1_16block_id_wrapperIjLb0EEEEE10hipError_tT1_PNSt15iterator_traitsISG_E10value_typeET2_T3_PNSH_ISM_E10value_typeET4_T5_PSR_SS_PNS1_23onesweep_lookback_stateEbbT6_jjT7_P12ihipStream_tbENKUlT_T0_SG_SL_E_clIS7_S7_SB_SB_EEDaSZ_S10_SG_SL_EUlSZ_E_NS1_11comp_targetILNS1_3genE10ELNS1_11target_archE1201ELNS1_3gpuE5ELNS1_3repE0EEENS1_47radix_sort_onesweep_sort_config_static_selectorELNS0_4arch9wavefront6targetE1EEEvSG_
    .private_segment_fixed_size: 0
    .sgpr_count:     4
    .sgpr_spill_count: 0
    .symbol:         _ZN7rocprim17ROCPRIM_400000_NS6detail17trampoline_kernelINS0_14default_configENS1_35radix_sort_onesweep_config_selectorIilEEZZNS1_29radix_sort_onesweep_iterationIS3_Lb0EPiS7_N6thrust23THRUST_200600_302600_NS10device_ptrIlEESB_jNS0_19identity_decomposerENS1_16block_id_wrapperIjLb0EEEEE10hipError_tT1_PNSt15iterator_traitsISG_E10value_typeET2_T3_PNSH_ISM_E10value_typeET4_T5_PSR_SS_PNS1_23onesweep_lookback_stateEbbT6_jjT7_P12ihipStream_tbENKUlT_T0_SG_SL_E_clIS7_S7_SB_SB_EEDaSZ_S10_SG_SL_EUlSZ_E_NS1_11comp_targetILNS1_3genE10ELNS1_11target_archE1201ELNS1_3gpuE5ELNS1_3repE0EEENS1_47radix_sort_onesweep_sort_config_static_selectorELNS0_4arch9wavefront6targetE1EEEvSG_.kd
    .uniform_work_group_size: 1
    .uses_dynamic_stack: false
    .vgpr_count:     0
    .vgpr_spill_count: 0
    .wavefront_size: 64
  - .args:
      - .offset:         0
        .size:           88
        .value_kind:     by_value
    .group_segment_fixed_size: 0
    .kernarg_segment_align: 8
    .kernarg_segment_size: 88
    .language:       OpenCL C
    .language_version:
      - 2
      - 0
    .max_flat_workgroup_size: 1024
    .name:           _ZN7rocprim17ROCPRIM_400000_NS6detail17trampoline_kernelINS0_14default_configENS1_35radix_sort_onesweep_config_selectorIilEEZZNS1_29radix_sort_onesweep_iterationIS3_Lb0EPiS7_N6thrust23THRUST_200600_302600_NS10device_ptrIlEESB_jNS0_19identity_decomposerENS1_16block_id_wrapperIjLb0EEEEE10hipError_tT1_PNSt15iterator_traitsISG_E10value_typeET2_T3_PNSH_ISM_E10value_typeET4_T5_PSR_SS_PNS1_23onesweep_lookback_stateEbbT6_jjT7_P12ihipStream_tbENKUlT_T0_SG_SL_E_clIS7_S7_SB_SB_EEDaSZ_S10_SG_SL_EUlSZ_E_NS1_11comp_targetILNS1_3genE9ELNS1_11target_archE1100ELNS1_3gpuE3ELNS1_3repE0EEENS1_47radix_sort_onesweep_sort_config_static_selectorELNS0_4arch9wavefront6targetE1EEEvSG_
    .private_segment_fixed_size: 0
    .sgpr_count:     4
    .sgpr_spill_count: 0
    .symbol:         _ZN7rocprim17ROCPRIM_400000_NS6detail17trampoline_kernelINS0_14default_configENS1_35radix_sort_onesweep_config_selectorIilEEZZNS1_29radix_sort_onesweep_iterationIS3_Lb0EPiS7_N6thrust23THRUST_200600_302600_NS10device_ptrIlEESB_jNS0_19identity_decomposerENS1_16block_id_wrapperIjLb0EEEEE10hipError_tT1_PNSt15iterator_traitsISG_E10value_typeET2_T3_PNSH_ISM_E10value_typeET4_T5_PSR_SS_PNS1_23onesweep_lookback_stateEbbT6_jjT7_P12ihipStream_tbENKUlT_T0_SG_SL_E_clIS7_S7_SB_SB_EEDaSZ_S10_SG_SL_EUlSZ_E_NS1_11comp_targetILNS1_3genE9ELNS1_11target_archE1100ELNS1_3gpuE3ELNS1_3repE0EEENS1_47radix_sort_onesweep_sort_config_static_selectorELNS0_4arch9wavefront6targetE1EEEvSG_.kd
    .uniform_work_group_size: 1
    .uses_dynamic_stack: false
    .vgpr_count:     0
    .vgpr_spill_count: 0
    .wavefront_size: 64
  - .args:
      - .offset:         0
        .size:           88
        .value_kind:     by_value
    .group_segment_fixed_size: 0
    .kernarg_segment_align: 8
    .kernarg_segment_size: 88
    .language:       OpenCL C
    .language_version:
      - 2
      - 0
    .max_flat_workgroup_size: 1024
    .name:           _ZN7rocprim17ROCPRIM_400000_NS6detail17trampoline_kernelINS0_14default_configENS1_35radix_sort_onesweep_config_selectorIilEEZZNS1_29radix_sort_onesweep_iterationIS3_Lb0EPiS7_N6thrust23THRUST_200600_302600_NS10device_ptrIlEESB_jNS0_19identity_decomposerENS1_16block_id_wrapperIjLb0EEEEE10hipError_tT1_PNSt15iterator_traitsISG_E10value_typeET2_T3_PNSH_ISM_E10value_typeET4_T5_PSR_SS_PNS1_23onesweep_lookback_stateEbbT6_jjT7_P12ihipStream_tbENKUlT_T0_SG_SL_E_clIS7_S7_SB_SB_EEDaSZ_S10_SG_SL_EUlSZ_E_NS1_11comp_targetILNS1_3genE8ELNS1_11target_archE1030ELNS1_3gpuE2ELNS1_3repE0EEENS1_47radix_sort_onesweep_sort_config_static_selectorELNS0_4arch9wavefront6targetE1EEEvSG_
    .private_segment_fixed_size: 0
    .sgpr_count:     4
    .sgpr_spill_count: 0
    .symbol:         _ZN7rocprim17ROCPRIM_400000_NS6detail17trampoline_kernelINS0_14default_configENS1_35radix_sort_onesweep_config_selectorIilEEZZNS1_29radix_sort_onesweep_iterationIS3_Lb0EPiS7_N6thrust23THRUST_200600_302600_NS10device_ptrIlEESB_jNS0_19identity_decomposerENS1_16block_id_wrapperIjLb0EEEEE10hipError_tT1_PNSt15iterator_traitsISG_E10value_typeET2_T3_PNSH_ISM_E10value_typeET4_T5_PSR_SS_PNS1_23onesweep_lookback_stateEbbT6_jjT7_P12ihipStream_tbENKUlT_T0_SG_SL_E_clIS7_S7_SB_SB_EEDaSZ_S10_SG_SL_EUlSZ_E_NS1_11comp_targetILNS1_3genE8ELNS1_11target_archE1030ELNS1_3gpuE2ELNS1_3repE0EEENS1_47radix_sort_onesweep_sort_config_static_selectorELNS0_4arch9wavefront6targetE1EEEvSG_.kd
    .uniform_work_group_size: 1
    .uses_dynamic_stack: false
    .vgpr_count:     0
    .vgpr_spill_count: 0
    .wavefront_size: 64
  - .args:
      - .offset:         0
        .size:           88
        .value_kind:     by_value
    .group_segment_fixed_size: 0
    .kernarg_segment_align: 8
    .kernarg_segment_size: 88
    .language:       OpenCL C
    .language_version:
      - 2
      - 0
    .max_flat_workgroup_size: 512
    .name:           _ZN7rocprim17ROCPRIM_400000_NS6detail17trampoline_kernelINS0_14default_configENS1_35radix_sort_onesweep_config_selectorIilEEZZNS1_29radix_sort_onesweep_iterationIS3_Lb0EPiS7_N6thrust23THRUST_200600_302600_NS10device_ptrIlEESB_jNS0_19identity_decomposerENS1_16block_id_wrapperIjLb0EEEEE10hipError_tT1_PNSt15iterator_traitsISG_E10value_typeET2_T3_PNSH_ISM_E10value_typeET4_T5_PSR_SS_PNS1_23onesweep_lookback_stateEbbT6_jjT7_P12ihipStream_tbENKUlT_T0_SG_SL_E_clIS7_S7_SB_PlEEDaSZ_S10_SG_SL_EUlSZ_E_NS1_11comp_targetILNS1_3genE0ELNS1_11target_archE4294967295ELNS1_3gpuE0ELNS1_3repE0EEENS1_47radix_sort_onesweep_sort_config_static_selectorELNS0_4arch9wavefront6targetE1EEEvSG_
    .private_segment_fixed_size: 0
    .sgpr_count:     4
    .sgpr_spill_count: 0
    .symbol:         _ZN7rocprim17ROCPRIM_400000_NS6detail17trampoline_kernelINS0_14default_configENS1_35radix_sort_onesweep_config_selectorIilEEZZNS1_29radix_sort_onesweep_iterationIS3_Lb0EPiS7_N6thrust23THRUST_200600_302600_NS10device_ptrIlEESB_jNS0_19identity_decomposerENS1_16block_id_wrapperIjLb0EEEEE10hipError_tT1_PNSt15iterator_traitsISG_E10value_typeET2_T3_PNSH_ISM_E10value_typeET4_T5_PSR_SS_PNS1_23onesweep_lookback_stateEbbT6_jjT7_P12ihipStream_tbENKUlT_T0_SG_SL_E_clIS7_S7_SB_PlEEDaSZ_S10_SG_SL_EUlSZ_E_NS1_11comp_targetILNS1_3genE0ELNS1_11target_archE4294967295ELNS1_3gpuE0ELNS1_3repE0EEENS1_47radix_sort_onesweep_sort_config_static_selectorELNS0_4arch9wavefront6targetE1EEEvSG_.kd
    .uniform_work_group_size: 1
    .uses_dynamic_stack: false
    .vgpr_count:     0
    .vgpr_spill_count: 0
    .wavefront_size: 64
  - .args:
      - .offset:         0
        .size:           88
        .value_kind:     by_value
    .group_segment_fixed_size: 0
    .kernarg_segment_align: 8
    .kernarg_segment_size: 88
    .language:       OpenCL C
    .language_version:
      - 2
      - 0
    .max_flat_workgroup_size: 1024
    .name:           _ZN7rocprim17ROCPRIM_400000_NS6detail17trampoline_kernelINS0_14default_configENS1_35radix_sort_onesweep_config_selectorIilEEZZNS1_29radix_sort_onesweep_iterationIS3_Lb0EPiS7_N6thrust23THRUST_200600_302600_NS10device_ptrIlEESB_jNS0_19identity_decomposerENS1_16block_id_wrapperIjLb0EEEEE10hipError_tT1_PNSt15iterator_traitsISG_E10value_typeET2_T3_PNSH_ISM_E10value_typeET4_T5_PSR_SS_PNS1_23onesweep_lookback_stateEbbT6_jjT7_P12ihipStream_tbENKUlT_T0_SG_SL_E_clIS7_S7_SB_PlEEDaSZ_S10_SG_SL_EUlSZ_E_NS1_11comp_targetILNS1_3genE6ELNS1_11target_archE950ELNS1_3gpuE13ELNS1_3repE0EEENS1_47radix_sort_onesweep_sort_config_static_selectorELNS0_4arch9wavefront6targetE1EEEvSG_
    .private_segment_fixed_size: 0
    .sgpr_count:     4
    .sgpr_spill_count: 0
    .symbol:         _ZN7rocprim17ROCPRIM_400000_NS6detail17trampoline_kernelINS0_14default_configENS1_35radix_sort_onesweep_config_selectorIilEEZZNS1_29radix_sort_onesweep_iterationIS3_Lb0EPiS7_N6thrust23THRUST_200600_302600_NS10device_ptrIlEESB_jNS0_19identity_decomposerENS1_16block_id_wrapperIjLb0EEEEE10hipError_tT1_PNSt15iterator_traitsISG_E10value_typeET2_T3_PNSH_ISM_E10value_typeET4_T5_PSR_SS_PNS1_23onesweep_lookback_stateEbbT6_jjT7_P12ihipStream_tbENKUlT_T0_SG_SL_E_clIS7_S7_SB_PlEEDaSZ_S10_SG_SL_EUlSZ_E_NS1_11comp_targetILNS1_3genE6ELNS1_11target_archE950ELNS1_3gpuE13ELNS1_3repE0EEENS1_47radix_sort_onesweep_sort_config_static_selectorELNS0_4arch9wavefront6targetE1EEEvSG_.kd
    .uniform_work_group_size: 1
    .uses_dynamic_stack: false
    .vgpr_count:     0
    .vgpr_spill_count: 0
    .wavefront_size: 64
  - .args:
      - .offset:         0
        .size:           88
        .value_kind:     by_value
    .group_segment_fixed_size: 0
    .kernarg_segment_align: 8
    .kernarg_segment_size: 88
    .language:       OpenCL C
    .language_version:
      - 2
      - 0
    .max_flat_workgroup_size: 1024
    .name:           _ZN7rocprim17ROCPRIM_400000_NS6detail17trampoline_kernelINS0_14default_configENS1_35radix_sort_onesweep_config_selectorIilEEZZNS1_29radix_sort_onesweep_iterationIS3_Lb0EPiS7_N6thrust23THRUST_200600_302600_NS10device_ptrIlEESB_jNS0_19identity_decomposerENS1_16block_id_wrapperIjLb0EEEEE10hipError_tT1_PNSt15iterator_traitsISG_E10value_typeET2_T3_PNSH_ISM_E10value_typeET4_T5_PSR_SS_PNS1_23onesweep_lookback_stateEbbT6_jjT7_P12ihipStream_tbENKUlT_T0_SG_SL_E_clIS7_S7_SB_PlEEDaSZ_S10_SG_SL_EUlSZ_E_NS1_11comp_targetILNS1_3genE5ELNS1_11target_archE942ELNS1_3gpuE9ELNS1_3repE0EEENS1_47radix_sort_onesweep_sort_config_static_selectorELNS0_4arch9wavefront6targetE1EEEvSG_
    .private_segment_fixed_size: 0
    .sgpr_count:     4
    .sgpr_spill_count: 0
    .symbol:         _ZN7rocprim17ROCPRIM_400000_NS6detail17trampoline_kernelINS0_14default_configENS1_35radix_sort_onesweep_config_selectorIilEEZZNS1_29radix_sort_onesweep_iterationIS3_Lb0EPiS7_N6thrust23THRUST_200600_302600_NS10device_ptrIlEESB_jNS0_19identity_decomposerENS1_16block_id_wrapperIjLb0EEEEE10hipError_tT1_PNSt15iterator_traitsISG_E10value_typeET2_T3_PNSH_ISM_E10value_typeET4_T5_PSR_SS_PNS1_23onesweep_lookback_stateEbbT6_jjT7_P12ihipStream_tbENKUlT_T0_SG_SL_E_clIS7_S7_SB_PlEEDaSZ_S10_SG_SL_EUlSZ_E_NS1_11comp_targetILNS1_3genE5ELNS1_11target_archE942ELNS1_3gpuE9ELNS1_3repE0EEENS1_47radix_sort_onesweep_sort_config_static_selectorELNS0_4arch9wavefront6targetE1EEEvSG_.kd
    .uniform_work_group_size: 1
    .uses_dynamic_stack: false
    .vgpr_count:     0
    .vgpr_spill_count: 0
    .wavefront_size: 64
  - .args:
      - .offset:         0
        .size:           88
        .value_kind:     by_value
      - .offset:         88
        .size:           4
        .value_kind:     hidden_block_count_x
      - .offset:         92
        .size:           4
        .value_kind:     hidden_block_count_y
      - .offset:         96
        .size:           4
        .value_kind:     hidden_block_count_z
      - .offset:         100
        .size:           2
        .value_kind:     hidden_group_size_x
      - .offset:         102
        .size:           2
        .value_kind:     hidden_group_size_y
      - .offset:         104
        .size:           2
        .value_kind:     hidden_group_size_z
      - .offset:         106
        .size:           2
        .value_kind:     hidden_remainder_x
      - .offset:         108
        .size:           2
        .value_kind:     hidden_remainder_y
      - .offset:         110
        .size:           2
        .value_kind:     hidden_remainder_z
      - .offset:         128
        .size:           8
        .value_kind:     hidden_global_offset_x
      - .offset:         136
        .size:           8
        .value_kind:     hidden_global_offset_y
      - .offset:         144
        .size:           8
        .value_kind:     hidden_global_offset_z
      - .offset:         152
        .size:           2
        .value_kind:     hidden_grid_dims
    .group_segment_fixed_size: 10280
    .kernarg_segment_align: 8
    .kernarg_segment_size: 344
    .language:       OpenCL C
    .language_version:
      - 2
      - 0
    .max_flat_workgroup_size: 512
    .name:           _ZN7rocprim17ROCPRIM_400000_NS6detail17trampoline_kernelINS0_14default_configENS1_35radix_sort_onesweep_config_selectorIilEEZZNS1_29radix_sort_onesweep_iterationIS3_Lb0EPiS7_N6thrust23THRUST_200600_302600_NS10device_ptrIlEESB_jNS0_19identity_decomposerENS1_16block_id_wrapperIjLb0EEEEE10hipError_tT1_PNSt15iterator_traitsISG_E10value_typeET2_T3_PNSH_ISM_E10value_typeET4_T5_PSR_SS_PNS1_23onesweep_lookback_stateEbbT6_jjT7_P12ihipStream_tbENKUlT_T0_SG_SL_E_clIS7_S7_SB_PlEEDaSZ_S10_SG_SL_EUlSZ_E_NS1_11comp_targetILNS1_3genE2ELNS1_11target_archE906ELNS1_3gpuE6ELNS1_3repE0EEENS1_47radix_sort_onesweep_sort_config_static_selectorELNS0_4arch9wavefront6targetE1EEEvSG_
    .private_segment_fixed_size: 48
    .sgpr_count:     61
    .sgpr_spill_count: 0
    .symbol:         _ZN7rocprim17ROCPRIM_400000_NS6detail17trampoline_kernelINS0_14default_configENS1_35radix_sort_onesweep_config_selectorIilEEZZNS1_29radix_sort_onesweep_iterationIS3_Lb0EPiS7_N6thrust23THRUST_200600_302600_NS10device_ptrIlEESB_jNS0_19identity_decomposerENS1_16block_id_wrapperIjLb0EEEEE10hipError_tT1_PNSt15iterator_traitsISG_E10value_typeET2_T3_PNSH_ISM_E10value_typeET4_T5_PSR_SS_PNS1_23onesweep_lookback_stateEbbT6_jjT7_P12ihipStream_tbENKUlT_T0_SG_SL_E_clIS7_S7_SB_PlEEDaSZ_S10_SG_SL_EUlSZ_E_NS1_11comp_targetILNS1_3genE2ELNS1_11target_archE906ELNS1_3gpuE6ELNS1_3repE0EEENS1_47radix_sort_onesweep_sort_config_static_selectorELNS0_4arch9wavefront6targetE1EEEvSG_.kd
    .uniform_work_group_size: 1
    .uses_dynamic_stack: false
    .vgpr_count:     57
    .vgpr_spill_count: 0
    .wavefront_size: 64
  - .args:
      - .offset:         0
        .size:           88
        .value_kind:     by_value
    .group_segment_fixed_size: 0
    .kernarg_segment_align: 8
    .kernarg_segment_size: 88
    .language:       OpenCL C
    .language_version:
      - 2
      - 0
    .max_flat_workgroup_size: 512
    .name:           _ZN7rocprim17ROCPRIM_400000_NS6detail17trampoline_kernelINS0_14default_configENS1_35radix_sort_onesweep_config_selectorIilEEZZNS1_29radix_sort_onesweep_iterationIS3_Lb0EPiS7_N6thrust23THRUST_200600_302600_NS10device_ptrIlEESB_jNS0_19identity_decomposerENS1_16block_id_wrapperIjLb0EEEEE10hipError_tT1_PNSt15iterator_traitsISG_E10value_typeET2_T3_PNSH_ISM_E10value_typeET4_T5_PSR_SS_PNS1_23onesweep_lookback_stateEbbT6_jjT7_P12ihipStream_tbENKUlT_T0_SG_SL_E_clIS7_S7_SB_PlEEDaSZ_S10_SG_SL_EUlSZ_E_NS1_11comp_targetILNS1_3genE4ELNS1_11target_archE910ELNS1_3gpuE8ELNS1_3repE0EEENS1_47radix_sort_onesweep_sort_config_static_selectorELNS0_4arch9wavefront6targetE1EEEvSG_
    .private_segment_fixed_size: 0
    .sgpr_count:     4
    .sgpr_spill_count: 0
    .symbol:         _ZN7rocprim17ROCPRIM_400000_NS6detail17trampoline_kernelINS0_14default_configENS1_35radix_sort_onesweep_config_selectorIilEEZZNS1_29radix_sort_onesweep_iterationIS3_Lb0EPiS7_N6thrust23THRUST_200600_302600_NS10device_ptrIlEESB_jNS0_19identity_decomposerENS1_16block_id_wrapperIjLb0EEEEE10hipError_tT1_PNSt15iterator_traitsISG_E10value_typeET2_T3_PNSH_ISM_E10value_typeET4_T5_PSR_SS_PNS1_23onesweep_lookback_stateEbbT6_jjT7_P12ihipStream_tbENKUlT_T0_SG_SL_E_clIS7_S7_SB_PlEEDaSZ_S10_SG_SL_EUlSZ_E_NS1_11comp_targetILNS1_3genE4ELNS1_11target_archE910ELNS1_3gpuE8ELNS1_3repE0EEENS1_47radix_sort_onesweep_sort_config_static_selectorELNS0_4arch9wavefront6targetE1EEEvSG_.kd
    .uniform_work_group_size: 1
    .uses_dynamic_stack: false
    .vgpr_count:     0
    .vgpr_spill_count: 0
    .wavefront_size: 64
  - .args:
      - .offset:         0
        .size:           88
        .value_kind:     by_value
    .group_segment_fixed_size: 0
    .kernarg_segment_align: 8
    .kernarg_segment_size: 88
    .language:       OpenCL C
    .language_version:
      - 2
      - 0
    .max_flat_workgroup_size: 512
    .name:           _ZN7rocprim17ROCPRIM_400000_NS6detail17trampoline_kernelINS0_14default_configENS1_35radix_sort_onesweep_config_selectorIilEEZZNS1_29radix_sort_onesweep_iterationIS3_Lb0EPiS7_N6thrust23THRUST_200600_302600_NS10device_ptrIlEESB_jNS0_19identity_decomposerENS1_16block_id_wrapperIjLb0EEEEE10hipError_tT1_PNSt15iterator_traitsISG_E10value_typeET2_T3_PNSH_ISM_E10value_typeET4_T5_PSR_SS_PNS1_23onesweep_lookback_stateEbbT6_jjT7_P12ihipStream_tbENKUlT_T0_SG_SL_E_clIS7_S7_SB_PlEEDaSZ_S10_SG_SL_EUlSZ_E_NS1_11comp_targetILNS1_3genE3ELNS1_11target_archE908ELNS1_3gpuE7ELNS1_3repE0EEENS1_47radix_sort_onesweep_sort_config_static_selectorELNS0_4arch9wavefront6targetE1EEEvSG_
    .private_segment_fixed_size: 0
    .sgpr_count:     4
    .sgpr_spill_count: 0
    .symbol:         _ZN7rocprim17ROCPRIM_400000_NS6detail17trampoline_kernelINS0_14default_configENS1_35radix_sort_onesweep_config_selectorIilEEZZNS1_29radix_sort_onesweep_iterationIS3_Lb0EPiS7_N6thrust23THRUST_200600_302600_NS10device_ptrIlEESB_jNS0_19identity_decomposerENS1_16block_id_wrapperIjLb0EEEEE10hipError_tT1_PNSt15iterator_traitsISG_E10value_typeET2_T3_PNSH_ISM_E10value_typeET4_T5_PSR_SS_PNS1_23onesweep_lookback_stateEbbT6_jjT7_P12ihipStream_tbENKUlT_T0_SG_SL_E_clIS7_S7_SB_PlEEDaSZ_S10_SG_SL_EUlSZ_E_NS1_11comp_targetILNS1_3genE3ELNS1_11target_archE908ELNS1_3gpuE7ELNS1_3repE0EEENS1_47radix_sort_onesweep_sort_config_static_selectorELNS0_4arch9wavefront6targetE1EEEvSG_.kd
    .uniform_work_group_size: 1
    .uses_dynamic_stack: false
    .vgpr_count:     0
    .vgpr_spill_count: 0
    .wavefront_size: 64
  - .args:
      - .offset:         0
        .size:           88
        .value_kind:     by_value
    .group_segment_fixed_size: 0
    .kernarg_segment_align: 8
    .kernarg_segment_size: 88
    .language:       OpenCL C
    .language_version:
      - 2
      - 0
    .max_flat_workgroup_size: 1024
    .name:           _ZN7rocprim17ROCPRIM_400000_NS6detail17trampoline_kernelINS0_14default_configENS1_35radix_sort_onesweep_config_selectorIilEEZZNS1_29radix_sort_onesweep_iterationIS3_Lb0EPiS7_N6thrust23THRUST_200600_302600_NS10device_ptrIlEESB_jNS0_19identity_decomposerENS1_16block_id_wrapperIjLb0EEEEE10hipError_tT1_PNSt15iterator_traitsISG_E10value_typeET2_T3_PNSH_ISM_E10value_typeET4_T5_PSR_SS_PNS1_23onesweep_lookback_stateEbbT6_jjT7_P12ihipStream_tbENKUlT_T0_SG_SL_E_clIS7_S7_SB_PlEEDaSZ_S10_SG_SL_EUlSZ_E_NS1_11comp_targetILNS1_3genE10ELNS1_11target_archE1201ELNS1_3gpuE5ELNS1_3repE0EEENS1_47radix_sort_onesweep_sort_config_static_selectorELNS0_4arch9wavefront6targetE1EEEvSG_
    .private_segment_fixed_size: 0
    .sgpr_count:     4
    .sgpr_spill_count: 0
    .symbol:         _ZN7rocprim17ROCPRIM_400000_NS6detail17trampoline_kernelINS0_14default_configENS1_35radix_sort_onesweep_config_selectorIilEEZZNS1_29radix_sort_onesweep_iterationIS3_Lb0EPiS7_N6thrust23THRUST_200600_302600_NS10device_ptrIlEESB_jNS0_19identity_decomposerENS1_16block_id_wrapperIjLb0EEEEE10hipError_tT1_PNSt15iterator_traitsISG_E10value_typeET2_T3_PNSH_ISM_E10value_typeET4_T5_PSR_SS_PNS1_23onesweep_lookback_stateEbbT6_jjT7_P12ihipStream_tbENKUlT_T0_SG_SL_E_clIS7_S7_SB_PlEEDaSZ_S10_SG_SL_EUlSZ_E_NS1_11comp_targetILNS1_3genE10ELNS1_11target_archE1201ELNS1_3gpuE5ELNS1_3repE0EEENS1_47radix_sort_onesweep_sort_config_static_selectorELNS0_4arch9wavefront6targetE1EEEvSG_.kd
    .uniform_work_group_size: 1
    .uses_dynamic_stack: false
    .vgpr_count:     0
    .vgpr_spill_count: 0
    .wavefront_size: 64
  - .args:
      - .offset:         0
        .size:           88
        .value_kind:     by_value
    .group_segment_fixed_size: 0
    .kernarg_segment_align: 8
    .kernarg_segment_size: 88
    .language:       OpenCL C
    .language_version:
      - 2
      - 0
    .max_flat_workgroup_size: 1024
    .name:           _ZN7rocprim17ROCPRIM_400000_NS6detail17trampoline_kernelINS0_14default_configENS1_35radix_sort_onesweep_config_selectorIilEEZZNS1_29radix_sort_onesweep_iterationIS3_Lb0EPiS7_N6thrust23THRUST_200600_302600_NS10device_ptrIlEESB_jNS0_19identity_decomposerENS1_16block_id_wrapperIjLb0EEEEE10hipError_tT1_PNSt15iterator_traitsISG_E10value_typeET2_T3_PNSH_ISM_E10value_typeET4_T5_PSR_SS_PNS1_23onesweep_lookback_stateEbbT6_jjT7_P12ihipStream_tbENKUlT_T0_SG_SL_E_clIS7_S7_SB_PlEEDaSZ_S10_SG_SL_EUlSZ_E_NS1_11comp_targetILNS1_3genE9ELNS1_11target_archE1100ELNS1_3gpuE3ELNS1_3repE0EEENS1_47radix_sort_onesweep_sort_config_static_selectorELNS0_4arch9wavefront6targetE1EEEvSG_
    .private_segment_fixed_size: 0
    .sgpr_count:     4
    .sgpr_spill_count: 0
    .symbol:         _ZN7rocprim17ROCPRIM_400000_NS6detail17trampoline_kernelINS0_14default_configENS1_35radix_sort_onesweep_config_selectorIilEEZZNS1_29radix_sort_onesweep_iterationIS3_Lb0EPiS7_N6thrust23THRUST_200600_302600_NS10device_ptrIlEESB_jNS0_19identity_decomposerENS1_16block_id_wrapperIjLb0EEEEE10hipError_tT1_PNSt15iterator_traitsISG_E10value_typeET2_T3_PNSH_ISM_E10value_typeET4_T5_PSR_SS_PNS1_23onesweep_lookback_stateEbbT6_jjT7_P12ihipStream_tbENKUlT_T0_SG_SL_E_clIS7_S7_SB_PlEEDaSZ_S10_SG_SL_EUlSZ_E_NS1_11comp_targetILNS1_3genE9ELNS1_11target_archE1100ELNS1_3gpuE3ELNS1_3repE0EEENS1_47radix_sort_onesweep_sort_config_static_selectorELNS0_4arch9wavefront6targetE1EEEvSG_.kd
    .uniform_work_group_size: 1
    .uses_dynamic_stack: false
    .vgpr_count:     0
    .vgpr_spill_count: 0
    .wavefront_size: 64
  - .args:
      - .offset:         0
        .size:           88
        .value_kind:     by_value
    .group_segment_fixed_size: 0
    .kernarg_segment_align: 8
    .kernarg_segment_size: 88
    .language:       OpenCL C
    .language_version:
      - 2
      - 0
    .max_flat_workgroup_size: 1024
    .name:           _ZN7rocprim17ROCPRIM_400000_NS6detail17trampoline_kernelINS0_14default_configENS1_35radix_sort_onesweep_config_selectorIilEEZZNS1_29radix_sort_onesweep_iterationIS3_Lb0EPiS7_N6thrust23THRUST_200600_302600_NS10device_ptrIlEESB_jNS0_19identity_decomposerENS1_16block_id_wrapperIjLb0EEEEE10hipError_tT1_PNSt15iterator_traitsISG_E10value_typeET2_T3_PNSH_ISM_E10value_typeET4_T5_PSR_SS_PNS1_23onesweep_lookback_stateEbbT6_jjT7_P12ihipStream_tbENKUlT_T0_SG_SL_E_clIS7_S7_SB_PlEEDaSZ_S10_SG_SL_EUlSZ_E_NS1_11comp_targetILNS1_3genE8ELNS1_11target_archE1030ELNS1_3gpuE2ELNS1_3repE0EEENS1_47radix_sort_onesweep_sort_config_static_selectorELNS0_4arch9wavefront6targetE1EEEvSG_
    .private_segment_fixed_size: 0
    .sgpr_count:     4
    .sgpr_spill_count: 0
    .symbol:         _ZN7rocprim17ROCPRIM_400000_NS6detail17trampoline_kernelINS0_14default_configENS1_35radix_sort_onesweep_config_selectorIilEEZZNS1_29radix_sort_onesweep_iterationIS3_Lb0EPiS7_N6thrust23THRUST_200600_302600_NS10device_ptrIlEESB_jNS0_19identity_decomposerENS1_16block_id_wrapperIjLb0EEEEE10hipError_tT1_PNSt15iterator_traitsISG_E10value_typeET2_T3_PNSH_ISM_E10value_typeET4_T5_PSR_SS_PNS1_23onesweep_lookback_stateEbbT6_jjT7_P12ihipStream_tbENKUlT_T0_SG_SL_E_clIS7_S7_SB_PlEEDaSZ_S10_SG_SL_EUlSZ_E_NS1_11comp_targetILNS1_3genE8ELNS1_11target_archE1030ELNS1_3gpuE2ELNS1_3repE0EEENS1_47radix_sort_onesweep_sort_config_static_selectorELNS0_4arch9wavefront6targetE1EEEvSG_.kd
    .uniform_work_group_size: 1
    .uses_dynamic_stack: false
    .vgpr_count:     0
    .vgpr_spill_count: 0
    .wavefront_size: 64
  - .args:
      - .offset:         0
        .size:           88
        .value_kind:     by_value
    .group_segment_fixed_size: 0
    .kernarg_segment_align: 8
    .kernarg_segment_size: 88
    .language:       OpenCL C
    .language_version:
      - 2
      - 0
    .max_flat_workgroup_size: 512
    .name:           _ZN7rocprim17ROCPRIM_400000_NS6detail17trampoline_kernelINS0_14default_configENS1_35radix_sort_onesweep_config_selectorIilEEZZNS1_29radix_sort_onesweep_iterationIS3_Lb0EPiS7_N6thrust23THRUST_200600_302600_NS10device_ptrIlEESB_jNS0_19identity_decomposerENS1_16block_id_wrapperIjLb0EEEEE10hipError_tT1_PNSt15iterator_traitsISG_E10value_typeET2_T3_PNSH_ISM_E10value_typeET4_T5_PSR_SS_PNS1_23onesweep_lookback_stateEbbT6_jjT7_P12ihipStream_tbENKUlT_T0_SG_SL_E_clIS7_S7_PlSB_EEDaSZ_S10_SG_SL_EUlSZ_E_NS1_11comp_targetILNS1_3genE0ELNS1_11target_archE4294967295ELNS1_3gpuE0ELNS1_3repE0EEENS1_47radix_sort_onesweep_sort_config_static_selectorELNS0_4arch9wavefront6targetE1EEEvSG_
    .private_segment_fixed_size: 0
    .sgpr_count:     4
    .sgpr_spill_count: 0
    .symbol:         _ZN7rocprim17ROCPRIM_400000_NS6detail17trampoline_kernelINS0_14default_configENS1_35radix_sort_onesweep_config_selectorIilEEZZNS1_29radix_sort_onesweep_iterationIS3_Lb0EPiS7_N6thrust23THRUST_200600_302600_NS10device_ptrIlEESB_jNS0_19identity_decomposerENS1_16block_id_wrapperIjLb0EEEEE10hipError_tT1_PNSt15iterator_traitsISG_E10value_typeET2_T3_PNSH_ISM_E10value_typeET4_T5_PSR_SS_PNS1_23onesweep_lookback_stateEbbT6_jjT7_P12ihipStream_tbENKUlT_T0_SG_SL_E_clIS7_S7_PlSB_EEDaSZ_S10_SG_SL_EUlSZ_E_NS1_11comp_targetILNS1_3genE0ELNS1_11target_archE4294967295ELNS1_3gpuE0ELNS1_3repE0EEENS1_47radix_sort_onesweep_sort_config_static_selectorELNS0_4arch9wavefront6targetE1EEEvSG_.kd
    .uniform_work_group_size: 1
    .uses_dynamic_stack: false
    .vgpr_count:     0
    .vgpr_spill_count: 0
    .wavefront_size: 64
  - .args:
      - .offset:         0
        .size:           88
        .value_kind:     by_value
    .group_segment_fixed_size: 0
    .kernarg_segment_align: 8
    .kernarg_segment_size: 88
    .language:       OpenCL C
    .language_version:
      - 2
      - 0
    .max_flat_workgroup_size: 1024
    .name:           _ZN7rocprim17ROCPRIM_400000_NS6detail17trampoline_kernelINS0_14default_configENS1_35radix_sort_onesweep_config_selectorIilEEZZNS1_29radix_sort_onesweep_iterationIS3_Lb0EPiS7_N6thrust23THRUST_200600_302600_NS10device_ptrIlEESB_jNS0_19identity_decomposerENS1_16block_id_wrapperIjLb0EEEEE10hipError_tT1_PNSt15iterator_traitsISG_E10value_typeET2_T3_PNSH_ISM_E10value_typeET4_T5_PSR_SS_PNS1_23onesweep_lookback_stateEbbT6_jjT7_P12ihipStream_tbENKUlT_T0_SG_SL_E_clIS7_S7_PlSB_EEDaSZ_S10_SG_SL_EUlSZ_E_NS1_11comp_targetILNS1_3genE6ELNS1_11target_archE950ELNS1_3gpuE13ELNS1_3repE0EEENS1_47radix_sort_onesweep_sort_config_static_selectorELNS0_4arch9wavefront6targetE1EEEvSG_
    .private_segment_fixed_size: 0
    .sgpr_count:     4
    .sgpr_spill_count: 0
    .symbol:         _ZN7rocprim17ROCPRIM_400000_NS6detail17trampoline_kernelINS0_14default_configENS1_35radix_sort_onesweep_config_selectorIilEEZZNS1_29radix_sort_onesweep_iterationIS3_Lb0EPiS7_N6thrust23THRUST_200600_302600_NS10device_ptrIlEESB_jNS0_19identity_decomposerENS1_16block_id_wrapperIjLb0EEEEE10hipError_tT1_PNSt15iterator_traitsISG_E10value_typeET2_T3_PNSH_ISM_E10value_typeET4_T5_PSR_SS_PNS1_23onesweep_lookback_stateEbbT6_jjT7_P12ihipStream_tbENKUlT_T0_SG_SL_E_clIS7_S7_PlSB_EEDaSZ_S10_SG_SL_EUlSZ_E_NS1_11comp_targetILNS1_3genE6ELNS1_11target_archE950ELNS1_3gpuE13ELNS1_3repE0EEENS1_47radix_sort_onesweep_sort_config_static_selectorELNS0_4arch9wavefront6targetE1EEEvSG_.kd
    .uniform_work_group_size: 1
    .uses_dynamic_stack: false
    .vgpr_count:     0
    .vgpr_spill_count: 0
    .wavefront_size: 64
  - .args:
      - .offset:         0
        .size:           88
        .value_kind:     by_value
    .group_segment_fixed_size: 0
    .kernarg_segment_align: 8
    .kernarg_segment_size: 88
    .language:       OpenCL C
    .language_version:
      - 2
      - 0
    .max_flat_workgroup_size: 1024
    .name:           _ZN7rocprim17ROCPRIM_400000_NS6detail17trampoline_kernelINS0_14default_configENS1_35radix_sort_onesweep_config_selectorIilEEZZNS1_29radix_sort_onesweep_iterationIS3_Lb0EPiS7_N6thrust23THRUST_200600_302600_NS10device_ptrIlEESB_jNS0_19identity_decomposerENS1_16block_id_wrapperIjLb0EEEEE10hipError_tT1_PNSt15iterator_traitsISG_E10value_typeET2_T3_PNSH_ISM_E10value_typeET4_T5_PSR_SS_PNS1_23onesweep_lookback_stateEbbT6_jjT7_P12ihipStream_tbENKUlT_T0_SG_SL_E_clIS7_S7_PlSB_EEDaSZ_S10_SG_SL_EUlSZ_E_NS1_11comp_targetILNS1_3genE5ELNS1_11target_archE942ELNS1_3gpuE9ELNS1_3repE0EEENS1_47radix_sort_onesweep_sort_config_static_selectorELNS0_4arch9wavefront6targetE1EEEvSG_
    .private_segment_fixed_size: 0
    .sgpr_count:     4
    .sgpr_spill_count: 0
    .symbol:         _ZN7rocprim17ROCPRIM_400000_NS6detail17trampoline_kernelINS0_14default_configENS1_35radix_sort_onesweep_config_selectorIilEEZZNS1_29radix_sort_onesweep_iterationIS3_Lb0EPiS7_N6thrust23THRUST_200600_302600_NS10device_ptrIlEESB_jNS0_19identity_decomposerENS1_16block_id_wrapperIjLb0EEEEE10hipError_tT1_PNSt15iterator_traitsISG_E10value_typeET2_T3_PNSH_ISM_E10value_typeET4_T5_PSR_SS_PNS1_23onesweep_lookback_stateEbbT6_jjT7_P12ihipStream_tbENKUlT_T0_SG_SL_E_clIS7_S7_PlSB_EEDaSZ_S10_SG_SL_EUlSZ_E_NS1_11comp_targetILNS1_3genE5ELNS1_11target_archE942ELNS1_3gpuE9ELNS1_3repE0EEENS1_47radix_sort_onesweep_sort_config_static_selectorELNS0_4arch9wavefront6targetE1EEEvSG_.kd
    .uniform_work_group_size: 1
    .uses_dynamic_stack: false
    .vgpr_count:     0
    .vgpr_spill_count: 0
    .wavefront_size: 64
  - .args:
      - .offset:         0
        .size:           88
        .value_kind:     by_value
      - .offset:         88
        .size:           4
        .value_kind:     hidden_block_count_x
      - .offset:         92
        .size:           4
        .value_kind:     hidden_block_count_y
      - .offset:         96
        .size:           4
        .value_kind:     hidden_block_count_z
      - .offset:         100
        .size:           2
        .value_kind:     hidden_group_size_x
      - .offset:         102
        .size:           2
        .value_kind:     hidden_group_size_y
      - .offset:         104
        .size:           2
        .value_kind:     hidden_group_size_z
      - .offset:         106
        .size:           2
        .value_kind:     hidden_remainder_x
      - .offset:         108
        .size:           2
        .value_kind:     hidden_remainder_y
      - .offset:         110
        .size:           2
        .value_kind:     hidden_remainder_z
      - .offset:         128
        .size:           8
        .value_kind:     hidden_global_offset_x
      - .offset:         136
        .size:           8
        .value_kind:     hidden_global_offset_y
      - .offset:         144
        .size:           8
        .value_kind:     hidden_global_offset_z
      - .offset:         152
        .size:           2
        .value_kind:     hidden_grid_dims
    .group_segment_fixed_size: 10280
    .kernarg_segment_align: 8
    .kernarg_segment_size: 344
    .language:       OpenCL C
    .language_version:
      - 2
      - 0
    .max_flat_workgroup_size: 512
    .name:           _ZN7rocprim17ROCPRIM_400000_NS6detail17trampoline_kernelINS0_14default_configENS1_35radix_sort_onesweep_config_selectorIilEEZZNS1_29radix_sort_onesweep_iterationIS3_Lb0EPiS7_N6thrust23THRUST_200600_302600_NS10device_ptrIlEESB_jNS0_19identity_decomposerENS1_16block_id_wrapperIjLb0EEEEE10hipError_tT1_PNSt15iterator_traitsISG_E10value_typeET2_T3_PNSH_ISM_E10value_typeET4_T5_PSR_SS_PNS1_23onesweep_lookback_stateEbbT6_jjT7_P12ihipStream_tbENKUlT_T0_SG_SL_E_clIS7_S7_PlSB_EEDaSZ_S10_SG_SL_EUlSZ_E_NS1_11comp_targetILNS1_3genE2ELNS1_11target_archE906ELNS1_3gpuE6ELNS1_3repE0EEENS1_47radix_sort_onesweep_sort_config_static_selectorELNS0_4arch9wavefront6targetE1EEEvSG_
    .private_segment_fixed_size: 48
    .sgpr_count:     61
    .sgpr_spill_count: 0
    .symbol:         _ZN7rocprim17ROCPRIM_400000_NS6detail17trampoline_kernelINS0_14default_configENS1_35radix_sort_onesweep_config_selectorIilEEZZNS1_29radix_sort_onesweep_iterationIS3_Lb0EPiS7_N6thrust23THRUST_200600_302600_NS10device_ptrIlEESB_jNS0_19identity_decomposerENS1_16block_id_wrapperIjLb0EEEEE10hipError_tT1_PNSt15iterator_traitsISG_E10value_typeET2_T3_PNSH_ISM_E10value_typeET4_T5_PSR_SS_PNS1_23onesweep_lookback_stateEbbT6_jjT7_P12ihipStream_tbENKUlT_T0_SG_SL_E_clIS7_S7_PlSB_EEDaSZ_S10_SG_SL_EUlSZ_E_NS1_11comp_targetILNS1_3genE2ELNS1_11target_archE906ELNS1_3gpuE6ELNS1_3repE0EEENS1_47radix_sort_onesweep_sort_config_static_selectorELNS0_4arch9wavefront6targetE1EEEvSG_.kd
    .uniform_work_group_size: 1
    .uses_dynamic_stack: false
    .vgpr_count:     57
    .vgpr_spill_count: 0
    .wavefront_size: 64
  - .args:
      - .offset:         0
        .size:           88
        .value_kind:     by_value
    .group_segment_fixed_size: 0
    .kernarg_segment_align: 8
    .kernarg_segment_size: 88
    .language:       OpenCL C
    .language_version:
      - 2
      - 0
    .max_flat_workgroup_size: 512
    .name:           _ZN7rocprim17ROCPRIM_400000_NS6detail17trampoline_kernelINS0_14default_configENS1_35radix_sort_onesweep_config_selectorIilEEZZNS1_29radix_sort_onesweep_iterationIS3_Lb0EPiS7_N6thrust23THRUST_200600_302600_NS10device_ptrIlEESB_jNS0_19identity_decomposerENS1_16block_id_wrapperIjLb0EEEEE10hipError_tT1_PNSt15iterator_traitsISG_E10value_typeET2_T3_PNSH_ISM_E10value_typeET4_T5_PSR_SS_PNS1_23onesweep_lookback_stateEbbT6_jjT7_P12ihipStream_tbENKUlT_T0_SG_SL_E_clIS7_S7_PlSB_EEDaSZ_S10_SG_SL_EUlSZ_E_NS1_11comp_targetILNS1_3genE4ELNS1_11target_archE910ELNS1_3gpuE8ELNS1_3repE0EEENS1_47radix_sort_onesweep_sort_config_static_selectorELNS0_4arch9wavefront6targetE1EEEvSG_
    .private_segment_fixed_size: 0
    .sgpr_count:     4
    .sgpr_spill_count: 0
    .symbol:         _ZN7rocprim17ROCPRIM_400000_NS6detail17trampoline_kernelINS0_14default_configENS1_35radix_sort_onesweep_config_selectorIilEEZZNS1_29radix_sort_onesweep_iterationIS3_Lb0EPiS7_N6thrust23THRUST_200600_302600_NS10device_ptrIlEESB_jNS0_19identity_decomposerENS1_16block_id_wrapperIjLb0EEEEE10hipError_tT1_PNSt15iterator_traitsISG_E10value_typeET2_T3_PNSH_ISM_E10value_typeET4_T5_PSR_SS_PNS1_23onesweep_lookback_stateEbbT6_jjT7_P12ihipStream_tbENKUlT_T0_SG_SL_E_clIS7_S7_PlSB_EEDaSZ_S10_SG_SL_EUlSZ_E_NS1_11comp_targetILNS1_3genE4ELNS1_11target_archE910ELNS1_3gpuE8ELNS1_3repE0EEENS1_47radix_sort_onesweep_sort_config_static_selectorELNS0_4arch9wavefront6targetE1EEEvSG_.kd
    .uniform_work_group_size: 1
    .uses_dynamic_stack: false
    .vgpr_count:     0
    .vgpr_spill_count: 0
    .wavefront_size: 64
  - .args:
      - .offset:         0
        .size:           88
        .value_kind:     by_value
    .group_segment_fixed_size: 0
    .kernarg_segment_align: 8
    .kernarg_segment_size: 88
    .language:       OpenCL C
    .language_version:
      - 2
      - 0
    .max_flat_workgroup_size: 512
    .name:           _ZN7rocprim17ROCPRIM_400000_NS6detail17trampoline_kernelINS0_14default_configENS1_35radix_sort_onesweep_config_selectorIilEEZZNS1_29radix_sort_onesweep_iterationIS3_Lb0EPiS7_N6thrust23THRUST_200600_302600_NS10device_ptrIlEESB_jNS0_19identity_decomposerENS1_16block_id_wrapperIjLb0EEEEE10hipError_tT1_PNSt15iterator_traitsISG_E10value_typeET2_T3_PNSH_ISM_E10value_typeET4_T5_PSR_SS_PNS1_23onesweep_lookback_stateEbbT6_jjT7_P12ihipStream_tbENKUlT_T0_SG_SL_E_clIS7_S7_PlSB_EEDaSZ_S10_SG_SL_EUlSZ_E_NS1_11comp_targetILNS1_3genE3ELNS1_11target_archE908ELNS1_3gpuE7ELNS1_3repE0EEENS1_47radix_sort_onesweep_sort_config_static_selectorELNS0_4arch9wavefront6targetE1EEEvSG_
    .private_segment_fixed_size: 0
    .sgpr_count:     4
    .sgpr_spill_count: 0
    .symbol:         _ZN7rocprim17ROCPRIM_400000_NS6detail17trampoline_kernelINS0_14default_configENS1_35radix_sort_onesweep_config_selectorIilEEZZNS1_29radix_sort_onesweep_iterationIS3_Lb0EPiS7_N6thrust23THRUST_200600_302600_NS10device_ptrIlEESB_jNS0_19identity_decomposerENS1_16block_id_wrapperIjLb0EEEEE10hipError_tT1_PNSt15iterator_traitsISG_E10value_typeET2_T3_PNSH_ISM_E10value_typeET4_T5_PSR_SS_PNS1_23onesweep_lookback_stateEbbT6_jjT7_P12ihipStream_tbENKUlT_T0_SG_SL_E_clIS7_S7_PlSB_EEDaSZ_S10_SG_SL_EUlSZ_E_NS1_11comp_targetILNS1_3genE3ELNS1_11target_archE908ELNS1_3gpuE7ELNS1_3repE0EEENS1_47radix_sort_onesweep_sort_config_static_selectorELNS0_4arch9wavefront6targetE1EEEvSG_.kd
    .uniform_work_group_size: 1
    .uses_dynamic_stack: false
    .vgpr_count:     0
    .vgpr_spill_count: 0
    .wavefront_size: 64
  - .args:
      - .offset:         0
        .size:           88
        .value_kind:     by_value
    .group_segment_fixed_size: 0
    .kernarg_segment_align: 8
    .kernarg_segment_size: 88
    .language:       OpenCL C
    .language_version:
      - 2
      - 0
    .max_flat_workgroup_size: 1024
    .name:           _ZN7rocprim17ROCPRIM_400000_NS6detail17trampoline_kernelINS0_14default_configENS1_35radix_sort_onesweep_config_selectorIilEEZZNS1_29radix_sort_onesweep_iterationIS3_Lb0EPiS7_N6thrust23THRUST_200600_302600_NS10device_ptrIlEESB_jNS0_19identity_decomposerENS1_16block_id_wrapperIjLb0EEEEE10hipError_tT1_PNSt15iterator_traitsISG_E10value_typeET2_T3_PNSH_ISM_E10value_typeET4_T5_PSR_SS_PNS1_23onesweep_lookback_stateEbbT6_jjT7_P12ihipStream_tbENKUlT_T0_SG_SL_E_clIS7_S7_PlSB_EEDaSZ_S10_SG_SL_EUlSZ_E_NS1_11comp_targetILNS1_3genE10ELNS1_11target_archE1201ELNS1_3gpuE5ELNS1_3repE0EEENS1_47radix_sort_onesweep_sort_config_static_selectorELNS0_4arch9wavefront6targetE1EEEvSG_
    .private_segment_fixed_size: 0
    .sgpr_count:     4
    .sgpr_spill_count: 0
    .symbol:         _ZN7rocprim17ROCPRIM_400000_NS6detail17trampoline_kernelINS0_14default_configENS1_35radix_sort_onesweep_config_selectorIilEEZZNS1_29radix_sort_onesweep_iterationIS3_Lb0EPiS7_N6thrust23THRUST_200600_302600_NS10device_ptrIlEESB_jNS0_19identity_decomposerENS1_16block_id_wrapperIjLb0EEEEE10hipError_tT1_PNSt15iterator_traitsISG_E10value_typeET2_T3_PNSH_ISM_E10value_typeET4_T5_PSR_SS_PNS1_23onesweep_lookback_stateEbbT6_jjT7_P12ihipStream_tbENKUlT_T0_SG_SL_E_clIS7_S7_PlSB_EEDaSZ_S10_SG_SL_EUlSZ_E_NS1_11comp_targetILNS1_3genE10ELNS1_11target_archE1201ELNS1_3gpuE5ELNS1_3repE0EEENS1_47radix_sort_onesweep_sort_config_static_selectorELNS0_4arch9wavefront6targetE1EEEvSG_.kd
    .uniform_work_group_size: 1
    .uses_dynamic_stack: false
    .vgpr_count:     0
    .vgpr_spill_count: 0
    .wavefront_size: 64
  - .args:
      - .offset:         0
        .size:           88
        .value_kind:     by_value
    .group_segment_fixed_size: 0
    .kernarg_segment_align: 8
    .kernarg_segment_size: 88
    .language:       OpenCL C
    .language_version:
      - 2
      - 0
    .max_flat_workgroup_size: 1024
    .name:           _ZN7rocprim17ROCPRIM_400000_NS6detail17trampoline_kernelINS0_14default_configENS1_35radix_sort_onesweep_config_selectorIilEEZZNS1_29radix_sort_onesweep_iterationIS3_Lb0EPiS7_N6thrust23THRUST_200600_302600_NS10device_ptrIlEESB_jNS0_19identity_decomposerENS1_16block_id_wrapperIjLb0EEEEE10hipError_tT1_PNSt15iterator_traitsISG_E10value_typeET2_T3_PNSH_ISM_E10value_typeET4_T5_PSR_SS_PNS1_23onesweep_lookback_stateEbbT6_jjT7_P12ihipStream_tbENKUlT_T0_SG_SL_E_clIS7_S7_PlSB_EEDaSZ_S10_SG_SL_EUlSZ_E_NS1_11comp_targetILNS1_3genE9ELNS1_11target_archE1100ELNS1_3gpuE3ELNS1_3repE0EEENS1_47radix_sort_onesweep_sort_config_static_selectorELNS0_4arch9wavefront6targetE1EEEvSG_
    .private_segment_fixed_size: 0
    .sgpr_count:     4
    .sgpr_spill_count: 0
    .symbol:         _ZN7rocprim17ROCPRIM_400000_NS6detail17trampoline_kernelINS0_14default_configENS1_35radix_sort_onesweep_config_selectorIilEEZZNS1_29radix_sort_onesweep_iterationIS3_Lb0EPiS7_N6thrust23THRUST_200600_302600_NS10device_ptrIlEESB_jNS0_19identity_decomposerENS1_16block_id_wrapperIjLb0EEEEE10hipError_tT1_PNSt15iterator_traitsISG_E10value_typeET2_T3_PNSH_ISM_E10value_typeET4_T5_PSR_SS_PNS1_23onesweep_lookback_stateEbbT6_jjT7_P12ihipStream_tbENKUlT_T0_SG_SL_E_clIS7_S7_PlSB_EEDaSZ_S10_SG_SL_EUlSZ_E_NS1_11comp_targetILNS1_3genE9ELNS1_11target_archE1100ELNS1_3gpuE3ELNS1_3repE0EEENS1_47radix_sort_onesweep_sort_config_static_selectorELNS0_4arch9wavefront6targetE1EEEvSG_.kd
    .uniform_work_group_size: 1
    .uses_dynamic_stack: false
    .vgpr_count:     0
    .vgpr_spill_count: 0
    .wavefront_size: 64
  - .args:
      - .offset:         0
        .size:           88
        .value_kind:     by_value
    .group_segment_fixed_size: 0
    .kernarg_segment_align: 8
    .kernarg_segment_size: 88
    .language:       OpenCL C
    .language_version:
      - 2
      - 0
    .max_flat_workgroup_size: 1024
    .name:           _ZN7rocprim17ROCPRIM_400000_NS6detail17trampoline_kernelINS0_14default_configENS1_35radix_sort_onesweep_config_selectorIilEEZZNS1_29radix_sort_onesweep_iterationIS3_Lb0EPiS7_N6thrust23THRUST_200600_302600_NS10device_ptrIlEESB_jNS0_19identity_decomposerENS1_16block_id_wrapperIjLb0EEEEE10hipError_tT1_PNSt15iterator_traitsISG_E10value_typeET2_T3_PNSH_ISM_E10value_typeET4_T5_PSR_SS_PNS1_23onesweep_lookback_stateEbbT6_jjT7_P12ihipStream_tbENKUlT_T0_SG_SL_E_clIS7_S7_PlSB_EEDaSZ_S10_SG_SL_EUlSZ_E_NS1_11comp_targetILNS1_3genE8ELNS1_11target_archE1030ELNS1_3gpuE2ELNS1_3repE0EEENS1_47radix_sort_onesweep_sort_config_static_selectorELNS0_4arch9wavefront6targetE1EEEvSG_
    .private_segment_fixed_size: 0
    .sgpr_count:     4
    .sgpr_spill_count: 0
    .symbol:         _ZN7rocprim17ROCPRIM_400000_NS6detail17trampoline_kernelINS0_14default_configENS1_35radix_sort_onesweep_config_selectorIilEEZZNS1_29radix_sort_onesweep_iterationIS3_Lb0EPiS7_N6thrust23THRUST_200600_302600_NS10device_ptrIlEESB_jNS0_19identity_decomposerENS1_16block_id_wrapperIjLb0EEEEE10hipError_tT1_PNSt15iterator_traitsISG_E10value_typeET2_T3_PNSH_ISM_E10value_typeET4_T5_PSR_SS_PNS1_23onesweep_lookback_stateEbbT6_jjT7_P12ihipStream_tbENKUlT_T0_SG_SL_E_clIS7_S7_PlSB_EEDaSZ_S10_SG_SL_EUlSZ_E_NS1_11comp_targetILNS1_3genE8ELNS1_11target_archE1030ELNS1_3gpuE2ELNS1_3repE0EEENS1_47radix_sort_onesweep_sort_config_static_selectorELNS0_4arch9wavefront6targetE1EEEvSG_.kd
    .uniform_work_group_size: 1
    .uses_dynamic_stack: false
    .vgpr_count:     0
    .vgpr_spill_count: 0
    .wavefront_size: 64
  - .args:
      - .offset:         0
        .size:           72
        .value_kind:     by_value
    .group_segment_fixed_size: 0
    .kernarg_segment_align: 8
    .kernarg_segment_size: 72
    .language:       OpenCL C
    .language_version:
      - 2
      - 0
    .max_flat_workgroup_size: 256
    .name:           _ZN7rocprim17ROCPRIM_400000_NS6detail17trampoline_kernelINS0_14default_configENS1_22reduce_config_selectorIiEEZNS1_11reduce_implILb1ES3_N6thrust23THRUST_200600_302600_NS11hip_rocprim35transform_pair_of_input_iterators_tIiPiSB_NS8_12not_equal_toIiEEEESB_iNS8_4plusIiEEEE10hipError_tPvRmT1_T2_T3_mT4_P12ihipStream_tbEUlT_E0_NS1_11comp_targetILNS1_3genE0ELNS1_11target_archE4294967295ELNS1_3gpuE0ELNS1_3repE0EEENS1_30default_config_static_selectorELNS0_4arch9wavefront6targetE1EEEvSK_
    .private_segment_fixed_size: 0
    .sgpr_count:     4
    .sgpr_spill_count: 0
    .symbol:         _ZN7rocprim17ROCPRIM_400000_NS6detail17trampoline_kernelINS0_14default_configENS1_22reduce_config_selectorIiEEZNS1_11reduce_implILb1ES3_N6thrust23THRUST_200600_302600_NS11hip_rocprim35transform_pair_of_input_iterators_tIiPiSB_NS8_12not_equal_toIiEEEESB_iNS8_4plusIiEEEE10hipError_tPvRmT1_T2_T3_mT4_P12ihipStream_tbEUlT_E0_NS1_11comp_targetILNS1_3genE0ELNS1_11target_archE4294967295ELNS1_3gpuE0ELNS1_3repE0EEENS1_30default_config_static_selectorELNS0_4arch9wavefront6targetE1EEEvSK_.kd
    .uniform_work_group_size: 1
    .uses_dynamic_stack: false
    .vgpr_count:     0
    .vgpr_spill_count: 0
    .wavefront_size: 64
  - .args:
      - .offset:         0
        .size:           72
        .value_kind:     by_value
    .group_segment_fixed_size: 0
    .kernarg_segment_align: 8
    .kernarg_segment_size: 72
    .language:       OpenCL C
    .language_version:
      - 2
      - 0
    .max_flat_workgroup_size: 256
    .name:           _ZN7rocprim17ROCPRIM_400000_NS6detail17trampoline_kernelINS0_14default_configENS1_22reduce_config_selectorIiEEZNS1_11reduce_implILb1ES3_N6thrust23THRUST_200600_302600_NS11hip_rocprim35transform_pair_of_input_iterators_tIiPiSB_NS8_12not_equal_toIiEEEESB_iNS8_4plusIiEEEE10hipError_tPvRmT1_T2_T3_mT4_P12ihipStream_tbEUlT_E0_NS1_11comp_targetILNS1_3genE5ELNS1_11target_archE942ELNS1_3gpuE9ELNS1_3repE0EEENS1_30default_config_static_selectorELNS0_4arch9wavefront6targetE1EEEvSK_
    .private_segment_fixed_size: 0
    .sgpr_count:     4
    .sgpr_spill_count: 0
    .symbol:         _ZN7rocprim17ROCPRIM_400000_NS6detail17trampoline_kernelINS0_14default_configENS1_22reduce_config_selectorIiEEZNS1_11reduce_implILb1ES3_N6thrust23THRUST_200600_302600_NS11hip_rocprim35transform_pair_of_input_iterators_tIiPiSB_NS8_12not_equal_toIiEEEESB_iNS8_4plusIiEEEE10hipError_tPvRmT1_T2_T3_mT4_P12ihipStream_tbEUlT_E0_NS1_11comp_targetILNS1_3genE5ELNS1_11target_archE942ELNS1_3gpuE9ELNS1_3repE0EEENS1_30default_config_static_selectorELNS0_4arch9wavefront6targetE1EEEvSK_.kd
    .uniform_work_group_size: 1
    .uses_dynamic_stack: false
    .vgpr_count:     0
    .vgpr_spill_count: 0
    .wavefront_size: 64
  - .args:
      - .offset:         0
        .size:           72
        .value_kind:     by_value
    .group_segment_fixed_size: 0
    .kernarg_segment_align: 8
    .kernarg_segment_size: 72
    .language:       OpenCL C
    .language_version:
      - 2
      - 0
    .max_flat_workgroup_size: 128
    .name:           _ZN7rocprim17ROCPRIM_400000_NS6detail17trampoline_kernelINS0_14default_configENS1_22reduce_config_selectorIiEEZNS1_11reduce_implILb1ES3_N6thrust23THRUST_200600_302600_NS11hip_rocprim35transform_pair_of_input_iterators_tIiPiSB_NS8_12not_equal_toIiEEEESB_iNS8_4plusIiEEEE10hipError_tPvRmT1_T2_T3_mT4_P12ihipStream_tbEUlT_E0_NS1_11comp_targetILNS1_3genE4ELNS1_11target_archE910ELNS1_3gpuE8ELNS1_3repE0EEENS1_30default_config_static_selectorELNS0_4arch9wavefront6targetE1EEEvSK_
    .private_segment_fixed_size: 0
    .sgpr_count:     4
    .sgpr_spill_count: 0
    .symbol:         _ZN7rocprim17ROCPRIM_400000_NS6detail17trampoline_kernelINS0_14default_configENS1_22reduce_config_selectorIiEEZNS1_11reduce_implILb1ES3_N6thrust23THRUST_200600_302600_NS11hip_rocprim35transform_pair_of_input_iterators_tIiPiSB_NS8_12not_equal_toIiEEEESB_iNS8_4plusIiEEEE10hipError_tPvRmT1_T2_T3_mT4_P12ihipStream_tbEUlT_E0_NS1_11comp_targetILNS1_3genE4ELNS1_11target_archE910ELNS1_3gpuE8ELNS1_3repE0EEENS1_30default_config_static_selectorELNS0_4arch9wavefront6targetE1EEEvSK_.kd
    .uniform_work_group_size: 1
    .uses_dynamic_stack: false
    .vgpr_count:     0
    .vgpr_spill_count: 0
    .wavefront_size: 64
  - .args:
      - .offset:         0
        .size:           72
        .value_kind:     by_value
    .group_segment_fixed_size: 0
    .kernarg_segment_align: 8
    .kernarg_segment_size: 72
    .language:       OpenCL C
    .language_version:
      - 2
      - 0
    .max_flat_workgroup_size: 256
    .name:           _ZN7rocprim17ROCPRIM_400000_NS6detail17trampoline_kernelINS0_14default_configENS1_22reduce_config_selectorIiEEZNS1_11reduce_implILb1ES3_N6thrust23THRUST_200600_302600_NS11hip_rocprim35transform_pair_of_input_iterators_tIiPiSB_NS8_12not_equal_toIiEEEESB_iNS8_4plusIiEEEE10hipError_tPvRmT1_T2_T3_mT4_P12ihipStream_tbEUlT_E0_NS1_11comp_targetILNS1_3genE3ELNS1_11target_archE908ELNS1_3gpuE7ELNS1_3repE0EEENS1_30default_config_static_selectorELNS0_4arch9wavefront6targetE1EEEvSK_
    .private_segment_fixed_size: 0
    .sgpr_count:     4
    .sgpr_spill_count: 0
    .symbol:         _ZN7rocprim17ROCPRIM_400000_NS6detail17trampoline_kernelINS0_14default_configENS1_22reduce_config_selectorIiEEZNS1_11reduce_implILb1ES3_N6thrust23THRUST_200600_302600_NS11hip_rocprim35transform_pair_of_input_iterators_tIiPiSB_NS8_12not_equal_toIiEEEESB_iNS8_4plusIiEEEE10hipError_tPvRmT1_T2_T3_mT4_P12ihipStream_tbEUlT_E0_NS1_11comp_targetILNS1_3genE3ELNS1_11target_archE908ELNS1_3gpuE7ELNS1_3repE0EEENS1_30default_config_static_selectorELNS0_4arch9wavefront6targetE1EEEvSK_.kd
    .uniform_work_group_size: 1
    .uses_dynamic_stack: false
    .vgpr_count:     0
    .vgpr_spill_count: 0
    .wavefront_size: 64
  - .args:
      - .offset:         0
        .size:           72
        .value_kind:     by_value
    .group_segment_fixed_size: 32
    .kernarg_segment_align: 8
    .kernarg_segment_size: 72
    .language:       OpenCL C
    .language_version:
      - 2
      - 0
    .max_flat_workgroup_size: 256
    .name:           _ZN7rocprim17ROCPRIM_400000_NS6detail17trampoline_kernelINS0_14default_configENS1_22reduce_config_selectorIiEEZNS1_11reduce_implILb1ES3_N6thrust23THRUST_200600_302600_NS11hip_rocprim35transform_pair_of_input_iterators_tIiPiSB_NS8_12not_equal_toIiEEEESB_iNS8_4plusIiEEEE10hipError_tPvRmT1_T2_T3_mT4_P12ihipStream_tbEUlT_E0_NS1_11comp_targetILNS1_3genE2ELNS1_11target_archE906ELNS1_3gpuE6ELNS1_3repE0EEENS1_30default_config_static_selectorELNS0_4arch9wavefront6targetE1EEEvSK_
    .private_segment_fixed_size: 0
    .sgpr_count:     28
    .sgpr_spill_count: 0
    .symbol:         _ZN7rocprim17ROCPRIM_400000_NS6detail17trampoline_kernelINS0_14default_configENS1_22reduce_config_selectorIiEEZNS1_11reduce_implILb1ES3_N6thrust23THRUST_200600_302600_NS11hip_rocprim35transform_pair_of_input_iterators_tIiPiSB_NS8_12not_equal_toIiEEEESB_iNS8_4plusIiEEEE10hipError_tPvRmT1_T2_T3_mT4_P12ihipStream_tbEUlT_E0_NS1_11comp_targetILNS1_3genE2ELNS1_11target_archE906ELNS1_3gpuE6ELNS1_3repE0EEENS1_30default_config_static_selectorELNS0_4arch9wavefront6targetE1EEEvSK_.kd
    .uniform_work_group_size: 1
    .uses_dynamic_stack: false
    .vgpr_count:     13
    .vgpr_spill_count: 0
    .wavefront_size: 64
  - .args:
      - .offset:         0
        .size:           72
        .value_kind:     by_value
    .group_segment_fixed_size: 0
    .kernarg_segment_align: 8
    .kernarg_segment_size: 72
    .language:       OpenCL C
    .language_version:
      - 2
      - 0
    .max_flat_workgroup_size: 256
    .name:           _ZN7rocprim17ROCPRIM_400000_NS6detail17trampoline_kernelINS0_14default_configENS1_22reduce_config_selectorIiEEZNS1_11reduce_implILb1ES3_N6thrust23THRUST_200600_302600_NS11hip_rocprim35transform_pair_of_input_iterators_tIiPiSB_NS8_12not_equal_toIiEEEESB_iNS8_4plusIiEEEE10hipError_tPvRmT1_T2_T3_mT4_P12ihipStream_tbEUlT_E0_NS1_11comp_targetILNS1_3genE10ELNS1_11target_archE1201ELNS1_3gpuE5ELNS1_3repE0EEENS1_30default_config_static_selectorELNS0_4arch9wavefront6targetE1EEEvSK_
    .private_segment_fixed_size: 0
    .sgpr_count:     4
    .sgpr_spill_count: 0
    .symbol:         _ZN7rocprim17ROCPRIM_400000_NS6detail17trampoline_kernelINS0_14default_configENS1_22reduce_config_selectorIiEEZNS1_11reduce_implILb1ES3_N6thrust23THRUST_200600_302600_NS11hip_rocprim35transform_pair_of_input_iterators_tIiPiSB_NS8_12not_equal_toIiEEEESB_iNS8_4plusIiEEEE10hipError_tPvRmT1_T2_T3_mT4_P12ihipStream_tbEUlT_E0_NS1_11comp_targetILNS1_3genE10ELNS1_11target_archE1201ELNS1_3gpuE5ELNS1_3repE0EEENS1_30default_config_static_selectorELNS0_4arch9wavefront6targetE1EEEvSK_.kd
    .uniform_work_group_size: 1
    .uses_dynamic_stack: false
    .vgpr_count:     0
    .vgpr_spill_count: 0
    .wavefront_size: 64
  - .args:
      - .offset:         0
        .size:           72
        .value_kind:     by_value
    .group_segment_fixed_size: 0
    .kernarg_segment_align: 8
    .kernarg_segment_size: 72
    .language:       OpenCL C
    .language_version:
      - 2
      - 0
    .max_flat_workgroup_size: 256
    .name:           _ZN7rocprim17ROCPRIM_400000_NS6detail17trampoline_kernelINS0_14default_configENS1_22reduce_config_selectorIiEEZNS1_11reduce_implILb1ES3_N6thrust23THRUST_200600_302600_NS11hip_rocprim35transform_pair_of_input_iterators_tIiPiSB_NS8_12not_equal_toIiEEEESB_iNS8_4plusIiEEEE10hipError_tPvRmT1_T2_T3_mT4_P12ihipStream_tbEUlT_E0_NS1_11comp_targetILNS1_3genE10ELNS1_11target_archE1200ELNS1_3gpuE4ELNS1_3repE0EEENS1_30default_config_static_selectorELNS0_4arch9wavefront6targetE1EEEvSK_
    .private_segment_fixed_size: 0
    .sgpr_count:     4
    .sgpr_spill_count: 0
    .symbol:         _ZN7rocprim17ROCPRIM_400000_NS6detail17trampoline_kernelINS0_14default_configENS1_22reduce_config_selectorIiEEZNS1_11reduce_implILb1ES3_N6thrust23THRUST_200600_302600_NS11hip_rocprim35transform_pair_of_input_iterators_tIiPiSB_NS8_12not_equal_toIiEEEESB_iNS8_4plusIiEEEE10hipError_tPvRmT1_T2_T3_mT4_P12ihipStream_tbEUlT_E0_NS1_11comp_targetILNS1_3genE10ELNS1_11target_archE1200ELNS1_3gpuE4ELNS1_3repE0EEENS1_30default_config_static_selectorELNS0_4arch9wavefront6targetE1EEEvSK_.kd
    .uniform_work_group_size: 1
    .uses_dynamic_stack: false
    .vgpr_count:     0
    .vgpr_spill_count: 0
    .wavefront_size: 64
  - .args:
      - .offset:         0
        .size:           72
        .value_kind:     by_value
    .group_segment_fixed_size: 0
    .kernarg_segment_align: 8
    .kernarg_segment_size: 72
    .language:       OpenCL C
    .language_version:
      - 2
      - 0
    .max_flat_workgroup_size: 256
    .name:           _ZN7rocprim17ROCPRIM_400000_NS6detail17trampoline_kernelINS0_14default_configENS1_22reduce_config_selectorIiEEZNS1_11reduce_implILb1ES3_N6thrust23THRUST_200600_302600_NS11hip_rocprim35transform_pair_of_input_iterators_tIiPiSB_NS8_12not_equal_toIiEEEESB_iNS8_4plusIiEEEE10hipError_tPvRmT1_T2_T3_mT4_P12ihipStream_tbEUlT_E0_NS1_11comp_targetILNS1_3genE9ELNS1_11target_archE1100ELNS1_3gpuE3ELNS1_3repE0EEENS1_30default_config_static_selectorELNS0_4arch9wavefront6targetE1EEEvSK_
    .private_segment_fixed_size: 0
    .sgpr_count:     4
    .sgpr_spill_count: 0
    .symbol:         _ZN7rocprim17ROCPRIM_400000_NS6detail17trampoline_kernelINS0_14default_configENS1_22reduce_config_selectorIiEEZNS1_11reduce_implILb1ES3_N6thrust23THRUST_200600_302600_NS11hip_rocprim35transform_pair_of_input_iterators_tIiPiSB_NS8_12not_equal_toIiEEEESB_iNS8_4plusIiEEEE10hipError_tPvRmT1_T2_T3_mT4_P12ihipStream_tbEUlT_E0_NS1_11comp_targetILNS1_3genE9ELNS1_11target_archE1100ELNS1_3gpuE3ELNS1_3repE0EEENS1_30default_config_static_selectorELNS0_4arch9wavefront6targetE1EEEvSK_.kd
    .uniform_work_group_size: 1
    .uses_dynamic_stack: false
    .vgpr_count:     0
    .vgpr_spill_count: 0
    .wavefront_size: 64
  - .args:
      - .offset:         0
        .size:           72
        .value_kind:     by_value
    .group_segment_fixed_size: 0
    .kernarg_segment_align: 8
    .kernarg_segment_size: 72
    .language:       OpenCL C
    .language_version:
      - 2
      - 0
    .max_flat_workgroup_size: 256
    .name:           _ZN7rocprim17ROCPRIM_400000_NS6detail17trampoline_kernelINS0_14default_configENS1_22reduce_config_selectorIiEEZNS1_11reduce_implILb1ES3_N6thrust23THRUST_200600_302600_NS11hip_rocprim35transform_pair_of_input_iterators_tIiPiSB_NS8_12not_equal_toIiEEEESB_iNS8_4plusIiEEEE10hipError_tPvRmT1_T2_T3_mT4_P12ihipStream_tbEUlT_E0_NS1_11comp_targetILNS1_3genE8ELNS1_11target_archE1030ELNS1_3gpuE2ELNS1_3repE0EEENS1_30default_config_static_selectorELNS0_4arch9wavefront6targetE1EEEvSK_
    .private_segment_fixed_size: 0
    .sgpr_count:     4
    .sgpr_spill_count: 0
    .symbol:         _ZN7rocprim17ROCPRIM_400000_NS6detail17trampoline_kernelINS0_14default_configENS1_22reduce_config_selectorIiEEZNS1_11reduce_implILb1ES3_N6thrust23THRUST_200600_302600_NS11hip_rocprim35transform_pair_of_input_iterators_tIiPiSB_NS8_12not_equal_toIiEEEESB_iNS8_4plusIiEEEE10hipError_tPvRmT1_T2_T3_mT4_P12ihipStream_tbEUlT_E0_NS1_11comp_targetILNS1_3genE8ELNS1_11target_archE1030ELNS1_3gpuE2ELNS1_3repE0EEENS1_30default_config_static_selectorELNS0_4arch9wavefront6targetE1EEEvSK_.kd
    .uniform_work_group_size: 1
    .uses_dynamic_stack: false
    .vgpr_count:     0
    .vgpr_spill_count: 0
    .wavefront_size: 64
  - .args:
      - .offset:         0
        .size:           56
        .value_kind:     by_value
    .group_segment_fixed_size: 0
    .kernarg_segment_align: 8
    .kernarg_segment_size: 56
    .language:       OpenCL C
    .language_version:
      - 2
      - 0
    .max_flat_workgroup_size: 256
    .name:           _ZN7rocprim17ROCPRIM_400000_NS6detail17trampoline_kernelINS0_14default_configENS1_22reduce_config_selectorIiEEZNS1_11reduce_implILb1ES3_N6thrust23THRUST_200600_302600_NS11hip_rocprim35transform_pair_of_input_iterators_tIiPiSB_NS8_12not_equal_toIiEEEESB_iNS8_4plusIiEEEE10hipError_tPvRmT1_T2_T3_mT4_P12ihipStream_tbEUlT_E1_NS1_11comp_targetILNS1_3genE0ELNS1_11target_archE4294967295ELNS1_3gpuE0ELNS1_3repE0EEENS1_30default_config_static_selectorELNS0_4arch9wavefront6targetE1EEEvSK_
    .private_segment_fixed_size: 0
    .sgpr_count:     4
    .sgpr_spill_count: 0
    .symbol:         _ZN7rocprim17ROCPRIM_400000_NS6detail17trampoline_kernelINS0_14default_configENS1_22reduce_config_selectorIiEEZNS1_11reduce_implILb1ES3_N6thrust23THRUST_200600_302600_NS11hip_rocprim35transform_pair_of_input_iterators_tIiPiSB_NS8_12not_equal_toIiEEEESB_iNS8_4plusIiEEEE10hipError_tPvRmT1_T2_T3_mT4_P12ihipStream_tbEUlT_E1_NS1_11comp_targetILNS1_3genE0ELNS1_11target_archE4294967295ELNS1_3gpuE0ELNS1_3repE0EEENS1_30default_config_static_selectorELNS0_4arch9wavefront6targetE1EEEvSK_.kd
    .uniform_work_group_size: 1
    .uses_dynamic_stack: false
    .vgpr_count:     0
    .vgpr_spill_count: 0
    .wavefront_size: 64
  - .args:
      - .offset:         0
        .size:           56
        .value_kind:     by_value
    .group_segment_fixed_size: 0
    .kernarg_segment_align: 8
    .kernarg_segment_size: 56
    .language:       OpenCL C
    .language_version:
      - 2
      - 0
    .max_flat_workgroup_size: 256
    .name:           _ZN7rocprim17ROCPRIM_400000_NS6detail17trampoline_kernelINS0_14default_configENS1_22reduce_config_selectorIiEEZNS1_11reduce_implILb1ES3_N6thrust23THRUST_200600_302600_NS11hip_rocprim35transform_pair_of_input_iterators_tIiPiSB_NS8_12not_equal_toIiEEEESB_iNS8_4plusIiEEEE10hipError_tPvRmT1_T2_T3_mT4_P12ihipStream_tbEUlT_E1_NS1_11comp_targetILNS1_3genE5ELNS1_11target_archE942ELNS1_3gpuE9ELNS1_3repE0EEENS1_30default_config_static_selectorELNS0_4arch9wavefront6targetE1EEEvSK_
    .private_segment_fixed_size: 0
    .sgpr_count:     4
    .sgpr_spill_count: 0
    .symbol:         _ZN7rocprim17ROCPRIM_400000_NS6detail17trampoline_kernelINS0_14default_configENS1_22reduce_config_selectorIiEEZNS1_11reduce_implILb1ES3_N6thrust23THRUST_200600_302600_NS11hip_rocprim35transform_pair_of_input_iterators_tIiPiSB_NS8_12not_equal_toIiEEEESB_iNS8_4plusIiEEEE10hipError_tPvRmT1_T2_T3_mT4_P12ihipStream_tbEUlT_E1_NS1_11comp_targetILNS1_3genE5ELNS1_11target_archE942ELNS1_3gpuE9ELNS1_3repE0EEENS1_30default_config_static_selectorELNS0_4arch9wavefront6targetE1EEEvSK_.kd
    .uniform_work_group_size: 1
    .uses_dynamic_stack: false
    .vgpr_count:     0
    .vgpr_spill_count: 0
    .wavefront_size: 64
  - .args:
      - .offset:         0
        .size:           56
        .value_kind:     by_value
    .group_segment_fixed_size: 0
    .kernarg_segment_align: 8
    .kernarg_segment_size: 56
    .language:       OpenCL C
    .language_version:
      - 2
      - 0
    .max_flat_workgroup_size: 128
    .name:           _ZN7rocprim17ROCPRIM_400000_NS6detail17trampoline_kernelINS0_14default_configENS1_22reduce_config_selectorIiEEZNS1_11reduce_implILb1ES3_N6thrust23THRUST_200600_302600_NS11hip_rocprim35transform_pair_of_input_iterators_tIiPiSB_NS8_12not_equal_toIiEEEESB_iNS8_4plusIiEEEE10hipError_tPvRmT1_T2_T3_mT4_P12ihipStream_tbEUlT_E1_NS1_11comp_targetILNS1_3genE4ELNS1_11target_archE910ELNS1_3gpuE8ELNS1_3repE0EEENS1_30default_config_static_selectorELNS0_4arch9wavefront6targetE1EEEvSK_
    .private_segment_fixed_size: 0
    .sgpr_count:     4
    .sgpr_spill_count: 0
    .symbol:         _ZN7rocprim17ROCPRIM_400000_NS6detail17trampoline_kernelINS0_14default_configENS1_22reduce_config_selectorIiEEZNS1_11reduce_implILb1ES3_N6thrust23THRUST_200600_302600_NS11hip_rocprim35transform_pair_of_input_iterators_tIiPiSB_NS8_12not_equal_toIiEEEESB_iNS8_4plusIiEEEE10hipError_tPvRmT1_T2_T3_mT4_P12ihipStream_tbEUlT_E1_NS1_11comp_targetILNS1_3genE4ELNS1_11target_archE910ELNS1_3gpuE8ELNS1_3repE0EEENS1_30default_config_static_selectorELNS0_4arch9wavefront6targetE1EEEvSK_.kd
    .uniform_work_group_size: 1
    .uses_dynamic_stack: false
    .vgpr_count:     0
    .vgpr_spill_count: 0
    .wavefront_size: 64
  - .args:
      - .offset:         0
        .size:           56
        .value_kind:     by_value
    .group_segment_fixed_size: 0
    .kernarg_segment_align: 8
    .kernarg_segment_size: 56
    .language:       OpenCL C
    .language_version:
      - 2
      - 0
    .max_flat_workgroup_size: 256
    .name:           _ZN7rocprim17ROCPRIM_400000_NS6detail17trampoline_kernelINS0_14default_configENS1_22reduce_config_selectorIiEEZNS1_11reduce_implILb1ES3_N6thrust23THRUST_200600_302600_NS11hip_rocprim35transform_pair_of_input_iterators_tIiPiSB_NS8_12not_equal_toIiEEEESB_iNS8_4plusIiEEEE10hipError_tPvRmT1_T2_T3_mT4_P12ihipStream_tbEUlT_E1_NS1_11comp_targetILNS1_3genE3ELNS1_11target_archE908ELNS1_3gpuE7ELNS1_3repE0EEENS1_30default_config_static_selectorELNS0_4arch9wavefront6targetE1EEEvSK_
    .private_segment_fixed_size: 0
    .sgpr_count:     4
    .sgpr_spill_count: 0
    .symbol:         _ZN7rocprim17ROCPRIM_400000_NS6detail17trampoline_kernelINS0_14default_configENS1_22reduce_config_selectorIiEEZNS1_11reduce_implILb1ES3_N6thrust23THRUST_200600_302600_NS11hip_rocprim35transform_pair_of_input_iterators_tIiPiSB_NS8_12not_equal_toIiEEEESB_iNS8_4plusIiEEEE10hipError_tPvRmT1_T2_T3_mT4_P12ihipStream_tbEUlT_E1_NS1_11comp_targetILNS1_3genE3ELNS1_11target_archE908ELNS1_3gpuE7ELNS1_3repE0EEENS1_30default_config_static_selectorELNS0_4arch9wavefront6targetE1EEEvSK_.kd
    .uniform_work_group_size: 1
    .uses_dynamic_stack: false
    .vgpr_count:     0
    .vgpr_spill_count: 0
    .wavefront_size: 64
  - .args:
      - .offset:         0
        .size:           56
        .value_kind:     by_value
    .group_segment_fixed_size: 112
    .kernarg_segment_align: 8
    .kernarg_segment_size: 56
    .language:       OpenCL C
    .language_version:
      - 2
      - 0
    .max_flat_workgroup_size: 256
    .name:           _ZN7rocprim17ROCPRIM_400000_NS6detail17trampoline_kernelINS0_14default_configENS1_22reduce_config_selectorIiEEZNS1_11reduce_implILb1ES3_N6thrust23THRUST_200600_302600_NS11hip_rocprim35transform_pair_of_input_iterators_tIiPiSB_NS8_12not_equal_toIiEEEESB_iNS8_4plusIiEEEE10hipError_tPvRmT1_T2_T3_mT4_P12ihipStream_tbEUlT_E1_NS1_11comp_targetILNS1_3genE2ELNS1_11target_archE906ELNS1_3gpuE6ELNS1_3repE0EEENS1_30default_config_static_selectorELNS0_4arch9wavefront6targetE1EEEvSK_
    .private_segment_fixed_size: 0
    .sgpr_count:     53
    .sgpr_spill_count: 0
    .symbol:         _ZN7rocprim17ROCPRIM_400000_NS6detail17trampoline_kernelINS0_14default_configENS1_22reduce_config_selectorIiEEZNS1_11reduce_implILb1ES3_N6thrust23THRUST_200600_302600_NS11hip_rocprim35transform_pair_of_input_iterators_tIiPiSB_NS8_12not_equal_toIiEEEESB_iNS8_4plusIiEEEE10hipError_tPvRmT1_T2_T3_mT4_P12ihipStream_tbEUlT_E1_NS1_11comp_targetILNS1_3genE2ELNS1_11target_archE906ELNS1_3gpuE6ELNS1_3repE0EEENS1_30default_config_static_selectorELNS0_4arch9wavefront6targetE1EEEvSK_.kd
    .uniform_work_group_size: 1
    .uses_dynamic_stack: false
    .vgpr_count:     40
    .vgpr_spill_count: 0
    .wavefront_size: 64
  - .args:
      - .offset:         0
        .size:           56
        .value_kind:     by_value
    .group_segment_fixed_size: 0
    .kernarg_segment_align: 8
    .kernarg_segment_size: 56
    .language:       OpenCL C
    .language_version:
      - 2
      - 0
    .max_flat_workgroup_size: 256
    .name:           _ZN7rocprim17ROCPRIM_400000_NS6detail17trampoline_kernelINS0_14default_configENS1_22reduce_config_selectorIiEEZNS1_11reduce_implILb1ES3_N6thrust23THRUST_200600_302600_NS11hip_rocprim35transform_pair_of_input_iterators_tIiPiSB_NS8_12not_equal_toIiEEEESB_iNS8_4plusIiEEEE10hipError_tPvRmT1_T2_T3_mT4_P12ihipStream_tbEUlT_E1_NS1_11comp_targetILNS1_3genE10ELNS1_11target_archE1201ELNS1_3gpuE5ELNS1_3repE0EEENS1_30default_config_static_selectorELNS0_4arch9wavefront6targetE1EEEvSK_
    .private_segment_fixed_size: 0
    .sgpr_count:     4
    .sgpr_spill_count: 0
    .symbol:         _ZN7rocprim17ROCPRIM_400000_NS6detail17trampoline_kernelINS0_14default_configENS1_22reduce_config_selectorIiEEZNS1_11reduce_implILb1ES3_N6thrust23THRUST_200600_302600_NS11hip_rocprim35transform_pair_of_input_iterators_tIiPiSB_NS8_12not_equal_toIiEEEESB_iNS8_4plusIiEEEE10hipError_tPvRmT1_T2_T3_mT4_P12ihipStream_tbEUlT_E1_NS1_11comp_targetILNS1_3genE10ELNS1_11target_archE1201ELNS1_3gpuE5ELNS1_3repE0EEENS1_30default_config_static_selectorELNS0_4arch9wavefront6targetE1EEEvSK_.kd
    .uniform_work_group_size: 1
    .uses_dynamic_stack: false
    .vgpr_count:     0
    .vgpr_spill_count: 0
    .wavefront_size: 64
  - .args:
      - .offset:         0
        .size:           56
        .value_kind:     by_value
    .group_segment_fixed_size: 0
    .kernarg_segment_align: 8
    .kernarg_segment_size: 56
    .language:       OpenCL C
    .language_version:
      - 2
      - 0
    .max_flat_workgroup_size: 256
    .name:           _ZN7rocprim17ROCPRIM_400000_NS6detail17trampoline_kernelINS0_14default_configENS1_22reduce_config_selectorIiEEZNS1_11reduce_implILb1ES3_N6thrust23THRUST_200600_302600_NS11hip_rocprim35transform_pair_of_input_iterators_tIiPiSB_NS8_12not_equal_toIiEEEESB_iNS8_4plusIiEEEE10hipError_tPvRmT1_T2_T3_mT4_P12ihipStream_tbEUlT_E1_NS1_11comp_targetILNS1_3genE10ELNS1_11target_archE1200ELNS1_3gpuE4ELNS1_3repE0EEENS1_30default_config_static_selectorELNS0_4arch9wavefront6targetE1EEEvSK_
    .private_segment_fixed_size: 0
    .sgpr_count:     4
    .sgpr_spill_count: 0
    .symbol:         _ZN7rocprim17ROCPRIM_400000_NS6detail17trampoline_kernelINS0_14default_configENS1_22reduce_config_selectorIiEEZNS1_11reduce_implILb1ES3_N6thrust23THRUST_200600_302600_NS11hip_rocprim35transform_pair_of_input_iterators_tIiPiSB_NS8_12not_equal_toIiEEEESB_iNS8_4plusIiEEEE10hipError_tPvRmT1_T2_T3_mT4_P12ihipStream_tbEUlT_E1_NS1_11comp_targetILNS1_3genE10ELNS1_11target_archE1200ELNS1_3gpuE4ELNS1_3repE0EEENS1_30default_config_static_selectorELNS0_4arch9wavefront6targetE1EEEvSK_.kd
    .uniform_work_group_size: 1
    .uses_dynamic_stack: false
    .vgpr_count:     0
    .vgpr_spill_count: 0
    .wavefront_size: 64
  - .args:
      - .offset:         0
        .size:           56
        .value_kind:     by_value
    .group_segment_fixed_size: 0
    .kernarg_segment_align: 8
    .kernarg_segment_size: 56
    .language:       OpenCL C
    .language_version:
      - 2
      - 0
    .max_flat_workgroup_size: 256
    .name:           _ZN7rocprim17ROCPRIM_400000_NS6detail17trampoline_kernelINS0_14default_configENS1_22reduce_config_selectorIiEEZNS1_11reduce_implILb1ES3_N6thrust23THRUST_200600_302600_NS11hip_rocprim35transform_pair_of_input_iterators_tIiPiSB_NS8_12not_equal_toIiEEEESB_iNS8_4plusIiEEEE10hipError_tPvRmT1_T2_T3_mT4_P12ihipStream_tbEUlT_E1_NS1_11comp_targetILNS1_3genE9ELNS1_11target_archE1100ELNS1_3gpuE3ELNS1_3repE0EEENS1_30default_config_static_selectorELNS0_4arch9wavefront6targetE1EEEvSK_
    .private_segment_fixed_size: 0
    .sgpr_count:     4
    .sgpr_spill_count: 0
    .symbol:         _ZN7rocprim17ROCPRIM_400000_NS6detail17trampoline_kernelINS0_14default_configENS1_22reduce_config_selectorIiEEZNS1_11reduce_implILb1ES3_N6thrust23THRUST_200600_302600_NS11hip_rocprim35transform_pair_of_input_iterators_tIiPiSB_NS8_12not_equal_toIiEEEESB_iNS8_4plusIiEEEE10hipError_tPvRmT1_T2_T3_mT4_P12ihipStream_tbEUlT_E1_NS1_11comp_targetILNS1_3genE9ELNS1_11target_archE1100ELNS1_3gpuE3ELNS1_3repE0EEENS1_30default_config_static_selectorELNS0_4arch9wavefront6targetE1EEEvSK_.kd
    .uniform_work_group_size: 1
    .uses_dynamic_stack: false
    .vgpr_count:     0
    .vgpr_spill_count: 0
    .wavefront_size: 64
  - .args:
      - .offset:         0
        .size:           56
        .value_kind:     by_value
    .group_segment_fixed_size: 0
    .kernarg_segment_align: 8
    .kernarg_segment_size: 56
    .language:       OpenCL C
    .language_version:
      - 2
      - 0
    .max_flat_workgroup_size: 256
    .name:           _ZN7rocprim17ROCPRIM_400000_NS6detail17trampoline_kernelINS0_14default_configENS1_22reduce_config_selectorIiEEZNS1_11reduce_implILb1ES3_N6thrust23THRUST_200600_302600_NS11hip_rocprim35transform_pair_of_input_iterators_tIiPiSB_NS8_12not_equal_toIiEEEESB_iNS8_4plusIiEEEE10hipError_tPvRmT1_T2_T3_mT4_P12ihipStream_tbEUlT_E1_NS1_11comp_targetILNS1_3genE8ELNS1_11target_archE1030ELNS1_3gpuE2ELNS1_3repE0EEENS1_30default_config_static_selectorELNS0_4arch9wavefront6targetE1EEEvSK_
    .private_segment_fixed_size: 0
    .sgpr_count:     4
    .sgpr_spill_count: 0
    .symbol:         _ZN7rocprim17ROCPRIM_400000_NS6detail17trampoline_kernelINS0_14default_configENS1_22reduce_config_selectorIiEEZNS1_11reduce_implILb1ES3_N6thrust23THRUST_200600_302600_NS11hip_rocprim35transform_pair_of_input_iterators_tIiPiSB_NS8_12not_equal_toIiEEEESB_iNS8_4plusIiEEEE10hipError_tPvRmT1_T2_T3_mT4_P12ihipStream_tbEUlT_E1_NS1_11comp_targetILNS1_3genE8ELNS1_11target_archE1030ELNS1_3gpuE2ELNS1_3repE0EEENS1_30default_config_static_selectorELNS0_4arch9wavefront6targetE1EEEvSK_.kd
    .uniform_work_group_size: 1
    .uses_dynamic_stack: false
    .vgpr_count:     0
    .vgpr_spill_count: 0
    .wavefront_size: 64
  - .args:
      - .offset:         0
        .size:           144
        .value_kind:     by_value
    .group_segment_fixed_size: 0
    .kernarg_segment_align: 8
    .kernarg_segment_size: 144
    .language:       OpenCL C
    .language_version:
      - 2
      - 0
    .max_flat_workgroup_size: 256
    .name:           _ZN7rocprim17ROCPRIM_400000_NS6detail17trampoline_kernelINS0_14default_configENS1_29reduce_by_key_config_selectorIilN6thrust23THRUST_200600_302600_NS4plusIlEEEEZZNS1_33reduce_by_key_impl_wrapped_configILNS1_25lookback_scan_determinismE0ES3_S9_PiNS6_17constant_iteratorIiNS6_11use_defaultESE_EENS6_10device_ptrIiEENSG_IlEEPmS8_NS6_8equal_toIiEEEE10hipError_tPvRmT2_T3_mT4_T5_T6_T7_T8_P12ihipStream_tbENKUlT_T0_E_clISt17integral_constantIbLb0EES13_EEDaSY_SZ_EUlSY_E_NS1_11comp_targetILNS1_3genE0ELNS1_11target_archE4294967295ELNS1_3gpuE0ELNS1_3repE0EEENS1_30default_config_static_selectorELNS0_4arch9wavefront6targetE1EEEvT1_
    .private_segment_fixed_size: 0
    .sgpr_count:     4
    .sgpr_spill_count: 0
    .symbol:         _ZN7rocprim17ROCPRIM_400000_NS6detail17trampoline_kernelINS0_14default_configENS1_29reduce_by_key_config_selectorIilN6thrust23THRUST_200600_302600_NS4plusIlEEEEZZNS1_33reduce_by_key_impl_wrapped_configILNS1_25lookback_scan_determinismE0ES3_S9_PiNS6_17constant_iteratorIiNS6_11use_defaultESE_EENS6_10device_ptrIiEENSG_IlEEPmS8_NS6_8equal_toIiEEEE10hipError_tPvRmT2_T3_mT4_T5_T6_T7_T8_P12ihipStream_tbENKUlT_T0_E_clISt17integral_constantIbLb0EES13_EEDaSY_SZ_EUlSY_E_NS1_11comp_targetILNS1_3genE0ELNS1_11target_archE4294967295ELNS1_3gpuE0ELNS1_3repE0EEENS1_30default_config_static_selectorELNS0_4arch9wavefront6targetE1EEEvT1_.kd
    .uniform_work_group_size: 1
    .uses_dynamic_stack: false
    .vgpr_count:     0
    .vgpr_spill_count: 0
    .wavefront_size: 64
  - .args:
      - .offset:         0
        .size:           144
        .value_kind:     by_value
    .group_segment_fixed_size: 0
    .kernarg_segment_align: 8
    .kernarg_segment_size: 144
    .language:       OpenCL C
    .language_version:
      - 2
      - 0
    .max_flat_workgroup_size: 256
    .name:           _ZN7rocprim17ROCPRIM_400000_NS6detail17trampoline_kernelINS0_14default_configENS1_29reduce_by_key_config_selectorIilN6thrust23THRUST_200600_302600_NS4plusIlEEEEZZNS1_33reduce_by_key_impl_wrapped_configILNS1_25lookback_scan_determinismE0ES3_S9_PiNS6_17constant_iteratorIiNS6_11use_defaultESE_EENS6_10device_ptrIiEENSG_IlEEPmS8_NS6_8equal_toIiEEEE10hipError_tPvRmT2_T3_mT4_T5_T6_T7_T8_P12ihipStream_tbENKUlT_T0_E_clISt17integral_constantIbLb0EES13_EEDaSY_SZ_EUlSY_E_NS1_11comp_targetILNS1_3genE5ELNS1_11target_archE942ELNS1_3gpuE9ELNS1_3repE0EEENS1_30default_config_static_selectorELNS0_4arch9wavefront6targetE1EEEvT1_
    .private_segment_fixed_size: 0
    .sgpr_count:     4
    .sgpr_spill_count: 0
    .symbol:         _ZN7rocprim17ROCPRIM_400000_NS6detail17trampoline_kernelINS0_14default_configENS1_29reduce_by_key_config_selectorIilN6thrust23THRUST_200600_302600_NS4plusIlEEEEZZNS1_33reduce_by_key_impl_wrapped_configILNS1_25lookback_scan_determinismE0ES3_S9_PiNS6_17constant_iteratorIiNS6_11use_defaultESE_EENS6_10device_ptrIiEENSG_IlEEPmS8_NS6_8equal_toIiEEEE10hipError_tPvRmT2_T3_mT4_T5_T6_T7_T8_P12ihipStream_tbENKUlT_T0_E_clISt17integral_constantIbLb0EES13_EEDaSY_SZ_EUlSY_E_NS1_11comp_targetILNS1_3genE5ELNS1_11target_archE942ELNS1_3gpuE9ELNS1_3repE0EEENS1_30default_config_static_selectorELNS0_4arch9wavefront6targetE1EEEvT1_.kd
    .uniform_work_group_size: 1
    .uses_dynamic_stack: false
    .vgpr_count:     0
    .vgpr_spill_count: 0
    .wavefront_size: 64
  - .args:
      - .offset:         0
        .size:           144
        .value_kind:     by_value
    .group_segment_fixed_size: 0
    .kernarg_segment_align: 8
    .kernarg_segment_size: 144
    .language:       OpenCL C
    .language_version:
      - 2
      - 0
    .max_flat_workgroup_size: 256
    .name:           _ZN7rocprim17ROCPRIM_400000_NS6detail17trampoline_kernelINS0_14default_configENS1_29reduce_by_key_config_selectorIilN6thrust23THRUST_200600_302600_NS4plusIlEEEEZZNS1_33reduce_by_key_impl_wrapped_configILNS1_25lookback_scan_determinismE0ES3_S9_PiNS6_17constant_iteratorIiNS6_11use_defaultESE_EENS6_10device_ptrIiEENSG_IlEEPmS8_NS6_8equal_toIiEEEE10hipError_tPvRmT2_T3_mT4_T5_T6_T7_T8_P12ihipStream_tbENKUlT_T0_E_clISt17integral_constantIbLb0EES13_EEDaSY_SZ_EUlSY_E_NS1_11comp_targetILNS1_3genE4ELNS1_11target_archE910ELNS1_3gpuE8ELNS1_3repE0EEENS1_30default_config_static_selectorELNS0_4arch9wavefront6targetE1EEEvT1_
    .private_segment_fixed_size: 0
    .sgpr_count:     4
    .sgpr_spill_count: 0
    .symbol:         _ZN7rocprim17ROCPRIM_400000_NS6detail17trampoline_kernelINS0_14default_configENS1_29reduce_by_key_config_selectorIilN6thrust23THRUST_200600_302600_NS4plusIlEEEEZZNS1_33reduce_by_key_impl_wrapped_configILNS1_25lookback_scan_determinismE0ES3_S9_PiNS6_17constant_iteratorIiNS6_11use_defaultESE_EENS6_10device_ptrIiEENSG_IlEEPmS8_NS6_8equal_toIiEEEE10hipError_tPvRmT2_T3_mT4_T5_T6_T7_T8_P12ihipStream_tbENKUlT_T0_E_clISt17integral_constantIbLb0EES13_EEDaSY_SZ_EUlSY_E_NS1_11comp_targetILNS1_3genE4ELNS1_11target_archE910ELNS1_3gpuE8ELNS1_3repE0EEENS1_30default_config_static_selectorELNS0_4arch9wavefront6targetE1EEEvT1_.kd
    .uniform_work_group_size: 1
    .uses_dynamic_stack: false
    .vgpr_count:     0
    .vgpr_spill_count: 0
    .wavefront_size: 64
  - .args:
      - .offset:         0
        .size:           144
        .value_kind:     by_value
    .group_segment_fixed_size: 0
    .kernarg_segment_align: 8
    .kernarg_segment_size: 144
    .language:       OpenCL C
    .language_version:
      - 2
      - 0
    .max_flat_workgroup_size: 256
    .name:           _ZN7rocprim17ROCPRIM_400000_NS6detail17trampoline_kernelINS0_14default_configENS1_29reduce_by_key_config_selectorIilN6thrust23THRUST_200600_302600_NS4plusIlEEEEZZNS1_33reduce_by_key_impl_wrapped_configILNS1_25lookback_scan_determinismE0ES3_S9_PiNS6_17constant_iteratorIiNS6_11use_defaultESE_EENS6_10device_ptrIiEENSG_IlEEPmS8_NS6_8equal_toIiEEEE10hipError_tPvRmT2_T3_mT4_T5_T6_T7_T8_P12ihipStream_tbENKUlT_T0_E_clISt17integral_constantIbLb0EES13_EEDaSY_SZ_EUlSY_E_NS1_11comp_targetILNS1_3genE3ELNS1_11target_archE908ELNS1_3gpuE7ELNS1_3repE0EEENS1_30default_config_static_selectorELNS0_4arch9wavefront6targetE1EEEvT1_
    .private_segment_fixed_size: 0
    .sgpr_count:     4
    .sgpr_spill_count: 0
    .symbol:         _ZN7rocprim17ROCPRIM_400000_NS6detail17trampoline_kernelINS0_14default_configENS1_29reduce_by_key_config_selectorIilN6thrust23THRUST_200600_302600_NS4plusIlEEEEZZNS1_33reduce_by_key_impl_wrapped_configILNS1_25lookback_scan_determinismE0ES3_S9_PiNS6_17constant_iteratorIiNS6_11use_defaultESE_EENS6_10device_ptrIiEENSG_IlEEPmS8_NS6_8equal_toIiEEEE10hipError_tPvRmT2_T3_mT4_T5_T6_T7_T8_P12ihipStream_tbENKUlT_T0_E_clISt17integral_constantIbLb0EES13_EEDaSY_SZ_EUlSY_E_NS1_11comp_targetILNS1_3genE3ELNS1_11target_archE908ELNS1_3gpuE7ELNS1_3repE0EEENS1_30default_config_static_selectorELNS0_4arch9wavefront6targetE1EEEvT1_.kd
    .uniform_work_group_size: 1
    .uses_dynamic_stack: false
    .vgpr_count:     0
    .vgpr_spill_count: 0
    .wavefront_size: 64
  - .args:
      - .offset:         0
        .size:           144
        .value_kind:     by_value
    .group_segment_fixed_size: 30720
    .kernarg_segment_align: 8
    .kernarg_segment_size: 144
    .language:       OpenCL C
    .language_version:
      - 2
      - 0
    .max_flat_workgroup_size: 256
    .name:           _ZN7rocprim17ROCPRIM_400000_NS6detail17trampoline_kernelINS0_14default_configENS1_29reduce_by_key_config_selectorIilN6thrust23THRUST_200600_302600_NS4plusIlEEEEZZNS1_33reduce_by_key_impl_wrapped_configILNS1_25lookback_scan_determinismE0ES3_S9_PiNS6_17constant_iteratorIiNS6_11use_defaultESE_EENS6_10device_ptrIiEENSG_IlEEPmS8_NS6_8equal_toIiEEEE10hipError_tPvRmT2_T3_mT4_T5_T6_T7_T8_P12ihipStream_tbENKUlT_T0_E_clISt17integral_constantIbLb0EES13_EEDaSY_SZ_EUlSY_E_NS1_11comp_targetILNS1_3genE2ELNS1_11target_archE906ELNS1_3gpuE6ELNS1_3repE0EEENS1_30default_config_static_selectorELNS0_4arch9wavefront6targetE1EEEvT1_
    .private_segment_fixed_size: 64
    .sgpr_count:     70
    .sgpr_spill_count: 0
    .symbol:         _ZN7rocprim17ROCPRIM_400000_NS6detail17trampoline_kernelINS0_14default_configENS1_29reduce_by_key_config_selectorIilN6thrust23THRUST_200600_302600_NS4plusIlEEEEZZNS1_33reduce_by_key_impl_wrapped_configILNS1_25lookback_scan_determinismE0ES3_S9_PiNS6_17constant_iteratorIiNS6_11use_defaultESE_EENS6_10device_ptrIiEENSG_IlEEPmS8_NS6_8equal_toIiEEEE10hipError_tPvRmT2_T3_mT4_T5_T6_T7_T8_P12ihipStream_tbENKUlT_T0_E_clISt17integral_constantIbLb0EES13_EEDaSY_SZ_EUlSY_E_NS1_11comp_targetILNS1_3genE2ELNS1_11target_archE906ELNS1_3gpuE6ELNS1_3repE0EEENS1_30default_config_static_selectorELNS0_4arch9wavefront6targetE1EEEvT1_.kd
    .uniform_work_group_size: 1
    .uses_dynamic_stack: false
    .vgpr_count:     102
    .vgpr_spill_count: 0
    .wavefront_size: 64
  - .args:
      - .offset:         0
        .size:           144
        .value_kind:     by_value
    .group_segment_fixed_size: 0
    .kernarg_segment_align: 8
    .kernarg_segment_size: 144
    .language:       OpenCL C
    .language_version:
      - 2
      - 0
    .max_flat_workgroup_size: 256
    .name:           _ZN7rocprim17ROCPRIM_400000_NS6detail17trampoline_kernelINS0_14default_configENS1_29reduce_by_key_config_selectorIilN6thrust23THRUST_200600_302600_NS4plusIlEEEEZZNS1_33reduce_by_key_impl_wrapped_configILNS1_25lookback_scan_determinismE0ES3_S9_PiNS6_17constant_iteratorIiNS6_11use_defaultESE_EENS6_10device_ptrIiEENSG_IlEEPmS8_NS6_8equal_toIiEEEE10hipError_tPvRmT2_T3_mT4_T5_T6_T7_T8_P12ihipStream_tbENKUlT_T0_E_clISt17integral_constantIbLb0EES13_EEDaSY_SZ_EUlSY_E_NS1_11comp_targetILNS1_3genE10ELNS1_11target_archE1201ELNS1_3gpuE5ELNS1_3repE0EEENS1_30default_config_static_selectorELNS0_4arch9wavefront6targetE1EEEvT1_
    .private_segment_fixed_size: 0
    .sgpr_count:     4
    .sgpr_spill_count: 0
    .symbol:         _ZN7rocprim17ROCPRIM_400000_NS6detail17trampoline_kernelINS0_14default_configENS1_29reduce_by_key_config_selectorIilN6thrust23THRUST_200600_302600_NS4plusIlEEEEZZNS1_33reduce_by_key_impl_wrapped_configILNS1_25lookback_scan_determinismE0ES3_S9_PiNS6_17constant_iteratorIiNS6_11use_defaultESE_EENS6_10device_ptrIiEENSG_IlEEPmS8_NS6_8equal_toIiEEEE10hipError_tPvRmT2_T3_mT4_T5_T6_T7_T8_P12ihipStream_tbENKUlT_T0_E_clISt17integral_constantIbLb0EES13_EEDaSY_SZ_EUlSY_E_NS1_11comp_targetILNS1_3genE10ELNS1_11target_archE1201ELNS1_3gpuE5ELNS1_3repE0EEENS1_30default_config_static_selectorELNS0_4arch9wavefront6targetE1EEEvT1_.kd
    .uniform_work_group_size: 1
    .uses_dynamic_stack: false
    .vgpr_count:     0
    .vgpr_spill_count: 0
    .wavefront_size: 64
  - .args:
      - .offset:         0
        .size:           144
        .value_kind:     by_value
    .group_segment_fixed_size: 0
    .kernarg_segment_align: 8
    .kernarg_segment_size: 144
    .language:       OpenCL C
    .language_version:
      - 2
      - 0
    .max_flat_workgroup_size: 256
    .name:           _ZN7rocprim17ROCPRIM_400000_NS6detail17trampoline_kernelINS0_14default_configENS1_29reduce_by_key_config_selectorIilN6thrust23THRUST_200600_302600_NS4plusIlEEEEZZNS1_33reduce_by_key_impl_wrapped_configILNS1_25lookback_scan_determinismE0ES3_S9_PiNS6_17constant_iteratorIiNS6_11use_defaultESE_EENS6_10device_ptrIiEENSG_IlEEPmS8_NS6_8equal_toIiEEEE10hipError_tPvRmT2_T3_mT4_T5_T6_T7_T8_P12ihipStream_tbENKUlT_T0_E_clISt17integral_constantIbLb0EES13_EEDaSY_SZ_EUlSY_E_NS1_11comp_targetILNS1_3genE10ELNS1_11target_archE1200ELNS1_3gpuE4ELNS1_3repE0EEENS1_30default_config_static_selectorELNS0_4arch9wavefront6targetE1EEEvT1_
    .private_segment_fixed_size: 0
    .sgpr_count:     4
    .sgpr_spill_count: 0
    .symbol:         _ZN7rocprim17ROCPRIM_400000_NS6detail17trampoline_kernelINS0_14default_configENS1_29reduce_by_key_config_selectorIilN6thrust23THRUST_200600_302600_NS4plusIlEEEEZZNS1_33reduce_by_key_impl_wrapped_configILNS1_25lookback_scan_determinismE0ES3_S9_PiNS6_17constant_iteratorIiNS6_11use_defaultESE_EENS6_10device_ptrIiEENSG_IlEEPmS8_NS6_8equal_toIiEEEE10hipError_tPvRmT2_T3_mT4_T5_T6_T7_T8_P12ihipStream_tbENKUlT_T0_E_clISt17integral_constantIbLb0EES13_EEDaSY_SZ_EUlSY_E_NS1_11comp_targetILNS1_3genE10ELNS1_11target_archE1200ELNS1_3gpuE4ELNS1_3repE0EEENS1_30default_config_static_selectorELNS0_4arch9wavefront6targetE1EEEvT1_.kd
    .uniform_work_group_size: 1
    .uses_dynamic_stack: false
    .vgpr_count:     0
    .vgpr_spill_count: 0
    .wavefront_size: 64
  - .args:
      - .offset:         0
        .size:           144
        .value_kind:     by_value
    .group_segment_fixed_size: 0
    .kernarg_segment_align: 8
    .kernarg_segment_size: 144
    .language:       OpenCL C
    .language_version:
      - 2
      - 0
    .max_flat_workgroup_size: 256
    .name:           _ZN7rocprim17ROCPRIM_400000_NS6detail17trampoline_kernelINS0_14default_configENS1_29reduce_by_key_config_selectorIilN6thrust23THRUST_200600_302600_NS4plusIlEEEEZZNS1_33reduce_by_key_impl_wrapped_configILNS1_25lookback_scan_determinismE0ES3_S9_PiNS6_17constant_iteratorIiNS6_11use_defaultESE_EENS6_10device_ptrIiEENSG_IlEEPmS8_NS6_8equal_toIiEEEE10hipError_tPvRmT2_T3_mT4_T5_T6_T7_T8_P12ihipStream_tbENKUlT_T0_E_clISt17integral_constantIbLb0EES13_EEDaSY_SZ_EUlSY_E_NS1_11comp_targetILNS1_3genE9ELNS1_11target_archE1100ELNS1_3gpuE3ELNS1_3repE0EEENS1_30default_config_static_selectorELNS0_4arch9wavefront6targetE1EEEvT1_
    .private_segment_fixed_size: 0
    .sgpr_count:     4
    .sgpr_spill_count: 0
    .symbol:         _ZN7rocprim17ROCPRIM_400000_NS6detail17trampoline_kernelINS0_14default_configENS1_29reduce_by_key_config_selectorIilN6thrust23THRUST_200600_302600_NS4plusIlEEEEZZNS1_33reduce_by_key_impl_wrapped_configILNS1_25lookback_scan_determinismE0ES3_S9_PiNS6_17constant_iteratorIiNS6_11use_defaultESE_EENS6_10device_ptrIiEENSG_IlEEPmS8_NS6_8equal_toIiEEEE10hipError_tPvRmT2_T3_mT4_T5_T6_T7_T8_P12ihipStream_tbENKUlT_T0_E_clISt17integral_constantIbLb0EES13_EEDaSY_SZ_EUlSY_E_NS1_11comp_targetILNS1_3genE9ELNS1_11target_archE1100ELNS1_3gpuE3ELNS1_3repE0EEENS1_30default_config_static_selectorELNS0_4arch9wavefront6targetE1EEEvT1_.kd
    .uniform_work_group_size: 1
    .uses_dynamic_stack: false
    .vgpr_count:     0
    .vgpr_spill_count: 0
    .wavefront_size: 64
  - .args:
      - .offset:         0
        .size:           144
        .value_kind:     by_value
    .group_segment_fixed_size: 0
    .kernarg_segment_align: 8
    .kernarg_segment_size: 144
    .language:       OpenCL C
    .language_version:
      - 2
      - 0
    .max_flat_workgroup_size: 256
    .name:           _ZN7rocprim17ROCPRIM_400000_NS6detail17trampoline_kernelINS0_14default_configENS1_29reduce_by_key_config_selectorIilN6thrust23THRUST_200600_302600_NS4plusIlEEEEZZNS1_33reduce_by_key_impl_wrapped_configILNS1_25lookback_scan_determinismE0ES3_S9_PiNS6_17constant_iteratorIiNS6_11use_defaultESE_EENS6_10device_ptrIiEENSG_IlEEPmS8_NS6_8equal_toIiEEEE10hipError_tPvRmT2_T3_mT4_T5_T6_T7_T8_P12ihipStream_tbENKUlT_T0_E_clISt17integral_constantIbLb0EES13_EEDaSY_SZ_EUlSY_E_NS1_11comp_targetILNS1_3genE8ELNS1_11target_archE1030ELNS1_3gpuE2ELNS1_3repE0EEENS1_30default_config_static_selectorELNS0_4arch9wavefront6targetE1EEEvT1_
    .private_segment_fixed_size: 0
    .sgpr_count:     4
    .sgpr_spill_count: 0
    .symbol:         _ZN7rocprim17ROCPRIM_400000_NS6detail17trampoline_kernelINS0_14default_configENS1_29reduce_by_key_config_selectorIilN6thrust23THRUST_200600_302600_NS4plusIlEEEEZZNS1_33reduce_by_key_impl_wrapped_configILNS1_25lookback_scan_determinismE0ES3_S9_PiNS6_17constant_iteratorIiNS6_11use_defaultESE_EENS6_10device_ptrIiEENSG_IlEEPmS8_NS6_8equal_toIiEEEE10hipError_tPvRmT2_T3_mT4_T5_T6_T7_T8_P12ihipStream_tbENKUlT_T0_E_clISt17integral_constantIbLb0EES13_EEDaSY_SZ_EUlSY_E_NS1_11comp_targetILNS1_3genE8ELNS1_11target_archE1030ELNS1_3gpuE2ELNS1_3repE0EEENS1_30default_config_static_selectorELNS0_4arch9wavefront6targetE1EEEvT1_.kd
    .uniform_work_group_size: 1
    .uses_dynamic_stack: false
    .vgpr_count:     0
    .vgpr_spill_count: 0
    .wavefront_size: 64
  - .args:
      - .offset:         0
        .size:           144
        .value_kind:     by_value
    .group_segment_fixed_size: 0
    .kernarg_segment_align: 8
    .kernarg_segment_size: 144
    .language:       OpenCL C
    .language_version:
      - 2
      - 0
    .max_flat_workgroup_size: 256
    .name:           _ZN7rocprim17ROCPRIM_400000_NS6detail17trampoline_kernelINS0_14default_configENS1_29reduce_by_key_config_selectorIilN6thrust23THRUST_200600_302600_NS4plusIlEEEEZZNS1_33reduce_by_key_impl_wrapped_configILNS1_25lookback_scan_determinismE0ES3_S9_PiNS6_17constant_iteratorIiNS6_11use_defaultESE_EENS6_10device_ptrIiEENSG_IlEEPmS8_NS6_8equal_toIiEEEE10hipError_tPvRmT2_T3_mT4_T5_T6_T7_T8_P12ihipStream_tbENKUlT_T0_E_clISt17integral_constantIbLb1EES13_EEDaSY_SZ_EUlSY_E_NS1_11comp_targetILNS1_3genE0ELNS1_11target_archE4294967295ELNS1_3gpuE0ELNS1_3repE0EEENS1_30default_config_static_selectorELNS0_4arch9wavefront6targetE1EEEvT1_
    .private_segment_fixed_size: 0
    .sgpr_count:     4
    .sgpr_spill_count: 0
    .symbol:         _ZN7rocprim17ROCPRIM_400000_NS6detail17trampoline_kernelINS0_14default_configENS1_29reduce_by_key_config_selectorIilN6thrust23THRUST_200600_302600_NS4plusIlEEEEZZNS1_33reduce_by_key_impl_wrapped_configILNS1_25lookback_scan_determinismE0ES3_S9_PiNS6_17constant_iteratorIiNS6_11use_defaultESE_EENS6_10device_ptrIiEENSG_IlEEPmS8_NS6_8equal_toIiEEEE10hipError_tPvRmT2_T3_mT4_T5_T6_T7_T8_P12ihipStream_tbENKUlT_T0_E_clISt17integral_constantIbLb1EES13_EEDaSY_SZ_EUlSY_E_NS1_11comp_targetILNS1_3genE0ELNS1_11target_archE4294967295ELNS1_3gpuE0ELNS1_3repE0EEENS1_30default_config_static_selectorELNS0_4arch9wavefront6targetE1EEEvT1_.kd
    .uniform_work_group_size: 1
    .uses_dynamic_stack: false
    .vgpr_count:     0
    .vgpr_spill_count: 0
    .wavefront_size: 64
  - .args:
      - .offset:         0
        .size:           144
        .value_kind:     by_value
    .group_segment_fixed_size: 0
    .kernarg_segment_align: 8
    .kernarg_segment_size: 144
    .language:       OpenCL C
    .language_version:
      - 2
      - 0
    .max_flat_workgroup_size: 256
    .name:           _ZN7rocprim17ROCPRIM_400000_NS6detail17trampoline_kernelINS0_14default_configENS1_29reduce_by_key_config_selectorIilN6thrust23THRUST_200600_302600_NS4plusIlEEEEZZNS1_33reduce_by_key_impl_wrapped_configILNS1_25lookback_scan_determinismE0ES3_S9_PiNS6_17constant_iteratorIiNS6_11use_defaultESE_EENS6_10device_ptrIiEENSG_IlEEPmS8_NS6_8equal_toIiEEEE10hipError_tPvRmT2_T3_mT4_T5_T6_T7_T8_P12ihipStream_tbENKUlT_T0_E_clISt17integral_constantIbLb1EES13_EEDaSY_SZ_EUlSY_E_NS1_11comp_targetILNS1_3genE5ELNS1_11target_archE942ELNS1_3gpuE9ELNS1_3repE0EEENS1_30default_config_static_selectorELNS0_4arch9wavefront6targetE1EEEvT1_
    .private_segment_fixed_size: 0
    .sgpr_count:     4
    .sgpr_spill_count: 0
    .symbol:         _ZN7rocprim17ROCPRIM_400000_NS6detail17trampoline_kernelINS0_14default_configENS1_29reduce_by_key_config_selectorIilN6thrust23THRUST_200600_302600_NS4plusIlEEEEZZNS1_33reduce_by_key_impl_wrapped_configILNS1_25lookback_scan_determinismE0ES3_S9_PiNS6_17constant_iteratorIiNS6_11use_defaultESE_EENS6_10device_ptrIiEENSG_IlEEPmS8_NS6_8equal_toIiEEEE10hipError_tPvRmT2_T3_mT4_T5_T6_T7_T8_P12ihipStream_tbENKUlT_T0_E_clISt17integral_constantIbLb1EES13_EEDaSY_SZ_EUlSY_E_NS1_11comp_targetILNS1_3genE5ELNS1_11target_archE942ELNS1_3gpuE9ELNS1_3repE0EEENS1_30default_config_static_selectorELNS0_4arch9wavefront6targetE1EEEvT1_.kd
    .uniform_work_group_size: 1
    .uses_dynamic_stack: false
    .vgpr_count:     0
    .vgpr_spill_count: 0
    .wavefront_size: 64
  - .args:
      - .offset:         0
        .size:           144
        .value_kind:     by_value
    .group_segment_fixed_size: 0
    .kernarg_segment_align: 8
    .kernarg_segment_size: 144
    .language:       OpenCL C
    .language_version:
      - 2
      - 0
    .max_flat_workgroup_size: 256
    .name:           _ZN7rocprim17ROCPRIM_400000_NS6detail17trampoline_kernelINS0_14default_configENS1_29reduce_by_key_config_selectorIilN6thrust23THRUST_200600_302600_NS4plusIlEEEEZZNS1_33reduce_by_key_impl_wrapped_configILNS1_25lookback_scan_determinismE0ES3_S9_PiNS6_17constant_iteratorIiNS6_11use_defaultESE_EENS6_10device_ptrIiEENSG_IlEEPmS8_NS6_8equal_toIiEEEE10hipError_tPvRmT2_T3_mT4_T5_T6_T7_T8_P12ihipStream_tbENKUlT_T0_E_clISt17integral_constantIbLb1EES13_EEDaSY_SZ_EUlSY_E_NS1_11comp_targetILNS1_3genE4ELNS1_11target_archE910ELNS1_3gpuE8ELNS1_3repE0EEENS1_30default_config_static_selectorELNS0_4arch9wavefront6targetE1EEEvT1_
    .private_segment_fixed_size: 0
    .sgpr_count:     4
    .sgpr_spill_count: 0
    .symbol:         _ZN7rocprim17ROCPRIM_400000_NS6detail17trampoline_kernelINS0_14default_configENS1_29reduce_by_key_config_selectorIilN6thrust23THRUST_200600_302600_NS4plusIlEEEEZZNS1_33reduce_by_key_impl_wrapped_configILNS1_25lookback_scan_determinismE0ES3_S9_PiNS6_17constant_iteratorIiNS6_11use_defaultESE_EENS6_10device_ptrIiEENSG_IlEEPmS8_NS6_8equal_toIiEEEE10hipError_tPvRmT2_T3_mT4_T5_T6_T7_T8_P12ihipStream_tbENKUlT_T0_E_clISt17integral_constantIbLb1EES13_EEDaSY_SZ_EUlSY_E_NS1_11comp_targetILNS1_3genE4ELNS1_11target_archE910ELNS1_3gpuE8ELNS1_3repE0EEENS1_30default_config_static_selectorELNS0_4arch9wavefront6targetE1EEEvT1_.kd
    .uniform_work_group_size: 1
    .uses_dynamic_stack: false
    .vgpr_count:     0
    .vgpr_spill_count: 0
    .wavefront_size: 64
  - .args:
      - .offset:         0
        .size:           144
        .value_kind:     by_value
    .group_segment_fixed_size: 0
    .kernarg_segment_align: 8
    .kernarg_segment_size: 144
    .language:       OpenCL C
    .language_version:
      - 2
      - 0
    .max_flat_workgroup_size: 256
    .name:           _ZN7rocprim17ROCPRIM_400000_NS6detail17trampoline_kernelINS0_14default_configENS1_29reduce_by_key_config_selectorIilN6thrust23THRUST_200600_302600_NS4plusIlEEEEZZNS1_33reduce_by_key_impl_wrapped_configILNS1_25lookback_scan_determinismE0ES3_S9_PiNS6_17constant_iteratorIiNS6_11use_defaultESE_EENS6_10device_ptrIiEENSG_IlEEPmS8_NS6_8equal_toIiEEEE10hipError_tPvRmT2_T3_mT4_T5_T6_T7_T8_P12ihipStream_tbENKUlT_T0_E_clISt17integral_constantIbLb1EES13_EEDaSY_SZ_EUlSY_E_NS1_11comp_targetILNS1_3genE3ELNS1_11target_archE908ELNS1_3gpuE7ELNS1_3repE0EEENS1_30default_config_static_selectorELNS0_4arch9wavefront6targetE1EEEvT1_
    .private_segment_fixed_size: 0
    .sgpr_count:     4
    .sgpr_spill_count: 0
    .symbol:         _ZN7rocprim17ROCPRIM_400000_NS6detail17trampoline_kernelINS0_14default_configENS1_29reduce_by_key_config_selectorIilN6thrust23THRUST_200600_302600_NS4plusIlEEEEZZNS1_33reduce_by_key_impl_wrapped_configILNS1_25lookback_scan_determinismE0ES3_S9_PiNS6_17constant_iteratorIiNS6_11use_defaultESE_EENS6_10device_ptrIiEENSG_IlEEPmS8_NS6_8equal_toIiEEEE10hipError_tPvRmT2_T3_mT4_T5_T6_T7_T8_P12ihipStream_tbENKUlT_T0_E_clISt17integral_constantIbLb1EES13_EEDaSY_SZ_EUlSY_E_NS1_11comp_targetILNS1_3genE3ELNS1_11target_archE908ELNS1_3gpuE7ELNS1_3repE0EEENS1_30default_config_static_selectorELNS0_4arch9wavefront6targetE1EEEvT1_.kd
    .uniform_work_group_size: 1
    .uses_dynamic_stack: false
    .vgpr_count:     0
    .vgpr_spill_count: 0
    .wavefront_size: 64
  - .args:
      - .offset:         0
        .size:           144
        .value_kind:     by_value
    .group_segment_fixed_size: 0
    .kernarg_segment_align: 8
    .kernarg_segment_size: 144
    .language:       OpenCL C
    .language_version:
      - 2
      - 0
    .max_flat_workgroup_size: 256
    .name:           _ZN7rocprim17ROCPRIM_400000_NS6detail17trampoline_kernelINS0_14default_configENS1_29reduce_by_key_config_selectorIilN6thrust23THRUST_200600_302600_NS4plusIlEEEEZZNS1_33reduce_by_key_impl_wrapped_configILNS1_25lookback_scan_determinismE0ES3_S9_PiNS6_17constant_iteratorIiNS6_11use_defaultESE_EENS6_10device_ptrIiEENSG_IlEEPmS8_NS6_8equal_toIiEEEE10hipError_tPvRmT2_T3_mT4_T5_T6_T7_T8_P12ihipStream_tbENKUlT_T0_E_clISt17integral_constantIbLb1EES13_EEDaSY_SZ_EUlSY_E_NS1_11comp_targetILNS1_3genE2ELNS1_11target_archE906ELNS1_3gpuE6ELNS1_3repE0EEENS1_30default_config_static_selectorELNS0_4arch9wavefront6targetE1EEEvT1_
    .private_segment_fixed_size: 0
    .sgpr_count:     4
    .sgpr_spill_count: 0
    .symbol:         _ZN7rocprim17ROCPRIM_400000_NS6detail17trampoline_kernelINS0_14default_configENS1_29reduce_by_key_config_selectorIilN6thrust23THRUST_200600_302600_NS4plusIlEEEEZZNS1_33reduce_by_key_impl_wrapped_configILNS1_25lookback_scan_determinismE0ES3_S9_PiNS6_17constant_iteratorIiNS6_11use_defaultESE_EENS6_10device_ptrIiEENSG_IlEEPmS8_NS6_8equal_toIiEEEE10hipError_tPvRmT2_T3_mT4_T5_T6_T7_T8_P12ihipStream_tbENKUlT_T0_E_clISt17integral_constantIbLb1EES13_EEDaSY_SZ_EUlSY_E_NS1_11comp_targetILNS1_3genE2ELNS1_11target_archE906ELNS1_3gpuE6ELNS1_3repE0EEENS1_30default_config_static_selectorELNS0_4arch9wavefront6targetE1EEEvT1_.kd
    .uniform_work_group_size: 1
    .uses_dynamic_stack: false
    .vgpr_count:     0
    .vgpr_spill_count: 0
    .wavefront_size: 64
  - .args:
      - .offset:         0
        .size:           144
        .value_kind:     by_value
    .group_segment_fixed_size: 0
    .kernarg_segment_align: 8
    .kernarg_segment_size: 144
    .language:       OpenCL C
    .language_version:
      - 2
      - 0
    .max_flat_workgroup_size: 256
    .name:           _ZN7rocprim17ROCPRIM_400000_NS6detail17trampoline_kernelINS0_14default_configENS1_29reduce_by_key_config_selectorIilN6thrust23THRUST_200600_302600_NS4plusIlEEEEZZNS1_33reduce_by_key_impl_wrapped_configILNS1_25lookback_scan_determinismE0ES3_S9_PiNS6_17constant_iteratorIiNS6_11use_defaultESE_EENS6_10device_ptrIiEENSG_IlEEPmS8_NS6_8equal_toIiEEEE10hipError_tPvRmT2_T3_mT4_T5_T6_T7_T8_P12ihipStream_tbENKUlT_T0_E_clISt17integral_constantIbLb1EES13_EEDaSY_SZ_EUlSY_E_NS1_11comp_targetILNS1_3genE10ELNS1_11target_archE1201ELNS1_3gpuE5ELNS1_3repE0EEENS1_30default_config_static_selectorELNS0_4arch9wavefront6targetE1EEEvT1_
    .private_segment_fixed_size: 0
    .sgpr_count:     4
    .sgpr_spill_count: 0
    .symbol:         _ZN7rocprim17ROCPRIM_400000_NS6detail17trampoline_kernelINS0_14default_configENS1_29reduce_by_key_config_selectorIilN6thrust23THRUST_200600_302600_NS4plusIlEEEEZZNS1_33reduce_by_key_impl_wrapped_configILNS1_25lookback_scan_determinismE0ES3_S9_PiNS6_17constant_iteratorIiNS6_11use_defaultESE_EENS6_10device_ptrIiEENSG_IlEEPmS8_NS6_8equal_toIiEEEE10hipError_tPvRmT2_T3_mT4_T5_T6_T7_T8_P12ihipStream_tbENKUlT_T0_E_clISt17integral_constantIbLb1EES13_EEDaSY_SZ_EUlSY_E_NS1_11comp_targetILNS1_3genE10ELNS1_11target_archE1201ELNS1_3gpuE5ELNS1_3repE0EEENS1_30default_config_static_selectorELNS0_4arch9wavefront6targetE1EEEvT1_.kd
    .uniform_work_group_size: 1
    .uses_dynamic_stack: false
    .vgpr_count:     0
    .vgpr_spill_count: 0
    .wavefront_size: 64
  - .args:
      - .offset:         0
        .size:           144
        .value_kind:     by_value
    .group_segment_fixed_size: 0
    .kernarg_segment_align: 8
    .kernarg_segment_size: 144
    .language:       OpenCL C
    .language_version:
      - 2
      - 0
    .max_flat_workgroup_size: 256
    .name:           _ZN7rocprim17ROCPRIM_400000_NS6detail17trampoline_kernelINS0_14default_configENS1_29reduce_by_key_config_selectorIilN6thrust23THRUST_200600_302600_NS4plusIlEEEEZZNS1_33reduce_by_key_impl_wrapped_configILNS1_25lookback_scan_determinismE0ES3_S9_PiNS6_17constant_iteratorIiNS6_11use_defaultESE_EENS6_10device_ptrIiEENSG_IlEEPmS8_NS6_8equal_toIiEEEE10hipError_tPvRmT2_T3_mT4_T5_T6_T7_T8_P12ihipStream_tbENKUlT_T0_E_clISt17integral_constantIbLb1EES13_EEDaSY_SZ_EUlSY_E_NS1_11comp_targetILNS1_3genE10ELNS1_11target_archE1200ELNS1_3gpuE4ELNS1_3repE0EEENS1_30default_config_static_selectorELNS0_4arch9wavefront6targetE1EEEvT1_
    .private_segment_fixed_size: 0
    .sgpr_count:     4
    .sgpr_spill_count: 0
    .symbol:         _ZN7rocprim17ROCPRIM_400000_NS6detail17trampoline_kernelINS0_14default_configENS1_29reduce_by_key_config_selectorIilN6thrust23THRUST_200600_302600_NS4plusIlEEEEZZNS1_33reduce_by_key_impl_wrapped_configILNS1_25lookback_scan_determinismE0ES3_S9_PiNS6_17constant_iteratorIiNS6_11use_defaultESE_EENS6_10device_ptrIiEENSG_IlEEPmS8_NS6_8equal_toIiEEEE10hipError_tPvRmT2_T3_mT4_T5_T6_T7_T8_P12ihipStream_tbENKUlT_T0_E_clISt17integral_constantIbLb1EES13_EEDaSY_SZ_EUlSY_E_NS1_11comp_targetILNS1_3genE10ELNS1_11target_archE1200ELNS1_3gpuE4ELNS1_3repE0EEENS1_30default_config_static_selectorELNS0_4arch9wavefront6targetE1EEEvT1_.kd
    .uniform_work_group_size: 1
    .uses_dynamic_stack: false
    .vgpr_count:     0
    .vgpr_spill_count: 0
    .wavefront_size: 64
  - .args:
      - .offset:         0
        .size:           144
        .value_kind:     by_value
    .group_segment_fixed_size: 0
    .kernarg_segment_align: 8
    .kernarg_segment_size: 144
    .language:       OpenCL C
    .language_version:
      - 2
      - 0
    .max_flat_workgroup_size: 256
    .name:           _ZN7rocprim17ROCPRIM_400000_NS6detail17trampoline_kernelINS0_14default_configENS1_29reduce_by_key_config_selectorIilN6thrust23THRUST_200600_302600_NS4plusIlEEEEZZNS1_33reduce_by_key_impl_wrapped_configILNS1_25lookback_scan_determinismE0ES3_S9_PiNS6_17constant_iteratorIiNS6_11use_defaultESE_EENS6_10device_ptrIiEENSG_IlEEPmS8_NS6_8equal_toIiEEEE10hipError_tPvRmT2_T3_mT4_T5_T6_T7_T8_P12ihipStream_tbENKUlT_T0_E_clISt17integral_constantIbLb1EES13_EEDaSY_SZ_EUlSY_E_NS1_11comp_targetILNS1_3genE9ELNS1_11target_archE1100ELNS1_3gpuE3ELNS1_3repE0EEENS1_30default_config_static_selectorELNS0_4arch9wavefront6targetE1EEEvT1_
    .private_segment_fixed_size: 0
    .sgpr_count:     4
    .sgpr_spill_count: 0
    .symbol:         _ZN7rocprim17ROCPRIM_400000_NS6detail17trampoline_kernelINS0_14default_configENS1_29reduce_by_key_config_selectorIilN6thrust23THRUST_200600_302600_NS4plusIlEEEEZZNS1_33reduce_by_key_impl_wrapped_configILNS1_25lookback_scan_determinismE0ES3_S9_PiNS6_17constant_iteratorIiNS6_11use_defaultESE_EENS6_10device_ptrIiEENSG_IlEEPmS8_NS6_8equal_toIiEEEE10hipError_tPvRmT2_T3_mT4_T5_T6_T7_T8_P12ihipStream_tbENKUlT_T0_E_clISt17integral_constantIbLb1EES13_EEDaSY_SZ_EUlSY_E_NS1_11comp_targetILNS1_3genE9ELNS1_11target_archE1100ELNS1_3gpuE3ELNS1_3repE0EEENS1_30default_config_static_selectorELNS0_4arch9wavefront6targetE1EEEvT1_.kd
    .uniform_work_group_size: 1
    .uses_dynamic_stack: false
    .vgpr_count:     0
    .vgpr_spill_count: 0
    .wavefront_size: 64
  - .args:
      - .offset:         0
        .size:           144
        .value_kind:     by_value
    .group_segment_fixed_size: 0
    .kernarg_segment_align: 8
    .kernarg_segment_size: 144
    .language:       OpenCL C
    .language_version:
      - 2
      - 0
    .max_flat_workgroup_size: 256
    .name:           _ZN7rocprim17ROCPRIM_400000_NS6detail17trampoline_kernelINS0_14default_configENS1_29reduce_by_key_config_selectorIilN6thrust23THRUST_200600_302600_NS4plusIlEEEEZZNS1_33reduce_by_key_impl_wrapped_configILNS1_25lookback_scan_determinismE0ES3_S9_PiNS6_17constant_iteratorIiNS6_11use_defaultESE_EENS6_10device_ptrIiEENSG_IlEEPmS8_NS6_8equal_toIiEEEE10hipError_tPvRmT2_T3_mT4_T5_T6_T7_T8_P12ihipStream_tbENKUlT_T0_E_clISt17integral_constantIbLb1EES13_EEDaSY_SZ_EUlSY_E_NS1_11comp_targetILNS1_3genE8ELNS1_11target_archE1030ELNS1_3gpuE2ELNS1_3repE0EEENS1_30default_config_static_selectorELNS0_4arch9wavefront6targetE1EEEvT1_
    .private_segment_fixed_size: 0
    .sgpr_count:     4
    .sgpr_spill_count: 0
    .symbol:         _ZN7rocprim17ROCPRIM_400000_NS6detail17trampoline_kernelINS0_14default_configENS1_29reduce_by_key_config_selectorIilN6thrust23THRUST_200600_302600_NS4plusIlEEEEZZNS1_33reduce_by_key_impl_wrapped_configILNS1_25lookback_scan_determinismE0ES3_S9_PiNS6_17constant_iteratorIiNS6_11use_defaultESE_EENS6_10device_ptrIiEENSG_IlEEPmS8_NS6_8equal_toIiEEEE10hipError_tPvRmT2_T3_mT4_T5_T6_T7_T8_P12ihipStream_tbENKUlT_T0_E_clISt17integral_constantIbLb1EES13_EEDaSY_SZ_EUlSY_E_NS1_11comp_targetILNS1_3genE8ELNS1_11target_archE1030ELNS1_3gpuE2ELNS1_3repE0EEENS1_30default_config_static_selectorELNS0_4arch9wavefront6targetE1EEEvT1_.kd
    .uniform_work_group_size: 1
    .uses_dynamic_stack: false
    .vgpr_count:     0
    .vgpr_spill_count: 0
    .wavefront_size: 64
  - .args:
      - .offset:         0
        .size:           144
        .value_kind:     by_value
    .group_segment_fixed_size: 0
    .kernarg_segment_align: 8
    .kernarg_segment_size: 144
    .language:       OpenCL C
    .language_version:
      - 2
      - 0
    .max_flat_workgroup_size: 256
    .name:           _ZN7rocprim17ROCPRIM_400000_NS6detail17trampoline_kernelINS0_14default_configENS1_29reduce_by_key_config_selectorIilN6thrust23THRUST_200600_302600_NS4plusIlEEEEZZNS1_33reduce_by_key_impl_wrapped_configILNS1_25lookback_scan_determinismE0ES3_S9_PiNS6_17constant_iteratorIiNS6_11use_defaultESE_EENS6_10device_ptrIiEENSG_IlEEPmS8_NS6_8equal_toIiEEEE10hipError_tPvRmT2_T3_mT4_T5_T6_T7_T8_P12ihipStream_tbENKUlT_T0_E_clISt17integral_constantIbLb1EES12_IbLb0EEEEDaSY_SZ_EUlSY_E_NS1_11comp_targetILNS1_3genE0ELNS1_11target_archE4294967295ELNS1_3gpuE0ELNS1_3repE0EEENS1_30default_config_static_selectorELNS0_4arch9wavefront6targetE1EEEvT1_
    .private_segment_fixed_size: 0
    .sgpr_count:     4
    .sgpr_spill_count: 0
    .symbol:         _ZN7rocprim17ROCPRIM_400000_NS6detail17trampoline_kernelINS0_14default_configENS1_29reduce_by_key_config_selectorIilN6thrust23THRUST_200600_302600_NS4plusIlEEEEZZNS1_33reduce_by_key_impl_wrapped_configILNS1_25lookback_scan_determinismE0ES3_S9_PiNS6_17constant_iteratorIiNS6_11use_defaultESE_EENS6_10device_ptrIiEENSG_IlEEPmS8_NS6_8equal_toIiEEEE10hipError_tPvRmT2_T3_mT4_T5_T6_T7_T8_P12ihipStream_tbENKUlT_T0_E_clISt17integral_constantIbLb1EES12_IbLb0EEEEDaSY_SZ_EUlSY_E_NS1_11comp_targetILNS1_3genE0ELNS1_11target_archE4294967295ELNS1_3gpuE0ELNS1_3repE0EEENS1_30default_config_static_selectorELNS0_4arch9wavefront6targetE1EEEvT1_.kd
    .uniform_work_group_size: 1
    .uses_dynamic_stack: false
    .vgpr_count:     0
    .vgpr_spill_count: 0
    .wavefront_size: 64
  - .args:
      - .offset:         0
        .size:           144
        .value_kind:     by_value
    .group_segment_fixed_size: 0
    .kernarg_segment_align: 8
    .kernarg_segment_size: 144
    .language:       OpenCL C
    .language_version:
      - 2
      - 0
    .max_flat_workgroup_size: 256
    .name:           _ZN7rocprim17ROCPRIM_400000_NS6detail17trampoline_kernelINS0_14default_configENS1_29reduce_by_key_config_selectorIilN6thrust23THRUST_200600_302600_NS4plusIlEEEEZZNS1_33reduce_by_key_impl_wrapped_configILNS1_25lookback_scan_determinismE0ES3_S9_PiNS6_17constant_iteratorIiNS6_11use_defaultESE_EENS6_10device_ptrIiEENSG_IlEEPmS8_NS6_8equal_toIiEEEE10hipError_tPvRmT2_T3_mT4_T5_T6_T7_T8_P12ihipStream_tbENKUlT_T0_E_clISt17integral_constantIbLb1EES12_IbLb0EEEEDaSY_SZ_EUlSY_E_NS1_11comp_targetILNS1_3genE5ELNS1_11target_archE942ELNS1_3gpuE9ELNS1_3repE0EEENS1_30default_config_static_selectorELNS0_4arch9wavefront6targetE1EEEvT1_
    .private_segment_fixed_size: 0
    .sgpr_count:     4
    .sgpr_spill_count: 0
    .symbol:         _ZN7rocprim17ROCPRIM_400000_NS6detail17trampoline_kernelINS0_14default_configENS1_29reduce_by_key_config_selectorIilN6thrust23THRUST_200600_302600_NS4plusIlEEEEZZNS1_33reduce_by_key_impl_wrapped_configILNS1_25lookback_scan_determinismE0ES3_S9_PiNS6_17constant_iteratorIiNS6_11use_defaultESE_EENS6_10device_ptrIiEENSG_IlEEPmS8_NS6_8equal_toIiEEEE10hipError_tPvRmT2_T3_mT4_T5_T6_T7_T8_P12ihipStream_tbENKUlT_T0_E_clISt17integral_constantIbLb1EES12_IbLb0EEEEDaSY_SZ_EUlSY_E_NS1_11comp_targetILNS1_3genE5ELNS1_11target_archE942ELNS1_3gpuE9ELNS1_3repE0EEENS1_30default_config_static_selectorELNS0_4arch9wavefront6targetE1EEEvT1_.kd
    .uniform_work_group_size: 1
    .uses_dynamic_stack: false
    .vgpr_count:     0
    .vgpr_spill_count: 0
    .wavefront_size: 64
  - .args:
      - .offset:         0
        .size:           144
        .value_kind:     by_value
    .group_segment_fixed_size: 0
    .kernarg_segment_align: 8
    .kernarg_segment_size: 144
    .language:       OpenCL C
    .language_version:
      - 2
      - 0
    .max_flat_workgroup_size: 256
    .name:           _ZN7rocprim17ROCPRIM_400000_NS6detail17trampoline_kernelINS0_14default_configENS1_29reduce_by_key_config_selectorIilN6thrust23THRUST_200600_302600_NS4plusIlEEEEZZNS1_33reduce_by_key_impl_wrapped_configILNS1_25lookback_scan_determinismE0ES3_S9_PiNS6_17constant_iteratorIiNS6_11use_defaultESE_EENS6_10device_ptrIiEENSG_IlEEPmS8_NS6_8equal_toIiEEEE10hipError_tPvRmT2_T3_mT4_T5_T6_T7_T8_P12ihipStream_tbENKUlT_T0_E_clISt17integral_constantIbLb1EES12_IbLb0EEEEDaSY_SZ_EUlSY_E_NS1_11comp_targetILNS1_3genE4ELNS1_11target_archE910ELNS1_3gpuE8ELNS1_3repE0EEENS1_30default_config_static_selectorELNS0_4arch9wavefront6targetE1EEEvT1_
    .private_segment_fixed_size: 0
    .sgpr_count:     4
    .sgpr_spill_count: 0
    .symbol:         _ZN7rocprim17ROCPRIM_400000_NS6detail17trampoline_kernelINS0_14default_configENS1_29reduce_by_key_config_selectorIilN6thrust23THRUST_200600_302600_NS4plusIlEEEEZZNS1_33reduce_by_key_impl_wrapped_configILNS1_25lookback_scan_determinismE0ES3_S9_PiNS6_17constant_iteratorIiNS6_11use_defaultESE_EENS6_10device_ptrIiEENSG_IlEEPmS8_NS6_8equal_toIiEEEE10hipError_tPvRmT2_T3_mT4_T5_T6_T7_T8_P12ihipStream_tbENKUlT_T0_E_clISt17integral_constantIbLb1EES12_IbLb0EEEEDaSY_SZ_EUlSY_E_NS1_11comp_targetILNS1_3genE4ELNS1_11target_archE910ELNS1_3gpuE8ELNS1_3repE0EEENS1_30default_config_static_selectorELNS0_4arch9wavefront6targetE1EEEvT1_.kd
    .uniform_work_group_size: 1
    .uses_dynamic_stack: false
    .vgpr_count:     0
    .vgpr_spill_count: 0
    .wavefront_size: 64
  - .args:
      - .offset:         0
        .size:           144
        .value_kind:     by_value
    .group_segment_fixed_size: 0
    .kernarg_segment_align: 8
    .kernarg_segment_size: 144
    .language:       OpenCL C
    .language_version:
      - 2
      - 0
    .max_flat_workgroup_size: 256
    .name:           _ZN7rocprim17ROCPRIM_400000_NS6detail17trampoline_kernelINS0_14default_configENS1_29reduce_by_key_config_selectorIilN6thrust23THRUST_200600_302600_NS4plusIlEEEEZZNS1_33reduce_by_key_impl_wrapped_configILNS1_25lookback_scan_determinismE0ES3_S9_PiNS6_17constant_iteratorIiNS6_11use_defaultESE_EENS6_10device_ptrIiEENSG_IlEEPmS8_NS6_8equal_toIiEEEE10hipError_tPvRmT2_T3_mT4_T5_T6_T7_T8_P12ihipStream_tbENKUlT_T0_E_clISt17integral_constantIbLb1EES12_IbLb0EEEEDaSY_SZ_EUlSY_E_NS1_11comp_targetILNS1_3genE3ELNS1_11target_archE908ELNS1_3gpuE7ELNS1_3repE0EEENS1_30default_config_static_selectorELNS0_4arch9wavefront6targetE1EEEvT1_
    .private_segment_fixed_size: 0
    .sgpr_count:     4
    .sgpr_spill_count: 0
    .symbol:         _ZN7rocprim17ROCPRIM_400000_NS6detail17trampoline_kernelINS0_14default_configENS1_29reduce_by_key_config_selectorIilN6thrust23THRUST_200600_302600_NS4plusIlEEEEZZNS1_33reduce_by_key_impl_wrapped_configILNS1_25lookback_scan_determinismE0ES3_S9_PiNS6_17constant_iteratorIiNS6_11use_defaultESE_EENS6_10device_ptrIiEENSG_IlEEPmS8_NS6_8equal_toIiEEEE10hipError_tPvRmT2_T3_mT4_T5_T6_T7_T8_P12ihipStream_tbENKUlT_T0_E_clISt17integral_constantIbLb1EES12_IbLb0EEEEDaSY_SZ_EUlSY_E_NS1_11comp_targetILNS1_3genE3ELNS1_11target_archE908ELNS1_3gpuE7ELNS1_3repE0EEENS1_30default_config_static_selectorELNS0_4arch9wavefront6targetE1EEEvT1_.kd
    .uniform_work_group_size: 1
    .uses_dynamic_stack: false
    .vgpr_count:     0
    .vgpr_spill_count: 0
    .wavefront_size: 64
  - .args:
      - .offset:         0
        .size:           144
        .value_kind:     by_value
    .group_segment_fixed_size: 0
    .kernarg_segment_align: 8
    .kernarg_segment_size: 144
    .language:       OpenCL C
    .language_version:
      - 2
      - 0
    .max_flat_workgroup_size: 256
    .name:           _ZN7rocprim17ROCPRIM_400000_NS6detail17trampoline_kernelINS0_14default_configENS1_29reduce_by_key_config_selectorIilN6thrust23THRUST_200600_302600_NS4plusIlEEEEZZNS1_33reduce_by_key_impl_wrapped_configILNS1_25lookback_scan_determinismE0ES3_S9_PiNS6_17constant_iteratorIiNS6_11use_defaultESE_EENS6_10device_ptrIiEENSG_IlEEPmS8_NS6_8equal_toIiEEEE10hipError_tPvRmT2_T3_mT4_T5_T6_T7_T8_P12ihipStream_tbENKUlT_T0_E_clISt17integral_constantIbLb1EES12_IbLb0EEEEDaSY_SZ_EUlSY_E_NS1_11comp_targetILNS1_3genE2ELNS1_11target_archE906ELNS1_3gpuE6ELNS1_3repE0EEENS1_30default_config_static_selectorELNS0_4arch9wavefront6targetE1EEEvT1_
    .private_segment_fixed_size: 0
    .sgpr_count:     4
    .sgpr_spill_count: 0
    .symbol:         _ZN7rocprim17ROCPRIM_400000_NS6detail17trampoline_kernelINS0_14default_configENS1_29reduce_by_key_config_selectorIilN6thrust23THRUST_200600_302600_NS4plusIlEEEEZZNS1_33reduce_by_key_impl_wrapped_configILNS1_25lookback_scan_determinismE0ES3_S9_PiNS6_17constant_iteratorIiNS6_11use_defaultESE_EENS6_10device_ptrIiEENSG_IlEEPmS8_NS6_8equal_toIiEEEE10hipError_tPvRmT2_T3_mT4_T5_T6_T7_T8_P12ihipStream_tbENKUlT_T0_E_clISt17integral_constantIbLb1EES12_IbLb0EEEEDaSY_SZ_EUlSY_E_NS1_11comp_targetILNS1_3genE2ELNS1_11target_archE906ELNS1_3gpuE6ELNS1_3repE0EEENS1_30default_config_static_selectorELNS0_4arch9wavefront6targetE1EEEvT1_.kd
    .uniform_work_group_size: 1
    .uses_dynamic_stack: false
    .vgpr_count:     0
    .vgpr_spill_count: 0
    .wavefront_size: 64
  - .args:
      - .offset:         0
        .size:           144
        .value_kind:     by_value
    .group_segment_fixed_size: 0
    .kernarg_segment_align: 8
    .kernarg_segment_size: 144
    .language:       OpenCL C
    .language_version:
      - 2
      - 0
    .max_flat_workgroup_size: 256
    .name:           _ZN7rocprim17ROCPRIM_400000_NS6detail17trampoline_kernelINS0_14default_configENS1_29reduce_by_key_config_selectorIilN6thrust23THRUST_200600_302600_NS4plusIlEEEEZZNS1_33reduce_by_key_impl_wrapped_configILNS1_25lookback_scan_determinismE0ES3_S9_PiNS6_17constant_iteratorIiNS6_11use_defaultESE_EENS6_10device_ptrIiEENSG_IlEEPmS8_NS6_8equal_toIiEEEE10hipError_tPvRmT2_T3_mT4_T5_T6_T7_T8_P12ihipStream_tbENKUlT_T0_E_clISt17integral_constantIbLb1EES12_IbLb0EEEEDaSY_SZ_EUlSY_E_NS1_11comp_targetILNS1_3genE10ELNS1_11target_archE1201ELNS1_3gpuE5ELNS1_3repE0EEENS1_30default_config_static_selectorELNS0_4arch9wavefront6targetE1EEEvT1_
    .private_segment_fixed_size: 0
    .sgpr_count:     4
    .sgpr_spill_count: 0
    .symbol:         _ZN7rocprim17ROCPRIM_400000_NS6detail17trampoline_kernelINS0_14default_configENS1_29reduce_by_key_config_selectorIilN6thrust23THRUST_200600_302600_NS4plusIlEEEEZZNS1_33reduce_by_key_impl_wrapped_configILNS1_25lookback_scan_determinismE0ES3_S9_PiNS6_17constant_iteratorIiNS6_11use_defaultESE_EENS6_10device_ptrIiEENSG_IlEEPmS8_NS6_8equal_toIiEEEE10hipError_tPvRmT2_T3_mT4_T5_T6_T7_T8_P12ihipStream_tbENKUlT_T0_E_clISt17integral_constantIbLb1EES12_IbLb0EEEEDaSY_SZ_EUlSY_E_NS1_11comp_targetILNS1_3genE10ELNS1_11target_archE1201ELNS1_3gpuE5ELNS1_3repE0EEENS1_30default_config_static_selectorELNS0_4arch9wavefront6targetE1EEEvT1_.kd
    .uniform_work_group_size: 1
    .uses_dynamic_stack: false
    .vgpr_count:     0
    .vgpr_spill_count: 0
    .wavefront_size: 64
  - .args:
      - .offset:         0
        .size:           144
        .value_kind:     by_value
    .group_segment_fixed_size: 0
    .kernarg_segment_align: 8
    .kernarg_segment_size: 144
    .language:       OpenCL C
    .language_version:
      - 2
      - 0
    .max_flat_workgroup_size: 256
    .name:           _ZN7rocprim17ROCPRIM_400000_NS6detail17trampoline_kernelINS0_14default_configENS1_29reduce_by_key_config_selectorIilN6thrust23THRUST_200600_302600_NS4plusIlEEEEZZNS1_33reduce_by_key_impl_wrapped_configILNS1_25lookback_scan_determinismE0ES3_S9_PiNS6_17constant_iteratorIiNS6_11use_defaultESE_EENS6_10device_ptrIiEENSG_IlEEPmS8_NS6_8equal_toIiEEEE10hipError_tPvRmT2_T3_mT4_T5_T6_T7_T8_P12ihipStream_tbENKUlT_T0_E_clISt17integral_constantIbLb1EES12_IbLb0EEEEDaSY_SZ_EUlSY_E_NS1_11comp_targetILNS1_3genE10ELNS1_11target_archE1200ELNS1_3gpuE4ELNS1_3repE0EEENS1_30default_config_static_selectorELNS0_4arch9wavefront6targetE1EEEvT1_
    .private_segment_fixed_size: 0
    .sgpr_count:     4
    .sgpr_spill_count: 0
    .symbol:         _ZN7rocprim17ROCPRIM_400000_NS6detail17trampoline_kernelINS0_14default_configENS1_29reduce_by_key_config_selectorIilN6thrust23THRUST_200600_302600_NS4plusIlEEEEZZNS1_33reduce_by_key_impl_wrapped_configILNS1_25lookback_scan_determinismE0ES3_S9_PiNS6_17constant_iteratorIiNS6_11use_defaultESE_EENS6_10device_ptrIiEENSG_IlEEPmS8_NS6_8equal_toIiEEEE10hipError_tPvRmT2_T3_mT4_T5_T6_T7_T8_P12ihipStream_tbENKUlT_T0_E_clISt17integral_constantIbLb1EES12_IbLb0EEEEDaSY_SZ_EUlSY_E_NS1_11comp_targetILNS1_3genE10ELNS1_11target_archE1200ELNS1_3gpuE4ELNS1_3repE0EEENS1_30default_config_static_selectorELNS0_4arch9wavefront6targetE1EEEvT1_.kd
    .uniform_work_group_size: 1
    .uses_dynamic_stack: false
    .vgpr_count:     0
    .vgpr_spill_count: 0
    .wavefront_size: 64
  - .args:
      - .offset:         0
        .size:           144
        .value_kind:     by_value
    .group_segment_fixed_size: 0
    .kernarg_segment_align: 8
    .kernarg_segment_size: 144
    .language:       OpenCL C
    .language_version:
      - 2
      - 0
    .max_flat_workgroup_size: 256
    .name:           _ZN7rocprim17ROCPRIM_400000_NS6detail17trampoline_kernelINS0_14default_configENS1_29reduce_by_key_config_selectorIilN6thrust23THRUST_200600_302600_NS4plusIlEEEEZZNS1_33reduce_by_key_impl_wrapped_configILNS1_25lookback_scan_determinismE0ES3_S9_PiNS6_17constant_iteratorIiNS6_11use_defaultESE_EENS6_10device_ptrIiEENSG_IlEEPmS8_NS6_8equal_toIiEEEE10hipError_tPvRmT2_T3_mT4_T5_T6_T7_T8_P12ihipStream_tbENKUlT_T0_E_clISt17integral_constantIbLb1EES12_IbLb0EEEEDaSY_SZ_EUlSY_E_NS1_11comp_targetILNS1_3genE9ELNS1_11target_archE1100ELNS1_3gpuE3ELNS1_3repE0EEENS1_30default_config_static_selectorELNS0_4arch9wavefront6targetE1EEEvT1_
    .private_segment_fixed_size: 0
    .sgpr_count:     4
    .sgpr_spill_count: 0
    .symbol:         _ZN7rocprim17ROCPRIM_400000_NS6detail17trampoline_kernelINS0_14default_configENS1_29reduce_by_key_config_selectorIilN6thrust23THRUST_200600_302600_NS4plusIlEEEEZZNS1_33reduce_by_key_impl_wrapped_configILNS1_25lookback_scan_determinismE0ES3_S9_PiNS6_17constant_iteratorIiNS6_11use_defaultESE_EENS6_10device_ptrIiEENSG_IlEEPmS8_NS6_8equal_toIiEEEE10hipError_tPvRmT2_T3_mT4_T5_T6_T7_T8_P12ihipStream_tbENKUlT_T0_E_clISt17integral_constantIbLb1EES12_IbLb0EEEEDaSY_SZ_EUlSY_E_NS1_11comp_targetILNS1_3genE9ELNS1_11target_archE1100ELNS1_3gpuE3ELNS1_3repE0EEENS1_30default_config_static_selectorELNS0_4arch9wavefront6targetE1EEEvT1_.kd
    .uniform_work_group_size: 1
    .uses_dynamic_stack: false
    .vgpr_count:     0
    .vgpr_spill_count: 0
    .wavefront_size: 64
  - .args:
      - .offset:         0
        .size:           144
        .value_kind:     by_value
    .group_segment_fixed_size: 0
    .kernarg_segment_align: 8
    .kernarg_segment_size: 144
    .language:       OpenCL C
    .language_version:
      - 2
      - 0
    .max_flat_workgroup_size: 256
    .name:           _ZN7rocprim17ROCPRIM_400000_NS6detail17trampoline_kernelINS0_14default_configENS1_29reduce_by_key_config_selectorIilN6thrust23THRUST_200600_302600_NS4plusIlEEEEZZNS1_33reduce_by_key_impl_wrapped_configILNS1_25lookback_scan_determinismE0ES3_S9_PiNS6_17constant_iteratorIiNS6_11use_defaultESE_EENS6_10device_ptrIiEENSG_IlEEPmS8_NS6_8equal_toIiEEEE10hipError_tPvRmT2_T3_mT4_T5_T6_T7_T8_P12ihipStream_tbENKUlT_T0_E_clISt17integral_constantIbLb1EES12_IbLb0EEEEDaSY_SZ_EUlSY_E_NS1_11comp_targetILNS1_3genE8ELNS1_11target_archE1030ELNS1_3gpuE2ELNS1_3repE0EEENS1_30default_config_static_selectorELNS0_4arch9wavefront6targetE1EEEvT1_
    .private_segment_fixed_size: 0
    .sgpr_count:     4
    .sgpr_spill_count: 0
    .symbol:         _ZN7rocprim17ROCPRIM_400000_NS6detail17trampoline_kernelINS0_14default_configENS1_29reduce_by_key_config_selectorIilN6thrust23THRUST_200600_302600_NS4plusIlEEEEZZNS1_33reduce_by_key_impl_wrapped_configILNS1_25lookback_scan_determinismE0ES3_S9_PiNS6_17constant_iteratorIiNS6_11use_defaultESE_EENS6_10device_ptrIiEENSG_IlEEPmS8_NS6_8equal_toIiEEEE10hipError_tPvRmT2_T3_mT4_T5_T6_T7_T8_P12ihipStream_tbENKUlT_T0_E_clISt17integral_constantIbLb1EES12_IbLb0EEEEDaSY_SZ_EUlSY_E_NS1_11comp_targetILNS1_3genE8ELNS1_11target_archE1030ELNS1_3gpuE2ELNS1_3repE0EEENS1_30default_config_static_selectorELNS0_4arch9wavefront6targetE1EEEvT1_.kd
    .uniform_work_group_size: 1
    .uses_dynamic_stack: false
    .vgpr_count:     0
    .vgpr_spill_count: 0
    .wavefront_size: 64
  - .args:
      - .offset:         0
        .size:           144
        .value_kind:     by_value
    .group_segment_fixed_size: 0
    .kernarg_segment_align: 8
    .kernarg_segment_size: 144
    .language:       OpenCL C
    .language_version:
      - 2
      - 0
    .max_flat_workgroup_size: 256
    .name:           _ZN7rocprim17ROCPRIM_400000_NS6detail17trampoline_kernelINS0_14default_configENS1_29reduce_by_key_config_selectorIilN6thrust23THRUST_200600_302600_NS4plusIlEEEEZZNS1_33reduce_by_key_impl_wrapped_configILNS1_25lookback_scan_determinismE0ES3_S9_PiNS6_17constant_iteratorIiNS6_11use_defaultESE_EENS6_10device_ptrIiEENSG_IlEEPmS8_NS6_8equal_toIiEEEE10hipError_tPvRmT2_T3_mT4_T5_T6_T7_T8_P12ihipStream_tbENKUlT_T0_E_clISt17integral_constantIbLb0EES12_IbLb1EEEEDaSY_SZ_EUlSY_E_NS1_11comp_targetILNS1_3genE0ELNS1_11target_archE4294967295ELNS1_3gpuE0ELNS1_3repE0EEENS1_30default_config_static_selectorELNS0_4arch9wavefront6targetE1EEEvT1_
    .private_segment_fixed_size: 0
    .sgpr_count:     4
    .sgpr_spill_count: 0
    .symbol:         _ZN7rocprim17ROCPRIM_400000_NS6detail17trampoline_kernelINS0_14default_configENS1_29reduce_by_key_config_selectorIilN6thrust23THRUST_200600_302600_NS4plusIlEEEEZZNS1_33reduce_by_key_impl_wrapped_configILNS1_25lookback_scan_determinismE0ES3_S9_PiNS6_17constant_iteratorIiNS6_11use_defaultESE_EENS6_10device_ptrIiEENSG_IlEEPmS8_NS6_8equal_toIiEEEE10hipError_tPvRmT2_T3_mT4_T5_T6_T7_T8_P12ihipStream_tbENKUlT_T0_E_clISt17integral_constantIbLb0EES12_IbLb1EEEEDaSY_SZ_EUlSY_E_NS1_11comp_targetILNS1_3genE0ELNS1_11target_archE4294967295ELNS1_3gpuE0ELNS1_3repE0EEENS1_30default_config_static_selectorELNS0_4arch9wavefront6targetE1EEEvT1_.kd
    .uniform_work_group_size: 1
    .uses_dynamic_stack: false
    .vgpr_count:     0
    .vgpr_spill_count: 0
    .wavefront_size: 64
  - .args:
      - .offset:         0
        .size:           144
        .value_kind:     by_value
    .group_segment_fixed_size: 0
    .kernarg_segment_align: 8
    .kernarg_segment_size: 144
    .language:       OpenCL C
    .language_version:
      - 2
      - 0
    .max_flat_workgroup_size: 256
    .name:           _ZN7rocprim17ROCPRIM_400000_NS6detail17trampoline_kernelINS0_14default_configENS1_29reduce_by_key_config_selectorIilN6thrust23THRUST_200600_302600_NS4plusIlEEEEZZNS1_33reduce_by_key_impl_wrapped_configILNS1_25lookback_scan_determinismE0ES3_S9_PiNS6_17constant_iteratorIiNS6_11use_defaultESE_EENS6_10device_ptrIiEENSG_IlEEPmS8_NS6_8equal_toIiEEEE10hipError_tPvRmT2_T3_mT4_T5_T6_T7_T8_P12ihipStream_tbENKUlT_T0_E_clISt17integral_constantIbLb0EES12_IbLb1EEEEDaSY_SZ_EUlSY_E_NS1_11comp_targetILNS1_3genE5ELNS1_11target_archE942ELNS1_3gpuE9ELNS1_3repE0EEENS1_30default_config_static_selectorELNS0_4arch9wavefront6targetE1EEEvT1_
    .private_segment_fixed_size: 0
    .sgpr_count:     4
    .sgpr_spill_count: 0
    .symbol:         _ZN7rocprim17ROCPRIM_400000_NS6detail17trampoline_kernelINS0_14default_configENS1_29reduce_by_key_config_selectorIilN6thrust23THRUST_200600_302600_NS4plusIlEEEEZZNS1_33reduce_by_key_impl_wrapped_configILNS1_25lookback_scan_determinismE0ES3_S9_PiNS6_17constant_iteratorIiNS6_11use_defaultESE_EENS6_10device_ptrIiEENSG_IlEEPmS8_NS6_8equal_toIiEEEE10hipError_tPvRmT2_T3_mT4_T5_T6_T7_T8_P12ihipStream_tbENKUlT_T0_E_clISt17integral_constantIbLb0EES12_IbLb1EEEEDaSY_SZ_EUlSY_E_NS1_11comp_targetILNS1_3genE5ELNS1_11target_archE942ELNS1_3gpuE9ELNS1_3repE0EEENS1_30default_config_static_selectorELNS0_4arch9wavefront6targetE1EEEvT1_.kd
    .uniform_work_group_size: 1
    .uses_dynamic_stack: false
    .vgpr_count:     0
    .vgpr_spill_count: 0
    .wavefront_size: 64
  - .args:
      - .offset:         0
        .size:           144
        .value_kind:     by_value
    .group_segment_fixed_size: 0
    .kernarg_segment_align: 8
    .kernarg_segment_size: 144
    .language:       OpenCL C
    .language_version:
      - 2
      - 0
    .max_flat_workgroup_size: 256
    .name:           _ZN7rocprim17ROCPRIM_400000_NS6detail17trampoline_kernelINS0_14default_configENS1_29reduce_by_key_config_selectorIilN6thrust23THRUST_200600_302600_NS4plusIlEEEEZZNS1_33reduce_by_key_impl_wrapped_configILNS1_25lookback_scan_determinismE0ES3_S9_PiNS6_17constant_iteratorIiNS6_11use_defaultESE_EENS6_10device_ptrIiEENSG_IlEEPmS8_NS6_8equal_toIiEEEE10hipError_tPvRmT2_T3_mT4_T5_T6_T7_T8_P12ihipStream_tbENKUlT_T0_E_clISt17integral_constantIbLb0EES12_IbLb1EEEEDaSY_SZ_EUlSY_E_NS1_11comp_targetILNS1_3genE4ELNS1_11target_archE910ELNS1_3gpuE8ELNS1_3repE0EEENS1_30default_config_static_selectorELNS0_4arch9wavefront6targetE1EEEvT1_
    .private_segment_fixed_size: 0
    .sgpr_count:     4
    .sgpr_spill_count: 0
    .symbol:         _ZN7rocprim17ROCPRIM_400000_NS6detail17trampoline_kernelINS0_14default_configENS1_29reduce_by_key_config_selectorIilN6thrust23THRUST_200600_302600_NS4plusIlEEEEZZNS1_33reduce_by_key_impl_wrapped_configILNS1_25lookback_scan_determinismE0ES3_S9_PiNS6_17constant_iteratorIiNS6_11use_defaultESE_EENS6_10device_ptrIiEENSG_IlEEPmS8_NS6_8equal_toIiEEEE10hipError_tPvRmT2_T3_mT4_T5_T6_T7_T8_P12ihipStream_tbENKUlT_T0_E_clISt17integral_constantIbLb0EES12_IbLb1EEEEDaSY_SZ_EUlSY_E_NS1_11comp_targetILNS1_3genE4ELNS1_11target_archE910ELNS1_3gpuE8ELNS1_3repE0EEENS1_30default_config_static_selectorELNS0_4arch9wavefront6targetE1EEEvT1_.kd
    .uniform_work_group_size: 1
    .uses_dynamic_stack: false
    .vgpr_count:     0
    .vgpr_spill_count: 0
    .wavefront_size: 64
  - .args:
      - .offset:         0
        .size:           144
        .value_kind:     by_value
    .group_segment_fixed_size: 0
    .kernarg_segment_align: 8
    .kernarg_segment_size: 144
    .language:       OpenCL C
    .language_version:
      - 2
      - 0
    .max_flat_workgroup_size: 256
    .name:           _ZN7rocprim17ROCPRIM_400000_NS6detail17trampoline_kernelINS0_14default_configENS1_29reduce_by_key_config_selectorIilN6thrust23THRUST_200600_302600_NS4plusIlEEEEZZNS1_33reduce_by_key_impl_wrapped_configILNS1_25lookback_scan_determinismE0ES3_S9_PiNS6_17constant_iteratorIiNS6_11use_defaultESE_EENS6_10device_ptrIiEENSG_IlEEPmS8_NS6_8equal_toIiEEEE10hipError_tPvRmT2_T3_mT4_T5_T6_T7_T8_P12ihipStream_tbENKUlT_T0_E_clISt17integral_constantIbLb0EES12_IbLb1EEEEDaSY_SZ_EUlSY_E_NS1_11comp_targetILNS1_3genE3ELNS1_11target_archE908ELNS1_3gpuE7ELNS1_3repE0EEENS1_30default_config_static_selectorELNS0_4arch9wavefront6targetE1EEEvT1_
    .private_segment_fixed_size: 0
    .sgpr_count:     4
    .sgpr_spill_count: 0
    .symbol:         _ZN7rocprim17ROCPRIM_400000_NS6detail17trampoline_kernelINS0_14default_configENS1_29reduce_by_key_config_selectorIilN6thrust23THRUST_200600_302600_NS4plusIlEEEEZZNS1_33reduce_by_key_impl_wrapped_configILNS1_25lookback_scan_determinismE0ES3_S9_PiNS6_17constant_iteratorIiNS6_11use_defaultESE_EENS6_10device_ptrIiEENSG_IlEEPmS8_NS6_8equal_toIiEEEE10hipError_tPvRmT2_T3_mT4_T5_T6_T7_T8_P12ihipStream_tbENKUlT_T0_E_clISt17integral_constantIbLb0EES12_IbLb1EEEEDaSY_SZ_EUlSY_E_NS1_11comp_targetILNS1_3genE3ELNS1_11target_archE908ELNS1_3gpuE7ELNS1_3repE0EEENS1_30default_config_static_selectorELNS0_4arch9wavefront6targetE1EEEvT1_.kd
    .uniform_work_group_size: 1
    .uses_dynamic_stack: false
    .vgpr_count:     0
    .vgpr_spill_count: 0
    .wavefront_size: 64
  - .args:
      - .offset:         0
        .size:           144
        .value_kind:     by_value
    .group_segment_fixed_size: 30720
    .kernarg_segment_align: 8
    .kernarg_segment_size: 144
    .language:       OpenCL C
    .language_version:
      - 2
      - 0
    .max_flat_workgroup_size: 256
    .name:           _ZN7rocprim17ROCPRIM_400000_NS6detail17trampoline_kernelINS0_14default_configENS1_29reduce_by_key_config_selectorIilN6thrust23THRUST_200600_302600_NS4plusIlEEEEZZNS1_33reduce_by_key_impl_wrapped_configILNS1_25lookback_scan_determinismE0ES3_S9_PiNS6_17constant_iteratorIiNS6_11use_defaultESE_EENS6_10device_ptrIiEENSG_IlEEPmS8_NS6_8equal_toIiEEEE10hipError_tPvRmT2_T3_mT4_T5_T6_T7_T8_P12ihipStream_tbENKUlT_T0_E_clISt17integral_constantIbLb0EES12_IbLb1EEEEDaSY_SZ_EUlSY_E_NS1_11comp_targetILNS1_3genE2ELNS1_11target_archE906ELNS1_3gpuE6ELNS1_3repE0EEENS1_30default_config_static_selectorELNS0_4arch9wavefront6targetE1EEEvT1_
    .private_segment_fixed_size: 64
    .sgpr_count:     72
    .sgpr_spill_count: 0
    .symbol:         _ZN7rocprim17ROCPRIM_400000_NS6detail17trampoline_kernelINS0_14default_configENS1_29reduce_by_key_config_selectorIilN6thrust23THRUST_200600_302600_NS4plusIlEEEEZZNS1_33reduce_by_key_impl_wrapped_configILNS1_25lookback_scan_determinismE0ES3_S9_PiNS6_17constant_iteratorIiNS6_11use_defaultESE_EENS6_10device_ptrIiEENSG_IlEEPmS8_NS6_8equal_toIiEEEE10hipError_tPvRmT2_T3_mT4_T5_T6_T7_T8_P12ihipStream_tbENKUlT_T0_E_clISt17integral_constantIbLb0EES12_IbLb1EEEEDaSY_SZ_EUlSY_E_NS1_11comp_targetILNS1_3genE2ELNS1_11target_archE906ELNS1_3gpuE6ELNS1_3repE0EEENS1_30default_config_static_selectorELNS0_4arch9wavefront6targetE1EEEvT1_.kd
    .uniform_work_group_size: 1
    .uses_dynamic_stack: false
    .vgpr_count:     102
    .vgpr_spill_count: 0
    .wavefront_size: 64
  - .args:
      - .offset:         0
        .size:           144
        .value_kind:     by_value
    .group_segment_fixed_size: 0
    .kernarg_segment_align: 8
    .kernarg_segment_size: 144
    .language:       OpenCL C
    .language_version:
      - 2
      - 0
    .max_flat_workgroup_size: 256
    .name:           _ZN7rocprim17ROCPRIM_400000_NS6detail17trampoline_kernelINS0_14default_configENS1_29reduce_by_key_config_selectorIilN6thrust23THRUST_200600_302600_NS4plusIlEEEEZZNS1_33reduce_by_key_impl_wrapped_configILNS1_25lookback_scan_determinismE0ES3_S9_PiNS6_17constant_iteratorIiNS6_11use_defaultESE_EENS6_10device_ptrIiEENSG_IlEEPmS8_NS6_8equal_toIiEEEE10hipError_tPvRmT2_T3_mT4_T5_T6_T7_T8_P12ihipStream_tbENKUlT_T0_E_clISt17integral_constantIbLb0EES12_IbLb1EEEEDaSY_SZ_EUlSY_E_NS1_11comp_targetILNS1_3genE10ELNS1_11target_archE1201ELNS1_3gpuE5ELNS1_3repE0EEENS1_30default_config_static_selectorELNS0_4arch9wavefront6targetE1EEEvT1_
    .private_segment_fixed_size: 0
    .sgpr_count:     4
    .sgpr_spill_count: 0
    .symbol:         _ZN7rocprim17ROCPRIM_400000_NS6detail17trampoline_kernelINS0_14default_configENS1_29reduce_by_key_config_selectorIilN6thrust23THRUST_200600_302600_NS4plusIlEEEEZZNS1_33reduce_by_key_impl_wrapped_configILNS1_25lookback_scan_determinismE0ES3_S9_PiNS6_17constant_iteratorIiNS6_11use_defaultESE_EENS6_10device_ptrIiEENSG_IlEEPmS8_NS6_8equal_toIiEEEE10hipError_tPvRmT2_T3_mT4_T5_T6_T7_T8_P12ihipStream_tbENKUlT_T0_E_clISt17integral_constantIbLb0EES12_IbLb1EEEEDaSY_SZ_EUlSY_E_NS1_11comp_targetILNS1_3genE10ELNS1_11target_archE1201ELNS1_3gpuE5ELNS1_3repE0EEENS1_30default_config_static_selectorELNS0_4arch9wavefront6targetE1EEEvT1_.kd
    .uniform_work_group_size: 1
    .uses_dynamic_stack: false
    .vgpr_count:     0
    .vgpr_spill_count: 0
    .wavefront_size: 64
  - .args:
      - .offset:         0
        .size:           144
        .value_kind:     by_value
    .group_segment_fixed_size: 0
    .kernarg_segment_align: 8
    .kernarg_segment_size: 144
    .language:       OpenCL C
    .language_version:
      - 2
      - 0
    .max_flat_workgroup_size: 256
    .name:           _ZN7rocprim17ROCPRIM_400000_NS6detail17trampoline_kernelINS0_14default_configENS1_29reduce_by_key_config_selectorIilN6thrust23THRUST_200600_302600_NS4plusIlEEEEZZNS1_33reduce_by_key_impl_wrapped_configILNS1_25lookback_scan_determinismE0ES3_S9_PiNS6_17constant_iteratorIiNS6_11use_defaultESE_EENS6_10device_ptrIiEENSG_IlEEPmS8_NS6_8equal_toIiEEEE10hipError_tPvRmT2_T3_mT4_T5_T6_T7_T8_P12ihipStream_tbENKUlT_T0_E_clISt17integral_constantIbLb0EES12_IbLb1EEEEDaSY_SZ_EUlSY_E_NS1_11comp_targetILNS1_3genE10ELNS1_11target_archE1200ELNS1_3gpuE4ELNS1_3repE0EEENS1_30default_config_static_selectorELNS0_4arch9wavefront6targetE1EEEvT1_
    .private_segment_fixed_size: 0
    .sgpr_count:     4
    .sgpr_spill_count: 0
    .symbol:         _ZN7rocprim17ROCPRIM_400000_NS6detail17trampoline_kernelINS0_14default_configENS1_29reduce_by_key_config_selectorIilN6thrust23THRUST_200600_302600_NS4plusIlEEEEZZNS1_33reduce_by_key_impl_wrapped_configILNS1_25lookback_scan_determinismE0ES3_S9_PiNS6_17constant_iteratorIiNS6_11use_defaultESE_EENS6_10device_ptrIiEENSG_IlEEPmS8_NS6_8equal_toIiEEEE10hipError_tPvRmT2_T3_mT4_T5_T6_T7_T8_P12ihipStream_tbENKUlT_T0_E_clISt17integral_constantIbLb0EES12_IbLb1EEEEDaSY_SZ_EUlSY_E_NS1_11comp_targetILNS1_3genE10ELNS1_11target_archE1200ELNS1_3gpuE4ELNS1_3repE0EEENS1_30default_config_static_selectorELNS0_4arch9wavefront6targetE1EEEvT1_.kd
    .uniform_work_group_size: 1
    .uses_dynamic_stack: false
    .vgpr_count:     0
    .vgpr_spill_count: 0
    .wavefront_size: 64
  - .args:
      - .offset:         0
        .size:           144
        .value_kind:     by_value
    .group_segment_fixed_size: 0
    .kernarg_segment_align: 8
    .kernarg_segment_size: 144
    .language:       OpenCL C
    .language_version:
      - 2
      - 0
    .max_flat_workgroup_size: 256
    .name:           _ZN7rocprim17ROCPRIM_400000_NS6detail17trampoline_kernelINS0_14default_configENS1_29reduce_by_key_config_selectorIilN6thrust23THRUST_200600_302600_NS4plusIlEEEEZZNS1_33reduce_by_key_impl_wrapped_configILNS1_25lookback_scan_determinismE0ES3_S9_PiNS6_17constant_iteratorIiNS6_11use_defaultESE_EENS6_10device_ptrIiEENSG_IlEEPmS8_NS6_8equal_toIiEEEE10hipError_tPvRmT2_T3_mT4_T5_T6_T7_T8_P12ihipStream_tbENKUlT_T0_E_clISt17integral_constantIbLb0EES12_IbLb1EEEEDaSY_SZ_EUlSY_E_NS1_11comp_targetILNS1_3genE9ELNS1_11target_archE1100ELNS1_3gpuE3ELNS1_3repE0EEENS1_30default_config_static_selectorELNS0_4arch9wavefront6targetE1EEEvT1_
    .private_segment_fixed_size: 0
    .sgpr_count:     4
    .sgpr_spill_count: 0
    .symbol:         _ZN7rocprim17ROCPRIM_400000_NS6detail17trampoline_kernelINS0_14default_configENS1_29reduce_by_key_config_selectorIilN6thrust23THRUST_200600_302600_NS4plusIlEEEEZZNS1_33reduce_by_key_impl_wrapped_configILNS1_25lookback_scan_determinismE0ES3_S9_PiNS6_17constant_iteratorIiNS6_11use_defaultESE_EENS6_10device_ptrIiEENSG_IlEEPmS8_NS6_8equal_toIiEEEE10hipError_tPvRmT2_T3_mT4_T5_T6_T7_T8_P12ihipStream_tbENKUlT_T0_E_clISt17integral_constantIbLb0EES12_IbLb1EEEEDaSY_SZ_EUlSY_E_NS1_11comp_targetILNS1_3genE9ELNS1_11target_archE1100ELNS1_3gpuE3ELNS1_3repE0EEENS1_30default_config_static_selectorELNS0_4arch9wavefront6targetE1EEEvT1_.kd
    .uniform_work_group_size: 1
    .uses_dynamic_stack: false
    .vgpr_count:     0
    .vgpr_spill_count: 0
    .wavefront_size: 64
  - .args:
      - .offset:         0
        .size:           144
        .value_kind:     by_value
    .group_segment_fixed_size: 0
    .kernarg_segment_align: 8
    .kernarg_segment_size: 144
    .language:       OpenCL C
    .language_version:
      - 2
      - 0
    .max_flat_workgroup_size: 256
    .name:           _ZN7rocprim17ROCPRIM_400000_NS6detail17trampoline_kernelINS0_14default_configENS1_29reduce_by_key_config_selectorIilN6thrust23THRUST_200600_302600_NS4plusIlEEEEZZNS1_33reduce_by_key_impl_wrapped_configILNS1_25lookback_scan_determinismE0ES3_S9_PiNS6_17constant_iteratorIiNS6_11use_defaultESE_EENS6_10device_ptrIiEENSG_IlEEPmS8_NS6_8equal_toIiEEEE10hipError_tPvRmT2_T3_mT4_T5_T6_T7_T8_P12ihipStream_tbENKUlT_T0_E_clISt17integral_constantIbLb0EES12_IbLb1EEEEDaSY_SZ_EUlSY_E_NS1_11comp_targetILNS1_3genE8ELNS1_11target_archE1030ELNS1_3gpuE2ELNS1_3repE0EEENS1_30default_config_static_selectorELNS0_4arch9wavefront6targetE1EEEvT1_
    .private_segment_fixed_size: 0
    .sgpr_count:     4
    .sgpr_spill_count: 0
    .symbol:         _ZN7rocprim17ROCPRIM_400000_NS6detail17trampoline_kernelINS0_14default_configENS1_29reduce_by_key_config_selectorIilN6thrust23THRUST_200600_302600_NS4plusIlEEEEZZNS1_33reduce_by_key_impl_wrapped_configILNS1_25lookback_scan_determinismE0ES3_S9_PiNS6_17constant_iteratorIiNS6_11use_defaultESE_EENS6_10device_ptrIiEENSG_IlEEPmS8_NS6_8equal_toIiEEEE10hipError_tPvRmT2_T3_mT4_T5_T6_T7_T8_P12ihipStream_tbENKUlT_T0_E_clISt17integral_constantIbLb0EES12_IbLb1EEEEDaSY_SZ_EUlSY_E_NS1_11comp_targetILNS1_3genE8ELNS1_11target_archE1030ELNS1_3gpuE2ELNS1_3repE0EEENS1_30default_config_static_selectorELNS0_4arch9wavefront6targetE1EEEvT1_.kd
    .uniform_work_group_size: 1
    .uses_dynamic_stack: false
    .vgpr_count:     0
    .vgpr_spill_count: 0
    .wavefront_size: 64
  - .args:
      - .offset:         0
        .size:           88
        .value_kind:     by_value
    .group_segment_fixed_size: 0
    .kernarg_segment_align: 8
    .kernarg_segment_size: 88
    .language:       OpenCL C
    .language_version:
      - 2
      - 0
    .max_flat_workgroup_size: 128
    .name:           _ZN7rocprim17ROCPRIM_400000_NS6detail17trampoline_kernelINS0_14default_configENS1_22reduce_config_selectorIN6thrust23THRUST_200600_302600_NS5tupleIblNS6_9null_typeES8_S8_S8_S8_S8_S8_S8_EEEEZNS1_11reduce_implILb1ES3_NS6_12zip_iteratorINS7_INS6_11hip_rocprim26transform_input_iterator_tIbPiNS6_6detail10functional5actorINSH_9compositeIJNSH_27transparent_binary_operatorINS6_8equal_toIvEEEENSI_INSH_8argumentILj0EEEEENSH_5valueIiEEEEEEEEENSD_19counting_iterator_tIlEES8_S8_S8_S8_S8_S8_S8_S8_EEEEPS9_S9_NSD_9__find_if7functorIS9_EEEE10hipError_tPvRmT1_T2_T3_mT4_P12ihipStream_tbEUlT_E0_NS1_11comp_targetILNS1_3genE0ELNS1_11target_archE4294967295ELNS1_3gpuE0ELNS1_3repE0EEENS1_30default_config_static_selectorELNS0_4arch9wavefront6targetE1EEEvS17_
    .private_segment_fixed_size: 0
    .sgpr_count:     4
    .sgpr_spill_count: 0
    .symbol:         _ZN7rocprim17ROCPRIM_400000_NS6detail17trampoline_kernelINS0_14default_configENS1_22reduce_config_selectorIN6thrust23THRUST_200600_302600_NS5tupleIblNS6_9null_typeES8_S8_S8_S8_S8_S8_S8_EEEEZNS1_11reduce_implILb1ES3_NS6_12zip_iteratorINS7_INS6_11hip_rocprim26transform_input_iterator_tIbPiNS6_6detail10functional5actorINSH_9compositeIJNSH_27transparent_binary_operatorINS6_8equal_toIvEEEENSI_INSH_8argumentILj0EEEEENSH_5valueIiEEEEEEEEENSD_19counting_iterator_tIlEES8_S8_S8_S8_S8_S8_S8_S8_EEEEPS9_S9_NSD_9__find_if7functorIS9_EEEE10hipError_tPvRmT1_T2_T3_mT4_P12ihipStream_tbEUlT_E0_NS1_11comp_targetILNS1_3genE0ELNS1_11target_archE4294967295ELNS1_3gpuE0ELNS1_3repE0EEENS1_30default_config_static_selectorELNS0_4arch9wavefront6targetE1EEEvS17_.kd
    .uniform_work_group_size: 1
    .uses_dynamic_stack: false
    .vgpr_count:     0
    .vgpr_spill_count: 0
    .wavefront_size: 64
  - .args:
      - .offset:         0
        .size:           88
        .value_kind:     by_value
    .group_segment_fixed_size: 0
    .kernarg_segment_align: 8
    .kernarg_segment_size: 88
    .language:       OpenCL C
    .language_version:
      - 2
      - 0
    .max_flat_workgroup_size: 256
    .name:           _ZN7rocprim17ROCPRIM_400000_NS6detail17trampoline_kernelINS0_14default_configENS1_22reduce_config_selectorIN6thrust23THRUST_200600_302600_NS5tupleIblNS6_9null_typeES8_S8_S8_S8_S8_S8_S8_EEEEZNS1_11reduce_implILb1ES3_NS6_12zip_iteratorINS7_INS6_11hip_rocprim26transform_input_iterator_tIbPiNS6_6detail10functional5actorINSH_9compositeIJNSH_27transparent_binary_operatorINS6_8equal_toIvEEEENSI_INSH_8argumentILj0EEEEENSH_5valueIiEEEEEEEEENSD_19counting_iterator_tIlEES8_S8_S8_S8_S8_S8_S8_S8_EEEEPS9_S9_NSD_9__find_if7functorIS9_EEEE10hipError_tPvRmT1_T2_T3_mT4_P12ihipStream_tbEUlT_E0_NS1_11comp_targetILNS1_3genE5ELNS1_11target_archE942ELNS1_3gpuE9ELNS1_3repE0EEENS1_30default_config_static_selectorELNS0_4arch9wavefront6targetE1EEEvS17_
    .private_segment_fixed_size: 0
    .sgpr_count:     4
    .sgpr_spill_count: 0
    .symbol:         _ZN7rocprim17ROCPRIM_400000_NS6detail17trampoline_kernelINS0_14default_configENS1_22reduce_config_selectorIN6thrust23THRUST_200600_302600_NS5tupleIblNS6_9null_typeES8_S8_S8_S8_S8_S8_S8_EEEEZNS1_11reduce_implILb1ES3_NS6_12zip_iteratorINS7_INS6_11hip_rocprim26transform_input_iterator_tIbPiNS6_6detail10functional5actorINSH_9compositeIJNSH_27transparent_binary_operatorINS6_8equal_toIvEEEENSI_INSH_8argumentILj0EEEEENSH_5valueIiEEEEEEEEENSD_19counting_iterator_tIlEES8_S8_S8_S8_S8_S8_S8_S8_EEEEPS9_S9_NSD_9__find_if7functorIS9_EEEE10hipError_tPvRmT1_T2_T3_mT4_P12ihipStream_tbEUlT_E0_NS1_11comp_targetILNS1_3genE5ELNS1_11target_archE942ELNS1_3gpuE9ELNS1_3repE0EEENS1_30default_config_static_selectorELNS0_4arch9wavefront6targetE1EEEvS17_.kd
    .uniform_work_group_size: 1
    .uses_dynamic_stack: false
    .vgpr_count:     0
    .vgpr_spill_count: 0
    .wavefront_size: 64
  - .args:
      - .offset:         0
        .size:           88
        .value_kind:     by_value
    .group_segment_fixed_size: 0
    .kernarg_segment_align: 8
    .kernarg_segment_size: 88
    .language:       OpenCL C
    .language_version:
      - 2
      - 0
    .max_flat_workgroup_size: 256
    .name:           _ZN7rocprim17ROCPRIM_400000_NS6detail17trampoline_kernelINS0_14default_configENS1_22reduce_config_selectorIN6thrust23THRUST_200600_302600_NS5tupleIblNS6_9null_typeES8_S8_S8_S8_S8_S8_S8_EEEEZNS1_11reduce_implILb1ES3_NS6_12zip_iteratorINS7_INS6_11hip_rocprim26transform_input_iterator_tIbPiNS6_6detail10functional5actorINSH_9compositeIJNSH_27transparent_binary_operatorINS6_8equal_toIvEEEENSI_INSH_8argumentILj0EEEEENSH_5valueIiEEEEEEEEENSD_19counting_iterator_tIlEES8_S8_S8_S8_S8_S8_S8_S8_EEEEPS9_S9_NSD_9__find_if7functorIS9_EEEE10hipError_tPvRmT1_T2_T3_mT4_P12ihipStream_tbEUlT_E0_NS1_11comp_targetILNS1_3genE4ELNS1_11target_archE910ELNS1_3gpuE8ELNS1_3repE0EEENS1_30default_config_static_selectorELNS0_4arch9wavefront6targetE1EEEvS17_
    .private_segment_fixed_size: 0
    .sgpr_count:     4
    .sgpr_spill_count: 0
    .symbol:         _ZN7rocprim17ROCPRIM_400000_NS6detail17trampoline_kernelINS0_14default_configENS1_22reduce_config_selectorIN6thrust23THRUST_200600_302600_NS5tupleIblNS6_9null_typeES8_S8_S8_S8_S8_S8_S8_EEEEZNS1_11reduce_implILb1ES3_NS6_12zip_iteratorINS7_INS6_11hip_rocprim26transform_input_iterator_tIbPiNS6_6detail10functional5actorINSH_9compositeIJNSH_27transparent_binary_operatorINS6_8equal_toIvEEEENSI_INSH_8argumentILj0EEEEENSH_5valueIiEEEEEEEEENSD_19counting_iterator_tIlEES8_S8_S8_S8_S8_S8_S8_S8_EEEEPS9_S9_NSD_9__find_if7functorIS9_EEEE10hipError_tPvRmT1_T2_T3_mT4_P12ihipStream_tbEUlT_E0_NS1_11comp_targetILNS1_3genE4ELNS1_11target_archE910ELNS1_3gpuE8ELNS1_3repE0EEENS1_30default_config_static_selectorELNS0_4arch9wavefront6targetE1EEEvS17_.kd
    .uniform_work_group_size: 1
    .uses_dynamic_stack: false
    .vgpr_count:     0
    .vgpr_spill_count: 0
    .wavefront_size: 64
  - .args:
      - .offset:         0
        .size:           88
        .value_kind:     by_value
    .group_segment_fixed_size: 0
    .kernarg_segment_align: 8
    .kernarg_segment_size: 88
    .language:       OpenCL C
    .language_version:
      - 2
      - 0
    .max_flat_workgroup_size: 128
    .name:           _ZN7rocprim17ROCPRIM_400000_NS6detail17trampoline_kernelINS0_14default_configENS1_22reduce_config_selectorIN6thrust23THRUST_200600_302600_NS5tupleIblNS6_9null_typeES8_S8_S8_S8_S8_S8_S8_EEEEZNS1_11reduce_implILb1ES3_NS6_12zip_iteratorINS7_INS6_11hip_rocprim26transform_input_iterator_tIbPiNS6_6detail10functional5actorINSH_9compositeIJNSH_27transparent_binary_operatorINS6_8equal_toIvEEEENSI_INSH_8argumentILj0EEEEENSH_5valueIiEEEEEEEEENSD_19counting_iterator_tIlEES8_S8_S8_S8_S8_S8_S8_S8_EEEEPS9_S9_NSD_9__find_if7functorIS9_EEEE10hipError_tPvRmT1_T2_T3_mT4_P12ihipStream_tbEUlT_E0_NS1_11comp_targetILNS1_3genE3ELNS1_11target_archE908ELNS1_3gpuE7ELNS1_3repE0EEENS1_30default_config_static_selectorELNS0_4arch9wavefront6targetE1EEEvS17_
    .private_segment_fixed_size: 0
    .sgpr_count:     4
    .sgpr_spill_count: 0
    .symbol:         _ZN7rocprim17ROCPRIM_400000_NS6detail17trampoline_kernelINS0_14default_configENS1_22reduce_config_selectorIN6thrust23THRUST_200600_302600_NS5tupleIblNS6_9null_typeES8_S8_S8_S8_S8_S8_S8_EEEEZNS1_11reduce_implILb1ES3_NS6_12zip_iteratorINS7_INS6_11hip_rocprim26transform_input_iterator_tIbPiNS6_6detail10functional5actorINSH_9compositeIJNSH_27transparent_binary_operatorINS6_8equal_toIvEEEENSI_INSH_8argumentILj0EEEEENSH_5valueIiEEEEEEEEENSD_19counting_iterator_tIlEES8_S8_S8_S8_S8_S8_S8_S8_EEEEPS9_S9_NSD_9__find_if7functorIS9_EEEE10hipError_tPvRmT1_T2_T3_mT4_P12ihipStream_tbEUlT_E0_NS1_11comp_targetILNS1_3genE3ELNS1_11target_archE908ELNS1_3gpuE7ELNS1_3repE0EEENS1_30default_config_static_selectorELNS0_4arch9wavefront6targetE1EEEvS17_.kd
    .uniform_work_group_size: 1
    .uses_dynamic_stack: false
    .vgpr_count:     0
    .vgpr_spill_count: 0
    .wavefront_size: 64
  - .args:
      - .offset:         0
        .size:           88
        .value_kind:     by_value
    .group_segment_fixed_size: 64
    .kernarg_segment_align: 8
    .kernarg_segment_size: 88
    .language:       OpenCL C
    .language_version:
      - 2
      - 0
    .max_flat_workgroup_size: 128
    .name:           _ZN7rocprim17ROCPRIM_400000_NS6detail17trampoline_kernelINS0_14default_configENS1_22reduce_config_selectorIN6thrust23THRUST_200600_302600_NS5tupleIblNS6_9null_typeES8_S8_S8_S8_S8_S8_S8_EEEEZNS1_11reduce_implILb1ES3_NS6_12zip_iteratorINS7_INS6_11hip_rocprim26transform_input_iterator_tIbPiNS6_6detail10functional5actorINSH_9compositeIJNSH_27transparent_binary_operatorINS6_8equal_toIvEEEENSI_INSH_8argumentILj0EEEEENSH_5valueIiEEEEEEEEENSD_19counting_iterator_tIlEES8_S8_S8_S8_S8_S8_S8_S8_EEEEPS9_S9_NSD_9__find_if7functorIS9_EEEE10hipError_tPvRmT1_T2_T3_mT4_P12ihipStream_tbEUlT_E0_NS1_11comp_targetILNS1_3genE2ELNS1_11target_archE906ELNS1_3gpuE6ELNS1_3repE0EEENS1_30default_config_static_selectorELNS0_4arch9wavefront6targetE1EEEvS17_
    .private_segment_fixed_size: 0
    .sgpr_count:     33
    .sgpr_spill_count: 0
    .symbol:         _ZN7rocprim17ROCPRIM_400000_NS6detail17trampoline_kernelINS0_14default_configENS1_22reduce_config_selectorIN6thrust23THRUST_200600_302600_NS5tupleIblNS6_9null_typeES8_S8_S8_S8_S8_S8_S8_EEEEZNS1_11reduce_implILb1ES3_NS6_12zip_iteratorINS7_INS6_11hip_rocprim26transform_input_iterator_tIbPiNS6_6detail10functional5actorINSH_9compositeIJNSH_27transparent_binary_operatorINS6_8equal_toIvEEEENSI_INSH_8argumentILj0EEEEENSH_5valueIiEEEEEEEEENSD_19counting_iterator_tIlEES8_S8_S8_S8_S8_S8_S8_S8_EEEEPS9_S9_NSD_9__find_if7functorIS9_EEEE10hipError_tPvRmT1_T2_T3_mT4_P12ihipStream_tbEUlT_E0_NS1_11comp_targetILNS1_3genE2ELNS1_11target_archE906ELNS1_3gpuE6ELNS1_3repE0EEENS1_30default_config_static_selectorELNS0_4arch9wavefront6targetE1EEEvS17_.kd
    .uniform_work_group_size: 1
    .uses_dynamic_stack: false
    .vgpr_count:     13
    .vgpr_spill_count: 0
    .wavefront_size: 64
  - .args:
      - .offset:         0
        .size:           88
        .value_kind:     by_value
    .group_segment_fixed_size: 0
    .kernarg_segment_align: 8
    .kernarg_segment_size: 88
    .language:       OpenCL C
    .language_version:
      - 2
      - 0
    .max_flat_workgroup_size: 256
    .name:           _ZN7rocprim17ROCPRIM_400000_NS6detail17trampoline_kernelINS0_14default_configENS1_22reduce_config_selectorIN6thrust23THRUST_200600_302600_NS5tupleIblNS6_9null_typeES8_S8_S8_S8_S8_S8_S8_EEEEZNS1_11reduce_implILb1ES3_NS6_12zip_iteratorINS7_INS6_11hip_rocprim26transform_input_iterator_tIbPiNS6_6detail10functional5actorINSH_9compositeIJNSH_27transparent_binary_operatorINS6_8equal_toIvEEEENSI_INSH_8argumentILj0EEEEENSH_5valueIiEEEEEEEEENSD_19counting_iterator_tIlEES8_S8_S8_S8_S8_S8_S8_S8_EEEEPS9_S9_NSD_9__find_if7functorIS9_EEEE10hipError_tPvRmT1_T2_T3_mT4_P12ihipStream_tbEUlT_E0_NS1_11comp_targetILNS1_3genE10ELNS1_11target_archE1201ELNS1_3gpuE5ELNS1_3repE0EEENS1_30default_config_static_selectorELNS0_4arch9wavefront6targetE1EEEvS17_
    .private_segment_fixed_size: 0
    .sgpr_count:     4
    .sgpr_spill_count: 0
    .symbol:         _ZN7rocprim17ROCPRIM_400000_NS6detail17trampoline_kernelINS0_14default_configENS1_22reduce_config_selectorIN6thrust23THRUST_200600_302600_NS5tupleIblNS6_9null_typeES8_S8_S8_S8_S8_S8_S8_EEEEZNS1_11reduce_implILb1ES3_NS6_12zip_iteratorINS7_INS6_11hip_rocprim26transform_input_iterator_tIbPiNS6_6detail10functional5actorINSH_9compositeIJNSH_27transparent_binary_operatorINS6_8equal_toIvEEEENSI_INSH_8argumentILj0EEEEENSH_5valueIiEEEEEEEEENSD_19counting_iterator_tIlEES8_S8_S8_S8_S8_S8_S8_S8_EEEEPS9_S9_NSD_9__find_if7functorIS9_EEEE10hipError_tPvRmT1_T2_T3_mT4_P12ihipStream_tbEUlT_E0_NS1_11comp_targetILNS1_3genE10ELNS1_11target_archE1201ELNS1_3gpuE5ELNS1_3repE0EEENS1_30default_config_static_selectorELNS0_4arch9wavefront6targetE1EEEvS17_.kd
    .uniform_work_group_size: 1
    .uses_dynamic_stack: false
    .vgpr_count:     0
    .vgpr_spill_count: 0
    .wavefront_size: 64
  - .args:
      - .offset:         0
        .size:           88
        .value_kind:     by_value
    .group_segment_fixed_size: 0
    .kernarg_segment_align: 8
    .kernarg_segment_size: 88
    .language:       OpenCL C
    .language_version:
      - 2
      - 0
    .max_flat_workgroup_size: 256
    .name:           _ZN7rocprim17ROCPRIM_400000_NS6detail17trampoline_kernelINS0_14default_configENS1_22reduce_config_selectorIN6thrust23THRUST_200600_302600_NS5tupleIblNS6_9null_typeES8_S8_S8_S8_S8_S8_S8_EEEEZNS1_11reduce_implILb1ES3_NS6_12zip_iteratorINS7_INS6_11hip_rocprim26transform_input_iterator_tIbPiNS6_6detail10functional5actorINSH_9compositeIJNSH_27transparent_binary_operatorINS6_8equal_toIvEEEENSI_INSH_8argumentILj0EEEEENSH_5valueIiEEEEEEEEENSD_19counting_iterator_tIlEES8_S8_S8_S8_S8_S8_S8_S8_EEEEPS9_S9_NSD_9__find_if7functorIS9_EEEE10hipError_tPvRmT1_T2_T3_mT4_P12ihipStream_tbEUlT_E0_NS1_11comp_targetILNS1_3genE10ELNS1_11target_archE1200ELNS1_3gpuE4ELNS1_3repE0EEENS1_30default_config_static_selectorELNS0_4arch9wavefront6targetE1EEEvS17_
    .private_segment_fixed_size: 0
    .sgpr_count:     4
    .sgpr_spill_count: 0
    .symbol:         _ZN7rocprim17ROCPRIM_400000_NS6detail17trampoline_kernelINS0_14default_configENS1_22reduce_config_selectorIN6thrust23THRUST_200600_302600_NS5tupleIblNS6_9null_typeES8_S8_S8_S8_S8_S8_S8_EEEEZNS1_11reduce_implILb1ES3_NS6_12zip_iteratorINS7_INS6_11hip_rocprim26transform_input_iterator_tIbPiNS6_6detail10functional5actorINSH_9compositeIJNSH_27transparent_binary_operatorINS6_8equal_toIvEEEENSI_INSH_8argumentILj0EEEEENSH_5valueIiEEEEEEEEENSD_19counting_iterator_tIlEES8_S8_S8_S8_S8_S8_S8_S8_EEEEPS9_S9_NSD_9__find_if7functorIS9_EEEE10hipError_tPvRmT1_T2_T3_mT4_P12ihipStream_tbEUlT_E0_NS1_11comp_targetILNS1_3genE10ELNS1_11target_archE1200ELNS1_3gpuE4ELNS1_3repE0EEENS1_30default_config_static_selectorELNS0_4arch9wavefront6targetE1EEEvS17_.kd
    .uniform_work_group_size: 1
    .uses_dynamic_stack: false
    .vgpr_count:     0
    .vgpr_spill_count: 0
    .wavefront_size: 64
  - .args:
      - .offset:         0
        .size:           88
        .value_kind:     by_value
    .group_segment_fixed_size: 0
    .kernarg_segment_align: 8
    .kernarg_segment_size: 88
    .language:       OpenCL C
    .language_version:
      - 2
      - 0
    .max_flat_workgroup_size: 256
    .name:           _ZN7rocprim17ROCPRIM_400000_NS6detail17trampoline_kernelINS0_14default_configENS1_22reduce_config_selectorIN6thrust23THRUST_200600_302600_NS5tupleIblNS6_9null_typeES8_S8_S8_S8_S8_S8_S8_EEEEZNS1_11reduce_implILb1ES3_NS6_12zip_iteratorINS7_INS6_11hip_rocprim26transform_input_iterator_tIbPiNS6_6detail10functional5actorINSH_9compositeIJNSH_27transparent_binary_operatorINS6_8equal_toIvEEEENSI_INSH_8argumentILj0EEEEENSH_5valueIiEEEEEEEEENSD_19counting_iterator_tIlEES8_S8_S8_S8_S8_S8_S8_S8_EEEEPS9_S9_NSD_9__find_if7functorIS9_EEEE10hipError_tPvRmT1_T2_T3_mT4_P12ihipStream_tbEUlT_E0_NS1_11comp_targetILNS1_3genE9ELNS1_11target_archE1100ELNS1_3gpuE3ELNS1_3repE0EEENS1_30default_config_static_selectorELNS0_4arch9wavefront6targetE1EEEvS17_
    .private_segment_fixed_size: 0
    .sgpr_count:     4
    .sgpr_spill_count: 0
    .symbol:         _ZN7rocprim17ROCPRIM_400000_NS6detail17trampoline_kernelINS0_14default_configENS1_22reduce_config_selectorIN6thrust23THRUST_200600_302600_NS5tupleIblNS6_9null_typeES8_S8_S8_S8_S8_S8_S8_EEEEZNS1_11reduce_implILb1ES3_NS6_12zip_iteratorINS7_INS6_11hip_rocprim26transform_input_iterator_tIbPiNS6_6detail10functional5actorINSH_9compositeIJNSH_27transparent_binary_operatorINS6_8equal_toIvEEEENSI_INSH_8argumentILj0EEEEENSH_5valueIiEEEEEEEEENSD_19counting_iterator_tIlEES8_S8_S8_S8_S8_S8_S8_S8_EEEEPS9_S9_NSD_9__find_if7functorIS9_EEEE10hipError_tPvRmT1_T2_T3_mT4_P12ihipStream_tbEUlT_E0_NS1_11comp_targetILNS1_3genE9ELNS1_11target_archE1100ELNS1_3gpuE3ELNS1_3repE0EEENS1_30default_config_static_selectorELNS0_4arch9wavefront6targetE1EEEvS17_.kd
    .uniform_work_group_size: 1
    .uses_dynamic_stack: false
    .vgpr_count:     0
    .vgpr_spill_count: 0
    .wavefront_size: 64
  - .args:
      - .offset:         0
        .size:           88
        .value_kind:     by_value
    .group_segment_fixed_size: 0
    .kernarg_segment_align: 8
    .kernarg_segment_size: 88
    .language:       OpenCL C
    .language_version:
      - 2
      - 0
    .max_flat_workgroup_size: 256
    .name:           _ZN7rocprim17ROCPRIM_400000_NS6detail17trampoline_kernelINS0_14default_configENS1_22reduce_config_selectorIN6thrust23THRUST_200600_302600_NS5tupleIblNS6_9null_typeES8_S8_S8_S8_S8_S8_S8_EEEEZNS1_11reduce_implILb1ES3_NS6_12zip_iteratorINS7_INS6_11hip_rocprim26transform_input_iterator_tIbPiNS6_6detail10functional5actorINSH_9compositeIJNSH_27transparent_binary_operatorINS6_8equal_toIvEEEENSI_INSH_8argumentILj0EEEEENSH_5valueIiEEEEEEEEENSD_19counting_iterator_tIlEES8_S8_S8_S8_S8_S8_S8_S8_EEEEPS9_S9_NSD_9__find_if7functorIS9_EEEE10hipError_tPvRmT1_T2_T3_mT4_P12ihipStream_tbEUlT_E0_NS1_11comp_targetILNS1_3genE8ELNS1_11target_archE1030ELNS1_3gpuE2ELNS1_3repE0EEENS1_30default_config_static_selectorELNS0_4arch9wavefront6targetE1EEEvS17_
    .private_segment_fixed_size: 0
    .sgpr_count:     4
    .sgpr_spill_count: 0
    .symbol:         _ZN7rocprim17ROCPRIM_400000_NS6detail17trampoline_kernelINS0_14default_configENS1_22reduce_config_selectorIN6thrust23THRUST_200600_302600_NS5tupleIblNS6_9null_typeES8_S8_S8_S8_S8_S8_S8_EEEEZNS1_11reduce_implILb1ES3_NS6_12zip_iteratorINS7_INS6_11hip_rocprim26transform_input_iterator_tIbPiNS6_6detail10functional5actorINSH_9compositeIJNSH_27transparent_binary_operatorINS6_8equal_toIvEEEENSI_INSH_8argumentILj0EEEEENSH_5valueIiEEEEEEEEENSD_19counting_iterator_tIlEES8_S8_S8_S8_S8_S8_S8_S8_EEEEPS9_S9_NSD_9__find_if7functorIS9_EEEE10hipError_tPvRmT1_T2_T3_mT4_P12ihipStream_tbEUlT_E0_NS1_11comp_targetILNS1_3genE8ELNS1_11target_archE1030ELNS1_3gpuE2ELNS1_3repE0EEENS1_30default_config_static_selectorELNS0_4arch9wavefront6targetE1EEEvS17_.kd
    .uniform_work_group_size: 1
    .uses_dynamic_stack: false
    .vgpr_count:     0
    .vgpr_spill_count: 0
    .wavefront_size: 64
  - .args:
      - .offset:         0
        .size:           72
        .value_kind:     by_value
    .group_segment_fixed_size: 0
    .kernarg_segment_align: 8
    .kernarg_segment_size: 72
    .language:       OpenCL C
    .language_version:
      - 2
      - 0
    .max_flat_workgroup_size: 128
    .name:           _ZN7rocprim17ROCPRIM_400000_NS6detail17trampoline_kernelINS0_14default_configENS1_22reduce_config_selectorIN6thrust23THRUST_200600_302600_NS5tupleIblNS6_9null_typeES8_S8_S8_S8_S8_S8_S8_EEEEZNS1_11reduce_implILb1ES3_NS6_12zip_iteratorINS7_INS6_11hip_rocprim26transform_input_iterator_tIbPiNS6_6detail10functional5actorINSH_9compositeIJNSH_27transparent_binary_operatorINS6_8equal_toIvEEEENSI_INSH_8argumentILj0EEEEENSH_5valueIiEEEEEEEEENSD_19counting_iterator_tIlEES8_S8_S8_S8_S8_S8_S8_S8_EEEEPS9_S9_NSD_9__find_if7functorIS9_EEEE10hipError_tPvRmT1_T2_T3_mT4_P12ihipStream_tbEUlT_E1_NS1_11comp_targetILNS1_3genE0ELNS1_11target_archE4294967295ELNS1_3gpuE0ELNS1_3repE0EEENS1_30default_config_static_selectorELNS0_4arch9wavefront6targetE1EEEvS17_
    .private_segment_fixed_size: 0
    .sgpr_count:     4
    .sgpr_spill_count: 0
    .symbol:         _ZN7rocprim17ROCPRIM_400000_NS6detail17trampoline_kernelINS0_14default_configENS1_22reduce_config_selectorIN6thrust23THRUST_200600_302600_NS5tupleIblNS6_9null_typeES8_S8_S8_S8_S8_S8_S8_EEEEZNS1_11reduce_implILb1ES3_NS6_12zip_iteratorINS7_INS6_11hip_rocprim26transform_input_iterator_tIbPiNS6_6detail10functional5actorINSH_9compositeIJNSH_27transparent_binary_operatorINS6_8equal_toIvEEEENSI_INSH_8argumentILj0EEEEENSH_5valueIiEEEEEEEEENSD_19counting_iterator_tIlEES8_S8_S8_S8_S8_S8_S8_S8_EEEEPS9_S9_NSD_9__find_if7functorIS9_EEEE10hipError_tPvRmT1_T2_T3_mT4_P12ihipStream_tbEUlT_E1_NS1_11comp_targetILNS1_3genE0ELNS1_11target_archE4294967295ELNS1_3gpuE0ELNS1_3repE0EEENS1_30default_config_static_selectorELNS0_4arch9wavefront6targetE1EEEvS17_.kd
    .uniform_work_group_size: 1
    .uses_dynamic_stack: false
    .vgpr_count:     0
    .vgpr_spill_count: 0
    .wavefront_size: 64
  - .args:
      - .offset:         0
        .size:           72
        .value_kind:     by_value
    .group_segment_fixed_size: 0
    .kernarg_segment_align: 8
    .kernarg_segment_size: 72
    .language:       OpenCL C
    .language_version:
      - 2
      - 0
    .max_flat_workgroup_size: 256
    .name:           _ZN7rocprim17ROCPRIM_400000_NS6detail17trampoline_kernelINS0_14default_configENS1_22reduce_config_selectorIN6thrust23THRUST_200600_302600_NS5tupleIblNS6_9null_typeES8_S8_S8_S8_S8_S8_S8_EEEEZNS1_11reduce_implILb1ES3_NS6_12zip_iteratorINS7_INS6_11hip_rocprim26transform_input_iterator_tIbPiNS6_6detail10functional5actorINSH_9compositeIJNSH_27transparent_binary_operatorINS6_8equal_toIvEEEENSI_INSH_8argumentILj0EEEEENSH_5valueIiEEEEEEEEENSD_19counting_iterator_tIlEES8_S8_S8_S8_S8_S8_S8_S8_EEEEPS9_S9_NSD_9__find_if7functorIS9_EEEE10hipError_tPvRmT1_T2_T3_mT4_P12ihipStream_tbEUlT_E1_NS1_11comp_targetILNS1_3genE5ELNS1_11target_archE942ELNS1_3gpuE9ELNS1_3repE0EEENS1_30default_config_static_selectorELNS0_4arch9wavefront6targetE1EEEvS17_
    .private_segment_fixed_size: 0
    .sgpr_count:     4
    .sgpr_spill_count: 0
    .symbol:         _ZN7rocprim17ROCPRIM_400000_NS6detail17trampoline_kernelINS0_14default_configENS1_22reduce_config_selectorIN6thrust23THRUST_200600_302600_NS5tupleIblNS6_9null_typeES8_S8_S8_S8_S8_S8_S8_EEEEZNS1_11reduce_implILb1ES3_NS6_12zip_iteratorINS7_INS6_11hip_rocprim26transform_input_iterator_tIbPiNS6_6detail10functional5actorINSH_9compositeIJNSH_27transparent_binary_operatorINS6_8equal_toIvEEEENSI_INSH_8argumentILj0EEEEENSH_5valueIiEEEEEEEEENSD_19counting_iterator_tIlEES8_S8_S8_S8_S8_S8_S8_S8_EEEEPS9_S9_NSD_9__find_if7functorIS9_EEEE10hipError_tPvRmT1_T2_T3_mT4_P12ihipStream_tbEUlT_E1_NS1_11comp_targetILNS1_3genE5ELNS1_11target_archE942ELNS1_3gpuE9ELNS1_3repE0EEENS1_30default_config_static_selectorELNS0_4arch9wavefront6targetE1EEEvS17_.kd
    .uniform_work_group_size: 1
    .uses_dynamic_stack: false
    .vgpr_count:     0
    .vgpr_spill_count: 0
    .wavefront_size: 64
  - .args:
      - .offset:         0
        .size:           72
        .value_kind:     by_value
    .group_segment_fixed_size: 0
    .kernarg_segment_align: 8
    .kernarg_segment_size: 72
    .language:       OpenCL C
    .language_version:
      - 2
      - 0
    .max_flat_workgroup_size: 256
    .name:           _ZN7rocprim17ROCPRIM_400000_NS6detail17trampoline_kernelINS0_14default_configENS1_22reduce_config_selectorIN6thrust23THRUST_200600_302600_NS5tupleIblNS6_9null_typeES8_S8_S8_S8_S8_S8_S8_EEEEZNS1_11reduce_implILb1ES3_NS6_12zip_iteratorINS7_INS6_11hip_rocprim26transform_input_iterator_tIbPiNS6_6detail10functional5actorINSH_9compositeIJNSH_27transparent_binary_operatorINS6_8equal_toIvEEEENSI_INSH_8argumentILj0EEEEENSH_5valueIiEEEEEEEEENSD_19counting_iterator_tIlEES8_S8_S8_S8_S8_S8_S8_S8_EEEEPS9_S9_NSD_9__find_if7functorIS9_EEEE10hipError_tPvRmT1_T2_T3_mT4_P12ihipStream_tbEUlT_E1_NS1_11comp_targetILNS1_3genE4ELNS1_11target_archE910ELNS1_3gpuE8ELNS1_3repE0EEENS1_30default_config_static_selectorELNS0_4arch9wavefront6targetE1EEEvS17_
    .private_segment_fixed_size: 0
    .sgpr_count:     4
    .sgpr_spill_count: 0
    .symbol:         _ZN7rocprim17ROCPRIM_400000_NS6detail17trampoline_kernelINS0_14default_configENS1_22reduce_config_selectorIN6thrust23THRUST_200600_302600_NS5tupleIblNS6_9null_typeES8_S8_S8_S8_S8_S8_S8_EEEEZNS1_11reduce_implILb1ES3_NS6_12zip_iteratorINS7_INS6_11hip_rocprim26transform_input_iterator_tIbPiNS6_6detail10functional5actorINSH_9compositeIJNSH_27transparent_binary_operatorINS6_8equal_toIvEEEENSI_INSH_8argumentILj0EEEEENSH_5valueIiEEEEEEEEENSD_19counting_iterator_tIlEES8_S8_S8_S8_S8_S8_S8_S8_EEEEPS9_S9_NSD_9__find_if7functorIS9_EEEE10hipError_tPvRmT1_T2_T3_mT4_P12ihipStream_tbEUlT_E1_NS1_11comp_targetILNS1_3genE4ELNS1_11target_archE910ELNS1_3gpuE8ELNS1_3repE0EEENS1_30default_config_static_selectorELNS0_4arch9wavefront6targetE1EEEvS17_.kd
    .uniform_work_group_size: 1
    .uses_dynamic_stack: false
    .vgpr_count:     0
    .vgpr_spill_count: 0
    .wavefront_size: 64
  - .args:
      - .offset:         0
        .size:           72
        .value_kind:     by_value
    .group_segment_fixed_size: 0
    .kernarg_segment_align: 8
    .kernarg_segment_size: 72
    .language:       OpenCL C
    .language_version:
      - 2
      - 0
    .max_flat_workgroup_size: 128
    .name:           _ZN7rocprim17ROCPRIM_400000_NS6detail17trampoline_kernelINS0_14default_configENS1_22reduce_config_selectorIN6thrust23THRUST_200600_302600_NS5tupleIblNS6_9null_typeES8_S8_S8_S8_S8_S8_S8_EEEEZNS1_11reduce_implILb1ES3_NS6_12zip_iteratorINS7_INS6_11hip_rocprim26transform_input_iterator_tIbPiNS6_6detail10functional5actorINSH_9compositeIJNSH_27transparent_binary_operatorINS6_8equal_toIvEEEENSI_INSH_8argumentILj0EEEEENSH_5valueIiEEEEEEEEENSD_19counting_iterator_tIlEES8_S8_S8_S8_S8_S8_S8_S8_EEEEPS9_S9_NSD_9__find_if7functorIS9_EEEE10hipError_tPvRmT1_T2_T3_mT4_P12ihipStream_tbEUlT_E1_NS1_11comp_targetILNS1_3genE3ELNS1_11target_archE908ELNS1_3gpuE7ELNS1_3repE0EEENS1_30default_config_static_selectorELNS0_4arch9wavefront6targetE1EEEvS17_
    .private_segment_fixed_size: 0
    .sgpr_count:     4
    .sgpr_spill_count: 0
    .symbol:         _ZN7rocprim17ROCPRIM_400000_NS6detail17trampoline_kernelINS0_14default_configENS1_22reduce_config_selectorIN6thrust23THRUST_200600_302600_NS5tupleIblNS6_9null_typeES8_S8_S8_S8_S8_S8_S8_EEEEZNS1_11reduce_implILb1ES3_NS6_12zip_iteratorINS7_INS6_11hip_rocprim26transform_input_iterator_tIbPiNS6_6detail10functional5actorINSH_9compositeIJNSH_27transparent_binary_operatorINS6_8equal_toIvEEEENSI_INSH_8argumentILj0EEEEENSH_5valueIiEEEEEEEEENSD_19counting_iterator_tIlEES8_S8_S8_S8_S8_S8_S8_S8_EEEEPS9_S9_NSD_9__find_if7functorIS9_EEEE10hipError_tPvRmT1_T2_T3_mT4_P12ihipStream_tbEUlT_E1_NS1_11comp_targetILNS1_3genE3ELNS1_11target_archE908ELNS1_3gpuE7ELNS1_3repE0EEENS1_30default_config_static_selectorELNS0_4arch9wavefront6targetE1EEEvS17_.kd
    .uniform_work_group_size: 1
    .uses_dynamic_stack: false
    .vgpr_count:     0
    .vgpr_spill_count: 0
    .wavefront_size: 64
  - .args:
      - .offset:         0
        .size:           72
        .value_kind:     by_value
    .group_segment_fixed_size: 160
    .kernarg_segment_align: 8
    .kernarg_segment_size: 72
    .language:       OpenCL C
    .language_version:
      - 2
      - 0
    .max_flat_workgroup_size: 128
    .name:           _ZN7rocprim17ROCPRIM_400000_NS6detail17trampoline_kernelINS0_14default_configENS1_22reduce_config_selectorIN6thrust23THRUST_200600_302600_NS5tupleIblNS6_9null_typeES8_S8_S8_S8_S8_S8_S8_EEEEZNS1_11reduce_implILb1ES3_NS6_12zip_iteratorINS7_INS6_11hip_rocprim26transform_input_iterator_tIbPiNS6_6detail10functional5actorINSH_9compositeIJNSH_27transparent_binary_operatorINS6_8equal_toIvEEEENSI_INSH_8argumentILj0EEEEENSH_5valueIiEEEEEEEEENSD_19counting_iterator_tIlEES8_S8_S8_S8_S8_S8_S8_S8_EEEEPS9_S9_NSD_9__find_if7functorIS9_EEEE10hipError_tPvRmT1_T2_T3_mT4_P12ihipStream_tbEUlT_E1_NS1_11comp_targetILNS1_3genE2ELNS1_11target_archE906ELNS1_3gpuE6ELNS1_3repE0EEENS1_30default_config_static_selectorELNS0_4arch9wavefront6targetE1EEEvS17_
    .private_segment_fixed_size: 0
    .sgpr_count:     43
    .sgpr_spill_count: 0
    .symbol:         _ZN7rocprim17ROCPRIM_400000_NS6detail17trampoline_kernelINS0_14default_configENS1_22reduce_config_selectorIN6thrust23THRUST_200600_302600_NS5tupleIblNS6_9null_typeES8_S8_S8_S8_S8_S8_S8_EEEEZNS1_11reduce_implILb1ES3_NS6_12zip_iteratorINS7_INS6_11hip_rocprim26transform_input_iterator_tIbPiNS6_6detail10functional5actorINSH_9compositeIJNSH_27transparent_binary_operatorINS6_8equal_toIvEEEENSI_INSH_8argumentILj0EEEEENSH_5valueIiEEEEEEEEENSD_19counting_iterator_tIlEES8_S8_S8_S8_S8_S8_S8_S8_EEEEPS9_S9_NSD_9__find_if7functorIS9_EEEE10hipError_tPvRmT1_T2_T3_mT4_P12ihipStream_tbEUlT_E1_NS1_11comp_targetILNS1_3genE2ELNS1_11target_archE906ELNS1_3gpuE6ELNS1_3repE0EEENS1_30default_config_static_selectorELNS0_4arch9wavefront6targetE1EEEvS17_.kd
    .uniform_work_group_size: 1
    .uses_dynamic_stack: false
    .vgpr_count:     26
    .vgpr_spill_count: 0
    .wavefront_size: 64
  - .args:
      - .offset:         0
        .size:           72
        .value_kind:     by_value
    .group_segment_fixed_size: 0
    .kernarg_segment_align: 8
    .kernarg_segment_size: 72
    .language:       OpenCL C
    .language_version:
      - 2
      - 0
    .max_flat_workgroup_size: 256
    .name:           _ZN7rocprim17ROCPRIM_400000_NS6detail17trampoline_kernelINS0_14default_configENS1_22reduce_config_selectorIN6thrust23THRUST_200600_302600_NS5tupleIblNS6_9null_typeES8_S8_S8_S8_S8_S8_S8_EEEEZNS1_11reduce_implILb1ES3_NS6_12zip_iteratorINS7_INS6_11hip_rocprim26transform_input_iterator_tIbPiNS6_6detail10functional5actorINSH_9compositeIJNSH_27transparent_binary_operatorINS6_8equal_toIvEEEENSI_INSH_8argumentILj0EEEEENSH_5valueIiEEEEEEEEENSD_19counting_iterator_tIlEES8_S8_S8_S8_S8_S8_S8_S8_EEEEPS9_S9_NSD_9__find_if7functorIS9_EEEE10hipError_tPvRmT1_T2_T3_mT4_P12ihipStream_tbEUlT_E1_NS1_11comp_targetILNS1_3genE10ELNS1_11target_archE1201ELNS1_3gpuE5ELNS1_3repE0EEENS1_30default_config_static_selectorELNS0_4arch9wavefront6targetE1EEEvS17_
    .private_segment_fixed_size: 0
    .sgpr_count:     4
    .sgpr_spill_count: 0
    .symbol:         _ZN7rocprim17ROCPRIM_400000_NS6detail17trampoline_kernelINS0_14default_configENS1_22reduce_config_selectorIN6thrust23THRUST_200600_302600_NS5tupleIblNS6_9null_typeES8_S8_S8_S8_S8_S8_S8_EEEEZNS1_11reduce_implILb1ES3_NS6_12zip_iteratorINS7_INS6_11hip_rocprim26transform_input_iterator_tIbPiNS6_6detail10functional5actorINSH_9compositeIJNSH_27transparent_binary_operatorINS6_8equal_toIvEEEENSI_INSH_8argumentILj0EEEEENSH_5valueIiEEEEEEEEENSD_19counting_iterator_tIlEES8_S8_S8_S8_S8_S8_S8_S8_EEEEPS9_S9_NSD_9__find_if7functorIS9_EEEE10hipError_tPvRmT1_T2_T3_mT4_P12ihipStream_tbEUlT_E1_NS1_11comp_targetILNS1_3genE10ELNS1_11target_archE1201ELNS1_3gpuE5ELNS1_3repE0EEENS1_30default_config_static_selectorELNS0_4arch9wavefront6targetE1EEEvS17_.kd
    .uniform_work_group_size: 1
    .uses_dynamic_stack: false
    .vgpr_count:     0
    .vgpr_spill_count: 0
    .wavefront_size: 64
  - .args:
      - .offset:         0
        .size:           72
        .value_kind:     by_value
    .group_segment_fixed_size: 0
    .kernarg_segment_align: 8
    .kernarg_segment_size: 72
    .language:       OpenCL C
    .language_version:
      - 2
      - 0
    .max_flat_workgroup_size: 256
    .name:           _ZN7rocprim17ROCPRIM_400000_NS6detail17trampoline_kernelINS0_14default_configENS1_22reduce_config_selectorIN6thrust23THRUST_200600_302600_NS5tupleIblNS6_9null_typeES8_S8_S8_S8_S8_S8_S8_EEEEZNS1_11reduce_implILb1ES3_NS6_12zip_iteratorINS7_INS6_11hip_rocprim26transform_input_iterator_tIbPiNS6_6detail10functional5actorINSH_9compositeIJNSH_27transparent_binary_operatorINS6_8equal_toIvEEEENSI_INSH_8argumentILj0EEEEENSH_5valueIiEEEEEEEEENSD_19counting_iterator_tIlEES8_S8_S8_S8_S8_S8_S8_S8_EEEEPS9_S9_NSD_9__find_if7functorIS9_EEEE10hipError_tPvRmT1_T2_T3_mT4_P12ihipStream_tbEUlT_E1_NS1_11comp_targetILNS1_3genE10ELNS1_11target_archE1200ELNS1_3gpuE4ELNS1_3repE0EEENS1_30default_config_static_selectorELNS0_4arch9wavefront6targetE1EEEvS17_
    .private_segment_fixed_size: 0
    .sgpr_count:     4
    .sgpr_spill_count: 0
    .symbol:         _ZN7rocprim17ROCPRIM_400000_NS6detail17trampoline_kernelINS0_14default_configENS1_22reduce_config_selectorIN6thrust23THRUST_200600_302600_NS5tupleIblNS6_9null_typeES8_S8_S8_S8_S8_S8_S8_EEEEZNS1_11reduce_implILb1ES3_NS6_12zip_iteratorINS7_INS6_11hip_rocprim26transform_input_iterator_tIbPiNS6_6detail10functional5actorINSH_9compositeIJNSH_27transparent_binary_operatorINS6_8equal_toIvEEEENSI_INSH_8argumentILj0EEEEENSH_5valueIiEEEEEEEEENSD_19counting_iterator_tIlEES8_S8_S8_S8_S8_S8_S8_S8_EEEEPS9_S9_NSD_9__find_if7functorIS9_EEEE10hipError_tPvRmT1_T2_T3_mT4_P12ihipStream_tbEUlT_E1_NS1_11comp_targetILNS1_3genE10ELNS1_11target_archE1200ELNS1_3gpuE4ELNS1_3repE0EEENS1_30default_config_static_selectorELNS0_4arch9wavefront6targetE1EEEvS17_.kd
    .uniform_work_group_size: 1
    .uses_dynamic_stack: false
    .vgpr_count:     0
    .vgpr_spill_count: 0
    .wavefront_size: 64
  - .args:
      - .offset:         0
        .size:           72
        .value_kind:     by_value
    .group_segment_fixed_size: 0
    .kernarg_segment_align: 8
    .kernarg_segment_size: 72
    .language:       OpenCL C
    .language_version:
      - 2
      - 0
    .max_flat_workgroup_size: 256
    .name:           _ZN7rocprim17ROCPRIM_400000_NS6detail17trampoline_kernelINS0_14default_configENS1_22reduce_config_selectorIN6thrust23THRUST_200600_302600_NS5tupleIblNS6_9null_typeES8_S8_S8_S8_S8_S8_S8_EEEEZNS1_11reduce_implILb1ES3_NS6_12zip_iteratorINS7_INS6_11hip_rocprim26transform_input_iterator_tIbPiNS6_6detail10functional5actorINSH_9compositeIJNSH_27transparent_binary_operatorINS6_8equal_toIvEEEENSI_INSH_8argumentILj0EEEEENSH_5valueIiEEEEEEEEENSD_19counting_iterator_tIlEES8_S8_S8_S8_S8_S8_S8_S8_EEEEPS9_S9_NSD_9__find_if7functorIS9_EEEE10hipError_tPvRmT1_T2_T3_mT4_P12ihipStream_tbEUlT_E1_NS1_11comp_targetILNS1_3genE9ELNS1_11target_archE1100ELNS1_3gpuE3ELNS1_3repE0EEENS1_30default_config_static_selectorELNS0_4arch9wavefront6targetE1EEEvS17_
    .private_segment_fixed_size: 0
    .sgpr_count:     4
    .sgpr_spill_count: 0
    .symbol:         _ZN7rocprim17ROCPRIM_400000_NS6detail17trampoline_kernelINS0_14default_configENS1_22reduce_config_selectorIN6thrust23THRUST_200600_302600_NS5tupleIblNS6_9null_typeES8_S8_S8_S8_S8_S8_S8_EEEEZNS1_11reduce_implILb1ES3_NS6_12zip_iteratorINS7_INS6_11hip_rocprim26transform_input_iterator_tIbPiNS6_6detail10functional5actorINSH_9compositeIJNSH_27transparent_binary_operatorINS6_8equal_toIvEEEENSI_INSH_8argumentILj0EEEEENSH_5valueIiEEEEEEEEENSD_19counting_iterator_tIlEES8_S8_S8_S8_S8_S8_S8_S8_EEEEPS9_S9_NSD_9__find_if7functorIS9_EEEE10hipError_tPvRmT1_T2_T3_mT4_P12ihipStream_tbEUlT_E1_NS1_11comp_targetILNS1_3genE9ELNS1_11target_archE1100ELNS1_3gpuE3ELNS1_3repE0EEENS1_30default_config_static_selectorELNS0_4arch9wavefront6targetE1EEEvS17_.kd
    .uniform_work_group_size: 1
    .uses_dynamic_stack: false
    .vgpr_count:     0
    .vgpr_spill_count: 0
    .wavefront_size: 64
  - .args:
      - .offset:         0
        .size:           72
        .value_kind:     by_value
    .group_segment_fixed_size: 0
    .kernarg_segment_align: 8
    .kernarg_segment_size: 72
    .language:       OpenCL C
    .language_version:
      - 2
      - 0
    .max_flat_workgroup_size: 256
    .name:           _ZN7rocprim17ROCPRIM_400000_NS6detail17trampoline_kernelINS0_14default_configENS1_22reduce_config_selectorIN6thrust23THRUST_200600_302600_NS5tupleIblNS6_9null_typeES8_S8_S8_S8_S8_S8_S8_EEEEZNS1_11reduce_implILb1ES3_NS6_12zip_iteratorINS7_INS6_11hip_rocprim26transform_input_iterator_tIbPiNS6_6detail10functional5actorINSH_9compositeIJNSH_27transparent_binary_operatorINS6_8equal_toIvEEEENSI_INSH_8argumentILj0EEEEENSH_5valueIiEEEEEEEEENSD_19counting_iterator_tIlEES8_S8_S8_S8_S8_S8_S8_S8_EEEEPS9_S9_NSD_9__find_if7functorIS9_EEEE10hipError_tPvRmT1_T2_T3_mT4_P12ihipStream_tbEUlT_E1_NS1_11comp_targetILNS1_3genE8ELNS1_11target_archE1030ELNS1_3gpuE2ELNS1_3repE0EEENS1_30default_config_static_selectorELNS0_4arch9wavefront6targetE1EEEvS17_
    .private_segment_fixed_size: 0
    .sgpr_count:     4
    .sgpr_spill_count: 0
    .symbol:         _ZN7rocprim17ROCPRIM_400000_NS6detail17trampoline_kernelINS0_14default_configENS1_22reduce_config_selectorIN6thrust23THRUST_200600_302600_NS5tupleIblNS6_9null_typeES8_S8_S8_S8_S8_S8_S8_EEEEZNS1_11reduce_implILb1ES3_NS6_12zip_iteratorINS7_INS6_11hip_rocprim26transform_input_iterator_tIbPiNS6_6detail10functional5actorINSH_9compositeIJNSH_27transparent_binary_operatorINS6_8equal_toIvEEEENSI_INSH_8argumentILj0EEEEENSH_5valueIiEEEEEEEEENSD_19counting_iterator_tIlEES8_S8_S8_S8_S8_S8_S8_S8_EEEEPS9_S9_NSD_9__find_if7functorIS9_EEEE10hipError_tPvRmT1_T2_T3_mT4_P12ihipStream_tbEUlT_E1_NS1_11comp_targetILNS1_3genE8ELNS1_11target_archE1030ELNS1_3gpuE2ELNS1_3repE0EEENS1_30default_config_static_selectorELNS0_4arch9wavefront6targetE1EEEvS17_.kd
    .uniform_work_group_size: 1
    .uses_dynamic_stack: false
    .vgpr_count:     0
    .vgpr_spill_count: 0
    .wavefront_size: 64
  - .args:
      - .offset:         0
        .size:           48
        .value_kind:     by_value
    .group_segment_fixed_size: 0
    .kernarg_segment_align: 8
    .kernarg_segment_size: 48
    .language:       OpenCL C
    .language_version:
      - 2
      - 0
    .max_flat_workgroup_size: 256
    .name:           _ZN7rocprim17ROCPRIM_400000_NS6detail17trampoline_kernelINS0_13kernel_configILj256ELj4ELj4294967295EEENS1_37radix_sort_block_sort_config_selectorIllEEZNS1_21radix_sort_block_sortIS4_Lb0EPlS8_N6thrust23THRUST_200600_302600_NS10device_ptrIlEESC_NS0_19identity_decomposerEEE10hipError_tT1_T2_T3_T4_jRjT5_jjP12ihipStream_tbEUlT_E_NS1_11comp_targetILNS1_3genE0ELNS1_11target_archE4294967295ELNS1_3gpuE0ELNS1_3repE0EEENS1_44radix_sort_block_sort_config_static_selectorELNS0_4arch9wavefront6targetE1EEEvSF_
    .private_segment_fixed_size: 0
    .sgpr_count:     4
    .sgpr_spill_count: 0
    .symbol:         _ZN7rocprim17ROCPRIM_400000_NS6detail17trampoline_kernelINS0_13kernel_configILj256ELj4ELj4294967295EEENS1_37radix_sort_block_sort_config_selectorIllEEZNS1_21radix_sort_block_sortIS4_Lb0EPlS8_N6thrust23THRUST_200600_302600_NS10device_ptrIlEESC_NS0_19identity_decomposerEEE10hipError_tT1_T2_T3_T4_jRjT5_jjP12ihipStream_tbEUlT_E_NS1_11comp_targetILNS1_3genE0ELNS1_11target_archE4294967295ELNS1_3gpuE0ELNS1_3repE0EEENS1_44radix_sort_block_sort_config_static_selectorELNS0_4arch9wavefront6targetE1EEEvSF_.kd
    .uniform_work_group_size: 1
    .uses_dynamic_stack: false
    .vgpr_count:     0
    .vgpr_spill_count: 0
    .wavefront_size: 64
  - .args:
      - .offset:         0
        .size:           48
        .value_kind:     by_value
    .group_segment_fixed_size: 0
    .kernarg_segment_align: 8
    .kernarg_segment_size: 48
    .language:       OpenCL C
    .language_version:
      - 2
      - 0
    .max_flat_workgroup_size: 256
    .name:           _ZN7rocprim17ROCPRIM_400000_NS6detail17trampoline_kernelINS0_13kernel_configILj256ELj4ELj4294967295EEENS1_37radix_sort_block_sort_config_selectorIllEEZNS1_21radix_sort_block_sortIS4_Lb0EPlS8_N6thrust23THRUST_200600_302600_NS10device_ptrIlEESC_NS0_19identity_decomposerEEE10hipError_tT1_T2_T3_T4_jRjT5_jjP12ihipStream_tbEUlT_E_NS1_11comp_targetILNS1_3genE5ELNS1_11target_archE942ELNS1_3gpuE9ELNS1_3repE0EEENS1_44radix_sort_block_sort_config_static_selectorELNS0_4arch9wavefront6targetE1EEEvSF_
    .private_segment_fixed_size: 0
    .sgpr_count:     4
    .sgpr_spill_count: 0
    .symbol:         _ZN7rocprim17ROCPRIM_400000_NS6detail17trampoline_kernelINS0_13kernel_configILj256ELj4ELj4294967295EEENS1_37radix_sort_block_sort_config_selectorIllEEZNS1_21radix_sort_block_sortIS4_Lb0EPlS8_N6thrust23THRUST_200600_302600_NS10device_ptrIlEESC_NS0_19identity_decomposerEEE10hipError_tT1_T2_T3_T4_jRjT5_jjP12ihipStream_tbEUlT_E_NS1_11comp_targetILNS1_3genE5ELNS1_11target_archE942ELNS1_3gpuE9ELNS1_3repE0EEENS1_44radix_sort_block_sort_config_static_selectorELNS0_4arch9wavefront6targetE1EEEvSF_.kd
    .uniform_work_group_size: 1
    .uses_dynamic_stack: false
    .vgpr_count:     0
    .vgpr_spill_count: 0
    .wavefront_size: 64
  - .args:
      - .offset:         0
        .size:           48
        .value_kind:     by_value
    .group_segment_fixed_size: 0
    .kernarg_segment_align: 8
    .kernarg_segment_size: 48
    .language:       OpenCL C
    .language_version:
      - 2
      - 0
    .max_flat_workgroup_size: 256
    .name:           _ZN7rocprim17ROCPRIM_400000_NS6detail17trampoline_kernelINS0_13kernel_configILj256ELj4ELj4294967295EEENS1_37radix_sort_block_sort_config_selectorIllEEZNS1_21radix_sort_block_sortIS4_Lb0EPlS8_N6thrust23THRUST_200600_302600_NS10device_ptrIlEESC_NS0_19identity_decomposerEEE10hipError_tT1_T2_T3_T4_jRjT5_jjP12ihipStream_tbEUlT_E_NS1_11comp_targetILNS1_3genE4ELNS1_11target_archE910ELNS1_3gpuE8ELNS1_3repE0EEENS1_44radix_sort_block_sort_config_static_selectorELNS0_4arch9wavefront6targetE1EEEvSF_
    .private_segment_fixed_size: 0
    .sgpr_count:     4
    .sgpr_spill_count: 0
    .symbol:         _ZN7rocprim17ROCPRIM_400000_NS6detail17trampoline_kernelINS0_13kernel_configILj256ELj4ELj4294967295EEENS1_37radix_sort_block_sort_config_selectorIllEEZNS1_21radix_sort_block_sortIS4_Lb0EPlS8_N6thrust23THRUST_200600_302600_NS10device_ptrIlEESC_NS0_19identity_decomposerEEE10hipError_tT1_T2_T3_T4_jRjT5_jjP12ihipStream_tbEUlT_E_NS1_11comp_targetILNS1_3genE4ELNS1_11target_archE910ELNS1_3gpuE8ELNS1_3repE0EEENS1_44radix_sort_block_sort_config_static_selectorELNS0_4arch9wavefront6targetE1EEEvSF_.kd
    .uniform_work_group_size: 1
    .uses_dynamic_stack: false
    .vgpr_count:     0
    .vgpr_spill_count: 0
    .wavefront_size: 64
  - .args:
      - .offset:         0
        .size:           48
        .value_kind:     by_value
    .group_segment_fixed_size: 0
    .kernarg_segment_align: 8
    .kernarg_segment_size: 48
    .language:       OpenCL C
    .language_version:
      - 2
      - 0
    .max_flat_workgroup_size: 256
    .name:           _ZN7rocprim17ROCPRIM_400000_NS6detail17trampoline_kernelINS0_13kernel_configILj256ELj4ELj4294967295EEENS1_37radix_sort_block_sort_config_selectorIllEEZNS1_21radix_sort_block_sortIS4_Lb0EPlS8_N6thrust23THRUST_200600_302600_NS10device_ptrIlEESC_NS0_19identity_decomposerEEE10hipError_tT1_T2_T3_T4_jRjT5_jjP12ihipStream_tbEUlT_E_NS1_11comp_targetILNS1_3genE3ELNS1_11target_archE908ELNS1_3gpuE7ELNS1_3repE0EEENS1_44radix_sort_block_sort_config_static_selectorELNS0_4arch9wavefront6targetE1EEEvSF_
    .private_segment_fixed_size: 0
    .sgpr_count:     4
    .sgpr_spill_count: 0
    .symbol:         _ZN7rocprim17ROCPRIM_400000_NS6detail17trampoline_kernelINS0_13kernel_configILj256ELj4ELj4294967295EEENS1_37radix_sort_block_sort_config_selectorIllEEZNS1_21radix_sort_block_sortIS4_Lb0EPlS8_N6thrust23THRUST_200600_302600_NS10device_ptrIlEESC_NS0_19identity_decomposerEEE10hipError_tT1_T2_T3_T4_jRjT5_jjP12ihipStream_tbEUlT_E_NS1_11comp_targetILNS1_3genE3ELNS1_11target_archE908ELNS1_3gpuE7ELNS1_3repE0EEENS1_44radix_sort_block_sort_config_static_selectorELNS0_4arch9wavefront6targetE1EEEvSF_.kd
    .uniform_work_group_size: 1
    .uses_dynamic_stack: false
    .vgpr_count:     0
    .vgpr_spill_count: 0
    .wavefront_size: 64
  - .args:
      - .offset:         0
        .size:           48
        .value_kind:     by_value
      - .offset:         48
        .size:           4
        .value_kind:     hidden_block_count_x
      - .offset:         52
        .size:           4
        .value_kind:     hidden_block_count_y
      - .offset:         56
        .size:           4
        .value_kind:     hidden_block_count_z
      - .offset:         60
        .size:           2
        .value_kind:     hidden_group_size_x
      - .offset:         62
        .size:           2
        .value_kind:     hidden_group_size_y
      - .offset:         64
        .size:           2
        .value_kind:     hidden_group_size_z
      - .offset:         66
        .size:           2
        .value_kind:     hidden_remainder_x
      - .offset:         68
        .size:           2
        .value_kind:     hidden_remainder_y
      - .offset:         70
        .size:           2
        .value_kind:     hidden_remainder_z
      - .offset:         88
        .size:           8
        .value_kind:     hidden_global_offset_x
      - .offset:         96
        .size:           8
        .value_kind:     hidden_global_offset_y
      - .offset:         104
        .size:           8
        .value_kind:     hidden_global_offset_z
      - .offset:         112
        .size:           2
        .value_kind:     hidden_grid_dims
    .group_segment_fixed_size: 8192
    .kernarg_segment_align: 8
    .kernarg_segment_size: 304
    .language:       OpenCL C
    .language_version:
      - 2
      - 0
    .max_flat_workgroup_size: 256
    .name:           _ZN7rocprim17ROCPRIM_400000_NS6detail17trampoline_kernelINS0_13kernel_configILj256ELj4ELj4294967295EEENS1_37radix_sort_block_sort_config_selectorIllEEZNS1_21radix_sort_block_sortIS4_Lb0EPlS8_N6thrust23THRUST_200600_302600_NS10device_ptrIlEESC_NS0_19identity_decomposerEEE10hipError_tT1_T2_T3_T4_jRjT5_jjP12ihipStream_tbEUlT_E_NS1_11comp_targetILNS1_3genE2ELNS1_11target_archE906ELNS1_3gpuE6ELNS1_3repE0EEENS1_44radix_sort_block_sort_config_static_selectorELNS0_4arch9wavefront6targetE1EEEvSF_
    .private_segment_fixed_size: 0
    .sgpr_count:     50
    .sgpr_spill_count: 0
    .symbol:         _ZN7rocprim17ROCPRIM_400000_NS6detail17trampoline_kernelINS0_13kernel_configILj256ELj4ELj4294967295EEENS1_37radix_sort_block_sort_config_selectorIllEEZNS1_21radix_sort_block_sortIS4_Lb0EPlS8_N6thrust23THRUST_200600_302600_NS10device_ptrIlEESC_NS0_19identity_decomposerEEE10hipError_tT1_T2_T3_T4_jRjT5_jjP12ihipStream_tbEUlT_E_NS1_11comp_targetILNS1_3genE2ELNS1_11target_archE906ELNS1_3gpuE6ELNS1_3repE0EEENS1_44radix_sort_block_sort_config_static_selectorELNS0_4arch9wavefront6targetE1EEEvSF_.kd
    .uniform_work_group_size: 1
    .uses_dynamic_stack: false
    .vgpr_count:     49
    .vgpr_spill_count: 0
    .wavefront_size: 64
  - .args:
      - .offset:         0
        .size:           48
        .value_kind:     by_value
    .group_segment_fixed_size: 0
    .kernarg_segment_align: 8
    .kernarg_segment_size: 48
    .language:       OpenCL C
    .language_version:
      - 2
      - 0
    .max_flat_workgroup_size: 256
    .name:           _ZN7rocprim17ROCPRIM_400000_NS6detail17trampoline_kernelINS0_13kernel_configILj256ELj4ELj4294967295EEENS1_37radix_sort_block_sort_config_selectorIllEEZNS1_21radix_sort_block_sortIS4_Lb0EPlS8_N6thrust23THRUST_200600_302600_NS10device_ptrIlEESC_NS0_19identity_decomposerEEE10hipError_tT1_T2_T3_T4_jRjT5_jjP12ihipStream_tbEUlT_E_NS1_11comp_targetILNS1_3genE10ELNS1_11target_archE1201ELNS1_3gpuE5ELNS1_3repE0EEENS1_44radix_sort_block_sort_config_static_selectorELNS0_4arch9wavefront6targetE1EEEvSF_
    .private_segment_fixed_size: 0
    .sgpr_count:     4
    .sgpr_spill_count: 0
    .symbol:         _ZN7rocprim17ROCPRIM_400000_NS6detail17trampoline_kernelINS0_13kernel_configILj256ELj4ELj4294967295EEENS1_37radix_sort_block_sort_config_selectorIllEEZNS1_21radix_sort_block_sortIS4_Lb0EPlS8_N6thrust23THRUST_200600_302600_NS10device_ptrIlEESC_NS0_19identity_decomposerEEE10hipError_tT1_T2_T3_T4_jRjT5_jjP12ihipStream_tbEUlT_E_NS1_11comp_targetILNS1_3genE10ELNS1_11target_archE1201ELNS1_3gpuE5ELNS1_3repE0EEENS1_44radix_sort_block_sort_config_static_selectorELNS0_4arch9wavefront6targetE1EEEvSF_.kd
    .uniform_work_group_size: 1
    .uses_dynamic_stack: false
    .vgpr_count:     0
    .vgpr_spill_count: 0
    .wavefront_size: 64
  - .args:
      - .offset:         0
        .size:           48
        .value_kind:     by_value
    .group_segment_fixed_size: 0
    .kernarg_segment_align: 8
    .kernarg_segment_size: 48
    .language:       OpenCL C
    .language_version:
      - 2
      - 0
    .max_flat_workgroup_size: 256
    .name:           _ZN7rocprim17ROCPRIM_400000_NS6detail17trampoline_kernelINS0_13kernel_configILj256ELj4ELj4294967295EEENS1_37radix_sort_block_sort_config_selectorIllEEZNS1_21radix_sort_block_sortIS4_Lb0EPlS8_N6thrust23THRUST_200600_302600_NS10device_ptrIlEESC_NS0_19identity_decomposerEEE10hipError_tT1_T2_T3_T4_jRjT5_jjP12ihipStream_tbEUlT_E_NS1_11comp_targetILNS1_3genE10ELNS1_11target_archE1200ELNS1_3gpuE4ELNS1_3repE0EEENS1_44radix_sort_block_sort_config_static_selectorELNS0_4arch9wavefront6targetE1EEEvSF_
    .private_segment_fixed_size: 0
    .sgpr_count:     4
    .sgpr_spill_count: 0
    .symbol:         _ZN7rocprim17ROCPRIM_400000_NS6detail17trampoline_kernelINS0_13kernel_configILj256ELj4ELj4294967295EEENS1_37radix_sort_block_sort_config_selectorIllEEZNS1_21radix_sort_block_sortIS4_Lb0EPlS8_N6thrust23THRUST_200600_302600_NS10device_ptrIlEESC_NS0_19identity_decomposerEEE10hipError_tT1_T2_T3_T4_jRjT5_jjP12ihipStream_tbEUlT_E_NS1_11comp_targetILNS1_3genE10ELNS1_11target_archE1200ELNS1_3gpuE4ELNS1_3repE0EEENS1_44radix_sort_block_sort_config_static_selectorELNS0_4arch9wavefront6targetE1EEEvSF_.kd
    .uniform_work_group_size: 1
    .uses_dynamic_stack: false
    .vgpr_count:     0
    .vgpr_spill_count: 0
    .wavefront_size: 64
  - .args:
      - .offset:         0
        .size:           48
        .value_kind:     by_value
    .group_segment_fixed_size: 0
    .kernarg_segment_align: 8
    .kernarg_segment_size: 48
    .language:       OpenCL C
    .language_version:
      - 2
      - 0
    .max_flat_workgroup_size: 256
    .name:           _ZN7rocprim17ROCPRIM_400000_NS6detail17trampoline_kernelINS0_13kernel_configILj256ELj4ELj4294967295EEENS1_37radix_sort_block_sort_config_selectorIllEEZNS1_21radix_sort_block_sortIS4_Lb0EPlS8_N6thrust23THRUST_200600_302600_NS10device_ptrIlEESC_NS0_19identity_decomposerEEE10hipError_tT1_T2_T3_T4_jRjT5_jjP12ihipStream_tbEUlT_E_NS1_11comp_targetILNS1_3genE9ELNS1_11target_archE1100ELNS1_3gpuE3ELNS1_3repE0EEENS1_44radix_sort_block_sort_config_static_selectorELNS0_4arch9wavefront6targetE1EEEvSF_
    .private_segment_fixed_size: 0
    .sgpr_count:     4
    .sgpr_spill_count: 0
    .symbol:         _ZN7rocprim17ROCPRIM_400000_NS6detail17trampoline_kernelINS0_13kernel_configILj256ELj4ELj4294967295EEENS1_37radix_sort_block_sort_config_selectorIllEEZNS1_21radix_sort_block_sortIS4_Lb0EPlS8_N6thrust23THRUST_200600_302600_NS10device_ptrIlEESC_NS0_19identity_decomposerEEE10hipError_tT1_T2_T3_T4_jRjT5_jjP12ihipStream_tbEUlT_E_NS1_11comp_targetILNS1_3genE9ELNS1_11target_archE1100ELNS1_3gpuE3ELNS1_3repE0EEENS1_44radix_sort_block_sort_config_static_selectorELNS0_4arch9wavefront6targetE1EEEvSF_.kd
    .uniform_work_group_size: 1
    .uses_dynamic_stack: false
    .vgpr_count:     0
    .vgpr_spill_count: 0
    .wavefront_size: 64
  - .args:
      - .offset:         0
        .size:           48
        .value_kind:     by_value
    .group_segment_fixed_size: 0
    .kernarg_segment_align: 8
    .kernarg_segment_size: 48
    .language:       OpenCL C
    .language_version:
      - 2
      - 0
    .max_flat_workgroup_size: 256
    .name:           _ZN7rocprim17ROCPRIM_400000_NS6detail17trampoline_kernelINS0_13kernel_configILj256ELj4ELj4294967295EEENS1_37radix_sort_block_sort_config_selectorIllEEZNS1_21radix_sort_block_sortIS4_Lb0EPlS8_N6thrust23THRUST_200600_302600_NS10device_ptrIlEESC_NS0_19identity_decomposerEEE10hipError_tT1_T2_T3_T4_jRjT5_jjP12ihipStream_tbEUlT_E_NS1_11comp_targetILNS1_3genE8ELNS1_11target_archE1030ELNS1_3gpuE2ELNS1_3repE0EEENS1_44radix_sort_block_sort_config_static_selectorELNS0_4arch9wavefront6targetE1EEEvSF_
    .private_segment_fixed_size: 0
    .sgpr_count:     4
    .sgpr_spill_count: 0
    .symbol:         _ZN7rocprim17ROCPRIM_400000_NS6detail17trampoline_kernelINS0_13kernel_configILj256ELj4ELj4294967295EEENS1_37radix_sort_block_sort_config_selectorIllEEZNS1_21radix_sort_block_sortIS4_Lb0EPlS8_N6thrust23THRUST_200600_302600_NS10device_ptrIlEESC_NS0_19identity_decomposerEEE10hipError_tT1_T2_T3_T4_jRjT5_jjP12ihipStream_tbEUlT_E_NS1_11comp_targetILNS1_3genE8ELNS1_11target_archE1030ELNS1_3gpuE2ELNS1_3repE0EEENS1_44radix_sort_block_sort_config_static_selectorELNS0_4arch9wavefront6targetE1EEEvSF_.kd
    .uniform_work_group_size: 1
    .uses_dynamic_stack: false
    .vgpr_count:     0
    .vgpr_spill_count: 0
    .wavefront_size: 64
  - .args:           []
    .group_segment_fixed_size: 0
    .kernarg_segment_align: 4
    .kernarg_segment_size: 0
    .language:       OpenCL C
    .language_version:
      - 2
      - 0
    .max_flat_workgroup_size: 1024
    .name:           _ZN7rocprim17ROCPRIM_400000_NS6detail44device_merge_sort_compile_time_verifier_archINS1_11comp_targetILNS1_3genE0ELNS1_11target_archE4294967295ELNS1_3gpuE0ELNS1_3repE0EEES8_NS1_28merge_sort_block_sort_configILj256ELj4ELNS0_20block_sort_algorithmE0EEENS0_14default_configENS1_37merge_sort_block_sort_config_selectorIllEENS1_38merge_sort_block_merge_config_selectorIllEEEEvv
    .private_segment_fixed_size: 0
    .sgpr_count:     4
    .sgpr_spill_count: 0
    .symbol:         _ZN7rocprim17ROCPRIM_400000_NS6detail44device_merge_sort_compile_time_verifier_archINS1_11comp_targetILNS1_3genE0ELNS1_11target_archE4294967295ELNS1_3gpuE0ELNS1_3repE0EEES8_NS1_28merge_sort_block_sort_configILj256ELj4ELNS0_20block_sort_algorithmE0EEENS0_14default_configENS1_37merge_sort_block_sort_config_selectorIllEENS1_38merge_sort_block_merge_config_selectorIllEEEEvv.kd
    .uniform_work_group_size: 1
    .uses_dynamic_stack: false
    .vgpr_count:     0
    .vgpr_spill_count: 0
    .wavefront_size: 64
  - .args:           []
    .group_segment_fixed_size: 0
    .kernarg_segment_align: 4
    .kernarg_segment_size: 0
    .language:       OpenCL C
    .language_version:
      - 2
      - 0
    .max_flat_workgroup_size: 1024
    .name:           _ZN7rocprim17ROCPRIM_400000_NS6detail44device_merge_sort_compile_time_verifier_archINS1_11comp_targetILNS1_3genE5ELNS1_11target_archE942ELNS1_3gpuE9ELNS1_3repE0EEES8_NS1_28merge_sort_block_sort_configILj256ELj4ELNS0_20block_sort_algorithmE0EEENS0_14default_configENS1_37merge_sort_block_sort_config_selectorIllEENS1_38merge_sort_block_merge_config_selectorIllEEEEvv
    .private_segment_fixed_size: 0
    .sgpr_count:     4
    .sgpr_spill_count: 0
    .symbol:         _ZN7rocprim17ROCPRIM_400000_NS6detail44device_merge_sort_compile_time_verifier_archINS1_11comp_targetILNS1_3genE5ELNS1_11target_archE942ELNS1_3gpuE9ELNS1_3repE0EEES8_NS1_28merge_sort_block_sort_configILj256ELj4ELNS0_20block_sort_algorithmE0EEENS0_14default_configENS1_37merge_sort_block_sort_config_selectorIllEENS1_38merge_sort_block_merge_config_selectorIllEEEEvv.kd
    .uniform_work_group_size: 1
    .uses_dynamic_stack: false
    .vgpr_count:     0
    .vgpr_spill_count: 0
    .wavefront_size: 64
  - .args:           []
    .group_segment_fixed_size: 0
    .kernarg_segment_align: 4
    .kernarg_segment_size: 0
    .language:       OpenCL C
    .language_version:
      - 2
      - 0
    .max_flat_workgroup_size: 1024
    .name:           _ZN7rocprim17ROCPRIM_400000_NS6detail44device_merge_sort_compile_time_verifier_archINS1_11comp_targetILNS1_3genE4ELNS1_11target_archE910ELNS1_3gpuE8ELNS1_3repE0EEES8_NS1_28merge_sort_block_sort_configILj256ELj4ELNS0_20block_sort_algorithmE0EEENS0_14default_configENS1_37merge_sort_block_sort_config_selectorIllEENS1_38merge_sort_block_merge_config_selectorIllEEEEvv
    .private_segment_fixed_size: 0
    .sgpr_count:     4
    .sgpr_spill_count: 0
    .symbol:         _ZN7rocprim17ROCPRIM_400000_NS6detail44device_merge_sort_compile_time_verifier_archINS1_11comp_targetILNS1_3genE4ELNS1_11target_archE910ELNS1_3gpuE8ELNS1_3repE0EEES8_NS1_28merge_sort_block_sort_configILj256ELj4ELNS0_20block_sort_algorithmE0EEENS0_14default_configENS1_37merge_sort_block_sort_config_selectorIllEENS1_38merge_sort_block_merge_config_selectorIllEEEEvv.kd
    .uniform_work_group_size: 1
    .uses_dynamic_stack: false
    .vgpr_count:     0
    .vgpr_spill_count: 0
    .wavefront_size: 64
  - .args:           []
    .group_segment_fixed_size: 0
    .kernarg_segment_align: 4
    .kernarg_segment_size: 0
    .language:       OpenCL C
    .language_version:
      - 2
      - 0
    .max_flat_workgroup_size: 1024
    .name:           _ZN7rocprim17ROCPRIM_400000_NS6detail44device_merge_sort_compile_time_verifier_archINS1_11comp_targetILNS1_3genE3ELNS1_11target_archE908ELNS1_3gpuE7ELNS1_3repE0EEES8_NS1_28merge_sort_block_sort_configILj256ELj4ELNS0_20block_sort_algorithmE0EEENS0_14default_configENS1_37merge_sort_block_sort_config_selectorIllEENS1_38merge_sort_block_merge_config_selectorIllEEEEvv
    .private_segment_fixed_size: 0
    .sgpr_count:     4
    .sgpr_spill_count: 0
    .symbol:         _ZN7rocprim17ROCPRIM_400000_NS6detail44device_merge_sort_compile_time_verifier_archINS1_11comp_targetILNS1_3genE3ELNS1_11target_archE908ELNS1_3gpuE7ELNS1_3repE0EEES8_NS1_28merge_sort_block_sort_configILj256ELj4ELNS0_20block_sort_algorithmE0EEENS0_14default_configENS1_37merge_sort_block_sort_config_selectorIllEENS1_38merge_sort_block_merge_config_selectorIllEEEEvv.kd
    .uniform_work_group_size: 1
    .uses_dynamic_stack: false
    .vgpr_count:     0
    .vgpr_spill_count: 0
    .wavefront_size: 64
  - .args:           []
    .group_segment_fixed_size: 0
    .kernarg_segment_align: 4
    .kernarg_segment_size: 0
    .language:       OpenCL C
    .language_version:
      - 2
      - 0
    .max_flat_workgroup_size: 1024
    .name:           _ZN7rocprim17ROCPRIM_400000_NS6detail44device_merge_sort_compile_time_verifier_archINS1_11comp_targetILNS1_3genE2ELNS1_11target_archE906ELNS1_3gpuE6ELNS1_3repE0EEES8_NS1_28merge_sort_block_sort_configILj256ELj4ELNS0_20block_sort_algorithmE0EEENS0_14default_configENS1_37merge_sort_block_sort_config_selectorIllEENS1_38merge_sort_block_merge_config_selectorIllEEEEvv
    .private_segment_fixed_size: 0
    .sgpr_count:     4
    .sgpr_spill_count: 0
    .symbol:         _ZN7rocprim17ROCPRIM_400000_NS6detail44device_merge_sort_compile_time_verifier_archINS1_11comp_targetILNS1_3genE2ELNS1_11target_archE906ELNS1_3gpuE6ELNS1_3repE0EEES8_NS1_28merge_sort_block_sort_configILj256ELj4ELNS0_20block_sort_algorithmE0EEENS0_14default_configENS1_37merge_sort_block_sort_config_selectorIllEENS1_38merge_sort_block_merge_config_selectorIllEEEEvv.kd
    .uniform_work_group_size: 1
    .uses_dynamic_stack: false
    .vgpr_count:     0
    .vgpr_spill_count: 0
    .wavefront_size: 64
  - .args:           []
    .group_segment_fixed_size: 0
    .kernarg_segment_align: 4
    .kernarg_segment_size: 0
    .language:       OpenCL C
    .language_version:
      - 2
      - 0
    .max_flat_workgroup_size: 1024
    .name:           _ZN7rocprim17ROCPRIM_400000_NS6detail44device_merge_sort_compile_time_verifier_archINS1_11comp_targetILNS1_3genE10ELNS1_11target_archE1201ELNS1_3gpuE5ELNS1_3repE0EEES8_NS1_28merge_sort_block_sort_configILj256ELj4ELNS0_20block_sort_algorithmE0EEENS0_14default_configENS1_37merge_sort_block_sort_config_selectorIllEENS1_38merge_sort_block_merge_config_selectorIllEEEEvv
    .private_segment_fixed_size: 0
    .sgpr_count:     4
    .sgpr_spill_count: 0
    .symbol:         _ZN7rocprim17ROCPRIM_400000_NS6detail44device_merge_sort_compile_time_verifier_archINS1_11comp_targetILNS1_3genE10ELNS1_11target_archE1201ELNS1_3gpuE5ELNS1_3repE0EEES8_NS1_28merge_sort_block_sort_configILj256ELj4ELNS0_20block_sort_algorithmE0EEENS0_14default_configENS1_37merge_sort_block_sort_config_selectorIllEENS1_38merge_sort_block_merge_config_selectorIllEEEEvv.kd
    .uniform_work_group_size: 1
    .uses_dynamic_stack: false
    .vgpr_count:     0
    .vgpr_spill_count: 0
    .wavefront_size: 64
  - .args:           []
    .group_segment_fixed_size: 0
    .kernarg_segment_align: 4
    .kernarg_segment_size: 0
    .language:       OpenCL C
    .language_version:
      - 2
      - 0
    .max_flat_workgroup_size: 1024
    .name:           _ZN7rocprim17ROCPRIM_400000_NS6detail44device_merge_sort_compile_time_verifier_archINS1_11comp_targetILNS1_3genE10ELNS1_11target_archE1200ELNS1_3gpuE4ELNS1_3repE0EEENS3_ILS4_10ELS5_1201ELS6_5ELS7_0EEENS1_28merge_sort_block_sort_configILj256ELj4ELNS0_20block_sort_algorithmE0EEENS0_14default_configENS1_37merge_sort_block_sort_config_selectorIllEENS1_38merge_sort_block_merge_config_selectorIllEEEEvv
    .private_segment_fixed_size: 0
    .sgpr_count:     4
    .sgpr_spill_count: 0
    .symbol:         _ZN7rocprim17ROCPRIM_400000_NS6detail44device_merge_sort_compile_time_verifier_archINS1_11comp_targetILNS1_3genE10ELNS1_11target_archE1200ELNS1_3gpuE4ELNS1_3repE0EEENS3_ILS4_10ELS5_1201ELS6_5ELS7_0EEENS1_28merge_sort_block_sort_configILj256ELj4ELNS0_20block_sort_algorithmE0EEENS0_14default_configENS1_37merge_sort_block_sort_config_selectorIllEENS1_38merge_sort_block_merge_config_selectorIllEEEEvv.kd
    .uniform_work_group_size: 1
    .uses_dynamic_stack: false
    .vgpr_count:     0
    .vgpr_spill_count: 0
    .wavefront_size: 64
  - .args:           []
    .group_segment_fixed_size: 0
    .kernarg_segment_align: 4
    .kernarg_segment_size: 0
    .language:       OpenCL C
    .language_version:
      - 2
      - 0
    .max_flat_workgroup_size: 1024
    .name:           _ZN7rocprim17ROCPRIM_400000_NS6detail44device_merge_sort_compile_time_verifier_archINS1_11comp_targetILNS1_3genE9ELNS1_11target_archE1100ELNS1_3gpuE3ELNS1_3repE0EEES8_NS1_28merge_sort_block_sort_configILj256ELj4ELNS0_20block_sort_algorithmE0EEENS0_14default_configENS1_37merge_sort_block_sort_config_selectorIllEENS1_38merge_sort_block_merge_config_selectorIllEEEEvv
    .private_segment_fixed_size: 0
    .sgpr_count:     4
    .sgpr_spill_count: 0
    .symbol:         _ZN7rocprim17ROCPRIM_400000_NS6detail44device_merge_sort_compile_time_verifier_archINS1_11comp_targetILNS1_3genE9ELNS1_11target_archE1100ELNS1_3gpuE3ELNS1_3repE0EEES8_NS1_28merge_sort_block_sort_configILj256ELj4ELNS0_20block_sort_algorithmE0EEENS0_14default_configENS1_37merge_sort_block_sort_config_selectorIllEENS1_38merge_sort_block_merge_config_selectorIllEEEEvv.kd
    .uniform_work_group_size: 1
    .uses_dynamic_stack: false
    .vgpr_count:     0
    .vgpr_spill_count: 0
    .wavefront_size: 64
  - .args:           []
    .group_segment_fixed_size: 0
    .kernarg_segment_align: 4
    .kernarg_segment_size: 0
    .language:       OpenCL C
    .language_version:
      - 2
      - 0
    .max_flat_workgroup_size: 1024
    .name:           _ZN7rocprim17ROCPRIM_400000_NS6detail44device_merge_sort_compile_time_verifier_archINS1_11comp_targetILNS1_3genE8ELNS1_11target_archE1030ELNS1_3gpuE2ELNS1_3repE0EEES8_NS1_28merge_sort_block_sort_configILj256ELj4ELNS0_20block_sort_algorithmE0EEENS0_14default_configENS1_37merge_sort_block_sort_config_selectorIllEENS1_38merge_sort_block_merge_config_selectorIllEEEEvv
    .private_segment_fixed_size: 0
    .sgpr_count:     4
    .sgpr_spill_count: 0
    .symbol:         _ZN7rocprim17ROCPRIM_400000_NS6detail44device_merge_sort_compile_time_verifier_archINS1_11comp_targetILNS1_3genE8ELNS1_11target_archE1030ELNS1_3gpuE2ELNS1_3repE0EEES8_NS1_28merge_sort_block_sort_configILj256ELj4ELNS0_20block_sort_algorithmE0EEENS0_14default_configENS1_37merge_sort_block_sort_config_selectorIllEENS1_38merge_sort_block_merge_config_selectorIllEEEEvv.kd
    .uniform_work_group_size: 1
    .uses_dynamic_stack: false
    .vgpr_count:     0
    .vgpr_spill_count: 0
    .wavefront_size: 64
  - .args:
      - .offset:         0
        .size:           40
        .value_kind:     by_value
    .group_segment_fixed_size: 0
    .kernarg_segment_align: 8
    .kernarg_segment_size: 40
    .language:       OpenCL C
    .language_version:
      - 2
      - 0
    .max_flat_workgroup_size: 128
    .name:           _ZN7rocprim17ROCPRIM_400000_NS6detail17trampoline_kernelINS0_14default_configENS1_38merge_sort_block_merge_config_selectorIllEEZZNS1_27merge_sort_block_merge_implIS3_PlN6thrust23THRUST_200600_302600_NS10device_ptrIlEEjNS1_19radix_merge_compareILb0ELb0ElNS0_19identity_decomposerEEEEE10hipError_tT0_T1_T2_jT3_P12ihipStream_tbPNSt15iterator_traitsISG_E10value_typeEPNSM_ISH_E10value_typeEPSI_NS1_7vsmem_tEENKUlT_SG_SH_SI_E_clIS7_S7_S7_SB_EESF_SV_SG_SH_SI_EUlSV_E_NS1_11comp_targetILNS1_3genE0ELNS1_11target_archE4294967295ELNS1_3gpuE0ELNS1_3repE0EEENS1_48merge_mergepath_partition_config_static_selectorELNS0_4arch9wavefront6targetE1EEEvSH_
    .private_segment_fixed_size: 0
    .sgpr_count:     4
    .sgpr_spill_count: 0
    .symbol:         _ZN7rocprim17ROCPRIM_400000_NS6detail17trampoline_kernelINS0_14default_configENS1_38merge_sort_block_merge_config_selectorIllEEZZNS1_27merge_sort_block_merge_implIS3_PlN6thrust23THRUST_200600_302600_NS10device_ptrIlEEjNS1_19radix_merge_compareILb0ELb0ElNS0_19identity_decomposerEEEEE10hipError_tT0_T1_T2_jT3_P12ihipStream_tbPNSt15iterator_traitsISG_E10value_typeEPNSM_ISH_E10value_typeEPSI_NS1_7vsmem_tEENKUlT_SG_SH_SI_E_clIS7_S7_S7_SB_EESF_SV_SG_SH_SI_EUlSV_E_NS1_11comp_targetILNS1_3genE0ELNS1_11target_archE4294967295ELNS1_3gpuE0ELNS1_3repE0EEENS1_48merge_mergepath_partition_config_static_selectorELNS0_4arch9wavefront6targetE1EEEvSH_.kd
    .uniform_work_group_size: 1
    .uses_dynamic_stack: false
    .vgpr_count:     0
    .vgpr_spill_count: 0
    .wavefront_size: 64
  - .args:
      - .offset:         0
        .size:           40
        .value_kind:     by_value
    .group_segment_fixed_size: 0
    .kernarg_segment_align: 8
    .kernarg_segment_size: 40
    .language:       OpenCL C
    .language_version:
      - 2
      - 0
    .max_flat_workgroup_size: 128
    .name:           _ZN7rocprim17ROCPRIM_400000_NS6detail17trampoline_kernelINS0_14default_configENS1_38merge_sort_block_merge_config_selectorIllEEZZNS1_27merge_sort_block_merge_implIS3_PlN6thrust23THRUST_200600_302600_NS10device_ptrIlEEjNS1_19radix_merge_compareILb0ELb0ElNS0_19identity_decomposerEEEEE10hipError_tT0_T1_T2_jT3_P12ihipStream_tbPNSt15iterator_traitsISG_E10value_typeEPNSM_ISH_E10value_typeEPSI_NS1_7vsmem_tEENKUlT_SG_SH_SI_E_clIS7_S7_S7_SB_EESF_SV_SG_SH_SI_EUlSV_E_NS1_11comp_targetILNS1_3genE10ELNS1_11target_archE1201ELNS1_3gpuE5ELNS1_3repE0EEENS1_48merge_mergepath_partition_config_static_selectorELNS0_4arch9wavefront6targetE1EEEvSH_
    .private_segment_fixed_size: 0
    .sgpr_count:     4
    .sgpr_spill_count: 0
    .symbol:         _ZN7rocprim17ROCPRIM_400000_NS6detail17trampoline_kernelINS0_14default_configENS1_38merge_sort_block_merge_config_selectorIllEEZZNS1_27merge_sort_block_merge_implIS3_PlN6thrust23THRUST_200600_302600_NS10device_ptrIlEEjNS1_19radix_merge_compareILb0ELb0ElNS0_19identity_decomposerEEEEE10hipError_tT0_T1_T2_jT3_P12ihipStream_tbPNSt15iterator_traitsISG_E10value_typeEPNSM_ISH_E10value_typeEPSI_NS1_7vsmem_tEENKUlT_SG_SH_SI_E_clIS7_S7_S7_SB_EESF_SV_SG_SH_SI_EUlSV_E_NS1_11comp_targetILNS1_3genE10ELNS1_11target_archE1201ELNS1_3gpuE5ELNS1_3repE0EEENS1_48merge_mergepath_partition_config_static_selectorELNS0_4arch9wavefront6targetE1EEEvSH_.kd
    .uniform_work_group_size: 1
    .uses_dynamic_stack: false
    .vgpr_count:     0
    .vgpr_spill_count: 0
    .wavefront_size: 64
  - .args:
      - .offset:         0
        .size:           40
        .value_kind:     by_value
    .group_segment_fixed_size: 0
    .kernarg_segment_align: 8
    .kernarg_segment_size: 40
    .language:       OpenCL C
    .language_version:
      - 2
      - 0
    .max_flat_workgroup_size: 128
    .name:           _ZN7rocprim17ROCPRIM_400000_NS6detail17trampoline_kernelINS0_14default_configENS1_38merge_sort_block_merge_config_selectorIllEEZZNS1_27merge_sort_block_merge_implIS3_PlN6thrust23THRUST_200600_302600_NS10device_ptrIlEEjNS1_19radix_merge_compareILb0ELb0ElNS0_19identity_decomposerEEEEE10hipError_tT0_T1_T2_jT3_P12ihipStream_tbPNSt15iterator_traitsISG_E10value_typeEPNSM_ISH_E10value_typeEPSI_NS1_7vsmem_tEENKUlT_SG_SH_SI_E_clIS7_S7_S7_SB_EESF_SV_SG_SH_SI_EUlSV_E_NS1_11comp_targetILNS1_3genE5ELNS1_11target_archE942ELNS1_3gpuE9ELNS1_3repE0EEENS1_48merge_mergepath_partition_config_static_selectorELNS0_4arch9wavefront6targetE1EEEvSH_
    .private_segment_fixed_size: 0
    .sgpr_count:     4
    .sgpr_spill_count: 0
    .symbol:         _ZN7rocprim17ROCPRIM_400000_NS6detail17trampoline_kernelINS0_14default_configENS1_38merge_sort_block_merge_config_selectorIllEEZZNS1_27merge_sort_block_merge_implIS3_PlN6thrust23THRUST_200600_302600_NS10device_ptrIlEEjNS1_19radix_merge_compareILb0ELb0ElNS0_19identity_decomposerEEEEE10hipError_tT0_T1_T2_jT3_P12ihipStream_tbPNSt15iterator_traitsISG_E10value_typeEPNSM_ISH_E10value_typeEPSI_NS1_7vsmem_tEENKUlT_SG_SH_SI_E_clIS7_S7_S7_SB_EESF_SV_SG_SH_SI_EUlSV_E_NS1_11comp_targetILNS1_3genE5ELNS1_11target_archE942ELNS1_3gpuE9ELNS1_3repE0EEENS1_48merge_mergepath_partition_config_static_selectorELNS0_4arch9wavefront6targetE1EEEvSH_.kd
    .uniform_work_group_size: 1
    .uses_dynamic_stack: false
    .vgpr_count:     0
    .vgpr_spill_count: 0
    .wavefront_size: 64
  - .args:
      - .offset:         0
        .size:           40
        .value_kind:     by_value
    .group_segment_fixed_size: 0
    .kernarg_segment_align: 8
    .kernarg_segment_size: 40
    .language:       OpenCL C
    .language_version:
      - 2
      - 0
    .max_flat_workgroup_size: 128
    .name:           _ZN7rocprim17ROCPRIM_400000_NS6detail17trampoline_kernelINS0_14default_configENS1_38merge_sort_block_merge_config_selectorIllEEZZNS1_27merge_sort_block_merge_implIS3_PlN6thrust23THRUST_200600_302600_NS10device_ptrIlEEjNS1_19radix_merge_compareILb0ELb0ElNS0_19identity_decomposerEEEEE10hipError_tT0_T1_T2_jT3_P12ihipStream_tbPNSt15iterator_traitsISG_E10value_typeEPNSM_ISH_E10value_typeEPSI_NS1_7vsmem_tEENKUlT_SG_SH_SI_E_clIS7_S7_S7_SB_EESF_SV_SG_SH_SI_EUlSV_E_NS1_11comp_targetILNS1_3genE4ELNS1_11target_archE910ELNS1_3gpuE8ELNS1_3repE0EEENS1_48merge_mergepath_partition_config_static_selectorELNS0_4arch9wavefront6targetE1EEEvSH_
    .private_segment_fixed_size: 0
    .sgpr_count:     4
    .sgpr_spill_count: 0
    .symbol:         _ZN7rocprim17ROCPRIM_400000_NS6detail17trampoline_kernelINS0_14default_configENS1_38merge_sort_block_merge_config_selectorIllEEZZNS1_27merge_sort_block_merge_implIS3_PlN6thrust23THRUST_200600_302600_NS10device_ptrIlEEjNS1_19radix_merge_compareILb0ELb0ElNS0_19identity_decomposerEEEEE10hipError_tT0_T1_T2_jT3_P12ihipStream_tbPNSt15iterator_traitsISG_E10value_typeEPNSM_ISH_E10value_typeEPSI_NS1_7vsmem_tEENKUlT_SG_SH_SI_E_clIS7_S7_S7_SB_EESF_SV_SG_SH_SI_EUlSV_E_NS1_11comp_targetILNS1_3genE4ELNS1_11target_archE910ELNS1_3gpuE8ELNS1_3repE0EEENS1_48merge_mergepath_partition_config_static_selectorELNS0_4arch9wavefront6targetE1EEEvSH_.kd
    .uniform_work_group_size: 1
    .uses_dynamic_stack: false
    .vgpr_count:     0
    .vgpr_spill_count: 0
    .wavefront_size: 64
  - .args:
      - .offset:         0
        .size:           40
        .value_kind:     by_value
    .group_segment_fixed_size: 0
    .kernarg_segment_align: 8
    .kernarg_segment_size: 40
    .language:       OpenCL C
    .language_version:
      - 2
      - 0
    .max_flat_workgroup_size: 128
    .name:           _ZN7rocprim17ROCPRIM_400000_NS6detail17trampoline_kernelINS0_14default_configENS1_38merge_sort_block_merge_config_selectorIllEEZZNS1_27merge_sort_block_merge_implIS3_PlN6thrust23THRUST_200600_302600_NS10device_ptrIlEEjNS1_19radix_merge_compareILb0ELb0ElNS0_19identity_decomposerEEEEE10hipError_tT0_T1_T2_jT3_P12ihipStream_tbPNSt15iterator_traitsISG_E10value_typeEPNSM_ISH_E10value_typeEPSI_NS1_7vsmem_tEENKUlT_SG_SH_SI_E_clIS7_S7_S7_SB_EESF_SV_SG_SH_SI_EUlSV_E_NS1_11comp_targetILNS1_3genE3ELNS1_11target_archE908ELNS1_3gpuE7ELNS1_3repE0EEENS1_48merge_mergepath_partition_config_static_selectorELNS0_4arch9wavefront6targetE1EEEvSH_
    .private_segment_fixed_size: 0
    .sgpr_count:     4
    .sgpr_spill_count: 0
    .symbol:         _ZN7rocprim17ROCPRIM_400000_NS6detail17trampoline_kernelINS0_14default_configENS1_38merge_sort_block_merge_config_selectorIllEEZZNS1_27merge_sort_block_merge_implIS3_PlN6thrust23THRUST_200600_302600_NS10device_ptrIlEEjNS1_19radix_merge_compareILb0ELb0ElNS0_19identity_decomposerEEEEE10hipError_tT0_T1_T2_jT3_P12ihipStream_tbPNSt15iterator_traitsISG_E10value_typeEPNSM_ISH_E10value_typeEPSI_NS1_7vsmem_tEENKUlT_SG_SH_SI_E_clIS7_S7_S7_SB_EESF_SV_SG_SH_SI_EUlSV_E_NS1_11comp_targetILNS1_3genE3ELNS1_11target_archE908ELNS1_3gpuE7ELNS1_3repE0EEENS1_48merge_mergepath_partition_config_static_selectorELNS0_4arch9wavefront6targetE1EEEvSH_.kd
    .uniform_work_group_size: 1
    .uses_dynamic_stack: false
    .vgpr_count:     0
    .vgpr_spill_count: 0
    .wavefront_size: 64
  - .args:
      - .offset:         0
        .size:           40
        .value_kind:     by_value
    .group_segment_fixed_size: 0
    .kernarg_segment_align: 8
    .kernarg_segment_size: 40
    .language:       OpenCL C
    .language_version:
      - 2
      - 0
    .max_flat_workgroup_size: 128
    .name:           _ZN7rocprim17ROCPRIM_400000_NS6detail17trampoline_kernelINS0_14default_configENS1_38merge_sort_block_merge_config_selectorIllEEZZNS1_27merge_sort_block_merge_implIS3_PlN6thrust23THRUST_200600_302600_NS10device_ptrIlEEjNS1_19radix_merge_compareILb0ELb0ElNS0_19identity_decomposerEEEEE10hipError_tT0_T1_T2_jT3_P12ihipStream_tbPNSt15iterator_traitsISG_E10value_typeEPNSM_ISH_E10value_typeEPSI_NS1_7vsmem_tEENKUlT_SG_SH_SI_E_clIS7_S7_S7_SB_EESF_SV_SG_SH_SI_EUlSV_E_NS1_11comp_targetILNS1_3genE2ELNS1_11target_archE906ELNS1_3gpuE6ELNS1_3repE0EEENS1_48merge_mergepath_partition_config_static_selectorELNS0_4arch9wavefront6targetE1EEEvSH_
    .private_segment_fixed_size: 0
    .sgpr_count:     12
    .sgpr_spill_count: 0
    .symbol:         _ZN7rocprim17ROCPRIM_400000_NS6detail17trampoline_kernelINS0_14default_configENS1_38merge_sort_block_merge_config_selectorIllEEZZNS1_27merge_sort_block_merge_implIS3_PlN6thrust23THRUST_200600_302600_NS10device_ptrIlEEjNS1_19radix_merge_compareILb0ELb0ElNS0_19identity_decomposerEEEEE10hipError_tT0_T1_T2_jT3_P12ihipStream_tbPNSt15iterator_traitsISG_E10value_typeEPNSM_ISH_E10value_typeEPSI_NS1_7vsmem_tEENKUlT_SG_SH_SI_E_clIS7_S7_S7_SB_EESF_SV_SG_SH_SI_EUlSV_E_NS1_11comp_targetILNS1_3genE2ELNS1_11target_archE906ELNS1_3gpuE6ELNS1_3repE0EEENS1_48merge_mergepath_partition_config_static_selectorELNS0_4arch9wavefront6targetE1EEEvSH_.kd
    .uniform_work_group_size: 1
    .uses_dynamic_stack: false
    .vgpr_count:     19
    .vgpr_spill_count: 0
    .wavefront_size: 64
  - .args:
      - .offset:         0
        .size:           40
        .value_kind:     by_value
    .group_segment_fixed_size: 0
    .kernarg_segment_align: 8
    .kernarg_segment_size: 40
    .language:       OpenCL C
    .language_version:
      - 2
      - 0
    .max_flat_workgroup_size: 128
    .name:           _ZN7rocprim17ROCPRIM_400000_NS6detail17trampoline_kernelINS0_14default_configENS1_38merge_sort_block_merge_config_selectorIllEEZZNS1_27merge_sort_block_merge_implIS3_PlN6thrust23THRUST_200600_302600_NS10device_ptrIlEEjNS1_19radix_merge_compareILb0ELb0ElNS0_19identity_decomposerEEEEE10hipError_tT0_T1_T2_jT3_P12ihipStream_tbPNSt15iterator_traitsISG_E10value_typeEPNSM_ISH_E10value_typeEPSI_NS1_7vsmem_tEENKUlT_SG_SH_SI_E_clIS7_S7_S7_SB_EESF_SV_SG_SH_SI_EUlSV_E_NS1_11comp_targetILNS1_3genE9ELNS1_11target_archE1100ELNS1_3gpuE3ELNS1_3repE0EEENS1_48merge_mergepath_partition_config_static_selectorELNS0_4arch9wavefront6targetE1EEEvSH_
    .private_segment_fixed_size: 0
    .sgpr_count:     4
    .sgpr_spill_count: 0
    .symbol:         _ZN7rocprim17ROCPRIM_400000_NS6detail17trampoline_kernelINS0_14default_configENS1_38merge_sort_block_merge_config_selectorIllEEZZNS1_27merge_sort_block_merge_implIS3_PlN6thrust23THRUST_200600_302600_NS10device_ptrIlEEjNS1_19radix_merge_compareILb0ELb0ElNS0_19identity_decomposerEEEEE10hipError_tT0_T1_T2_jT3_P12ihipStream_tbPNSt15iterator_traitsISG_E10value_typeEPNSM_ISH_E10value_typeEPSI_NS1_7vsmem_tEENKUlT_SG_SH_SI_E_clIS7_S7_S7_SB_EESF_SV_SG_SH_SI_EUlSV_E_NS1_11comp_targetILNS1_3genE9ELNS1_11target_archE1100ELNS1_3gpuE3ELNS1_3repE0EEENS1_48merge_mergepath_partition_config_static_selectorELNS0_4arch9wavefront6targetE1EEEvSH_.kd
    .uniform_work_group_size: 1
    .uses_dynamic_stack: false
    .vgpr_count:     0
    .vgpr_spill_count: 0
    .wavefront_size: 64
  - .args:
      - .offset:         0
        .size:           40
        .value_kind:     by_value
    .group_segment_fixed_size: 0
    .kernarg_segment_align: 8
    .kernarg_segment_size: 40
    .language:       OpenCL C
    .language_version:
      - 2
      - 0
    .max_flat_workgroup_size: 128
    .name:           _ZN7rocprim17ROCPRIM_400000_NS6detail17trampoline_kernelINS0_14default_configENS1_38merge_sort_block_merge_config_selectorIllEEZZNS1_27merge_sort_block_merge_implIS3_PlN6thrust23THRUST_200600_302600_NS10device_ptrIlEEjNS1_19radix_merge_compareILb0ELb0ElNS0_19identity_decomposerEEEEE10hipError_tT0_T1_T2_jT3_P12ihipStream_tbPNSt15iterator_traitsISG_E10value_typeEPNSM_ISH_E10value_typeEPSI_NS1_7vsmem_tEENKUlT_SG_SH_SI_E_clIS7_S7_S7_SB_EESF_SV_SG_SH_SI_EUlSV_E_NS1_11comp_targetILNS1_3genE8ELNS1_11target_archE1030ELNS1_3gpuE2ELNS1_3repE0EEENS1_48merge_mergepath_partition_config_static_selectorELNS0_4arch9wavefront6targetE1EEEvSH_
    .private_segment_fixed_size: 0
    .sgpr_count:     4
    .sgpr_spill_count: 0
    .symbol:         _ZN7rocprim17ROCPRIM_400000_NS6detail17trampoline_kernelINS0_14default_configENS1_38merge_sort_block_merge_config_selectorIllEEZZNS1_27merge_sort_block_merge_implIS3_PlN6thrust23THRUST_200600_302600_NS10device_ptrIlEEjNS1_19radix_merge_compareILb0ELb0ElNS0_19identity_decomposerEEEEE10hipError_tT0_T1_T2_jT3_P12ihipStream_tbPNSt15iterator_traitsISG_E10value_typeEPNSM_ISH_E10value_typeEPSI_NS1_7vsmem_tEENKUlT_SG_SH_SI_E_clIS7_S7_S7_SB_EESF_SV_SG_SH_SI_EUlSV_E_NS1_11comp_targetILNS1_3genE8ELNS1_11target_archE1030ELNS1_3gpuE2ELNS1_3repE0EEENS1_48merge_mergepath_partition_config_static_selectorELNS0_4arch9wavefront6targetE1EEEvSH_.kd
    .uniform_work_group_size: 1
    .uses_dynamic_stack: false
    .vgpr_count:     0
    .vgpr_spill_count: 0
    .wavefront_size: 64
  - .args:
      - .offset:         0
        .size:           64
        .value_kind:     by_value
    .group_segment_fixed_size: 0
    .kernarg_segment_align: 8
    .kernarg_segment_size: 64
    .language:       OpenCL C
    .language_version:
      - 2
      - 0
    .max_flat_workgroup_size: 512
    .name:           _ZN7rocprim17ROCPRIM_400000_NS6detail17trampoline_kernelINS0_14default_configENS1_38merge_sort_block_merge_config_selectorIllEEZZNS1_27merge_sort_block_merge_implIS3_PlN6thrust23THRUST_200600_302600_NS10device_ptrIlEEjNS1_19radix_merge_compareILb0ELb0ElNS0_19identity_decomposerEEEEE10hipError_tT0_T1_T2_jT3_P12ihipStream_tbPNSt15iterator_traitsISG_E10value_typeEPNSM_ISH_E10value_typeEPSI_NS1_7vsmem_tEENKUlT_SG_SH_SI_E_clIS7_S7_S7_SB_EESF_SV_SG_SH_SI_EUlSV_E0_NS1_11comp_targetILNS1_3genE0ELNS1_11target_archE4294967295ELNS1_3gpuE0ELNS1_3repE0EEENS1_38merge_mergepath_config_static_selectorELNS0_4arch9wavefront6targetE1EEEvSH_
    .private_segment_fixed_size: 0
    .sgpr_count:     4
    .sgpr_spill_count: 0
    .symbol:         _ZN7rocprim17ROCPRIM_400000_NS6detail17trampoline_kernelINS0_14default_configENS1_38merge_sort_block_merge_config_selectorIllEEZZNS1_27merge_sort_block_merge_implIS3_PlN6thrust23THRUST_200600_302600_NS10device_ptrIlEEjNS1_19radix_merge_compareILb0ELb0ElNS0_19identity_decomposerEEEEE10hipError_tT0_T1_T2_jT3_P12ihipStream_tbPNSt15iterator_traitsISG_E10value_typeEPNSM_ISH_E10value_typeEPSI_NS1_7vsmem_tEENKUlT_SG_SH_SI_E_clIS7_S7_S7_SB_EESF_SV_SG_SH_SI_EUlSV_E0_NS1_11comp_targetILNS1_3genE0ELNS1_11target_archE4294967295ELNS1_3gpuE0ELNS1_3repE0EEENS1_38merge_mergepath_config_static_selectorELNS0_4arch9wavefront6targetE1EEEvSH_.kd
    .uniform_work_group_size: 1
    .uses_dynamic_stack: false
    .vgpr_count:     0
    .vgpr_spill_count: 0
    .wavefront_size: 64
  - .args:
      - .offset:         0
        .size:           64
        .value_kind:     by_value
    .group_segment_fixed_size: 0
    .kernarg_segment_align: 8
    .kernarg_segment_size: 64
    .language:       OpenCL C
    .language_version:
      - 2
      - 0
    .max_flat_workgroup_size: 512
    .name:           _ZN7rocprim17ROCPRIM_400000_NS6detail17trampoline_kernelINS0_14default_configENS1_38merge_sort_block_merge_config_selectorIllEEZZNS1_27merge_sort_block_merge_implIS3_PlN6thrust23THRUST_200600_302600_NS10device_ptrIlEEjNS1_19radix_merge_compareILb0ELb0ElNS0_19identity_decomposerEEEEE10hipError_tT0_T1_T2_jT3_P12ihipStream_tbPNSt15iterator_traitsISG_E10value_typeEPNSM_ISH_E10value_typeEPSI_NS1_7vsmem_tEENKUlT_SG_SH_SI_E_clIS7_S7_S7_SB_EESF_SV_SG_SH_SI_EUlSV_E0_NS1_11comp_targetILNS1_3genE10ELNS1_11target_archE1201ELNS1_3gpuE5ELNS1_3repE0EEENS1_38merge_mergepath_config_static_selectorELNS0_4arch9wavefront6targetE1EEEvSH_
    .private_segment_fixed_size: 0
    .sgpr_count:     4
    .sgpr_spill_count: 0
    .symbol:         _ZN7rocprim17ROCPRIM_400000_NS6detail17trampoline_kernelINS0_14default_configENS1_38merge_sort_block_merge_config_selectorIllEEZZNS1_27merge_sort_block_merge_implIS3_PlN6thrust23THRUST_200600_302600_NS10device_ptrIlEEjNS1_19radix_merge_compareILb0ELb0ElNS0_19identity_decomposerEEEEE10hipError_tT0_T1_T2_jT3_P12ihipStream_tbPNSt15iterator_traitsISG_E10value_typeEPNSM_ISH_E10value_typeEPSI_NS1_7vsmem_tEENKUlT_SG_SH_SI_E_clIS7_S7_S7_SB_EESF_SV_SG_SH_SI_EUlSV_E0_NS1_11comp_targetILNS1_3genE10ELNS1_11target_archE1201ELNS1_3gpuE5ELNS1_3repE0EEENS1_38merge_mergepath_config_static_selectorELNS0_4arch9wavefront6targetE1EEEvSH_.kd
    .uniform_work_group_size: 1
    .uses_dynamic_stack: false
    .vgpr_count:     0
    .vgpr_spill_count: 0
    .wavefront_size: 64
  - .args:
      - .offset:         0
        .size:           64
        .value_kind:     by_value
    .group_segment_fixed_size: 0
    .kernarg_segment_align: 8
    .kernarg_segment_size: 64
    .language:       OpenCL C
    .language_version:
      - 2
      - 0
    .max_flat_workgroup_size: 256
    .name:           _ZN7rocprim17ROCPRIM_400000_NS6detail17trampoline_kernelINS0_14default_configENS1_38merge_sort_block_merge_config_selectorIllEEZZNS1_27merge_sort_block_merge_implIS3_PlN6thrust23THRUST_200600_302600_NS10device_ptrIlEEjNS1_19radix_merge_compareILb0ELb0ElNS0_19identity_decomposerEEEEE10hipError_tT0_T1_T2_jT3_P12ihipStream_tbPNSt15iterator_traitsISG_E10value_typeEPNSM_ISH_E10value_typeEPSI_NS1_7vsmem_tEENKUlT_SG_SH_SI_E_clIS7_S7_S7_SB_EESF_SV_SG_SH_SI_EUlSV_E0_NS1_11comp_targetILNS1_3genE5ELNS1_11target_archE942ELNS1_3gpuE9ELNS1_3repE0EEENS1_38merge_mergepath_config_static_selectorELNS0_4arch9wavefront6targetE1EEEvSH_
    .private_segment_fixed_size: 0
    .sgpr_count:     4
    .sgpr_spill_count: 0
    .symbol:         _ZN7rocprim17ROCPRIM_400000_NS6detail17trampoline_kernelINS0_14default_configENS1_38merge_sort_block_merge_config_selectorIllEEZZNS1_27merge_sort_block_merge_implIS3_PlN6thrust23THRUST_200600_302600_NS10device_ptrIlEEjNS1_19radix_merge_compareILb0ELb0ElNS0_19identity_decomposerEEEEE10hipError_tT0_T1_T2_jT3_P12ihipStream_tbPNSt15iterator_traitsISG_E10value_typeEPNSM_ISH_E10value_typeEPSI_NS1_7vsmem_tEENKUlT_SG_SH_SI_E_clIS7_S7_S7_SB_EESF_SV_SG_SH_SI_EUlSV_E0_NS1_11comp_targetILNS1_3genE5ELNS1_11target_archE942ELNS1_3gpuE9ELNS1_3repE0EEENS1_38merge_mergepath_config_static_selectorELNS0_4arch9wavefront6targetE1EEEvSH_.kd
    .uniform_work_group_size: 1
    .uses_dynamic_stack: false
    .vgpr_count:     0
    .vgpr_spill_count: 0
    .wavefront_size: 64
  - .args:
      - .offset:         0
        .size:           64
        .value_kind:     by_value
    .group_segment_fixed_size: 0
    .kernarg_segment_align: 8
    .kernarg_segment_size: 64
    .language:       OpenCL C
    .language_version:
      - 2
      - 0
    .max_flat_workgroup_size: 512
    .name:           _ZN7rocprim17ROCPRIM_400000_NS6detail17trampoline_kernelINS0_14default_configENS1_38merge_sort_block_merge_config_selectorIllEEZZNS1_27merge_sort_block_merge_implIS3_PlN6thrust23THRUST_200600_302600_NS10device_ptrIlEEjNS1_19radix_merge_compareILb0ELb0ElNS0_19identity_decomposerEEEEE10hipError_tT0_T1_T2_jT3_P12ihipStream_tbPNSt15iterator_traitsISG_E10value_typeEPNSM_ISH_E10value_typeEPSI_NS1_7vsmem_tEENKUlT_SG_SH_SI_E_clIS7_S7_S7_SB_EESF_SV_SG_SH_SI_EUlSV_E0_NS1_11comp_targetILNS1_3genE4ELNS1_11target_archE910ELNS1_3gpuE8ELNS1_3repE0EEENS1_38merge_mergepath_config_static_selectorELNS0_4arch9wavefront6targetE1EEEvSH_
    .private_segment_fixed_size: 0
    .sgpr_count:     4
    .sgpr_spill_count: 0
    .symbol:         _ZN7rocprim17ROCPRIM_400000_NS6detail17trampoline_kernelINS0_14default_configENS1_38merge_sort_block_merge_config_selectorIllEEZZNS1_27merge_sort_block_merge_implIS3_PlN6thrust23THRUST_200600_302600_NS10device_ptrIlEEjNS1_19radix_merge_compareILb0ELb0ElNS0_19identity_decomposerEEEEE10hipError_tT0_T1_T2_jT3_P12ihipStream_tbPNSt15iterator_traitsISG_E10value_typeEPNSM_ISH_E10value_typeEPSI_NS1_7vsmem_tEENKUlT_SG_SH_SI_E_clIS7_S7_S7_SB_EESF_SV_SG_SH_SI_EUlSV_E0_NS1_11comp_targetILNS1_3genE4ELNS1_11target_archE910ELNS1_3gpuE8ELNS1_3repE0EEENS1_38merge_mergepath_config_static_selectorELNS0_4arch9wavefront6targetE1EEEvSH_.kd
    .uniform_work_group_size: 1
    .uses_dynamic_stack: false
    .vgpr_count:     0
    .vgpr_spill_count: 0
    .wavefront_size: 64
  - .args:
      - .offset:         0
        .size:           64
        .value_kind:     by_value
    .group_segment_fixed_size: 0
    .kernarg_segment_align: 8
    .kernarg_segment_size: 64
    .language:       OpenCL C
    .language_version:
      - 2
      - 0
    .max_flat_workgroup_size: 512
    .name:           _ZN7rocprim17ROCPRIM_400000_NS6detail17trampoline_kernelINS0_14default_configENS1_38merge_sort_block_merge_config_selectorIllEEZZNS1_27merge_sort_block_merge_implIS3_PlN6thrust23THRUST_200600_302600_NS10device_ptrIlEEjNS1_19radix_merge_compareILb0ELb0ElNS0_19identity_decomposerEEEEE10hipError_tT0_T1_T2_jT3_P12ihipStream_tbPNSt15iterator_traitsISG_E10value_typeEPNSM_ISH_E10value_typeEPSI_NS1_7vsmem_tEENKUlT_SG_SH_SI_E_clIS7_S7_S7_SB_EESF_SV_SG_SH_SI_EUlSV_E0_NS1_11comp_targetILNS1_3genE3ELNS1_11target_archE908ELNS1_3gpuE7ELNS1_3repE0EEENS1_38merge_mergepath_config_static_selectorELNS0_4arch9wavefront6targetE1EEEvSH_
    .private_segment_fixed_size: 0
    .sgpr_count:     4
    .sgpr_spill_count: 0
    .symbol:         _ZN7rocprim17ROCPRIM_400000_NS6detail17trampoline_kernelINS0_14default_configENS1_38merge_sort_block_merge_config_selectorIllEEZZNS1_27merge_sort_block_merge_implIS3_PlN6thrust23THRUST_200600_302600_NS10device_ptrIlEEjNS1_19radix_merge_compareILb0ELb0ElNS0_19identity_decomposerEEEEE10hipError_tT0_T1_T2_jT3_P12ihipStream_tbPNSt15iterator_traitsISG_E10value_typeEPNSM_ISH_E10value_typeEPSI_NS1_7vsmem_tEENKUlT_SG_SH_SI_E_clIS7_S7_S7_SB_EESF_SV_SG_SH_SI_EUlSV_E0_NS1_11comp_targetILNS1_3genE3ELNS1_11target_archE908ELNS1_3gpuE7ELNS1_3repE0EEENS1_38merge_mergepath_config_static_selectorELNS0_4arch9wavefront6targetE1EEEvSH_.kd
    .uniform_work_group_size: 1
    .uses_dynamic_stack: false
    .vgpr_count:     0
    .vgpr_spill_count: 0
    .wavefront_size: 64
  - .args:
      - .offset:         0
        .size:           64
        .value_kind:     by_value
      - .offset:         64
        .size:           4
        .value_kind:     hidden_block_count_x
      - .offset:         68
        .size:           4
        .value_kind:     hidden_block_count_y
      - .offset:         72
        .size:           4
        .value_kind:     hidden_block_count_z
      - .offset:         76
        .size:           2
        .value_kind:     hidden_group_size_x
      - .offset:         78
        .size:           2
        .value_kind:     hidden_group_size_y
      - .offset:         80
        .size:           2
        .value_kind:     hidden_group_size_z
      - .offset:         82
        .size:           2
        .value_kind:     hidden_remainder_x
      - .offset:         84
        .size:           2
        .value_kind:     hidden_remainder_y
      - .offset:         86
        .size:           2
        .value_kind:     hidden_remainder_z
      - .offset:         104
        .size:           8
        .value_kind:     hidden_global_offset_x
      - .offset:         112
        .size:           8
        .value_kind:     hidden_global_offset_y
      - .offset:         120
        .size:           8
        .value_kind:     hidden_global_offset_z
      - .offset:         128
        .size:           2
        .value_kind:     hidden_grid_dims
    .group_segment_fixed_size: 8448
    .kernarg_segment_align: 8
    .kernarg_segment_size: 320
    .language:       OpenCL C
    .language_version:
      - 2
      - 0
    .max_flat_workgroup_size: 128
    .name:           _ZN7rocprim17ROCPRIM_400000_NS6detail17trampoline_kernelINS0_14default_configENS1_38merge_sort_block_merge_config_selectorIllEEZZNS1_27merge_sort_block_merge_implIS3_PlN6thrust23THRUST_200600_302600_NS10device_ptrIlEEjNS1_19radix_merge_compareILb0ELb0ElNS0_19identity_decomposerEEEEE10hipError_tT0_T1_T2_jT3_P12ihipStream_tbPNSt15iterator_traitsISG_E10value_typeEPNSM_ISH_E10value_typeEPSI_NS1_7vsmem_tEENKUlT_SG_SH_SI_E_clIS7_S7_S7_SB_EESF_SV_SG_SH_SI_EUlSV_E0_NS1_11comp_targetILNS1_3genE2ELNS1_11target_archE906ELNS1_3gpuE6ELNS1_3repE0EEENS1_38merge_mergepath_config_static_selectorELNS0_4arch9wavefront6targetE1EEEvSH_
    .private_segment_fixed_size: 0
    .sgpr_count:     35
    .sgpr_spill_count: 0
    .symbol:         _ZN7rocprim17ROCPRIM_400000_NS6detail17trampoline_kernelINS0_14default_configENS1_38merge_sort_block_merge_config_selectorIllEEZZNS1_27merge_sort_block_merge_implIS3_PlN6thrust23THRUST_200600_302600_NS10device_ptrIlEEjNS1_19radix_merge_compareILb0ELb0ElNS0_19identity_decomposerEEEEE10hipError_tT0_T1_T2_jT3_P12ihipStream_tbPNSt15iterator_traitsISG_E10value_typeEPNSM_ISH_E10value_typeEPSI_NS1_7vsmem_tEENKUlT_SG_SH_SI_E_clIS7_S7_S7_SB_EESF_SV_SG_SH_SI_EUlSV_E0_NS1_11comp_targetILNS1_3genE2ELNS1_11target_archE906ELNS1_3gpuE6ELNS1_3repE0EEENS1_38merge_mergepath_config_static_selectorELNS0_4arch9wavefront6targetE1EEEvSH_.kd
    .uniform_work_group_size: 1
    .uses_dynamic_stack: false
    .vgpr_count:     54
    .vgpr_spill_count: 0
    .wavefront_size: 64
  - .args:
      - .offset:         0
        .size:           64
        .value_kind:     by_value
    .group_segment_fixed_size: 0
    .kernarg_segment_align: 8
    .kernarg_segment_size: 64
    .language:       OpenCL C
    .language_version:
      - 2
      - 0
    .max_flat_workgroup_size: 1024
    .name:           _ZN7rocprim17ROCPRIM_400000_NS6detail17trampoline_kernelINS0_14default_configENS1_38merge_sort_block_merge_config_selectorIllEEZZNS1_27merge_sort_block_merge_implIS3_PlN6thrust23THRUST_200600_302600_NS10device_ptrIlEEjNS1_19radix_merge_compareILb0ELb0ElNS0_19identity_decomposerEEEEE10hipError_tT0_T1_T2_jT3_P12ihipStream_tbPNSt15iterator_traitsISG_E10value_typeEPNSM_ISH_E10value_typeEPSI_NS1_7vsmem_tEENKUlT_SG_SH_SI_E_clIS7_S7_S7_SB_EESF_SV_SG_SH_SI_EUlSV_E0_NS1_11comp_targetILNS1_3genE9ELNS1_11target_archE1100ELNS1_3gpuE3ELNS1_3repE0EEENS1_38merge_mergepath_config_static_selectorELNS0_4arch9wavefront6targetE1EEEvSH_
    .private_segment_fixed_size: 0
    .sgpr_count:     4
    .sgpr_spill_count: 0
    .symbol:         _ZN7rocprim17ROCPRIM_400000_NS6detail17trampoline_kernelINS0_14default_configENS1_38merge_sort_block_merge_config_selectorIllEEZZNS1_27merge_sort_block_merge_implIS3_PlN6thrust23THRUST_200600_302600_NS10device_ptrIlEEjNS1_19radix_merge_compareILb0ELb0ElNS0_19identity_decomposerEEEEE10hipError_tT0_T1_T2_jT3_P12ihipStream_tbPNSt15iterator_traitsISG_E10value_typeEPNSM_ISH_E10value_typeEPSI_NS1_7vsmem_tEENKUlT_SG_SH_SI_E_clIS7_S7_S7_SB_EESF_SV_SG_SH_SI_EUlSV_E0_NS1_11comp_targetILNS1_3genE9ELNS1_11target_archE1100ELNS1_3gpuE3ELNS1_3repE0EEENS1_38merge_mergepath_config_static_selectorELNS0_4arch9wavefront6targetE1EEEvSH_.kd
    .uniform_work_group_size: 1
    .uses_dynamic_stack: false
    .vgpr_count:     0
    .vgpr_spill_count: 0
    .wavefront_size: 64
  - .args:
      - .offset:         0
        .size:           64
        .value_kind:     by_value
    .group_segment_fixed_size: 0
    .kernarg_segment_align: 8
    .kernarg_segment_size: 64
    .language:       OpenCL C
    .language_version:
      - 2
      - 0
    .max_flat_workgroup_size: 1024
    .name:           _ZN7rocprim17ROCPRIM_400000_NS6detail17trampoline_kernelINS0_14default_configENS1_38merge_sort_block_merge_config_selectorIllEEZZNS1_27merge_sort_block_merge_implIS3_PlN6thrust23THRUST_200600_302600_NS10device_ptrIlEEjNS1_19radix_merge_compareILb0ELb0ElNS0_19identity_decomposerEEEEE10hipError_tT0_T1_T2_jT3_P12ihipStream_tbPNSt15iterator_traitsISG_E10value_typeEPNSM_ISH_E10value_typeEPSI_NS1_7vsmem_tEENKUlT_SG_SH_SI_E_clIS7_S7_S7_SB_EESF_SV_SG_SH_SI_EUlSV_E0_NS1_11comp_targetILNS1_3genE8ELNS1_11target_archE1030ELNS1_3gpuE2ELNS1_3repE0EEENS1_38merge_mergepath_config_static_selectorELNS0_4arch9wavefront6targetE1EEEvSH_
    .private_segment_fixed_size: 0
    .sgpr_count:     4
    .sgpr_spill_count: 0
    .symbol:         _ZN7rocprim17ROCPRIM_400000_NS6detail17trampoline_kernelINS0_14default_configENS1_38merge_sort_block_merge_config_selectorIllEEZZNS1_27merge_sort_block_merge_implIS3_PlN6thrust23THRUST_200600_302600_NS10device_ptrIlEEjNS1_19radix_merge_compareILb0ELb0ElNS0_19identity_decomposerEEEEE10hipError_tT0_T1_T2_jT3_P12ihipStream_tbPNSt15iterator_traitsISG_E10value_typeEPNSM_ISH_E10value_typeEPSI_NS1_7vsmem_tEENKUlT_SG_SH_SI_E_clIS7_S7_S7_SB_EESF_SV_SG_SH_SI_EUlSV_E0_NS1_11comp_targetILNS1_3genE8ELNS1_11target_archE1030ELNS1_3gpuE2ELNS1_3repE0EEENS1_38merge_mergepath_config_static_selectorELNS0_4arch9wavefront6targetE1EEEvSH_.kd
    .uniform_work_group_size: 1
    .uses_dynamic_stack: false
    .vgpr_count:     0
    .vgpr_spill_count: 0
    .wavefront_size: 64
  - .args:
      - .offset:         0
        .size:           48
        .value_kind:     by_value
    .group_segment_fixed_size: 0
    .kernarg_segment_align: 8
    .kernarg_segment_size: 48
    .language:       OpenCL C
    .language_version:
      - 2
      - 0
    .max_flat_workgroup_size: 256
    .name:           _ZN7rocprim17ROCPRIM_400000_NS6detail17trampoline_kernelINS0_14default_configENS1_38merge_sort_block_merge_config_selectorIllEEZZNS1_27merge_sort_block_merge_implIS3_PlN6thrust23THRUST_200600_302600_NS10device_ptrIlEEjNS1_19radix_merge_compareILb0ELb0ElNS0_19identity_decomposerEEEEE10hipError_tT0_T1_T2_jT3_P12ihipStream_tbPNSt15iterator_traitsISG_E10value_typeEPNSM_ISH_E10value_typeEPSI_NS1_7vsmem_tEENKUlT_SG_SH_SI_E_clIS7_S7_S7_SB_EESF_SV_SG_SH_SI_EUlSV_E1_NS1_11comp_targetILNS1_3genE0ELNS1_11target_archE4294967295ELNS1_3gpuE0ELNS1_3repE0EEENS1_36merge_oddeven_config_static_selectorELNS0_4arch9wavefront6targetE1EEEvSH_
    .private_segment_fixed_size: 0
    .sgpr_count:     4
    .sgpr_spill_count: 0
    .symbol:         _ZN7rocprim17ROCPRIM_400000_NS6detail17trampoline_kernelINS0_14default_configENS1_38merge_sort_block_merge_config_selectorIllEEZZNS1_27merge_sort_block_merge_implIS3_PlN6thrust23THRUST_200600_302600_NS10device_ptrIlEEjNS1_19radix_merge_compareILb0ELb0ElNS0_19identity_decomposerEEEEE10hipError_tT0_T1_T2_jT3_P12ihipStream_tbPNSt15iterator_traitsISG_E10value_typeEPNSM_ISH_E10value_typeEPSI_NS1_7vsmem_tEENKUlT_SG_SH_SI_E_clIS7_S7_S7_SB_EESF_SV_SG_SH_SI_EUlSV_E1_NS1_11comp_targetILNS1_3genE0ELNS1_11target_archE4294967295ELNS1_3gpuE0ELNS1_3repE0EEENS1_36merge_oddeven_config_static_selectorELNS0_4arch9wavefront6targetE1EEEvSH_.kd
    .uniform_work_group_size: 1
    .uses_dynamic_stack: false
    .vgpr_count:     0
    .vgpr_spill_count: 0
    .wavefront_size: 64
  - .args:
      - .offset:         0
        .size:           48
        .value_kind:     by_value
    .group_segment_fixed_size: 0
    .kernarg_segment_align: 8
    .kernarg_segment_size: 48
    .language:       OpenCL C
    .language_version:
      - 2
      - 0
    .max_flat_workgroup_size: 256
    .name:           _ZN7rocprim17ROCPRIM_400000_NS6detail17trampoline_kernelINS0_14default_configENS1_38merge_sort_block_merge_config_selectorIllEEZZNS1_27merge_sort_block_merge_implIS3_PlN6thrust23THRUST_200600_302600_NS10device_ptrIlEEjNS1_19radix_merge_compareILb0ELb0ElNS0_19identity_decomposerEEEEE10hipError_tT0_T1_T2_jT3_P12ihipStream_tbPNSt15iterator_traitsISG_E10value_typeEPNSM_ISH_E10value_typeEPSI_NS1_7vsmem_tEENKUlT_SG_SH_SI_E_clIS7_S7_S7_SB_EESF_SV_SG_SH_SI_EUlSV_E1_NS1_11comp_targetILNS1_3genE10ELNS1_11target_archE1201ELNS1_3gpuE5ELNS1_3repE0EEENS1_36merge_oddeven_config_static_selectorELNS0_4arch9wavefront6targetE1EEEvSH_
    .private_segment_fixed_size: 0
    .sgpr_count:     4
    .sgpr_spill_count: 0
    .symbol:         _ZN7rocprim17ROCPRIM_400000_NS6detail17trampoline_kernelINS0_14default_configENS1_38merge_sort_block_merge_config_selectorIllEEZZNS1_27merge_sort_block_merge_implIS3_PlN6thrust23THRUST_200600_302600_NS10device_ptrIlEEjNS1_19radix_merge_compareILb0ELb0ElNS0_19identity_decomposerEEEEE10hipError_tT0_T1_T2_jT3_P12ihipStream_tbPNSt15iterator_traitsISG_E10value_typeEPNSM_ISH_E10value_typeEPSI_NS1_7vsmem_tEENKUlT_SG_SH_SI_E_clIS7_S7_S7_SB_EESF_SV_SG_SH_SI_EUlSV_E1_NS1_11comp_targetILNS1_3genE10ELNS1_11target_archE1201ELNS1_3gpuE5ELNS1_3repE0EEENS1_36merge_oddeven_config_static_selectorELNS0_4arch9wavefront6targetE1EEEvSH_.kd
    .uniform_work_group_size: 1
    .uses_dynamic_stack: false
    .vgpr_count:     0
    .vgpr_spill_count: 0
    .wavefront_size: 64
  - .args:
      - .offset:         0
        .size:           48
        .value_kind:     by_value
    .group_segment_fixed_size: 0
    .kernarg_segment_align: 8
    .kernarg_segment_size: 48
    .language:       OpenCL C
    .language_version:
      - 2
      - 0
    .max_flat_workgroup_size: 256
    .name:           _ZN7rocprim17ROCPRIM_400000_NS6detail17trampoline_kernelINS0_14default_configENS1_38merge_sort_block_merge_config_selectorIllEEZZNS1_27merge_sort_block_merge_implIS3_PlN6thrust23THRUST_200600_302600_NS10device_ptrIlEEjNS1_19radix_merge_compareILb0ELb0ElNS0_19identity_decomposerEEEEE10hipError_tT0_T1_T2_jT3_P12ihipStream_tbPNSt15iterator_traitsISG_E10value_typeEPNSM_ISH_E10value_typeEPSI_NS1_7vsmem_tEENKUlT_SG_SH_SI_E_clIS7_S7_S7_SB_EESF_SV_SG_SH_SI_EUlSV_E1_NS1_11comp_targetILNS1_3genE5ELNS1_11target_archE942ELNS1_3gpuE9ELNS1_3repE0EEENS1_36merge_oddeven_config_static_selectorELNS0_4arch9wavefront6targetE1EEEvSH_
    .private_segment_fixed_size: 0
    .sgpr_count:     4
    .sgpr_spill_count: 0
    .symbol:         _ZN7rocprim17ROCPRIM_400000_NS6detail17trampoline_kernelINS0_14default_configENS1_38merge_sort_block_merge_config_selectorIllEEZZNS1_27merge_sort_block_merge_implIS3_PlN6thrust23THRUST_200600_302600_NS10device_ptrIlEEjNS1_19radix_merge_compareILb0ELb0ElNS0_19identity_decomposerEEEEE10hipError_tT0_T1_T2_jT3_P12ihipStream_tbPNSt15iterator_traitsISG_E10value_typeEPNSM_ISH_E10value_typeEPSI_NS1_7vsmem_tEENKUlT_SG_SH_SI_E_clIS7_S7_S7_SB_EESF_SV_SG_SH_SI_EUlSV_E1_NS1_11comp_targetILNS1_3genE5ELNS1_11target_archE942ELNS1_3gpuE9ELNS1_3repE0EEENS1_36merge_oddeven_config_static_selectorELNS0_4arch9wavefront6targetE1EEEvSH_.kd
    .uniform_work_group_size: 1
    .uses_dynamic_stack: false
    .vgpr_count:     0
    .vgpr_spill_count: 0
    .wavefront_size: 64
  - .args:
      - .offset:         0
        .size:           48
        .value_kind:     by_value
    .group_segment_fixed_size: 0
    .kernarg_segment_align: 8
    .kernarg_segment_size: 48
    .language:       OpenCL C
    .language_version:
      - 2
      - 0
    .max_flat_workgroup_size: 256
    .name:           _ZN7rocprim17ROCPRIM_400000_NS6detail17trampoline_kernelINS0_14default_configENS1_38merge_sort_block_merge_config_selectorIllEEZZNS1_27merge_sort_block_merge_implIS3_PlN6thrust23THRUST_200600_302600_NS10device_ptrIlEEjNS1_19radix_merge_compareILb0ELb0ElNS0_19identity_decomposerEEEEE10hipError_tT0_T1_T2_jT3_P12ihipStream_tbPNSt15iterator_traitsISG_E10value_typeEPNSM_ISH_E10value_typeEPSI_NS1_7vsmem_tEENKUlT_SG_SH_SI_E_clIS7_S7_S7_SB_EESF_SV_SG_SH_SI_EUlSV_E1_NS1_11comp_targetILNS1_3genE4ELNS1_11target_archE910ELNS1_3gpuE8ELNS1_3repE0EEENS1_36merge_oddeven_config_static_selectorELNS0_4arch9wavefront6targetE1EEEvSH_
    .private_segment_fixed_size: 0
    .sgpr_count:     4
    .sgpr_spill_count: 0
    .symbol:         _ZN7rocprim17ROCPRIM_400000_NS6detail17trampoline_kernelINS0_14default_configENS1_38merge_sort_block_merge_config_selectorIllEEZZNS1_27merge_sort_block_merge_implIS3_PlN6thrust23THRUST_200600_302600_NS10device_ptrIlEEjNS1_19radix_merge_compareILb0ELb0ElNS0_19identity_decomposerEEEEE10hipError_tT0_T1_T2_jT3_P12ihipStream_tbPNSt15iterator_traitsISG_E10value_typeEPNSM_ISH_E10value_typeEPSI_NS1_7vsmem_tEENKUlT_SG_SH_SI_E_clIS7_S7_S7_SB_EESF_SV_SG_SH_SI_EUlSV_E1_NS1_11comp_targetILNS1_3genE4ELNS1_11target_archE910ELNS1_3gpuE8ELNS1_3repE0EEENS1_36merge_oddeven_config_static_selectorELNS0_4arch9wavefront6targetE1EEEvSH_.kd
    .uniform_work_group_size: 1
    .uses_dynamic_stack: false
    .vgpr_count:     0
    .vgpr_spill_count: 0
    .wavefront_size: 64
  - .args:
      - .offset:         0
        .size:           48
        .value_kind:     by_value
    .group_segment_fixed_size: 0
    .kernarg_segment_align: 8
    .kernarg_segment_size: 48
    .language:       OpenCL C
    .language_version:
      - 2
      - 0
    .max_flat_workgroup_size: 256
    .name:           _ZN7rocprim17ROCPRIM_400000_NS6detail17trampoline_kernelINS0_14default_configENS1_38merge_sort_block_merge_config_selectorIllEEZZNS1_27merge_sort_block_merge_implIS3_PlN6thrust23THRUST_200600_302600_NS10device_ptrIlEEjNS1_19radix_merge_compareILb0ELb0ElNS0_19identity_decomposerEEEEE10hipError_tT0_T1_T2_jT3_P12ihipStream_tbPNSt15iterator_traitsISG_E10value_typeEPNSM_ISH_E10value_typeEPSI_NS1_7vsmem_tEENKUlT_SG_SH_SI_E_clIS7_S7_S7_SB_EESF_SV_SG_SH_SI_EUlSV_E1_NS1_11comp_targetILNS1_3genE3ELNS1_11target_archE908ELNS1_3gpuE7ELNS1_3repE0EEENS1_36merge_oddeven_config_static_selectorELNS0_4arch9wavefront6targetE1EEEvSH_
    .private_segment_fixed_size: 0
    .sgpr_count:     4
    .sgpr_spill_count: 0
    .symbol:         _ZN7rocprim17ROCPRIM_400000_NS6detail17trampoline_kernelINS0_14default_configENS1_38merge_sort_block_merge_config_selectorIllEEZZNS1_27merge_sort_block_merge_implIS3_PlN6thrust23THRUST_200600_302600_NS10device_ptrIlEEjNS1_19radix_merge_compareILb0ELb0ElNS0_19identity_decomposerEEEEE10hipError_tT0_T1_T2_jT3_P12ihipStream_tbPNSt15iterator_traitsISG_E10value_typeEPNSM_ISH_E10value_typeEPSI_NS1_7vsmem_tEENKUlT_SG_SH_SI_E_clIS7_S7_S7_SB_EESF_SV_SG_SH_SI_EUlSV_E1_NS1_11comp_targetILNS1_3genE3ELNS1_11target_archE908ELNS1_3gpuE7ELNS1_3repE0EEENS1_36merge_oddeven_config_static_selectorELNS0_4arch9wavefront6targetE1EEEvSH_.kd
    .uniform_work_group_size: 1
    .uses_dynamic_stack: false
    .vgpr_count:     0
    .vgpr_spill_count: 0
    .wavefront_size: 64
  - .args:
      - .offset:         0
        .size:           48
        .value_kind:     by_value
    .group_segment_fixed_size: 0
    .kernarg_segment_align: 8
    .kernarg_segment_size: 48
    .language:       OpenCL C
    .language_version:
      - 2
      - 0
    .max_flat_workgroup_size: 256
    .name:           _ZN7rocprim17ROCPRIM_400000_NS6detail17trampoline_kernelINS0_14default_configENS1_38merge_sort_block_merge_config_selectorIllEEZZNS1_27merge_sort_block_merge_implIS3_PlN6thrust23THRUST_200600_302600_NS10device_ptrIlEEjNS1_19radix_merge_compareILb0ELb0ElNS0_19identity_decomposerEEEEE10hipError_tT0_T1_T2_jT3_P12ihipStream_tbPNSt15iterator_traitsISG_E10value_typeEPNSM_ISH_E10value_typeEPSI_NS1_7vsmem_tEENKUlT_SG_SH_SI_E_clIS7_S7_S7_SB_EESF_SV_SG_SH_SI_EUlSV_E1_NS1_11comp_targetILNS1_3genE2ELNS1_11target_archE906ELNS1_3gpuE6ELNS1_3repE0EEENS1_36merge_oddeven_config_static_selectorELNS0_4arch9wavefront6targetE1EEEvSH_
    .private_segment_fixed_size: 0
    .sgpr_count:     26
    .sgpr_spill_count: 0
    .symbol:         _ZN7rocprim17ROCPRIM_400000_NS6detail17trampoline_kernelINS0_14default_configENS1_38merge_sort_block_merge_config_selectorIllEEZZNS1_27merge_sort_block_merge_implIS3_PlN6thrust23THRUST_200600_302600_NS10device_ptrIlEEjNS1_19radix_merge_compareILb0ELb0ElNS0_19identity_decomposerEEEEE10hipError_tT0_T1_T2_jT3_P12ihipStream_tbPNSt15iterator_traitsISG_E10value_typeEPNSM_ISH_E10value_typeEPSI_NS1_7vsmem_tEENKUlT_SG_SH_SI_E_clIS7_S7_S7_SB_EESF_SV_SG_SH_SI_EUlSV_E1_NS1_11comp_targetILNS1_3genE2ELNS1_11target_archE906ELNS1_3gpuE6ELNS1_3repE0EEENS1_36merge_oddeven_config_static_selectorELNS0_4arch9wavefront6targetE1EEEvSH_.kd
    .uniform_work_group_size: 1
    .uses_dynamic_stack: false
    .vgpr_count:     14
    .vgpr_spill_count: 0
    .wavefront_size: 64
  - .args:
      - .offset:         0
        .size:           48
        .value_kind:     by_value
    .group_segment_fixed_size: 0
    .kernarg_segment_align: 8
    .kernarg_segment_size: 48
    .language:       OpenCL C
    .language_version:
      - 2
      - 0
    .max_flat_workgroup_size: 256
    .name:           _ZN7rocprim17ROCPRIM_400000_NS6detail17trampoline_kernelINS0_14default_configENS1_38merge_sort_block_merge_config_selectorIllEEZZNS1_27merge_sort_block_merge_implIS3_PlN6thrust23THRUST_200600_302600_NS10device_ptrIlEEjNS1_19radix_merge_compareILb0ELb0ElNS0_19identity_decomposerEEEEE10hipError_tT0_T1_T2_jT3_P12ihipStream_tbPNSt15iterator_traitsISG_E10value_typeEPNSM_ISH_E10value_typeEPSI_NS1_7vsmem_tEENKUlT_SG_SH_SI_E_clIS7_S7_S7_SB_EESF_SV_SG_SH_SI_EUlSV_E1_NS1_11comp_targetILNS1_3genE9ELNS1_11target_archE1100ELNS1_3gpuE3ELNS1_3repE0EEENS1_36merge_oddeven_config_static_selectorELNS0_4arch9wavefront6targetE1EEEvSH_
    .private_segment_fixed_size: 0
    .sgpr_count:     4
    .sgpr_spill_count: 0
    .symbol:         _ZN7rocprim17ROCPRIM_400000_NS6detail17trampoline_kernelINS0_14default_configENS1_38merge_sort_block_merge_config_selectorIllEEZZNS1_27merge_sort_block_merge_implIS3_PlN6thrust23THRUST_200600_302600_NS10device_ptrIlEEjNS1_19radix_merge_compareILb0ELb0ElNS0_19identity_decomposerEEEEE10hipError_tT0_T1_T2_jT3_P12ihipStream_tbPNSt15iterator_traitsISG_E10value_typeEPNSM_ISH_E10value_typeEPSI_NS1_7vsmem_tEENKUlT_SG_SH_SI_E_clIS7_S7_S7_SB_EESF_SV_SG_SH_SI_EUlSV_E1_NS1_11comp_targetILNS1_3genE9ELNS1_11target_archE1100ELNS1_3gpuE3ELNS1_3repE0EEENS1_36merge_oddeven_config_static_selectorELNS0_4arch9wavefront6targetE1EEEvSH_.kd
    .uniform_work_group_size: 1
    .uses_dynamic_stack: false
    .vgpr_count:     0
    .vgpr_spill_count: 0
    .wavefront_size: 64
  - .args:
      - .offset:         0
        .size:           48
        .value_kind:     by_value
    .group_segment_fixed_size: 0
    .kernarg_segment_align: 8
    .kernarg_segment_size: 48
    .language:       OpenCL C
    .language_version:
      - 2
      - 0
    .max_flat_workgroup_size: 256
    .name:           _ZN7rocprim17ROCPRIM_400000_NS6detail17trampoline_kernelINS0_14default_configENS1_38merge_sort_block_merge_config_selectorIllEEZZNS1_27merge_sort_block_merge_implIS3_PlN6thrust23THRUST_200600_302600_NS10device_ptrIlEEjNS1_19radix_merge_compareILb0ELb0ElNS0_19identity_decomposerEEEEE10hipError_tT0_T1_T2_jT3_P12ihipStream_tbPNSt15iterator_traitsISG_E10value_typeEPNSM_ISH_E10value_typeEPSI_NS1_7vsmem_tEENKUlT_SG_SH_SI_E_clIS7_S7_S7_SB_EESF_SV_SG_SH_SI_EUlSV_E1_NS1_11comp_targetILNS1_3genE8ELNS1_11target_archE1030ELNS1_3gpuE2ELNS1_3repE0EEENS1_36merge_oddeven_config_static_selectorELNS0_4arch9wavefront6targetE1EEEvSH_
    .private_segment_fixed_size: 0
    .sgpr_count:     4
    .sgpr_spill_count: 0
    .symbol:         _ZN7rocprim17ROCPRIM_400000_NS6detail17trampoline_kernelINS0_14default_configENS1_38merge_sort_block_merge_config_selectorIllEEZZNS1_27merge_sort_block_merge_implIS3_PlN6thrust23THRUST_200600_302600_NS10device_ptrIlEEjNS1_19radix_merge_compareILb0ELb0ElNS0_19identity_decomposerEEEEE10hipError_tT0_T1_T2_jT3_P12ihipStream_tbPNSt15iterator_traitsISG_E10value_typeEPNSM_ISH_E10value_typeEPSI_NS1_7vsmem_tEENKUlT_SG_SH_SI_E_clIS7_S7_S7_SB_EESF_SV_SG_SH_SI_EUlSV_E1_NS1_11comp_targetILNS1_3genE8ELNS1_11target_archE1030ELNS1_3gpuE2ELNS1_3repE0EEENS1_36merge_oddeven_config_static_selectorELNS0_4arch9wavefront6targetE1EEEvSH_.kd
    .uniform_work_group_size: 1
    .uses_dynamic_stack: false
    .vgpr_count:     0
    .vgpr_spill_count: 0
    .wavefront_size: 64
  - .args:
      - .offset:         0
        .size:           40
        .value_kind:     by_value
    .group_segment_fixed_size: 0
    .kernarg_segment_align: 8
    .kernarg_segment_size: 40
    .language:       OpenCL C
    .language_version:
      - 2
      - 0
    .max_flat_workgroup_size: 128
    .name:           _ZN7rocprim17ROCPRIM_400000_NS6detail17trampoline_kernelINS0_14default_configENS1_38merge_sort_block_merge_config_selectorIllEEZZNS1_27merge_sort_block_merge_implIS3_PlN6thrust23THRUST_200600_302600_NS10device_ptrIlEEjNS1_19radix_merge_compareILb0ELb0ElNS0_19identity_decomposerEEEEE10hipError_tT0_T1_T2_jT3_P12ihipStream_tbPNSt15iterator_traitsISG_E10value_typeEPNSM_ISH_E10value_typeEPSI_NS1_7vsmem_tEENKUlT_SG_SH_SI_E_clIS7_S7_SB_S7_EESF_SV_SG_SH_SI_EUlSV_E_NS1_11comp_targetILNS1_3genE0ELNS1_11target_archE4294967295ELNS1_3gpuE0ELNS1_3repE0EEENS1_48merge_mergepath_partition_config_static_selectorELNS0_4arch9wavefront6targetE1EEEvSH_
    .private_segment_fixed_size: 0
    .sgpr_count:     4
    .sgpr_spill_count: 0
    .symbol:         _ZN7rocprim17ROCPRIM_400000_NS6detail17trampoline_kernelINS0_14default_configENS1_38merge_sort_block_merge_config_selectorIllEEZZNS1_27merge_sort_block_merge_implIS3_PlN6thrust23THRUST_200600_302600_NS10device_ptrIlEEjNS1_19radix_merge_compareILb0ELb0ElNS0_19identity_decomposerEEEEE10hipError_tT0_T1_T2_jT3_P12ihipStream_tbPNSt15iterator_traitsISG_E10value_typeEPNSM_ISH_E10value_typeEPSI_NS1_7vsmem_tEENKUlT_SG_SH_SI_E_clIS7_S7_SB_S7_EESF_SV_SG_SH_SI_EUlSV_E_NS1_11comp_targetILNS1_3genE0ELNS1_11target_archE4294967295ELNS1_3gpuE0ELNS1_3repE0EEENS1_48merge_mergepath_partition_config_static_selectorELNS0_4arch9wavefront6targetE1EEEvSH_.kd
    .uniform_work_group_size: 1
    .uses_dynamic_stack: false
    .vgpr_count:     0
    .vgpr_spill_count: 0
    .wavefront_size: 64
  - .args:
      - .offset:         0
        .size:           40
        .value_kind:     by_value
    .group_segment_fixed_size: 0
    .kernarg_segment_align: 8
    .kernarg_segment_size: 40
    .language:       OpenCL C
    .language_version:
      - 2
      - 0
    .max_flat_workgroup_size: 128
    .name:           _ZN7rocprim17ROCPRIM_400000_NS6detail17trampoline_kernelINS0_14default_configENS1_38merge_sort_block_merge_config_selectorIllEEZZNS1_27merge_sort_block_merge_implIS3_PlN6thrust23THRUST_200600_302600_NS10device_ptrIlEEjNS1_19radix_merge_compareILb0ELb0ElNS0_19identity_decomposerEEEEE10hipError_tT0_T1_T2_jT3_P12ihipStream_tbPNSt15iterator_traitsISG_E10value_typeEPNSM_ISH_E10value_typeEPSI_NS1_7vsmem_tEENKUlT_SG_SH_SI_E_clIS7_S7_SB_S7_EESF_SV_SG_SH_SI_EUlSV_E_NS1_11comp_targetILNS1_3genE10ELNS1_11target_archE1201ELNS1_3gpuE5ELNS1_3repE0EEENS1_48merge_mergepath_partition_config_static_selectorELNS0_4arch9wavefront6targetE1EEEvSH_
    .private_segment_fixed_size: 0
    .sgpr_count:     4
    .sgpr_spill_count: 0
    .symbol:         _ZN7rocprim17ROCPRIM_400000_NS6detail17trampoline_kernelINS0_14default_configENS1_38merge_sort_block_merge_config_selectorIllEEZZNS1_27merge_sort_block_merge_implIS3_PlN6thrust23THRUST_200600_302600_NS10device_ptrIlEEjNS1_19radix_merge_compareILb0ELb0ElNS0_19identity_decomposerEEEEE10hipError_tT0_T1_T2_jT3_P12ihipStream_tbPNSt15iterator_traitsISG_E10value_typeEPNSM_ISH_E10value_typeEPSI_NS1_7vsmem_tEENKUlT_SG_SH_SI_E_clIS7_S7_SB_S7_EESF_SV_SG_SH_SI_EUlSV_E_NS1_11comp_targetILNS1_3genE10ELNS1_11target_archE1201ELNS1_3gpuE5ELNS1_3repE0EEENS1_48merge_mergepath_partition_config_static_selectorELNS0_4arch9wavefront6targetE1EEEvSH_.kd
    .uniform_work_group_size: 1
    .uses_dynamic_stack: false
    .vgpr_count:     0
    .vgpr_spill_count: 0
    .wavefront_size: 64
  - .args:
      - .offset:         0
        .size:           40
        .value_kind:     by_value
    .group_segment_fixed_size: 0
    .kernarg_segment_align: 8
    .kernarg_segment_size: 40
    .language:       OpenCL C
    .language_version:
      - 2
      - 0
    .max_flat_workgroup_size: 128
    .name:           _ZN7rocprim17ROCPRIM_400000_NS6detail17trampoline_kernelINS0_14default_configENS1_38merge_sort_block_merge_config_selectorIllEEZZNS1_27merge_sort_block_merge_implIS3_PlN6thrust23THRUST_200600_302600_NS10device_ptrIlEEjNS1_19radix_merge_compareILb0ELb0ElNS0_19identity_decomposerEEEEE10hipError_tT0_T1_T2_jT3_P12ihipStream_tbPNSt15iterator_traitsISG_E10value_typeEPNSM_ISH_E10value_typeEPSI_NS1_7vsmem_tEENKUlT_SG_SH_SI_E_clIS7_S7_SB_S7_EESF_SV_SG_SH_SI_EUlSV_E_NS1_11comp_targetILNS1_3genE5ELNS1_11target_archE942ELNS1_3gpuE9ELNS1_3repE0EEENS1_48merge_mergepath_partition_config_static_selectorELNS0_4arch9wavefront6targetE1EEEvSH_
    .private_segment_fixed_size: 0
    .sgpr_count:     4
    .sgpr_spill_count: 0
    .symbol:         _ZN7rocprim17ROCPRIM_400000_NS6detail17trampoline_kernelINS0_14default_configENS1_38merge_sort_block_merge_config_selectorIllEEZZNS1_27merge_sort_block_merge_implIS3_PlN6thrust23THRUST_200600_302600_NS10device_ptrIlEEjNS1_19radix_merge_compareILb0ELb0ElNS0_19identity_decomposerEEEEE10hipError_tT0_T1_T2_jT3_P12ihipStream_tbPNSt15iterator_traitsISG_E10value_typeEPNSM_ISH_E10value_typeEPSI_NS1_7vsmem_tEENKUlT_SG_SH_SI_E_clIS7_S7_SB_S7_EESF_SV_SG_SH_SI_EUlSV_E_NS1_11comp_targetILNS1_3genE5ELNS1_11target_archE942ELNS1_3gpuE9ELNS1_3repE0EEENS1_48merge_mergepath_partition_config_static_selectorELNS0_4arch9wavefront6targetE1EEEvSH_.kd
    .uniform_work_group_size: 1
    .uses_dynamic_stack: false
    .vgpr_count:     0
    .vgpr_spill_count: 0
    .wavefront_size: 64
  - .args:
      - .offset:         0
        .size:           40
        .value_kind:     by_value
    .group_segment_fixed_size: 0
    .kernarg_segment_align: 8
    .kernarg_segment_size: 40
    .language:       OpenCL C
    .language_version:
      - 2
      - 0
    .max_flat_workgroup_size: 128
    .name:           _ZN7rocprim17ROCPRIM_400000_NS6detail17trampoline_kernelINS0_14default_configENS1_38merge_sort_block_merge_config_selectorIllEEZZNS1_27merge_sort_block_merge_implIS3_PlN6thrust23THRUST_200600_302600_NS10device_ptrIlEEjNS1_19radix_merge_compareILb0ELb0ElNS0_19identity_decomposerEEEEE10hipError_tT0_T1_T2_jT3_P12ihipStream_tbPNSt15iterator_traitsISG_E10value_typeEPNSM_ISH_E10value_typeEPSI_NS1_7vsmem_tEENKUlT_SG_SH_SI_E_clIS7_S7_SB_S7_EESF_SV_SG_SH_SI_EUlSV_E_NS1_11comp_targetILNS1_3genE4ELNS1_11target_archE910ELNS1_3gpuE8ELNS1_3repE0EEENS1_48merge_mergepath_partition_config_static_selectorELNS0_4arch9wavefront6targetE1EEEvSH_
    .private_segment_fixed_size: 0
    .sgpr_count:     4
    .sgpr_spill_count: 0
    .symbol:         _ZN7rocprim17ROCPRIM_400000_NS6detail17trampoline_kernelINS0_14default_configENS1_38merge_sort_block_merge_config_selectorIllEEZZNS1_27merge_sort_block_merge_implIS3_PlN6thrust23THRUST_200600_302600_NS10device_ptrIlEEjNS1_19radix_merge_compareILb0ELb0ElNS0_19identity_decomposerEEEEE10hipError_tT0_T1_T2_jT3_P12ihipStream_tbPNSt15iterator_traitsISG_E10value_typeEPNSM_ISH_E10value_typeEPSI_NS1_7vsmem_tEENKUlT_SG_SH_SI_E_clIS7_S7_SB_S7_EESF_SV_SG_SH_SI_EUlSV_E_NS1_11comp_targetILNS1_3genE4ELNS1_11target_archE910ELNS1_3gpuE8ELNS1_3repE0EEENS1_48merge_mergepath_partition_config_static_selectorELNS0_4arch9wavefront6targetE1EEEvSH_.kd
    .uniform_work_group_size: 1
    .uses_dynamic_stack: false
    .vgpr_count:     0
    .vgpr_spill_count: 0
    .wavefront_size: 64
  - .args:
      - .offset:         0
        .size:           40
        .value_kind:     by_value
    .group_segment_fixed_size: 0
    .kernarg_segment_align: 8
    .kernarg_segment_size: 40
    .language:       OpenCL C
    .language_version:
      - 2
      - 0
    .max_flat_workgroup_size: 128
    .name:           _ZN7rocprim17ROCPRIM_400000_NS6detail17trampoline_kernelINS0_14default_configENS1_38merge_sort_block_merge_config_selectorIllEEZZNS1_27merge_sort_block_merge_implIS3_PlN6thrust23THRUST_200600_302600_NS10device_ptrIlEEjNS1_19radix_merge_compareILb0ELb0ElNS0_19identity_decomposerEEEEE10hipError_tT0_T1_T2_jT3_P12ihipStream_tbPNSt15iterator_traitsISG_E10value_typeEPNSM_ISH_E10value_typeEPSI_NS1_7vsmem_tEENKUlT_SG_SH_SI_E_clIS7_S7_SB_S7_EESF_SV_SG_SH_SI_EUlSV_E_NS1_11comp_targetILNS1_3genE3ELNS1_11target_archE908ELNS1_3gpuE7ELNS1_3repE0EEENS1_48merge_mergepath_partition_config_static_selectorELNS0_4arch9wavefront6targetE1EEEvSH_
    .private_segment_fixed_size: 0
    .sgpr_count:     4
    .sgpr_spill_count: 0
    .symbol:         _ZN7rocprim17ROCPRIM_400000_NS6detail17trampoline_kernelINS0_14default_configENS1_38merge_sort_block_merge_config_selectorIllEEZZNS1_27merge_sort_block_merge_implIS3_PlN6thrust23THRUST_200600_302600_NS10device_ptrIlEEjNS1_19radix_merge_compareILb0ELb0ElNS0_19identity_decomposerEEEEE10hipError_tT0_T1_T2_jT3_P12ihipStream_tbPNSt15iterator_traitsISG_E10value_typeEPNSM_ISH_E10value_typeEPSI_NS1_7vsmem_tEENKUlT_SG_SH_SI_E_clIS7_S7_SB_S7_EESF_SV_SG_SH_SI_EUlSV_E_NS1_11comp_targetILNS1_3genE3ELNS1_11target_archE908ELNS1_3gpuE7ELNS1_3repE0EEENS1_48merge_mergepath_partition_config_static_selectorELNS0_4arch9wavefront6targetE1EEEvSH_.kd
    .uniform_work_group_size: 1
    .uses_dynamic_stack: false
    .vgpr_count:     0
    .vgpr_spill_count: 0
    .wavefront_size: 64
  - .args:
      - .offset:         0
        .size:           40
        .value_kind:     by_value
    .group_segment_fixed_size: 0
    .kernarg_segment_align: 8
    .kernarg_segment_size: 40
    .language:       OpenCL C
    .language_version:
      - 2
      - 0
    .max_flat_workgroup_size: 128
    .name:           _ZN7rocprim17ROCPRIM_400000_NS6detail17trampoline_kernelINS0_14default_configENS1_38merge_sort_block_merge_config_selectorIllEEZZNS1_27merge_sort_block_merge_implIS3_PlN6thrust23THRUST_200600_302600_NS10device_ptrIlEEjNS1_19radix_merge_compareILb0ELb0ElNS0_19identity_decomposerEEEEE10hipError_tT0_T1_T2_jT3_P12ihipStream_tbPNSt15iterator_traitsISG_E10value_typeEPNSM_ISH_E10value_typeEPSI_NS1_7vsmem_tEENKUlT_SG_SH_SI_E_clIS7_S7_SB_S7_EESF_SV_SG_SH_SI_EUlSV_E_NS1_11comp_targetILNS1_3genE2ELNS1_11target_archE906ELNS1_3gpuE6ELNS1_3repE0EEENS1_48merge_mergepath_partition_config_static_selectorELNS0_4arch9wavefront6targetE1EEEvSH_
    .private_segment_fixed_size: 0
    .sgpr_count:     12
    .sgpr_spill_count: 0
    .symbol:         _ZN7rocprim17ROCPRIM_400000_NS6detail17trampoline_kernelINS0_14default_configENS1_38merge_sort_block_merge_config_selectorIllEEZZNS1_27merge_sort_block_merge_implIS3_PlN6thrust23THRUST_200600_302600_NS10device_ptrIlEEjNS1_19radix_merge_compareILb0ELb0ElNS0_19identity_decomposerEEEEE10hipError_tT0_T1_T2_jT3_P12ihipStream_tbPNSt15iterator_traitsISG_E10value_typeEPNSM_ISH_E10value_typeEPSI_NS1_7vsmem_tEENKUlT_SG_SH_SI_E_clIS7_S7_SB_S7_EESF_SV_SG_SH_SI_EUlSV_E_NS1_11comp_targetILNS1_3genE2ELNS1_11target_archE906ELNS1_3gpuE6ELNS1_3repE0EEENS1_48merge_mergepath_partition_config_static_selectorELNS0_4arch9wavefront6targetE1EEEvSH_.kd
    .uniform_work_group_size: 1
    .uses_dynamic_stack: false
    .vgpr_count:     19
    .vgpr_spill_count: 0
    .wavefront_size: 64
  - .args:
      - .offset:         0
        .size:           40
        .value_kind:     by_value
    .group_segment_fixed_size: 0
    .kernarg_segment_align: 8
    .kernarg_segment_size: 40
    .language:       OpenCL C
    .language_version:
      - 2
      - 0
    .max_flat_workgroup_size: 128
    .name:           _ZN7rocprim17ROCPRIM_400000_NS6detail17trampoline_kernelINS0_14default_configENS1_38merge_sort_block_merge_config_selectorIllEEZZNS1_27merge_sort_block_merge_implIS3_PlN6thrust23THRUST_200600_302600_NS10device_ptrIlEEjNS1_19radix_merge_compareILb0ELb0ElNS0_19identity_decomposerEEEEE10hipError_tT0_T1_T2_jT3_P12ihipStream_tbPNSt15iterator_traitsISG_E10value_typeEPNSM_ISH_E10value_typeEPSI_NS1_7vsmem_tEENKUlT_SG_SH_SI_E_clIS7_S7_SB_S7_EESF_SV_SG_SH_SI_EUlSV_E_NS1_11comp_targetILNS1_3genE9ELNS1_11target_archE1100ELNS1_3gpuE3ELNS1_3repE0EEENS1_48merge_mergepath_partition_config_static_selectorELNS0_4arch9wavefront6targetE1EEEvSH_
    .private_segment_fixed_size: 0
    .sgpr_count:     4
    .sgpr_spill_count: 0
    .symbol:         _ZN7rocprim17ROCPRIM_400000_NS6detail17trampoline_kernelINS0_14default_configENS1_38merge_sort_block_merge_config_selectorIllEEZZNS1_27merge_sort_block_merge_implIS3_PlN6thrust23THRUST_200600_302600_NS10device_ptrIlEEjNS1_19radix_merge_compareILb0ELb0ElNS0_19identity_decomposerEEEEE10hipError_tT0_T1_T2_jT3_P12ihipStream_tbPNSt15iterator_traitsISG_E10value_typeEPNSM_ISH_E10value_typeEPSI_NS1_7vsmem_tEENKUlT_SG_SH_SI_E_clIS7_S7_SB_S7_EESF_SV_SG_SH_SI_EUlSV_E_NS1_11comp_targetILNS1_3genE9ELNS1_11target_archE1100ELNS1_3gpuE3ELNS1_3repE0EEENS1_48merge_mergepath_partition_config_static_selectorELNS0_4arch9wavefront6targetE1EEEvSH_.kd
    .uniform_work_group_size: 1
    .uses_dynamic_stack: false
    .vgpr_count:     0
    .vgpr_spill_count: 0
    .wavefront_size: 64
  - .args:
      - .offset:         0
        .size:           40
        .value_kind:     by_value
    .group_segment_fixed_size: 0
    .kernarg_segment_align: 8
    .kernarg_segment_size: 40
    .language:       OpenCL C
    .language_version:
      - 2
      - 0
    .max_flat_workgroup_size: 128
    .name:           _ZN7rocprim17ROCPRIM_400000_NS6detail17trampoline_kernelINS0_14default_configENS1_38merge_sort_block_merge_config_selectorIllEEZZNS1_27merge_sort_block_merge_implIS3_PlN6thrust23THRUST_200600_302600_NS10device_ptrIlEEjNS1_19radix_merge_compareILb0ELb0ElNS0_19identity_decomposerEEEEE10hipError_tT0_T1_T2_jT3_P12ihipStream_tbPNSt15iterator_traitsISG_E10value_typeEPNSM_ISH_E10value_typeEPSI_NS1_7vsmem_tEENKUlT_SG_SH_SI_E_clIS7_S7_SB_S7_EESF_SV_SG_SH_SI_EUlSV_E_NS1_11comp_targetILNS1_3genE8ELNS1_11target_archE1030ELNS1_3gpuE2ELNS1_3repE0EEENS1_48merge_mergepath_partition_config_static_selectorELNS0_4arch9wavefront6targetE1EEEvSH_
    .private_segment_fixed_size: 0
    .sgpr_count:     4
    .sgpr_spill_count: 0
    .symbol:         _ZN7rocprim17ROCPRIM_400000_NS6detail17trampoline_kernelINS0_14default_configENS1_38merge_sort_block_merge_config_selectorIllEEZZNS1_27merge_sort_block_merge_implIS3_PlN6thrust23THRUST_200600_302600_NS10device_ptrIlEEjNS1_19radix_merge_compareILb0ELb0ElNS0_19identity_decomposerEEEEE10hipError_tT0_T1_T2_jT3_P12ihipStream_tbPNSt15iterator_traitsISG_E10value_typeEPNSM_ISH_E10value_typeEPSI_NS1_7vsmem_tEENKUlT_SG_SH_SI_E_clIS7_S7_SB_S7_EESF_SV_SG_SH_SI_EUlSV_E_NS1_11comp_targetILNS1_3genE8ELNS1_11target_archE1030ELNS1_3gpuE2ELNS1_3repE0EEENS1_48merge_mergepath_partition_config_static_selectorELNS0_4arch9wavefront6targetE1EEEvSH_.kd
    .uniform_work_group_size: 1
    .uses_dynamic_stack: false
    .vgpr_count:     0
    .vgpr_spill_count: 0
    .wavefront_size: 64
  - .args:
      - .offset:         0
        .size:           64
        .value_kind:     by_value
    .group_segment_fixed_size: 0
    .kernarg_segment_align: 8
    .kernarg_segment_size: 64
    .language:       OpenCL C
    .language_version:
      - 2
      - 0
    .max_flat_workgroup_size: 512
    .name:           _ZN7rocprim17ROCPRIM_400000_NS6detail17trampoline_kernelINS0_14default_configENS1_38merge_sort_block_merge_config_selectorIllEEZZNS1_27merge_sort_block_merge_implIS3_PlN6thrust23THRUST_200600_302600_NS10device_ptrIlEEjNS1_19radix_merge_compareILb0ELb0ElNS0_19identity_decomposerEEEEE10hipError_tT0_T1_T2_jT3_P12ihipStream_tbPNSt15iterator_traitsISG_E10value_typeEPNSM_ISH_E10value_typeEPSI_NS1_7vsmem_tEENKUlT_SG_SH_SI_E_clIS7_S7_SB_S7_EESF_SV_SG_SH_SI_EUlSV_E0_NS1_11comp_targetILNS1_3genE0ELNS1_11target_archE4294967295ELNS1_3gpuE0ELNS1_3repE0EEENS1_38merge_mergepath_config_static_selectorELNS0_4arch9wavefront6targetE1EEEvSH_
    .private_segment_fixed_size: 0
    .sgpr_count:     4
    .sgpr_spill_count: 0
    .symbol:         _ZN7rocprim17ROCPRIM_400000_NS6detail17trampoline_kernelINS0_14default_configENS1_38merge_sort_block_merge_config_selectorIllEEZZNS1_27merge_sort_block_merge_implIS3_PlN6thrust23THRUST_200600_302600_NS10device_ptrIlEEjNS1_19radix_merge_compareILb0ELb0ElNS0_19identity_decomposerEEEEE10hipError_tT0_T1_T2_jT3_P12ihipStream_tbPNSt15iterator_traitsISG_E10value_typeEPNSM_ISH_E10value_typeEPSI_NS1_7vsmem_tEENKUlT_SG_SH_SI_E_clIS7_S7_SB_S7_EESF_SV_SG_SH_SI_EUlSV_E0_NS1_11comp_targetILNS1_3genE0ELNS1_11target_archE4294967295ELNS1_3gpuE0ELNS1_3repE0EEENS1_38merge_mergepath_config_static_selectorELNS0_4arch9wavefront6targetE1EEEvSH_.kd
    .uniform_work_group_size: 1
    .uses_dynamic_stack: false
    .vgpr_count:     0
    .vgpr_spill_count: 0
    .wavefront_size: 64
  - .args:
      - .offset:         0
        .size:           64
        .value_kind:     by_value
    .group_segment_fixed_size: 0
    .kernarg_segment_align: 8
    .kernarg_segment_size: 64
    .language:       OpenCL C
    .language_version:
      - 2
      - 0
    .max_flat_workgroup_size: 512
    .name:           _ZN7rocprim17ROCPRIM_400000_NS6detail17trampoline_kernelINS0_14default_configENS1_38merge_sort_block_merge_config_selectorIllEEZZNS1_27merge_sort_block_merge_implIS3_PlN6thrust23THRUST_200600_302600_NS10device_ptrIlEEjNS1_19radix_merge_compareILb0ELb0ElNS0_19identity_decomposerEEEEE10hipError_tT0_T1_T2_jT3_P12ihipStream_tbPNSt15iterator_traitsISG_E10value_typeEPNSM_ISH_E10value_typeEPSI_NS1_7vsmem_tEENKUlT_SG_SH_SI_E_clIS7_S7_SB_S7_EESF_SV_SG_SH_SI_EUlSV_E0_NS1_11comp_targetILNS1_3genE10ELNS1_11target_archE1201ELNS1_3gpuE5ELNS1_3repE0EEENS1_38merge_mergepath_config_static_selectorELNS0_4arch9wavefront6targetE1EEEvSH_
    .private_segment_fixed_size: 0
    .sgpr_count:     4
    .sgpr_spill_count: 0
    .symbol:         _ZN7rocprim17ROCPRIM_400000_NS6detail17trampoline_kernelINS0_14default_configENS1_38merge_sort_block_merge_config_selectorIllEEZZNS1_27merge_sort_block_merge_implIS3_PlN6thrust23THRUST_200600_302600_NS10device_ptrIlEEjNS1_19radix_merge_compareILb0ELb0ElNS0_19identity_decomposerEEEEE10hipError_tT0_T1_T2_jT3_P12ihipStream_tbPNSt15iterator_traitsISG_E10value_typeEPNSM_ISH_E10value_typeEPSI_NS1_7vsmem_tEENKUlT_SG_SH_SI_E_clIS7_S7_SB_S7_EESF_SV_SG_SH_SI_EUlSV_E0_NS1_11comp_targetILNS1_3genE10ELNS1_11target_archE1201ELNS1_3gpuE5ELNS1_3repE0EEENS1_38merge_mergepath_config_static_selectorELNS0_4arch9wavefront6targetE1EEEvSH_.kd
    .uniform_work_group_size: 1
    .uses_dynamic_stack: false
    .vgpr_count:     0
    .vgpr_spill_count: 0
    .wavefront_size: 64
  - .args:
      - .offset:         0
        .size:           64
        .value_kind:     by_value
    .group_segment_fixed_size: 0
    .kernarg_segment_align: 8
    .kernarg_segment_size: 64
    .language:       OpenCL C
    .language_version:
      - 2
      - 0
    .max_flat_workgroup_size: 256
    .name:           _ZN7rocprim17ROCPRIM_400000_NS6detail17trampoline_kernelINS0_14default_configENS1_38merge_sort_block_merge_config_selectorIllEEZZNS1_27merge_sort_block_merge_implIS3_PlN6thrust23THRUST_200600_302600_NS10device_ptrIlEEjNS1_19radix_merge_compareILb0ELb0ElNS0_19identity_decomposerEEEEE10hipError_tT0_T1_T2_jT3_P12ihipStream_tbPNSt15iterator_traitsISG_E10value_typeEPNSM_ISH_E10value_typeEPSI_NS1_7vsmem_tEENKUlT_SG_SH_SI_E_clIS7_S7_SB_S7_EESF_SV_SG_SH_SI_EUlSV_E0_NS1_11comp_targetILNS1_3genE5ELNS1_11target_archE942ELNS1_3gpuE9ELNS1_3repE0EEENS1_38merge_mergepath_config_static_selectorELNS0_4arch9wavefront6targetE1EEEvSH_
    .private_segment_fixed_size: 0
    .sgpr_count:     4
    .sgpr_spill_count: 0
    .symbol:         _ZN7rocprim17ROCPRIM_400000_NS6detail17trampoline_kernelINS0_14default_configENS1_38merge_sort_block_merge_config_selectorIllEEZZNS1_27merge_sort_block_merge_implIS3_PlN6thrust23THRUST_200600_302600_NS10device_ptrIlEEjNS1_19radix_merge_compareILb0ELb0ElNS0_19identity_decomposerEEEEE10hipError_tT0_T1_T2_jT3_P12ihipStream_tbPNSt15iterator_traitsISG_E10value_typeEPNSM_ISH_E10value_typeEPSI_NS1_7vsmem_tEENKUlT_SG_SH_SI_E_clIS7_S7_SB_S7_EESF_SV_SG_SH_SI_EUlSV_E0_NS1_11comp_targetILNS1_3genE5ELNS1_11target_archE942ELNS1_3gpuE9ELNS1_3repE0EEENS1_38merge_mergepath_config_static_selectorELNS0_4arch9wavefront6targetE1EEEvSH_.kd
    .uniform_work_group_size: 1
    .uses_dynamic_stack: false
    .vgpr_count:     0
    .vgpr_spill_count: 0
    .wavefront_size: 64
  - .args:
      - .offset:         0
        .size:           64
        .value_kind:     by_value
    .group_segment_fixed_size: 0
    .kernarg_segment_align: 8
    .kernarg_segment_size: 64
    .language:       OpenCL C
    .language_version:
      - 2
      - 0
    .max_flat_workgroup_size: 512
    .name:           _ZN7rocprim17ROCPRIM_400000_NS6detail17trampoline_kernelINS0_14default_configENS1_38merge_sort_block_merge_config_selectorIllEEZZNS1_27merge_sort_block_merge_implIS3_PlN6thrust23THRUST_200600_302600_NS10device_ptrIlEEjNS1_19radix_merge_compareILb0ELb0ElNS0_19identity_decomposerEEEEE10hipError_tT0_T1_T2_jT3_P12ihipStream_tbPNSt15iterator_traitsISG_E10value_typeEPNSM_ISH_E10value_typeEPSI_NS1_7vsmem_tEENKUlT_SG_SH_SI_E_clIS7_S7_SB_S7_EESF_SV_SG_SH_SI_EUlSV_E0_NS1_11comp_targetILNS1_3genE4ELNS1_11target_archE910ELNS1_3gpuE8ELNS1_3repE0EEENS1_38merge_mergepath_config_static_selectorELNS0_4arch9wavefront6targetE1EEEvSH_
    .private_segment_fixed_size: 0
    .sgpr_count:     4
    .sgpr_spill_count: 0
    .symbol:         _ZN7rocprim17ROCPRIM_400000_NS6detail17trampoline_kernelINS0_14default_configENS1_38merge_sort_block_merge_config_selectorIllEEZZNS1_27merge_sort_block_merge_implIS3_PlN6thrust23THRUST_200600_302600_NS10device_ptrIlEEjNS1_19radix_merge_compareILb0ELb0ElNS0_19identity_decomposerEEEEE10hipError_tT0_T1_T2_jT3_P12ihipStream_tbPNSt15iterator_traitsISG_E10value_typeEPNSM_ISH_E10value_typeEPSI_NS1_7vsmem_tEENKUlT_SG_SH_SI_E_clIS7_S7_SB_S7_EESF_SV_SG_SH_SI_EUlSV_E0_NS1_11comp_targetILNS1_3genE4ELNS1_11target_archE910ELNS1_3gpuE8ELNS1_3repE0EEENS1_38merge_mergepath_config_static_selectorELNS0_4arch9wavefront6targetE1EEEvSH_.kd
    .uniform_work_group_size: 1
    .uses_dynamic_stack: false
    .vgpr_count:     0
    .vgpr_spill_count: 0
    .wavefront_size: 64
  - .args:
      - .offset:         0
        .size:           64
        .value_kind:     by_value
    .group_segment_fixed_size: 0
    .kernarg_segment_align: 8
    .kernarg_segment_size: 64
    .language:       OpenCL C
    .language_version:
      - 2
      - 0
    .max_flat_workgroup_size: 512
    .name:           _ZN7rocprim17ROCPRIM_400000_NS6detail17trampoline_kernelINS0_14default_configENS1_38merge_sort_block_merge_config_selectorIllEEZZNS1_27merge_sort_block_merge_implIS3_PlN6thrust23THRUST_200600_302600_NS10device_ptrIlEEjNS1_19radix_merge_compareILb0ELb0ElNS0_19identity_decomposerEEEEE10hipError_tT0_T1_T2_jT3_P12ihipStream_tbPNSt15iterator_traitsISG_E10value_typeEPNSM_ISH_E10value_typeEPSI_NS1_7vsmem_tEENKUlT_SG_SH_SI_E_clIS7_S7_SB_S7_EESF_SV_SG_SH_SI_EUlSV_E0_NS1_11comp_targetILNS1_3genE3ELNS1_11target_archE908ELNS1_3gpuE7ELNS1_3repE0EEENS1_38merge_mergepath_config_static_selectorELNS0_4arch9wavefront6targetE1EEEvSH_
    .private_segment_fixed_size: 0
    .sgpr_count:     4
    .sgpr_spill_count: 0
    .symbol:         _ZN7rocprim17ROCPRIM_400000_NS6detail17trampoline_kernelINS0_14default_configENS1_38merge_sort_block_merge_config_selectorIllEEZZNS1_27merge_sort_block_merge_implIS3_PlN6thrust23THRUST_200600_302600_NS10device_ptrIlEEjNS1_19radix_merge_compareILb0ELb0ElNS0_19identity_decomposerEEEEE10hipError_tT0_T1_T2_jT3_P12ihipStream_tbPNSt15iterator_traitsISG_E10value_typeEPNSM_ISH_E10value_typeEPSI_NS1_7vsmem_tEENKUlT_SG_SH_SI_E_clIS7_S7_SB_S7_EESF_SV_SG_SH_SI_EUlSV_E0_NS1_11comp_targetILNS1_3genE3ELNS1_11target_archE908ELNS1_3gpuE7ELNS1_3repE0EEENS1_38merge_mergepath_config_static_selectorELNS0_4arch9wavefront6targetE1EEEvSH_.kd
    .uniform_work_group_size: 1
    .uses_dynamic_stack: false
    .vgpr_count:     0
    .vgpr_spill_count: 0
    .wavefront_size: 64
  - .args:
      - .offset:         0
        .size:           64
        .value_kind:     by_value
      - .offset:         64
        .size:           4
        .value_kind:     hidden_block_count_x
      - .offset:         68
        .size:           4
        .value_kind:     hidden_block_count_y
      - .offset:         72
        .size:           4
        .value_kind:     hidden_block_count_z
      - .offset:         76
        .size:           2
        .value_kind:     hidden_group_size_x
      - .offset:         78
        .size:           2
        .value_kind:     hidden_group_size_y
      - .offset:         80
        .size:           2
        .value_kind:     hidden_group_size_z
      - .offset:         82
        .size:           2
        .value_kind:     hidden_remainder_x
      - .offset:         84
        .size:           2
        .value_kind:     hidden_remainder_y
      - .offset:         86
        .size:           2
        .value_kind:     hidden_remainder_z
      - .offset:         104
        .size:           8
        .value_kind:     hidden_global_offset_x
      - .offset:         112
        .size:           8
        .value_kind:     hidden_global_offset_y
      - .offset:         120
        .size:           8
        .value_kind:     hidden_global_offset_z
      - .offset:         128
        .size:           2
        .value_kind:     hidden_grid_dims
    .group_segment_fixed_size: 8448
    .kernarg_segment_align: 8
    .kernarg_segment_size: 320
    .language:       OpenCL C
    .language_version:
      - 2
      - 0
    .max_flat_workgroup_size: 128
    .name:           _ZN7rocprim17ROCPRIM_400000_NS6detail17trampoline_kernelINS0_14default_configENS1_38merge_sort_block_merge_config_selectorIllEEZZNS1_27merge_sort_block_merge_implIS3_PlN6thrust23THRUST_200600_302600_NS10device_ptrIlEEjNS1_19radix_merge_compareILb0ELb0ElNS0_19identity_decomposerEEEEE10hipError_tT0_T1_T2_jT3_P12ihipStream_tbPNSt15iterator_traitsISG_E10value_typeEPNSM_ISH_E10value_typeEPSI_NS1_7vsmem_tEENKUlT_SG_SH_SI_E_clIS7_S7_SB_S7_EESF_SV_SG_SH_SI_EUlSV_E0_NS1_11comp_targetILNS1_3genE2ELNS1_11target_archE906ELNS1_3gpuE6ELNS1_3repE0EEENS1_38merge_mergepath_config_static_selectorELNS0_4arch9wavefront6targetE1EEEvSH_
    .private_segment_fixed_size: 0
    .sgpr_count:     35
    .sgpr_spill_count: 0
    .symbol:         _ZN7rocprim17ROCPRIM_400000_NS6detail17trampoline_kernelINS0_14default_configENS1_38merge_sort_block_merge_config_selectorIllEEZZNS1_27merge_sort_block_merge_implIS3_PlN6thrust23THRUST_200600_302600_NS10device_ptrIlEEjNS1_19radix_merge_compareILb0ELb0ElNS0_19identity_decomposerEEEEE10hipError_tT0_T1_T2_jT3_P12ihipStream_tbPNSt15iterator_traitsISG_E10value_typeEPNSM_ISH_E10value_typeEPSI_NS1_7vsmem_tEENKUlT_SG_SH_SI_E_clIS7_S7_SB_S7_EESF_SV_SG_SH_SI_EUlSV_E0_NS1_11comp_targetILNS1_3genE2ELNS1_11target_archE906ELNS1_3gpuE6ELNS1_3repE0EEENS1_38merge_mergepath_config_static_selectorELNS0_4arch9wavefront6targetE1EEEvSH_.kd
    .uniform_work_group_size: 1
    .uses_dynamic_stack: false
    .vgpr_count:     54
    .vgpr_spill_count: 0
    .wavefront_size: 64
  - .args:
      - .offset:         0
        .size:           64
        .value_kind:     by_value
    .group_segment_fixed_size: 0
    .kernarg_segment_align: 8
    .kernarg_segment_size: 64
    .language:       OpenCL C
    .language_version:
      - 2
      - 0
    .max_flat_workgroup_size: 1024
    .name:           _ZN7rocprim17ROCPRIM_400000_NS6detail17trampoline_kernelINS0_14default_configENS1_38merge_sort_block_merge_config_selectorIllEEZZNS1_27merge_sort_block_merge_implIS3_PlN6thrust23THRUST_200600_302600_NS10device_ptrIlEEjNS1_19radix_merge_compareILb0ELb0ElNS0_19identity_decomposerEEEEE10hipError_tT0_T1_T2_jT3_P12ihipStream_tbPNSt15iterator_traitsISG_E10value_typeEPNSM_ISH_E10value_typeEPSI_NS1_7vsmem_tEENKUlT_SG_SH_SI_E_clIS7_S7_SB_S7_EESF_SV_SG_SH_SI_EUlSV_E0_NS1_11comp_targetILNS1_3genE9ELNS1_11target_archE1100ELNS1_3gpuE3ELNS1_3repE0EEENS1_38merge_mergepath_config_static_selectorELNS0_4arch9wavefront6targetE1EEEvSH_
    .private_segment_fixed_size: 0
    .sgpr_count:     4
    .sgpr_spill_count: 0
    .symbol:         _ZN7rocprim17ROCPRIM_400000_NS6detail17trampoline_kernelINS0_14default_configENS1_38merge_sort_block_merge_config_selectorIllEEZZNS1_27merge_sort_block_merge_implIS3_PlN6thrust23THRUST_200600_302600_NS10device_ptrIlEEjNS1_19radix_merge_compareILb0ELb0ElNS0_19identity_decomposerEEEEE10hipError_tT0_T1_T2_jT3_P12ihipStream_tbPNSt15iterator_traitsISG_E10value_typeEPNSM_ISH_E10value_typeEPSI_NS1_7vsmem_tEENKUlT_SG_SH_SI_E_clIS7_S7_SB_S7_EESF_SV_SG_SH_SI_EUlSV_E0_NS1_11comp_targetILNS1_3genE9ELNS1_11target_archE1100ELNS1_3gpuE3ELNS1_3repE0EEENS1_38merge_mergepath_config_static_selectorELNS0_4arch9wavefront6targetE1EEEvSH_.kd
    .uniform_work_group_size: 1
    .uses_dynamic_stack: false
    .vgpr_count:     0
    .vgpr_spill_count: 0
    .wavefront_size: 64
  - .args:
      - .offset:         0
        .size:           64
        .value_kind:     by_value
    .group_segment_fixed_size: 0
    .kernarg_segment_align: 8
    .kernarg_segment_size: 64
    .language:       OpenCL C
    .language_version:
      - 2
      - 0
    .max_flat_workgroup_size: 1024
    .name:           _ZN7rocprim17ROCPRIM_400000_NS6detail17trampoline_kernelINS0_14default_configENS1_38merge_sort_block_merge_config_selectorIllEEZZNS1_27merge_sort_block_merge_implIS3_PlN6thrust23THRUST_200600_302600_NS10device_ptrIlEEjNS1_19radix_merge_compareILb0ELb0ElNS0_19identity_decomposerEEEEE10hipError_tT0_T1_T2_jT3_P12ihipStream_tbPNSt15iterator_traitsISG_E10value_typeEPNSM_ISH_E10value_typeEPSI_NS1_7vsmem_tEENKUlT_SG_SH_SI_E_clIS7_S7_SB_S7_EESF_SV_SG_SH_SI_EUlSV_E0_NS1_11comp_targetILNS1_3genE8ELNS1_11target_archE1030ELNS1_3gpuE2ELNS1_3repE0EEENS1_38merge_mergepath_config_static_selectorELNS0_4arch9wavefront6targetE1EEEvSH_
    .private_segment_fixed_size: 0
    .sgpr_count:     4
    .sgpr_spill_count: 0
    .symbol:         _ZN7rocprim17ROCPRIM_400000_NS6detail17trampoline_kernelINS0_14default_configENS1_38merge_sort_block_merge_config_selectorIllEEZZNS1_27merge_sort_block_merge_implIS3_PlN6thrust23THRUST_200600_302600_NS10device_ptrIlEEjNS1_19radix_merge_compareILb0ELb0ElNS0_19identity_decomposerEEEEE10hipError_tT0_T1_T2_jT3_P12ihipStream_tbPNSt15iterator_traitsISG_E10value_typeEPNSM_ISH_E10value_typeEPSI_NS1_7vsmem_tEENKUlT_SG_SH_SI_E_clIS7_S7_SB_S7_EESF_SV_SG_SH_SI_EUlSV_E0_NS1_11comp_targetILNS1_3genE8ELNS1_11target_archE1030ELNS1_3gpuE2ELNS1_3repE0EEENS1_38merge_mergepath_config_static_selectorELNS0_4arch9wavefront6targetE1EEEvSH_.kd
    .uniform_work_group_size: 1
    .uses_dynamic_stack: false
    .vgpr_count:     0
    .vgpr_spill_count: 0
    .wavefront_size: 64
  - .args:
      - .offset:         0
        .size:           48
        .value_kind:     by_value
    .group_segment_fixed_size: 0
    .kernarg_segment_align: 8
    .kernarg_segment_size: 48
    .language:       OpenCL C
    .language_version:
      - 2
      - 0
    .max_flat_workgroup_size: 256
    .name:           _ZN7rocprim17ROCPRIM_400000_NS6detail17trampoline_kernelINS0_14default_configENS1_38merge_sort_block_merge_config_selectorIllEEZZNS1_27merge_sort_block_merge_implIS3_PlN6thrust23THRUST_200600_302600_NS10device_ptrIlEEjNS1_19radix_merge_compareILb0ELb0ElNS0_19identity_decomposerEEEEE10hipError_tT0_T1_T2_jT3_P12ihipStream_tbPNSt15iterator_traitsISG_E10value_typeEPNSM_ISH_E10value_typeEPSI_NS1_7vsmem_tEENKUlT_SG_SH_SI_E_clIS7_S7_SB_S7_EESF_SV_SG_SH_SI_EUlSV_E1_NS1_11comp_targetILNS1_3genE0ELNS1_11target_archE4294967295ELNS1_3gpuE0ELNS1_3repE0EEENS1_36merge_oddeven_config_static_selectorELNS0_4arch9wavefront6targetE1EEEvSH_
    .private_segment_fixed_size: 0
    .sgpr_count:     4
    .sgpr_spill_count: 0
    .symbol:         _ZN7rocprim17ROCPRIM_400000_NS6detail17trampoline_kernelINS0_14default_configENS1_38merge_sort_block_merge_config_selectorIllEEZZNS1_27merge_sort_block_merge_implIS3_PlN6thrust23THRUST_200600_302600_NS10device_ptrIlEEjNS1_19radix_merge_compareILb0ELb0ElNS0_19identity_decomposerEEEEE10hipError_tT0_T1_T2_jT3_P12ihipStream_tbPNSt15iterator_traitsISG_E10value_typeEPNSM_ISH_E10value_typeEPSI_NS1_7vsmem_tEENKUlT_SG_SH_SI_E_clIS7_S7_SB_S7_EESF_SV_SG_SH_SI_EUlSV_E1_NS1_11comp_targetILNS1_3genE0ELNS1_11target_archE4294967295ELNS1_3gpuE0ELNS1_3repE0EEENS1_36merge_oddeven_config_static_selectorELNS0_4arch9wavefront6targetE1EEEvSH_.kd
    .uniform_work_group_size: 1
    .uses_dynamic_stack: false
    .vgpr_count:     0
    .vgpr_spill_count: 0
    .wavefront_size: 64
  - .args:
      - .offset:         0
        .size:           48
        .value_kind:     by_value
    .group_segment_fixed_size: 0
    .kernarg_segment_align: 8
    .kernarg_segment_size: 48
    .language:       OpenCL C
    .language_version:
      - 2
      - 0
    .max_flat_workgroup_size: 256
    .name:           _ZN7rocprim17ROCPRIM_400000_NS6detail17trampoline_kernelINS0_14default_configENS1_38merge_sort_block_merge_config_selectorIllEEZZNS1_27merge_sort_block_merge_implIS3_PlN6thrust23THRUST_200600_302600_NS10device_ptrIlEEjNS1_19radix_merge_compareILb0ELb0ElNS0_19identity_decomposerEEEEE10hipError_tT0_T1_T2_jT3_P12ihipStream_tbPNSt15iterator_traitsISG_E10value_typeEPNSM_ISH_E10value_typeEPSI_NS1_7vsmem_tEENKUlT_SG_SH_SI_E_clIS7_S7_SB_S7_EESF_SV_SG_SH_SI_EUlSV_E1_NS1_11comp_targetILNS1_3genE10ELNS1_11target_archE1201ELNS1_3gpuE5ELNS1_3repE0EEENS1_36merge_oddeven_config_static_selectorELNS0_4arch9wavefront6targetE1EEEvSH_
    .private_segment_fixed_size: 0
    .sgpr_count:     4
    .sgpr_spill_count: 0
    .symbol:         _ZN7rocprim17ROCPRIM_400000_NS6detail17trampoline_kernelINS0_14default_configENS1_38merge_sort_block_merge_config_selectorIllEEZZNS1_27merge_sort_block_merge_implIS3_PlN6thrust23THRUST_200600_302600_NS10device_ptrIlEEjNS1_19radix_merge_compareILb0ELb0ElNS0_19identity_decomposerEEEEE10hipError_tT0_T1_T2_jT3_P12ihipStream_tbPNSt15iterator_traitsISG_E10value_typeEPNSM_ISH_E10value_typeEPSI_NS1_7vsmem_tEENKUlT_SG_SH_SI_E_clIS7_S7_SB_S7_EESF_SV_SG_SH_SI_EUlSV_E1_NS1_11comp_targetILNS1_3genE10ELNS1_11target_archE1201ELNS1_3gpuE5ELNS1_3repE0EEENS1_36merge_oddeven_config_static_selectorELNS0_4arch9wavefront6targetE1EEEvSH_.kd
    .uniform_work_group_size: 1
    .uses_dynamic_stack: false
    .vgpr_count:     0
    .vgpr_spill_count: 0
    .wavefront_size: 64
  - .args:
      - .offset:         0
        .size:           48
        .value_kind:     by_value
    .group_segment_fixed_size: 0
    .kernarg_segment_align: 8
    .kernarg_segment_size: 48
    .language:       OpenCL C
    .language_version:
      - 2
      - 0
    .max_flat_workgroup_size: 256
    .name:           _ZN7rocprim17ROCPRIM_400000_NS6detail17trampoline_kernelINS0_14default_configENS1_38merge_sort_block_merge_config_selectorIllEEZZNS1_27merge_sort_block_merge_implIS3_PlN6thrust23THRUST_200600_302600_NS10device_ptrIlEEjNS1_19radix_merge_compareILb0ELb0ElNS0_19identity_decomposerEEEEE10hipError_tT0_T1_T2_jT3_P12ihipStream_tbPNSt15iterator_traitsISG_E10value_typeEPNSM_ISH_E10value_typeEPSI_NS1_7vsmem_tEENKUlT_SG_SH_SI_E_clIS7_S7_SB_S7_EESF_SV_SG_SH_SI_EUlSV_E1_NS1_11comp_targetILNS1_3genE5ELNS1_11target_archE942ELNS1_3gpuE9ELNS1_3repE0EEENS1_36merge_oddeven_config_static_selectorELNS0_4arch9wavefront6targetE1EEEvSH_
    .private_segment_fixed_size: 0
    .sgpr_count:     4
    .sgpr_spill_count: 0
    .symbol:         _ZN7rocprim17ROCPRIM_400000_NS6detail17trampoline_kernelINS0_14default_configENS1_38merge_sort_block_merge_config_selectorIllEEZZNS1_27merge_sort_block_merge_implIS3_PlN6thrust23THRUST_200600_302600_NS10device_ptrIlEEjNS1_19radix_merge_compareILb0ELb0ElNS0_19identity_decomposerEEEEE10hipError_tT0_T1_T2_jT3_P12ihipStream_tbPNSt15iterator_traitsISG_E10value_typeEPNSM_ISH_E10value_typeEPSI_NS1_7vsmem_tEENKUlT_SG_SH_SI_E_clIS7_S7_SB_S7_EESF_SV_SG_SH_SI_EUlSV_E1_NS1_11comp_targetILNS1_3genE5ELNS1_11target_archE942ELNS1_3gpuE9ELNS1_3repE0EEENS1_36merge_oddeven_config_static_selectorELNS0_4arch9wavefront6targetE1EEEvSH_.kd
    .uniform_work_group_size: 1
    .uses_dynamic_stack: false
    .vgpr_count:     0
    .vgpr_spill_count: 0
    .wavefront_size: 64
  - .args:
      - .offset:         0
        .size:           48
        .value_kind:     by_value
    .group_segment_fixed_size: 0
    .kernarg_segment_align: 8
    .kernarg_segment_size: 48
    .language:       OpenCL C
    .language_version:
      - 2
      - 0
    .max_flat_workgroup_size: 256
    .name:           _ZN7rocprim17ROCPRIM_400000_NS6detail17trampoline_kernelINS0_14default_configENS1_38merge_sort_block_merge_config_selectorIllEEZZNS1_27merge_sort_block_merge_implIS3_PlN6thrust23THRUST_200600_302600_NS10device_ptrIlEEjNS1_19radix_merge_compareILb0ELb0ElNS0_19identity_decomposerEEEEE10hipError_tT0_T1_T2_jT3_P12ihipStream_tbPNSt15iterator_traitsISG_E10value_typeEPNSM_ISH_E10value_typeEPSI_NS1_7vsmem_tEENKUlT_SG_SH_SI_E_clIS7_S7_SB_S7_EESF_SV_SG_SH_SI_EUlSV_E1_NS1_11comp_targetILNS1_3genE4ELNS1_11target_archE910ELNS1_3gpuE8ELNS1_3repE0EEENS1_36merge_oddeven_config_static_selectorELNS0_4arch9wavefront6targetE1EEEvSH_
    .private_segment_fixed_size: 0
    .sgpr_count:     4
    .sgpr_spill_count: 0
    .symbol:         _ZN7rocprim17ROCPRIM_400000_NS6detail17trampoline_kernelINS0_14default_configENS1_38merge_sort_block_merge_config_selectorIllEEZZNS1_27merge_sort_block_merge_implIS3_PlN6thrust23THRUST_200600_302600_NS10device_ptrIlEEjNS1_19radix_merge_compareILb0ELb0ElNS0_19identity_decomposerEEEEE10hipError_tT0_T1_T2_jT3_P12ihipStream_tbPNSt15iterator_traitsISG_E10value_typeEPNSM_ISH_E10value_typeEPSI_NS1_7vsmem_tEENKUlT_SG_SH_SI_E_clIS7_S7_SB_S7_EESF_SV_SG_SH_SI_EUlSV_E1_NS1_11comp_targetILNS1_3genE4ELNS1_11target_archE910ELNS1_3gpuE8ELNS1_3repE0EEENS1_36merge_oddeven_config_static_selectorELNS0_4arch9wavefront6targetE1EEEvSH_.kd
    .uniform_work_group_size: 1
    .uses_dynamic_stack: false
    .vgpr_count:     0
    .vgpr_spill_count: 0
    .wavefront_size: 64
  - .args:
      - .offset:         0
        .size:           48
        .value_kind:     by_value
    .group_segment_fixed_size: 0
    .kernarg_segment_align: 8
    .kernarg_segment_size: 48
    .language:       OpenCL C
    .language_version:
      - 2
      - 0
    .max_flat_workgroup_size: 256
    .name:           _ZN7rocprim17ROCPRIM_400000_NS6detail17trampoline_kernelINS0_14default_configENS1_38merge_sort_block_merge_config_selectorIllEEZZNS1_27merge_sort_block_merge_implIS3_PlN6thrust23THRUST_200600_302600_NS10device_ptrIlEEjNS1_19radix_merge_compareILb0ELb0ElNS0_19identity_decomposerEEEEE10hipError_tT0_T1_T2_jT3_P12ihipStream_tbPNSt15iterator_traitsISG_E10value_typeEPNSM_ISH_E10value_typeEPSI_NS1_7vsmem_tEENKUlT_SG_SH_SI_E_clIS7_S7_SB_S7_EESF_SV_SG_SH_SI_EUlSV_E1_NS1_11comp_targetILNS1_3genE3ELNS1_11target_archE908ELNS1_3gpuE7ELNS1_3repE0EEENS1_36merge_oddeven_config_static_selectorELNS0_4arch9wavefront6targetE1EEEvSH_
    .private_segment_fixed_size: 0
    .sgpr_count:     4
    .sgpr_spill_count: 0
    .symbol:         _ZN7rocprim17ROCPRIM_400000_NS6detail17trampoline_kernelINS0_14default_configENS1_38merge_sort_block_merge_config_selectorIllEEZZNS1_27merge_sort_block_merge_implIS3_PlN6thrust23THRUST_200600_302600_NS10device_ptrIlEEjNS1_19radix_merge_compareILb0ELb0ElNS0_19identity_decomposerEEEEE10hipError_tT0_T1_T2_jT3_P12ihipStream_tbPNSt15iterator_traitsISG_E10value_typeEPNSM_ISH_E10value_typeEPSI_NS1_7vsmem_tEENKUlT_SG_SH_SI_E_clIS7_S7_SB_S7_EESF_SV_SG_SH_SI_EUlSV_E1_NS1_11comp_targetILNS1_3genE3ELNS1_11target_archE908ELNS1_3gpuE7ELNS1_3repE0EEENS1_36merge_oddeven_config_static_selectorELNS0_4arch9wavefront6targetE1EEEvSH_.kd
    .uniform_work_group_size: 1
    .uses_dynamic_stack: false
    .vgpr_count:     0
    .vgpr_spill_count: 0
    .wavefront_size: 64
  - .args:
      - .offset:         0
        .size:           48
        .value_kind:     by_value
    .group_segment_fixed_size: 0
    .kernarg_segment_align: 8
    .kernarg_segment_size: 48
    .language:       OpenCL C
    .language_version:
      - 2
      - 0
    .max_flat_workgroup_size: 256
    .name:           _ZN7rocprim17ROCPRIM_400000_NS6detail17trampoline_kernelINS0_14default_configENS1_38merge_sort_block_merge_config_selectorIllEEZZNS1_27merge_sort_block_merge_implIS3_PlN6thrust23THRUST_200600_302600_NS10device_ptrIlEEjNS1_19radix_merge_compareILb0ELb0ElNS0_19identity_decomposerEEEEE10hipError_tT0_T1_T2_jT3_P12ihipStream_tbPNSt15iterator_traitsISG_E10value_typeEPNSM_ISH_E10value_typeEPSI_NS1_7vsmem_tEENKUlT_SG_SH_SI_E_clIS7_S7_SB_S7_EESF_SV_SG_SH_SI_EUlSV_E1_NS1_11comp_targetILNS1_3genE2ELNS1_11target_archE906ELNS1_3gpuE6ELNS1_3repE0EEENS1_36merge_oddeven_config_static_selectorELNS0_4arch9wavefront6targetE1EEEvSH_
    .private_segment_fixed_size: 0
    .sgpr_count:     26
    .sgpr_spill_count: 0
    .symbol:         _ZN7rocprim17ROCPRIM_400000_NS6detail17trampoline_kernelINS0_14default_configENS1_38merge_sort_block_merge_config_selectorIllEEZZNS1_27merge_sort_block_merge_implIS3_PlN6thrust23THRUST_200600_302600_NS10device_ptrIlEEjNS1_19radix_merge_compareILb0ELb0ElNS0_19identity_decomposerEEEEE10hipError_tT0_T1_T2_jT3_P12ihipStream_tbPNSt15iterator_traitsISG_E10value_typeEPNSM_ISH_E10value_typeEPSI_NS1_7vsmem_tEENKUlT_SG_SH_SI_E_clIS7_S7_SB_S7_EESF_SV_SG_SH_SI_EUlSV_E1_NS1_11comp_targetILNS1_3genE2ELNS1_11target_archE906ELNS1_3gpuE6ELNS1_3repE0EEENS1_36merge_oddeven_config_static_selectorELNS0_4arch9wavefront6targetE1EEEvSH_.kd
    .uniform_work_group_size: 1
    .uses_dynamic_stack: false
    .vgpr_count:     14
    .vgpr_spill_count: 0
    .wavefront_size: 64
  - .args:
      - .offset:         0
        .size:           48
        .value_kind:     by_value
    .group_segment_fixed_size: 0
    .kernarg_segment_align: 8
    .kernarg_segment_size: 48
    .language:       OpenCL C
    .language_version:
      - 2
      - 0
    .max_flat_workgroup_size: 256
    .name:           _ZN7rocprim17ROCPRIM_400000_NS6detail17trampoline_kernelINS0_14default_configENS1_38merge_sort_block_merge_config_selectorIllEEZZNS1_27merge_sort_block_merge_implIS3_PlN6thrust23THRUST_200600_302600_NS10device_ptrIlEEjNS1_19radix_merge_compareILb0ELb0ElNS0_19identity_decomposerEEEEE10hipError_tT0_T1_T2_jT3_P12ihipStream_tbPNSt15iterator_traitsISG_E10value_typeEPNSM_ISH_E10value_typeEPSI_NS1_7vsmem_tEENKUlT_SG_SH_SI_E_clIS7_S7_SB_S7_EESF_SV_SG_SH_SI_EUlSV_E1_NS1_11comp_targetILNS1_3genE9ELNS1_11target_archE1100ELNS1_3gpuE3ELNS1_3repE0EEENS1_36merge_oddeven_config_static_selectorELNS0_4arch9wavefront6targetE1EEEvSH_
    .private_segment_fixed_size: 0
    .sgpr_count:     4
    .sgpr_spill_count: 0
    .symbol:         _ZN7rocprim17ROCPRIM_400000_NS6detail17trampoline_kernelINS0_14default_configENS1_38merge_sort_block_merge_config_selectorIllEEZZNS1_27merge_sort_block_merge_implIS3_PlN6thrust23THRUST_200600_302600_NS10device_ptrIlEEjNS1_19radix_merge_compareILb0ELb0ElNS0_19identity_decomposerEEEEE10hipError_tT0_T1_T2_jT3_P12ihipStream_tbPNSt15iterator_traitsISG_E10value_typeEPNSM_ISH_E10value_typeEPSI_NS1_7vsmem_tEENKUlT_SG_SH_SI_E_clIS7_S7_SB_S7_EESF_SV_SG_SH_SI_EUlSV_E1_NS1_11comp_targetILNS1_3genE9ELNS1_11target_archE1100ELNS1_3gpuE3ELNS1_3repE0EEENS1_36merge_oddeven_config_static_selectorELNS0_4arch9wavefront6targetE1EEEvSH_.kd
    .uniform_work_group_size: 1
    .uses_dynamic_stack: false
    .vgpr_count:     0
    .vgpr_spill_count: 0
    .wavefront_size: 64
  - .args:
      - .offset:         0
        .size:           48
        .value_kind:     by_value
    .group_segment_fixed_size: 0
    .kernarg_segment_align: 8
    .kernarg_segment_size: 48
    .language:       OpenCL C
    .language_version:
      - 2
      - 0
    .max_flat_workgroup_size: 256
    .name:           _ZN7rocprim17ROCPRIM_400000_NS6detail17trampoline_kernelINS0_14default_configENS1_38merge_sort_block_merge_config_selectorIllEEZZNS1_27merge_sort_block_merge_implIS3_PlN6thrust23THRUST_200600_302600_NS10device_ptrIlEEjNS1_19radix_merge_compareILb0ELb0ElNS0_19identity_decomposerEEEEE10hipError_tT0_T1_T2_jT3_P12ihipStream_tbPNSt15iterator_traitsISG_E10value_typeEPNSM_ISH_E10value_typeEPSI_NS1_7vsmem_tEENKUlT_SG_SH_SI_E_clIS7_S7_SB_S7_EESF_SV_SG_SH_SI_EUlSV_E1_NS1_11comp_targetILNS1_3genE8ELNS1_11target_archE1030ELNS1_3gpuE2ELNS1_3repE0EEENS1_36merge_oddeven_config_static_selectorELNS0_4arch9wavefront6targetE1EEEvSH_
    .private_segment_fixed_size: 0
    .sgpr_count:     4
    .sgpr_spill_count: 0
    .symbol:         _ZN7rocprim17ROCPRIM_400000_NS6detail17trampoline_kernelINS0_14default_configENS1_38merge_sort_block_merge_config_selectorIllEEZZNS1_27merge_sort_block_merge_implIS3_PlN6thrust23THRUST_200600_302600_NS10device_ptrIlEEjNS1_19radix_merge_compareILb0ELb0ElNS0_19identity_decomposerEEEEE10hipError_tT0_T1_T2_jT3_P12ihipStream_tbPNSt15iterator_traitsISG_E10value_typeEPNSM_ISH_E10value_typeEPSI_NS1_7vsmem_tEENKUlT_SG_SH_SI_E_clIS7_S7_SB_S7_EESF_SV_SG_SH_SI_EUlSV_E1_NS1_11comp_targetILNS1_3genE8ELNS1_11target_archE1030ELNS1_3gpuE2ELNS1_3repE0EEENS1_36merge_oddeven_config_static_selectorELNS0_4arch9wavefront6targetE1EEEvSH_.kd
    .uniform_work_group_size: 1
    .uses_dynamic_stack: false
    .vgpr_count:     0
    .vgpr_spill_count: 0
    .wavefront_size: 64
  - .args:
      - .offset:         0
        .size:           40
        .value_kind:     by_value
    .group_segment_fixed_size: 0
    .kernarg_segment_align: 8
    .kernarg_segment_size: 40
    .language:       OpenCL C
    .language_version:
      - 2
      - 0
    .max_flat_workgroup_size: 128
    .name:           _ZN7rocprim17ROCPRIM_400000_NS6detail17trampoline_kernelINS0_14default_configENS1_25transform_config_selectorIlLb1EEEZNS1_14transform_implILb1ES3_S5_PlS7_NS0_8identityIlEEEE10hipError_tT2_T3_mT4_P12ihipStream_tbEUlT_E_NS1_11comp_targetILNS1_3genE0ELNS1_11target_archE4294967295ELNS1_3gpuE0ELNS1_3repE0EEENS1_30default_config_static_selectorELNS0_4arch9wavefront6targetE1EEEvT1_
    .private_segment_fixed_size: 0
    .sgpr_count:     4
    .sgpr_spill_count: 0
    .symbol:         _ZN7rocprim17ROCPRIM_400000_NS6detail17trampoline_kernelINS0_14default_configENS1_25transform_config_selectorIlLb1EEEZNS1_14transform_implILb1ES3_S5_PlS7_NS0_8identityIlEEEE10hipError_tT2_T3_mT4_P12ihipStream_tbEUlT_E_NS1_11comp_targetILNS1_3genE0ELNS1_11target_archE4294967295ELNS1_3gpuE0ELNS1_3repE0EEENS1_30default_config_static_selectorELNS0_4arch9wavefront6targetE1EEEvT1_.kd
    .uniform_work_group_size: 1
    .uses_dynamic_stack: false
    .vgpr_count:     0
    .vgpr_spill_count: 0
    .wavefront_size: 64
  - .args:
      - .offset:         0
        .size:           40
        .value_kind:     by_value
    .group_segment_fixed_size: 0
    .kernarg_segment_align: 8
    .kernarg_segment_size: 40
    .language:       OpenCL C
    .language_version:
      - 2
      - 0
    .max_flat_workgroup_size: 1024
    .name:           _ZN7rocprim17ROCPRIM_400000_NS6detail17trampoline_kernelINS0_14default_configENS1_25transform_config_selectorIlLb1EEEZNS1_14transform_implILb1ES3_S5_PlS7_NS0_8identityIlEEEE10hipError_tT2_T3_mT4_P12ihipStream_tbEUlT_E_NS1_11comp_targetILNS1_3genE10ELNS1_11target_archE1201ELNS1_3gpuE5ELNS1_3repE0EEENS1_30default_config_static_selectorELNS0_4arch9wavefront6targetE1EEEvT1_
    .private_segment_fixed_size: 0
    .sgpr_count:     4
    .sgpr_spill_count: 0
    .symbol:         _ZN7rocprim17ROCPRIM_400000_NS6detail17trampoline_kernelINS0_14default_configENS1_25transform_config_selectorIlLb1EEEZNS1_14transform_implILb1ES3_S5_PlS7_NS0_8identityIlEEEE10hipError_tT2_T3_mT4_P12ihipStream_tbEUlT_E_NS1_11comp_targetILNS1_3genE10ELNS1_11target_archE1201ELNS1_3gpuE5ELNS1_3repE0EEENS1_30default_config_static_selectorELNS0_4arch9wavefront6targetE1EEEvT1_.kd
    .uniform_work_group_size: 1
    .uses_dynamic_stack: false
    .vgpr_count:     0
    .vgpr_spill_count: 0
    .wavefront_size: 64
  - .args:
      - .offset:         0
        .size:           40
        .value_kind:     by_value
    .group_segment_fixed_size: 0
    .kernarg_segment_align: 8
    .kernarg_segment_size: 40
    .language:       OpenCL C
    .language_version:
      - 2
      - 0
    .max_flat_workgroup_size: 512
    .name:           _ZN7rocprim17ROCPRIM_400000_NS6detail17trampoline_kernelINS0_14default_configENS1_25transform_config_selectorIlLb1EEEZNS1_14transform_implILb1ES3_S5_PlS7_NS0_8identityIlEEEE10hipError_tT2_T3_mT4_P12ihipStream_tbEUlT_E_NS1_11comp_targetILNS1_3genE5ELNS1_11target_archE942ELNS1_3gpuE9ELNS1_3repE0EEENS1_30default_config_static_selectorELNS0_4arch9wavefront6targetE1EEEvT1_
    .private_segment_fixed_size: 0
    .sgpr_count:     4
    .sgpr_spill_count: 0
    .symbol:         _ZN7rocprim17ROCPRIM_400000_NS6detail17trampoline_kernelINS0_14default_configENS1_25transform_config_selectorIlLb1EEEZNS1_14transform_implILb1ES3_S5_PlS7_NS0_8identityIlEEEE10hipError_tT2_T3_mT4_P12ihipStream_tbEUlT_E_NS1_11comp_targetILNS1_3genE5ELNS1_11target_archE942ELNS1_3gpuE9ELNS1_3repE0EEENS1_30default_config_static_selectorELNS0_4arch9wavefront6targetE1EEEvT1_.kd
    .uniform_work_group_size: 1
    .uses_dynamic_stack: false
    .vgpr_count:     0
    .vgpr_spill_count: 0
    .wavefront_size: 64
  - .args:
      - .offset:         0
        .size:           40
        .value_kind:     by_value
    .group_segment_fixed_size: 0
    .kernarg_segment_align: 8
    .kernarg_segment_size: 40
    .language:       OpenCL C
    .language_version:
      - 2
      - 0
    .max_flat_workgroup_size: 1024
    .name:           _ZN7rocprim17ROCPRIM_400000_NS6detail17trampoline_kernelINS0_14default_configENS1_25transform_config_selectorIlLb1EEEZNS1_14transform_implILb1ES3_S5_PlS7_NS0_8identityIlEEEE10hipError_tT2_T3_mT4_P12ihipStream_tbEUlT_E_NS1_11comp_targetILNS1_3genE4ELNS1_11target_archE910ELNS1_3gpuE8ELNS1_3repE0EEENS1_30default_config_static_selectorELNS0_4arch9wavefront6targetE1EEEvT1_
    .private_segment_fixed_size: 0
    .sgpr_count:     4
    .sgpr_spill_count: 0
    .symbol:         _ZN7rocprim17ROCPRIM_400000_NS6detail17trampoline_kernelINS0_14default_configENS1_25transform_config_selectorIlLb1EEEZNS1_14transform_implILb1ES3_S5_PlS7_NS0_8identityIlEEEE10hipError_tT2_T3_mT4_P12ihipStream_tbEUlT_E_NS1_11comp_targetILNS1_3genE4ELNS1_11target_archE910ELNS1_3gpuE8ELNS1_3repE0EEENS1_30default_config_static_selectorELNS0_4arch9wavefront6targetE1EEEvT1_.kd
    .uniform_work_group_size: 1
    .uses_dynamic_stack: false
    .vgpr_count:     0
    .vgpr_spill_count: 0
    .wavefront_size: 64
  - .args:
      - .offset:         0
        .size:           40
        .value_kind:     by_value
    .group_segment_fixed_size: 0
    .kernarg_segment_align: 8
    .kernarg_segment_size: 40
    .language:       OpenCL C
    .language_version:
      - 2
      - 0
    .max_flat_workgroup_size: 128
    .name:           _ZN7rocprim17ROCPRIM_400000_NS6detail17trampoline_kernelINS0_14default_configENS1_25transform_config_selectorIlLb1EEEZNS1_14transform_implILb1ES3_S5_PlS7_NS0_8identityIlEEEE10hipError_tT2_T3_mT4_P12ihipStream_tbEUlT_E_NS1_11comp_targetILNS1_3genE3ELNS1_11target_archE908ELNS1_3gpuE7ELNS1_3repE0EEENS1_30default_config_static_selectorELNS0_4arch9wavefront6targetE1EEEvT1_
    .private_segment_fixed_size: 0
    .sgpr_count:     4
    .sgpr_spill_count: 0
    .symbol:         _ZN7rocprim17ROCPRIM_400000_NS6detail17trampoline_kernelINS0_14default_configENS1_25transform_config_selectorIlLb1EEEZNS1_14transform_implILb1ES3_S5_PlS7_NS0_8identityIlEEEE10hipError_tT2_T3_mT4_P12ihipStream_tbEUlT_E_NS1_11comp_targetILNS1_3genE3ELNS1_11target_archE908ELNS1_3gpuE7ELNS1_3repE0EEENS1_30default_config_static_selectorELNS0_4arch9wavefront6targetE1EEEvT1_.kd
    .uniform_work_group_size: 1
    .uses_dynamic_stack: false
    .vgpr_count:     0
    .vgpr_spill_count: 0
    .wavefront_size: 64
  - .args:
      - .offset:         0
        .size:           40
        .value_kind:     by_value
      - .offset:         40
        .size:           4
        .value_kind:     hidden_block_count_x
      - .offset:         44
        .size:           4
        .value_kind:     hidden_block_count_y
      - .offset:         48
        .size:           4
        .value_kind:     hidden_block_count_z
      - .offset:         52
        .size:           2
        .value_kind:     hidden_group_size_x
      - .offset:         54
        .size:           2
        .value_kind:     hidden_group_size_y
      - .offset:         56
        .size:           2
        .value_kind:     hidden_group_size_z
      - .offset:         58
        .size:           2
        .value_kind:     hidden_remainder_x
      - .offset:         60
        .size:           2
        .value_kind:     hidden_remainder_y
      - .offset:         62
        .size:           2
        .value_kind:     hidden_remainder_z
      - .offset:         80
        .size:           8
        .value_kind:     hidden_global_offset_x
      - .offset:         88
        .size:           8
        .value_kind:     hidden_global_offset_y
      - .offset:         96
        .size:           8
        .value_kind:     hidden_global_offset_z
      - .offset:         104
        .size:           2
        .value_kind:     hidden_grid_dims
    .group_segment_fixed_size: 0
    .kernarg_segment_align: 8
    .kernarg_segment_size: 296
    .language:       OpenCL C
    .language_version:
      - 2
      - 0
    .max_flat_workgroup_size: 512
    .name:           _ZN7rocprim17ROCPRIM_400000_NS6detail17trampoline_kernelINS0_14default_configENS1_25transform_config_selectorIlLb1EEEZNS1_14transform_implILb1ES3_S5_PlS7_NS0_8identityIlEEEE10hipError_tT2_T3_mT4_P12ihipStream_tbEUlT_E_NS1_11comp_targetILNS1_3genE2ELNS1_11target_archE906ELNS1_3gpuE6ELNS1_3repE0EEENS1_30default_config_static_selectorELNS0_4arch9wavefront6targetE1EEEvT1_
    .private_segment_fixed_size: 0
    .sgpr_count:     16
    .sgpr_spill_count: 0
    .symbol:         _ZN7rocprim17ROCPRIM_400000_NS6detail17trampoline_kernelINS0_14default_configENS1_25transform_config_selectorIlLb1EEEZNS1_14transform_implILb1ES3_S5_PlS7_NS0_8identityIlEEEE10hipError_tT2_T3_mT4_P12ihipStream_tbEUlT_E_NS1_11comp_targetILNS1_3genE2ELNS1_11target_archE906ELNS1_3gpuE6ELNS1_3repE0EEENS1_30default_config_static_selectorELNS0_4arch9wavefront6targetE1EEEvT1_.kd
    .uniform_work_group_size: 1
    .uses_dynamic_stack: false
    .vgpr_count:     3
    .vgpr_spill_count: 0
    .wavefront_size: 64
  - .args:
      - .offset:         0
        .size:           40
        .value_kind:     by_value
    .group_segment_fixed_size: 0
    .kernarg_segment_align: 8
    .kernarg_segment_size: 40
    .language:       OpenCL C
    .language_version:
      - 2
      - 0
    .max_flat_workgroup_size: 1024
    .name:           _ZN7rocprim17ROCPRIM_400000_NS6detail17trampoline_kernelINS0_14default_configENS1_25transform_config_selectorIlLb1EEEZNS1_14transform_implILb1ES3_S5_PlS7_NS0_8identityIlEEEE10hipError_tT2_T3_mT4_P12ihipStream_tbEUlT_E_NS1_11comp_targetILNS1_3genE9ELNS1_11target_archE1100ELNS1_3gpuE3ELNS1_3repE0EEENS1_30default_config_static_selectorELNS0_4arch9wavefront6targetE1EEEvT1_
    .private_segment_fixed_size: 0
    .sgpr_count:     4
    .sgpr_spill_count: 0
    .symbol:         _ZN7rocprim17ROCPRIM_400000_NS6detail17trampoline_kernelINS0_14default_configENS1_25transform_config_selectorIlLb1EEEZNS1_14transform_implILb1ES3_S5_PlS7_NS0_8identityIlEEEE10hipError_tT2_T3_mT4_P12ihipStream_tbEUlT_E_NS1_11comp_targetILNS1_3genE9ELNS1_11target_archE1100ELNS1_3gpuE3ELNS1_3repE0EEENS1_30default_config_static_selectorELNS0_4arch9wavefront6targetE1EEEvT1_.kd
    .uniform_work_group_size: 1
    .uses_dynamic_stack: false
    .vgpr_count:     0
    .vgpr_spill_count: 0
    .wavefront_size: 64
  - .args:
      - .offset:         0
        .size:           40
        .value_kind:     by_value
    .group_segment_fixed_size: 0
    .kernarg_segment_align: 8
    .kernarg_segment_size: 40
    .language:       OpenCL C
    .language_version:
      - 2
      - 0
    .max_flat_workgroup_size: 1024
    .name:           _ZN7rocprim17ROCPRIM_400000_NS6detail17trampoline_kernelINS0_14default_configENS1_25transform_config_selectorIlLb1EEEZNS1_14transform_implILb1ES3_S5_PlS7_NS0_8identityIlEEEE10hipError_tT2_T3_mT4_P12ihipStream_tbEUlT_E_NS1_11comp_targetILNS1_3genE8ELNS1_11target_archE1030ELNS1_3gpuE2ELNS1_3repE0EEENS1_30default_config_static_selectorELNS0_4arch9wavefront6targetE1EEEvT1_
    .private_segment_fixed_size: 0
    .sgpr_count:     4
    .sgpr_spill_count: 0
    .symbol:         _ZN7rocprim17ROCPRIM_400000_NS6detail17trampoline_kernelINS0_14default_configENS1_25transform_config_selectorIlLb1EEEZNS1_14transform_implILb1ES3_S5_PlS7_NS0_8identityIlEEEE10hipError_tT2_T3_mT4_P12ihipStream_tbEUlT_E_NS1_11comp_targetILNS1_3genE8ELNS1_11target_archE1030ELNS1_3gpuE2ELNS1_3repE0EEENS1_30default_config_static_selectorELNS0_4arch9wavefront6targetE1EEEvT1_.kd
    .uniform_work_group_size: 1
    .uses_dynamic_stack: false
    .vgpr_count:     0
    .vgpr_spill_count: 0
    .wavefront_size: 64
  - .args:
      - .offset:         0
        .size:           40
        .value_kind:     by_value
    .group_segment_fixed_size: 0
    .kernarg_segment_align: 8
    .kernarg_segment_size: 40
    .language:       OpenCL C
    .language_version:
      - 2
      - 0
    .max_flat_workgroup_size: 128
    .name:           _ZN7rocprim17ROCPRIM_400000_NS6detail17trampoline_kernelINS0_14default_configENS1_38merge_sort_block_merge_config_selectorIllEEZZNS1_27merge_sort_block_merge_implIS3_PlN6thrust23THRUST_200600_302600_NS10device_ptrIlEEjNS1_19radix_merge_compareILb0ELb1ElNS0_19identity_decomposerEEEEE10hipError_tT0_T1_T2_jT3_P12ihipStream_tbPNSt15iterator_traitsISG_E10value_typeEPNSM_ISH_E10value_typeEPSI_NS1_7vsmem_tEENKUlT_SG_SH_SI_E_clIS7_S7_S7_SB_EESF_SV_SG_SH_SI_EUlSV_E_NS1_11comp_targetILNS1_3genE0ELNS1_11target_archE4294967295ELNS1_3gpuE0ELNS1_3repE0EEENS1_48merge_mergepath_partition_config_static_selectorELNS0_4arch9wavefront6targetE1EEEvSH_
    .private_segment_fixed_size: 0
    .sgpr_count:     4
    .sgpr_spill_count: 0
    .symbol:         _ZN7rocprim17ROCPRIM_400000_NS6detail17trampoline_kernelINS0_14default_configENS1_38merge_sort_block_merge_config_selectorIllEEZZNS1_27merge_sort_block_merge_implIS3_PlN6thrust23THRUST_200600_302600_NS10device_ptrIlEEjNS1_19radix_merge_compareILb0ELb1ElNS0_19identity_decomposerEEEEE10hipError_tT0_T1_T2_jT3_P12ihipStream_tbPNSt15iterator_traitsISG_E10value_typeEPNSM_ISH_E10value_typeEPSI_NS1_7vsmem_tEENKUlT_SG_SH_SI_E_clIS7_S7_S7_SB_EESF_SV_SG_SH_SI_EUlSV_E_NS1_11comp_targetILNS1_3genE0ELNS1_11target_archE4294967295ELNS1_3gpuE0ELNS1_3repE0EEENS1_48merge_mergepath_partition_config_static_selectorELNS0_4arch9wavefront6targetE1EEEvSH_.kd
    .uniform_work_group_size: 1
    .uses_dynamic_stack: false
    .vgpr_count:     0
    .vgpr_spill_count: 0
    .wavefront_size: 64
  - .args:
      - .offset:         0
        .size:           40
        .value_kind:     by_value
    .group_segment_fixed_size: 0
    .kernarg_segment_align: 8
    .kernarg_segment_size: 40
    .language:       OpenCL C
    .language_version:
      - 2
      - 0
    .max_flat_workgroup_size: 128
    .name:           _ZN7rocprim17ROCPRIM_400000_NS6detail17trampoline_kernelINS0_14default_configENS1_38merge_sort_block_merge_config_selectorIllEEZZNS1_27merge_sort_block_merge_implIS3_PlN6thrust23THRUST_200600_302600_NS10device_ptrIlEEjNS1_19radix_merge_compareILb0ELb1ElNS0_19identity_decomposerEEEEE10hipError_tT0_T1_T2_jT3_P12ihipStream_tbPNSt15iterator_traitsISG_E10value_typeEPNSM_ISH_E10value_typeEPSI_NS1_7vsmem_tEENKUlT_SG_SH_SI_E_clIS7_S7_S7_SB_EESF_SV_SG_SH_SI_EUlSV_E_NS1_11comp_targetILNS1_3genE10ELNS1_11target_archE1201ELNS1_3gpuE5ELNS1_3repE0EEENS1_48merge_mergepath_partition_config_static_selectorELNS0_4arch9wavefront6targetE1EEEvSH_
    .private_segment_fixed_size: 0
    .sgpr_count:     4
    .sgpr_spill_count: 0
    .symbol:         _ZN7rocprim17ROCPRIM_400000_NS6detail17trampoline_kernelINS0_14default_configENS1_38merge_sort_block_merge_config_selectorIllEEZZNS1_27merge_sort_block_merge_implIS3_PlN6thrust23THRUST_200600_302600_NS10device_ptrIlEEjNS1_19radix_merge_compareILb0ELb1ElNS0_19identity_decomposerEEEEE10hipError_tT0_T1_T2_jT3_P12ihipStream_tbPNSt15iterator_traitsISG_E10value_typeEPNSM_ISH_E10value_typeEPSI_NS1_7vsmem_tEENKUlT_SG_SH_SI_E_clIS7_S7_S7_SB_EESF_SV_SG_SH_SI_EUlSV_E_NS1_11comp_targetILNS1_3genE10ELNS1_11target_archE1201ELNS1_3gpuE5ELNS1_3repE0EEENS1_48merge_mergepath_partition_config_static_selectorELNS0_4arch9wavefront6targetE1EEEvSH_.kd
    .uniform_work_group_size: 1
    .uses_dynamic_stack: false
    .vgpr_count:     0
    .vgpr_spill_count: 0
    .wavefront_size: 64
  - .args:
      - .offset:         0
        .size:           40
        .value_kind:     by_value
    .group_segment_fixed_size: 0
    .kernarg_segment_align: 8
    .kernarg_segment_size: 40
    .language:       OpenCL C
    .language_version:
      - 2
      - 0
    .max_flat_workgroup_size: 128
    .name:           _ZN7rocprim17ROCPRIM_400000_NS6detail17trampoline_kernelINS0_14default_configENS1_38merge_sort_block_merge_config_selectorIllEEZZNS1_27merge_sort_block_merge_implIS3_PlN6thrust23THRUST_200600_302600_NS10device_ptrIlEEjNS1_19radix_merge_compareILb0ELb1ElNS0_19identity_decomposerEEEEE10hipError_tT0_T1_T2_jT3_P12ihipStream_tbPNSt15iterator_traitsISG_E10value_typeEPNSM_ISH_E10value_typeEPSI_NS1_7vsmem_tEENKUlT_SG_SH_SI_E_clIS7_S7_S7_SB_EESF_SV_SG_SH_SI_EUlSV_E_NS1_11comp_targetILNS1_3genE5ELNS1_11target_archE942ELNS1_3gpuE9ELNS1_3repE0EEENS1_48merge_mergepath_partition_config_static_selectorELNS0_4arch9wavefront6targetE1EEEvSH_
    .private_segment_fixed_size: 0
    .sgpr_count:     4
    .sgpr_spill_count: 0
    .symbol:         _ZN7rocprim17ROCPRIM_400000_NS6detail17trampoline_kernelINS0_14default_configENS1_38merge_sort_block_merge_config_selectorIllEEZZNS1_27merge_sort_block_merge_implIS3_PlN6thrust23THRUST_200600_302600_NS10device_ptrIlEEjNS1_19radix_merge_compareILb0ELb1ElNS0_19identity_decomposerEEEEE10hipError_tT0_T1_T2_jT3_P12ihipStream_tbPNSt15iterator_traitsISG_E10value_typeEPNSM_ISH_E10value_typeEPSI_NS1_7vsmem_tEENKUlT_SG_SH_SI_E_clIS7_S7_S7_SB_EESF_SV_SG_SH_SI_EUlSV_E_NS1_11comp_targetILNS1_3genE5ELNS1_11target_archE942ELNS1_3gpuE9ELNS1_3repE0EEENS1_48merge_mergepath_partition_config_static_selectorELNS0_4arch9wavefront6targetE1EEEvSH_.kd
    .uniform_work_group_size: 1
    .uses_dynamic_stack: false
    .vgpr_count:     0
    .vgpr_spill_count: 0
    .wavefront_size: 64
  - .args:
      - .offset:         0
        .size:           40
        .value_kind:     by_value
    .group_segment_fixed_size: 0
    .kernarg_segment_align: 8
    .kernarg_segment_size: 40
    .language:       OpenCL C
    .language_version:
      - 2
      - 0
    .max_flat_workgroup_size: 128
    .name:           _ZN7rocprim17ROCPRIM_400000_NS6detail17trampoline_kernelINS0_14default_configENS1_38merge_sort_block_merge_config_selectorIllEEZZNS1_27merge_sort_block_merge_implIS3_PlN6thrust23THRUST_200600_302600_NS10device_ptrIlEEjNS1_19radix_merge_compareILb0ELb1ElNS0_19identity_decomposerEEEEE10hipError_tT0_T1_T2_jT3_P12ihipStream_tbPNSt15iterator_traitsISG_E10value_typeEPNSM_ISH_E10value_typeEPSI_NS1_7vsmem_tEENKUlT_SG_SH_SI_E_clIS7_S7_S7_SB_EESF_SV_SG_SH_SI_EUlSV_E_NS1_11comp_targetILNS1_3genE4ELNS1_11target_archE910ELNS1_3gpuE8ELNS1_3repE0EEENS1_48merge_mergepath_partition_config_static_selectorELNS0_4arch9wavefront6targetE1EEEvSH_
    .private_segment_fixed_size: 0
    .sgpr_count:     4
    .sgpr_spill_count: 0
    .symbol:         _ZN7rocprim17ROCPRIM_400000_NS6detail17trampoline_kernelINS0_14default_configENS1_38merge_sort_block_merge_config_selectorIllEEZZNS1_27merge_sort_block_merge_implIS3_PlN6thrust23THRUST_200600_302600_NS10device_ptrIlEEjNS1_19radix_merge_compareILb0ELb1ElNS0_19identity_decomposerEEEEE10hipError_tT0_T1_T2_jT3_P12ihipStream_tbPNSt15iterator_traitsISG_E10value_typeEPNSM_ISH_E10value_typeEPSI_NS1_7vsmem_tEENKUlT_SG_SH_SI_E_clIS7_S7_S7_SB_EESF_SV_SG_SH_SI_EUlSV_E_NS1_11comp_targetILNS1_3genE4ELNS1_11target_archE910ELNS1_3gpuE8ELNS1_3repE0EEENS1_48merge_mergepath_partition_config_static_selectorELNS0_4arch9wavefront6targetE1EEEvSH_.kd
    .uniform_work_group_size: 1
    .uses_dynamic_stack: false
    .vgpr_count:     0
    .vgpr_spill_count: 0
    .wavefront_size: 64
  - .args:
      - .offset:         0
        .size:           40
        .value_kind:     by_value
    .group_segment_fixed_size: 0
    .kernarg_segment_align: 8
    .kernarg_segment_size: 40
    .language:       OpenCL C
    .language_version:
      - 2
      - 0
    .max_flat_workgroup_size: 128
    .name:           _ZN7rocprim17ROCPRIM_400000_NS6detail17trampoline_kernelINS0_14default_configENS1_38merge_sort_block_merge_config_selectorIllEEZZNS1_27merge_sort_block_merge_implIS3_PlN6thrust23THRUST_200600_302600_NS10device_ptrIlEEjNS1_19radix_merge_compareILb0ELb1ElNS0_19identity_decomposerEEEEE10hipError_tT0_T1_T2_jT3_P12ihipStream_tbPNSt15iterator_traitsISG_E10value_typeEPNSM_ISH_E10value_typeEPSI_NS1_7vsmem_tEENKUlT_SG_SH_SI_E_clIS7_S7_S7_SB_EESF_SV_SG_SH_SI_EUlSV_E_NS1_11comp_targetILNS1_3genE3ELNS1_11target_archE908ELNS1_3gpuE7ELNS1_3repE0EEENS1_48merge_mergepath_partition_config_static_selectorELNS0_4arch9wavefront6targetE1EEEvSH_
    .private_segment_fixed_size: 0
    .sgpr_count:     4
    .sgpr_spill_count: 0
    .symbol:         _ZN7rocprim17ROCPRIM_400000_NS6detail17trampoline_kernelINS0_14default_configENS1_38merge_sort_block_merge_config_selectorIllEEZZNS1_27merge_sort_block_merge_implIS3_PlN6thrust23THRUST_200600_302600_NS10device_ptrIlEEjNS1_19radix_merge_compareILb0ELb1ElNS0_19identity_decomposerEEEEE10hipError_tT0_T1_T2_jT3_P12ihipStream_tbPNSt15iterator_traitsISG_E10value_typeEPNSM_ISH_E10value_typeEPSI_NS1_7vsmem_tEENKUlT_SG_SH_SI_E_clIS7_S7_S7_SB_EESF_SV_SG_SH_SI_EUlSV_E_NS1_11comp_targetILNS1_3genE3ELNS1_11target_archE908ELNS1_3gpuE7ELNS1_3repE0EEENS1_48merge_mergepath_partition_config_static_selectorELNS0_4arch9wavefront6targetE1EEEvSH_.kd
    .uniform_work_group_size: 1
    .uses_dynamic_stack: false
    .vgpr_count:     0
    .vgpr_spill_count: 0
    .wavefront_size: 64
  - .args:
      - .offset:         0
        .size:           40
        .value_kind:     by_value
    .group_segment_fixed_size: 0
    .kernarg_segment_align: 8
    .kernarg_segment_size: 40
    .language:       OpenCL C
    .language_version:
      - 2
      - 0
    .max_flat_workgroup_size: 128
    .name:           _ZN7rocprim17ROCPRIM_400000_NS6detail17trampoline_kernelINS0_14default_configENS1_38merge_sort_block_merge_config_selectorIllEEZZNS1_27merge_sort_block_merge_implIS3_PlN6thrust23THRUST_200600_302600_NS10device_ptrIlEEjNS1_19radix_merge_compareILb0ELb1ElNS0_19identity_decomposerEEEEE10hipError_tT0_T1_T2_jT3_P12ihipStream_tbPNSt15iterator_traitsISG_E10value_typeEPNSM_ISH_E10value_typeEPSI_NS1_7vsmem_tEENKUlT_SG_SH_SI_E_clIS7_S7_S7_SB_EESF_SV_SG_SH_SI_EUlSV_E_NS1_11comp_targetILNS1_3genE2ELNS1_11target_archE906ELNS1_3gpuE6ELNS1_3repE0EEENS1_48merge_mergepath_partition_config_static_selectorELNS0_4arch9wavefront6targetE1EEEvSH_
    .private_segment_fixed_size: 0
    .sgpr_count:     14
    .sgpr_spill_count: 0
    .symbol:         _ZN7rocprim17ROCPRIM_400000_NS6detail17trampoline_kernelINS0_14default_configENS1_38merge_sort_block_merge_config_selectorIllEEZZNS1_27merge_sort_block_merge_implIS3_PlN6thrust23THRUST_200600_302600_NS10device_ptrIlEEjNS1_19radix_merge_compareILb0ELb1ElNS0_19identity_decomposerEEEEE10hipError_tT0_T1_T2_jT3_P12ihipStream_tbPNSt15iterator_traitsISG_E10value_typeEPNSM_ISH_E10value_typeEPSI_NS1_7vsmem_tEENKUlT_SG_SH_SI_E_clIS7_S7_S7_SB_EESF_SV_SG_SH_SI_EUlSV_E_NS1_11comp_targetILNS1_3genE2ELNS1_11target_archE906ELNS1_3gpuE6ELNS1_3repE0EEENS1_48merge_mergepath_partition_config_static_selectorELNS0_4arch9wavefront6targetE1EEEvSH_.kd
    .uniform_work_group_size: 1
    .uses_dynamic_stack: false
    .vgpr_count:     16
    .vgpr_spill_count: 0
    .wavefront_size: 64
  - .args:
      - .offset:         0
        .size:           40
        .value_kind:     by_value
    .group_segment_fixed_size: 0
    .kernarg_segment_align: 8
    .kernarg_segment_size: 40
    .language:       OpenCL C
    .language_version:
      - 2
      - 0
    .max_flat_workgroup_size: 128
    .name:           _ZN7rocprim17ROCPRIM_400000_NS6detail17trampoline_kernelINS0_14default_configENS1_38merge_sort_block_merge_config_selectorIllEEZZNS1_27merge_sort_block_merge_implIS3_PlN6thrust23THRUST_200600_302600_NS10device_ptrIlEEjNS1_19radix_merge_compareILb0ELb1ElNS0_19identity_decomposerEEEEE10hipError_tT0_T1_T2_jT3_P12ihipStream_tbPNSt15iterator_traitsISG_E10value_typeEPNSM_ISH_E10value_typeEPSI_NS1_7vsmem_tEENKUlT_SG_SH_SI_E_clIS7_S7_S7_SB_EESF_SV_SG_SH_SI_EUlSV_E_NS1_11comp_targetILNS1_3genE9ELNS1_11target_archE1100ELNS1_3gpuE3ELNS1_3repE0EEENS1_48merge_mergepath_partition_config_static_selectorELNS0_4arch9wavefront6targetE1EEEvSH_
    .private_segment_fixed_size: 0
    .sgpr_count:     4
    .sgpr_spill_count: 0
    .symbol:         _ZN7rocprim17ROCPRIM_400000_NS6detail17trampoline_kernelINS0_14default_configENS1_38merge_sort_block_merge_config_selectorIllEEZZNS1_27merge_sort_block_merge_implIS3_PlN6thrust23THRUST_200600_302600_NS10device_ptrIlEEjNS1_19radix_merge_compareILb0ELb1ElNS0_19identity_decomposerEEEEE10hipError_tT0_T1_T2_jT3_P12ihipStream_tbPNSt15iterator_traitsISG_E10value_typeEPNSM_ISH_E10value_typeEPSI_NS1_7vsmem_tEENKUlT_SG_SH_SI_E_clIS7_S7_S7_SB_EESF_SV_SG_SH_SI_EUlSV_E_NS1_11comp_targetILNS1_3genE9ELNS1_11target_archE1100ELNS1_3gpuE3ELNS1_3repE0EEENS1_48merge_mergepath_partition_config_static_selectorELNS0_4arch9wavefront6targetE1EEEvSH_.kd
    .uniform_work_group_size: 1
    .uses_dynamic_stack: false
    .vgpr_count:     0
    .vgpr_spill_count: 0
    .wavefront_size: 64
  - .args:
      - .offset:         0
        .size:           40
        .value_kind:     by_value
    .group_segment_fixed_size: 0
    .kernarg_segment_align: 8
    .kernarg_segment_size: 40
    .language:       OpenCL C
    .language_version:
      - 2
      - 0
    .max_flat_workgroup_size: 128
    .name:           _ZN7rocprim17ROCPRIM_400000_NS6detail17trampoline_kernelINS0_14default_configENS1_38merge_sort_block_merge_config_selectorIllEEZZNS1_27merge_sort_block_merge_implIS3_PlN6thrust23THRUST_200600_302600_NS10device_ptrIlEEjNS1_19radix_merge_compareILb0ELb1ElNS0_19identity_decomposerEEEEE10hipError_tT0_T1_T2_jT3_P12ihipStream_tbPNSt15iterator_traitsISG_E10value_typeEPNSM_ISH_E10value_typeEPSI_NS1_7vsmem_tEENKUlT_SG_SH_SI_E_clIS7_S7_S7_SB_EESF_SV_SG_SH_SI_EUlSV_E_NS1_11comp_targetILNS1_3genE8ELNS1_11target_archE1030ELNS1_3gpuE2ELNS1_3repE0EEENS1_48merge_mergepath_partition_config_static_selectorELNS0_4arch9wavefront6targetE1EEEvSH_
    .private_segment_fixed_size: 0
    .sgpr_count:     4
    .sgpr_spill_count: 0
    .symbol:         _ZN7rocprim17ROCPRIM_400000_NS6detail17trampoline_kernelINS0_14default_configENS1_38merge_sort_block_merge_config_selectorIllEEZZNS1_27merge_sort_block_merge_implIS3_PlN6thrust23THRUST_200600_302600_NS10device_ptrIlEEjNS1_19radix_merge_compareILb0ELb1ElNS0_19identity_decomposerEEEEE10hipError_tT0_T1_T2_jT3_P12ihipStream_tbPNSt15iterator_traitsISG_E10value_typeEPNSM_ISH_E10value_typeEPSI_NS1_7vsmem_tEENKUlT_SG_SH_SI_E_clIS7_S7_S7_SB_EESF_SV_SG_SH_SI_EUlSV_E_NS1_11comp_targetILNS1_3genE8ELNS1_11target_archE1030ELNS1_3gpuE2ELNS1_3repE0EEENS1_48merge_mergepath_partition_config_static_selectorELNS0_4arch9wavefront6targetE1EEEvSH_.kd
    .uniform_work_group_size: 1
    .uses_dynamic_stack: false
    .vgpr_count:     0
    .vgpr_spill_count: 0
    .wavefront_size: 64
  - .args:
      - .offset:         0
        .size:           72
        .value_kind:     by_value
    .group_segment_fixed_size: 0
    .kernarg_segment_align: 8
    .kernarg_segment_size: 72
    .language:       OpenCL C
    .language_version:
      - 2
      - 0
    .max_flat_workgroup_size: 512
    .name:           _ZN7rocprim17ROCPRIM_400000_NS6detail17trampoline_kernelINS0_14default_configENS1_38merge_sort_block_merge_config_selectorIllEEZZNS1_27merge_sort_block_merge_implIS3_PlN6thrust23THRUST_200600_302600_NS10device_ptrIlEEjNS1_19radix_merge_compareILb0ELb1ElNS0_19identity_decomposerEEEEE10hipError_tT0_T1_T2_jT3_P12ihipStream_tbPNSt15iterator_traitsISG_E10value_typeEPNSM_ISH_E10value_typeEPSI_NS1_7vsmem_tEENKUlT_SG_SH_SI_E_clIS7_S7_S7_SB_EESF_SV_SG_SH_SI_EUlSV_E0_NS1_11comp_targetILNS1_3genE0ELNS1_11target_archE4294967295ELNS1_3gpuE0ELNS1_3repE0EEENS1_38merge_mergepath_config_static_selectorELNS0_4arch9wavefront6targetE1EEEvSH_
    .private_segment_fixed_size: 0
    .sgpr_count:     4
    .sgpr_spill_count: 0
    .symbol:         _ZN7rocprim17ROCPRIM_400000_NS6detail17trampoline_kernelINS0_14default_configENS1_38merge_sort_block_merge_config_selectorIllEEZZNS1_27merge_sort_block_merge_implIS3_PlN6thrust23THRUST_200600_302600_NS10device_ptrIlEEjNS1_19radix_merge_compareILb0ELb1ElNS0_19identity_decomposerEEEEE10hipError_tT0_T1_T2_jT3_P12ihipStream_tbPNSt15iterator_traitsISG_E10value_typeEPNSM_ISH_E10value_typeEPSI_NS1_7vsmem_tEENKUlT_SG_SH_SI_E_clIS7_S7_S7_SB_EESF_SV_SG_SH_SI_EUlSV_E0_NS1_11comp_targetILNS1_3genE0ELNS1_11target_archE4294967295ELNS1_3gpuE0ELNS1_3repE0EEENS1_38merge_mergepath_config_static_selectorELNS0_4arch9wavefront6targetE1EEEvSH_.kd
    .uniform_work_group_size: 1
    .uses_dynamic_stack: false
    .vgpr_count:     0
    .vgpr_spill_count: 0
    .wavefront_size: 64
  - .args:
      - .offset:         0
        .size:           72
        .value_kind:     by_value
    .group_segment_fixed_size: 0
    .kernarg_segment_align: 8
    .kernarg_segment_size: 72
    .language:       OpenCL C
    .language_version:
      - 2
      - 0
    .max_flat_workgroup_size: 512
    .name:           _ZN7rocprim17ROCPRIM_400000_NS6detail17trampoline_kernelINS0_14default_configENS1_38merge_sort_block_merge_config_selectorIllEEZZNS1_27merge_sort_block_merge_implIS3_PlN6thrust23THRUST_200600_302600_NS10device_ptrIlEEjNS1_19radix_merge_compareILb0ELb1ElNS0_19identity_decomposerEEEEE10hipError_tT0_T1_T2_jT3_P12ihipStream_tbPNSt15iterator_traitsISG_E10value_typeEPNSM_ISH_E10value_typeEPSI_NS1_7vsmem_tEENKUlT_SG_SH_SI_E_clIS7_S7_S7_SB_EESF_SV_SG_SH_SI_EUlSV_E0_NS1_11comp_targetILNS1_3genE10ELNS1_11target_archE1201ELNS1_3gpuE5ELNS1_3repE0EEENS1_38merge_mergepath_config_static_selectorELNS0_4arch9wavefront6targetE1EEEvSH_
    .private_segment_fixed_size: 0
    .sgpr_count:     4
    .sgpr_spill_count: 0
    .symbol:         _ZN7rocprim17ROCPRIM_400000_NS6detail17trampoline_kernelINS0_14default_configENS1_38merge_sort_block_merge_config_selectorIllEEZZNS1_27merge_sort_block_merge_implIS3_PlN6thrust23THRUST_200600_302600_NS10device_ptrIlEEjNS1_19radix_merge_compareILb0ELb1ElNS0_19identity_decomposerEEEEE10hipError_tT0_T1_T2_jT3_P12ihipStream_tbPNSt15iterator_traitsISG_E10value_typeEPNSM_ISH_E10value_typeEPSI_NS1_7vsmem_tEENKUlT_SG_SH_SI_E_clIS7_S7_S7_SB_EESF_SV_SG_SH_SI_EUlSV_E0_NS1_11comp_targetILNS1_3genE10ELNS1_11target_archE1201ELNS1_3gpuE5ELNS1_3repE0EEENS1_38merge_mergepath_config_static_selectorELNS0_4arch9wavefront6targetE1EEEvSH_.kd
    .uniform_work_group_size: 1
    .uses_dynamic_stack: false
    .vgpr_count:     0
    .vgpr_spill_count: 0
    .wavefront_size: 64
  - .args:
      - .offset:         0
        .size:           72
        .value_kind:     by_value
    .group_segment_fixed_size: 0
    .kernarg_segment_align: 8
    .kernarg_segment_size: 72
    .language:       OpenCL C
    .language_version:
      - 2
      - 0
    .max_flat_workgroup_size: 256
    .name:           _ZN7rocprim17ROCPRIM_400000_NS6detail17trampoline_kernelINS0_14default_configENS1_38merge_sort_block_merge_config_selectorIllEEZZNS1_27merge_sort_block_merge_implIS3_PlN6thrust23THRUST_200600_302600_NS10device_ptrIlEEjNS1_19radix_merge_compareILb0ELb1ElNS0_19identity_decomposerEEEEE10hipError_tT0_T1_T2_jT3_P12ihipStream_tbPNSt15iterator_traitsISG_E10value_typeEPNSM_ISH_E10value_typeEPSI_NS1_7vsmem_tEENKUlT_SG_SH_SI_E_clIS7_S7_S7_SB_EESF_SV_SG_SH_SI_EUlSV_E0_NS1_11comp_targetILNS1_3genE5ELNS1_11target_archE942ELNS1_3gpuE9ELNS1_3repE0EEENS1_38merge_mergepath_config_static_selectorELNS0_4arch9wavefront6targetE1EEEvSH_
    .private_segment_fixed_size: 0
    .sgpr_count:     4
    .sgpr_spill_count: 0
    .symbol:         _ZN7rocprim17ROCPRIM_400000_NS6detail17trampoline_kernelINS0_14default_configENS1_38merge_sort_block_merge_config_selectorIllEEZZNS1_27merge_sort_block_merge_implIS3_PlN6thrust23THRUST_200600_302600_NS10device_ptrIlEEjNS1_19radix_merge_compareILb0ELb1ElNS0_19identity_decomposerEEEEE10hipError_tT0_T1_T2_jT3_P12ihipStream_tbPNSt15iterator_traitsISG_E10value_typeEPNSM_ISH_E10value_typeEPSI_NS1_7vsmem_tEENKUlT_SG_SH_SI_E_clIS7_S7_S7_SB_EESF_SV_SG_SH_SI_EUlSV_E0_NS1_11comp_targetILNS1_3genE5ELNS1_11target_archE942ELNS1_3gpuE9ELNS1_3repE0EEENS1_38merge_mergepath_config_static_selectorELNS0_4arch9wavefront6targetE1EEEvSH_.kd
    .uniform_work_group_size: 1
    .uses_dynamic_stack: false
    .vgpr_count:     0
    .vgpr_spill_count: 0
    .wavefront_size: 64
  - .args:
      - .offset:         0
        .size:           72
        .value_kind:     by_value
    .group_segment_fixed_size: 0
    .kernarg_segment_align: 8
    .kernarg_segment_size: 72
    .language:       OpenCL C
    .language_version:
      - 2
      - 0
    .max_flat_workgroup_size: 512
    .name:           _ZN7rocprim17ROCPRIM_400000_NS6detail17trampoline_kernelINS0_14default_configENS1_38merge_sort_block_merge_config_selectorIllEEZZNS1_27merge_sort_block_merge_implIS3_PlN6thrust23THRUST_200600_302600_NS10device_ptrIlEEjNS1_19radix_merge_compareILb0ELb1ElNS0_19identity_decomposerEEEEE10hipError_tT0_T1_T2_jT3_P12ihipStream_tbPNSt15iterator_traitsISG_E10value_typeEPNSM_ISH_E10value_typeEPSI_NS1_7vsmem_tEENKUlT_SG_SH_SI_E_clIS7_S7_S7_SB_EESF_SV_SG_SH_SI_EUlSV_E0_NS1_11comp_targetILNS1_3genE4ELNS1_11target_archE910ELNS1_3gpuE8ELNS1_3repE0EEENS1_38merge_mergepath_config_static_selectorELNS0_4arch9wavefront6targetE1EEEvSH_
    .private_segment_fixed_size: 0
    .sgpr_count:     4
    .sgpr_spill_count: 0
    .symbol:         _ZN7rocprim17ROCPRIM_400000_NS6detail17trampoline_kernelINS0_14default_configENS1_38merge_sort_block_merge_config_selectorIllEEZZNS1_27merge_sort_block_merge_implIS3_PlN6thrust23THRUST_200600_302600_NS10device_ptrIlEEjNS1_19radix_merge_compareILb0ELb1ElNS0_19identity_decomposerEEEEE10hipError_tT0_T1_T2_jT3_P12ihipStream_tbPNSt15iterator_traitsISG_E10value_typeEPNSM_ISH_E10value_typeEPSI_NS1_7vsmem_tEENKUlT_SG_SH_SI_E_clIS7_S7_S7_SB_EESF_SV_SG_SH_SI_EUlSV_E0_NS1_11comp_targetILNS1_3genE4ELNS1_11target_archE910ELNS1_3gpuE8ELNS1_3repE0EEENS1_38merge_mergepath_config_static_selectorELNS0_4arch9wavefront6targetE1EEEvSH_.kd
    .uniform_work_group_size: 1
    .uses_dynamic_stack: false
    .vgpr_count:     0
    .vgpr_spill_count: 0
    .wavefront_size: 64
  - .args:
      - .offset:         0
        .size:           72
        .value_kind:     by_value
    .group_segment_fixed_size: 0
    .kernarg_segment_align: 8
    .kernarg_segment_size: 72
    .language:       OpenCL C
    .language_version:
      - 2
      - 0
    .max_flat_workgroup_size: 512
    .name:           _ZN7rocprim17ROCPRIM_400000_NS6detail17trampoline_kernelINS0_14default_configENS1_38merge_sort_block_merge_config_selectorIllEEZZNS1_27merge_sort_block_merge_implIS3_PlN6thrust23THRUST_200600_302600_NS10device_ptrIlEEjNS1_19radix_merge_compareILb0ELb1ElNS0_19identity_decomposerEEEEE10hipError_tT0_T1_T2_jT3_P12ihipStream_tbPNSt15iterator_traitsISG_E10value_typeEPNSM_ISH_E10value_typeEPSI_NS1_7vsmem_tEENKUlT_SG_SH_SI_E_clIS7_S7_S7_SB_EESF_SV_SG_SH_SI_EUlSV_E0_NS1_11comp_targetILNS1_3genE3ELNS1_11target_archE908ELNS1_3gpuE7ELNS1_3repE0EEENS1_38merge_mergepath_config_static_selectorELNS0_4arch9wavefront6targetE1EEEvSH_
    .private_segment_fixed_size: 0
    .sgpr_count:     4
    .sgpr_spill_count: 0
    .symbol:         _ZN7rocprim17ROCPRIM_400000_NS6detail17trampoline_kernelINS0_14default_configENS1_38merge_sort_block_merge_config_selectorIllEEZZNS1_27merge_sort_block_merge_implIS3_PlN6thrust23THRUST_200600_302600_NS10device_ptrIlEEjNS1_19radix_merge_compareILb0ELb1ElNS0_19identity_decomposerEEEEE10hipError_tT0_T1_T2_jT3_P12ihipStream_tbPNSt15iterator_traitsISG_E10value_typeEPNSM_ISH_E10value_typeEPSI_NS1_7vsmem_tEENKUlT_SG_SH_SI_E_clIS7_S7_S7_SB_EESF_SV_SG_SH_SI_EUlSV_E0_NS1_11comp_targetILNS1_3genE3ELNS1_11target_archE908ELNS1_3gpuE7ELNS1_3repE0EEENS1_38merge_mergepath_config_static_selectorELNS0_4arch9wavefront6targetE1EEEvSH_.kd
    .uniform_work_group_size: 1
    .uses_dynamic_stack: false
    .vgpr_count:     0
    .vgpr_spill_count: 0
    .wavefront_size: 64
  - .args:
      - .offset:         0
        .size:           72
        .value_kind:     by_value
      - .offset:         72
        .size:           4
        .value_kind:     hidden_block_count_x
      - .offset:         76
        .size:           4
        .value_kind:     hidden_block_count_y
      - .offset:         80
        .size:           4
        .value_kind:     hidden_block_count_z
      - .offset:         84
        .size:           2
        .value_kind:     hidden_group_size_x
      - .offset:         86
        .size:           2
        .value_kind:     hidden_group_size_y
      - .offset:         88
        .size:           2
        .value_kind:     hidden_group_size_z
      - .offset:         90
        .size:           2
        .value_kind:     hidden_remainder_x
      - .offset:         92
        .size:           2
        .value_kind:     hidden_remainder_y
      - .offset:         94
        .size:           2
        .value_kind:     hidden_remainder_z
      - .offset:         112
        .size:           8
        .value_kind:     hidden_global_offset_x
      - .offset:         120
        .size:           8
        .value_kind:     hidden_global_offset_y
      - .offset:         128
        .size:           8
        .value_kind:     hidden_global_offset_z
      - .offset:         136
        .size:           2
        .value_kind:     hidden_grid_dims
    .group_segment_fixed_size: 8448
    .kernarg_segment_align: 8
    .kernarg_segment_size: 328
    .language:       OpenCL C
    .language_version:
      - 2
      - 0
    .max_flat_workgroup_size: 128
    .name:           _ZN7rocprim17ROCPRIM_400000_NS6detail17trampoline_kernelINS0_14default_configENS1_38merge_sort_block_merge_config_selectorIllEEZZNS1_27merge_sort_block_merge_implIS3_PlN6thrust23THRUST_200600_302600_NS10device_ptrIlEEjNS1_19radix_merge_compareILb0ELb1ElNS0_19identity_decomposerEEEEE10hipError_tT0_T1_T2_jT3_P12ihipStream_tbPNSt15iterator_traitsISG_E10value_typeEPNSM_ISH_E10value_typeEPSI_NS1_7vsmem_tEENKUlT_SG_SH_SI_E_clIS7_S7_S7_SB_EESF_SV_SG_SH_SI_EUlSV_E0_NS1_11comp_targetILNS1_3genE2ELNS1_11target_archE906ELNS1_3gpuE6ELNS1_3repE0EEENS1_38merge_mergepath_config_static_selectorELNS0_4arch9wavefront6targetE1EEEvSH_
    .private_segment_fixed_size: 0
    .sgpr_count:     38
    .sgpr_spill_count: 0
    .symbol:         _ZN7rocprim17ROCPRIM_400000_NS6detail17trampoline_kernelINS0_14default_configENS1_38merge_sort_block_merge_config_selectorIllEEZZNS1_27merge_sort_block_merge_implIS3_PlN6thrust23THRUST_200600_302600_NS10device_ptrIlEEjNS1_19radix_merge_compareILb0ELb1ElNS0_19identity_decomposerEEEEE10hipError_tT0_T1_T2_jT3_P12ihipStream_tbPNSt15iterator_traitsISG_E10value_typeEPNSM_ISH_E10value_typeEPSI_NS1_7vsmem_tEENKUlT_SG_SH_SI_E_clIS7_S7_S7_SB_EESF_SV_SG_SH_SI_EUlSV_E0_NS1_11comp_targetILNS1_3genE2ELNS1_11target_archE906ELNS1_3gpuE6ELNS1_3repE0EEENS1_38merge_mergepath_config_static_selectorELNS0_4arch9wavefront6targetE1EEEvSH_.kd
    .uniform_work_group_size: 1
    .uses_dynamic_stack: false
    .vgpr_count:     55
    .vgpr_spill_count: 0
    .wavefront_size: 64
  - .args:
      - .offset:         0
        .size:           72
        .value_kind:     by_value
    .group_segment_fixed_size: 0
    .kernarg_segment_align: 8
    .kernarg_segment_size: 72
    .language:       OpenCL C
    .language_version:
      - 2
      - 0
    .max_flat_workgroup_size: 1024
    .name:           _ZN7rocprim17ROCPRIM_400000_NS6detail17trampoline_kernelINS0_14default_configENS1_38merge_sort_block_merge_config_selectorIllEEZZNS1_27merge_sort_block_merge_implIS3_PlN6thrust23THRUST_200600_302600_NS10device_ptrIlEEjNS1_19radix_merge_compareILb0ELb1ElNS0_19identity_decomposerEEEEE10hipError_tT0_T1_T2_jT3_P12ihipStream_tbPNSt15iterator_traitsISG_E10value_typeEPNSM_ISH_E10value_typeEPSI_NS1_7vsmem_tEENKUlT_SG_SH_SI_E_clIS7_S7_S7_SB_EESF_SV_SG_SH_SI_EUlSV_E0_NS1_11comp_targetILNS1_3genE9ELNS1_11target_archE1100ELNS1_3gpuE3ELNS1_3repE0EEENS1_38merge_mergepath_config_static_selectorELNS0_4arch9wavefront6targetE1EEEvSH_
    .private_segment_fixed_size: 0
    .sgpr_count:     4
    .sgpr_spill_count: 0
    .symbol:         _ZN7rocprim17ROCPRIM_400000_NS6detail17trampoline_kernelINS0_14default_configENS1_38merge_sort_block_merge_config_selectorIllEEZZNS1_27merge_sort_block_merge_implIS3_PlN6thrust23THRUST_200600_302600_NS10device_ptrIlEEjNS1_19radix_merge_compareILb0ELb1ElNS0_19identity_decomposerEEEEE10hipError_tT0_T1_T2_jT3_P12ihipStream_tbPNSt15iterator_traitsISG_E10value_typeEPNSM_ISH_E10value_typeEPSI_NS1_7vsmem_tEENKUlT_SG_SH_SI_E_clIS7_S7_S7_SB_EESF_SV_SG_SH_SI_EUlSV_E0_NS1_11comp_targetILNS1_3genE9ELNS1_11target_archE1100ELNS1_3gpuE3ELNS1_3repE0EEENS1_38merge_mergepath_config_static_selectorELNS0_4arch9wavefront6targetE1EEEvSH_.kd
    .uniform_work_group_size: 1
    .uses_dynamic_stack: false
    .vgpr_count:     0
    .vgpr_spill_count: 0
    .wavefront_size: 64
  - .args:
      - .offset:         0
        .size:           72
        .value_kind:     by_value
    .group_segment_fixed_size: 0
    .kernarg_segment_align: 8
    .kernarg_segment_size: 72
    .language:       OpenCL C
    .language_version:
      - 2
      - 0
    .max_flat_workgroup_size: 1024
    .name:           _ZN7rocprim17ROCPRIM_400000_NS6detail17trampoline_kernelINS0_14default_configENS1_38merge_sort_block_merge_config_selectorIllEEZZNS1_27merge_sort_block_merge_implIS3_PlN6thrust23THRUST_200600_302600_NS10device_ptrIlEEjNS1_19radix_merge_compareILb0ELb1ElNS0_19identity_decomposerEEEEE10hipError_tT0_T1_T2_jT3_P12ihipStream_tbPNSt15iterator_traitsISG_E10value_typeEPNSM_ISH_E10value_typeEPSI_NS1_7vsmem_tEENKUlT_SG_SH_SI_E_clIS7_S7_S7_SB_EESF_SV_SG_SH_SI_EUlSV_E0_NS1_11comp_targetILNS1_3genE8ELNS1_11target_archE1030ELNS1_3gpuE2ELNS1_3repE0EEENS1_38merge_mergepath_config_static_selectorELNS0_4arch9wavefront6targetE1EEEvSH_
    .private_segment_fixed_size: 0
    .sgpr_count:     4
    .sgpr_spill_count: 0
    .symbol:         _ZN7rocprim17ROCPRIM_400000_NS6detail17trampoline_kernelINS0_14default_configENS1_38merge_sort_block_merge_config_selectorIllEEZZNS1_27merge_sort_block_merge_implIS3_PlN6thrust23THRUST_200600_302600_NS10device_ptrIlEEjNS1_19radix_merge_compareILb0ELb1ElNS0_19identity_decomposerEEEEE10hipError_tT0_T1_T2_jT3_P12ihipStream_tbPNSt15iterator_traitsISG_E10value_typeEPNSM_ISH_E10value_typeEPSI_NS1_7vsmem_tEENKUlT_SG_SH_SI_E_clIS7_S7_S7_SB_EESF_SV_SG_SH_SI_EUlSV_E0_NS1_11comp_targetILNS1_3genE8ELNS1_11target_archE1030ELNS1_3gpuE2ELNS1_3repE0EEENS1_38merge_mergepath_config_static_selectorELNS0_4arch9wavefront6targetE1EEEvSH_.kd
    .uniform_work_group_size: 1
    .uses_dynamic_stack: false
    .vgpr_count:     0
    .vgpr_spill_count: 0
    .wavefront_size: 64
  - .args:
      - .offset:         0
        .size:           48
        .value_kind:     by_value
    .group_segment_fixed_size: 0
    .kernarg_segment_align: 8
    .kernarg_segment_size: 48
    .language:       OpenCL C
    .language_version:
      - 2
      - 0
    .max_flat_workgroup_size: 256
    .name:           _ZN7rocprim17ROCPRIM_400000_NS6detail17trampoline_kernelINS0_14default_configENS1_38merge_sort_block_merge_config_selectorIllEEZZNS1_27merge_sort_block_merge_implIS3_PlN6thrust23THRUST_200600_302600_NS10device_ptrIlEEjNS1_19radix_merge_compareILb0ELb1ElNS0_19identity_decomposerEEEEE10hipError_tT0_T1_T2_jT3_P12ihipStream_tbPNSt15iterator_traitsISG_E10value_typeEPNSM_ISH_E10value_typeEPSI_NS1_7vsmem_tEENKUlT_SG_SH_SI_E_clIS7_S7_S7_SB_EESF_SV_SG_SH_SI_EUlSV_E1_NS1_11comp_targetILNS1_3genE0ELNS1_11target_archE4294967295ELNS1_3gpuE0ELNS1_3repE0EEENS1_36merge_oddeven_config_static_selectorELNS0_4arch9wavefront6targetE1EEEvSH_
    .private_segment_fixed_size: 0
    .sgpr_count:     4
    .sgpr_spill_count: 0
    .symbol:         _ZN7rocprim17ROCPRIM_400000_NS6detail17trampoline_kernelINS0_14default_configENS1_38merge_sort_block_merge_config_selectorIllEEZZNS1_27merge_sort_block_merge_implIS3_PlN6thrust23THRUST_200600_302600_NS10device_ptrIlEEjNS1_19radix_merge_compareILb0ELb1ElNS0_19identity_decomposerEEEEE10hipError_tT0_T1_T2_jT3_P12ihipStream_tbPNSt15iterator_traitsISG_E10value_typeEPNSM_ISH_E10value_typeEPSI_NS1_7vsmem_tEENKUlT_SG_SH_SI_E_clIS7_S7_S7_SB_EESF_SV_SG_SH_SI_EUlSV_E1_NS1_11comp_targetILNS1_3genE0ELNS1_11target_archE4294967295ELNS1_3gpuE0ELNS1_3repE0EEENS1_36merge_oddeven_config_static_selectorELNS0_4arch9wavefront6targetE1EEEvSH_.kd
    .uniform_work_group_size: 1
    .uses_dynamic_stack: false
    .vgpr_count:     0
    .vgpr_spill_count: 0
    .wavefront_size: 64
  - .args:
      - .offset:         0
        .size:           48
        .value_kind:     by_value
    .group_segment_fixed_size: 0
    .kernarg_segment_align: 8
    .kernarg_segment_size: 48
    .language:       OpenCL C
    .language_version:
      - 2
      - 0
    .max_flat_workgroup_size: 256
    .name:           _ZN7rocprim17ROCPRIM_400000_NS6detail17trampoline_kernelINS0_14default_configENS1_38merge_sort_block_merge_config_selectorIllEEZZNS1_27merge_sort_block_merge_implIS3_PlN6thrust23THRUST_200600_302600_NS10device_ptrIlEEjNS1_19radix_merge_compareILb0ELb1ElNS0_19identity_decomposerEEEEE10hipError_tT0_T1_T2_jT3_P12ihipStream_tbPNSt15iterator_traitsISG_E10value_typeEPNSM_ISH_E10value_typeEPSI_NS1_7vsmem_tEENKUlT_SG_SH_SI_E_clIS7_S7_S7_SB_EESF_SV_SG_SH_SI_EUlSV_E1_NS1_11comp_targetILNS1_3genE10ELNS1_11target_archE1201ELNS1_3gpuE5ELNS1_3repE0EEENS1_36merge_oddeven_config_static_selectorELNS0_4arch9wavefront6targetE1EEEvSH_
    .private_segment_fixed_size: 0
    .sgpr_count:     4
    .sgpr_spill_count: 0
    .symbol:         _ZN7rocprim17ROCPRIM_400000_NS6detail17trampoline_kernelINS0_14default_configENS1_38merge_sort_block_merge_config_selectorIllEEZZNS1_27merge_sort_block_merge_implIS3_PlN6thrust23THRUST_200600_302600_NS10device_ptrIlEEjNS1_19radix_merge_compareILb0ELb1ElNS0_19identity_decomposerEEEEE10hipError_tT0_T1_T2_jT3_P12ihipStream_tbPNSt15iterator_traitsISG_E10value_typeEPNSM_ISH_E10value_typeEPSI_NS1_7vsmem_tEENKUlT_SG_SH_SI_E_clIS7_S7_S7_SB_EESF_SV_SG_SH_SI_EUlSV_E1_NS1_11comp_targetILNS1_3genE10ELNS1_11target_archE1201ELNS1_3gpuE5ELNS1_3repE0EEENS1_36merge_oddeven_config_static_selectorELNS0_4arch9wavefront6targetE1EEEvSH_.kd
    .uniform_work_group_size: 1
    .uses_dynamic_stack: false
    .vgpr_count:     0
    .vgpr_spill_count: 0
    .wavefront_size: 64
  - .args:
      - .offset:         0
        .size:           48
        .value_kind:     by_value
    .group_segment_fixed_size: 0
    .kernarg_segment_align: 8
    .kernarg_segment_size: 48
    .language:       OpenCL C
    .language_version:
      - 2
      - 0
    .max_flat_workgroup_size: 256
    .name:           _ZN7rocprim17ROCPRIM_400000_NS6detail17trampoline_kernelINS0_14default_configENS1_38merge_sort_block_merge_config_selectorIllEEZZNS1_27merge_sort_block_merge_implIS3_PlN6thrust23THRUST_200600_302600_NS10device_ptrIlEEjNS1_19radix_merge_compareILb0ELb1ElNS0_19identity_decomposerEEEEE10hipError_tT0_T1_T2_jT3_P12ihipStream_tbPNSt15iterator_traitsISG_E10value_typeEPNSM_ISH_E10value_typeEPSI_NS1_7vsmem_tEENKUlT_SG_SH_SI_E_clIS7_S7_S7_SB_EESF_SV_SG_SH_SI_EUlSV_E1_NS1_11comp_targetILNS1_3genE5ELNS1_11target_archE942ELNS1_3gpuE9ELNS1_3repE0EEENS1_36merge_oddeven_config_static_selectorELNS0_4arch9wavefront6targetE1EEEvSH_
    .private_segment_fixed_size: 0
    .sgpr_count:     4
    .sgpr_spill_count: 0
    .symbol:         _ZN7rocprim17ROCPRIM_400000_NS6detail17trampoline_kernelINS0_14default_configENS1_38merge_sort_block_merge_config_selectorIllEEZZNS1_27merge_sort_block_merge_implIS3_PlN6thrust23THRUST_200600_302600_NS10device_ptrIlEEjNS1_19radix_merge_compareILb0ELb1ElNS0_19identity_decomposerEEEEE10hipError_tT0_T1_T2_jT3_P12ihipStream_tbPNSt15iterator_traitsISG_E10value_typeEPNSM_ISH_E10value_typeEPSI_NS1_7vsmem_tEENKUlT_SG_SH_SI_E_clIS7_S7_S7_SB_EESF_SV_SG_SH_SI_EUlSV_E1_NS1_11comp_targetILNS1_3genE5ELNS1_11target_archE942ELNS1_3gpuE9ELNS1_3repE0EEENS1_36merge_oddeven_config_static_selectorELNS0_4arch9wavefront6targetE1EEEvSH_.kd
    .uniform_work_group_size: 1
    .uses_dynamic_stack: false
    .vgpr_count:     0
    .vgpr_spill_count: 0
    .wavefront_size: 64
  - .args:
      - .offset:         0
        .size:           48
        .value_kind:     by_value
    .group_segment_fixed_size: 0
    .kernarg_segment_align: 8
    .kernarg_segment_size: 48
    .language:       OpenCL C
    .language_version:
      - 2
      - 0
    .max_flat_workgroup_size: 256
    .name:           _ZN7rocprim17ROCPRIM_400000_NS6detail17trampoline_kernelINS0_14default_configENS1_38merge_sort_block_merge_config_selectorIllEEZZNS1_27merge_sort_block_merge_implIS3_PlN6thrust23THRUST_200600_302600_NS10device_ptrIlEEjNS1_19radix_merge_compareILb0ELb1ElNS0_19identity_decomposerEEEEE10hipError_tT0_T1_T2_jT3_P12ihipStream_tbPNSt15iterator_traitsISG_E10value_typeEPNSM_ISH_E10value_typeEPSI_NS1_7vsmem_tEENKUlT_SG_SH_SI_E_clIS7_S7_S7_SB_EESF_SV_SG_SH_SI_EUlSV_E1_NS1_11comp_targetILNS1_3genE4ELNS1_11target_archE910ELNS1_3gpuE8ELNS1_3repE0EEENS1_36merge_oddeven_config_static_selectorELNS0_4arch9wavefront6targetE1EEEvSH_
    .private_segment_fixed_size: 0
    .sgpr_count:     4
    .sgpr_spill_count: 0
    .symbol:         _ZN7rocprim17ROCPRIM_400000_NS6detail17trampoline_kernelINS0_14default_configENS1_38merge_sort_block_merge_config_selectorIllEEZZNS1_27merge_sort_block_merge_implIS3_PlN6thrust23THRUST_200600_302600_NS10device_ptrIlEEjNS1_19radix_merge_compareILb0ELb1ElNS0_19identity_decomposerEEEEE10hipError_tT0_T1_T2_jT3_P12ihipStream_tbPNSt15iterator_traitsISG_E10value_typeEPNSM_ISH_E10value_typeEPSI_NS1_7vsmem_tEENKUlT_SG_SH_SI_E_clIS7_S7_S7_SB_EESF_SV_SG_SH_SI_EUlSV_E1_NS1_11comp_targetILNS1_3genE4ELNS1_11target_archE910ELNS1_3gpuE8ELNS1_3repE0EEENS1_36merge_oddeven_config_static_selectorELNS0_4arch9wavefront6targetE1EEEvSH_.kd
    .uniform_work_group_size: 1
    .uses_dynamic_stack: false
    .vgpr_count:     0
    .vgpr_spill_count: 0
    .wavefront_size: 64
  - .args:
      - .offset:         0
        .size:           48
        .value_kind:     by_value
    .group_segment_fixed_size: 0
    .kernarg_segment_align: 8
    .kernarg_segment_size: 48
    .language:       OpenCL C
    .language_version:
      - 2
      - 0
    .max_flat_workgroup_size: 256
    .name:           _ZN7rocprim17ROCPRIM_400000_NS6detail17trampoline_kernelINS0_14default_configENS1_38merge_sort_block_merge_config_selectorIllEEZZNS1_27merge_sort_block_merge_implIS3_PlN6thrust23THRUST_200600_302600_NS10device_ptrIlEEjNS1_19radix_merge_compareILb0ELb1ElNS0_19identity_decomposerEEEEE10hipError_tT0_T1_T2_jT3_P12ihipStream_tbPNSt15iterator_traitsISG_E10value_typeEPNSM_ISH_E10value_typeEPSI_NS1_7vsmem_tEENKUlT_SG_SH_SI_E_clIS7_S7_S7_SB_EESF_SV_SG_SH_SI_EUlSV_E1_NS1_11comp_targetILNS1_3genE3ELNS1_11target_archE908ELNS1_3gpuE7ELNS1_3repE0EEENS1_36merge_oddeven_config_static_selectorELNS0_4arch9wavefront6targetE1EEEvSH_
    .private_segment_fixed_size: 0
    .sgpr_count:     4
    .sgpr_spill_count: 0
    .symbol:         _ZN7rocprim17ROCPRIM_400000_NS6detail17trampoline_kernelINS0_14default_configENS1_38merge_sort_block_merge_config_selectorIllEEZZNS1_27merge_sort_block_merge_implIS3_PlN6thrust23THRUST_200600_302600_NS10device_ptrIlEEjNS1_19radix_merge_compareILb0ELb1ElNS0_19identity_decomposerEEEEE10hipError_tT0_T1_T2_jT3_P12ihipStream_tbPNSt15iterator_traitsISG_E10value_typeEPNSM_ISH_E10value_typeEPSI_NS1_7vsmem_tEENKUlT_SG_SH_SI_E_clIS7_S7_S7_SB_EESF_SV_SG_SH_SI_EUlSV_E1_NS1_11comp_targetILNS1_3genE3ELNS1_11target_archE908ELNS1_3gpuE7ELNS1_3repE0EEENS1_36merge_oddeven_config_static_selectorELNS0_4arch9wavefront6targetE1EEEvSH_.kd
    .uniform_work_group_size: 1
    .uses_dynamic_stack: false
    .vgpr_count:     0
    .vgpr_spill_count: 0
    .wavefront_size: 64
  - .args:
      - .offset:         0
        .size:           48
        .value_kind:     by_value
    .group_segment_fixed_size: 0
    .kernarg_segment_align: 8
    .kernarg_segment_size: 48
    .language:       OpenCL C
    .language_version:
      - 2
      - 0
    .max_flat_workgroup_size: 256
    .name:           _ZN7rocprim17ROCPRIM_400000_NS6detail17trampoline_kernelINS0_14default_configENS1_38merge_sort_block_merge_config_selectorIllEEZZNS1_27merge_sort_block_merge_implIS3_PlN6thrust23THRUST_200600_302600_NS10device_ptrIlEEjNS1_19radix_merge_compareILb0ELb1ElNS0_19identity_decomposerEEEEE10hipError_tT0_T1_T2_jT3_P12ihipStream_tbPNSt15iterator_traitsISG_E10value_typeEPNSM_ISH_E10value_typeEPSI_NS1_7vsmem_tEENKUlT_SG_SH_SI_E_clIS7_S7_S7_SB_EESF_SV_SG_SH_SI_EUlSV_E1_NS1_11comp_targetILNS1_3genE2ELNS1_11target_archE906ELNS1_3gpuE6ELNS1_3repE0EEENS1_36merge_oddeven_config_static_selectorELNS0_4arch9wavefront6targetE1EEEvSH_
    .private_segment_fixed_size: 0
    .sgpr_count:     28
    .sgpr_spill_count: 0
    .symbol:         _ZN7rocprim17ROCPRIM_400000_NS6detail17trampoline_kernelINS0_14default_configENS1_38merge_sort_block_merge_config_selectorIllEEZZNS1_27merge_sort_block_merge_implIS3_PlN6thrust23THRUST_200600_302600_NS10device_ptrIlEEjNS1_19radix_merge_compareILb0ELb1ElNS0_19identity_decomposerEEEEE10hipError_tT0_T1_T2_jT3_P12ihipStream_tbPNSt15iterator_traitsISG_E10value_typeEPNSM_ISH_E10value_typeEPSI_NS1_7vsmem_tEENKUlT_SG_SH_SI_E_clIS7_S7_S7_SB_EESF_SV_SG_SH_SI_EUlSV_E1_NS1_11comp_targetILNS1_3genE2ELNS1_11target_archE906ELNS1_3gpuE6ELNS1_3repE0EEENS1_36merge_oddeven_config_static_selectorELNS0_4arch9wavefront6targetE1EEEvSH_.kd
    .uniform_work_group_size: 1
    .uses_dynamic_stack: false
    .vgpr_count:     16
    .vgpr_spill_count: 0
    .wavefront_size: 64
  - .args:
      - .offset:         0
        .size:           48
        .value_kind:     by_value
    .group_segment_fixed_size: 0
    .kernarg_segment_align: 8
    .kernarg_segment_size: 48
    .language:       OpenCL C
    .language_version:
      - 2
      - 0
    .max_flat_workgroup_size: 256
    .name:           _ZN7rocprim17ROCPRIM_400000_NS6detail17trampoline_kernelINS0_14default_configENS1_38merge_sort_block_merge_config_selectorIllEEZZNS1_27merge_sort_block_merge_implIS3_PlN6thrust23THRUST_200600_302600_NS10device_ptrIlEEjNS1_19radix_merge_compareILb0ELb1ElNS0_19identity_decomposerEEEEE10hipError_tT0_T1_T2_jT3_P12ihipStream_tbPNSt15iterator_traitsISG_E10value_typeEPNSM_ISH_E10value_typeEPSI_NS1_7vsmem_tEENKUlT_SG_SH_SI_E_clIS7_S7_S7_SB_EESF_SV_SG_SH_SI_EUlSV_E1_NS1_11comp_targetILNS1_3genE9ELNS1_11target_archE1100ELNS1_3gpuE3ELNS1_3repE0EEENS1_36merge_oddeven_config_static_selectorELNS0_4arch9wavefront6targetE1EEEvSH_
    .private_segment_fixed_size: 0
    .sgpr_count:     4
    .sgpr_spill_count: 0
    .symbol:         _ZN7rocprim17ROCPRIM_400000_NS6detail17trampoline_kernelINS0_14default_configENS1_38merge_sort_block_merge_config_selectorIllEEZZNS1_27merge_sort_block_merge_implIS3_PlN6thrust23THRUST_200600_302600_NS10device_ptrIlEEjNS1_19radix_merge_compareILb0ELb1ElNS0_19identity_decomposerEEEEE10hipError_tT0_T1_T2_jT3_P12ihipStream_tbPNSt15iterator_traitsISG_E10value_typeEPNSM_ISH_E10value_typeEPSI_NS1_7vsmem_tEENKUlT_SG_SH_SI_E_clIS7_S7_S7_SB_EESF_SV_SG_SH_SI_EUlSV_E1_NS1_11comp_targetILNS1_3genE9ELNS1_11target_archE1100ELNS1_3gpuE3ELNS1_3repE0EEENS1_36merge_oddeven_config_static_selectorELNS0_4arch9wavefront6targetE1EEEvSH_.kd
    .uniform_work_group_size: 1
    .uses_dynamic_stack: false
    .vgpr_count:     0
    .vgpr_spill_count: 0
    .wavefront_size: 64
  - .args:
      - .offset:         0
        .size:           48
        .value_kind:     by_value
    .group_segment_fixed_size: 0
    .kernarg_segment_align: 8
    .kernarg_segment_size: 48
    .language:       OpenCL C
    .language_version:
      - 2
      - 0
    .max_flat_workgroup_size: 256
    .name:           _ZN7rocprim17ROCPRIM_400000_NS6detail17trampoline_kernelINS0_14default_configENS1_38merge_sort_block_merge_config_selectorIllEEZZNS1_27merge_sort_block_merge_implIS3_PlN6thrust23THRUST_200600_302600_NS10device_ptrIlEEjNS1_19radix_merge_compareILb0ELb1ElNS0_19identity_decomposerEEEEE10hipError_tT0_T1_T2_jT3_P12ihipStream_tbPNSt15iterator_traitsISG_E10value_typeEPNSM_ISH_E10value_typeEPSI_NS1_7vsmem_tEENKUlT_SG_SH_SI_E_clIS7_S7_S7_SB_EESF_SV_SG_SH_SI_EUlSV_E1_NS1_11comp_targetILNS1_3genE8ELNS1_11target_archE1030ELNS1_3gpuE2ELNS1_3repE0EEENS1_36merge_oddeven_config_static_selectorELNS0_4arch9wavefront6targetE1EEEvSH_
    .private_segment_fixed_size: 0
    .sgpr_count:     4
    .sgpr_spill_count: 0
    .symbol:         _ZN7rocprim17ROCPRIM_400000_NS6detail17trampoline_kernelINS0_14default_configENS1_38merge_sort_block_merge_config_selectorIllEEZZNS1_27merge_sort_block_merge_implIS3_PlN6thrust23THRUST_200600_302600_NS10device_ptrIlEEjNS1_19radix_merge_compareILb0ELb1ElNS0_19identity_decomposerEEEEE10hipError_tT0_T1_T2_jT3_P12ihipStream_tbPNSt15iterator_traitsISG_E10value_typeEPNSM_ISH_E10value_typeEPSI_NS1_7vsmem_tEENKUlT_SG_SH_SI_E_clIS7_S7_S7_SB_EESF_SV_SG_SH_SI_EUlSV_E1_NS1_11comp_targetILNS1_3genE8ELNS1_11target_archE1030ELNS1_3gpuE2ELNS1_3repE0EEENS1_36merge_oddeven_config_static_selectorELNS0_4arch9wavefront6targetE1EEEvSH_.kd
    .uniform_work_group_size: 1
    .uses_dynamic_stack: false
    .vgpr_count:     0
    .vgpr_spill_count: 0
    .wavefront_size: 64
  - .args:
      - .offset:         0
        .size:           40
        .value_kind:     by_value
    .group_segment_fixed_size: 0
    .kernarg_segment_align: 8
    .kernarg_segment_size: 40
    .language:       OpenCL C
    .language_version:
      - 2
      - 0
    .max_flat_workgroup_size: 128
    .name:           _ZN7rocprim17ROCPRIM_400000_NS6detail17trampoline_kernelINS0_14default_configENS1_38merge_sort_block_merge_config_selectorIllEEZZNS1_27merge_sort_block_merge_implIS3_PlN6thrust23THRUST_200600_302600_NS10device_ptrIlEEjNS1_19radix_merge_compareILb0ELb1ElNS0_19identity_decomposerEEEEE10hipError_tT0_T1_T2_jT3_P12ihipStream_tbPNSt15iterator_traitsISG_E10value_typeEPNSM_ISH_E10value_typeEPSI_NS1_7vsmem_tEENKUlT_SG_SH_SI_E_clIS7_S7_SB_S7_EESF_SV_SG_SH_SI_EUlSV_E_NS1_11comp_targetILNS1_3genE0ELNS1_11target_archE4294967295ELNS1_3gpuE0ELNS1_3repE0EEENS1_48merge_mergepath_partition_config_static_selectorELNS0_4arch9wavefront6targetE1EEEvSH_
    .private_segment_fixed_size: 0
    .sgpr_count:     4
    .sgpr_spill_count: 0
    .symbol:         _ZN7rocprim17ROCPRIM_400000_NS6detail17trampoline_kernelINS0_14default_configENS1_38merge_sort_block_merge_config_selectorIllEEZZNS1_27merge_sort_block_merge_implIS3_PlN6thrust23THRUST_200600_302600_NS10device_ptrIlEEjNS1_19radix_merge_compareILb0ELb1ElNS0_19identity_decomposerEEEEE10hipError_tT0_T1_T2_jT3_P12ihipStream_tbPNSt15iterator_traitsISG_E10value_typeEPNSM_ISH_E10value_typeEPSI_NS1_7vsmem_tEENKUlT_SG_SH_SI_E_clIS7_S7_SB_S7_EESF_SV_SG_SH_SI_EUlSV_E_NS1_11comp_targetILNS1_3genE0ELNS1_11target_archE4294967295ELNS1_3gpuE0ELNS1_3repE0EEENS1_48merge_mergepath_partition_config_static_selectorELNS0_4arch9wavefront6targetE1EEEvSH_.kd
    .uniform_work_group_size: 1
    .uses_dynamic_stack: false
    .vgpr_count:     0
    .vgpr_spill_count: 0
    .wavefront_size: 64
  - .args:
      - .offset:         0
        .size:           40
        .value_kind:     by_value
    .group_segment_fixed_size: 0
    .kernarg_segment_align: 8
    .kernarg_segment_size: 40
    .language:       OpenCL C
    .language_version:
      - 2
      - 0
    .max_flat_workgroup_size: 128
    .name:           _ZN7rocprim17ROCPRIM_400000_NS6detail17trampoline_kernelINS0_14default_configENS1_38merge_sort_block_merge_config_selectorIllEEZZNS1_27merge_sort_block_merge_implIS3_PlN6thrust23THRUST_200600_302600_NS10device_ptrIlEEjNS1_19radix_merge_compareILb0ELb1ElNS0_19identity_decomposerEEEEE10hipError_tT0_T1_T2_jT3_P12ihipStream_tbPNSt15iterator_traitsISG_E10value_typeEPNSM_ISH_E10value_typeEPSI_NS1_7vsmem_tEENKUlT_SG_SH_SI_E_clIS7_S7_SB_S7_EESF_SV_SG_SH_SI_EUlSV_E_NS1_11comp_targetILNS1_3genE10ELNS1_11target_archE1201ELNS1_3gpuE5ELNS1_3repE0EEENS1_48merge_mergepath_partition_config_static_selectorELNS0_4arch9wavefront6targetE1EEEvSH_
    .private_segment_fixed_size: 0
    .sgpr_count:     4
    .sgpr_spill_count: 0
    .symbol:         _ZN7rocprim17ROCPRIM_400000_NS6detail17trampoline_kernelINS0_14default_configENS1_38merge_sort_block_merge_config_selectorIllEEZZNS1_27merge_sort_block_merge_implIS3_PlN6thrust23THRUST_200600_302600_NS10device_ptrIlEEjNS1_19radix_merge_compareILb0ELb1ElNS0_19identity_decomposerEEEEE10hipError_tT0_T1_T2_jT3_P12ihipStream_tbPNSt15iterator_traitsISG_E10value_typeEPNSM_ISH_E10value_typeEPSI_NS1_7vsmem_tEENKUlT_SG_SH_SI_E_clIS7_S7_SB_S7_EESF_SV_SG_SH_SI_EUlSV_E_NS1_11comp_targetILNS1_3genE10ELNS1_11target_archE1201ELNS1_3gpuE5ELNS1_3repE0EEENS1_48merge_mergepath_partition_config_static_selectorELNS0_4arch9wavefront6targetE1EEEvSH_.kd
    .uniform_work_group_size: 1
    .uses_dynamic_stack: false
    .vgpr_count:     0
    .vgpr_spill_count: 0
    .wavefront_size: 64
  - .args:
      - .offset:         0
        .size:           40
        .value_kind:     by_value
    .group_segment_fixed_size: 0
    .kernarg_segment_align: 8
    .kernarg_segment_size: 40
    .language:       OpenCL C
    .language_version:
      - 2
      - 0
    .max_flat_workgroup_size: 128
    .name:           _ZN7rocprim17ROCPRIM_400000_NS6detail17trampoline_kernelINS0_14default_configENS1_38merge_sort_block_merge_config_selectorIllEEZZNS1_27merge_sort_block_merge_implIS3_PlN6thrust23THRUST_200600_302600_NS10device_ptrIlEEjNS1_19radix_merge_compareILb0ELb1ElNS0_19identity_decomposerEEEEE10hipError_tT0_T1_T2_jT3_P12ihipStream_tbPNSt15iterator_traitsISG_E10value_typeEPNSM_ISH_E10value_typeEPSI_NS1_7vsmem_tEENKUlT_SG_SH_SI_E_clIS7_S7_SB_S7_EESF_SV_SG_SH_SI_EUlSV_E_NS1_11comp_targetILNS1_3genE5ELNS1_11target_archE942ELNS1_3gpuE9ELNS1_3repE0EEENS1_48merge_mergepath_partition_config_static_selectorELNS0_4arch9wavefront6targetE1EEEvSH_
    .private_segment_fixed_size: 0
    .sgpr_count:     4
    .sgpr_spill_count: 0
    .symbol:         _ZN7rocprim17ROCPRIM_400000_NS6detail17trampoline_kernelINS0_14default_configENS1_38merge_sort_block_merge_config_selectorIllEEZZNS1_27merge_sort_block_merge_implIS3_PlN6thrust23THRUST_200600_302600_NS10device_ptrIlEEjNS1_19radix_merge_compareILb0ELb1ElNS0_19identity_decomposerEEEEE10hipError_tT0_T1_T2_jT3_P12ihipStream_tbPNSt15iterator_traitsISG_E10value_typeEPNSM_ISH_E10value_typeEPSI_NS1_7vsmem_tEENKUlT_SG_SH_SI_E_clIS7_S7_SB_S7_EESF_SV_SG_SH_SI_EUlSV_E_NS1_11comp_targetILNS1_3genE5ELNS1_11target_archE942ELNS1_3gpuE9ELNS1_3repE0EEENS1_48merge_mergepath_partition_config_static_selectorELNS0_4arch9wavefront6targetE1EEEvSH_.kd
    .uniform_work_group_size: 1
    .uses_dynamic_stack: false
    .vgpr_count:     0
    .vgpr_spill_count: 0
    .wavefront_size: 64
  - .args:
      - .offset:         0
        .size:           40
        .value_kind:     by_value
    .group_segment_fixed_size: 0
    .kernarg_segment_align: 8
    .kernarg_segment_size: 40
    .language:       OpenCL C
    .language_version:
      - 2
      - 0
    .max_flat_workgroup_size: 128
    .name:           _ZN7rocprim17ROCPRIM_400000_NS6detail17trampoline_kernelINS0_14default_configENS1_38merge_sort_block_merge_config_selectorIllEEZZNS1_27merge_sort_block_merge_implIS3_PlN6thrust23THRUST_200600_302600_NS10device_ptrIlEEjNS1_19radix_merge_compareILb0ELb1ElNS0_19identity_decomposerEEEEE10hipError_tT0_T1_T2_jT3_P12ihipStream_tbPNSt15iterator_traitsISG_E10value_typeEPNSM_ISH_E10value_typeEPSI_NS1_7vsmem_tEENKUlT_SG_SH_SI_E_clIS7_S7_SB_S7_EESF_SV_SG_SH_SI_EUlSV_E_NS1_11comp_targetILNS1_3genE4ELNS1_11target_archE910ELNS1_3gpuE8ELNS1_3repE0EEENS1_48merge_mergepath_partition_config_static_selectorELNS0_4arch9wavefront6targetE1EEEvSH_
    .private_segment_fixed_size: 0
    .sgpr_count:     4
    .sgpr_spill_count: 0
    .symbol:         _ZN7rocprim17ROCPRIM_400000_NS6detail17trampoline_kernelINS0_14default_configENS1_38merge_sort_block_merge_config_selectorIllEEZZNS1_27merge_sort_block_merge_implIS3_PlN6thrust23THRUST_200600_302600_NS10device_ptrIlEEjNS1_19radix_merge_compareILb0ELb1ElNS0_19identity_decomposerEEEEE10hipError_tT0_T1_T2_jT3_P12ihipStream_tbPNSt15iterator_traitsISG_E10value_typeEPNSM_ISH_E10value_typeEPSI_NS1_7vsmem_tEENKUlT_SG_SH_SI_E_clIS7_S7_SB_S7_EESF_SV_SG_SH_SI_EUlSV_E_NS1_11comp_targetILNS1_3genE4ELNS1_11target_archE910ELNS1_3gpuE8ELNS1_3repE0EEENS1_48merge_mergepath_partition_config_static_selectorELNS0_4arch9wavefront6targetE1EEEvSH_.kd
    .uniform_work_group_size: 1
    .uses_dynamic_stack: false
    .vgpr_count:     0
    .vgpr_spill_count: 0
    .wavefront_size: 64
  - .args:
      - .offset:         0
        .size:           40
        .value_kind:     by_value
    .group_segment_fixed_size: 0
    .kernarg_segment_align: 8
    .kernarg_segment_size: 40
    .language:       OpenCL C
    .language_version:
      - 2
      - 0
    .max_flat_workgroup_size: 128
    .name:           _ZN7rocprim17ROCPRIM_400000_NS6detail17trampoline_kernelINS0_14default_configENS1_38merge_sort_block_merge_config_selectorIllEEZZNS1_27merge_sort_block_merge_implIS3_PlN6thrust23THRUST_200600_302600_NS10device_ptrIlEEjNS1_19radix_merge_compareILb0ELb1ElNS0_19identity_decomposerEEEEE10hipError_tT0_T1_T2_jT3_P12ihipStream_tbPNSt15iterator_traitsISG_E10value_typeEPNSM_ISH_E10value_typeEPSI_NS1_7vsmem_tEENKUlT_SG_SH_SI_E_clIS7_S7_SB_S7_EESF_SV_SG_SH_SI_EUlSV_E_NS1_11comp_targetILNS1_3genE3ELNS1_11target_archE908ELNS1_3gpuE7ELNS1_3repE0EEENS1_48merge_mergepath_partition_config_static_selectorELNS0_4arch9wavefront6targetE1EEEvSH_
    .private_segment_fixed_size: 0
    .sgpr_count:     4
    .sgpr_spill_count: 0
    .symbol:         _ZN7rocprim17ROCPRIM_400000_NS6detail17trampoline_kernelINS0_14default_configENS1_38merge_sort_block_merge_config_selectorIllEEZZNS1_27merge_sort_block_merge_implIS3_PlN6thrust23THRUST_200600_302600_NS10device_ptrIlEEjNS1_19radix_merge_compareILb0ELb1ElNS0_19identity_decomposerEEEEE10hipError_tT0_T1_T2_jT3_P12ihipStream_tbPNSt15iterator_traitsISG_E10value_typeEPNSM_ISH_E10value_typeEPSI_NS1_7vsmem_tEENKUlT_SG_SH_SI_E_clIS7_S7_SB_S7_EESF_SV_SG_SH_SI_EUlSV_E_NS1_11comp_targetILNS1_3genE3ELNS1_11target_archE908ELNS1_3gpuE7ELNS1_3repE0EEENS1_48merge_mergepath_partition_config_static_selectorELNS0_4arch9wavefront6targetE1EEEvSH_.kd
    .uniform_work_group_size: 1
    .uses_dynamic_stack: false
    .vgpr_count:     0
    .vgpr_spill_count: 0
    .wavefront_size: 64
  - .args:
      - .offset:         0
        .size:           40
        .value_kind:     by_value
    .group_segment_fixed_size: 0
    .kernarg_segment_align: 8
    .kernarg_segment_size: 40
    .language:       OpenCL C
    .language_version:
      - 2
      - 0
    .max_flat_workgroup_size: 128
    .name:           _ZN7rocprim17ROCPRIM_400000_NS6detail17trampoline_kernelINS0_14default_configENS1_38merge_sort_block_merge_config_selectorIllEEZZNS1_27merge_sort_block_merge_implIS3_PlN6thrust23THRUST_200600_302600_NS10device_ptrIlEEjNS1_19radix_merge_compareILb0ELb1ElNS0_19identity_decomposerEEEEE10hipError_tT0_T1_T2_jT3_P12ihipStream_tbPNSt15iterator_traitsISG_E10value_typeEPNSM_ISH_E10value_typeEPSI_NS1_7vsmem_tEENKUlT_SG_SH_SI_E_clIS7_S7_SB_S7_EESF_SV_SG_SH_SI_EUlSV_E_NS1_11comp_targetILNS1_3genE2ELNS1_11target_archE906ELNS1_3gpuE6ELNS1_3repE0EEENS1_48merge_mergepath_partition_config_static_selectorELNS0_4arch9wavefront6targetE1EEEvSH_
    .private_segment_fixed_size: 0
    .sgpr_count:     14
    .sgpr_spill_count: 0
    .symbol:         _ZN7rocprim17ROCPRIM_400000_NS6detail17trampoline_kernelINS0_14default_configENS1_38merge_sort_block_merge_config_selectorIllEEZZNS1_27merge_sort_block_merge_implIS3_PlN6thrust23THRUST_200600_302600_NS10device_ptrIlEEjNS1_19radix_merge_compareILb0ELb1ElNS0_19identity_decomposerEEEEE10hipError_tT0_T1_T2_jT3_P12ihipStream_tbPNSt15iterator_traitsISG_E10value_typeEPNSM_ISH_E10value_typeEPSI_NS1_7vsmem_tEENKUlT_SG_SH_SI_E_clIS7_S7_SB_S7_EESF_SV_SG_SH_SI_EUlSV_E_NS1_11comp_targetILNS1_3genE2ELNS1_11target_archE906ELNS1_3gpuE6ELNS1_3repE0EEENS1_48merge_mergepath_partition_config_static_selectorELNS0_4arch9wavefront6targetE1EEEvSH_.kd
    .uniform_work_group_size: 1
    .uses_dynamic_stack: false
    .vgpr_count:     16
    .vgpr_spill_count: 0
    .wavefront_size: 64
  - .args:
      - .offset:         0
        .size:           40
        .value_kind:     by_value
    .group_segment_fixed_size: 0
    .kernarg_segment_align: 8
    .kernarg_segment_size: 40
    .language:       OpenCL C
    .language_version:
      - 2
      - 0
    .max_flat_workgroup_size: 128
    .name:           _ZN7rocprim17ROCPRIM_400000_NS6detail17trampoline_kernelINS0_14default_configENS1_38merge_sort_block_merge_config_selectorIllEEZZNS1_27merge_sort_block_merge_implIS3_PlN6thrust23THRUST_200600_302600_NS10device_ptrIlEEjNS1_19radix_merge_compareILb0ELb1ElNS0_19identity_decomposerEEEEE10hipError_tT0_T1_T2_jT3_P12ihipStream_tbPNSt15iterator_traitsISG_E10value_typeEPNSM_ISH_E10value_typeEPSI_NS1_7vsmem_tEENKUlT_SG_SH_SI_E_clIS7_S7_SB_S7_EESF_SV_SG_SH_SI_EUlSV_E_NS1_11comp_targetILNS1_3genE9ELNS1_11target_archE1100ELNS1_3gpuE3ELNS1_3repE0EEENS1_48merge_mergepath_partition_config_static_selectorELNS0_4arch9wavefront6targetE1EEEvSH_
    .private_segment_fixed_size: 0
    .sgpr_count:     4
    .sgpr_spill_count: 0
    .symbol:         _ZN7rocprim17ROCPRIM_400000_NS6detail17trampoline_kernelINS0_14default_configENS1_38merge_sort_block_merge_config_selectorIllEEZZNS1_27merge_sort_block_merge_implIS3_PlN6thrust23THRUST_200600_302600_NS10device_ptrIlEEjNS1_19radix_merge_compareILb0ELb1ElNS0_19identity_decomposerEEEEE10hipError_tT0_T1_T2_jT3_P12ihipStream_tbPNSt15iterator_traitsISG_E10value_typeEPNSM_ISH_E10value_typeEPSI_NS1_7vsmem_tEENKUlT_SG_SH_SI_E_clIS7_S7_SB_S7_EESF_SV_SG_SH_SI_EUlSV_E_NS1_11comp_targetILNS1_3genE9ELNS1_11target_archE1100ELNS1_3gpuE3ELNS1_3repE0EEENS1_48merge_mergepath_partition_config_static_selectorELNS0_4arch9wavefront6targetE1EEEvSH_.kd
    .uniform_work_group_size: 1
    .uses_dynamic_stack: false
    .vgpr_count:     0
    .vgpr_spill_count: 0
    .wavefront_size: 64
  - .args:
      - .offset:         0
        .size:           40
        .value_kind:     by_value
    .group_segment_fixed_size: 0
    .kernarg_segment_align: 8
    .kernarg_segment_size: 40
    .language:       OpenCL C
    .language_version:
      - 2
      - 0
    .max_flat_workgroup_size: 128
    .name:           _ZN7rocprim17ROCPRIM_400000_NS6detail17trampoline_kernelINS0_14default_configENS1_38merge_sort_block_merge_config_selectorIllEEZZNS1_27merge_sort_block_merge_implIS3_PlN6thrust23THRUST_200600_302600_NS10device_ptrIlEEjNS1_19radix_merge_compareILb0ELb1ElNS0_19identity_decomposerEEEEE10hipError_tT0_T1_T2_jT3_P12ihipStream_tbPNSt15iterator_traitsISG_E10value_typeEPNSM_ISH_E10value_typeEPSI_NS1_7vsmem_tEENKUlT_SG_SH_SI_E_clIS7_S7_SB_S7_EESF_SV_SG_SH_SI_EUlSV_E_NS1_11comp_targetILNS1_3genE8ELNS1_11target_archE1030ELNS1_3gpuE2ELNS1_3repE0EEENS1_48merge_mergepath_partition_config_static_selectorELNS0_4arch9wavefront6targetE1EEEvSH_
    .private_segment_fixed_size: 0
    .sgpr_count:     4
    .sgpr_spill_count: 0
    .symbol:         _ZN7rocprim17ROCPRIM_400000_NS6detail17trampoline_kernelINS0_14default_configENS1_38merge_sort_block_merge_config_selectorIllEEZZNS1_27merge_sort_block_merge_implIS3_PlN6thrust23THRUST_200600_302600_NS10device_ptrIlEEjNS1_19radix_merge_compareILb0ELb1ElNS0_19identity_decomposerEEEEE10hipError_tT0_T1_T2_jT3_P12ihipStream_tbPNSt15iterator_traitsISG_E10value_typeEPNSM_ISH_E10value_typeEPSI_NS1_7vsmem_tEENKUlT_SG_SH_SI_E_clIS7_S7_SB_S7_EESF_SV_SG_SH_SI_EUlSV_E_NS1_11comp_targetILNS1_3genE8ELNS1_11target_archE1030ELNS1_3gpuE2ELNS1_3repE0EEENS1_48merge_mergepath_partition_config_static_selectorELNS0_4arch9wavefront6targetE1EEEvSH_.kd
    .uniform_work_group_size: 1
    .uses_dynamic_stack: false
    .vgpr_count:     0
    .vgpr_spill_count: 0
    .wavefront_size: 64
  - .args:
      - .offset:         0
        .size:           72
        .value_kind:     by_value
    .group_segment_fixed_size: 0
    .kernarg_segment_align: 8
    .kernarg_segment_size: 72
    .language:       OpenCL C
    .language_version:
      - 2
      - 0
    .max_flat_workgroup_size: 512
    .name:           _ZN7rocprim17ROCPRIM_400000_NS6detail17trampoline_kernelINS0_14default_configENS1_38merge_sort_block_merge_config_selectorIllEEZZNS1_27merge_sort_block_merge_implIS3_PlN6thrust23THRUST_200600_302600_NS10device_ptrIlEEjNS1_19radix_merge_compareILb0ELb1ElNS0_19identity_decomposerEEEEE10hipError_tT0_T1_T2_jT3_P12ihipStream_tbPNSt15iterator_traitsISG_E10value_typeEPNSM_ISH_E10value_typeEPSI_NS1_7vsmem_tEENKUlT_SG_SH_SI_E_clIS7_S7_SB_S7_EESF_SV_SG_SH_SI_EUlSV_E0_NS1_11comp_targetILNS1_3genE0ELNS1_11target_archE4294967295ELNS1_3gpuE0ELNS1_3repE0EEENS1_38merge_mergepath_config_static_selectorELNS0_4arch9wavefront6targetE1EEEvSH_
    .private_segment_fixed_size: 0
    .sgpr_count:     4
    .sgpr_spill_count: 0
    .symbol:         _ZN7rocprim17ROCPRIM_400000_NS6detail17trampoline_kernelINS0_14default_configENS1_38merge_sort_block_merge_config_selectorIllEEZZNS1_27merge_sort_block_merge_implIS3_PlN6thrust23THRUST_200600_302600_NS10device_ptrIlEEjNS1_19radix_merge_compareILb0ELb1ElNS0_19identity_decomposerEEEEE10hipError_tT0_T1_T2_jT3_P12ihipStream_tbPNSt15iterator_traitsISG_E10value_typeEPNSM_ISH_E10value_typeEPSI_NS1_7vsmem_tEENKUlT_SG_SH_SI_E_clIS7_S7_SB_S7_EESF_SV_SG_SH_SI_EUlSV_E0_NS1_11comp_targetILNS1_3genE0ELNS1_11target_archE4294967295ELNS1_3gpuE0ELNS1_3repE0EEENS1_38merge_mergepath_config_static_selectorELNS0_4arch9wavefront6targetE1EEEvSH_.kd
    .uniform_work_group_size: 1
    .uses_dynamic_stack: false
    .vgpr_count:     0
    .vgpr_spill_count: 0
    .wavefront_size: 64
  - .args:
      - .offset:         0
        .size:           72
        .value_kind:     by_value
    .group_segment_fixed_size: 0
    .kernarg_segment_align: 8
    .kernarg_segment_size: 72
    .language:       OpenCL C
    .language_version:
      - 2
      - 0
    .max_flat_workgroup_size: 512
    .name:           _ZN7rocprim17ROCPRIM_400000_NS6detail17trampoline_kernelINS0_14default_configENS1_38merge_sort_block_merge_config_selectorIllEEZZNS1_27merge_sort_block_merge_implIS3_PlN6thrust23THRUST_200600_302600_NS10device_ptrIlEEjNS1_19radix_merge_compareILb0ELb1ElNS0_19identity_decomposerEEEEE10hipError_tT0_T1_T2_jT3_P12ihipStream_tbPNSt15iterator_traitsISG_E10value_typeEPNSM_ISH_E10value_typeEPSI_NS1_7vsmem_tEENKUlT_SG_SH_SI_E_clIS7_S7_SB_S7_EESF_SV_SG_SH_SI_EUlSV_E0_NS1_11comp_targetILNS1_3genE10ELNS1_11target_archE1201ELNS1_3gpuE5ELNS1_3repE0EEENS1_38merge_mergepath_config_static_selectorELNS0_4arch9wavefront6targetE1EEEvSH_
    .private_segment_fixed_size: 0
    .sgpr_count:     4
    .sgpr_spill_count: 0
    .symbol:         _ZN7rocprim17ROCPRIM_400000_NS6detail17trampoline_kernelINS0_14default_configENS1_38merge_sort_block_merge_config_selectorIllEEZZNS1_27merge_sort_block_merge_implIS3_PlN6thrust23THRUST_200600_302600_NS10device_ptrIlEEjNS1_19radix_merge_compareILb0ELb1ElNS0_19identity_decomposerEEEEE10hipError_tT0_T1_T2_jT3_P12ihipStream_tbPNSt15iterator_traitsISG_E10value_typeEPNSM_ISH_E10value_typeEPSI_NS1_7vsmem_tEENKUlT_SG_SH_SI_E_clIS7_S7_SB_S7_EESF_SV_SG_SH_SI_EUlSV_E0_NS1_11comp_targetILNS1_3genE10ELNS1_11target_archE1201ELNS1_3gpuE5ELNS1_3repE0EEENS1_38merge_mergepath_config_static_selectorELNS0_4arch9wavefront6targetE1EEEvSH_.kd
    .uniform_work_group_size: 1
    .uses_dynamic_stack: false
    .vgpr_count:     0
    .vgpr_spill_count: 0
    .wavefront_size: 64
  - .args:
      - .offset:         0
        .size:           72
        .value_kind:     by_value
    .group_segment_fixed_size: 0
    .kernarg_segment_align: 8
    .kernarg_segment_size: 72
    .language:       OpenCL C
    .language_version:
      - 2
      - 0
    .max_flat_workgroup_size: 256
    .name:           _ZN7rocprim17ROCPRIM_400000_NS6detail17trampoline_kernelINS0_14default_configENS1_38merge_sort_block_merge_config_selectorIllEEZZNS1_27merge_sort_block_merge_implIS3_PlN6thrust23THRUST_200600_302600_NS10device_ptrIlEEjNS1_19radix_merge_compareILb0ELb1ElNS0_19identity_decomposerEEEEE10hipError_tT0_T1_T2_jT3_P12ihipStream_tbPNSt15iterator_traitsISG_E10value_typeEPNSM_ISH_E10value_typeEPSI_NS1_7vsmem_tEENKUlT_SG_SH_SI_E_clIS7_S7_SB_S7_EESF_SV_SG_SH_SI_EUlSV_E0_NS1_11comp_targetILNS1_3genE5ELNS1_11target_archE942ELNS1_3gpuE9ELNS1_3repE0EEENS1_38merge_mergepath_config_static_selectorELNS0_4arch9wavefront6targetE1EEEvSH_
    .private_segment_fixed_size: 0
    .sgpr_count:     4
    .sgpr_spill_count: 0
    .symbol:         _ZN7rocprim17ROCPRIM_400000_NS6detail17trampoline_kernelINS0_14default_configENS1_38merge_sort_block_merge_config_selectorIllEEZZNS1_27merge_sort_block_merge_implIS3_PlN6thrust23THRUST_200600_302600_NS10device_ptrIlEEjNS1_19radix_merge_compareILb0ELb1ElNS0_19identity_decomposerEEEEE10hipError_tT0_T1_T2_jT3_P12ihipStream_tbPNSt15iterator_traitsISG_E10value_typeEPNSM_ISH_E10value_typeEPSI_NS1_7vsmem_tEENKUlT_SG_SH_SI_E_clIS7_S7_SB_S7_EESF_SV_SG_SH_SI_EUlSV_E0_NS1_11comp_targetILNS1_3genE5ELNS1_11target_archE942ELNS1_3gpuE9ELNS1_3repE0EEENS1_38merge_mergepath_config_static_selectorELNS0_4arch9wavefront6targetE1EEEvSH_.kd
    .uniform_work_group_size: 1
    .uses_dynamic_stack: false
    .vgpr_count:     0
    .vgpr_spill_count: 0
    .wavefront_size: 64
  - .args:
      - .offset:         0
        .size:           72
        .value_kind:     by_value
    .group_segment_fixed_size: 0
    .kernarg_segment_align: 8
    .kernarg_segment_size: 72
    .language:       OpenCL C
    .language_version:
      - 2
      - 0
    .max_flat_workgroup_size: 512
    .name:           _ZN7rocprim17ROCPRIM_400000_NS6detail17trampoline_kernelINS0_14default_configENS1_38merge_sort_block_merge_config_selectorIllEEZZNS1_27merge_sort_block_merge_implIS3_PlN6thrust23THRUST_200600_302600_NS10device_ptrIlEEjNS1_19radix_merge_compareILb0ELb1ElNS0_19identity_decomposerEEEEE10hipError_tT0_T1_T2_jT3_P12ihipStream_tbPNSt15iterator_traitsISG_E10value_typeEPNSM_ISH_E10value_typeEPSI_NS1_7vsmem_tEENKUlT_SG_SH_SI_E_clIS7_S7_SB_S7_EESF_SV_SG_SH_SI_EUlSV_E0_NS1_11comp_targetILNS1_3genE4ELNS1_11target_archE910ELNS1_3gpuE8ELNS1_3repE0EEENS1_38merge_mergepath_config_static_selectorELNS0_4arch9wavefront6targetE1EEEvSH_
    .private_segment_fixed_size: 0
    .sgpr_count:     4
    .sgpr_spill_count: 0
    .symbol:         _ZN7rocprim17ROCPRIM_400000_NS6detail17trampoline_kernelINS0_14default_configENS1_38merge_sort_block_merge_config_selectorIllEEZZNS1_27merge_sort_block_merge_implIS3_PlN6thrust23THRUST_200600_302600_NS10device_ptrIlEEjNS1_19radix_merge_compareILb0ELb1ElNS0_19identity_decomposerEEEEE10hipError_tT0_T1_T2_jT3_P12ihipStream_tbPNSt15iterator_traitsISG_E10value_typeEPNSM_ISH_E10value_typeEPSI_NS1_7vsmem_tEENKUlT_SG_SH_SI_E_clIS7_S7_SB_S7_EESF_SV_SG_SH_SI_EUlSV_E0_NS1_11comp_targetILNS1_3genE4ELNS1_11target_archE910ELNS1_3gpuE8ELNS1_3repE0EEENS1_38merge_mergepath_config_static_selectorELNS0_4arch9wavefront6targetE1EEEvSH_.kd
    .uniform_work_group_size: 1
    .uses_dynamic_stack: false
    .vgpr_count:     0
    .vgpr_spill_count: 0
    .wavefront_size: 64
  - .args:
      - .offset:         0
        .size:           72
        .value_kind:     by_value
    .group_segment_fixed_size: 0
    .kernarg_segment_align: 8
    .kernarg_segment_size: 72
    .language:       OpenCL C
    .language_version:
      - 2
      - 0
    .max_flat_workgroup_size: 512
    .name:           _ZN7rocprim17ROCPRIM_400000_NS6detail17trampoline_kernelINS0_14default_configENS1_38merge_sort_block_merge_config_selectorIllEEZZNS1_27merge_sort_block_merge_implIS3_PlN6thrust23THRUST_200600_302600_NS10device_ptrIlEEjNS1_19radix_merge_compareILb0ELb1ElNS0_19identity_decomposerEEEEE10hipError_tT0_T1_T2_jT3_P12ihipStream_tbPNSt15iterator_traitsISG_E10value_typeEPNSM_ISH_E10value_typeEPSI_NS1_7vsmem_tEENKUlT_SG_SH_SI_E_clIS7_S7_SB_S7_EESF_SV_SG_SH_SI_EUlSV_E0_NS1_11comp_targetILNS1_3genE3ELNS1_11target_archE908ELNS1_3gpuE7ELNS1_3repE0EEENS1_38merge_mergepath_config_static_selectorELNS0_4arch9wavefront6targetE1EEEvSH_
    .private_segment_fixed_size: 0
    .sgpr_count:     4
    .sgpr_spill_count: 0
    .symbol:         _ZN7rocprim17ROCPRIM_400000_NS6detail17trampoline_kernelINS0_14default_configENS1_38merge_sort_block_merge_config_selectorIllEEZZNS1_27merge_sort_block_merge_implIS3_PlN6thrust23THRUST_200600_302600_NS10device_ptrIlEEjNS1_19radix_merge_compareILb0ELb1ElNS0_19identity_decomposerEEEEE10hipError_tT0_T1_T2_jT3_P12ihipStream_tbPNSt15iterator_traitsISG_E10value_typeEPNSM_ISH_E10value_typeEPSI_NS1_7vsmem_tEENKUlT_SG_SH_SI_E_clIS7_S7_SB_S7_EESF_SV_SG_SH_SI_EUlSV_E0_NS1_11comp_targetILNS1_3genE3ELNS1_11target_archE908ELNS1_3gpuE7ELNS1_3repE0EEENS1_38merge_mergepath_config_static_selectorELNS0_4arch9wavefront6targetE1EEEvSH_.kd
    .uniform_work_group_size: 1
    .uses_dynamic_stack: false
    .vgpr_count:     0
    .vgpr_spill_count: 0
    .wavefront_size: 64
  - .args:
      - .offset:         0
        .size:           72
        .value_kind:     by_value
      - .offset:         72
        .size:           4
        .value_kind:     hidden_block_count_x
      - .offset:         76
        .size:           4
        .value_kind:     hidden_block_count_y
      - .offset:         80
        .size:           4
        .value_kind:     hidden_block_count_z
      - .offset:         84
        .size:           2
        .value_kind:     hidden_group_size_x
      - .offset:         86
        .size:           2
        .value_kind:     hidden_group_size_y
      - .offset:         88
        .size:           2
        .value_kind:     hidden_group_size_z
      - .offset:         90
        .size:           2
        .value_kind:     hidden_remainder_x
      - .offset:         92
        .size:           2
        .value_kind:     hidden_remainder_y
      - .offset:         94
        .size:           2
        .value_kind:     hidden_remainder_z
      - .offset:         112
        .size:           8
        .value_kind:     hidden_global_offset_x
      - .offset:         120
        .size:           8
        .value_kind:     hidden_global_offset_y
      - .offset:         128
        .size:           8
        .value_kind:     hidden_global_offset_z
      - .offset:         136
        .size:           2
        .value_kind:     hidden_grid_dims
    .group_segment_fixed_size: 8448
    .kernarg_segment_align: 8
    .kernarg_segment_size: 328
    .language:       OpenCL C
    .language_version:
      - 2
      - 0
    .max_flat_workgroup_size: 128
    .name:           _ZN7rocprim17ROCPRIM_400000_NS6detail17trampoline_kernelINS0_14default_configENS1_38merge_sort_block_merge_config_selectorIllEEZZNS1_27merge_sort_block_merge_implIS3_PlN6thrust23THRUST_200600_302600_NS10device_ptrIlEEjNS1_19radix_merge_compareILb0ELb1ElNS0_19identity_decomposerEEEEE10hipError_tT0_T1_T2_jT3_P12ihipStream_tbPNSt15iterator_traitsISG_E10value_typeEPNSM_ISH_E10value_typeEPSI_NS1_7vsmem_tEENKUlT_SG_SH_SI_E_clIS7_S7_SB_S7_EESF_SV_SG_SH_SI_EUlSV_E0_NS1_11comp_targetILNS1_3genE2ELNS1_11target_archE906ELNS1_3gpuE6ELNS1_3repE0EEENS1_38merge_mergepath_config_static_selectorELNS0_4arch9wavefront6targetE1EEEvSH_
    .private_segment_fixed_size: 0
    .sgpr_count:     38
    .sgpr_spill_count: 0
    .symbol:         _ZN7rocprim17ROCPRIM_400000_NS6detail17trampoline_kernelINS0_14default_configENS1_38merge_sort_block_merge_config_selectorIllEEZZNS1_27merge_sort_block_merge_implIS3_PlN6thrust23THRUST_200600_302600_NS10device_ptrIlEEjNS1_19radix_merge_compareILb0ELb1ElNS0_19identity_decomposerEEEEE10hipError_tT0_T1_T2_jT3_P12ihipStream_tbPNSt15iterator_traitsISG_E10value_typeEPNSM_ISH_E10value_typeEPSI_NS1_7vsmem_tEENKUlT_SG_SH_SI_E_clIS7_S7_SB_S7_EESF_SV_SG_SH_SI_EUlSV_E0_NS1_11comp_targetILNS1_3genE2ELNS1_11target_archE906ELNS1_3gpuE6ELNS1_3repE0EEENS1_38merge_mergepath_config_static_selectorELNS0_4arch9wavefront6targetE1EEEvSH_.kd
    .uniform_work_group_size: 1
    .uses_dynamic_stack: false
    .vgpr_count:     55
    .vgpr_spill_count: 0
    .wavefront_size: 64
  - .args:
      - .offset:         0
        .size:           72
        .value_kind:     by_value
    .group_segment_fixed_size: 0
    .kernarg_segment_align: 8
    .kernarg_segment_size: 72
    .language:       OpenCL C
    .language_version:
      - 2
      - 0
    .max_flat_workgroup_size: 1024
    .name:           _ZN7rocprim17ROCPRIM_400000_NS6detail17trampoline_kernelINS0_14default_configENS1_38merge_sort_block_merge_config_selectorIllEEZZNS1_27merge_sort_block_merge_implIS3_PlN6thrust23THRUST_200600_302600_NS10device_ptrIlEEjNS1_19radix_merge_compareILb0ELb1ElNS0_19identity_decomposerEEEEE10hipError_tT0_T1_T2_jT3_P12ihipStream_tbPNSt15iterator_traitsISG_E10value_typeEPNSM_ISH_E10value_typeEPSI_NS1_7vsmem_tEENKUlT_SG_SH_SI_E_clIS7_S7_SB_S7_EESF_SV_SG_SH_SI_EUlSV_E0_NS1_11comp_targetILNS1_3genE9ELNS1_11target_archE1100ELNS1_3gpuE3ELNS1_3repE0EEENS1_38merge_mergepath_config_static_selectorELNS0_4arch9wavefront6targetE1EEEvSH_
    .private_segment_fixed_size: 0
    .sgpr_count:     4
    .sgpr_spill_count: 0
    .symbol:         _ZN7rocprim17ROCPRIM_400000_NS6detail17trampoline_kernelINS0_14default_configENS1_38merge_sort_block_merge_config_selectorIllEEZZNS1_27merge_sort_block_merge_implIS3_PlN6thrust23THRUST_200600_302600_NS10device_ptrIlEEjNS1_19radix_merge_compareILb0ELb1ElNS0_19identity_decomposerEEEEE10hipError_tT0_T1_T2_jT3_P12ihipStream_tbPNSt15iterator_traitsISG_E10value_typeEPNSM_ISH_E10value_typeEPSI_NS1_7vsmem_tEENKUlT_SG_SH_SI_E_clIS7_S7_SB_S7_EESF_SV_SG_SH_SI_EUlSV_E0_NS1_11comp_targetILNS1_3genE9ELNS1_11target_archE1100ELNS1_3gpuE3ELNS1_3repE0EEENS1_38merge_mergepath_config_static_selectorELNS0_4arch9wavefront6targetE1EEEvSH_.kd
    .uniform_work_group_size: 1
    .uses_dynamic_stack: false
    .vgpr_count:     0
    .vgpr_spill_count: 0
    .wavefront_size: 64
  - .args:
      - .offset:         0
        .size:           72
        .value_kind:     by_value
    .group_segment_fixed_size: 0
    .kernarg_segment_align: 8
    .kernarg_segment_size: 72
    .language:       OpenCL C
    .language_version:
      - 2
      - 0
    .max_flat_workgroup_size: 1024
    .name:           _ZN7rocprim17ROCPRIM_400000_NS6detail17trampoline_kernelINS0_14default_configENS1_38merge_sort_block_merge_config_selectorIllEEZZNS1_27merge_sort_block_merge_implIS3_PlN6thrust23THRUST_200600_302600_NS10device_ptrIlEEjNS1_19radix_merge_compareILb0ELb1ElNS0_19identity_decomposerEEEEE10hipError_tT0_T1_T2_jT3_P12ihipStream_tbPNSt15iterator_traitsISG_E10value_typeEPNSM_ISH_E10value_typeEPSI_NS1_7vsmem_tEENKUlT_SG_SH_SI_E_clIS7_S7_SB_S7_EESF_SV_SG_SH_SI_EUlSV_E0_NS1_11comp_targetILNS1_3genE8ELNS1_11target_archE1030ELNS1_3gpuE2ELNS1_3repE0EEENS1_38merge_mergepath_config_static_selectorELNS0_4arch9wavefront6targetE1EEEvSH_
    .private_segment_fixed_size: 0
    .sgpr_count:     4
    .sgpr_spill_count: 0
    .symbol:         _ZN7rocprim17ROCPRIM_400000_NS6detail17trampoline_kernelINS0_14default_configENS1_38merge_sort_block_merge_config_selectorIllEEZZNS1_27merge_sort_block_merge_implIS3_PlN6thrust23THRUST_200600_302600_NS10device_ptrIlEEjNS1_19radix_merge_compareILb0ELb1ElNS0_19identity_decomposerEEEEE10hipError_tT0_T1_T2_jT3_P12ihipStream_tbPNSt15iterator_traitsISG_E10value_typeEPNSM_ISH_E10value_typeEPSI_NS1_7vsmem_tEENKUlT_SG_SH_SI_E_clIS7_S7_SB_S7_EESF_SV_SG_SH_SI_EUlSV_E0_NS1_11comp_targetILNS1_3genE8ELNS1_11target_archE1030ELNS1_3gpuE2ELNS1_3repE0EEENS1_38merge_mergepath_config_static_selectorELNS0_4arch9wavefront6targetE1EEEvSH_.kd
    .uniform_work_group_size: 1
    .uses_dynamic_stack: false
    .vgpr_count:     0
    .vgpr_spill_count: 0
    .wavefront_size: 64
  - .args:
      - .offset:         0
        .size:           48
        .value_kind:     by_value
    .group_segment_fixed_size: 0
    .kernarg_segment_align: 8
    .kernarg_segment_size: 48
    .language:       OpenCL C
    .language_version:
      - 2
      - 0
    .max_flat_workgroup_size: 256
    .name:           _ZN7rocprim17ROCPRIM_400000_NS6detail17trampoline_kernelINS0_14default_configENS1_38merge_sort_block_merge_config_selectorIllEEZZNS1_27merge_sort_block_merge_implIS3_PlN6thrust23THRUST_200600_302600_NS10device_ptrIlEEjNS1_19radix_merge_compareILb0ELb1ElNS0_19identity_decomposerEEEEE10hipError_tT0_T1_T2_jT3_P12ihipStream_tbPNSt15iterator_traitsISG_E10value_typeEPNSM_ISH_E10value_typeEPSI_NS1_7vsmem_tEENKUlT_SG_SH_SI_E_clIS7_S7_SB_S7_EESF_SV_SG_SH_SI_EUlSV_E1_NS1_11comp_targetILNS1_3genE0ELNS1_11target_archE4294967295ELNS1_3gpuE0ELNS1_3repE0EEENS1_36merge_oddeven_config_static_selectorELNS0_4arch9wavefront6targetE1EEEvSH_
    .private_segment_fixed_size: 0
    .sgpr_count:     4
    .sgpr_spill_count: 0
    .symbol:         _ZN7rocprim17ROCPRIM_400000_NS6detail17trampoline_kernelINS0_14default_configENS1_38merge_sort_block_merge_config_selectorIllEEZZNS1_27merge_sort_block_merge_implIS3_PlN6thrust23THRUST_200600_302600_NS10device_ptrIlEEjNS1_19radix_merge_compareILb0ELb1ElNS0_19identity_decomposerEEEEE10hipError_tT0_T1_T2_jT3_P12ihipStream_tbPNSt15iterator_traitsISG_E10value_typeEPNSM_ISH_E10value_typeEPSI_NS1_7vsmem_tEENKUlT_SG_SH_SI_E_clIS7_S7_SB_S7_EESF_SV_SG_SH_SI_EUlSV_E1_NS1_11comp_targetILNS1_3genE0ELNS1_11target_archE4294967295ELNS1_3gpuE0ELNS1_3repE0EEENS1_36merge_oddeven_config_static_selectorELNS0_4arch9wavefront6targetE1EEEvSH_.kd
    .uniform_work_group_size: 1
    .uses_dynamic_stack: false
    .vgpr_count:     0
    .vgpr_spill_count: 0
    .wavefront_size: 64
  - .args:
      - .offset:         0
        .size:           48
        .value_kind:     by_value
    .group_segment_fixed_size: 0
    .kernarg_segment_align: 8
    .kernarg_segment_size: 48
    .language:       OpenCL C
    .language_version:
      - 2
      - 0
    .max_flat_workgroup_size: 256
    .name:           _ZN7rocprim17ROCPRIM_400000_NS6detail17trampoline_kernelINS0_14default_configENS1_38merge_sort_block_merge_config_selectorIllEEZZNS1_27merge_sort_block_merge_implIS3_PlN6thrust23THRUST_200600_302600_NS10device_ptrIlEEjNS1_19radix_merge_compareILb0ELb1ElNS0_19identity_decomposerEEEEE10hipError_tT0_T1_T2_jT3_P12ihipStream_tbPNSt15iterator_traitsISG_E10value_typeEPNSM_ISH_E10value_typeEPSI_NS1_7vsmem_tEENKUlT_SG_SH_SI_E_clIS7_S7_SB_S7_EESF_SV_SG_SH_SI_EUlSV_E1_NS1_11comp_targetILNS1_3genE10ELNS1_11target_archE1201ELNS1_3gpuE5ELNS1_3repE0EEENS1_36merge_oddeven_config_static_selectorELNS0_4arch9wavefront6targetE1EEEvSH_
    .private_segment_fixed_size: 0
    .sgpr_count:     4
    .sgpr_spill_count: 0
    .symbol:         _ZN7rocprim17ROCPRIM_400000_NS6detail17trampoline_kernelINS0_14default_configENS1_38merge_sort_block_merge_config_selectorIllEEZZNS1_27merge_sort_block_merge_implIS3_PlN6thrust23THRUST_200600_302600_NS10device_ptrIlEEjNS1_19radix_merge_compareILb0ELb1ElNS0_19identity_decomposerEEEEE10hipError_tT0_T1_T2_jT3_P12ihipStream_tbPNSt15iterator_traitsISG_E10value_typeEPNSM_ISH_E10value_typeEPSI_NS1_7vsmem_tEENKUlT_SG_SH_SI_E_clIS7_S7_SB_S7_EESF_SV_SG_SH_SI_EUlSV_E1_NS1_11comp_targetILNS1_3genE10ELNS1_11target_archE1201ELNS1_3gpuE5ELNS1_3repE0EEENS1_36merge_oddeven_config_static_selectorELNS0_4arch9wavefront6targetE1EEEvSH_.kd
    .uniform_work_group_size: 1
    .uses_dynamic_stack: false
    .vgpr_count:     0
    .vgpr_spill_count: 0
    .wavefront_size: 64
  - .args:
      - .offset:         0
        .size:           48
        .value_kind:     by_value
    .group_segment_fixed_size: 0
    .kernarg_segment_align: 8
    .kernarg_segment_size: 48
    .language:       OpenCL C
    .language_version:
      - 2
      - 0
    .max_flat_workgroup_size: 256
    .name:           _ZN7rocprim17ROCPRIM_400000_NS6detail17trampoline_kernelINS0_14default_configENS1_38merge_sort_block_merge_config_selectorIllEEZZNS1_27merge_sort_block_merge_implIS3_PlN6thrust23THRUST_200600_302600_NS10device_ptrIlEEjNS1_19radix_merge_compareILb0ELb1ElNS0_19identity_decomposerEEEEE10hipError_tT0_T1_T2_jT3_P12ihipStream_tbPNSt15iterator_traitsISG_E10value_typeEPNSM_ISH_E10value_typeEPSI_NS1_7vsmem_tEENKUlT_SG_SH_SI_E_clIS7_S7_SB_S7_EESF_SV_SG_SH_SI_EUlSV_E1_NS1_11comp_targetILNS1_3genE5ELNS1_11target_archE942ELNS1_3gpuE9ELNS1_3repE0EEENS1_36merge_oddeven_config_static_selectorELNS0_4arch9wavefront6targetE1EEEvSH_
    .private_segment_fixed_size: 0
    .sgpr_count:     4
    .sgpr_spill_count: 0
    .symbol:         _ZN7rocprim17ROCPRIM_400000_NS6detail17trampoline_kernelINS0_14default_configENS1_38merge_sort_block_merge_config_selectorIllEEZZNS1_27merge_sort_block_merge_implIS3_PlN6thrust23THRUST_200600_302600_NS10device_ptrIlEEjNS1_19radix_merge_compareILb0ELb1ElNS0_19identity_decomposerEEEEE10hipError_tT0_T1_T2_jT3_P12ihipStream_tbPNSt15iterator_traitsISG_E10value_typeEPNSM_ISH_E10value_typeEPSI_NS1_7vsmem_tEENKUlT_SG_SH_SI_E_clIS7_S7_SB_S7_EESF_SV_SG_SH_SI_EUlSV_E1_NS1_11comp_targetILNS1_3genE5ELNS1_11target_archE942ELNS1_3gpuE9ELNS1_3repE0EEENS1_36merge_oddeven_config_static_selectorELNS0_4arch9wavefront6targetE1EEEvSH_.kd
    .uniform_work_group_size: 1
    .uses_dynamic_stack: false
    .vgpr_count:     0
    .vgpr_spill_count: 0
    .wavefront_size: 64
  - .args:
      - .offset:         0
        .size:           48
        .value_kind:     by_value
    .group_segment_fixed_size: 0
    .kernarg_segment_align: 8
    .kernarg_segment_size: 48
    .language:       OpenCL C
    .language_version:
      - 2
      - 0
    .max_flat_workgroup_size: 256
    .name:           _ZN7rocprim17ROCPRIM_400000_NS6detail17trampoline_kernelINS0_14default_configENS1_38merge_sort_block_merge_config_selectorIllEEZZNS1_27merge_sort_block_merge_implIS3_PlN6thrust23THRUST_200600_302600_NS10device_ptrIlEEjNS1_19radix_merge_compareILb0ELb1ElNS0_19identity_decomposerEEEEE10hipError_tT0_T1_T2_jT3_P12ihipStream_tbPNSt15iterator_traitsISG_E10value_typeEPNSM_ISH_E10value_typeEPSI_NS1_7vsmem_tEENKUlT_SG_SH_SI_E_clIS7_S7_SB_S7_EESF_SV_SG_SH_SI_EUlSV_E1_NS1_11comp_targetILNS1_3genE4ELNS1_11target_archE910ELNS1_3gpuE8ELNS1_3repE0EEENS1_36merge_oddeven_config_static_selectorELNS0_4arch9wavefront6targetE1EEEvSH_
    .private_segment_fixed_size: 0
    .sgpr_count:     4
    .sgpr_spill_count: 0
    .symbol:         _ZN7rocprim17ROCPRIM_400000_NS6detail17trampoline_kernelINS0_14default_configENS1_38merge_sort_block_merge_config_selectorIllEEZZNS1_27merge_sort_block_merge_implIS3_PlN6thrust23THRUST_200600_302600_NS10device_ptrIlEEjNS1_19radix_merge_compareILb0ELb1ElNS0_19identity_decomposerEEEEE10hipError_tT0_T1_T2_jT3_P12ihipStream_tbPNSt15iterator_traitsISG_E10value_typeEPNSM_ISH_E10value_typeEPSI_NS1_7vsmem_tEENKUlT_SG_SH_SI_E_clIS7_S7_SB_S7_EESF_SV_SG_SH_SI_EUlSV_E1_NS1_11comp_targetILNS1_3genE4ELNS1_11target_archE910ELNS1_3gpuE8ELNS1_3repE0EEENS1_36merge_oddeven_config_static_selectorELNS0_4arch9wavefront6targetE1EEEvSH_.kd
    .uniform_work_group_size: 1
    .uses_dynamic_stack: false
    .vgpr_count:     0
    .vgpr_spill_count: 0
    .wavefront_size: 64
  - .args:
      - .offset:         0
        .size:           48
        .value_kind:     by_value
    .group_segment_fixed_size: 0
    .kernarg_segment_align: 8
    .kernarg_segment_size: 48
    .language:       OpenCL C
    .language_version:
      - 2
      - 0
    .max_flat_workgroup_size: 256
    .name:           _ZN7rocprim17ROCPRIM_400000_NS6detail17trampoline_kernelINS0_14default_configENS1_38merge_sort_block_merge_config_selectorIllEEZZNS1_27merge_sort_block_merge_implIS3_PlN6thrust23THRUST_200600_302600_NS10device_ptrIlEEjNS1_19radix_merge_compareILb0ELb1ElNS0_19identity_decomposerEEEEE10hipError_tT0_T1_T2_jT3_P12ihipStream_tbPNSt15iterator_traitsISG_E10value_typeEPNSM_ISH_E10value_typeEPSI_NS1_7vsmem_tEENKUlT_SG_SH_SI_E_clIS7_S7_SB_S7_EESF_SV_SG_SH_SI_EUlSV_E1_NS1_11comp_targetILNS1_3genE3ELNS1_11target_archE908ELNS1_3gpuE7ELNS1_3repE0EEENS1_36merge_oddeven_config_static_selectorELNS0_4arch9wavefront6targetE1EEEvSH_
    .private_segment_fixed_size: 0
    .sgpr_count:     4
    .sgpr_spill_count: 0
    .symbol:         _ZN7rocprim17ROCPRIM_400000_NS6detail17trampoline_kernelINS0_14default_configENS1_38merge_sort_block_merge_config_selectorIllEEZZNS1_27merge_sort_block_merge_implIS3_PlN6thrust23THRUST_200600_302600_NS10device_ptrIlEEjNS1_19radix_merge_compareILb0ELb1ElNS0_19identity_decomposerEEEEE10hipError_tT0_T1_T2_jT3_P12ihipStream_tbPNSt15iterator_traitsISG_E10value_typeEPNSM_ISH_E10value_typeEPSI_NS1_7vsmem_tEENKUlT_SG_SH_SI_E_clIS7_S7_SB_S7_EESF_SV_SG_SH_SI_EUlSV_E1_NS1_11comp_targetILNS1_3genE3ELNS1_11target_archE908ELNS1_3gpuE7ELNS1_3repE0EEENS1_36merge_oddeven_config_static_selectorELNS0_4arch9wavefront6targetE1EEEvSH_.kd
    .uniform_work_group_size: 1
    .uses_dynamic_stack: false
    .vgpr_count:     0
    .vgpr_spill_count: 0
    .wavefront_size: 64
  - .args:
      - .offset:         0
        .size:           48
        .value_kind:     by_value
    .group_segment_fixed_size: 0
    .kernarg_segment_align: 8
    .kernarg_segment_size: 48
    .language:       OpenCL C
    .language_version:
      - 2
      - 0
    .max_flat_workgroup_size: 256
    .name:           _ZN7rocprim17ROCPRIM_400000_NS6detail17trampoline_kernelINS0_14default_configENS1_38merge_sort_block_merge_config_selectorIllEEZZNS1_27merge_sort_block_merge_implIS3_PlN6thrust23THRUST_200600_302600_NS10device_ptrIlEEjNS1_19radix_merge_compareILb0ELb1ElNS0_19identity_decomposerEEEEE10hipError_tT0_T1_T2_jT3_P12ihipStream_tbPNSt15iterator_traitsISG_E10value_typeEPNSM_ISH_E10value_typeEPSI_NS1_7vsmem_tEENKUlT_SG_SH_SI_E_clIS7_S7_SB_S7_EESF_SV_SG_SH_SI_EUlSV_E1_NS1_11comp_targetILNS1_3genE2ELNS1_11target_archE906ELNS1_3gpuE6ELNS1_3repE0EEENS1_36merge_oddeven_config_static_selectorELNS0_4arch9wavefront6targetE1EEEvSH_
    .private_segment_fixed_size: 0
    .sgpr_count:     28
    .sgpr_spill_count: 0
    .symbol:         _ZN7rocprim17ROCPRIM_400000_NS6detail17trampoline_kernelINS0_14default_configENS1_38merge_sort_block_merge_config_selectorIllEEZZNS1_27merge_sort_block_merge_implIS3_PlN6thrust23THRUST_200600_302600_NS10device_ptrIlEEjNS1_19radix_merge_compareILb0ELb1ElNS0_19identity_decomposerEEEEE10hipError_tT0_T1_T2_jT3_P12ihipStream_tbPNSt15iterator_traitsISG_E10value_typeEPNSM_ISH_E10value_typeEPSI_NS1_7vsmem_tEENKUlT_SG_SH_SI_E_clIS7_S7_SB_S7_EESF_SV_SG_SH_SI_EUlSV_E1_NS1_11comp_targetILNS1_3genE2ELNS1_11target_archE906ELNS1_3gpuE6ELNS1_3repE0EEENS1_36merge_oddeven_config_static_selectorELNS0_4arch9wavefront6targetE1EEEvSH_.kd
    .uniform_work_group_size: 1
    .uses_dynamic_stack: false
    .vgpr_count:     16
    .vgpr_spill_count: 0
    .wavefront_size: 64
  - .args:
      - .offset:         0
        .size:           48
        .value_kind:     by_value
    .group_segment_fixed_size: 0
    .kernarg_segment_align: 8
    .kernarg_segment_size: 48
    .language:       OpenCL C
    .language_version:
      - 2
      - 0
    .max_flat_workgroup_size: 256
    .name:           _ZN7rocprim17ROCPRIM_400000_NS6detail17trampoline_kernelINS0_14default_configENS1_38merge_sort_block_merge_config_selectorIllEEZZNS1_27merge_sort_block_merge_implIS3_PlN6thrust23THRUST_200600_302600_NS10device_ptrIlEEjNS1_19radix_merge_compareILb0ELb1ElNS0_19identity_decomposerEEEEE10hipError_tT0_T1_T2_jT3_P12ihipStream_tbPNSt15iterator_traitsISG_E10value_typeEPNSM_ISH_E10value_typeEPSI_NS1_7vsmem_tEENKUlT_SG_SH_SI_E_clIS7_S7_SB_S7_EESF_SV_SG_SH_SI_EUlSV_E1_NS1_11comp_targetILNS1_3genE9ELNS1_11target_archE1100ELNS1_3gpuE3ELNS1_3repE0EEENS1_36merge_oddeven_config_static_selectorELNS0_4arch9wavefront6targetE1EEEvSH_
    .private_segment_fixed_size: 0
    .sgpr_count:     4
    .sgpr_spill_count: 0
    .symbol:         _ZN7rocprim17ROCPRIM_400000_NS6detail17trampoline_kernelINS0_14default_configENS1_38merge_sort_block_merge_config_selectorIllEEZZNS1_27merge_sort_block_merge_implIS3_PlN6thrust23THRUST_200600_302600_NS10device_ptrIlEEjNS1_19radix_merge_compareILb0ELb1ElNS0_19identity_decomposerEEEEE10hipError_tT0_T1_T2_jT3_P12ihipStream_tbPNSt15iterator_traitsISG_E10value_typeEPNSM_ISH_E10value_typeEPSI_NS1_7vsmem_tEENKUlT_SG_SH_SI_E_clIS7_S7_SB_S7_EESF_SV_SG_SH_SI_EUlSV_E1_NS1_11comp_targetILNS1_3genE9ELNS1_11target_archE1100ELNS1_3gpuE3ELNS1_3repE0EEENS1_36merge_oddeven_config_static_selectorELNS0_4arch9wavefront6targetE1EEEvSH_.kd
    .uniform_work_group_size: 1
    .uses_dynamic_stack: false
    .vgpr_count:     0
    .vgpr_spill_count: 0
    .wavefront_size: 64
  - .args:
      - .offset:         0
        .size:           48
        .value_kind:     by_value
    .group_segment_fixed_size: 0
    .kernarg_segment_align: 8
    .kernarg_segment_size: 48
    .language:       OpenCL C
    .language_version:
      - 2
      - 0
    .max_flat_workgroup_size: 256
    .name:           _ZN7rocprim17ROCPRIM_400000_NS6detail17trampoline_kernelINS0_14default_configENS1_38merge_sort_block_merge_config_selectorIllEEZZNS1_27merge_sort_block_merge_implIS3_PlN6thrust23THRUST_200600_302600_NS10device_ptrIlEEjNS1_19radix_merge_compareILb0ELb1ElNS0_19identity_decomposerEEEEE10hipError_tT0_T1_T2_jT3_P12ihipStream_tbPNSt15iterator_traitsISG_E10value_typeEPNSM_ISH_E10value_typeEPSI_NS1_7vsmem_tEENKUlT_SG_SH_SI_E_clIS7_S7_SB_S7_EESF_SV_SG_SH_SI_EUlSV_E1_NS1_11comp_targetILNS1_3genE8ELNS1_11target_archE1030ELNS1_3gpuE2ELNS1_3repE0EEENS1_36merge_oddeven_config_static_selectorELNS0_4arch9wavefront6targetE1EEEvSH_
    .private_segment_fixed_size: 0
    .sgpr_count:     4
    .sgpr_spill_count: 0
    .symbol:         _ZN7rocprim17ROCPRIM_400000_NS6detail17trampoline_kernelINS0_14default_configENS1_38merge_sort_block_merge_config_selectorIllEEZZNS1_27merge_sort_block_merge_implIS3_PlN6thrust23THRUST_200600_302600_NS10device_ptrIlEEjNS1_19radix_merge_compareILb0ELb1ElNS0_19identity_decomposerEEEEE10hipError_tT0_T1_T2_jT3_P12ihipStream_tbPNSt15iterator_traitsISG_E10value_typeEPNSM_ISH_E10value_typeEPSI_NS1_7vsmem_tEENKUlT_SG_SH_SI_E_clIS7_S7_SB_S7_EESF_SV_SG_SH_SI_EUlSV_E1_NS1_11comp_targetILNS1_3genE8ELNS1_11target_archE1030ELNS1_3gpuE2ELNS1_3repE0EEENS1_36merge_oddeven_config_static_selectorELNS0_4arch9wavefront6targetE1EEEvSH_.kd
    .uniform_work_group_size: 1
    .uses_dynamic_stack: false
    .vgpr_count:     0
    .vgpr_spill_count: 0
    .wavefront_size: 64
  - .args:
      - .offset:         0
        .size:           40
        .value_kind:     by_value
    .group_segment_fixed_size: 0
    .kernarg_segment_align: 8
    .kernarg_segment_size: 40
    .language:       OpenCL C
    .language_version:
      - 2
      - 0
    .max_flat_workgroup_size: 512
    .name:           _ZN7rocprim17ROCPRIM_400000_NS6detail17trampoline_kernelINS0_14default_configENS1_35radix_sort_onesweep_config_selectorIllEEZNS1_34radix_sort_onesweep_global_offsetsIS3_Lb0EPlN6thrust23THRUST_200600_302600_NS10device_ptrIlEEjNS0_19identity_decomposerEEE10hipError_tT1_T2_PT3_SG_jT4_jjP12ihipStream_tbEUlT_E_NS1_11comp_targetILNS1_3genE0ELNS1_11target_archE4294967295ELNS1_3gpuE0ELNS1_3repE0EEENS1_52radix_sort_onesweep_histogram_config_static_selectorELNS0_4arch9wavefront6targetE1EEEvSE_
    .private_segment_fixed_size: 0
    .sgpr_count:     4
    .sgpr_spill_count: 0
    .symbol:         _ZN7rocprim17ROCPRIM_400000_NS6detail17trampoline_kernelINS0_14default_configENS1_35radix_sort_onesweep_config_selectorIllEEZNS1_34radix_sort_onesweep_global_offsetsIS3_Lb0EPlN6thrust23THRUST_200600_302600_NS10device_ptrIlEEjNS0_19identity_decomposerEEE10hipError_tT1_T2_PT3_SG_jT4_jjP12ihipStream_tbEUlT_E_NS1_11comp_targetILNS1_3genE0ELNS1_11target_archE4294967295ELNS1_3gpuE0ELNS1_3repE0EEENS1_52radix_sort_onesweep_histogram_config_static_selectorELNS0_4arch9wavefront6targetE1EEEvSE_.kd
    .uniform_work_group_size: 1
    .uses_dynamic_stack: false
    .vgpr_count:     0
    .vgpr_spill_count: 0
    .wavefront_size: 64
  - .args:
      - .offset:         0
        .size:           40
        .value_kind:     by_value
    .group_segment_fixed_size: 0
    .kernarg_segment_align: 8
    .kernarg_segment_size: 40
    .language:       OpenCL C
    .language_version:
      - 2
      - 0
    .max_flat_workgroup_size: 1024
    .name:           _ZN7rocprim17ROCPRIM_400000_NS6detail17trampoline_kernelINS0_14default_configENS1_35radix_sort_onesweep_config_selectorIllEEZNS1_34radix_sort_onesweep_global_offsetsIS3_Lb0EPlN6thrust23THRUST_200600_302600_NS10device_ptrIlEEjNS0_19identity_decomposerEEE10hipError_tT1_T2_PT3_SG_jT4_jjP12ihipStream_tbEUlT_E_NS1_11comp_targetILNS1_3genE6ELNS1_11target_archE950ELNS1_3gpuE13ELNS1_3repE0EEENS1_52radix_sort_onesweep_histogram_config_static_selectorELNS0_4arch9wavefront6targetE1EEEvSE_
    .private_segment_fixed_size: 0
    .sgpr_count:     4
    .sgpr_spill_count: 0
    .symbol:         _ZN7rocprim17ROCPRIM_400000_NS6detail17trampoline_kernelINS0_14default_configENS1_35radix_sort_onesweep_config_selectorIllEEZNS1_34radix_sort_onesweep_global_offsetsIS3_Lb0EPlN6thrust23THRUST_200600_302600_NS10device_ptrIlEEjNS0_19identity_decomposerEEE10hipError_tT1_T2_PT3_SG_jT4_jjP12ihipStream_tbEUlT_E_NS1_11comp_targetILNS1_3genE6ELNS1_11target_archE950ELNS1_3gpuE13ELNS1_3repE0EEENS1_52radix_sort_onesweep_histogram_config_static_selectorELNS0_4arch9wavefront6targetE1EEEvSE_.kd
    .uniform_work_group_size: 1
    .uses_dynamic_stack: false
    .vgpr_count:     0
    .vgpr_spill_count: 0
    .wavefront_size: 64
  - .args:
      - .offset:         0
        .size:           40
        .value_kind:     by_value
    .group_segment_fixed_size: 0
    .kernarg_segment_align: 8
    .kernarg_segment_size: 40
    .language:       OpenCL C
    .language_version:
      - 2
      - 0
    .max_flat_workgroup_size: 1024
    .name:           _ZN7rocprim17ROCPRIM_400000_NS6detail17trampoline_kernelINS0_14default_configENS1_35radix_sort_onesweep_config_selectorIllEEZNS1_34radix_sort_onesweep_global_offsetsIS3_Lb0EPlN6thrust23THRUST_200600_302600_NS10device_ptrIlEEjNS0_19identity_decomposerEEE10hipError_tT1_T2_PT3_SG_jT4_jjP12ihipStream_tbEUlT_E_NS1_11comp_targetILNS1_3genE5ELNS1_11target_archE942ELNS1_3gpuE9ELNS1_3repE0EEENS1_52radix_sort_onesweep_histogram_config_static_selectorELNS0_4arch9wavefront6targetE1EEEvSE_
    .private_segment_fixed_size: 0
    .sgpr_count:     4
    .sgpr_spill_count: 0
    .symbol:         _ZN7rocprim17ROCPRIM_400000_NS6detail17trampoline_kernelINS0_14default_configENS1_35radix_sort_onesweep_config_selectorIllEEZNS1_34radix_sort_onesweep_global_offsetsIS3_Lb0EPlN6thrust23THRUST_200600_302600_NS10device_ptrIlEEjNS0_19identity_decomposerEEE10hipError_tT1_T2_PT3_SG_jT4_jjP12ihipStream_tbEUlT_E_NS1_11comp_targetILNS1_3genE5ELNS1_11target_archE942ELNS1_3gpuE9ELNS1_3repE0EEENS1_52radix_sort_onesweep_histogram_config_static_selectorELNS0_4arch9wavefront6targetE1EEEvSE_.kd
    .uniform_work_group_size: 1
    .uses_dynamic_stack: false
    .vgpr_count:     0
    .vgpr_spill_count: 0
    .wavefront_size: 64
  - .args:
      - .offset:         0
        .size:           40
        .value_kind:     by_value
    .group_segment_fixed_size: 32768
    .kernarg_segment_align: 8
    .kernarg_segment_size: 40
    .language:       OpenCL C
    .language_version:
      - 2
      - 0
    .max_flat_workgroup_size: 512
    .name:           _ZN7rocprim17ROCPRIM_400000_NS6detail17trampoline_kernelINS0_14default_configENS1_35radix_sort_onesweep_config_selectorIllEEZNS1_34radix_sort_onesweep_global_offsetsIS3_Lb0EPlN6thrust23THRUST_200600_302600_NS10device_ptrIlEEjNS0_19identity_decomposerEEE10hipError_tT1_T2_PT3_SG_jT4_jjP12ihipStream_tbEUlT_E_NS1_11comp_targetILNS1_3genE2ELNS1_11target_archE906ELNS1_3gpuE6ELNS1_3repE0EEENS1_52radix_sort_onesweep_histogram_config_static_selectorELNS0_4arch9wavefront6targetE1EEEvSE_
    .private_segment_fixed_size: 0
    .sgpr_count:     23
    .sgpr_spill_count: 0
    .symbol:         _ZN7rocprim17ROCPRIM_400000_NS6detail17trampoline_kernelINS0_14default_configENS1_35radix_sort_onesweep_config_selectorIllEEZNS1_34radix_sort_onesweep_global_offsetsIS3_Lb0EPlN6thrust23THRUST_200600_302600_NS10device_ptrIlEEjNS0_19identity_decomposerEEE10hipError_tT1_T2_PT3_SG_jT4_jjP12ihipStream_tbEUlT_E_NS1_11comp_targetILNS1_3genE2ELNS1_11target_archE906ELNS1_3gpuE6ELNS1_3repE0EEENS1_52radix_sort_onesweep_histogram_config_static_selectorELNS0_4arch9wavefront6targetE1EEEvSE_.kd
    .uniform_work_group_size: 1
    .uses_dynamic_stack: false
    .vgpr_count:     25
    .vgpr_spill_count: 0
    .wavefront_size: 64
  - .args:
      - .offset:         0
        .size:           40
        .value_kind:     by_value
    .group_segment_fixed_size: 0
    .kernarg_segment_align: 8
    .kernarg_segment_size: 40
    .language:       OpenCL C
    .language_version:
      - 2
      - 0
    .max_flat_workgroup_size: 1024
    .name:           _ZN7rocprim17ROCPRIM_400000_NS6detail17trampoline_kernelINS0_14default_configENS1_35radix_sort_onesweep_config_selectorIllEEZNS1_34radix_sort_onesweep_global_offsetsIS3_Lb0EPlN6thrust23THRUST_200600_302600_NS10device_ptrIlEEjNS0_19identity_decomposerEEE10hipError_tT1_T2_PT3_SG_jT4_jjP12ihipStream_tbEUlT_E_NS1_11comp_targetILNS1_3genE4ELNS1_11target_archE910ELNS1_3gpuE8ELNS1_3repE0EEENS1_52radix_sort_onesweep_histogram_config_static_selectorELNS0_4arch9wavefront6targetE1EEEvSE_
    .private_segment_fixed_size: 0
    .sgpr_count:     4
    .sgpr_spill_count: 0
    .symbol:         _ZN7rocprim17ROCPRIM_400000_NS6detail17trampoline_kernelINS0_14default_configENS1_35radix_sort_onesweep_config_selectorIllEEZNS1_34radix_sort_onesweep_global_offsetsIS3_Lb0EPlN6thrust23THRUST_200600_302600_NS10device_ptrIlEEjNS0_19identity_decomposerEEE10hipError_tT1_T2_PT3_SG_jT4_jjP12ihipStream_tbEUlT_E_NS1_11comp_targetILNS1_3genE4ELNS1_11target_archE910ELNS1_3gpuE8ELNS1_3repE0EEENS1_52radix_sort_onesweep_histogram_config_static_selectorELNS0_4arch9wavefront6targetE1EEEvSE_.kd
    .uniform_work_group_size: 1
    .uses_dynamic_stack: false
    .vgpr_count:     0
    .vgpr_spill_count: 0
    .wavefront_size: 64
  - .args:
      - .offset:         0
        .size:           40
        .value_kind:     by_value
    .group_segment_fixed_size: 0
    .kernarg_segment_align: 8
    .kernarg_segment_size: 40
    .language:       OpenCL C
    .language_version:
      - 2
      - 0
    .max_flat_workgroup_size: 512
    .name:           _ZN7rocprim17ROCPRIM_400000_NS6detail17trampoline_kernelINS0_14default_configENS1_35radix_sort_onesweep_config_selectorIllEEZNS1_34radix_sort_onesweep_global_offsetsIS3_Lb0EPlN6thrust23THRUST_200600_302600_NS10device_ptrIlEEjNS0_19identity_decomposerEEE10hipError_tT1_T2_PT3_SG_jT4_jjP12ihipStream_tbEUlT_E_NS1_11comp_targetILNS1_3genE3ELNS1_11target_archE908ELNS1_3gpuE7ELNS1_3repE0EEENS1_52radix_sort_onesweep_histogram_config_static_selectorELNS0_4arch9wavefront6targetE1EEEvSE_
    .private_segment_fixed_size: 0
    .sgpr_count:     4
    .sgpr_spill_count: 0
    .symbol:         _ZN7rocprim17ROCPRIM_400000_NS6detail17trampoline_kernelINS0_14default_configENS1_35radix_sort_onesweep_config_selectorIllEEZNS1_34radix_sort_onesweep_global_offsetsIS3_Lb0EPlN6thrust23THRUST_200600_302600_NS10device_ptrIlEEjNS0_19identity_decomposerEEE10hipError_tT1_T2_PT3_SG_jT4_jjP12ihipStream_tbEUlT_E_NS1_11comp_targetILNS1_3genE3ELNS1_11target_archE908ELNS1_3gpuE7ELNS1_3repE0EEENS1_52radix_sort_onesweep_histogram_config_static_selectorELNS0_4arch9wavefront6targetE1EEEvSE_.kd
    .uniform_work_group_size: 1
    .uses_dynamic_stack: false
    .vgpr_count:     0
    .vgpr_spill_count: 0
    .wavefront_size: 64
  - .args:
      - .offset:         0
        .size:           40
        .value_kind:     by_value
    .group_segment_fixed_size: 0
    .kernarg_segment_align: 8
    .kernarg_segment_size: 40
    .language:       OpenCL C
    .language_version:
      - 2
      - 0
    .max_flat_workgroup_size: 1024
    .name:           _ZN7rocprim17ROCPRIM_400000_NS6detail17trampoline_kernelINS0_14default_configENS1_35radix_sort_onesweep_config_selectorIllEEZNS1_34radix_sort_onesweep_global_offsetsIS3_Lb0EPlN6thrust23THRUST_200600_302600_NS10device_ptrIlEEjNS0_19identity_decomposerEEE10hipError_tT1_T2_PT3_SG_jT4_jjP12ihipStream_tbEUlT_E_NS1_11comp_targetILNS1_3genE10ELNS1_11target_archE1201ELNS1_3gpuE5ELNS1_3repE0EEENS1_52radix_sort_onesweep_histogram_config_static_selectorELNS0_4arch9wavefront6targetE1EEEvSE_
    .private_segment_fixed_size: 0
    .sgpr_count:     4
    .sgpr_spill_count: 0
    .symbol:         _ZN7rocprim17ROCPRIM_400000_NS6detail17trampoline_kernelINS0_14default_configENS1_35radix_sort_onesweep_config_selectorIllEEZNS1_34radix_sort_onesweep_global_offsetsIS3_Lb0EPlN6thrust23THRUST_200600_302600_NS10device_ptrIlEEjNS0_19identity_decomposerEEE10hipError_tT1_T2_PT3_SG_jT4_jjP12ihipStream_tbEUlT_E_NS1_11comp_targetILNS1_3genE10ELNS1_11target_archE1201ELNS1_3gpuE5ELNS1_3repE0EEENS1_52radix_sort_onesweep_histogram_config_static_selectorELNS0_4arch9wavefront6targetE1EEEvSE_.kd
    .uniform_work_group_size: 1
    .uses_dynamic_stack: false
    .vgpr_count:     0
    .vgpr_spill_count: 0
    .wavefront_size: 64
  - .args:
      - .offset:         0
        .size:           40
        .value_kind:     by_value
    .group_segment_fixed_size: 0
    .kernarg_segment_align: 8
    .kernarg_segment_size: 40
    .language:       OpenCL C
    .language_version:
      - 2
      - 0
    .max_flat_workgroup_size: 1024
    .name:           _ZN7rocprim17ROCPRIM_400000_NS6detail17trampoline_kernelINS0_14default_configENS1_35radix_sort_onesweep_config_selectorIllEEZNS1_34radix_sort_onesweep_global_offsetsIS3_Lb0EPlN6thrust23THRUST_200600_302600_NS10device_ptrIlEEjNS0_19identity_decomposerEEE10hipError_tT1_T2_PT3_SG_jT4_jjP12ihipStream_tbEUlT_E_NS1_11comp_targetILNS1_3genE9ELNS1_11target_archE1100ELNS1_3gpuE3ELNS1_3repE0EEENS1_52radix_sort_onesweep_histogram_config_static_selectorELNS0_4arch9wavefront6targetE1EEEvSE_
    .private_segment_fixed_size: 0
    .sgpr_count:     4
    .sgpr_spill_count: 0
    .symbol:         _ZN7rocprim17ROCPRIM_400000_NS6detail17trampoline_kernelINS0_14default_configENS1_35radix_sort_onesweep_config_selectorIllEEZNS1_34radix_sort_onesweep_global_offsetsIS3_Lb0EPlN6thrust23THRUST_200600_302600_NS10device_ptrIlEEjNS0_19identity_decomposerEEE10hipError_tT1_T2_PT3_SG_jT4_jjP12ihipStream_tbEUlT_E_NS1_11comp_targetILNS1_3genE9ELNS1_11target_archE1100ELNS1_3gpuE3ELNS1_3repE0EEENS1_52radix_sort_onesweep_histogram_config_static_selectorELNS0_4arch9wavefront6targetE1EEEvSE_.kd
    .uniform_work_group_size: 1
    .uses_dynamic_stack: false
    .vgpr_count:     0
    .vgpr_spill_count: 0
    .wavefront_size: 64
  - .args:
      - .offset:         0
        .size:           40
        .value_kind:     by_value
    .group_segment_fixed_size: 0
    .kernarg_segment_align: 8
    .kernarg_segment_size: 40
    .language:       OpenCL C
    .language_version:
      - 2
      - 0
    .max_flat_workgroup_size: 1024
    .name:           _ZN7rocprim17ROCPRIM_400000_NS6detail17trampoline_kernelINS0_14default_configENS1_35radix_sort_onesweep_config_selectorIllEEZNS1_34radix_sort_onesweep_global_offsetsIS3_Lb0EPlN6thrust23THRUST_200600_302600_NS10device_ptrIlEEjNS0_19identity_decomposerEEE10hipError_tT1_T2_PT3_SG_jT4_jjP12ihipStream_tbEUlT_E_NS1_11comp_targetILNS1_3genE8ELNS1_11target_archE1030ELNS1_3gpuE2ELNS1_3repE0EEENS1_52radix_sort_onesweep_histogram_config_static_selectorELNS0_4arch9wavefront6targetE1EEEvSE_
    .private_segment_fixed_size: 0
    .sgpr_count:     4
    .sgpr_spill_count: 0
    .symbol:         _ZN7rocprim17ROCPRIM_400000_NS6detail17trampoline_kernelINS0_14default_configENS1_35radix_sort_onesweep_config_selectorIllEEZNS1_34radix_sort_onesweep_global_offsetsIS3_Lb0EPlN6thrust23THRUST_200600_302600_NS10device_ptrIlEEjNS0_19identity_decomposerEEE10hipError_tT1_T2_PT3_SG_jT4_jjP12ihipStream_tbEUlT_E_NS1_11comp_targetILNS1_3genE8ELNS1_11target_archE1030ELNS1_3gpuE2ELNS1_3repE0EEENS1_52radix_sort_onesweep_histogram_config_static_selectorELNS0_4arch9wavefront6targetE1EEEvSE_.kd
    .uniform_work_group_size: 1
    .uses_dynamic_stack: false
    .vgpr_count:     0
    .vgpr_spill_count: 0
    .wavefront_size: 64
  - .args:
      - .address_space:  global
        .offset:         0
        .size:           8
        .value_kind:     global_buffer
    .group_segment_fixed_size: 0
    .kernarg_segment_align: 8
    .kernarg_segment_size: 8
    .language:       OpenCL C
    .language_version:
      - 2
      - 0
    .max_flat_workgroup_size: 512
    .name:           _ZN7rocprim17ROCPRIM_400000_NS6detail17trampoline_kernelINS0_14default_configENS1_35radix_sort_onesweep_config_selectorIllEEZNS1_34radix_sort_onesweep_global_offsetsIS3_Lb0EPlN6thrust23THRUST_200600_302600_NS10device_ptrIlEEjNS0_19identity_decomposerEEE10hipError_tT1_T2_PT3_SG_jT4_jjP12ihipStream_tbEUlT_E0_NS1_11comp_targetILNS1_3genE0ELNS1_11target_archE4294967295ELNS1_3gpuE0ELNS1_3repE0EEENS1_52radix_sort_onesweep_histogram_config_static_selectorELNS0_4arch9wavefront6targetE1EEEvSE_
    .private_segment_fixed_size: 0
    .sgpr_count:     4
    .sgpr_spill_count: 0
    .symbol:         _ZN7rocprim17ROCPRIM_400000_NS6detail17trampoline_kernelINS0_14default_configENS1_35radix_sort_onesweep_config_selectorIllEEZNS1_34radix_sort_onesweep_global_offsetsIS3_Lb0EPlN6thrust23THRUST_200600_302600_NS10device_ptrIlEEjNS0_19identity_decomposerEEE10hipError_tT1_T2_PT3_SG_jT4_jjP12ihipStream_tbEUlT_E0_NS1_11comp_targetILNS1_3genE0ELNS1_11target_archE4294967295ELNS1_3gpuE0ELNS1_3repE0EEENS1_52radix_sort_onesweep_histogram_config_static_selectorELNS0_4arch9wavefront6targetE1EEEvSE_.kd
    .uniform_work_group_size: 1
    .uses_dynamic_stack: false
    .vgpr_count:     0
    .vgpr_spill_count: 0
    .wavefront_size: 64
  - .args:
      - .address_space:  global
        .offset:         0
        .size:           8
        .value_kind:     global_buffer
    .group_segment_fixed_size: 0
    .kernarg_segment_align: 8
    .kernarg_segment_size: 8
    .language:       OpenCL C
    .language_version:
      - 2
      - 0
    .max_flat_workgroup_size: 1024
    .name:           _ZN7rocprim17ROCPRIM_400000_NS6detail17trampoline_kernelINS0_14default_configENS1_35radix_sort_onesweep_config_selectorIllEEZNS1_34radix_sort_onesweep_global_offsetsIS3_Lb0EPlN6thrust23THRUST_200600_302600_NS10device_ptrIlEEjNS0_19identity_decomposerEEE10hipError_tT1_T2_PT3_SG_jT4_jjP12ihipStream_tbEUlT_E0_NS1_11comp_targetILNS1_3genE6ELNS1_11target_archE950ELNS1_3gpuE13ELNS1_3repE0EEENS1_52radix_sort_onesweep_histogram_config_static_selectorELNS0_4arch9wavefront6targetE1EEEvSE_
    .private_segment_fixed_size: 0
    .sgpr_count:     4
    .sgpr_spill_count: 0
    .symbol:         _ZN7rocprim17ROCPRIM_400000_NS6detail17trampoline_kernelINS0_14default_configENS1_35radix_sort_onesweep_config_selectorIllEEZNS1_34radix_sort_onesweep_global_offsetsIS3_Lb0EPlN6thrust23THRUST_200600_302600_NS10device_ptrIlEEjNS0_19identity_decomposerEEE10hipError_tT1_T2_PT3_SG_jT4_jjP12ihipStream_tbEUlT_E0_NS1_11comp_targetILNS1_3genE6ELNS1_11target_archE950ELNS1_3gpuE13ELNS1_3repE0EEENS1_52radix_sort_onesweep_histogram_config_static_selectorELNS0_4arch9wavefront6targetE1EEEvSE_.kd
    .uniform_work_group_size: 1
    .uses_dynamic_stack: false
    .vgpr_count:     0
    .vgpr_spill_count: 0
    .wavefront_size: 64
  - .args:
      - .address_space:  global
        .offset:         0
        .size:           8
        .value_kind:     global_buffer
    .group_segment_fixed_size: 0
    .kernarg_segment_align: 8
    .kernarg_segment_size: 8
    .language:       OpenCL C
    .language_version:
      - 2
      - 0
    .max_flat_workgroup_size: 1024
    .name:           _ZN7rocprim17ROCPRIM_400000_NS6detail17trampoline_kernelINS0_14default_configENS1_35radix_sort_onesweep_config_selectorIllEEZNS1_34radix_sort_onesweep_global_offsetsIS3_Lb0EPlN6thrust23THRUST_200600_302600_NS10device_ptrIlEEjNS0_19identity_decomposerEEE10hipError_tT1_T2_PT3_SG_jT4_jjP12ihipStream_tbEUlT_E0_NS1_11comp_targetILNS1_3genE5ELNS1_11target_archE942ELNS1_3gpuE9ELNS1_3repE0EEENS1_52radix_sort_onesweep_histogram_config_static_selectorELNS0_4arch9wavefront6targetE1EEEvSE_
    .private_segment_fixed_size: 0
    .sgpr_count:     4
    .sgpr_spill_count: 0
    .symbol:         _ZN7rocprim17ROCPRIM_400000_NS6detail17trampoline_kernelINS0_14default_configENS1_35radix_sort_onesweep_config_selectorIllEEZNS1_34radix_sort_onesweep_global_offsetsIS3_Lb0EPlN6thrust23THRUST_200600_302600_NS10device_ptrIlEEjNS0_19identity_decomposerEEE10hipError_tT1_T2_PT3_SG_jT4_jjP12ihipStream_tbEUlT_E0_NS1_11comp_targetILNS1_3genE5ELNS1_11target_archE942ELNS1_3gpuE9ELNS1_3repE0EEENS1_52radix_sort_onesweep_histogram_config_static_selectorELNS0_4arch9wavefront6targetE1EEEvSE_.kd
    .uniform_work_group_size: 1
    .uses_dynamic_stack: false
    .vgpr_count:     0
    .vgpr_spill_count: 0
    .wavefront_size: 64
  - .args:
      - .address_space:  global
        .offset:         0
        .size:           8
        .value_kind:     global_buffer
    .group_segment_fixed_size: 32
    .kernarg_segment_align: 8
    .kernarg_segment_size: 8
    .language:       OpenCL C
    .language_version:
      - 2
      - 0
    .max_flat_workgroup_size: 512
    .name:           _ZN7rocprim17ROCPRIM_400000_NS6detail17trampoline_kernelINS0_14default_configENS1_35radix_sort_onesweep_config_selectorIllEEZNS1_34radix_sort_onesweep_global_offsetsIS3_Lb0EPlN6thrust23THRUST_200600_302600_NS10device_ptrIlEEjNS0_19identity_decomposerEEE10hipError_tT1_T2_PT3_SG_jT4_jjP12ihipStream_tbEUlT_E0_NS1_11comp_targetILNS1_3genE2ELNS1_11target_archE906ELNS1_3gpuE6ELNS1_3repE0EEENS1_52radix_sort_onesweep_histogram_config_static_selectorELNS0_4arch9wavefront6targetE1EEEvSE_
    .private_segment_fixed_size: 0
    .sgpr_count:     11
    .sgpr_spill_count: 0
    .symbol:         _ZN7rocprim17ROCPRIM_400000_NS6detail17trampoline_kernelINS0_14default_configENS1_35radix_sort_onesweep_config_selectorIllEEZNS1_34radix_sort_onesweep_global_offsetsIS3_Lb0EPlN6thrust23THRUST_200600_302600_NS10device_ptrIlEEjNS0_19identity_decomposerEEE10hipError_tT1_T2_PT3_SG_jT4_jjP12ihipStream_tbEUlT_E0_NS1_11comp_targetILNS1_3genE2ELNS1_11target_archE906ELNS1_3gpuE6ELNS1_3repE0EEENS1_52radix_sort_onesweep_histogram_config_static_selectorELNS0_4arch9wavefront6targetE1EEEvSE_.kd
    .uniform_work_group_size: 1
    .uses_dynamic_stack: false
    .vgpr_count:     8
    .vgpr_spill_count: 0
    .wavefront_size: 64
  - .args:
      - .address_space:  global
        .offset:         0
        .size:           8
        .value_kind:     global_buffer
    .group_segment_fixed_size: 0
    .kernarg_segment_align: 8
    .kernarg_segment_size: 8
    .language:       OpenCL C
    .language_version:
      - 2
      - 0
    .max_flat_workgroup_size: 1024
    .name:           _ZN7rocprim17ROCPRIM_400000_NS6detail17trampoline_kernelINS0_14default_configENS1_35radix_sort_onesweep_config_selectorIllEEZNS1_34radix_sort_onesweep_global_offsetsIS3_Lb0EPlN6thrust23THRUST_200600_302600_NS10device_ptrIlEEjNS0_19identity_decomposerEEE10hipError_tT1_T2_PT3_SG_jT4_jjP12ihipStream_tbEUlT_E0_NS1_11comp_targetILNS1_3genE4ELNS1_11target_archE910ELNS1_3gpuE8ELNS1_3repE0EEENS1_52radix_sort_onesweep_histogram_config_static_selectorELNS0_4arch9wavefront6targetE1EEEvSE_
    .private_segment_fixed_size: 0
    .sgpr_count:     4
    .sgpr_spill_count: 0
    .symbol:         _ZN7rocprim17ROCPRIM_400000_NS6detail17trampoline_kernelINS0_14default_configENS1_35radix_sort_onesweep_config_selectorIllEEZNS1_34radix_sort_onesweep_global_offsetsIS3_Lb0EPlN6thrust23THRUST_200600_302600_NS10device_ptrIlEEjNS0_19identity_decomposerEEE10hipError_tT1_T2_PT3_SG_jT4_jjP12ihipStream_tbEUlT_E0_NS1_11comp_targetILNS1_3genE4ELNS1_11target_archE910ELNS1_3gpuE8ELNS1_3repE0EEENS1_52radix_sort_onesweep_histogram_config_static_selectorELNS0_4arch9wavefront6targetE1EEEvSE_.kd
    .uniform_work_group_size: 1
    .uses_dynamic_stack: false
    .vgpr_count:     0
    .vgpr_spill_count: 0
    .wavefront_size: 64
  - .args:
      - .address_space:  global
        .offset:         0
        .size:           8
        .value_kind:     global_buffer
    .group_segment_fixed_size: 0
    .kernarg_segment_align: 8
    .kernarg_segment_size: 8
    .language:       OpenCL C
    .language_version:
      - 2
      - 0
    .max_flat_workgroup_size: 512
    .name:           _ZN7rocprim17ROCPRIM_400000_NS6detail17trampoline_kernelINS0_14default_configENS1_35radix_sort_onesweep_config_selectorIllEEZNS1_34radix_sort_onesweep_global_offsetsIS3_Lb0EPlN6thrust23THRUST_200600_302600_NS10device_ptrIlEEjNS0_19identity_decomposerEEE10hipError_tT1_T2_PT3_SG_jT4_jjP12ihipStream_tbEUlT_E0_NS1_11comp_targetILNS1_3genE3ELNS1_11target_archE908ELNS1_3gpuE7ELNS1_3repE0EEENS1_52radix_sort_onesweep_histogram_config_static_selectorELNS0_4arch9wavefront6targetE1EEEvSE_
    .private_segment_fixed_size: 0
    .sgpr_count:     4
    .sgpr_spill_count: 0
    .symbol:         _ZN7rocprim17ROCPRIM_400000_NS6detail17trampoline_kernelINS0_14default_configENS1_35radix_sort_onesweep_config_selectorIllEEZNS1_34radix_sort_onesweep_global_offsetsIS3_Lb0EPlN6thrust23THRUST_200600_302600_NS10device_ptrIlEEjNS0_19identity_decomposerEEE10hipError_tT1_T2_PT3_SG_jT4_jjP12ihipStream_tbEUlT_E0_NS1_11comp_targetILNS1_3genE3ELNS1_11target_archE908ELNS1_3gpuE7ELNS1_3repE0EEENS1_52radix_sort_onesweep_histogram_config_static_selectorELNS0_4arch9wavefront6targetE1EEEvSE_.kd
    .uniform_work_group_size: 1
    .uses_dynamic_stack: false
    .vgpr_count:     0
    .vgpr_spill_count: 0
    .wavefront_size: 64
  - .args:
      - .address_space:  global
        .offset:         0
        .size:           8
        .value_kind:     global_buffer
    .group_segment_fixed_size: 0
    .kernarg_segment_align: 8
    .kernarg_segment_size: 8
    .language:       OpenCL C
    .language_version:
      - 2
      - 0
    .max_flat_workgroup_size: 1024
    .name:           _ZN7rocprim17ROCPRIM_400000_NS6detail17trampoline_kernelINS0_14default_configENS1_35radix_sort_onesweep_config_selectorIllEEZNS1_34radix_sort_onesweep_global_offsetsIS3_Lb0EPlN6thrust23THRUST_200600_302600_NS10device_ptrIlEEjNS0_19identity_decomposerEEE10hipError_tT1_T2_PT3_SG_jT4_jjP12ihipStream_tbEUlT_E0_NS1_11comp_targetILNS1_3genE10ELNS1_11target_archE1201ELNS1_3gpuE5ELNS1_3repE0EEENS1_52radix_sort_onesweep_histogram_config_static_selectorELNS0_4arch9wavefront6targetE1EEEvSE_
    .private_segment_fixed_size: 0
    .sgpr_count:     4
    .sgpr_spill_count: 0
    .symbol:         _ZN7rocprim17ROCPRIM_400000_NS6detail17trampoline_kernelINS0_14default_configENS1_35radix_sort_onesweep_config_selectorIllEEZNS1_34radix_sort_onesweep_global_offsetsIS3_Lb0EPlN6thrust23THRUST_200600_302600_NS10device_ptrIlEEjNS0_19identity_decomposerEEE10hipError_tT1_T2_PT3_SG_jT4_jjP12ihipStream_tbEUlT_E0_NS1_11comp_targetILNS1_3genE10ELNS1_11target_archE1201ELNS1_3gpuE5ELNS1_3repE0EEENS1_52radix_sort_onesweep_histogram_config_static_selectorELNS0_4arch9wavefront6targetE1EEEvSE_.kd
    .uniform_work_group_size: 1
    .uses_dynamic_stack: false
    .vgpr_count:     0
    .vgpr_spill_count: 0
    .wavefront_size: 64
  - .args:
      - .address_space:  global
        .offset:         0
        .size:           8
        .value_kind:     global_buffer
    .group_segment_fixed_size: 0
    .kernarg_segment_align: 8
    .kernarg_segment_size: 8
    .language:       OpenCL C
    .language_version:
      - 2
      - 0
    .max_flat_workgroup_size: 1024
    .name:           _ZN7rocprim17ROCPRIM_400000_NS6detail17trampoline_kernelINS0_14default_configENS1_35radix_sort_onesweep_config_selectorIllEEZNS1_34radix_sort_onesweep_global_offsetsIS3_Lb0EPlN6thrust23THRUST_200600_302600_NS10device_ptrIlEEjNS0_19identity_decomposerEEE10hipError_tT1_T2_PT3_SG_jT4_jjP12ihipStream_tbEUlT_E0_NS1_11comp_targetILNS1_3genE9ELNS1_11target_archE1100ELNS1_3gpuE3ELNS1_3repE0EEENS1_52radix_sort_onesweep_histogram_config_static_selectorELNS0_4arch9wavefront6targetE1EEEvSE_
    .private_segment_fixed_size: 0
    .sgpr_count:     4
    .sgpr_spill_count: 0
    .symbol:         _ZN7rocprim17ROCPRIM_400000_NS6detail17trampoline_kernelINS0_14default_configENS1_35radix_sort_onesweep_config_selectorIllEEZNS1_34radix_sort_onesweep_global_offsetsIS3_Lb0EPlN6thrust23THRUST_200600_302600_NS10device_ptrIlEEjNS0_19identity_decomposerEEE10hipError_tT1_T2_PT3_SG_jT4_jjP12ihipStream_tbEUlT_E0_NS1_11comp_targetILNS1_3genE9ELNS1_11target_archE1100ELNS1_3gpuE3ELNS1_3repE0EEENS1_52radix_sort_onesweep_histogram_config_static_selectorELNS0_4arch9wavefront6targetE1EEEvSE_.kd
    .uniform_work_group_size: 1
    .uses_dynamic_stack: false
    .vgpr_count:     0
    .vgpr_spill_count: 0
    .wavefront_size: 64
  - .args:
      - .address_space:  global
        .offset:         0
        .size:           8
        .value_kind:     global_buffer
    .group_segment_fixed_size: 0
    .kernarg_segment_align: 8
    .kernarg_segment_size: 8
    .language:       OpenCL C
    .language_version:
      - 2
      - 0
    .max_flat_workgroup_size: 1024
    .name:           _ZN7rocprim17ROCPRIM_400000_NS6detail17trampoline_kernelINS0_14default_configENS1_35radix_sort_onesweep_config_selectorIllEEZNS1_34radix_sort_onesweep_global_offsetsIS3_Lb0EPlN6thrust23THRUST_200600_302600_NS10device_ptrIlEEjNS0_19identity_decomposerEEE10hipError_tT1_T2_PT3_SG_jT4_jjP12ihipStream_tbEUlT_E0_NS1_11comp_targetILNS1_3genE8ELNS1_11target_archE1030ELNS1_3gpuE2ELNS1_3repE0EEENS1_52radix_sort_onesweep_histogram_config_static_selectorELNS0_4arch9wavefront6targetE1EEEvSE_
    .private_segment_fixed_size: 0
    .sgpr_count:     4
    .sgpr_spill_count: 0
    .symbol:         _ZN7rocprim17ROCPRIM_400000_NS6detail17trampoline_kernelINS0_14default_configENS1_35radix_sort_onesweep_config_selectorIllEEZNS1_34radix_sort_onesweep_global_offsetsIS3_Lb0EPlN6thrust23THRUST_200600_302600_NS10device_ptrIlEEjNS0_19identity_decomposerEEE10hipError_tT1_T2_PT3_SG_jT4_jjP12ihipStream_tbEUlT_E0_NS1_11comp_targetILNS1_3genE8ELNS1_11target_archE1030ELNS1_3gpuE2ELNS1_3repE0EEENS1_52radix_sort_onesweep_histogram_config_static_selectorELNS0_4arch9wavefront6targetE1EEEvSE_.kd
    .uniform_work_group_size: 1
    .uses_dynamic_stack: false
    .vgpr_count:     0
    .vgpr_spill_count: 0
    .wavefront_size: 64
  - .args:
      - .offset:         0
        .size:           88
        .value_kind:     by_value
    .group_segment_fixed_size: 0
    .kernarg_segment_align: 8
    .kernarg_segment_size: 88
    .language:       OpenCL C
    .language_version:
      - 2
      - 0
    .max_flat_workgroup_size: 512
    .name:           _ZN7rocprim17ROCPRIM_400000_NS6detail17trampoline_kernelINS0_14default_configENS1_35radix_sort_onesweep_config_selectorIllEEZZNS1_29radix_sort_onesweep_iterationIS3_Lb0EPlS7_N6thrust23THRUST_200600_302600_NS10device_ptrIlEESB_jNS0_19identity_decomposerENS1_16block_id_wrapperIjLb1EEEEE10hipError_tT1_PNSt15iterator_traitsISG_E10value_typeET2_T3_PNSH_ISM_E10value_typeET4_T5_PSR_SS_PNS1_23onesweep_lookback_stateEbbT6_jjT7_P12ihipStream_tbENKUlT_T0_SG_SL_E_clIS7_S7_SB_SB_EEDaSZ_S10_SG_SL_EUlSZ_E_NS1_11comp_targetILNS1_3genE0ELNS1_11target_archE4294967295ELNS1_3gpuE0ELNS1_3repE0EEENS1_47radix_sort_onesweep_sort_config_static_selectorELNS0_4arch9wavefront6targetE1EEEvSG_
    .private_segment_fixed_size: 0
    .sgpr_count:     4
    .sgpr_spill_count: 0
    .symbol:         _ZN7rocprim17ROCPRIM_400000_NS6detail17trampoline_kernelINS0_14default_configENS1_35radix_sort_onesweep_config_selectorIllEEZZNS1_29radix_sort_onesweep_iterationIS3_Lb0EPlS7_N6thrust23THRUST_200600_302600_NS10device_ptrIlEESB_jNS0_19identity_decomposerENS1_16block_id_wrapperIjLb1EEEEE10hipError_tT1_PNSt15iterator_traitsISG_E10value_typeET2_T3_PNSH_ISM_E10value_typeET4_T5_PSR_SS_PNS1_23onesweep_lookback_stateEbbT6_jjT7_P12ihipStream_tbENKUlT_T0_SG_SL_E_clIS7_S7_SB_SB_EEDaSZ_S10_SG_SL_EUlSZ_E_NS1_11comp_targetILNS1_3genE0ELNS1_11target_archE4294967295ELNS1_3gpuE0ELNS1_3repE0EEENS1_47radix_sort_onesweep_sort_config_static_selectorELNS0_4arch9wavefront6targetE1EEEvSG_.kd
    .uniform_work_group_size: 1
    .uses_dynamic_stack: false
    .vgpr_count:     0
    .vgpr_spill_count: 0
    .wavefront_size: 64
  - .args:
      - .offset:         0
        .size:           88
        .value_kind:     by_value
    .group_segment_fixed_size: 0
    .kernarg_segment_align: 8
    .kernarg_segment_size: 88
    .language:       OpenCL C
    .language_version:
      - 2
      - 0
    .max_flat_workgroup_size: 1024
    .name:           _ZN7rocprim17ROCPRIM_400000_NS6detail17trampoline_kernelINS0_14default_configENS1_35radix_sort_onesweep_config_selectorIllEEZZNS1_29radix_sort_onesweep_iterationIS3_Lb0EPlS7_N6thrust23THRUST_200600_302600_NS10device_ptrIlEESB_jNS0_19identity_decomposerENS1_16block_id_wrapperIjLb1EEEEE10hipError_tT1_PNSt15iterator_traitsISG_E10value_typeET2_T3_PNSH_ISM_E10value_typeET4_T5_PSR_SS_PNS1_23onesweep_lookback_stateEbbT6_jjT7_P12ihipStream_tbENKUlT_T0_SG_SL_E_clIS7_S7_SB_SB_EEDaSZ_S10_SG_SL_EUlSZ_E_NS1_11comp_targetILNS1_3genE6ELNS1_11target_archE950ELNS1_3gpuE13ELNS1_3repE0EEENS1_47radix_sort_onesweep_sort_config_static_selectorELNS0_4arch9wavefront6targetE1EEEvSG_
    .private_segment_fixed_size: 0
    .sgpr_count:     4
    .sgpr_spill_count: 0
    .symbol:         _ZN7rocprim17ROCPRIM_400000_NS6detail17trampoline_kernelINS0_14default_configENS1_35radix_sort_onesweep_config_selectorIllEEZZNS1_29radix_sort_onesweep_iterationIS3_Lb0EPlS7_N6thrust23THRUST_200600_302600_NS10device_ptrIlEESB_jNS0_19identity_decomposerENS1_16block_id_wrapperIjLb1EEEEE10hipError_tT1_PNSt15iterator_traitsISG_E10value_typeET2_T3_PNSH_ISM_E10value_typeET4_T5_PSR_SS_PNS1_23onesweep_lookback_stateEbbT6_jjT7_P12ihipStream_tbENKUlT_T0_SG_SL_E_clIS7_S7_SB_SB_EEDaSZ_S10_SG_SL_EUlSZ_E_NS1_11comp_targetILNS1_3genE6ELNS1_11target_archE950ELNS1_3gpuE13ELNS1_3repE0EEENS1_47radix_sort_onesweep_sort_config_static_selectorELNS0_4arch9wavefront6targetE1EEEvSG_.kd
    .uniform_work_group_size: 1
    .uses_dynamic_stack: false
    .vgpr_count:     0
    .vgpr_spill_count: 0
    .wavefront_size: 64
  - .args:
      - .offset:         0
        .size:           88
        .value_kind:     by_value
    .group_segment_fixed_size: 0
    .kernarg_segment_align: 8
    .kernarg_segment_size: 88
    .language:       OpenCL C
    .language_version:
      - 2
      - 0
    .max_flat_workgroup_size: 1024
    .name:           _ZN7rocprim17ROCPRIM_400000_NS6detail17trampoline_kernelINS0_14default_configENS1_35radix_sort_onesweep_config_selectorIllEEZZNS1_29radix_sort_onesweep_iterationIS3_Lb0EPlS7_N6thrust23THRUST_200600_302600_NS10device_ptrIlEESB_jNS0_19identity_decomposerENS1_16block_id_wrapperIjLb1EEEEE10hipError_tT1_PNSt15iterator_traitsISG_E10value_typeET2_T3_PNSH_ISM_E10value_typeET4_T5_PSR_SS_PNS1_23onesweep_lookback_stateEbbT6_jjT7_P12ihipStream_tbENKUlT_T0_SG_SL_E_clIS7_S7_SB_SB_EEDaSZ_S10_SG_SL_EUlSZ_E_NS1_11comp_targetILNS1_3genE5ELNS1_11target_archE942ELNS1_3gpuE9ELNS1_3repE0EEENS1_47radix_sort_onesweep_sort_config_static_selectorELNS0_4arch9wavefront6targetE1EEEvSG_
    .private_segment_fixed_size: 0
    .sgpr_count:     4
    .sgpr_spill_count: 0
    .symbol:         _ZN7rocprim17ROCPRIM_400000_NS6detail17trampoline_kernelINS0_14default_configENS1_35radix_sort_onesweep_config_selectorIllEEZZNS1_29radix_sort_onesweep_iterationIS3_Lb0EPlS7_N6thrust23THRUST_200600_302600_NS10device_ptrIlEESB_jNS0_19identity_decomposerENS1_16block_id_wrapperIjLb1EEEEE10hipError_tT1_PNSt15iterator_traitsISG_E10value_typeET2_T3_PNSH_ISM_E10value_typeET4_T5_PSR_SS_PNS1_23onesweep_lookback_stateEbbT6_jjT7_P12ihipStream_tbENKUlT_T0_SG_SL_E_clIS7_S7_SB_SB_EEDaSZ_S10_SG_SL_EUlSZ_E_NS1_11comp_targetILNS1_3genE5ELNS1_11target_archE942ELNS1_3gpuE9ELNS1_3repE0EEENS1_47radix_sort_onesweep_sort_config_static_selectorELNS0_4arch9wavefront6targetE1EEEvSG_.kd
    .uniform_work_group_size: 1
    .uses_dynamic_stack: false
    .vgpr_count:     0
    .vgpr_spill_count: 0
    .wavefront_size: 64
  - .args:
      - .offset:         0
        .size:           88
        .value_kind:     by_value
      - .offset:         88
        .size:           4
        .value_kind:     hidden_block_count_x
      - .offset:         92
        .size:           4
        .value_kind:     hidden_block_count_y
      - .offset:         96
        .size:           4
        .value_kind:     hidden_block_count_z
      - .offset:         100
        .size:           2
        .value_kind:     hidden_group_size_x
      - .offset:         102
        .size:           2
        .value_kind:     hidden_group_size_y
      - .offset:         104
        .size:           2
        .value_kind:     hidden_group_size_z
      - .offset:         106
        .size:           2
        .value_kind:     hidden_remainder_x
      - .offset:         108
        .size:           2
        .value_kind:     hidden_remainder_y
      - .offset:         110
        .size:           2
        .value_kind:     hidden_remainder_z
      - .offset:         128
        .size:           8
        .value_kind:     hidden_global_offset_x
      - .offset:         136
        .size:           8
        .value_kind:     hidden_global_offset_y
      - .offset:         144
        .size:           8
        .value_kind:     hidden_global_offset_z
      - .offset:         152
        .size:           2
        .value_kind:     hidden_grid_dims
    .group_segment_fixed_size: 10280
    .kernarg_segment_align: 8
    .kernarg_segment_size: 344
    .language:       OpenCL C
    .language_version:
      - 2
      - 0
    .max_flat_workgroup_size: 512
    .name:           _ZN7rocprim17ROCPRIM_400000_NS6detail17trampoline_kernelINS0_14default_configENS1_35radix_sort_onesweep_config_selectorIllEEZZNS1_29radix_sort_onesweep_iterationIS3_Lb0EPlS7_N6thrust23THRUST_200600_302600_NS10device_ptrIlEESB_jNS0_19identity_decomposerENS1_16block_id_wrapperIjLb1EEEEE10hipError_tT1_PNSt15iterator_traitsISG_E10value_typeET2_T3_PNSH_ISM_E10value_typeET4_T5_PSR_SS_PNS1_23onesweep_lookback_stateEbbT6_jjT7_P12ihipStream_tbENKUlT_T0_SG_SL_E_clIS7_S7_SB_SB_EEDaSZ_S10_SG_SL_EUlSZ_E_NS1_11comp_targetILNS1_3genE2ELNS1_11target_archE906ELNS1_3gpuE6ELNS1_3repE0EEENS1_47radix_sort_onesweep_sort_config_static_selectorELNS0_4arch9wavefront6targetE1EEEvSG_
    .private_segment_fixed_size: 32
    .sgpr_count:     61
    .sgpr_spill_count: 0
    .symbol:         _ZN7rocprim17ROCPRIM_400000_NS6detail17trampoline_kernelINS0_14default_configENS1_35radix_sort_onesweep_config_selectorIllEEZZNS1_29radix_sort_onesweep_iterationIS3_Lb0EPlS7_N6thrust23THRUST_200600_302600_NS10device_ptrIlEESB_jNS0_19identity_decomposerENS1_16block_id_wrapperIjLb1EEEEE10hipError_tT1_PNSt15iterator_traitsISG_E10value_typeET2_T3_PNSH_ISM_E10value_typeET4_T5_PSR_SS_PNS1_23onesweep_lookback_stateEbbT6_jjT7_P12ihipStream_tbENKUlT_T0_SG_SL_E_clIS7_S7_SB_SB_EEDaSZ_S10_SG_SL_EUlSZ_E_NS1_11comp_targetILNS1_3genE2ELNS1_11target_archE906ELNS1_3gpuE6ELNS1_3repE0EEENS1_47radix_sort_onesweep_sort_config_static_selectorELNS0_4arch9wavefront6targetE1EEEvSG_.kd
    .uniform_work_group_size: 1
    .uses_dynamic_stack: false
    .vgpr_count:     47
    .vgpr_spill_count: 0
    .wavefront_size: 64
  - .args:
      - .offset:         0
        .size:           88
        .value_kind:     by_value
    .group_segment_fixed_size: 0
    .kernarg_segment_align: 8
    .kernarg_segment_size: 88
    .language:       OpenCL C
    .language_version:
      - 2
      - 0
    .max_flat_workgroup_size: 1024
    .name:           _ZN7rocprim17ROCPRIM_400000_NS6detail17trampoline_kernelINS0_14default_configENS1_35radix_sort_onesweep_config_selectorIllEEZZNS1_29radix_sort_onesweep_iterationIS3_Lb0EPlS7_N6thrust23THRUST_200600_302600_NS10device_ptrIlEESB_jNS0_19identity_decomposerENS1_16block_id_wrapperIjLb1EEEEE10hipError_tT1_PNSt15iterator_traitsISG_E10value_typeET2_T3_PNSH_ISM_E10value_typeET4_T5_PSR_SS_PNS1_23onesweep_lookback_stateEbbT6_jjT7_P12ihipStream_tbENKUlT_T0_SG_SL_E_clIS7_S7_SB_SB_EEDaSZ_S10_SG_SL_EUlSZ_E_NS1_11comp_targetILNS1_3genE4ELNS1_11target_archE910ELNS1_3gpuE8ELNS1_3repE0EEENS1_47radix_sort_onesweep_sort_config_static_selectorELNS0_4arch9wavefront6targetE1EEEvSG_
    .private_segment_fixed_size: 0
    .sgpr_count:     4
    .sgpr_spill_count: 0
    .symbol:         _ZN7rocprim17ROCPRIM_400000_NS6detail17trampoline_kernelINS0_14default_configENS1_35radix_sort_onesweep_config_selectorIllEEZZNS1_29radix_sort_onesweep_iterationIS3_Lb0EPlS7_N6thrust23THRUST_200600_302600_NS10device_ptrIlEESB_jNS0_19identity_decomposerENS1_16block_id_wrapperIjLb1EEEEE10hipError_tT1_PNSt15iterator_traitsISG_E10value_typeET2_T3_PNSH_ISM_E10value_typeET4_T5_PSR_SS_PNS1_23onesweep_lookback_stateEbbT6_jjT7_P12ihipStream_tbENKUlT_T0_SG_SL_E_clIS7_S7_SB_SB_EEDaSZ_S10_SG_SL_EUlSZ_E_NS1_11comp_targetILNS1_3genE4ELNS1_11target_archE910ELNS1_3gpuE8ELNS1_3repE0EEENS1_47radix_sort_onesweep_sort_config_static_selectorELNS0_4arch9wavefront6targetE1EEEvSG_.kd
    .uniform_work_group_size: 1
    .uses_dynamic_stack: false
    .vgpr_count:     0
    .vgpr_spill_count: 0
    .wavefront_size: 64
  - .args:
      - .offset:         0
        .size:           88
        .value_kind:     by_value
    .group_segment_fixed_size: 0
    .kernarg_segment_align: 8
    .kernarg_segment_size: 88
    .language:       OpenCL C
    .language_version:
      - 2
      - 0
    .max_flat_workgroup_size: 512
    .name:           _ZN7rocprim17ROCPRIM_400000_NS6detail17trampoline_kernelINS0_14default_configENS1_35radix_sort_onesweep_config_selectorIllEEZZNS1_29radix_sort_onesweep_iterationIS3_Lb0EPlS7_N6thrust23THRUST_200600_302600_NS10device_ptrIlEESB_jNS0_19identity_decomposerENS1_16block_id_wrapperIjLb1EEEEE10hipError_tT1_PNSt15iterator_traitsISG_E10value_typeET2_T3_PNSH_ISM_E10value_typeET4_T5_PSR_SS_PNS1_23onesweep_lookback_stateEbbT6_jjT7_P12ihipStream_tbENKUlT_T0_SG_SL_E_clIS7_S7_SB_SB_EEDaSZ_S10_SG_SL_EUlSZ_E_NS1_11comp_targetILNS1_3genE3ELNS1_11target_archE908ELNS1_3gpuE7ELNS1_3repE0EEENS1_47radix_sort_onesweep_sort_config_static_selectorELNS0_4arch9wavefront6targetE1EEEvSG_
    .private_segment_fixed_size: 0
    .sgpr_count:     4
    .sgpr_spill_count: 0
    .symbol:         _ZN7rocprim17ROCPRIM_400000_NS6detail17trampoline_kernelINS0_14default_configENS1_35radix_sort_onesweep_config_selectorIllEEZZNS1_29radix_sort_onesweep_iterationIS3_Lb0EPlS7_N6thrust23THRUST_200600_302600_NS10device_ptrIlEESB_jNS0_19identity_decomposerENS1_16block_id_wrapperIjLb1EEEEE10hipError_tT1_PNSt15iterator_traitsISG_E10value_typeET2_T3_PNSH_ISM_E10value_typeET4_T5_PSR_SS_PNS1_23onesweep_lookback_stateEbbT6_jjT7_P12ihipStream_tbENKUlT_T0_SG_SL_E_clIS7_S7_SB_SB_EEDaSZ_S10_SG_SL_EUlSZ_E_NS1_11comp_targetILNS1_3genE3ELNS1_11target_archE908ELNS1_3gpuE7ELNS1_3repE0EEENS1_47radix_sort_onesweep_sort_config_static_selectorELNS0_4arch9wavefront6targetE1EEEvSG_.kd
    .uniform_work_group_size: 1
    .uses_dynamic_stack: false
    .vgpr_count:     0
    .vgpr_spill_count: 0
    .wavefront_size: 64
  - .args:
      - .offset:         0
        .size:           88
        .value_kind:     by_value
    .group_segment_fixed_size: 0
    .kernarg_segment_align: 8
    .kernarg_segment_size: 88
    .language:       OpenCL C
    .language_version:
      - 2
      - 0
    .max_flat_workgroup_size: 1024
    .name:           _ZN7rocprim17ROCPRIM_400000_NS6detail17trampoline_kernelINS0_14default_configENS1_35radix_sort_onesweep_config_selectorIllEEZZNS1_29radix_sort_onesweep_iterationIS3_Lb0EPlS7_N6thrust23THRUST_200600_302600_NS10device_ptrIlEESB_jNS0_19identity_decomposerENS1_16block_id_wrapperIjLb1EEEEE10hipError_tT1_PNSt15iterator_traitsISG_E10value_typeET2_T3_PNSH_ISM_E10value_typeET4_T5_PSR_SS_PNS1_23onesweep_lookback_stateEbbT6_jjT7_P12ihipStream_tbENKUlT_T0_SG_SL_E_clIS7_S7_SB_SB_EEDaSZ_S10_SG_SL_EUlSZ_E_NS1_11comp_targetILNS1_3genE10ELNS1_11target_archE1201ELNS1_3gpuE5ELNS1_3repE0EEENS1_47radix_sort_onesweep_sort_config_static_selectorELNS0_4arch9wavefront6targetE1EEEvSG_
    .private_segment_fixed_size: 0
    .sgpr_count:     4
    .sgpr_spill_count: 0
    .symbol:         _ZN7rocprim17ROCPRIM_400000_NS6detail17trampoline_kernelINS0_14default_configENS1_35radix_sort_onesweep_config_selectorIllEEZZNS1_29radix_sort_onesweep_iterationIS3_Lb0EPlS7_N6thrust23THRUST_200600_302600_NS10device_ptrIlEESB_jNS0_19identity_decomposerENS1_16block_id_wrapperIjLb1EEEEE10hipError_tT1_PNSt15iterator_traitsISG_E10value_typeET2_T3_PNSH_ISM_E10value_typeET4_T5_PSR_SS_PNS1_23onesweep_lookback_stateEbbT6_jjT7_P12ihipStream_tbENKUlT_T0_SG_SL_E_clIS7_S7_SB_SB_EEDaSZ_S10_SG_SL_EUlSZ_E_NS1_11comp_targetILNS1_3genE10ELNS1_11target_archE1201ELNS1_3gpuE5ELNS1_3repE0EEENS1_47radix_sort_onesweep_sort_config_static_selectorELNS0_4arch9wavefront6targetE1EEEvSG_.kd
    .uniform_work_group_size: 1
    .uses_dynamic_stack: false
    .vgpr_count:     0
    .vgpr_spill_count: 0
    .wavefront_size: 64
  - .args:
      - .offset:         0
        .size:           88
        .value_kind:     by_value
    .group_segment_fixed_size: 0
    .kernarg_segment_align: 8
    .kernarg_segment_size: 88
    .language:       OpenCL C
    .language_version:
      - 2
      - 0
    .max_flat_workgroup_size: 1024
    .name:           _ZN7rocprim17ROCPRIM_400000_NS6detail17trampoline_kernelINS0_14default_configENS1_35radix_sort_onesweep_config_selectorIllEEZZNS1_29radix_sort_onesweep_iterationIS3_Lb0EPlS7_N6thrust23THRUST_200600_302600_NS10device_ptrIlEESB_jNS0_19identity_decomposerENS1_16block_id_wrapperIjLb1EEEEE10hipError_tT1_PNSt15iterator_traitsISG_E10value_typeET2_T3_PNSH_ISM_E10value_typeET4_T5_PSR_SS_PNS1_23onesweep_lookback_stateEbbT6_jjT7_P12ihipStream_tbENKUlT_T0_SG_SL_E_clIS7_S7_SB_SB_EEDaSZ_S10_SG_SL_EUlSZ_E_NS1_11comp_targetILNS1_3genE9ELNS1_11target_archE1100ELNS1_3gpuE3ELNS1_3repE0EEENS1_47radix_sort_onesweep_sort_config_static_selectorELNS0_4arch9wavefront6targetE1EEEvSG_
    .private_segment_fixed_size: 0
    .sgpr_count:     4
    .sgpr_spill_count: 0
    .symbol:         _ZN7rocprim17ROCPRIM_400000_NS6detail17trampoline_kernelINS0_14default_configENS1_35radix_sort_onesweep_config_selectorIllEEZZNS1_29radix_sort_onesweep_iterationIS3_Lb0EPlS7_N6thrust23THRUST_200600_302600_NS10device_ptrIlEESB_jNS0_19identity_decomposerENS1_16block_id_wrapperIjLb1EEEEE10hipError_tT1_PNSt15iterator_traitsISG_E10value_typeET2_T3_PNSH_ISM_E10value_typeET4_T5_PSR_SS_PNS1_23onesweep_lookback_stateEbbT6_jjT7_P12ihipStream_tbENKUlT_T0_SG_SL_E_clIS7_S7_SB_SB_EEDaSZ_S10_SG_SL_EUlSZ_E_NS1_11comp_targetILNS1_3genE9ELNS1_11target_archE1100ELNS1_3gpuE3ELNS1_3repE0EEENS1_47radix_sort_onesweep_sort_config_static_selectorELNS0_4arch9wavefront6targetE1EEEvSG_.kd
    .uniform_work_group_size: 1
    .uses_dynamic_stack: false
    .vgpr_count:     0
    .vgpr_spill_count: 0
    .wavefront_size: 64
  - .args:
      - .offset:         0
        .size:           88
        .value_kind:     by_value
    .group_segment_fixed_size: 0
    .kernarg_segment_align: 8
    .kernarg_segment_size: 88
    .language:       OpenCL C
    .language_version:
      - 2
      - 0
    .max_flat_workgroup_size: 1024
    .name:           _ZN7rocprim17ROCPRIM_400000_NS6detail17trampoline_kernelINS0_14default_configENS1_35radix_sort_onesweep_config_selectorIllEEZZNS1_29radix_sort_onesweep_iterationIS3_Lb0EPlS7_N6thrust23THRUST_200600_302600_NS10device_ptrIlEESB_jNS0_19identity_decomposerENS1_16block_id_wrapperIjLb1EEEEE10hipError_tT1_PNSt15iterator_traitsISG_E10value_typeET2_T3_PNSH_ISM_E10value_typeET4_T5_PSR_SS_PNS1_23onesweep_lookback_stateEbbT6_jjT7_P12ihipStream_tbENKUlT_T0_SG_SL_E_clIS7_S7_SB_SB_EEDaSZ_S10_SG_SL_EUlSZ_E_NS1_11comp_targetILNS1_3genE8ELNS1_11target_archE1030ELNS1_3gpuE2ELNS1_3repE0EEENS1_47radix_sort_onesweep_sort_config_static_selectorELNS0_4arch9wavefront6targetE1EEEvSG_
    .private_segment_fixed_size: 0
    .sgpr_count:     4
    .sgpr_spill_count: 0
    .symbol:         _ZN7rocprim17ROCPRIM_400000_NS6detail17trampoline_kernelINS0_14default_configENS1_35radix_sort_onesweep_config_selectorIllEEZZNS1_29radix_sort_onesweep_iterationIS3_Lb0EPlS7_N6thrust23THRUST_200600_302600_NS10device_ptrIlEESB_jNS0_19identity_decomposerENS1_16block_id_wrapperIjLb1EEEEE10hipError_tT1_PNSt15iterator_traitsISG_E10value_typeET2_T3_PNSH_ISM_E10value_typeET4_T5_PSR_SS_PNS1_23onesweep_lookback_stateEbbT6_jjT7_P12ihipStream_tbENKUlT_T0_SG_SL_E_clIS7_S7_SB_SB_EEDaSZ_S10_SG_SL_EUlSZ_E_NS1_11comp_targetILNS1_3genE8ELNS1_11target_archE1030ELNS1_3gpuE2ELNS1_3repE0EEENS1_47radix_sort_onesweep_sort_config_static_selectorELNS0_4arch9wavefront6targetE1EEEvSG_.kd
    .uniform_work_group_size: 1
    .uses_dynamic_stack: false
    .vgpr_count:     0
    .vgpr_spill_count: 0
    .wavefront_size: 64
  - .args:
      - .offset:         0
        .size:           88
        .value_kind:     by_value
    .group_segment_fixed_size: 0
    .kernarg_segment_align: 8
    .kernarg_segment_size: 88
    .language:       OpenCL C
    .language_version:
      - 2
      - 0
    .max_flat_workgroup_size: 512
    .name:           _ZN7rocprim17ROCPRIM_400000_NS6detail17trampoline_kernelINS0_14default_configENS1_35radix_sort_onesweep_config_selectorIllEEZZNS1_29radix_sort_onesweep_iterationIS3_Lb0EPlS7_N6thrust23THRUST_200600_302600_NS10device_ptrIlEESB_jNS0_19identity_decomposerENS1_16block_id_wrapperIjLb1EEEEE10hipError_tT1_PNSt15iterator_traitsISG_E10value_typeET2_T3_PNSH_ISM_E10value_typeET4_T5_PSR_SS_PNS1_23onesweep_lookback_stateEbbT6_jjT7_P12ihipStream_tbENKUlT_T0_SG_SL_E_clIS7_S7_SB_S7_EEDaSZ_S10_SG_SL_EUlSZ_E_NS1_11comp_targetILNS1_3genE0ELNS1_11target_archE4294967295ELNS1_3gpuE0ELNS1_3repE0EEENS1_47radix_sort_onesweep_sort_config_static_selectorELNS0_4arch9wavefront6targetE1EEEvSG_
    .private_segment_fixed_size: 0
    .sgpr_count:     4
    .sgpr_spill_count: 0
    .symbol:         _ZN7rocprim17ROCPRIM_400000_NS6detail17trampoline_kernelINS0_14default_configENS1_35radix_sort_onesweep_config_selectorIllEEZZNS1_29radix_sort_onesweep_iterationIS3_Lb0EPlS7_N6thrust23THRUST_200600_302600_NS10device_ptrIlEESB_jNS0_19identity_decomposerENS1_16block_id_wrapperIjLb1EEEEE10hipError_tT1_PNSt15iterator_traitsISG_E10value_typeET2_T3_PNSH_ISM_E10value_typeET4_T5_PSR_SS_PNS1_23onesweep_lookback_stateEbbT6_jjT7_P12ihipStream_tbENKUlT_T0_SG_SL_E_clIS7_S7_SB_S7_EEDaSZ_S10_SG_SL_EUlSZ_E_NS1_11comp_targetILNS1_3genE0ELNS1_11target_archE4294967295ELNS1_3gpuE0ELNS1_3repE0EEENS1_47radix_sort_onesweep_sort_config_static_selectorELNS0_4arch9wavefront6targetE1EEEvSG_.kd
    .uniform_work_group_size: 1
    .uses_dynamic_stack: false
    .vgpr_count:     0
    .vgpr_spill_count: 0
    .wavefront_size: 64
  - .args:
      - .offset:         0
        .size:           88
        .value_kind:     by_value
    .group_segment_fixed_size: 0
    .kernarg_segment_align: 8
    .kernarg_segment_size: 88
    .language:       OpenCL C
    .language_version:
      - 2
      - 0
    .max_flat_workgroup_size: 1024
    .name:           _ZN7rocprim17ROCPRIM_400000_NS6detail17trampoline_kernelINS0_14default_configENS1_35radix_sort_onesweep_config_selectorIllEEZZNS1_29radix_sort_onesweep_iterationIS3_Lb0EPlS7_N6thrust23THRUST_200600_302600_NS10device_ptrIlEESB_jNS0_19identity_decomposerENS1_16block_id_wrapperIjLb1EEEEE10hipError_tT1_PNSt15iterator_traitsISG_E10value_typeET2_T3_PNSH_ISM_E10value_typeET4_T5_PSR_SS_PNS1_23onesweep_lookback_stateEbbT6_jjT7_P12ihipStream_tbENKUlT_T0_SG_SL_E_clIS7_S7_SB_S7_EEDaSZ_S10_SG_SL_EUlSZ_E_NS1_11comp_targetILNS1_3genE6ELNS1_11target_archE950ELNS1_3gpuE13ELNS1_3repE0EEENS1_47radix_sort_onesweep_sort_config_static_selectorELNS0_4arch9wavefront6targetE1EEEvSG_
    .private_segment_fixed_size: 0
    .sgpr_count:     4
    .sgpr_spill_count: 0
    .symbol:         _ZN7rocprim17ROCPRIM_400000_NS6detail17trampoline_kernelINS0_14default_configENS1_35radix_sort_onesweep_config_selectorIllEEZZNS1_29radix_sort_onesweep_iterationIS3_Lb0EPlS7_N6thrust23THRUST_200600_302600_NS10device_ptrIlEESB_jNS0_19identity_decomposerENS1_16block_id_wrapperIjLb1EEEEE10hipError_tT1_PNSt15iterator_traitsISG_E10value_typeET2_T3_PNSH_ISM_E10value_typeET4_T5_PSR_SS_PNS1_23onesweep_lookback_stateEbbT6_jjT7_P12ihipStream_tbENKUlT_T0_SG_SL_E_clIS7_S7_SB_S7_EEDaSZ_S10_SG_SL_EUlSZ_E_NS1_11comp_targetILNS1_3genE6ELNS1_11target_archE950ELNS1_3gpuE13ELNS1_3repE0EEENS1_47radix_sort_onesweep_sort_config_static_selectorELNS0_4arch9wavefront6targetE1EEEvSG_.kd
    .uniform_work_group_size: 1
    .uses_dynamic_stack: false
    .vgpr_count:     0
    .vgpr_spill_count: 0
    .wavefront_size: 64
  - .args:
      - .offset:         0
        .size:           88
        .value_kind:     by_value
    .group_segment_fixed_size: 0
    .kernarg_segment_align: 8
    .kernarg_segment_size: 88
    .language:       OpenCL C
    .language_version:
      - 2
      - 0
    .max_flat_workgroup_size: 1024
    .name:           _ZN7rocprim17ROCPRIM_400000_NS6detail17trampoline_kernelINS0_14default_configENS1_35radix_sort_onesweep_config_selectorIllEEZZNS1_29radix_sort_onesweep_iterationIS3_Lb0EPlS7_N6thrust23THRUST_200600_302600_NS10device_ptrIlEESB_jNS0_19identity_decomposerENS1_16block_id_wrapperIjLb1EEEEE10hipError_tT1_PNSt15iterator_traitsISG_E10value_typeET2_T3_PNSH_ISM_E10value_typeET4_T5_PSR_SS_PNS1_23onesweep_lookback_stateEbbT6_jjT7_P12ihipStream_tbENKUlT_T0_SG_SL_E_clIS7_S7_SB_S7_EEDaSZ_S10_SG_SL_EUlSZ_E_NS1_11comp_targetILNS1_3genE5ELNS1_11target_archE942ELNS1_3gpuE9ELNS1_3repE0EEENS1_47radix_sort_onesweep_sort_config_static_selectorELNS0_4arch9wavefront6targetE1EEEvSG_
    .private_segment_fixed_size: 0
    .sgpr_count:     4
    .sgpr_spill_count: 0
    .symbol:         _ZN7rocprim17ROCPRIM_400000_NS6detail17trampoline_kernelINS0_14default_configENS1_35radix_sort_onesweep_config_selectorIllEEZZNS1_29radix_sort_onesweep_iterationIS3_Lb0EPlS7_N6thrust23THRUST_200600_302600_NS10device_ptrIlEESB_jNS0_19identity_decomposerENS1_16block_id_wrapperIjLb1EEEEE10hipError_tT1_PNSt15iterator_traitsISG_E10value_typeET2_T3_PNSH_ISM_E10value_typeET4_T5_PSR_SS_PNS1_23onesweep_lookback_stateEbbT6_jjT7_P12ihipStream_tbENKUlT_T0_SG_SL_E_clIS7_S7_SB_S7_EEDaSZ_S10_SG_SL_EUlSZ_E_NS1_11comp_targetILNS1_3genE5ELNS1_11target_archE942ELNS1_3gpuE9ELNS1_3repE0EEENS1_47radix_sort_onesweep_sort_config_static_selectorELNS0_4arch9wavefront6targetE1EEEvSG_.kd
    .uniform_work_group_size: 1
    .uses_dynamic_stack: false
    .vgpr_count:     0
    .vgpr_spill_count: 0
    .wavefront_size: 64
  - .args:
      - .offset:         0
        .size:           88
        .value_kind:     by_value
      - .offset:         88
        .size:           4
        .value_kind:     hidden_block_count_x
      - .offset:         92
        .size:           4
        .value_kind:     hidden_block_count_y
      - .offset:         96
        .size:           4
        .value_kind:     hidden_block_count_z
      - .offset:         100
        .size:           2
        .value_kind:     hidden_group_size_x
      - .offset:         102
        .size:           2
        .value_kind:     hidden_group_size_y
      - .offset:         104
        .size:           2
        .value_kind:     hidden_group_size_z
      - .offset:         106
        .size:           2
        .value_kind:     hidden_remainder_x
      - .offset:         108
        .size:           2
        .value_kind:     hidden_remainder_y
      - .offset:         110
        .size:           2
        .value_kind:     hidden_remainder_z
      - .offset:         128
        .size:           8
        .value_kind:     hidden_global_offset_x
      - .offset:         136
        .size:           8
        .value_kind:     hidden_global_offset_y
      - .offset:         144
        .size:           8
        .value_kind:     hidden_global_offset_z
      - .offset:         152
        .size:           2
        .value_kind:     hidden_grid_dims
    .group_segment_fixed_size: 10280
    .kernarg_segment_align: 8
    .kernarg_segment_size: 344
    .language:       OpenCL C
    .language_version:
      - 2
      - 0
    .max_flat_workgroup_size: 512
    .name:           _ZN7rocprim17ROCPRIM_400000_NS6detail17trampoline_kernelINS0_14default_configENS1_35radix_sort_onesweep_config_selectorIllEEZZNS1_29radix_sort_onesweep_iterationIS3_Lb0EPlS7_N6thrust23THRUST_200600_302600_NS10device_ptrIlEESB_jNS0_19identity_decomposerENS1_16block_id_wrapperIjLb1EEEEE10hipError_tT1_PNSt15iterator_traitsISG_E10value_typeET2_T3_PNSH_ISM_E10value_typeET4_T5_PSR_SS_PNS1_23onesweep_lookback_stateEbbT6_jjT7_P12ihipStream_tbENKUlT_T0_SG_SL_E_clIS7_S7_SB_S7_EEDaSZ_S10_SG_SL_EUlSZ_E_NS1_11comp_targetILNS1_3genE2ELNS1_11target_archE906ELNS1_3gpuE6ELNS1_3repE0EEENS1_47radix_sort_onesweep_sort_config_static_selectorELNS0_4arch9wavefront6targetE1EEEvSG_
    .private_segment_fixed_size: 32
    .sgpr_count:     61
    .sgpr_spill_count: 0
    .symbol:         _ZN7rocprim17ROCPRIM_400000_NS6detail17trampoline_kernelINS0_14default_configENS1_35radix_sort_onesweep_config_selectorIllEEZZNS1_29radix_sort_onesweep_iterationIS3_Lb0EPlS7_N6thrust23THRUST_200600_302600_NS10device_ptrIlEESB_jNS0_19identity_decomposerENS1_16block_id_wrapperIjLb1EEEEE10hipError_tT1_PNSt15iterator_traitsISG_E10value_typeET2_T3_PNSH_ISM_E10value_typeET4_T5_PSR_SS_PNS1_23onesweep_lookback_stateEbbT6_jjT7_P12ihipStream_tbENKUlT_T0_SG_SL_E_clIS7_S7_SB_S7_EEDaSZ_S10_SG_SL_EUlSZ_E_NS1_11comp_targetILNS1_3genE2ELNS1_11target_archE906ELNS1_3gpuE6ELNS1_3repE0EEENS1_47radix_sort_onesweep_sort_config_static_selectorELNS0_4arch9wavefront6targetE1EEEvSG_.kd
    .uniform_work_group_size: 1
    .uses_dynamic_stack: false
    .vgpr_count:     47
    .vgpr_spill_count: 0
    .wavefront_size: 64
  - .args:
      - .offset:         0
        .size:           88
        .value_kind:     by_value
    .group_segment_fixed_size: 0
    .kernarg_segment_align: 8
    .kernarg_segment_size: 88
    .language:       OpenCL C
    .language_version:
      - 2
      - 0
    .max_flat_workgroup_size: 1024
    .name:           _ZN7rocprim17ROCPRIM_400000_NS6detail17trampoline_kernelINS0_14default_configENS1_35radix_sort_onesweep_config_selectorIllEEZZNS1_29radix_sort_onesweep_iterationIS3_Lb0EPlS7_N6thrust23THRUST_200600_302600_NS10device_ptrIlEESB_jNS0_19identity_decomposerENS1_16block_id_wrapperIjLb1EEEEE10hipError_tT1_PNSt15iterator_traitsISG_E10value_typeET2_T3_PNSH_ISM_E10value_typeET4_T5_PSR_SS_PNS1_23onesweep_lookback_stateEbbT6_jjT7_P12ihipStream_tbENKUlT_T0_SG_SL_E_clIS7_S7_SB_S7_EEDaSZ_S10_SG_SL_EUlSZ_E_NS1_11comp_targetILNS1_3genE4ELNS1_11target_archE910ELNS1_3gpuE8ELNS1_3repE0EEENS1_47radix_sort_onesweep_sort_config_static_selectorELNS0_4arch9wavefront6targetE1EEEvSG_
    .private_segment_fixed_size: 0
    .sgpr_count:     4
    .sgpr_spill_count: 0
    .symbol:         _ZN7rocprim17ROCPRIM_400000_NS6detail17trampoline_kernelINS0_14default_configENS1_35radix_sort_onesweep_config_selectorIllEEZZNS1_29radix_sort_onesweep_iterationIS3_Lb0EPlS7_N6thrust23THRUST_200600_302600_NS10device_ptrIlEESB_jNS0_19identity_decomposerENS1_16block_id_wrapperIjLb1EEEEE10hipError_tT1_PNSt15iterator_traitsISG_E10value_typeET2_T3_PNSH_ISM_E10value_typeET4_T5_PSR_SS_PNS1_23onesweep_lookback_stateEbbT6_jjT7_P12ihipStream_tbENKUlT_T0_SG_SL_E_clIS7_S7_SB_S7_EEDaSZ_S10_SG_SL_EUlSZ_E_NS1_11comp_targetILNS1_3genE4ELNS1_11target_archE910ELNS1_3gpuE8ELNS1_3repE0EEENS1_47radix_sort_onesweep_sort_config_static_selectorELNS0_4arch9wavefront6targetE1EEEvSG_.kd
    .uniform_work_group_size: 1
    .uses_dynamic_stack: false
    .vgpr_count:     0
    .vgpr_spill_count: 0
    .wavefront_size: 64
  - .args:
      - .offset:         0
        .size:           88
        .value_kind:     by_value
    .group_segment_fixed_size: 0
    .kernarg_segment_align: 8
    .kernarg_segment_size: 88
    .language:       OpenCL C
    .language_version:
      - 2
      - 0
    .max_flat_workgroup_size: 512
    .name:           _ZN7rocprim17ROCPRIM_400000_NS6detail17trampoline_kernelINS0_14default_configENS1_35radix_sort_onesweep_config_selectorIllEEZZNS1_29radix_sort_onesweep_iterationIS3_Lb0EPlS7_N6thrust23THRUST_200600_302600_NS10device_ptrIlEESB_jNS0_19identity_decomposerENS1_16block_id_wrapperIjLb1EEEEE10hipError_tT1_PNSt15iterator_traitsISG_E10value_typeET2_T3_PNSH_ISM_E10value_typeET4_T5_PSR_SS_PNS1_23onesweep_lookback_stateEbbT6_jjT7_P12ihipStream_tbENKUlT_T0_SG_SL_E_clIS7_S7_SB_S7_EEDaSZ_S10_SG_SL_EUlSZ_E_NS1_11comp_targetILNS1_3genE3ELNS1_11target_archE908ELNS1_3gpuE7ELNS1_3repE0EEENS1_47radix_sort_onesweep_sort_config_static_selectorELNS0_4arch9wavefront6targetE1EEEvSG_
    .private_segment_fixed_size: 0
    .sgpr_count:     4
    .sgpr_spill_count: 0
    .symbol:         _ZN7rocprim17ROCPRIM_400000_NS6detail17trampoline_kernelINS0_14default_configENS1_35radix_sort_onesweep_config_selectorIllEEZZNS1_29radix_sort_onesweep_iterationIS3_Lb0EPlS7_N6thrust23THRUST_200600_302600_NS10device_ptrIlEESB_jNS0_19identity_decomposerENS1_16block_id_wrapperIjLb1EEEEE10hipError_tT1_PNSt15iterator_traitsISG_E10value_typeET2_T3_PNSH_ISM_E10value_typeET4_T5_PSR_SS_PNS1_23onesweep_lookback_stateEbbT6_jjT7_P12ihipStream_tbENKUlT_T0_SG_SL_E_clIS7_S7_SB_S7_EEDaSZ_S10_SG_SL_EUlSZ_E_NS1_11comp_targetILNS1_3genE3ELNS1_11target_archE908ELNS1_3gpuE7ELNS1_3repE0EEENS1_47radix_sort_onesweep_sort_config_static_selectorELNS0_4arch9wavefront6targetE1EEEvSG_.kd
    .uniform_work_group_size: 1
    .uses_dynamic_stack: false
    .vgpr_count:     0
    .vgpr_spill_count: 0
    .wavefront_size: 64
  - .args:
      - .offset:         0
        .size:           88
        .value_kind:     by_value
    .group_segment_fixed_size: 0
    .kernarg_segment_align: 8
    .kernarg_segment_size: 88
    .language:       OpenCL C
    .language_version:
      - 2
      - 0
    .max_flat_workgroup_size: 1024
    .name:           _ZN7rocprim17ROCPRIM_400000_NS6detail17trampoline_kernelINS0_14default_configENS1_35radix_sort_onesweep_config_selectorIllEEZZNS1_29radix_sort_onesweep_iterationIS3_Lb0EPlS7_N6thrust23THRUST_200600_302600_NS10device_ptrIlEESB_jNS0_19identity_decomposerENS1_16block_id_wrapperIjLb1EEEEE10hipError_tT1_PNSt15iterator_traitsISG_E10value_typeET2_T3_PNSH_ISM_E10value_typeET4_T5_PSR_SS_PNS1_23onesweep_lookback_stateEbbT6_jjT7_P12ihipStream_tbENKUlT_T0_SG_SL_E_clIS7_S7_SB_S7_EEDaSZ_S10_SG_SL_EUlSZ_E_NS1_11comp_targetILNS1_3genE10ELNS1_11target_archE1201ELNS1_3gpuE5ELNS1_3repE0EEENS1_47radix_sort_onesweep_sort_config_static_selectorELNS0_4arch9wavefront6targetE1EEEvSG_
    .private_segment_fixed_size: 0
    .sgpr_count:     4
    .sgpr_spill_count: 0
    .symbol:         _ZN7rocprim17ROCPRIM_400000_NS6detail17trampoline_kernelINS0_14default_configENS1_35radix_sort_onesweep_config_selectorIllEEZZNS1_29radix_sort_onesweep_iterationIS3_Lb0EPlS7_N6thrust23THRUST_200600_302600_NS10device_ptrIlEESB_jNS0_19identity_decomposerENS1_16block_id_wrapperIjLb1EEEEE10hipError_tT1_PNSt15iterator_traitsISG_E10value_typeET2_T3_PNSH_ISM_E10value_typeET4_T5_PSR_SS_PNS1_23onesweep_lookback_stateEbbT6_jjT7_P12ihipStream_tbENKUlT_T0_SG_SL_E_clIS7_S7_SB_S7_EEDaSZ_S10_SG_SL_EUlSZ_E_NS1_11comp_targetILNS1_3genE10ELNS1_11target_archE1201ELNS1_3gpuE5ELNS1_3repE0EEENS1_47radix_sort_onesweep_sort_config_static_selectorELNS0_4arch9wavefront6targetE1EEEvSG_.kd
    .uniform_work_group_size: 1
    .uses_dynamic_stack: false
    .vgpr_count:     0
    .vgpr_spill_count: 0
    .wavefront_size: 64
  - .args:
      - .offset:         0
        .size:           88
        .value_kind:     by_value
    .group_segment_fixed_size: 0
    .kernarg_segment_align: 8
    .kernarg_segment_size: 88
    .language:       OpenCL C
    .language_version:
      - 2
      - 0
    .max_flat_workgroup_size: 1024
    .name:           _ZN7rocprim17ROCPRIM_400000_NS6detail17trampoline_kernelINS0_14default_configENS1_35radix_sort_onesweep_config_selectorIllEEZZNS1_29radix_sort_onesweep_iterationIS3_Lb0EPlS7_N6thrust23THRUST_200600_302600_NS10device_ptrIlEESB_jNS0_19identity_decomposerENS1_16block_id_wrapperIjLb1EEEEE10hipError_tT1_PNSt15iterator_traitsISG_E10value_typeET2_T3_PNSH_ISM_E10value_typeET4_T5_PSR_SS_PNS1_23onesweep_lookback_stateEbbT6_jjT7_P12ihipStream_tbENKUlT_T0_SG_SL_E_clIS7_S7_SB_S7_EEDaSZ_S10_SG_SL_EUlSZ_E_NS1_11comp_targetILNS1_3genE9ELNS1_11target_archE1100ELNS1_3gpuE3ELNS1_3repE0EEENS1_47radix_sort_onesweep_sort_config_static_selectorELNS0_4arch9wavefront6targetE1EEEvSG_
    .private_segment_fixed_size: 0
    .sgpr_count:     4
    .sgpr_spill_count: 0
    .symbol:         _ZN7rocprim17ROCPRIM_400000_NS6detail17trampoline_kernelINS0_14default_configENS1_35radix_sort_onesweep_config_selectorIllEEZZNS1_29radix_sort_onesweep_iterationIS3_Lb0EPlS7_N6thrust23THRUST_200600_302600_NS10device_ptrIlEESB_jNS0_19identity_decomposerENS1_16block_id_wrapperIjLb1EEEEE10hipError_tT1_PNSt15iterator_traitsISG_E10value_typeET2_T3_PNSH_ISM_E10value_typeET4_T5_PSR_SS_PNS1_23onesweep_lookback_stateEbbT6_jjT7_P12ihipStream_tbENKUlT_T0_SG_SL_E_clIS7_S7_SB_S7_EEDaSZ_S10_SG_SL_EUlSZ_E_NS1_11comp_targetILNS1_3genE9ELNS1_11target_archE1100ELNS1_3gpuE3ELNS1_3repE0EEENS1_47radix_sort_onesweep_sort_config_static_selectorELNS0_4arch9wavefront6targetE1EEEvSG_.kd
    .uniform_work_group_size: 1
    .uses_dynamic_stack: false
    .vgpr_count:     0
    .vgpr_spill_count: 0
    .wavefront_size: 64
  - .args:
      - .offset:         0
        .size:           88
        .value_kind:     by_value
    .group_segment_fixed_size: 0
    .kernarg_segment_align: 8
    .kernarg_segment_size: 88
    .language:       OpenCL C
    .language_version:
      - 2
      - 0
    .max_flat_workgroup_size: 1024
    .name:           _ZN7rocprim17ROCPRIM_400000_NS6detail17trampoline_kernelINS0_14default_configENS1_35radix_sort_onesweep_config_selectorIllEEZZNS1_29radix_sort_onesweep_iterationIS3_Lb0EPlS7_N6thrust23THRUST_200600_302600_NS10device_ptrIlEESB_jNS0_19identity_decomposerENS1_16block_id_wrapperIjLb1EEEEE10hipError_tT1_PNSt15iterator_traitsISG_E10value_typeET2_T3_PNSH_ISM_E10value_typeET4_T5_PSR_SS_PNS1_23onesweep_lookback_stateEbbT6_jjT7_P12ihipStream_tbENKUlT_T0_SG_SL_E_clIS7_S7_SB_S7_EEDaSZ_S10_SG_SL_EUlSZ_E_NS1_11comp_targetILNS1_3genE8ELNS1_11target_archE1030ELNS1_3gpuE2ELNS1_3repE0EEENS1_47radix_sort_onesweep_sort_config_static_selectorELNS0_4arch9wavefront6targetE1EEEvSG_
    .private_segment_fixed_size: 0
    .sgpr_count:     4
    .sgpr_spill_count: 0
    .symbol:         _ZN7rocprim17ROCPRIM_400000_NS6detail17trampoline_kernelINS0_14default_configENS1_35radix_sort_onesweep_config_selectorIllEEZZNS1_29radix_sort_onesweep_iterationIS3_Lb0EPlS7_N6thrust23THRUST_200600_302600_NS10device_ptrIlEESB_jNS0_19identity_decomposerENS1_16block_id_wrapperIjLb1EEEEE10hipError_tT1_PNSt15iterator_traitsISG_E10value_typeET2_T3_PNSH_ISM_E10value_typeET4_T5_PSR_SS_PNS1_23onesweep_lookback_stateEbbT6_jjT7_P12ihipStream_tbENKUlT_T0_SG_SL_E_clIS7_S7_SB_S7_EEDaSZ_S10_SG_SL_EUlSZ_E_NS1_11comp_targetILNS1_3genE8ELNS1_11target_archE1030ELNS1_3gpuE2ELNS1_3repE0EEENS1_47radix_sort_onesweep_sort_config_static_selectorELNS0_4arch9wavefront6targetE1EEEvSG_.kd
    .uniform_work_group_size: 1
    .uses_dynamic_stack: false
    .vgpr_count:     0
    .vgpr_spill_count: 0
    .wavefront_size: 64
  - .args:
      - .offset:         0
        .size:           88
        .value_kind:     by_value
    .group_segment_fixed_size: 0
    .kernarg_segment_align: 8
    .kernarg_segment_size: 88
    .language:       OpenCL C
    .language_version:
      - 2
      - 0
    .max_flat_workgroup_size: 512
    .name:           _ZN7rocprim17ROCPRIM_400000_NS6detail17trampoline_kernelINS0_14default_configENS1_35radix_sort_onesweep_config_selectorIllEEZZNS1_29radix_sort_onesweep_iterationIS3_Lb0EPlS7_N6thrust23THRUST_200600_302600_NS10device_ptrIlEESB_jNS0_19identity_decomposerENS1_16block_id_wrapperIjLb1EEEEE10hipError_tT1_PNSt15iterator_traitsISG_E10value_typeET2_T3_PNSH_ISM_E10value_typeET4_T5_PSR_SS_PNS1_23onesweep_lookback_stateEbbT6_jjT7_P12ihipStream_tbENKUlT_T0_SG_SL_E_clIS7_S7_S7_SB_EEDaSZ_S10_SG_SL_EUlSZ_E_NS1_11comp_targetILNS1_3genE0ELNS1_11target_archE4294967295ELNS1_3gpuE0ELNS1_3repE0EEENS1_47radix_sort_onesweep_sort_config_static_selectorELNS0_4arch9wavefront6targetE1EEEvSG_
    .private_segment_fixed_size: 0
    .sgpr_count:     4
    .sgpr_spill_count: 0
    .symbol:         _ZN7rocprim17ROCPRIM_400000_NS6detail17trampoline_kernelINS0_14default_configENS1_35radix_sort_onesweep_config_selectorIllEEZZNS1_29radix_sort_onesweep_iterationIS3_Lb0EPlS7_N6thrust23THRUST_200600_302600_NS10device_ptrIlEESB_jNS0_19identity_decomposerENS1_16block_id_wrapperIjLb1EEEEE10hipError_tT1_PNSt15iterator_traitsISG_E10value_typeET2_T3_PNSH_ISM_E10value_typeET4_T5_PSR_SS_PNS1_23onesweep_lookback_stateEbbT6_jjT7_P12ihipStream_tbENKUlT_T0_SG_SL_E_clIS7_S7_S7_SB_EEDaSZ_S10_SG_SL_EUlSZ_E_NS1_11comp_targetILNS1_3genE0ELNS1_11target_archE4294967295ELNS1_3gpuE0ELNS1_3repE0EEENS1_47radix_sort_onesweep_sort_config_static_selectorELNS0_4arch9wavefront6targetE1EEEvSG_.kd
    .uniform_work_group_size: 1
    .uses_dynamic_stack: false
    .vgpr_count:     0
    .vgpr_spill_count: 0
    .wavefront_size: 64
  - .args:
      - .offset:         0
        .size:           88
        .value_kind:     by_value
    .group_segment_fixed_size: 0
    .kernarg_segment_align: 8
    .kernarg_segment_size: 88
    .language:       OpenCL C
    .language_version:
      - 2
      - 0
    .max_flat_workgroup_size: 1024
    .name:           _ZN7rocprim17ROCPRIM_400000_NS6detail17trampoline_kernelINS0_14default_configENS1_35radix_sort_onesweep_config_selectorIllEEZZNS1_29radix_sort_onesweep_iterationIS3_Lb0EPlS7_N6thrust23THRUST_200600_302600_NS10device_ptrIlEESB_jNS0_19identity_decomposerENS1_16block_id_wrapperIjLb1EEEEE10hipError_tT1_PNSt15iterator_traitsISG_E10value_typeET2_T3_PNSH_ISM_E10value_typeET4_T5_PSR_SS_PNS1_23onesweep_lookback_stateEbbT6_jjT7_P12ihipStream_tbENKUlT_T0_SG_SL_E_clIS7_S7_S7_SB_EEDaSZ_S10_SG_SL_EUlSZ_E_NS1_11comp_targetILNS1_3genE6ELNS1_11target_archE950ELNS1_3gpuE13ELNS1_3repE0EEENS1_47radix_sort_onesweep_sort_config_static_selectorELNS0_4arch9wavefront6targetE1EEEvSG_
    .private_segment_fixed_size: 0
    .sgpr_count:     4
    .sgpr_spill_count: 0
    .symbol:         _ZN7rocprim17ROCPRIM_400000_NS6detail17trampoline_kernelINS0_14default_configENS1_35radix_sort_onesweep_config_selectorIllEEZZNS1_29radix_sort_onesweep_iterationIS3_Lb0EPlS7_N6thrust23THRUST_200600_302600_NS10device_ptrIlEESB_jNS0_19identity_decomposerENS1_16block_id_wrapperIjLb1EEEEE10hipError_tT1_PNSt15iterator_traitsISG_E10value_typeET2_T3_PNSH_ISM_E10value_typeET4_T5_PSR_SS_PNS1_23onesweep_lookback_stateEbbT6_jjT7_P12ihipStream_tbENKUlT_T0_SG_SL_E_clIS7_S7_S7_SB_EEDaSZ_S10_SG_SL_EUlSZ_E_NS1_11comp_targetILNS1_3genE6ELNS1_11target_archE950ELNS1_3gpuE13ELNS1_3repE0EEENS1_47radix_sort_onesweep_sort_config_static_selectorELNS0_4arch9wavefront6targetE1EEEvSG_.kd
    .uniform_work_group_size: 1
    .uses_dynamic_stack: false
    .vgpr_count:     0
    .vgpr_spill_count: 0
    .wavefront_size: 64
  - .args:
      - .offset:         0
        .size:           88
        .value_kind:     by_value
    .group_segment_fixed_size: 0
    .kernarg_segment_align: 8
    .kernarg_segment_size: 88
    .language:       OpenCL C
    .language_version:
      - 2
      - 0
    .max_flat_workgroup_size: 1024
    .name:           _ZN7rocprim17ROCPRIM_400000_NS6detail17trampoline_kernelINS0_14default_configENS1_35radix_sort_onesweep_config_selectorIllEEZZNS1_29radix_sort_onesweep_iterationIS3_Lb0EPlS7_N6thrust23THRUST_200600_302600_NS10device_ptrIlEESB_jNS0_19identity_decomposerENS1_16block_id_wrapperIjLb1EEEEE10hipError_tT1_PNSt15iterator_traitsISG_E10value_typeET2_T3_PNSH_ISM_E10value_typeET4_T5_PSR_SS_PNS1_23onesweep_lookback_stateEbbT6_jjT7_P12ihipStream_tbENKUlT_T0_SG_SL_E_clIS7_S7_S7_SB_EEDaSZ_S10_SG_SL_EUlSZ_E_NS1_11comp_targetILNS1_3genE5ELNS1_11target_archE942ELNS1_3gpuE9ELNS1_3repE0EEENS1_47radix_sort_onesweep_sort_config_static_selectorELNS0_4arch9wavefront6targetE1EEEvSG_
    .private_segment_fixed_size: 0
    .sgpr_count:     4
    .sgpr_spill_count: 0
    .symbol:         _ZN7rocprim17ROCPRIM_400000_NS6detail17trampoline_kernelINS0_14default_configENS1_35radix_sort_onesweep_config_selectorIllEEZZNS1_29radix_sort_onesweep_iterationIS3_Lb0EPlS7_N6thrust23THRUST_200600_302600_NS10device_ptrIlEESB_jNS0_19identity_decomposerENS1_16block_id_wrapperIjLb1EEEEE10hipError_tT1_PNSt15iterator_traitsISG_E10value_typeET2_T3_PNSH_ISM_E10value_typeET4_T5_PSR_SS_PNS1_23onesweep_lookback_stateEbbT6_jjT7_P12ihipStream_tbENKUlT_T0_SG_SL_E_clIS7_S7_S7_SB_EEDaSZ_S10_SG_SL_EUlSZ_E_NS1_11comp_targetILNS1_3genE5ELNS1_11target_archE942ELNS1_3gpuE9ELNS1_3repE0EEENS1_47radix_sort_onesweep_sort_config_static_selectorELNS0_4arch9wavefront6targetE1EEEvSG_.kd
    .uniform_work_group_size: 1
    .uses_dynamic_stack: false
    .vgpr_count:     0
    .vgpr_spill_count: 0
    .wavefront_size: 64
  - .args:
      - .offset:         0
        .size:           88
        .value_kind:     by_value
      - .offset:         88
        .size:           4
        .value_kind:     hidden_block_count_x
      - .offset:         92
        .size:           4
        .value_kind:     hidden_block_count_y
      - .offset:         96
        .size:           4
        .value_kind:     hidden_block_count_z
      - .offset:         100
        .size:           2
        .value_kind:     hidden_group_size_x
      - .offset:         102
        .size:           2
        .value_kind:     hidden_group_size_y
      - .offset:         104
        .size:           2
        .value_kind:     hidden_group_size_z
      - .offset:         106
        .size:           2
        .value_kind:     hidden_remainder_x
      - .offset:         108
        .size:           2
        .value_kind:     hidden_remainder_y
      - .offset:         110
        .size:           2
        .value_kind:     hidden_remainder_z
      - .offset:         128
        .size:           8
        .value_kind:     hidden_global_offset_x
      - .offset:         136
        .size:           8
        .value_kind:     hidden_global_offset_y
      - .offset:         144
        .size:           8
        .value_kind:     hidden_global_offset_z
      - .offset:         152
        .size:           2
        .value_kind:     hidden_grid_dims
    .group_segment_fixed_size: 10280
    .kernarg_segment_align: 8
    .kernarg_segment_size: 344
    .language:       OpenCL C
    .language_version:
      - 2
      - 0
    .max_flat_workgroup_size: 512
    .name:           _ZN7rocprim17ROCPRIM_400000_NS6detail17trampoline_kernelINS0_14default_configENS1_35radix_sort_onesweep_config_selectorIllEEZZNS1_29radix_sort_onesweep_iterationIS3_Lb0EPlS7_N6thrust23THRUST_200600_302600_NS10device_ptrIlEESB_jNS0_19identity_decomposerENS1_16block_id_wrapperIjLb1EEEEE10hipError_tT1_PNSt15iterator_traitsISG_E10value_typeET2_T3_PNSH_ISM_E10value_typeET4_T5_PSR_SS_PNS1_23onesweep_lookback_stateEbbT6_jjT7_P12ihipStream_tbENKUlT_T0_SG_SL_E_clIS7_S7_S7_SB_EEDaSZ_S10_SG_SL_EUlSZ_E_NS1_11comp_targetILNS1_3genE2ELNS1_11target_archE906ELNS1_3gpuE6ELNS1_3repE0EEENS1_47radix_sort_onesweep_sort_config_static_selectorELNS0_4arch9wavefront6targetE1EEEvSG_
    .private_segment_fixed_size: 32
    .sgpr_count:     61
    .sgpr_spill_count: 0
    .symbol:         _ZN7rocprim17ROCPRIM_400000_NS6detail17trampoline_kernelINS0_14default_configENS1_35radix_sort_onesweep_config_selectorIllEEZZNS1_29radix_sort_onesweep_iterationIS3_Lb0EPlS7_N6thrust23THRUST_200600_302600_NS10device_ptrIlEESB_jNS0_19identity_decomposerENS1_16block_id_wrapperIjLb1EEEEE10hipError_tT1_PNSt15iterator_traitsISG_E10value_typeET2_T3_PNSH_ISM_E10value_typeET4_T5_PSR_SS_PNS1_23onesweep_lookback_stateEbbT6_jjT7_P12ihipStream_tbENKUlT_T0_SG_SL_E_clIS7_S7_S7_SB_EEDaSZ_S10_SG_SL_EUlSZ_E_NS1_11comp_targetILNS1_3genE2ELNS1_11target_archE906ELNS1_3gpuE6ELNS1_3repE0EEENS1_47radix_sort_onesweep_sort_config_static_selectorELNS0_4arch9wavefront6targetE1EEEvSG_.kd
    .uniform_work_group_size: 1
    .uses_dynamic_stack: false
    .vgpr_count:     47
    .vgpr_spill_count: 0
    .wavefront_size: 64
  - .args:
      - .offset:         0
        .size:           88
        .value_kind:     by_value
    .group_segment_fixed_size: 0
    .kernarg_segment_align: 8
    .kernarg_segment_size: 88
    .language:       OpenCL C
    .language_version:
      - 2
      - 0
    .max_flat_workgroup_size: 1024
    .name:           _ZN7rocprim17ROCPRIM_400000_NS6detail17trampoline_kernelINS0_14default_configENS1_35radix_sort_onesweep_config_selectorIllEEZZNS1_29radix_sort_onesweep_iterationIS3_Lb0EPlS7_N6thrust23THRUST_200600_302600_NS10device_ptrIlEESB_jNS0_19identity_decomposerENS1_16block_id_wrapperIjLb1EEEEE10hipError_tT1_PNSt15iterator_traitsISG_E10value_typeET2_T3_PNSH_ISM_E10value_typeET4_T5_PSR_SS_PNS1_23onesweep_lookback_stateEbbT6_jjT7_P12ihipStream_tbENKUlT_T0_SG_SL_E_clIS7_S7_S7_SB_EEDaSZ_S10_SG_SL_EUlSZ_E_NS1_11comp_targetILNS1_3genE4ELNS1_11target_archE910ELNS1_3gpuE8ELNS1_3repE0EEENS1_47radix_sort_onesweep_sort_config_static_selectorELNS0_4arch9wavefront6targetE1EEEvSG_
    .private_segment_fixed_size: 0
    .sgpr_count:     4
    .sgpr_spill_count: 0
    .symbol:         _ZN7rocprim17ROCPRIM_400000_NS6detail17trampoline_kernelINS0_14default_configENS1_35radix_sort_onesweep_config_selectorIllEEZZNS1_29radix_sort_onesweep_iterationIS3_Lb0EPlS7_N6thrust23THRUST_200600_302600_NS10device_ptrIlEESB_jNS0_19identity_decomposerENS1_16block_id_wrapperIjLb1EEEEE10hipError_tT1_PNSt15iterator_traitsISG_E10value_typeET2_T3_PNSH_ISM_E10value_typeET4_T5_PSR_SS_PNS1_23onesweep_lookback_stateEbbT6_jjT7_P12ihipStream_tbENKUlT_T0_SG_SL_E_clIS7_S7_S7_SB_EEDaSZ_S10_SG_SL_EUlSZ_E_NS1_11comp_targetILNS1_3genE4ELNS1_11target_archE910ELNS1_3gpuE8ELNS1_3repE0EEENS1_47radix_sort_onesweep_sort_config_static_selectorELNS0_4arch9wavefront6targetE1EEEvSG_.kd
    .uniform_work_group_size: 1
    .uses_dynamic_stack: false
    .vgpr_count:     0
    .vgpr_spill_count: 0
    .wavefront_size: 64
  - .args:
      - .offset:         0
        .size:           88
        .value_kind:     by_value
    .group_segment_fixed_size: 0
    .kernarg_segment_align: 8
    .kernarg_segment_size: 88
    .language:       OpenCL C
    .language_version:
      - 2
      - 0
    .max_flat_workgroup_size: 512
    .name:           _ZN7rocprim17ROCPRIM_400000_NS6detail17trampoline_kernelINS0_14default_configENS1_35radix_sort_onesweep_config_selectorIllEEZZNS1_29radix_sort_onesweep_iterationIS3_Lb0EPlS7_N6thrust23THRUST_200600_302600_NS10device_ptrIlEESB_jNS0_19identity_decomposerENS1_16block_id_wrapperIjLb1EEEEE10hipError_tT1_PNSt15iterator_traitsISG_E10value_typeET2_T3_PNSH_ISM_E10value_typeET4_T5_PSR_SS_PNS1_23onesweep_lookback_stateEbbT6_jjT7_P12ihipStream_tbENKUlT_T0_SG_SL_E_clIS7_S7_S7_SB_EEDaSZ_S10_SG_SL_EUlSZ_E_NS1_11comp_targetILNS1_3genE3ELNS1_11target_archE908ELNS1_3gpuE7ELNS1_3repE0EEENS1_47radix_sort_onesweep_sort_config_static_selectorELNS0_4arch9wavefront6targetE1EEEvSG_
    .private_segment_fixed_size: 0
    .sgpr_count:     4
    .sgpr_spill_count: 0
    .symbol:         _ZN7rocprim17ROCPRIM_400000_NS6detail17trampoline_kernelINS0_14default_configENS1_35radix_sort_onesweep_config_selectorIllEEZZNS1_29radix_sort_onesweep_iterationIS3_Lb0EPlS7_N6thrust23THRUST_200600_302600_NS10device_ptrIlEESB_jNS0_19identity_decomposerENS1_16block_id_wrapperIjLb1EEEEE10hipError_tT1_PNSt15iterator_traitsISG_E10value_typeET2_T3_PNSH_ISM_E10value_typeET4_T5_PSR_SS_PNS1_23onesweep_lookback_stateEbbT6_jjT7_P12ihipStream_tbENKUlT_T0_SG_SL_E_clIS7_S7_S7_SB_EEDaSZ_S10_SG_SL_EUlSZ_E_NS1_11comp_targetILNS1_3genE3ELNS1_11target_archE908ELNS1_3gpuE7ELNS1_3repE0EEENS1_47radix_sort_onesweep_sort_config_static_selectorELNS0_4arch9wavefront6targetE1EEEvSG_.kd
    .uniform_work_group_size: 1
    .uses_dynamic_stack: false
    .vgpr_count:     0
    .vgpr_spill_count: 0
    .wavefront_size: 64
  - .args:
      - .offset:         0
        .size:           88
        .value_kind:     by_value
    .group_segment_fixed_size: 0
    .kernarg_segment_align: 8
    .kernarg_segment_size: 88
    .language:       OpenCL C
    .language_version:
      - 2
      - 0
    .max_flat_workgroup_size: 1024
    .name:           _ZN7rocprim17ROCPRIM_400000_NS6detail17trampoline_kernelINS0_14default_configENS1_35radix_sort_onesweep_config_selectorIllEEZZNS1_29radix_sort_onesweep_iterationIS3_Lb0EPlS7_N6thrust23THRUST_200600_302600_NS10device_ptrIlEESB_jNS0_19identity_decomposerENS1_16block_id_wrapperIjLb1EEEEE10hipError_tT1_PNSt15iterator_traitsISG_E10value_typeET2_T3_PNSH_ISM_E10value_typeET4_T5_PSR_SS_PNS1_23onesweep_lookback_stateEbbT6_jjT7_P12ihipStream_tbENKUlT_T0_SG_SL_E_clIS7_S7_S7_SB_EEDaSZ_S10_SG_SL_EUlSZ_E_NS1_11comp_targetILNS1_3genE10ELNS1_11target_archE1201ELNS1_3gpuE5ELNS1_3repE0EEENS1_47radix_sort_onesweep_sort_config_static_selectorELNS0_4arch9wavefront6targetE1EEEvSG_
    .private_segment_fixed_size: 0
    .sgpr_count:     4
    .sgpr_spill_count: 0
    .symbol:         _ZN7rocprim17ROCPRIM_400000_NS6detail17trampoline_kernelINS0_14default_configENS1_35radix_sort_onesweep_config_selectorIllEEZZNS1_29radix_sort_onesweep_iterationIS3_Lb0EPlS7_N6thrust23THRUST_200600_302600_NS10device_ptrIlEESB_jNS0_19identity_decomposerENS1_16block_id_wrapperIjLb1EEEEE10hipError_tT1_PNSt15iterator_traitsISG_E10value_typeET2_T3_PNSH_ISM_E10value_typeET4_T5_PSR_SS_PNS1_23onesweep_lookback_stateEbbT6_jjT7_P12ihipStream_tbENKUlT_T0_SG_SL_E_clIS7_S7_S7_SB_EEDaSZ_S10_SG_SL_EUlSZ_E_NS1_11comp_targetILNS1_3genE10ELNS1_11target_archE1201ELNS1_3gpuE5ELNS1_3repE0EEENS1_47radix_sort_onesweep_sort_config_static_selectorELNS0_4arch9wavefront6targetE1EEEvSG_.kd
    .uniform_work_group_size: 1
    .uses_dynamic_stack: false
    .vgpr_count:     0
    .vgpr_spill_count: 0
    .wavefront_size: 64
  - .args:
      - .offset:         0
        .size:           88
        .value_kind:     by_value
    .group_segment_fixed_size: 0
    .kernarg_segment_align: 8
    .kernarg_segment_size: 88
    .language:       OpenCL C
    .language_version:
      - 2
      - 0
    .max_flat_workgroup_size: 1024
    .name:           _ZN7rocprim17ROCPRIM_400000_NS6detail17trampoline_kernelINS0_14default_configENS1_35radix_sort_onesweep_config_selectorIllEEZZNS1_29radix_sort_onesweep_iterationIS3_Lb0EPlS7_N6thrust23THRUST_200600_302600_NS10device_ptrIlEESB_jNS0_19identity_decomposerENS1_16block_id_wrapperIjLb1EEEEE10hipError_tT1_PNSt15iterator_traitsISG_E10value_typeET2_T3_PNSH_ISM_E10value_typeET4_T5_PSR_SS_PNS1_23onesweep_lookback_stateEbbT6_jjT7_P12ihipStream_tbENKUlT_T0_SG_SL_E_clIS7_S7_S7_SB_EEDaSZ_S10_SG_SL_EUlSZ_E_NS1_11comp_targetILNS1_3genE9ELNS1_11target_archE1100ELNS1_3gpuE3ELNS1_3repE0EEENS1_47radix_sort_onesweep_sort_config_static_selectorELNS0_4arch9wavefront6targetE1EEEvSG_
    .private_segment_fixed_size: 0
    .sgpr_count:     4
    .sgpr_spill_count: 0
    .symbol:         _ZN7rocprim17ROCPRIM_400000_NS6detail17trampoline_kernelINS0_14default_configENS1_35radix_sort_onesweep_config_selectorIllEEZZNS1_29radix_sort_onesweep_iterationIS3_Lb0EPlS7_N6thrust23THRUST_200600_302600_NS10device_ptrIlEESB_jNS0_19identity_decomposerENS1_16block_id_wrapperIjLb1EEEEE10hipError_tT1_PNSt15iterator_traitsISG_E10value_typeET2_T3_PNSH_ISM_E10value_typeET4_T5_PSR_SS_PNS1_23onesweep_lookback_stateEbbT6_jjT7_P12ihipStream_tbENKUlT_T0_SG_SL_E_clIS7_S7_S7_SB_EEDaSZ_S10_SG_SL_EUlSZ_E_NS1_11comp_targetILNS1_3genE9ELNS1_11target_archE1100ELNS1_3gpuE3ELNS1_3repE0EEENS1_47radix_sort_onesweep_sort_config_static_selectorELNS0_4arch9wavefront6targetE1EEEvSG_.kd
    .uniform_work_group_size: 1
    .uses_dynamic_stack: false
    .vgpr_count:     0
    .vgpr_spill_count: 0
    .wavefront_size: 64
  - .args:
      - .offset:         0
        .size:           88
        .value_kind:     by_value
    .group_segment_fixed_size: 0
    .kernarg_segment_align: 8
    .kernarg_segment_size: 88
    .language:       OpenCL C
    .language_version:
      - 2
      - 0
    .max_flat_workgroup_size: 1024
    .name:           _ZN7rocprim17ROCPRIM_400000_NS6detail17trampoline_kernelINS0_14default_configENS1_35radix_sort_onesweep_config_selectorIllEEZZNS1_29radix_sort_onesweep_iterationIS3_Lb0EPlS7_N6thrust23THRUST_200600_302600_NS10device_ptrIlEESB_jNS0_19identity_decomposerENS1_16block_id_wrapperIjLb1EEEEE10hipError_tT1_PNSt15iterator_traitsISG_E10value_typeET2_T3_PNSH_ISM_E10value_typeET4_T5_PSR_SS_PNS1_23onesweep_lookback_stateEbbT6_jjT7_P12ihipStream_tbENKUlT_T0_SG_SL_E_clIS7_S7_S7_SB_EEDaSZ_S10_SG_SL_EUlSZ_E_NS1_11comp_targetILNS1_3genE8ELNS1_11target_archE1030ELNS1_3gpuE2ELNS1_3repE0EEENS1_47radix_sort_onesweep_sort_config_static_selectorELNS0_4arch9wavefront6targetE1EEEvSG_
    .private_segment_fixed_size: 0
    .sgpr_count:     4
    .sgpr_spill_count: 0
    .symbol:         _ZN7rocprim17ROCPRIM_400000_NS6detail17trampoline_kernelINS0_14default_configENS1_35radix_sort_onesweep_config_selectorIllEEZZNS1_29radix_sort_onesweep_iterationIS3_Lb0EPlS7_N6thrust23THRUST_200600_302600_NS10device_ptrIlEESB_jNS0_19identity_decomposerENS1_16block_id_wrapperIjLb1EEEEE10hipError_tT1_PNSt15iterator_traitsISG_E10value_typeET2_T3_PNSH_ISM_E10value_typeET4_T5_PSR_SS_PNS1_23onesweep_lookback_stateEbbT6_jjT7_P12ihipStream_tbENKUlT_T0_SG_SL_E_clIS7_S7_S7_SB_EEDaSZ_S10_SG_SL_EUlSZ_E_NS1_11comp_targetILNS1_3genE8ELNS1_11target_archE1030ELNS1_3gpuE2ELNS1_3repE0EEENS1_47radix_sort_onesweep_sort_config_static_selectorELNS0_4arch9wavefront6targetE1EEEvSG_.kd
    .uniform_work_group_size: 1
    .uses_dynamic_stack: false
    .vgpr_count:     0
    .vgpr_spill_count: 0
    .wavefront_size: 64
  - .args:
      - .offset:         0
        .size:           88
        .value_kind:     by_value
    .group_segment_fixed_size: 0
    .kernarg_segment_align: 8
    .kernarg_segment_size: 88
    .language:       OpenCL C
    .language_version:
      - 2
      - 0
    .max_flat_workgroup_size: 512
    .name:           _ZN7rocprim17ROCPRIM_400000_NS6detail17trampoline_kernelINS0_14default_configENS1_35radix_sort_onesweep_config_selectorIllEEZZNS1_29radix_sort_onesweep_iterationIS3_Lb0EPlS7_N6thrust23THRUST_200600_302600_NS10device_ptrIlEESB_jNS0_19identity_decomposerENS1_16block_id_wrapperIjLb0EEEEE10hipError_tT1_PNSt15iterator_traitsISG_E10value_typeET2_T3_PNSH_ISM_E10value_typeET4_T5_PSR_SS_PNS1_23onesweep_lookback_stateEbbT6_jjT7_P12ihipStream_tbENKUlT_T0_SG_SL_E_clIS7_S7_SB_SB_EEDaSZ_S10_SG_SL_EUlSZ_E_NS1_11comp_targetILNS1_3genE0ELNS1_11target_archE4294967295ELNS1_3gpuE0ELNS1_3repE0EEENS1_47radix_sort_onesweep_sort_config_static_selectorELNS0_4arch9wavefront6targetE1EEEvSG_
    .private_segment_fixed_size: 0
    .sgpr_count:     4
    .sgpr_spill_count: 0
    .symbol:         _ZN7rocprim17ROCPRIM_400000_NS6detail17trampoline_kernelINS0_14default_configENS1_35radix_sort_onesweep_config_selectorIllEEZZNS1_29radix_sort_onesweep_iterationIS3_Lb0EPlS7_N6thrust23THRUST_200600_302600_NS10device_ptrIlEESB_jNS0_19identity_decomposerENS1_16block_id_wrapperIjLb0EEEEE10hipError_tT1_PNSt15iterator_traitsISG_E10value_typeET2_T3_PNSH_ISM_E10value_typeET4_T5_PSR_SS_PNS1_23onesweep_lookback_stateEbbT6_jjT7_P12ihipStream_tbENKUlT_T0_SG_SL_E_clIS7_S7_SB_SB_EEDaSZ_S10_SG_SL_EUlSZ_E_NS1_11comp_targetILNS1_3genE0ELNS1_11target_archE4294967295ELNS1_3gpuE0ELNS1_3repE0EEENS1_47radix_sort_onesweep_sort_config_static_selectorELNS0_4arch9wavefront6targetE1EEEvSG_.kd
    .uniform_work_group_size: 1
    .uses_dynamic_stack: false
    .vgpr_count:     0
    .vgpr_spill_count: 0
    .wavefront_size: 64
  - .args:
      - .offset:         0
        .size:           88
        .value_kind:     by_value
    .group_segment_fixed_size: 0
    .kernarg_segment_align: 8
    .kernarg_segment_size: 88
    .language:       OpenCL C
    .language_version:
      - 2
      - 0
    .max_flat_workgroup_size: 1024
    .name:           _ZN7rocprim17ROCPRIM_400000_NS6detail17trampoline_kernelINS0_14default_configENS1_35radix_sort_onesweep_config_selectorIllEEZZNS1_29radix_sort_onesweep_iterationIS3_Lb0EPlS7_N6thrust23THRUST_200600_302600_NS10device_ptrIlEESB_jNS0_19identity_decomposerENS1_16block_id_wrapperIjLb0EEEEE10hipError_tT1_PNSt15iterator_traitsISG_E10value_typeET2_T3_PNSH_ISM_E10value_typeET4_T5_PSR_SS_PNS1_23onesweep_lookback_stateEbbT6_jjT7_P12ihipStream_tbENKUlT_T0_SG_SL_E_clIS7_S7_SB_SB_EEDaSZ_S10_SG_SL_EUlSZ_E_NS1_11comp_targetILNS1_3genE6ELNS1_11target_archE950ELNS1_3gpuE13ELNS1_3repE0EEENS1_47radix_sort_onesweep_sort_config_static_selectorELNS0_4arch9wavefront6targetE1EEEvSG_
    .private_segment_fixed_size: 0
    .sgpr_count:     4
    .sgpr_spill_count: 0
    .symbol:         _ZN7rocprim17ROCPRIM_400000_NS6detail17trampoline_kernelINS0_14default_configENS1_35radix_sort_onesweep_config_selectorIllEEZZNS1_29radix_sort_onesweep_iterationIS3_Lb0EPlS7_N6thrust23THRUST_200600_302600_NS10device_ptrIlEESB_jNS0_19identity_decomposerENS1_16block_id_wrapperIjLb0EEEEE10hipError_tT1_PNSt15iterator_traitsISG_E10value_typeET2_T3_PNSH_ISM_E10value_typeET4_T5_PSR_SS_PNS1_23onesweep_lookback_stateEbbT6_jjT7_P12ihipStream_tbENKUlT_T0_SG_SL_E_clIS7_S7_SB_SB_EEDaSZ_S10_SG_SL_EUlSZ_E_NS1_11comp_targetILNS1_3genE6ELNS1_11target_archE950ELNS1_3gpuE13ELNS1_3repE0EEENS1_47radix_sort_onesweep_sort_config_static_selectorELNS0_4arch9wavefront6targetE1EEEvSG_.kd
    .uniform_work_group_size: 1
    .uses_dynamic_stack: false
    .vgpr_count:     0
    .vgpr_spill_count: 0
    .wavefront_size: 64
  - .args:
      - .offset:         0
        .size:           88
        .value_kind:     by_value
    .group_segment_fixed_size: 0
    .kernarg_segment_align: 8
    .kernarg_segment_size: 88
    .language:       OpenCL C
    .language_version:
      - 2
      - 0
    .max_flat_workgroup_size: 1024
    .name:           _ZN7rocprim17ROCPRIM_400000_NS6detail17trampoline_kernelINS0_14default_configENS1_35radix_sort_onesweep_config_selectorIllEEZZNS1_29radix_sort_onesweep_iterationIS3_Lb0EPlS7_N6thrust23THRUST_200600_302600_NS10device_ptrIlEESB_jNS0_19identity_decomposerENS1_16block_id_wrapperIjLb0EEEEE10hipError_tT1_PNSt15iterator_traitsISG_E10value_typeET2_T3_PNSH_ISM_E10value_typeET4_T5_PSR_SS_PNS1_23onesweep_lookback_stateEbbT6_jjT7_P12ihipStream_tbENKUlT_T0_SG_SL_E_clIS7_S7_SB_SB_EEDaSZ_S10_SG_SL_EUlSZ_E_NS1_11comp_targetILNS1_3genE5ELNS1_11target_archE942ELNS1_3gpuE9ELNS1_3repE0EEENS1_47radix_sort_onesweep_sort_config_static_selectorELNS0_4arch9wavefront6targetE1EEEvSG_
    .private_segment_fixed_size: 0
    .sgpr_count:     4
    .sgpr_spill_count: 0
    .symbol:         _ZN7rocprim17ROCPRIM_400000_NS6detail17trampoline_kernelINS0_14default_configENS1_35radix_sort_onesweep_config_selectorIllEEZZNS1_29radix_sort_onesweep_iterationIS3_Lb0EPlS7_N6thrust23THRUST_200600_302600_NS10device_ptrIlEESB_jNS0_19identity_decomposerENS1_16block_id_wrapperIjLb0EEEEE10hipError_tT1_PNSt15iterator_traitsISG_E10value_typeET2_T3_PNSH_ISM_E10value_typeET4_T5_PSR_SS_PNS1_23onesweep_lookback_stateEbbT6_jjT7_P12ihipStream_tbENKUlT_T0_SG_SL_E_clIS7_S7_SB_SB_EEDaSZ_S10_SG_SL_EUlSZ_E_NS1_11comp_targetILNS1_3genE5ELNS1_11target_archE942ELNS1_3gpuE9ELNS1_3repE0EEENS1_47radix_sort_onesweep_sort_config_static_selectorELNS0_4arch9wavefront6targetE1EEEvSG_.kd
    .uniform_work_group_size: 1
    .uses_dynamic_stack: false
    .vgpr_count:     0
    .vgpr_spill_count: 0
    .wavefront_size: 64
  - .args:
      - .offset:         0
        .size:           88
        .value_kind:     by_value
      - .offset:         88
        .size:           4
        .value_kind:     hidden_block_count_x
      - .offset:         92
        .size:           4
        .value_kind:     hidden_block_count_y
      - .offset:         96
        .size:           4
        .value_kind:     hidden_block_count_z
      - .offset:         100
        .size:           2
        .value_kind:     hidden_group_size_x
      - .offset:         102
        .size:           2
        .value_kind:     hidden_group_size_y
      - .offset:         104
        .size:           2
        .value_kind:     hidden_group_size_z
      - .offset:         106
        .size:           2
        .value_kind:     hidden_remainder_x
      - .offset:         108
        .size:           2
        .value_kind:     hidden_remainder_y
      - .offset:         110
        .size:           2
        .value_kind:     hidden_remainder_z
      - .offset:         128
        .size:           8
        .value_kind:     hidden_global_offset_x
      - .offset:         136
        .size:           8
        .value_kind:     hidden_global_offset_y
      - .offset:         144
        .size:           8
        .value_kind:     hidden_global_offset_z
      - .offset:         152
        .size:           2
        .value_kind:     hidden_grid_dims
    .group_segment_fixed_size: 10280
    .kernarg_segment_align: 8
    .kernarg_segment_size: 344
    .language:       OpenCL C
    .language_version:
      - 2
      - 0
    .max_flat_workgroup_size: 512
    .name:           _ZN7rocprim17ROCPRIM_400000_NS6detail17trampoline_kernelINS0_14default_configENS1_35radix_sort_onesweep_config_selectorIllEEZZNS1_29radix_sort_onesweep_iterationIS3_Lb0EPlS7_N6thrust23THRUST_200600_302600_NS10device_ptrIlEESB_jNS0_19identity_decomposerENS1_16block_id_wrapperIjLb0EEEEE10hipError_tT1_PNSt15iterator_traitsISG_E10value_typeET2_T3_PNSH_ISM_E10value_typeET4_T5_PSR_SS_PNS1_23onesweep_lookback_stateEbbT6_jjT7_P12ihipStream_tbENKUlT_T0_SG_SL_E_clIS7_S7_SB_SB_EEDaSZ_S10_SG_SL_EUlSZ_E_NS1_11comp_targetILNS1_3genE2ELNS1_11target_archE906ELNS1_3gpuE6ELNS1_3repE0EEENS1_47radix_sort_onesweep_sort_config_static_selectorELNS0_4arch9wavefront6targetE1EEEvSG_
    .private_segment_fixed_size: 32
    .sgpr_count:     58
    .sgpr_spill_count: 0
    .symbol:         _ZN7rocprim17ROCPRIM_400000_NS6detail17trampoline_kernelINS0_14default_configENS1_35radix_sort_onesweep_config_selectorIllEEZZNS1_29radix_sort_onesweep_iterationIS3_Lb0EPlS7_N6thrust23THRUST_200600_302600_NS10device_ptrIlEESB_jNS0_19identity_decomposerENS1_16block_id_wrapperIjLb0EEEEE10hipError_tT1_PNSt15iterator_traitsISG_E10value_typeET2_T3_PNSH_ISM_E10value_typeET4_T5_PSR_SS_PNS1_23onesweep_lookback_stateEbbT6_jjT7_P12ihipStream_tbENKUlT_T0_SG_SL_E_clIS7_S7_SB_SB_EEDaSZ_S10_SG_SL_EUlSZ_E_NS1_11comp_targetILNS1_3genE2ELNS1_11target_archE906ELNS1_3gpuE6ELNS1_3repE0EEENS1_47radix_sort_onesweep_sort_config_static_selectorELNS0_4arch9wavefront6targetE1EEEvSG_.kd
    .uniform_work_group_size: 1
    .uses_dynamic_stack: false
    .vgpr_count:     47
    .vgpr_spill_count: 0
    .wavefront_size: 64
  - .args:
      - .offset:         0
        .size:           88
        .value_kind:     by_value
    .group_segment_fixed_size: 0
    .kernarg_segment_align: 8
    .kernarg_segment_size: 88
    .language:       OpenCL C
    .language_version:
      - 2
      - 0
    .max_flat_workgroup_size: 1024
    .name:           _ZN7rocprim17ROCPRIM_400000_NS6detail17trampoline_kernelINS0_14default_configENS1_35radix_sort_onesweep_config_selectorIllEEZZNS1_29radix_sort_onesweep_iterationIS3_Lb0EPlS7_N6thrust23THRUST_200600_302600_NS10device_ptrIlEESB_jNS0_19identity_decomposerENS1_16block_id_wrapperIjLb0EEEEE10hipError_tT1_PNSt15iterator_traitsISG_E10value_typeET2_T3_PNSH_ISM_E10value_typeET4_T5_PSR_SS_PNS1_23onesweep_lookback_stateEbbT6_jjT7_P12ihipStream_tbENKUlT_T0_SG_SL_E_clIS7_S7_SB_SB_EEDaSZ_S10_SG_SL_EUlSZ_E_NS1_11comp_targetILNS1_3genE4ELNS1_11target_archE910ELNS1_3gpuE8ELNS1_3repE0EEENS1_47radix_sort_onesweep_sort_config_static_selectorELNS0_4arch9wavefront6targetE1EEEvSG_
    .private_segment_fixed_size: 0
    .sgpr_count:     4
    .sgpr_spill_count: 0
    .symbol:         _ZN7rocprim17ROCPRIM_400000_NS6detail17trampoline_kernelINS0_14default_configENS1_35radix_sort_onesweep_config_selectorIllEEZZNS1_29radix_sort_onesweep_iterationIS3_Lb0EPlS7_N6thrust23THRUST_200600_302600_NS10device_ptrIlEESB_jNS0_19identity_decomposerENS1_16block_id_wrapperIjLb0EEEEE10hipError_tT1_PNSt15iterator_traitsISG_E10value_typeET2_T3_PNSH_ISM_E10value_typeET4_T5_PSR_SS_PNS1_23onesweep_lookback_stateEbbT6_jjT7_P12ihipStream_tbENKUlT_T0_SG_SL_E_clIS7_S7_SB_SB_EEDaSZ_S10_SG_SL_EUlSZ_E_NS1_11comp_targetILNS1_3genE4ELNS1_11target_archE910ELNS1_3gpuE8ELNS1_3repE0EEENS1_47radix_sort_onesweep_sort_config_static_selectorELNS0_4arch9wavefront6targetE1EEEvSG_.kd
    .uniform_work_group_size: 1
    .uses_dynamic_stack: false
    .vgpr_count:     0
    .vgpr_spill_count: 0
    .wavefront_size: 64
  - .args:
      - .offset:         0
        .size:           88
        .value_kind:     by_value
    .group_segment_fixed_size: 0
    .kernarg_segment_align: 8
    .kernarg_segment_size: 88
    .language:       OpenCL C
    .language_version:
      - 2
      - 0
    .max_flat_workgroup_size: 512
    .name:           _ZN7rocprim17ROCPRIM_400000_NS6detail17trampoline_kernelINS0_14default_configENS1_35radix_sort_onesweep_config_selectorIllEEZZNS1_29radix_sort_onesweep_iterationIS3_Lb0EPlS7_N6thrust23THRUST_200600_302600_NS10device_ptrIlEESB_jNS0_19identity_decomposerENS1_16block_id_wrapperIjLb0EEEEE10hipError_tT1_PNSt15iterator_traitsISG_E10value_typeET2_T3_PNSH_ISM_E10value_typeET4_T5_PSR_SS_PNS1_23onesweep_lookback_stateEbbT6_jjT7_P12ihipStream_tbENKUlT_T0_SG_SL_E_clIS7_S7_SB_SB_EEDaSZ_S10_SG_SL_EUlSZ_E_NS1_11comp_targetILNS1_3genE3ELNS1_11target_archE908ELNS1_3gpuE7ELNS1_3repE0EEENS1_47radix_sort_onesweep_sort_config_static_selectorELNS0_4arch9wavefront6targetE1EEEvSG_
    .private_segment_fixed_size: 0
    .sgpr_count:     4
    .sgpr_spill_count: 0
    .symbol:         _ZN7rocprim17ROCPRIM_400000_NS6detail17trampoline_kernelINS0_14default_configENS1_35radix_sort_onesweep_config_selectorIllEEZZNS1_29radix_sort_onesweep_iterationIS3_Lb0EPlS7_N6thrust23THRUST_200600_302600_NS10device_ptrIlEESB_jNS0_19identity_decomposerENS1_16block_id_wrapperIjLb0EEEEE10hipError_tT1_PNSt15iterator_traitsISG_E10value_typeET2_T3_PNSH_ISM_E10value_typeET4_T5_PSR_SS_PNS1_23onesweep_lookback_stateEbbT6_jjT7_P12ihipStream_tbENKUlT_T0_SG_SL_E_clIS7_S7_SB_SB_EEDaSZ_S10_SG_SL_EUlSZ_E_NS1_11comp_targetILNS1_3genE3ELNS1_11target_archE908ELNS1_3gpuE7ELNS1_3repE0EEENS1_47radix_sort_onesweep_sort_config_static_selectorELNS0_4arch9wavefront6targetE1EEEvSG_.kd
    .uniform_work_group_size: 1
    .uses_dynamic_stack: false
    .vgpr_count:     0
    .vgpr_spill_count: 0
    .wavefront_size: 64
  - .args:
      - .offset:         0
        .size:           88
        .value_kind:     by_value
    .group_segment_fixed_size: 0
    .kernarg_segment_align: 8
    .kernarg_segment_size: 88
    .language:       OpenCL C
    .language_version:
      - 2
      - 0
    .max_flat_workgroup_size: 1024
    .name:           _ZN7rocprim17ROCPRIM_400000_NS6detail17trampoline_kernelINS0_14default_configENS1_35radix_sort_onesweep_config_selectorIllEEZZNS1_29radix_sort_onesweep_iterationIS3_Lb0EPlS7_N6thrust23THRUST_200600_302600_NS10device_ptrIlEESB_jNS0_19identity_decomposerENS1_16block_id_wrapperIjLb0EEEEE10hipError_tT1_PNSt15iterator_traitsISG_E10value_typeET2_T3_PNSH_ISM_E10value_typeET4_T5_PSR_SS_PNS1_23onesweep_lookback_stateEbbT6_jjT7_P12ihipStream_tbENKUlT_T0_SG_SL_E_clIS7_S7_SB_SB_EEDaSZ_S10_SG_SL_EUlSZ_E_NS1_11comp_targetILNS1_3genE10ELNS1_11target_archE1201ELNS1_3gpuE5ELNS1_3repE0EEENS1_47radix_sort_onesweep_sort_config_static_selectorELNS0_4arch9wavefront6targetE1EEEvSG_
    .private_segment_fixed_size: 0
    .sgpr_count:     4
    .sgpr_spill_count: 0
    .symbol:         _ZN7rocprim17ROCPRIM_400000_NS6detail17trampoline_kernelINS0_14default_configENS1_35radix_sort_onesweep_config_selectorIllEEZZNS1_29radix_sort_onesweep_iterationIS3_Lb0EPlS7_N6thrust23THRUST_200600_302600_NS10device_ptrIlEESB_jNS0_19identity_decomposerENS1_16block_id_wrapperIjLb0EEEEE10hipError_tT1_PNSt15iterator_traitsISG_E10value_typeET2_T3_PNSH_ISM_E10value_typeET4_T5_PSR_SS_PNS1_23onesweep_lookback_stateEbbT6_jjT7_P12ihipStream_tbENKUlT_T0_SG_SL_E_clIS7_S7_SB_SB_EEDaSZ_S10_SG_SL_EUlSZ_E_NS1_11comp_targetILNS1_3genE10ELNS1_11target_archE1201ELNS1_3gpuE5ELNS1_3repE0EEENS1_47radix_sort_onesweep_sort_config_static_selectorELNS0_4arch9wavefront6targetE1EEEvSG_.kd
    .uniform_work_group_size: 1
    .uses_dynamic_stack: false
    .vgpr_count:     0
    .vgpr_spill_count: 0
    .wavefront_size: 64
  - .args:
      - .offset:         0
        .size:           88
        .value_kind:     by_value
    .group_segment_fixed_size: 0
    .kernarg_segment_align: 8
    .kernarg_segment_size: 88
    .language:       OpenCL C
    .language_version:
      - 2
      - 0
    .max_flat_workgroup_size: 1024
    .name:           _ZN7rocprim17ROCPRIM_400000_NS6detail17trampoline_kernelINS0_14default_configENS1_35radix_sort_onesweep_config_selectorIllEEZZNS1_29radix_sort_onesweep_iterationIS3_Lb0EPlS7_N6thrust23THRUST_200600_302600_NS10device_ptrIlEESB_jNS0_19identity_decomposerENS1_16block_id_wrapperIjLb0EEEEE10hipError_tT1_PNSt15iterator_traitsISG_E10value_typeET2_T3_PNSH_ISM_E10value_typeET4_T5_PSR_SS_PNS1_23onesweep_lookback_stateEbbT6_jjT7_P12ihipStream_tbENKUlT_T0_SG_SL_E_clIS7_S7_SB_SB_EEDaSZ_S10_SG_SL_EUlSZ_E_NS1_11comp_targetILNS1_3genE9ELNS1_11target_archE1100ELNS1_3gpuE3ELNS1_3repE0EEENS1_47radix_sort_onesweep_sort_config_static_selectorELNS0_4arch9wavefront6targetE1EEEvSG_
    .private_segment_fixed_size: 0
    .sgpr_count:     4
    .sgpr_spill_count: 0
    .symbol:         _ZN7rocprim17ROCPRIM_400000_NS6detail17trampoline_kernelINS0_14default_configENS1_35radix_sort_onesweep_config_selectorIllEEZZNS1_29radix_sort_onesweep_iterationIS3_Lb0EPlS7_N6thrust23THRUST_200600_302600_NS10device_ptrIlEESB_jNS0_19identity_decomposerENS1_16block_id_wrapperIjLb0EEEEE10hipError_tT1_PNSt15iterator_traitsISG_E10value_typeET2_T3_PNSH_ISM_E10value_typeET4_T5_PSR_SS_PNS1_23onesweep_lookback_stateEbbT6_jjT7_P12ihipStream_tbENKUlT_T0_SG_SL_E_clIS7_S7_SB_SB_EEDaSZ_S10_SG_SL_EUlSZ_E_NS1_11comp_targetILNS1_3genE9ELNS1_11target_archE1100ELNS1_3gpuE3ELNS1_3repE0EEENS1_47radix_sort_onesweep_sort_config_static_selectorELNS0_4arch9wavefront6targetE1EEEvSG_.kd
    .uniform_work_group_size: 1
    .uses_dynamic_stack: false
    .vgpr_count:     0
    .vgpr_spill_count: 0
    .wavefront_size: 64
  - .args:
      - .offset:         0
        .size:           88
        .value_kind:     by_value
    .group_segment_fixed_size: 0
    .kernarg_segment_align: 8
    .kernarg_segment_size: 88
    .language:       OpenCL C
    .language_version:
      - 2
      - 0
    .max_flat_workgroup_size: 1024
    .name:           _ZN7rocprim17ROCPRIM_400000_NS6detail17trampoline_kernelINS0_14default_configENS1_35radix_sort_onesweep_config_selectorIllEEZZNS1_29radix_sort_onesweep_iterationIS3_Lb0EPlS7_N6thrust23THRUST_200600_302600_NS10device_ptrIlEESB_jNS0_19identity_decomposerENS1_16block_id_wrapperIjLb0EEEEE10hipError_tT1_PNSt15iterator_traitsISG_E10value_typeET2_T3_PNSH_ISM_E10value_typeET4_T5_PSR_SS_PNS1_23onesweep_lookback_stateEbbT6_jjT7_P12ihipStream_tbENKUlT_T0_SG_SL_E_clIS7_S7_SB_SB_EEDaSZ_S10_SG_SL_EUlSZ_E_NS1_11comp_targetILNS1_3genE8ELNS1_11target_archE1030ELNS1_3gpuE2ELNS1_3repE0EEENS1_47radix_sort_onesweep_sort_config_static_selectorELNS0_4arch9wavefront6targetE1EEEvSG_
    .private_segment_fixed_size: 0
    .sgpr_count:     4
    .sgpr_spill_count: 0
    .symbol:         _ZN7rocprim17ROCPRIM_400000_NS6detail17trampoline_kernelINS0_14default_configENS1_35radix_sort_onesweep_config_selectorIllEEZZNS1_29radix_sort_onesweep_iterationIS3_Lb0EPlS7_N6thrust23THRUST_200600_302600_NS10device_ptrIlEESB_jNS0_19identity_decomposerENS1_16block_id_wrapperIjLb0EEEEE10hipError_tT1_PNSt15iterator_traitsISG_E10value_typeET2_T3_PNSH_ISM_E10value_typeET4_T5_PSR_SS_PNS1_23onesweep_lookback_stateEbbT6_jjT7_P12ihipStream_tbENKUlT_T0_SG_SL_E_clIS7_S7_SB_SB_EEDaSZ_S10_SG_SL_EUlSZ_E_NS1_11comp_targetILNS1_3genE8ELNS1_11target_archE1030ELNS1_3gpuE2ELNS1_3repE0EEENS1_47radix_sort_onesweep_sort_config_static_selectorELNS0_4arch9wavefront6targetE1EEEvSG_.kd
    .uniform_work_group_size: 1
    .uses_dynamic_stack: false
    .vgpr_count:     0
    .vgpr_spill_count: 0
    .wavefront_size: 64
  - .args:
      - .offset:         0
        .size:           88
        .value_kind:     by_value
    .group_segment_fixed_size: 0
    .kernarg_segment_align: 8
    .kernarg_segment_size: 88
    .language:       OpenCL C
    .language_version:
      - 2
      - 0
    .max_flat_workgroup_size: 512
    .name:           _ZN7rocprim17ROCPRIM_400000_NS6detail17trampoline_kernelINS0_14default_configENS1_35radix_sort_onesweep_config_selectorIllEEZZNS1_29radix_sort_onesweep_iterationIS3_Lb0EPlS7_N6thrust23THRUST_200600_302600_NS10device_ptrIlEESB_jNS0_19identity_decomposerENS1_16block_id_wrapperIjLb0EEEEE10hipError_tT1_PNSt15iterator_traitsISG_E10value_typeET2_T3_PNSH_ISM_E10value_typeET4_T5_PSR_SS_PNS1_23onesweep_lookback_stateEbbT6_jjT7_P12ihipStream_tbENKUlT_T0_SG_SL_E_clIS7_S7_SB_S7_EEDaSZ_S10_SG_SL_EUlSZ_E_NS1_11comp_targetILNS1_3genE0ELNS1_11target_archE4294967295ELNS1_3gpuE0ELNS1_3repE0EEENS1_47radix_sort_onesweep_sort_config_static_selectorELNS0_4arch9wavefront6targetE1EEEvSG_
    .private_segment_fixed_size: 0
    .sgpr_count:     4
    .sgpr_spill_count: 0
    .symbol:         _ZN7rocprim17ROCPRIM_400000_NS6detail17trampoline_kernelINS0_14default_configENS1_35radix_sort_onesweep_config_selectorIllEEZZNS1_29radix_sort_onesweep_iterationIS3_Lb0EPlS7_N6thrust23THRUST_200600_302600_NS10device_ptrIlEESB_jNS0_19identity_decomposerENS1_16block_id_wrapperIjLb0EEEEE10hipError_tT1_PNSt15iterator_traitsISG_E10value_typeET2_T3_PNSH_ISM_E10value_typeET4_T5_PSR_SS_PNS1_23onesweep_lookback_stateEbbT6_jjT7_P12ihipStream_tbENKUlT_T0_SG_SL_E_clIS7_S7_SB_S7_EEDaSZ_S10_SG_SL_EUlSZ_E_NS1_11comp_targetILNS1_3genE0ELNS1_11target_archE4294967295ELNS1_3gpuE0ELNS1_3repE0EEENS1_47radix_sort_onesweep_sort_config_static_selectorELNS0_4arch9wavefront6targetE1EEEvSG_.kd
    .uniform_work_group_size: 1
    .uses_dynamic_stack: false
    .vgpr_count:     0
    .vgpr_spill_count: 0
    .wavefront_size: 64
  - .args:
      - .offset:         0
        .size:           88
        .value_kind:     by_value
    .group_segment_fixed_size: 0
    .kernarg_segment_align: 8
    .kernarg_segment_size: 88
    .language:       OpenCL C
    .language_version:
      - 2
      - 0
    .max_flat_workgroup_size: 1024
    .name:           _ZN7rocprim17ROCPRIM_400000_NS6detail17trampoline_kernelINS0_14default_configENS1_35radix_sort_onesweep_config_selectorIllEEZZNS1_29radix_sort_onesweep_iterationIS3_Lb0EPlS7_N6thrust23THRUST_200600_302600_NS10device_ptrIlEESB_jNS0_19identity_decomposerENS1_16block_id_wrapperIjLb0EEEEE10hipError_tT1_PNSt15iterator_traitsISG_E10value_typeET2_T3_PNSH_ISM_E10value_typeET4_T5_PSR_SS_PNS1_23onesweep_lookback_stateEbbT6_jjT7_P12ihipStream_tbENKUlT_T0_SG_SL_E_clIS7_S7_SB_S7_EEDaSZ_S10_SG_SL_EUlSZ_E_NS1_11comp_targetILNS1_3genE6ELNS1_11target_archE950ELNS1_3gpuE13ELNS1_3repE0EEENS1_47radix_sort_onesweep_sort_config_static_selectorELNS0_4arch9wavefront6targetE1EEEvSG_
    .private_segment_fixed_size: 0
    .sgpr_count:     4
    .sgpr_spill_count: 0
    .symbol:         _ZN7rocprim17ROCPRIM_400000_NS6detail17trampoline_kernelINS0_14default_configENS1_35radix_sort_onesweep_config_selectorIllEEZZNS1_29radix_sort_onesweep_iterationIS3_Lb0EPlS7_N6thrust23THRUST_200600_302600_NS10device_ptrIlEESB_jNS0_19identity_decomposerENS1_16block_id_wrapperIjLb0EEEEE10hipError_tT1_PNSt15iterator_traitsISG_E10value_typeET2_T3_PNSH_ISM_E10value_typeET4_T5_PSR_SS_PNS1_23onesweep_lookback_stateEbbT6_jjT7_P12ihipStream_tbENKUlT_T0_SG_SL_E_clIS7_S7_SB_S7_EEDaSZ_S10_SG_SL_EUlSZ_E_NS1_11comp_targetILNS1_3genE6ELNS1_11target_archE950ELNS1_3gpuE13ELNS1_3repE0EEENS1_47radix_sort_onesweep_sort_config_static_selectorELNS0_4arch9wavefront6targetE1EEEvSG_.kd
    .uniform_work_group_size: 1
    .uses_dynamic_stack: false
    .vgpr_count:     0
    .vgpr_spill_count: 0
    .wavefront_size: 64
  - .args:
      - .offset:         0
        .size:           88
        .value_kind:     by_value
    .group_segment_fixed_size: 0
    .kernarg_segment_align: 8
    .kernarg_segment_size: 88
    .language:       OpenCL C
    .language_version:
      - 2
      - 0
    .max_flat_workgroup_size: 1024
    .name:           _ZN7rocprim17ROCPRIM_400000_NS6detail17trampoline_kernelINS0_14default_configENS1_35radix_sort_onesweep_config_selectorIllEEZZNS1_29radix_sort_onesweep_iterationIS3_Lb0EPlS7_N6thrust23THRUST_200600_302600_NS10device_ptrIlEESB_jNS0_19identity_decomposerENS1_16block_id_wrapperIjLb0EEEEE10hipError_tT1_PNSt15iterator_traitsISG_E10value_typeET2_T3_PNSH_ISM_E10value_typeET4_T5_PSR_SS_PNS1_23onesweep_lookback_stateEbbT6_jjT7_P12ihipStream_tbENKUlT_T0_SG_SL_E_clIS7_S7_SB_S7_EEDaSZ_S10_SG_SL_EUlSZ_E_NS1_11comp_targetILNS1_3genE5ELNS1_11target_archE942ELNS1_3gpuE9ELNS1_3repE0EEENS1_47radix_sort_onesweep_sort_config_static_selectorELNS0_4arch9wavefront6targetE1EEEvSG_
    .private_segment_fixed_size: 0
    .sgpr_count:     4
    .sgpr_spill_count: 0
    .symbol:         _ZN7rocprim17ROCPRIM_400000_NS6detail17trampoline_kernelINS0_14default_configENS1_35radix_sort_onesweep_config_selectorIllEEZZNS1_29radix_sort_onesweep_iterationIS3_Lb0EPlS7_N6thrust23THRUST_200600_302600_NS10device_ptrIlEESB_jNS0_19identity_decomposerENS1_16block_id_wrapperIjLb0EEEEE10hipError_tT1_PNSt15iterator_traitsISG_E10value_typeET2_T3_PNSH_ISM_E10value_typeET4_T5_PSR_SS_PNS1_23onesweep_lookback_stateEbbT6_jjT7_P12ihipStream_tbENKUlT_T0_SG_SL_E_clIS7_S7_SB_S7_EEDaSZ_S10_SG_SL_EUlSZ_E_NS1_11comp_targetILNS1_3genE5ELNS1_11target_archE942ELNS1_3gpuE9ELNS1_3repE0EEENS1_47radix_sort_onesweep_sort_config_static_selectorELNS0_4arch9wavefront6targetE1EEEvSG_.kd
    .uniform_work_group_size: 1
    .uses_dynamic_stack: false
    .vgpr_count:     0
    .vgpr_spill_count: 0
    .wavefront_size: 64
  - .args:
      - .offset:         0
        .size:           88
        .value_kind:     by_value
      - .offset:         88
        .size:           4
        .value_kind:     hidden_block_count_x
      - .offset:         92
        .size:           4
        .value_kind:     hidden_block_count_y
      - .offset:         96
        .size:           4
        .value_kind:     hidden_block_count_z
      - .offset:         100
        .size:           2
        .value_kind:     hidden_group_size_x
      - .offset:         102
        .size:           2
        .value_kind:     hidden_group_size_y
      - .offset:         104
        .size:           2
        .value_kind:     hidden_group_size_z
      - .offset:         106
        .size:           2
        .value_kind:     hidden_remainder_x
      - .offset:         108
        .size:           2
        .value_kind:     hidden_remainder_y
      - .offset:         110
        .size:           2
        .value_kind:     hidden_remainder_z
      - .offset:         128
        .size:           8
        .value_kind:     hidden_global_offset_x
      - .offset:         136
        .size:           8
        .value_kind:     hidden_global_offset_y
      - .offset:         144
        .size:           8
        .value_kind:     hidden_global_offset_z
      - .offset:         152
        .size:           2
        .value_kind:     hidden_grid_dims
    .group_segment_fixed_size: 10280
    .kernarg_segment_align: 8
    .kernarg_segment_size: 344
    .language:       OpenCL C
    .language_version:
      - 2
      - 0
    .max_flat_workgroup_size: 512
    .name:           _ZN7rocprim17ROCPRIM_400000_NS6detail17trampoline_kernelINS0_14default_configENS1_35radix_sort_onesweep_config_selectorIllEEZZNS1_29radix_sort_onesweep_iterationIS3_Lb0EPlS7_N6thrust23THRUST_200600_302600_NS10device_ptrIlEESB_jNS0_19identity_decomposerENS1_16block_id_wrapperIjLb0EEEEE10hipError_tT1_PNSt15iterator_traitsISG_E10value_typeET2_T3_PNSH_ISM_E10value_typeET4_T5_PSR_SS_PNS1_23onesweep_lookback_stateEbbT6_jjT7_P12ihipStream_tbENKUlT_T0_SG_SL_E_clIS7_S7_SB_S7_EEDaSZ_S10_SG_SL_EUlSZ_E_NS1_11comp_targetILNS1_3genE2ELNS1_11target_archE906ELNS1_3gpuE6ELNS1_3repE0EEENS1_47radix_sort_onesweep_sort_config_static_selectorELNS0_4arch9wavefront6targetE1EEEvSG_
    .private_segment_fixed_size: 32
    .sgpr_count:     58
    .sgpr_spill_count: 0
    .symbol:         _ZN7rocprim17ROCPRIM_400000_NS6detail17trampoline_kernelINS0_14default_configENS1_35radix_sort_onesweep_config_selectorIllEEZZNS1_29radix_sort_onesweep_iterationIS3_Lb0EPlS7_N6thrust23THRUST_200600_302600_NS10device_ptrIlEESB_jNS0_19identity_decomposerENS1_16block_id_wrapperIjLb0EEEEE10hipError_tT1_PNSt15iterator_traitsISG_E10value_typeET2_T3_PNSH_ISM_E10value_typeET4_T5_PSR_SS_PNS1_23onesweep_lookback_stateEbbT6_jjT7_P12ihipStream_tbENKUlT_T0_SG_SL_E_clIS7_S7_SB_S7_EEDaSZ_S10_SG_SL_EUlSZ_E_NS1_11comp_targetILNS1_3genE2ELNS1_11target_archE906ELNS1_3gpuE6ELNS1_3repE0EEENS1_47radix_sort_onesweep_sort_config_static_selectorELNS0_4arch9wavefront6targetE1EEEvSG_.kd
    .uniform_work_group_size: 1
    .uses_dynamic_stack: false
    .vgpr_count:     47
    .vgpr_spill_count: 0
    .wavefront_size: 64
  - .args:
      - .offset:         0
        .size:           88
        .value_kind:     by_value
    .group_segment_fixed_size: 0
    .kernarg_segment_align: 8
    .kernarg_segment_size: 88
    .language:       OpenCL C
    .language_version:
      - 2
      - 0
    .max_flat_workgroup_size: 1024
    .name:           _ZN7rocprim17ROCPRIM_400000_NS6detail17trampoline_kernelINS0_14default_configENS1_35radix_sort_onesweep_config_selectorIllEEZZNS1_29radix_sort_onesweep_iterationIS3_Lb0EPlS7_N6thrust23THRUST_200600_302600_NS10device_ptrIlEESB_jNS0_19identity_decomposerENS1_16block_id_wrapperIjLb0EEEEE10hipError_tT1_PNSt15iterator_traitsISG_E10value_typeET2_T3_PNSH_ISM_E10value_typeET4_T5_PSR_SS_PNS1_23onesweep_lookback_stateEbbT6_jjT7_P12ihipStream_tbENKUlT_T0_SG_SL_E_clIS7_S7_SB_S7_EEDaSZ_S10_SG_SL_EUlSZ_E_NS1_11comp_targetILNS1_3genE4ELNS1_11target_archE910ELNS1_3gpuE8ELNS1_3repE0EEENS1_47radix_sort_onesweep_sort_config_static_selectorELNS0_4arch9wavefront6targetE1EEEvSG_
    .private_segment_fixed_size: 0
    .sgpr_count:     4
    .sgpr_spill_count: 0
    .symbol:         _ZN7rocprim17ROCPRIM_400000_NS6detail17trampoline_kernelINS0_14default_configENS1_35radix_sort_onesweep_config_selectorIllEEZZNS1_29radix_sort_onesweep_iterationIS3_Lb0EPlS7_N6thrust23THRUST_200600_302600_NS10device_ptrIlEESB_jNS0_19identity_decomposerENS1_16block_id_wrapperIjLb0EEEEE10hipError_tT1_PNSt15iterator_traitsISG_E10value_typeET2_T3_PNSH_ISM_E10value_typeET4_T5_PSR_SS_PNS1_23onesweep_lookback_stateEbbT6_jjT7_P12ihipStream_tbENKUlT_T0_SG_SL_E_clIS7_S7_SB_S7_EEDaSZ_S10_SG_SL_EUlSZ_E_NS1_11comp_targetILNS1_3genE4ELNS1_11target_archE910ELNS1_3gpuE8ELNS1_3repE0EEENS1_47radix_sort_onesweep_sort_config_static_selectorELNS0_4arch9wavefront6targetE1EEEvSG_.kd
    .uniform_work_group_size: 1
    .uses_dynamic_stack: false
    .vgpr_count:     0
    .vgpr_spill_count: 0
    .wavefront_size: 64
  - .args:
      - .offset:         0
        .size:           88
        .value_kind:     by_value
    .group_segment_fixed_size: 0
    .kernarg_segment_align: 8
    .kernarg_segment_size: 88
    .language:       OpenCL C
    .language_version:
      - 2
      - 0
    .max_flat_workgroup_size: 512
    .name:           _ZN7rocprim17ROCPRIM_400000_NS6detail17trampoline_kernelINS0_14default_configENS1_35radix_sort_onesweep_config_selectorIllEEZZNS1_29radix_sort_onesweep_iterationIS3_Lb0EPlS7_N6thrust23THRUST_200600_302600_NS10device_ptrIlEESB_jNS0_19identity_decomposerENS1_16block_id_wrapperIjLb0EEEEE10hipError_tT1_PNSt15iterator_traitsISG_E10value_typeET2_T3_PNSH_ISM_E10value_typeET4_T5_PSR_SS_PNS1_23onesweep_lookback_stateEbbT6_jjT7_P12ihipStream_tbENKUlT_T0_SG_SL_E_clIS7_S7_SB_S7_EEDaSZ_S10_SG_SL_EUlSZ_E_NS1_11comp_targetILNS1_3genE3ELNS1_11target_archE908ELNS1_3gpuE7ELNS1_3repE0EEENS1_47radix_sort_onesweep_sort_config_static_selectorELNS0_4arch9wavefront6targetE1EEEvSG_
    .private_segment_fixed_size: 0
    .sgpr_count:     4
    .sgpr_spill_count: 0
    .symbol:         _ZN7rocprim17ROCPRIM_400000_NS6detail17trampoline_kernelINS0_14default_configENS1_35radix_sort_onesweep_config_selectorIllEEZZNS1_29radix_sort_onesweep_iterationIS3_Lb0EPlS7_N6thrust23THRUST_200600_302600_NS10device_ptrIlEESB_jNS0_19identity_decomposerENS1_16block_id_wrapperIjLb0EEEEE10hipError_tT1_PNSt15iterator_traitsISG_E10value_typeET2_T3_PNSH_ISM_E10value_typeET4_T5_PSR_SS_PNS1_23onesweep_lookback_stateEbbT6_jjT7_P12ihipStream_tbENKUlT_T0_SG_SL_E_clIS7_S7_SB_S7_EEDaSZ_S10_SG_SL_EUlSZ_E_NS1_11comp_targetILNS1_3genE3ELNS1_11target_archE908ELNS1_3gpuE7ELNS1_3repE0EEENS1_47radix_sort_onesweep_sort_config_static_selectorELNS0_4arch9wavefront6targetE1EEEvSG_.kd
    .uniform_work_group_size: 1
    .uses_dynamic_stack: false
    .vgpr_count:     0
    .vgpr_spill_count: 0
    .wavefront_size: 64
  - .args:
      - .offset:         0
        .size:           88
        .value_kind:     by_value
    .group_segment_fixed_size: 0
    .kernarg_segment_align: 8
    .kernarg_segment_size: 88
    .language:       OpenCL C
    .language_version:
      - 2
      - 0
    .max_flat_workgroup_size: 1024
    .name:           _ZN7rocprim17ROCPRIM_400000_NS6detail17trampoline_kernelINS0_14default_configENS1_35radix_sort_onesweep_config_selectorIllEEZZNS1_29radix_sort_onesweep_iterationIS3_Lb0EPlS7_N6thrust23THRUST_200600_302600_NS10device_ptrIlEESB_jNS0_19identity_decomposerENS1_16block_id_wrapperIjLb0EEEEE10hipError_tT1_PNSt15iterator_traitsISG_E10value_typeET2_T3_PNSH_ISM_E10value_typeET4_T5_PSR_SS_PNS1_23onesweep_lookback_stateEbbT6_jjT7_P12ihipStream_tbENKUlT_T0_SG_SL_E_clIS7_S7_SB_S7_EEDaSZ_S10_SG_SL_EUlSZ_E_NS1_11comp_targetILNS1_3genE10ELNS1_11target_archE1201ELNS1_3gpuE5ELNS1_3repE0EEENS1_47radix_sort_onesweep_sort_config_static_selectorELNS0_4arch9wavefront6targetE1EEEvSG_
    .private_segment_fixed_size: 0
    .sgpr_count:     4
    .sgpr_spill_count: 0
    .symbol:         _ZN7rocprim17ROCPRIM_400000_NS6detail17trampoline_kernelINS0_14default_configENS1_35radix_sort_onesweep_config_selectorIllEEZZNS1_29radix_sort_onesweep_iterationIS3_Lb0EPlS7_N6thrust23THRUST_200600_302600_NS10device_ptrIlEESB_jNS0_19identity_decomposerENS1_16block_id_wrapperIjLb0EEEEE10hipError_tT1_PNSt15iterator_traitsISG_E10value_typeET2_T3_PNSH_ISM_E10value_typeET4_T5_PSR_SS_PNS1_23onesweep_lookback_stateEbbT6_jjT7_P12ihipStream_tbENKUlT_T0_SG_SL_E_clIS7_S7_SB_S7_EEDaSZ_S10_SG_SL_EUlSZ_E_NS1_11comp_targetILNS1_3genE10ELNS1_11target_archE1201ELNS1_3gpuE5ELNS1_3repE0EEENS1_47radix_sort_onesweep_sort_config_static_selectorELNS0_4arch9wavefront6targetE1EEEvSG_.kd
    .uniform_work_group_size: 1
    .uses_dynamic_stack: false
    .vgpr_count:     0
    .vgpr_spill_count: 0
    .wavefront_size: 64
  - .args:
      - .offset:         0
        .size:           88
        .value_kind:     by_value
    .group_segment_fixed_size: 0
    .kernarg_segment_align: 8
    .kernarg_segment_size: 88
    .language:       OpenCL C
    .language_version:
      - 2
      - 0
    .max_flat_workgroup_size: 1024
    .name:           _ZN7rocprim17ROCPRIM_400000_NS6detail17trampoline_kernelINS0_14default_configENS1_35radix_sort_onesweep_config_selectorIllEEZZNS1_29radix_sort_onesweep_iterationIS3_Lb0EPlS7_N6thrust23THRUST_200600_302600_NS10device_ptrIlEESB_jNS0_19identity_decomposerENS1_16block_id_wrapperIjLb0EEEEE10hipError_tT1_PNSt15iterator_traitsISG_E10value_typeET2_T3_PNSH_ISM_E10value_typeET4_T5_PSR_SS_PNS1_23onesweep_lookback_stateEbbT6_jjT7_P12ihipStream_tbENKUlT_T0_SG_SL_E_clIS7_S7_SB_S7_EEDaSZ_S10_SG_SL_EUlSZ_E_NS1_11comp_targetILNS1_3genE9ELNS1_11target_archE1100ELNS1_3gpuE3ELNS1_3repE0EEENS1_47radix_sort_onesweep_sort_config_static_selectorELNS0_4arch9wavefront6targetE1EEEvSG_
    .private_segment_fixed_size: 0
    .sgpr_count:     4
    .sgpr_spill_count: 0
    .symbol:         _ZN7rocprim17ROCPRIM_400000_NS6detail17trampoline_kernelINS0_14default_configENS1_35radix_sort_onesweep_config_selectorIllEEZZNS1_29radix_sort_onesweep_iterationIS3_Lb0EPlS7_N6thrust23THRUST_200600_302600_NS10device_ptrIlEESB_jNS0_19identity_decomposerENS1_16block_id_wrapperIjLb0EEEEE10hipError_tT1_PNSt15iterator_traitsISG_E10value_typeET2_T3_PNSH_ISM_E10value_typeET4_T5_PSR_SS_PNS1_23onesweep_lookback_stateEbbT6_jjT7_P12ihipStream_tbENKUlT_T0_SG_SL_E_clIS7_S7_SB_S7_EEDaSZ_S10_SG_SL_EUlSZ_E_NS1_11comp_targetILNS1_3genE9ELNS1_11target_archE1100ELNS1_3gpuE3ELNS1_3repE0EEENS1_47radix_sort_onesweep_sort_config_static_selectorELNS0_4arch9wavefront6targetE1EEEvSG_.kd
    .uniform_work_group_size: 1
    .uses_dynamic_stack: false
    .vgpr_count:     0
    .vgpr_spill_count: 0
    .wavefront_size: 64
  - .args:
      - .offset:         0
        .size:           88
        .value_kind:     by_value
    .group_segment_fixed_size: 0
    .kernarg_segment_align: 8
    .kernarg_segment_size: 88
    .language:       OpenCL C
    .language_version:
      - 2
      - 0
    .max_flat_workgroup_size: 1024
    .name:           _ZN7rocprim17ROCPRIM_400000_NS6detail17trampoline_kernelINS0_14default_configENS1_35radix_sort_onesweep_config_selectorIllEEZZNS1_29radix_sort_onesweep_iterationIS3_Lb0EPlS7_N6thrust23THRUST_200600_302600_NS10device_ptrIlEESB_jNS0_19identity_decomposerENS1_16block_id_wrapperIjLb0EEEEE10hipError_tT1_PNSt15iterator_traitsISG_E10value_typeET2_T3_PNSH_ISM_E10value_typeET4_T5_PSR_SS_PNS1_23onesweep_lookback_stateEbbT6_jjT7_P12ihipStream_tbENKUlT_T0_SG_SL_E_clIS7_S7_SB_S7_EEDaSZ_S10_SG_SL_EUlSZ_E_NS1_11comp_targetILNS1_3genE8ELNS1_11target_archE1030ELNS1_3gpuE2ELNS1_3repE0EEENS1_47radix_sort_onesweep_sort_config_static_selectorELNS0_4arch9wavefront6targetE1EEEvSG_
    .private_segment_fixed_size: 0
    .sgpr_count:     4
    .sgpr_spill_count: 0
    .symbol:         _ZN7rocprim17ROCPRIM_400000_NS6detail17trampoline_kernelINS0_14default_configENS1_35radix_sort_onesweep_config_selectorIllEEZZNS1_29radix_sort_onesweep_iterationIS3_Lb0EPlS7_N6thrust23THRUST_200600_302600_NS10device_ptrIlEESB_jNS0_19identity_decomposerENS1_16block_id_wrapperIjLb0EEEEE10hipError_tT1_PNSt15iterator_traitsISG_E10value_typeET2_T3_PNSH_ISM_E10value_typeET4_T5_PSR_SS_PNS1_23onesweep_lookback_stateEbbT6_jjT7_P12ihipStream_tbENKUlT_T0_SG_SL_E_clIS7_S7_SB_S7_EEDaSZ_S10_SG_SL_EUlSZ_E_NS1_11comp_targetILNS1_3genE8ELNS1_11target_archE1030ELNS1_3gpuE2ELNS1_3repE0EEENS1_47radix_sort_onesweep_sort_config_static_selectorELNS0_4arch9wavefront6targetE1EEEvSG_.kd
    .uniform_work_group_size: 1
    .uses_dynamic_stack: false
    .vgpr_count:     0
    .vgpr_spill_count: 0
    .wavefront_size: 64
  - .args:
      - .offset:         0
        .size:           88
        .value_kind:     by_value
    .group_segment_fixed_size: 0
    .kernarg_segment_align: 8
    .kernarg_segment_size: 88
    .language:       OpenCL C
    .language_version:
      - 2
      - 0
    .max_flat_workgroup_size: 512
    .name:           _ZN7rocprim17ROCPRIM_400000_NS6detail17trampoline_kernelINS0_14default_configENS1_35radix_sort_onesweep_config_selectorIllEEZZNS1_29radix_sort_onesweep_iterationIS3_Lb0EPlS7_N6thrust23THRUST_200600_302600_NS10device_ptrIlEESB_jNS0_19identity_decomposerENS1_16block_id_wrapperIjLb0EEEEE10hipError_tT1_PNSt15iterator_traitsISG_E10value_typeET2_T3_PNSH_ISM_E10value_typeET4_T5_PSR_SS_PNS1_23onesweep_lookback_stateEbbT6_jjT7_P12ihipStream_tbENKUlT_T0_SG_SL_E_clIS7_S7_S7_SB_EEDaSZ_S10_SG_SL_EUlSZ_E_NS1_11comp_targetILNS1_3genE0ELNS1_11target_archE4294967295ELNS1_3gpuE0ELNS1_3repE0EEENS1_47radix_sort_onesweep_sort_config_static_selectorELNS0_4arch9wavefront6targetE1EEEvSG_
    .private_segment_fixed_size: 0
    .sgpr_count:     4
    .sgpr_spill_count: 0
    .symbol:         _ZN7rocprim17ROCPRIM_400000_NS6detail17trampoline_kernelINS0_14default_configENS1_35radix_sort_onesweep_config_selectorIllEEZZNS1_29radix_sort_onesweep_iterationIS3_Lb0EPlS7_N6thrust23THRUST_200600_302600_NS10device_ptrIlEESB_jNS0_19identity_decomposerENS1_16block_id_wrapperIjLb0EEEEE10hipError_tT1_PNSt15iterator_traitsISG_E10value_typeET2_T3_PNSH_ISM_E10value_typeET4_T5_PSR_SS_PNS1_23onesweep_lookback_stateEbbT6_jjT7_P12ihipStream_tbENKUlT_T0_SG_SL_E_clIS7_S7_S7_SB_EEDaSZ_S10_SG_SL_EUlSZ_E_NS1_11comp_targetILNS1_3genE0ELNS1_11target_archE4294967295ELNS1_3gpuE0ELNS1_3repE0EEENS1_47radix_sort_onesweep_sort_config_static_selectorELNS0_4arch9wavefront6targetE1EEEvSG_.kd
    .uniform_work_group_size: 1
    .uses_dynamic_stack: false
    .vgpr_count:     0
    .vgpr_spill_count: 0
    .wavefront_size: 64
  - .args:
      - .offset:         0
        .size:           88
        .value_kind:     by_value
    .group_segment_fixed_size: 0
    .kernarg_segment_align: 8
    .kernarg_segment_size: 88
    .language:       OpenCL C
    .language_version:
      - 2
      - 0
    .max_flat_workgroup_size: 1024
    .name:           _ZN7rocprim17ROCPRIM_400000_NS6detail17trampoline_kernelINS0_14default_configENS1_35radix_sort_onesweep_config_selectorIllEEZZNS1_29radix_sort_onesweep_iterationIS3_Lb0EPlS7_N6thrust23THRUST_200600_302600_NS10device_ptrIlEESB_jNS0_19identity_decomposerENS1_16block_id_wrapperIjLb0EEEEE10hipError_tT1_PNSt15iterator_traitsISG_E10value_typeET2_T3_PNSH_ISM_E10value_typeET4_T5_PSR_SS_PNS1_23onesweep_lookback_stateEbbT6_jjT7_P12ihipStream_tbENKUlT_T0_SG_SL_E_clIS7_S7_S7_SB_EEDaSZ_S10_SG_SL_EUlSZ_E_NS1_11comp_targetILNS1_3genE6ELNS1_11target_archE950ELNS1_3gpuE13ELNS1_3repE0EEENS1_47radix_sort_onesweep_sort_config_static_selectorELNS0_4arch9wavefront6targetE1EEEvSG_
    .private_segment_fixed_size: 0
    .sgpr_count:     4
    .sgpr_spill_count: 0
    .symbol:         _ZN7rocprim17ROCPRIM_400000_NS6detail17trampoline_kernelINS0_14default_configENS1_35radix_sort_onesweep_config_selectorIllEEZZNS1_29radix_sort_onesweep_iterationIS3_Lb0EPlS7_N6thrust23THRUST_200600_302600_NS10device_ptrIlEESB_jNS0_19identity_decomposerENS1_16block_id_wrapperIjLb0EEEEE10hipError_tT1_PNSt15iterator_traitsISG_E10value_typeET2_T3_PNSH_ISM_E10value_typeET4_T5_PSR_SS_PNS1_23onesweep_lookback_stateEbbT6_jjT7_P12ihipStream_tbENKUlT_T0_SG_SL_E_clIS7_S7_S7_SB_EEDaSZ_S10_SG_SL_EUlSZ_E_NS1_11comp_targetILNS1_3genE6ELNS1_11target_archE950ELNS1_3gpuE13ELNS1_3repE0EEENS1_47radix_sort_onesweep_sort_config_static_selectorELNS0_4arch9wavefront6targetE1EEEvSG_.kd
    .uniform_work_group_size: 1
    .uses_dynamic_stack: false
    .vgpr_count:     0
    .vgpr_spill_count: 0
    .wavefront_size: 64
  - .args:
      - .offset:         0
        .size:           88
        .value_kind:     by_value
    .group_segment_fixed_size: 0
    .kernarg_segment_align: 8
    .kernarg_segment_size: 88
    .language:       OpenCL C
    .language_version:
      - 2
      - 0
    .max_flat_workgroup_size: 1024
    .name:           _ZN7rocprim17ROCPRIM_400000_NS6detail17trampoline_kernelINS0_14default_configENS1_35radix_sort_onesweep_config_selectorIllEEZZNS1_29radix_sort_onesweep_iterationIS3_Lb0EPlS7_N6thrust23THRUST_200600_302600_NS10device_ptrIlEESB_jNS0_19identity_decomposerENS1_16block_id_wrapperIjLb0EEEEE10hipError_tT1_PNSt15iterator_traitsISG_E10value_typeET2_T3_PNSH_ISM_E10value_typeET4_T5_PSR_SS_PNS1_23onesweep_lookback_stateEbbT6_jjT7_P12ihipStream_tbENKUlT_T0_SG_SL_E_clIS7_S7_S7_SB_EEDaSZ_S10_SG_SL_EUlSZ_E_NS1_11comp_targetILNS1_3genE5ELNS1_11target_archE942ELNS1_3gpuE9ELNS1_3repE0EEENS1_47radix_sort_onesweep_sort_config_static_selectorELNS0_4arch9wavefront6targetE1EEEvSG_
    .private_segment_fixed_size: 0
    .sgpr_count:     4
    .sgpr_spill_count: 0
    .symbol:         _ZN7rocprim17ROCPRIM_400000_NS6detail17trampoline_kernelINS0_14default_configENS1_35radix_sort_onesweep_config_selectorIllEEZZNS1_29radix_sort_onesweep_iterationIS3_Lb0EPlS7_N6thrust23THRUST_200600_302600_NS10device_ptrIlEESB_jNS0_19identity_decomposerENS1_16block_id_wrapperIjLb0EEEEE10hipError_tT1_PNSt15iterator_traitsISG_E10value_typeET2_T3_PNSH_ISM_E10value_typeET4_T5_PSR_SS_PNS1_23onesweep_lookback_stateEbbT6_jjT7_P12ihipStream_tbENKUlT_T0_SG_SL_E_clIS7_S7_S7_SB_EEDaSZ_S10_SG_SL_EUlSZ_E_NS1_11comp_targetILNS1_3genE5ELNS1_11target_archE942ELNS1_3gpuE9ELNS1_3repE0EEENS1_47radix_sort_onesweep_sort_config_static_selectorELNS0_4arch9wavefront6targetE1EEEvSG_.kd
    .uniform_work_group_size: 1
    .uses_dynamic_stack: false
    .vgpr_count:     0
    .vgpr_spill_count: 0
    .wavefront_size: 64
  - .args:
      - .offset:         0
        .size:           88
        .value_kind:     by_value
      - .offset:         88
        .size:           4
        .value_kind:     hidden_block_count_x
      - .offset:         92
        .size:           4
        .value_kind:     hidden_block_count_y
      - .offset:         96
        .size:           4
        .value_kind:     hidden_block_count_z
      - .offset:         100
        .size:           2
        .value_kind:     hidden_group_size_x
      - .offset:         102
        .size:           2
        .value_kind:     hidden_group_size_y
      - .offset:         104
        .size:           2
        .value_kind:     hidden_group_size_z
      - .offset:         106
        .size:           2
        .value_kind:     hidden_remainder_x
      - .offset:         108
        .size:           2
        .value_kind:     hidden_remainder_y
      - .offset:         110
        .size:           2
        .value_kind:     hidden_remainder_z
      - .offset:         128
        .size:           8
        .value_kind:     hidden_global_offset_x
      - .offset:         136
        .size:           8
        .value_kind:     hidden_global_offset_y
      - .offset:         144
        .size:           8
        .value_kind:     hidden_global_offset_z
      - .offset:         152
        .size:           2
        .value_kind:     hidden_grid_dims
    .group_segment_fixed_size: 10280
    .kernarg_segment_align: 8
    .kernarg_segment_size: 344
    .language:       OpenCL C
    .language_version:
      - 2
      - 0
    .max_flat_workgroup_size: 512
    .name:           _ZN7rocprim17ROCPRIM_400000_NS6detail17trampoline_kernelINS0_14default_configENS1_35radix_sort_onesweep_config_selectorIllEEZZNS1_29radix_sort_onesweep_iterationIS3_Lb0EPlS7_N6thrust23THRUST_200600_302600_NS10device_ptrIlEESB_jNS0_19identity_decomposerENS1_16block_id_wrapperIjLb0EEEEE10hipError_tT1_PNSt15iterator_traitsISG_E10value_typeET2_T3_PNSH_ISM_E10value_typeET4_T5_PSR_SS_PNS1_23onesweep_lookback_stateEbbT6_jjT7_P12ihipStream_tbENKUlT_T0_SG_SL_E_clIS7_S7_S7_SB_EEDaSZ_S10_SG_SL_EUlSZ_E_NS1_11comp_targetILNS1_3genE2ELNS1_11target_archE906ELNS1_3gpuE6ELNS1_3repE0EEENS1_47radix_sort_onesweep_sort_config_static_selectorELNS0_4arch9wavefront6targetE1EEEvSG_
    .private_segment_fixed_size: 32
    .sgpr_count:     58
    .sgpr_spill_count: 0
    .symbol:         _ZN7rocprim17ROCPRIM_400000_NS6detail17trampoline_kernelINS0_14default_configENS1_35radix_sort_onesweep_config_selectorIllEEZZNS1_29radix_sort_onesweep_iterationIS3_Lb0EPlS7_N6thrust23THRUST_200600_302600_NS10device_ptrIlEESB_jNS0_19identity_decomposerENS1_16block_id_wrapperIjLb0EEEEE10hipError_tT1_PNSt15iterator_traitsISG_E10value_typeET2_T3_PNSH_ISM_E10value_typeET4_T5_PSR_SS_PNS1_23onesweep_lookback_stateEbbT6_jjT7_P12ihipStream_tbENKUlT_T0_SG_SL_E_clIS7_S7_S7_SB_EEDaSZ_S10_SG_SL_EUlSZ_E_NS1_11comp_targetILNS1_3genE2ELNS1_11target_archE906ELNS1_3gpuE6ELNS1_3repE0EEENS1_47radix_sort_onesweep_sort_config_static_selectorELNS0_4arch9wavefront6targetE1EEEvSG_.kd
    .uniform_work_group_size: 1
    .uses_dynamic_stack: false
    .vgpr_count:     47
    .vgpr_spill_count: 0
    .wavefront_size: 64
  - .args:
      - .offset:         0
        .size:           88
        .value_kind:     by_value
    .group_segment_fixed_size: 0
    .kernarg_segment_align: 8
    .kernarg_segment_size: 88
    .language:       OpenCL C
    .language_version:
      - 2
      - 0
    .max_flat_workgroup_size: 1024
    .name:           _ZN7rocprim17ROCPRIM_400000_NS6detail17trampoline_kernelINS0_14default_configENS1_35radix_sort_onesweep_config_selectorIllEEZZNS1_29radix_sort_onesweep_iterationIS3_Lb0EPlS7_N6thrust23THRUST_200600_302600_NS10device_ptrIlEESB_jNS0_19identity_decomposerENS1_16block_id_wrapperIjLb0EEEEE10hipError_tT1_PNSt15iterator_traitsISG_E10value_typeET2_T3_PNSH_ISM_E10value_typeET4_T5_PSR_SS_PNS1_23onesweep_lookback_stateEbbT6_jjT7_P12ihipStream_tbENKUlT_T0_SG_SL_E_clIS7_S7_S7_SB_EEDaSZ_S10_SG_SL_EUlSZ_E_NS1_11comp_targetILNS1_3genE4ELNS1_11target_archE910ELNS1_3gpuE8ELNS1_3repE0EEENS1_47radix_sort_onesweep_sort_config_static_selectorELNS0_4arch9wavefront6targetE1EEEvSG_
    .private_segment_fixed_size: 0
    .sgpr_count:     4
    .sgpr_spill_count: 0
    .symbol:         _ZN7rocprim17ROCPRIM_400000_NS6detail17trampoline_kernelINS0_14default_configENS1_35radix_sort_onesweep_config_selectorIllEEZZNS1_29radix_sort_onesweep_iterationIS3_Lb0EPlS7_N6thrust23THRUST_200600_302600_NS10device_ptrIlEESB_jNS0_19identity_decomposerENS1_16block_id_wrapperIjLb0EEEEE10hipError_tT1_PNSt15iterator_traitsISG_E10value_typeET2_T3_PNSH_ISM_E10value_typeET4_T5_PSR_SS_PNS1_23onesweep_lookback_stateEbbT6_jjT7_P12ihipStream_tbENKUlT_T0_SG_SL_E_clIS7_S7_S7_SB_EEDaSZ_S10_SG_SL_EUlSZ_E_NS1_11comp_targetILNS1_3genE4ELNS1_11target_archE910ELNS1_3gpuE8ELNS1_3repE0EEENS1_47radix_sort_onesweep_sort_config_static_selectorELNS0_4arch9wavefront6targetE1EEEvSG_.kd
    .uniform_work_group_size: 1
    .uses_dynamic_stack: false
    .vgpr_count:     0
    .vgpr_spill_count: 0
    .wavefront_size: 64
  - .args:
      - .offset:         0
        .size:           88
        .value_kind:     by_value
    .group_segment_fixed_size: 0
    .kernarg_segment_align: 8
    .kernarg_segment_size: 88
    .language:       OpenCL C
    .language_version:
      - 2
      - 0
    .max_flat_workgroup_size: 512
    .name:           _ZN7rocprim17ROCPRIM_400000_NS6detail17trampoline_kernelINS0_14default_configENS1_35radix_sort_onesweep_config_selectorIllEEZZNS1_29radix_sort_onesweep_iterationIS3_Lb0EPlS7_N6thrust23THRUST_200600_302600_NS10device_ptrIlEESB_jNS0_19identity_decomposerENS1_16block_id_wrapperIjLb0EEEEE10hipError_tT1_PNSt15iterator_traitsISG_E10value_typeET2_T3_PNSH_ISM_E10value_typeET4_T5_PSR_SS_PNS1_23onesweep_lookback_stateEbbT6_jjT7_P12ihipStream_tbENKUlT_T0_SG_SL_E_clIS7_S7_S7_SB_EEDaSZ_S10_SG_SL_EUlSZ_E_NS1_11comp_targetILNS1_3genE3ELNS1_11target_archE908ELNS1_3gpuE7ELNS1_3repE0EEENS1_47radix_sort_onesweep_sort_config_static_selectorELNS0_4arch9wavefront6targetE1EEEvSG_
    .private_segment_fixed_size: 0
    .sgpr_count:     4
    .sgpr_spill_count: 0
    .symbol:         _ZN7rocprim17ROCPRIM_400000_NS6detail17trampoline_kernelINS0_14default_configENS1_35radix_sort_onesweep_config_selectorIllEEZZNS1_29radix_sort_onesweep_iterationIS3_Lb0EPlS7_N6thrust23THRUST_200600_302600_NS10device_ptrIlEESB_jNS0_19identity_decomposerENS1_16block_id_wrapperIjLb0EEEEE10hipError_tT1_PNSt15iterator_traitsISG_E10value_typeET2_T3_PNSH_ISM_E10value_typeET4_T5_PSR_SS_PNS1_23onesweep_lookback_stateEbbT6_jjT7_P12ihipStream_tbENKUlT_T0_SG_SL_E_clIS7_S7_S7_SB_EEDaSZ_S10_SG_SL_EUlSZ_E_NS1_11comp_targetILNS1_3genE3ELNS1_11target_archE908ELNS1_3gpuE7ELNS1_3repE0EEENS1_47radix_sort_onesweep_sort_config_static_selectorELNS0_4arch9wavefront6targetE1EEEvSG_.kd
    .uniform_work_group_size: 1
    .uses_dynamic_stack: false
    .vgpr_count:     0
    .vgpr_spill_count: 0
    .wavefront_size: 64
  - .args:
      - .offset:         0
        .size:           88
        .value_kind:     by_value
    .group_segment_fixed_size: 0
    .kernarg_segment_align: 8
    .kernarg_segment_size: 88
    .language:       OpenCL C
    .language_version:
      - 2
      - 0
    .max_flat_workgroup_size: 1024
    .name:           _ZN7rocprim17ROCPRIM_400000_NS6detail17trampoline_kernelINS0_14default_configENS1_35radix_sort_onesweep_config_selectorIllEEZZNS1_29radix_sort_onesweep_iterationIS3_Lb0EPlS7_N6thrust23THRUST_200600_302600_NS10device_ptrIlEESB_jNS0_19identity_decomposerENS1_16block_id_wrapperIjLb0EEEEE10hipError_tT1_PNSt15iterator_traitsISG_E10value_typeET2_T3_PNSH_ISM_E10value_typeET4_T5_PSR_SS_PNS1_23onesweep_lookback_stateEbbT6_jjT7_P12ihipStream_tbENKUlT_T0_SG_SL_E_clIS7_S7_S7_SB_EEDaSZ_S10_SG_SL_EUlSZ_E_NS1_11comp_targetILNS1_3genE10ELNS1_11target_archE1201ELNS1_3gpuE5ELNS1_3repE0EEENS1_47radix_sort_onesweep_sort_config_static_selectorELNS0_4arch9wavefront6targetE1EEEvSG_
    .private_segment_fixed_size: 0
    .sgpr_count:     4
    .sgpr_spill_count: 0
    .symbol:         _ZN7rocprim17ROCPRIM_400000_NS6detail17trampoline_kernelINS0_14default_configENS1_35radix_sort_onesweep_config_selectorIllEEZZNS1_29radix_sort_onesweep_iterationIS3_Lb0EPlS7_N6thrust23THRUST_200600_302600_NS10device_ptrIlEESB_jNS0_19identity_decomposerENS1_16block_id_wrapperIjLb0EEEEE10hipError_tT1_PNSt15iterator_traitsISG_E10value_typeET2_T3_PNSH_ISM_E10value_typeET4_T5_PSR_SS_PNS1_23onesweep_lookback_stateEbbT6_jjT7_P12ihipStream_tbENKUlT_T0_SG_SL_E_clIS7_S7_S7_SB_EEDaSZ_S10_SG_SL_EUlSZ_E_NS1_11comp_targetILNS1_3genE10ELNS1_11target_archE1201ELNS1_3gpuE5ELNS1_3repE0EEENS1_47radix_sort_onesweep_sort_config_static_selectorELNS0_4arch9wavefront6targetE1EEEvSG_.kd
    .uniform_work_group_size: 1
    .uses_dynamic_stack: false
    .vgpr_count:     0
    .vgpr_spill_count: 0
    .wavefront_size: 64
  - .args:
      - .offset:         0
        .size:           88
        .value_kind:     by_value
    .group_segment_fixed_size: 0
    .kernarg_segment_align: 8
    .kernarg_segment_size: 88
    .language:       OpenCL C
    .language_version:
      - 2
      - 0
    .max_flat_workgroup_size: 1024
    .name:           _ZN7rocprim17ROCPRIM_400000_NS6detail17trampoline_kernelINS0_14default_configENS1_35radix_sort_onesweep_config_selectorIllEEZZNS1_29radix_sort_onesweep_iterationIS3_Lb0EPlS7_N6thrust23THRUST_200600_302600_NS10device_ptrIlEESB_jNS0_19identity_decomposerENS1_16block_id_wrapperIjLb0EEEEE10hipError_tT1_PNSt15iterator_traitsISG_E10value_typeET2_T3_PNSH_ISM_E10value_typeET4_T5_PSR_SS_PNS1_23onesweep_lookback_stateEbbT6_jjT7_P12ihipStream_tbENKUlT_T0_SG_SL_E_clIS7_S7_S7_SB_EEDaSZ_S10_SG_SL_EUlSZ_E_NS1_11comp_targetILNS1_3genE9ELNS1_11target_archE1100ELNS1_3gpuE3ELNS1_3repE0EEENS1_47radix_sort_onesweep_sort_config_static_selectorELNS0_4arch9wavefront6targetE1EEEvSG_
    .private_segment_fixed_size: 0
    .sgpr_count:     4
    .sgpr_spill_count: 0
    .symbol:         _ZN7rocprim17ROCPRIM_400000_NS6detail17trampoline_kernelINS0_14default_configENS1_35radix_sort_onesweep_config_selectorIllEEZZNS1_29radix_sort_onesweep_iterationIS3_Lb0EPlS7_N6thrust23THRUST_200600_302600_NS10device_ptrIlEESB_jNS0_19identity_decomposerENS1_16block_id_wrapperIjLb0EEEEE10hipError_tT1_PNSt15iterator_traitsISG_E10value_typeET2_T3_PNSH_ISM_E10value_typeET4_T5_PSR_SS_PNS1_23onesweep_lookback_stateEbbT6_jjT7_P12ihipStream_tbENKUlT_T0_SG_SL_E_clIS7_S7_S7_SB_EEDaSZ_S10_SG_SL_EUlSZ_E_NS1_11comp_targetILNS1_3genE9ELNS1_11target_archE1100ELNS1_3gpuE3ELNS1_3repE0EEENS1_47radix_sort_onesweep_sort_config_static_selectorELNS0_4arch9wavefront6targetE1EEEvSG_.kd
    .uniform_work_group_size: 1
    .uses_dynamic_stack: false
    .vgpr_count:     0
    .vgpr_spill_count: 0
    .wavefront_size: 64
  - .args:
      - .offset:         0
        .size:           88
        .value_kind:     by_value
    .group_segment_fixed_size: 0
    .kernarg_segment_align: 8
    .kernarg_segment_size: 88
    .language:       OpenCL C
    .language_version:
      - 2
      - 0
    .max_flat_workgroup_size: 1024
    .name:           _ZN7rocprim17ROCPRIM_400000_NS6detail17trampoline_kernelINS0_14default_configENS1_35radix_sort_onesweep_config_selectorIllEEZZNS1_29radix_sort_onesweep_iterationIS3_Lb0EPlS7_N6thrust23THRUST_200600_302600_NS10device_ptrIlEESB_jNS0_19identity_decomposerENS1_16block_id_wrapperIjLb0EEEEE10hipError_tT1_PNSt15iterator_traitsISG_E10value_typeET2_T3_PNSH_ISM_E10value_typeET4_T5_PSR_SS_PNS1_23onesweep_lookback_stateEbbT6_jjT7_P12ihipStream_tbENKUlT_T0_SG_SL_E_clIS7_S7_S7_SB_EEDaSZ_S10_SG_SL_EUlSZ_E_NS1_11comp_targetILNS1_3genE8ELNS1_11target_archE1030ELNS1_3gpuE2ELNS1_3repE0EEENS1_47radix_sort_onesweep_sort_config_static_selectorELNS0_4arch9wavefront6targetE1EEEvSG_
    .private_segment_fixed_size: 0
    .sgpr_count:     4
    .sgpr_spill_count: 0
    .symbol:         _ZN7rocprim17ROCPRIM_400000_NS6detail17trampoline_kernelINS0_14default_configENS1_35radix_sort_onesweep_config_selectorIllEEZZNS1_29radix_sort_onesweep_iterationIS3_Lb0EPlS7_N6thrust23THRUST_200600_302600_NS10device_ptrIlEESB_jNS0_19identity_decomposerENS1_16block_id_wrapperIjLb0EEEEE10hipError_tT1_PNSt15iterator_traitsISG_E10value_typeET2_T3_PNSH_ISM_E10value_typeET4_T5_PSR_SS_PNS1_23onesweep_lookback_stateEbbT6_jjT7_P12ihipStream_tbENKUlT_T0_SG_SL_E_clIS7_S7_S7_SB_EEDaSZ_S10_SG_SL_EUlSZ_E_NS1_11comp_targetILNS1_3genE8ELNS1_11target_archE1030ELNS1_3gpuE2ELNS1_3repE0EEENS1_47radix_sort_onesweep_sort_config_static_selectorELNS0_4arch9wavefront6targetE1EEEvSG_.kd
    .uniform_work_group_size: 1
    .uses_dynamic_stack: false
    .vgpr_count:     0
    .vgpr_spill_count: 0
    .wavefront_size: 64
  - .args:
      - .offset:         0
        .size:           72
        .value_kind:     by_value
    .group_segment_fixed_size: 0
    .kernarg_segment_align: 8
    .kernarg_segment_size: 72
    .language:       OpenCL C
    .language_version:
      - 2
      - 0
    .max_flat_workgroup_size: 256
    .name:           _ZN7rocprim17ROCPRIM_400000_NS6detail17trampoline_kernelINS0_14default_configENS1_22reduce_config_selectorIiEEZNS1_11reduce_implILb1ES3_N6thrust23THRUST_200600_302600_NS11hip_rocprim35transform_pair_of_input_iterators_tIiPlSB_NS8_12not_equal_toIlEEEEPiiNS8_4plusIiEEEE10hipError_tPvRmT1_T2_T3_mT4_P12ihipStream_tbEUlT_E0_NS1_11comp_targetILNS1_3genE0ELNS1_11target_archE4294967295ELNS1_3gpuE0ELNS1_3repE0EEENS1_30default_config_static_selectorELNS0_4arch9wavefront6targetE1EEEvSL_
    .private_segment_fixed_size: 0
    .sgpr_count:     4
    .sgpr_spill_count: 0
    .symbol:         _ZN7rocprim17ROCPRIM_400000_NS6detail17trampoline_kernelINS0_14default_configENS1_22reduce_config_selectorIiEEZNS1_11reduce_implILb1ES3_N6thrust23THRUST_200600_302600_NS11hip_rocprim35transform_pair_of_input_iterators_tIiPlSB_NS8_12not_equal_toIlEEEEPiiNS8_4plusIiEEEE10hipError_tPvRmT1_T2_T3_mT4_P12ihipStream_tbEUlT_E0_NS1_11comp_targetILNS1_3genE0ELNS1_11target_archE4294967295ELNS1_3gpuE0ELNS1_3repE0EEENS1_30default_config_static_selectorELNS0_4arch9wavefront6targetE1EEEvSL_.kd
    .uniform_work_group_size: 1
    .uses_dynamic_stack: false
    .vgpr_count:     0
    .vgpr_spill_count: 0
    .wavefront_size: 64
  - .args:
      - .offset:         0
        .size:           72
        .value_kind:     by_value
    .group_segment_fixed_size: 0
    .kernarg_segment_align: 8
    .kernarg_segment_size: 72
    .language:       OpenCL C
    .language_version:
      - 2
      - 0
    .max_flat_workgroup_size: 256
    .name:           _ZN7rocprim17ROCPRIM_400000_NS6detail17trampoline_kernelINS0_14default_configENS1_22reduce_config_selectorIiEEZNS1_11reduce_implILb1ES3_N6thrust23THRUST_200600_302600_NS11hip_rocprim35transform_pair_of_input_iterators_tIiPlSB_NS8_12not_equal_toIlEEEEPiiNS8_4plusIiEEEE10hipError_tPvRmT1_T2_T3_mT4_P12ihipStream_tbEUlT_E0_NS1_11comp_targetILNS1_3genE5ELNS1_11target_archE942ELNS1_3gpuE9ELNS1_3repE0EEENS1_30default_config_static_selectorELNS0_4arch9wavefront6targetE1EEEvSL_
    .private_segment_fixed_size: 0
    .sgpr_count:     4
    .sgpr_spill_count: 0
    .symbol:         _ZN7rocprim17ROCPRIM_400000_NS6detail17trampoline_kernelINS0_14default_configENS1_22reduce_config_selectorIiEEZNS1_11reduce_implILb1ES3_N6thrust23THRUST_200600_302600_NS11hip_rocprim35transform_pair_of_input_iterators_tIiPlSB_NS8_12not_equal_toIlEEEEPiiNS8_4plusIiEEEE10hipError_tPvRmT1_T2_T3_mT4_P12ihipStream_tbEUlT_E0_NS1_11comp_targetILNS1_3genE5ELNS1_11target_archE942ELNS1_3gpuE9ELNS1_3repE0EEENS1_30default_config_static_selectorELNS0_4arch9wavefront6targetE1EEEvSL_.kd
    .uniform_work_group_size: 1
    .uses_dynamic_stack: false
    .vgpr_count:     0
    .vgpr_spill_count: 0
    .wavefront_size: 64
  - .args:
      - .offset:         0
        .size:           72
        .value_kind:     by_value
    .group_segment_fixed_size: 0
    .kernarg_segment_align: 8
    .kernarg_segment_size: 72
    .language:       OpenCL C
    .language_version:
      - 2
      - 0
    .max_flat_workgroup_size: 128
    .name:           _ZN7rocprim17ROCPRIM_400000_NS6detail17trampoline_kernelINS0_14default_configENS1_22reduce_config_selectorIiEEZNS1_11reduce_implILb1ES3_N6thrust23THRUST_200600_302600_NS11hip_rocprim35transform_pair_of_input_iterators_tIiPlSB_NS8_12not_equal_toIlEEEEPiiNS8_4plusIiEEEE10hipError_tPvRmT1_T2_T3_mT4_P12ihipStream_tbEUlT_E0_NS1_11comp_targetILNS1_3genE4ELNS1_11target_archE910ELNS1_3gpuE8ELNS1_3repE0EEENS1_30default_config_static_selectorELNS0_4arch9wavefront6targetE1EEEvSL_
    .private_segment_fixed_size: 0
    .sgpr_count:     4
    .sgpr_spill_count: 0
    .symbol:         _ZN7rocprim17ROCPRIM_400000_NS6detail17trampoline_kernelINS0_14default_configENS1_22reduce_config_selectorIiEEZNS1_11reduce_implILb1ES3_N6thrust23THRUST_200600_302600_NS11hip_rocprim35transform_pair_of_input_iterators_tIiPlSB_NS8_12not_equal_toIlEEEEPiiNS8_4plusIiEEEE10hipError_tPvRmT1_T2_T3_mT4_P12ihipStream_tbEUlT_E0_NS1_11comp_targetILNS1_3genE4ELNS1_11target_archE910ELNS1_3gpuE8ELNS1_3repE0EEENS1_30default_config_static_selectorELNS0_4arch9wavefront6targetE1EEEvSL_.kd
    .uniform_work_group_size: 1
    .uses_dynamic_stack: false
    .vgpr_count:     0
    .vgpr_spill_count: 0
    .wavefront_size: 64
  - .args:
      - .offset:         0
        .size:           72
        .value_kind:     by_value
    .group_segment_fixed_size: 0
    .kernarg_segment_align: 8
    .kernarg_segment_size: 72
    .language:       OpenCL C
    .language_version:
      - 2
      - 0
    .max_flat_workgroup_size: 256
    .name:           _ZN7rocprim17ROCPRIM_400000_NS6detail17trampoline_kernelINS0_14default_configENS1_22reduce_config_selectorIiEEZNS1_11reduce_implILb1ES3_N6thrust23THRUST_200600_302600_NS11hip_rocprim35transform_pair_of_input_iterators_tIiPlSB_NS8_12not_equal_toIlEEEEPiiNS8_4plusIiEEEE10hipError_tPvRmT1_T2_T3_mT4_P12ihipStream_tbEUlT_E0_NS1_11comp_targetILNS1_3genE3ELNS1_11target_archE908ELNS1_3gpuE7ELNS1_3repE0EEENS1_30default_config_static_selectorELNS0_4arch9wavefront6targetE1EEEvSL_
    .private_segment_fixed_size: 0
    .sgpr_count:     4
    .sgpr_spill_count: 0
    .symbol:         _ZN7rocprim17ROCPRIM_400000_NS6detail17trampoline_kernelINS0_14default_configENS1_22reduce_config_selectorIiEEZNS1_11reduce_implILb1ES3_N6thrust23THRUST_200600_302600_NS11hip_rocprim35transform_pair_of_input_iterators_tIiPlSB_NS8_12not_equal_toIlEEEEPiiNS8_4plusIiEEEE10hipError_tPvRmT1_T2_T3_mT4_P12ihipStream_tbEUlT_E0_NS1_11comp_targetILNS1_3genE3ELNS1_11target_archE908ELNS1_3gpuE7ELNS1_3repE0EEENS1_30default_config_static_selectorELNS0_4arch9wavefront6targetE1EEEvSL_.kd
    .uniform_work_group_size: 1
    .uses_dynamic_stack: false
    .vgpr_count:     0
    .vgpr_spill_count: 0
    .wavefront_size: 64
  - .args:
      - .offset:         0
        .size:           72
        .value_kind:     by_value
    .group_segment_fixed_size: 32
    .kernarg_segment_align: 8
    .kernarg_segment_size: 72
    .language:       OpenCL C
    .language_version:
      - 2
      - 0
    .max_flat_workgroup_size: 256
    .name:           _ZN7rocprim17ROCPRIM_400000_NS6detail17trampoline_kernelINS0_14default_configENS1_22reduce_config_selectorIiEEZNS1_11reduce_implILb1ES3_N6thrust23THRUST_200600_302600_NS11hip_rocprim35transform_pair_of_input_iterators_tIiPlSB_NS8_12not_equal_toIlEEEEPiiNS8_4plusIiEEEE10hipError_tPvRmT1_T2_T3_mT4_P12ihipStream_tbEUlT_E0_NS1_11comp_targetILNS1_3genE2ELNS1_11target_archE906ELNS1_3gpuE6ELNS1_3repE0EEENS1_30default_config_static_selectorELNS0_4arch9wavefront6targetE1EEEvSL_
    .private_segment_fixed_size: 0
    .sgpr_count:     28
    .sgpr_spill_count: 0
    .symbol:         _ZN7rocprim17ROCPRIM_400000_NS6detail17trampoline_kernelINS0_14default_configENS1_22reduce_config_selectorIiEEZNS1_11reduce_implILb1ES3_N6thrust23THRUST_200600_302600_NS11hip_rocprim35transform_pair_of_input_iterators_tIiPlSB_NS8_12not_equal_toIlEEEEPiiNS8_4plusIiEEEE10hipError_tPvRmT1_T2_T3_mT4_P12ihipStream_tbEUlT_E0_NS1_11comp_targetILNS1_3genE2ELNS1_11target_archE906ELNS1_3gpuE6ELNS1_3repE0EEENS1_30default_config_static_selectorELNS0_4arch9wavefront6targetE1EEEvSL_.kd
    .uniform_work_group_size: 1
    .uses_dynamic_stack: false
    .vgpr_count:     23
    .vgpr_spill_count: 0
    .wavefront_size: 64
  - .args:
      - .offset:         0
        .size:           72
        .value_kind:     by_value
    .group_segment_fixed_size: 0
    .kernarg_segment_align: 8
    .kernarg_segment_size: 72
    .language:       OpenCL C
    .language_version:
      - 2
      - 0
    .max_flat_workgroup_size: 256
    .name:           _ZN7rocprim17ROCPRIM_400000_NS6detail17trampoline_kernelINS0_14default_configENS1_22reduce_config_selectorIiEEZNS1_11reduce_implILb1ES3_N6thrust23THRUST_200600_302600_NS11hip_rocprim35transform_pair_of_input_iterators_tIiPlSB_NS8_12not_equal_toIlEEEEPiiNS8_4plusIiEEEE10hipError_tPvRmT1_T2_T3_mT4_P12ihipStream_tbEUlT_E0_NS1_11comp_targetILNS1_3genE10ELNS1_11target_archE1201ELNS1_3gpuE5ELNS1_3repE0EEENS1_30default_config_static_selectorELNS0_4arch9wavefront6targetE1EEEvSL_
    .private_segment_fixed_size: 0
    .sgpr_count:     4
    .sgpr_spill_count: 0
    .symbol:         _ZN7rocprim17ROCPRIM_400000_NS6detail17trampoline_kernelINS0_14default_configENS1_22reduce_config_selectorIiEEZNS1_11reduce_implILb1ES3_N6thrust23THRUST_200600_302600_NS11hip_rocprim35transform_pair_of_input_iterators_tIiPlSB_NS8_12not_equal_toIlEEEEPiiNS8_4plusIiEEEE10hipError_tPvRmT1_T2_T3_mT4_P12ihipStream_tbEUlT_E0_NS1_11comp_targetILNS1_3genE10ELNS1_11target_archE1201ELNS1_3gpuE5ELNS1_3repE0EEENS1_30default_config_static_selectorELNS0_4arch9wavefront6targetE1EEEvSL_.kd
    .uniform_work_group_size: 1
    .uses_dynamic_stack: false
    .vgpr_count:     0
    .vgpr_spill_count: 0
    .wavefront_size: 64
  - .args:
      - .offset:         0
        .size:           72
        .value_kind:     by_value
    .group_segment_fixed_size: 0
    .kernarg_segment_align: 8
    .kernarg_segment_size: 72
    .language:       OpenCL C
    .language_version:
      - 2
      - 0
    .max_flat_workgroup_size: 256
    .name:           _ZN7rocprim17ROCPRIM_400000_NS6detail17trampoline_kernelINS0_14default_configENS1_22reduce_config_selectorIiEEZNS1_11reduce_implILb1ES3_N6thrust23THRUST_200600_302600_NS11hip_rocprim35transform_pair_of_input_iterators_tIiPlSB_NS8_12not_equal_toIlEEEEPiiNS8_4plusIiEEEE10hipError_tPvRmT1_T2_T3_mT4_P12ihipStream_tbEUlT_E0_NS1_11comp_targetILNS1_3genE10ELNS1_11target_archE1200ELNS1_3gpuE4ELNS1_3repE0EEENS1_30default_config_static_selectorELNS0_4arch9wavefront6targetE1EEEvSL_
    .private_segment_fixed_size: 0
    .sgpr_count:     4
    .sgpr_spill_count: 0
    .symbol:         _ZN7rocprim17ROCPRIM_400000_NS6detail17trampoline_kernelINS0_14default_configENS1_22reduce_config_selectorIiEEZNS1_11reduce_implILb1ES3_N6thrust23THRUST_200600_302600_NS11hip_rocprim35transform_pair_of_input_iterators_tIiPlSB_NS8_12not_equal_toIlEEEEPiiNS8_4plusIiEEEE10hipError_tPvRmT1_T2_T3_mT4_P12ihipStream_tbEUlT_E0_NS1_11comp_targetILNS1_3genE10ELNS1_11target_archE1200ELNS1_3gpuE4ELNS1_3repE0EEENS1_30default_config_static_selectorELNS0_4arch9wavefront6targetE1EEEvSL_.kd
    .uniform_work_group_size: 1
    .uses_dynamic_stack: false
    .vgpr_count:     0
    .vgpr_spill_count: 0
    .wavefront_size: 64
  - .args:
      - .offset:         0
        .size:           72
        .value_kind:     by_value
    .group_segment_fixed_size: 0
    .kernarg_segment_align: 8
    .kernarg_segment_size: 72
    .language:       OpenCL C
    .language_version:
      - 2
      - 0
    .max_flat_workgroup_size: 256
    .name:           _ZN7rocprim17ROCPRIM_400000_NS6detail17trampoline_kernelINS0_14default_configENS1_22reduce_config_selectorIiEEZNS1_11reduce_implILb1ES3_N6thrust23THRUST_200600_302600_NS11hip_rocprim35transform_pair_of_input_iterators_tIiPlSB_NS8_12not_equal_toIlEEEEPiiNS8_4plusIiEEEE10hipError_tPvRmT1_T2_T3_mT4_P12ihipStream_tbEUlT_E0_NS1_11comp_targetILNS1_3genE9ELNS1_11target_archE1100ELNS1_3gpuE3ELNS1_3repE0EEENS1_30default_config_static_selectorELNS0_4arch9wavefront6targetE1EEEvSL_
    .private_segment_fixed_size: 0
    .sgpr_count:     4
    .sgpr_spill_count: 0
    .symbol:         _ZN7rocprim17ROCPRIM_400000_NS6detail17trampoline_kernelINS0_14default_configENS1_22reduce_config_selectorIiEEZNS1_11reduce_implILb1ES3_N6thrust23THRUST_200600_302600_NS11hip_rocprim35transform_pair_of_input_iterators_tIiPlSB_NS8_12not_equal_toIlEEEEPiiNS8_4plusIiEEEE10hipError_tPvRmT1_T2_T3_mT4_P12ihipStream_tbEUlT_E0_NS1_11comp_targetILNS1_3genE9ELNS1_11target_archE1100ELNS1_3gpuE3ELNS1_3repE0EEENS1_30default_config_static_selectorELNS0_4arch9wavefront6targetE1EEEvSL_.kd
    .uniform_work_group_size: 1
    .uses_dynamic_stack: false
    .vgpr_count:     0
    .vgpr_spill_count: 0
    .wavefront_size: 64
  - .args:
      - .offset:         0
        .size:           72
        .value_kind:     by_value
    .group_segment_fixed_size: 0
    .kernarg_segment_align: 8
    .kernarg_segment_size: 72
    .language:       OpenCL C
    .language_version:
      - 2
      - 0
    .max_flat_workgroup_size: 256
    .name:           _ZN7rocprim17ROCPRIM_400000_NS6detail17trampoline_kernelINS0_14default_configENS1_22reduce_config_selectorIiEEZNS1_11reduce_implILb1ES3_N6thrust23THRUST_200600_302600_NS11hip_rocprim35transform_pair_of_input_iterators_tIiPlSB_NS8_12not_equal_toIlEEEEPiiNS8_4plusIiEEEE10hipError_tPvRmT1_T2_T3_mT4_P12ihipStream_tbEUlT_E0_NS1_11comp_targetILNS1_3genE8ELNS1_11target_archE1030ELNS1_3gpuE2ELNS1_3repE0EEENS1_30default_config_static_selectorELNS0_4arch9wavefront6targetE1EEEvSL_
    .private_segment_fixed_size: 0
    .sgpr_count:     4
    .sgpr_spill_count: 0
    .symbol:         _ZN7rocprim17ROCPRIM_400000_NS6detail17trampoline_kernelINS0_14default_configENS1_22reduce_config_selectorIiEEZNS1_11reduce_implILb1ES3_N6thrust23THRUST_200600_302600_NS11hip_rocprim35transform_pair_of_input_iterators_tIiPlSB_NS8_12not_equal_toIlEEEEPiiNS8_4plusIiEEEE10hipError_tPvRmT1_T2_T3_mT4_P12ihipStream_tbEUlT_E0_NS1_11comp_targetILNS1_3genE8ELNS1_11target_archE1030ELNS1_3gpuE2ELNS1_3repE0EEENS1_30default_config_static_selectorELNS0_4arch9wavefront6targetE1EEEvSL_.kd
    .uniform_work_group_size: 1
    .uses_dynamic_stack: false
    .vgpr_count:     0
    .vgpr_spill_count: 0
    .wavefront_size: 64
  - .args:
      - .offset:         0
        .size:           56
        .value_kind:     by_value
    .group_segment_fixed_size: 0
    .kernarg_segment_align: 8
    .kernarg_segment_size: 56
    .language:       OpenCL C
    .language_version:
      - 2
      - 0
    .max_flat_workgroup_size: 256
    .name:           _ZN7rocprim17ROCPRIM_400000_NS6detail17trampoline_kernelINS0_14default_configENS1_22reduce_config_selectorIiEEZNS1_11reduce_implILb1ES3_N6thrust23THRUST_200600_302600_NS11hip_rocprim35transform_pair_of_input_iterators_tIiPlSB_NS8_12not_equal_toIlEEEEPiiNS8_4plusIiEEEE10hipError_tPvRmT1_T2_T3_mT4_P12ihipStream_tbEUlT_E1_NS1_11comp_targetILNS1_3genE0ELNS1_11target_archE4294967295ELNS1_3gpuE0ELNS1_3repE0EEENS1_30default_config_static_selectorELNS0_4arch9wavefront6targetE1EEEvSL_
    .private_segment_fixed_size: 0
    .sgpr_count:     4
    .sgpr_spill_count: 0
    .symbol:         _ZN7rocprim17ROCPRIM_400000_NS6detail17trampoline_kernelINS0_14default_configENS1_22reduce_config_selectorIiEEZNS1_11reduce_implILb1ES3_N6thrust23THRUST_200600_302600_NS11hip_rocprim35transform_pair_of_input_iterators_tIiPlSB_NS8_12not_equal_toIlEEEEPiiNS8_4plusIiEEEE10hipError_tPvRmT1_T2_T3_mT4_P12ihipStream_tbEUlT_E1_NS1_11comp_targetILNS1_3genE0ELNS1_11target_archE4294967295ELNS1_3gpuE0ELNS1_3repE0EEENS1_30default_config_static_selectorELNS0_4arch9wavefront6targetE1EEEvSL_.kd
    .uniform_work_group_size: 1
    .uses_dynamic_stack: false
    .vgpr_count:     0
    .vgpr_spill_count: 0
    .wavefront_size: 64
  - .args:
      - .offset:         0
        .size:           56
        .value_kind:     by_value
    .group_segment_fixed_size: 0
    .kernarg_segment_align: 8
    .kernarg_segment_size: 56
    .language:       OpenCL C
    .language_version:
      - 2
      - 0
    .max_flat_workgroup_size: 256
    .name:           _ZN7rocprim17ROCPRIM_400000_NS6detail17trampoline_kernelINS0_14default_configENS1_22reduce_config_selectorIiEEZNS1_11reduce_implILb1ES3_N6thrust23THRUST_200600_302600_NS11hip_rocprim35transform_pair_of_input_iterators_tIiPlSB_NS8_12not_equal_toIlEEEEPiiNS8_4plusIiEEEE10hipError_tPvRmT1_T2_T3_mT4_P12ihipStream_tbEUlT_E1_NS1_11comp_targetILNS1_3genE5ELNS1_11target_archE942ELNS1_3gpuE9ELNS1_3repE0EEENS1_30default_config_static_selectorELNS0_4arch9wavefront6targetE1EEEvSL_
    .private_segment_fixed_size: 0
    .sgpr_count:     4
    .sgpr_spill_count: 0
    .symbol:         _ZN7rocprim17ROCPRIM_400000_NS6detail17trampoline_kernelINS0_14default_configENS1_22reduce_config_selectorIiEEZNS1_11reduce_implILb1ES3_N6thrust23THRUST_200600_302600_NS11hip_rocprim35transform_pair_of_input_iterators_tIiPlSB_NS8_12not_equal_toIlEEEEPiiNS8_4plusIiEEEE10hipError_tPvRmT1_T2_T3_mT4_P12ihipStream_tbEUlT_E1_NS1_11comp_targetILNS1_3genE5ELNS1_11target_archE942ELNS1_3gpuE9ELNS1_3repE0EEENS1_30default_config_static_selectorELNS0_4arch9wavefront6targetE1EEEvSL_.kd
    .uniform_work_group_size: 1
    .uses_dynamic_stack: false
    .vgpr_count:     0
    .vgpr_spill_count: 0
    .wavefront_size: 64
  - .args:
      - .offset:         0
        .size:           56
        .value_kind:     by_value
    .group_segment_fixed_size: 0
    .kernarg_segment_align: 8
    .kernarg_segment_size: 56
    .language:       OpenCL C
    .language_version:
      - 2
      - 0
    .max_flat_workgroup_size: 128
    .name:           _ZN7rocprim17ROCPRIM_400000_NS6detail17trampoline_kernelINS0_14default_configENS1_22reduce_config_selectorIiEEZNS1_11reduce_implILb1ES3_N6thrust23THRUST_200600_302600_NS11hip_rocprim35transform_pair_of_input_iterators_tIiPlSB_NS8_12not_equal_toIlEEEEPiiNS8_4plusIiEEEE10hipError_tPvRmT1_T2_T3_mT4_P12ihipStream_tbEUlT_E1_NS1_11comp_targetILNS1_3genE4ELNS1_11target_archE910ELNS1_3gpuE8ELNS1_3repE0EEENS1_30default_config_static_selectorELNS0_4arch9wavefront6targetE1EEEvSL_
    .private_segment_fixed_size: 0
    .sgpr_count:     4
    .sgpr_spill_count: 0
    .symbol:         _ZN7rocprim17ROCPRIM_400000_NS6detail17trampoline_kernelINS0_14default_configENS1_22reduce_config_selectorIiEEZNS1_11reduce_implILb1ES3_N6thrust23THRUST_200600_302600_NS11hip_rocprim35transform_pair_of_input_iterators_tIiPlSB_NS8_12not_equal_toIlEEEEPiiNS8_4plusIiEEEE10hipError_tPvRmT1_T2_T3_mT4_P12ihipStream_tbEUlT_E1_NS1_11comp_targetILNS1_3genE4ELNS1_11target_archE910ELNS1_3gpuE8ELNS1_3repE0EEENS1_30default_config_static_selectorELNS0_4arch9wavefront6targetE1EEEvSL_.kd
    .uniform_work_group_size: 1
    .uses_dynamic_stack: false
    .vgpr_count:     0
    .vgpr_spill_count: 0
    .wavefront_size: 64
  - .args:
      - .offset:         0
        .size:           56
        .value_kind:     by_value
    .group_segment_fixed_size: 0
    .kernarg_segment_align: 8
    .kernarg_segment_size: 56
    .language:       OpenCL C
    .language_version:
      - 2
      - 0
    .max_flat_workgroup_size: 256
    .name:           _ZN7rocprim17ROCPRIM_400000_NS6detail17trampoline_kernelINS0_14default_configENS1_22reduce_config_selectorIiEEZNS1_11reduce_implILb1ES3_N6thrust23THRUST_200600_302600_NS11hip_rocprim35transform_pair_of_input_iterators_tIiPlSB_NS8_12not_equal_toIlEEEEPiiNS8_4plusIiEEEE10hipError_tPvRmT1_T2_T3_mT4_P12ihipStream_tbEUlT_E1_NS1_11comp_targetILNS1_3genE3ELNS1_11target_archE908ELNS1_3gpuE7ELNS1_3repE0EEENS1_30default_config_static_selectorELNS0_4arch9wavefront6targetE1EEEvSL_
    .private_segment_fixed_size: 0
    .sgpr_count:     4
    .sgpr_spill_count: 0
    .symbol:         _ZN7rocprim17ROCPRIM_400000_NS6detail17trampoline_kernelINS0_14default_configENS1_22reduce_config_selectorIiEEZNS1_11reduce_implILb1ES3_N6thrust23THRUST_200600_302600_NS11hip_rocprim35transform_pair_of_input_iterators_tIiPlSB_NS8_12not_equal_toIlEEEEPiiNS8_4plusIiEEEE10hipError_tPvRmT1_T2_T3_mT4_P12ihipStream_tbEUlT_E1_NS1_11comp_targetILNS1_3genE3ELNS1_11target_archE908ELNS1_3gpuE7ELNS1_3repE0EEENS1_30default_config_static_selectorELNS0_4arch9wavefront6targetE1EEEvSL_.kd
    .uniform_work_group_size: 1
    .uses_dynamic_stack: false
    .vgpr_count:     0
    .vgpr_spill_count: 0
    .wavefront_size: 64
  - .args:
      - .offset:         0
        .size:           56
        .value_kind:     by_value
    .group_segment_fixed_size: 112
    .kernarg_segment_align: 8
    .kernarg_segment_size: 56
    .language:       OpenCL C
    .language_version:
      - 2
      - 0
    .max_flat_workgroup_size: 256
    .name:           _ZN7rocprim17ROCPRIM_400000_NS6detail17trampoline_kernelINS0_14default_configENS1_22reduce_config_selectorIiEEZNS1_11reduce_implILb1ES3_N6thrust23THRUST_200600_302600_NS11hip_rocprim35transform_pair_of_input_iterators_tIiPlSB_NS8_12not_equal_toIlEEEEPiiNS8_4plusIiEEEE10hipError_tPvRmT1_T2_T3_mT4_P12ihipStream_tbEUlT_E1_NS1_11comp_targetILNS1_3genE2ELNS1_11target_archE906ELNS1_3gpuE6ELNS1_3repE0EEENS1_30default_config_static_selectorELNS0_4arch9wavefront6targetE1EEEvSL_
    .private_segment_fixed_size: 0
    .sgpr_count:     53
    .sgpr_spill_count: 0
    .symbol:         _ZN7rocprim17ROCPRIM_400000_NS6detail17trampoline_kernelINS0_14default_configENS1_22reduce_config_selectorIiEEZNS1_11reduce_implILb1ES3_N6thrust23THRUST_200600_302600_NS11hip_rocprim35transform_pair_of_input_iterators_tIiPlSB_NS8_12not_equal_toIlEEEEPiiNS8_4plusIiEEEE10hipError_tPvRmT1_T2_T3_mT4_P12ihipStream_tbEUlT_E1_NS1_11comp_targetILNS1_3genE2ELNS1_11target_archE906ELNS1_3gpuE6ELNS1_3repE0EEENS1_30default_config_static_selectorELNS0_4arch9wavefront6targetE1EEEvSL_.kd
    .uniform_work_group_size: 1
    .uses_dynamic_stack: false
    .vgpr_count:     44
    .vgpr_spill_count: 0
    .wavefront_size: 64
  - .args:
      - .offset:         0
        .size:           56
        .value_kind:     by_value
    .group_segment_fixed_size: 0
    .kernarg_segment_align: 8
    .kernarg_segment_size: 56
    .language:       OpenCL C
    .language_version:
      - 2
      - 0
    .max_flat_workgroup_size: 256
    .name:           _ZN7rocprim17ROCPRIM_400000_NS6detail17trampoline_kernelINS0_14default_configENS1_22reduce_config_selectorIiEEZNS1_11reduce_implILb1ES3_N6thrust23THRUST_200600_302600_NS11hip_rocprim35transform_pair_of_input_iterators_tIiPlSB_NS8_12not_equal_toIlEEEEPiiNS8_4plusIiEEEE10hipError_tPvRmT1_T2_T3_mT4_P12ihipStream_tbEUlT_E1_NS1_11comp_targetILNS1_3genE10ELNS1_11target_archE1201ELNS1_3gpuE5ELNS1_3repE0EEENS1_30default_config_static_selectorELNS0_4arch9wavefront6targetE1EEEvSL_
    .private_segment_fixed_size: 0
    .sgpr_count:     4
    .sgpr_spill_count: 0
    .symbol:         _ZN7rocprim17ROCPRIM_400000_NS6detail17trampoline_kernelINS0_14default_configENS1_22reduce_config_selectorIiEEZNS1_11reduce_implILb1ES3_N6thrust23THRUST_200600_302600_NS11hip_rocprim35transform_pair_of_input_iterators_tIiPlSB_NS8_12not_equal_toIlEEEEPiiNS8_4plusIiEEEE10hipError_tPvRmT1_T2_T3_mT4_P12ihipStream_tbEUlT_E1_NS1_11comp_targetILNS1_3genE10ELNS1_11target_archE1201ELNS1_3gpuE5ELNS1_3repE0EEENS1_30default_config_static_selectorELNS0_4arch9wavefront6targetE1EEEvSL_.kd
    .uniform_work_group_size: 1
    .uses_dynamic_stack: false
    .vgpr_count:     0
    .vgpr_spill_count: 0
    .wavefront_size: 64
  - .args:
      - .offset:         0
        .size:           56
        .value_kind:     by_value
    .group_segment_fixed_size: 0
    .kernarg_segment_align: 8
    .kernarg_segment_size: 56
    .language:       OpenCL C
    .language_version:
      - 2
      - 0
    .max_flat_workgroup_size: 256
    .name:           _ZN7rocprim17ROCPRIM_400000_NS6detail17trampoline_kernelINS0_14default_configENS1_22reduce_config_selectorIiEEZNS1_11reduce_implILb1ES3_N6thrust23THRUST_200600_302600_NS11hip_rocprim35transform_pair_of_input_iterators_tIiPlSB_NS8_12not_equal_toIlEEEEPiiNS8_4plusIiEEEE10hipError_tPvRmT1_T2_T3_mT4_P12ihipStream_tbEUlT_E1_NS1_11comp_targetILNS1_3genE10ELNS1_11target_archE1200ELNS1_3gpuE4ELNS1_3repE0EEENS1_30default_config_static_selectorELNS0_4arch9wavefront6targetE1EEEvSL_
    .private_segment_fixed_size: 0
    .sgpr_count:     4
    .sgpr_spill_count: 0
    .symbol:         _ZN7rocprim17ROCPRIM_400000_NS6detail17trampoline_kernelINS0_14default_configENS1_22reduce_config_selectorIiEEZNS1_11reduce_implILb1ES3_N6thrust23THRUST_200600_302600_NS11hip_rocprim35transform_pair_of_input_iterators_tIiPlSB_NS8_12not_equal_toIlEEEEPiiNS8_4plusIiEEEE10hipError_tPvRmT1_T2_T3_mT4_P12ihipStream_tbEUlT_E1_NS1_11comp_targetILNS1_3genE10ELNS1_11target_archE1200ELNS1_3gpuE4ELNS1_3repE0EEENS1_30default_config_static_selectorELNS0_4arch9wavefront6targetE1EEEvSL_.kd
    .uniform_work_group_size: 1
    .uses_dynamic_stack: false
    .vgpr_count:     0
    .vgpr_spill_count: 0
    .wavefront_size: 64
  - .args:
      - .offset:         0
        .size:           56
        .value_kind:     by_value
    .group_segment_fixed_size: 0
    .kernarg_segment_align: 8
    .kernarg_segment_size: 56
    .language:       OpenCL C
    .language_version:
      - 2
      - 0
    .max_flat_workgroup_size: 256
    .name:           _ZN7rocprim17ROCPRIM_400000_NS6detail17trampoline_kernelINS0_14default_configENS1_22reduce_config_selectorIiEEZNS1_11reduce_implILb1ES3_N6thrust23THRUST_200600_302600_NS11hip_rocprim35transform_pair_of_input_iterators_tIiPlSB_NS8_12not_equal_toIlEEEEPiiNS8_4plusIiEEEE10hipError_tPvRmT1_T2_T3_mT4_P12ihipStream_tbEUlT_E1_NS1_11comp_targetILNS1_3genE9ELNS1_11target_archE1100ELNS1_3gpuE3ELNS1_3repE0EEENS1_30default_config_static_selectorELNS0_4arch9wavefront6targetE1EEEvSL_
    .private_segment_fixed_size: 0
    .sgpr_count:     4
    .sgpr_spill_count: 0
    .symbol:         _ZN7rocprim17ROCPRIM_400000_NS6detail17trampoline_kernelINS0_14default_configENS1_22reduce_config_selectorIiEEZNS1_11reduce_implILb1ES3_N6thrust23THRUST_200600_302600_NS11hip_rocprim35transform_pair_of_input_iterators_tIiPlSB_NS8_12not_equal_toIlEEEEPiiNS8_4plusIiEEEE10hipError_tPvRmT1_T2_T3_mT4_P12ihipStream_tbEUlT_E1_NS1_11comp_targetILNS1_3genE9ELNS1_11target_archE1100ELNS1_3gpuE3ELNS1_3repE0EEENS1_30default_config_static_selectorELNS0_4arch9wavefront6targetE1EEEvSL_.kd
    .uniform_work_group_size: 1
    .uses_dynamic_stack: false
    .vgpr_count:     0
    .vgpr_spill_count: 0
    .wavefront_size: 64
  - .args:
      - .offset:         0
        .size:           56
        .value_kind:     by_value
    .group_segment_fixed_size: 0
    .kernarg_segment_align: 8
    .kernarg_segment_size: 56
    .language:       OpenCL C
    .language_version:
      - 2
      - 0
    .max_flat_workgroup_size: 256
    .name:           _ZN7rocprim17ROCPRIM_400000_NS6detail17trampoline_kernelINS0_14default_configENS1_22reduce_config_selectorIiEEZNS1_11reduce_implILb1ES3_N6thrust23THRUST_200600_302600_NS11hip_rocprim35transform_pair_of_input_iterators_tIiPlSB_NS8_12not_equal_toIlEEEEPiiNS8_4plusIiEEEE10hipError_tPvRmT1_T2_T3_mT4_P12ihipStream_tbEUlT_E1_NS1_11comp_targetILNS1_3genE8ELNS1_11target_archE1030ELNS1_3gpuE2ELNS1_3repE0EEENS1_30default_config_static_selectorELNS0_4arch9wavefront6targetE1EEEvSL_
    .private_segment_fixed_size: 0
    .sgpr_count:     4
    .sgpr_spill_count: 0
    .symbol:         _ZN7rocprim17ROCPRIM_400000_NS6detail17trampoline_kernelINS0_14default_configENS1_22reduce_config_selectorIiEEZNS1_11reduce_implILb1ES3_N6thrust23THRUST_200600_302600_NS11hip_rocprim35transform_pair_of_input_iterators_tIiPlSB_NS8_12not_equal_toIlEEEEPiiNS8_4plusIiEEEE10hipError_tPvRmT1_T2_T3_mT4_P12ihipStream_tbEUlT_E1_NS1_11comp_targetILNS1_3genE8ELNS1_11target_archE1030ELNS1_3gpuE2ELNS1_3repE0EEENS1_30default_config_static_selectorELNS0_4arch9wavefront6targetE1EEEvSL_.kd
    .uniform_work_group_size: 1
    .uses_dynamic_stack: false
    .vgpr_count:     0
    .vgpr_spill_count: 0
    .wavefront_size: 64
  - .args:
      - .offset:         0
        .size:           144
        .value_kind:     by_value
    .group_segment_fixed_size: 0
    .kernarg_segment_align: 8
    .kernarg_segment_size: 144
    .language:       OpenCL C
    .language_version:
      - 2
      - 0
    .max_flat_workgroup_size: 256
    .name:           _ZN7rocprim17ROCPRIM_400000_NS6detail17trampoline_kernelINS0_14default_configENS1_29reduce_by_key_config_selectorIllN6thrust23THRUST_200600_302600_NS4plusIlEEEEZZNS1_33reduce_by_key_impl_wrapped_configILNS1_25lookback_scan_determinismE0ES3_S9_PlNS6_17constant_iteratorIiNS6_11use_defaultESE_EENS6_10device_ptrIlEESH_PmS8_NS6_8equal_toIlEEEE10hipError_tPvRmT2_T3_mT4_T5_T6_T7_T8_P12ihipStream_tbENKUlT_T0_E_clISt17integral_constantIbLb0EES12_EEDaSX_SY_EUlSX_E_NS1_11comp_targetILNS1_3genE0ELNS1_11target_archE4294967295ELNS1_3gpuE0ELNS1_3repE0EEENS1_30default_config_static_selectorELNS0_4arch9wavefront6targetE1EEEvT1_
    .private_segment_fixed_size: 0
    .sgpr_count:     4
    .sgpr_spill_count: 0
    .symbol:         _ZN7rocprim17ROCPRIM_400000_NS6detail17trampoline_kernelINS0_14default_configENS1_29reduce_by_key_config_selectorIllN6thrust23THRUST_200600_302600_NS4plusIlEEEEZZNS1_33reduce_by_key_impl_wrapped_configILNS1_25lookback_scan_determinismE0ES3_S9_PlNS6_17constant_iteratorIiNS6_11use_defaultESE_EENS6_10device_ptrIlEESH_PmS8_NS6_8equal_toIlEEEE10hipError_tPvRmT2_T3_mT4_T5_T6_T7_T8_P12ihipStream_tbENKUlT_T0_E_clISt17integral_constantIbLb0EES12_EEDaSX_SY_EUlSX_E_NS1_11comp_targetILNS1_3genE0ELNS1_11target_archE4294967295ELNS1_3gpuE0ELNS1_3repE0EEENS1_30default_config_static_selectorELNS0_4arch9wavefront6targetE1EEEvT1_.kd
    .uniform_work_group_size: 1
    .uses_dynamic_stack: false
    .vgpr_count:     0
    .vgpr_spill_count: 0
    .wavefront_size: 64
  - .args:
      - .offset:         0
        .size:           144
        .value_kind:     by_value
    .group_segment_fixed_size: 0
    .kernarg_segment_align: 8
    .kernarg_segment_size: 144
    .language:       OpenCL C
    .language_version:
      - 2
      - 0
    .max_flat_workgroup_size: 256
    .name:           _ZN7rocprim17ROCPRIM_400000_NS6detail17trampoline_kernelINS0_14default_configENS1_29reduce_by_key_config_selectorIllN6thrust23THRUST_200600_302600_NS4plusIlEEEEZZNS1_33reduce_by_key_impl_wrapped_configILNS1_25lookback_scan_determinismE0ES3_S9_PlNS6_17constant_iteratorIiNS6_11use_defaultESE_EENS6_10device_ptrIlEESH_PmS8_NS6_8equal_toIlEEEE10hipError_tPvRmT2_T3_mT4_T5_T6_T7_T8_P12ihipStream_tbENKUlT_T0_E_clISt17integral_constantIbLb0EES12_EEDaSX_SY_EUlSX_E_NS1_11comp_targetILNS1_3genE5ELNS1_11target_archE942ELNS1_3gpuE9ELNS1_3repE0EEENS1_30default_config_static_selectorELNS0_4arch9wavefront6targetE1EEEvT1_
    .private_segment_fixed_size: 0
    .sgpr_count:     4
    .sgpr_spill_count: 0
    .symbol:         _ZN7rocprim17ROCPRIM_400000_NS6detail17trampoline_kernelINS0_14default_configENS1_29reduce_by_key_config_selectorIllN6thrust23THRUST_200600_302600_NS4plusIlEEEEZZNS1_33reduce_by_key_impl_wrapped_configILNS1_25lookback_scan_determinismE0ES3_S9_PlNS6_17constant_iteratorIiNS6_11use_defaultESE_EENS6_10device_ptrIlEESH_PmS8_NS6_8equal_toIlEEEE10hipError_tPvRmT2_T3_mT4_T5_T6_T7_T8_P12ihipStream_tbENKUlT_T0_E_clISt17integral_constantIbLb0EES12_EEDaSX_SY_EUlSX_E_NS1_11comp_targetILNS1_3genE5ELNS1_11target_archE942ELNS1_3gpuE9ELNS1_3repE0EEENS1_30default_config_static_selectorELNS0_4arch9wavefront6targetE1EEEvT1_.kd
    .uniform_work_group_size: 1
    .uses_dynamic_stack: false
    .vgpr_count:     0
    .vgpr_spill_count: 0
    .wavefront_size: 64
  - .args:
      - .offset:         0
        .size:           144
        .value_kind:     by_value
    .group_segment_fixed_size: 0
    .kernarg_segment_align: 8
    .kernarg_segment_size: 144
    .language:       OpenCL C
    .language_version:
      - 2
      - 0
    .max_flat_workgroup_size: 256
    .name:           _ZN7rocprim17ROCPRIM_400000_NS6detail17trampoline_kernelINS0_14default_configENS1_29reduce_by_key_config_selectorIllN6thrust23THRUST_200600_302600_NS4plusIlEEEEZZNS1_33reduce_by_key_impl_wrapped_configILNS1_25lookback_scan_determinismE0ES3_S9_PlNS6_17constant_iteratorIiNS6_11use_defaultESE_EENS6_10device_ptrIlEESH_PmS8_NS6_8equal_toIlEEEE10hipError_tPvRmT2_T3_mT4_T5_T6_T7_T8_P12ihipStream_tbENKUlT_T0_E_clISt17integral_constantIbLb0EES12_EEDaSX_SY_EUlSX_E_NS1_11comp_targetILNS1_3genE4ELNS1_11target_archE910ELNS1_3gpuE8ELNS1_3repE0EEENS1_30default_config_static_selectorELNS0_4arch9wavefront6targetE1EEEvT1_
    .private_segment_fixed_size: 0
    .sgpr_count:     4
    .sgpr_spill_count: 0
    .symbol:         _ZN7rocprim17ROCPRIM_400000_NS6detail17trampoline_kernelINS0_14default_configENS1_29reduce_by_key_config_selectorIllN6thrust23THRUST_200600_302600_NS4plusIlEEEEZZNS1_33reduce_by_key_impl_wrapped_configILNS1_25lookback_scan_determinismE0ES3_S9_PlNS6_17constant_iteratorIiNS6_11use_defaultESE_EENS6_10device_ptrIlEESH_PmS8_NS6_8equal_toIlEEEE10hipError_tPvRmT2_T3_mT4_T5_T6_T7_T8_P12ihipStream_tbENKUlT_T0_E_clISt17integral_constantIbLb0EES12_EEDaSX_SY_EUlSX_E_NS1_11comp_targetILNS1_3genE4ELNS1_11target_archE910ELNS1_3gpuE8ELNS1_3repE0EEENS1_30default_config_static_selectorELNS0_4arch9wavefront6targetE1EEEvT1_.kd
    .uniform_work_group_size: 1
    .uses_dynamic_stack: false
    .vgpr_count:     0
    .vgpr_spill_count: 0
    .wavefront_size: 64
  - .args:
      - .offset:         0
        .size:           144
        .value_kind:     by_value
    .group_segment_fixed_size: 0
    .kernarg_segment_align: 8
    .kernarg_segment_size: 144
    .language:       OpenCL C
    .language_version:
      - 2
      - 0
    .max_flat_workgroup_size: 256
    .name:           _ZN7rocprim17ROCPRIM_400000_NS6detail17trampoline_kernelINS0_14default_configENS1_29reduce_by_key_config_selectorIllN6thrust23THRUST_200600_302600_NS4plusIlEEEEZZNS1_33reduce_by_key_impl_wrapped_configILNS1_25lookback_scan_determinismE0ES3_S9_PlNS6_17constant_iteratorIiNS6_11use_defaultESE_EENS6_10device_ptrIlEESH_PmS8_NS6_8equal_toIlEEEE10hipError_tPvRmT2_T3_mT4_T5_T6_T7_T8_P12ihipStream_tbENKUlT_T0_E_clISt17integral_constantIbLb0EES12_EEDaSX_SY_EUlSX_E_NS1_11comp_targetILNS1_3genE3ELNS1_11target_archE908ELNS1_3gpuE7ELNS1_3repE0EEENS1_30default_config_static_selectorELNS0_4arch9wavefront6targetE1EEEvT1_
    .private_segment_fixed_size: 0
    .sgpr_count:     4
    .sgpr_spill_count: 0
    .symbol:         _ZN7rocprim17ROCPRIM_400000_NS6detail17trampoline_kernelINS0_14default_configENS1_29reduce_by_key_config_selectorIllN6thrust23THRUST_200600_302600_NS4plusIlEEEEZZNS1_33reduce_by_key_impl_wrapped_configILNS1_25lookback_scan_determinismE0ES3_S9_PlNS6_17constant_iteratorIiNS6_11use_defaultESE_EENS6_10device_ptrIlEESH_PmS8_NS6_8equal_toIlEEEE10hipError_tPvRmT2_T3_mT4_T5_T6_T7_T8_P12ihipStream_tbENKUlT_T0_E_clISt17integral_constantIbLb0EES12_EEDaSX_SY_EUlSX_E_NS1_11comp_targetILNS1_3genE3ELNS1_11target_archE908ELNS1_3gpuE7ELNS1_3repE0EEENS1_30default_config_static_selectorELNS0_4arch9wavefront6targetE1EEEvT1_.kd
    .uniform_work_group_size: 1
    .uses_dynamic_stack: false
    .vgpr_count:     0
    .vgpr_spill_count: 0
    .wavefront_size: 64
  - .args:
      - .offset:         0
        .size:           144
        .value_kind:     by_value
    .group_segment_fixed_size: 30720
    .kernarg_segment_align: 8
    .kernarg_segment_size: 144
    .language:       OpenCL C
    .language_version:
      - 2
      - 0
    .max_flat_workgroup_size: 256
    .name:           _ZN7rocprim17ROCPRIM_400000_NS6detail17trampoline_kernelINS0_14default_configENS1_29reduce_by_key_config_selectorIllN6thrust23THRUST_200600_302600_NS4plusIlEEEEZZNS1_33reduce_by_key_impl_wrapped_configILNS1_25lookback_scan_determinismE0ES3_S9_PlNS6_17constant_iteratorIiNS6_11use_defaultESE_EENS6_10device_ptrIlEESH_PmS8_NS6_8equal_toIlEEEE10hipError_tPvRmT2_T3_mT4_T5_T6_T7_T8_P12ihipStream_tbENKUlT_T0_E_clISt17integral_constantIbLb0EES12_EEDaSX_SY_EUlSX_E_NS1_11comp_targetILNS1_3genE2ELNS1_11target_archE906ELNS1_3gpuE6ELNS1_3repE0EEENS1_30default_config_static_selectorELNS0_4arch9wavefront6targetE1EEEvT1_
    .private_segment_fixed_size: 64
    .sgpr_count:     70
    .sgpr_spill_count: 0
    .symbol:         _ZN7rocprim17ROCPRIM_400000_NS6detail17trampoline_kernelINS0_14default_configENS1_29reduce_by_key_config_selectorIllN6thrust23THRUST_200600_302600_NS4plusIlEEEEZZNS1_33reduce_by_key_impl_wrapped_configILNS1_25lookback_scan_determinismE0ES3_S9_PlNS6_17constant_iteratorIiNS6_11use_defaultESE_EENS6_10device_ptrIlEESH_PmS8_NS6_8equal_toIlEEEE10hipError_tPvRmT2_T3_mT4_T5_T6_T7_T8_P12ihipStream_tbENKUlT_T0_E_clISt17integral_constantIbLb0EES12_EEDaSX_SY_EUlSX_E_NS1_11comp_targetILNS1_3genE2ELNS1_11target_archE906ELNS1_3gpuE6ELNS1_3repE0EEENS1_30default_config_static_selectorELNS0_4arch9wavefront6targetE1EEEvT1_.kd
    .uniform_work_group_size: 1
    .uses_dynamic_stack: false
    .vgpr_count:     119
    .vgpr_spill_count: 0
    .wavefront_size: 64
  - .args:
      - .offset:         0
        .size:           144
        .value_kind:     by_value
    .group_segment_fixed_size: 0
    .kernarg_segment_align: 8
    .kernarg_segment_size: 144
    .language:       OpenCL C
    .language_version:
      - 2
      - 0
    .max_flat_workgroup_size: 256
    .name:           _ZN7rocprim17ROCPRIM_400000_NS6detail17trampoline_kernelINS0_14default_configENS1_29reduce_by_key_config_selectorIllN6thrust23THRUST_200600_302600_NS4plusIlEEEEZZNS1_33reduce_by_key_impl_wrapped_configILNS1_25lookback_scan_determinismE0ES3_S9_PlNS6_17constant_iteratorIiNS6_11use_defaultESE_EENS6_10device_ptrIlEESH_PmS8_NS6_8equal_toIlEEEE10hipError_tPvRmT2_T3_mT4_T5_T6_T7_T8_P12ihipStream_tbENKUlT_T0_E_clISt17integral_constantIbLb0EES12_EEDaSX_SY_EUlSX_E_NS1_11comp_targetILNS1_3genE10ELNS1_11target_archE1201ELNS1_3gpuE5ELNS1_3repE0EEENS1_30default_config_static_selectorELNS0_4arch9wavefront6targetE1EEEvT1_
    .private_segment_fixed_size: 0
    .sgpr_count:     4
    .sgpr_spill_count: 0
    .symbol:         _ZN7rocprim17ROCPRIM_400000_NS6detail17trampoline_kernelINS0_14default_configENS1_29reduce_by_key_config_selectorIllN6thrust23THRUST_200600_302600_NS4plusIlEEEEZZNS1_33reduce_by_key_impl_wrapped_configILNS1_25lookback_scan_determinismE0ES3_S9_PlNS6_17constant_iteratorIiNS6_11use_defaultESE_EENS6_10device_ptrIlEESH_PmS8_NS6_8equal_toIlEEEE10hipError_tPvRmT2_T3_mT4_T5_T6_T7_T8_P12ihipStream_tbENKUlT_T0_E_clISt17integral_constantIbLb0EES12_EEDaSX_SY_EUlSX_E_NS1_11comp_targetILNS1_3genE10ELNS1_11target_archE1201ELNS1_3gpuE5ELNS1_3repE0EEENS1_30default_config_static_selectorELNS0_4arch9wavefront6targetE1EEEvT1_.kd
    .uniform_work_group_size: 1
    .uses_dynamic_stack: false
    .vgpr_count:     0
    .vgpr_spill_count: 0
    .wavefront_size: 64
  - .args:
      - .offset:         0
        .size:           144
        .value_kind:     by_value
    .group_segment_fixed_size: 0
    .kernarg_segment_align: 8
    .kernarg_segment_size: 144
    .language:       OpenCL C
    .language_version:
      - 2
      - 0
    .max_flat_workgroup_size: 256
    .name:           _ZN7rocprim17ROCPRIM_400000_NS6detail17trampoline_kernelINS0_14default_configENS1_29reduce_by_key_config_selectorIllN6thrust23THRUST_200600_302600_NS4plusIlEEEEZZNS1_33reduce_by_key_impl_wrapped_configILNS1_25lookback_scan_determinismE0ES3_S9_PlNS6_17constant_iteratorIiNS6_11use_defaultESE_EENS6_10device_ptrIlEESH_PmS8_NS6_8equal_toIlEEEE10hipError_tPvRmT2_T3_mT4_T5_T6_T7_T8_P12ihipStream_tbENKUlT_T0_E_clISt17integral_constantIbLb0EES12_EEDaSX_SY_EUlSX_E_NS1_11comp_targetILNS1_3genE10ELNS1_11target_archE1200ELNS1_3gpuE4ELNS1_3repE0EEENS1_30default_config_static_selectorELNS0_4arch9wavefront6targetE1EEEvT1_
    .private_segment_fixed_size: 0
    .sgpr_count:     4
    .sgpr_spill_count: 0
    .symbol:         _ZN7rocprim17ROCPRIM_400000_NS6detail17trampoline_kernelINS0_14default_configENS1_29reduce_by_key_config_selectorIllN6thrust23THRUST_200600_302600_NS4plusIlEEEEZZNS1_33reduce_by_key_impl_wrapped_configILNS1_25lookback_scan_determinismE0ES3_S9_PlNS6_17constant_iteratorIiNS6_11use_defaultESE_EENS6_10device_ptrIlEESH_PmS8_NS6_8equal_toIlEEEE10hipError_tPvRmT2_T3_mT4_T5_T6_T7_T8_P12ihipStream_tbENKUlT_T0_E_clISt17integral_constantIbLb0EES12_EEDaSX_SY_EUlSX_E_NS1_11comp_targetILNS1_3genE10ELNS1_11target_archE1200ELNS1_3gpuE4ELNS1_3repE0EEENS1_30default_config_static_selectorELNS0_4arch9wavefront6targetE1EEEvT1_.kd
    .uniform_work_group_size: 1
    .uses_dynamic_stack: false
    .vgpr_count:     0
    .vgpr_spill_count: 0
    .wavefront_size: 64
  - .args:
      - .offset:         0
        .size:           144
        .value_kind:     by_value
    .group_segment_fixed_size: 0
    .kernarg_segment_align: 8
    .kernarg_segment_size: 144
    .language:       OpenCL C
    .language_version:
      - 2
      - 0
    .max_flat_workgroup_size: 256
    .name:           _ZN7rocprim17ROCPRIM_400000_NS6detail17trampoline_kernelINS0_14default_configENS1_29reduce_by_key_config_selectorIllN6thrust23THRUST_200600_302600_NS4plusIlEEEEZZNS1_33reduce_by_key_impl_wrapped_configILNS1_25lookback_scan_determinismE0ES3_S9_PlNS6_17constant_iteratorIiNS6_11use_defaultESE_EENS6_10device_ptrIlEESH_PmS8_NS6_8equal_toIlEEEE10hipError_tPvRmT2_T3_mT4_T5_T6_T7_T8_P12ihipStream_tbENKUlT_T0_E_clISt17integral_constantIbLb0EES12_EEDaSX_SY_EUlSX_E_NS1_11comp_targetILNS1_3genE9ELNS1_11target_archE1100ELNS1_3gpuE3ELNS1_3repE0EEENS1_30default_config_static_selectorELNS0_4arch9wavefront6targetE1EEEvT1_
    .private_segment_fixed_size: 0
    .sgpr_count:     4
    .sgpr_spill_count: 0
    .symbol:         _ZN7rocprim17ROCPRIM_400000_NS6detail17trampoline_kernelINS0_14default_configENS1_29reduce_by_key_config_selectorIllN6thrust23THRUST_200600_302600_NS4plusIlEEEEZZNS1_33reduce_by_key_impl_wrapped_configILNS1_25lookback_scan_determinismE0ES3_S9_PlNS6_17constant_iteratorIiNS6_11use_defaultESE_EENS6_10device_ptrIlEESH_PmS8_NS6_8equal_toIlEEEE10hipError_tPvRmT2_T3_mT4_T5_T6_T7_T8_P12ihipStream_tbENKUlT_T0_E_clISt17integral_constantIbLb0EES12_EEDaSX_SY_EUlSX_E_NS1_11comp_targetILNS1_3genE9ELNS1_11target_archE1100ELNS1_3gpuE3ELNS1_3repE0EEENS1_30default_config_static_selectorELNS0_4arch9wavefront6targetE1EEEvT1_.kd
    .uniform_work_group_size: 1
    .uses_dynamic_stack: false
    .vgpr_count:     0
    .vgpr_spill_count: 0
    .wavefront_size: 64
  - .args:
      - .offset:         0
        .size:           144
        .value_kind:     by_value
    .group_segment_fixed_size: 0
    .kernarg_segment_align: 8
    .kernarg_segment_size: 144
    .language:       OpenCL C
    .language_version:
      - 2
      - 0
    .max_flat_workgroup_size: 256
    .name:           _ZN7rocprim17ROCPRIM_400000_NS6detail17trampoline_kernelINS0_14default_configENS1_29reduce_by_key_config_selectorIllN6thrust23THRUST_200600_302600_NS4plusIlEEEEZZNS1_33reduce_by_key_impl_wrapped_configILNS1_25lookback_scan_determinismE0ES3_S9_PlNS6_17constant_iteratorIiNS6_11use_defaultESE_EENS6_10device_ptrIlEESH_PmS8_NS6_8equal_toIlEEEE10hipError_tPvRmT2_T3_mT4_T5_T6_T7_T8_P12ihipStream_tbENKUlT_T0_E_clISt17integral_constantIbLb0EES12_EEDaSX_SY_EUlSX_E_NS1_11comp_targetILNS1_3genE8ELNS1_11target_archE1030ELNS1_3gpuE2ELNS1_3repE0EEENS1_30default_config_static_selectorELNS0_4arch9wavefront6targetE1EEEvT1_
    .private_segment_fixed_size: 0
    .sgpr_count:     4
    .sgpr_spill_count: 0
    .symbol:         _ZN7rocprim17ROCPRIM_400000_NS6detail17trampoline_kernelINS0_14default_configENS1_29reduce_by_key_config_selectorIllN6thrust23THRUST_200600_302600_NS4plusIlEEEEZZNS1_33reduce_by_key_impl_wrapped_configILNS1_25lookback_scan_determinismE0ES3_S9_PlNS6_17constant_iteratorIiNS6_11use_defaultESE_EENS6_10device_ptrIlEESH_PmS8_NS6_8equal_toIlEEEE10hipError_tPvRmT2_T3_mT4_T5_T6_T7_T8_P12ihipStream_tbENKUlT_T0_E_clISt17integral_constantIbLb0EES12_EEDaSX_SY_EUlSX_E_NS1_11comp_targetILNS1_3genE8ELNS1_11target_archE1030ELNS1_3gpuE2ELNS1_3repE0EEENS1_30default_config_static_selectorELNS0_4arch9wavefront6targetE1EEEvT1_.kd
    .uniform_work_group_size: 1
    .uses_dynamic_stack: false
    .vgpr_count:     0
    .vgpr_spill_count: 0
    .wavefront_size: 64
  - .args:
      - .offset:         0
        .size:           144
        .value_kind:     by_value
    .group_segment_fixed_size: 0
    .kernarg_segment_align: 8
    .kernarg_segment_size: 144
    .language:       OpenCL C
    .language_version:
      - 2
      - 0
    .max_flat_workgroup_size: 256
    .name:           _ZN7rocprim17ROCPRIM_400000_NS6detail17trampoline_kernelINS0_14default_configENS1_29reduce_by_key_config_selectorIllN6thrust23THRUST_200600_302600_NS4plusIlEEEEZZNS1_33reduce_by_key_impl_wrapped_configILNS1_25lookback_scan_determinismE0ES3_S9_PlNS6_17constant_iteratorIiNS6_11use_defaultESE_EENS6_10device_ptrIlEESH_PmS8_NS6_8equal_toIlEEEE10hipError_tPvRmT2_T3_mT4_T5_T6_T7_T8_P12ihipStream_tbENKUlT_T0_E_clISt17integral_constantIbLb1EES12_EEDaSX_SY_EUlSX_E_NS1_11comp_targetILNS1_3genE0ELNS1_11target_archE4294967295ELNS1_3gpuE0ELNS1_3repE0EEENS1_30default_config_static_selectorELNS0_4arch9wavefront6targetE1EEEvT1_
    .private_segment_fixed_size: 0
    .sgpr_count:     4
    .sgpr_spill_count: 0
    .symbol:         _ZN7rocprim17ROCPRIM_400000_NS6detail17trampoline_kernelINS0_14default_configENS1_29reduce_by_key_config_selectorIllN6thrust23THRUST_200600_302600_NS4plusIlEEEEZZNS1_33reduce_by_key_impl_wrapped_configILNS1_25lookback_scan_determinismE0ES3_S9_PlNS6_17constant_iteratorIiNS6_11use_defaultESE_EENS6_10device_ptrIlEESH_PmS8_NS6_8equal_toIlEEEE10hipError_tPvRmT2_T3_mT4_T5_T6_T7_T8_P12ihipStream_tbENKUlT_T0_E_clISt17integral_constantIbLb1EES12_EEDaSX_SY_EUlSX_E_NS1_11comp_targetILNS1_3genE0ELNS1_11target_archE4294967295ELNS1_3gpuE0ELNS1_3repE0EEENS1_30default_config_static_selectorELNS0_4arch9wavefront6targetE1EEEvT1_.kd
    .uniform_work_group_size: 1
    .uses_dynamic_stack: false
    .vgpr_count:     0
    .vgpr_spill_count: 0
    .wavefront_size: 64
  - .args:
      - .offset:         0
        .size:           144
        .value_kind:     by_value
    .group_segment_fixed_size: 0
    .kernarg_segment_align: 8
    .kernarg_segment_size: 144
    .language:       OpenCL C
    .language_version:
      - 2
      - 0
    .max_flat_workgroup_size: 256
    .name:           _ZN7rocprim17ROCPRIM_400000_NS6detail17trampoline_kernelINS0_14default_configENS1_29reduce_by_key_config_selectorIllN6thrust23THRUST_200600_302600_NS4plusIlEEEEZZNS1_33reduce_by_key_impl_wrapped_configILNS1_25lookback_scan_determinismE0ES3_S9_PlNS6_17constant_iteratorIiNS6_11use_defaultESE_EENS6_10device_ptrIlEESH_PmS8_NS6_8equal_toIlEEEE10hipError_tPvRmT2_T3_mT4_T5_T6_T7_T8_P12ihipStream_tbENKUlT_T0_E_clISt17integral_constantIbLb1EES12_EEDaSX_SY_EUlSX_E_NS1_11comp_targetILNS1_3genE5ELNS1_11target_archE942ELNS1_3gpuE9ELNS1_3repE0EEENS1_30default_config_static_selectorELNS0_4arch9wavefront6targetE1EEEvT1_
    .private_segment_fixed_size: 0
    .sgpr_count:     4
    .sgpr_spill_count: 0
    .symbol:         _ZN7rocprim17ROCPRIM_400000_NS6detail17trampoline_kernelINS0_14default_configENS1_29reduce_by_key_config_selectorIllN6thrust23THRUST_200600_302600_NS4plusIlEEEEZZNS1_33reduce_by_key_impl_wrapped_configILNS1_25lookback_scan_determinismE0ES3_S9_PlNS6_17constant_iteratorIiNS6_11use_defaultESE_EENS6_10device_ptrIlEESH_PmS8_NS6_8equal_toIlEEEE10hipError_tPvRmT2_T3_mT4_T5_T6_T7_T8_P12ihipStream_tbENKUlT_T0_E_clISt17integral_constantIbLb1EES12_EEDaSX_SY_EUlSX_E_NS1_11comp_targetILNS1_3genE5ELNS1_11target_archE942ELNS1_3gpuE9ELNS1_3repE0EEENS1_30default_config_static_selectorELNS0_4arch9wavefront6targetE1EEEvT1_.kd
    .uniform_work_group_size: 1
    .uses_dynamic_stack: false
    .vgpr_count:     0
    .vgpr_spill_count: 0
    .wavefront_size: 64
  - .args:
      - .offset:         0
        .size:           144
        .value_kind:     by_value
    .group_segment_fixed_size: 0
    .kernarg_segment_align: 8
    .kernarg_segment_size: 144
    .language:       OpenCL C
    .language_version:
      - 2
      - 0
    .max_flat_workgroup_size: 256
    .name:           _ZN7rocprim17ROCPRIM_400000_NS6detail17trampoline_kernelINS0_14default_configENS1_29reduce_by_key_config_selectorIllN6thrust23THRUST_200600_302600_NS4plusIlEEEEZZNS1_33reduce_by_key_impl_wrapped_configILNS1_25lookback_scan_determinismE0ES3_S9_PlNS6_17constant_iteratorIiNS6_11use_defaultESE_EENS6_10device_ptrIlEESH_PmS8_NS6_8equal_toIlEEEE10hipError_tPvRmT2_T3_mT4_T5_T6_T7_T8_P12ihipStream_tbENKUlT_T0_E_clISt17integral_constantIbLb1EES12_EEDaSX_SY_EUlSX_E_NS1_11comp_targetILNS1_3genE4ELNS1_11target_archE910ELNS1_3gpuE8ELNS1_3repE0EEENS1_30default_config_static_selectorELNS0_4arch9wavefront6targetE1EEEvT1_
    .private_segment_fixed_size: 0
    .sgpr_count:     4
    .sgpr_spill_count: 0
    .symbol:         _ZN7rocprim17ROCPRIM_400000_NS6detail17trampoline_kernelINS0_14default_configENS1_29reduce_by_key_config_selectorIllN6thrust23THRUST_200600_302600_NS4plusIlEEEEZZNS1_33reduce_by_key_impl_wrapped_configILNS1_25lookback_scan_determinismE0ES3_S9_PlNS6_17constant_iteratorIiNS6_11use_defaultESE_EENS6_10device_ptrIlEESH_PmS8_NS6_8equal_toIlEEEE10hipError_tPvRmT2_T3_mT4_T5_T6_T7_T8_P12ihipStream_tbENKUlT_T0_E_clISt17integral_constantIbLb1EES12_EEDaSX_SY_EUlSX_E_NS1_11comp_targetILNS1_3genE4ELNS1_11target_archE910ELNS1_3gpuE8ELNS1_3repE0EEENS1_30default_config_static_selectorELNS0_4arch9wavefront6targetE1EEEvT1_.kd
    .uniform_work_group_size: 1
    .uses_dynamic_stack: false
    .vgpr_count:     0
    .vgpr_spill_count: 0
    .wavefront_size: 64
  - .args:
      - .offset:         0
        .size:           144
        .value_kind:     by_value
    .group_segment_fixed_size: 0
    .kernarg_segment_align: 8
    .kernarg_segment_size: 144
    .language:       OpenCL C
    .language_version:
      - 2
      - 0
    .max_flat_workgroup_size: 256
    .name:           _ZN7rocprim17ROCPRIM_400000_NS6detail17trampoline_kernelINS0_14default_configENS1_29reduce_by_key_config_selectorIllN6thrust23THRUST_200600_302600_NS4plusIlEEEEZZNS1_33reduce_by_key_impl_wrapped_configILNS1_25lookback_scan_determinismE0ES3_S9_PlNS6_17constant_iteratorIiNS6_11use_defaultESE_EENS6_10device_ptrIlEESH_PmS8_NS6_8equal_toIlEEEE10hipError_tPvRmT2_T3_mT4_T5_T6_T7_T8_P12ihipStream_tbENKUlT_T0_E_clISt17integral_constantIbLb1EES12_EEDaSX_SY_EUlSX_E_NS1_11comp_targetILNS1_3genE3ELNS1_11target_archE908ELNS1_3gpuE7ELNS1_3repE0EEENS1_30default_config_static_selectorELNS0_4arch9wavefront6targetE1EEEvT1_
    .private_segment_fixed_size: 0
    .sgpr_count:     4
    .sgpr_spill_count: 0
    .symbol:         _ZN7rocprim17ROCPRIM_400000_NS6detail17trampoline_kernelINS0_14default_configENS1_29reduce_by_key_config_selectorIllN6thrust23THRUST_200600_302600_NS4plusIlEEEEZZNS1_33reduce_by_key_impl_wrapped_configILNS1_25lookback_scan_determinismE0ES3_S9_PlNS6_17constant_iteratorIiNS6_11use_defaultESE_EENS6_10device_ptrIlEESH_PmS8_NS6_8equal_toIlEEEE10hipError_tPvRmT2_T3_mT4_T5_T6_T7_T8_P12ihipStream_tbENKUlT_T0_E_clISt17integral_constantIbLb1EES12_EEDaSX_SY_EUlSX_E_NS1_11comp_targetILNS1_3genE3ELNS1_11target_archE908ELNS1_3gpuE7ELNS1_3repE0EEENS1_30default_config_static_selectorELNS0_4arch9wavefront6targetE1EEEvT1_.kd
    .uniform_work_group_size: 1
    .uses_dynamic_stack: false
    .vgpr_count:     0
    .vgpr_spill_count: 0
    .wavefront_size: 64
  - .args:
      - .offset:         0
        .size:           144
        .value_kind:     by_value
    .group_segment_fixed_size: 0
    .kernarg_segment_align: 8
    .kernarg_segment_size: 144
    .language:       OpenCL C
    .language_version:
      - 2
      - 0
    .max_flat_workgroup_size: 256
    .name:           _ZN7rocprim17ROCPRIM_400000_NS6detail17trampoline_kernelINS0_14default_configENS1_29reduce_by_key_config_selectorIllN6thrust23THRUST_200600_302600_NS4plusIlEEEEZZNS1_33reduce_by_key_impl_wrapped_configILNS1_25lookback_scan_determinismE0ES3_S9_PlNS6_17constant_iteratorIiNS6_11use_defaultESE_EENS6_10device_ptrIlEESH_PmS8_NS6_8equal_toIlEEEE10hipError_tPvRmT2_T3_mT4_T5_T6_T7_T8_P12ihipStream_tbENKUlT_T0_E_clISt17integral_constantIbLb1EES12_EEDaSX_SY_EUlSX_E_NS1_11comp_targetILNS1_3genE2ELNS1_11target_archE906ELNS1_3gpuE6ELNS1_3repE0EEENS1_30default_config_static_selectorELNS0_4arch9wavefront6targetE1EEEvT1_
    .private_segment_fixed_size: 0
    .sgpr_count:     4
    .sgpr_spill_count: 0
    .symbol:         _ZN7rocprim17ROCPRIM_400000_NS6detail17trampoline_kernelINS0_14default_configENS1_29reduce_by_key_config_selectorIllN6thrust23THRUST_200600_302600_NS4plusIlEEEEZZNS1_33reduce_by_key_impl_wrapped_configILNS1_25lookback_scan_determinismE0ES3_S9_PlNS6_17constant_iteratorIiNS6_11use_defaultESE_EENS6_10device_ptrIlEESH_PmS8_NS6_8equal_toIlEEEE10hipError_tPvRmT2_T3_mT4_T5_T6_T7_T8_P12ihipStream_tbENKUlT_T0_E_clISt17integral_constantIbLb1EES12_EEDaSX_SY_EUlSX_E_NS1_11comp_targetILNS1_3genE2ELNS1_11target_archE906ELNS1_3gpuE6ELNS1_3repE0EEENS1_30default_config_static_selectorELNS0_4arch9wavefront6targetE1EEEvT1_.kd
    .uniform_work_group_size: 1
    .uses_dynamic_stack: false
    .vgpr_count:     0
    .vgpr_spill_count: 0
    .wavefront_size: 64
  - .args:
      - .offset:         0
        .size:           144
        .value_kind:     by_value
    .group_segment_fixed_size: 0
    .kernarg_segment_align: 8
    .kernarg_segment_size: 144
    .language:       OpenCL C
    .language_version:
      - 2
      - 0
    .max_flat_workgroup_size: 256
    .name:           _ZN7rocprim17ROCPRIM_400000_NS6detail17trampoline_kernelINS0_14default_configENS1_29reduce_by_key_config_selectorIllN6thrust23THRUST_200600_302600_NS4plusIlEEEEZZNS1_33reduce_by_key_impl_wrapped_configILNS1_25lookback_scan_determinismE0ES3_S9_PlNS6_17constant_iteratorIiNS6_11use_defaultESE_EENS6_10device_ptrIlEESH_PmS8_NS6_8equal_toIlEEEE10hipError_tPvRmT2_T3_mT4_T5_T6_T7_T8_P12ihipStream_tbENKUlT_T0_E_clISt17integral_constantIbLb1EES12_EEDaSX_SY_EUlSX_E_NS1_11comp_targetILNS1_3genE10ELNS1_11target_archE1201ELNS1_3gpuE5ELNS1_3repE0EEENS1_30default_config_static_selectorELNS0_4arch9wavefront6targetE1EEEvT1_
    .private_segment_fixed_size: 0
    .sgpr_count:     4
    .sgpr_spill_count: 0
    .symbol:         _ZN7rocprim17ROCPRIM_400000_NS6detail17trampoline_kernelINS0_14default_configENS1_29reduce_by_key_config_selectorIllN6thrust23THRUST_200600_302600_NS4plusIlEEEEZZNS1_33reduce_by_key_impl_wrapped_configILNS1_25lookback_scan_determinismE0ES3_S9_PlNS6_17constant_iteratorIiNS6_11use_defaultESE_EENS6_10device_ptrIlEESH_PmS8_NS6_8equal_toIlEEEE10hipError_tPvRmT2_T3_mT4_T5_T6_T7_T8_P12ihipStream_tbENKUlT_T0_E_clISt17integral_constantIbLb1EES12_EEDaSX_SY_EUlSX_E_NS1_11comp_targetILNS1_3genE10ELNS1_11target_archE1201ELNS1_3gpuE5ELNS1_3repE0EEENS1_30default_config_static_selectorELNS0_4arch9wavefront6targetE1EEEvT1_.kd
    .uniform_work_group_size: 1
    .uses_dynamic_stack: false
    .vgpr_count:     0
    .vgpr_spill_count: 0
    .wavefront_size: 64
  - .args:
      - .offset:         0
        .size:           144
        .value_kind:     by_value
    .group_segment_fixed_size: 0
    .kernarg_segment_align: 8
    .kernarg_segment_size: 144
    .language:       OpenCL C
    .language_version:
      - 2
      - 0
    .max_flat_workgroup_size: 256
    .name:           _ZN7rocprim17ROCPRIM_400000_NS6detail17trampoline_kernelINS0_14default_configENS1_29reduce_by_key_config_selectorIllN6thrust23THRUST_200600_302600_NS4plusIlEEEEZZNS1_33reduce_by_key_impl_wrapped_configILNS1_25lookback_scan_determinismE0ES3_S9_PlNS6_17constant_iteratorIiNS6_11use_defaultESE_EENS6_10device_ptrIlEESH_PmS8_NS6_8equal_toIlEEEE10hipError_tPvRmT2_T3_mT4_T5_T6_T7_T8_P12ihipStream_tbENKUlT_T0_E_clISt17integral_constantIbLb1EES12_EEDaSX_SY_EUlSX_E_NS1_11comp_targetILNS1_3genE10ELNS1_11target_archE1200ELNS1_3gpuE4ELNS1_3repE0EEENS1_30default_config_static_selectorELNS0_4arch9wavefront6targetE1EEEvT1_
    .private_segment_fixed_size: 0
    .sgpr_count:     4
    .sgpr_spill_count: 0
    .symbol:         _ZN7rocprim17ROCPRIM_400000_NS6detail17trampoline_kernelINS0_14default_configENS1_29reduce_by_key_config_selectorIllN6thrust23THRUST_200600_302600_NS4plusIlEEEEZZNS1_33reduce_by_key_impl_wrapped_configILNS1_25lookback_scan_determinismE0ES3_S9_PlNS6_17constant_iteratorIiNS6_11use_defaultESE_EENS6_10device_ptrIlEESH_PmS8_NS6_8equal_toIlEEEE10hipError_tPvRmT2_T3_mT4_T5_T6_T7_T8_P12ihipStream_tbENKUlT_T0_E_clISt17integral_constantIbLb1EES12_EEDaSX_SY_EUlSX_E_NS1_11comp_targetILNS1_3genE10ELNS1_11target_archE1200ELNS1_3gpuE4ELNS1_3repE0EEENS1_30default_config_static_selectorELNS0_4arch9wavefront6targetE1EEEvT1_.kd
    .uniform_work_group_size: 1
    .uses_dynamic_stack: false
    .vgpr_count:     0
    .vgpr_spill_count: 0
    .wavefront_size: 64
  - .args:
      - .offset:         0
        .size:           144
        .value_kind:     by_value
    .group_segment_fixed_size: 0
    .kernarg_segment_align: 8
    .kernarg_segment_size: 144
    .language:       OpenCL C
    .language_version:
      - 2
      - 0
    .max_flat_workgroup_size: 256
    .name:           _ZN7rocprim17ROCPRIM_400000_NS6detail17trampoline_kernelINS0_14default_configENS1_29reduce_by_key_config_selectorIllN6thrust23THRUST_200600_302600_NS4plusIlEEEEZZNS1_33reduce_by_key_impl_wrapped_configILNS1_25lookback_scan_determinismE0ES3_S9_PlNS6_17constant_iteratorIiNS6_11use_defaultESE_EENS6_10device_ptrIlEESH_PmS8_NS6_8equal_toIlEEEE10hipError_tPvRmT2_T3_mT4_T5_T6_T7_T8_P12ihipStream_tbENKUlT_T0_E_clISt17integral_constantIbLb1EES12_EEDaSX_SY_EUlSX_E_NS1_11comp_targetILNS1_3genE9ELNS1_11target_archE1100ELNS1_3gpuE3ELNS1_3repE0EEENS1_30default_config_static_selectorELNS0_4arch9wavefront6targetE1EEEvT1_
    .private_segment_fixed_size: 0
    .sgpr_count:     4
    .sgpr_spill_count: 0
    .symbol:         _ZN7rocprim17ROCPRIM_400000_NS6detail17trampoline_kernelINS0_14default_configENS1_29reduce_by_key_config_selectorIllN6thrust23THRUST_200600_302600_NS4plusIlEEEEZZNS1_33reduce_by_key_impl_wrapped_configILNS1_25lookback_scan_determinismE0ES3_S9_PlNS6_17constant_iteratorIiNS6_11use_defaultESE_EENS6_10device_ptrIlEESH_PmS8_NS6_8equal_toIlEEEE10hipError_tPvRmT2_T3_mT4_T5_T6_T7_T8_P12ihipStream_tbENKUlT_T0_E_clISt17integral_constantIbLb1EES12_EEDaSX_SY_EUlSX_E_NS1_11comp_targetILNS1_3genE9ELNS1_11target_archE1100ELNS1_3gpuE3ELNS1_3repE0EEENS1_30default_config_static_selectorELNS0_4arch9wavefront6targetE1EEEvT1_.kd
    .uniform_work_group_size: 1
    .uses_dynamic_stack: false
    .vgpr_count:     0
    .vgpr_spill_count: 0
    .wavefront_size: 64
  - .args:
      - .offset:         0
        .size:           144
        .value_kind:     by_value
    .group_segment_fixed_size: 0
    .kernarg_segment_align: 8
    .kernarg_segment_size: 144
    .language:       OpenCL C
    .language_version:
      - 2
      - 0
    .max_flat_workgroup_size: 256
    .name:           _ZN7rocprim17ROCPRIM_400000_NS6detail17trampoline_kernelINS0_14default_configENS1_29reduce_by_key_config_selectorIllN6thrust23THRUST_200600_302600_NS4plusIlEEEEZZNS1_33reduce_by_key_impl_wrapped_configILNS1_25lookback_scan_determinismE0ES3_S9_PlNS6_17constant_iteratorIiNS6_11use_defaultESE_EENS6_10device_ptrIlEESH_PmS8_NS6_8equal_toIlEEEE10hipError_tPvRmT2_T3_mT4_T5_T6_T7_T8_P12ihipStream_tbENKUlT_T0_E_clISt17integral_constantIbLb1EES12_EEDaSX_SY_EUlSX_E_NS1_11comp_targetILNS1_3genE8ELNS1_11target_archE1030ELNS1_3gpuE2ELNS1_3repE0EEENS1_30default_config_static_selectorELNS0_4arch9wavefront6targetE1EEEvT1_
    .private_segment_fixed_size: 0
    .sgpr_count:     4
    .sgpr_spill_count: 0
    .symbol:         _ZN7rocprim17ROCPRIM_400000_NS6detail17trampoline_kernelINS0_14default_configENS1_29reduce_by_key_config_selectorIllN6thrust23THRUST_200600_302600_NS4plusIlEEEEZZNS1_33reduce_by_key_impl_wrapped_configILNS1_25lookback_scan_determinismE0ES3_S9_PlNS6_17constant_iteratorIiNS6_11use_defaultESE_EENS6_10device_ptrIlEESH_PmS8_NS6_8equal_toIlEEEE10hipError_tPvRmT2_T3_mT4_T5_T6_T7_T8_P12ihipStream_tbENKUlT_T0_E_clISt17integral_constantIbLb1EES12_EEDaSX_SY_EUlSX_E_NS1_11comp_targetILNS1_3genE8ELNS1_11target_archE1030ELNS1_3gpuE2ELNS1_3repE0EEENS1_30default_config_static_selectorELNS0_4arch9wavefront6targetE1EEEvT1_.kd
    .uniform_work_group_size: 1
    .uses_dynamic_stack: false
    .vgpr_count:     0
    .vgpr_spill_count: 0
    .wavefront_size: 64
  - .args:
      - .offset:         0
        .size:           144
        .value_kind:     by_value
    .group_segment_fixed_size: 0
    .kernarg_segment_align: 8
    .kernarg_segment_size: 144
    .language:       OpenCL C
    .language_version:
      - 2
      - 0
    .max_flat_workgroup_size: 256
    .name:           _ZN7rocprim17ROCPRIM_400000_NS6detail17trampoline_kernelINS0_14default_configENS1_29reduce_by_key_config_selectorIllN6thrust23THRUST_200600_302600_NS4plusIlEEEEZZNS1_33reduce_by_key_impl_wrapped_configILNS1_25lookback_scan_determinismE0ES3_S9_PlNS6_17constant_iteratorIiNS6_11use_defaultESE_EENS6_10device_ptrIlEESH_PmS8_NS6_8equal_toIlEEEE10hipError_tPvRmT2_T3_mT4_T5_T6_T7_T8_P12ihipStream_tbENKUlT_T0_E_clISt17integral_constantIbLb1EES11_IbLb0EEEEDaSX_SY_EUlSX_E_NS1_11comp_targetILNS1_3genE0ELNS1_11target_archE4294967295ELNS1_3gpuE0ELNS1_3repE0EEENS1_30default_config_static_selectorELNS0_4arch9wavefront6targetE1EEEvT1_
    .private_segment_fixed_size: 0
    .sgpr_count:     4
    .sgpr_spill_count: 0
    .symbol:         _ZN7rocprim17ROCPRIM_400000_NS6detail17trampoline_kernelINS0_14default_configENS1_29reduce_by_key_config_selectorIllN6thrust23THRUST_200600_302600_NS4plusIlEEEEZZNS1_33reduce_by_key_impl_wrapped_configILNS1_25lookback_scan_determinismE0ES3_S9_PlNS6_17constant_iteratorIiNS6_11use_defaultESE_EENS6_10device_ptrIlEESH_PmS8_NS6_8equal_toIlEEEE10hipError_tPvRmT2_T3_mT4_T5_T6_T7_T8_P12ihipStream_tbENKUlT_T0_E_clISt17integral_constantIbLb1EES11_IbLb0EEEEDaSX_SY_EUlSX_E_NS1_11comp_targetILNS1_3genE0ELNS1_11target_archE4294967295ELNS1_3gpuE0ELNS1_3repE0EEENS1_30default_config_static_selectorELNS0_4arch9wavefront6targetE1EEEvT1_.kd
    .uniform_work_group_size: 1
    .uses_dynamic_stack: false
    .vgpr_count:     0
    .vgpr_spill_count: 0
    .wavefront_size: 64
  - .args:
      - .offset:         0
        .size:           144
        .value_kind:     by_value
    .group_segment_fixed_size: 0
    .kernarg_segment_align: 8
    .kernarg_segment_size: 144
    .language:       OpenCL C
    .language_version:
      - 2
      - 0
    .max_flat_workgroup_size: 256
    .name:           _ZN7rocprim17ROCPRIM_400000_NS6detail17trampoline_kernelINS0_14default_configENS1_29reduce_by_key_config_selectorIllN6thrust23THRUST_200600_302600_NS4plusIlEEEEZZNS1_33reduce_by_key_impl_wrapped_configILNS1_25lookback_scan_determinismE0ES3_S9_PlNS6_17constant_iteratorIiNS6_11use_defaultESE_EENS6_10device_ptrIlEESH_PmS8_NS6_8equal_toIlEEEE10hipError_tPvRmT2_T3_mT4_T5_T6_T7_T8_P12ihipStream_tbENKUlT_T0_E_clISt17integral_constantIbLb1EES11_IbLb0EEEEDaSX_SY_EUlSX_E_NS1_11comp_targetILNS1_3genE5ELNS1_11target_archE942ELNS1_3gpuE9ELNS1_3repE0EEENS1_30default_config_static_selectorELNS0_4arch9wavefront6targetE1EEEvT1_
    .private_segment_fixed_size: 0
    .sgpr_count:     4
    .sgpr_spill_count: 0
    .symbol:         _ZN7rocprim17ROCPRIM_400000_NS6detail17trampoline_kernelINS0_14default_configENS1_29reduce_by_key_config_selectorIllN6thrust23THRUST_200600_302600_NS4plusIlEEEEZZNS1_33reduce_by_key_impl_wrapped_configILNS1_25lookback_scan_determinismE0ES3_S9_PlNS6_17constant_iteratorIiNS6_11use_defaultESE_EENS6_10device_ptrIlEESH_PmS8_NS6_8equal_toIlEEEE10hipError_tPvRmT2_T3_mT4_T5_T6_T7_T8_P12ihipStream_tbENKUlT_T0_E_clISt17integral_constantIbLb1EES11_IbLb0EEEEDaSX_SY_EUlSX_E_NS1_11comp_targetILNS1_3genE5ELNS1_11target_archE942ELNS1_3gpuE9ELNS1_3repE0EEENS1_30default_config_static_selectorELNS0_4arch9wavefront6targetE1EEEvT1_.kd
    .uniform_work_group_size: 1
    .uses_dynamic_stack: false
    .vgpr_count:     0
    .vgpr_spill_count: 0
    .wavefront_size: 64
  - .args:
      - .offset:         0
        .size:           144
        .value_kind:     by_value
    .group_segment_fixed_size: 0
    .kernarg_segment_align: 8
    .kernarg_segment_size: 144
    .language:       OpenCL C
    .language_version:
      - 2
      - 0
    .max_flat_workgroup_size: 256
    .name:           _ZN7rocprim17ROCPRIM_400000_NS6detail17trampoline_kernelINS0_14default_configENS1_29reduce_by_key_config_selectorIllN6thrust23THRUST_200600_302600_NS4plusIlEEEEZZNS1_33reduce_by_key_impl_wrapped_configILNS1_25lookback_scan_determinismE0ES3_S9_PlNS6_17constant_iteratorIiNS6_11use_defaultESE_EENS6_10device_ptrIlEESH_PmS8_NS6_8equal_toIlEEEE10hipError_tPvRmT2_T3_mT4_T5_T6_T7_T8_P12ihipStream_tbENKUlT_T0_E_clISt17integral_constantIbLb1EES11_IbLb0EEEEDaSX_SY_EUlSX_E_NS1_11comp_targetILNS1_3genE4ELNS1_11target_archE910ELNS1_3gpuE8ELNS1_3repE0EEENS1_30default_config_static_selectorELNS0_4arch9wavefront6targetE1EEEvT1_
    .private_segment_fixed_size: 0
    .sgpr_count:     4
    .sgpr_spill_count: 0
    .symbol:         _ZN7rocprim17ROCPRIM_400000_NS6detail17trampoline_kernelINS0_14default_configENS1_29reduce_by_key_config_selectorIllN6thrust23THRUST_200600_302600_NS4plusIlEEEEZZNS1_33reduce_by_key_impl_wrapped_configILNS1_25lookback_scan_determinismE0ES3_S9_PlNS6_17constant_iteratorIiNS6_11use_defaultESE_EENS6_10device_ptrIlEESH_PmS8_NS6_8equal_toIlEEEE10hipError_tPvRmT2_T3_mT4_T5_T6_T7_T8_P12ihipStream_tbENKUlT_T0_E_clISt17integral_constantIbLb1EES11_IbLb0EEEEDaSX_SY_EUlSX_E_NS1_11comp_targetILNS1_3genE4ELNS1_11target_archE910ELNS1_3gpuE8ELNS1_3repE0EEENS1_30default_config_static_selectorELNS0_4arch9wavefront6targetE1EEEvT1_.kd
    .uniform_work_group_size: 1
    .uses_dynamic_stack: false
    .vgpr_count:     0
    .vgpr_spill_count: 0
    .wavefront_size: 64
  - .args:
      - .offset:         0
        .size:           144
        .value_kind:     by_value
    .group_segment_fixed_size: 0
    .kernarg_segment_align: 8
    .kernarg_segment_size: 144
    .language:       OpenCL C
    .language_version:
      - 2
      - 0
    .max_flat_workgroup_size: 256
    .name:           _ZN7rocprim17ROCPRIM_400000_NS6detail17trampoline_kernelINS0_14default_configENS1_29reduce_by_key_config_selectorIllN6thrust23THRUST_200600_302600_NS4plusIlEEEEZZNS1_33reduce_by_key_impl_wrapped_configILNS1_25lookback_scan_determinismE0ES3_S9_PlNS6_17constant_iteratorIiNS6_11use_defaultESE_EENS6_10device_ptrIlEESH_PmS8_NS6_8equal_toIlEEEE10hipError_tPvRmT2_T3_mT4_T5_T6_T7_T8_P12ihipStream_tbENKUlT_T0_E_clISt17integral_constantIbLb1EES11_IbLb0EEEEDaSX_SY_EUlSX_E_NS1_11comp_targetILNS1_3genE3ELNS1_11target_archE908ELNS1_3gpuE7ELNS1_3repE0EEENS1_30default_config_static_selectorELNS0_4arch9wavefront6targetE1EEEvT1_
    .private_segment_fixed_size: 0
    .sgpr_count:     4
    .sgpr_spill_count: 0
    .symbol:         _ZN7rocprim17ROCPRIM_400000_NS6detail17trampoline_kernelINS0_14default_configENS1_29reduce_by_key_config_selectorIllN6thrust23THRUST_200600_302600_NS4plusIlEEEEZZNS1_33reduce_by_key_impl_wrapped_configILNS1_25lookback_scan_determinismE0ES3_S9_PlNS6_17constant_iteratorIiNS6_11use_defaultESE_EENS6_10device_ptrIlEESH_PmS8_NS6_8equal_toIlEEEE10hipError_tPvRmT2_T3_mT4_T5_T6_T7_T8_P12ihipStream_tbENKUlT_T0_E_clISt17integral_constantIbLb1EES11_IbLb0EEEEDaSX_SY_EUlSX_E_NS1_11comp_targetILNS1_3genE3ELNS1_11target_archE908ELNS1_3gpuE7ELNS1_3repE0EEENS1_30default_config_static_selectorELNS0_4arch9wavefront6targetE1EEEvT1_.kd
    .uniform_work_group_size: 1
    .uses_dynamic_stack: false
    .vgpr_count:     0
    .vgpr_spill_count: 0
    .wavefront_size: 64
  - .args:
      - .offset:         0
        .size:           144
        .value_kind:     by_value
    .group_segment_fixed_size: 0
    .kernarg_segment_align: 8
    .kernarg_segment_size: 144
    .language:       OpenCL C
    .language_version:
      - 2
      - 0
    .max_flat_workgroup_size: 256
    .name:           _ZN7rocprim17ROCPRIM_400000_NS6detail17trampoline_kernelINS0_14default_configENS1_29reduce_by_key_config_selectorIllN6thrust23THRUST_200600_302600_NS4plusIlEEEEZZNS1_33reduce_by_key_impl_wrapped_configILNS1_25lookback_scan_determinismE0ES3_S9_PlNS6_17constant_iteratorIiNS6_11use_defaultESE_EENS6_10device_ptrIlEESH_PmS8_NS6_8equal_toIlEEEE10hipError_tPvRmT2_T3_mT4_T5_T6_T7_T8_P12ihipStream_tbENKUlT_T0_E_clISt17integral_constantIbLb1EES11_IbLb0EEEEDaSX_SY_EUlSX_E_NS1_11comp_targetILNS1_3genE2ELNS1_11target_archE906ELNS1_3gpuE6ELNS1_3repE0EEENS1_30default_config_static_selectorELNS0_4arch9wavefront6targetE1EEEvT1_
    .private_segment_fixed_size: 0
    .sgpr_count:     4
    .sgpr_spill_count: 0
    .symbol:         _ZN7rocprim17ROCPRIM_400000_NS6detail17trampoline_kernelINS0_14default_configENS1_29reduce_by_key_config_selectorIllN6thrust23THRUST_200600_302600_NS4plusIlEEEEZZNS1_33reduce_by_key_impl_wrapped_configILNS1_25lookback_scan_determinismE0ES3_S9_PlNS6_17constant_iteratorIiNS6_11use_defaultESE_EENS6_10device_ptrIlEESH_PmS8_NS6_8equal_toIlEEEE10hipError_tPvRmT2_T3_mT4_T5_T6_T7_T8_P12ihipStream_tbENKUlT_T0_E_clISt17integral_constantIbLb1EES11_IbLb0EEEEDaSX_SY_EUlSX_E_NS1_11comp_targetILNS1_3genE2ELNS1_11target_archE906ELNS1_3gpuE6ELNS1_3repE0EEENS1_30default_config_static_selectorELNS0_4arch9wavefront6targetE1EEEvT1_.kd
    .uniform_work_group_size: 1
    .uses_dynamic_stack: false
    .vgpr_count:     0
    .vgpr_spill_count: 0
    .wavefront_size: 64
  - .args:
      - .offset:         0
        .size:           144
        .value_kind:     by_value
    .group_segment_fixed_size: 0
    .kernarg_segment_align: 8
    .kernarg_segment_size: 144
    .language:       OpenCL C
    .language_version:
      - 2
      - 0
    .max_flat_workgroup_size: 256
    .name:           _ZN7rocprim17ROCPRIM_400000_NS6detail17trampoline_kernelINS0_14default_configENS1_29reduce_by_key_config_selectorIllN6thrust23THRUST_200600_302600_NS4plusIlEEEEZZNS1_33reduce_by_key_impl_wrapped_configILNS1_25lookback_scan_determinismE0ES3_S9_PlNS6_17constant_iteratorIiNS6_11use_defaultESE_EENS6_10device_ptrIlEESH_PmS8_NS6_8equal_toIlEEEE10hipError_tPvRmT2_T3_mT4_T5_T6_T7_T8_P12ihipStream_tbENKUlT_T0_E_clISt17integral_constantIbLb1EES11_IbLb0EEEEDaSX_SY_EUlSX_E_NS1_11comp_targetILNS1_3genE10ELNS1_11target_archE1201ELNS1_3gpuE5ELNS1_3repE0EEENS1_30default_config_static_selectorELNS0_4arch9wavefront6targetE1EEEvT1_
    .private_segment_fixed_size: 0
    .sgpr_count:     4
    .sgpr_spill_count: 0
    .symbol:         _ZN7rocprim17ROCPRIM_400000_NS6detail17trampoline_kernelINS0_14default_configENS1_29reduce_by_key_config_selectorIllN6thrust23THRUST_200600_302600_NS4plusIlEEEEZZNS1_33reduce_by_key_impl_wrapped_configILNS1_25lookback_scan_determinismE0ES3_S9_PlNS6_17constant_iteratorIiNS6_11use_defaultESE_EENS6_10device_ptrIlEESH_PmS8_NS6_8equal_toIlEEEE10hipError_tPvRmT2_T3_mT4_T5_T6_T7_T8_P12ihipStream_tbENKUlT_T0_E_clISt17integral_constantIbLb1EES11_IbLb0EEEEDaSX_SY_EUlSX_E_NS1_11comp_targetILNS1_3genE10ELNS1_11target_archE1201ELNS1_3gpuE5ELNS1_3repE0EEENS1_30default_config_static_selectorELNS0_4arch9wavefront6targetE1EEEvT1_.kd
    .uniform_work_group_size: 1
    .uses_dynamic_stack: false
    .vgpr_count:     0
    .vgpr_spill_count: 0
    .wavefront_size: 64
  - .args:
      - .offset:         0
        .size:           144
        .value_kind:     by_value
    .group_segment_fixed_size: 0
    .kernarg_segment_align: 8
    .kernarg_segment_size: 144
    .language:       OpenCL C
    .language_version:
      - 2
      - 0
    .max_flat_workgroup_size: 256
    .name:           _ZN7rocprim17ROCPRIM_400000_NS6detail17trampoline_kernelINS0_14default_configENS1_29reduce_by_key_config_selectorIllN6thrust23THRUST_200600_302600_NS4plusIlEEEEZZNS1_33reduce_by_key_impl_wrapped_configILNS1_25lookback_scan_determinismE0ES3_S9_PlNS6_17constant_iteratorIiNS6_11use_defaultESE_EENS6_10device_ptrIlEESH_PmS8_NS6_8equal_toIlEEEE10hipError_tPvRmT2_T3_mT4_T5_T6_T7_T8_P12ihipStream_tbENKUlT_T0_E_clISt17integral_constantIbLb1EES11_IbLb0EEEEDaSX_SY_EUlSX_E_NS1_11comp_targetILNS1_3genE10ELNS1_11target_archE1200ELNS1_3gpuE4ELNS1_3repE0EEENS1_30default_config_static_selectorELNS0_4arch9wavefront6targetE1EEEvT1_
    .private_segment_fixed_size: 0
    .sgpr_count:     4
    .sgpr_spill_count: 0
    .symbol:         _ZN7rocprim17ROCPRIM_400000_NS6detail17trampoline_kernelINS0_14default_configENS1_29reduce_by_key_config_selectorIllN6thrust23THRUST_200600_302600_NS4plusIlEEEEZZNS1_33reduce_by_key_impl_wrapped_configILNS1_25lookback_scan_determinismE0ES3_S9_PlNS6_17constant_iteratorIiNS6_11use_defaultESE_EENS6_10device_ptrIlEESH_PmS8_NS6_8equal_toIlEEEE10hipError_tPvRmT2_T3_mT4_T5_T6_T7_T8_P12ihipStream_tbENKUlT_T0_E_clISt17integral_constantIbLb1EES11_IbLb0EEEEDaSX_SY_EUlSX_E_NS1_11comp_targetILNS1_3genE10ELNS1_11target_archE1200ELNS1_3gpuE4ELNS1_3repE0EEENS1_30default_config_static_selectorELNS0_4arch9wavefront6targetE1EEEvT1_.kd
    .uniform_work_group_size: 1
    .uses_dynamic_stack: false
    .vgpr_count:     0
    .vgpr_spill_count: 0
    .wavefront_size: 64
  - .args:
      - .offset:         0
        .size:           144
        .value_kind:     by_value
    .group_segment_fixed_size: 0
    .kernarg_segment_align: 8
    .kernarg_segment_size: 144
    .language:       OpenCL C
    .language_version:
      - 2
      - 0
    .max_flat_workgroup_size: 256
    .name:           _ZN7rocprim17ROCPRIM_400000_NS6detail17trampoline_kernelINS0_14default_configENS1_29reduce_by_key_config_selectorIllN6thrust23THRUST_200600_302600_NS4plusIlEEEEZZNS1_33reduce_by_key_impl_wrapped_configILNS1_25lookback_scan_determinismE0ES3_S9_PlNS6_17constant_iteratorIiNS6_11use_defaultESE_EENS6_10device_ptrIlEESH_PmS8_NS6_8equal_toIlEEEE10hipError_tPvRmT2_T3_mT4_T5_T6_T7_T8_P12ihipStream_tbENKUlT_T0_E_clISt17integral_constantIbLb1EES11_IbLb0EEEEDaSX_SY_EUlSX_E_NS1_11comp_targetILNS1_3genE9ELNS1_11target_archE1100ELNS1_3gpuE3ELNS1_3repE0EEENS1_30default_config_static_selectorELNS0_4arch9wavefront6targetE1EEEvT1_
    .private_segment_fixed_size: 0
    .sgpr_count:     4
    .sgpr_spill_count: 0
    .symbol:         _ZN7rocprim17ROCPRIM_400000_NS6detail17trampoline_kernelINS0_14default_configENS1_29reduce_by_key_config_selectorIllN6thrust23THRUST_200600_302600_NS4plusIlEEEEZZNS1_33reduce_by_key_impl_wrapped_configILNS1_25lookback_scan_determinismE0ES3_S9_PlNS6_17constant_iteratorIiNS6_11use_defaultESE_EENS6_10device_ptrIlEESH_PmS8_NS6_8equal_toIlEEEE10hipError_tPvRmT2_T3_mT4_T5_T6_T7_T8_P12ihipStream_tbENKUlT_T0_E_clISt17integral_constantIbLb1EES11_IbLb0EEEEDaSX_SY_EUlSX_E_NS1_11comp_targetILNS1_3genE9ELNS1_11target_archE1100ELNS1_3gpuE3ELNS1_3repE0EEENS1_30default_config_static_selectorELNS0_4arch9wavefront6targetE1EEEvT1_.kd
    .uniform_work_group_size: 1
    .uses_dynamic_stack: false
    .vgpr_count:     0
    .vgpr_spill_count: 0
    .wavefront_size: 64
  - .args:
      - .offset:         0
        .size:           144
        .value_kind:     by_value
    .group_segment_fixed_size: 0
    .kernarg_segment_align: 8
    .kernarg_segment_size: 144
    .language:       OpenCL C
    .language_version:
      - 2
      - 0
    .max_flat_workgroup_size: 256
    .name:           _ZN7rocprim17ROCPRIM_400000_NS6detail17trampoline_kernelINS0_14default_configENS1_29reduce_by_key_config_selectorIllN6thrust23THRUST_200600_302600_NS4plusIlEEEEZZNS1_33reduce_by_key_impl_wrapped_configILNS1_25lookback_scan_determinismE0ES3_S9_PlNS6_17constant_iteratorIiNS6_11use_defaultESE_EENS6_10device_ptrIlEESH_PmS8_NS6_8equal_toIlEEEE10hipError_tPvRmT2_T3_mT4_T5_T6_T7_T8_P12ihipStream_tbENKUlT_T0_E_clISt17integral_constantIbLb1EES11_IbLb0EEEEDaSX_SY_EUlSX_E_NS1_11comp_targetILNS1_3genE8ELNS1_11target_archE1030ELNS1_3gpuE2ELNS1_3repE0EEENS1_30default_config_static_selectorELNS0_4arch9wavefront6targetE1EEEvT1_
    .private_segment_fixed_size: 0
    .sgpr_count:     4
    .sgpr_spill_count: 0
    .symbol:         _ZN7rocprim17ROCPRIM_400000_NS6detail17trampoline_kernelINS0_14default_configENS1_29reduce_by_key_config_selectorIllN6thrust23THRUST_200600_302600_NS4plusIlEEEEZZNS1_33reduce_by_key_impl_wrapped_configILNS1_25lookback_scan_determinismE0ES3_S9_PlNS6_17constant_iteratorIiNS6_11use_defaultESE_EENS6_10device_ptrIlEESH_PmS8_NS6_8equal_toIlEEEE10hipError_tPvRmT2_T3_mT4_T5_T6_T7_T8_P12ihipStream_tbENKUlT_T0_E_clISt17integral_constantIbLb1EES11_IbLb0EEEEDaSX_SY_EUlSX_E_NS1_11comp_targetILNS1_3genE8ELNS1_11target_archE1030ELNS1_3gpuE2ELNS1_3repE0EEENS1_30default_config_static_selectorELNS0_4arch9wavefront6targetE1EEEvT1_.kd
    .uniform_work_group_size: 1
    .uses_dynamic_stack: false
    .vgpr_count:     0
    .vgpr_spill_count: 0
    .wavefront_size: 64
  - .args:
      - .offset:         0
        .size:           144
        .value_kind:     by_value
    .group_segment_fixed_size: 0
    .kernarg_segment_align: 8
    .kernarg_segment_size: 144
    .language:       OpenCL C
    .language_version:
      - 2
      - 0
    .max_flat_workgroup_size: 256
    .name:           _ZN7rocprim17ROCPRIM_400000_NS6detail17trampoline_kernelINS0_14default_configENS1_29reduce_by_key_config_selectorIllN6thrust23THRUST_200600_302600_NS4plusIlEEEEZZNS1_33reduce_by_key_impl_wrapped_configILNS1_25lookback_scan_determinismE0ES3_S9_PlNS6_17constant_iteratorIiNS6_11use_defaultESE_EENS6_10device_ptrIlEESH_PmS8_NS6_8equal_toIlEEEE10hipError_tPvRmT2_T3_mT4_T5_T6_T7_T8_P12ihipStream_tbENKUlT_T0_E_clISt17integral_constantIbLb0EES11_IbLb1EEEEDaSX_SY_EUlSX_E_NS1_11comp_targetILNS1_3genE0ELNS1_11target_archE4294967295ELNS1_3gpuE0ELNS1_3repE0EEENS1_30default_config_static_selectorELNS0_4arch9wavefront6targetE1EEEvT1_
    .private_segment_fixed_size: 0
    .sgpr_count:     4
    .sgpr_spill_count: 0
    .symbol:         _ZN7rocprim17ROCPRIM_400000_NS6detail17trampoline_kernelINS0_14default_configENS1_29reduce_by_key_config_selectorIllN6thrust23THRUST_200600_302600_NS4plusIlEEEEZZNS1_33reduce_by_key_impl_wrapped_configILNS1_25lookback_scan_determinismE0ES3_S9_PlNS6_17constant_iteratorIiNS6_11use_defaultESE_EENS6_10device_ptrIlEESH_PmS8_NS6_8equal_toIlEEEE10hipError_tPvRmT2_T3_mT4_T5_T6_T7_T8_P12ihipStream_tbENKUlT_T0_E_clISt17integral_constantIbLb0EES11_IbLb1EEEEDaSX_SY_EUlSX_E_NS1_11comp_targetILNS1_3genE0ELNS1_11target_archE4294967295ELNS1_3gpuE0ELNS1_3repE0EEENS1_30default_config_static_selectorELNS0_4arch9wavefront6targetE1EEEvT1_.kd
    .uniform_work_group_size: 1
    .uses_dynamic_stack: false
    .vgpr_count:     0
    .vgpr_spill_count: 0
    .wavefront_size: 64
  - .args:
      - .offset:         0
        .size:           144
        .value_kind:     by_value
    .group_segment_fixed_size: 0
    .kernarg_segment_align: 8
    .kernarg_segment_size: 144
    .language:       OpenCL C
    .language_version:
      - 2
      - 0
    .max_flat_workgroup_size: 256
    .name:           _ZN7rocprim17ROCPRIM_400000_NS6detail17trampoline_kernelINS0_14default_configENS1_29reduce_by_key_config_selectorIllN6thrust23THRUST_200600_302600_NS4plusIlEEEEZZNS1_33reduce_by_key_impl_wrapped_configILNS1_25lookback_scan_determinismE0ES3_S9_PlNS6_17constant_iteratorIiNS6_11use_defaultESE_EENS6_10device_ptrIlEESH_PmS8_NS6_8equal_toIlEEEE10hipError_tPvRmT2_T3_mT4_T5_T6_T7_T8_P12ihipStream_tbENKUlT_T0_E_clISt17integral_constantIbLb0EES11_IbLb1EEEEDaSX_SY_EUlSX_E_NS1_11comp_targetILNS1_3genE5ELNS1_11target_archE942ELNS1_3gpuE9ELNS1_3repE0EEENS1_30default_config_static_selectorELNS0_4arch9wavefront6targetE1EEEvT1_
    .private_segment_fixed_size: 0
    .sgpr_count:     4
    .sgpr_spill_count: 0
    .symbol:         _ZN7rocprim17ROCPRIM_400000_NS6detail17trampoline_kernelINS0_14default_configENS1_29reduce_by_key_config_selectorIllN6thrust23THRUST_200600_302600_NS4plusIlEEEEZZNS1_33reduce_by_key_impl_wrapped_configILNS1_25lookback_scan_determinismE0ES3_S9_PlNS6_17constant_iteratorIiNS6_11use_defaultESE_EENS6_10device_ptrIlEESH_PmS8_NS6_8equal_toIlEEEE10hipError_tPvRmT2_T3_mT4_T5_T6_T7_T8_P12ihipStream_tbENKUlT_T0_E_clISt17integral_constantIbLb0EES11_IbLb1EEEEDaSX_SY_EUlSX_E_NS1_11comp_targetILNS1_3genE5ELNS1_11target_archE942ELNS1_3gpuE9ELNS1_3repE0EEENS1_30default_config_static_selectorELNS0_4arch9wavefront6targetE1EEEvT1_.kd
    .uniform_work_group_size: 1
    .uses_dynamic_stack: false
    .vgpr_count:     0
    .vgpr_spill_count: 0
    .wavefront_size: 64
  - .args:
      - .offset:         0
        .size:           144
        .value_kind:     by_value
    .group_segment_fixed_size: 0
    .kernarg_segment_align: 8
    .kernarg_segment_size: 144
    .language:       OpenCL C
    .language_version:
      - 2
      - 0
    .max_flat_workgroup_size: 256
    .name:           _ZN7rocprim17ROCPRIM_400000_NS6detail17trampoline_kernelINS0_14default_configENS1_29reduce_by_key_config_selectorIllN6thrust23THRUST_200600_302600_NS4plusIlEEEEZZNS1_33reduce_by_key_impl_wrapped_configILNS1_25lookback_scan_determinismE0ES3_S9_PlNS6_17constant_iteratorIiNS6_11use_defaultESE_EENS6_10device_ptrIlEESH_PmS8_NS6_8equal_toIlEEEE10hipError_tPvRmT2_T3_mT4_T5_T6_T7_T8_P12ihipStream_tbENKUlT_T0_E_clISt17integral_constantIbLb0EES11_IbLb1EEEEDaSX_SY_EUlSX_E_NS1_11comp_targetILNS1_3genE4ELNS1_11target_archE910ELNS1_3gpuE8ELNS1_3repE0EEENS1_30default_config_static_selectorELNS0_4arch9wavefront6targetE1EEEvT1_
    .private_segment_fixed_size: 0
    .sgpr_count:     4
    .sgpr_spill_count: 0
    .symbol:         _ZN7rocprim17ROCPRIM_400000_NS6detail17trampoline_kernelINS0_14default_configENS1_29reduce_by_key_config_selectorIllN6thrust23THRUST_200600_302600_NS4plusIlEEEEZZNS1_33reduce_by_key_impl_wrapped_configILNS1_25lookback_scan_determinismE0ES3_S9_PlNS6_17constant_iteratorIiNS6_11use_defaultESE_EENS6_10device_ptrIlEESH_PmS8_NS6_8equal_toIlEEEE10hipError_tPvRmT2_T3_mT4_T5_T6_T7_T8_P12ihipStream_tbENKUlT_T0_E_clISt17integral_constantIbLb0EES11_IbLb1EEEEDaSX_SY_EUlSX_E_NS1_11comp_targetILNS1_3genE4ELNS1_11target_archE910ELNS1_3gpuE8ELNS1_3repE0EEENS1_30default_config_static_selectorELNS0_4arch9wavefront6targetE1EEEvT1_.kd
    .uniform_work_group_size: 1
    .uses_dynamic_stack: false
    .vgpr_count:     0
    .vgpr_spill_count: 0
    .wavefront_size: 64
  - .args:
      - .offset:         0
        .size:           144
        .value_kind:     by_value
    .group_segment_fixed_size: 0
    .kernarg_segment_align: 8
    .kernarg_segment_size: 144
    .language:       OpenCL C
    .language_version:
      - 2
      - 0
    .max_flat_workgroup_size: 256
    .name:           _ZN7rocprim17ROCPRIM_400000_NS6detail17trampoline_kernelINS0_14default_configENS1_29reduce_by_key_config_selectorIllN6thrust23THRUST_200600_302600_NS4plusIlEEEEZZNS1_33reduce_by_key_impl_wrapped_configILNS1_25lookback_scan_determinismE0ES3_S9_PlNS6_17constant_iteratorIiNS6_11use_defaultESE_EENS6_10device_ptrIlEESH_PmS8_NS6_8equal_toIlEEEE10hipError_tPvRmT2_T3_mT4_T5_T6_T7_T8_P12ihipStream_tbENKUlT_T0_E_clISt17integral_constantIbLb0EES11_IbLb1EEEEDaSX_SY_EUlSX_E_NS1_11comp_targetILNS1_3genE3ELNS1_11target_archE908ELNS1_3gpuE7ELNS1_3repE0EEENS1_30default_config_static_selectorELNS0_4arch9wavefront6targetE1EEEvT1_
    .private_segment_fixed_size: 0
    .sgpr_count:     4
    .sgpr_spill_count: 0
    .symbol:         _ZN7rocprim17ROCPRIM_400000_NS6detail17trampoline_kernelINS0_14default_configENS1_29reduce_by_key_config_selectorIllN6thrust23THRUST_200600_302600_NS4plusIlEEEEZZNS1_33reduce_by_key_impl_wrapped_configILNS1_25lookback_scan_determinismE0ES3_S9_PlNS6_17constant_iteratorIiNS6_11use_defaultESE_EENS6_10device_ptrIlEESH_PmS8_NS6_8equal_toIlEEEE10hipError_tPvRmT2_T3_mT4_T5_T6_T7_T8_P12ihipStream_tbENKUlT_T0_E_clISt17integral_constantIbLb0EES11_IbLb1EEEEDaSX_SY_EUlSX_E_NS1_11comp_targetILNS1_3genE3ELNS1_11target_archE908ELNS1_3gpuE7ELNS1_3repE0EEENS1_30default_config_static_selectorELNS0_4arch9wavefront6targetE1EEEvT1_.kd
    .uniform_work_group_size: 1
    .uses_dynamic_stack: false
    .vgpr_count:     0
    .vgpr_spill_count: 0
    .wavefront_size: 64
  - .args:
      - .offset:         0
        .size:           144
        .value_kind:     by_value
    .group_segment_fixed_size: 30720
    .kernarg_segment_align: 8
    .kernarg_segment_size: 144
    .language:       OpenCL C
    .language_version:
      - 2
      - 0
    .max_flat_workgroup_size: 256
    .name:           _ZN7rocprim17ROCPRIM_400000_NS6detail17trampoline_kernelINS0_14default_configENS1_29reduce_by_key_config_selectorIllN6thrust23THRUST_200600_302600_NS4plusIlEEEEZZNS1_33reduce_by_key_impl_wrapped_configILNS1_25lookback_scan_determinismE0ES3_S9_PlNS6_17constant_iteratorIiNS6_11use_defaultESE_EENS6_10device_ptrIlEESH_PmS8_NS6_8equal_toIlEEEE10hipError_tPvRmT2_T3_mT4_T5_T6_T7_T8_P12ihipStream_tbENKUlT_T0_E_clISt17integral_constantIbLb0EES11_IbLb1EEEEDaSX_SY_EUlSX_E_NS1_11comp_targetILNS1_3genE2ELNS1_11target_archE906ELNS1_3gpuE6ELNS1_3repE0EEENS1_30default_config_static_selectorELNS0_4arch9wavefront6targetE1EEEvT1_
    .private_segment_fixed_size: 64
    .sgpr_count:     72
    .sgpr_spill_count: 0
    .symbol:         _ZN7rocprim17ROCPRIM_400000_NS6detail17trampoline_kernelINS0_14default_configENS1_29reduce_by_key_config_selectorIllN6thrust23THRUST_200600_302600_NS4plusIlEEEEZZNS1_33reduce_by_key_impl_wrapped_configILNS1_25lookback_scan_determinismE0ES3_S9_PlNS6_17constant_iteratorIiNS6_11use_defaultESE_EENS6_10device_ptrIlEESH_PmS8_NS6_8equal_toIlEEEE10hipError_tPvRmT2_T3_mT4_T5_T6_T7_T8_P12ihipStream_tbENKUlT_T0_E_clISt17integral_constantIbLb0EES11_IbLb1EEEEDaSX_SY_EUlSX_E_NS1_11comp_targetILNS1_3genE2ELNS1_11target_archE906ELNS1_3gpuE6ELNS1_3repE0EEENS1_30default_config_static_selectorELNS0_4arch9wavefront6targetE1EEEvT1_.kd
    .uniform_work_group_size: 1
    .uses_dynamic_stack: false
    .vgpr_count:     119
    .vgpr_spill_count: 0
    .wavefront_size: 64
  - .args:
      - .offset:         0
        .size:           144
        .value_kind:     by_value
    .group_segment_fixed_size: 0
    .kernarg_segment_align: 8
    .kernarg_segment_size: 144
    .language:       OpenCL C
    .language_version:
      - 2
      - 0
    .max_flat_workgroup_size: 256
    .name:           _ZN7rocprim17ROCPRIM_400000_NS6detail17trampoline_kernelINS0_14default_configENS1_29reduce_by_key_config_selectorIllN6thrust23THRUST_200600_302600_NS4plusIlEEEEZZNS1_33reduce_by_key_impl_wrapped_configILNS1_25lookback_scan_determinismE0ES3_S9_PlNS6_17constant_iteratorIiNS6_11use_defaultESE_EENS6_10device_ptrIlEESH_PmS8_NS6_8equal_toIlEEEE10hipError_tPvRmT2_T3_mT4_T5_T6_T7_T8_P12ihipStream_tbENKUlT_T0_E_clISt17integral_constantIbLb0EES11_IbLb1EEEEDaSX_SY_EUlSX_E_NS1_11comp_targetILNS1_3genE10ELNS1_11target_archE1201ELNS1_3gpuE5ELNS1_3repE0EEENS1_30default_config_static_selectorELNS0_4arch9wavefront6targetE1EEEvT1_
    .private_segment_fixed_size: 0
    .sgpr_count:     4
    .sgpr_spill_count: 0
    .symbol:         _ZN7rocprim17ROCPRIM_400000_NS6detail17trampoline_kernelINS0_14default_configENS1_29reduce_by_key_config_selectorIllN6thrust23THRUST_200600_302600_NS4plusIlEEEEZZNS1_33reduce_by_key_impl_wrapped_configILNS1_25lookback_scan_determinismE0ES3_S9_PlNS6_17constant_iteratorIiNS6_11use_defaultESE_EENS6_10device_ptrIlEESH_PmS8_NS6_8equal_toIlEEEE10hipError_tPvRmT2_T3_mT4_T5_T6_T7_T8_P12ihipStream_tbENKUlT_T0_E_clISt17integral_constantIbLb0EES11_IbLb1EEEEDaSX_SY_EUlSX_E_NS1_11comp_targetILNS1_3genE10ELNS1_11target_archE1201ELNS1_3gpuE5ELNS1_3repE0EEENS1_30default_config_static_selectorELNS0_4arch9wavefront6targetE1EEEvT1_.kd
    .uniform_work_group_size: 1
    .uses_dynamic_stack: false
    .vgpr_count:     0
    .vgpr_spill_count: 0
    .wavefront_size: 64
  - .args:
      - .offset:         0
        .size:           144
        .value_kind:     by_value
    .group_segment_fixed_size: 0
    .kernarg_segment_align: 8
    .kernarg_segment_size: 144
    .language:       OpenCL C
    .language_version:
      - 2
      - 0
    .max_flat_workgroup_size: 256
    .name:           _ZN7rocprim17ROCPRIM_400000_NS6detail17trampoline_kernelINS0_14default_configENS1_29reduce_by_key_config_selectorIllN6thrust23THRUST_200600_302600_NS4plusIlEEEEZZNS1_33reduce_by_key_impl_wrapped_configILNS1_25lookback_scan_determinismE0ES3_S9_PlNS6_17constant_iteratorIiNS6_11use_defaultESE_EENS6_10device_ptrIlEESH_PmS8_NS6_8equal_toIlEEEE10hipError_tPvRmT2_T3_mT4_T5_T6_T7_T8_P12ihipStream_tbENKUlT_T0_E_clISt17integral_constantIbLb0EES11_IbLb1EEEEDaSX_SY_EUlSX_E_NS1_11comp_targetILNS1_3genE10ELNS1_11target_archE1200ELNS1_3gpuE4ELNS1_3repE0EEENS1_30default_config_static_selectorELNS0_4arch9wavefront6targetE1EEEvT1_
    .private_segment_fixed_size: 0
    .sgpr_count:     4
    .sgpr_spill_count: 0
    .symbol:         _ZN7rocprim17ROCPRIM_400000_NS6detail17trampoline_kernelINS0_14default_configENS1_29reduce_by_key_config_selectorIllN6thrust23THRUST_200600_302600_NS4plusIlEEEEZZNS1_33reduce_by_key_impl_wrapped_configILNS1_25lookback_scan_determinismE0ES3_S9_PlNS6_17constant_iteratorIiNS6_11use_defaultESE_EENS6_10device_ptrIlEESH_PmS8_NS6_8equal_toIlEEEE10hipError_tPvRmT2_T3_mT4_T5_T6_T7_T8_P12ihipStream_tbENKUlT_T0_E_clISt17integral_constantIbLb0EES11_IbLb1EEEEDaSX_SY_EUlSX_E_NS1_11comp_targetILNS1_3genE10ELNS1_11target_archE1200ELNS1_3gpuE4ELNS1_3repE0EEENS1_30default_config_static_selectorELNS0_4arch9wavefront6targetE1EEEvT1_.kd
    .uniform_work_group_size: 1
    .uses_dynamic_stack: false
    .vgpr_count:     0
    .vgpr_spill_count: 0
    .wavefront_size: 64
  - .args:
      - .offset:         0
        .size:           144
        .value_kind:     by_value
    .group_segment_fixed_size: 0
    .kernarg_segment_align: 8
    .kernarg_segment_size: 144
    .language:       OpenCL C
    .language_version:
      - 2
      - 0
    .max_flat_workgroup_size: 256
    .name:           _ZN7rocprim17ROCPRIM_400000_NS6detail17trampoline_kernelINS0_14default_configENS1_29reduce_by_key_config_selectorIllN6thrust23THRUST_200600_302600_NS4plusIlEEEEZZNS1_33reduce_by_key_impl_wrapped_configILNS1_25lookback_scan_determinismE0ES3_S9_PlNS6_17constant_iteratorIiNS6_11use_defaultESE_EENS6_10device_ptrIlEESH_PmS8_NS6_8equal_toIlEEEE10hipError_tPvRmT2_T3_mT4_T5_T6_T7_T8_P12ihipStream_tbENKUlT_T0_E_clISt17integral_constantIbLb0EES11_IbLb1EEEEDaSX_SY_EUlSX_E_NS1_11comp_targetILNS1_3genE9ELNS1_11target_archE1100ELNS1_3gpuE3ELNS1_3repE0EEENS1_30default_config_static_selectorELNS0_4arch9wavefront6targetE1EEEvT1_
    .private_segment_fixed_size: 0
    .sgpr_count:     4
    .sgpr_spill_count: 0
    .symbol:         _ZN7rocprim17ROCPRIM_400000_NS6detail17trampoline_kernelINS0_14default_configENS1_29reduce_by_key_config_selectorIllN6thrust23THRUST_200600_302600_NS4plusIlEEEEZZNS1_33reduce_by_key_impl_wrapped_configILNS1_25lookback_scan_determinismE0ES3_S9_PlNS6_17constant_iteratorIiNS6_11use_defaultESE_EENS6_10device_ptrIlEESH_PmS8_NS6_8equal_toIlEEEE10hipError_tPvRmT2_T3_mT4_T5_T6_T7_T8_P12ihipStream_tbENKUlT_T0_E_clISt17integral_constantIbLb0EES11_IbLb1EEEEDaSX_SY_EUlSX_E_NS1_11comp_targetILNS1_3genE9ELNS1_11target_archE1100ELNS1_3gpuE3ELNS1_3repE0EEENS1_30default_config_static_selectorELNS0_4arch9wavefront6targetE1EEEvT1_.kd
    .uniform_work_group_size: 1
    .uses_dynamic_stack: false
    .vgpr_count:     0
    .vgpr_spill_count: 0
    .wavefront_size: 64
  - .args:
      - .offset:         0
        .size:           144
        .value_kind:     by_value
    .group_segment_fixed_size: 0
    .kernarg_segment_align: 8
    .kernarg_segment_size: 144
    .language:       OpenCL C
    .language_version:
      - 2
      - 0
    .max_flat_workgroup_size: 256
    .name:           _ZN7rocprim17ROCPRIM_400000_NS6detail17trampoline_kernelINS0_14default_configENS1_29reduce_by_key_config_selectorIllN6thrust23THRUST_200600_302600_NS4plusIlEEEEZZNS1_33reduce_by_key_impl_wrapped_configILNS1_25lookback_scan_determinismE0ES3_S9_PlNS6_17constant_iteratorIiNS6_11use_defaultESE_EENS6_10device_ptrIlEESH_PmS8_NS6_8equal_toIlEEEE10hipError_tPvRmT2_T3_mT4_T5_T6_T7_T8_P12ihipStream_tbENKUlT_T0_E_clISt17integral_constantIbLb0EES11_IbLb1EEEEDaSX_SY_EUlSX_E_NS1_11comp_targetILNS1_3genE8ELNS1_11target_archE1030ELNS1_3gpuE2ELNS1_3repE0EEENS1_30default_config_static_selectorELNS0_4arch9wavefront6targetE1EEEvT1_
    .private_segment_fixed_size: 0
    .sgpr_count:     4
    .sgpr_spill_count: 0
    .symbol:         _ZN7rocprim17ROCPRIM_400000_NS6detail17trampoline_kernelINS0_14default_configENS1_29reduce_by_key_config_selectorIllN6thrust23THRUST_200600_302600_NS4plusIlEEEEZZNS1_33reduce_by_key_impl_wrapped_configILNS1_25lookback_scan_determinismE0ES3_S9_PlNS6_17constant_iteratorIiNS6_11use_defaultESE_EENS6_10device_ptrIlEESH_PmS8_NS6_8equal_toIlEEEE10hipError_tPvRmT2_T3_mT4_T5_T6_T7_T8_P12ihipStream_tbENKUlT_T0_E_clISt17integral_constantIbLb0EES11_IbLb1EEEEDaSX_SY_EUlSX_E_NS1_11comp_targetILNS1_3genE8ELNS1_11target_archE1030ELNS1_3gpuE2ELNS1_3repE0EEENS1_30default_config_static_selectorELNS0_4arch9wavefront6targetE1EEEvT1_.kd
    .uniform_work_group_size: 1
    .uses_dynamic_stack: false
    .vgpr_count:     0
    .vgpr_spill_count: 0
    .wavefront_size: 64
  - .args:
      - .offset:         0
        .size:           96
        .value_kind:     by_value
    .group_segment_fixed_size: 0
    .kernarg_segment_align: 8
    .kernarg_segment_size: 96
    .language:       OpenCL C
    .language_version:
      - 2
      - 0
    .max_flat_workgroup_size: 128
    .name:           _ZN7rocprim17ROCPRIM_400000_NS6detail17trampoline_kernelINS0_14default_configENS1_22reduce_config_selectorIN6thrust23THRUST_200600_302600_NS5tupleIblNS6_9null_typeES8_S8_S8_S8_S8_S8_S8_EEEEZNS1_11reduce_implILb1ES3_NS6_12zip_iteratorINS7_INS6_11hip_rocprim26transform_input_iterator_tIbPlNS6_6detail10functional5actorINSH_9compositeIJNSH_27transparent_binary_operatorINS6_8equal_toIvEEEENSI_INSH_8argumentILj0EEEEENSH_5valueIlEEEEEEEEENSD_19counting_iterator_tIlEES8_S8_S8_S8_S8_S8_S8_S8_EEEEPS9_S9_NSD_9__find_if7functorIS9_EEEE10hipError_tPvRmT1_T2_T3_mT4_P12ihipStream_tbEUlT_E0_NS1_11comp_targetILNS1_3genE0ELNS1_11target_archE4294967295ELNS1_3gpuE0ELNS1_3repE0EEENS1_30default_config_static_selectorELNS0_4arch9wavefront6targetE1EEEvS17_
    .private_segment_fixed_size: 0
    .sgpr_count:     4
    .sgpr_spill_count: 0
    .symbol:         _ZN7rocprim17ROCPRIM_400000_NS6detail17trampoline_kernelINS0_14default_configENS1_22reduce_config_selectorIN6thrust23THRUST_200600_302600_NS5tupleIblNS6_9null_typeES8_S8_S8_S8_S8_S8_S8_EEEEZNS1_11reduce_implILb1ES3_NS6_12zip_iteratorINS7_INS6_11hip_rocprim26transform_input_iterator_tIbPlNS6_6detail10functional5actorINSH_9compositeIJNSH_27transparent_binary_operatorINS6_8equal_toIvEEEENSI_INSH_8argumentILj0EEEEENSH_5valueIlEEEEEEEEENSD_19counting_iterator_tIlEES8_S8_S8_S8_S8_S8_S8_S8_EEEEPS9_S9_NSD_9__find_if7functorIS9_EEEE10hipError_tPvRmT1_T2_T3_mT4_P12ihipStream_tbEUlT_E0_NS1_11comp_targetILNS1_3genE0ELNS1_11target_archE4294967295ELNS1_3gpuE0ELNS1_3repE0EEENS1_30default_config_static_selectorELNS0_4arch9wavefront6targetE1EEEvS17_.kd
    .uniform_work_group_size: 1
    .uses_dynamic_stack: false
    .vgpr_count:     0
    .vgpr_spill_count: 0
    .wavefront_size: 64
  - .args:
      - .offset:         0
        .size:           96
        .value_kind:     by_value
    .group_segment_fixed_size: 0
    .kernarg_segment_align: 8
    .kernarg_segment_size: 96
    .language:       OpenCL C
    .language_version:
      - 2
      - 0
    .max_flat_workgroup_size: 256
    .name:           _ZN7rocprim17ROCPRIM_400000_NS6detail17trampoline_kernelINS0_14default_configENS1_22reduce_config_selectorIN6thrust23THRUST_200600_302600_NS5tupleIblNS6_9null_typeES8_S8_S8_S8_S8_S8_S8_EEEEZNS1_11reduce_implILb1ES3_NS6_12zip_iteratorINS7_INS6_11hip_rocprim26transform_input_iterator_tIbPlNS6_6detail10functional5actorINSH_9compositeIJNSH_27transparent_binary_operatorINS6_8equal_toIvEEEENSI_INSH_8argumentILj0EEEEENSH_5valueIlEEEEEEEEENSD_19counting_iterator_tIlEES8_S8_S8_S8_S8_S8_S8_S8_EEEEPS9_S9_NSD_9__find_if7functorIS9_EEEE10hipError_tPvRmT1_T2_T3_mT4_P12ihipStream_tbEUlT_E0_NS1_11comp_targetILNS1_3genE5ELNS1_11target_archE942ELNS1_3gpuE9ELNS1_3repE0EEENS1_30default_config_static_selectorELNS0_4arch9wavefront6targetE1EEEvS17_
    .private_segment_fixed_size: 0
    .sgpr_count:     4
    .sgpr_spill_count: 0
    .symbol:         _ZN7rocprim17ROCPRIM_400000_NS6detail17trampoline_kernelINS0_14default_configENS1_22reduce_config_selectorIN6thrust23THRUST_200600_302600_NS5tupleIblNS6_9null_typeES8_S8_S8_S8_S8_S8_S8_EEEEZNS1_11reduce_implILb1ES3_NS6_12zip_iteratorINS7_INS6_11hip_rocprim26transform_input_iterator_tIbPlNS6_6detail10functional5actorINSH_9compositeIJNSH_27transparent_binary_operatorINS6_8equal_toIvEEEENSI_INSH_8argumentILj0EEEEENSH_5valueIlEEEEEEEEENSD_19counting_iterator_tIlEES8_S8_S8_S8_S8_S8_S8_S8_EEEEPS9_S9_NSD_9__find_if7functorIS9_EEEE10hipError_tPvRmT1_T2_T3_mT4_P12ihipStream_tbEUlT_E0_NS1_11comp_targetILNS1_3genE5ELNS1_11target_archE942ELNS1_3gpuE9ELNS1_3repE0EEENS1_30default_config_static_selectorELNS0_4arch9wavefront6targetE1EEEvS17_.kd
    .uniform_work_group_size: 1
    .uses_dynamic_stack: false
    .vgpr_count:     0
    .vgpr_spill_count: 0
    .wavefront_size: 64
  - .args:
      - .offset:         0
        .size:           96
        .value_kind:     by_value
    .group_segment_fixed_size: 0
    .kernarg_segment_align: 8
    .kernarg_segment_size: 96
    .language:       OpenCL C
    .language_version:
      - 2
      - 0
    .max_flat_workgroup_size: 256
    .name:           _ZN7rocprim17ROCPRIM_400000_NS6detail17trampoline_kernelINS0_14default_configENS1_22reduce_config_selectorIN6thrust23THRUST_200600_302600_NS5tupleIblNS6_9null_typeES8_S8_S8_S8_S8_S8_S8_EEEEZNS1_11reduce_implILb1ES3_NS6_12zip_iteratorINS7_INS6_11hip_rocprim26transform_input_iterator_tIbPlNS6_6detail10functional5actorINSH_9compositeIJNSH_27transparent_binary_operatorINS6_8equal_toIvEEEENSI_INSH_8argumentILj0EEEEENSH_5valueIlEEEEEEEEENSD_19counting_iterator_tIlEES8_S8_S8_S8_S8_S8_S8_S8_EEEEPS9_S9_NSD_9__find_if7functorIS9_EEEE10hipError_tPvRmT1_T2_T3_mT4_P12ihipStream_tbEUlT_E0_NS1_11comp_targetILNS1_3genE4ELNS1_11target_archE910ELNS1_3gpuE8ELNS1_3repE0EEENS1_30default_config_static_selectorELNS0_4arch9wavefront6targetE1EEEvS17_
    .private_segment_fixed_size: 0
    .sgpr_count:     4
    .sgpr_spill_count: 0
    .symbol:         _ZN7rocprim17ROCPRIM_400000_NS6detail17trampoline_kernelINS0_14default_configENS1_22reduce_config_selectorIN6thrust23THRUST_200600_302600_NS5tupleIblNS6_9null_typeES8_S8_S8_S8_S8_S8_S8_EEEEZNS1_11reduce_implILb1ES3_NS6_12zip_iteratorINS7_INS6_11hip_rocprim26transform_input_iterator_tIbPlNS6_6detail10functional5actorINSH_9compositeIJNSH_27transparent_binary_operatorINS6_8equal_toIvEEEENSI_INSH_8argumentILj0EEEEENSH_5valueIlEEEEEEEEENSD_19counting_iterator_tIlEES8_S8_S8_S8_S8_S8_S8_S8_EEEEPS9_S9_NSD_9__find_if7functorIS9_EEEE10hipError_tPvRmT1_T2_T3_mT4_P12ihipStream_tbEUlT_E0_NS1_11comp_targetILNS1_3genE4ELNS1_11target_archE910ELNS1_3gpuE8ELNS1_3repE0EEENS1_30default_config_static_selectorELNS0_4arch9wavefront6targetE1EEEvS17_.kd
    .uniform_work_group_size: 1
    .uses_dynamic_stack: false
    .vgpr_count:     0
    .vgpr_spill_count: 0
    .wavefront_size: 64
  - .args:
      - .offset:         0
        .size:           96
        .value_kind:     by_value
    .group_segment_fixed_size: 0
    .kernarg_segment_align: 8
    .kernarg_segment_size: 96
    .language:       OpenCL C
    .language_version:
      - 2
      - 0
    .max_flat_workgroup_size: 128
    .name:           _ZN7rocprim17ROCPRIM_400000_NS6detail17trampoline_kernelINS0_14default_configENS1_22reduce_config_selectorIN6thrust23THRUST_200600_302600_NS5tupleIblNS6_9null_typeES8_S8_S8_S8_S8_S8_S8_EEEEZNS1_11reduce_implILb1ES3_NS6_12zip_iteratorINS7_INS6_11hip_rocprim26transform_input_iterator_tIbPlNS6_6detail10functional5actorINSH_9compositeIJNSH_27transparent_binary_operatorINS6_8equal_toIvEEEENSI_INSH_8argumentILj0EEEEENSH_5valueIlEEEEEEEEENSD_19counting_iterator_tIlEES8_S8_S8_S8_S8_S8_S8_S8_EEEEPS9_S9_NSD_9__find_if7functorIS9_EEEE10hipError_tPvRmT1_T2_T3_mT4_P12ihipStream_tbEUlT_E0_NS1_11comp_targetILNS1_3genE3ELNS1_11target_archE908ELNS1_3gpuE7ELNS1_3repE0EEENS1_30default_config_static_selectorELNS0_4arch9wavefront6targetE1EEEvS17_
    .private_segment_fixed_size: 0
    .sgpr_count:     4
    .sgpr_spill_count: 0
    .symbol:         _ZN7rocprim17ROCPRIM_400000_NS6detail17trampoline_kernelINS0_14default_configENS1_22reduce_config_selectorIN6thrust23THRUST_200600_302600_NS5tupleIblNS6_9null_typeES8_S8_S8_S8_S8_S8_S8_EEEEZNS1_11reduce_implILb1ES3_NS6_12zip_iteratorINS7_INS6_11hip_rocprim26transform_input_iterator_tIbPlNS6_6detail10functional5actorINSH_9compositeIJNSH_27transparent_binary_operatorINS6_8equal_toIvEEEENSI_INSH_8argumentILj0EEEEENSH_5valueIlEEEEEEEEENSD_19counting_iterator_tIlEES8_S8_S8_S8_S8_S8_S8_S8_EEEEPS9_S9_NSD_9__find_if7functorIS9_EEEE10hipError_tPvRmT1_T2_T3_mT4_P12ihipStream_tbEUlT_E0_NS1_11comp_targetILNS1_3genE3ELNS1_11target_archE908ELNS1_3gpuE7ELNS1_3repE0EEENS1_30default_config_static_selectorELNS0_4arch9wavefront6targetE1EEEvS17_.kd
    .uniform_work_group_size: 1
    .uses_dynamic_stack: false
    .vgpr_count:     0
    .vgpr_spill_count: 0
    .wavefront_size: 64
  - .args:
      - .offset:         0
        .size:           96
        .value_kind:     by_value
    .group_segment_fixed_size: 64
    .kernarg_segment_align: 8
    .kernarg_segment_size: 96
    .language:       OpenCL C
    .language_version:
      - 2
      - 0
    .max_flat_workgroup_size: 128
    .name:           _ZN7rocprim17ROCPRIM_400000_NS6detail17trampoline_kernelINS0_14default_configENS1_22reduce_config_selectorIN6thrust23THRUST_200600_302600_NS5tupleIblNS6_9null_typeES8_S8_S8_S8_S8_S8_S8_EEEEZNS1_11reduce_implILb1ES3_NS6_12zip_iteratorINS7_INS6_11hip_rocprim26transform_input_iterator_tIbPlNS6_6detail10functional5actorINSH_9compositeIJNSH_27transparent_binary_operatorINS6_8equal_toIvEEEENSI_INSH_8argumentILj0EEEEENSH_5valueIlEEEEEEEEENSD_19counting_iterator_tIlEES8_S8_S8_S8_S8_S8_S8_S8_EEEEPS9_S9_NSD_9__find_if7functorIS9_EEEE10hipError_tPvRmT1_T2_T3_mT4_P12ihipStream_tbEUlT_E0_NS1_11comp_targetILNS1_3genE2ELNS1_11target_archE906ELNS1_3gpuE6ELNS1_3repE0EEENS1_30default_config_static_selectorELNS0_4arch9wavefront6targetE1EEEvS17_
    .private_segment_fixed_size: 0
    .sgpr_count:     36
    .sgpr_spill_count: 0
    .symbol:         _ZN7rocprim17ROCPRIM_400000_NS6detail17trampoline_kernelINS0_14default_configENS1_22reduce_config_selectorIN6thrust23THRUST_200600_302600_NS5tupleIblNS6_9null_typeES8_S8_S8_S8_S8_S8_S8_EEEEZNS1_11reduce_implILb1ES3_NS6_12zip_iteratorINS7_INS6_11hip_rocprim26transform_input_iterator_tIbPlNS6_6detail10functional5actorINSH_9compositeIJNSH_27transparent_binary_operatorINS6_8equal_toIvEEEENSI_INSH_8argumentILj0EEEEENSH_5valueIlEEEEEEEEENSD_19counting_iterator_tIlEES8_S8_S8_S8_S8_S8_S8_S8_EEEEPS9_S9_NSD_9__find_if7functorIS9_EEEE10hipError_tPvRmT1_T2_T3_mT4_P12ihipStream_tbEUlT_E0_NS1_11comp_targetILNS1_3genE2ELNS1_11target_archE906ELNS1_3gpuE6ELNS1_3repE0EEENS1_30default_config_static_selectorELNS0_4arch9wavefront6targetE1EEEvS17_.kd
    .uniform_work_group_size: 1
    .uses_dynamic_stack: false
    .vgpr_count:     14
    .vgpr_spill_count: 0
    .wavefront_size: 64
  - .args:
      - .offset:         0
        .size:           96
        .value_kind:     by_value
    .group_segment_fixed_size: 0
    .kernarg_segment_align: 8
    .kernarg_segment_size: 96
    .language:       OpenCL C
    .language_version:
      - 2
      - 0
    .max_flat_workgroup_size: 256
    .name:           _ZN7rocprim17ROCPRIM_400000_NS6detail17trampoline_kernelINS0_14default_configENS1_22reduce_config_selectorIN6thrust23THRUST_200600_302600_NS5tupleIblNS6_9null_typeES8_S8_S8_S8_S8_S8_S8_EEEEZNS1_11reduce_implILb1ES3_NS6_12zip_iteratorINS7_INS6_11hip_rocprim26transform_input_iterator_tIbPlNS6_6detail10functional5actorINSH_9compositeIJNSH_27transparent_binary_operatorINS6_8equal_toIvEEEENSI_INSH_8argumentILj0EEEEENSH_5valueIlEEEEEEEEENSD_19counting_iterator_tIlEES8_S8_S8_S8_S8_S8_S8_S8_EEEEPS9_S9_NSD_9__find_if7functorIS9_EEEE10hipError_tPvRmT1_T2_T3_mT4_P12ihipStream_tbEUlT_E0_NS1_11comp_targetILNS1_3genE10ELNS1_11target_archE1201ELNS1_3gpuE5ELNS1_3repE0EEENS1_30default_config_static_selectorELNS0_4arch9wavefront6targetE1EEEvS17_
    .private_segment_fixed_size: 0
    .sgpr_count:     4
    .sgpr_spill_count: 0
    .symbol:         _ZN7rocprim17ROCPRIM_400000_NS6detail17trampoline_kernelINS0_14default_configENS1_22reduce_config_selectorIN6thrust23THRUST_200600_302600_NS5tupleIblNS6_9null_typeES8_S8_S8_S8_S8_S8_S8_EEEEZNS1_11reduce_implILb1ES3_NS6_12zip_iteratorINS7_INS6_11hip_rocprim26transform_input_iterator_tIbPlNS6_6detail10functional5actorINSH_9compositeIJNSH_27transparent_binary_operatorINS6_8equal_toIvEEEENSI_INSH_8argumentILj0EEEEENSH_5valueIlEEEEEEEEENSD_19counting_iterator_tIlEES8_S8_S8_S8_S8_S8_S8_S8_EEEEPS9_S9_NSD_9__find_if7functorIS9_EEEE10hipError_tPvRmT1_T2_T3_mT4_P12ihipStream_tbEUlT_E0_NS1_11comp_targetILNS1_3genE10ELNS1_11target_archE1201ELNS1_3gpuE5ELNS1_3repE0EEENS1_30default_config_static_selectorELNS0_4arch9wavefront6targetE1EEEvS17_.kd
    .uniform_work_group_size: 1
    .uses_dynamic_stack: false
    .vgpr_count:     0
    .vgpr_spill_count: 0
    .wavefront_size: 64
  - .args:
      - .offset:         0
        .size:           96
        .value_kind:     by_value
    .group_segment_fixed_size: 0
    .kernarg_segment_align: 8
    .kernarg_segment_size: 96
    .language:       OpenCL C
    .language_version:
      - 2
      - 0
    .max_flat_workgroup_size: 256
    .name:           _ZN7rocprim17ROCPRIM_400000_NS6detail17trampoline_kernelINS0_14default_configENS1_22reduce_config_selectorIN6thrust23THRUST_200600_302600_NS5tupleIblNS6_9null_typeES8_S8_S8_S8_S8_S8_S8_EEEEZNS1_11reduce_implILb1ES3_NS6_12zip_iteratorINS7_INS6_11hip_rocprim26transform_input_iterator_tIbPlNS6_6detail10functional5actorINSH_9compositeIJNSH_27transparent_binary_operatorINS6_8equal_toIvEEEENSI_INSH_8argumentILj0EEEEENSH_5valueIlEEEEEEEEENSD_19counting_iterator_tIlEES8_S8_S8_S8_S8_S8_S8_S8_EEEEPS9_S9_NSD_9__find_if7functorIS9_EEEE10hipError_tPvRmT1_T2_T3_mT4_P12ihipStream_tbEUlT_E0_NS1_11comp_targetILNS1_3genE10ELNS1_11target_archE1200ELNS1_3gpuE4ELNS1_3repE0EEENS1_30default_config_static_selectorELNS0_4arch9wavefront6targetE1EEEvS17_
    .private_segment_fixed_size: 0
    .sgpr_count:     4
    .sgpr_spill_count: 0
    .symbol:         _ZN7rocprim17ROCPRIM_400000_NS6detail17trampoline_kernelINS0_14default_configENS1_22reduce_config_selectorIN6thrust23THRUST_200600_302600_NS5tupleIblNS6_9null_typeES8_S8_S8_S8_S8_S8_S8_EEEEZNS1_11reduce_implILb1ES3_NS6_12zip_iteratorINS7_INS6_11hip_rocprim26transform_input_iterator_tIbPlNS6_6detail10functional5actorINSH_9compositeIJNSH_27transparent_binary_operatorINS6_8equal_toIvEEEENSI_INSH_8argumentILj0EEEEENSH_5valueIlEEEEEEEEENSD_19counting_iterator_tIlEES8_S8_S8_S8_S8_S8_S8_S8_EEEEPS9_S9_NSD_9__find_if7functorIS9_EEEE10hipError_tPvRmT1_T2_T3_mT4_P12ihipStream_tbEUlT_E0_NS1_11comp_targetILNS1_3genE10ELNS1_11target_archE1200ELNS1_3gpuE4ELNS1_3repE0EEENS1_30default_config_static_selectorELNS0_4arch9wavefront6targetE1EEEvS17_.kd
    .uniform_work_group_size: 1
    .uses_dynamic_stack: false
    .vgpr_count:     0
    .vgpr_spill_count: 0
    .wavefront_size: 64
  - .args:
      - .offset:         0
        .size:           96
        .value_kind:     by_value
    .group_segment_fixed_size: 0
    .kernarg_segment_align: 8
    .kernarg_segment_size: 96
    .language:       OpenCL C
    .language_version:
      - 2
      - 0
    .max_flat_workgroup_size: 256
    .name:           _ZN7rocprim17ROCPRIM_400000_NS6detail17trampoline_kernelINS0_14default_configENS1_22reduce_config_selectorIN6thrust23THRUST_200600_302600_NS5tupleIblNS6_9null_typeES8_S8_S8_S8_S8_S8_S8_EEEEZNS1_11reduce_implILb1ES3_NS6_12zip_iteratorINS7_INS6_11hip_rocprim26transform_input_iterator_tIbPlNS6_6detail10functional5actorINSH_9compositeIJNSH_27transparent_binary_operatorINS6_8equal_toIvEEEENSI_INSH_8argumentILj0EEEEENSH_5valueIlEEEEEEEEENSD_19counting_iterator_tIlEES8_S8_S8_S8_S8_S8_S8_S8_EEEEPS9_S9_NSD_9__find_if7functorIS9_EEEE10hipError_tPvRmT1_T2_T3_mT4_P12ihipStream_tbEUlT_E0_NS1_11comp_targetILNS1_3genE9ELNS1_11target_archE1100ELNS1_3gpuE3ELNS1_3repE0EEENS1_30default_config_static_selectorELNS0_4arch9wavefront6targetE1EEEvS17_
    .private_segment_fixed_size: 0
    .sgpr_count:     4
    .sgpr_spill_count: 0
    .symbol:         _ZN7rocprim17ROCPRIM_400000_NS6detail17trampoline_kernelINS0_14default_configENS1_22reduce_config_selectorIN6thrust23THRUST_200600_302600_NS5tupleIblNS6_9null_typeES8_S8_S8_S8_S8_S8_S8_EEEEZNS1_11reduce_implILb1ES3_NS6_12zip_iteratorINS7_INS6_11hip_rocprim26transform_input_iterator_tIbPlNS6_6detail10functional5actorINSH_9compositeIJNSH_27transparent_binary_operatorINS6_8equal_toIvEEEENSI_INSH_8argumentILj0EEEEENSH_5valueIlEEEEEEEEENSD_19counting_iterator_tIlEES8_S8_S8_S8_S8_S8_S8_S8_EEEEPS9_S9_NSD_9__find_if7functorIS9_EEEE10hipError_tPvRmT1_T2_T3_mT4_P12ihipStream_tbEUlT_E0_NS1_11comp_targetILNS1_3genE9ELNS1_11target_archE1100ELNS1_3gpuE3ELNS1_3repE0EEENS1_30default_config_static_selectorELNS0_4arch9wavefront6targetE1EEEvS17_.kd
    .uniform_work_group_size: 1
    .uses_dynamic_stack: false
    .vgpr_count:     0
    .vgpr_spill_count: 0
    .wavefront_size: 64
  - .args:
      - .offset:         0
        .size:           96
        .value_kind:     by_value
    .group_segment_fixed_size: 0
    .kernarg_segment_align: 8
    .kernarg_segment_size: 96
    .language:       OpenCL C
    .language_version:
      - 2
      - 0
    .max_flat_workgroup_size: 256
    .name:           _ZN7rocprim17ROCPRIM_400000_NS6detail17trampoline_kernelINS0_14default_configENS1_22reduce_config_selectorIN6thrust23THRUST_200600_302600_NS5tupleIblNS6_9null_typeES8_S8_S8_S8_S8_S8_S8_EEEEZNS1_11reduce_implILb1ES3_NS6_12zip_iteratorINS7_INS6_11hip_rocprim26transform_input_iterator_tIbPlNS6_6detail10functional5actorINSH_9compositeIJNSH_27transparent_binary_operatorINS6_8equal_toIvEEEENSI_INSH_8argumentILj0EEEEENSH_5valueIlEEEEEEEEENSD_19counting_iterator_tIlEES8_S8_S8_S8_S8_S8_S8_S8_EEEEPS9_S9_NSD_9__find_if7functorIS9_EEEE10hipError_tPvRmT1_T2_T3_mT4_P12ihipStream_tbEUlT_E0_NS1_11comp_targetILNS1_3genE8ELNS1_11target_archE1030ELNS1_3gpuE2ELNS1_3repE0EEENS1_30default_config_static_selectorELNS0_4arch9wavefront6targetE1EEEvS17_
    .private_segment_fixed_size: 0
    .sgpr_count:     4
    .sgpr_spill_count: 0
    .symbol:         _ZN7rocprim17ROCPRIM_400000_NS6detail17trampoline_kernelINS0_14default_configENS1_22reduce_config_selectorIN6thrust23THRUST_200600_302600_NS5tupleIblNS6_9null_typeES8_S8_S8_S8_S8_S8_S8_EEEEZNS1_11reduce_implILb1ES3_NS6_12zip_iteratorINS7_INS6_11hip_rocprim26transform_input_iterator_tIbPlNS6_6detail10functional5actorINSH_9compositeIJNSH_27transparent_binary_operatorINS6_8equal_toIvEEEENSI_INSH_8argumentILj0EEEEENSH_5valueIlEEEEEEEEENSD_19counting_iterator_tIlEES8_S8_S8_S8_S8_S8_S8_S8_EEEEPS9_S9_NSD_9__find_if7functorIS9_EEEE10hipError_tPvRmT1_T2_T3_mT4_P12ihipStream_tbEUlT_E0_NS1_11comp_targetILNS1_3genE8ELNS1_11target_archE1030ELNS1_3gpuE2ELNS1_3repE0EEENS1_30default_config_static_selectorELNS0_4arch9wavefront6targetE1EEEvS17_.kd
    .uniform_work_group_size: 1
    .uses_dynamic_stack: false
    .vgpr_count:     0
    .vgpr_spill_count: 0
    .wavefront_size: 64
  - .args:
      - .offset:         0
        .size:           80
        .value_kind:     by_value
    .group_segment_fixed_size: 0
    .kernarg_segment_align: 8
    .kernarg_segment_size: 80
    .language:       OpenCL C
    .language_version:
      - 2
      - 0
    .max_flat_workgroup_size: 128
    .name:           _ZN7rocprim17ROCPRIM_400000_NS6detail17trampoline_kernelINS0_14default_configENS1_22reduce_config_selectorIN6thrust23THRUST_200600_302600_NS5tupleIblNS6_9null_typeES8_S8_S8_S8_S8_S8_S8_EEEEZNS1_11reduce_implILb1ES3_NS6_12zip_iteratorINS7_INS6_11hip_rocprim26transform_input_iterator_tIbPlNS6_6detail10functional5actorINSH_9compositeIJNSH_27transparent_binary_operatorINS6_8equal_toIvEEEENSI_INSH_8argumentILj0EEEEENSH_5valueIlEEEEEEEEENSD_19counting_iterator_tIlEES8_S8_S8_S8_S8_S8_S8_S8_EEEEPS9_S9_NSD_9__find_if7functorIS9_EEEE10hipError_tPvRmT1_T2_T3_mT4_P12ihipStream_tbEUlT_E1_NS1_11comp_targetILNS1_3genE0ELNS1_11target_archE4294967295ELNS1_3gpuE0ELNS1_3repE0EEENS1_30default_config_static_selectorELNS0_4arch9wavefront6targetE1EEEvS17_
    .private_segment_fixed_size: 0
    .sgpr_count:     4
    .sgpr_spill_count: 0
    .symbol:         _ZN7rocprim17ROCPRIM_400000_NS6detail17trampoline_kernelINS0_14default_configENS1_22reduce_config_selectorIN6thrust23THRUST_200600_302600_NS5tupleIblNS6_9null_typeES8_S8_S8_S8_S8_S8_S8_EEEEZNS1_11reduce_implILb1ES3_NS6_12zip_iteratorINS7_INS6_11hip_rocprim26transform_input_iterator_tIbPlNS6_6detail10functional5actorINSH_9compositeIJNSH_27transparent_binary_operatorINS6_8equal_toIvEEEENSI_INSH_8argumentILj0EEEEENSH_5valueIlEEEEEEEEENSD_19counting_iterator_tIlEES8_S8_S8_S8_S8_S8_S8_S8_EEEEPS9_S9_NSD_9__find_if7functorIS9_EEEE10hipError_tPvRmT1_T2_T3_mT4_P12ihipStream_tbEUlT_E1_NS1_11comp_targetILNS1_3genE0ELNS1_11target_archE4294967295ELNS1_3gpuE0ELNS1_3repE0EEENS1_30default_config_static_selectorELNS0_4arch9wavefront6targetE1EEEvS17_.kd
    .uniform_work_group_size: 1
    .uses_dynamic_stack: false
    .vgpr_count:     0
    .vgpr_spill_count: 0
    .wavefront_size: 64
  - .args:
      - .offset:         0
        .size:           80
        .value_kind:     by_value
    .group_segment_fixed_size: 0
    .kernarg_segment_align: 8
    .kernarg_segment_size: 80
    .language:       OpenCL C
    .language_version:
      - 2
      - 0
    .max_flat_workgroup_size: 256
    .name:           _ZN7rocprim17ROCPRIM_400000_NS6detail17trampoline_kernelINS0_14default_configENS1_22reduce_config_selectorIN6thrust23THRUST_200600_302600_NS5tupleIblNS6_9null_typeES8_S8_S8_S8_S8_S8_S8_EEEEZNS1_11reduce_implILb1ES3_NS6_12zip_iteratorINS7_INS6_11hip_rocprim26transform_input_iterator_tIbPlNS6_6detail10functional5actorINSH_9compositeIJNSH_27transparent_binary_operatorINS6_8equal_toIvEEEENSI_INSH_8argumentILj0EEEEENSH_5valueIlEEEEEEEEENSD_19counting_iterator_tIlEES8_S8_S8_S8_S8_S8_S8_S8_EEEEPS9_S9_NSD_9__find_if7functorIS9_EEEE10hipError_tPvRmT1_T2_T3_mT4_P12ihipStream_tbEUlT_E1_NS1_11comp_targetILNS1_3genE5ELNS1_11target_archE942ELNS1_3gpuE9ELNS1_3repE0EEENS1_30default_config_static_selectorELNS0_4arch9wavefront6targetE1EEEvS17_
    .private_segment_fixed_size: 0
    .sgpr_count:     4
    .sgpr_spill_count: 0
    .symbol:         _ZN7rocprim17ROCPRIM_400000_NS6detail17trampoline_kernelINS0_14default_configENS1_22reduce_config_selectorIN6thrust23THRUST_200600_302600_NS5tupleIblNS6_9null_typeES8_S8_S8_S8_S8_S8_S8_EEEEZNS1_11reduce_implILb1ES3_NS6_12zip_iteratorINS7_INS6_11hip_rocprim26transform_input_iterator_tIbPlNS6_6detail10functional5actorINSH_9compositeIJNSH_27transparent_binary_operatorINS6_8equal_toIvEEEENSI_INSH_8argumentILj0EEEEENSH_5valueIlEEEEEEEEENSD_19counting_iterator_tIlEES8_S8_S8_S8_S8_S8_S8_S8_EEEEPS9_S9_NSD_9__find_if7functorIS9_EEEE10hipError_tPvRmT1_T2_T3_mT4_P12ihipStream_tbEUlT_E1_NS1_11comp_targetILNS1_3genE5ELNS1_11target_archE942ELNS1_3gpuE9ELNS1_3repE0EEENS1_30default_config_static_selectorELNS0_4arch9wavefront6targetE1EEEvS17_.kd
    .uniform_work_group_size: 1
    .uses_dynamic_stack: false
    .vgpr_count:     0
    .vgpr_spill_count: 0
    .wavefront_size: 64
  - .args:
      - .offset:         0
        .size:           80
        .value_kind:     by_value
    .group_segment_fixed_size: 0
    .kernarg_segment_align: 8
    .kernarg_segment_size: 80
    .language:       OpenCL C
    .language_version:
      - 2
      - 0
    .max_flat_workgroup_size: 256
    .name:           _ZN7rocprim17ROCPRIM_400000_NS6detail17trampoline_kernelINS0_14default_configENS1_22reduce_config_selectorIN6thrust23THRUST_200600_302600_NS5tupleIblNS6_9null_typeES8_S8_S8_S8_S8_S8_S8_EEEEZNS1_11reduce_implILb1ES3_NS6_12zip_iteratorINS7_INS6_11hip_rocprim26transform_input_iterator_tIbPlNS6_6detail10functional5actorINSH_9compositeIJNSH_27transparent_binary_operatorINS6_8equal_toIvEEEENSI_INSH_8argumentILj0EEEEENSH_5valueIlEEEEEEEEENSD_19counting_iterator_tIlEES8_S8_S8_S8_S8_S8_S8_S8_EEEEPS9_S9_NSD_9__find_if7functorIS9_EEEE10hipError_tPvRmT1_T2_T3_mT4_P12ihipStream_tbEUlT_E1_NS1_11comp_targetILNS1_3genE4ELNS1_11target_archE910ELNS1_3gpuE8ELNS1_3repE0EEENS1_30default_config_static_selectorELNS0_4arch9wavefront6targetE1EEEvS17_
    .private_segment_fixed_size: 0
    .sgpr_count:     4
    .sgpr_spill_count: 0
    .symbol:         _ZN7rocprim17ROCPRIM_400000_NS6detail17trampoline_kernelINS0_14default_configENS1_22reduce_config_selectorIN6thrust23THRUST_200600_302600_NS5tupleIblNS6_9null_typeES8_S8_S8_S8_S8_S8_S8_EEEEZNS1_11reduce_implILb1ES3_NS6_12zip_iteratorINS7_INS6_11hip_rocprim26transform_input_iterator_tIbPlNS6_6detail10functional5actorINSH_9compositeIJNSH_27transparent_binary_operatorINS6_8equal_toIvEEEENSI_INSH_8argumentILj0EEEEENSH_5valueIlEEEEEEEEENSD_19counting_iterator_tIlEES8_S8_S8_S8_S8_S8_S8_S8_EEEEPS9_S9_NSD_9__find_if7functorIS9_EEEE10hipError_tPvRmT1_T2_T3_mT4_P12ihipStream_tbEUlT_E1_NS1_11comp_targetILNS1_3genE4ELNS1_11target_archE910ELNS1_3gpuE8ELNS1_3repE0EEENS1_30default_config_static_selectorELNS0_4arch9wavefront6targetE1EEEvS17_.kd
    .uniform_work_group_size: 1
    .uses_dynamic_stack: false
    .vgpr_count:     0
    .vgpr_spill_count: 0
    .wavefront_size: 64
  - .args:
      - .offset:         0
        .size:           80
        .value_kind:     by_value
    .group_segment_fixed_size: 0
    .kernarg_segment_align: 8
    .kernarg_segment_size: 80
    .language:       OpenCL C
    .language_version:
      - 2
      - 0
    .max_flat_workgroup_size: 128
    .name:           _ZN7rocprim17ROCPRIM_400000_NS6detail17trampoline_kernelINS0_14default_configENS1_22reduce_config_selectorIN6thrust23THRUST_200600_302600_NS5tupleIblNS6_9null_typeES8_S8_S8_S8_S8_S8_S8_EEEEZNS1_11reduce_implILb1ES3_NS6_12zip_iteratorINS7_INS6_11hip_rocprim26transform_input_iterator_tIbPlNS6_6detail10functional5actorINSH_9compositeIJNSH_27transparent_binary_operatorINS6_8equal_toIvEEEENSI_INSH_8argumentILj0EEEEENSH_5valueIlEEEEEEEEENSD_19counting_iterator_tIlEES8_S8_S8_S8_S8_S8_S8_S8_EEEEPS9_S9_NSD_9__find_if7functorIS9_EEEE10hipError_tPvRmT1_T2_T3_mT4_P12ihipStream_tbEUlT_E1_NS1_11comp_targetILNS1_3genE3ELNS1_11target_archE908ELNS1_3gpuE7ELNS1_3repE0EEENS1_30default_config_static_selectorELNS0_4arch9wavefront6targetE1EEEvS17_
    .private_segment_fixed_size: 0
    .sgpr_count:     4
    .sgpr_spill_count: 0
    .symbol:         _ZN7rocprim17ROCPRIM_400000_NS6detail17trampoline_kernelINS0_14default_configENS1_22reduce_config_selectorIN6thrust23THRUST_200600_302600_NS5tupleIblNS6_9null_typeES8_S8_S8_S8_S8_S8_S8_EEEEZNS1_11reduce_implILb1ES3_NS6_12zip_iteratorINS7_INS6_11hip_rocprim26transform_input_iterator_tIbPlNS6_6detail10functional5actorINSH_9compositeIJNSH_27transparent_binary_operatorINS6_8equal_toIvEEEENSI_INSH_8argumentILj0EEEEENSH_5valueIlEEEEEEEEENSD_19counting_iterator_tIlEES8_S8_S8_S8_S8_S8_S8_S8_EEEEPS9_S9_NSD_9__find_if7functorIS9_EEEE10hipError_tPvRmT1_T2_T3_mT4_P12ihipStream_tbEUlT_E1_NS1_11comp_targetILNS1_3genE3ELNS1_11target_archE908ELNS1_3gpuE7ELNS1_3repE0EEENS1_30default_config_static_selectorELNS0_4arch9wavefront6targetE1EEEvS17_.kd
    .uniform_work_group_size: 1
    .uses_dynamic_stack: false
    .vgpr_count:     0
    .vgpr_spill_count: 0
    .wavefront_size: 64
  - .args:
      - .offset:         0
        .size:           80
        .value_kind:     by_value
    .group_segment_fixed_size: 160
    .kernarg_segment_align: 8
    .kernarg_segment_size: 80
    .language:       OpenCL C
    .language_version:
      - 2
      - 0
    .max_flat_workgroup_size: 128
    .name:           _ZN7rocprim17ROCPRIM_400000_NS6detail17trampoline_kernelINS0_14default_configENS1_22reduce_config_selectorIN6thrust23THRUST_200600_302600_NS5tupleIblNS6_9null_typeES8_S8_S8_S8_S8_S8_S8_EEEEZNS1_11reduce_implILb1ES3_NS6_12zip_iteratorINS7_INS6_11hip_rocprim26transform_input_iterator_tIbPlNS6_6detail10functional5actorINSH_9compositeIJNSH_27transparent_binary_operatorINS6_8equal_toIvEEEENSI_INSH_8argumentILj0EEEEENSH_5valueIlEEEEEEEEENSD_19counting_iterator_tIlEES8_S8_S8_S8_S8_S8_S8_S8_EEEEPS9_S9_NSD_9__find_if7functorIS9_EEEE10hipError_tPvRmT1_T2_T3_mT4_P12ihipStream_tbEUlT_E1_NS1_11comp_targetILNS1_3genE2ELNS1_11target_archE906ELNS1_3gpuE6ELNS1_3repE0EEENS1_30default_config_static_selectorELNS0_4arch9wavefront6targetE1EEEvS17_
    .private_segment_fixed_size: 0
    .sgpr_count:     42
    .sgpr_spill_count: 0
    .symbol:         _ZN7rocprim17ROCPRIM_400000_NS6detail17trampoline_kernelINS0_14default_configENS1_22reduce_config_selectorIN6thrust23THRUST_200600_302600_NS5tupleIblNS6_9null_typeES8_S8_S8_S8_S8_S8_S8_EEEEZNS1_11reduce_implILb1ES3_NS6_12zip_iteratorINS7_INS6_11hip_rocprim26transform_input_iterator_tIbPlNS6_6detail10functional5actorINSH_9compositeIJNSH_27transparent_binary_operatorINS6_8equal_toIvEEEENSI_INSH_8argumentILj0EEEEENSH_5valueIlEEEEEEEEENSD_19counting_iterator_tIlEES8_S8_S8_S8_S8_S8_S8_S8_EEEEPS9_S9_NSD_9__find_if7functorIS9_EEEE10hipError_tPvRmT1_T2_T3_mT4_P12ihipStream_tbEUlT_E1_NS1_11comp_targetILNS1_3genE2ELNS1_11target_archE906ELNS1_3gpuE6ELNS1_3repE0EEENS1_30default_config_static_selectorELNS0_4arch9wavefront6targetE1EEEvS17_.kd
    .uniform_work_group_size: 1
    .uses_dynamic_stack: false
    .vgpr_count:     28
    .vgpr_spill_count: 0
    .wavefront_size: 64
  - .args:
      - .offset:         0
        .size:           80
        .value_kind:     by_value
    .group_segment_fixed_size: 0
    .kernarg_segment_align: 8
    .kernarg_segment_size: 80
    .language:       OpenCL C
    .language_version:
      - 2
      - 0
    .max_flat_workgroup_size: 256
    .name:           _ZN7rocprim17ROCPRIM_400000_NS6detail17trampoline_kernelINS0_14default_configENS1_22reduce_config_selectorIN6thrust23THRUST_200600_302600_NS5tupleIblNS6_9null_typeES8_S8_S8_S8_S8_S8_S8_EEEEZNS1_11reduce_implILb1ES3_NS6_12zip_iteratorINS7_INS6_11hip_rocprim26transform_input_iterator_tIbPlNS6_6detail10functional5actorINSH_9compositeIJNSH_27transparent_binary_operatorINS6_8equal_toIvEEEENSI_INSH_8argumentILj0EEEEENSH_5valueIlEEEEEEEEENSD_19counting_iterator_tIlEES8_S8_S8_S8_S8_S8_S8_S8_EEEEPS9_S9_NSD_9__find_if7functorIS9_EEEE10hipError_tPvRmT1_T2_T3_mT4_P12ihipStream_tbEUlT_E1_NS1_11comp_targetILNS1_3genE10ELNS1_11target_archE1201ELNS1_3gpuE5ELNS1_3repE0EEENS1_30default_config_static_selectorELNS0_4arch9wavefront6targetE1EEEvS17_
    .private_segment_fixed_size: 0
    .sgpr_count:     4
    .sgpr_spill_count: 0
    .symbol:         _ZN7rocprim17ROCPRIM_400000_NS6detail17trampoline_kernelINS0_14default_configENS1_22reduce_config_selectorIN6thrust23THRUST_200600_302600_NS5tupleIblNS6_9null_typeES8_S8_S8_S8_S8_S8_S8_EEEEZNS1_11reduce_implILb1ES3_NS6_12zip_iteratorINS7_INS6_11hip_rocprim26transform_input_iterator_tIbPlNS6_6detail10functional5actorINSH_9compositeIJNSH_27transparent_binary_operatorINS6_8equal_toIvEEEENSI_INSH_8argumentILj0EEEEENSH_5valueIlEEEEEEEEENSD_19counting_iterator_tIlEES8_S8_S8_S8_S8_S8_S8_S8_EEEEPS9_S9_NSD_9__find_if7functorIS9_EEEE10hipError_tPvRmT1_T2_T3_mT4_P12ihipStream_tbEUlT_E1_NS1_11comp_targetILNS1_3genE10ELNS1_11target_archE1201ELNS1_3gpuE5ELNS1_3repE0EEENS1_30default_config_static_selectorELNS0_4arch9wavefront6targetE1EEEvS17_.kd
    .uniform_work_group_size: 1
    .uses_dynamic_stack: false
    .vgpr_count:     0
    .vgpr_spill_count: 0
    .wavefront_size: 64
  - .args:
      - .offset:         0
        .size:           80
        .value_kind:     by_value
    .group_segment_fixed_size: 0
    .kernarg_segment_align: 8
    .kernarg_segment_size: 80
    .language:       OpenCL C
    .language_version:
      - 2
      - 0
    .max_flat_workgroup_size: 256
    .name:           _ZN7rocprim17ROCPRIM_400000_NS6detail17trampoline_kernelINS0_14default_configENS1_22reduce_config_selectorIN6thrust23THRUST_200600_302600_NS5tupleIblNS6_9null_typeES8_S8_S8_S8_S8_S8_S8_EEEEZNS1_11reduce_implILb1ES3_NS6_12zip_iteratorINS7_INS6_11hip_rocprim26transform_input_iterator_tIbPlNS6_6detail10functional5actorINSH_9compositeIJNSH_27transparent_binary_operatorINS6_8equal_toIvEEEENSI_INSH_8argumentILj0EEEEENSH_5valueIlEEEEEEEEENSD_19counting_iterator_tIlEES8_S8_S8_S8_S8_S8_S8_S8_EEEEPS9_S9_NSD_9__find_if7functorIS9_EEEE10hipError_tPvRmT1_T2_T3_mT4_P12ihipStream_tbEUlT_E1_NS1_11comp_targetILNS1_3genE10ELNS1_11target_archE1200ELNS1_3gpuE4ELNS1_3repE0EEENS1_30default_config_static_selectorELNS0_4arch9wavefront6targetE1EEEvS17_
    .private_segment_fixed_size: 0
    .sgpr_count:     4
    .sgpr_spill_count: 0
    .symbol:         _ZN7rocprim17ROCPRIM_400000_NS6detail17trampoline_kernelINS0_14default_configENS1_22reduce_config_selectorIN6thrust23THRUST_200600_302600_NS5tupleIblNS6_9null_typeES8_S8_S8_S8_S8_S8_S8_EEEEZNS1_11reduce_implILb1ES3_NS6_12zip_iteratorINS7_INS6_11hip_rocprim26transform_input_iterator_tIbPlNS6_6detail10functional5actorINSH_9compositeIJNSH_27transparent_binary_operatorINS6_8equal_toIvEEEENSI_INSH_8argumentILj0EEEEENSH_5valueIlEEEEEEEEENSD_19counting_iterator_tIlEES8_S8_S8_S8_S8_S8_S8_S8_EEEEPS9_S9_NSD_9__find_if7functorIS9_EEEE10hipError_tPvRmT1_T2_T3_mT4_P12ihipStream_tbEUlT_E1_NS1_11comp_targetILNS1_3genE10ELNS1_11target_archE1200ELNS1_3gpuE4ELNS1_3repE0EEENS1_30default_config_static_selectorELNS0_4arch9wavefront6targetE1EEEvS17_.kd
    .uniform_work_group_size: 1
    .uses_dynamic_stack: false
    .vgpr_count:     0
    .vgpr_spill_count: 0
    .wavefront_size: 64
  - .args:
      - .offset:         0
        .size:           80
        .value_kind:     by_value
    .group_segment_fixed_size: 0
    .kernarg_segment_align: 8
    .kernarg_segment_size: 80
    .language:       OpenCL C
    .language_version:
      - 2
      - 0
    .max_flat_workgroup_size: 256
    .name:           _ZN7rocprim17ROCPRIM_400000_NS6detail17trampoline_kernelINS0_14default_configENS1_22reduce_config_selectorIN6thrust23THRUST_200600_302600_NS5tupleIblNS6_9null_typeES8_S8_S8_S8_S8_S8_S8_EEEEZNS1_11reduce_implILb1ES3_NS6_12zip_iteratorINS7_INS6_11hip_rocprim26transform_input_iterator_tIbPlNS6_6detail10functional5actorINSH_9compositeIJNSH_27transparent_binary_operatorINS6_8equal_toIvEEEENSI_INSH_8argumentILj0EEEEENSH_5valueIlEEEEEEEEENSD_19counting_iterator_tIlEES8_S8_S8_S8_S8_S8_S8_S8_EEEEPS9_S9_NSD_9__find_if7functorIS9_EEEE10hipError_tPvRmT1_T2_T3_mT4_P12ihipStream_tbEUlT_E1_NS1_11comp_targetILNS1_3genE9ELNS1_11target_archE1100ELNS1_3gpuE3ELNS1_3repE0EEENS1_30default_config_static_selectorELNS0_4arch9wavefront6targetE1EEEvS17_
    .private_segment_fixed_size: 0
    .sgpr_count:     4
    .sgpr_spill_count: 0
    .symbol:         _ZN7rocprim17ROCPRIM_400000_NS6detail17trampoline_kernelINS0_14default_configENS1_22reduce_config_selectorIN6thrust23THRUST_200600_302600_NS5tupleIblNS6_9null_typeES8_S8_S8_S8_S8_S8_S8_EEEEZNS1_11reduce_implILb1ES3_NS6_12zip_iteratorINS7_INS6_11hip_rocprim26transform_input_iterator_tIbPlNS6_6detail10functional5actorINSH_9compositeIJNSH_27transparent_binary_operatorINS6_8equal_toIvEEEENSI_INSH_8argumentILj0EEEEENSH_5valueIlEEEEEEEEENSD_19counting_iterator_tIlEES8_S8_S8_S8_S8_S8_S8_S8_EEEEPS9_S9_NSD_9__find_if7functorIS9_EEEE10hipError_tPvRmT1_T2_T3_mT4_P12ihipStream_tbEUlT_E1_NS1_11comp_targetILNS1_3genE9ELNS1_11target_archE1100ELNS1_3gpuE3ELNS1_3repE0EEENS1_30default_config_static_selectorELNS0_4arch9wavefront6targetE1EEEvS17_.kd
    .uniform_work_group_size: 1
    .uses_dynamic_stack: false
    .vgpr_count:     0
    .vgpr_spill_count: 0
    .wavefront_size: 64
  - .args:
      - .offset:         0
        .size:           80
        .value_kind:     by_value
    .group_segment_fixed_size: 0
    .kernarg_segment_align: 8
    .kernarg_segment_size: 80
    .language:       OpenCL C
    .language_version:
      - 2
      - 0
    .max_flat_workgroup_size: 256
    .name:           _ZN7rocprim17ROCPRIM_400000_NS6detail17trampoline_kernelINS0_14default_configENS1_22reduce_config_selectorIN6thrust23THRUST_200600_302600_NS5tupleIblNS6_9null_typeES8_S8_S8_S8_S8_S8_S8_EEEEZNS1_11reduce_implILb1ES3_NS6_12zip_iteratorINS7_INS6_11hip_rocprim26transform_input_iterator_tIbPlNS6_6detail10functional5actorINSH_9compositeIJNSH_27transparent_binary_operatorINS6_8equal_toIvEEEENSI_INSH_8argumentILj0EEEEENSH_5valueIlEEEEEEEEENSD_19counting_iterator_tIlEES8_S8_S8_S8_S8_S8_S8_S8_EEEEPS9_S9_NSD_9__find_if7functorIS9_EEEE10hipError_tPvRmT1_T2_T3_mT4_P12ihipStream_tbEUlT_E1_NS1_11comp_targetILNS1_3genE8ELNS1_11target_archE1030ELNS1_3gpuE2ELNS1_3repE0EEENS1_30default_config_static_selectorELNS0_4arch9wavefront6targetE1EEEvS17_
    .private_segment_fixed_size: 0
    .sgpr_count:     4
    .sgpr_spill_count: 0
    .symbol:         _ZN7rocprim17ROCPRIM_400000_NS6detail17trampoline_kernelINS0_14default_configENS1_22reduce_config_selectorIN6thrust23THRUST_200600_302600_NS5tupleIblNS6_9null_typeES8_S8_S8_S8_S8_S8_S8_EEEEZNS1_11reduce_implILb1ES3_NS6_12zip_iteratorINS7_INS6_11hip_rocprim26transform_input_iterator_tIbPlNS6_6detail10functional5actorINSH_9compositeIJNSH_27transparent_binary_operatorINS6_8equal_toIvEEEENSI_INSH_8argumentILj0EEEEENSH_5valueIlEEEEEEEEENSD_19counting_iterator_tIlEES8_S8_S8_S8_S8_S8_S8_S8_EEEEPS9_S9_NSD_9__find_if7functorIS9_EEEE10hipError_tPvRmT1_T2_T3_mT4_P12ihipStream_tbEUlT_E1_NS1_11comp_targetILNS1_3genE8ELNS1_11target_archE1030ELNS1_3gpuE2ELNS1_3repE0EEENS1_30default_config_static_selectorELNS0_4arch9wavefront6targetE1EEEvS17_.kd
    .uniform_work_group_size: 1
    .uses_dynamic_stack: false
    .vgpr_count:     0
    .vgpr_spill_count: 0
    .wavefront_size: 64
  - .args:
      - .offset:         0
        .size:           48
        .value_kind:     by_value
    .group_segment_fixed_size: 0
    .kernarg_segment_align: 8
    .kernarg_segment_size: 48
    .language:       OpenCL C
    .language_version:
      - 2
      - 0
    .max_flat_workgroup_size: 256
    .name:           _ZN7rocprim17ROCPRIM_400000_NS6detail17trampoline_kernelINS0_13kernel_configILj256ELj4ELj4294967295EEENS1_37radix_sort_block_sort_config_selectorIslEEZNS1_21radix_sort_block_sortIS4_Lb0EPsS8_N6thrust23THRUST_200600_302600_NS10device_ptrIlEESC_NS0_19identity_decomposerEEE10hipError_tT1_T2_T3_T4_jRjT5_jjP12ihipStream_tbEUlT_E_NS1_11comp_targetILNS1_3genE0ELNS1_11target_archE4294967295ELNS1_3gpuE0ELNS1_3repE0EEENS1_44radix_sort_block_sort_config_static_selectorELNS0_4arch9wavefront6targetE1EEEvSF_
    .private_segment_fixed_size: 0
    .sgpr_count:     4
    .sgpr_spill_count: 0
    .symbol:         _ZN7rocprim17ROCPRIM_400000_NS6detail17trampoline_kernelINS0_13kernel_configILj256ELj4ELj4294967295EEENS1_37radix_sort_block_sort_config_selectorIslEEZNS1_21radix_sort_block_sortIS4_Lb0EPsS8_N6thrust23THRUST_200600_302600_NS10device_ptrIlEESC_NS0_19identity_decomposerEEE10hipError_tT1_T2_T3_T4_jRjT5_jjP12ihipStream_tbEUlT_E_NS1_11comp_targetILNS1_3genE0ELNS1_11target_archE4294967295ELNS1_3gpuE0ELNS1_3repE0EEENS1_44radix_sort_block_sort_config_static_selectorELNS0_4arch9wavefront6targetE1EEEvSF_.kd
    .uniform_work_group_size: 1
    .uses_dynamic_stack: false
    .vgpr_count:     0
    .vgpr_spill_count: 0
    .wavefront_size: 64
  - .args:
      - .offset:         0
        .size:           48
        .value_kind:     by_value
    .group_segment_fixed_size: 0
    .kernarg_segment_align: 8
    .kernarg_segment_size: 48
    .language:       OpenCL C
    .language_version:
      - 2
      - 0
    .max_flat_workgroup_size: 256
    .name:           _ZN7rocprim17ROCPRIM_400000_NS6detail17trampoline_kernelINS0_13kernel_configILj256ELj4ELj4294967295EEENS1_37radix_sort_block_sort_config_selectorIslEEZNS1_21radix_sort_block_sortIS4_Lb0EPsS8_N6thrust23THRUST_200600_302600_NS10device_ptrIlEESC_NS0_19identity_decomposerEEE10hipError_tT1_T2_T3_T4_jRjT5_jjP12ihipStream_tbEUlT_E_NS1_11comp_targetILNS1_3genE5ELNS1_11target_archE942ELNS1_3gpuE9ELNS1_3repE0EEENS1_44radix_sort_block_sort_config_static_selectorELNS0_4arch9wavefront6targetE1EEEvSF_
    .private_segment_fixed_size: 0
    .sgpr_count:     4
    .sgpr_spill_count: 0
    .symbol:         _ZN7rocprim17ROCPRIM_400000_NS6detail17trampoline_kernelINS0_13kernel_configILj256ELj4ELj4294967295EEENS1_37radix_sort_block_sort_config_selectorIslEEZNS1_21radix_sort_block_sortIS4_Lb0EPsS8_N6thrust23THRUST_200600_302600_NS10device_ptrIlEESC_NS0_19identity_decomposerEEE10hipError_tT1_T2_T3_T4_jRjT5_jjP12ihipStream_tbEUlT_E_NS1_11comp_targetILNS1_3genE5ELNS1_11target_archE942ELNS1_3gpuE9ELNS1_3repE0EEENS1_44radix_sort_block_sort_config_static_selectorELNS0_4arch9wavefront6targetE1EEEvSF_.kd
    .uniform_work_group_size: 1
    .uses_dynamic_stack: false
    .vgpr_count:     0
    .vgpr_spill_count: 0
    .wavefront_size: 64
  - .args:
      - .offset:         0
        .size:           48
        .value_kind:     by_value
    .group_segment_fixed_size: 0
    .kernarg_segment_align: 8
    .kernarg_segment_size: 48
    .language:       OpenCL C
    .language_version:
      - 2
      - 0
    .max_flat_workgroup_size: 256
    .name:           _ZN7rocprim17ROCPRIM_400000_NS6detail17trampoline_kernelINS0_13kernel_configILj256ELj4ELj4294967295EEENS1_37radix_sort_block_sort_config_selectorIslEEZNS1_21radix_sort_block_sortIS4_Lb0EPsS8_N6thrust23THRUST_200600_302600_NS10device_ptrIlEESC_NS0_19identity_decomposerEEE10hipError_tT1_T2_T3_T4_jRjT5_jjP12ihipStream_tbEUlT_E_NS1_11comp_targetILNS1_3genE4ELNS1_11target_archE910ELNS1_3gpuE8ELNS1_3repE0EEENS1_44radix_sort_block_sort_config_static_selectorELNS0_4arch9wavefront6targetE1EEEvSF_
    .private_segment_fixed_size: 0
    .sgpr_count:     4
    .sgpr_spill_count: 0
    .symbol:         _ZN7rocprim17ROCPRIM_400000_NS6detail17trampoline_kernelINS0_13kernel_configILj256ELj4ELj4294967295EEENS1_37radix_sort_block_sort_config_selectorIslEEZNS1_21radix_sort_block_sortIS4_Lb0EPsS8_N6thrust23THRUST_200600_302600_NS10device_ptrIlEESC_NS0_19identity_decomposerEEE10hipError_tT1_T2_T3_T4_jRjT5_jjP12ihipStream_tbEUlT_E_NS1_11comp_targetILNS1_3genE4ELNS1_11target_archE910ELNS1_3gpuE8ELNS1_3repE0EEENS1_44radix_sort_block_sort_config_static_selectorELNS0_4arch9wavefront6targetE1EEEvSF_.kd
    .uniform_work_group_size: 1
    .uses_dynamic_stack: false
    .vgpr_count:     0
    .vgpr_spill_count: 0
    .wavefront_size: 64
  - .args:
      - .offset:         0
        .size:           48
        .value_kind:     by_value
    .group_segment_fixed_size: 0
    .kernarg_segment_align: 8
    .kernarg_segment_size: 48
    .language:       OpenCL C
    .language_version:
      - 2
      - 0
    .max_flat_workgroup_size: 256
    .name:           _ZN7rocprim17ROCPRIM_400000_NS6detail17trampoline_kernelINS0_13kernel_configILj256ELj4ELj4294967295EEENS1_37radix_sort_block_sort_config_selectorIslEEZNS1_21radix_sort_block_sortIS4_Lb0EPsS8_N6thrust23THRUST_200600_302600_NS10device_ptrIlEESC_NS0_19identity_decomposerEEE10hipError_tT1_T2_T3_T4_jRjT5_jjP12ihipStream_tbEUlT_E_NS1_11comp_targetILNS1_3genE3ELNS1_11target_archE908ELNS1_3gpuE7ELNS1_3repE0EEENS1_44radix_sort_block_sort_config_static_selectorELNS0_4arch9wavefront6targetE1EEEvSF_
    .private_segment_fixed_size: 0
    .sgpr_count:     4
    .sgpr_spill_count: 0
    .symbol:         _ZN7rocprim17ROCPRIM_400000_NS6detail17trampoline_kernelINS0_13kernel_configILj256ELj4ELj4294967295EEENS1_37radix_sort_block_sort_config_selectorIslEEZNS1_21radix_sort_block_sortIS4_Lb0EPsS8_N6thrust23THRUST_200600_302600_NS10device_ptrIlEESC_NS0_19identity_decomposerEEE10hipError_tT1_T2_T3_T4_jRjT5_jjP12ihipStream_tbEUlT_E_NS1_11comp_targetILNS1_3genE3ELNS1_11target_archE908ELNS1_3gpuE7ELNS1_3repE0EEENS1_44radix_sort_block_sort_config_static_selectorELNS0_4arch9wavefront6targetE1EEEvSF_.kd
    .uniform_work_group_size: 1
    .uses_dynamic_stack: false
    .vgpr_count:     0
    .vgpr_spill_count: 0
    .wavefront_size: 64
  - .args:
      - .offset:         0
        .size:           48
        .value_kind:     by_value
      - .offset:         48
        .size:           4
        .value_kind:     hidden_block_count_x
      - .offset:         52
        .size:           4
        .value_kind:     hidden_block_count_y
      - .offset:         56
        .size:           4
        .value_kind:     hidden_block_count_z
      - .offset:         60
        .size:           2
        .value_kind:     hidden_group_size_x
      - .offset:         62
        .size:           2
        .value_kind:     hidden_group_size_y
      - .offset:         64
        .size:           2
        .value_kind:     hidden_group_size_z
      - .offset:         66
        .size:           2
        .value_kind:     hidden_remainder_x
      - .offset:         68
        .size:           2
        .value_kind:     hidden_remainder_y
      - .offset:         70
        .size:           2
        .value_kind:     hidden_remainder_z
      - .offset:         88
        .size:           8
        .value_kind:     hidden_global_offset_x
      - .offset:         96
        .size:           8
        .value_kind:     hidden_global_offset_y
      - .offset:         104
        .size:           8
        .value_kind:     hidden_global_offset_z
      - .offset:         112
        .size:           2
        .value_kind:     hidden_grid_dims
    .group_segment_fixed_size: 8192
    .kernarg_segment_align: 8
    .kernarg_segment_size: 304
    .language:       OpenCL C
    .language_version:
      - 2
      - 0
    .max_flat_workgroup_size: 256
    .name:           _ZN7rocprim17ROCPRIM_400000_NS6detail17trampoline_kernelINS0_13kernel_configILj256ELj4ELj4294967295EEENS1_37radix_sort_block_sort_config_selectorIslEEZNS1_21radix_sort_block_sortIS4_Lb0EPsS8_N6thrust23THRUST_200600_302600_NS10device_ptrIlEESC_NS0_19identity_decomposerEEE10hipError_tT1_T2_T3_T4_jRjT5_jjP12ihipStream_tbEUlT_E_NS1_11comp_targetILNS1_3genE2ELNS1_11target_archE906ELNS1_3gpuE6ELNS1_3repE0EEENS1_44radix_sort_block_sort_config_static_selectorELNS0_4arch9wavefront6targetE1EEEvSF_
    .private_segment_fixed_size: 0
    .sgpr_count:     52
    .sgpr_spill_count: 0
    .symbol:         _ZN7rocprim17ROCPRIM_400000_NS6detail17trampoline_kernelINS0_13kernel_configILj256ELj4ELj4294967295EEENS1_37radix_sort_block_sort_config_selectorIslEEZNS1_21radix_sort_block_sortIS4_Lb0EPsS8_N6thrust23THRUST_200600_302600_NS10device_ptrIlEESC_NS0_19identity_decomposerEEE10hipError_tT1_T2_T3_T4_jRjT5_jjP12ihipStream_tbEUlT_E_NS1_11comp_targetILNS1_3genE2ELNS1_11target_archE906ELNS1_3gpuE6ELNS1_3repE0EEENS1_44radix_sort_block_sort_config_static_selectorELNS0_4arch9wavefront6targetE1EEEvSF_.kd
    .uniform_work_group_size: 1
    .uses_dynamic_stack: false
    .vgpr_count:     46
    .vgpr_spill_count: 0
    .wavefront_size: 64
  - .args:
      - .offset:         0
        .size:           48
        .value_kind:     by_value
    .group_segment_fixed_size: 0
    .kernarg_segment_align: 8
    .kernarg_segment_size: 48
    .language:       OpenCL C
    .language_version:
      - 2
      - 0
    .max_flat_workgroup_size: 256
    .name:           _ZN7rocprim17ROCPRIM_400000_NS6detail17trampoline_kernelINS0_13kernel_configILj256ELj4ELj4294967295EEENS1_37radix_sort_block_sort_config_selectorIslEEZNS1_21radix_sort_block_sortIS4_Lb0EPsS8_N6thrust23THRUST_200600_302600_NS10device_ptrIlEESC_NS0_19identity_decomposerEEE10hipError_tT1_T2_T3_T4_jRjT5_jjP12ihipStream_tbEUlT_E_NS1_11comp_targetILNS1_3genE10ELNS1_11target_archE1201ELNS1_3gpuE5ELNS1_3repE0EEENS1_44radix_sort_block_sort_config_static_selectorELNS0_4arch9wavefront6targetE1EEEvSF_
    .private_segment_fixed_size: 0
    .sgpr_count:     4
    .sgpr_spill_count: 0
    .symbol:         _ZN7rocprim17ROCPRIM_400000_NS6detail17trampoline_kernelINS0_13kernel_configILj256ELj4ELj4294967295EEENS1_37radix_sort_block_sort_config_selectorIslEEZNS1_21radix_sort_block_sortIS4_Lb0EPsS8_N6thrust23THRUST_200600_302600_NS10device_ptrIlEESC_NS0_19identity_decomposerEEE10hipError_tT1_T2_T3_T4_jRjT5_jjP12ihipStream_tbEUlT_E_NS1_11comp_targetILNS1_3genE10ELNS1_11target_archE1201ELNS1_3gpuE5ELNS1_3repE0EEENS1_44radix_sort_block_sort_config_static_selectorELNS0_4arch9wavefront6targetE1EEEvSF_.kd
    .uniform_work_group_size: 1
    .uses_dynamic_stack: false
    .vgpr_count:     0
    .vgpr_spill_count: 0
    .wavefront_size: 64
  - .args:
      - .offset:         0
        .size:           48
        .value_kind:     by_value
    .group_segment_fixed_size: 0
    .kernarg_segment_align: 8
    .kernarg_segment_size: 48
    .language:       OpenCL C
    .language_version:
      - 2
      - 0
    .max_flat_workgroup_size: 256
    .name:           _ZN7rocprim17ROCPRIM_400000_NS6detail17trampoline_kernelINS0_13kernel_configILj256ELj4ELj4294967295EEENS1_37radix_sort_block_sort_config_selectorIslEEZNS1_21radix_sort_block_sortIS4_Lb0EPsS8_N6thrust23THRUST_200600_302600_NS10device_ptrIlEESC_NS0_19identity_decomposerEEE10hipError_tT1_T2_T3_T4_jRjT5_jjP12ihipStream_tbEUlT_E_NS1_11comp_targetILNS1_3genE10ELNS1_11target_archE1200ELNS1_3gpuE4ELNS1_3repE0EEENS1_44radix_sort_block_sort_config_static_selectorELNS0_4arch9wavefront6targetE1EEEvSF_
    .private_segment_fixed_size: 0
    .sgpr_count:     4
    .sgpr_spill_count: 0
    .symbol:         _ZN7rocprim17ROCPRIM_400000_NS6detail17trampoline_kernelINS0_13kernel_configILj256ELj4ELj4294967295EEENS1_37radix_sort_block_sort_config_selectorIslEEZNS1_21radix_sort_block_sortIS4_Lb0EPsS8_N6thrust23THRUST_200600_302600_NS10device_ptrIlEESC_NS0_19identity_decomposerEEE10hipError_tT1_T2_T3_T4_jRjT5_jjP12ihipStream_tbEUlT_E_NS1_11comp_targetILNS1_3genE10ELNS1_11target_archE1200ELNS1_3gpuE4ELNS1_3repE0EEENS1_44radix_sort_block_sort_config_static_selectorELNS0_4arch9wavefront6targetE1EEEvSF_.kd
    .uniform_work_group_size: 1
    .uses_dynamic_stack: false
    .vgpr_count:     0
    .vgpr_spill_count: 0
    .wavefront_size: 64
  - .args:
      - .offset:         0
        .size:           48
        .value_kind:     by_value
    .group_segment_fixed_size: 0
    .kernarg_segment_align: 8
    .kernarg_segment_size: 48
    .language:       OpenCL C
    .language_version:
      - 2
      - 0
    .max_flat_workgroup_size: 256
    .name:           _ZN7rocprim17ROCPRIM_400000_NS6detail17trampoline_kernelINS0_13kernel_configILj256ELj4ELj4294967295EEENS1_37radix_sort_block_sort_config_selectorIslEEZNS1_21radix_sort_block_sortIS4_Lb0EPsS8_N6thrust23THRUST_200600_302600_NS10device_ptrIlEESC_NS0_19identity_decomposerEEE10hipError_tT1_T2_T3_T4_jRjT5_jjP12ihipStream_tbEUlT_E_NS1_11comp_targetILNS1_3genE9ELNS1_11target_archE1100ELNS1_3gpuE3ELNS1_3repE0EEENS1_44radix_sort_block_sort_config_static_selectorELNS0_4arch9wavefront6targetE1EEEvSF_
    .private_segment_fixed_size: 0
    .sgpr_count:     4
    .sgpr_spill_count: 0
    .symbol:         _ZN7rocprim17ROCPRIM_400000_NS6detail17trampoline_kernelINS0_13kernel_configILj256ELj4ELj4294967295EEENS1_37radix_sort_block_sort_config_selectorIslEEZNS1_21radix_sort_block_sortIS4_Lb0EPsS8_N6thrust23THRUST_200600_302600_NS10device_ptrIlEESC_NS0_19identity_decomposerEEE10hipError_tT1_T2_T3_T4_jRjT5_jjP12ihipStream_tbEUlT_E_NS1_11comp_targetILNS1_3genE9ELNS1_11target_archE1100ELNS1_3gpuE3ELNS1_3repE0EEENS1_44radix_sort_block_sort_config_static_selectorELNS0_4arch9wavefront6targetE1EEEvSF_.kd
    .uniform_work_group_size: 1
    .uses_dynamic_stack: false
    .vgpr_count:     0
    .vgpr_spill_count: 0
    .wavefront_size: 64
  - .args:
      - .offset:         0
        .size:           48
        .value_kind:     by_value
    .group_segment_fixed_size: 0
    .kernarg_segment_align: 8
    .kernarg_segment_size: 48
    .language:       OpenCL C
    .language_version:
      - 2
      - 0
    .max_flat_workgroup_size: 256
    .name:           _ZN7rocprim17ROCPRIM_400000_NS6detail17trampoline_kernelINS0_13kernel_configILj256ELj4ELj4294967295EEENS1_37radix_sort_block_sort_config_selectorIslEEZNS1_21radix_sort_block_sortIS4_Lb0EPsS8_N6thrust23THRUST_200600_302600_NS10device_ptrIlEESC_NS0_19identity_decomposerEEE10hipError_tT1_T2_T3_T4_jRjT5_jjP12ihipStream_tbEUlT_E_NS1_11comp_targetILNS1_3genE8ELNS1_11target_archE1030ELNS1_3gpuE2ELNS1_3repE0EEENS1_44radix_sort_block_sort_config_static_selectorELNS0_4arch9wavefront6targetE1EEEvSF_
    .private_segment_fixed_size: 0
    .sgpr_count:     4
    .sgpr_spill_count: 0
    .symbol:         _ZN7rocprim17ROCPRIM_400000_NS6detail17trampoline_kernelINS0_13kernel_configILj256ELj4ELj4294967295EEENS1_37radix_sort_block_sort_config_selectorIslEEZNS1_21radix_sort_block_sortIS4_Lb0EPsS8_N6thrust23THRUST_200600_302600_NS10device_ptrIlEESC_NS0_19identity_decomposerEEE10hipError_tT1_T2_T3_T4_jRjT5_jjP12ihipStream_tbEUlT_E_NS1_11comp_targetILNS1_3genE8ELNS1_11target_archE1030ELNS1_3gpuE2ELNS1_3repE0EEENS1_44radix_sort_block_sort_config_static_selectorELNS0_4arch9wavefront6targetE1EEEvSF_.kd
    .uniform_work_group_size: 1
    .uses_dynamic_stack: false
    .vgpr_count:     0
    .vgpr_spill_count: 0
    .wavefront_size: 64
  - .args:           []
    .group_segment_fixed_size: 0
    .kernarg_segment_align: 4
    .kernarg_segment_size: 0
    .language:       OpenCL C
    .language_version:
      - 2
      - 0
    .max_flat_workgroup_size: 1024
    .name:           _ZN7rocprim17ROCPRIM_400000_NS6detail44device_merge_sort_compile_time_verifier_archINS1_11comp_targetILNS1_3genE0ELNS1_11target_archE4294967295ELNS1_3gpuE0ELNS1_3repE0EEES8_NS1_28merge_sort_block_sort_configILj256ELj4ELNS0_20block_sort_algorithmE0EEENS0_14default_configENS1_37merge_sort_block_sort_config_selectorIslEENS1_38merge_sort_block_merge_config_selectorIslEEEEvv
    .private_segment_fixed_size: 0
    .sgpr_count:     4
    .sgpr_spill_count: 0
    .symbol:         _ZN7rocprim17ROCPRIM_400000_NS6detail44device_merge_sort_compile_time_verifier_archINS1_11comp_targetILNS1_3genE0ELNS1_11target_archE4294967295ELNS1_3gpuE0ELNS1_3repE0EEES8_NS1_28merge_sort_block_sort_configILj256ELj4ELNS0_20block_sort_algorithmE0EEENS0_14default_configENS1_37merge_sort_block_sort_config_selectorIslEENS1_38merge_sort_block_merge_config_selectorIslEEEEvv.kd
    .uniform_work_group_size: 1
    .uses_dynamic_stack: false
    .vgpr_count:     0
    .vgpr_spill_count: 0
    .wavefront_size: 64
  - .args:           []
    .group_segment_fixed_size: 0
    .kernarg_segment_align: 4
    .kernarg_segment_size: 0
    .language:       OpenCL C
    .language_version:
      - 2
      - 0
    .max_flat_workgroup_size: 1024
    .name:           _ZN7rocprim17ROCPRIM_400000_NS6detail44device_merge_sort_compile_time_verifier_archINS1_11comp_targetILNS1_3genE5ELNS1_11target_archE942ELNS1_3gpuE9ELNS1_3repE0EEES8_NS1_28merge_sort_block_sort_configILj256ELj4ELNS0_20block_sort_algorithmE0EEENS0_14default_configENS1_37merge_sort_block_sort_config_selectorIslEENS1_38merge_sort_block_merge_config_selectorIslEEEEvv
    .private_segment_fixed_size: 0
    .sgpr_count:     4
    .sgpr_spill_count: 0
    .symbol:         _ZN7rocprim17ROCPRIM_400000_NS6detail44device_merge_sort_compile_time_verifier_archINS1_11comp_targetILNS1_3genE5ELNS1_11target_archE942ELNS1_3gpuE9ELNS1_3repE0EEES8_NS1_28merge_sort_block_sort_configILj256ELj4ELNS0_20block_sort_algorithmE0EEENS0_14default_configENS1_37merge_sort_block_sort_config_selectorIslEENS1_38merge_sort_block_merge_config_selectorIslEEEEvv.kd
    .uniform_work_group_size: 1
    .uses_dynamic_stack: false
    .vgpr_count:     0
    .vgpr_spill_count: 0
    .wavefront_size: 64
  - .args:           []
    .group_segment_fixed_size: 0
    .kernarg_segment_align: 4
    .kernarg_segment_size: 0
    .language:       OpenCL C
    .language_version:
      - 2
      - 0
    .max_flat_workgroup_size: 1024
    .name:           _ZN7rocprim17ROCPRIM_400000_NS6detail44device_merge_sort_compile_time_verifier_archINS1_11comp_targetILNS1_3genE4ELNS1_11target_archE910ELNS1_3gpuE8ELNS1_3repE0EEES8_NS1_28merge_sort_block_sort_configILj256ELj4ELNS0_20block_sort_algorithmE0EEENS0_14default_configENS1_37merge_sort_block_sort_config_selectorIslEENS1_38merge_sort_block_merge_config_selectorIslEEEEvv
    .private_segment_fixed_size: 0
    .sgpr_count:     4
    .sgpr_spill_count: 0
    .symbol:         _ZN7rocprim17ROCPRIM_400000_NS6detail44device_merge_sort_compile_time_verifier_archINS1_11comp_targetILNS1_3genE4ELNS1_11target_archE910ELNS1_3gpuE8ELNS1_3repE0EEES8_NS1_28merge_sort_block_sort_configILj256ELj4ELNS0_20block_sort_algorithmE0EEENS0_14default_configENS1_37merge_sort_block_sort_config_selectorIslEENS1_38merge_sort_block_merge_config_selectorIslEEEEvv.kd
    .uniform_work_group_size: 1
    .uses_dynamic_stack: false
    .vgpr_count:     0
    .vgpr_spill_count: 0
    .wavefront_size: 64
  - .args:           []
    .group_segment_fixed_size: 0
    .kernarg_segment_align: 4
    .kernarg_segment_size: 0
    .language:       OpenCL C
    .language_version:
      - 2
      - 0
    .max_flat_workgroup_size: 1024
    .name:           _ZN7rocprim17ROCPRIM_400000_NS6detail44device_merge_sort_compile_time_verifier_archINS1_11comp_targetILNS1_3genE3ELNS1_11target_archE908ELNS1_3gpuE7ELNS1_3repE0EEES8_NS1_28merge_sort_block_sort_configILj256ELj4ELNS0_20block_sort_algorithmE0EEENS0_14default_configENS1_37merge_sort_block_sort_config_selectorIslEENS1_38merge_sort_block_merge_config_selectorIslEEEEvv
    .private_segment_fixed_size: 0
    .sgpr_count:     4
    .sgpr_spill_count: 0
    .symbol:         _ZN7rocprim17ROCPRIM_400000_NS6detail44device_merge_sort_compile_time_verifier_archINS1_11comp_targetILNS1_3genE3ELNS1_11target_archE908ELNS1_3gpuE7ELNS1_3repE0EEES8_NS1_28merge_sort_block_sort_configILj256ELj4ELNS0_20block_sort_algorithmE0EEENS0_14default_configENS1_37merge_sort_block_sort_config_selectorIslEENS1_38merge_sort_block_merge_config_selectorIslEEEEvv.kd
    .uniform_work_group_size: 1
    .uses_dynamic_stack: false
    .vgpr_count:     0
    .vgpr_spill_count: 0
    .wavefront_size: 64
  - .args:           []
    .group_segment_fixed_size: 0
    .kernarg_segment_align: 4
    .kernarg_segment_size: 0
    .language:       OpenCL C
    .language_version:
      - 2
      - 0
    .max_flat_workgroup_size: 1024
    .name:           _ZN7rocprim17ROCPRIM_400000_NS6detail44device_merge_sort_compile_time_verifier_archINS1_11comp_targetILNS1_3genE2ELNS1_11target_archE906ELNS1_3gpuE6ELNS1_3repE0EEES8_NS1_28merge_sort_block_sort_configILj256ELj4ELNS0_20block_sort_algorithmE0EEENS0_14default_configENS1_37merge_sort_block_sort_config_selectorIslEENS1_38merge_sort_block_merge_config_selectorIslEEEEvv
    .private_segment_fixed_size: 0
    .sgpr_count:     4
    .sgpr_spill_count: 0
    .symbol:         _ZN7rocprim17ROCPRIM_400000_NS6detail44device_merge_sort_compile_time_verifier_archINS1_11comp_targetILNS1_3genE2ELNS1_11target_archE906ELNS1_3gpuE6ELNS1_3repE0EEES8_NS1_28merge_sort_block_sort_configILj256ELj4ELNS0_20block_sort_algorithmE0EEENS0_14default_configENS1_37merge_sort_block_sort_config_selectorIslEENS1_38merge_sort_block_merge_config_selectorIslEEEEvv.kd
    .uniform_work_group_size: 1
    .uses_dynamic_stack: false
    .vgpr_count:     0
    .vgpr_spill_count: 0
    .wavefront_size: 64
  - .args:           []
    .group_segment_fixed_size: 0
    .kernarg_segment_align: 4
    .kernarg_segment_size: 0
    .language:       OpenCL C
    .language_version:
      - 2
      - 0
    .max_flat_workgroup_size: 1024
    .name:           _ZN7rocprim17ROCPRIM_400000_NS6detail44device_merge_sort_compile_time_verifier_archINS1_11comp_targetILNS1_3genE10ELNS1_11target_archE1201ELNS1_3gpuE5ELNS1_3repE0EEES8_NS1_28merge_sort_block_sort_configILj256ELj4ELNS0_20block_sort_algorithmE0EEENS0_14default_configENS1_37merge_sort_block_sort_config_selectorIslEENS1_38merge_sort_block_merge_config_selectorIslEEEEvv
    .private_segment_fixed_size: 0
    .sgpr_count:     4
    .sgpr_spill_count: 0
    .symbol:         _ZN7rocprim17ROCPRIM_400000_NS6detail44device_merge_sort_compile_time_verifier_archINS1_11comp_targetILNS1_3genE10ELNS1_11target_archE1201ELNS1_3gpuE5ELNS1_3repE0EEES8_NS1_28merge_sort_block_sort_configILj256ELj4ELNS0_20block_sort_algorithmE0EEENS0_14default_configENS1_37merge_sort_block_sort_config_selectorIslEENS1_38merge_sort_block_merge_config_selectorIslEEEEvv.kd
    .uniform_work_group_size: 1
    .uses_dynamic_stack: false
    .vgpr_count:     0
    .vgpr_spill_count: 0
    .wavefront_size: 64
  - .args:           []
    .group_segment_fixed_size: 0
    .kernarg_segment_align: 4
    .kernarg_segment_size: 0
    .language:       OpenCL C
    .language_version:
      - 2
      - 0
    .max_flat_workgroup_size: 1024
    .name:           _ZN7rocprim17ROCPRIM_400000_NS6detail44device_merge_sort_compile_time_verifier_archINS1_11comp_targetILNS1_3genE10ELNS1_11target_archE1200ELNS1_3gpuE4ELNS1_3repE0EEENS3_ILS4_10ELS5_1201ELS6_5ELS7_0EEENS1_28merge_sort_block_sort_configILj256ELj4ELNS0_20block_sort_algorithmE0EEENS0_14default_configENS1_37merge_sort_block_sort_config_selectorIslEENS1_38merge_sort_block_merge_config_selectorIslEEEEvv
    .private_segment_fixed_size: 0
    .sgpr_count:     4
    .sgpr_spill_count: 0
    .symbol:         _ZN7rocprim17ROCPRIM_400000_NS6detail44device_merge_sort_compile_time_verifier_archINS1_11comp_targetILNS1_3genE10ELNS1_11target_archE1200ELNS1_3gpuE4ELNS1_3repE0EEENS3_ILS4_10ELS5_1201ELS6_5ELS7_0EEENS1_28merge_sort_block_sort_configILj256ELj4ELNS0_20block_sort_algorithmE0EEENS0_14default_configENS1_37merge_sort_block_sort_config_selectorIslEENS1_38merge_sort_block_merge_config_selectorIslEEEEvv.kd
    .uniform_work_group_size: 1
    .uses_dynamic_stack: false
    .vgpr_count:     0
    .vgpr_spill_count: 0
    .wavefront_size: 64
  - .args:           []
    .group_segment_fixed_size: 0
    .kernarg_segment_align: 4
    .kernarg_segment_size: 0
    .language:       OpenCL C
    .language_version:
      - 2
      - 0
    .max_flat_workgroup_size: 1024
    .name:           _ZN7rocprim17ROCPRIM_400000_NS6detail44device_merge_sort_compile_time_verifier_archINS1_11comp_targetILNS1_3genE9ELNS1_11target_archE1100ELNS1_3gpuE3ELNS1_3repE0EEES8_NS1_28merge_sort_block_sort_configILj256ELj4ELNS0_20block_sort_algorithmE0EEENS0_14default_configENS1_37merge_sort_block_sort_config_selectorIslEENS1_38merge_sort_block_merge_config_selectorIslEEEEvv
    .private_segment_fixed_size: 0
    .sgpr_count:     4
    .sgpr_spill_count: 0
    .symbol:         _ZN7rocprim17ROCPRIM_400000_NS6detail44device_merge_sort_compile_time_verifier_archINS1_11comp_targetILNS1_3genE9ELNS1_11target_archE1100ELNS1_3gpuE3ELNS1_3repE0EEES8_NS1_28merge_sort_block_sort_configILj256ELj4ELNS0_20block_sort_algorithmE0EEENS0_14default_configENS1_37merge_sort_block_sort_config_selectorIslEENS1_38merge_sort_block_merge_config_selectorIslEEEEvv.kd
    .uniform_work_group_size: 1
    .uses_dynamic_stack: false
    .vgpr_count:     0
    .vgpr_spill_count: 0
    .wavefront_size: 64
  - .args:           []
    .group_segment_fixed_size: 0
    .kernarg_segment_align: 4
    .kernarg_segment_size: 0
    .language:       OpenCL C
    .language_version:
      - 2
      - 0
    .max_flat_workgroup_size: 1024
    .name:           _ZN7rocprim17ROCPRIM_400000_NS6detail44device_merge_sort_compile_time_verifier_archINS1_11comp_targetILNS1_3genE8ELNS1_11target_archE1030ELNS1_3gpuE2ELNS1_3repE0EEES8_NS1_28merge_sort_block_sort_configILj256ELj4ELNS0_20block_sort_algorithmE0EEENS0_14default_configENS1_37merge_sort_block_sort_config_selectorIslEENS1_38merge_sort_block_merge_config_selectorIslEEEEvv
    .private_segment_fixed_size: 0
    .sgpr_count:     4
    .sgpr_spill_count: 0
    .symbol:         _ZN7rocprim17ROCPRIM_400000_NS6detail44device_merge_sort_compile_time_verifier_archINS1_11comp_targetILNS1_3genE8ELNS1_11target_archE1030ELNS1_3gpuE2ELNS1_3repE0EEES8_NS1_28merge_sort_block_sort_configILj256ELj4ELNS0_20block_sort_algorithmE0EEENS0_14default_configENS1_37merge_sort_block_sort_config_selectorIslEENS1_38merge_sort_block_merge_config_selectorIslEEEEvv.kd
    .uniform_work_group_size: 1
    .uses_dynamic_stack: false
    .vgpr_count:     0
    .vgpr_spill_count: 0
    .wavefront_size: 64
  - .args:
      - .offset:         0
        .size:           40
        .value_kind:     by_value
    .group_segment_fixed_size: 0
    .kernarg_segment_align: 8
    .kernarg_segment_size: 40
    .language:       OpenCL C
    .language_version:
      - 2
      - 0
    .max_flat_workgroup_size: 128
    .name:           _ZN7rocprim17ROCPRIM_400000_NS6detail17trampoline_kernelINS0_14default_configENS1_38merge_sort_block_merge_config_selectorIslEEZZNS1_27merge_sort_block_merge_implIS3_PsN6thrust23THRUST_200600_302600_NS10device_ptrIlEEjNS1_19radix_merge_compareILb0ELb0EsNS0_19identity_decomposerEEEEE10hipError_tT0_T1_T2_jT3_P12ihipStream_tbPNSt15iterator_traitsISG_E10value_typeEPNSM_ISH_E10value_typeEPSI_NS1_7vsmem_tEENKUlT_SG_SH_SI_E_clIS7_S7_PlSB_EESF_SV_SG_SH_SI_EUlSV_E_NS1_11comp_targetILNS1_3genE0ELNS1_11target_archE4294967295ELNS1_3gpuE0ELNS1_3repE0EEENS1_48merge_mergepath_partition_config_static_selectorELNS0_4arch9wavefront6targetE1EEEvSH_
    .private_segment_fixed_size: 0
    .sgpr_count:     4
    .sgpr_spill_count: 0
    .symbol:         _ZN7rocprim17ROCPRIM_400000_NS6detail17trampoline_kernelINS0_14default_configENS1_38merge_sort_block_merge_config_selectorIslEEZZNS1_27merge_sort_block_merge_implIS3_PsN6thrust23THRUST_200600_302600_NS10device_ptrIlEEjNS1_19radix_merge_compareILb0ELb0EsNS0_19identity_decomposerEEEEE10hipError_tT0_T1_T2_jT3_P12ihipStream_tbPNSt15iterator_traitsISG_E10value_typeEPNSM_ISH_E10value_typeEPSI_NS1_7vsmem_tEENKUlT_SG_SH_SI_E_clIS7_S7_PlSB_EESF_SV_SG_SH_SI_EUlSV_E_NS1_11comp_targetILNS1_3genE0ELNS1_11target_archE4294967295ELNS1_3gpuE0ELNS1_3repE0EEENS1_48merge_mergepath_partition_config_static_selectorELNS0_4arch9wavefront6targetE1EEEvSH_.kd
    .uniform_work_group_size: 1
    .uses_dynamic_stack: false
    .vgpr_count:     0
    .vgpr_spill_count: 0
    .wavefront_size: 64
  - .args:
      - .offset:         0
        .size:           40
        .value_kind:     by_value
    .group_segment_fixed_size: 0
    .kernarg_segment_align: 8
    .kernarg_segment_size: 40
    .language:       OpenCL C
    .language_version:
      - 2
      - 0
    .max_flat_workgroup_size: 128
    .name:           _ZN7rocprim17ROCPRIM_400000_NS6detail17trampoline_kernelINS0_14default_configENS1_38merge_sort_block_merge_config_selectorIslEEZZNS1_27merge_sort_block_merge_implIS3_PsN6thrust23THRUST_200600_302600_NS10device_ptrIlEEjNS1_19radix_merge_compareILb0ELb0EsNS0_19identity_decomposerEEEEE10hipError_tT0_T1_T2_jT3_P12ihipStream_tbPNSt15iterator_traitsISG_E10value_typeEPNSM_ISH_E10value_typeEPSI_NS1_7vsmem_tEENKUlT_SG_SH_SI_E_clIS7_S7_PlSB_EESF_SV_SG_SH_SI_EUlSV_E_NS1_11comp_targetILNS1_3genE10ELNS1_11target_archE1201ELNS1_3gpuE5ELNS1_3repE0EEENS1_48merge_mergepath_partition_config_static_selectorELNS0_4arch9wavefront6targetE1EEEvSH_
    .private_segment_fixed_size: 0
    .sgpr_count:     4
    .sgpr_spill_count: 0
    .symbol:         _ZN7rocprim17ROCPRIM_400000_NS6detail17trampoline_kernelINS0_14default_configENS1_38merge_sort_block_merge_config_selectorIslEEZZNS1_27merge_sort_block_merge_implIS3_PsN6thrust23THRUST_200600_302600_NS10device_ptrIlEEjNS1_19radix_merge_compareILb0ELb0EsNS0_19identity_decomposerEEEEE10hipError_tT0_T1_T2_jT3_P12ihipStream_tbPNSt15iterator_traitsISG_E10value_typeEPNSM_ISH_E10value_typeEPSI_NS1_7vsmem_tEENKUlT_SG_SH_SI_E_clIS7_S7_PlSB_EESF_SV_SG_SH_SI_EUlSV_E_NS1_11comp_targetILNS1_3genE10ELNS1_11target_archE1201ELNS1_3gpuE5ELNS1_3repE0EEENS1_48merge_mergepath_partition_config_static_selectorELNS0_4arch9wavefront6targetE1EEEvSH_.kd
    .uniform_work_group_size: 1
    .uses_dynamic_stack: false
    .vgpr_count:     0
    .vgpr_spill_count: 0
    .wavefront_size: 64
  - .args:
      - .offset:         0
        .size:           40
        .value_kind:     by_value
    .group_segment_fixed_size: 0
    .kernarg_segment_align: 8
    .kernarg_segment_size: 40
    .language:       OpenCL C
    .language_version:
      - 2
      - 0
    .max_flat_workgroup_size: 128
    .name:           _ZN7rocprim17ROCPRIM_400000_NS6detail17trampoline_kernelINS0_14default_configENS1_38merge_sort_block_merge_config_selectorIslEEZZNS1_27merge_sort_block_merge_implIS3_PsN6thrust23THRUST_200600_302600_NS10device_ptrIlEEjNS1_19radix_merge_compareILb0ELb0EsNS0_19identity_decomposerEEEEE10hipError_tT0_T1_T2_jT3_P12ihipStream_tbPNSt15iterator_traitsISG_E10value_typeEPNSM_ISH_E10value_typeEPSI_NS1_7vsmem_tEENKUlT_SG_SH_SI_E_clIS7_S7_PlSB_EESF_SV_SG_SH_SI_EUlSV_E_NS1_11comp_targetILNS1_3genE5ELNS1_11target_archE942ELNS1_3gpuE9ELNS1_3repE0EEENS1_48merge_mergepath_partition_config_static_selectorELNS0_4arch9wavefront6targetE1EEEvSH_
    .private_segment_fixed_size: 0
    .sgpr_count:     4
    .sgpr_spill_count: 0
    .symbol:         _ZN7rocprim17ROCPRIM_400000_NS6detail17trampoline_kernelINS0_14default_configENS1_38merge_sort_block_merge_config_selectorIslEEZZNS1_27merge_sort_block_merge_implIS3_PsN6thrust23THRUST_200600_302600_NS10device_ptrIlEEjNS1_19radix_merge_compareILb0ELb0EsNS0_19identity_decomposerEEEEE10hipError_tT0_T1_T2_jT3_P12ihipStream_tbPNSt15iterator_traitsISG_E10value_typeEPNSM_ISH_E10value_typeEPSI_NS1_7vsmem_tEENKUlT_SG_SH_SI_E_clIS7_S7_PlSB_EESF_SV_SG_SH_SI_EUlSV_E_NS1_11comp_targetILNS1_3genE5ELNS1_11target_archE942ELNS1_3gpuE9ELNS1_3repE0EEENS1_48merge_mergepath_partition_config_static_selectorELNS0_4arch9wavefront6targetE1EEEvSH_.kd
    .uniform_work_group_size: 1
    .uses_dynamic_stack: false
    .vgpr_count:     0
    .vgpr_spill_count: 0
    .wavefront_size: 64
  - .args:
      - .offset:         0
        .size:           40
        .value_kind:     by_value
    .group_segment_fixed_size: 0
    .kernarg_segment_align: 8
    .kernarg_segment_size: 40
    .language:       OpenCL C
    .language_version:
      - 2
      - 0
    .max_flat_workgroup_size: 128
    .name:           _ZN7rocprim17ROCPRIM_400000_NS6detail17trampoline_kernelINS0_14default_configENS1_38merge_sort_block_merge_config_selectorIslEEZZNS1_27merge_sort_block_merge_implIS3_PsN6thrust23THRUST_200600_302600_NS10device_ptrIlEEjNS1_19radix_merge_compareILb0ELb0EsNS0_19identity_decomposerEEEEE10hipError_tT0_T1_T2_jT3_P12ihipStream_tbPNSt15iterator_traitsISG_E10value_typeEPNSM_ISH_E10value_typeEPSI_NS1_7vsmem_tEENKUlT_SG_SH_SI_E_clIS7_S7_PlSB_EESF_SV_SG_SH_SI_EUlSV_E_NS1_11comp_targetILNS1_3genE4ELNS1_11target_archE910ELNS1_3gpuE8ELNS1_3repE0EEENS1_48merge_mergepath_partition_config_static_selectorELNS0_4arch9wavefront6targetE1EEEvSH_
    .private_segment_fixed_size: 0
    .sgpr_count:     4
    .sgpr_spill_count: 0
    .symbol:         _ZN7rocprim17ROCPRIM_400000_NS6detail17trampoline_kernelINS0_14default_configENS1_38merge_sort_block_merge_config_selectorIslEEZZNS1_27merge_sort_block_merge_implIS3_PsN6thrust23THRUST_200600_302600_NS10device_ptrIlEEjNS1_19radix_merge_compareILb0ELb0EsNS0_19identity_decomposerEEEEE10hipError_tT0_T1_T2_jT3_P12ihipStream_tbPNSt15iterator_traitsISG_E10value_typeEPNSM_ISH_E10value_typeEPSI_NS1_7vsmem_tEENKUlT_SG_SH_SI_E_clIS7_S7_PlSB_EESF_SV_SG_SH_SI_EUlSV_E_NS1_11comp_targetILNS1_3genE4ELNS1_11target_archE910ELNS1_3gpuE8ELNS1_3repE0EEENS1_48merge_mergepath_partition_config_static_selectorELNS0_4arch9wavefront6targetE1EEEvSH_.kd
    .uniform_work_group_size: 1
    .uses_dynamic_stack: false
    .vgpr_count:     0
    .vgpr_spill_count: 0
    .wavefront_size: 64
  - .args:
      - .offset:         0
        .size:           40
        .value_kind:     by_value
    .group_segment_fixed_size: 0
    .kernarg_segment_align: 8
    .kernarg_segment_size: 40
    .language:       OpenCL C
    .language_version:
      - 2
      - 0
    .max_flat_workgroup_size: 128
    .name:           _ZN7rocprim17ROCPRIM_400000_NS6detail17trampoline_kernelINS0_14default_configENS1_38merge_sort_block_merge_config_selectorIslEEZZNS1_27merge_sort_block_merge_implIS3_PsN6thrust23THRUST_200600_302600_NS10device_ptrIlEEjNS1_19radix_merge_compareILb0ELb0EsNS0_19identity_decomposerEEEEE10hipError_tT0_T1_T2_jT3_P12ihipStream_tbPNSt15iterator_traitsISG_E10value_typeEPNSM_ISH_E10value_typeEPSI_NS1_7vsmem_tEENKUlT_SG_SH_SI_E_clIS7_S7_PlSB_EESF_SV_SG_SH_SI_EUlSV_E_NS1_11comp_targetILNS1_3genE3ELNS1_11target_archE908ELNS1_3gpuE7ELNS1_3repE0EEENS1_48merge_mergepath_partition_config_static_selectorELNS0_4arch9wavefront6targetE1EEEvSH_
    .private_segment_fixed_size: 0
    .sgpr_count:     4
    .sgpr_spill_count: 0
    .symbol:         _ZN7rocprim17ROCPRIM_400000_NS6detail17trampoline_kernelINS0_14default_configENS1_38merge_sort_block_merge_config_selectorIslEEZZNS1_27merge_sort_block_merge_implIS3_PsN6thrust23THRUST_200600_302600_NS10device_ptrIlEEjNS1_19radix_merge_compareILb0ELb0EsNS0_19identity_decomposerEEEEE10hipError_tT0_T1_T2_jT3_P12ihipStream_tbPNSt15iterator_traitsISG_E10value_typeEPNSM_ISH_E10value_typeEPSI_NS1_7vsmem_tEENKUlT_SG_SH_SI_E_clIS7_S7_PlSB_EESF_SV_SG_SH_SI_EUlSV_E_NS1_11comp_targetILNS1_3genE3ELNS1_11target_archE908ELNS1_3gpuE7ELNS1_3repE0EEENS1_48merge_mergepath_partition_config_static_selectorELNS0_4arch9wavefront6targetE1EEEvSH_.kd
    .uniform_work_group_size: 1
    .uses_dynamic_stack: false
    .vgpr_count:     0
    .vgpr_spill_count: 0
    .wavefront_size: 64
  - .args:
      - .offset:         0
        .size:           40
        .value_kind:     by_value
    .group_segment_fixed_size: 0
    .kernarg_segment_align: 8
    .kernarg_segment_size: 40
    .language:       OpenCL C
    .language_version:
      - 2
      - 0
    .max_flat_workgroup_size: 128
    .name:           _ZN7rocprim17ROCPRIM_400000_NS6detail17trampoline_kernelINS0_14default_configENS1_38merge_sort_block_merge_config_selectorIslEEZZNS1_27merge_sort_block_merge_implIS3_PsN6thrust23THRUST_200600_302600_NS10device_ptrIlEEjNS1_19radix_merge_compareILb0ELb0EsNS0_19identity_decomposerEEEEE10hipError_tT0_T1_T2_jT3_P12ihipStream_tbPNSt15iterator_traitsISG_E10value_typeEPNSM_ISH_E10value_typeEPSI_NS1_7vsmem_tEENKUlT_SG_SH_SI_E_clIS7_S7_PlSB_EESF_SV_SG_SH_SI_EUlSV_E_NS1_11comp_targetILNS1_3genE2ELNS1_11target_archE906ELNS1_3gpuE6ELNS1_3repE0EEENS1_48merge_mergepath_partition_config_static_selectorELNS0_4arch9wavefront6targetE1EEEvSH_
    .private_segment_fixed_size: 0
    .sgpr_count:     12
    .sgpr_spill_count: 0
    .symbol:         _ZN7rocprim17ROCPRIM_400000_NS6detail17trampoline_kernelINS0_14default_configENS1_38merge_sort_block_merge_config_selectorIslEEZZNS1_27merge_sort_block_merge_implIS3_PsN6thrust23THRUST_200600_302600_NS10device_ptrIlEEjNS1_19radix_merge_compareILb0ELb0EsNS0_19identity_decomposerEEEEE10hipError_tT0_T1_T2_jT3_P12ihipStream_tbPNSt15iterator_traitsISG_E10value_typeEPNSM_ISH_E10value_typeEPSI_NS1_7vsmem_tEENKUlT_SG_SH_SI_E_clIS7_S7_PlSB_EESF_SV_SG_SH_SI_EUlSV_E_NS1_11comp_targetILNS1_3genE2ELNS1_11target_archE906ELNS1_3gpuE6ELNS1_3repE0EEENS1_48merge_mergepath_partition_config_static_selectorELNS0_4arch9wavefront6targetE1EEEvSH_.kd
    .uniform_work_group_size: 1
    .uses_dynamic_stack: false
    .vgpr_count:     15
    .vgpr_spill_count: 0
    .wavefront_size: 64
  - .args:
      - .offset:         0
        .size:           40
        .value_kind:     by_value
    .group_segment_fixed_size: 0
    .kernarg_segment_align: 8
    .kernarg_segment_size: 40
    .language:       OpenCL C
    .language_version:
      - 2
      - 0
    .max_flat_workgroup_size: 128
    .name:           _ZN7rocprim17ROCPRIM_400000_NS6detail17trampoline_kernelINS0_14default_configENS1_38merge_sort_block_merge_config_selectorIslEEZZNS1_27merge_sort_block_merge_implIS3_PsN6thrust23THRUST_200600_302600_NS10device_ptrIlEEjNS1_19radix_merge_compareILb0ELb0EsNS0_19identity_decomposerEEEEE10hipError_tT0_T1_T2_jT3_P12ihipStream_tbPNSt15iterator_traitsISG_E10value_typeEPNSM_ISH_E10value_typeEPSI_NS1_7vsmem_tEENKUlT_SG_SH_SI_E_clIS7_S7_PlSB_EESF_SV_SG_SH_SI_EUlSV_E_NS1_11comp_targetILNS1_3genE9ELNS1_11target_archE1100ELNS1_3gpuE3ELNS1_3repE0EEENS1_48merge_mergepath_partition_config_static_selectorELNS0_4arch9wavefront6targetE1EEEvSH_
    .private_segment_fixed_size: 0
    .sgpr_count:     4
    .sgpr_spill_count: 0
    .symbol:         _ZN7rocprim17ROCPRIM_400000_NS6detail17trampoline_kernelINS0_14default_configENS1_38merge_sort_block_merge_config_selectorIslEEZZNS1_27merge_sort_block_merge_implIS3_PsN6thrust23THRUST_200600_302600_NS10device_ptrIlEEjNS1_19radix_merge_compareILb0ELb0EsNS0_19identity_decomposerEEEEE10hipError_tT0_T1_T2_jT3_P12ihipStream_tbPNSt15iterator_traitsISG_E10value_typeEPNSM_ISH_E10value_typeEPSI_NS1_7vsmem_tEENKUlT_SG_SH_SI_E_clIS7_S7_PlSB_EESF_SV_SG_SH_SI_EUlSV_E_NS1_11comp_targetILNS1_3genE9ELNS1_11target_archE1100ELNS1_3gpuE3ELNS1_3repE0EEENS1_48merge_mergepath_partition_config_static_selectorELNS0_4arch9wavefront6targetE1EEEvSH_.kd
    .uniform_work_group_size: 1
    .uses_dynamic_stack: false
    .vgpr_count:     0
    .vgpr_spill_count: 0
    .wavefront_size: 64
  - .args:
      - .offset:         0
        .size:           40
        .value_kind:     by_value
    .group_segment_fixed_size: 0
    .kernarg_segment_align: 8
    .kernarg_segment_size: 40
    .language:       OpenCL C
    .language_version:
      - 2
      - 0
    .max_flat_workgroup_size: 128
    .name:           _ZN7rocprim17ROCPRIM_400000_NS6detail17trampoline_kernelINS0_14default_configENS1_38merge_sort_block_merge_config_selectorIslEEZZNS1_27merge_sort_block_merge_implIS3_PsN6thrust23THRUST_200600_302600_NS10device_ptrIlEEjNS1_19radix_merge_compareILb0ELb0EsNS0_19identity_decomposerEEEEE10hipError_tT0_T1_T2_jT3_P12ihipStream_tbPNSt15iterator_traitsISG_E10value_typeEPNSM_ISH_E10value_typeEPSI_NS1_7vsmem_tEENKUlT_SG_SH_SI_E_clIS7_S7_PlSB_EESF_SV_SG_SH_SI_EUlSV_E_NS1_11comp_targetILNS1_3genE8ELNS1_11target_archE1030ELNS1_3gpuE2ELNS1_3repE0EEENS1_48merge_mergepath_partition_config_static_selectorELNS0_4arch9wavefront6targetE1EEEvSH_
    .private_segment_fixed_size: 0
    .sgpr_count:     4
    .sgpr_spill_count: 0
    .symbol:         _ZN7rocprim17ROCPRIM_400000_NS6detail17trampoline_kernelINS0_14default_configENS1_38merge_sort_block_merge_config_selectorIslEEZZNS1_27merge_sort_block_merge_implIS3_PsN6thrust23THRUST_200600_302600_NS10device_ptrIlEEjNS1_19radix_merge_compareILb0ELb0EsNS0_19identity_decomposerEEEEE10hipError_tT0_T1_T2_jT3_P12ihipStream_tbPNSt15iterator_traitsISG_E10value_typeEPNSM_ISH_E10value_typeEPSI_NS1_7vsmem_tEENKUlT_SG_SH_SI_E_clIS7_S7_PlSB_EESF_SV_SG_SH_SI_EUlSV_E_NS1_11comp_targetILNS1_3genE8ELNS1_11target_archE1030ELNS1_3gpuE2ELNS1_3repE0EEENS1_48merge_mergepath_partition_config_static_selectorELNS0_4arch9wavefront6targetE1EEEvSH_.kd
    .uniform_work_group_size: 1
    .uses_dynamic_stack: false
    .vgpr_count:     0
    .vgpr_spill_count: 0
    .wavefront_size: 64
  - .args:
      - .offset:         0
        .size:           64
        .value_kind:     by_value
    .group_segment_fixed_size: 0
    .kernarg_segment_align: 8
    .kernarg_segment_size: 64
    .language:       OpenCL C
    .language_version:
      - 2
      - 0
    .max_flat_workgroup_size: 256
    .name:           _ZN7rocprim17ROCPRIM_400000_NS6detail17trampoline_kernelINS0_14default_configENS1_38merge_sort_block_merge_config_selectorIslEEZZNS1_27merge_sort_block_merge_implIS3_PsN6thrust23THRUST_200600_302600_NS10device_ptrIlEEjNS1_19radix_merge_compareILb0ELb0EsNS0_19identity_decomposerEEEEE10hipError_tT0_T1_T2_jT3_P12ihipStream_tbPNSt15iterator_traitsISG_E10value_typeEPNSM_ISH_E10value_typeEPSI_NS1_7vsmem_tEENKUlT_SG_SH_SI_E_clIS7_S7_PlSB_EESF_SV_SG_SH_SI_EUlSV_E0_NS1_11comp_targetILNS1_3genE0ELNS1_11target_archE4294967295ELNS1_3gpuE0ELNS1_3repE0EEENS1_38merge_mergepath_config_static_selectorELNS0_4arch9wavefront6targetE1EEEvSH_
    .private_segment_fixed_size: 0
    .sgpr_count:     4
    .sgpr_spill_count: 0
    .symbol:         _ZN7rocprim17ROCPRIM_400000_NS6detail17trampoline_kernelINS0_14default_configENS1_38merge_sort_block_merge_config_selectorIslEEZZNS1_27merge_sort_block_merge_implIS3_PsN6thrust23THRUST_200600_302600_NS10device_ptrIlEEjNS1_19radix_merge_compareILb0ELb0EsNS0_19identity_decomposerEEEEE10hipError_tT0_T1_T2_jT3_P12ihipStream_tbPNSt15iterator_traitsISG_E10value_typeEPNSM_ISH_E10value_typeEPSI_NS1_7vsmem_tEENKUlT_SG_SH_SI_E_clIS7_S7_PlSB_EESF_SV_SG_SH_SI_EUlSV_E0_NS1_11comp_targetILNS1_3genE0ELNS1_11target_archE4294967295ELNS1_3gpuE0ELNS1_3repE0EEENS1_38merge_mergepath_config_static_selectorELNS0_4arch9wavefront6targetE1EEEvSH_.kd
    .uniform_work_group_size: 1
    .uses_dynamic_stack: false
    .vgpr_count:     0
    .vgpr_spill_count: 0
    .wavefront_size: 64
  - .args:
      - .offset:         0
        .size:           64
        .value_kind:     by_value
    .group_segment_fixed_size: 0
    .kernarg_segment_align: 8
    .kernarg_segment_size: 64
    .language:       OpenCL C
    .language_version:
      - 2
      - 0
    .max_flat_workgroup_size: 512
    .name:           _ZN7rocprim17ROCPRIM_400000_NS6detail17trampoline_kernelINS0_14default_configENS1_38merge_sort_block_merge_config_selectorIslEEZZNS1_27merge_sort_block_merge_implIS3_PsN6thrust23THRUST_200600_302600_NS10device_ptrIlEEjNS1_19radix_merge_compareILb0ELb0EsNS0_19identity_decomposerEEEEE10hipError_tT0_T1_T2_jT3_P12ihipStream_tbPNSt15iterator_traitsISG_E10value_typeEPNSM_ISH_E10value_typeEPSI_NS1_7vsmem_tEENKUlT_SG_SH_SI_E_clIS7_S7_PlSB_EESF_SV_SG_SH_SI_EUlSV_E0_NS1_11comp_targetILNS1_3genE10ELNS1_11target_archE1201ELNS1_3gpuE5ELNS1_3repE0EEENS1_38merge_mergepath_config_static_selectorELNS0_4arch9wavefront6targetE1EEEvSH_
    .private_segment_fixed_size: 0
    .sgpr_count:     4
    .sgpr_spill_count: 0
    .symbol:         _ZN7rocprim17ROCPRIM_400000_NS6detail17trampoline_kernelINS0_14default_configENS1_38merge_sort_block_merge_config_selectorIslEEZZNS1_27merge_sort_block_merge_implIS3_PsN6thrust23THRUST_200600_302600_NS10device_ptrIlEEjNS1_19radix_merge_compareILb0ELb0EsNS0_19identity_decomposerEEEEE10hipError_tT0_T1_T2_jT3_P12ihipStream_tbPNSt15iterator_traitsISG_E10value_typeEPNSM_ISH_E10value_typeEPSI_NS1_7vsmem_tEENKUlT_SG_SH_SI_E_clIS7_S7_PlSB_EESF_SV_SG_SH_SI_EUlSV_E0_NS1_11comp_targetILNS1_3genE10ELNS1_11target_archE1201ELNS1_3gpuE5ELNS1_3repE0EEENS1_38merge_mergepath_config_static_selectorELNS0_4arch9wavefront6targetE1EEEvSH_.kd
    .uniform_work_group_size: 1
    .uses_dynamic_stack: false
    .vgpr_count:     0
    .vgpr_spill_count: 0
    .wavefront_size: 64
  - .args:
      - .offset:         0
        .size:           64
        .value_kind:     by_value
    .group_segment_fixed_size: 0
    .kernarg_segment_align: 8
    .kernarg_segment_size: 64
    .language:       OpenCL C
    .language_version:
      - 2
      - 0
    .max_flat_workgroup_size: 256
    .name:           _ZN7rocprim17ROCPRIM_400000_NS6detail17trampoline_kernelINS0_14default_configENS1_38merge_sort_block_merge_config_selectorIslEEZZNS1_27merge_sort_block_merge_implIS3_PsN6thrust23THRUST_200600_302600_NS10device_ptrIlEEjNS1_19radix_merge_compareILb0ELb0EsNS0_19identity_decomposerEEEEE10hipError_tT0_T1_T2_jT3_P12ihipStream_tbPNSt15iterator_traitsISG_E10value_typeEPNSM_ISH_E10value_typeEPSI_NS1_7vsmem_tEENKUlT_SG_SH_SI_E_clIS7_S7_PlSB_EESF_SV_SG_SH_SI_EUlSV_E0_NS1_11comp_targetILNS1_3genE5ELNS1_11target_archE942ELNS1_3gpuE9ELNS1_3repE0EEENS1_38merge_mergepath_config_static_selectorELNS0_4arch9wavefront6targetE1EEEvSH_
    .private_segment_fixed_size: 0
    .sgpr_count:     4
    .sgpr_spill_count: 0
    .symbol:         _ZN7rocprim17ROCPRIM_400000_NS6detail17trampoline_kernelINS0_14default_configENS1_38merge_sort_block_merge_config_selectorIslEEZZNS1_27merge_sort_block_merge_implIS3_PsN6thrust23THRUST_200600_302600_NS10device_ptrIlEEjNS1_19radix_merge_compareILb0ELb0EsNS0_19identity_decomposerEEEEE10hipError_tT0_T1_T2_jT3_P12ihipStream_tbPNSt15iterator_traitsISG_E10value_typeEPNSM_ISH_E10value_typeEPSI_NS1_7vsmem_tEENKUlT_SG_SH_SI_E_clIS7_S7_PlSB_EESF_SV_SG_SH_SI_EUlSV_E0_NS1_11comp_targetILNS1_3genE5ELNS1_11target_archE942ELNS1_3gpuE9ELNS1_3repE0EEENS1_38merge_mergepath_config_static_selectorELNS0_4arch9wavefront6targetE1EEEvSH_.kd
    .uniform_work_group_size: 1
    .uses_dynamic_stack: false
    .vgpr_count:     0
    .vgpr_spill_count: 0
    .wavefront_size: 64
  - .args:
      - .offset:         0
        .size:           64
        .value_kind:     by_value
    .group_segment_fixed_size: 0
    .kernarg_segment_align: 8
    .kernarg_segment_size: 64
    .language:       OpenCL C
    .language_version:
      - 2
      - 0
    .max_flat_workgroup_size: 256
    .name:           _ZN7rocprim17ROCPRIM_400000_NS6detail17trampoline_kernelINS0_14default_configENS1_38merge_sort_block_merge_config_selectorIslEEZZNS1_27merge_sort_block_merge_implIS3_PsN6thrust23THRUST_200600_302600_NS10device_ptrIlEEjNS1_19radix_merge_compareILb0ELb0EsNS0_19identity_decomposerEEEEE10hipError_tT0_T1_T2_jT3_P12ihipStream_tbPNSt15iterator_traitsISG_E10value_typeEPNSM_ISH_E10value_typeEPSI_NS1_7vsmem_tEENKUlT_SG_SH_SI_E_clIS7_S7_PlSB_EESF_SV_SG_SH_SI_EUlSV_E0_NS1_11comp_targetILNS1_3genE4ELNS1_11target_archE910ELNS1_3gpuE8ELNS1_3repE0EEENS1_38merge_mergepath_config_static_selectorELNS0_4arch9wavefront6targetE1EEEvSH_
    .private_segment_fixed_size: 0
    .sgpr_count:     4
    .sgpr_spill_count: 0
    .symbol:         _ZN7rocprim17ROCPRIM_400000_NS6detail17trampoline_kernelINS0_14default_configENS1_38merge_sort_block_merge_config_selectorIslEEZZNS1_27merge_sort_block_merge_implIS3_PsN6thrust23THRUST_200600_302600_NS10device_ptrIlEEjNS1_19radix_merge_compareILb0ELb0EsNS0_19identity_decomposerEEEEE10hipError_tT0_T1_T2_jT3_P12ihipStream_tbPNSt15iterator_traitsISG_E10value_typeEPNSM_ISH_E10value_typeEPSI_NS1_7vsmem_tEENKUlT_SG_SH_SI_E_clIS7_S7_PlSB_EESF_SV_SG_SH_SI_EUlSV_E0_NS1_11comp_targetILNS1_3genE4ELNS1_11target_archE910ELNS1_3gpuE8ELNS1_3repE0EEENS1_38merge_mergepath_config_static_selectorELNS0_4arch9wavefront6targetE1EEEvSH_.kd
    .uniform_work_group_size: 1
    .uses_dynamic_stack: false
    .vgpr_count:     0
    .vgpr_spill_count: 0
    .wavefront_size: 64
  - .args:
      - .offset:         0
        .size:           64
        .value_kind:     by_value
    .group_segment_fixed_size: 0
    .kernarg_segment_align: 8
    .kernarg_segment_size: 64
    .language:       OpenCL C
    .language_version:
      - 2
      - 0
    .max_flat_workgroup_size: 256
    .name:           _ZN7rocprim17ROCPRIM_400000_NS6detail17trampoline_kernelINS0_14default_configENS1_38merge_sort_block_merge_config_selectorIslEEZZNS1_27merge_sort_block_merge_implIS3_PsN6thrust23THRUST_200600_302600_NS10device_ptrIlEEjNS1_19radix_merge_compareILb0ELb0EsNS0_19identity_decomposerEEEEE10hipError_tT0_T1_T2_jT3_P12ihipStream_tbPNSt15iterator_traitsISG_E10value_typeEPNSM_ISH_E10value_typeEPSI_NS1_7vsmem_tEENKUlT_SG_SH_SI_E_clIS7_S7_PlSB_EESF_SV_SG_SH_SI_EUlSV_E0_NS1_11comp_targetILNS1_3genE3ELNS1_11target_archE908ELNS1_3gpuE7ELNS1_3repE0EEENS1_38merge_mergepath_config_static_selectorELNS0_4arch9wavefront6targetE1EEEvSH_
    .private_segment_fixed_size: 0
    .sgpr_count:     4
    .sgpr_spill_count: 0
    .symbol:         _ZN7rocprim17ROCPRIM_400000_NS6detail17trampoline_kernelINS0_14default_configENS1_38merge_sort_block_merge_config_selectorIslEEZZNS1_27merge_sort_block_merge_implIS3_PsN6thrust23THRUST_200600_302600_NS10device_ptrIlEEjNS1_19radix_merge_compareILb0ELb0EsNS0_19identity_decomposerEEEEE10hipError_tT0_T1_T2_jT3_P12ihipStream_tbPNSt15iterator_traitsISG_E10value_typeEPNSM_ISH_E10value_typeEPSI_NS1_7vsmem_tEENKUlT_SG_SH_SI_E_clIS7_S7_PlSB_EESF_SV_SG_SH_SI_EUlSV_E0_NS1_11comp_targetILNS1_3genE3ELNS1_11target_archE908ELNS1_3gpuE7ELNS1_3repE0EEENS1_38merge_mergepath_config_static_selectorELNS0_4arch9wavefront6targetE1EEEvSH_.kd
    .uniform_work_group_size: 1
    .uses_dynamic_stack: false
    .vgpr_count:     0
    .vgpr_spill_count: 0
    .wavefront_size: 64
  - .args:
      - .offset:         0
        .size:           64
        .value_kind:     by_value
      - .offset:         64
        .size:           4
        .value_kind:     hidden_block_count_x
      - .offset:         68
        .size:           4
        .value_kind:     hidden_block_count_y
      - .offset:         72
        .size:           4
        .value_kind:     hidden_block_count_z
      - .offset:         76
        .size:           2
        .value_kind:     hidden_group_size_x
      - .offset:         78
        .size:           2
        .value_kind:     hidden_group_size_y
      - .offset:         80
        .size:           2
        .value_kind:     hidden_group_size_z
      - .offset:         82
        .size:           2
        .value_kind:     hidden_remainder_x
      - .offset:         84
        .size:           2
        .value_kind:     hidden_remainder_y
      - .offset:         86
        .size:           2
        .value_kind:     hidden_remainder_z
      - .offset:         104
        .size:           8
        .value_kind:     hidden_global_offset_x
      - .offset:         112
        .size:           8
        .value_kind:     hidden_global_offset_y
      - .offset:         120
        .size:           8
        .value_kind:     hidden_global_offset_z
      - .offset:         128
        .size:           2
        .value_kind:     hidden_grid_dims
    .group_segment_fixed_size: 8448
    .kernarg_segment_align: 8
    .kernarg_segment_size: 320
    .language:       OpenCL C
    .language_version:
      - 2
      - 0
    .max_flat_workgroup_size: 256
    .name:           _ZN7rocprim17ROCPRIM_400000_NS6detail17trampoline_kernelINS0_14default_configENS1_38merge_sort_block_merge_config_selectorIslEEZZNS1_27merge_sort_block_merge_implIS3_PsN6thrust23THRUST_200600_302600_NS10device_ptrIlEEjNS1_19radix_merge_compareILb0ELb0EsNS0_19identity_decomposerEEEEE10hipError_tT0_T1_T2_jT3_P12ihipStream_tbPNSt15iterator_traitsISG_E10value_typeEPNSM_ISH_E10value_typeEPSI_NS1_7vsmem_tEENKUlT_SG_SH_SI_E_clIS7_S7_PlSB_EESF_SV_SG_SH_SI_EUlSV_E0_NS1_11comp_targetILNS1_3genE2ELNS1_11target_archE906ELNS1_3gpuE6ELNS1_3repE0EEENS1_38merge_mergepath_config_static_selectorELNS0_4arch9wavefront6targetE1EEEvSH_
    .private_segment_fixed_size: 0
    .sgpr_count:     35
    .sgpr_spill_count: 0
    .symbol:         _ZN7rocprim17ROCPRIM_400000_NS6detail17trampoline_kernelINS0_14default_configENS1_38merge_sort_block_merge_config_selectorIslEEZZNS1_27merge_sort_block_merge_implIS3_PsN6thrust23THRUST_200600_302600_NS10device_ptrIlEEjNS1_19radix_merge_compareILb0ELb0EsNS0_19identity_decomposerEEEEE10hipError_tT0_T1_T2_jT3_P12ihipStream_tbPNSt15iterator_traitsISG_E10value_typeEPNSM_ISH_E10value_typeEPSI_NS1_7vsmem_tEENKUlT_SG_SH_SI_E_clIS7_S7_PlSB_EESF_SV_SG_SH_SI_EUlSV_E0_NS1_11comp_targetILNS1_3genE2ELNS1_11target_archE906ELNS1_3gpuE6ELNS1_3repE0EEENS1_38merge_mergepath_config_static_selectorELNS0_4arch9wavefront6targetE1EEEvSH_.kd
    .uniform_work_group_size: 1
    .uses_dynamic_stack: false
    .vgpr_count:     35
    .vgpr_spill_count: 0
    .wavefront_size: 64
  - .args:
      - .offset:         0
        .size:           64
        .value_kind:     by_value
    .group_segment_fixed_size: 0
    .kernarg_segment_align: 8
    .kernarg_segment_size: 64
    .language:       OpenCL C
    .language_version:
      - 2
      - 0
    .max_flat_workgroup_size: 256
    .name:           _ZN7rocprim17ROCPRIM_400000_NS6detail17trampoline_kernelINS0_14default_configENS1_38merge_sort_block_merge_config_selectorIslEEZZNS1_27merge_sort_block_merge_implIS3_PsN6thrust23THRUST_200600_302600_NS10device_ptrIlEEjNS1_19radix_merge_compareILb0ELb0EsNS0_19identity_decomposerEEEEE10hipError_tT0_T1_T2_jT3_P12ihipStream_tbPNSt15iterator_traitsISG_E10value_typeEPNSM_ISH_E10value_typeEPSI_NS1_7vsmem_tEENKUlT_SG_SH_SI_E_clIS7_S7_PlSB_EESF_SV_SG_SH_SI_EUlSV_E0_NS1_11comp_targetILNS1_3genE9ELNS1_11target_archE1100ELNS1_3gpuE3ELNS1_3repE0EEENS1_38merge_mergepath_config_static_selectorELNS0_4arch9wavefront6targetE1EEEvSH_
    .private_segment_fixed_size: 0
    .sgpr_count:     4
    .sgpr_spill_count: 0
    .symbol:         _ZN7rocprim17ROCPRIM_400000_NS6detail17trampoline_kernelINS0_14default_configENS1_38merge_sort_block_merge_config_selectorIslEEZZNS1_27merge_sort_block_merge_implIS3_PsN6thrust23THRUST_200600_302600_NS10device_ptrIlEEjNS1_19radix_merge_compareILb0ELb0EsNS0_19identity_decomposerEEEEE10hipError_tT0_T1_T2_jT3_P12ihipStream_tbPNSt15iterator_traitsISG_E10value_typeEPNSM_ISH_E10value_typeEPSI_NS1_7vsmem_tEENKUlT_SG_SH_SI_E_clIS7_S7_PlSB_EESF_SV_SG_SH_SI_EUlSV_E0_NS1_11comp_targetILNS1_3genE9ELNS1_11target_archE1100ELNS1_3gpuE3ELNS1_3repE0EEENS1_38merge_mergepath_config_static_selectorELNS0_4arch9wavefront6targetE1EEEvSH_.kd
    .uniform_work_group_size: 1
    .uses_dynamic_stack: false
    .vgpr_count:     0
    .vgpr_spill_count: 0
    .wavefront_size: 64
  - .args:
      - .offset:         0
        .size:           64
        .value_kind:     by_value
    .group_segment_fixed_size: 0
    .kernarg_segment_align: 8
    .kernarg_segment_size: 64
    .language:       OpenCL C
    .language_version:
      - 2
      - 0
    .max_flat_workgroup_size: 512
    .name:           _ZN7rocprim17ROCPRIM_400000_NS6detail17trampoline_kernelINS0_14default_configENS1_38merge_sort_block_merge_config_selectorIslEEZZNS1_27merge_sort_block_merge_implIS3_PsN6thrust23THRUST_200600_302600_NS10device_ptrIlEEjNS1_19radix_merge_compareILb0ELb0EsNS0_19identity_decomposerEEEEE10hipError_tT0_T1_T2_jT3_P12ihipStream_tbPNSt15iterator_traitsISG_E10value_typeEPNSM_ISH_E10value_typeEPSI_NS1_7vsmem_tEENKUlT_SG_SH_SI_E_clIS7_S7_PlSB_EESF_SV_SG_SH_SI_EUlSV_E0_NS1_11comp_targetILNS1_3genE8ELNS1_11target_archE1030ELNS1_3gpuE2ELNS1_3repE0EEENS1_38merge_mergepath_config_static_selectorELNS0_4arch9wavefront6targetE1EEEvSH_
    .private_segment_fixed_size: 0
    .sgpr_count:     4
    .sgpr_spill_count: 0
    .symbol:         _ZN7rocprim17ROCPRIM_400000_NS6detail17trampoline_kernelINS0_14default_configENS1_38merge_sort_block_merge_config_selectorIslEEZZNS1_27merge_sort_block_merge_implIS3_PsN6thrust23THRUST_200600_302600_NS10device_ptrIlEEjNS1_19radix_merge_compareILb0ELb0EsNS0_19identity_decomposerEEEEE10hipError_tT0_T1_T2_jT3_P12ihipStream_tbPNSt15iterator_traitsISG_E10value_typeEPNSM_ISH_E10value_typeEPSI_NS1_7vsmem_tEENKUlT_SG_SH_SI_E_clIS7_S7_PlSB_EESF_SV_SG_SH_SI_EUlSV_E0_NS1_11comp_targetILNS1_3genE8ELNS1_11target_archE1030ELNS1_3gpuE2ELNS1_3repE0EEENS1_38merge_mergepath_config_static_selectorELNS0_4arch9wavefront6targetE1EEEvSH_.kd
    .uniform_work_group_size: 1
    .uses_dynamic_stack: false
    .vgpr_count:     0
    .vgpr_spill_count: 0
    .wavefront_size: 64
  - .args:
      - .offset:         0
        .size:           48
        .value_kind:     by_value
    .group_segment_fixed_size: 0
    .kernarg_segment_align: 8
    .kernarg_segment_size: 48
    .language:       OpenCL C
    .language_version:
      - 2
      - 0
    .max_flat_workgroup_size: 256
    .name:           _ZN7rocprim17ROCPRIM_400000_NS6detail17trampoline_kernelINS0_14default_configENS1_38merge_sort_block_merge_config_selectorIslEEZZNS1_27merge_sort_block_merge_implIS3_PsN6thrust23THRUST_200600_302600_NS10device_ptrIlEEjNS1_19radix_merge_compareILb0ELb0EsNS0_19identity_decomposerEEEEE10hipError_tT0_T1_T2_jT3_P12ihipStream_tbPNSt15iterator_traitsISG_E10value_typeEPNSM_ISH_E10value_typeEPSI_NS1_7vsmem_tEENKUlT_SG_SH_SI_E_clIS7_S7_PlSB_EESF_SV_SG_SH_SI_EUlSV_E1_NS1_11comp_targetILNS1_3genE0ELNS1_11target_archE4294967295ELNS1_3gpuE0ELNS1_3repE0EEENS1_36merge_oddeven_config_static_selectorELNS0_4arch9wavefront6targetE1EEEvSH_
    .private_segment_fixed_size: 0
    .sgpr_count:     4
    .sgpr_spill_count: 0
    .symbol:         _ZN7rocprim17ROCPRIM_400000_NS6detail17trampoline_kernelINS0_14default_configENS1_38merge_sort_block_merge_config_selectorIslEEZZNS1_27merge_sort_block_merge_implIS3_PsN6thrust23THRUST_200600_302600_NS10device_ptrIlEEjNS1_19radix_merge_compareILb0ELb0EsNS0_19identity_decomposerEEEEE10hipError_tT0_T1_T2_jT3_P12ihipStream_tbPNSt15iterator_traitsISG_E10value_typeEPNSM_ISH_E10value_typeEPSI_NS1_7vsmem_tEENKUlT_SG_SH_SI_E_clIS7_S7_PlSB_EESF_SV_SG_SH_SI_EUlSV_E1_NS1_11comp_targetILNS1_3genE0ELNS1_11target_archE4294967295ELNS1_3gpuE0ELNS1_3repE0EEENS1_36merge_oddeven_config_static_selectorELNS0_4arch9wavefront6targetE1EEEvSH_.kd
    .uniform_work_group_size: 1
    .uses_dynamic_stack: false
    .vgpr_count:     0
    .vgpr_spill_count: 0
    .wavefront_size: 64
  - .args:
      - .offset:         0
        .size:           48
        .value_kind:     by_value
    .group_segment_fixed_size: 0
    .kernarg_segment_align: 8
    .kernarg_segment_size: 48
    .language:       OpenCL C
    .language_version:
      - 2
      - 0
    .max_flat_workgroup_size: 256
    .name:           _ZN7rocprim17ROCPRIM_400000_NS6detail17trampoline_kernelINS0_14default_configENS1_38merge_sort_block_merge_config_selectorIslEEZZNS1_27merge_sort_block_merge_implIS3_PsN6thrust23THRUST_200600_302600_NS10device_ptrIlEEjNS1_19radix_merge_compareILb0ELb0EsNS0_19identity_decomposerEEEEE10hipError_tT0_T1_T2_jT3_P12ihipStream_tbPNSt15iterator_traitsISG_E10value_typeEPNSM_ISH_E10value_typeEPSI_NS1_7vsmem_tEENKUlT_SG_SH_SI_E_clIS7_S7_PlSB_EESF_SV_SG_SH_SI_EUlSV_E1_NS1_11comp_targetILNS1_3genE10ELNS1_11target_archE1201ELNS1_3gpuE5ELNS1_3repE0EEENS1_36merge_oddeven_config_static_selectorELNS0_4arch9wavefront6targetE1EEEvSH_
    .private_segment_fixed_size: 0
    .sgpr_count:     4
    .sgpr_spill_count: 0
    .symbol:         _ZN7rocprim17ROCPRIM_400000_NS6detail17trampoline_kernelINS0_14default_configENS1_38merge_sort_block_merge_config_selectorIslEEZZNS1_27merge_sort_block_merge_implIS3_PsN6thrust23THRUST_200600_302600_NS10device_ptrIlEEjNS1_19radix_merge_compareILb0ELb0EsNS0_19identity_decomposerEEEEE10hipError_tT0_T1_T2_jT3_P12ihipStream_tbPNSt15iterator_traitsISG_E10value_typeEPNSM_ISH_E10value_typeEPSI_NS1_7vsmem_tEENKUlT_SG_SH_SI_E_clIS7_S7_PlSB_EESF_SV_SG_SH_SI_EUlSV_E1_NS1_11comp_targetILNS1_3genE10ELNS1_11target_archE1201ELNS1_3gpuE5ELNS1_3repE0EEENS1_36merge_oddeven_config_static_selectorELNS0_4arch9wavefront6targetE1EEEvSH_.kd
    .uniform_work_group_size: 1
    .uses_dynamic_stack: false
    .vgpr_count:     0
    .vgpr_spill_count: 0
    .wavefront_size: 64
  - .args:
      - .offset:         0
        .size:           48
        .value_kind:     by_value
    .group_segment_fixed_size: 0
    .kernarg_segment_align: 8
    .kernarg_segment_size: 48
    .language:       OpenCL C
    .language_version:
      - 2
      - 0
    .max_flat_workgroup_size: 256
    .name:           _ZN7rocprim17ROCPRIM_400000_NS6detail17trampoline_kernelINS0_14default_configENS1_38merge_sort_block_merge_config_selectorIslEEZZNS1_27merge_sort_block_merge_implIS3_PsN6thrust23THRUST_200600_302600_NS10device_ptrIlEEjNS1_19radix_merge_compareILb0ELb0EsNS0_19identity_decomposerEEEEE10hipError_tT0_T1_T2_jT3_P12ihipStream_tbPNSt15iterator_traitsISG_E10value_typeEPNSM_ISH_E10value_typeEPSI_NS1_7vsmem_tEENKUlT_SG_SH_SI_E_clIS7_S7_PlSB_EESF_SV_SG_SH_SI_EUlSV_E1_NS1_11comp_targetILNS1_3genE5ELNS1_11target_archE942ELNS1_3gpuE9ELNS1_3repE0EEENS1_36merge_oddeven_config_static_selectorELNS0_4arch9wavefront6targetE1EEEvSH_
    .private_segment_fixed_size: 0
    .sgpr_count:     4
    .sgpr_spill_count: 0
    .symbol:         _ZN7rocprim17ROCPRIM_400000_NS6detail17trampoline_kernelINS0_14default_configENS1_38merge_sort_block_merge_config_selectorIslEEZZNS1_27merge_sort_block_merge_implIS3_PsN6thrust23THRUST_200600_302600_NS10device_ptrIlEEjNS1_19radix_merge_compareILb0ELb0EsNS0_19identity_decomposerEEEEE10hipError_tT0_T1_T2_jT3_P12ihipStream_tbPNSt15iterator_traitsISG_E10value_typeEPNSM_ISH_E10value_typeEPSI_NS1_7vsmem_tEENKUlT_SG_SH_SI_E_clIS7_S7_PlSB_EESF_SV_SG_SH_SI_EUlSV_E1_NS1_11comp_targetILNS1_3genE5ELNS1_11target_archE942ELNS1_3gpuE9ELNS1_3repE0EEENS1_36merge_oddeven_config_static_selectorELNS0_4arch9wavefront6targetE1EEEvSH_.kd
    .uniform_work_group_size: 1
    .uses_dynamic_stack: false
    .vgpr_count:     0
    .vgpr_spill_count: 0
    .wavefront_size: 64
  - .args:
      - .offset:         0
        .size:           48
        .value_kind:     by_value
    .group_segment_fixed_size: 0
    .kernarg_segment_align: 8
    .kernarg_segment_size: 48
    .language:       OpenCL C
    .language_version:
      - 2
      - 0
    .max_flat_workgroup_size: 256
    .name:           _ZN7rocprim17ROCPRIM_400000_NS6detail17trampoline_kernelINS0_14default_configENS1_38merge_sort_block_merge_config_selectorIslEEZZNS1_27merge_sort_block_merge_implIS3_PsN6thrust23THRUST_200600_302600_NS10device_ptrIlEEjNS1_19radix_merge_compareILb0ELb0EsNS0_19identity_decomposerEEEEE10hipError_tT0_T1_T2_jT3_P12ihipStream_tbPNSt15iterator_traitsISG_E10value_typeEPNSM_ISH_E10value_typeEPSI_NS1_7vsmem_tEENKUlT_SG_SH_SI_E_clIS7_S7_PlSB_EESF_SV_SG_SH_SI_EUlSV_E1_NS1_11comp_targetILNS1_3genE4ELNS1_11target_archE910ELNS1_3gpuE8ELNS1_3repE0EEENS1_36merge_oddeven_config_static_selectorELNS0_4arch9wavefront6targetE1EEEvSH_
    .private_segment_fixed_size: 0
    .sgpr_count:     4
    .sgpr_spill_count: 0
    .symbol:         _ZN7rocprim17ROCPRIM_400000_NS6detail17trampoline_kernelINS0_14default_configENS1_38merge_sort_block_merge_config_selectorIslEEZZNS1_27merge_sort_block_merge_implIS3_PsN6thrust23THRUST_200600_302600_NS10device_ptrIlEEjNS1_19radix_merge_compareILb0ELb0EsNS0_19identity_decomposerEEEEE10hipError_tT0_T1_T2_jT3_P12ihipStream_tbPNSt15iterator_traitsISG_E10value_typeEPNSM_ISH_E10value_typeEPSI_NS1_7vsmem_tEENKUlT_SG_SH_SI_E_clIS7_S7_PlSB_EESF_SV_SG_SH_SI_EUlSV_E1_NS1_11comp_targetILNS1_3genE4ELNS1_11target_archE910ELNS1_3gpuE8ELNS1_3repE0EEENS1_36merge_oddeven_config_static_selectorELNS0_4arch9wavefront6targetE1EEEvSH_.kd
    .uniform_work_group_size: 1
    .uses_dynamic_stack: false
    .vgpr_count:     0
    .vgpr_spill_count: 0
    .wavefront_size: 64
  - .args:
      - .offset:         0
        .size:           48
        .value_kind:     by_value
    .group_segment_fixed_size: 0
    .kernarg_segment_align: 8
    .kernarg_segment_size: 48
    .language:       OpenCL C
    .language_version:
      - 2
      - 0
    .max_flat_workgroup_size: 256
    .name:           _ZN7rocprim17ROCPRIM_400000_NS6detail17trampoline_kernelINS0_14default_configENS1_38merge_sort_block_merge_config_selectorIslEEZZNS1_27merge_sort_block_merge_implIS3_PsN6thrust23THRUST_200600_302600_NS10device_ptrIlEEjNS1_19radix_merge_compareILb0ELb0EsNS0_19identity_decomposerEEEEE10hipError_tT0_T1_T2_jT3_P12ihipStream_tbPNSt15iterator_traitsISG_E10value_typeEPNSM_ISH_E10value_typeEPSI_NS1_7vsmem_tEENKUlT_SG_SH_SI_E_clIS7_S7_PlSB_EESF_SV_SG_SH_SI_EUlSV_E1_NS1_11comp_targetILNS1_3genE3ELNS1_11target_archE908ELNS1_3gpuE7ELNS1_3repE0EEENS1_36merge_oddeven_config_static_selectorELNS0_4arch9wavefront6targetE1EEEvSH_
    .private_segment_fixed_size: 0
    .sgpr_count:     4
    .sgpr_spill_count: 0
    .symbol:         _ZN7rocprim17ROCPRIM_400000_NS6detail17trampoline_kernelINS0_14default_configENS1_38merge_sort_block_merge_config_selectorIslEEZZNS1_27merge_sort_block_merge_implIS3_PsN6thrust23THRUST_200600_302600_NS10device_ptrIlEEjNS1_19radix_merge_compareILb0ELb0EsNS0_19identity_decomposerEEEEE10hipError_tT0_T1_T2_jT3_P12ihipStream_tbPNSt15iterator_traitsISG_E10value_typeEPNSM_ISH_E10value_typeEPSI_NS1_7vsmem_tEENKUlT_SG_SH_SI_E_clIS7_S7_PlSB_EESF_SV_SG_SH_SI_EUlSV_E1_NS1_11comp_targetILNS1_3genE3ELNS1_11target_archE908ELNS1_3gpuE7ELNS1_3repE0EEENS1_36merge_oddeven_config_static_selectorELNS0_4arch9wavefront6targetE1EEEvSH_.kd
    .uniform_work_group_size: 1
    .uses_dynamic_stack: false
    .vgpr_count:     0
    .vgpr_spill_count: 0
    .wavefront_size: 64
  - .args:
      - .offset:         0
        .size:           48
        .value_kind:     by_value
    .group_segment_fixed_size: 0
    .kernarg_segment_align: 8
    .kernarg_segment_size: 48
    .language:       OpenCL C
    .language_version:
      - 2
      - 0
    .max_flat_workgroup_size: 256
    .name:           _ZN7rocprim17ROCPRIM_400000_NS6detail17trampoline_kernelINS0_14default_configENS1_38merge_sort_block_merge_config_selectorIslEEZZNS1_27merge_sort_block_merge_implIS3_PsN6thrust23THRUST_200600_302600_NS10device_ptrIlEEjNS1_19radix_merge_compareILb0ELb0EsNS0_19identity_decomposerEEEEE10hipError_tT0_T1_T2_jT3_P12ihipStream_tbPNSt15iterator_traitsISG_E10value_typeEPNSM_ISH_E10value_typeEPSI_NS1_7vsmem_tEENKUlT_SG_SH_SI_E_clIS7_S7_PlSB_EESF_SV_SG_SH_SI_EUlSV_E1_NS1_11comp_targetILNS1_3genE2ELNS1_11target_archE906ELNS1_3gpuE6ELNS1_3repE0EEENS1_36merge_oddeven_config_static_selectorELNS0_4arch9wavefront6targetE1EEEvSH_
    .private_segment_fixed_size: 0
    .sgpr_count:     26
    .sgpr_spill_count: 0
    .symbol:         _ZN7rocprim17ROCPRIM_400000_NS6detail17trampoline_kernelINS0_14default_configENS1_38merge_sort_block_merge_config_selectorIslEEZZNS1_27merge_sort_block_merge_implIS3_PsN6thrust23THRUST_200600_302600_NS10device_ptrIlEEjNS1_19radix_merge_compareILb0ELb0EsNS0_19identity_decomposerEEEEE10hipError_tT0_T1_T2_jT3_P12ihipStream_tbPNSt15iterator_traitsISG_E10value_typeEPNSM_ISH_E10value_typeEPSI_NS1_7vsmem_tEENKUlT_SG_SH_SI_E_clIS7_S7_PlSB_EESF_SV_SG_SH_SI_EUlSV_E1_NS1_11comp_targetILNS1_3genE2ELNS1_11target_archE906ELNS1_3gpuE6ELNS1_3repE0EEENS1_36merge_oddeven_config_static_selectorELNS0_4arch9wavefront6targetE1EEEvSH_.kd
    .uniform_work_group_size: 1
    .uses_dynamic_stack: false
    .vgpr_count:     10
    .vgpr_spill_count: 0
    .wavefront_size: 64
  - .args:
      - .offset:         0
        .size:           48
        .value_kind:     by_value
    .group_segment_fixed_size: 0
    .kernarg_segment_align: 8
    .kernarg_segment_size: 48
    .language:       OpenCL C
    .language_version:
      - 2
      - 0
    .max_flat_workgroup_size: 256
    .name:           _ZN7rocprim17ROCPRIM_400000_NS6detail17trampoline_kernelINS0_14default_configENS1_38merge_sort_block_merge_config_selectorIslEEZZNS1_27merge_sort_block_merge_implIS3_PsN6thrust23THRUST_200600_302600_NS10device_ptrIlEEjNS1_19radix_merge_compareILb0ELb0EsNS0_19identity_decomposerEEEEE10hipError_tT0_T1_T2_jT3_P12ihipStream_tbPNSt15iterator_traitsISG_E10value_typeEPNSM_ISH_E10value_typeEPSI_NS1_7vsmem_tEENKUlT_SG_SH_SI_E_clIS7_S7_PlSB_EESF_SV_SG_SH_SI_EUlSV_E1_NS1_11comp_targetILNS1_3genE9ELNS1_11target_archE1100ELNS1_3gpuE3ELNS1_3repE0EEENS1_36merge_oddeven_config_static_selectorELNS0_4arch9wavefront6targetE1EEEvSH_
    .private_segment_fixed_size: 0
    .sgpr_count:     4
    .sgpr_spill_count: 0
    .symbol:         _ZN7rocprim17ROCPRIM_400000_NS6detail17trampoline_kernelINS0_14default_configENS1_38merge_sort_block_merge_config_selectorIslEEZZNS1_27merge_sort_block_merge_implIS3_PsN6thrust23THRUST_200600_302600_NS10device_ptrIlEEjNS1_19radix_merge_compareILb0ELb0EsNS0_19identity_decomposerEEEEE10hipError_tT0_T1_T2_jT3_P12ihipStream_tbPNSt15iterator_traitsISG_E10value_typeEPNSM_ISH_E10value_typeEPSI_NS1_7vsmem_tEENKUlT_SG_SH_SI_E_clIS7_S7_PlSB_EESF_SV_SG_SH_SI_EUlSV_E1_NS1_11comp_targetILNS1_3genE9ELNS1_11target_archE1100ELNS1_3gpuE3ELNS1_3repE0EEENS1_36merge_oddeven_config_static_selectorELNS0_4arch9wavefront6targetE1EEEvSH_.kd
    .uniform_work_group_size: 1
    .uses_dynamic_stack: false
    .vgpr_count:     0
    .vgpr_spill_count: 0
    .wavefront_size: 64
  - .args:
      - .offset:         0
        .size:           48
        .value_kind:     by_value
    .group_segment_fixed_size: 0
    .kernarg_segment_align: 8
    .kernarg_segment_size: 48
    .language:       OpenCL C
    .language_version:
      - 2
      - 0
    .max_flat_workgroup_size: 256
    .name:           _ZN7rocprim17ROCPRIM_400000_NS6detail17trampoline_kernelINS0_14default_configENS1_38merge_sort_block_merge_config_selectorIslEEZZNS1_27merge_sort_block_merge_implIS3_PsN6thrust23THRUST_200600_302600_NS10device_ptrIlEEjNS1_19radix_merge_compareILb0ELb0EsNS0_19identity_decomposerEEEEE10hipError_tT0_T1_T2_jT3_P12ihipStream_tbPNSt15iterator_traitsISG_E10value_typeEPNSM_ISH_E10value_typeEPSI_NS1_7vsmem_tEENKUlT_SG_SH_SI_E_clIS7_S7_PlSB_EESF_SV_SG_SH_SI_EUlSV_E1_NS1_11comp_targetILNS1_3genE8ELNS1_11target_archE1030ELNS1_3gpuE2ELNS1_3repE0EEENS1_36merge_oddeven_config_static_selectorELNS0_4arch9wavefront6targetE1EEEvSH_
    .private_segment_fixed_size: 0
    .sgpr_count:     4
    .sgpr_spill_count: 0
    .symbol:         _ZN7rocprim17ROCPRIM_400000_NS6detail17trampoline_kernelINS0_14default_configENS1_38merge_sort_block_merge_config_selectorIslEEZZNS1_27merge_sort_block_merge_implIS3_PsN6thrust23THRUST_200600_302600_NS10device_ptrIlEEjNS1_19radix_merge_compareILb0ELb0EsNS0_19identity_decomposerEEEEE10hipError_tT0_T1_T2_jT3_P12ihipStream_tbPNSt15iterator_traitsISG_E10value_typeEPNSM_ISH_E10value_typeEPSI_NS1_7vsmem_tEENKUlT_SG_SH_SI_E_clIS7_S7_PlSB_EESF_SV_SG_SH_SI_EUlSV_E1_NS1_11comp_targetILNS1_3genE8ELNS1_11target_archE1030ELNS1_3gpuE2ELNS1_3repE0EEENS1_36merge_oddeven_config_static_selectorELNS0_4arch9wavefront6targetE1EEEvSH_.kd
    .uniform_work_group_size: 1
    .uses_dynamic_stack: false
    .vgpr_count:     0
    .vgpr_spill_count: 0
    .wavefront_size: 64
  - .args:
      - .offset:         0
        .size:           40
        .value_kind:     by_value
    .group_segment_fixed_size: 0
    .kernarg_segment_align: 8
    .kernarg_segment_size: 40
    .language:       OpenCL C
    .language_version:
      - 2
      - 0
    .max_flat_workgroup_size: 128
    .name:           _ZN7rocprim17ROCPRIM_400000_NS6detail17trampoline_kernelINS0_14default_configENS1_38merge_sort_block_merge_config_selectorIslEEZZNS1_27merge_sort_block_merge_implIS3_PsN6thrust23THRUST_200600_302600_NS10device_ptrIlEEjNS1_19radix_merge_compareILb0ELb0EsNS0_19identity_decomposerEEEEE10hipError_tT0_T1_T2_jT3_P12ihipStream_tbPNSt15iterator_traitsISG_E10value_typeEPNSM_ISH_E10value_typeEPSI_NS1_7vsmem_tEENKUlT_SG_SH_SI_E_clIS7_S7_SB_PlEESF_SV_SG_SH_SI_EUlSV_E_NS1_11comp_targetILNS1_3genE0ELNS1_11target_archE4294967295ELNS1_3gpuE0ELNS1_3repE0EEENS1_48merge_mergepath_partition_config_static_selectorELNS0_4arch9wavefront6targetE1EEEvSH_
    .private_segment_fixed_size: 0
    .sgpr_count:     4
    .sgpr_spill_count: 0
    .symbol:         _ZN7rocprim17ROCPRIM_400000_NS6detail17trampoline_kernelINS0_14default_configENS1_38merge_sort_block_merge_config_selectorIslEEZZNS1_27merge_sort_block_merge_implIS3_PsN6thrust23THRUST_200600_302600_NS10device_ptrIlEEjNS1_19radix_merge_compareILb0ELb0EsNS0_19identity_decomposerEEEEE10hipError_tT0_T1_T2_jT3_P12ihipStream_tbPNSt15iterator_traitsISG_E10value_typeEPNSM_ISH_E10value_typeEPSI_NS1_7vsmem_tEENKUlT_SG_SH_SI_E_clIS7_S7_SB_PlEESF_SV_SG_SH_SI_EUlSV_E_NS1_11comp_targetILNS1_3genE0ELNS1_11target_archE4294967295ELNS1_3gpuE0ELNS1_3repE0EEENS1_48merge_mergepath_partition_config_static_selectorELNS0_4arch9wavefront6targetE1EEEvSH_.kd
    .uniform_work_group_size: 1
    .uses_dynamic_stack: false
    .vgpr_count:     0
    .vgpr_spill_count: 0
    .wavefront_size: 64
  - .args:
      - .offset:         0
        .size:           40
        .value_kind:     by_value
    .group_segment_fixed_size: 0
    .kernarg_segment_align: 8
    .kernarg_segment_size: 40
    .language:       OpenCL C
    .language_version:
      - 2
      - 0
    .max_flat_workgroup_size: 128
    .name:           _ZN7rocprim17ROCPRIM_400000_NS6detail17trampoline_kernelINS0_14default_configENS1_38merge_sort_block_merge_config_selectorIslEEZZNS1_27merge_sort_block_merge_implIS3_PsN6thrust23THRUST_200600_302600_NS10device_ptrIlEEjNS1_19radix_merge_compareILb0ELb0EsNS0_19identity_decomposerEEEEE10hipError_tT0_T1_T2_jT3_P12ihipStream_tbPNSt15iterator_traitsISG_E10value_typeEPNSM_ISH_E10value_typeEPSI_NS1_7vsmem_tEENKUlT_SG_SH_SI_E_clIS7_S7_SB_PlEESF_SV_SG_SH_SI_EUlSV_E_NS1_11comp_targetILNS1_3genE10ELNS1_11target_archE1201ELNS1_3gpuE5ELNS1_3repE0EEENS1_48merge_mergepath_partition_config_static_selectorELNS0_4arch9wavefront6targetE1EEEvSH_
    .private_segment_fixed_size: 0
    .sgpr_count:     4
    .sgpr_spill_count: 0
    .symbol:         _ZN7rocprim17ROCPRIM_400000_NS6detail17trampoline_kernelINS0_14default_configENS1_38merge_sort_block_merge_config_selectorIslEEZZNS1_27merge_sort_block_merge_implIS3_PsN6thrust23THRUST_200600_302600_NS10device_ptrIlEEjNS1_19radix_merge_compareILb0ELb0EsNS0_19identity_decomposerEEEEE10hipError_tT0_T1_T2_jT3_P12ihipStream_tbPNSt15iterator_traitsISG_E10value_typeEPNSM_ISH_E10value_typeEPSI_NS1_7vsmem_tEENKUlT_SG_SH_SI_E_clIS7_S7_SB_PlEESF_SV_SG_SH_SI_EUlSV_E_NS1_11comp_targetILNS1_3genE10ELNS1_11target_archE1201ELNS1_3gpuE5ELNS1_3repE0EEENS1_48merge_mergepath_partition_config_static_selectorELNS0_4arch9wavefront6targetE1EEEvSH_.kd
    .uniform_work_group_size: 1
    .uses_dynamic_stack: false
    .vgpr_count:     0
    .vgpr_spill_count: 0
    .wavefront_size: 64
  - .args:
      - .offset:         0
        .size:           40
        .value_kind:     by_value
    .group_segment_fixed_size: 0
    .kernarg_segment_align: 8
    .kernarg_segment_size: 40
    .language:       OpenCL C
    .language_version:
      - 2
      - 0
    .max_flat_workgroup_size: 128
    .name:           _ZN7rocprim17ROCPRIM_400000_NS6detail17trampoline_kernelINS0_14default_configENS1_38merge_sort_block_merge_config_selectorIslEEZZNS1_27merge_sort_block_merge_implIS3_PsN6thrust23THRUST_200600_302600_NS10device_ptrIlEEjNS1_19radix_merge_compareILb0ELb0EsNS0_19identity_decomposerEEEEE10hipError_tT0_T1_T2_jT3_P12ihipStream_tbPNSt15iterator_traitsISG_E10value_typeEPNSM_ISH_E10value_typeEPSI_NS1_7vsmem_tEENKUlT_SG_SH_SI_E_clIS7_S7_SB_PlEESF_SV_SG_SH_SI_EUlSV_E_NS1_11comp_targetILNS1_3genE5ELNS1_11target_archE942ELNS1_3gpuE9ELNS1_3repE0EEENS1_48merge_mergepath_partition_config_static_selectorELNS0_4arch9wavefront6targetE1EEEvSH_
    .private_segment_fixed_size: 0
    .sgpr_count:     4
    .sgpr_spill_count: 0
    .symbol:         _ZN7rocprim17ROCPRIM_400000_NS6detail17trampoline_kernelINS0_14default_configENS1_38merge_sort_block_merge_config_selectorIslEEZZNS1_27merge_sort_block_merge_implIS3_PsN6thrust23THRUST_200600_302600_NS10device_ptrIlEEjNS1_19radix_merge_compareILb0ELb0EsNS0_19identity_decomposerEEEEE10hipError_tT0_T1_T2_jT3_P12ihipStream_tbPNSt15iterator_traitsISG_E10value_typeEPNSM_ISH_E10value_typeEPSI_NS1_7vsmem_tEENKUlT_SG_SH_SI_E_clIS7_S7_SB_PlEESF_SV_SG_SH_SI_EUlSV_E_NS1_11comp_targetILNS1_3genE5ELNS1_11target_archE942ELNS1_3gpuE9ELNS1_3repE0EEENS1_48merge_mergepath_partition_config_static_selectorELNS0_4arch9wavefront6targetE1EEEvSH_.kd
    .uniform_work_group_size: 1
    .uses_dynamic_stack: false
    .vgpr_count:     0
    .vgpr_spill_count: 0
    .wavefront_size: 64
  - .args:
      - .offset:         0
        .size:           40
        .value_kind:     by_value
    .group_segment_fixed_size: 0
    .kernarg_segment_align: 8
    .kernarg_segment_size: 40
    .language:       OpenCL C
    .language_version:
      - 2
      - 0
    .max_flat_workgroup_size: 128
    .name:           _ZN7rocprim17ROCPRIM_400000_NS6detail17trampoline_kernelINS0_14default_configENS1_38merge_sort_block_merge_config_selectorIslEEZZNS1_27merge_sort_block_merge_implIS3_PsN6thrust23THRUST_200600_302600_NS10device_ptrIlEEjNS1_19radix_merge_compareILb0ELb0EsNS0_19identity_decomposerEEEEE10hipError_tT0_T1_T2_jT3_P12ihipStream_tbPNSt15iterator_traitsISG_E10value_typeEPNSM_ISH_E10value_typeEPSI_NS1_7vsmem_tEENKUlT_SG_SH_SI_E_clIS7_S7_SB_PlEESF_SV_SG_SH_SI_EUlSV_E_NS1_11comp_targetILNS1_3genE4ELNS1_11target_archE910ELNS1_3gpuE8ELNS1_3repE0EEENS1_48merge_mergepath_partition_config_static_selectorELNS0_4arch9wavefront6targetE1EEEvSH_
    .private_segment_fixed_size: 0
    .sgpr_count:     4
    .sgpr_spill_count: 0
    .symbol:         _ZN7rocprim17ROCPRIM_400000_NS6detail17trampoline_kernelINS0_14default_configENS1_38merge_sort_block_merge_config_selectorIslEEZZNS1_27merge_sort_block_merge_implIS3_PsN6thrust23THRUST_200600_302600_NS10device_ptrIlEEjNS1_19radix_merge_compareILb0ELb0EsNS0_19identity_decomposerEEEEE10hipError_tT0_T1_T2_jT3_P12ihipStream_tbPNSt15iterator_traitsISG_E10value_typeEPNSM_ISH_E10value_typeEPSI_NS1_7vsmem_tEENKUlT_SG_SH_SI_E_clIS7_S7_SB_PlEESF_SV_SG_SH_SI_EUlSV_E_NS1_11comp_targetILNS1_3genE4ELNS1_11target_archE910ELNS1_3gpuE8ELNS1_3repE0EEENS1_48merge_mergepath_partition_config_static_selectorELNS0_4arch9wavefront6targetE1EEEvSH_.kd
    .uniform_work_group_size: 1
    .uses_dynamic_stack: false
    .vgpr_count:     0
    .vgpr_spill_count: 0
    .wavefront_size: 64
  - .args:
      - .offset:         0
        .size:           40
        .value_kind:     by_value
    .group_segment_fixed_size: 0
    .kernarg_segment_align: 8
    .kernarg_segment_size: 40
    .language:       OpenCL C
    .language_version:
      - 2
      - 0
    .max_flat_workgroup_size: 128
    .name:           _ZN7rocprim17ROCPRIM_400000_NS6detail17trampoline_kernelINS0_14default_configENS1_38merge_sort_block_merge_config_selectorIslEEZZNS1_27merge_sort_block_merge_implIS3_PsN6thrust23THRUST_200600_302600_NS10device_ptrIlEEjNS1_19radix_merge_compareILb0ELb0EsNS0_19identity_decomposerEEEEE10hipError_tT0_T1_T2_jT3_P12ihipStream_tbPNSt15iterator_traitsISG_E10value_typeEPNSM_ISH_E10value_typeEPSI_NS1_7vsmem_tEENKUlT_SG_SH_SI_E_clIS7_S7_SB_PlEESF_SV_SG_SH_SI_EUlSV_E_NS1_11comp_targetILNS1_3genE3ELNS1_11target_archE908ELNS1_3gpuE7ELNS1_3repE0EEENS1_48merge_mergepath_partition_config_static_selectorELNS0_4arch9wavefront6targetE1EEEvSH_
    .private_segment_fixed_size: 0
    .sgpr_count:     4
    .sgpr_spill_count: 0
    .symbol:         _ZN7rocprim17ROCPRIM_400000_NS6detail17trampoline_kernelINS0_14default_configENS1_38merge_sort_block_merge_config_selectorIslEEZZNS1_27merge_sort_block_merge_implIS3_PsN6thrust23THRUST_200600_302600_NS10device_ptrIlEEjNS1_19radix_merge_compareILb0ELb0EsNS0_19identity_decomposerEEEEE10hipError_tT0_T1_T2_jT3_P12ihipStream_tbPNSt15iterator_traitsISG_E10value_typeEPNSM_ISH_E10value_typeEPSI_NS1_7vsmem_tEENKUlT_SG_SH_SI_E_clIS7_S7_SB_PlEESF_SV_SG_SH_SI_EUlSV_E_NS1_11comp_targetILNS1_3genE3ELNS1_11target_archE908ELNS1_3gpuE7ELNS1_3repE0EEENS1_48merge_mergepath_partition_config_static_selectorELNS0_4arch9wavefront6targetE1EEEvSH_.kd
    .uniform_work_group_size: 1
    .uses_dynamic_stack: false
    .vgpr_count:     0
    .vgpr_spill_count: 0
    .wavefront_size: 64
  - .args:
      - .offset:         0
        .size:           40
        .value_kind:     by_value
    .group_segment_fixed_size: 0
    .kernarg_segment_align: 8
    .kernarg_segment_size: 40
    .language:       OpenCL C
    .language_version:
      - 2
      - 0
    .max_flat_workgroup_size: 128
    .name:           _ZN7rocprim17ROCPRIM_400000_NS6detail17trampoline_kernelINS0_14default_configENS1_38merge_sort_block_merge_config_selectorIslEEZZNS1_27merge_sort_block_merge_implIS3_PsN6thrust23THRUST_200600_302600_NS10device_ptrIlEEjNS1_19radix_merge_compareILb0ELb0EsNS0_19identity_decomposerEEEEE10hipError_tT0_T1_T2_jT3_P12ihipStream_tbPNSt15iterator_traitsISG_E10value_typeEPNSM_ISH_E10value_typeEPSI_NS1_7vsmem_tEENKUlT_SG_SH_SI_E_clIS7_S7_SB_PlEESF_SV_SG_SH_SI_EUlSV_E_NS1_11comp_targetILNS1_3genE2ELNS1_11target_archE906ELNS1_3gpuE6ELNS1_3repE0EEENS1_48merge_mergepath_partition_config_static_selectorELNS0_4arch9wavefront6targetE1EEEvSH_
    .private_segment_fixed_size: 0
    .sgpr_count:     12
    .sgpr_spill_count: 0
    .symbol:         _ZN7rocprim17ROCPRIM_400000_NS6detail17trampoline_kernelINS0_14default_configENS1_38merge_sort_block_merge_config_selectorIslEEZZNS1_27merge_sort_block_merge_implIS3_PsN6thrust23THRUST_200600_302600_NS10device_ptrIlEEjNS1_19radix_merge_compareILb0ELb0EsNS0_19identity_decomposerEEEEE10hipError_tT0_T1_T2_jT3_P12ihipStream_tbPNSt15iterator_traitsISG_E10value_typeEPNSM_ISH_E10value_typeEPSI_NS1_7vsmem_tEENKUlT_SG_SH_SI_E_clIS7_S7_SB_PlEESF_SV_SG_SH_SI_EUlSV_E_NS1_11comp_targetILNS1_3genE2ELNS1_11target_archE906ELNS1_3gpuE6ELNS1_3repE0EEENS1_48merge_mergepath_partition_config_static_selectorELNS0_4arch9wavefront6targetE1EEEvSH_.kd
    .uniform_work_group_size: 1
    .uses_dynamic_stack: false
    .vgpr_count:     15
    .vgpr_spill_count: 0
    .wavefront_size: 64
  - .args:
      - .offset:         0
        .size:           40
        .value_kind:     by_value
    .group_segment_fixed_size: 0
    .kernarg_segment_align: 8
    .kernarg_segment_size: 40
    .language:       OpenCL C
    .language_version:
      - 2
      - 0
    .max_flat_workgroup_size: 128
    .name:           _ZN7rocprim17ROCPRIM_400000_NS6detail17trampoline_kernelINS0_14default_configENS1_38merge_sort_block_merge_config_selectorIslEEZZNS1_27merge_sort_block_merge_implIS3_PsN6thrust23THRUST_200600_302600_NS10device_ptrIlEEjNS1_19radix_merge_compareILb0ELb0EsNS0_19identity_decomposerEEEEE10hipError_tT0_T1_T2_jT3_P12ihipStream_tbPNSt15iterator_traitsISG_E10value_typeEPNSM_ISH_E10value_typeEPSI_NS1_7vsmem_tEENKUlT_SG_SH_SI_E_clIS7_S7_SB_PlEESF_SV_SG_SH_SI_EUlSV_E_NS1_11comp_targetILNS1_3genE9ELNS1_11target_archE1100ELNS1_3gpuE3ELNS1_3repE0EEENS1_48merge_mergepath_partition_config_static_selectorELNS0_4arch9wavefront6targetE1EEEvSH_
    .private_segment_fixed_size: 0
    .sgpr_count:     4
    .sgpr_spill_count: 0
    .symbol:         _ZN7rocprim17ROCPRIM_400000_NS6detail17trampoline_kernelINS0_14default_configENS1_38merge_sort_block_merge_config_selectorIslEEZZNS1_27merge_sort_block_merge_implIS3_PsN6thrust23THRUST_200600_302600_NS10device_ptrIlEEjNS1_19radix_merge_compareILb0ELb0EsNS0_19identity_decomposerEEEEE10hipError_tT0_T1_T2_jT3_P12ihipStream_tbPNSt15iterator_traitsISG_E10value_typeEPNSM_ISH_E10value_typeEPSI_NS1_7vsmem_tEENKUlT_SG_SH_SI_E_clIS7_S7_SB_PlEESF_SV_SG_SH_SI_EUlSV_E_NS1_11comp_targetILNS1_3genE9ELNS1_11target_archE1100ELNS1_3gpuE3ELNS1_3repE0EEENS1_48merge_mergepath_partition_config_static_selectorELNS0_4arch9wavefront6targetE1EEEvSH_.kd
    .uniform_work_group_size: 1
    .uses_dynamic_stack: false
    .vgpr_count:     0
    .vgpr_spill_count: 0
    .wavefront_size: 64
  - .args:
      - .offset:         0
        .size:           40
        .value_kind:     by_value
    .group_segment_fixed_size: 0
    .kernarg_segment_align: 8
    .kernarg_segment_size: 40
    .language:       OpenCL C
    .language_version:
      - 2
      - 0
    .max_flat_workgroup_size: 128
    .name:           _ZN7rocprim17ROCPRIM_400000_NS6detail17trampoline_kernelINS0_14default_configENS1_38merge_sort_block_merge_config_selectorIslEEZZNS1_27merge_sort_block_merge_implIS3_PsN6thrust23THRUST_200600_302600_NS10device_ptrIlEEjNS1_19radix_merge_compareILb0ELb0EsNS0_19identity_decomposerEEEEE10hipError_tT0_T1_T2_jT3_P12ihipStream_tbPNSt15iterator_traitsISG_E10value_typeEPNSM_ISH_E10value_typeEPSI_NS1_7vsmem_tEENKUlT_SG_SH_SI_E_clIS7_S7_SB_PlEESF_SV_SG_SH_SI_EUlSV_E_NS1_11comp_targetILNS1_3genE8ELNS1_11target_archE1030ELNS1_3gpuE2ELNS1_3repE0EEENS1_48merge_mergepath_partition_config_static_selectorELNS0_4arch9wavefront6targetE1EEEvSH_
    .private_segment_fixed_size: 0
    .sgpr_count:     4
    .sgpr_spill_count: 0
    .symbol:         _ZN7rocprim17ROCPRIM_400000_NS6detail17trampoline_kernelINS0_14default_configENS1_38merge_sort_block_merge_config_selectorIslEEZZNS1_27merge_sort_block_merge_implIS3_PsN6thrust23THRUST_200600_302600_NS10device_ptrIlEEjNS1_19radix_merge_compareILb0ELb0EsNS0_19identity_decomposerEEEEE10hipError_tT0_T1_T2_jT3_P12ihipStream_tbPNSt15iterator_traitsISG_E10value_typeEPNSM_ISH_E10value_typeEPSI_NS1_7vsmem_tEENKUlT_SG_SH_SI_E_clIS7_S7_SB_PlEESF_SV_SG_SH_SI_EUlSV_E_NS1_11comp_targetILNS1_3genE8ELNS1_11target_archE1030ELNS1_3gpuE2ELNS1_3repE0EEENS1_48merge_mergepath_partition_config_static_selectorELNS0_4arch9wavefront6targetE1EEEvSH_.kd
    .uniform_work_group_size: 1
    .uses_dynamic_stack: false
    .vgpr_count:     0
    .vgpr_spill_count: 0
    .wavefront_size: 64
  - .args:
      - .offset:         0
        .size:           64
        .value_kind:     by_value
    .group_segment_fixed_size: 0
    .kernarg_segment_align: 8
    .kernarg_segment_size: 64
    .language:       OpenCL C
    .language_version:
      - 2
      - 0
    .max_flat_workgroup_size: 256
    .name:           _ZN7rocprim17ROCPRIM_400000_NS6detail17trampoline_kernelINS0_14default_configENS1_38merge_sort_block_merge_config_selectorIslEEZZNS1_27merge_sort_block_merge_implIS3_PsN6thrust23THRUST_200600_302600_NS10device_ptrIlEEjNS1_19radix_merge_compareILb0ELb0EsNS0_19identity_decomposerEEEEE10hipError_tT0_T1_T2_jT3_P12ihipStream_tbPNSt15iterator_traitsISG_E10value_typeEPNSM_ISH_E10value_typeEPSI_NS1_7vsmem_tEENKUlT_SG_SH_SI_E_clIS7_S7_SB_PlEESF_SV_SG_SH_SI_EUlSV_E0_NS1_11comp_targetILNS1_3genE0ELNS1_11target_archE4294967295ELNS1_3gpuE0ELNS1_3repE0EEENS1_38merge_mergepath_config_static_selectorELNS0_4arch9wavefront6targetE1EEEvSH_
    .private_segment_fixed_size: 0
    .sgpr_count:     4
    .sgpr_spill_count: 0
    .symbol:         _ZN7rocprim17ROCPRIM_400000_NS6detail17trampoline_kernelINS0_14default_configENS1_38merge_sort_block_merge_config_selectorIslEEZZNS1_27merge_sort_block_merge_implIS3_PsN6thrust23THRUST_200600_302600_NS10device_ptrIlEEjNS1_19radix_merge_compareILb0ELb0EsNS0_19identity_decomposerEEEEE10hipError_tT0_T1_T2_jT3_P12ihipStream_tbPNSt15iterator_traitsISG_E10value_typeEPNSM_ISH_E10value_typeEPSI_NS1_7vsmem_tEENKUlT_SG_SH_SI_E_clIS7_S7_SB_PlEESF_SV_SG_SH_SI_EUlSV_E0_NS1_11comp_targetILNS1_3genE0ELNS1_11target_archE4294967295ELNS1_3gpuE0ELNS1_3repE0EEENS1_38merge_mergepath_config_static_selectorELNS0_4arch9wavefront6targetE1EEEvSH_.kd
    .uniform_work_group_size: 1
    .uses_dynamic_stack: false
    .vgpr_count:     0
    .vgpr_spill_count: 0
    .wavefront_size: 64
  - .args:
      - .offset:         0
        .size:           64
        .value_kind:     by_value
    .group_segment_fixed_size: 0
    .kernarg_segment_align: 8
    .kernarg_segment_size: 64
    .language:       OpenCL C
    .language_version:
      - 2
      - 0
    .max_flat_workgroup_size: 512
    .name:           _ZN7rocprim17ROCPRIM_400000_NS6detail17trampoline_kernelINS0_14default_configENS1_38merge_sort_block_merge_config_selectorIslEEZZNS1_27merge_sort_block_merge_implIS3_PsN6thrust23THRUST_200600_302600_NS10device_ptrIlEEjNS1_19radix_merge_compareILb0ELb0EsNS0_19identity_decomposerEEEEE10hipError_tT0_T1_T2_jT3_P12ihipStream_tbPNSt15iterator_traitsISG_E10value_typeEPNSM_ISH_E10value_typeEPSI_NS1_7vsmem_tEENKUlT_SG_SH_SI_E_clIS7_S7_SB_PlEESF_SV_SG_SH_SI_EUlSV_E0_NS1_11comp_targetILNS1_3genE10ELNS1_11target_archE1201ELNS1_3gpuE5ELNS1_3repE0EEENS1_38merge_mergepath_config_static_selectorELNS0_4arch9wavefront6targetE1EEEvSH_
    .private_segment_fixed_size: 0
    .sgpr_count:     4
    .sgpr_spill_count: 0
    .symbol:         _ZN7rocprim17ROCPRIM_400000_NS6detail17trampoline_kernelINS0_14default_configENS1_38merge_sort_block_merge_config_selectorIslEEZZNS1_27merge_sort_block_merge_implIS3_PsN6thrust23THRUST_200600_302600_NS10device_ptrIlEEjNS1_19radix_merge_compareILb0ELb0EsNS0_19identity_decomposerEEEEE10hipError_tT0_T1_T2_jT3_P12ihipStream_tbPNSt15iterator_traitsISG_E10value_typeEPNSM_ISH_E10value_typeEPSI_NS1_7vsmem_tEENKUlT_SG_SH_SI_E_clIS7_S7_SB_PlEESF_SV_SG_SH_SI_EUlSV_E0_NS1_11comp_targetILNS1_3genE10ELNS1_11target_archE1201ELNS1_3gpuE5ELNS1_3repE0EEENS1_38merge_mergepath_config_static_selectorELNS0_4arch9wavefront6targetE1EEEvSH_.kd
    .uniform_work_group_size: 1
    .uses_dynamic_stack: false
    .vgpr_count:     0
    .vgpr_spill_count: 0
    .wavefront_size: 64
  - .args:
      - .offset:         0
        .size:           64
        .value_kind:     by_value
    .group_segment_fixed_size: 0
    .kernarg_segment_align: 8
    .kernarg_segment_size: 64
    .language:       OpenCL C
    .language_version:
      - 2
      - 0
    .max_flat_workgroup_size: 256
    .name:           _ZN7rocprim17ROCPRIM_400000_NS6detail17trampoline_kernelINS0_14default_configENS1_38merge_sort_block_merge_config_selectorIslEEZZNS1_27merge_sort_block_merge_implIS3_PsN6thrust23THRUST_200600_302600_NS10device_ptrIlEEjNS1_19radix_merge_compareILb0ELb0EsNS0_19identity_decomposerEEEEE10hipError_tT0_T1_T2_jT3_P12ihipStream_tbPNSt15iterator_traitsISG_E10value_typeEPNSM_ISH_E10value_typeEPSI_NS1_7vsmem_tEENKUlT_SG_SH_SI_E_clIS7_S7_SB_PlEESF_SV_SG_SH_SI_EUlSV_E0_NS1_11comp_targetILNS1_3genE5ELNS1_11target_archE942ELNS1_3gpuE9ELNS1_3repE0EEENS1_38merge_mergepath_config_static_selectorELNS0_4arch9wavefront6targetE1EEEvSH_
    .private_segment_fixed_size: 0
    .sgpr_count:     4
    .sgpr_spill_count: 0
    .symbol:         _ZN7rocprim17ROCPRIM_400000_NS6detail17trampoline_kernelINS0_14default_configENS1_38merge_sort_block_merge_config_selectorIslEEZZNS1_27merge_sort_block_merge_implIS3_PsN6thrust23THRUST_200600_302600_NS10device_ptrIlEEjNS1_19radix_merge_compareILb0ELb0EsNS0_19identity_decomposerEEEEE10hipError_tT0_T1_T2_jT3_P12ihipStream_tbPNSt15iterator_traitsISG_E10value_typeEPNSM_ISH_E10value_typeEPSI_NS1_7vsmem_tEENKUlT_SG_SH_SI_E_clIS7_S7_SB_PlEESF_SV_SG_SH_SI_EUlSV_E0_NS1_11comp_targetILNS1_3genE5ELNS1_11target_archE942ELNS1_3gpuE9ELNS1_3repE0EEENS1_38merge_mergepath_config_static_selectorELNS0_4arch9wavefront6targetE1EEEvSH_.kd
    .uniform_work_group_size: 1
    .uses_dynamic_stack: false
    .vgpr_count:     0
    .vgpr_spill_count: 0
    .wavefront_size: 64
  - .args:
      - .offset:         0
        .size:           64
        .value_kind:     by_value
    .group_segment_fixed_size: 0
    .kernarg_segment_align: 8
    .kernarg_segment_size: 64
    .language:       OpenCL C
    .language_version:
      - 2
      - 0
    .max_flat_workgroup_size: 256
    .name:           _ZN7rocprim17ROCPRIM_400000_NS6detail17trampoline_kernelINS0_14default_configENS1_38merge_sort_block_merge_config_selectorIslEEZZNS1_27merge_sort_block_merge_implIS3_PsN6thrust23THRUST_200600_302600_NS10device_ptrIlEEjNS1_19radix_merge_compareILb0ELb0EsNS0_19identity_decomposerEEEEE10hipError_tT0_T1_T2_jT3_P12ihipStream_tbPNSt15iterator_traitsISG_E10value_typeEPNSM_ISH_E10value_typeEPSI_NS1_7vsmem_tEENKUlT_SG_SH_SI_E_clIS7_S7_SB_PlEESF_SV_SG_SH_SI_EUlSV_E0_NS1_11comp_targetILNS1_3genE4ELNS1_11target_archE910ELNS1_3gpuE8ELNS1_3repE0EEENS1_38merge_mergepath_config_static_selectorELNS0_4arch9wavefront6targetE1EEEvSH_
    .private_segment_fixed_size: 0
    .sgpr_count:     4
    .sgpr_spill_count: 0
    .symbol:         _ZN7rocprim17ROCPRIM_400000_NS6detail17trampoline_kernelINS0_14default_configENS1_38merge_sort_block_merge_config_selectorIslEEZZNS1_27merge_sort_block_merge_implIS3_PsN6thrust23THRUST_200600_302600_NS10device_ptrIlEEjNS1_19radix_merge_compareILb0ELb0EsNS0_19identity_decomposerEEEEE10hipError_tT0_T1_T2_jT3_P12ihipStream_tbPNSt15iterator_traitsISG_E10value_typeEPNSM_ISH_E10value_typeEPSI_NS1_7vsmem_tEENKUlT_SG_SH_SI_E_clIS7_S7_SB_PlEESF_SV_SG_SH_SI_EUlSV_E0_NS1_11comp_targetILNS1_3genE4ELNS1_11target_archE910ELNS1_3gpuE8ELNS1_3repE0EEENS1_38merge_mergepath_config_static_selectorELNS0_4arch9wavefront6targetE1EEEvSH_.kd
    .uniform_work_group_size: 1
    .uses_dynamic_stack: false
    .vgpr_count:     0
    .vgpr_spill_count: 0
    .wavefront_size: 64
  - .args:
      - .offset:         0
        .size:           64
        .value_kind:     by_value
    .group_segment_fixed_size: 0
    .kernarg_segment_align: 8
    .kernarg_segment_size: 64
    .language:       OpenCL C
    .language_version:
      - 2
      - 0
    .max_flat_workgroup_size: 256
    .name:           _ZN7rocprim17ROCPRIM_400000_NS6detail17trampoline_kernelINS0_14default_configENS1_38merge_sort_block_merge_config_selectorIslEEZZNS1_27merge_sort_block_merge_implIS3_PsN6thrust23THRUST_200600_302600_NS10device_ptrIlEEjNS1_19radix_merge_compareILb0ELb0EsNS0_19identity_decomposerEEEEE10hipError_tT0_T1_T2_jT3_P12ihipStream_tbPNSt15iterator_traitsISG_E10value_typeEPNSM_ISH_E10value_typeEPSI_NS1_7vsmem_tEENKUlT_SG_SH_SI_E_clIS7_S7_SB_PlEESF_SV_SG_SH_SI_EUlSV_E0_NS1_11comp_targetILNS1_3genE3ELNS1_11target_archE908ELNS1_3gpuE7ELNS1_3repE0EEENS1_38merge_mergepath_config_static_selectorELNS0_4arch9wavefront6targetE1EEEvSH_
    .private_segment_fixed_size: 0
    .sgpr_count:     4
    .sgpr_spill_count: 0
    .symbol:         _ZN7rocprim17ROCPRIM_400000_NS6detail17trampoline_kernelINS0_14default_configENS1_38merge_sort_block_merge_config_selectorIslEEZZNS1_27merge_sort_block_merge_implIS3_PsN6thrust23THRUST_200600_302600_NS10device_ptrIlEEjNS1_19radix_merge_compareILb0ELb0EsNS0_19identity_decomposerEEEEE10hipError_tT0_T1_T2_jT3_P12ihipStream_tbPNSt15iterator_traitsISG_E10value_typeEPNSM_ISH_E10value_typeEPSI_NS1_7vsmem_tEENKUlT_SG_SH_SI_E_clIS7_S7_SB_PlEESF_SV_SG_SH_SI_EUlSV_E0_NS1_11comp_targetILNS1_3genE3ELNS1_11target_archE908ELNS1_3gpuE7ELNS1_3repE0EEENS1_38merge_mergepath_config_static_selectorELNS0_4arch9wavefront6targetE1EEEvSH_.kd
    .uniform_work_group_size: 1
    .uses_dynamic_stack: false
    .vgpr_count:     0
    .vgpr_spill_count: 0
    .wavefront_size: 64
  - .args:
      - .offset:         0
        .size:           64
        .value_kind:     by_value
      - .offset:         64
        .size:           4
        .value_kind:     hidden_block_count_x
      - .offset:         68
        .size:           4
        .value_kind:     hidden_block_count_y
      - .offset:         72
        .size:           4
        .value_kind:     hidden_block_count_z
      - .offset:         76
        .size:           2
        .value_kind:     hidden_group_size_x
      - .offset:         78
        .size:           2
        .value_kind:     hidden_group_size_y
      - .offset:         80
        .size:           2
        .value_kind:     hidden_group_size_z
      - .offset:         82
        .size:           2
        .value_kind:     hidden_remainder_x
      - .offset:         84
        .size:           2
        .value_kind:     hidden_remainder_y
      - .offset:         86
        .size:           2
        .value_kind:     hidden_remainder_z
      - .offset:         104
        .size:           8
        .value_kind:     hidden_global_offset_x
      - .offset:         112
        .size:           8
        .value_kind:     hidden_global_offset_y
      - .offset:         120
        .size:           8
        .value_kind:     hidden_global_offset_z
      - .offset:         128
        .size:           2
        .value_kind:     hidden_grid_dims
    .group_segment_fixed_size: 8448
    .kernarg_segment_align: 8
    .kernarg_segment_size: 320
    .language:       OpenCL C
    .language_version:
      - 2
      - 0
    .max_flat_workgroup_size: 256
    .name:           _ZN7rocprim17ROCPRIM_400000_NS6detail17trampoline_kernelINS0_14default_configENS1_38merge_sort_block_merge_config_selectorIslEEZZNS1_27merge_sort_block_merge_implIS3_PsN6thrust23THRUST_200600_302600_NS10device_ptrIlEEjNS1_19radix_merge_compareILb0ELb0EsNS0_19identity_decomposerEEEEE10hipError_tT0_T1_T2_jT3_P12ihipStream_tbPNSt15iterator_traitsISG_E10value_typeEPNSM_ISH_E10value_typeEPSI_NS1_7vsmem_tEENKUlT_SG_SH_SI_E_clIS7_S7_SB_PlEESF_SV_SG_SH_SI_EUlSV_E0_NS1_11comp_targetILNS1_3genE2ELNS1_11target_archE906ELNS1_3gpuE6ELNS1_3repE0EEENS1_38merge_mergepath_config_static_selectorELNS0_4arch9wavefront6targetE1EEEvSH_
    .private_segment_fixed_size: 0
    .sgpr_count:     35
    .sgpr_spill_count: 0
    .symbol:         _ZN7rocprim17ROCPRIM_400000_NS6detail17trampoline_kernelINS0_14default_configENS1_38merge_sort_block_merge_config_selectorIslEEZZNS1_27merge_sort_block_merge_implIS3_PsN6thrust23THRUST_200600_302600_NS10device_ptrIlEEjNS1_19radix_merge_compareILb0ELb0EsNS0_19identity_decomposerEEEEE10hipError_tT0_T1_T2_jT3_P12ihipStream_tbPNSt15iterator_traitsISG_E10value_typeEPNSM_ISH_E10value_typeEPSI_NS1_7vsmem_tEENKUlT_SG_SH_SI_E_clIS7_S7_SB_PlEESF_SV_SG_SH_SI_EUlSV_E0_NS1_11comp_targetILNS1_3genE2ELNS1_11target_archE906ELNS1_3gpuE6ELNS1_3repE0EEENS1_38merge_mergepath_config_static_selectorELNS0_4arch9wavefront6targetE1EEEvSH_.kd
    .uniform_work_group_size: 1
    .uses_dynamic_stack: false
    .vgpr_count:     35
    .vgpr_spill_count: 0
    .wavefront_size: 64
  - .args:
      - .offset:         0
        .size:           64
        .value_kind:     by_value
    .group_segment_fixed_size: 0
    .kernarg_segment_align: 8
    .kernarg_segment_size: 64
    .language:       OpenCL C
    .language_version:
      - 2
      - 0
    .max_flat_workgroup_size: 256
    .name:           _ZN7rocprim17ROCPRIM_400000_NS6detail17trampoline_kernelINS0_14default_configENS1_38merge_sort_block_merge_config_selectorIslEEZZNS1_27merge_sort_block_merge_implIS3_PsN6thrust23THRUST_200600_302600_NS10device_ptrIlEEjNS1_19radix_merge_compareILb0ELb0EsNS0_19identity_decomposerEEEEE10hipError_tT0_T1_T2_jT3_P12ihipStream_tbPNSt15iterator_traitsISG_E10value_typeEPNSM_ISH_E10value_typeEPSI_NS1_7vsmem_tEENKUlT_SG_SH_SI_E_clIS7_S7_SB_PlEESF_SV_SG_SH_SI_EUlSV_E0_NS1_11comp_targetILNS1_3genE9ELNS1_11target_archE1100ELNS1_3gpuE3ELNS1_3repE0EEENS1_38merge_mergepath_config_static_selectorELNS0_4arch9wavefront6targetE1EEEvSH_
    .private_segment_fixed_size: 0
    .sgpr_count:     4
    .sgpr_spill_count: 0
    .symbol:         _ZN7rocprim17ROCPRIM_400000_NS6detail17trampoline_kernelINS0_14default_configENS1_38merge_sort_block_merge_config_selectorIslEEZZNS1_27merge_sort_block_merge_implIS3_PsN6thrust23THRUST_200600_302600_NS10device_ptrIlEEjNS1_19radix_merge_compareILb0ELb0EsNS0_19identity_decomposerEEEEE10hipError_tT0_T1_T2_jT3_P12ihipStream_tbPNSt15iterator_traitsISG_E10value_typeEPNSM_ISH_E10value_typeEPSI_NS1_7vsmem_tEENKUlT_SG_SH_SI_E_clIS7_S7_SB_PlEESF_SV_SG_SH_SI_EUlSV_E0_NS1_11comp_targetILNS1_3genE9ELNS1_11target_archE1100ELNS1_3gpuE3ELNS1_3repE0EEENS1_38merge_mergepath_config_static_selectorELNS0_4arch9wavefront6targetE1EEEvSH_.kd
    .uniform_work_group_size: 1
    .uses_dynamic_stack: false
    .vgpr_count:     0
    .vgpr_spill_count: 0
    .wavefront_size: 64
  - .args:
      - .offset:         0
        .size:           64
        .value_kind:     by_value
    .group_segment_fixed_size: 0
    .kernarg_segment_align: 8
    .kernarg_segment_size: 64
    .language:       OpenCL C
    .language_version:
      - 2
      - 0
    .max_flat_workgroup_size: 512
    .name:           _ZN7rocprim17ROCPRIM_400000_NS6detail17trampoline_kernelINS0_14default_configENS1_38merge_sort_block_merge_config_selectorIslEEZZNS1_27merge_sort_block_merge_implIS3_PsN6thrust23THRUST_200600_302600_NS10device_ptrIlEEjNS1_19radix_merge_compareILb0ELb0EsNS0_19identity_decomposerEEEEE10hipError_tT0_T1_T2_jT3_P12ihipStream_tbPNSt15iterator_traitsISG_E10value_typeEPNSM_ISH_E10value_typeEPSI_NS1_7vsmem_tEENKUlT_SG_SH_SI_E_clIS7_S7_SB_PlEESF_SV_SG_SH_SI_EUlSV_E0_NS1_11comp_targetILNS1_3genE8ELNS1_11target_archE1030ELNS1_3gpuE2ELNS1_3repE0EEENS1_38merge_mergepath_config_static_selectorELNS0_4arch9wavefront6targetE1EEEvSH_
    .private_segment_fixed_size: 0
    .sgpr_count:     4
    .sgpr_spill_count: 0
    .symbol:         _ZN7rocprim17ROCPRIM_400000_NS6detail17trampoline_kernelINS0_14default_configENS1_38merge_sort_block_merge_config_selectorIslEEZZNS1_27merge_sort_block_merge_implIS3_PsN6thrust23THRUST_200600_302600_NS10device_ptrIlEEjNS1_19radix_merge_compareILb0ELb0EsNS0_19identity_decomposerEEEEE10hipError_tT0_T1_T2_jT3_P12ihipStream_tbPNSt15iterator_traitsISG_E10value_typeEPNSM_ISH_E10value_typeEPSI_NS1_7vsmem_tEENKUlT_SG_SH_SI_E_clIS7_S7_SB_PlEESF_SV_SG_SH_SI_EUlSV_E0_NS1_11comp_targetILNS1_3genE8ELNS1_11target_archE1030ELNS1_3gpuE2ELNS1_3repE0EEENS1_38merge_mergepath_config_static_selectorELNS0_4arch9wavefront6targetE1EEEvSH_.kd
    .uniform_work_group_size: 1
    .uses_dynamic_stack: false
    .vgpr_count:     0
    .vgpr_spill_count: 0
    .wavefront_size: 64
  - .args:
      - .offset:         0
        .size:           48
        .value_kind:     by_value
    .group_segment_fixed_size: 0
    .kernarg_segment_align: 8
    .kernarg_segment_size: 48
    .language:       OpenCL C
    .language_version:
      - 2
      - 0
    .max_flat_workgroup_size: 256
    .name:           _ZN7rocprim17ROCPRIM_400000_NS6detail17trampoline_kernelINS0_14default_configENS1_38merge_sort_block_merge_config_selectorIslEEZZNS1_27merge_sort_block_merge_implIS3_PsN6thrust23THRUST_200600_302600_NS10device_ptrIlEEjNS1_19radix_merge_compareILb0ELb0EsNS0_19identity_decomposerEEEEE10hipError_tT0_T1_T2_jT3_P12ihipStream_tbPNSt15iterator_traitsISG_E10value_typeEPNSM_ISH_E10value_typeEPSI_NS1_7vsmem_tEENKUlT_SG_SH_SI_E_clIS7_S7_SB_PlEESF_SV_SG_SH_SI_EUlSV_E1_NS1_11comp_targetILNS1_3genE0ELNS1_11target_archE4294967295ELNS1_3gpuE0ELNS1_3repE0EEENS1_36merge_oddeven_config_static_selectorELNS0_4arch9wavefront6targetE1EEEvSH_
    .private_segment_fixed_size: 0
    .sgpr_count:     4
    .sgpr_spill_count: 0
    .symbol:         _ZN7rocprim17ROCPRIM_400000_NS6detail17trampoline_kernelINS0_14default_configENS1_38merge_sort_block_merge_config_selectorIslEEZZNS1_27merge_sort_block_merge_implIS3_PsN6thrust23THRUST_200600_302600_NS10device_ptrIlEEjNS1_19radix_merge_compareILb0ELb0EsNS0_19identity_decomposerEEEEE10hipError_tT0_T1_T2_jT3_P12ihipStream_tbPNSt15iterator_traitsISG_E10value_typeEPNSM_ISH_E10value_typeEPSI_NS1_7vsmem_tEENKUlT_SG_SH_SI_E_clIS7_S7_SB_PlEESF_SV_SG_SH_SI_EUlSV_E1_NS1_11comp_targetILNS1_3genE0ELNS1_11target_archE4294967295ELNS1_3gpuE0ELNS1_3repE0EEENS1_36merge_oddeven_config_static_selectorELNS0_4arch9wavefront6targetE1EEEvSH_.kd
    .uniform_work_group_size: 1
    .uses_dynamic_stack: false
    .vgpr_count:     0
    .vgpr_spill_count: 0
    .wavefront_size: 64
  - .args:
      - .offset:         0
        .size:           48
        .value_kind:     by_value
    .group_segment_fixed_size: 0
    .kernarg_segment_align: 8
    .kernarg_segment_size: 48
    .language:       OpenCL C
    .language_version:
      - 2
      - 0
    .max_flat_workgroup_size: 256
    .name:           _ZN7rocprim17ROCPRIM_400000_NS6detail17trampoline_kernelINS0_14default_configENS1_38merge_sort_block_merge_config_selectorIslEEZZNS1_27merge_sort_block_merge_implIS3_PsN6thrust23THRUST_200600_302600_NS10device_ptrIlEEjNS1_19radix_merge_compareILb0ELb0EsNS0_19identity_decomposerEEEEE10hipError_tT0_T1_T2_jT3_P12ihipStream_tbPNSt15iterator_traitsISG_E10value_typeEPNSM_ISH_E10value_typeEPSI_NS1_7vsmem_tEENKUlT_SG_SH_SI_E_clIS7_S7_SB_PlEESF_SV_SG_SH_SI_EUlSV_E1_NS1_11comp_targetILNS1_3genE10ELNS1_11target_archE1201ELNS1_3gpuE5ELNS1_3repE0EEENS1_36merge_oddeven_config_static_selectorELNS0_4arch9wavefront6targetE1EEEvSH_
    .private_segment_fixed_size: 0
    .sgpr_count:     4
    .sgpr_spill_count: 0
    .symbol:         _ZN7rocprim17ROCPRIM_400000_NS6detail17trampoline_kernelINS0_14default_configENS1_38merge_sort_block_merge_config_selectorIslEEZZNS1_27merge_sort_block_merge_implIS3_PsN6thrust23THRUST_200600_302600_NS10device_ptrIlEEjNS1_19radix_merge_compareILb0ELb0EsNS0_19identity_decomposerEEEEE10hipError_tT0_T1_T2_jT3_P12ihipStream_tbPNSt15iterator_traitsISG_E10value_typeEPNSM_ISH_E10value_typeEPSI_NS1_7vsmem_tEENKUlT_SG_SH_SI_E_clIS7_S7_SB_PlEESF_SV_SG_SH_SI_EUlSV_E1_NS1_11comp_targetILNS1_3genE10ELNS1_11target_archE1201ELNS1_3gpuE5ELNS1_3repE0EEENS1_36merge_oddeven_config_static_selectorELNS0_4arch9wavefront6targetE1EEEvSH_.kd
    .uniform_work_group_size: 1
    .uses_dynamic_stack: false
    .vgpr_count:     0
    .vgpr_spill_count: 0
    .wavefront_size: 64
  - .args:
      - .offset:         0
        .size:           48
        .value_kind:     by_value
    .group_segment_fixed_size: 0
    .kernarg_segment_align: 8
    .kernarg_segment_size: 48
    .language:       OpenCL C
    .language_version:
      - 2
      - 0
    .max_flat_workgroup_size: 256
    .name:           _ZN7rocprim17ROCPRIM_400000_NS6detail17trampoline_kernelINS0_14default_configENS1_38merge_sort_block_merge_config_selectorIslEEZZNS1_27merge_sort_block_merge_implIS3_PsN6thrust23THRUST_200600_302600_NS10device_ptrIlEEjNS1_19radix_merge_compareILb0ELb0EsNS0_19identity_decomposerEEEEE10hipError_tT0_T1_T2_jT3_P12ihipStream_tbPNSt15iterator_traitsISG_E10value_typeEPNSM_ISH_E10value_typeEPSI_NS1_7vsmem_tEENKUlT_SG_SH_SI_E_clIS7_S7_SB_PlEESF_SV_SG_SH_SI_EUlSV_E1_NS1_11comp_targetILNS1_3genE5ELNS1_11target_archE942ELNS1_3gpuE9ELNS1_3repE0EEENS1_36merge_oddeven_config_static_selectorELNS0_4arch9wavefront6targetE1EEEvSH_
    .private_segment_fixed_size: 0
    .sgpr_count:     4
    .sgpr_spill_count: 0
    .symbol:         _ZN7rocprim17ROCPRIM_400000_NS6detail17trampoline_kernelINS0_14default_configENS1_38merge_sort_block_merge_config_selectorIslEEZZNS1_27merge_sort_block_merge_implIS3_PsN6thrust23THRUST_200600_302600_NS10device_ptrIlEEjNS1_19radix_merge_compareILb0ELb0EsNS0_19identity_decomposerEEEEE10hipError_tT0_T1_T2_jT3_P12ihipStream_tbPNSt15iterator_traitsISG_E10value_typeEPNSM_ISH_E10value_typeEPSI_NS1_7vsmem_tEENKUlT_SG_SH_SI_E_clIS7_S7_SB_PlEESF_SV_SG_SH_SI_EUlSV_E1_NS1_11comp_targetILNS1_3genE5ELNS1_11target_archE942ELNS1_3gpuE9ELNS1_3repE0EEENS1_36merge_oddeven_config_static_selectorELNS0_4arch9wavefront6targetE1EEEvSH_.kd
    .uniform_work_group_size: 1
    .uses_dynamic_stack: false
    .vgpr_count:     0
    .vgpr_spill_count: 0
    .wavefront_size: 64
  - .args:
      - .offset:         0
        .size:           48
        .value_kind:     by_value
    .group_segment_fixed_size: 0
    .kernarg_segment_align: 8
    .kernarg_segment_size: 48
    .language:       OpenCL C
    .language_version:
      - 2
      - 0
    .max_flat_workgroup_size: 256
    .name:           _ZN7rocprim17ROCPRIM_400000_NS6detail17trampoline_kernelINS0_14default_configENS1_38merge_sort_block_merge_config_selectorIslEEZZNS1_27merge_sort_block_merge_implIS3_PsN6thrust23THRUST_200600_302600_NS10device_ptrIlEEjNS1_19radix_merge_compareILb0ELb0EsNS0_19identity_decomposerEEEEE10hipError_tT0_T1_T2_jT3_P12ihipStream_tbPNSt15iterator_traitsISG_E10value_typeEPNSM_ISH_E10value_typeEPSI_NS1_7vsmem_tEENKUlT_SG_SH_SI_E_clIS7_S7_SB_PlEESF_SV_SG_SH_SI_EUlSV_E1_NS1_11comp_targetILNS1_3genE4ELNS1_11target_archE910ELNS1_3gpuE8ELNS1_3repE0EEENS1_36merge_oddeven_config_static_selectorELNS0_4arch9wavefront6targetE1EEEvSH_
    .private_segment_fixed_size: 0
    .sgpr_count:     4
    .sgpr_spill_count: 0
    .symbol:         _ZN7rocprim17ROCPRIM_400000_NS6detail17trampoline_kernelINS0_14default_configENS1_38merge_sort_block_merge_config_selectorIslEEZZNS1_27merge_sort_block_merge_implIS3_PsN6thrust23THRUST_200600_302600_NS10device_ptrIlEEjNS1_19radix_merge_compareILb0ELb0EsNS0_19identity_decomposerEEEEE10hipError_tT0_T1_T2_jT3_P12ihipStream_tbPNSt15iterator_traitsISG_E10value_typeEPNSM_ISH_E10value_typeEPSI_NS1_7vsmem_tEENKUlT_SG_SH_SI_E_clIS7_S7_SB_PlEESF_SV_SG_SH_SI_EUlSV_E1_NS1_11comp_targetILNS1_3genE4ELNS1_11target_archE910ELNS1_3gpuE8ELNS1_3repE0EEENS1_36merge_oddeven_config_static_selectorELNS0_4arch9wavefront6targetE1EEEvSH_.kd
    .uniform_work_group_size: 1
    .uses_dynamic_stack: false
    .vgpr_count:     0
    .vgpr_spill_count: 0
    .wavefront_size: 64
  - .args:
      - .offset:         0
        .size:           48
        .value_kind:     by_value
    .group_segment_fixed_size: 0
    .kernarg_segment_align: 8
    .kernarg_segment_size: 48
    .language:       OpenCL C
    .language_version:
      - 2
      - 0
    .max_flat_workgroup_size: 256
    .name:           _ZN7rocprim17ROCPRIM_400000_NS6detail17trampoline_kernelINS0_14default_configENS1_38merge_sort_block_merge_config_selectorIslEEZZNS1_27merge_sort_block_merge_implIS3_PsN6thrust23THRUST_200600_302600_NS10device_ptrIlEEjNS1_19radix_merge_compareILb0ELb0EsNS0_19identity_decomposerEEEEE10hipError_tT0_T1_T2_jT3_P12ihipStream_tbPNSt15iterator_traitsISG_E10value_typeEPNSM_ISH_E10value_typeEPSI_NS1_7vsmem_tEENKUlT_SG_SH_SI_E_clIS7_S7_SB_PlEESF_SV_SG_SH_SI_EUlSV_E1_NS1_11comp_targetILNS1_3genE3ELNS1_11target_archE908ELNS1_3gpuE7ELNS1_3repE0EEENS1_36merge_oddeven_config_static_selectorELNS0_4arch9wavefront6targetE1EEEvSH_
    .private_segment_fixed_size: 0
    .sgpr_count:     4
    .sgpr_spill_count: 0
    .symbol:         _ZN7rocprim17ROCPRIM_400000_NS6detail17trampoline_kernelINS0_14default_configENS1_38merge_sort_block_merge_config_selectorIslEEZZNS1_27merge_sort_block_merge_implIS3_PsN6thrust23THRUST_200600_302600_NS10device_ptrIlEEjNS1_19radix_merge_compareILb0ELb0EsNS0_19identity_decomposerEEEEE10hipError_tT0_T1_T2_jT3_P12ihipStream_tbPNSt15iterator_traitsISG_E10value_typeEPNSM_ISH_E10value_typeEPSI_NS1_7vsmem_tEENKUlT_SG_SH_SI_E_clIS7_S7_SB_PlEESF_SV_SG_SH_SI_EUlSV_E1_NS1_11comp_targetILNS1_3genE3ELNS1_11target_archE908ELNS1_3gpuE7ELNS1_3repE0EEENS1_36merge_oddeven_config_static_selectorELNS0_4arch9wavefront6targetE1EEEvSH_.kd
    .uniform_work_group_size: 1
    .uses_dynamic_stack: false
    .vgpr_count:     0
    .vgpr_spill_count: 0
    .wavefront_size: 64
  - .args:
      - .offset:         0
        .size:           48
        .value_kind:     by_value
    .group_segment_fixed_size: 0
    .kernarg_segment_align: 8
    .kernarg_segment_size: 48
    .language:       OpenCL C
    .language_version:
      - 2
      - 0
    .max_flat_workgroup_size: 256
    .name:           _ZN7rocprim17ROCPRIM_400000_NS6detail17trampoline_kernelINS0_14default_configENS1_38merge_sort_block_merge_config_selectorIslEEZZNS1_27merge_sort_block_merge_implIS3_PsN6thrust23THRUST_200600_302600_NS10device_ptrIlEEjNS1_19radix_merge_compareILb0ELb0EsNS0_19identity_decomposerEEEEE10hipError_tT0_T1_T2_jT3_P12ihipStream_tbPNSt15iterator_traitsISG_E10value_typeEPNSM_ISH_E10value_typeEPSI_NS1_7vsmem_tEENKUlT_SG_SH_SI_E_clIS7_S7_SB_PlEESF_SV_SG_SH_SI_EUlSV_E1_NS1_11comp_targetILNS1_3genE2ELNS1_11target_archE906ELNS1_3gpuE6ELNS1_3repE0EEENS1_36merge_oddeven_config_static_selectorELNS0_4arch9wavefront6targetE1EEEvSH_
    .private_segment_fixed_size: 0
    .sgpr_count:     26
    .sgpr_spill_count: 0
    .symbol:         _ZN7rocprim17ROCPRIM_400000_NS6detail17trampoline_kernelINS0_14default_configENS1_38merge_sort_block_merge_config_selectorIslEEZZNS1_27merge_sort_block_merge_implIS3_PsN6thrust23THRUST_200600_302600_NS10device_ptrIlEEjNS1_19radix_merge_compareILb0ELb0EsNS0_19identity_decomposerEEEEE10hipError_tT0_T1_T2_jT3_P12ihipStream_tbPNSt15iterator_traitsISG_E10value_typeEPNSM_ISH_E10value_typeEPSI_NS1_7vsmem_tEENKUlT_SG_SH_SI_E_clIS7_S7_SB_PlEESF_SV_SG_SH_SI_EUlSV_E1_NS1_11comp_targetILNS1_3genE2ELNS1_11target_archE906ELNS1_3gpuE6ELNS1_3repE0EEENS1_36merge_oddeven_config_static_selectorELNS0_4arch9wavefront6targetE1EEEvSH_.kd
    .uniform_work_group_size: 1
    .uses_dynamic_stack: false
    .vgpr_count:     10
    .vgpr_spill_count: 0
    .wavefront_size: 64
  - .args:
      - .offset:         0
        .size:           48
        .value_kind:     by_value
    .group_segment_fixed_size: 0
    .kernarg_segment_align: 8
    .kernarg_segment_size: 48
    .language:       OpenCL C
    .language_version:
      - 2
      - 0
    .max_flat_workgroup_size: 256
    .name:           _ZN7rocprim17ROCPRIM_400000_NS6detail17trampoline_kernelINS0_14default_configENS1_38merge_sort_block_merge_config_selectorIslEEZZNS1_27merge_sort_block_merge_implIS3_PsN6thrust23THRUST_200600_302600_NS10device_ptrIlEEjNS1_19radix_merge_compareILb0ELb0EsNS0_19identity_decomposerEEEEE10hipError_tT0_T1_T2_jT3_P12ihipStream_tbPNSt15iterator_traitsISG_E10value_typeEPNSM_ISH_E10value_typeEPSI_NS1_7vsmem_tEENKUlT_SG_SH_SI_E_clIS7_S7_SB_PlEESF_SV_SG_SH_SI_EUlSV_E1_NS1_11comp_targetILNS1_3genE9ELNS1_11target_archE1100ELNS1_3gpuE3ELNS1_3repE0EEENS1_36merge_oddeven_config_static_selectorELNS0_4arch9wavefront6targetE1EEEvSH_
    .private_segment_fixed_size: 0
    .sgpr_count:     4
    .sgpr_spill_count: 0
    .symbol:         _ZN7rocprim17ROCPRIM_400000_NS6detail17trampoline_kernelINS0_14default_configENS1_38merge_sort_block_merge_config_selectorIslEEZZNS1_27merge_sort_block_merge_implIS3_PsN6thrust23THRUST_200600_302600_NS10device_ptrIlEEjNS1_19radix_merge_compareILb0ELb0EsNS0_19identity_decomposerEEEEE10hipError_tT0_T1_T2_jT3_P12ihipStream_tbPNSt15iterator_traitsISG_E10value_typeEPNSM_ISH_E10value_typeEPSI_NS1_7vsmem_tEENKUlT_SG_SH_SI_E_clIS7_S7_SB_PlEESF_SV_SG_SH_SI_EUlSV_E1_NS1_11comp_targetILNS1_3genE9ELNS1_11target_archE1100ELNS1_3gpuE3ELNS1_3repE0EEENS1_36merge_oddeven_config_static_selectorELNS0_4arch9wavefront6targetE1EEEvSH_.kd
    .uniform_work_group_size: 1
    .uses_dynamic_stack: false
    .vgpr_count:     0
    .vgpr_spill_count: 0
    .wavefront_size: 64
  - .args:
      - .offset:         0
        .size:           48
        .value_kind:     by_value
    .group_segment_fixed_size: 0
    .kernarg_segment_align: 8
    .kernarg_segment_size: 48
    .language:       OpenCL C
    .language_version:
      - 2
      - 0
    .max_flat_workgroup_size: 256
    .name:           _ZN7rocprim17ROCPRIM_400000_NS6detail17trampoline_kernelINS0_14default_configENS1_38merge_sort_block_merge_config_selectorIslEEZZNS1_27merge_sort_block_merge_implIS3_PsN6thrust23THRUST_200600_302600_NS10device_ptrIlEEjNS1_19radix_merge_compareILb0ELb0EsNS0_19identity_decomposerEEEEE10hipError_tT0_T1_T2_jT3_P12ihipStream_tbPNSt15iterator_traitsISG_E10value_typeEPNSM_ISH_E10value_typeEPSI_NS1_7vsmem_tEENKUlT_SG_SH_SI_E_clIS7_S7_SB_PlEESF_SV_SG_SH_SI_EUlSV_E1_NS1_11comp_targetILNS1_3genE8ELNS1_11target_archE1030ELNS1_3gpuE2ELNS1_3repE0EEENS1_36merge_oddeven_config_static_selectorELNS0_4arch9wavefront6targetE1EEEvSH_
    .private_segment_fixed_size: 0
    .sgpr_count:     4
    .sgpr_spill_count: 0
    .symbol:         _ZN7rocprim17ROCPRIM_400000_NS6detail17trampoline_kernelINS0_14default_configENS1_38merge_sort_block_merge_config_selectorIslEEZZNS1_27merge_sort_block_merge_implIS3_PsN6thrust23THRUST_200600_302600_NS10device_ptrIlEEjNS1_19radix_merge_compareILb0ELb0EsNS0_19identity_decomposerEEEEE10hipError_tT0_T1_T2_jT3_P12ihipStream_tbPNSt15iterator_traitsISG_E10value_typeEPNSM_ISH_E10value_typeEPSI_NS1_7vsmem_tEENKUlT_SG_SH_SI_E_clIS7_S7_SB_PlEESF_SV_SG_SH_SI_EUlSV_E1_NS1_11comp_targetILNS1_3genE8ELNS1_11target_archE1030ELNS1_3gpuE2ELNS1_3repE0EEENS1_36merge_oddeven_config_static_selectorELNS0_4arch9wavefront6targetE1EEEvSH_.kd
    .uniform_work_group_size: 1
    .uses_dynamic_stack: false
    .vgpr_count:     0
    .vgpr_spill_count: 0
    .wavefront_size: 64
  - .args:
      - .offset:         0
        .size:           40
        .value_kind:     by_value
    .group_segment_fixed_size: 0
    .kernarg_segment_align: 8
    .kernarg_segment_size: 40
    .language:       OpenCL C
    .language_version:
      - 2
      - 0
    .max_flat_workgroup_size: 128
    .name:           _ZN7rocprim17ROCPRIM_400000_NS6detail17trampoline_kernelINS0_14default_configENS1_25transform_config_selectorIsLb1EEEZNS1_14transform_implILb1ES3_S5_PsS7_NS0_8identityIsEEEE10hipError_tT2_T3_mT4_P12ihipStream_tbEUlT_E_NS1_11comp_targetILNS1_3genE0ELNS1_11target_archE4294967295ELNS1_3gpuE0ELNS1_3repE0EEENS1_30default_config_static_selectorELNS0_4arch9wavefront6targetE1EEEvT1_
    .private_segment_fixed_size: 0
    .sgpr_count:     4
    .sgpr_spill_count: 0
    .symbol:         _ZN7rocprim17ROCPRIM_400000_NS6detail17trampoline_kernelINS0_14default_configENS1_25transform_config_selectorIsLb1EEEZNS1_14transform_implILb1ES3_S5_PsS7_NS0_8identityIsEEEE10hipError_tT2_T3_mT4_P12ihipStream_tbEUlT_E_NS1_11comp_targetILNS1_3genE0ELNS1_11target_archE4294967295ELNS1_3gpuE0ELNS1_3repE0EEENS1_30default_config_static_selectorELNS0_4arch9wavefront6targetE1EEEvT1_.kd
    .uniform_work_group_size: 1
    .uses_dynamic_stack: false
    .vgpr_count:     0
    .vgpr_spill_count: 0
    .wavefront_size: 64
  - .args:
      - .offset:         0
        .size:           40
        .value_kind:     by_value
    .group_segment_fixed_size: 0
    .kernarg_segment_align: 8
    .kernarg_segment_size: 40
    .language:       OpenCL C
    .language_version:
      - 2
      - 0
    .max_flat_workgroup_size: 64
    .name:           _ZN7rocprim17ROCPRIM_400000_NS6detail17trampoline_kernelINS0_14default_configENS1_25transform_config_selectorIsLb1EEEZNS1_14transform_implILb1ES3_S5_PsS7_NS0_8identityIsEEEE10hipError_tT2_T3_mT4_P12ihipStream_tbEUlT_E_NS1_11comp_targetILNS1_3genE10ELNS1_11target_archE1201ELNS1_3gpuE5ELNS1_3repE0EEENS1_30default_config_static_selectorELNS0_4arch9wavefront6targetE1EEEvT1_
    .private_segment_fixed_size: 0
    .sgpr_count:     4
    .sgpr_spill_count: 0
    .symbol:         _ZN7rocprim17ROCPRIM_400000_NS6detail17trampoline_kernelINS0_14default_configENS1_25transform_config_selectorIsLb1EEEZNS1_14transform_implILb1ES3_S5_PsS7_NS0_8identityIsEEEE10hipError_tT2_T3_mT4_P12ihipStream_tbEUlT_E_NS1_11comp_targetILNS1_3genE10ELNS1_11target_archE1201ELNS1_3gpuE5ELNS1_3repE0EEENS1_30default_config_static_selectorELNS0_4arch9wavefront6targetE1EEEvT1_.kd
    .uniform_work_group_size: 1
    .uses_dynamic_stack: false
    .vgpr_count:     0
    .vgpr_spill_count: 0
    .wavefront_size: 64
  - .args:
      - .offset:         0
        .size:           40
        .value_kind:     by_value
    .group_segment_fixed_size: 0
    .kernarg_segment_align: 8
    .kernarg_segment_size: 40
    .language:       OpenCL C
    .language_version:
      - 2
      - 0
    .max_flat_workgroup_size: 256
    .name:           _ZN7rocprim17ROCPRIM_400000_NS6detail17trampoline_kernelINS0_14default_configENS1_25transform_config_selectorIsLb1EEEZNS1_14transform_implILb1ES3_S5_PsS7_NS0_8identityIsEEEE10hipError_tT2_T3_mT4_P12ihipStream_tbEUlT_E_NS1_11comp_targetILNS1_3genE5ELNS1_11target_archE942ELNS1_3gpuE9ELNS1_3repE0EEENS1_30default_config_static_selectorELNS0_4arch9wavefront6targetE1EEEvT1_
    .private_segment_fixed_size: 0
    .sgpr_count:     4
    .sgpr_spill_count: 0
    .symbol:         _ZN7rocprim17ROCPRIM_400000_NS6detail17trampoline_kernelINS0_14default_configENS1_25transform_config_selectorIsLb1EEEZNS1_14transform_implILb1ES3_S5_PsS7_NS0_8identityIsEEEE10hipError_tT2_T3_mT4_P12ihipStream_tbEUlT_E_NS1_11comp_targetILNS1_3genE5ELNS1_11target_archE942ELNS1_3gpuE9ELNS1_3repE0EEENS1_30default_config_static_selectorELNS0_4arch9wavefront6targetE1EEEvT1_.kd
    .uniform_work_group_size: 1
    .uses_dynamic_stack: false
    .vgpr_count:     0
    .vgpr_spill_count: 0
    .wavefront_size: 64
  - .args:
      - .offset:         0
        .size:           40
        .value_kind:     by_value
    .group_segment_fixed_size: 0
    .kernarg_segment_align: 8
    .kernarg_segment_size: 40
    .language:       OpenCL C
    .language_version:
      - 2
      - 0
    .max_flat_workgroup_size: 1024
    .name:           _ZN7rocprim17ROCPRIM_400000_NS6detail17trampoline_kernelINS0_14default_configENS1_25transform_config_selectorIsLb1EEEZNS1_14transform_implILb1ES3_S5_PsS7_NS0_8identityIsEEEE10hipError_tT2_T3_mT4_P12ihipStream_tbEUlT_E_NS1_11comp_targetILNS1_3genE4ELNS1_11target_archE910ELNS1_3gpuE8ELNS1_3repE0EEENS1_30default_config_static_selectorELNS0_4arch9wavefront6targetE1EEEvT1_
    .private_segment_fixed_size: 0
    .sgpr_count:     4
    .sgpr_spill_count: 0
    .symbol:         _ZN7rocprim17ROCPRIM_400000_NS6detail17trampoline_kernelINS0_14default_configENS1_25transform_config_selectorIsLb1EEEZNS1_14transform_implILb1ES3_S5_PsS7_NS0_8identityIsEEEE10hipError_tT2_T3_mT4_P12ihipStream_tbEUlT_E_NS1_11comp_targetILNS1_3genE4ELNS1_11target_archE910ELNS1_3gpuE8ELNS1_3repE0EEENS1_30default_config_static_selectorELNS0_4arch9wavefront6targetE1EEEvT1_.kd
    .uniform_work_group_size: 1
    .uses_dynamic_stack: false
    .vgpr_count:     0
    .vgpr_spill_count: 0
    .wavefront_size: 64
  - .args:
      - .offset:         0
        .size:           40
        .value_kind:     by_value
    .group_segment_fixed_size: 0
    .kernarg_segment_align: 8
    .kernarg_segment_size: 40
    .language:       OpenCL C
    .language_version:
      - 2
      - 0
    .max_flat_workgroup_size: 128
    .name:           _ZN7rocprim17ROCPRIM_400000_NS6detail17trampoline_kernelINS0_14default_configENS1_25transform_config_selectorIsLb1EEEZNS1_14transform_implILb1ES3_S5_PsS7_NS0_8identityIsEEEE10hipError_tT2_T3_mT4_P12ihipStream_tbEUlT_E_NS1_11comp_targetILNS1_3genE3ELNS1_11target_archE908ELNS1_3gpuE7ELNS1_3repE0EEENS1_30default_config_static_selectorELNS0_4arch9wavefront6targetE1EEEvT1_
    .private_segment_fixed_size: 0
    .sgpr_count:     4
    .sgpr_spill_count: 0
    .symbol:         _ZN7rocprim17ROCPRIM_400000_NS6detail17trampoline_kernelINS0_14default_configENS1_25transform_config_selectorIsLb1EEEZNS1_14transform_implILb1ES3_S5_PsS7_NS0_8identityIsEEEE10hipError_tT2_T3_mT4_P12ihipStream_tbEUlT_E_NS1_11comp_targetILNS1_3genE3ELNS1_11target_archE908ELNS1_3gpuE7ELNS1_3repE0EEENS1_30default_config_static_selectorELNS0_4arch9wavefront6targetE1EEEvT1_.kd
    .uniform_work_group_size: 1
    .uses_dynamic_stack: false
    .vgpr_count:     0
    .vgpr_spill_count: 0
    .wavefront_size: 64
  - .args:
      - .offset:         0
        .size:           40
        .value_kind:     by_value
      - .offset:         40
        .size:           4
        .value_kind:     hidden_block_count_x
      - .offset:         44
        .size:           4
        .value_kind:     hidden_block_count_y
      - .offset:         48
        .size:           4
        .value_kind:     hidden_block_count_z
      - .offset:         52
        .size:           2
        .value_kind:     hidden_group_size_x
      - .offset:         54
        .size:           2
        .value_kind:     hidden_group_size_y
      - .offset:         56
        .size:           2
        .value_kind:     hidden_group_size_z
      - .offset:         58
        .size:           2
        .value_kind:     hidden_remainder_x
      - .offset:         60
        .size:           2
        .value_kind:     hidden_remainder_y
      - .offset:         62
        .size:           2
        .value_kind:     hidden_remainder_z
      - .offset:         80
        .size:           8
        .value_kind:     hidden_global_offset_x
      - .offset:         88
        .size:           8
        .value_kind:     hidden_global_offset_y
      - .offset:         96
        .size:           8
        .value_kind:     hidden_global_offset_z
      - .offset:         104
        .size:           2
        .value_kind:     hidden_grid_dims
    .group_segment_fixed_size: 0
    .kernarg_segment_align: 8
    .kernarg_segment_size: 296
    .language:       OpenCL C
    .language_version:
      - 2
      - 0
    .max_flat_workgroup_size: 1024
    .name:           _ZN7rocprim17ROCPRIM_400000_NS6detail17trampoline_kernelINS0_14default_configENS1_25transform_config_selectorIsLb1EEEZNS1_14transform_implILb1ES3_S5_PsS7_NS0_8identityIsEEEE10hipError_tT2_T3_mT4_P12ihipStream_tbEUlT_E_NS1_11comp_targetILNS1_3genE2ELNS1_11target_archE906ELNS1_3gpuE6ELNS1_3repE0EEENS1_30default_config_static_selectorELNS0_4arch9wavefront6targetE1EEEvT1_
    .private_segment_fixed_size: 0
    .sgpr_count:     26
    .sgpr_spill_count: 0
    .symbol:         _ZN7rocprim17ROCPRIM_400000_NS6detail17trampoline_kernelINS0_14default_configENS1_25transform_config_selectorIsLb1EEEZNS1_14transform_implILb1ES3_S5_PsS7_NS0_8identityIsEEEE10hipError_tT2_T3_mT4_P12ihipStream_tbEUlT_E_NS1_11comp_targetILNS1_3genE2ELNS1_11target_archE906ELNS1_3gpuE6ELNS1_3repE0EEENS1_30default_config_static_selectorELNS0_4arch9wavefront6targetE1EEEvT1_.kd
    .uniform_work_group_size: 1
    .uses_dynamic_stack: false
    .vgpr_count:     10
    .vgpr_spill_count: 0
    .wavefront_size: 64
  - .args:
      - .offset:         0
        .size:           40
        .value_kind:     by_value
    .group_segment_fixed_size: 0
    .kernarg_segment_align: 8
    .kernarg_segment_size: 40
    .language:       OpenCL C
    .language_version:
      - 2
      - 0
    .max_flat_workgroup_size: 1024
    .name:           _ZN7rocprim17ROCPRIM_400000_NS6detail17trampoline_kernelINS0_14default_configENS1_25transform_config_selectorIsLb1EEEZNS1_14transform_implILb1ES3_S5_PsS7_NS0_8identityIsEEEE10hipError_tT2_T3_mT4_P12ihipStream_tbEUlT_E_NS1_11comp_targetILNS1_3genE9ELNS1_11target_archE1100ELNS1_3gpuE3ELNS1_3repE0EEENS1_30default_config_static_selectorELNS0_4arch9wavefront6targetE1EEEvT1_
    .private_segment_fixed_size: 0
    .sgpr_count:     4
    .sgpr_spill_count: 0
    .symbol:         _ZN7rocprim17ROCPRIM_400000_NS6detail17trampoline_kernelINS0_14default_configENS1_25transform_config_selectorIsLb1EEEZNS1_14transform_implILb1ES3_S5_PsS7_NS0_8identityIsEEEE10hipError_tT2_T3_mT4_P12ihipStream_tbEUlT_E_NS1_11comp_targetILNS1_3genE9ELNS1_11target_archE1100ELNS1_3gpuE3ELNS1_3repE0EEENS1_30default_config_static_selectorELNS0_4arch9wavefront6targetE1EEEvT1_.kd
    .uniform_work_group_size: 1
    .uses_dynamic_stack: false
    .vgpr_count:     0
    .vgpr_spill_count: 0
    .wavefront_size: 64
  - .args:
      - .offset:         0
        .size:           40
        .value_kind:     by_value
    .group_segment_fixed_size: 0
    .kernarg_segment_align: 8
    .kernarg_segment_size: 40
    .language:       OpenCL C
    .language_version:
      - 2
      - 0
    .max_flat_workgroup_size: 1024
    .name:           _ZN7rocprim17ROCPRIM_400000_NS6detail17trampoline_kernelINS0_14default_configENS1_25transform_config_selectorIsLb1EEEZNS1_14transform_implILb1ES3_S5_PsS7_NS0_8identityIsEEEE10hipError_tT2_T3_mT4_P12ihipStream_tbEUlT_E_NS1_11comp_targetILNS1_3genE8ELNS1_11target_archE1030ELNS1_3gpuE2ELNS1_3repE0EEENS1_30default_config_static_selectorELNS0_4arch9wavefront6targetE1EEEvT1_
    .private_segment_fixed_size: 0
    .sgpr_count:     4
    .sgpr_spill_count: 0
    .symbol:         _ZN7rocprim17ROCPRIM_400000_NS6detail17trampoline_kernelINS0_14default_configENS1_25transform_config_selectorIsLb1EEEZNS1_14transform_implILb1ES3_S5_PsS7_NS0_8identityIsEEEE10hipError_tT2_T3_mT4_P12ihipStream_tbEUlT_E_NS1_11comp_targetILNS1_3genE8ELNS1_11target_archE1030ELNS1_3gpuE2ELNS1_3repE0EEENS1_30default_config_static_selectorELNS0_4arch9wavefront6targetE1EEEvT1_.kd
    .uniform_work_group_size: 1
    .uses_dynamic_stack: false
    .vgpr_count:     0
    .vgpr_spill_count: 0
    .wavefront_size: 64
  - .args:
      - .offset:         0
        .size:           40
        .value_kind:     by_value
    .group_segment_fixed_size: 0
    .kernarg_segment_align: 8
    .kernarg_segment_size: 40
    .language:       OpenCL C
    .language_version:
      - 2
      - 0
    .max_flat_workgroup_size: 128
    .name:           _ZN7rocprim17ROCPRIM_400000_NS6detail17trampoline_kernelINS0_14default_configENS1_38merge_sort_block_merge_config_selectorIslEEZZNS1_27merge_sort_block_merge_implIS3_PsN6thrust23THRUST_200600_302600_NS10device_ptrIlEEjNS1_19radix_merge_compareILb0ELb1EsNS0_19identity_decomposerEEEEE10hipError_tT0_T1_T2_jT3_P12ihipStream_tbPNSt15iterator_traitsISG_E10value_typeEPNSM_ISH_E10value_typeEPSI_NS1_7vsmem_tEENKUlT_SG_SH_SI_E_clIS7_S7_PlSB_EESF_SV_SG_SH_SI_EUlSV_E_NS1_11comp_targetILNS1_3genE0ELNS1_11target_archE4294967295ELNS1_3gpuE0ELNS1_3repE0EEENS1_48merge_mergepath_partition_config_static_selectorELNS0_4arch9wavefront6targetE1EEEvSH_
    .private_segment_fixed_size: 0
    .sgpr_count:     4
    .sgpr_spill_count: 0
    .symbol:         _ZN7rocprim17ROCPRIM_400000_NS6detail17trampoline_kernelINS0_14default_configENS1_38merge_sort_block_merge_config_selectorIslEEZZNS1_27merge_sort_block_merge_implIS3_PsN6thrust23THRUST_200600_302600_NS10device_ptrIlEEjNS1_19radix_merge_compareILb0ELb1EsNS0_19identity_decomposerEEEEE10hipError_tT0_T1_T2_jT3_P12ihipStream_tbPNSt15iterator_traitsISG_E10value_typeEPNSM_ISH_E10value_typeEPSI_NS1_7vsmem_tEENKUlT_SG_SH_SI_E_clIS7_S7_PlSB_EESF_SV_SG_SH_SI_EUlSV_E_NS1_11comp_targetILNS1_3genE0ELNS1_11target_archE4294967295ELNS1_3gpuE0ELNS1_3repE0EEENS1_48merge_mergepath_partition_config_static_selectorELNS0_4arch9wavefront6targetE1EEEvSH_.kd
    .uniform_work_group_size: 1
    .uses_dynamic_stack: false
    .vgpr_count:     0
    .vgpr_spill_count: 0
    .wavefront_size: 64
  - .args:
      - .offset:         0
        .size:           40
        .value_kind:     by_value
    .group_segment_fixed_size: 0
    .kernarg_segment_align: 8
    .kernarg_segment_size: 40
    .language:       OpenCL C
    .language_version:
      - 2
      - 0
    .max_flat_workgroup_size: 128
    .name:           _ZN7rocprim17ROCPRIM_400000_NS6detail17trampoline_kernelINS0_14default_configENS1_38merge_sort_block_merge_config_selectorIslEEZZNS1_27merge_sort_block_merge_implIS3_PsN6thrust23THRUST_200600_302600_NS10device_ptrIlEEjNS1_19radix_merge_compareILb0ELb1EsNS0_19identity_decomposerEEEEE10hipError_tT0_T1_T2_jT3_P12ihipStream_tbPNSt15iterator_traitsISG_E10value_typeEPNSM_ISH_E10value_typeEPSI_NS1_7vsmem_tEENKUlT_SG_SH_SI_E_clIS7_S7_PlSB_EESF_SV_SG_SH_SI_EUlSV_E_NS1_11comp_targetILNS1_3genE10ELNS1_11target_archE1201ELNS1_3gpuE5ELNS1_3repE0EEENS1_48merge_mergepath_partition_config_static_selectorELNS0_4arch9wavefront6targetE1EEEvSH_
    .private_segment_fixed_size: 0
    .sgpr_count:     4
    .sgpr_spill_count: 0
    .symbol:         _ZN7rocprim17ROCPRIM_400000_NS6detail17trampoline_kernelINS0_14default_configENS1_38merge_sort_block_merge_config_selectorIslEEZZNS1_27merge_sort_block_merge_implIS3_PsN6thrust23THRUST_200600_302600_NS10device_ptrIlEEjNS1_19radix_merge_compareILb0ELb1EsNS0_19identity_decomposerEEEEE10hipError_tT0_T1_T2_jT3_P12ihipStream_tbPNSt15iterator_traitsISG_E10value_typeEPNSM_ISH_E10value_typeEPSI_NS1_7vsmem_tEENKUlT_SG_SH_SI_E_clIS7_S7_PlSB_EESF_SV_SG_SH_SI_EUlSV_E_NS1_11comp_targetILNS1_3genE10ELNS1_11target_archE1201ELNS1_3gpuE5ELNS1_3repE0EEENS1_48merge_mergepath_partition_config_static_selectorELNS0_4arch9wavefront6targetE1EEEvSH_.kd
    .uniform_work_group_size: 1
    .uses_dynamic_stack: false
    .vgpr_count:     0
    .vgpr_spill_count: 0
    .wavefront_size: 64
  - .args:
      - .offset:         0
        .size:           40
        .value_kind:     by_value
    .group_segment_fixed_size: 0
    .kernarg_segment_align: 8
    .kernarg_segment_size: 40
    .language:       OpenCL C
    .language_version:
      - 2
      - 0
    .max_flat_workgroup_size: 128
    .name:           _ZN7rocprim17ROCPRIM_400000_NS6detail17trampoline_kernelINS0_14default_configENS1_38merge_sort_block_merge_config_selectorIslEEZZNS1_27merge_sort_block_merge_implIS3_PsN6thrust23THRUST_200600_302600_NS10device_ptrIlEEjNS1_19radix_merge_compareILb0ELb1EsNS0_19identity_decomposerEEEEE10hipError_tT0_T1_T2_jT3_P12ihipStream_tbPNSt15iterator_traitsISG_E10value_typeEPNSM_ISH_E10value_typeEPSI_NS1_7vsmem_tEENKUlT_SG_SH_SI_E_clIS7_S7_PlSB_EESF_SV_SG_SH_SI_EUlSV_E_NS1_11comp_targetILNS1_3genE5ELNS1_11target_archE942ELNS1_3gpuE9ELNS1_3repE0EEENS1_48merge_mergepath_partition_config_static_selectorELNS0_4arch9wavefront6targetE1EEEvSH_
    .private_segment_fixed_size: 0
    .sgpr_count:     4
    .sgpr_spill_count: 0
    .symbol:         _ZN7rocprim17ROCPRIM_400000_NS6detail17trampoline_kernelINS0_14default_configENS1_38merge_sort_block_merge_config_selectorIslEEZZNS1_27merge_sort_block_merge_implIS3_PsN6thrust23THRUST_200600_302600_NS10device_ptrIlEEjNS1_19radix_merge_compareILb0ELb1EsNS0_19identity_decomposerEEEEE10hipError_tT0_T1_T2_jT3_P12ihipStream_tbPNSt15iterator_traitsISG_E10value_typeEPNSM_ISH_E10value_typeEPSI_NS1_7vsmem_tEENKUlT_SG_SH_SI_E_clIS7_S7_PlSB_EESF_SV_SG_SH_SI_EUlSV_E_NS1_11comp_targetILNS1_3genE5ELNS1_11target_archE942ELNS1_3gpuE9ELNS1_3repE0EEENS1_48merge_mergepath_partition_config_static_selectorELNS0_4arch9wavefront6targetE1EEEvSH_.kd
    .uniform_work_group_size: 1
    .uses_dynamic_stack: false
    .vgpr_count:     0
    .vgpr_spill_count: 0
    .wavefront_size: 64
  - .args:
      - .offset:         0
        .size:           40
        .value_kind:     by_value
    .group_segment_fixed_size: 0
    .kernarg_segment_align: 8
    .kernarg_segment_size: 40
    .language:       OpenCL C
    .language_version:
      - 2
      - 0
    .max_flat_workgroup_size: 128
    .name:           _ZN7rocprim17ROCPRIM_400000_NS6detail17trampoline_kernelINS0_14default_configENS1_38merge_sort_block_merge_config_selectorIslEEZZNS1_27merge_sort_block_merge_implIS3_PsN6thrust23THRUST_200600_302600_NS10device_ptrIlEEjNS1_19radix_merge_compareILb0ELb1EsNS0_19identity_decomposerEEEEE10hipError_tT0_T1_T2_jT3_P12ihipStream_tbPNSt15iterator_traitsISG_E10value_typeEPNSM_ISH_E10value_typeEPSI_NS1_7vsmem_tEENKUlT_SG_SH_SI_E_clIS7_S7_PlSB_EESF_SV_SG_SH_SI_EUlSV_E_NS1_11comp_targetILNS1_3genE4ELNS1_11target_archE910ELNS1_3gpuE8ELNS1_3repE0EEENS1_48merge_mergepath_partition_config_static_selectorELNS0_4arch9wavefront6targetE1EEEvSH_
    .private_segment_fixed_size: 0
    .sgpr_count:     4
    .sgpr_spill_count: 0
    .symbol:         _ZN7rocprim17ROCPRIM_400000_NS6detail17trampoline_kernelINS0_14default_configENS1_38merge_sort_block_merge_config_selectorIslEEZZNS1_27merge_sort_block_merge_implIS3_PsN6thrust23THRUST_200600_302600_NS10device_ptrIlEEjNS1_19radix_merge_compareILb0ELb1EsNS0_19identity_decomposerEEEEE10hipError_tT0_T1_T2_jT3_P12ihipStream_tbPNSt15iterator_traitsISG_E10value_typeEPNSM_ISH_E10value_typeEPSI_NS1_7vsmem_tEENKUlT_SG_SH_SI_E_clIS7_S7_PlSB_EESF_SV_SG_SH_SI_EUlSV_E_NS1_11comp_targetILNS1_3genE4ELNS1_11target_archE910ELNS1_3gpuE8ELNS1_3repE0EEENS1_48merge_mergepath_partition_config_static_selectorELNS0_4arch9wavefront6targetE1EEEvSH_.kd
    .uniform_work_group_size: 1
    .uses_dynamic_stack: false
    .vgpr_count:     0
    .vgpr_spill_count: 0
    .wavefront_size: 64
  - .args:
      - .offset:         0
        .size:           40
        .value_kind:     by_value
    .group_segment_fixed_size: 0
    .kernarg_segment_align: 8
    .kernarg_segment_size: 40
    .language:       OpenCL C
    .language_version:
      - 2
      - 0
    .max_flat_workgroup_size: 128
    .name:           _ZN7rocprim17ROCPRIM_400000_NS6detail17trampoline_kernelINS0_14default_configENS1_38merge_sort_block_merge_config_selectorIslEEZZNS1_27merge_sort_block_merge_implIS3_PsN6thrust23THRUST_200600_302600_NS10device_ptrIlEEjNS1_19radix_merge_compareILb0ELb1EsNS0_19identity_decomposerEEEEE10hipError_tT0_T1_T2_jT3_P12ihipStream_tbPNSt15iterator_traitsISG_E10value_typeEPNSM_ISH_E10value_typeEPSI_NS1_7vsmem_tEENKUlT_SG_SH_SI_E_clIS7_S7_PlSB_EESF_SV_SG_SH_SI_EUlSV_E_NS1_11comp_targetILNS1_3genE3ELNS1_11target_archE908ELNS1_3gpuE7ELNS1_3repE0EEENS1_48merge_mergepath_partition_config_static_selectorELNS0_4arch9wavefront6targetE1EEEvSH_
    .private_segment_fixed_size: 0
    .sgpr_count:     4
    .sgpr_spill_count: 0
    .symbol:         _ZN7rocprim17ROCPRIM_400000_NS6detail17trampoline_kernelINS0_14default_configENS1_38merge_sort_block_merge_config_selectorIslEEZZNS1_27merge_sort_block_merge_implIS3_PsN6thrust23THRUST_200600_302600_NS10device_ptrIlEEjNS1_19radix_merge_compareILb0ELb1EsNS0_19identity_decomposerEEEEE10hipError_tT0_T1_T2_jT3_P12ihipStream_tbPNSt15iterator_traitsISG_E10value_typeEPNSM_ISH_E10value_typeEPSI_NS1_7vsmem_tEENKUlT_SG_SH_SI_E_clIS7_S7_PlSB_EESF_SV_SG_SH_SI_EUlSV_E_NS1_11comp_targetILNS1_3genE3ELNS1_11target_archE908ELNS1_3gpuE7ELNS1_3repE0EEENS1_48merge_mergepath_partition_config_static_selectorELNS0_4arch9wavefront6targetE1EEEvSH_.kd
    .uniform_work_group_size: 1
    .uses_dynamic_stack: false
    .vgpr_count:     0
    .vgpr_spill_count: 0
    .wavefront_size: 64
  - .args:
      - .offset:         0
        .size:           40
        .value_kind:     by_value
    .group_segment_fixed_size: 0
    .kernarg_segment_align: 8
    .kernarg_segment_size: 40
    .language:       OpenCL C
    .language_version:
      - 2
      - 0
    .max_flat_workgroup_size: 128
    .name:           _ZN7rocprim17ROCPRIM_400000_NS6detail17trampoline_kernelINS0_14default_configENS1_38merge_sort_block_merge_config_selectorIslEEZZNS1_27merge_sort_block_merge_implIS3_PsN6thrust23THRUST_200600_302600_NS10device_ptrIlEEjNS1_19radix_merge_compareILb0ELb1EsNS0_19identity_decomposerEEEEE10hipError_tT0_T1_T2_jT3_P12ihipStream_tbPNSt15iterator_traitsISG_E10value_typeEPNSM_ISH_E10value_typeEPSI_NS1_7vsmem_tEENKUlT_SG_SH_SI_E_clIS7_S7_PlSB_EESF_SV_SG_SH_SI_EUlSV_E_NS1_11comp_targetILNS1_3genE2ELNS1_11target_archE906ELNS1_3gpuE6ELNS1_3repE0EEENS1_48merge_mergepath_partition_config_static_selectorELNS0_4arch9wavefront6targetE1EEEvSH_
    .private_segment_fixed_size: 0
    .sgpr_count:     14
    .sgpr_spill_count: 0
    .symbol:         _ZN7rocprim17ROCPRIM_400000_NS6detail17trampoline_kernelINS0_14default_configENS1_38merge_sort_block_merge_config_selectorIslEEZZNS1_27merge_sort_block_merge_implIS3_PsN6thrust23THRUST_200600_302600_NS10device_ptrIlEEjNS1_19radix_merge_compareILb0ELb1EsNS0_19identity_decomposerEEEEE10hipError_tT0_T1_T2_jT3_P12ihipStream_tbPNSt15iterator_traitsISG_E10value_typeEPNSM_ISH_E10value_typeEPSI_NS1_7vsmem_tEENKUlT_SG_SH_SI_E_clIS7_S7_PlSB_EESF_SV_SG_SH_SI_EUlSV_E_NS1_11comp_targetILNS1_3genE2ELNS1_11target_archE906ELNS1_3gpuE6ELNS1_3repE0EEENS1_48merge_mergepath_partition_config_static_selectorELNS0_4arch9wavefront6targetE1EEEvSH_.kd
    .uniform_work_group_size: 1
    .uses_dynamic_stack: false
    .vgpr_count:     15
    .vgpr_spill_count: 0
    .wavefront_size: 64
  - .args:
      - .offset:         0
        .size:           40
        .value_kind:     by_value
    .group_segment_fixed_size: 0
    .kernarg_segment_align: 8
    .kernarg_segment_size: 40
    .language:       OpenCL C
    .language_version:
      - 2
      - 0
    .max_flat_workgroup_size: 128
    .name:           _ZN7rocprim17ROCPRIM_400000_NS6detail17trampoline_kernelINS0_14default_configENS1_38merge_sort_block_merge_config_selectorIslEEZZNS1_27merge_sort_block_merge_implIS3_PsN6thrust23THRUST_200600_302600_NS10device_ptrIlEEjNS1_19radix_merge_compareILb0ELb1EsNS0_19identity_decomposerEEEEE10hipError_tT0_T1_T2_jT3_P12ihipStream_tbPNSt15iterator_traitsISG_E10value_typeEPNSM_ISH_E10value_typeEPSI_NS1_7vsmem_tEENKUlT_SG_SH_SI_E_clIS7_S7_PlSB_EESF_SV_SG_SH_SI_EUlSV_E_NS1_11comp_targetILNS1_3genE9ELNS1_11target_archE1100ELNS1_3gpuE3ELNS1_3repE0EEENS1_48merge_mergepath_partition_config_static_selectorELNS0_4arch9wavefront6targetE1EEEvSH_
    .private_segment_fixed_size: 0
    .sgpr_count:     4
    .sgpr_spill_count: 0
    .symbol:         _ZN7rocprim17ROCPRIM_400000_NS6detail17trampoline_kernelINS0_14default_configENS1_38merge_sort_block_merge_config_selectorIslEEZZNS1_27merge_sort_block_merge_implIS3_PsN6thrust23THRUST_200600_302600_NS10device_ptrIlEEjNS1_19radix_merge_compareILb0ELb1EsNS0_19identity_decomposerEEEEE10hipError_tT0_T1_T2_jT3_P12ihipStream_tbPNSt15iterator_traitsISG_E10value_typeEPNSM_ISH_E10value_typeEPSI_NS1_7vsmem_tEENKUlT_SG_SH_SI_E_clIS7_S7_PlSB_EESF_SV_SG_SH_SI_EUlSV_E_NS1_11comp_targetILNS1_3genE9ELNS1_11target_archE1100ELNS1_3gpuE3ELNS1_3repE0EEENS1_48merge_mergepath_partition_config_static_selectorELNS0_4arch9wavefront6targetE1EEEvSH_.kd
    .uniform_work_group_size: 1
    .uses_dynamic_stack: false
    .vgpr_count:     0
    .vgpr_spill_count: 0
    .wavefront_size: 64
  - .args:
      - .offset:         0
        .size:           40
        .value_kind:     by_value
    .group_segment_fixed_size: 0
    .kernarg_segment_align: 8
    .kernarg_segment_size: 40
    .language:       OpenCL C
    .language_version:
      - 2
      - 0
    .max_flat_workgroup_size: 128
    .name:           _ZN7rocprim17ROCPRIM_400000_NS6detail17trampoline_kernelINS0_14default_configENS1_38merge_sort_block_merge_config_selectorIslEEZZNS1_27merge_sort_block_merge_implIS3_PsN6thrust23THRUST_200600_302600_NS10device_ptrIlEEjNS1_19radix_merge_compareILb0ELb1EsNS0_19identity_decomposerEEEEE10hipError_tT0_T1_T2_jT3_P12ihipStream_tbPNSt15iterator_traitsISG_E10value_typeEPNSM_ISH_E10value_typeEPSI_NS1_7vsmem_tEENKUlT_SG_SH_SI_E_clIS7_S7_PlSB_EESF_SV_SG_SH_SI_EUlSV_E_NS1_11comp_targetILNS1_3genE8ELNS1_11target_archE1030ELNS1_3gpuE2ELNS1_3repE0EEENS1_48merge_mergepath_partition_config_static_selectorELNS0_4arch9wavefront6targetE1EEEvSH_
    .private_segment_fixed_size: 0
    .sgpr_count:     4
    .sgpr_spill_count: 0
    .symbol:         _ZN7rocprim17ROCPRIM_400000_NS6detail17trampoline_kernelINS0_14default_configENS1_38merge_sort_block_merge_config_selectorIslEEZZNS1_27merge_sort_block_merge_implIS3_PsN6thrust23THRUST_200600_302600_NS10device_ptrIlEEjNS1_19radix_merge_compareILb0ELb1EsNS0_19identity_decomposerEEEEE10hipError_tT0_T1_T2_jT3_P12ihipStream_tbPNSt15iterator_traitsISG_E10value_typeEPNSM_ISH_E10value_typeEPSI_NS1_7vsmem_tEENKUlT_SG_SH_SI_E_clIS7_S7_PlSB_EESF_SV_SG_SH_SI_EUlSV_E_NS1_11comp_targetILNS1_3genE8ELNS1_11target_archE1030ELNS1_3gpuE2ELNS1_3repE0EEENS1_48merge_mergepath_partition_config_static_selectorELNS0_4arch9wavefront6targetE1EEEvSH_.kd
    .uniform_work_group_size: 1
    .uses_dynamic_stack: false
    .vgpr_count:     0
    .vgpr_spill_count: 0
    .wavefront_size: 64
  - .args:
      - .offset:         0
        .size:           64
        .value_kind:     by_value
    .group_segment_fixed_size: 0
    .kernarg_segment_align: 8
    .kernarg_segment_size: 64
    .language:       OpenCL C
    .language_version:
      - 2
      - 0
    .max_flat_workgroup_size: 256
    .name:           _ZN7rocprim17ROCPRIM_400000_NS6detail17trampoline_kernelINS0_14default_configENS1_38merge_sort_block_merge_config_selectorIslEEZZNS1_27merge_sort_block_merge_implIS3_PsN6thrust23THRUST_200600_302600_NS10device_ptrIlEEjNS1_19radix_merge_compareILb0ELb1EsNS0_19identity_decomposerEEEEE10hipError_tT0_T1_T2_jT3_P12ihipStream_tbPNSt15iterator_traitsISG_E10value_typeEPNSM_ISH_E10value_typeEPSI_NS1_7vsmem_tEENKUlT_SG_SH_SI_E_clIS7_S7_PlSB_EESF_SV_SG_SH_SI_EUlSV_E0_NS1_11comp_targetILNS1_3genE0ELNS1_11target_archE4294967295ELNS1_3gpuE0ELNS1_3repE0EEENS1_38merge_mergepath_config_static_selectorELNS0_4arch9wavefront6targetE1EEEvSH_
    .private_segment_fixed_size: 0
    .sgpr_count:     4
    .sgpr_spill_count: 0
    .symbol:         _ZN7rocprim17ROCPRIM_400000_NS6detail17trampoline_kernelINS0_14default_configENS1_38merge_sort_block_merge_config_selectorIslEEZZNS1_27merge_sort_block_merge_implIS3_PsN6thrust23THRUST_200600_302600_NS10device_ptrIlEEjNS1_19radix_merge_compareILb0ELb1EsNS0_19identity_decomposerEEEEE10hipError_tT0_T1_T2_jT3_P12ihipStream_tbPNSt15iterator_traitsISG_E10value_typeEPNSM_ISH_E10value_typeEPSI_NS1_7vsmem_tEENKUlT_SG_SH_SI_E_clIS7_S7_PlSB_EESF_SV_SG_SH_SI_EUlSV_E0_NS1_11comp_targetILNS1_3genE0ELNS1_11target_archE4294967295ELNS1_3gpuE0ELNS1_3repE0EEENS1_38merge_mergepath_config_static_selectorELNS0_4arch9wavefront6targetE1EEEvSH_.kd
    .uniform_work_group_size: 1
    .uses_dynamic_stack: false
    .vgpr_count:     0
    .vgpr_spill_count: 0
    .wavefront_size: 64
  - .args:
      - .offset:         0
        .size:           64
        .value_kind:     by_value
    .group_segment_fixed_size: 0
    .kernarg_segment_align: 8
    .kernarg_segment_size: 64
    .language:       OpenCL C
    .language_version:
      - 2
      - 0
    .max_flat_workgroup_size: 512
    .name:           _ZN7rocprim17ROCPRIM_400000_NS6detail17trampoline_kernelINS0_14default_configENS1_38merge_sort_block_merge_config_selectorIslEEZZNS1_27merge_sort_block_merge_implIS3_PsN6thrust23THRUST_200600_302600_NS10device_ptrIlEEjNS1_19radix_merge_compareILb0ELb1EsNS0_19identity_decomposerEEEEE10hipError_tT0_T1_T2_jT3_P12ihipStream_tbPNSt15iterator_traitsISG_E10value_typeEPNSM_ISH_E10value_typeEPSI_NS1_7vsmem_tEENKUlT_SG_SH_SI_E_clIS7_S7_PlSB_EESF_SV_SG_SH_SI_EUlSV_E0_NS1_11comp_targetILNS1_3genE10ELNS1_11target_archE1201ELNS1_3gpuE5ELNS1_3repE0EEENS1_38merge_mergepath_config_static_selectorELNS0_4arch9wavefront6targetE1EEEvSH_
    .private_segment_fixed_size: 0
    .sgpr_count:     4
    .sgpr_spill_count: 0
    .symbol:         _ZN7rocprim17ROCPRIM_400000_NS6detail17trampoline_kernelINS0_14default_configENS1_38merge_sort_block_merge_config_selectorIslEEZZNS1_27merge_sort_block_merge_implIS3_PsN6thrust23THRUST_200600_302600_NS10device_ptrIlEEjNS1_19radix_merge_compareILb0ELb1EsNS0_19identity_decomposerEEEEE10hipError_tT0_T1_T2_jT3_P12ihipStream_tbPNSt15iterator_traitsISG_E10value_typeEPNSM_ISH_E10value_typeEPSI_NS1_7vsmem_tEENKUlT_SG_SH_SI_E_clIS7_S7_PlSB_EESF_SV_SG_SH_SI_EUlSV_E0_NS1_11comp_targetILNS1_3genE10ELNS1_11target_archE1201ELNS1_3gpuE5ELNS1_3repE0EEENS1_38merge_mergepath_config_static_selectorELNS0_4arch9wavefront6targetE1EEEvSH_.kd
    .uniform_work_group_size: 1
    .uses_dynamic_stack: false
    .vgpr_count:     0
    .vgpr_spill_count: 0
    .wavefront_size: 64
  - .args:
      - .offset:         0
        .size:           64
        .value_kind:     by_value
    .group_segment_fixed_size: 0
    .kernarg_segment_align: 8
    .kernarg_segment_size: 64
    .language:       OpenCL C
    .language_version:
      - 2
      - 0
    .max_flat_workgroup_size: 256
    .name:           _ZN7rocprim17ROCPRIM_400000_NS6detail17trampoline_kernelINS0_14default_configENS1_38merge_sort_block_merge_config_selectorIslEEZZNS1_27merge_sort_block_merge_implIS3_PsN6thrust23THRUST_200600_302600_NS10device_ptrIlEEjNS1_19radix_merge_compareILb0ELb1EsNS0_19identity_decomposerEEEEE10hipError_tT0_T1_T2_jT3_P12ihipStream_tbPNSt15iterator_traitsISG_E10value_typeEPNSM_ISH_E10value_typeEPSI_NS1_7vsmem_tEENKUlT_SG_SH_SI_E_clIS7_S7_PlSB_EESF_SV_SG_SH_SI_EUlSV_E0_NS1_11comp_targetILNS1_3genE5ELNS1_11target_archE942ELNS1_3gpuE9ELNS1_3repE0EEENS1_38merge_mergepath_config_static_selectorELNS0_4arch9wavefront6targetE1EEEvSH_
    .private_segment_fixed_size: 0
    .sgpr_count:     4
    .sgpr_spill_count: 0
    .symbol:         _ZN7rocprim17ROCPRIM_400000_NS6detail17trampoline_kernelINS0_14default_configENS1_38merge_sort_block_merge_config_selectorIslEEZZNS1_27merge_sort_block_merge_implIS3_PsN6thrust23THRUST_200600_302600_NS10device_ptrIlEEjNS1_19radix_merge_compareILb0ELb1EsNS0_19identity_decomposerEEEEE10hipError_tT0_T1_T2_jT3_P12ihipStream_tbPNSt15iterator_traitsISG_E10value_typeEPNSM_ISH_E10value_typeEPSI_NS1_7vsmem_tEENKUlT_SG_SH_SI_E_clIS7_S7_PlSB_EESF_SV_SG_SH_SI_EUlSV_E0_NS1_11comp_targetILNS1_3genE5ELNS1_11target_archE942ELNS1_3gpuE9ELNS1_3repE0EEENS1_38merge_mergepath_config_static_selectorELNS0_4arch9wavefront6targetE1EEEvSH_.kd
    .uniform_work_group_size: 1
    .uses_dynamic_stack: false
    .vgpr_count:     0
    .vgpr_spill_count: 0
    .wavefront_size: 64
  - .args:
      - .offset:         0
        .size:           64
        .value_kind:     by_value
    .group_segment_fixed_size: 0
    .kernarg_segment_align: 8
    .kernarg_segment_size: 64
    .language:       OpenCL C
    .language_version:
      - 2
      - 0
    .max_flat_workgroup_size: 256
    .name:           _ZN7rocprim17ROCPRIM_400000_NS6detail17trampoline_kernelINS0_14default_configENS1_38merge_sort_block_merge_config_selectorIslEEZZNS1_27merge_sort_block_merge_implIS3_PsN6thrust23THRUST_200600_302600_NS10device_ptrIlEEjNS1_19radix_merge_compareILb0ELb1EsNS0_19identity_decomposerEEEEE10hipError_tT0_T1_T2_jT3_P12ihipStream_tbPNSt15iterator_traitsISG_E10value_typeEPNSM_ISH_E10value_typeEPSI_NS1_7vsmem_tEENKUlT_SG_SH_SI_E_clIS7_S7_PlSB_EESF_SV_SG_SH_SI_EUlSV_E0_NS1_11comp_targetILNS1_3genE4ELNS1_11target_archE910ELNS1_3gpuE8ELNS1_3repE0EEENS1_38merge_mergepath_config_static_selectorELNS0_4arch9wavefront6targetE1EEEvSH_
    .private_segment_fixed_size: 0
    .sgpr_count:     4
    .sgpr_spill_count: 0
    .symbol:         _ZN7rocprim17ROCPRIM_400000_NS6detail17trampoline_kernelINS0_14default_configENS1_38merge_sort_block_merge_config_selectorIslEEZZNS1_27merge_sort_block_merge_implIS3_PsN6thrust23THRUST_200600_302600_NS10device_ptrIlEEjNS1_19radix_merge_compareILb0ELb1EsNS0_19identity_decomposerEEEEE10hipError_tT0_T1_T2_jT3_P12ihipStream_tbPNSt15iterator_traitsISG_E10value_typeEPNSM_ISH_E10value_typeEPSI_NS1_7vsmem_tEENKUlT_SG_SH_SI_E_clIS7_S7_PlSB_EESF_SV_SG_SH_SI_EUlSV_E0_NS1_11comp_targetILNS1_3genE4ELNS1_11target_archE910ELNS1_3gpuE8ELNS1_3repE0EEENS1_38merge_mergepath_config_static_selectorELNS0_4arch9wavefront6targetE1EEEvSH_.kd
    .uniform_work_group_size: 1
    .uses_dynamic_stack: false
    .vgpr_count:     0
    .vgpr_spill_count: 0
    .wavefront_size: 64
  - .args:
      - .offset:         0
        .size:           64
        .value_kind:     by_value
    .group_segment_fixed_size: 0
    .kernarg_segment_align: 8
    .kernarg_segment_size: 64
    .language:       OpenCL C
    .language_version:
      - 2
      - 0
    .max_flat_workgroup_size: 256
    .name:           _ZN7rocprim17ROCPRIM_400000_NS6detail17trampoline_kernelINS0_14default_configENS1_38merge_sort_block_merge_config_selectorIslEEZZNS1_27merge_sort_block_merge_implIS3_PsN6thrust23THRUST_200600_302600_NS10device_ptrIlEEjNS1_19radix_merge_compareILb0ELb1EsNS0_19identity_decomposerEEEEE10hipError_tT0_T1_T2_jT3_P12ihipStream_tbPNSt15iterator_traitsISG_E10value_typeEPNSM_ISH_E10value_typeEPSI_NS1_7vsmem_tEENKUlT_SG_SH_SI_E_clIS7_S7_PlSB_EESF_SV_SG_SH_SI_EUlSV_E0_NS1_11comp_targetILNS1_3genE3ELNS1_11target_archE908ELNS1_3gpuE7ELNS1_3repE0EEENS1_38merge_mergepath_config_static_selectorELNS0_4arch9wavefront6targetE1EEEvSH_
    .private_segment_fixed_size: 0
    .sgpr_count:     4
    .sgpr_spill_count: 0
    .symbol:         _ZN7rocprim17ROCPRIM_400000_NS6detail17trampoline_kernelINS0_14default_configENS1_38merge_sort_block_merge_config_selectorIslEEZZNS1_27merge_sort_block_merge_implIS3_PsN6thrust23THRUST_200600_302600_NS10device_ptrIlEEjNS1_19radix_merge_compareILb0ELb1EsNS0_19identity_decomposerEEEEE10hipError_tT0_T1_T2_jT3_P12ihipStream_tbPNSt15iterator_traitsISG_E10value_typeEPNSM_ISH_E10value_typeEPSI_NS1_7vsmem_tEENKUlT_SG_SH_SI_E_clIS7_S7_PlSB_EESF_SV_SG_SH_SI_EUlSV_E0_NS1_11comp_targetILNS1_3genE3ELNS1_11target_archE908ELNS1_3gpuE7ELNS1_3repE0EEENS1_38merge_mergepath_config_static_selectorELNS0_4arch9wavefront6targetE1EEEvSH_.kd
    .uniform_work_group_size: 1
    .uses_dynamic_stack: false
    .vgpr_count:     0
    .vgpr_spill_count: 0
    .wavefront_size: 64
  - .args:
      - .offset:         0
        .size:           64
        .value_kind:     by_value
      - .offset:         64
        .size:           4
        .value_kind:     hidden_block_count_x
      - .offset:         68
        .size:           4
        .value_kind:     hidden_block_count_y
      - .offset:         72
        .size:           4
        .value_kind:     hidden_block_count_z
      - .offset:         76
        .size:           2
        .value_kind:     hidden_group_size_x
      - .offset:         78
        .size:           2
        .value_kind:     hidden_group_size_y
      - .offset:         80
        .size:           2
        .value_kind:     hidden_group_size_z
      - .offset:         82
        .size:           2
        .value_kind:     hidden_remainder_x
      - .offset:         84
        .size:           2
        .value_kind:     hidden_remainder_y
      - .offset:         86
        .size:           2
        .value_kind:     hidden_remainder_z
      - .offset:         104
        .size:           8
        .value_kind:     hidden_global_offset_x
      - .offset:         112
        .size:           8
        .value_kind:     hidden_global_offset_y
      - .offset:         120
        .size:           8
        .value_kind:     hidden_global_offset_z
      - .offset:         128
        .size:           2
        .value_kind:     hidden_grid_dims
    .group_segment_fixed_size: 8448
    .kernarg_segment_align: 8
    .kernarg_segment_size: 320
    .language:       OpenCL C
    .language_version:
      - 2
      - 0
    .max_flat_workgroup_size: 256
    .name:           _ZN7rocprim17ROCPRIM_400000_NS6detail17trampoline_kernelINS0_14default_configENS1_38merge_sort_block_merge_config_selectorIslEEZZNS1_27merge_sort_block_merge_implIS3_PsN6thrust23THRUST_200600_302600_NS10device_ptrIlEEjNS1_19radix_merge_compareILb0ELb1EsNS0_19identity_decomposerEEEEE10hipError_tT0_T1_T2_jT3_P12ihipStream_tbPNSt15iterator_traitsISG_E10value_typeEPNSM_ISH_E10value_typeEPSI_NS1_7vsmem_tEENKUlT_SG_SH_SI_E_clIS7_S7_PlSB_EESF_SV_SG_SH_SI_EUlSV_E0_NS1_11comp_targetILNS1_3genE2ELNS1_11target_archE906ELNS1_3gpuE6ELNS1_3repE0EEENS1_38merge_mergepath_config_static_selectorELNS0_4arch9wavefront6targetE1EEEvSH_
    .private_segment_fixed_size: 0
    .sgpr_count:     38
    .sgpr_spill_count: 0
    .symbol:         _ZN7rocprim17ROCPRIM_400000_NS6detail17trampoline_kernelINS0_14default_configENS1_38merge_sort_block_merge_config_selectorIslEEZZNS1_27merge_sort_block_merge_implIS3_PsN6thrust23THRUST_200600_302600_NS10device_ptrIlEEjNS1_19radix_merge_compareILb0ELb1EsNS0_19identity_decomposerEEEEE10hipError_tT0_T1_T2_jT3_P12ihipStream_tbPNSt15iterator_traitsISG_E10value_typeEPNSM_ISH_E10value_typeEPSI_NS1_7vsmem_tEENKUlT_SG_SH_SI_E_clIS7_S7_PlSB_EESF_SV_SG_SH_SI_EUlSV_E0_NS1_11comp_targetILNS1_3genE2ELNS1_11target_archE906ELNS1_3gpuE6ELNS1_3repE0EEENS1_38merge_mergepath_config_static_selectorELNS0_4arch9wavefront6targetE1EEEvSH_.kd
    .uniform_work_group_size: 1
    .uses_dynamic_stack: false
    .vgpr_count:     35
    .vgpr_spill_count: 0
    .wavefront_size: 64
  - .args:
      - .offset:         0
        .size:           64
        .value_kind:     by_value
    .group_segment_fixed_size: 0
    .kernarg_segment_align: 8
    .kernarg_segment_size: 64
    .language:       OpenCL C
    .language_version:
      - 2
      - 0
    .max_flat_workgroup_size: 256
    .name:           _ZN7rocprim17ROCPRIM_400000_NS6detail17trampoline_kernelINS0_14default_configENS1_38merge_sort_block_merge_config_selectorIslEEZZNS1_27merge_sort_block_merge_implIS3_PsN6thrust23THRUST_200600_302600_NS10device_ptrIlEEjNS1_19radix_merge_compareILb0ELb1EsNS0_19identity_decomposerEEEEE10hipError_tT0_T1_T2_jT3_P12ihipStream_tbPNSt15iterator_traitsISG_E10value_typeEPNSM_ISH_E10value_typeEPSI_NS1_7vsmem_tEENKUlT_SG_SH_SI_E_clIS7_S7_PlSB_EESF_SV_SG_SH_SI_EUlSV_E0_NS1_11comp_targetILNS1_3genE9ELNS1_11target_archE1100ELNS1_3gpuE3ELNS1_3repE0EEENS1_38merge_mergepath_config_static_selectorELNS0_4arch9wavefront6targetE1EEEvSH_
    .private_segment_fixed_size: 0
    .sgpr_count:     4
    .sgpr_spill_count: 0
    .symbol:         _ZN7rocprim17ROCPRIM_400000_NS6detail17trampoline_kernelINS0_14default_configENS1_38merge_sort_block_merge_config_selectorIslEEZZNS1_27merge_sort_block_merge_implIS3_PsN6thrust23THRUST_200600_302600_NS10device_ptrIlEEjNS1_19radix_merge_compareILb0ELb1EsNS0_19identity_decomposerEEEEE10hipError_tT0_T1_T2_jT3_P12ihipStream_tbPNSt15iterator_traitsISG_E10value_typeEPNSM_ISH_E10value_typeEPSI_NS1_7vsmem_tEENKUlT_SG_SH_SI_E_clIS7_S7_PlSB_EESF_SV_SG_SH_SI_EUlSV_E0_NS1_11comp_targetILNS1_3genE9ELNS1_11target_archE1100ELNS1_3gpuE3ELNS1_3repE0EEENS1_38merge_mergepath_config_static_selectorELNS0_4arch9wavefront6targetE1EEEvSH_.kd
    .uniform_work_group_size: 1
    .uses_dynamic_stack: false
    .vgpr_count:     0
    .vgpr_spill_count: 0
    .wavefront_size: 64
  - .args:
      - .offset:         0
        .size:           64
        .value_kind:     by_value
    .group_segment_fixed_size: 0
    .kernarg_segment_align: 8
    .kernarg_segment_size: 64
    .language:       OpenCL C
    .language_version:
      - 2
      - 0
    .max_flat_workgroup_size: 512
    .name:           _ZN7rocprim17ROCPRIM_400000_NS6detail17trampoline_kernelINS0_14default_configENS1_38merge_sort_block_merge_config_selectorIslEEZZNS1_27merge_sort_block_merge_implIS3_PsN6thrust23THRUST_200600_302600_NS10device_ptrIlEEjNS1_19radix_merge_compareILb0ELb1EsNS0_19identity_decomposerEEEEE10hipError_tT0_T1_T2_jT3_P12ihipStream_tbPNSt15iterator_traitsISG_E10value_typeEPNSM_ISH_E10value_typeEPSI_NS1_7vsmem_tEENKUlT_SG_SH_SI_E_clIS7_S7_PlSB_EESF_SV_SG_SH_SI_EUlSV_E0_NS1_11comp_targetILNS1_3genE8ELNS1_11target_archE1030ELNS1_3gpuE2ELNS1_3repE0EEENS1_38merge_mergepath_config_static_selectorELNS0_4arch9wavefront6targetE1EEEvSH_
    .private_segment_fixed_size: 0
    .sgpr_count:     4
    .sgpr_spill_count: 0
    .symbol:         _ZN7rocprim17ROCPRIM_400000_NS6detail17trampoline_kernelINS0_14default_configENS1_38merge_sort_block_merge_config_selectorIslEEZZNS1_27merge_sort_block_merge_implIS3_PsN6thrust23THRUST_200600_302600_NS10device_ptrIlEEjNS1_19radix_merge_compareILb0ELb1EsNS0_19identity_decomposerEEEEE10hipError_tT0_T1_T2_jT3_P12ihipStream_tbPNSt15iterator_traitsISG_E10value_typeEPNSM_ISH_E10value_typeEPSI_NS1_7vsmem_tEENKUlT_SG_SH_SI_E_clIS7_S7_PlSB_EESF_SV_SG_SH_SI_EUlSV_E0_NS1_11comp_targetILNS1_3genE8ELNS1_11target_archE1030ELNS1_3gpuE2ELNS1_3repE0EEENS1_38merge_mergepath_config_static_selectorELNS0_4arch9wavefront6targetE1EEEvSH_.kd
    .uniform_work_group_size: 1
    .uses_dynamic_stack: false
    .vgpr_count:     0
    .vgpr_spill_count: 0
    .wavefront_size: 64
  - .args:
      - .offset:         0
        .size:           48
        .value_kind:     by_value
    .group_segment_fixed_size: 0
    .kernarg_segment_align: 8
    .kernarg_segment_size: 48
    .language:       OpenCL C
    .language_version:
      - 2
      - 0
    .max_flat_workgroup_size: 256
    .name:           _ZN7rocprim17ROCPRIM_400000_NS6detail17trampoline_kernelINS0_14default_configENS1_38merge_sort_block_merge_config_selectorIslEEZZNS1_27merge_sort_block_merge_implIS3_PsN6thrust23THRUST_200600_302600_NS10device_ptrIlEEjNS1_19radix_merge_compareILb0ELb1EsNS0_19identity_decomposerEEEEE10hipError_tT0_T1_T2_jT3_P12ihipStream_tbPNSt15iterator_traitsISG_E10value_typeEPNSM_ISH_E10value_typeEPSI_NS1_7vsmem_tEENKUlT_SG_SH_SI_E_clIS7_S7_PlSB_EESF_SV_SG_SH_SI_EUlSV_E1_NS1_11comp_targetILNS1_3genE0ELNS1_11target_archE4294967295ELNS1_3gpuE0ELNS1_3repE0EEENS1_36merge_oddeven_config_static_selectorELNS0_4arch9wavefront6targetE1EEEvSH_
    .private_segment_fixed_size: 0
    .sgpr_count:     4
    .sgpr_spill_count: 0
    .symbol:         _ZN7rocprim17ROCPRIM_400000_NS6detail17trampoline_kernelINS0_14default_configENS1_38merge_sort_block_merge_config_selectorIslEEZZNS1_27merge_sort_block_merge_implIS3_PsN6thrust23THRUST_200600_302600_NS10device_ptrIlEEjNS1_19radix_merge_compareILb0ELb1EsNS0_19identity_decomposerEEEEE10hipError_tT0_T1_T2_jT3_P12ihipStream_tbPNSt15iterator_traitsISG_E10value_typeEPNSM_ISH_E10value_typeEPSI_NS1_7vsmem_tEENKUlT_SG_SH_SI_E_clIS7_S7_PlSB_EESF_SV_SG_SH_SI_EUlSV_E1_NS1_11comp_targetILNS1_3genE0ELNS1_11target_archE4294967295ELNS1_3gpuE0ELNS1_3repE0EEENS1_36merge_oddeven_config_static_selectorELNS0_4arch9wavefront6targetE1EEEvSH_.kd
    .uniform_work_group_size: 1
    .uses_dynamic_stack: false
    .vgpr_count:     0
    .vgpr_spill_count: 0
    .wavefront_size: 64
  - .args:
      - .offset:         0
        .size:           48
        .value_kind:     by_value
    .group_segment_fixed_size: 0
    .kernarg_segment_align: 8
    .kernarg_segment_size: 48
    .language:       OpenCL C
    .language_version:
      - 2
      - 0
    .max_flat_workgroup_size: 256
    .name:           _ZN7rocprim17ROCPRIM_400000_NS6detail17trampoline_kernelINS0_14default_configENS1_38merge_sort_block_merge_config_selectorIslEEZZNS1_27merge_sort_block_merge_implIS3_PsN6thrust23THRUST_200600_302600_NS10device_ptrIlEEjNS1_19radix_merge_compareILb0ELb1EsNS0_19identity_decomposerEEEEE10hipError_tT0_T1_T2_jT3_P12ihipStream_tbPNSt15iterator_traitsISG_E10value_typeEPNSM_ISH_E10value_typeEPSI_NS1_7vsmem_tEENKUlT_SG_SH_SI_E_clIS7_S7_PlSB_EESF_SV_SG_SH_SI_EUlSV_E1_NS1_11comp_targetILNS1_3genE10ELNS1_11target_archE1201ELNS1_3gpuE5ELNS1_3repE0EEENS1_36merge_oddeven_config_static_selectorELNS0_4arch9wavefront6targetE1EEEvSH_
    .private_segment_fixed_size: 0
    .sgpr_count:     4
    .sgpr_spill_count: 0
    .symbol:         _ZN7rocprim17ROCPRIM_400000_NS6detail17trampoline_kernelINS0_14default_configENS1_38merge_sort_block_merge_config_selectorIslEEZZNS1_27merge_sort_block_merge_implIS3_PsN6thrust23THRUST_200600_302600_NS10device_ptrIlEEjNS1_19radix_merge_compareILb0ELb1EsNS0_19identity_decomposerEEEEE10hipError_tT0_T1_T2_jT3_P12ihipStream_tbPNSt15iterator_traitsISG_E10value_typeEPNSM_ISH_E10value_typeEPSI_NS1_7vsmem_tEENKUlT_SG_SH_SI_E_clIS7_S7_PlSB_EESF_SV_SG_SH_SI_EUlSV_E1_NS1_11comp_targetILNS1_3genE10ELNS1_11target_archE1201ELNS1_3gpuE5ELNS1_3repE0EEENS1_36merge_oddeven_config_static_selectorELNS0_4arch9wavefront6targetE1EEEvSH_.kd
    .uniform_work_group_size: 1
    .uses_dynamic_stack: false
    .vgpr_count:     0
    .vgpr_spill_count: 0
    .wavefront_size: 64
  - .args:
      - .offset:         0
        .size:           48
        .value_kind:     by_value
    .group_segment_fixed_size: 0
    .kernarg_segment_align: 8
    .kernarg_segment_size: 48
    .language:       OpenCL C
    .language_version:
      - 2
      - 0
    .max_flat_workgroup_size: 256
    .name:           _ZN7rocprim17ROCPRIM_400000_NS6detail17trampoline_kernelINS0_14default_configENS1_38merge_sort_block_merge_config_selectorIslEEZZNS1_27merge_sort_block_merge_implIS3_PsN6thrust23THRUST_200600_302600_NS10device_ptrIlEEjNS1_19radix_merge_compareILb0ELb1EsNS0_19identity_decomposerEEEEE10hipError_tT0_T1_T2_jT3_P12ihipStream_tbPNSt15iterator_traitsISG_E10value_typeEPNSM_ISH_E10value_typeEPSI_NS1_7vsmem_tEENKUlT_SG_SH_SI_E_clIS7_S7_PlSB_EESF_SV_SG_SH_SI_EUlSV_E1_NS1_11comp_targetILNS1_3genE5ELNS1_11target_archE942ELNS1_3gpuE9ELNS1_3repE0EEENS1_36merge_oddeven_config_static_selectorELNS0_4arch9wavefront6targetE1EEEvSH_
    .private_segment_fixed_size: 0
    .sgpr_count:     4
    .sgpr_spill_count: 0
    .symbol:         _ZN7rocprim17ROCPRIM_400000_NS6detail17trampoline_kernelINS0_14default_configENS1_38merge_sort_block_merge_config_selectorIslEEZZNS1_27merge_sort_block_merge_implIS3_PsN6thrust23THRUST_200600_302600_NS10device_ptrIlEEjNS1_19radix_merge_compareILb0ELb1EsNS0_19identity_decomposerEEEEE10hipError_tT0_T1_T2_jT3_P12ihipStream_tbPNSt15iterator_traitsISG_E10value_typeEPNSM_ISH_E10value_typeEPSI_NS1_7vsmem_tEENKUlT_SG_SH_SI_E_clIS7_S7_PlSB_EESF_SV_SG_SH_SI_EUlSV_E1_NS1_11comp_targetILNS1_3genE5ELNS1_11target_archE942ELNS1_3gpuE9ELNS1_3repE0EEENS1_36merge_oddeven_config_static_selectorELNS0_4arch9wavefront6targetE1EEEvSH_.kd
    .uniform_work_group_size: 1
    .uses_dynamic_stack: false
    .vgpr_count:     0
    .vgpr_spill_count: 0
    .wavefront_size: 64
  - .args:
      - .offset:         0
        .size:           48
        .value_kind:     by_value
    .group_segment_fixed_size: 0
    .kernarg_segment_align: 8
    .kernarg_segment_size: 48
    .language:       OpenCL C
    .language_version:
      - 2
      - 0
    .max_flat_workgroup_size: 256
    .name:           _ZN7rocprim17ROCPRIM_400000_NS6detail17trampoline_kernelINS0_14default_configENS1_38merge_sort_block_merge_config_selectorIslEEZZNS1_27merge_sort_block_merge_implIS3_PsN6thrust23THRUST_200600_302600_NS10device_ptrIlEEjNS1_19radix_merge_compareILb0ELb1EsNS0_19identity_decomposerEEEEE10hipError_tT0_T1_T2_jT3_P12ihipStream_tbPNSt15iterator_traitsISG_E10value_typeEPNSM_ISH_E10value_typeEPSI_NS1_7vsmem_tEENKUlT_SG_SH_SI_E_clIS7_S7_PlSB_EESF_SV_SG_SH_SI_EUlSV_E1_NS1_11comp_targetILNS1_3genE4ELNS1_11target_archE910ELNS1_3gpuE8ELNS1_3repE0EEENS1_36merge_oddeven_config_static_selectorELNS0_4arch9wavefront6targetE1EEEvSH_
    .private_segment_fixed_size: 0
    .sgpr_count:     4
    .sgpr_spill_count: 0
    .symbol:         _ZN7rocprim17ROCPRIM_400000_NS6detail17trampoline_kernelINS0_14default_configENS1_38merge_sort_block_merge_config_selectorIslEEZZNS1_27merge_sort_block_merge_implIS3_PsN6thrust23THRUST_200600_302600_NS10device_ptrIlEEjNS1_19radix_merge_compareILb0ELb1EsNS0_19identity_decomposerEEEEE10hipError_tT0_T1_T2_jT3_P12ihipStream_tbPNSt15iterator_traitsISG_E10value_typeEPNSM_ISH_E10value_typeEPSI_NS1_7vsmem_tEENKUlT_SG_SH_SI_E_clIS7_S7_PlSB_EESF_SV_SG_SH_SI_EUlSV_E1_NS1_11comp_targetILNS1_3genE4ELNS1_11target_archE910ELNS1_3gpuE8ELNS1_3repE0EEENS1_36merge_oddeven_config_static_selectorELNS0_4arch9wavefront6targetE1EEEvSH_.kd
    .uniform_work_group_size: 1
    .uses_dynamic_stack: false
    .vgpr_count:     0
    .vgpr_spill_count: 0
    .wavefront_size: 64
  - .args:
      - .offset:         0
        .size:           48
        .value_kind:     by_value
    .group_segment_fixed_size: 0
    .kernarg_segment_align: 8
    .kernarg_segment_size: 48
    .language:       OpenCL C
    .language_version:
      - 2
      - 0
    .max_flat_workgroup_size: 256
    .name:           _ZN7rocprim17ROCPRIM_400000_NS6detail17trampoline_kernelINS0_14default_configENS1_38merge_sort_block_merge_config_selectorIslEEZZNS1_27merge_sort_block_merge_implIS3_PsN6thrust23THRUST_200600_302600_NS10device_ptrIlEEjNS1_19radix_merge_compareILb0ELb1EsNS0_19identity_decomposerEEEEE10hipError_tT0_T1_T2_jT3_P12ihipStream_tbPNSt15iterator_traitsISG_E10value_typeEPNSM_ISH_E10value_typeEPSI_NS1_7vsmem_tEENKUlT_SG_SH_SI_E_clIS7_S7_PlSB_EESF_SV_SG_SH_SI_EUlSV_E1_NS1_11comp_targetILNS1_3genE3ELNS1_11target_archE908ELNS1_3gpuE7ELNS1_3repE0EEENS1_36merge_oddeven_config_static_selectorELNS0_4arch9wavefront6targetE1EEEvSH_
    .private_segment_fixed_size: 0
    .sgpr_count:     4
    .sgpr_spill_count: 0
    .symbol:         _ZN7rocprim17ROCPRIM_400000_NS6detail17trampoline_kernelINS0_14default_configENS1_38merge_sort_block_merge_config_selectorIslEEZZNS1_27merge_sort_block_merge_implIS3_PsN6thrust23THRUST_200600_302600_NS10device_ptrIlEEjNS1_19radix_merge_compareILb0ELb1EsNS0_19identity_decomposerEEEEE10hipError_tT0_T1_T2_jT3_P12ihipStream_tbPNSt15iterator_traitsISG_E10value_typeEPNSM_ISH_E10value_typeEPSI_NS1_7vsmem_tEENKUlT_SG_SH_SI_E_clIS7_S7_PlSB_EESF_SV_SG_SH_SI_EUlSV_E1_NS1_11comp_targetILNS1_3genE3ELNS1_11target_archE908ELNS1_3gpuE7ELNS1_3repE0EEENS1_36merge_oddeven_config_static_selectorELNS0_4arch9wavefront6targetE1EEEvSH_.kd
    .uniform_work_group_size: 1
    .uses_dynamic_stack: false
    .vgpr_count:     0
    .vgpr_spill_count: 0
    .wavefront_size: 64
  - .args:
      - .offset:         0
        .size:           48
        .value_kind:     by_value
    .group_segment_fixed_size: 0
    .kernarg_segment_align: 8
    .kernarg_segment_size: 48
    .language:       OpenCL C
    .language_version:
      - 2
      - 0
    .max_flat_workgroup_size: 256
    .name:           _ZN7rocprim17ROCPRIM_400000_NS6detail17trampoline_kernelINS0_14default_configENS1_38merge_sort_block_merge_config_selectorIslEEZZNS1_27merge_sort_block_merge_implIS3_PsN6thrust23THRUST_200600_302600_NS10device_ptrIlEEjNS1_19radix_merge_compareILb0ELb1EsNS0_19identity_decomposerEEEEE10hipError_tT0_T1_T2_jT3_P12ihipStream_tbPNSt15iterator_traitsISG_E10value_typeEPNSM_ISH_E10value_typeEPSI_NS1_7vsmem_tEENKUlT_SG_SH_SI_E_clIS7_S7_PlSB_EESF_SV_SG_SH_SI_EUlSV_E1_NS1_11comp_targetILNS1_3genE2ELNS1_11target_archE906ELNS1_3gpuE6ELNS1_3repE0EEENS1_36merge_oddeven_config_static_selectorELNS0_4arch9wavefront6targetE1EEEvSH_
    .private_segment_fixed_size: 0
    .sgpr_count:     28
    .sgpr_spill_count: 0
    .symbol:         _ZN7rocprim17ROCPRIM_400000_NS6detail17trampoline_kernelINS0_14default_configENS1_38merge_sort_block_merge_config_selectorIslEEZZNS1_27merge_sort_block_merge_implIS3_PsN6thrust23THRUST_200600_302600_NS10device_ptrIlEEjNS1_19radix_merge_compareILb0ELb1EsNS0_19identity_decomposerEEEEE10hipError_tT0_T1_T2_jT3_P12ihipStream_tbPNSt15iterator_traitsISG_E10value_typeEPNSM_ISH_E10value_typeEPSI_NS1_7vsmem_tEENKUlT_SG_SH_SI_E_clIS7_S7_PlSB_EESF_SV_SG_SH_SI_EUlSV_E1_NS1_11comp_targetILNS1_3genE2ELNS1_11target_archE906ELNS1_3gpuE6ELNS1_3repE0EEENS1_36merge_oddeven_config_static_selectorELNS0_4arch9wavefront6targetE1EEEvSH_.kd
    .uniform_work_group_size: 1
    .uses_dynamic_stack: false
    .vgpr_count:     11
    .vgpr_spill_count: 0
    .wavefront_size: 64
  - .args:
      - .offset:         0
        .size:           48
        .value_kind:     by_value
    .group_segment_fixed_size: 0
    .kernarg_segment_align: 8
    .kernarg_segment_size: 48
    .language:       OpenCL C
    .language_version:
      - 2
      - 0
    .max_flat_workgroup_size: 256
    .name:           _ZN7rocprim17ROCPRIM_400000_NS6detail17trampoline_kernelINS0_14default_configENS1_38merge_sort_block_merge_config_selectorIslEEZZNS1_27merge_sort_block_merge_implIS3_PsN6thrust23THRUST_200600_302600_NS10device_ptrIlEEjNS1_19radix_merge_compareILb0ELb1EsNS0_19identity_decomposerEEEEE10hipError_tT0_T1_T2_jT3_P12ihipStream_tbPNSt15iterator_traitsISG_E10value_typeEPNSM_ISH_E10value_typeEPSI_NS1_7vsmem_tEENKUlT_SG_SH_SI_E_clIS7_S7_PlSB_EESF_SV_SG_SH_SI_EUlSV_E1_NS1_11comp_targetILNS1_3genE9ELNS1_11target_archE1100ELNS1_3gpuE3ELNS1_3repE0EEENS1_36merge_oddeven_config_static_selectorELNS0_4arch9wavefront6targetE1EEEvSH_
    .private_segment_fixed_size: 0
    .sgpr_count:     4
    .sgpr_spill_count: 0
    .symbol:         _ZN7rocprim17ROCPRIM_400000_NS6detail17trampoline_kernelINS0_14default_configENS1_38merge_sort_block_merge_config_selectorIslEEZZNS1_27merge_sort_block_merge_implIS3_PsN6thrust23THRUST_200600_302600_NS10device_ptrIlEEjNS1_19radix_merge_compareILb0ELb1EsNS0_19identity_decomposerEEEEE10hipError_tT0_T1_T2_jT3_P12ihipStream_tbPNSt15iterator_traitsISG_E10value_typeEPNSM_ISH_E10value_typeEPSI_NS1_7vsmem_tEENKUlT_SG_SH_SI_E_clIS7_S7_PlSB_EESF_SV_SG_SH_SI_EUlSV_E1_NS1_11comp_targetILNS1_3genE9ELNS1_11target_archE1100ELNS1_3gpuE3ELNS1_3repE0EEENS1_36merge_oddeven_config_static_selectorELNS0_4arch9wavefront6targetE1EEEvSH_.kd
    .uniform_work_group_size: 1
    .uses_dynamic_stack: false
    .vgpr_count:     0
    .vgpr_spill_count: 0
    .wavefront_size: 64
  - .args:
      - .offset:         0
        .size:           48
        .value_kind:     by_value
    .group_segment_fixed_size: 0
    .kernarg_segment_align: 8
    .kernarg_segment_size: 48
    .language:       OpenCL C
    .language_version:
      - 2
      - 0
    .max_flat_workgroup_size: 256
    .name:           _ZN7rocprim17ROCPRIM_400000_NS6detail17trampoline_kernelINS0_14default_configENS1_38merge_sort_block_merge_config_selectorIslEEZZNS1_27merge_sort_block_merge_implIS3_PsN6thrust23THRUST_200600_302600_NS10device_ptrIlEEjNS1_19radix_merge_compareILb0ELb1EsNS0_19identity_decomposerEEEEE10hipError_tT0_T1_T2_jT3_P12ihipStream_tbPNSt15iterator_traitsISG_E10value_typeEPNSM_ISH_E10value_typeEPSI_NS1_7vsmem_tEENKUlT_SG_SH_SI_E_clIS7_S7_PlSB_EESF_SV_SG_SH_SI_EUlSV_E1_NS1_11comp_targetILNS1_3genE8ELNS1_11target_archE1030ELNS1_3gpuE2ELNS1_3repE0EEENS1_36merge_oddeven_config_static_selectorELNS0_4arch9wavefront6targetE1EEEvSH_
    .private_segment_fixed_size: 0
    .sgpr_count:     4
    .sgpr_spill_count: 0
    .symbol:         _ZN7rocprim17ROCPRIM_400000_NS6detail17trampoline_kernelINS0_14default_configENS1_38merge_sort_block_merge_config_selectorIslEEZZNS1_27merge_sort_block_merge_implIS3_PsN6thrust23THRUST_200600_302600_NS10device_ptrIlEEjNS1_19radix_merge_compareILb0ELb1EsNS0_19identity_decomposerEEEEE10hipError_tT0_T1_T2_jT3_P12ihipStream_tbPNSt15iterator_traitsISG_E10value_typeEPNSM_ISH_E10value_typeEPSI_NS1_7vsmem_tEENKUlT_SG_SH_SI_E_clIS7_S7_PlSB_EESF_SV_SG_SH_SI_EUlSV_E1_NS1_11comp_targetILNS1_3genE8ELNS1_11target_archE1030ELNS1_3gpuE2ELNS1_3repE0EEENS1_36merge_oddeven_config_static_selectorELNS0_4arch9wavefront6targetE1EEEvSH_.kd
    .uniform_work_group_size: 1
    .uses_dynamic_stack: false
    .vgpr_count:     0
    .vgpr_spill_count: 0
    .wavefront_size: 64
  - .args:
      - .offset:         0
        .size:           40
        .value_kind:     by_value
    .group_segment_fixed_size: 0
    .kernarg_segment_align: 8
    .kernarg_segment_size: 40
    .language:       OpenCL C
    .language_version:
      - 2
      - 0
    .max_flat_workgroup_size: 128
    .name:           _ZN7rocprim17ROCPRIM_400000_NS6detail17trampoline_kernelINS0_14default_configENS1_38merge_sort_block_merge_config_selectorIslEEZZNS1_27merge_sort_block_merge_implIS3_PsN6thrust23THRUST_200600_302600_NS10device_ptrIlEEjNS1_19radix_merge_compareILb0ELb1EsNS0_19identity_decomposerEEEEE10hipError_tT0_T1_T2_jT3_P12ihipStream_tbPNSt15iterator_traitsISG_E10value_typeEPNSM_ISH_E10value_typeEPSI_NS1_7vsmem_tEENKUlT_SG_SH_SI_E_clIS7_S7_SB_PlEESF_SV_SG_SH_SI_EUlSV_E_NS1_11comp_targetILNS1_3genE0ELNS1_11target_archE4294967295ELNS1_3gpuE0ELNS1_3repE0EEENS1_48merge_mergepath_partition_config_static_selectorELNS0_4arch9wavefront6targetE1EEEvSH_
    .private_segment_fixed_size: 0
    .sgpr_count:     4
    .sgpr_spill_count: 0
    .symbol:         _ZN7rocprim17ROCPRIM_400000_NS6detail17trampoline_kernelINS0_14default_configENS1_38merge_sort_block_merge_config_selectorIslEEZZNS1_27merge_sort_block_merge_implIS3_PsN6thrust23THRUST_200600_302600_NS10device_ptrIlEEjNS1_19radix_merge_compareILb0ELb1EsNS0_19identity_decomposerEEEEE10hipError_tT0_T1_T2_jT3_P12ihipStream_tbPNSt15iterator_traitsISG_E10value_typeEPNSM_ISH_E10value_typeEPSI_NS1_7vsmem_tEENKUlT_SG_SH_SI_E_clIS7_S7_SB_PlEESF_SV_SG_SH_SI_EUlSV_E_NS1_11comp_targetILNS1_3genE0ELNS1_11target_archE4294967295ELNS1_3gpuE0ELNS1_3repE0EEENS1_48merge_mergepath_partition_config_static_selectorELNS0_4arch9wavefront6targetE1EEEvSH_.kd
    .uniform_work_group_size: 1
    .uses_dynamic_stack: false
    .vgpr_count:     0
    .vgpr_spill_count: 0
    .wavefront_size: 64
  - .args:
      - .offset:         0
        .size:           40
        .value_kind:     by_value
    .group_segment_fixed_size: 0
    .kernarg_segment_align: 8
    .kernarg_segment_size: 40
    .language:       OpenCL C
    .language_version:
      - 2
      - 0
    .max_flat_workgroup_size: 128
    .name:           _ZN7rocprim17ROCPRIM_400000_NS6detail17trampoline_kernelINS0_14default_configENS1_38merge_sort_block_merge_config_selectorIslEEZZNS1_27merge_sort_block_merge_implIS3_PsN6thrust23THRUST_200600_302600_NS10device_ptrIlEEjNS1_19radix_merge_compareILb0ELb1EsNS0_19identity_decomposerEEEEE10hipError_tT0_T1_T2_jT3_P12ihipStream_tbPNSt15iterator_traitsISG_E10value_typeEPNSM_ISH_E10value_typeEPSI_NS1_7vsmem_tEENKUlT_SG_SH_SI_E_clIS7_S7_SB_PlEESF_SV_SG_SH_SI_EUlSV_E_NS1_11comp_targetILNS1_3genE10ELNS1_11target_archE1201ELNS1_3gpuE5ELNS1_3repE0EEENS1_48merge_mergepath_partition_config_static_selectorELNS0_4arch9wavefront6targetE1EEEvSH_
    .private_segment_fixed_size: 0
    .sgpr_count:     4
    .sgpr_spill_count: 0
    .symbol:         _ZN7rocprim17ROCPRIM_400000_NS6detail17trampoline_kernelINS0_14default_configENS1_38merge_sort_block_merge_config_selectorIslEEZZNS1_27merge_sort_block_merge_implIS3_PsN6thrust23THRUST_200600_302600_NS10device_ptrIlEEjNS1_19radix_merge_compareILb0ELb1EsNS0_19identity_decomposerEEEEE10hipError_tT0_T1_T2_jT3_P12ihipStream_tbPNSt15iterator_traitsISG_E10value_typeEPNSM_ISH_E10value_typeEPSI_NS1_7vsmem_tEENKUlT_SG_SH_SI_E_clIS7_S7_SB_PlEESF_SV_SG_SH_SI_EUlSV_E_NS1_11comp_targetILNS1_3genE10ELNS1_11target_archE1201ELNS1_3gpuE5ELNS1_3repE0EEENS1_48merge_mergepath_partition_config_static_selectorELNS0_4arch9wavefront6targetE1EEEvSH_.kd
    .uniform_work_group_size: 1
    .uses_dynamic_stack: false
    .vgpr_count:     0
    .vgpr_spill_count: 0
    .wavefront_size: 64
  - .args:
      - .offset:         0
        .size:           40
        .value_kind:     by_value
    .group_segment_fixed_size: 0
    .kernarg_segment_align: 8
    .kernarg_segment_size: 40
    .language:       OpenCL C
    .language_version:
      - 2
      - 0
    .max_flat_workgroup_size: 128
    .name:           _ZN7rocprim17ROCPRIM_400000_NS6detail17trampoline_kernelINS0_14default_configENS1_38merge_sort_block_merge_config_selectorIslEEZZNS1_27merge_sort_block_merge_implIS3_PsN6thrust23THRUST_200600_302600_NS10device_ptrIlEEjNS1_19radix_merge_compareILb0ELb1EsNS0_19identity_decomposerEEEEE10hipError_tT0_T1_T2_jT3_P12ihipStream_tbPNSt15iterator_traitsISG_E10value_typeEPNSM_ISH_E10value_typeEPSI_NS1_7vsmem_tEENKUlT_SG_SH_SI_E_clIS7_S7_SB_PlEESF_SV_SG_SH_SI_EUlSV_E_NS1_11comp_targetILNS1_3genE5ELNS1_11target_archE942ELNS1_3gpuE9ELNS1_3repE0EEENS1_48merge_mergepath_partition_config_static_selectorELNS0_4arch9wavefront6targetE1EEEvSH_
    .private_segment_fixed_size: 0
    .sgpr_count:     4
    .sgpr_spill_count: 0
    .symbol:         _ZN7rocprim17ROCPRIM_400000_NS6detail17trampoline_kernelINS0_14default_configENS1_38merge_sort_block_merge_config_selectorIslEEZZNS1_27merge_sort_block_merge_implIS3_PsN6thrust23THRUST_200600_302600_NS10device_ptrIlEEjNS1_19radix_merge_compareILb0ELb1EsNS0_19identity_decomposerEEEEE10hipError_tT0_T1_T2_jT3_P12ihipStream_tbPNSt15iterator_traitsISG_E10value_typeEPNSM_ISH_E10value_typeEPSI_NS1_7vsmem_tEENKUlT_SG_SH_SI_E_clIS7_S7_SB_PlEESF_SV_SG_SH_SI_EUlSV_E_NS1_11comp_targetILNS1_3genE5ELNS1_11target_archE942ELNS1_3gpuE9ELNS1_3repE0EEENS1_48merge_mergepath_partition_config_static_selectorELNS0_4arch9wavefront6targetE1EEEvSH_.kd
    .uniform_work_group_size: 1
    .uses_dynamic_stack: false
    .vgpr_count:     0
    .vgpr_spill_count: 0
    .wavefront_size: 64
  - .args:
      - .offset:         0
        .size:           40
        .value_kind:     by_value
    .group_segment_fixed_size: 0
    .kernarg_segment_align: 8
    .kernarg_segment_size: 40
    .language:       OpenCL C
    .language_version:
      - 2
      - 0
    .max_flat_workgroup_size: 128
    .name:           _ZN7rocprim17ROCPRIM_400000_NS6detail17trampoline_kernelINS0_14default_configENS1_38merge_sort_block_merge_config_selectorIslEEZZNS1_27merge_sort_block_merge_implIS3_PsN6thrust23THRUST_200600_302600_NS10device_ptrIlEEjNS1_19radix_merge_compareILb0ELb1EsNS0_19identity_decomposerEEEEE10hipError_tT0_T1_T2_jT3_P12ihipStream_tbPNSt15iterator_traitsISG_E10value_typeEPNSM_ISH_E10value_typeEPSI_NS1_7vsmem_tEENKUlT_SG_SH_SI_E_clIS7_S7_SB_PlEESF_SV_SG_SH_SI_EUlSV_E_NS1_11comp_targetILNS1_3genE4ELNS1_11target_archE910ELNS1_3gpuE8ELNS1_3repE0EEENS1_48merge_mergepath_partition_config_static_selectorELNS0_4arch9wavefront6targetE1EEEvSH_
    .private_segment_fixed_size: 0
    .sgpr_count:     4
    .sgpr_spill_count: 0
    .symbol:         _ZN7rocprim17ROCPRIM_400000_NS6detail17trampoline_kernelINS0_14default_configENS1_38merge_sort_block_merge_config_selectorIslEEZZNS1_27merge_sort_block_merge_implIS3_PsN6thrust23THRUST_200600_302600_NS10device_ptrIlEEjNS1_19radix_merge_compareILb0ELb1EsNS0_19identity_decomposerEEEEE10hipError_tT0_T1_T2_jT3_P12ihipStream_tbPNSt15iterator_traitsISG_E10value_typeEPNSM_ISH_E10value_typeEPSI_NS1_7vsmem_tEENKUlT_SG_SH_SI_E_clIS7_S7_SB_PlEESF_SV_SG_SH_SI_EUlSV_E_NS1_11comp_targetILNS1_3genE4ELNS1_11target_archE910ELNS1_3gpuE8ELNS1_3repE0EEENS1_48merge_mergepath_partition_config_static_selectorELNS0_4arch9wavefront6targetE1EEEvSH_.kd
    .uniform_work_group_size: 1
    .uses_dynamic_stack: false
    .vgpr_count:     0
    .vgpr_spill_count: 0
    .wavefront_size: 64
  - .args:
      - .offset:         0
        .size:           40
        .value_kind:     by_value
    .group_segment_fixed_size: 0
    .kernarg_segment_align: 8
    .kernarg_segment_size: 40
    .language:       OpenCL C
    .language_version:
      - 2
      - 0
    .max_flat_workgroup_size: 128
    .name:           _ZN7rocprim17ROCPRIM_400000_NS6detail17trampoline_kernelINS0_14default_configENS1_38merge_sort_block_merge_config_selectorIslEEZZNS1_27merge_sort_block_merge_implIS3_PsN6thrust23THRUST_200600_302600_NS10device_ptrIlEEjNS1_19radix_merge_compareILb0ELb1EsNS0_19identity_decomposerEEEEE10hipError_tT0_T1_T2_jT3_P12ihipStream_tbPNSt15iterator_traitsISG_E10value_typeEPNSM_ISH_E10value_typeEPSI_NS1_7vsmem_tEENKUlT_SG_SH_SI_E_clIS7_S7_SB_PlEESF_SV_SG_SH_SI_EUlSV_E_NS1_11comp_targetILNS1_3genE3ELNS1_11target_archE908ELNS1_3gpuE7ELNS1_3repE0EEENS1_48merge_mergepath_partition_config_static_selectorELNS0_4arch9wavefront6targetE1EEEvSH_
    .private_segment_fixed_size: 0
    .sgpr_count:     4
    .sgpr_spill_count: 0
    .symbol:         _ZN7rocprim17ROCPRIM_400000_NS6detail17trampoline_kernelINS0_14default_configENS1_38merge_sort_block_merge_config_selectorIslEEZZNS1_27merge_sort_block_merge_implIS3_PsN6thrust23THRUST_200600_302600_NS10device_ptrIlEEjNS1_19radix_merge_compareILb0ELb1EsNS0_19identity_decomposerEEEEE10hipError_tT0_T1_T2_jT3_P12ihipStream_tbPNSt15iterator_traitsISG_E10value_typeEPNSM_ISH_E10value_typeEPSI_NS1_7vsmem_tEENKUlT_SG_SH_SI_E_clIS7_S7_SB_PlEESF_SV_SG_SH_SI_EUlSV_E_NS1_11comp_targetILNS1_3genE3ELNS1_11target_archE908ELNS1_3gpuE7ELNS1_3repE0EEENS1_48merge_mergepath_partition_config_static_selectorELNS0_4arch9wavefront6targetE1EEEvSH_.kd
    .uniform_work_group_size: 1
    .uses_dynamic_stack: false
    .vgpr_count:     0
    .vgpr_spill_count: 0
    .wavefront_size: 64
  - .args:
      - .offset:         0
        .size:           40
        .value_kind:     by_value
    .group_segment_fixed_size: 0
    .kernarg_segment_align: 8
    .kernarg_segment_size: 40
    .language:       OpenCL C
    .language_version:
      - 2
      - 0
    .max_flat_workgroup_size: 128
    .name:           _ZN7rocprim17ROCPRIM_400000_NS6detail17trampoline_kernelINS0_14default_configENS1_38merge_sort_block_merge_config_selectorIslEEZZNS1_27merge_sort_block_merge_implIS3_PsN6thrust23THRUST_200600_302600_NS10device_ptrIlEEjNS1_19radix_merge_compareILb0ELb1EsNS0_19identity_decomposerEEEEE10hipError_tT0_T1_T2_jT3_P12ihipStream_tbPNSt15iterator_traitsISG_E10value_typeEPNSM_ISH_E10value_typeEPSI_NS1_7vsmem_tEENKUlT_SG_SH_SI_E_clIS7_S7_SB_PlEESF_SV_SG_SH_SI_EUlSV_E_NS1_11comp_targetILNS1_3genE2ELNS1_11target_archE906ELNS1_3gpuE6ELNS1_3repE0EEENS1_48merge_mergepath_partition_config_static_selectorELNS0_4arch9wavefront6targetE1EEEvSH_
    .private_segment_fixed_size: 0
    .sgpr_count:     14
    .sgpr_spill_count: 0
    .symbol:         _ZN7rocprim17ROCPRIM_400000_NS6detail17trampoline_kernelINS0_14default_configENS1_38merge_sort_block_merge_config_selectorIslEEZZNS1_27merge_sort_block_merge_implIS3_PsN6thrust23THRUST_200600_302600_NS10device_ptrIlEEjNS1_19radix_merge_compareILb0ELb1EsNS0_19identity_decomposerEEEEE10hipError_tT0_T1_T2_jT3_P12ihipStream_tbPNSt15iterator_traitsISG_E10value_typeEPNSM_ISH_E10value_typeEPSI_NS1_7vsmem_tEENKUlT_SG_SH_SI_E_clIS7_S7_SB_PlEESF_SV_SG_SH_SI_EUlSV_E_NS1_11comp_targetILNS1_3genE2ELNS1_11target_archE906ELNS1_3gpuE6ELNS1_3repE0EEENS1_48merge_mergepath_partition_config_static_selectorELNS0_4arch9wavefront6targetE1EEEvSH_.kd
    .uniform_work_group_size: 1
    .uses_dynamic_stack: false
    .vgpr_count:     15
    .vgpr_spill_count: 0
    .wavefront_size: 64
  - .args:
      - .offset:         0
        .size:           40
        .value_kind:     by_value
    .group_segment_fixed_size: 0
    .kernarg_segment_align: 8
    .kernarg_segment_size: 40
    .language:       OpenCL C
    .language_version:
      - 2
      - 0
    .max_flat_workgroup_size: 128
    .name:           _ZN7rocprim17ROCPRIM_400000_NS6detail17trampoline_kernelINS0_14default_configENS1_38merge_sort_block_merge_config_selectorIslEEZZNS1_27merge_sort_block_merge_implIS3_PsN6thrust23THRUST_200600_302600_NS10device_ptrIlEEjNS1_19radix_merge_compareILb0ELb1EsNS0_19identity_decomposerEEEEE10hipError_tT0_T1_T2_jT3_P12ihipStream_tbPNSt15iterator_traitsISG_E10value_typeEPNSM_ISH_E10value_typeEPSI_NS1_7vsmem_tEENKUlT_SG_SH_SI_E_clIS7_S7_SB_PlEESF_SV_SG_SH_SI_EUlSV_E_NS1_11comp_targetILNS1_3genE9ELNS1_11target_archE1100ELNS1_3gpuE3ELNS1_3repE0EEENS1_48merge_mergepath_partition_config_static_selectorELNS0_4arch9wavefront6targetE1EEEvSH_
    .private_segment_fixed_size: 0
    .sgpr_count:     4
    .sgpr_spill_count: 0
    .symbol:         _ZN7rocprim17ROCPRIM_400000_NS6detail17trampoline_kernelINS0_14default_configENS1_38merge_sort_block_merge_config_selectorIslEEZZNS1_27merge_sort_block_merge_implIS3_PsN6thrust23THRUST_200600_302600_NS10device_ptrIlEEjNS1_19radix_merge_compareILb0ELb1EsNS0_19identity_decomposerEEEEE10hipError_tT0_T1_T2_jT3_P12ihipStream_tbPNSt15iterator_traitsISG_E10value_typeEPNSM_ISH_E10value_typeEPSI_NS1_7vsmem_tEENKUlT_SG_SH_SI_E_clIS7_S7_SB_PlEESF_SV_SG_SH_SI_EUlSV_E_NS1_11comp_targetILNS1_3genE9ELNS1_11target_archE1100ELNS1_3gpuE3ELNS1_3repE0EEENS1_48merge_mergepath_partition_config_static_selectorELNS0_4arch9wavefront6targetE1EEEvSH_.kd
    .uniform_work_group_size: 1
    .uses_dynamic_stack: false
    .vgpr_count:     0
    .vgpr_spill_count: 0
    .wavefront_size: 64
  - .args:
      - .offset:         0
        .size:           40
        .value_kind:     by_value
    .group_segment_fixed_size: 0
    .kernarg_segment_align: 8
    .kernarg_segment_size: 40
    .language:       OpenCL C
    .language_version:
      - 2
      - 0
    .max_flat_workgroup_size: 128
    .name:           _ZN7rocprim17ROCPRIM_400000_NS6detail17trampoline_kernelINS0_14default_configENS1_38merge_sort_block_merge_config_selectorIslEEZZNS1_27merge_sort_block_merge_implIS3_PsN6thrust23THRUST_200600_302600_NS10device_ptrIlEEjNS1_19radix_merge_compareILb0ELb1EsNS0_19identity_decomposerEEEEE10hipError_tT0_T1_T2_jT3_P12ihipStream_tbPNSt15iterator_traitsISG_E10value_typeEPNSM_ISH_E10value_typeEPSI_NS1_7vsmem_tEENKUlT_SG_SH_SI_E_clIS7_S7_SB_PlEESF_SV_SG_SH_SI_EUlSV_E_NS1_11comp_targetILNS1_3genE8ELNS1_11target_archE1030ELNS1_3gpuE2ELNS1_3repE0EEENS1_48merge_mergepath_partition_config_static_selectorELNS0_4arch9wavefront6targetE1EEEvSH_
    .private_segment_fixed_size: 0
    .sgpr_count:     4
    .sgpr_spill_count: 0
    .symbol:         _ZN7rocprim17ROCPRIM_400000_NS6detail17trampoline_kernelINS0_14default_configENS1_38merge_sort_block_merge_config_selectorIslEEZZNS1_27merge_sort_block_merge_implIS3_PsN6thrust23THRUST_200600_302600_NS10device_ptrIlEEjNS1_19radix_merge_compareILb0ELb1EsNS0_19identity_decomposerEEEEE10hipError_tT0_T1_T2_jT3_P12ihipStream_tbPNSt15iterator_traitsISG_E10value_typeEPNSM_ISH_E10value_typeEPSI_NS1_7vsmem_tEENKUlT_SG_SH_SI_E_clIS7_S7_SB_PlEESF_SV_SG_SH_SI_EUlSV_E_NS1_11comp_targetILNS1_3genE8ELNS1_11target_archE1030ELNS1_3gpuE2ELNS1_3repE0EEENS1_48merge_mergepath_partition_config_static_selectorELNS0_4arch9wavefront6targetE1EEEvSH_.kd
    .uniform_work_group_size: 1
    .uses_dynamic_stack: false
    .vgpr_count:     0
    .vgpr_spill_count: 0
    .wavefront_size: 64
  - .args:
      - .offset:         0
        .size:           64
        .value_kind:     by_value
    .group_segment_fixed_size: 0
    .kernarg_segment_align: 8
    .kernarg_segment_size: 64
    .language:       OpenCL C
    .language_version:
      - 2
      - 0
    .max_flat_workgroup_size: 256
    .name:           _ZN7rocprim17ROCPRIM_400000_NS6detail17trampoline_kernelINS0_14default_configENS1_38merge_sort_block_merge_config_selectorIslEEZZNS1_27merge_sort_block_merge_implIS3_PsN6thrust23THRUST_200600_302600_NS10device_ptrIlEEjNS1_19radix_merge_compareILb0ELb1EsNS0_19identity_decomposerEEEEE10hipError_tT0_T1_T2_jT3_P12ihipStream_tbPNSt15iterator_traitsISG_E10value_typeEPNSM_ISH_E10value_typeEPSI_NS1_7vsmem_tEENKUlT_SG_SH_SI_E_clIS7_S7_SB_PlEESF_SV_SG_SH_SI_EUlSV_E0_NS1_11comp_targetILNS1_3genE0ELNS1_11target_archE4294967295ELNS1_3gpuE0ELNS1_3repE0EEENS1_38merge_mergepath_config_static_selectorELNS0_4arch9wavefront6targetE1EEEvSH_
    .private_segment_fixed_size: 0
    .sgpr_count:     4
    .sgpr_spill_count: 0
    .symbol:         _ZN7rocprim17ROCPRIM_400000_NS6detail17trampoline_kernelINS0_14default_configENS1_38merge_sort_block_merge_config_selectorIslEEZZNS1_27merge_sort_block_merge_implIS3_PsN6thrust23THRUST_200600_302600_NS10device_ptrIlEEjNS1_19radix_merge_compareILb0ELb1EsNS0_19identity_decomposerEEEEE10hipError_tT0_T1_T2_jT3_P12ihipStream_tbPNSt15iterator_traitsISG_E10value_typeEPNSM_ISH_E10value_typeEPSI_NS1_7vsmem_tEENKUlT_SG_SH_SI_E_clIS7_S7_SB_PlEESF_SV_SG_SH_SI_EUlSV_E0_NS1_11comp_targetILNS1_3genE0ELNS1_11target_archE4294967295ELNS1_3gpuE0ELNS1_3repE0EEENS1_38merge_mergepath_config_static_selectorELNS0_4arch9wavefront6targetE1EEEvSH_.kd
    .uniform_work_group_size: 1
    .uses_dynamic_stack: false
    .vgpr_count:     0
    .vgpr_spill_count: 0
    .wavefront_size: 64
  - .args:
      - .offset:         0
        .size:           64
        .value_kind:     by_value
    .group_segment_fixed_size: 0
    .kernarg_segment_align: 8
    .kernarg_segment_size: 64
    .language:       OpenCL C
    .language_version:
      - 2
      - 0
    .max_flat_workgroup_size: 512
    .name:           _ZN7rocprim17ROCPRIM_400000_NS6detail17trampoline_kernelINS0_14default_configENS1_38merge_sort_block_merge_config_selectorIslEEZZNS1_27merge_sort_block_merge_implIS3_PsN6thrust23THRUST_200600_302600_NS10device_ptrIlEEjNS1_19radix_merge_compareILb0ELb1EsNS0_19identity_decomposerEEEEE10hipError_tT0_T1_T2_jT3_P12ihipStream_tbPNSt15iterator_traitsISG_E10value_typeEPNSM_ISH_E10value_typeEPSI_NS1_7vsmem_tEENKUlT_SG_SH_SI_E_clIS7_S7_SB_PlEESF_SV_SG_SH_SI_EUlSV_E0_NS1_11comp_targetILNS1_3genE10ELNS1_11target_archE1201ELNS1_3gpuE5ELNS1_3repE0EEENS1_38merge_mergepath_config_static_selectorELNS0_4arch9wavefront6targetE1EEEvSH_
    .private_segment_fixed_size: 0
    .sgpr_count:     4
    .sgpr_spill_count: 0
    .symbol:         _ZN7rocprim17ROCPRIM_400000_NS6detail17trampoline_kernelINS0_14default_configENS1_38merge_sort_block_merge_config_selectorIslEEZZNS1_27merge_sort_block_merge_implIS3_PsN6thrust23THRUST_200600_302600_NS10device_ptrIlEEjNS1_19radix_merge_compareILb0ELb1EsNS0_19identity_decomposerEEEEE10hipError_tT0_T1_T2_jT3_P12ihipStream_tbPNSt15iterator_traitsISG_E10value_typeEPNSM_ISH_E10value_typeEPSI_NS1_7vsmem_tEENKUlT_SG_SH_SI_E_clIS7_S7_SB_PlEESF_SV_SG_SH_SI_EUlSV_E0_NS1_11comp_targetILNS1_3genE10ELNS1_11target_archE1201ELNS1_3gpuE5ELNS1_3repE0EEENS1_38merge_mergepath_config_static_selectorELNS0_4arch9wavefront6targetE1EEEvSH_.kd
    .uniform_work_group_size: 1
    .uses_dynamic_stack: false
    .vgpr_count:     0
    .vgpr_spill_count: 0
    .wavefront_size: 64
  - .args:
      - .offset:         0
        .size:           64
        .value_kind:     by_value
    .group_segment_fixed_size: 0
    .kernarg_segment_align: 8
    .kernarg_segment_size: 64
    .language:       OpenCL C
    .language_version:
      - 2
      - 0
    .max_flat_workgroup_size: 256
    .name:           _ZN7rocprim17ROCPRIM_400000_NS6detail17trampoline_kernelINS0_14default_configENS1_38merge_sort_block_merge_config_selectorIslEEZZNS1_27merge_sort_block_merge_implIS3_PsN6thrust23THRUST_200600_302600_NS10device_ptrIlEEjNS1_19radix_merge_compareILb0ELb1EsNS0_19identity_decomposerEEEEE10hipError_tT0_T1_T2_jT3_P12ihipStream_tbPNSt15iterator_traitsISG_E10value_typeEPNSM_ISH_E10value_typeEPSI_NS1_7vsmem_tEENKUlT_SG_SH_SI_E_clIS7_S7_SB_PlEESF_SV_SG_SH_SI_EUlSV_E0_NS1_11comp_targetILNS1_3genE5ELNS1_11target_archE942ELNS1_3gpuE9ELNS1_3repE0EEENS1_38merge_mergepath_config_static_selectorELNS0_4arch9wavefront6targetE1EEEvSH_
    .private_segment_fixed_size: 0
    .sgpr_count:     4
    .sgpr_spill_count: 0
    .symbol:         _ZN7rocprim17ROCPRIM_400000_NS6detail17trampoline_kernelINS0_14default_configENS1_38merge_sort_block_merge_config_selectorIslEEZZNS1_27merge_sort_block_merge_implIS3_PsN6thrust23THRUST_200600_302600_NS10device_ptrIlEEjNS1_19radix_merge_compareILb0ELb1EsNS0_19identity_decomposerEEEEE10hipError_tT0_T1_T2_jT3_P12ihipStream_tbPNSt15iterator_traitsISG_E10value_typeEPNSM_ISH_E10value_typeEPSI_NS1_7vsmem_tEENKUlT_SG_SH_SI_E_clIS7_S7_SB_PlEESF_SV_SG_SH_SI_EUlSV_E0_NS1_11comp_targetILNS1_3genE5ELNS1_11target_archE942ELNS1_3gpuE9ELNS1_3repE0EEENS1_38merge_mergepath_config_static_selectorELNS0_4arch9wavefront6targetE1EEEvSH_.kd
    .uniform_work_group_size: 1
    .uses_dynamic_stack: false
    .vgpr_count:     0
    .vgpr_spill_count: 0
    .wavefront_size: 64
  - .args:
      - .offset:         0
        .size:           64
        .value_kind:     by_value
    .group_segment_fixed_size: 0
    .kernarg_segment_align: 8
    .kernarg_segment_size: 64
    .language:       OpenCL C
    .language_version:
      - 2
      - 0
    .max_flat_workgroup_size: 256
    .name:           _ZN7rocprim17ROCPRIM_400000_NS6detail17trampoline_kernelINS0_14default_configENS1_38merge_sort_block_merge_config_selectorIslEEZZNS1_27merge_sort_block_merge_implIS3_PsN6thrust23THRUST_200600_302600_NS10device_ptrIlEEjNS1_19radix_merge_compareILb0ELb1EsNS0_19identity_decomposerEEEEE10hipError_tT0_T1_T2_jT3_P12ihipStream_tbPNSt15iterator_traitsISG_E10value_typeEPNSM_ISH_E10value_typeEPSI_NS1_7vsmem_tEENKUlT_SG_SH_SI_E_clIS7_S7_SB_PlEESF_SV_SG_SH_SI_EUlSV_E0_NS1_11comp_targetILNS1_3genE4ELNS1_11target_archE910ELNS1_3gpuE8ELNS1_3repE0EEENS1_38merge_mergepath_config_static_selectorELNS0_4arch9wavefront6targetE1EEEvSH_
    .private_segment_fixed_size: 0
    .sgpr_count:     4
    .sgpr_spill_count: 0
    .symbol:         _ZN7rocprim17ROCPRIM_400000_NS6detail17trampoline_kernelINS0_14default_configENS1_38merge_sort_block_merge_config_selectorIslEEZZNS1_27merge_sort_block_merge_implIS3_PsN6thrust23THRUST_200600_302600_NS10device_ptrIlEEjNS1_19radix_merge_compareILb0ELb1EsNS0_19identity_decomposerEEEEE10hipError_tT0_T1_T2_jT3_P12ihipStream_tbPNSt15iterator_traitsISG_E10value_typeEPNSM_ISH_E10value_typeEPSI_NS1_7vsmem_tEENKUlT_SG_SH_SI_E_clIS7_S7_SB_PlEESF_SV_SG_SH_SI_EUlSV_E0_NS1_11comp_targetILNS1_3genE4ELNS1_11target_archE910ELNS1_3gpuE8ELNS1_3repE0EEENS1_38merge_mergepath_config_static_selectorELNS0_4arch9wavefront6targetE1EEEvSH_.kd
    .uniform_work_group_size: 1
    .uses_dynamic_stack: false
    .vgpr_count:     0
    .vgpr_spill_count: 0
    .wavefront_size: 64
  - .args:
      - .offset:         0
        .size:           64
        .value_kind:     by_value
    .group_segment_fixed_size: 0
    .kernarg_segment_align: 8
    .kernarg_segment_size: 64
    .language:       OpenCL C
    .language_version:
      - 2
      - 0
    .max_flat_workgroup_size: 256
    .name:           _ZN7rocprim17ROCPRIM_400000_NS6detail17trampoline_kernelINS0_14default_configENS1_38merge_sort_block_merge_config_selectorIslEEZZNS1_27merge_sort_block_merge_implIS3_PsN6thrust23THRUST_200600_302600_NS10device_ptrIlEEjNS1_19radix_merge_compareILb0ELb1EsNS0_19identity_decomposerEEEEE10hipError_tT0_T1_T2_jT3_P12ihipStream_tbPNSt15iterator_traitsISG_E10value_typeEPNSM_ISH_E10value_typeEPSI_NS1_7vsmem_tEENKUlT_SG_SH_SI_E_clIS7_S7_SB_PlEESF_SV_SG_SH_SI_EUlSV_E0_NS1_11comp_targetILNS1_3genE3ELNS1_11target_archE908ELNS1_3gpuE7ELNS1_3repE0EEENS1_38merge_mergepath_config_static_selectorELNS0_4arch9wavefront6targetE1EEEvSH_
    .private_segment_fixed_size: 0
    .sgpr_count:     4
    .sgpr_spill_count: 0
    .symbol:         _ZN7rocprim17ROCPRIM_400000_NS6detail17trampoline_kernelINS0_14default_configENS1_38merge_sort_block_merge_config_selectorIslEEZZNS1_27merge_sort_block_merge_implIS3_PsN6thrust23THRUST_200600_302600_NS10device_ptrIlEEjNS1_19radix_merge_compareILb0ELb1EsNS0_19identity_decomposerEEEEE10hipError_tT0_T1_T2_jT3_P12ihipStream_tbPNSt15iterator_traitsISG_E10value_typeEPNSM_ISH_E10value_typeEPSI_NS1_7vsmem_tEENKUlT_SG_SH_SI_E_clIS7_S7_SB_PlEESF_SV_SG_SH_SI_EUlSV_E0_NS1_11comp_targetILNS1_3genE3ELNS1_11target_archE908ELNS1_3gpuE7ELNS1_3repE0EEENS1_38merge_mergepath_config_static_selectorELNS0_4arch9wavefront6targetE1EEEvSH_.kd
    .uniform_work_group_size: 1
    .uses_dynamic_stack: false
    .vgpr_count:     0
    .vgpr_spill_count: 0
    .wavefront_size: 64
  - .args:
      - .offset:         0
        .size:           64
        .value_kind:     by_value
      - .offset:         64
        .size:           4
        .value_kind:     hidden_block_count_x
      - .offset:         68
        .size:           4
        .value_kind:     hidden_block_count_y
      - .offset:         72
        .size:           4
        .value_kind:     hidden_block_count_z
      - .offset:         76
        .size:           2
        .value_kind:     hidden_group_size_x
      - .offset:         78
        .size:           2
        .value_kind:     hidden_group_size_y
      - .offset:         80
        .size:           2
        .value_kind:     hidden_group_size_z
      - .offset:         82
        .size:           2
        .value_kind:     hidden_remainder_x
      - .offset:         84
        .size:           2
        .value_kind:     hidden_remainder_y
      - .offset:         86
        .size:           2
        .value_kind:     hidden_remainder_z
      - .offset:         104
        .size:           8
        .value_kind:     hidden_global_offset_x
      - .offset:         112
        .size:           8
        .value_kind:     hidden_global_offset_y
      - .offset:         120
        .size:           8
        .value_kind:     hidden_global_offset_z
      - .offset:         128
        .size:           2
        .value_kind:     hidden_grid_dims
    .group_segment_fixed_size: 8448
    .kernarg_segment_align: 8
    .kernarg_segment_size: 320
    .language:       OpenCL C
    .language_version:
      - 2
      - 0
    .max_flat_workgroup_size: 256
    .name:           _ZN7rocprim17ROCPRIM_400000_NS6detail17trampoline_kernelINS0_14default_configENS1_38merge_sort_block_merge_config_selectorIslEEZZNS1_27merge_sort_block_merge_implIS3_PsN6thrust23THRUST_200600_302600_NS10device_ptrIlEEjNS1_19radix_merge_compareILb0ELb1EsNS0_19identity_decomposerEEEEE10hipError_tT0_T1_T2_jT3_P12ihipStream_tbPNSt15iterator_traitsISG_E10value_typeEPNSM_ISH_E10value_typeEPSI_NS1_7vsmem_tEENKUlT_SG_SH_SI_E_clIS7_S7_SB_PlEESF_SV_SG_SH_SI_EUlSV_E0_NS1_11comp_targetILNS1_3genE2ELNS1_11target_archE906ELNS1_3gpuE6ELNS1_3repE0EEENS1_38merge_mergepath_config_static_selectorELNS0_4arch9wavefront6targetE1EEEvSH_
    .private_segment_fixed_size: 0
    .sgpr_count:     38
    .sgpr_spill_count: 0
    .symbol:         _ZN7rocprim17ROCPRIM_400000_NS6detail17trampoline_kernelINS0_14default_configENS1_38merge_sort_block_merge_config_selectorIslEEZZNS1_27merge_sort_block_merge_implIS3_PsN6thrust23THRUST_200600_302600_NS10device_ptrIlEEjNS1_19radix_merge_compareILb0ELb1EsNS0_19identity_decomposerEEEEE10hipError_tT0_T1_T2_jT3_P12ihipStream_tbPNSt15iterator_traitsISG_E10value_typeEPNSM_ISH_E10value_typeEPSI_NS1_7vsmem_tEENKUlT_SG_SH_SI_E_clIS7_S7_SB_PlEESF_SV_SG_SH_SI_EUlSV_E0_NS1_11comp_targetILNS1_3genE2ELNS1_11target_archE906ELNS1_3gpuE6ELNS1_3repE0EEENS1_38merge_mergepath_config_static_selectorELNS0_4arch9wavefront6targetE1EEEvSH_.kd
    .uniform_work_group_size: 1
    .uses_dynamic_stack: false
    .vgpr_count:     35
    .vgpr_spill_count: 0
    .wavefront_size: 64
  - .args:
      - .offset:         0
        .size:           64
        .value_kind:     by_value
    .group_segment_fixed_size: 0
    .kernarg_segment_align: 8
    .kernarg_segment_size: 64
    .language:       OpenCL C
    .language_version:
      - 2
      - 0
    .max_flat_workgroup_size: 256
    .name:           _ZN7rocprim17ROCPRIM_400000_NS6detail17trampoline_kernelINS0_14default_configENS1_38merge_sort_block_merge_config_selectorIslEEZZNS1_27merge_sort_block_merge_implIS3_PsN6thrust23THRUST_200600_302600_NS10device_ptrIlEEjNS1_19radix_merge_compareILb0ELb1EsNS0_19identity_decomposerEEEEE10hipError_tT0_T1_T2_jT3_P12ihipStream_tbPNSt15iterator_traitsISG_E10value_typeEPNSM_ISH_E10value_typeEPSI_NS1_7vsmem_tEENKUlT_SG_SH_SI_E_clIS7_S7_SB_PlEESF_SV_SG_SH_SI_EUlSV_E0_NS1_11comp_targetILNS1_3genE9ELNS1_11target_archE1100ELNS1_3gpuE3ELNS1_3repE0EEENS1_38merge_mergepath_config_static_selectorELNS0_4arch9wavefront6targetE1EEEvSH_
    .private_segment_fixed_size: 0
    .sgpr_count:     4
    .sgpr_spill_count: 0
    .symbol:         _ZN7rocprim17ROCPRIM_400000_NS6detail17trampoline_kernelINS0_14default_configENS1_38merge_sort_block_merge_config_selectorIslEEZZNS1_27merge_sort_block_merge_implIS3_PsN6thrust23THRUST_200600_302600_NS10device_ptrIlEEjNS1_19radix_merge_compareILb0ELb1EsNS0_19identity_decomposerEEEEE10hipError_tT0_T1_T2_jT3_P12ihipStream_tbPNSt15iterator_traitsISG_E10value_typeEPNSM_ISH_E10value_typeEPSI_NS1_7vsmem_tEENKUlT_SG_SH_SI_E_clIS7_S7_SB_PlEESF_SV_SG_SH_SI_EUlSV_E0_NS1_11comp_targetILNS1_3genE9ELNS1_11target_archE1100ELNS1_3gpuE3ELNS1_3repE0EEENS1_38merge_mergepath_config_static_selectorELNS0_4arch9wavefront6targetE1EEEvSH_.kd
    .uniform_work_group_size: 1
    .uses_dynamic_stack: false
    .vgpr_count:     0
    .vgpr_spill_count: 0
    .wavefront_size: 64
  - .args:
      - .offset:         0
        .size:           64
        .value_kind:     by_value
    .group_segment_fixed_size: 0
    .kernarg_segment_align: 8
    .kernarg_segment_size: 64
    .language:       OpenCL C
    .language_version:
      - 2
      - 0
    .max_flat_workgroup_size: 512
    .name:           _ZN7rocprim17ROCPRIM_400000_NS6detail17trampoline_kernelINS0_14default_configENS1_38merge_sort_block_merge_config_selectorIslEEZZNS1_27merge_sort_block_merge_implIS3_PsN6thrust23THRUST_200600_302600_NS10device_ptrIlEEjNS1_19radix_merge_compareILb0ELb1EsNS0_19identity_decomposerEEEEE10hipError_tT0_T1_T2_jT3_P12ihipStream_tbPNSt15iterator_traitsISG_E10value_typeEPNSM_ISH_E10value_typeEPSI_NS1_7vsmem_tEENKUlT_SG_SH_SI_E_clIS7_S7_SB_PlEESF_SV_SG_SH_SI_EUlSV_E0_NS1_11comp_targetILNS1_3genE8ELNS1_11target_archE1030ELNS1_3gpuE2ELNS1_3repE0EEENS1_38merge_mergepath_config_static_selectorELNS0_4arch9wavefront6targetE1EEEvSH_
    .private_segment_fixed_size: 0
    .sgpr_count:     4
    .sgpr_spill_count: 0
    .symbol:         _ZN7rocprim17ROCPRIM_400000_NS6detail17trampoline_kernelINS0_14default_configENS1_38merge_sort_block_merge_config_selectorIslEEZZNS1_27merge_sort_block_merge_implIS3_PsN6thrust23THRUST_200600_302600_NS10device_ptrIlEEjNS1_19radix_merge_compareILb0ELb1EsNS0_19identity_decomposerEEEEE10hipError_tT0_T1_T2_jT3_P12ihipStream_tbPNSt15iterator_traitsISG_E10value_typeEPNSM_ISH_E10value_typeEPSI_NS1_7vsmem_tEENKUlT_SG_SH_SI_E_clIS7_S7_SB_PlEESF_SV_SG_SH_SI_EUlSV_E0_NS1_11comp_targetILNS1_3genE8ELNS1_11target_archE1030ELNS1_3gpuE2ELNS1_3repE0EEENS1_38merge_mergepath_config_static_selectorELNS0_4arch9wavefront6targetE1EEEvSH_.kd
    .uniform_work_group_size: 1
    .uses_dynamic_stack: false
    .vgpr_count:     0
    .vgpr_spill_count: 0
    .wavefront_size: 64
  - .args:
      - .offset:         0
        .size:           48
        .value_kind:     by_value
    .group_segment_fixed_size: 0
    .kernarg_segment_align: 8
    .kernarg_segment_size: 48
    .language:       OpenCL C
    .language_version:
      - 2
      - 0
    .max_flat_workgroup_size: 256
    .name:           _ZN7rocprim17ROCPRIM_400000_NS6detail17trampoline_kernelINS0_14default_configENS1_38merge_sort_block_merge_config_selectorIslEEZZNS1_27merge_sort_block_merge_implIS3_PsN6thrust23THRUST_200600_302600_NS10device_ptrIlEEjNS1_19radix_merge_compareILb0ELb1EsNS0_19identity_decomposerEEEEE10hipError_tT0_T1_T2_jT3_P12ihipStream_tbPNSt15iterator_traitsISG_E10value_typeEPNSM_ISH_E10value_typeEPSI_NS1_7vsmem_tEENKUlT_SG_SH_SI_E_clIS7_S7_SB_PlEESF_SV_SG_SH_SI_EUlSV_E1_NS1_11comp_targetILNS1_3genE0ELNS1_11target_archE4294967295ELNS1_3gpuE0ELNS1_3repE0EEENS1_36merge_oddeven_config_static_selectorELNS0_4arch9wavefront6targetE1EEEvSH_
    .private_segment_fixed_size: 0
    .sgpr_count:     4
    .sgpr_spill_count: 0
    .symbol:         _ZN7rocprim17ROCPRIM_400000_NS6detail17trampoline_kernelINS0_14default_configENS1_38merge_sort_block_merge_config_selectorIslEEZZNS1_27merge_sort_block_merge_implIS3_PsN6thrust23THRUST_200600_302600_NS10device_ptrIlEEjNS1_19radix_merge_compareILb0ELb1EsNS0_19identity_decomposerEEEEE10hipError_tT0_T1_T2_jT3_P12ihipStream_tbPNSt15iterator_traitsISG_E10value_typeEPNSM_ISH_E10value_typeEPSI_NS1_7vsmem_tEENKUlT_SG_SH_SI_E_clIS7_S7_SB_PlEESF_SV_SG_SH_SI_EUlSV_E1_NS1_11comp_targetILNS1_3genE0ELNS1_11target_archE4294967295ELNS1_3gpuE0ELNS1_3repE0EEENS1_36merge_oddeven_config_static_selectorELNS0_4arch9wavefront6targetE1EEEvSH_.kd
    .uniform_work_group_size: 1
    .uses_dynamic_stack: false
    .vgpr_count:     0
    .vgpr_spill_count: 0
    .wavefront_size: 64
  - .args:
      - .offset:         0
        .size:           48
        .value_kind:     by_value
    .group_segment_fixed_size: 0
    .kernarg_segment_align: 8
    .kernarg_segment_size: 48
    .language:       OpenCL C
    .language_version:
      - 2
      - 0
    .max_flat_workgroup_size: 256
    .name:           _ZN7rocprim17ROCPRIM_400000_NS6detail17trampoline_kernelINS0_14default_configENS1_38merge_sort_block_merge_config_selectorIslEEZZNS1_27merge_sort_block_merge_implIS3_PsN6thrust23THRUST_200600_302600_NS10device_ptrIlEEjNS1_19radix_merge_compareILb0ELb1EsNS0_19identity_decomposerEEEEE10hipError_tT0_T1_T2_jT3_P12ihipStream_tbPNSt15iterator_traitsISG_E10value_typeEPNSM_ISH_E10value_typeEPSI_NS1_7vsmem_tEENKUlT_SG_SH_SI_E_clIS7_S7_SB_PlEESF_SV_SG_SH_SI_EUlSV_E1_NS1_11comp_targetILNS1_3genE10ELNS1_11target_archE1201ELNS1_3gpuE5ELNS1_3repE0EEENS1_36merge_oddeven_config_static_selectorELNS0_4arch9wavefront6targetE1EEEvSH_
    .private_segment_fixed_size: 0
    .sgpr_count:     4
    .sgpr_spill_count: 0
    .symbol:         _ZN7rocprim17ROCPRIM_400000_NS6detail17trampoline_kernelINS0_14default_configENS1_38merge_sort_block_merge_config_selectorIslEEZZNS1_27merge_sort_block_merge_implIS3_PsN6thrust23THRUST_200600_302600_NS10device_ptrIlEEjNS1_19radix_merge_compareILb0ELb1EsNS0_19identity_decomposerEEEEE10hipError_tT0_T1_T2_jT3_P12ihipStream_tbPNSt15iterator_traitsISG_E10value_typeEPNSM_ISH_E10value_typeEPSI_NS1_7vsmem_tEENKUlT_SG_SH_SI_E_clIS7_S7_SB_PlEESF_SV_SG_SH_SI_EUlSV_E1_NS1_11comp_targetILNS1_3genE10ELNS1_11target_archE1201ELNS1_3gpuE5ELNS1_3repE0EEENS1_36merge_oddeven_config_static_selectorELNS0_4arch9wavefront6targetE1EEEvSH_.kd
    .uniform_work_group_size: 1
    .uses_dynamic_stack: false
    .vgpr_count:     0
    .vgpr_spill_count: 0
    .wavefront_size: 64
  - .args:
      - .offset:         0
        .size:           48
        .value_kind:     by_value
    .group_segment_fixed_size: 0
    .kernarg_segment_align: 8
    .kernarg_segment_size: 48
    .language:       OpenCL C
    .language_version:
      - 2
      - 0
    .max_flat_workgroup_size: 256
    .name:           _ZN7rocprim17ROCPRIM_400000_NS6detail17trampoline_kernelINS0_14default_configENS1_38merge_sort_block_merge_config_selectorIslEEZZNS1_27merge_sort_block_merge_implIS3_PsN6thrust23THRUST_200600_302600_NS10device_ptrIlEEjNS1_19radix_merge_compareILb0ELb1EsNS0_19identity_decomposerEEEEE10hipError_tT0_T1_T2_jT3_P12ihipStream_tbPNSt15iterator_traitsISG_E10value_typeEPNSM_ISH_E10value_typeEPSI_NS1_7vsmem_tEENKUlT_SG_SH_SI_E_clIS7_S7_SB_PlEESF_SV_SG_SH_SI_EUlSV_E1_NS1_11comp_targetILNS1_3genE5ELNS1_11target_archE942ELNS1_3gpuE9ELNS1_3repE0EEENS1_36merge_oddeven_config_static_selectorELNS0_4arch9wavefront6targetE1EEEvSH_
    .private_segment_fixed_size: 0
    .sgpr_count:     4
    .sgpr_spill_count: 0
    .symbol:         _ZN7rocprim17ROCPRIM_400000_NS6detail17trampoline_kernelINS0_14default_configENS1_38merge_sort_block_merge_config_selectorIslEEZZNS1_27merge_sort_block_merge_implIS3_PsN6thrust23THRUST_200600_302600_NS10device_ptrIlEEjNS1_19radix_merge_compareILb0ELb1EsNS0_19identity_decomposerEEEEE10hipError_tT0_T1_T2_jT3_P12ihipStream_tbPNSt15iterator_traitsISG_E10value_typeEPNSM_ISH_E10value_typeEPSI_NS1_7vsmem_tEENKUlT_SG_SH_SI_E_clIS7_S7_SB_PlEESF_SV_SG_SH_SI_EUlSV_E1_NS1_11comp_targetILNS1_3genE5ELNS1_11target_archE942ELNS1_3gpuE9ELNS1_3repE0EEENS1_36merge_oddeven_config_static_selectorELNS0_4arch9wavefront6targetE1EEEvSH_.kd
    .uniform_work_group_size: 1
    .uses_dynamic_stack: false
    .vgpr_count:     0
    .vgpr_spill_count: 0
    .wavefront_size: 64
  - .args:
      - .offset:         0
        .size:           48
        .value_kind:     by_value
    .group_segment_fixed_size: 0
    .kernarg_segment_align: 8
    .kernarg_segment_size: 48
    .language:       OpenCL C
    .language_version:
      - 2
      - 0
    .max_flat_workgroup_size: 256
    .name:           _ZN7rocprim17ROCPRIM_400000_NS6detail17trampoline_kernelINS0_14default_configENS1_38merge_sort_block_merge_config_selectorIslEEZZNS1_27merge_sort_block_merge_implIS3_PsN6thrust23THRUST_200600_302600_NS10device_ptrIlEEjNS1_19radix_merge_compareILb0ELb1EsNS0_19identity_decomposerEEEEE10hipError_tT0_T1_T2_jT3_P12ihipStream_tbPNSt15iterator_traitsISG_E10value_typeEPNSM_ISH_E10value_typeEPSI_NS1_7vsmem_tEENKUlT_SG_SH_SI_E_clIS7_S7_SB_PlEESF_SV_SG_SH_SI_EUlSV_E1_NS1_11comp_targetILNS1_3genE4ELNS1_11target_archE910ELNS1_3gpuE8ELNS1_3repE0EEENS1_36merge_oddeven_config_static_selectorELNS0_4arch9wavefront6targetE1EEEvSH_
    .private_segment_fixed_size: 0
    .sgpr_count:     4
    .sgpr_spill_count: 0
    .symbol:         _ZN7rocprim17ROCPRIM_400000_NS6detail17trampoline_kernelINS0_14default_configENS1_38merge_sort_block_merge_config_selectorIslEEZZNS1_27merge_sort_block_merge_implIS3_PsN6thrust23THRUST_200600_302600_NS10device_ptrIlEEjNS1_19radix_merge_compareILb0ELb1EsNS0_19identity_decomposerEEEEE10hipError_tT0_T1_T2_jT3_P12ihipStream_tbPNSt15iterator_traitsISG_E10value_typeEPNSM_ISH_E10value_typeEPSI_NS1_7vsmem_tEENKUlT_SG_SH_SI_E_clIS7_S7_SB_PlEESF_SV_SG_SH_SI_EUlSV_E1_NS1_11comp_targetILNS1_3genE4ELNS1_11target_archE910ELNS1_3gpuE8ELNS1_3repE0EEENS1_36merge_oddeven_config_static_selectorELNS0_4arch9wavefront6targetE1EEEvSH_.kd
    .uniform_work_group_size: 1
    .uses_dynamic_stack: false
    .vgpr_count:     0
    .vgpr_spill_count: 0
    .wavefront_size: 64
  - .args:
      - .offset:         0
        .size:           48
        .value_kind:     by_value
    .group_segment_fixed_size: 0
    .kernarg_segment_align: 8
    .kernarg_segment_size: 48
    .language:       OpenCL C
    .language_version:
      - 2
      - 0
    .max_flat_workgroup_size: 256
    .name:           _ZN7rocprim17ROCPRIM_400000_NS6detail17trampoline_kernelINS0_14default_configENS1_38merge_sort_block_merge_config_selectorIslEEZZNS1_27merge_sort_block_merge_implIS3_PsN6thrust23THRUST_200600_302600_NS10device_ptrIlEEjNS1_19radix_merge_compareILb0ELb1EsNS0_19identity_decomposerEEEEE10hipError_tT0_T1_T2_jT3_P12ihipStream_tbPNSt15iterator_traitsISG_E10value_typeEPNSM_ISH_E10value_typeEPSI_NS1_7vsmem_tEENKUlT_SG_SH_SI_E_clIS7_S7_SB_PlEESF_SV_SG_SH_SI_EUlSV_E1_NS1_11comp_targetILNS1_3genE3ELNS1_11target_archE908ELNS1_3gpuE7ELNS1_3repE0EEENS1_36merge_oddeven_config_static_selectorELNS0_4arch9wavefront6targetE1EEEvSH_
    .private_segment_fixed_size: 0
    .sgpr_count:     4
    .sgpr_spill_count: 0
    .symbol:         _ZN7rocprim17ROCPRIM_400000_NS6detail17trampoline_kernelINS0_14default_configENS1_38merge_sort_block_merge_config_selectorIslEEZZNS1_27merge_sort_block_merge_implIS3_PsN6thrust23THRUST_200600_302600_NS10device_ptrIlEEjNS1_19radix_merge_compareILb0ELb1EsNS0_19identity_decomposerEEEEE10hipError_tT0_T1_T2_jT3_P12ihipStream_tbPNSt15iterator_traitsISG_E10value_typeEPNSM_ISH_E10value_typeEPSI_NS1_7vsmem_tEENKUlT_SG_SH_SI_E_clIS7_S7_SB_PlEESF_SV_SG_SH_SI_EUlSV_E1_NS1_11comp_targetILNS1_3genE3ELNS1_11target_archE908ELNS1_3gpuE7ELNS1_3repE0EEENS1_36merge_oddeven_config_static_selectorELNS0_4arch9wavefront6targetE1EEEvSH_.kd
    .uniform_work_group_size: 1
    .uses_dynamic_stack: false
    .vgpr_count:     0
    .vgpr_spill_count: 0
    .wavefront_size: 64
  - .args:
      - .offset:         0
        .size:           48
        .value_kind:     by_value
    .group_segment_fixed_size: 0
    .kernarg_segment_align: 8
    .kernarg_segment_size: 48
    .language:       OpenCL C
    .language_version:
      - 2
      - 0
    .max_flat_workgroup_size: 256
    .name:           _ZN7rocprim17ROCPRIM_400000_NS6detail17trampoline_kernelINS0_14default_configENS1_38merge_sort_block_merge_config_selectorIslEEZZNS1_27merge_sort_block_merge_implIS3_PsN6thrust23THRUST_200600_302600_NS10device_ptrIlEEjNS1_19radix_merge_compareILb0ELb1EsNS0_19identity_decomposerEEEEE10hipError_tT0_T1_T2_jT3_P12ihipStream_tbPNSt15iterator_traitsISG_E10value_typeEPNSM_ISH_E10value_typeEPSI_NS1_7vsmem_tEENKUlT_SG_SH_SI_E_clIS7_S7_SB_PlEESF_SV_SG_SH_SI_EUlSV_E1_NS1_11comp_targetILNS1_3genE2ELNS1_11target_archE906ELNS1_3gpuE6ELNS1_3repE0EEENS1_36merge_oddeven_config_static_selectorELNS0_4arch9wavefront6targetE1EEEvSH_
    .private_segment_fixed_size: 0
    .sgpr_count:     28
    .sgpr_spill_count: 0
    .symbol:         _ZN7rocprim17ROCPRIM_400000_NS6detail17trampoline_kernelINS0_14default_configENS1_38merge_sort_block_merge_config_selectorIslEEZZNS1_27merge_sort_block_merge_implIS3_PsN6thrust23THRUST_200600_302600_NS10device_ptrIlEEjNS1_19radix_merge_compareILb0ELb1EsNS0_19identity_decomposerEEEEE10hipError_tT0_T1_T2_jT3_P12ihipStream_tbPNSt15iterator_traitsISG_E10value_typeEPNSM_ISH_E10value_typeEPSI_NS1_7vsmem_tEENKUlT_SG_SH_SI_E_clIS7_S7_SB_PlEESF_SV_SG_SH_SI_EUlSV_E1_NS1_11comp_targetILNS1_3genE2ELNS1_11target_archE906ELNS1_3gpuE6ELNS1_3repE0EEENS1_36merge_oddeven_config_static_selectorELNS0_4arch9wavefront6targetE1EEEvSH_.kd
    .uniform_work_group_size: 1
    .uses_dynamic_stack: false
    .vgpr_count:     11
    .vgpr_spill_count: 0
    .wavefront_size: 64
  - .args:
      - .offset:         0
        .size:           48
        .value_kind:     by_value
    .group_segment_fixed_size: 0
    .kernarg_segment_align: 8
    .kernarg_segment_size: 48
    .language:       OpenCL C
    .language_version:
      - 2
      - 0
    .max_flat_workgroup_size: 256
    .name:           _ZN7rocprim17ROCPRIM_400000_NS6detail17trampoline_kernelINS0_14default_configENS1_38merge_sort_block_merge_config_selectorIslEEZZNS1_27merge_sort_block_merge_implIS3_PsN6thrust23THRUST_200600_302600_NS10device_ptrIlEEjNS1_19radix_merge_compareILb0ELb1EsNS0_19identity_decomposerEEEEE10hipError_tT0_T1_T2_jT3_P12ihipStream_tbPNSt15iterator_traitsISG_E10value_typeEPNSM_ISH_E10value_typeEPSI_NS1_7vsmem_tEENKUlT_SG_SH_SI_E_clIS7_S7_SB_PlEESF_SV_SG_SH_SI_EUlSV_E1_NS1_11comp_targetILNS1_3genE9ELNS1_11target_archE1100ELNS1_3gpuE3ELNS1_3repE0EEENS1_36merge_oddeven_config_static_selectorELNS0_4arch9wavefront6targetE1EEEvSH_
    .private_segment_fixed_size: 0
    .sgpr_count:     4
    .sgpr_spill_count: 0
    .symbol:         _ZN7rocprim17ROCPRIM_400000_NS6detail17trampoline_kernelINS0_14default_configENS1_38merge_sort_block_merge_config_selectorIslEEZZNS1_27merge_sort_block_merge_implIS3_PsN6thrust23THRUST_200600_302600_NS10device_ptrIlEEjNS1_19radix_merge_compareILb0ELb1EsNS0_19identity_decomposerEEEEE10hipError_tT0_T1_T2_jT3_P12ihipStream_tbPNSt15iterator_traitsISG_E10value_typeEPNSM_ISH_E10value_typeEPSI_NS1_7vsmem_tEENKUlT_SG_SH_SI_E_clIS7_S7_SB_PlEESF_SV_SG_SH_SI_EUlSV_E1_NS1_11comp_targetILNS1_3genE9ELNS1_11target_archE1100ELNS1_3gpuE3ELNS1_3repE0EEENS1_36merge_oddeven_config_static_selectorELNS0_4arch9wavefront6targetE1EEEvSH_.kd
    .uniform_work_group_size: 1
    .uses_dynamic_stack: false
    .vgpr_count:     0
    .vgpr_spill_count: 0
    .wavefront_size: 64
  - .args:
      - .offset:         0
        .size:           48
        .value_kind:     by_value
    .group_segment_fixed_size: 0
    .kernarg_segment_align: 8
    .kernarg_segment_size: 48
    .language:       OpenCL C
    .language_version:
      - 2
      - 0
    .max_flat_workgroup_size: 256
    .name:           _ZN7rocprim17ROCPRIM_400000_NS6detail17trampoline_kernelINS0_14default_configENS1_38merge_sort_block_merge_config_selectorIslEEZZNS1_27merge_sort_block_merge_implIS3_PsN6thrust23THRUST_200600_302600_NS10device_ptrIlEEjNS1_19radix_merge_compareILb0ELb1EsNS0_19identity_decomposerEEEEE10hipError_tT0_T1_T2_jT3_P12ihipStream_tbPNSt15iterator_traitsISG_E10value_typeEPNSM_ISH_E10value_typeEPSI_NS1_7vsmem_tEENKUlT_SG_SH_SI_E_clIS7_S7_SB_PlEESF_SV_SG_SH_SI_EUlSV_E1_NS1_11comp_targetILNS1_3genE8ELNS1_11target_archE1030ELNS1_3gpuE2ELNS1_3repE0EEENS1_36merge_oddeven_config_static_selectorELNS0_4arch9wavefront6targetE1EEEvSH_
    .private_segment_fixed_size: 0
    .sgpr_count:     4
    .sgpr_spill_count: 0
    .symbol:         _ZN7rocprim17ROCPRIM_400000_NS6detail17trampoline_kernelINS0_14default_configENS1_38merge_sort_block_merge_config_selectorIslEEZZNS1_27merge_sort_block_merge_implIS3_PsN6thrust23THRUST_200600_302600_NS10device_ptrIlEEjNS1_19radix_merge_compareILb0ELb1EsNS0_19identity_decomposerEEEEE10hipError_tT0_T1_T2_jT3_P12ihipStream_tbPNSt15iterator_traitsISG_E10value_typeEPNSM_ISH_E10value_typeEPSI_NS1_7vsmem_tEENKUlT_SG_SH_SI_E_clIS7_S7_SB_PlEESF_SV_SG_SH_SI_EUlSV_E1_NS1_11comp_targetILNS1_3genE8ELNS1_11target_archE1030ELNS1_3gpuE2ELNS1_3repE0EEENS1_36merge_oddeven_config_static_selectorELNS0_4arch9wavefront6targetE1EEEvSH_.kd
    .uniform_work_group_size: 1
    .uses_dynamic_stack: false
    .vgpr_count:     0
    .vgpr_spill_count: 0
    .wavefront_size: 64
  - .args:
      - .offset:         0
        .size:           40
        .value_kind:     by_value
    .group_segment_fixed_size: 0
    .kernarg_segment_align: 8
    .kernarg_segment_size: 40
    .language:       OpenCL C
    .language_version:
      - 2
      - 0
    .max_flat_workgroup_size: 1024
    .name:           _ZN7rocprim17ROCPRIM_400000_NS6detail17trampoline_kernelINS0_14default_configENS1_35radix_sort_onesweep_config_selectorIslEEZNS1_34radix_sort_onesweep_global_offsetsIS3_Lb0EPsN6thrust23THRUST_200600_302600_NS10device_ptrIlEEjNS0_19identity_decomposerEEE10hipError_tT1_T2_PT3_SG_jT4_jjP12ihipStream_tbEUlT_E_NS1_11comp_targetILNS1_3genE0ELNS1_11target_archE4294967295ELNS1_3gpuE0ELNS1_3repE0EEENS1_52radix_sort_onesweep_histogram_config_static_selectorELNS0_4arch9wavefront6targetE1EEEvSE_
    .private_segment_fixed_size: 0
    .sgpr_count:     4
    .sgpr_spill_count: 0
    .symbol:         _ZN7rocprim17ROCPRIM_400000_NS6detail17trampoline_kernelINS0_14default_configENS1_35radix_sort_onesweep_config_selectorIslEEZNS1_34radix_sort_onesweep_global_offsetsIS3_Lb0EPsN6thrust23THRUST_200600_302600_NS10device_ptrIlEEjNS0_19identity_decomposerEEE10hipError_tT1_T2_PT3_SG_jT4_jjP12ihipStream_tbEUlT_E_NS1_11comp_targetILNS1_3genE0ELNS1_11target_archE4294967295ELNS1_3gpuE0ELNS1_3repE0EEENS1_52radix_sort_onesweep_histogram_config_static_selectorELNS0_4arch9wavefront6targetE1EEEvSE_.kd
    .uniform_work_group_size: 1
    .uses_dynamic_stack: false
    .vgpr_count:     0
    .vgpr_spill_count: 0
    .wavefront_size: 64
  - .args:
      - .offset:         0
        .size:           40
        .value_kind:     by_value
    .group_segment_fixed_size: 0
    .kernarg_segment_align: 8
    .kernarg_segment_size: 40
    .language:       OpenCL C
    .language_version:
      - 2
      - 0
    .max_flat_workgroup_size: 1024
    .name:           _ZN7rocprim17ROCPRIM_400000_NS6detail17trampoline_kernelINS0_14default_configENS1_35radix_sort_onesweep_config_selectorIslEEZNS1_34radix_sort_onesweep_global_offsetsIS3_Lb0EPsN6thrust23THRUST_200600_302600_NS10device_ptrIlEEjNS0_19identity_decomposerEEE10hipError_tT1_T2_PT3_SG_jT4_jjP12ihipStream_tbEUlT_E_NS1_11comp_targetILNS1_3genE6ELNS1_11target_archE950ELNS1_3gpuE13ELNS1_3repE0EEENS1_52radix_sort_onesweep_histogram_config_static_selectorELNS0_4arch9wavefront6targetE1EEEvSE_
    .private_segment_fixed_size: 0
    .sgpr_count:     4
    .sgpr_spill_count: 0
    .symbol:         _ZN7rocprim17ROCPRIM_400000_NS6detail17trampoline_kernelINS0_14default_configENS1_35radix_sort_onesweep_config_selectorIslEEZNS1_34radix_sort_onesweep_global_offsetsIS3_Lb0EPsN6thrust23THRUST_200600_302600_NS10device_ptrIlEEjNS0_19identity_decomposerEEE10hipError_tT1_T2_PT3_SG_jT4_jjP12ihipStream_tbEUlT_E_NS1_11comp_targetILNS1_3genE6ELNS1_11target_archE950ELNS1_3gpuE13ELNS1_3repE0EEENS1_52radix_sort_onesweep_histogram_config_static_selectorELNS0_4arch9wavefront6targetE1EEEvSE_.kd
    .uniform_work_group_size: 1
    .uses_dynamic_stack: false
    .vgpr_count:     0
    .vgpr_spill_count: 0
    .wavefront_size: 64
  - .args:
      - .offset:         0
        .size:           40
        .value_kind:     by_value
    .group_segment_fixed_size: 0
    .kernarg_segment_align: 8
    .kernarg_segment_size: 40
    .language:       OpenCL C
    .language_version:
      - 2
      - 0
    .max_flat_workgroup_size: 1024
    .name:           _ZN7rocprim17ROCPRIM_400000_NS6detail17trampoline_kernelINS0_14default_configENS1_35radix_sort_onesweep_config_selectorIslEEZNS1_34radix_sort_onesweep_global_offsetsIS3_Lb0EPsN6thrust23THRUST_200600_302600_NS10device_ptrIlEEjNS0_19identity_decomposerEEE10hipError_tT1_T2_PT3_SG_jT4_jjP12ihipStream_tbEUlT_E_NS1_11comp_targetILNS1_3genE5ELNS1_11target_archE942ELNS1_3gpuE9ELNS1_3repE0EEENS1_52radix_sort_onesweep_histogram_config_static_selectorELNS0_4arch9wavefront6targetE1EEEvSE_
    .private_segment_fixed_size: 0
    .sgpr_count:     4
    .sgpr_spill_count: 0
    .symbol:         _ZN7rocprim17ROCPRIM_400000_NS6detail17trampoline_kernelINS0_14default_configENS1_35radix_sort_onesweep_config_selectorIslEEZNS1_34radix_sort_onesweep_global_offsetsIS3_Lb0EPsN6thrust23THRUST_200600_302600_NS10device_ptrIlEEjNS0_19identity_decomposerEEE10hipError_tT1_T2_PT3_SG_jT4_jjP12ihipStream_tbEUlT_E_NS1_11comp_targetILNS1_3genE5ELNS1_11target_archE942ELNS1_3gpuE9ELNS1_3repE0EEENS1_52radix_sort_onesweep_histogram_config_static_selectorELNS0_4arch9wavefront6targetE1EEEvSE_.kd
    .uniform_work_group_size: 1
    .uses_dynamic_stack: false
    .vgpr_count:     0
    .vgpr_spill_count: 0
    .wavefront_size: 64
  - .args:
      - .offset:         0
        .size:           40
        .value_kind:     by_value
    .group_segment_fixed_size: 8192
    .kernarg_segment_align: 8
    .kernarg_segment_size: 40
    .language:       OpenCL C
    .language_version:
      - 2
      - 0
    .max_flat_workgroup_size: 512
    .name:           _ZN7rocprim17ROCPRIM_400000_NS6detail17trampoline_kernelINS0_14default_configENS1_35radix_sort_onesweep_config_selectorIslEEZNS1_34radix_sort_onesweep_global_offsetsIS3_Lb0EPsN6thrust23THRUST_200600_302600_NS10device_ptrIlEEjNS0_19identity_decomposerEEE10hipError_tT1_T2_PT3_SG_jT4_jjP12ihipStream_tbEUlT_E_NS1_11comp_targetILNS1_3genE2ELNS1_11target_archE906ELNS1_3gpuE6ELNS1_3repE0EEENS1_52radix_sort_onesweep_histogram_config_static_selectorELNS0_4arch9wavefront6targetE1EEEvSE_
    .private_segment_fixed_size: 0
    .sgpr_count:     24
    .sgpr_spill_count: 0
    .symbol:         _ZN7rocprim17ROCPRIM_400000_NS6detail17trampoline_kernelINS0_14default_configENS1_35radix_sort_onesweep_config_selectorIslEEZNS1_34radix_sort_onesweep_global_offsetsIS3_Lb0EPsN6thrust23THRUST_200600_302600_NS10device_ptrIlEEjNS0_19identity_decomposerEEE10hipError_tT1_T2_PT3_SG_jT4_jjP12ihipStream_tbEUlT_E_NS1_11comp_targetILNS1_3genE2ELNS1_11target_archE906ELNS1_3gpuE6ELNS1_3repE0EEENS1_52radix_sort_onesweep_histogram_config_static_selectorELNS0_4arch9wavefront6targetE1EEEvSE_.kd
    .uniform_work_group_size: 1
    .uses_dynamic_stack: false
    .vgpr_count:     18
    .vgpr_spill_count: 0
    .wavefront_size: 64
  - .args:
      - .offset:         0
        .size:           40
        .value_kind:     by_value
    .group_segment_fixed_size: 0
    .kernarg_segment_align: 8
    .kernarg_segment_size: 40
    .language:       OpenCL C
    .language_version:
      - 2
      - 0
    .max_flat_workgroup_size: 1024
    .name:           _ZN7rocprim17ROCPRIM_400000_NS6detail17trampoline_kernelINS0_14default_configENS1_35radix_sort_onesweep_config_selectorIslEEZNS1_34radix_sort_onesweep_global_offsetsIS3_Lb0EPsN6thrust23THRUST_200600_302600_NS10device_ptrIlEEjNS0_19identity_decomposerEEE10hipError_tT1_T2_PT3_SG_jT4_jjP12ihipStream_tbEUlT_E_NS1_11comp_targetILNS1_3genE4ELNS1_11target_archE910ELNS1_3gpuE8ELNS1_3repE0EEENS1_52radix_sort_onesweep_histogram_config_static_selectorELNS0_4arch9wavefront6targetE1EEEvSE_
    .private_segment_fixed_size: 0
    .sgpr_count:     4
    .sgpr_spill_count: 0
    .symbol:         _ZN7rocprim17ROCPRIM_400000_NS6detail17trampoline_kernelINS0_14default_configENS1_35radix_sort_onesweep_config_selectorIslEEZNS1_34radix_sort_onesweep_global_offsetsIS3_Lb0EPsN6thrust23THRUST_200600_302600_NS10device_ptrIlEEjNS0_19identity_decomposerEEE10hipError_tT1_T2_PT3_SG_jT4_jjP12ihipStream_tbEUlT_E_NS1_11comp_targetILNS1_3genE4ELNS1_11target_archE910ELNS1_3gpuE8ELNS1_3repE0EEENS1_52radix_sort_onesweep_histogram_config_static_selectorELNS0_4arch9wavefront6targetE1EEEvSE_.kd
    .uniform_work_group_size: 1
    .uses_dynamic_stack: false
    .vgpr_count:     0
    .vgpr_spill_count: 0
    .wavefront_size: 64
  - .args:
      - .offset:         0
        .size:           40
        .value_kind:     by_value
    .group_segment_fixed_size: 0
    .kernarg_segment_align: 8
    .kernarg_segment_size: 40
    .language:       OpenCL C
    .language_version:
      - 2
      - 0
    .max_flat_workgroup_size: 1024
    .name:           _ZN7rocprim17ROCPRIM_400000_NS6detail17trampoline_kernelINS0_14default_configENS1_35radix_sort_onesweep_config_selectorIslEEZNS1_34radix_sort_onesweep_global_offsetsIS3_Lb0EPsN6thrust23THRUST_200600_302600_NS10device_ptrIlEEjNS0_19identity_decomposerEEE10hipError_tT1_T2_PT3_SG_jT4_jjP12ihipStream_tbEUlT_E_NS1_11comp_targetILNS1_3genE3ELNS1_11target_archE908ELNS1_3gpuE7ELNS1_3repE0EEENS1_52radix_sort_onesweep_histogram_config_static_selectorELNS0_4arch9wavefront6targetE1EEEvSE_
    .private_segment_fixed_size: 0
    .sgpr_count:     4
    .sgpr_spill_count: 0
    .symbol:         _ZN7rocprim17ROCPRIM_400000_NS6detail17trampoline_kernelINS0_14default_configENS1_35radix_sort_onesweep_config_selectorIslEEZNS1_34radix_sort_onesweep_global_offsetsIS3_Lb0EPsN6thrust23THRUST_200600_302600_NS10device_ptrIlEEjNS0_19identity_decomposerEEE10hipError_tT1_T2_PT3_SG_jT4_jjP12ihipStream_tbEUlT_E_NS1_11comp_targetILNS1_3genE3ELNS1_11target_archE908ELNS1_3gpuE7ELNS1_3repE0EEENS1_52radix_sort_onesweep_histogram_config_static_selectorELNS0_4arch9wavefront6targetE1EEEvSE_.kd
    .uniform_work_group_size: 1
    .uses_dynamic_stack: false
    .vgpr_count:     0
    .vgpr_spill_count: 0
    .wavefront_size: 64
  - .args:
      - .offset:         0
        .size:           40
        .value_kind:     by_value
    .group_segment_fixed_size: 0
    .kernarg_segment_align: 8
    .kernarg_segment_size: 40
    .language:       OpenCL C
    .language_version:
      - 2
      - 0
    .max_flat_workgroup_size: 1024
    .name:           _ZN7rocprim17ROCPRIM_400000_NS6detail17trampoline_kernelINS0_14default_configENS1_35radix_sort_onesweep_config_selectorIslEEZNS1_34radix_sort_onesweep_global_offsetsIS3_Lb0EPsN6thrust23THRUST_200600_302600_NS10device_ptrIlEEjNS0_19identity_decomposerEEE10hipError_tT1_T2_PT3_SG_jT4_jjP12ihipStream_tbEUlT_E_NS1_11comp_targetILNS1_3genE10ELNS1_11target_archE1201ELNS1_3gpuE5ELNS1_3repE0EEENS1_52radix_sort_onesweep_histogram_config_static_selectorELNS0_4arch9wavefront6targetE1EEEvSE_
    .private_segment_fixed_size: 0
    .sgpr_count:     4
    .sgpr_spill_count: 0
    .symbol:         _ZN7rocprim17ROCPRIM_400000_NS6detail17trampoline_kernelINS0_14default_configENS1_35radix_sort_onesweep_config_selectorIslEEZNS1_34radix_sort_onesweep_global_offsetsIS3_Lb0EPsN6thrust23THRUST_200600_302600_NS10device_ptrIlEEjNS0_19identity_decomposerEEE10hipError_tT1_T2_PT3_SG_jT4_jjP12ihipStream_tbEUlT_E_NS1_11comp_targetILNS1_3genE10ELNS1_11target_archE1201ELNS1_3gpuE5ELNS1_3repE0EEENS1_52radix_sort_onesweep_histogram_config_static_selectorELNS0_4arch9wavefront6targetE1EEEvSE_.kd
    .uniform_work_group_size: 1
    .uses_dynamic_stack: false
    .vgpr_count:     0
    .vgpr_spill_count: 0
    .wavefront_size: 64
  - .args:
      - .offset:         0
        .size:           40
        .value_kind:     by_value
    .group_segment_fixed_size: 0
    .kernarg_segment_align: 8
    .kernarg_segment_size: 40
    .language:       OpenCL C
    .language_version:
      - 2
      - 0
    .max_flat_workgroup_size: 1024
    .name:           _ZN7rocprim17ROCPRIM_400000_NS6detail17trampoline_kernelINS0_14default_configENS1_35radix_sort_onesweep_config_selectorIslEEZNS1_34radix_sort_onesweep_global_offsetsIS3_Lb0EPsN6thrust23THRUST_200600_302600_NS10device_ptrIlEEjNS0_19identity_decomposerEEE10hipError_tT1_T2_PT3_SG_jT4_jjP12ihipStream_tbEUlT_E_NS1_11comp_targetILNS1_3genE9ELNS1_11target_archE1100ELNS1_3gpuE3ELNS1_3repE0EEENS1_52radix_sort_onesweep_histogram_config_static_selectorELNS0_4arch9wavefront6targetE1EEEvSE_
    .private_segment_fixed_size: 0
    .sgpr_count:     4
    .sgpr_spill_count: 0
    .symbol:         _ZN7rocprim17ROCPRIM_400000_NS6detail17trampoline_kernelINS0_14default_configENS1_35radix_sort_onesweep_config_selectorIslEEZNS1_34radix_sort_onesweep_global_offsetsIS3_Lb0EPsN6thrust23THRUST_200600_302600_NS10device_ptrIlEEjNS0_19identity_decomposerEEE10hipError_tT1_T2_PT3_SG_jT4_jjP12ihipStream_tbEUlT_E_NS1_11comp_targetILNS1_3genE9ELNS1_11target_archE1100ELNS1_3gpuE3ELNS1_3repE0EEENS1_52radix_sort_onesweep_histogram_config_static_selectorELNS0_4arch9wavefront6targetE1EEEvSE_.kd
    .uniform_work_group_size: 1
    .uses_dynamic_stack: false
    .vgpr_count:     0
    .vgpr_spill_count: 0
    .wavefront_size: 64
  - .args:
      - .offset:         0
        .size:           40
        .value_kind:     by_value
    .group_segment_fixed_size: 0
    .kernarg_segment_align: 8
    .kernarg_segment_size: 40
    .language:       OpenCL C
    .language_version:
      - 2
      - 0
    .max_flat_workgroup_size: 1024
    .name:           _ZN7rocprim17ROCPRIM_400000_NS6detail17trampoline_kernelINS0_14default_configENS1_35radix_sort_onesweep_config_selectorIslEEZNS1_34radix_sort_onesweep_global_offsetsIS3_Lb0EPsN6thrust23THRUST_200600_302600_NS10device_ptrIlEEjNS0_19identity_decomposerEEE10hipError_tT1_T2_PT3_SG_jT4_jjP12ihipStream_tbEUlT_E_NS1_11comp_targetILNS1_3genE8ELNS1_11target_archE1030ELNS1_3gpuE2ELNS1_3repE0EEENS1_52radix_sort_onesweep_histogram_config_static_selectorELNS0_4arch9wavefront6targetE1EEEvSE_
    .private_segment_fixed_size: 0
    .sgpr_count:     4
    .sgpr_spill_count: 0
    .symbol:         _ZN7rocprim17ROCPRIM_400000_NS6detail17trampoline_kernelINS0_14default_configENS1_35radix_sort_onesweep_config_selectorIslEEZNS1_34radix_sort_onesweep_global_offsetsIS3_Lb0EPsN6thrust23THRUST_200600_302600_NS10device_ptrIlEEjNS0_19identity_decomposerEEE10hipError_tT1_T2_PT3_SG_jT4_jjP12ihipStream_tbEUlT_E_NS1_11comp_targetILNS1_3genE8ELNS1_11target_archE1030ELNS1_3gpuE2ELNS1_3repE0EEENS1_52radix_sort_onesweep_histogram_config_static_selectorELNS0_4arch9wavefront6targetE1EEEvSE_.kd
    .uniform_work_group_size: 1
    .uses_dynamic_stack: false
    .vgpr_count:     0
    .vgpr_spill_count: 0
    .wavefront_size: 64
  - .args:
      - .address_space:  global
        .offset:         0
        .size:           8
        .value_kind:     global_buffer
    .group_segment_fixed_size: 0
    .kernarg_segment_align: 8
    .kernarg_segment_size: 8
    .language:       OpenCL C
    .language_version:
      - 2
      - 0
    .max_flat_workgroup_size: 1024
    .name:           _ZN7rocprim17ROCPRIM_400000_NS6detail17trampoline_kernelINS0_14default_configENS1_35radix_sort_onesweep_config_selectorIslEEZNS1_34radix_sort_onesweep_global_offsetsIS3_Lb0EPsN6thrust23THRUST_200600_302600_NS10device_ptrIlEEjNS0_19identity_decomposerEEE10hipError_tT1_T2_PT3_SG_jT4_jjP12ihipStream_tbEUlT_E0_NS1_11comp_targetILNS1_3genE0ELNS1_11target_archE4294967295ELNS1_3gpuE0ELNS1_3repE0EEENS1_52radix_sort_onesweep_histogram_config_static_selectorELNS0_4arch9wavefront6targetE1EEEvSE_
    .private_segment_fixed_size: 0
    .sgpr_count:     4
    .sgpr_spill_count: 0
    .symbol:         _ZN7rocprim17ROCPRIM_400000_NS6detail17trampoline_kernelINS0_14default_configENS1_35radix_sort_onesweep_config_selectorIslEEZNS1_34radix_sort_onesweep_global_offsetsIS3_Lb0EPsN6thrust23THRUST_200600_302600_NS10device_ptrIlEEjNS0_19identity_decomposerEEE10hipError_tT1_T2_PT3_SG_jT4_jjP12ihipStream_tbEUlT_E0_NS1_11comp_targetILNS1_3genE0ELNS1_11target_archE4294967295ELNS1_3gpuE0ELNS1_3repE0EEENS1_52radix_sort_onesweep_histogram_config_static_selectorELNS0_4arch9wavefront6targetE1EEEvSE_.kd
    .uniform_work_group_size: 1
    .uses_dynamic_stack: false
    .vgpr_count:     0
    .vgpr_spill_count: 0
    .wavefront_size: 64
  - .args:
      - .address_space:  global
        .offset:         0
        .size:           8
        .value_kind:     global_buffer
    .group_segment_fixed_size: 0
    .kernarg_segment_align: 8
    .kernarg_segment_size: 8
    .language:       OpenCL C
    .language_version:
      - 2
      - 0
    .max_flat_workgroup_size: 1024
    .name:           _ZN7rocprim17ROCPRIM_400000_NS6detail17trampoline_kernelINS0_14default_configENS1_35radix_sort_onesweep_config_selectorIslEEZNS1_34radix_sort_onesweep_global_offsetsIS3_Lb0EPsN6thrust23THRUST_200600_302600_NS10device_ptrIlEEjNS0_19identity_decomposerEEE10hipError_tT1_T2_PT3_SG_jT4_jjP12ihipStream_tbEUlT_E0_NS1_11comp_targetILNS1_3genE6ELNS1_11target_archE950ELNS1_3gpuE13ELNS1_3repE0EEENS1_52radix_sort_onesweep_histogram_config_static_selectorELNS0_4arch9wavefront6targetE1EEEvSE_
    .private_segment_fixed_size: 0
    .sgpr_count:     4
    .sgpr_spill_count: 0
    .symbol:         _ZN7rocprim17ROCPRIM_400000_NS6detail17trampoline_kernelINS0_14default_configENS1_35radix_sort_onesweep_config_selectorIslEEZNS1_34radix_sort_onesweep_global_offsetsIS3_Lb0EPsN6thrust23THRUST_200600_302600_NS10device_ptrIlEEjNS0_19identity_decomposerEEE10hipError_tT1_T2_PT3_SG_jT4_jjP12ihipStream_tbEUlT_E0_NS1_11comp_targetILNS1_3genE6ELNS1_11target_archE950ELNS1_3gpuE13ELNS1_3repE0EEENS1_52radix_sort_onesweep_histogram_config_static_selectorELNS0_4arch9wavefront6targetE1EEEvSE_.kd
    .uniform_work_group_size: 1
    .uses_dynamic_stack: false
    .vgpr_count:     0
    .vgpr_spill_count: 0
    .wavefront_size: 64
  - .args:
      - .address_space:  global
        .offset:         0
        .size:           8
        .value_kind:     global_buffer
    .group_segment_fixed_size: 0
    .kernarg_segment_align: 8
    .kernarg_segment_size: 8
    .language:       OpenCL C
    .language_version:
      - 2
      - 0
    .max_flat_workgroup_size: 1024
    .name:           _ZN7rocprim17ROCPRIM_400000_NS6detail17trampoline_kernelINS0_14default_configENS1_35radix_sort_onesweep_config_selectorIslEEZNS1_34radix_sort_onesweep_global_offsetsIS3_Lb0EPsN6thrust23THRUST_200600_302600_NS10device_ptrIlEEjNS0_19identity_decomposerEEE10hipError_tT1_T2_PT3_SG_jT4_jjP12ihipStream_tbEUlT_E0_NS1_11comp_targetILNS1_3genE5ELNS1_11target_archE942ELNS1_3gpuE9ELNS1_3repE0EEENS1_52radix_sort_onesweep_histogram_config_static_selectorELNS0_4arch9wavefront6targetE1EEEvSE_
    .private_segment_fixed_size: 0
    .sgpr_count:     4
    .sgpr_spill_count: 0
    .symbol:         _ZN7rocprim17ROCPRIM_400000_NS6detail17trampoline_kernelINS0_14default_configENS1_35radix_sort_onesweep_config_selectorIslEEZNS1_34radix_sort_onesweep_global_offsetsIS3_Lb0EPsN6thrust23THRUST_200600_302600_NS10device_ptrIlEEjNS0_19identity_decomposerEEE10hipError_tT1_T2_PT3_SG_jT4_jjP12ihipStream_tbEUlT_E0_NS1_11comp_targetILNS1_3genE5ELNS1_11target_archE942ELNS1_3gpuE9ELNS1_3repE0EEENS1_52radix_sort_onesweep_histogram_config_static_selectorELNS0_4arch9wavefront6targetE1EEEvSE_.kd
    .uniform_work_group_size: 1
    .uses_dynamic_stack: false
    .vgpr_count:     0
    .vgpr_spill_count: 0
    .wavefront_size: 64
  - .args:
      - .address_space:  global
        .offset:         0
        .size:           8
        .value_kind:     global_buffer
    .group_segment_fixed_size: 32
    .kernarg_segment_align: 8
    .kernarg_segment_size: 8
    .language:       OpenCL C
    .language_version:
      - 2
      - 0
    .max_flat_workgroup_size: 512
    .name:           _ZN7rocprim17ROCPRIM_400000_NS6detail17trampoline_kernelINS0_14default_configENS1_35radix_sort_onesweep_config_selectorIslEEZNS1_34radix_sort_onesweep_global_offsetsIS3_Lb0EPsN6thrust23THRUST_200600_302600_NS10device_ptrIlEEjNS0_19identity_decomposerEEE10hipError_tT1_T2_PT3_SG_jT4_jjP12ihipStream_tbEUlT_E0_NS1_11comp_targetILNS1_3genE2ELNS1_11target_archE906ELNS1_3gpuE6ELNS1_3repE0EEENS1_52radix_sort_onesweep_histogram_config_static_selectorELNS0_4arch9wavefront6targetE1EEEvSE_
    .private_segment_fixed_size: 0
    .sgpr_count:     11
    .sgpr_spill_count: 0
    .symbol:         _ZN7rocprim17ROCPRIM_400000_NS6detail17trampoline_kernelINS0_14default_configENS1_35radix_sort_onesweep_config_selectorIslEEZNS1_34radix_sort_onesweep_global_offsetsIS3_Lb0EPsN6thrust23THRUST_200600_302600_NS10device_ptrIlEEjNS0_19identity_decomposerEEE10hipError_tT1_T2_PT3_SG_jT4_jjP12ihipStream_tbEUlT_E0_NS1_11comp_targetILNS1_3genE2ELNS1_11target_archE906ELNS1_3gpuE6ELNS1_3repE0EEENS1_52radix_sort_onesweep_histogram_config_static_selectorELNS0_4arch9wavefront6targetE1EEEvSE_.kd
    .uniform_work_group_size: 1
    .uses_dynamic_stack: false
    .vgpr_count:     8
    .vgpr_spill_count: 0
    .wavefront_size: 64
  - .args:
      - .address_space:  global
        .offset:         0
        .size:           8
        .value_kind:     global_buffer
    .group_segment_fixed_size: 0
    .kernarg_segment_align: 8
    .kernarg_segment_size: 8
    .language:       OpenCL C
    .language_version:
      - 2
      - 0
    .max_flat_workgroup_size: 1024
    .name:           _ZN7rocprim17ROCPRIM_400000_NS6detail17trampoline_kernelINS0_14default_configENS1_35radix_sort_onesweep_config_selectorIslEEZNS1_34radix_sort_onesweep_global_offsetsIS3_Lb0EPsN6thrust23THRUST_200600_302600_NS10device_ptrIlEEjNS0_19identity_decomposerEEE10hipError_tT1_T2_PT3_SG_jT4_jjP12ihipStream_tbEUlT_E0_NS1_11comp_targetILNS1_3genE4ELNS1_11target_archE910ELNS1_3gpuE8ELNS1_3repE0EEENS1_52radix_sort_onesweep_histogram_config_static_selectorELNS0_4arch9wavefront6targetE1EEEvSE_
    .private_segment_fixed_size: 0
    .sgpr_count:     4
    .sgpr_spill_count: 0
    .symbol:         _ZN7rocprim17ROCPRIM_400000_NS6detail17trampoline_kernelINS0_14default_configENS1_35radix_sort_onesweep_config_selectorIslEEZNS1_34radix_sort_onesweep_global_offsetsIS3_Lb0EPsN6thrust23THRUST_200600_302600_NS10device_ptrIlEEjNS0_19identity_decomposerEEE10hipError_tT1_T2_PT3_SG_jT4_jjP12ihipStream_tbEUlT_E0_NS1_11comp_targetILNS1_3genE4ELNS1_11target_archE910ELNS1_3gpuE8ELNS1_3repE0EEENS1_52radix_sort_onesweep_histogram_config_static_selectorELNS0_4arch9wavefront6targetE1EEEvSE_.kd
    .uniform_work_group_size: 1
    .uses_dynamic_stack: false
    .vgpr_count:     0
    .vgpr_spill_count: 0
    .wavefront_size: 64
  - .args:
      - .address_space:  global
        .offset:         0
        .size:           8
        .value_kind:     global_buffer
    .group_segment_fixed_size: 0
    .kernarg_segment_align: 8
    .kernarg_segment_size: 8
    .language:       OpenCL C
    .language_version:
      - 2
      - 0
    .max_flat_workgroup_size: 1024
    .name:           _ZN7rocprim17ROCPRIM_400000_NS6detail17trampoline_kernelINS0_14default_configENS1_35radix_sort_onesweep_config_selectorIslEEZNS1_34radix_sort_onesweep_global_offsetsIS3_Lb0EPsN6thrust23THRUST_200600_302600_NS10device_ptrIlEEjNS0_19identity_decomposerEEE10hipError_tT1_T2_PT3_SG_jT4_jjP12ihipStream_tbEUlT_E0_NS1_11comp_targetILNS1_3genE3ELNS1_11target_archE908ELNS1_3gpuE7ELNS1_3repE0EEENS1_52radix_sort_onesweep_histogram_config_static_selectorELNS0_4arch9wavefront6targetE1EEEvSE_
    .private_segment_fixed_size: 0
    .sgpr_count:     4
    .sgpr_spill_count: 0
    .symbol:         _ZN7rocprim17ROCPRIM_400000_NS6detail17trampoline_kernelINS0_14default_configENS1_35radix_sort_onesweep_config_selectorIslEEZNS1_34radix_sort_onesweep_global_offsetsIS3_Lb0EPsN6thrust23THRUST_200600_302600_NS10device_ptrIlEEjNS0_19identity_decomposerEEE10hipError_tT1_T2_PT3_SG_jT4_jjP12ihipStream_tbEUlT_E0_NS1_11comp_targetILNS1_3genE3ELNS1_11target_archE908ELNS1_3gpuE7ELNS1_3repE0EEENS1_52radix_sort_onesweep_histogram_config_static_selectorELNS0_4arch9wavefront6targetE1EEEvSE_.kd
    .uniform_work_group_size: 1
    .uses_dynamic_stack: false
    .vgpr_count:     0
    .vgpr_spill_count: 0
    .wavefront_size: 64
  - .args:
      - .address_space:  global
        .offset:         0
        .size:           8
        .value_kind:     global_buffer
    .group_segment_fixed_size: 0
    .kernarg_segment_align: 8
    .kernarg_segment_size: 8
    .language:       OpenCL C
    .language_version:
      - 2
      - 0
    .max_flat_workgroup_size: 1024
    .name:           _ZN7rocprim17ROCPRIM_400000_NS6detail17trampoline_kernelINS0_14default_configENS1_35radix_sort_onesweep_config_selectorIslEEZNS1_34radix_sort_onesweep_global_offsetsIS3_Lb0EPsN6thrust23THRUST_200600_302600_NS10device_ptrIlEEjNS0_19identity_decomposerEEE10hipError_tT1_T2_PT3_SG_jT4_jjP12ihipStream_tbEUlT_E0_NS1_11comp_targetILNS1_3genE10ELNS1_11target_archE1201ELNS1_3gpuE5ELNS1_3repE0EEENS1_52radix_sort_onesweep_histogram_config_static_selectorELNS0_4arch9wavefront6targetE1EEEvSE_
    .private_segment_fixed_size: 0
    .sgpr_count:     4
    .sgpr_spill_count: 0
    .symbol:         _ZN7rocprim17ROCPRIM_400000_NS6detail17trampoline_kernelINS0_14default_configENS1_35radix_sort_onesweep_config_selectorIslEEZNS1_34radix_sort_onesweep_global_offsetsIS3_Lb0EPsN6thrust23THRUST_200600_302600_NS10device_ptrIlEEjNS0_19identity_decomposerEEE10hipError_tT1_T2_PT3_SG_jT4_jjP12ihipStream_tbEUlT_E0_NS1_11comp_targetILNS1_3genE10ELNS1_11target_archE1201ELNS1_3gpuE5ELNS1_3repE0EEENS1_52radix_sort_onesweep_histogram_config_static_selectorELNS0_4arch9wavefront6targetE1EEEvSE_.kd
    .uniform_work_group_size: 1
    .uses_dynamic_stack: false
    .vgpr_count:     0
    .vgpr_spill_count: 0
    .wavefront_size: 64
  - .args:
      - .address_space:  global
        .offset:         0
        .size:           8
        .value_kind:     global_buffer
    .group_segment_fixed_size: 0
    .kernarg_segment_align: 8
    .kernarg_segment_size: 8
    .language:       OpenCL C
    .language_version:
      - 2
      - 0
    .max_flat_workgroup_size: 1024
    .name:           _ZN7rocprim17ROCPRIM_400000_NS6detail17trampoline_kernelINS0_14default_configENS1_35radix_sort_onesweep_config_selectorIslEEZNS1_34radix_sort_onesweep_global_offsetsIS3_Lb0EPsN6thrust23THRUST_200600_302600_NS10device_ptrIlEEjNS0_19identity_decomposerEEE10hipError_tT1_T2_PT3_SG_jT4_jjP12ihipStream_tbEUlT_E0_NS1_11comp_targetILNS1_3genE9ELNS1_11target_archE1100ELNS1_3gpuE3ELNS1_3repE0EEENS1_52radix_sort_onesweep_histogram_config_static_selectorELNS0_4arch9wavefront6targetE1EEEvSE_
    .private_segment_fixed_size: 0
    .sgpr_count:     4
    .sgpr_spill_count: 0
    .symbol:         _ZN7rocprim17ROCPRIM_400000_NS6detail17trampoline_kernelINS0_14default_configENS1_35radix_sort_onesweep_config_selectorIslEEZNS1_34radix_sort_onesweep_global_offsetsIS3_Lb0EPsN6thrust23THRUST_200600_302600_NS10device_ptrIlEEjNS0_19identity_decomposerEEE10hipError_tT1_T2_PT3_SG_jT4_jjP12ihipStream_tbEUlT_E0_NS1_11comp_targetILNS1_3genE9ELNS1_11target_archE1100ELNS1_3gpuE3ELNS1_3repE0EEENS1_52radix_sort_onesweep_histogram_config_static_selectorELNS0_4arch9wavefront6targetE1EEEvSE_.kd
    .uniform_work_group_size: 1
    .uses_dynamic_stack: false
    .vgpr_count:     0
    .vgpr_spill_count: 0
    .wavefront_size: 64
  - .args:
      - .address_space:  global
        .offset:         0
        .size:           8
        .value_kind:     global_buffer
    .group_segment_fixed_size: 0
    .kernarg_segment_align: 8
    .kernarg_segment_size: 8
    .language:       OpenCL C
    .language_version:
      - 2
      - 0
    .max_flat_workgroup_size: 1024
    .name:           _ZN7rocprim17ROCPRIM_400000_NS6detail17trampoline_kernelINS0_14default_configENS1_35radix_sort_onesweep_config_selectorIslEEZNS1_34radix_sort_onesweep_global_offsetsIS3_Lb0EPsN6thrust23THRUST_200600_302600_NS10device_ptrIlEEjNS0_19identity_decomposerEEE10hipError_tT1_T2_PT3_SG_jT4_jjP12ihipStream_tbEUlT_E0_NS1_11comp_targetILNS1_3genE8ELNS1_11target_archE1030ELNS1_3gpuE2ELNS1_3repE0EEENS1_52radix_sort_onesweep_histogram_config_static_selectorELNS0_4arch9wavefront6targetE1EEEvSE_
    .private_segment_fixed_size: 0
    .sgpr_count:     4
    .sgpr_spill_count: 0
    .symbol:         _ZN7rocprim17ROCPRIM_400000_NS6detail17trampoline_kernelINS0_14default_configENS1_35radix_sort_onesweep_config_selectorIslEEZNS1_34radix_sort_onesweep_global_offsetsIS3_Lb0EPsN6thrust23THRUST_200600_302600_NS10device_ptrIlEEjNS0_19identity_decomposerEEE10hipError_tT1_T2_PT3_SG_jT4_jjP12ihipStream_tbEUlT_E0_NS1_11comp_targetILNS1_3genE8ELNS1_11target_archE1030ELNS1_3gpuE2ELNS1_3repE0EEENS1_52radix_sort_onesweep_histogram_config_static_selectorELNS0_4arch9wavefront6targetE1EEEvSE_.kd
    .uniform_work_group_size: 1
    .uses_dynamic_stack: false
    .vgpr_count:     0
    .vgpr_spill_count: 0
    .wavefront_size: 64
  - .args:
      - .offset:         0
        .size:           88
        .value_kind:     by_value
    .group_segment_fixed_size: 0
    .kernarg_segment_align: 8
    .kernarg_segment_size: 88
    .language:       OpenCL C
    .language_version:
      - 2
      - 0
    .max_flat_workgroup_size: 1024
    .name:           _ZN7rocprim17ROCPRIM_400000_NS6detail17trampoline_kernelINS0_14default_configENS1_35radix_sort_onesweep_config_selectorIslEEZZNS1_29radix_sort_onesweep_iterationIS3_Lb0EPsS7_N6thrust23THRUST_200600_302600_NS10device_ptrIlEESB_jNS0_19identity_decomposerENS1_16block_id_wrapperIjLb1EEEEE10hipError_tT1_PNSt15iterator_traitsISG_E10value_typeET2_T3_PNSH_ISM_E10value_typeET4_T5_PSR_SS_PNS1_23onesweep_lookback_stateEbbT6_jjT7_P12ihipStream_tbENKUlT_T0_SG_SL_E_clIS7_S7_SB_SB_EEDaSZ_S10_SG_SL_EUlSZ_E_NS1_11comp_targetILNS1_3genE0ELNS1_11target_archE4294967295ELNS1_3gpuE0ELNS1_3repE0EEENS1_47radix_sort_onesweep_sort_config_static_selectorELNS0_4arch9wavefront6targetE1EEEvSG_
    .private_segment_fixed_size: 0
    .sgpr_count:     4
    .sgpr_spill_count: 0
    .symbol:         _ZN7rocprim17ROCPRIM_400000_NS6detail17trampoline_kernelINS0_14default_configENS1_35radix_sort_onesweep_config_selectorIslEEZZNS1_29radix_sort_onesweep_iterationIS3_Lb0EPsS7_N6thrust23THRUST_200600_302600_NS10device_ptrIlEESB_jNS0_19identity_decomposerENS1_16block_id_wrapperIjLb1EEEEE10hipError_tT1_PNSt15iterator_traitsISG_E10value_typeET2_T3_PNSH_ISM_E10value_typeET4_T5_PSR_SS_PNS1_23onesweep_lookback_stateEbbT6_jjT7_P12ihipStream_tbENKUlT_T0_SG_SL_E_clIS7_S7_SB_SB_EEDaSZ_S10_SG_SL_EUlSZ_E_NS1_11comp_targetILNS1_3genE0ELNS1_11target_archE4294967295ELNS1_3gpuE0ELNS1_3repE0EEENS1_47radix_sort_onesweep_sort_config_static_selectorELNS0_4arch9wavefront6targetE1EEEvSG_.kd
    .uniform_work_group_size: 1
    .uses_dynamic_stack: false
    .vgpr_count:     0
    .vgpr_spill_count: 0
    .wavefront_size: 64
  - .args:
      - .offset:         0
        .size:           88
        .value_kind:     by_value
    .group_segment_fixed_size: 0
    .kernarg_segment_align: 8
    .kernarg_segment_size: 88
    .language:       OpenCL C
    .language_version:
      - 2
      - 0
    .max_flat_workgroup_size: 1024
    .name:           _ZN7rocprim17ROCPRIM_400000_NS6detail17trampoline_kernelINS0_14default_configENS1_35radix_sort_onesweep_config_selectorIslEEZZNS1_29radix_sort_onesweep_iterationIS3_Lb0EPsS7_N6thrust23THRUST_200600_302600_NS10device_ptrIlEESB_jNS0_19identity_decomposerENS1_16block_id_wrapperIjLb1EEEEE10hipError_tT1_PNSt15iterator_traitsISG_E10value_typeET2_T3_PNSH_ISM_E10value_typeET4_T5_PSR_SS_PNS1_23onesweep_lookback_stateEbbT6_jjT7_P12ihipStream_tbENKUlT_T0_SG_SL_E_clIS7_S7_SB_SB_EEDaSZ_S10_SG_SL_EUlSZ_E_NS1_11comp_targetILNS1_3genE6ELNS1_11target_archE950ELNS1_3gpuE13ELNS1_3repE0EEENS1_47radix_sort_onesweep_sort_config_static_selectorELNS0_4arch9wavefront6targetE1EEEvSG_
    .private_segment_fixed_size: 0
    .sgpr_count:     4
    .sgpr_spill_count: 0
    .symbol:         _ZN7rocprim17ROCPRIM_400000_NS6detail17trampoline_kernelINS0_14default_configENS1_35radix_sort_onesweep_config_selectorIslEEZZNS1_29radix_sort_onesweep_iterationIS3_Lb0EPsS7_N6thrust23THRUST_200600_302600_NS10device_ptrIlEESB_jNS0_19identity_decomposerENS1_16block_id_wrapperIjLb1EEEEE10hipError_tT1_PNSt15iterator_traitsISG_E10value_typeET2_T3_PNSH_ISM_E10value_typeET4_T5_PSR_SS_PNS1_23onesweep_lookback_stateEbbT6_jjT7_P12ihipStream_tbENKUlT_T0_SG_SL_E_clIS7_S7_SB_SB_EEDaSZ_S10_SG_SL_EUlSZ_E_NS1_11comp_targetILNS1_3genE6ELNS1_11target_archE950ELNS1_3gpuE13ELNS1_3repE0EEENS1_47radix_sort_onesweep_sort_config_static_selectorELNS0_4arch9wavefront6targetE1EEEvSG_.kd
    .uniform_work_group_size: 1
    .uses_dynamic_stack: false
    .vgpr_count:     0
    .vgpr_spill_count: 0
    .wavefront_size: 64
  - .args:
      - .offset:         0
        .size:           88
        .value_kind:     by_value
    .group_segment_fixed_size: 0
    .kernarg_segment_align: 8
    .kernarg_segment_size: 88
    .language:       OpenCL C
    .language_version:
      - 2
      - 0
    .max_flat_workgroup_size: 1024
    .name:           _ZN7rocprim17ROCPRIM_400000_NS6detail17trampoline_kernelINS0_14default_configENS1_35radix_sort_onesweep_config_selectorIslEEZZNS1_29radix_sort_onesweep_iterationIS3_Lb0EPsS7_N6thrust23THRUST_200600_302600_NS10device_ptrIlEESB_jNS0_19identity_decomposerENS1_16block_id_wrapperIjLb1EEEEE10hipError_tT1_PNSt15iterator_traitsISG_E10value_typeET2_T3_PNSH_ISM_E10value_typeET4_T5_PSR_SS_PNS1_23onesweep_lookback_stateEbbT6_jjT7_P12ihipStream_tbENKUlT_T0_SG_SL_E_clIS7_S7_SB_SB_EEDaSZ_S10_SG_SL_EUlSZ_E_NS1_11comp_targetILNS1_3genE5ELNS1_11target_archE942ELNS1_3gpuE9ELNS1_3repE0EEENS1_47radix_sort_onesweep_sort_config_static_selectorELNS0_4arch9wavefront6targetE1EEEvSG_
    .private_segment_fixed_size: 0
    .sgpr_count:     4
    .sgpr_spill_count: 0
    .symbol:         _ZN7rocprim17ROCPRIM_400000_NS6detail17trampoline_kernelINS0_14default_configENS1_35radix_sort_onesweep_config_selectorIslEEZZNS1_29radix_sort_onesweep_iterationIS3_Lb0EPsS7_N6thrust23THRUST_200600_302600_NS10device_ptrIlEESB_jNS0_19identity_decomposerENS1_16block_id_wrapperIjLb1EEEEE10hipError_tT1_PNSt15iterator_traitsISG_E10value_typeET2_T3_PNSH_ISM_E10value_typeET4_T5_PSR_SS_PNS1_23onesweep_lookback_stateEbbT6_jjT7_P12ihipStream_tbENKUlT_T0_SG_SL_E_clIS7_S7_SB_SB_EEDaSZ_S10_SG_SL_EUlSZ_E_NS1_11comp_targetILNS1_3genE5ELNS1_11target_archE942ELNS1_3gpuE9ELNS1_3repE0EEENS1_47radix_sort_onesweep_sort_config_static_selectorELNS0_4arch9wavefront6targetE1EEEvSG_.kd
    .uniform_work_group_size: 1
    .uses_dynamic_stack: false
    .vgpr_count:     0
    .vgpr_spill_count: 0
    .wavefront_size: 64
  - .args:
      - .offset:         0
        .size:           88
        .value_kind:     by_value
      - .offset:         88
        .size:           4
        .value_kind:     hidden_block_count_x
      - .offset:         92
        .size:           4
        .value_kind:     hidden_block_count_y
      - .offset:         96
        .size:           4
        .value_kind:     hidden_block_count_z
      - .offset:         100
        .size:           2
        .value_kind:     hidden_group_size_x
      - .offset:         102
        .size:           2
        .value_kind:     hidden_group_size_y
      - .offset:         104
        .size:           2
        .value_kind:     hidden_group_size_z
      - .offset:         106
        .size:           2
        .value_kind:     hidden_remainder_x
      - .offset:         108
        .size:           2
        .value_kind:     hidden_remainder_y
      - .offset:         110
        .size:           2
        .value_kind:     hidden_remainder_z
      - .offset:         128
        .size:           8
        .value_kind:     hidden_global_offset_x
      - .offset:         136
        .size:           8
        .value_kind:     hidden_global_offset_y
      - .offset:         144
        .size:           8
        .value_kind:     hidden_global_offset_z
      - .offset:         152
        .size:           2
        .value_kind:     hidden_grid_dims
    .group_segment_fixed_size: 10280
    .kernarg_segment_align: 8
    .kernarg_segment_size: 344
    .language:       OpenCL C
    .language_version:
      - 2
      - 0
    .max_flat_workgroup_size: 512
    .name:           _ZN7rocprim17ROCPRIM_400000_NS6detail17trampoline_kernelINS0_14default_configENS1_35radix_sort_onesweep_config_selectorIslEEZZNS1_29radix_sort_onesweep_iterationIS3_Lb0EPsS7_N6thrust23THRUST_200600_302600_NS10device_ptrIlEESB_jNS0_19identity_decomposerENS1_16block_id_wrapperIjLb1EEEEE10hipError_tT1_PNSt15iterator_traitsISG_E10value_typeET2_T3_PNSH_ISM_E10value_typeET4_T5_PSR_SS_PNS1_23onesweep_lookback_stateEbbT6_jjT7_P12ihipStream_tbENKUlT_T0_SG_SL_E_clIS7_S7_SB_SB_EEDaSZ_S10_SG_SL_EUlSZ_E_NS1_11comp_targetILNS1_3genE2ELNS1_11target_archE906ELNS1_3gpuE6ELNS1_3repE0EEENS1_47radix_sort_onesweep_sort_config_static_selectorELNS0_4arch9wavefront6targetE1EEEvSG_
    .private_segment_fixed_size: 32
    .sgpr_count:     60
    .sgpr_spill_count: 0
    .symbol:         _ZN7rocprim17ROCPRIM_400000_NS6detail17trampoline_kernelINS0_14default_configENS1_35radix_sort_onesweep_config_selectorIslEEZZNS1_29radix_sort_onesweep_iterationIS3_Lb0EPsS7_N6thrust23THRUST_200600_302600_NS10device_ptrIlEESB_jNS0_19identity_decomposerENS1_16block_id_wrapperIjLb1EEEEE10hipError_tT1_PNSt15iterator_traitsISG_E10value_typeET2_T3_PNSH_ISM_E10value_typeET4_T5_PSR_SS_PNS1_23onesweep_lookback_stateEbbT6_jjT7_P12ihipStream_tbENKUlT_T0_SG_SL_E_clIS7_S7_SB_SB_EEDaSZ_S10_SG_SL_EUlSZ_E_NS1_11comp_targetILNS1_3genE2ELNS1_11target_archE906ELNS1_3gpuE6ELNS1_3repE0EEENS1_47radix_sort_onesweep_sort_config_static_selectorELNS0_4arch9wavefront6targetE1EEEvSG_.kd
    .uniform_work_group_size: 1
    .uses_dynamic_stack: false
    .vgpr_count:     45
    .vgpr_spill_count: 0
    .wavefront_size: 64
  - .args:
      - .offset:         0
        .size:           88
        .value_kind:     by_value
    .group_segment_fixed_size: 0
    .kernarg_segment_align: 8
    .kernarg_segment_size: 88
    .language:       OpenCL C
    .language_version:
      - 2
      - 0
    .max_flat_workgroup_size: 1024
    .name:           _ZN7rocprim17ROCPRIM_400000_NS6detail17trampoline_kernelINS0_14default_configENS1_35radix_sort_onesweep_config_selectorIslEEZZNS1_29radix_sort_onesweep_iterationIS3_Lb0EPsS7_N6thrust23THRUST_200600_302600_NS10device_ptrIlEESB_jNS0_19identity_decomposerENS1_16block_id_wrapperIjLb1EEEEE10hipError_tT1_PNSt15iterator_traitsISG_E10value_typeET2_T3_PNSH_ISM_E10value_typeET4_T5_PSR_SS_PNS1_23onesweep_lookback_stateEbbT6_jjT7_P12ihipStream_tbENKUlT_T0_SG_SL_E_clIS7_S7_SB_SB_EEDaSZ_S10_SG_SL_EUlSZ_E_NS1_11comp_targetILNS1_3genE4ELNS1_11target_archE910ELNS1_3gpuE8ELNS1_3repE0EEENS1_47radix_sort_onesweep_sort_config_static_selectorELNS0_4arch9wavefront6targetE1EEEvSG_
    .private_segment_fixed_size: 0
    .sgpr_count:     4
    .sgpr_spill_count: 0
    .symbol:         _ZN7rocprim17ROCPRIM_400000_NS6detail17trampoline_kernelINS0_14default_configENS1_35radix_sort_onesweep_config_selectorIslEEZZNS1_29radix_sort_onesweep_iterationIS3_Lb0EPsS7_N6thrust23THRUST_200600_302600_NS10device_ptrIlEESB_jNS0_19identity_decomposerENS1_16block_id_wrapperIjLb1EEEEE10hipError_tT1_PNSt15iterator_traitsISG_E10value_typeET2_T3_PNSH_ISM_E10value_typeET4_T5_PSR_SS_PNS1_23onesweep_lookback_stateEbbT6_jjT7_P12ihipStream_tbENKUlT_T0_SG_SL_E_clIS7_S7_SB_SB_EEDaSZ_S10_SG_SL_EUlSZ_E_NS1_11comp_targetILNS1_3genE4ELNS1_11target_archE910ELNS1_3gpuE8ELNS1_3repE0EEENS1_47radix_sort_onesweep_sort_config_static_selectorELNS0_4arch9wavefront6targetE1EEEvSG_.kd
    .uniform_work_group_size: 1
    .uses_dynamic_stack: false
    .vgpr_count:     0
    .vgpr_spill_count: 0
    .wavefront_size: 64
  - .args:
      - .offset:         0
        .size:           88
        .value_kind:     by_value
    .group_segment_fixed_size: 0
    .kernarg_segment_align: 8
    .kernarg_segment_size: 88
    .language:       OpenCL C
    .language_version:
      - 2
      - 0
    .max_flat_workgroup_size: 1024
    .name:           _ZN7rocprim17ROCPRIM_400000_NS6detail17trampoline_kernelINS0_14default_configENS1_35radix_sort_onesweep_config_selectorIslEEZZNS1_29radix_sort_onesweep_iterationIS3_Lb0EPsS7_N6thrust23THRUST_200600_302600_NS10device_ptrIlEESB_jNS0_19identity_decomposerENS1_16block_id_wrapperIjLb1EEEEE10hipError_tT1_PNSt15iterator_traitsISG_E10value_typeET2_T3_PNSH_ISM_E10value_typeET4_T5_PSR_SS_PNS1_23onesweep_lookback_stateEbbT6_jjT7_P12ihipStream_tbENKUlT_T0_SG_SL_E_clIS7_S7_SB_SB_EEDaSZ_S10_SG_SL_EUlSZ_E_NS1_11comp_targetILNS1_3genE3ELNS1_11target_archE908ELNS1_3gpuE7ELNS1_3repE0EEENS1_47radix_sort_onesweep_sort_config_static_selectorELNS0_4arch9wavefront6targetE1EEEvSG_
    .private_segment_fixed_size: 0
    .sgpr_count:     4
    .sgpr_spill_count: 0
    .symbol:         _ZN7rocprim17ROCPRIM_400000_NS6detail17trampoline_kernelINS0_14default_configENS1_35radix_sort_onesweep_config_selectorIslEEZZNS1_29radix_sort_onesweep_iterationIS3_Lb0EPsS7_N6thrust23THRUST_200600_302600_NS10device_ptrIlEESB_jNS0_19identity_decomposerENS1_16block_id_wrapperIjLb1EEEEE10hipError_tT1_PNSt15iterator_traitsISG_E10value_typeET2_T3_PNSH_ISM_E10value_typeET4_T5_PSR_SS_PNS1_23onesweep_lookback_stateEbbT6_jjT7_P12ihipStream_tbENKUlT_T0_SG_SL_E_clIS7_S7_SB_SB_EEDaSZ_S10_SG_SL_EUlSZ_E_NS1_11comp_targetILNS1_3genE3ELNS1_11target_archE908ELNS1_3gpuE7ELNS1_3repE0EEENS1_47radix_sort_onesweep_sort_config_static_selectorELNS0_4arch9wavefront6targetE1EEEvSG_.kd
    .uniform_work_group_size: 1
    .uses_dynamic_stack: false
    .vgpr_count:     0
    .vgpr_spill_count: 0
    .wavefront_size: 64
  - .args:
      - .offset:         0
        .size:           88
        .value_kind:     by_value
    .group_segment_fixed_size: 0
    .kernarg_segment_align: 8
    .kernarg_segment_size: 88
    .language:       OpenCL C
    .language_version:
      - 2
      - 0
    .max_flat_workgroup_size: 1024
    .name:           _ZN7rocprim17ROCPRIM_400000_NS6detail17trampoline_kernelINS0_14default_configENS1_35radix_sort_onesweep_config_selectorIslEEZZNS1_29radix_sort_onesweep_iterationIS3_Lb0EPsS7_N6thrust23THRUST_200600_302600_NS10device_ptrIlEESB_jNS0_19identity_decomposerENS1_16block_id_wrapperIjLb1EEEEE10hipError_tT1_PNSt15iterator_traitsISG_E10value_typeET2_T3_PNSH_ISM_E10value_typeET4_T5_PSR_SS_PNS1_23onesweep_lookback_stateEbbT6_jjT7_P12ihipStream_tbENKUlT_T0_SG_SL_E_clIS7_S7_SB_SB_EEDaSZ_S10_SG_SL_EUlSZ_E_NS1_11comp_targetILNS1_3genE10ELNS1_11target_archE1201ELNS1_3gpuE5ELNS1_3repE0EEENS1_47radix_sort_onesweep_sort_config_static_selectorELNS0_4arch9wavefront6targetE1EEEvSG_
    .private_segment_fixed_size: 0
    .sgpr_count:     4
    .sgpr_spill_count: 0
    .symbol:         _ZN7rocprim17ROCPRIM_400000_NS6detail17trampoline_kernelINS0_14default_configENS1_35radix_sort_onesweep_config_selectorIslEEZZNS1_29radix_sort_onesweep_iterationIS3_Lb0EPsS7_N6thrust23THRUST_200600_302600_NS10device_ptrIlEESB_jNS0_19identity_decomposerENS1_16block_id_wrapperIjLb1EEEEE10hipError_tT1_PNSt15iterator_traitsISG_E10value_typeET2_T3_PNSH_ISM_E10value_typeET4_T5_PSR_SS_PNS1_23onesweep_lookback_stateEbbT6_jjT7_P12ihipStream_tbENKUlT_T0_SG_SL_E_clIS7_S7_SB_SB_EEDaSZ_S10_SG_SL_EUlSZ_E_NS1_11comp_targetILNS1_3genE10ELNS1_11target_archE1201ELNS1_3gpuE5ELNS1_3repE0EEENS1_47radix_sort_onesweep_sort_config_static_selectorELNS0_4arch9wavefront6targetE1EEEvSG_.kd
    .uniform_work_group_size: 1
    .uses_dynamic_stack: false
    .vgpr_count:     0
    .vgpr_spill_count: 0
    .wavefront_size: 64
  - .args:
      - .offset:         0
        .size:           88
        .value_kind:     by_value
    .group_segment_fixed_size: 0
    .kernarg_segment_align: 8
    .kernarg_segment_size: 88
    .language:       OpenCL C
    .language_version:
      - 2
      - 0
    .max_flat_workgroup_size: 1024
    .name:           _ZN7rocprim17ROCPRIM_400000_NS6detail17trampoline_kernelINS0_14default_configENS1_35radix_sort_onesweep_config_selectorIslEEZZNS1_29radix_sort_onesweep_iterationIS3_Lb0EPsS7_N6thrust23THRUST_200600_302600_NS10device_ptrIlEESB_jNS0_19identity_decomposerENS1_16block_id_wrapperIjLb1EEEEE10hipError_tT1_PNSt15iterator_traitsISG_E10value_typeET2_T3_PNSH_ISM_E10value_typeET4_T5_PSR_SS_PNS1_23onesweep_lookback_stateEbbT6_jjT7_P12ihipStream_tbENKUlT_T0_SG_SL_E_clIS7_S7_SB_SB_EEDaSZ_S10_SG_SL_EUlSZ_E_NS1_11comp_targetILNS1_3genE9ELNS1_11target_archE1100ELNS1_3gpuE3ELNS1_3repE0EEENS1_47radix_sort_onesweep_sort_config_static_selectorELNS0_4arch9wavefront6targetE1EEEvSG_
    .private_segment_fixed_size: 0
    .sgpr_count:     4
    .sgpr_spill_count: 0
    .symbol:         _ZN7rocprim17ROCPRIM_400000_NS6detail17trampoline_kernelINS0_14default_configENS1_35radix_sort_onesweep_config_selectorIslEEZZNS1_29radix_sort_onesweep_iterationIS3_Lb0EPsS7_N6thrust23THRUST_200600_302600_NS10device_ptrIlEESB_jNS0_19identity_decomposerENS1_16block_id_wrapperIjLb1EEEEE10hipError_tT1_PNSt15iterator_traitsISG_E10value_typeET2_T3_PNSH_ISM_E10value_typeET4_T5_PSR_SS_PNS1_23onesweep_lookback_stateEbbT6_jjT7_P12ihipStream_tbENKUlT_T0_SG_SL_E_clIS7_S7_SB_SB_EEDaSZ_S10_SG_SL_EUlSZ_E_NS1_11comp_targetILNS1_3genE9ELNS1_11target_archE1100ELNS1_3gpuE3ELNS1_3repE0EEENS1_47radix_sort_onesweep_sort_config_static_selectorELNS0_4arch9wavefront6targetE1EEEvSG_.kd
    .uniform_work_group_size: 1
    .uses_dynamic_stack: false
    .vgpr_count:     0
    .vgpr_spill_count: 0
    .wavefront_size: 64
  - .args:
      - .offset:         0
        .size:           88
        .value_kind:     by_value
    .group_segment_fixed_size: 0
    .kernarg_segment_align: 8
    .kernarg_segment_size: 88
    .language:       OpenCL C
    .language_version:
      - 2
      - 0
    .max_flat_workgroup_size: 1024
    .name:           _ZN7rocprim17ROCPRIM_400000_NS6detail17trampoline_kernelINS0_14default_configENS1_35radix_sort_onesweep_config_selectorIslEEZZNS1_29radix_sort_onesweep_iterationIS3_Lb0EPsS7_N6thrust23THRUST_200600_302600_NS10device_ptrIlEESB_jNS0_19identity_decomposerENS1_16block_id_wrapperIjLb1EEEEE10hipError_tT1_PNSt15iterator_traitsISG_E10value_typeET2_T3_PNSH_ISM_E10value_typeET4_T5_PSR_SS_PNS1_23onesweep_lookback_stateEbbT6_jjT7_P12ihipStream_tbENKUlT_T0_SG_SL_E_clIS7_S7_SB_SB_EEDaSZ_S10_SG_SL_EUlSZ_E_NS1_11comp_targetILNS1_3genE8ELNS1_11target_archE1030ELNS1_3gpuE2ELNS1_3repE0EEENS1_47radix_sort_onesweep_sort_config_static_selectorELNS0_4arch9wavefront6targetE1EEEvSG_
    .private_segment_fixed_size: 0
    .sgpr_count:     4
    .sgpr_spill_count: 0
    .symbol:         _ZN7rocprim17ROCPRIM_400000_NS6detail17trampoline_kernelINS0_14default_configENS1_35radix_sort_onesweep_config_selectorIslEEZZNS1_29radix_sort_onesweep_iterationIS3_Lb0EPsS7_N6thrust23THRUST_200600_302600_NS10device_ptrIlEESB_jNS0_19identity_decomposerENS1_16block_id_wrapperIjLb1EEEEE10hipError_tT1_PNSt15iterator_traitsISG_E10value_typeET2_T3_PNSH_ISM_E10value_typeET4_T5_PSR_SS_PNS1_23onesweep_lookback_stateEbbT6_jjT7_P12ihipStream_tbENKUlT_T0_SG_SL_E_clIS7_S7_SB_SB_EEDaSZ_S10_SG_SL_EUlSZ_E_NS1_11comp_targetILNS1_3genE8ELNS1_11target_archE1030ELNS1_3gpuE2ELNS1_3repE0EEENS1_47radix_sort_onesweep_sort_config_static_selectorELNS0_4arch9wavefront6targetE1EEEvSG_.kd
    .uniform_work_group_size: 1
    .uses_dynamic_stack: false
    .vgpr_count:     0
    .vgpr_spill_count: 0
    .wavefront_size: 64
  - .args:
      - .offset:         0
        .size:           88
        .value_kind:     by_value
    .group_segment_fixed_size: 0
    .kernarg_segment_align: 8
    .kernarg_segment_size: 88
    .language:       OpenCL C
    .language_version:
      - 2
      - 0
    .max_flat_workgroup_size: 1024
    .name:           _ZN7rocprim17ROCPRIM_400000_NS6detail17trampoline_kernelINS0_14default_configENS1_35radix_sort_onesweep_config_selectorIslEEZZNS1_29radix_sort_onesweep_iterationIS3_Lb0EPsS7_N6thrust23THRUST_200600_302600_NS10device_ptrIlEESB_jNS0_19identity_decomposerENS1_16block_id_wrapperIjLb1EEEEE10hipError_tT1_PNSt15iterator_traitsISG_E10value_typeET2_T3_PNSH_ISM_E10value_typeET4_T5_PSR_SS_PNS1_23onesweep_lookback_stateEbbT6_jjT7_P12ihipStream_tbENKUlT_T0_SG_SL_E_clIS7_S7_SB_PlEEDaSZ_S10_SG_SL_EUlSZ_E_NS1_11comp_targetILNS1_3genE0ELNS1_11target_archE4294967295ELNS1_3gpuE0ELNS1_3repE0EEENS1_47radix_sort_onesweep_sort_config_static_selectorELNS0_4arch9wavefront6targetE1EEEvSG_
    .private_segment_fixed_size: 0
    .sgpr_count:     4
    .sgpr_spill_count: 0
    .symbol:         _ZN7rocprim17ROCPRIM_400000_NS6detail17trampoline_kernelINS0_14default_configENS1_35radix_sort_onesweep_config_selectorIslEEZZNS1_29radix_sort_onesweep_iterationIS3_Lb0EPsS7_N6thrust23THRUST_200600_302600_NS10device_ptrIlEESB_jNS0_19identity_decomposerENS1_16block_id_wrapperIjLb1EEEEE10hipError_tT1_PNSt15iterator_traitsISG_E10value_typeET2_T3_PNSH_ISM_E10value_typeET4_T5_PSR_SS_PNS1_23onesweep_lookback_stateEbbT6_jjT7_P12ihipStream_tbENKUlT_T0_SG_SL_E_clIS7_S7_SB_PlEEDaSZ_S10_SG_SL_EUlSZ_E_NS1_11comp_targetILNS1_3genE0ELNS1_11target_archE4294967295ELNS1_3gpuE0ELNS1_3repE0EEENS1_47radix_sort_onesweep_sort_config_static_selectorELNS0_4arch9wavefront6targetE1EEEvSG_.kd
    .uniform_work_group_size: 1
    .uses_dynamic_stack: false
    .vgpr_count:     0
    .vgpr_spill_count: 0
    .wavefront_size: 64
  - .args:
      - .offset:         0
        .size:           88
        .value_kind:     by_value
    .group_segment_fixed_size: 0
    .kernarg_segment_align: 8
    .kernarg_segment_size: 88
    .language:       OpenCL C
    .language_version:
      - 2
      - 0
    .max_flat_workgroup_size: 1024
    .name:           _ZN7rocprim17ROCPRIM_400000_NS6detail17trampoline_kernelINS0_14default_configENS1_35radix_sort_onesweep_config_selectorIslEEZZNS1_29radix_sort_onesweep_iterationIS3_Lb0EPsS7_N6thrust23THRUST_200600_302600_NS10device_ptrIlEESB_jNS0_19identity_decomposerENS1_16block_id_wrapperIjLb1EEEEE10hipError_tT1_PNSt15iterator_traitsISG_E10value_typeET2_T3_PNSH_ISM_E10value_typeET4_T5_PSR_SS_PNS1_23onesweep_lookback_stateEbbT6_jjT7_P12ihipStream_tbENKUlT_T0_SG_SL_E_clIS7_S7_SB_PlEEDaSZ_S10_SG_SL_EUlSZ_E_NS1_11comp_targetILNS1_3genE6ELNS1_11target_archE950ELNS1_3gpuE13ELNS1_3repE0EEENS1_47radix_sort_onesweep_sort_config_static_selectorELNS0_4arch9wavefront6targetE1EEEvSG_
    .private_segment_fixed_size: 0
    .sgpr_count:     4
    .sgpr_spill_count: 0
    .symbol:         _ZN7rocprim17ROCPRIM_400000_NS6detail17trampoline_kernelINS0_14default_configENS1_35radix_sort_onesweep_config_selectorIslEEZZNS1_29radix_sort_onesweep_iterationIS3_Lb0EPsS7_N6thrust23THRUST_200600_302600_NS10device_ptrIlEESB_jNS0_19identity_decomposerENS1_16block_id_wrapperIjLb1EEEEE10hipError_tT1_PNSt15iterator_traitsISG_E10value_typeET2_T3_PNSH_ISM_E10value_typeET4_T5_PSR_SS_PNS1_23onesweep_lookback_stateEbbT6_jjT7_P12ihipStream_tbENKUlT_T0_SG_SL_E_clIS7_S7_SB_PlEEDaSZ_S10_SG_SL_EUlSZ_E_NS1_11comp_targetILNS1_3genE6ELNS1_11target_archE950ELNS1_3gpuE13ELNS1_3repE0EEENS1_47radix_sort_onesweep_sort_config_static_selectorELNS0_4arch9wavefront6targetE1EEEvSG_.kd
    .uniform_work_group_size: 1
    .uses_dynamic_stack: false
    .vgpr_count:     0
    .vgpr_spill_count: 0
    .wavefront_size: 64
  - .args:
      - .offset:         0
        .size:           88
        .value_kind:     by_value
    .group_segment_fixed_size: 0
    .kernarg_segment_align: 8
    .kernarg_segment_size: 88
    .language:       OpenCL C
    .language_version:
      - 2
      - 0
    .max_flat_workgroup_size: 1024
    .name:           _ZN7rocprim17ROCPRIM_400000_NS6detail17trampoline_kernelINS0_14default_configENS1_35radix_sort_onesweep_config_selectorIslEEZZNS1_29radix_sort_onesweep_iterationIS3_Lb0EPsS7_N6thrust23THRUST_200600_302600_NS10device_ptrIlEESB_jNS0_19identity_decomposerENS1_16block_id_wrapperIjLb1EEEEE10hipError_tT1_PNSt15iterator_traitsISG_E10value_typeET2_T3_PNSH_ISM_E10value_typeET4_T5_PSR_SS_PNS1_23onesweep_lookback_stateEbbT6_jjT7_P12ihipStream_tbENKUlT_T0_SG_SL_E_clIS7_S7_SB_PlEEDaSZ_S10_SG_SL_EUlSZ_E_NS1_11comp_targetILNS1_3genE5ELNS1_11target_archE942ELNS1_3gpuE9ELNS1_3repE0EEENS1_47radix_sort_onesweep_sort_config_static_selectorELNS0_4arch9wavefront6targetE1EEEvSG_
    .private_segment_fixed_size: 0
    .sgpr_count:     4
    .sgpr_spill_count: 0
    .symbol:         _ZN7rocprim17ROCPRIM_400000_NS6detail17trampoline_kernelINS0_14default_configENS1_35radix_sort_onesweep_config_selectorIslEEZZNS1_29radix_sort_onesweep_iterationIS3_Lb0EPsS7_N6thrust23THRUST_200600_302600_NS10device_ptrIlEESB_jNS0_19identity_decomposerENS1_16block_id_wrapperIjLb1EEEEE10hipError_tT1_PNSt15iterator_traitsISG_E10value_typeET2_T3_PNSH_ISM_E10value_typeET4_T5_PSR_SS_PNS1_23onesweep_lookback_stateEbbT6_jjT7_P12ihipStream_tbENKUlT_T0_SG_SL_E_clIS7_S7_SB_PlEEDaSZ_S10_SG_SL_EUlSZ_E_NS1_11comp_targetILNS1_3genE5ELNS1_11target_archE942ELNS1_3gpuE9ELNS1_3repE0EEENS1_47radix_sort_onesweep_sort_config_static_selectorELNS0_4arch9wavefront6targetE1EEEvSG_.kd
    .uniform_work_group_size: 1
    .uses_dynamic_stack: false
    .vgpr_count:     0
    .vgpr_spill_count: 0
    .wavefront_size: 64
  - .args:
      - .offset:         0
        .size:           88
        .value_kind:     by_value
      - .offset:         88
        .size:           4
        .value_kind:     hidden_block_count_x
      - .offset:         92
        .size:           4
        .value_kind:     hidden_block_count_y
      - .offset:         96
        .size:           4
        .value_kind:     hidden_block_count_z
      - .offset:         100
        .size:           2
        .value_kind:     hidden_group_size_x
      - .offset:         102
        .size:           2
        .value_kind:     hidden_group_size_y
      - .offset:         104
        .size:           2
        .value_kind:     hidden_group_size_z
      - .offset:         106
        .size:           2
        .value_kind:     hidden_remainder_x
      - .offset:         108
        .size:           2
        .value_kind:     hidden_remainder_y
      - .offset:         110
        .size:           2
        .value_kind:     hidden_remainder_z
      - .offset:         128
        .size:           8
        .value_kind:     hidden_global_offset_x
      - .offset:         136
        .size:           8
        .value_kind:     hidden_global_offset_y
      - .offset:         144
        .size:           8
        .value_kind:     hidden_global_offset_z
      - .offset:         152
        .size:           2
        .value_kind:     hidden_grid_dims
    .group_segment_fixed_size: 10280
    .kernarg_segment_align: 8
    .kernarg_segment_size: 344
    .language:       OpenCL C
    .language_version:
      - 2
      - 0
    .max_flat_workgroup_size: 512
    .name:           _ZN7rocprim17ROCPRIM_400000_NS6detail17trampoline_kernelINS0_14default_configENS1_35radix_sort_onesweep_config_selectorIslEEZZNS1_29radix_sort_onesweep_iterationIS3_Lb0EPsS7_N6thrust23THRUST_200600_302600_NS10device_ptrIlEESB_jNS0_19identity_decomposerENS1_16block_id_wrapperIjLb1EEEEE10hipError_tT1_PNSt15iterator_traitsISG_E10value_typeET2_T3_PNSH_ISM_E10value_typeET4_T5_PSR_SS_PNS1_23onesweep_lookback_stateEbbT6_jjT7_P12ihipStream_tbENKUlT_T0_SG_SL_E_clIS7_S7_SB_PlEEDaSZ_S10_SG_SL_EUlSZ_E_NS1_11comp_targetILNS1_3genE2ELNS1_11target_archE906ELNS1_3gpuE6ELNS1_3repE0EEENS1_47radix_sort_onesweep_sort_config_static_selectorELNS0_4arch9wavefront6targetE1EEEvSG_
    .private_segment_fixed_size: 32
    .sgpr_count:     60
    .sgpr_spill_count: 0
    .symbol:         _ZN7rocprim17ROCPRIM_400000_NS6detail17trampoline_kernelINS0_14default_configENS1_35radix_sort_onesweep_config_selectorIslEEZZNS1_29radix_sort_onesweep_iterationIS3_Lb0EPsS7_N6thrust23THRUST_200600_302600_NS10device_ptrIlEESB_jNS0_19identity_decomposerENS1_16block_id_wrapperIjLb1EEEEE10hipError_tT1_PNSt15iterator_traitsISG_E10value_typeET2_T3_PNSH_ISM_E10value_typeET4_T5_PSR_SS_PNS1_23onesweep_lookback_stateEbbT6_jjT7_P12ihipStream_tbENKUlT_T0_SG_SL_E_clIS7_S7_SB_PlEEDaSZ_S10_SG_SL_EUlSZ_E_NS1_11comp_targetILNS1_3genE2ELNS1_11target_archE906ELNS1_3gpuE6ELNS1_3repE0EEENS1_47radix_sort_onesweep_sort_config_static_selectorELNS0_4arch9wavefront6targetE1EEEvSG_.kd
    .uniform_work_group_size: 1
    .uses_dynamic_stack: false
    .vgpr_count:     45
    .vgpr_spill_count: 0
    .wavefront_size: 64
  - .args:
      - .offset:         0
        .size:           88
        .value_kind:     by_value
    .group_segment_fixed_size: 0
    .kernarg_segment_align: 8
    .kernarg_segment_size: 88
    .language:       OpenCL C
    .language_version:
      - 2
      - 0
    .max_flat_workgroup_size: 1024
    .name:           _ZN7rocprim17ROCPRIM_400000_NS6detail17trampoline_kernelINS0_14default_configENS1_35radix_sort_onesweep_config_selectorIslEEZZNS1_29radix_sort_onesweep_iterationIS3_Lb0EPsS7_N6thrust23THRUST_200600_302600_NS10device_ptrIlEESB_jNS0_19identity_decomposerENS1_16block_id_wrapperIjLb1EEEEE10hipError_tT1_PNSt15iterator_traitsISG_E10value_typeET2_T3_PNSH_ISM_E10value_typeET4_T5_PSR_SS_PNS1_23onesweep_lookback_stateEbbT6_jjT7_P12ihipStream_tbENKUlT_T0_SG_SL_E_clIS7_S7_SB_PlEEDaSZ_S10_SG_SL_EUlSZ_E_NS1_11comp_targetILNS1_3genE4ELNS1_11target_archE910ELNS1_3gpuE8ELNS1_3repE0EEENS1_47radix_sort_onesweep_sort_config_static_selectorELNS0_4arch9wavefront6targetE1EEEvSG_
    .private_segment_fixed_size: 0
    .sgpr_count:     4
    .sgpr_spill_count: 0
    .symbol:         _ZN7rocprim17ROCPRIM_400000_NS6detail17trampoline_kernelINS0_14default_configENS1_35radix_sort_onesweep_config_selectorIslEEZZNS1_29radix_sort_onesweep_iterationIS3_Lb0EPsS7_N6thrust23THRUST_200600_302600_NS10device_ptrIlEESB_jNS0_19identity_decomposerENS1_16block_id_wrapperIjLb1EEEEE10hipError_tT1_PNSt15iterator_traitsISG_E10value_typeET2_T3_PNSH_ISM_E10value_typeET4_T5_PSR_SS_PNS1_23onesweep_lookback_stateEbbT6_jjT7_P12ihipStream_tbENKUlT_T0_SG_SL_E_clIS7_S7_SB_PlEEDaSZ_S10_SG_SL_EUlSZ_E_NS1_11comp_targetILNS1_3genE4ELNS1_11target_archE910ELNS1_3gpuE8ELNS1_3repE0EEENS1_47radix_sort_onesweep_sort_config_static_selectorELNS0_4arch9wavefront6targetE1EEEvSG_.kd
    .uniform_work_group_size: 1
    .uses_dynamic_stack: false
    .vgpr_count:     0
    .vgpr_spill_count: 0
    .wavefront_size: 64
  - .args:
      - .offset:         0
        .size:           88
        .value_kind:     by_value
    .group_segment_fixed_size: 0
    .kernarg_segment_align: 8
    .kernarg_segment_size: 88
    .language:       OpenCL C
    .language_version:
      - 2
      - 0
    .max_flat_workgroup_size: 1024
    .name:           _ZN7rocprim17ROCPRIM_400000_NS6detail17trampoline_kernelINS0_14default_configENS1_35radix_sort_onesweep_config_selectorIslEEZZNS1_29radix_sort_onesweep_iterationIS3_Lb0EPsS7_N6thrust23THRUST_200600_302600_NS10device_ptrIlEESB_jNS0_19identity_decomposerENS1_16block_id_wrapperIjLb1EEEEE10hipError_tT1_PNSt15iterator_traitsISG_E10value_typeET2_T3_PNSH_ISM_E10value_typeET4_T5_PSR_SS_PNS1_23onesweep_lookback_stateEbbT6_jjT7_P12ihipStream_tbENKUlT_T0_SG_SL_E_clIS7_S7_SB_PlEEDaSZ_S10_SG_SL_EUlSZ_E_NS1_11comp_targetILNS1_3genE3ELNS1_11target_archE908ELNS1_3gpuE7ELNS1_3repE0EEENS1_47radix_sort_onesweep_sort_config_static_selectorELNS0_4arch9wavefront6targetE1EEEvSG_
    .private_segment_fixed_size: 0
    .sgpr_count:     4
    .sgpr_spill_count: 0
    .symbol:         _ZN7rocprim17ROCPRIM_400000_NS6detail17trampoline_kernelINS0_14default_configENS1_35radix_sort_onesweep_config_selectorIslEEZZNS1_29radix_sort_onesweep_iterationIS3_Lb0EPsS7_N6thrust23THRUST_200600_302600_NS10device_ptrIlEESB_jNS0_19identity_decomposerENS1_16block_id_wrapperIjLb1EEEEE10hipError_tT1_PNSt15iterator_traitsISG_E10value_typeET2_T3_PNSH_ISM_E10value_typeET4_T5_PSR_SS_PNS1_23onesweep_lookback_stateEbbT6_jjT7_P12ihipStream_tbENKUlT_T0_SG_SL_E_clIS7_S7_SB_PlEEDaSZ_S10_SG_SL_EUlSZ_E_NS1_11comp_targetILNS1_3genE3ELNS1_11target_archE908ELNS1_3gpuE7ELNS1_3repE0EEENS1_47radix_sort_onesweep_sort_config_static_selectorELNS0_4arch9wavefront6targetE1EEEvSG_.kd
    .uniform_work_group_size: 1
    .uses_dynamic_stack: false
    .vgpr_count:     0
    .vgpr_spill_count: 0
    .wavefront_size: 64
  - .args:
      - .offset:         0
        .size:           88
        .value_kind:     by_value
    .group_segment_fixed_size: 0
    .kernarg_segment_align: 8
    .kernarg_segment_size: 88
    .language:       OpenCL C
    .language_version:
      - 2
      - 0
    .max_flat_workgroup_size: 1024
    .name:           _ZN7rocprim17ROCPRIM_400000_NS6detail17trampoline_kernelINS0_14default_configENS1_35radix_sort_onesweep_config_selectorIslEEZZNS1_29radix_sort_onesweep_iterationIS3_Lb0EPsS7_N6thrust23THRUST_200600_302600_NS10device_ptrIlEESB_jNS0_19identity_decomposerENS1_16block_id_wrapperIjLb1EEEEE10hipError_tT1_PNSt15iterator_traitsISG_E10value_typeET2_T3_PNSH_ISM_E10value_typeET4_T5_PSR_SS_PNS1_23onesweep_lookback_stateEbbT6_jjT7_P12ihipStream_tbENKUlT_T0_SG_SL_E_clIS7_S7_SB_PlEEDaSZ_S10_SG_SL_EUlSZ_E_NS1_11comp_targetILNS1_3genE10ELNS1_11target_archE1201ELNS1_3gpuE5ELNS1_3repE0EEENS1_47radix_sort_onesweep_sort_config_static_selectorELNS0_4arch9wavefront6targetE1EEEvSG_
    .private_segment_fixed_size: 0
    .sgpr_count:     4
    .sgpr_spill_count: 0
    .symbol:         _ZN7rocprim17ROCPRIM_400000_NS6detail17trampoline_kernelINS0_14default_configENS1_35radix_sort_onesweep_config_selectorIslEEZZNS1_29radix_sort_onesweep_iterationIS3_Lb0EPsS7_N6thrust23THRUST_200600_302600_NS10device_ptrIlEESB_jNS0_19identity_decomposerENS1_16block_id_wrapperIjLb1EEEEE10hipError_tT1_PNSt15iterator_traitsISG_E10value_typeET2_T3_PNSH_ISM_E10value_typeET4_T5_PSR_SS_PNS1_23onesweep_lookback_stateEbbT6_jjT7_P12ihipStream_tbENKUlT_T0_SG_SL_E_clIS7_S7_SB_PlEEDaSZ_S10_SG_SL_EUlSZ_E_NS1_11comp_targetILNS1_3genE10ELNS1_11target_archE1201ELNS1_3gpuE5ELNS1_3repE0EEENS1_47radix_sort_onesweep_sort_config_static_selectorELNS0_4arch9wavefront6targetE1EEEvSG_.kd
    .uniform_work_group_size: 1
    .uses_dynamic_stack: false
    .vgpr_count:     0
    .vgpr_spill_count: 0
    .wavefront_size: 64
  - .args:
      - .offset:         0
        .size:           88
        .value_kind:     by_value
    .group_segment_fixed_size: 0
    .kernarg_segment_align: 8
    .kernarg_segment_size: 88
    .language:       OpenCL C
    .language_version:
      - 2
      - 0
    .max_flat_workgroup_size: 1024
    .name:           _ZN7rocprim17ROCPRIM_400000_NS6detail17trampoline_kernelINS0_14default_configENS1_35radix_sort_onesweep_config_selectorIslEEZZNS1_29radix_sort_onesweep_iterationIS3_Lb0EPsS7_N6thrust23THRUST_200600_302600_NS10device_ptrIlEESB_jNS0_19identity_decomposerENS1_16block_id_wrapperIjLb1EEEEE10hipError_tT1_PNSt15iterator_traitsISG_E10value_typeET2_T3_PNSH_ISM_E10value_typeET4_T5_PSR_SS_PNS1_23onesweep_lookback_stateEbbT6_jjT7_P12ihipStream_tbENKUlT_T0_SG_SL_E_clIS7_S7_SB_PlEEDaSZ_S10_SG_SL_EUlSZ_E_NS1_11comp_targetILNS1_3genE9ELNS1_11target_archE1100ELNS1_3gpuE3ELNS1_3repE0EEENS1_47radix_sort_onesweep_sort_config_static_selectorELNS0_4arch9wavefront6targetE1EEEvSG_
    .private_segment_fixed_size: 0
    .sgpr_count:     4
    .sgpr_spill_count: 0
    .symbol:         _ZN7rocprim17ROCPRIM_400000_NS6detail17trampoline_kernelINS0_14default_configENS1_35radix_sort_onesweep_config_selectorIslEEZZNS1_29radix_sort_onesweep_iterationIS3_Lb0EPsS7_N6thrust23THRUST_200600_302600_NS10device_ptrIlEESB_jNS0_19identity_decomposerENS1_16block_id_wrapperIjLb1EEEEE10hipError_tT1_PNSt15iterator_traitsISG_E10value_typeET2_T3_PNSH_ISM_E10value_typeET4_T5_PSR_SS_PNS1_23onesweep_lookback_stateEbbT6_jjT7_P12ihipStream_tbENKUlT_T0_SG_SL_E_clIS7_S7_SB_PlEEDaSZ_S10_SG_SL_EUlSZ_E_NS1_11comp_targetILNS1_3genE9ELNS1_11target_archE1100ELNS1_3gpuE3ELNS1_3repE0EEENS1_47radix_sort_onesweep_sort_config_static_selectorELNS0_4arch9wavefront6targetE1EEEvSG_.kd
    .uniform_work_group_size: 1
    .uses_dynamic_stack: false
    .vgpr_count:     0
    .vgpr_spill_count: 0
    .wavefront_size: 64
  - .args:
      - .offset:         0
        .size:           88
        .value_kind:     by_value
    .group_segment_fixed_size: 0
    .kernarg_segment_align: 8
    .kernarg_segment_size: 88
    .language:       OpenCL C
    .language_version:
      - 2
      - 0
    .max_flat_workgroup_size: 1024
    .name:           _ZN7rocprim17ROCPRIM_400000_NS6detail17trampoline_kernelINS0_14default_configENS1_35radix_sort_onesweep_config_selectorIslEEZZNS1_29radix_sort_onesweep_iterationIS3_Lb0EPsS7_N6thrust23THRUST_200600_302600_NS10device_ptrIlEESB_jNS0_19identity_decomposerENS1_16block_id_wrapperIjLb1EEEEE10hipError_tT1_PNSt15iterator_traitsISG_E10value_typeET2_T3_PNSH_ISM_E10value_typeET4_T5_PSR_SS_PNS1_23onesweep_lookback_stateEbbT6_jjT7_P12ihipStream_tbENKUlT_T0_SG_SL_E_clIS7_S7_SB_PlEEDaSZ_S10_SG_SL_EUlSZ_E_NS1_11comp_targetILNS1_3genE8ELNS1_11target_archE1030ELNS1_3gpuE2ELNS1_3repE0EEENS1_47radix_sort_onesweep_sort_config_static_selectorELNS0_4arch9wavefront6targetE1EEEvSG_
    .private_segment_fixed_size: 0
    .sgpr_count:     4
    .sgpr_spill_count: 0
    .symbol:         _ZN7rocprim17ROCPRIM_400000_NS6detail17trampoline_kernelINS0_14default_configENS1_35radix_sort_onesweep_config_selectorIslEEZZNS1_29radix_sort_onesweep_iterationIS3_Lb0EPsS7_N6thrust23THRUST_200600_302600_NS10device_ptrIlEESB_jNS0_19identity_decomposerENS1_16block_id_wrapperIjLb1EEEEE10hipError_tT1_PNSt15iterator_traitsISG_E10value_typeET2_T3_PNSH_ISM_E10value_typeET4_T5_PSR_SS_PNS1_23onesweep_lookback_stateEbbT6_jjT7_P12ihipStream_tbENKUlT_T0_SG_SL_E_clIS7_S7_SB_PlEEDaSZ_S10_SG_SL_EUlSZ_E_NS1_11comp_targetILNS1_3genE8ELNS1_11target_archE1030ELNS1_3gpuE2ELNS1_3repE0EEENS1_47radix_sort_onesweep_sort_config_static_selectorELNS0_4arch9wavefront6targetE1EEEvSG_.kd
    .uniform_work_group_size: 1
    .uses_dynamic_stack: false
    .vgpr_count:     0
    .vgpr_spill_count: 0
    .wavefront_size: 64
  - .args:
      - .offset:         0
        .size:           88
        .value_kind:     by_value
    .group_segment_fixed_size: 0
    .kernarg_segment_align: 8
    .kernarg_segment_size: 88
    .language:       OpenCL C
    .language_version:
      - 2
      - 0
    .max_flat_workgroup_size: 1024
    .name:           _ZN7rocprim17ROCPRIM_400000_NS6detail17trampoline_kernelINS0_14default_configENS1_35radix_sort_onesweep_config_selectorIslEEZZNS1_29radix_sort_onesweep_iterationIS3_Lb0EPsS7_N6thrust23THRUST_200600_302600_NS10device_ptrIlEESB_jNS0_19identity_decomposerENS1_16block_id_wrapperIjLb1EEEEE10hipError_tT1_PNSt15iterator_traitsISG_E10value_typeET2_T3_PNSH_ISM_E10value_typeET4_T5_PSR_SS_PNS1_23onesweep_lookback_stateEbbT6_jjT7_P12ihipStream_tbENKUlT_T0_SG_SL_E_clIS7_S7_PlSB_EEDaSZ_S10_SG_SL_EUlSZ_E_NS1_11comp_targetILNS1_3genE0ELNS1_11target_archE4294967295ELNS1_3gpuE0ELNS1_3repE0EEENS1_47radix_sort_onesweep_sort_config_static_selectorELNS0_4arch9wavefront6targetE1EEEvSG_
    .private_segment_fixed_size: 0
    .sgpr_count:     4
    .sgpr_spill_count: 0
    .symbol:         _ZN7rocprim17ROCPRIM_400000_NS6detail17trampoline_kernelINS0_14default_configENS1_35radix_sort_onesweep_config_selectorIslEEZZNS1_29radix_sort_onesweep_iterationIS3_Lb0EPsS7_N6thrust23THRUST_200600_302600_NS10device_ptrIlEESB_jNS0_19identity_decomposerENS1_16block_id_wrapperIjLb1EEEEE10hipError_tT1_PNSt15iterator_traitsISG_E10value_typeET2_T3_PNSH_ISM_E10value_typeET4_T5_PSR_SS_PNS1_23onesweep_lookback_stateEbbT6_jjT7_P12ihipStream_tbENKUlT_T0_SG_SL_E_clIS7_S7_PlSB_EEDaSZ_S10_SG_SL_EUlSZ_E_NS1_11comp_targetILNS1_3genE0ELNS1_11target_archE4294967295ELNS1_3gpuE0ELNS1_3repE0EEENS1_47radix_sort_onesweep_sort_config_static_selectorELNS0_4arch9wavefront6targetE1EEEvSG_.kd
    .uniform_work_group_size: 1
    .uses_dynamic_stack: false
    .vgpr_count:     0
    .vgpr_spill_count: 0
    .wavefront_size: 64
  - .args:
      - .offset:         0
        .size:           88
        .value_kind:     by_value
    .group_segment_fixed_size: 0
    .kernarg_segment_align: 8
    .kernarg_segment_size: 88
    .language:       OpenCL C
    .language_version:
      - 2
      - 0
    .max_flat_workgroup_size: 1024
    .name:           _ZN7rocprim17ROCPRIM_400000_NS6detail17trampoline_kernelINS0_14default_configENS1_35radix_sort_onesweep_config_selectorIslEEZZNS1_29radix_sort_onesweep_iterationIS3_Lb0EPsS7_N6thrust23THRUST_200600_302600_NS10device_ptrIlEESB_jNS0_19identity_decomposerENS1_16block_id_wrapperIjLb1EEEEE10hipError_tT1_PNSt15iterator_traitsISG_E10value_typeET2_T3_PNSH_ISM_E10value_typeET4_T5_PSR_SS_PNS1_23onesweep_lookback_stateEbbT6_jjT7_P12ihipStream_tbENKUlT_T0_SG_SL_E_clIS7_S7_PlSB_EEDaSZ_S10_SG_SL_EUlSZ_E_NS1_11comp_targetILNS1_3genE6ELNS1_11target_archE950ELNS1_3gpuE13ELNS1_3repE0EEENS1_47radix_sort_onesweep_sort_config_static_selectorELNS0_4arch9wavefront6targetE1EEEvSG_
    .private_segment_fixed_size: 0
    .sgpr_count:     4
    .sgpr_spill_count: 0
    .symbol:         _ZN7rocprim17ROCPRIM_400000_NS6detail17trampoline_kernelINS0_14default_configENS1_35radix_sort_onesweep_config_selectorIslEEZZNS1_29radix_sort_onesweep_iterationIS3_Lb0EPsS7_N6thrust23THRUST_200600_302600_NS10device_ptrIlEESB_jNS0_19identity_decomposerENS1_16block_id_wrapperIjLb1EEEEE10hipError_tT1_PNSt15iterator_traitsISG_E10value_typeET2_T3_PNSH_ISM_E10value_typeET4_T5_PSR_SS_PNS1_23onesweep_lookback_stateEbbT6_jjT7_P12ihipStream_tbENKUlT_T0_SG_SL_E_clIS7_S7_PlSB_EEDaSZ_S10_SG_SL_EUlSZ_E_NS1_11comp_targetILNS1_3genE6ELNS1_11target_archE950ELNS1_3gpuE13ELNS1_3repE0EEENS1_47radix_sort_onesweep_sort_config_static_selectorELNS0_4arch9wavefront6targetE1EEEvSG_.kd
    .uniform_work_group_size: 1
    .uses_dynamic_stack: false
    .vgpr_count:     0
    .vgpr_spill_count: 0
    .wavefront_size: 64
  - .args:
      - .offset:         0
        .size:           88
        .value_kind:     by_value
    .group_segment_fixed_size: 0
    .kernarg_segment_align: 8
    .kernarg_segment_size: 88
    .language:       OpenCL C
    .language_version:
      - 2
      - 0
    .max_flat_workgroup_size: 1024
    .name:           _ZN7rocprim17ROCPRIM_400000_NS6detail17trampoline_kernelINS0_14default_configENS1_35radix_sort_onesweep_config_selectorIslEEZZNS1_29radix_sort_onesweep_iterationIS3_Lb0EPsS7_N6thrust23THRUST_200600_302600_NS10device_ptrIlEESB_jNS0_19identity_decomposerENS1_16block_id_wrapperIjLb1EEEEE10hipError_tT1_PNSt15iterator_traitsISG_E10value_typeET2_T3_PNSH_ISM_E10value_typeET4_T5_PSR_SS_PNS1_23onesweep_lookback_stateEbbT6_jjT7_P12ihipStream_tbENKUlT_T0_SG_SL_E_clIS7_S7_PlSB_EEDaSZ_S10_SG_SL_EUlSZ_E_NS1_11comp_targetILNS1_3genE5ELNS1_11target_archE942ELNS1_3gpuE9ELNS1_3repE0EEENS1_47radix_sort_onesweep_sort_config_static_selectorELNS0_4arch9wavefront6targetE1EEEvSG_
    .private_segment_fixed_size: 0
    .sgpr_count:     4
    .sgpr_spill_count: 0
    .symbol:         _ZN7rocprim17ROCPRIM_400000_NS6detail17trampoline_kernelINS0_14default_configENS1_35radix_sort_onesweep_config_selectorIslEEZZNS1_29radix_sort_onesweep_iterationIS3_Lb0EPsS7_N6thrust23THRUST_200600_302600_NS10device_ptrIlEESB_jNS0_19identity_decomposerENS1_16block_id_wrapperIjLb1EEEEE10hipError_tT1_PNSt15iterator_traitsISG_E10value_typeET2_T3_PNSH_ISM_E10value_typeET4_T5_PSR_SS_PNS1_23onesweep_lookback_stateEbbT6_jjT7_P12ihipStream_tbENKUlT_T0_SG_SL_E_clIS7_S7_PlSB_EEDaSZ_S10_SG_SL_EUlSZ_E_NS1_11comp_targetILNS1_3genE5ELNS1_11target_archE942ELNS1_3gpuE9ELNS1_3repE0EEENS1_47radix_sort_onesweep_sort_config_static_selectorELNS0_4arch9wavefront6targetE1EEEvSG_.kd
    .uniform_work_group_size: 1
    .uses_dynamic_stack: false
    .vgpr_count:     0
    .vgpr_spill_count: 0
    .wavefront_size: 64
  - .args:
      - .offset:         0
        .size:           88
        .value_kind:     by_value
      - .offset:         88
        .size:           4
        .value_kind:     hidden_block_count_x
      - .offset:         92
        .size:           4
        .value_kind:     hidden_block_count_y
      - .offset:         96
        .size:           4
        .value_kind:     hidden_block_count_z
      - .offset:         100
        .size:           2
        .value_kind:     hidden_group_size_x
      - .offset:         102
        .size:           2
        .value_kind:     hidden_group_size_y
      - .offset:         104
        .size:           2
        .value_kind:     hidden_group_size_z
      - .offset:         106
        .size:           2
        .value_kind:     hidden_remainder_x
      - .offset:         108
        .size:           2
        .value_kind:     hidden_remainder_y
      - .offset:         110
        .size:           2
        .value_kind:     hidden_remainder_z
      - .offset:         128
        .size:           8
        .value_kind:     hidden_global_offset_x
      - .offset:         136
        .size:           8
        .value_kind:     hidden_global_offset_y
      - .offset:         144
        .size:           8
        .value_kind:     hidden_global_offset_z
      - .offset:         152
        .size:           2
        .value_kind:     hidden_grid_dims
    .group_segment_fixed_size: 10280
    .kernarg_segment_align: 8
    .kernarg_segment_size: 344
    .language:       OpenCL C
    .language_version:
      - 2
      - 0
    .max_flat_workgroup_size: 512
    .name:           _ZN7rocprim17ROCPRIM_400000_NS6detail17trampoline_kernelINS0_14default_configENS1_35radix_sort_onesweep_config_selectorIslEEZZNS1_29radix_sort_onesweep_iterationIS3_Lb0EPsS7_N6thrust23THRUST_200600_302600_NS10device_ptrIlEESB_jNS0_19identity_decomposerENS1_16block_id_wrapperIjLb1EEEEE10hipError_tT1_PNSt15iterator_traitsISG_E10value_typeET2_T3_PNSH_ISM_E10value_typeET4_T5_PSR_SS_PNS1_23onesweep_lookback_stateEbbT6_jjT7_P12ihipStream_tbENKUlT_T0_SG_SL_E_clIS7_S7_PlSB_EEDaSZ_S10_SG_SL_EUlSZ_E_NS1_11comp_targetILNS1_3genE2ELNS1_11target_archE906ELNS1_3gpuE6ELNS1_3repE0EEENS1_47radix_sort_onesweep_sort_config_static_selectorELNS0_4arch9wavefront6targetE1EEEvSG_
    .private_segment_fixed_size: 32
    .sgpr_count:     60
    .sgpr_spill_count: 0
    .symbol:         _ZN7rocprim17ROCPRIM_400000_NS6detail17trampoline_kernelINS0_14default_configENS1_35radix_sort_onesweep_config_selectorIslEEZZNS1_29radix_sort_onesweep_iterationIS3_Lb0EPsS7_N6thrust23THRUST_200600_302600_NS10device_ptrIlEESB_jNS0_19identity_decomposerENS1_16block_id_wrapperIjLb1EEEEE10hipError_tT1_PNSt15iterator_traitsISG_E10value_typeET2_T3_PNSH_ISM_E10value_typeET4_T5_PSR_SS_PNS1_23onesweep_lookback_stateEbbT6_jjT7_P12ihipStream_tbENKUlT_T0_SG_SL_E_clIS7_S7_PlSB_EEDaSZ_S10_SG_SL_EUlSZ_E_NS1_11comp_targetILNS1_3genE2ELNS1_11target_archE906ELNS1_3gpuE6ELNS1_3repE0EEENS1_47radix_sort_onesweep_sort_config_static_selectorELNS0_4arch9wavefront6targetE1EEEvSG_.kd
    .uniform_work_group_size: 1
    .uses_dynamic_stack: false
    .vgpr_count:     45
    .vgpr_spill_count: 0
    .wavefront_size: 64
  - .args:
      - .offset:         0
        .size:           88
        .value_kind:     by_value
    .group_segment_fixed_size: 0
    .kernarg_segment_align: 8
    .kernarg_segment_size: 88
    .language:       OpenCL C
    .language_version:
      - 2
      - 0
    .max_flat_workgroup_size: 1024
    .name:           _ZN7rocprim17ROCPRIM_400000_NS6detail17trampoline_kernelINS0_14default_configENS1_35radix_sort_onesweep_config_selectorIslEEZZNS1_29radix_sort_onesweep_iterationIS3_Lb0EPsS7_N6thrust23THRUST_200600_302600_NS10device_ptrIlEESB_jNS0_19identity_decomposerENS1_16block_id_wrapperIjLb1EEEEE10hipError_tT1_PNSt15iterator_traitsISG_E10value_typeET2_T3_PNSH_ISM_E10value_typeET4_T5_PSR_SS_PNS1_23onesweep_lookback_stateEbbT6_jjT7_P12ihipStream_tbENKUlT_T0_SG_SL_E_clIS7_S7_PlSB_EEDaSZ_S10_SG_SL_EUlSZ_E_NS1_11comp_targetILNS1_3genE4ELNS1_11target_archE910ELNS1_3gpuE8ELNS1_3repE0EEENS1_47radix_sort_onesweep_sort_config_static_selectorELNS0_4arch9wavefront6targetE1EEEvSG_
    .private_segment_fixed_size: 0
    .sgpr_count:     4
    .sgpr_spill_count: 0
    .symbol:         _ZN7rocprim17ROCPRIM_400000_NS6detail17trampoline_kernelINS0_14default_configENS1_35radix_sort_onesweep_config_selectorIslEEZZNS1_29radix_sort_onesweep_iterationIS3_Lb0EPsS7_N6thrust23THRUST_200600_302600_NS10device_ptrIlEESB_jNS0_19identity_decomposerENS1_16block_id_wrapperIjLb1EEEEE10hipError_tT1_PNSt15iterator_traitsISG_E10value_typeET2_T3_PNSH_ISM_E10value_typeET4_T5_PSR_SS_PNS1_23onesweep_lookback_stateEbbT6_jjT7_P12ihipStream_tbENKUlT_T0_SG_SL_E_clIS7_S7_PlSB_EEDaSZ_S10_SG_SL_EUlSZ_E_NS1_11comp_targetILNS1_3genE4ELNS1_11target_archE910ELNS1_3gpuE8ELNS1_3repE0EEENS1_47radix_sort_onesweep_sort_config_static_selectorELNS0_4arch9wavefront6targetE1EEEvSG_.kd
    .uniform_work_group_size: 1
    .uses_dynamic_stack: false
    .vgpr_count:     0
    .vgpr_spill_count: 0
    .wavefront_size: 64
  - .args:
      - .offset:         0
        .size:           88
        .value_kind:     by_value
    .group_segment_fixed_size: 0
    .kernarg_segment_align: 8
    .kernarg_segment_size: 88
    .language:       OpenCL C
    .language_version:
      - 2
      - 0
    .max_flat_workgroup_size: 1024
    .name:           _ZN7rocprim17ROCPRIM_400000_NS6detail17trampoline_kernelINS0_14default_configENS1_35radix_sort_onesweep_config_selectorIslEEZZNS1_29radix_sort_onesweep_iterationIS3_Lb0EPsS7_N6thrust23THRUST_200600_302600_NS10device_ptrIlEESB_jNS0_19identity_decomposerENS1_16block_id_wrapperIjLb1EEEEE10hipError_tT1_PNSt15iterator_traitsISG_E10value_typeET2_T3_PNSH_ISM_E10value_typeET4_T5_PSR_SS_PNS1_23onesweep_lookback_stateEbbT6_jjT7_P12ihipStream_tbENKUlT_T0_SG_SL_E_clIS7_S7_PlSB_EEDaSZ_S10_SG_SL_EUlSZ_E_NS1_11comp_targetILNS1_3genE3ELNS1_11target_archE908ELNS1_3gpuE7ELNS1_3repE0EEENS1_47radix_sort_onesweep_sort_config_static_selectorELNS0_4arch9wavefront6targetE1EEEvSG_
    .private_segment_fixed_size: 0
    .sgpr_count:     4
    .sgpr_spill_count: 0
    .symbol:         _ZN7rocprim17ROCPRIM_400000_NS6detail17trampoline_kernelINS0_14default_configENS1_35radix_sort_onesweep_config_selectorIslEEZZNS1_29radix_sort_onesweep_iterationIS3_Lb0EPsS7_N6thrust23THRUST_200600_302600_NS10device_ptrIlEESB_jNS0_19identity_decomposerENS1_16block_id_wrapperIjLb1EEEEE10hipError_tT1_PNSt15iterator_traitsISG_E10value_typeET2_T3_PNSH_ISM_E10value_typeET4_T5_PSR_SS_PNS1_23onesweep_lookback_stateEbbT6_jjT7_P12ihipStream_tbENKUlT_T0_SG_SL_E_clIS7_S7_PlSB_EEDaSZ_S10_SG_SL_EUlSZ_E_NS1_11comp_targetILNS1_3genE3ELNS1_11target_archE908ELNS1_3gpuE7ELNS1_3repE0EEENS1_47radix_sort_onesweep_sort_config_static_selectorELNS0_4arch9wavefront6targetE1EEEvSG_.kd
    .uniform_work_group_size: 1
    .uses_dynamic_stack: false
    .vgpr_count:     0
    .vgpr_spill_count: 0
    .wavefront_size: 64
  - .args:
      - .offset:         0
        .size:           88
        .value_kind:     by_value
    .group_segment_fixed_size: 0
    .kernarg_segment_align: 8
    .kernarg_segment_size: 88
    .language:       OpenCL C
    .language_version:
      - 2
      - 0
    .max_flat_workgroup_size: 1024
    .name:           _ZN7rocprim17ROCPRIM_400000_NS6detail17trampoline_kernelINS0_14default_configENS1_35radix_sort_onesweep_config_selectorIslEEZZNS1_29radix_sort_onesweep_iterationIS3_Lb0EPsS7_N6thrust23THRUST_200600_302600_NS10device_ptrIlEESB_jNS0_19identity_decomposerENS1_16block_id_wrapperIjLb1EEEEE10hipError_tT1_PNSt15iterator_traitsISG_E10value_typeET2_T3_PNSH_ISM_E10value_typeET4_T5_PSR_SS_PNS1_23onesweep_lookback_stateEbbT6_jjT7_P12ihipStream_tbENKUlT_T0_SG_SL_E_clIS7_S7_PlSB_EEDaSZ_S10_SG_SL_EUlSZ_E_NS1_11comp_targetILNS1_3genE10ELNS1_11target_archE1201ELNS1_3gpuE5ELNS1_3repE0EEENS1_47radix_sort_onesweep_sort_config_static_selectorELNS0_4arch9wavefront6targetE1EEEvSG_
    .private_segment_fixed_size: 0
    .sgpr_count:     4
    .sgpr_spill_count: 0
    .symbol:         _ZN7rocprim17ROCPRIM_400000_NS6detail17trampoline_kernelINS0_14default_configENS1_35radix_sort_onesweep_config_selectorIslEEZZNS1_29radix_sort_onesweep_iterationIS3_Lb0EPsS7_N6thrust23THRUST_200600_302600_NS10device_ptrIlEESB_jNS0_19identity_decomposerENS1_16block_id_wrapperIjLb1EEEEE10hipError_tT1_PNSt15iterator_traitsISG_E10value_typeET2_T3_PNSH_ISM_E10value_typeET4_T5_PSR_SS_PNS1_23onesweep_lookback_stateEbbT6_jjT7_P12ihipStream_tbENKUlT_T0_SG_SL_E_clIS7_S7_PlSB_EEDaSZ_S10_SG_SL_EUlSZ_E_NS1_11comp_targetILNS1_3genE10ELNS1_11target_archE1201ELNS1_3gpuE5ELNS1_3repE0EEENS1_47radix_sort_onesweep_sort_config_static_selectorELNS0_4arch9wavefront6targetE1EEEvSG_.kd
    .uniform_work_group_size: 1
    .uses_dynamic_stack: false
    .vgpr_count:     0
    .vgpr_spill_count: 0
    .wavefront_size: 64
  - .args:
      - .offset:         0
        .size:           88
        .value_kind:     by_value
    .group_segment_fixed_size: 0
    .kernarg_segment_align: 8
    .kernarg_segment_size: 88
    .language:       OpenCL C
    .language_version:
      - 2
      - 0
    .max_flat_workgroup_size: 1024
    .name:           _ZN7rocprim17ROCPRIM_400000_NS6detail17trampoline_kernelINS0_14default_configENS1_35radix_sort_onesweep_config_selectorIslEEZZNS1_29radix_sort_onesweep_iterationIS3_Lb0EPsS7_N6thrust23THRUST_200600_302600_NS10device_ptrIlEESB_jNS0_19identity_decomposerENS1_16block_id_wrapperIjLb1EEEEE10hipError_tT1_PNSt15iterator_traitsISG_E10value_typeET2_T3_PNSH_ISM_E10value_typeET4_T5_PSR_SS_PNS1_23onesweep_lookback_stateEbbT6_jjT7_P12ihipStream_tbENKUlT_T0_SG_SL_E_clIS7_S7_PlSB_EEDaSZ_S10_SG_SL_EUlSZ_E_NS1_11comp_targetILNS1_3genE9ELNS1_11target_archE1100ELNS1_3gpuE3ELNS1_3repE0EEENS1_47radix_sort_onesweep_sort_config_static_selectorELNS0_4arch9wavefront6targetE1EEEvSG_
    .private_segment_fixed_size: 0
    .sgpr_count:     4
    .sgpr_spill_count: 0
    .symbol:         _ZN7rocprim17ROCPRIM_400000_NS6detail17trampoline_kernelINS0_14default_configENS1_35radix_sort_onesweep_config_selectorIslEEZZNS1_29radix_sort_onesweep_iterationIS3_Lb0EPsS7_N6thrust23THRUST_200600_302600_NS10device_ptrIlEESB_jNS0_19identity_decomposerENS1_16block_id_wrapperIjLb1EEEEE10hipError_tT1_PNSt15iterator_traitsISG_E10value_typeET2_T3_PNSH_ISM_E10value_typeET4_T5_PSR_SS_PNS1_23onesweep_lookback_stateEbbT6_jjT7_P12ihipStream_tbENKUlT_T0_SG_SL_E_clIS7_S7_PlSB_EEDaSZ_S10_SG_SL_EUlSZ_E_NS1_11comp_targetILNS1_3genE9ELNS1_11target_archE1100ELNS1_3gpuE3ELNS1_3repE0EEENS1_47radix_sort_onesweep_sort_config_static_selectorELNS0_4arch9wavefront6targetE1EEEvSG_.kd
    .uniform_work_group_size: 1
    .uses_dynamic_stack: false
    .vgpr_count:     0
    .vgpr_spill_count: 0
    .wavefront_size: 64
  - .args:
      - .offset:         0
        .size:           88
        .value_kind:     by_value
    .group_segment_fixed_size: 0
    .kernarg_segment_align: 8
    .kernarg_segment_size: 88
    .language:       OpenCL C
    .language_version:
      - 2
      - 0
    .max_flat_workgroup_size: 1024
    .name:           _ZN7rocprim17ROCPRIM_400000_NS6detail17trampoline_kernelINS0_14default_configENS1_35radix_sort_onesweep_config_selectorIslEEZZNS1_29radix_sort_onesweep_iterationIS3_Lb0EPsS7_N6thrust23THRUST_200600_302600_NS10device_ptrIlEESB_jNS0_19identity_decomposerENS1_16block_id_wrapperIjLb1EEEEE10hipError_tT1_PNSt15iterator_traitsISG_E10value_typeET2_T3_PNSH_ISM_E10value_typeET4_T5_PSR_SS_PNS1_23onesweep_lookback_stateEbbT6_jjT7_P12ihipStream_tbENKUlT_T0_SG_SL_E_clIS7_S7_PlSB_EEDaSZ_S10_SG_SL_EUlSZ_E_NS1_11comp_targetILNS1_3genE8ELNS1_11target_archE1030ELNS1_3gpuE2ELNS1_3repE0EEENS1_47radix_sort_onesweep_sort_config_static_selectorELNS0_4arch9wavefront6targetE1EEEvSG_
    .private_segment_fixed_size: 0
    .sgpr_count:     4
    .sgpr_spill_count: 0
    .symbol:         _ZN7rocprim17ROCPRIM_400000_NS6detail17trampoline_kernelINS0_14default_configENS1_35radix_sort_onesweep_config_selectorIslEEZZNS1_29radix_sort_onesweep_iterationIS3_Lb0EPsS7_N6thrust23THRUST_200600_302600_NS10device_ptrIlEESB_jNS0_19identity_decomposerENS1_16block_id_wrapperIjLb1EEEEE10hipError_tT1_PNSt15iterator_traitsISG_E10value_typeET2_T3_PNSH_ISM_E10value_typeET4_T5_PSR_SS_PNS1_23onesweep_lookback_stateEbbT6_jjT7_P12ihipStream_tbENKUlT_T0_SG_SL_E_clIS7_S7_PlSB_EEDaSZ_S10_SG_SL_EUlSZ_E_NS1_11comp_targetILNS1_3genE8ELNS1_11target_archE1030ELNS1_3gpuE2ELNS1_3repE0EEENS1_47radix_sort_onesweep_sort_config_static_selectorELNS0_4arch9wavefront6targetE1EEEvSG_.kd
    .uniform_work_group_size: 1
    .uses_dynamic_stack: false
    .vgpr_count:     0
    .vgpr_spill_count: 0
    .wavefront_size: 64
  - .args:
      - .offset:         0
        .size:           88
        .value_kind:     by_value
    .group_segment_fixed_size: 0
    .kernarg_segment_align: 8
    .kernarg_segment_size: 88
    .language:       OpenCL C
    .language_version:
      - 2
      - 0
    .max_flat_workgroup_size: 1024
    .name:           _ZN7rocprim17ROCPRIM_400000_NS6detail17trampoline_kernelINS0_14default_configENS1_35radix_sort_onesweep_config_selectorIslEEZZNS1_29radix_sort_onesweep_iterationIS3_Lb0EPsS7_N6thrust23THRUST_200600_302600_NS10device_ptrIlEESB_jNS0_19identity_decomposerENS1_16block_id_wrapperIjLb0EEEEE10hipError_tT1_PNSt15iterator_traitsISG_E10value_typeET2_T3_PNSH_ISM_E10value_typeET4_T5_PSR_SS_PNS1_23onesweep_lookback_stateEbbT6_jjT7_P12ihipStream_tbENKUlT_T0_SG_SL_E_clIS7_S7_SB_SB_EEDaSZ_S10_SG_SL_EUlSZ_E_NS1_11comp_targetILNS1_3genE0ELNS1_11target_archE4294967295ELNS1_3gpuE0ELNS1_3repE0EEENS1_47radix_sort_onesweep_sort_config_static_selectorELNS0_4arch9wavefront6targetE1EEEvSG_
    .private_segment_fixed_size: 0
    .sgpr_count:     4
    .sgpr_spill_count: 0
    .symbol:         _ZN7rocprim17ROCPRIM_400000_NS6detail17trampoline_kernelINS0_14default_configENS1_35radix_sort_onesweep_config_selectorIslEEZZNS1_29radix_sort_onesweep_iterationIS3_Lb0EPsS7_N6thrust23THRUST_200600_302600_NS10device_ptrIlEESB_jNS0_19identity_decomposerENS1_16block_id_wrapperIjLb0EEEEE10hipError_tT1_PNSt15iterator_traitsISG_E10value_typeET2_T3_PNSH_ISM_E10value_typeET4_T5_PSR_SS_PNS1_23onesweep_lookback_stateEbbT6_jjT7_P12ihipStream_tbENKUlT_T0_SG_SL_E_clIS7_S7_SB_SB_EEDaSZ_S10_SG_SL_EUlSZ_E_NS1_11comp_targetILNS1_3genE0ELNS1_11target_archE4294967295ELNS1_3gpuE0ELNS1_3repE0EEENS1_47radix_sort_onesweep_sort_config_static_selectorELNS0_4arch9wavefront6targetE1EEEvSG_.kd
    .uniform_work_group_size: 1
    .uses_dynamic_stack: false
    .vgpr_count:     0
    .vgpr_spill_count: 0
    .wavefront_size: 64
  - .args:
      - .offset:         0
        .size:           88
        .value_kind:     by_value
    .group_segment_fixed_size: 0
    .kernarg_segment_align: 8
    .kernarg_segment_size: 88
    .language:       OpenCL C
    .language_version:
      - 2
      - 0
    .max_flat_workgroup_size: 1024
    .name:           _ZN7rocprim17ROCPRIM_400000_NS6detail17trampoline_kernelINS0_14default_configENS1_35radix_sort_onesweep_config_selectorIslEEZZNS1_29radix_sort_onesweep_iterationIS3_Lb0EPsS7_N6thrust23THRUST_200600_302600_NS10device_ptrIlEESB_jNS0_19identity_decomposerENS1_16block_id_wrapperIjLb0EEEEE10hipError_tT1_PNSt15iterator_traitsISG_E10value_typeET2_T3_PNSH_ISM_E10value_typeET4_T5_PSR_SS_PNS1_23onesweep_lookback_stateEbbT6_jjT7_P12ihipStream_tbENKUlT_T0_SG_SL_E_clIS7_S7_SB_SB_EEDaSZ_S10_SG_SL_EUlSZ_E_NS1_11comp_targetILNS1_3genE6ELNS1_11target_archE950ELNS1_3gpuE13ELNS1_3repE0EEENS1_47radix_sort_onesweep_sort_config_static_selectorELNS0_4arch9wavefront6targetE1EEEvSG_
    .private_segment_fixed_size: 0
    .sgpr_count:     4
    .sgpr_spill_count: 0
    .symbol:         _ZN7rocprim17ROCPRIM_400000_NS6detail17trampoline_kernelINS0_14default_configENS1_35radix_sort_onesweep_config_selectorIslEEZZNS1_29radix_sort_onesweep_iterationIS3_Lb0EPsS7_N6thrust23THRUST_200600_302600_NS10device_ptrIlEESB_jNS0_19identity_decomposerENS1_16block_id_wrapperIjLb0EEEEE10hipError_tT1_PNSt15iterator_traitsISG_E10value_typeET2_T3_PNSH_ISM_E10value_typeET4_T5_PSR_SS_PNS1_23onesweep_lookback_stateEbbT6_jjT7_P12ihipStream_tbENKUlT_T0_SG_SL_E_clIS7_S7_SB_SB_EEDaSZ_S10_SG_SL_EUlSZ_E_NS1_11comp_targetILNS1_3genE6ELNS1_11target_archE950ELNS1_3gpuE13ELNS1_3repE0EEENS1_47radix_sort_onesweep_sort_config_static_selectorELNS0_4arch9wavefront6targetE1EEEvSG_.kd
    .uniform_work_group_size: 1
    .uses_dynamic_stack: false
    .vgpr_count:     0
    .vgpr_spill_count: 0
    .wavefront_size: 64
  - .args:
      - .offset:         0
        .size:           88
        .value_kind:     by_value
    .group_segment_fixed_size: 0
    .kernarg_segment_align: 8
    .kernarg_segment_size: 88
    .language:       OpenCL C
    .language_version:
      - 2
      - 0
    .max_flat_workgroup_size: 1024
    .name:           _ZN7rocprim17ROCPRIM_400000_NS6detail17trampoline_kernelINS0_14default_configENS1_35radix_sort_onesweep_config_selectorIslEEZZNS1_29radix_sort_onesweep_iterationIS3_Lb0EPsS7_N6thrust23THRUST_200600_302600_NS10device_ptrIlEESB_jNS0_19identity_decomposerENS1_16block_id_wrapperIjLb0EEEEE10hipError_tT1_PNSt15iterator_traitsISG_E10value_typeET2_T3_PNSH_ISM_E10value_typeET4_T5_PSR_SS_PNS1_23onesweep_lookback_stateEbbT6_jjT7_P12ihipStream_tbENKUlT_T0_SG_SL_E_clIS7_S7_SB_SB_EEDaSZ_S10_SG_SL_EUlSZ_E_NS1_11comp_targetILNS1_3genE5ELNS1_11target_archE942ELNS1_3gpuE9ELNS1_3repE0EEENS1_47radix_sort_onesweep_sort_config_static_selectorELNS0_4arch9wavefront6targetE1EEEvSG_
    .private_segment_fixed_size: 0
    .sgpr_count:     4
    .sgpr_spill_count: 0
    .symbol:         _ZN7rocprim17ROCPRIM_400000_NS6detail17trampoline_kernelINS0_14default_configENS1_35radix_sort_onesweep_config_selectorIslEEZZNS1_29radix_sort_onesweep_iterationIS3_Lb0EPsS7_N6thrust23THRUST_200600_302600_NS10device_ptrIlEESB_jNS0_19identity_decomposerENS1_16block_id_wrapperIjLb0EEEEE10hipError_tT1_PNSt15iterator_traitsISG_E10value_typeET2_T3_PNSH_ISM_E10value_typeET4_T5_PSR_SS_PNS1_23onesweep_lookback_stateEbbT6_jjT7_P12ihipStream_tbENKUlT_T0_SG_SL_E_clIS7_S7_SB_SB_EEDaSZ_S10_SG_SL_EUlSZ_E_NS1_11comp_targetILNS1_3genE5ELNS1_11target_archE942ELNS1_3gpuE9ELNS1_3repE0EEENS1_47radix_sort_onesweep_sort_config_static_selectorELNS0_4arch9wavefront6targetE1EEEvSG_.kd
    .uniform_work_group_size: 1
    .uses_dynamic_stack: false
    .vgpr_count:     0
    .vgpr_spill_count: 0
    .wavefront_size: 64
  - .args:
      - .offset:         0
        .size:           88
        .value_kind:     by_value
      - .offset:         88
        .size:           4
        .value_kind:     hidden_block_count_x
      - .offset:         92
        .size:           4
        .value_kind:     hidden_block_count_y
      - .offset:         96
        .size:           4
        .value_kind:     hidden_block_count_z
      - .offset:         100
        .size:           2
        .value_kind:     hidden_group_size_x
      - .offset:         102
        .size:           2
        .value_kind:     hidden_group_size_y
      - .offset:         104
        .size:           2
        .value_kind:     hidden_group_size_z
      - .offset:         106
        .size:           2
        .value_kind:     hidden_remainder_x
      - .offset:         108
        .size:           2
        .value_kind:     hidden_remainder_y
      - .offset:         110
        .size:           2
        .value_kind:     hidden_remainder_z
      - .offset:         128
        .size:           8
        .value_kind:     hidden_global_offset_x
      - .offset:         136
        .size:           8
        .value_kind:     hidden_global_offset_y
      - .offset:         144
        .size:           8
        .value_kind:     hidden_global_offset_z
      - .offset:         152
        .size:           2
        .value_kind:     hidden_grid_dims
    .group_segment_fixed_size: 10280
    .kernarg_segment_align: 8
    .kernarg_segment_size: 344
    .language:       OpenCL C
    .language_version:
      - 2
      - 0
    .max_flat_workgroup_size: 512
    .name:           _ZN7rocprim17ROCPRIM_400000_NS6detail17trampoline_kernelINS0_14default_configENS1_35radix_sort_onesweep_config_selectorIslEEZZNS1_29radix_sort_onesweep_iterationIS3_Lb0EPsS7_N6thrust23THRUST_200600_302600_NS10device_ptrIlEESB_jNS0_19identity_decomposerENS1_16block_id_wrapperIjLb0EEEEE10hipError_tT1_PNSt15iterator_traitsISG_E10value_typeET2_T3_PNSH_ISM_E10value_typeET4_T5_PSR_SS_PNS1_23onesweep_lookback_stateEbbT6_jjT7_P12ihipStream_tbENKUlT_T0_SG_SL_E_clIS7_S7_SB_SB_EEDaSZ_S10_SG_SL_EUlSZ_E_NS1_11comp_targetILNS1_3genE2ELNS1_11target_archE906ELNS1_3gpuE6ELNS1_3repE0EEENS1_47radix_sort_onesweep_sort_config_static_selectorELNS0_4arch9wavefront6targetE1EEEvSG_
    .private_segment_fixed_size: 32
    .sgpr_count:     57
    .sgpr_spill_count: 0
    .symbol:         _ZN7rocprim17ROCPRIM_400000_NS6detail17trampoline_kernelINS0_14default_configENS1_35radix_sort_onesweep_config_selectorIslEEZZNS1_29radix_sort_onesweep_iterationIS3_Lb0EPsS7_N6thrust23THRUST_200600_302600_NS10device_ptrIlEESB_jNS0_19identity_decomposerENS1_16block_id_wrapperIjLb0EEEEE10hipError_tT1_PNSt15iterator_traitsISG_E10value_typeET2_T3_PNSH_ISM_E10value_typeET4_T5_PSR_SS_PNS1_23onesweep_lookback_stateEbbT6_jjT7_P12ihipStream_tbENKUlT_T0_SG_SL_E_clIS7_S7_SB_SB_EEDaSZ_S10_SG_SL_EUlSZ_E_NS1_11comp_targetILNS1_3genE2ELNS1_11target_archE906ELNS1_3gpuE6ELNS1_3repE0EEENS1_47radix_sort_onesweep_sort_config_static_selectorELNS0_4arch9wavefront6targetE1EEEvSG_.kd
    .uniform_work_group_size: 1
    .uses_dynamic_stack: false
    .vgpr_count:     45
    .vgpr_spill_count: 0
    .wavefront_size: 64
  - .args:
      - .offset:         0
        .size:           88
        .value_kind:     by_value
    .group_segment_fixed_size: 0
    .kernarg_segment_align: 8
    .kernarg_segment_size: 88
    .language:       OpenCL C
    .language_version:
      - 2
      - 0
    .max_flat_workgroup_size: 1024
    .name:           _ZN7rocprim17ROCPRIM_400000_NS6detail17trampoline_kernelINS0_14default_configENS1_35radix_sort_onesweep_config_selectorIslEEZZNS1_29radix_sort_onesweep_iterationIS3_Lb0EPsS7_N6thrust23THRUST_200600_302600_NS10device_ptrIlEESB_jNS0_19identity_decomposerENS1_16block_id_wrapperIjLb0EEEEE10hipError_tT1_PNSt15iterator_traitsISG_E10value_typeET2_T3_PNSH_ISM_E10value_typeET4_T5_PSR_SS_PNS1_23onesweep_lookback_stateEbbT6_jjT7_P12ihipStream_tbENKUlT_T0_SG_SL_E_clIS7_S7_SB_SB_EEDaSZ_S10_SG_SL_EUlSZ_E_NS1_11comp_targetILNS1_3genE4ELNS1_11target_archE910ELNS1_3gpuE8ELNS1_3repE0EEENS1_47radix_sort_onesweep_sort_config_static_selectorELNS0_4arch9wavefront6targetE1EEEvSG_
    .private_segment_fixed_size: 0
    .sgpr_count:     4
    .sgpr_spill_count: 0
    .symbol:         _ZN7rocprim17ROCPRIM_400000_NS6detail17trampoline_kernelINS0_14default_configENS1_35radix_sort_onesweep_config_selectorIslEEZZNS1_29radix_sort_onesweep_iterationIS3_Lb0EPsS7_N6thrust23THRUST_200600_302600_NS10device_ptrIlEESB_jNS0_19identity_decomposerENS1_16block_id_wrapperIjLb0EEEEE10hipError_tT1_PNSt15iterator_traitsISG_E10value_typeET2_T3_PNSH_ISM_E10value_typeET4_T5_PSR_SS_PNS1_23onesweep_lookback_stateEbbT6_jjT7_P12ihipStream_tbENKUlT_T0_SG_SL_E_clIS7_S7_SB_SB_EEDaSZ_S10_SG_SL_EUlSZ_E_NS1_11comp_targetILNS1_3genE4ELNS1_11target_archE910ELNS1_3gpuE8ELNS1_3repE0EEENS1_47radix_sort_onesweep_sort_config_static_selectorELNS0_4arch9wavefront6targetE1EEEvSG_.kd
    .uniform_work_group_size: 1
    .uses_dynamic_stack: false
    .vgpr_count:     0
    .vgpr_spill_count: 0
    .wavefront_size: 64
  - .args:
      - .offset:         0
        .size:           88
        .value_kind:     by_value
    .group_segment_fixed_size: 0
    .kernarg_segment_align: 8
    .kernarg_segment_size: 88
    .language:       OpenCL C
    .language_version:
      - 2
      - 0
    .max_flat_workgroup_size: 1024
    .name:           _ZN7rocprim17ROCPRIM_400000_NS6detail17trampoline_kernelINS0_14default_configENS1_35radix_sort_onesweep_config_selectorIslEEZZNS1_29radix_sort_onesweep_iterationIS3_Lb0EPsS7_N6thrust23THRUST_200600_302600_NS10device_ptrIlEESB_jNS0_19identity_decomposerENS1_16block_id_wrapperIjLb0EEEEE10hipError_tT1_PNSt15iterator_traitsISG_E10value_typeET2_T3_PNSH_ISM_E10value_typeET4_T5_PSR_SS_PNS1_23onesweep_lookback_stateEbbT6_jjT7_P12ihipStream_tbENKUlT_T0_SG_SL_E_clIS7_S7_SB_SB_EEDaSZ_S10_SG_SL_EUlSZ_E_NS1_11comp_targetILNS1_3genE3ELNS1_11target_archE908ELNS1_3gpuE7ELNS1_3repE0EEENS1_47radix_sort_onesweep_sort_config_static_selectorELNS0_4arch9wavefront6targetE1EEEvSG_
    .private_segment_fixed_size: 0
    .sgpr_count:     4
    .sgpr_spill_count: 0
    .symbol:         _ZN7rocprim17ROCPRIM_400000_NS6detail17trampoline_kernelINS0_14default_configENS1_35radix_sort_onesweep_config_selectorIslEEZZNS1_29radix_sort_onesweep_iterationIS3_Lb0EPsS7_N6thrust23THRUST_200600_302600_NS10device_ptrIlEESB_jNS0_19identity_decomposerENS1_16block_id_wrapperIjLb0EEEEE10hipError_tT1_PNSt15iterator_traitsISG_E10value_typeET2_T3_PNSH_ISM_E10value_typeET4_T5_PSR_SS_PNS1_23onesweep_lookback_stateEbbT6_jjT7_P12ihipStream_tbENKUlT_T0_SG_SL_E_clIS7_S7_SB_SB_EEDaSZ_S10_SG_SL_EUlSZ_E_NS1_11comp_targetILNS1_3genE3ELNS1_11target_archE908ELNS1_3gpuE7ELNS1_3repE0EEENS1_47radix_sort_onesweep_sort_config_static_selectorELNS0_4arch9wavefront6targetE1EEEvSG_.kd
    .uniform_work_group_size: 1
    .uses_dynamic_stack: false
    .vgpr_count:     0
    .vgpr_spill_count: 0
    .wavefront_size: 64
  - .args:
      - .offset:         0
        .size:           88
        .value_kind:     by_value
    .group_segment_fixed_size: 0
    .kernarg_segment_align: 8
    .kernarg_segment_size: 88
    .language:       OpenCL C
    .language_version:
      - 2
      - 0
    .max_flat_workgroup_size: 1024
    .name:           _ZN7rocprim17ROCPRIM_400000_NS6detail17trampoline_kernelINS0_14default_configENS1_35radix_sort_onesweep_config_selectorIslEEZZNS1_29radix_sort_onesweep_iterationIS3_Lb0EPsS7_N6thrust23THRUST_200600_302600_NS10device_ptrIlEESB_jNS0_19identity_decomposerENS1_16block_id_wrapperIjLb0EEEEE10hipError_tT1_PNSt15iterator_traitsISG_E10value_typeET2_T3_PNSH_ISM_E10value_typeET4_T5_PSR_SS_PNS1_23onesweep_lookback_stateEbbT6_jjT7_P12ihipStream_tbENKUlT_T0_SG_SL_E_clIS7_S7_SB_SB_EEDaSZ_S10_SG_SL_EUlSZ_E_NS1_11comp_targetILNS1_3genE10ELNS1_11target_archE1201ELNS1_3gpuE5ELNS1_3repE0EEENS1_47radix_sort_onesweep_sort_config_static_selectorELNS0_4arch9wavefront6targetE1EEEvSG_
    .private_segment_fixed_size: 0
    .sgpr_count:     4
    .sgpr_spill_count: 0
    .symbol:         _ZN7rocprim17ROCPRIM_400000_NS6detail17trampoline_kernelINS0_14default_configENS1_35radix_sort_onesweep_config_selectorIslEEZZNS1_29radix_sort_onesweep_iterationIS3_Lb0EPsS7_N6thrust23THRUST_200600_302600_NS10device_ptrIlEESB_jNS0_19identity_decomposerENS1_16block_id_wrapperIjLb0EEEEE10hipError_tT1_PNSt15iterator_traitsISG_E10value_typeET2_T3_PNSH_ISM_E10value_typeET4_T5_PSR_SS_PNS1_23onesweep_lookback_stateEbbT6_jjT7_P12ihipStream_tbENKUlT_T0_SG_SL_E_clIS7_S7_SB_SB_EEDaSZ_S10_SG_SL_EUlSZ_E_NS1_11comp_targetILNS1_3genE10ELNS1_11target_archE1201ELNS1_3gpuE5ELNS1_3repE0EEENS1_47radix_sort_onesweep_sort_config_static_selectorELNS0_4arch9wavefront6targetE1EEEvSG_.kd
    .uniform_work_group_size: 1
    .uses_dynamic_stack: false
    .vgpr_count:     0
    .vgpr_spill_count: 0
    .wavefront_size: 64
  - .args:
      - .offset:         0
        .size:           88
        .value_kind:     by_value
    .group_segment_fixed_size: 0
    .kernarg_segment_align: 8
    .kernarg_segment_size: 88
    .language:       OpenCL C
    .language_version:
      - 2
      - 0
    .max_flat_workgroup_size: 1024
    .name:           _ZN7rocprim17ROCPRIM_400000_NS6detail17trampoline_kernelINS0_14default_configENS1_35radix_sort_onesweep_config_selectorIslEEZZNS1_29radix_sort_onesweep_iterationIS3_Lb0EPsS7_N6thrust23THRUST_200600_302600_NS10device_ptrIlEESB_jNS0_19identity_decomposerENS1_16block_id_wrapperIjLb0EEEEE10hipError_tT1_PNSt15iterator_traitsISG_E10value_typeET2_T3_PNSH_ISM_E10value_typeET4_T5_PSR_SS_PNS1_23onesweep_lookback_stateEbbT6_jjT7_P12ihipStream_tbENKUlT_T0_SG_SL_E_clIS7_S7_SB_SB_EEDaSZ_S10_SG_SL_EUlSZ_E_NS1_11comp_targetILNS1_3genE9ELNS1_11target_archE1100ELNS1_3gpuE3ELNS1_3repE0EEENS1_47radix_sort_onesweep_sort_config_static_selectorELNS0_4arch9wavefront6targetE1EEEvSG_
    .private_segment_fixed_size: 0
    .sgpr_count:     4
    .sgpr_spill_count: 0
    .symbol:         _ZN7rocprim17ROCPRIM_400000_NS6detail17trampoline_kernelINS0_14default_configENS1_35radix_sort_onesweep_config_selectorIslEEZZNS1_29radix_sort_onesweep_iterationIS3_Lb0EPsS7_N6thrust23THRUST_200600_302600_NS10device_ptrIlEESB_jNS0_19identity_decomposerENS1_16block_id_wrapperIjLb0EEEEE10hipError_tT1_PNSt15iterator_traitsISG_E10value_typeET2_T3_PNSH_ISM_E10value_typeET4_T5_PSR_SS_PNS1_23onesweep_lookback_stateEbbT6_jjT7_P12ihipStream_tbENKUlT_T0_SG_SL_E_clIS7_S7_SB_SB_EEDaSZ_S10_SG_SL_EUlSZ_E_NS1_11comp_targetILNS1_3genE9ELNS1_11target_archE1100ELNS1_3gpuE3ELNS1_3repE0EEENS1_47radix_sort_onesweep_sort_config_static_selectorELNS0_4arch9wavefront6targetE1EEEvSG_.kd
    .uniform_work_group_size: 1
    .uses_dynamic_stack: false
    .vgpr_count:     0
    .vgpr_spill_count: 0
    .wavefront_size: 64
  - .args:
      - .offset:         0
        .size:           88
        .value_kind:     by_value
    .group_segment_fixed_size: 0
    .kernarg_segment_align: 8
    .kernarg_segment_size: 88
    .language:       OpenCL C
    .language_version:
      - 2
      - 0
    .max_flat_workgroup_size: 1024
    .name:           _ZN7rocprim17ROCPRIM_400000_NS6detail17trampoline_kernelINS0_14default_configENS1_35radix_sort_onesweep_config_selectorIslEEZZNS1_29radix_sort_onesweep_iterationIS3_Lb0EPsS7_N6thrust23THRUST_200600_302600_NS10device_ptrIlEESB_jNS0_19identity_decomposerENS1_16block_id_wrapperIjLb0EEEEE10hipError_tT1_PNSt15iterator_traitsISG_E10value_typeET2_T3_PNSH_ISM_E10value_typeET4_T5_PSR_SS_PNS1_23onesweep_lookback_stateEbbT6_jjT7_P12ihipStream_tbENKUlT_T0_SG_SL_E_clIS7_S7_SB_SB_EEDaSZ_S10_SG_SL_EUlSZ_E_NS1_11comp_targetILNS1_3genE8ELNS1_11target_archE1030ELNS1_3gpuE2ELNS1_3repE0EEENS1_47radix_sort_onesweep_sort_config_static_selectorELNS0_4arch9wavefront6targetE1EEEvSG_
    .private_segment_fixed_size: 0
    .sgpr_count:     4
    .sgpr_spill_count: 0
    .symbol:         _ZN7rocprim17ROCPRIM_400000_NS6detail17trampoline_kernelINS0_14default_configENS1_35radix_sort_onesweep_config_selectorIslEEZZNS1_29radix_sort_onesweep_iterationIS3_Lb0EPsS7_N6thrust23THRUST_200600_302600_NS10device_ptrIlEESB_jNS0_19identity_decomposerENS1_16block_id_wrapperIjLb0EEEEE10hipError_tT1_PNSt15iterator_traitsISG_E10value_typeET2_T3_PNSH_ISM_E10value_typeET4_T5_PSR_SS_PNS1_23onesweep_lookback_stateEbbT6_jjT7_P12ihipStream_tbENKUlT_T0_SG_SL_E_clIS7_S7_SB_SB_EEDaSZ_S10_SG_SL_EUlSZ_E_NS1_11comp_targetILNS1_3genE8ELNS1_11target_archE1030ELNS1_3gpuE2ELNS1_3repE0EEENS1_47radix_sort_onesweep_sort_config_static_selectorELNS0_4arch9wavefront6targetE1EEEvSG_.kd
    .uniform_work_group_size: 1
    .uses_dynamic_stack: false
    .vgpr_count:     0
    .vgpr_spill_count: 0
    .wavefront_size: 64
  - .args:
      - .offset:         0
        .size:           88
        .value_kind:     by_value
    .group_segment_fixed_size: 0
    .kernarg_segment_align: 8
    .kernarg_segment_size: 88
    .language:       OpenCL C
    .language_version:
      - 2
      - 0
    .max_flat_workgroup_size: 1024
    .name:           _ZN7rocprim17ROCPRIM_400000_NS6detail17trampoline_kernelINS0_14default_configENS1_35radix_sort_onesweep_config_selectorIslEEZZNS1_29radix_sort_onesweep_iterationIS3_Lb0EPsS7_N6thrust23THRUST_200600_302600_NS10device_ptrIlEESB_jNS0_19identity_decomposerENS1_16block_id_wrapperIjLb0EEEEE10hipError_tT1_PNSt15iterator_traitsISG_E10value_typeET2_T3_PNSH_ISM_E10value_typeET4_T5_PSR_SS_PNS1_23onesweep_lookback_stateEbbT6_jjT7_P12ihipStream_tbENKUlT_T0_SG_SL_E_clIS7_S7_SB_PlEEDaSZ_S10_SG_SL_EUlSZ_E_NS1_11comp_targetILNS1_3genE0ELNS1_11target_archE4294967295ELNS1_3gpuE0ELNS1_3repE0EEENS1_47radix_sort_onesweep_sort_config_static_selectorELNS0_4arch9wavefront6targetE1EEEvSG_
    .private_segment_fixed_size: 0
    .sgpr_count:     4
    .sgpr_spill_count: 0
    .symbol:         _ZN7rocprim17ROCPRIM_400000_NS6detail17trampoline_kernelINS0_14default_configENS1_35radix_sort_onesweep_config_selectorIslEEZZNS1_29radix_sort_onesweep_iterationIS3_Lb0EPsS7_N6thrust23THRUST_200600_302600_NS10device_ptrIlEESB_jNS0_19identity_decomposerENS1_16block_id_wrapperIjLb0EEEEE10hipError_tT1_PNSt15iterator_traitsISG_E10value_typeET2_T3_PNSH_ISM_E10value_typeET4_T5_PSR_SS_PNS1_23onesweep_lookback_stateEbbT6_jjT7_P12ihipStream_tbENKUlT_T0_SG_SL_E_clIS7_S7_SB_PlEEDaSZ_S10_SG_SL_EUlSZ_E_NS1_11comp_targetILNS1_3genE0ELNS1_11target_archE4294967295ELNS1_3gpuE0ELNS1_3repE0EEENS1_47radix_sort_onesweep_sort_config_static_selectorELNS0_4arch9wavefront6targetE1EEEvSG_.kd
    .uniform_work_group_size: 1
    .uses_dynamic_stack: false
    .vgpr_count:     0
    .vgpr_spill_count: 0
    .wavefront_size: 64
  - .args:
      - .offset:         0
        .size:           88
        .value_kind:     by_value
    .group_segment_fixed_size: 0
    .kernarg_segment_align: 8
    .kernarg_segment_size: 88
    .language:       OpenCL C
    .language_version:
      - 2
      - 0
    .max_flat_workgroup_size: 1024
    .name:           _ZN7rocprim17ROCPRIM_400000_NS6detail17trampoline_kernelINS0_14default_configENS1_35radix_sort_onesweep_config_selectorIslEEZZNS1_29radix_sort_onesweep_iterationIS3_Lb0EPsS7_N6thrust23THRUST_200600_302600_NS10device_ptrIlEESB_jNS0_19identity_decomposerENS1_16block_id_wrapperIjLb0EEEEE10hipError_tT1_PNSt15iterator_traitsISG_E10value_typeET2_T3_PNSH_ISM_E10value_typeET4_T5_PSR_SS_PNS1_23onesweep_lookback_stateEbbT6_jjT7_P12ihipStream_tbENKUlT_T0_SG_SL_E_clIS7_S7_SB_PlEEDaSZ_S10_SG_SL_EUlSZ_E_NS1_11comp_targetILNS1_3genE6ELNS1_11target_archE950ELNS1_3gpuE13ELNS1_3repE0EEENS1_47radix_sort_onesweep_sort_config_static_selectorELNS0_4arch9wavefront6targetE1EEEvSG_
    .private_segment_fixed_size: 0
    .sgpr_count:     4
    .sgpr_spill_count: 0
    .symbol:         _ZN7rocprim17ROCPRIM_400000_NS6detail17trampoline_kernelINS0_14default_configENS1_35radix_sort_onesweep_config_selectorIslEEZZNS1_29radix_sort_onesweep_iterationIS3_Lb0EPsS7_N6thrust23THRUST_200600_302600_NS10device_ptrIlEESB_jNS0_19identity_decomposerENS1_16block_id_wrapperIjLb0EEEEE10hipError_tT1_PNSt15iterator_traitsISG_E10value_typeET2_T3_PNSH_ISM_E10value_typeET4_T5_PSR_SS_PNS1_23onesweep_lookback_stateEbbT6_jjT7_P12ihipStream_tbENKUlT_T0_SG_SL_E_clIS7_S7_SB_PlEEDaSZ_S10_SG_SL_EUlSZ_E_NS1_11comp_targetILNS1_3genE6ELNS1_11target_archE950ELNS1_3gpuE13ELNS1_3repE0EEENS1_47radix_sort_onesweep_sort_config_static_selectorELNS0_4arch9wavefront6targetE1EEEvSG_.kd
    .uniform_work_group_size: 1
    .uses_dynamic_stack: false
    .vgpr_count:     0
    .vgpr_spill_count: 0
    .wavefront_size: 64
  - .args:
      - .offset:         0
        .size:           88
        .value_kind:     by_value
    .group_segment_fixed_size: 0
    .kernarg_segment_align: 8
    .kernarg_segment_size: 88
    .language:       OpenCL C
    .language_version:
      - 2
      - 0
    .max_flat_workgroup_size: 1024
    .name:           _ZN7rocprim17ROCPRIM_400000_NS6detail17trampoline_kernelINS0_14default_configENS1_35radix_sort_onesweep_config_selectorIslEEZZNS1_29radix_sort_onesweep_iterationIS3_Lb0EPsS7_N6thrust23THRUST_200600_302600_NS10device_ptrIlEESB_jNS0_19identity_decomposerENS1_16block_id_wrapperIjLb0EEEEE10hipError_tT1_PNSt15iterator_traitsISG_E10value_typeET2_T3_PNSH_ISM_E10value_typeET4_T5_PSR_SS_PNS1_23onesweep_lookback_stateEbbT6_jjT7_P12ihipStream_tbENKUlT_T0_SG_SL_E_clIS7_S7_SB_PlEEDaSZ_S10_SG_SL_EUlSZ_E_NS1_11comp_targetILNS1_3genE5ELNS1_11target_archE942ELNS1_3gpuE9ELNS1_3repE0EEENS1_47radix_sort_onesweep_sort_config_static_selectorELNS0_4arch9wavefront6targetE1EEEvSG_
    .private_segment_fixed_size: 0
    .sgpr_count:     4
    .sgpr_spill_count: 0
    .symbol:         _ZN7rocprim17ROCPRIM_400000_NS6detail17trampoline_kernelINS0_14default_configENS1_35radix_sort_onesweep_config_selectorIslEEZZNS1_29radix_sort_onesweep_iterationIS3_Lb0EPsS7_N6thrust23THRUST_200600_302600_NS10device_ptrIlEESB_jNS0_19identity_decomposerENS1_16block_id_wrapperIjLb0EEEEE10hipError_tT1_PNSt15iterator_traitsISG_E10value_typeET2_T3_PNSH_ISM_E10value_typeET4_T5_PSR_SS_PNS1_23onesweep_lookback_stateEbbT6_jjT7_P12ihipStream_tbENKUlT_T0_SG_SL_E_clIS7_S7_SB_PlEEDaSZ_S10_SG_SL_EUlSZ_E_NS1_11comp_targetILNS1_3genE5ELNS1_11target_archE942ELNS1_3gpuE9ELNS1_3repE0EEENS1_47radix_sort_onesweep_sort_config_static_selectorELNS0_4arch9wavefront6targetE1EEEvSG_.kd
    .uniform_work_group_size: 1
    .uses_dynamic_stack: false
    .vgpr_count:     0
    .vgpr_spill_count: 0
    .wavefront_size: 64
  - .args:
      - .offset:         0
        .size:           88
        .value_kind:     by_value
      - .offset:         88
        .size:           4
        .value_kind:     hidden_block_count_x
      - .offset:         92
        .size:           4
        .value_kind:     hidden_block_count_y
      - .offset:         96
        .size:           4
        .value_kind:     hidden_block_count_z
      - .offset:         100
        .size:           2
        .value_kind:     hidden_group_size_x
      - .offset:         102
        .size:           2
        .value_kind:     hidden_group_size_y
      - .offset:         104
        .size:           2
        .value_kind:     hidden_group_size_z
      - .offset:         106
        .size:           2
        .value_kind:     hidden_remainder_x
      - .offset:         108
        .size:           2
        .value_kind:     hidden_remainder_y
      - .offset:         110
        .size:           2
        .value_kind:     hidden_remainder_z
      - .offset:         128
        .size:           8
        .value_kind:     hidden_global_offset_x
      - .offset:         136
        .size:           8
        .value_kind:     hidden_global_offset_y
      - .offset:         144
        .size:           8
        .value_kind:     hidden_global_offset_z
      - .offset:         152
        .size:           2
        .value_kind:     hidden_grid_dims
    .group_segment_fixed_size: 10280
    .kernarg_segment_align: 8
    .kernarg_segment_size: 344
    .language:       OpenCL C
    .language_version:
      - 2
      - 0
    .max_flat_workgroup_size: 512
    .name:           _ZN7rocprim17ROCPRIM_400000_NS6detail17trampoline_kernelINS0_14default_configENS1_35radix_sort_onesweep_config_selectorIslEEZZNS1_29radix_sort_onesweep_iterationIS3_Lb0EPsS7_N6thrust23THRUST_200600_302600_NS10device_ptrIlEESB_jNS0_19identity_decomposerENS1_16block_id_wrapperIjLb0EEEEE10hipError_tT1_PNSt15iterator_traitsISG_E10value_typeET2_T3_PNSH_ISM_E10value_typeET4_T5_PSR_SS_PNS1_23onesweep_lookback_stateEbbT6_jjT7_P12ihipStream_tbENKUlT_T0_SG_SL_E_clIS7_S7_SB_PlEEDaSZ_S10_SG_SL_EUlSZ_E_NS1_11comp_targetILNS1_3genE2ELNS1_11target_archE906ELNS1_3gpuE6ELNS1_3repE0EEENS1_47radix_sort_onesweep_sort_config_static_selectorELNS0_4arch9wavefront6targetE1EEEvSG_
    .private_segment_fixed_size: 32
    .sgpr_count:     57
    .sgpr_spill_count: 0
    .symbol:         _ZN7rocprim17ROCPRIM_400000_NS6detail17trampoline_kernelINS0_14default_configENS1_35radix_sort_onesweep_config_selectorIslEEZZNS1_29radix_sort_onesweep_iterationIS3_Lb0EPsS7_N6thrust23THRUST_200600_302600_NS10device_ptrIlEESB_jNS0_19identity_decomposerENS1_16block_id_wrapperIjLb0EEEEE10hipError_tT1_PNSt15iterator_traitsISG_E10value_typeET2_T3_PNSH_ISM_E10value_typeET4_T5_PSR_SS_PNS1_23onesweep_lookback_stateEbbT6_jjT7_P12ihipStream_tbENKUlT_T0_SG_SL_E_clIS7_S7_SB_PlEEDaSZ_S10_SG_SL_EUlSZ_E_NS1_11comp_targetILNS1_3genE2ELNS1_11target_archE906ELNS1_3gpuE6ELNS1_3repE0EEENS1_47radix_sort_onesweep_sort_config_static_selectorELNS0_4arch9wavefront6targetE1EEEvSG_.kd
    .uniform_work_group_size: 1
    .uses_dynamic_stack: false
    .vgpr_count:     45
    .vgpr_spill_count: 0
    .wavefront_size: 64
  - .args:
      - .offset:         0
        .size:           88
        .value_kind:     by_value
    .group_segment_fixed_size: 0
    .kernarg_segment_align: 8
    .kernarg_segment_size: 88
    .language:       OpenCL C
    .language_version:
      - 2
      - 0
    .max_flat_workgroup_size: 1024
    .name:           _ZN7rocprim17ROCPRIM_400000_NS6detail17trampoline_kernelINS0_14default_configENS1_35radix_sort_onesweep_config_selectorIslEEZZNS1_29radix_sort_onesweep_iterationIS3_Lb0EPsS7_N6thrust23THRUST_200600_302600_NS10device_ptrIlEESB_jNS0_19identity_decomposerENS1_16block_id_wrapperIjLb0EEEEE10hipError_tT1_PNSt15iterator_traitsISG_E10value_typeET2_T3_PNSH_ISM_E10value_typeET4_T5_PSR_SS_PNS1_23onesweep_lookback_stateEbbT6_jjT7_P12ihipStream_tbENKUlT_T0_SG_SL_E_clIS7_S7_SB_PlEEDaSZ_S10_SG_SL_EUlSZ_E_NS1_11comp_targetILNS1_3genE4ELNS1_11target_archE910ELNS1_3gpuE8ELNS1_3repE0EEENS1_47radix_sort_onesweep_sort_config_static_selectorELNS0_4arch9wavefront6targetE1EEEvSG_
    .private_segment_fixed_size: 0
    .sgpr_count:     4
    .sgpr_spill_count: 0
    .symbol:         _ZN7rocprim17ROCPRIM_400000_NS6detail17trampoline_kernelINS0_14default_configENS1_35radix_sort_onesweep_config_selectorIslEEZZNS1_29radix_sort_onesweep_iterationIS3_Lb0EPsS7_N6thrust23THRUST_200600_302600_NS10device_ptrIlEESB_jNS0_19identity_decomposerENS1_16block_id_wrapperIjLb0EEEEE10hipError_tT1_PNSt15iterator_traitsISG_E10value_typeET2_T3_PNSH_ISM_E10value_typeET4_T5_PSR_SS_PNS1_23onesweep_lookback_stateEbbT6_jjT7_P12ihipStream_tbENKUlT_T0_SG_SL_E_clIS7_S7_SB_PlEEDaSZ_S10_SG_SL_EUlSZ_E_NS1_11comp_targetILNS1_3genE4ELNS1_11target_archE910ELNS1_3gpuE8ELNS1_3repE0EEENS1_47radix_sort_onesweep_sort_config_static_selectorELNS0_4arch9wavefront6targetE1EEEvSG_.kd
    .uniform_work_group_size: 1
    .uses_dynamic_stack: false
    .vgpr_count:     0
    .vgpr_spill_count: 0
    .wavefront_size: 64
  - .args:
      - .offset:         0
        .size:           88
        .value_kind:     by_value
    .group_segment_fixed_size: 0
    .kernarg_segment_align: 8
    .kernarg_segment_size: 88
    .language:       OpenCL C
    .language_version:
      - 2
      - 0
    .max_flat_workgroup_size: 1024
    .name:           _ZN7rocprim17ROCPRIM_400000_NS6detail17trampoline_kernelINS0_14default_configENS1_35radix_sort_onesweep_config_selectorIslEEZZNS1_29radix_sort_onesweep_iterationIS3_Lb0EPsS7_N6thrust23THRUST_200600_302600_NS10device_ptrIlEESB_jNS0_19identity_decomposerENS1_16block_id_wrapperIjLb0EEEEE10hipError_tT1_PNSt15iterator_traitsISG_E10value_typeET2_T3_PNSH_ISM_E10value_typeET4_T5_PSR_SS_PNS1_23onesweep_lookback_stateEbbT6_jjT7_P12ihipStream_tbENKUlT_T0_SG_SL_E_clIS7_S7_SB_PlEEDaSZ_S10_SG_SL_EUlSZ_E_NS1_11comp_targetILNS1_3genE3ELNS1_11target_archE908ELNS1_3gpuE7ELNS1_3repE0EEENS1_47radix_sort_onesweep_sort_config_static_selectorELNS0_4arch9wavefront6targetE1EEEvSG_
    .private_segment_fixed_size: 0
    .sgpr_count:     4
    .sgpr_spill_count: 0
    .symbol:         _ZN7rocprim17ROCPRIM_400000_NS6detail17trampoline_kernelINS0_14default_configENS1_35radix_sort_onesweep_config_selectorIslEEZZNS1_29radix_sort_onesweep_iterationIS3_Lb0EPsS7_N6thrust23THRUST_200600_302600_NS10device_ptrIlEESB_jNS0_19identity_decomposerENS1_16block_id_wrapperIjLb0EEEEE10hipError_tT1_PNSt15iterator_traitsISG_E10value_typeET2_T3_PNSH_ISM_E10value_typeET4_T5_PSR_SS_PNS1_23onesweep_lookback_stateEbbT6_jjT7_P12ihipStream_tbENKUlT_T0_SG_SL_E_clIS7_S7_SB_PlEEDaSZ_S10_SG_SL_EUlSZ_E_NS1_11comp_targetILNS1_3genE3ELNS1_11target_archE908ELNS1_3gpuE7ELNS1_3repE0EEENS1_47radix_sort_onesweep_sort_config_static_selectorELNS0_4arch9wavefront6targetE1EEEvSG_.kd
    .uniform_work_group_size: 1
    .uses_dynamic_stack: false
    .vgpr_count:     0
    .vgpr_spill_count: 0
    .wavefront_size: 64
  - .args:
      - .offset:         0
        .size:           88
        .value_kind:     by_value
    .group_segment_fixed_size: 0
    .kernarg_segment_align: 8
    .kernarg_segment_size: 88
    .language:       OpenCL C
    .language_version:
      - 2
      - 0
    .max_flat_workgroup_size: 1024
    .name:           _ZN7rocprim17ROCPRIM_400000_NS6detail17trampoline_kernelINS0_14default_configENS1_35radix_sort_onesweep_config_selectorIslEEZZNS1_29radix_sort_onesweep_iterationIS3_Lb0EPsS7_N6thrust23THRUST_200600_302600_NS10device_ptrIlEESB_jNS0_19identity_decomposerENS1_16block_id_wrapperIjLb0EEEEE10hipError_tT1_PNSt15iterator_traitsISG_E10value_typeET2_T3_PNSH_ISM_E10value_typeET4_T5_PSR_SS_PNS1_23onesweep_lookback_stateEbbT6_jjT7_P12ihipStream_tbENKUlT_T0_SG_SL_E_clIS7_S7_SB_PlEEDaSZ_S10_SG_SL_EUlSZ_E_NS1_11comp_targetILNS1_3genE10ELNS1_11target_archE1201ELNS1_3gpuE5ELNS1_3repE0EEENS1_47radix_sort_onesweep_sort_config_static_selectorELNS0_4arch9wavefront6targetE1EEEvSG_
    .private_segment_fixed_size: 0
    .sgpr_count:     4
    .sgpr_spill_count: 0
    .symbol:         _ZN7rocprim17ROCPRIM_400000_NS6detail17trampoline_kernelINS0_14default_configENS1_35radix_sort_onesweep_config_selectorIslEEZZNS1_29radix_sort_onesweep_iterationIS3_Lb0EPsS7_N6thrust23THRUST_200600_302600_NS10device_ptrIlEESB_jNS0_19identity_decomposerENS1_16block_id_wrapperIjLb0EEEEE10hipError_tT1_PNSt15iterator_traitsISG_E10value_typeET2_T3_PNSH_ISM_E10value_typeET4_T5_PSR_SS_PNS1_23onesweep_lookback_stateEbbT6_jjT7_P12ihipStream_tbENKUlT_T0_SG_SL_E_clIS7_S7_SB_PlEEDaSZ_S10_SG_SL_EUlSZ_E_NS1_11comp_targetILNS1_3genE10ELNS1_11target_archE1201ELNS1_3gpuE5ELNS1_3repE0EEENS1_47radix_sort_onesweep_sort_config_static_selectorELNS0_4arch9wavefront6targetE1EEEvSG_.kd
    .uniform_work_group_size: 1
    .uses_dynamic_stack: false
    .vgpr_count:     0
    .vgpr_spill_count: 0
    .wavefront_size: 64
  - .args:
      - .offset:         0
        .size:           88
        .value_kind:     by_value
    .group_segment_fixed_size: 0
    .kernarg_segment_align: 8
    .kernarg_segment_size: 88
    .language:       OpenCL C
    .language_version:
      - 2
      - 0
    .max_flat_workgroup_size: 1024
    .name:           _ZN7rocprim17ROCPRIM_400000_NS6detail17trampoline_kernelINS0_14default_configENS1_35radix_sort_onesweep_config_selectorIslEEZZNS1_29radix_sort_onesweep_iterationIS3_Lb0EPsS7_N6thrust23THRUST_200600_302600_NS10device_ptrIlEESB_jNS0_19identity_decomposerENS1_16block_id_wrapperIjLb0EEEEE10hipError_tT1_PNSt15iterator_traitsISG_E10value_typeET2_T3_PNSH_ISM_E10value_typeET4_T5_PSR_SS_PNS1_23onesweep_lookback_stateEbbT6_jjT7_P12ihipStream_tbENKUlT_T0_SG_SL_E_clIS7_S7_SB_PlEEDaSZ_S10_SG_SL_EUlSZ_E_NS1_11comp_targetILNS1_3genE9ELNS1_11target_archE1100ELNS1_3gpuE3ELNS1_3repE0EEENS1_47radix_sort_onesweep_sort_config_static_selectorELNS0_4arch9wavefront6targetE1EEEvSG_
    .private_segment_fixed_size: 0
    .sgpr_count:     4
    .sgpr_spill_count: 0
    .symbol:         _ZN7rocprim17ROCPRIM_400000_NS6detail17trampoline_kernelINS0_14default_configENS1_35radix_sort_onesweep_config_selectorIslEEZZNS1_29radix_sort_onesweep_iterationIS3_Lb0EPsS7_N6thrust23THRUST_200600_302600_NS10device_ptrIlEESB_jNS0_19identity_decomposerENS1_16block_id_wrapperIjLb0EEEEE10hipError_tT1_PNSt15iterator_traitsISG_E10value_typeET2_T3_PNSH_ISM_E10value_typeET4_T5_PSR_SS_PNS1_23onesweep_lookback_stateEbbT6_jjT7_P12ihipStream_tbENKUlT_T0_SG_SL_E_clIS7_S7_SB_PlEEDaSZ_S10_SG_SL_EUlSZ_E_NS1_11comp_targetILNS1_3genE9ELNS1_11target_archE1100ELNS1_3gpuE3ELNS1_3repE0EEENS1_47radix_sort_onesweep_sort_config_static_selectorELNS0_4arch9wavefront6targetE1EEEvSG_.kd
    .uniform_work_group_size: 1
    .uses_dynamic_stack: false
    .vgpr_count:     0
    .vgpr_spill_count: 0
    .wavefront_size: 64
  - .args:
      - .offset:         0
        .size:           88
        .value_kind:     by_value
    .group_segment_fixed_size: 0
    .kernarg_segment_align: 8
    .kernarg_segment_size: 88
    .language:       OpenCL C
    .language_version:
      - 2
      - 0
    .max_flat_workgroup_size: 1024
    .name:           _ZN7rocprim17ROCPRIM_400000_NS6detail17trampoline_kernelINS0_14default_configENS1_35radix_sort_onesweep_config_selectorIslEEZZNS1_29radix_sort_onesweep_iterationIS3_Lb0EPsS7_N6thrust23THRUST_200600_302600_NS10device_ptrIlEESB_jNS0_19identity_decomposerENS1_16block_id_wrapperIjLb0EEEEE10hipError_tT1_PNSt15iterator_traitsISG_E10value_typeET2_T3_PNSH_ISM_E10value_typeET4_T5_PSR_SS_PNS1_23onesweep_lookback_stateEbbT6_jjT7_P12ihipStream_tbENKUlT_T0_SG_SL_E_clIS7_S7_SB_PlEEDaSZ_S10_SG_SL_EUlSZ_E_NS1_11comp_targetILNS1_3genE8ELNS1_11target_archE1030ELNS1_3gpuE2ELNS1_3repE0EEENS1_47radix_sort_onesweep_sort_config_static_selectorELNS0_4arch9wavefront6targetE1EEEvSG_
    .private_segment_fixed_size: 0
    .sgpr_count:     4
    .sgpr_spill_count: 0
    .symbol:         _ZN7rocprim17ROCPRIM_400000_NS6detail17trampoline_kernelINS0_14default_configENS1_35radix_sort_onesweep_config_selectorIslEEZZNS1_29radix_sort_onesweep_iterationIS3_Lb0EPsS7_N6thrust23THRUST_200600_302600_NS10device_ptrIlEESB_jNS0_19identity_decomposerENS1_16block_id_wrapperIjLb0EEEEE10hipError_tT1_PNSt15iterator_traitsISG_E10value_typeET2_T3_PNSH_ISM_E10value_typeET4_T5_PSR_SS_PNS1_23onesweep_lookback_stateEbbT6_jjT7_P12ihipStream_tbENKUlT_T0_SG_SL_E_clIS7_S7_SB_PlEEDaSZ_S10_SG_SL_EUlSZ_E_NS1_11comp_targetILNS1_3genE8ELNS1_11target_archE1030ELNS1_3gpuE2ELNS1_3repE0EEENS1_47radix_sort_onesweep_sort_config_static_selectorELNS0_4arch9wavefront6targetE1EEEvSG_.kd
    .uniform_work_group_size: 1
    .uses_dynamic_stack: false
    .vgpr_count:     0
    .vgpr_spill_count: 0
    .wavefront_size: 64
  - .args:
      - .offset:         0
        .size:           88
        .value_kind:     by_value
    .group_segment_fixed_size: 0
    .kernarg_segment_align: 8
    .kernarg_segment_size: 88
    .language:       OpenCL C
    .language_version:
      - 2
      - 0
    .max_flat_workgroup_size: 1024
    .name:           _ZN7rocprim17ROCPRIM_400000_NS6detail17trampoline_kernelINS0_14default_configENS1_35radix_sort_onesweep_config_selectorIslEEZZNS1_29radix_sort_onesweep_iterationIS3_Lb0EPsS7_N6thrust23THRUST_200600_302600_NS10device_ptrIlEESB_jNS0_19identity_decomposerENS1_16block_id_wrapperIjLb0EEEEE10hipError_tT1_PNSt15iterator_traitsISG_E10value_typeET2_T3_PNSH_ISM_E10value_typeET4_T5_PSR_SS_PNS1_23onesweep_lookback_stateEbbT6_jjT7_P12ihipStream_tbENKUlT_T0_SG_SL_E_clIS7_S7_PlSB_EEDaSZ_S10_SG_SL_EUlSZ_E_NS1_11comp_targetILNS1_3genE0ELNS1_11target_archE4294967295ELNS1_3gpuE0ELNS1_3repE0EEENS1_47radix_sort_onesweep_sort_config_static_selectorELNS0_4arch9wavefront6targetE1EEEvSG_
    .private_segment_fixed_size: 0
    .sgpr_count:     4
    .sgpr_spill_count: 0
    .symbol:         _ZN7rocprim17ROCPRIM_400000_NS6detail17trampoline_kernelINS0_14default_configENS1_35radix_sort_onesweep_config_selectorIslEEZZNS1_29radix_sort_onesweep_iterationIS3_Lb0EPsS7_N6thrust23THRUST_200600_302600_NS10device_ptrIlEESB_jNS0_19identity_decomposerENS1_16block_id_wrapperIjLb0EEEEE10hipError_tT1_PNSt15iterator_traitsISG_E10value_typeET2_T3_PNSH_ISM_E10value_typeET4_T5_PSR_SS_PNS1_23onesweep_lookback_stateEbbT6_jjT7_P12ihipStream_tbENKUlT_T0_SG_SL_E_clIS7_S7_PlSB_EEDaSZ_S10_SG_SL_EUlSZ_E_NS1_11comp_targetILNS1_3genE0ELNS1_11target_archE4294967295ELNS1_3gpuE0ELNS1_3repE0EEENS1_47radix_sort_onesweep_sort_config_static_selectorELNS0_4arch9wavefront6targetE1EEEvSG_.kd
    .uniform_work_group_size: 1
    .uses_dynamic_stack: false
    .vgpr_count:     0
    .vgpr_spill_count: 0
    .wavefront_size: 64
  - .args:
      - .offset:         0
        .size:           88
        .value_kind:     by_value
    .group_segment_fixed_size: 0
    .kernarg_segment_align: 8
    .kernarg_segment_size: 88
    .language:       OpenCL C
    .language_version:
      - 2
      - 0
    .max_flat_workgroup_size: 1024
    .name:           _ZN7rocprim17ROCPRIM_400000_NS6detail17trampoline_kernelINS0_14default_configENS1_35radix_sort_onesweep_config_selectorIslEEZZNS1_29radix_sort_onesweep_iterationIS3_Lb0EPsS7_N6thrust23THRUST_200600_302600_NS10device_ptrIlEESB_jNS0_19identity_decomposerENS1_16block_id_wrapperIjLb0EEEEE10hipError_tT1_PNSt15iterator_traitsISG_E10value_typeET2_T3_PNSH_ISM_E10value_typeET4_T5_PSR_SS_PNS1_23onesweep_lookback_stateEbbT6_jjT7_P12ihipStream_tbENKUlT_T0_SG_SL_E_clIS7_S7_PlSB_EEDaSZ_S10_SG_SL_EUlSZ_E_NS1_11comp_targetILNS1_3genE6ELNS1_11target_archE950ELNS1_3gpuE13ELNS1_3repE0EEENS1_47radix_sort_onesweep_sort_config_static_selectorELNS0_4arch9wavefront6targetE1EEEvSG_
    .private_segment_fixed_size: 0
    .sgpr_count:     4
    .sgpr_spill_count: 0
    .symbol:         _ZN7rocprim17ROCPRIM_400000_NS6detail17trampoline_kernelINS0_14default_configENS1_35radix_sort_onesweep_config_selectorIslEEZZNS1_29radix_sort_onesweep_iterationIS3_Lb0EPsS7_N6thrust23THRUST_200600_302600_NS10device_ptrIlEESB_jNS0_19identity_decomposerENS1_16block_id_wrapperIjLb0EEEEE10hipError_tT1_PNSt15iterator_traitsISG_E10value_typeET2_T3_PNSH_ISM_E10value_typeET4_T5_PSR_SS_PNS1_23onesweep_lookback_stateEbbT6_jjT7_P12ihipStream_tbENKUlT_T0_SG_SL_E_clIS7_S7_PlSB_EEDaSZ_S10_SG_SL_EUlSZ_E_NS1_11comp_targetILNS1_3genE6ELNS1_11target_archE950ELNS1_3gpuE13ELNS1_3repE0EEENS1_47radix_sort_onesweep_sort_config_static_selectorELNS0_4arch9wavefront6targetE1EEEvSG_.kd
    .uniform_work_group_size: 1
    .uses_dynamic_stack: false
    .vgpr_count:     0
    .vgpr_spill_count: 0
    .wavefront_size: 64
  - .args:
      - .offset:         0
        .size:           88
        .value_kind:     by_value
    .group_segment_fixed_size: 0
    .kernarg_segment_align: 8
    .kernarg_segment_size: 88
    .language:       OpenCL C
    .language_version:
      - 2
      - 0
    .max_flat_workgroup_size: 1024
    .name:           _ZN7rocprim17ROCPRIM_400000_NS6detail17trampoline_kernelINS0_14default_configENS1_35radix_sort_onesweep_config_selectorIslEEZZNS1_29radix_sort_onesweep_iterationIS3_Lb0EPsS7_N6thrust23THRUST_200600_302600_NS10device_ptrIlEESB_jNS0_19identity_decomposerENS1_16block_id_wrapperIjLb0EEEEE10hipError_tT1_PNSt15iterator_traitsISG_E10value_typeET2_T3_PNSH_ISM_E10value_typeET4_T5_PSR_SS_PNS1_23onesweep_lookback_stateEbbT6_jjT7_P12ihipStream_tbENKUlT_T0_SG_SL_E_clIS7_S7_PlSB_EEDaSZ_S10_SG_SL_EUlSZ_E_NS1_11comp_targetILNS1_3genE5ELNS1_11target_archE942ELNS1_3gpuE9ELNS1_3repE0EEENS1_47radix_sort_onesweep_sort_config_static_selectorELNS0_4arch9wavefront6targetE1EEEvSG_
    .private_segment_fixed_size: 0
    .sgpr_count:     4
    .sgpr_spill_count: 0
    .symbol:         _ZN7rocprim17ROCPRIM_400000_NS6detail17trampoline_kernelINS0_14default_configENS1_35radix_sort_onesweep_config_selectorIslEEZZNS1_29radix_sort_onesweep_iterationIS3_Lb0EPsS7_N6thrust23THRUST_200600_302600_NS10device_ptrIlEESB_jNS0_19identity_decomposerENS1_16block_id_wrapperIjLb0EEEEE10hipError_tT1_PNSt15iterator_traitsISG_E10value_typeET2_T3_PNSH_ISM_E10value_typeET4_T5_PSR_SS_PNS1_23onesweep_lookback_stateEbbT6_jjT7_P12ihipStream_tbENKUlT_T0_SG_SL_E_clIS7_S7_PlSB_EEDaSZ_S10_SG_SL_EUlSZ_E_NS1_11comp_targetILNS1_3genE5ELNS1_11target_archE942ELNS1_3gpuE9ELNS1_3repE0EEENS1_47radix_sort_onesweep_sort_config_static_selectorELNS0_4arch9wavefront6targetE1EEEvSG_.kd
    .uniform_work_group_size: 1
    .uses_dynamic_stack: false
    .vgpr_count:     0
    .vgpr_spill_count: 0
    .wavefront_size: 64
  - .args:
      - .offset:         0
        .size:           88
        .value_kind:     by_value
      - .offset:         88
        .size:           4
        .value_kind:     hidden_block_count_x
      - .offset:         92
        .size:           4
        .value_kind:     hidden_block_count_y
      - .offset:         96
        .size:           4
        .value_kind:     hidden_block_count_z
      - .offset:         100
        .size:           2
        .value_kind:     hidden_group_size_x
      - .offset:         102
        .size:           2
        .value_kind:     hidden_group_size_y
      - .offset:         104
        .size:           2
        .value_kind:     hidden_group_size_z
      - .offset:         106
        .size:           2
        .value_kind:     hidden_remainder_x
      - .offset:         108
        .size:           2
        .value_kind:     hidden_remainder_y
      - .offset:         110
        .size:           2
        .value_kind:     hidden_remainder_z
      - .offset:         128
        .size:           8
        .value_kind:     hidden_global_offset_x
      - .offset:         136
        .size:           8
        .value_kind:     hidden_global_offset_y
      - .offset:         144
        .size:           8
        .value_kind:     hidden_global_offset_z
      - .offset:         152
        .size:           2
        .value_kind:     hidden_grid_dims
    .group_segment_fixed_size: 10280
    .kernarg_segment_align: 8
    .kernarg_segment_size: 344
    .language:       OpenCL C
    .language_version:
      - 2
      - 0
    .max_flat_workgroup_size: 512
    .name:           _ZN7rocprim17ROCPRIM_400000_NS6detail17trampoline_kernelINS0_14default_configENS1_35radix_sort_onesweep_config_selectorIslEEZZNS1_29radix_sort_onesweep_iterationIS3_Lb0EPsS7_N6thrust23THRUST_200600_302600_NS10device_ptrIlEESB_jNS0_19identity_decomposerENS1_16block_id_wrapperIjLb0EEEEE10hipError_tT1_PNSt15iterator_traitsISG_E10value_typeET2_T3_PNSH_ISM_E10value_typeET4_T5_PSR_SS_PNS1_23onesweep_lookback_stateEbbT6_jjT7_P12ihipStream_tbENKUlT_T0_SG_SL_E_clIS7_S7_PlSB_EEDaSZ_S10_SG_SL_EUlSZ_E_NS1_11comp_targetILNS1_3genE2ELNS1_11target_archE906ELNS1_3gpuE6ELNS1_3repE0EEENS1_47radix_sort_onesweep_sort_config_static_selectorELNS0_4arch9wavefront6targetE1EEEvSG_
    .private_segment_fixed_size: 32
    .sgpr_count:     57
    .sgpr_spill_count: 0
    .symbol:         _ZN7rocprim17ROCPRIM_400000_NS6detail17trampoline_kernelINS0_14default_configENS1_35radix_sort_onesweep_config_selectorIslEEZZNS1_29radix_sort_onesweep_iterationIS3_Lb0EPsS7_N6thrust23THRUST_200600_302600_NS10device_ptrIlEESB_jNS0_19identity_decomposerENS1_16block_id_wrapperIjLb0EEEEE10hipError_tT1_PNSt15iterator_traitsISG_E10value_typeET2_T3_PNSH_ISM_E10value_typeET4_T5_PSR_SS_PNS1_23onesweep_lookback_stateEbbT6_jjT7_P12ihipStream_tbENKUlT_T0_SG_SL_E_clIS7_S7_PlSB_EEDaSZ_S10_SG_SL_EUlSZ_E_NS1_11comp_targetILNS1_3genE2ELNS1_11target_archE906ELNS1_3gpuE6ELNS1_3repE0EEENS1_47radix_sort_onesweep_sort_config_static_selectorELNS0_4arch9wavefront6targetE1EEEvSG_.kd
    .uniform_work_group_size: 1
    .uses_dynamic_stack: false
    .vgpr_count:     45
    .vgpr_spill_count: 0
    .wavefront_size: 64
  - .args:
      - .offset:         0
        .size:           88
        .value_kind:     by_value
    .group_segment_fixed_size: 0
    .kernarg_segment_align: 8
    .kernarg_segment_size: 88
    .language:       OpenCL C
    .language_version:
      - 2
      - 0
    .max_flat_workgroup_size: 1024
    .name:           _ZN7rocprim17ROCPRIM_400000_NS6detail17trampoline_kernelINS0_14default_configENS1_35radix_sort_onesweep_config_selectorIslEEZZNS1_29radix_sort_onesweep_iterationIS3_Lb0EPsS7_N6thrust23THRUST_200600_302600_NS10device_ptrIlEESB_jNS0_19identity_decomposerENS1_16block_id_wrapperIjLb0EEEEE10hipError_tT1_PNSt15iterator_traitsISG_E10value_typeET2_T3_PNSH_ISM_E10value_typeET4_T5_PSR_SS_PNS1_23onesweep_lookback_stateEbbT6_jjT7_P12ihipStream_tbENKUlT_T0_SG_SL_E_clIS7_S7_PlSB_EEDaSZ_S10_SG_SL_EUlSZ_E_NS1_11comp_targetILNS1_3genE4ELNS1_11target_archE910ELNS1_3gpuE8ELNS1_3repE0EEENS1_47radix_sort_onesweep_sort_config_static_selectorELNS0_4arch9wavefront6targetE1EEEvSG_
    .private_segment_fixed_size: 0
    .sgpr_count:     4
    .sgpr_spill_count: 0
    .symbol:         _ZN7rocprim17ROCPRIM_400000_NS6detail17trampoline_kernelINS0_14default_configENS1_35radix_sort_onesweep_config_selectorIslEEZZNS1_29radix_sort_onesweep_iterationIS3_Lb0EPsS7_N6thrust23THRUST_200600_302600_NS10device_ptrIlEESB_jNS0_19identity_decomposerENS1_16block_id_wrapperIjLb0EEEEE10hipError_tT1_PNSt15iterator_traitsISG_E10value_typeET2_T3_PNSH_ISM_E10value_typeET4_T5_PSR_SS_PNS1_23onesweep_lookback_stateEbbT6_jjT7_P12ihipStream_tbENKUlT_T0_SG_SL_E_clIS7_S7_PlSB_EEDaSZ_S10_SG_SL_EUlSZ_E_NS1_11comp_targetILNS1_3genE4ELNS1_11target_archE910ELNS1_3gpuE8ELNS1_3repE0EEENS1_47radix_sort_onesweep_sort_config_static_selectorELNS0_4arch9wavefront6targetE1EEEvSG_.kd
    .uniform_work_group_size: 1
    .uses_dynamic_stack: false
    .vgpr_count:     0
    .vgpr_spill_count: 0
    .wavefront_size: 64
  - .args:
      - .offset:         0
        .size:           88
        .value_kind:     by_value
    .group_segment_fixed_size: 0
    .kernarg_segment_align: 8
    .kernarg_segment_size: 88
    .language:       OpenCL C
    .language_version:
      - 2
      - 0
    .max_flat_workgroup_size: 1024
    .name:           _ZN7rocprim17ROCPRIM_400000_NS6detail17trampoline_kernelINS0_14default_configENS1_35radix_sort_onesweep_config_selectorIslEEZZNS1_29radix_sort_onesweep_iterationIS3_Lb0EPsS7_N6thrust23THRUST_200600_302600_NS10device_ptrIlEESB_jNS0_19identity_decomposerENS1_16block_id_wrapperIjLb0EEEEE10hipError_tT1_PNSt15iterator_traitsISG_E10value_typeET2_T3_PNSH_ISM_E10value_typeET4_T5_PSR_SS_PNS1_23onesweep_lookback_stateEbbT6_jjT7_P12ihipStream_tbENKUlT_T0_SG_SL_E_clIS7_S7_PlSB_EEDaSZ_S10_SG_SL_EUlSZ_E_NS1_11comp_targetILNS1_3genE3ELNS1_11target_archE908ELNS1_3gpuE7ELNS1_3repE0EEENS1_47radix_sort_onesweep_sort_config_static_selectorELNS0_4arch9wavefront6targetE1EEEvSG_
    .private_segment_fixed_size: 0
    .sgpr_count:     4
    .sgpr_spill_count: 0
    .symbol:         _ZN7rocprim17ROCPRIM_400000_NS6detail17trampoline_kernelINS0_14default_configENS1_35radix_sort_onesweep_config_selectorIslEEZZNS1_29radix_sort_onesweep_iterationIS3_Lb0EPsS7_N6thrust23THRUST_200600_302600_NS10device_ptrIlEESB_jNS0_19identity_decomposerENS1_16block_id_wrapperIjLb0EEEEE10hipError_tT1_PNSt15iterator_traitsISG_E10value_typeET2_T3_PNSH_ISM_E10value_typeET4_T5_PSR_SS_PNS1_23onesweep_lookback_stateEbbT6_jjT7_P12ihipStream_tbENKUlT_T0_SG_SL_E_clIS7_S7_PlSB_EEDaSZ_S10_SG_SL_EUlSZ_E_NS1_11comp_targetILNS1_3genE3ELNS1_11target_archE908ELNS1_3gpuE7ELNS1_3repE0EEENS1_47radix_sort_onesweep_sort_config_static_selectorELNS0_4arch9wavefront6targetE1EEEvSG_.kd
    .uniform_work_group_size: 1
    .uses_dynamic_stack: false
    .vgpr_count:     0
    .vgpr_spill_count: 0
    .wavefront_size: 64
  - .args:
      - .offset:         0
        .size:           88
        .value_kind:     by_value
    .group_segment_fixed_size: 0
    .kernarg_segment_align: 8
    .kernarg_segment_size: 88
    .language:       OpenCL C
    .language_version:
      - 2
      - 0
    .max_flat_workgroup_size: 1024
    .name:           _ZN7rocprim17ROCPRIM_400000_NS6detail17trampoline_kernelINS0_14default_configENS1_35radix_sort_onesweep_config_selectorIslEEZZNS1_29radix_sort_onesweep_iterationIS3_Lb0EPsS7_N6thrust23THRUST_200600_302600_NS10device_ptrIlEESB_jNS0_19identity_decomposerENS1_16block_id_wrapperIjLb0EEEEE10hipError_tT1_PNSt15iterator_traitsISG_E10value_typeET2_T3_PNSH_ISM_E10value_typeET4_T5_PSR_SS_PNS1_23onesweep_lookback_stateEbbT6_jjT7_P12ihipStream_tbENKUlT_T0_SG_SL_E_clIS7_S7_PlSB_EEDaSZ_S10_SG_SL_EUlSZ_E_NS1_11comp_targetILNS1_3genE10ELNS1_11target_archE1201ELNS1_3gpuE5ELNS1_3repE0EEENS1_47radix_sort_onesweep_sort_config_static_selectorELNS0_4arch9wavefront6targetE1EEEvSG_
    .private_segment_fixed_size: 0
    .sgpr_count:     4
    .sgpr_spill_count: 0
    .symbol:         _ZN7rocprim17ROCPRIM_400000_NS6detail17trampoline_kernelINS0_14default_configENS1_35radix_sort_onesweep_config_selectorIslEEZZNS1_29radix_sort_onesweep_iterationIS3_Lb0EPsS7_N6thrust23THRUST_200600_302600_NS10device_ptrIlEESB_jNS0_19identity_decomposerENS1_16block_id_wrapperIjLb0EEEEE10hipError_tT1_PNSt15iterator_traitsISG_E10value_typeET2_T3_PNSH_ISM_E10value_typeET4_T5_PSR_SS_PNS1_23onesweep_lookback_stateEbbT6_jjT7_P12ihipStream_tbENKUlT_T0_SG_SL_E_clIS7_S7_PlSB_EEDaSZ_S10_SG_SL_EUlSZ_E_NS1_11comp_targetILNS1_3genE10ELNS1_11target_archE1201ELNS1_3gpuE5ELNS1_3repE0EEENS1_47radix_sort_onesweep_sort_config_static_selectorELNS0_4arch9wavefront6targetE1EEEvSG_.kd
    .uniform_work_group_size: 1
    .uses_dynamic_stack: false
    .vgpr_count:     0
    .vgpr_spill_count: 0
    .wavefront_size: 64
  - .args:
      - .offset:         0
        .size:           88
        .value_kind:     by_value
    .group_segment_fixed_size: 0
    .kernarg_segment_align: 8
    .kernarg_segment_size: 88
    .language:       OpenCL C
    .language_version:
      - 2
      - 0
    .max_flat_workgroup_size: 1024
    .name:           _ZN7rocprim17ROCPRIM_400000_NS6detail17trampoline_kernelINS0_14default_configENS1_35radix_sort_onesweep_config_selectorIslEEZZNS1_29radix_sort_onesweep_iterationIS3_Lb0EPsS7_N6thrust23THRUST_200600_302600_NS10device_ptrIlEESB_jNS0_19identity_decomposerENS1_16block_id_wrapperIjLb0EEEEE10hipError_tT1_PNSt15iterator_traitsISG_E10value_typeET2_T3_PNSH_ISM_E10value_typeET4_T5_PSR_SS_PNS1_23onesweep_lookback_stateEbbT6_jjT7_P12ihipStream_tbENKUlT_T0_SG_SL_E_clIS7_S7_PlSB_EEDaSZ_S10_SG_SL_EUlSZ_E_NS1_11comp_targetILNS1_3genE9ELNS1_11target_archE1100ELNS1_3gpuE3ELNS1_3repE0EEENS1_47radix_sort_onesweep_sort_config_static_selectorELNS0_4arch9wavefront6targetE1EEEvSG_
    .private_segment_fixed_size: 0
    .sgpr_count:     4
    .sgpr_spill_count: 0
    .symbol:         _ZN7rocprim17ROCPRIM_400000_NS6detail17trampoline_kernelINS0_14default_configENS1_35radix_sort_onesweep_config_selectorIslEEZZNS1_29radix_sort_onesweep_iterationIS3_Lb0EPsS7_N6thrust23THRUST_200600_302600_NS10device_ptrIlEESB_jNS0_19identity_decomposerENS1_16block_id_wrapperIjLb0EEEEE10hipError_tT1_PNSt15iterator_traitsISG_E10value_typeET2_T3_PNSH_ISM_E10value_typeET4_T5_PSR_SS_PNS1_23onesweep_lookback_stateEbbT6_jjT7_P12ihipStream_tbENKUlT_T0_SG_SL_E_clIS7_S7_PlSB_EEDaSZ_S10_SG_SL_EUlSZ_E_NS1_11comp_targetILNS1_3genE9ELNS1_11target_archE1100ELNS1_3gpuE3ELNS1_3repE0EEENS1_47radix_sort_onesweep_sort_config_static_selectorELNS0_4arch9wavefront6targetE1EEEvSG_.kd
    .uniform_work_group_size: 1
    .uses_dynamic_stack: false
    .vgpr_count:     0
    .vgpr_spill_count: 0
    .wavefront_size: 64
  - .args:
      - .offset:         0
        .size:           88
        .value_kind:     by_value
    .group_segment_fixed_size: 0
    .kernarg_segment_align: 8
    .kernarg_segment_size: 88
    .language:       OpenCL C
    .language_version:
      - 2
      - 0
    .max_flat_workgroup_size: 1024
    .name:           _ZN7rocprim17ROCPRIM_400000_NS6detail17trampoline_kernelINS0_14default_configENS1_35radix_sort_onesweep_config_selectorIslEEZZNS1_29radix_sort_onesweep_iterationIS3_Lb0EPsS7_N6thrust23THRUST_200600_302600_NS10device_ptrIlEESB_jNS0_19identity_decomposerENS1_16block_id_wrapperIjLb0EEEEE10hipError_tT1_PNSt15iterator_traitsISG_E10value_typeET2_T3_PNSH_ISM_E10value_typeET4_T5_PSR_SS_PNS1_23onesweep_lookback_stateEbbT6_jjT7_P12ihipStream_tbENKUlT_T0_SG_SL_E_clIS7_S7_PlSB_EEDaSZ_S10_SG_SL_EUlSZ_E_NS1_11comp_targetILNS1_3genE8ELNS1_11target_archE1030ELNS1_3gpuE2ELNS1_3repE0EEENS1_47radix_sort_onesweep_sort_config_static_selectorELNS0_4arch9wavefront6targetE1EEEvSG_
    .private_segment_fixed_size: 0
    .sgpr_count:     4
    .sgpr_spill_count: 0
    .symbol:         _ZN7rocprim17ROCPRIM_400000_NS6detail17trampoline_kernelINS0_14default_configENS1_35radix_sort_onesweep_config_selectorIslEEZZNS1_29radix_sort_onesweep_iterationIS3_Lb0EPsS7_N6thrust23THRUST_200600_302600_NS10device_ptrIlEESB_jNS0_19identity_decomposerENS1_16block_id_wrapperIjLb0EEEEE10hipError_tT1_PNSt15iterator_traitsISG_E10value_typeET2_T3_PNSH_ISM_E10value_typeET4_T5_PSR_SS_PNS1_23onesweep_lookback_stateEbbT6_jjT7_P12ihipStream_tbENKUlT_T0_SG_SL_E_clIS7_S7_PlSB_EEDaSZ_S10_SG_SL_EUlSZ_E_NS1_11comp_targetILNS1_3genE8ELNS1_11target_archE1030ELNS1_3gpuE2ELNS1_3repE0EEENS1_47radix_sort_onesweep_sort_config_static_selectorELNS0_4arch9wavefront6targetE1EEEvSG_.kd
    .uniform_work_group_size: 1
    .uses_dynamic_stack: false
    .vgpr_count:     0
    .vgpr_spill_count: 0
    .wavefront_size: 64
  - .args:
      - .offset:         0
        .size:           72
        .value_kind:     by_value
    .group_segment_fixed_size: 0
    .kernarg_segment_align: 8
    .kernarg_segment_size: 72
    .language:       OpenCL C
    .language_version:
      - 2
      - 0
    .max_flat_workgroup_size: 256
    .name:           _ZN7rocprim17ROCPRIM_400000_NS6detail17trampoline_kernelINS0_14default_configENS1_22reduce_config_selectorIiEEZNS1_11reduce_implILb1ES3_N6thrust23THRUST_200600_302600_NS11hip_rocprim35transform_pair_of_input_iterators_tIiPsSB_NS8_12not_equal_toIsEEEEPiiNS8_4plusIiEEEE10hipError_tPvRmT1_T2_T3_mT4_P12ihipStream_tbEUlT_E0_NS1_11comp_targetILNS1_3genE0ELNS1_11target_archE4294967295ELNS1_3gpuE0ELNS1_3repE0EEENS1_30default_config_static_selectorELNS0_4arch9wavefront6targetE1EEEvSL_
    .private_segment_fixed_size: 0
    .sgpr_count:     4
    .sgpr_spill_count: 0
    .symbol:         _ZN7rocprim17ROCPRIM_400000_NS6detail17trampoline_kernelINS0_14default_configENS1_22reduce_config_selectorIiEEZNS1_11reduce_implILb1ES3_N6thrust23THRUST_200600_302600_NS11hip_rocprim35transform_pair_of_input_iterators_tIiPsSB_NS8_12not_equal_toIsEEEEPiiNS8_4plusIiEEEE10hipError_tPvRmT1_T2_T3_mT4_P12ihipStream_tbEUlT_E0_NS1_11comp_targetILNS1_3genE0ELNS1_11target_archE4294967295ELNS1_3gpuE0ELNS1_3repE0EEENS1_30default_config_static_selectorELNS0_4arch9wavefront6targetE1EEEvSL_.kd
    .uniform_work_group_size: 1
    .uses_dynamic_stack: false
    .vgpr_count:     0
    .vgpr_spill_count: 0
    .wavefront_size: 64
  - .args:
      - .offset:         0
        .size:           72
        .value_kind:     by_value
    .group_segment_fixed_size: 0
    .kernarg_segment_align: 8
    .kernarg_segment_size: 72
    .language:       OpenCL C
    .language_version:
      - 2
      - 0
    .max_flat_workgroup_size: 256
    .name:           _ZN7rocprim17ROCPRIM_400000_NS6detail17trampoline_kernelINS0_14default_configENS1_22reduce_config_selectorIiEEZNS1_11reduce_implILb1ES3_N6thrust23THRUST_200600_302600_NS11hip_rocprim35transform_pair_of_input_iterators_tIiPsSB_NS8_12not_equal_toIsEEEEPiiNS8_4plusIiEEEE10hipError_tPvRmT1_T2_T3_mT4_P12ihipStream_tbEUlT_E0_NS1_11comp_targetILNS1_3genE5ELNS1_11target_archE942ELNS1_3gpuE9ELNS1_3repE0EEENS1_30default_config_static_selectorELNS0_4arch9wavefront6targetE1EEEvSL_
    .private_segment_fixed_size: 0
    .sgpr_count:     4
    .sgpr_spill_count: 0
    .symbol:         _ZN7rocprim17ROCPRIM_400000_NS6detail17trampoline_kernelINS0_14default_configENS1_22reduce_config_selectorIiEEZNS1_11reduce_implILb1ES3_N6thrust23THRUST_200600_302600_NS11hip_rocprim35transform_pair_of_input_iterators_tIiPsSB_NS8_12not_equal_toIsEEEEPiiNS8_4plusIiEEEE10hipError_tPvRmT1_T2_T3_mT4_P12ihipStream_tbEUlT_E0_NS1_11comp_targetILNS1_3genE5ELNS1_11target_archE942ELNS1_3gpuE9ELNS1_3repE0EEENS1_30default_config_static_selectorELNS0_4arch9wavefront6targetE1EEEvSL_.kd
    .uniform_work_group_size: 1
    .uses_dynamic_stack: false
    .vgpr_count:     0
    .vgpr_spill_count: 0
    .wavefront_size: 64
  - .args:
      - .offset:         0
        .size:           72
        .value_kind:     by_value
    .group_segment_fixed_size: 0
    .kernarg_segment_align: 8
    .kernarg_segment_size: 72
    .language:       OpenCL C
    .language_version:
      - 2
      - 0
    .max_flat_workgroup_size: 128
    .name:           _ZN7rocprim17ROCPRIM_400000_NS6detail17trampoline_kernelINS0_14default_configENS1_22reduce_config_selectorIiEEZNS1_11reduce_implILb1ES3_N6thrust23THRUST_200600_302600_NS11hip_rocprim35transform_pair_of_input_iterators_tIiPsSB_NS8_12not_equal_toIsEEEEPiiNS8_4plusIiEEEE10hipError_tPvRmT1_T2_T3_mT4_P12ihipStream_tbEUlT_E0_NS1_11comp_targetILNS1_3genE4ELNS1_11target_archE910ELNS1_3gpuE8ELNS1_3repE0EEENS1_30default_config_static_selectorELNS0_4arch9wavefront6targetE1EEEvSL_
    .private_segment_fixed_size: 0
    .sgpr_count:     4
    .sgpr_spill_count: 0
    .symbol:         _ZN7rocprim17ROCPRIM_400000_NS6detail17trampoline_kernelINS0_14default_configENS1_22reduce_config_selectorIiEEZNS1_11reduce_implILb1ES3_N6thrust23THRUST_200600_302600_NS11hip_rocprim35transform_pair_of_input_iterators_tIiPsSB_NS8_12not_equal_toIsEEEEPiiNS8_4plusIiEEEE10hipError_tPvRmT1_T2_T3_mT4_P12ihipStream_tbEUlT_E0_NS1_11comp_targetILNS1_3genE4ELNS1_11target_archE910ELNS1_3gpuE8ELNS1_3repE0EEENS1_30default_config_static_selectorELNS0_4arch9wavefront6targetE1EEEvSL_.kd
    .uniform_work_group_size: 1
    .uses_dynamic_stack: false
    .vgpr_count:     0
    .vgpr_spill_count: 0
    .wavefront_size: 64
  - .args:
      - .offset:         0
        .size:           72
        .value_kind:     by_value
    .group_segment_fixed_size: 0
    .kernarg_segment_align: 8
    .kernarg_segment_size: 72
    .language:       OpenCL C
    .language_version:
      - 2
      - 0
    .max_flat_workgroup_size: 256
    .name:           _ZN7rocprim17ROCPRIM_400000_NS6detail17trampoline_kernelINS0_14default_configENS1_22reduce_config_selectorIiEEZNS1_11reduce_implILb1ES3_N6thrust23THRUST_200600_302600_NS11hip_rocprim35transform_pair_of_input_iterators_tIiPsSB_NS8_12not_equal_toIsEEEEPiiNS8_4plusIiEEEE10hipError_tPvRmT1_T2_T3_mT4_P12ihipStream_tbEUlT_E0_NS1_11comp_targetILNS1_3genE3ELNS1_11target_archE908ELNS1_3gpuE7ELNS1_3repE0EEENS1_30default_config_static_selectorELNS0_4arch9wavefront6targetE1EEEvSL_
    .private_segment_fixed_size: 0
    .sgpr_count:     4
    .sgpr_spill_count: 0
    .symbol:         _ZN7rocprim17ROCPRIM_400000_NS6detail17trampoline_kernelINS0_14default_configENS1_22reduce_config_selectorIiEEZNS1_11reduce_implILb1ES3_N6thrust23THRUST_200600_302600_NS11hip_rocprim35transform_pair_of_input_iterators_tIiPsSB_NS8_12not_equal_toIsEEEEPiiNS8_4plusIiEEEE10hipError_tPvRmT1_T2_T3_mT4_P12ihipStream_tbEUlT_E0_NS1_11comp_targetILNS1_3genE3ELNS1_11target_archE908ELNS1_3gpuE7ELNS1_3repE0EEENS1_30default_config_static_selectorELNS0_4arch9wavefront6targetE1EEEvSL_.kd
    .uniform_work_group_size: 1
    .uses_dynamic_stack: false
    .vgpr_count:     0
    .vgpr_spill_count: 0
    .wavefront_size: 64
  - .args:
      - .offset:         0
        .size:           72
        .value_kind:     by_value
    .group_segment_fixed_size: 32
    .kernarg_segment_align: 8
    .kernarg_segment_size: 72
    .language:       OpenCL C
    .language_version:
      - 2
      - 0
    .max_flat_workgroup_size: 256
    .name:           _ZN7rocprim17ROCPRIM_400000_NS6detail17trampoline_kernelINS0_14default_configENS1_22reduce_config_selectorIiEEZNS1_11reduce_implILb1ES3_N6thrust23THRUST_200600_302600_NS11hip_rocprim35transform_pair_of_input_iterators_tIiPsSB_NS8_12not_equal_toIsEEEEPiiNS8_4plusIiEEEE10hipError_tPvRmT1_T2_T3_mT4_P12ihipStream_tbEUlT_E0_NS1_11comp_targetILNS1_3genE2ELNS1_11target_archE906ELNS1_3gpuE6ELNS1_3repE0EEENS1_30default_config_static_selectorELNS0_4arch9wavefront6targetE1EEEvSL_
    .private_segment_fixed_size: 0
    .sgpr_count:     28
    .sgpr_spill_count: 0
    .symbol:         _ZN7rocprim17ROCPRIM_400000_NS6detail17trampoline_kernelINS0_14default_configENS1_22reduce_config_selectorIiEEZNS1_11reduce_implILb1ES3_N6thrust23THRUST_200600_302600_NS11hip_rocprim35transform_pair_of_input_iterators_tIiPsSB_NS8_12not_equal_toIsEEEEPiiNS8_4plusIiEEEE10hipError_tPvRmT1_T2_T3_mT4_P12ihipStream_tbEUlT_E0_NS1_11comp_targetILNS1_3genE2ELNS1_11target_archE906ELNS1_3gpuE6ELNS1_3repE0EEENS1_30default_config_static_selectorELNS0_4arch9wavefront6targetE1EEEvSL_.kd
    .uniform_work_group_size: 1
    .uses_dynamic_stack: false
    .vgpr_count:     13
    .vgpr_spill_count: 0
    .wavefront_size: 64
  - .args:
      - .offset:         0
        .size:           72
        .value_kind:     by_value
    .group_segment_fixed_size: 0
    .kernarg_segment_align: 8
    .kernarg_segment_size: 72
    .language:       OpenCL C
    .language_version:
      - 2
      - 0
    .max_flat_workgroup_size: 256
    .name:           _ZN7rocprim17ROCPRIM_400000_NS6detail17trampoline_kernelINS0_14default_configENS1_22reduce_config_selectorIiEEZNS1_11reduce_implILb1ES3_N6thrust23THRUST_200600_302600_NS11hip_rocprim35transform_pair_of_input_iterators_tIiPsSB_NS8_12not_equal_toIsEEEEPiiNS8_4plusIiEEEE10hipError_tPvRmT1_T2_T3_mT4_P12ihipStream_tbEUlT_E0_NS1_11comp_targetILNS1_3genE10ELNS1_11target_archE1201ELNS1_3gpuE5ELNS1_3repE0EEENS1_30default_config_static_selectorELNS0_4arch9wavefront6targetE1EEEvSL_
    .private_segment_fixed_size: 0
    .sgpr_count:     4
    .sgpr_spill_count: 0
    .symbol:         _ZN7rocprim17ROCPRIM_400000_NS6detail17trampoline_kernelINS0_14default_configENS1_22reduce_config_selectorIiEEZNS1_11reduce_implILb1ES3_N6thrust23THRUST_200600_302600_NS11hip_rocprim35transform_pair_of_input_iterators_tIiPsSB_NS8_12not_equal_toIsEEEEPiiNS8_4plusIiEEEE10hipError_tPvRmT1_T2_T3_mT4_P12ihipStream_tbEUlT_E0_NS1_11comp_targetILNS1_3genE10ELNS1_11target_archE1201ELNS1_3gpuE5ELNS1_3repE0EEENS1_30default_config_static_selectorELNS0_4arch9wavefront6targetE1EEEvSL_.kd
    .uniform_work_group_size: 1
    .uses_dynamic_stack: false
    .vgpr_count:     0
    .vgpr_spill_count: 0
    .wavefront_size: 64
  - .args:
      - .offset:         0
        .size:           72
        .value_kind:     by_value
    .group_segment_fixed_size: 0
    .kernarg_segment_align: 8
    .kernarg_segment_size: 72
    .language:       OpenCL C
    .language_version:
      - 2
      - 0
    .max_flat_workgroup_size: 256
    .name:           _ZN7rocprim17ROCPRIM_400000_NS6detail17trampoline_kernelINS0_14default_configENS1_22reduce_config_selectorIiEEZNS1_11reduce_implILb1ES3_N6thrust23THRUST_200600_302600_NS11hip_rocprim35transform_pair_of_input_iterators_tIiPsSB_NS8_12not_equal_toIsEEEEPiiNS8_4plusIiEEEE10hipError_tPvRmT1_T2_T3_mT4_P12ihipStream_tbEUlT_E0_NS1_11comp_targetILNS1_3genE10ELNS1_11target_archE1200ELNS1_3gpuE4ELNS1_3repE0EEENS1_30default_config_static_selectorELNS0_4arch9wavefront6targetE1EEEvSL_
    .private_segment_fixed_size: 0
    .sgpr_count:     4
    .sgpr_spill_count: 0
    .symbol:         _ZN7rocprim17ROCPRIM_400000_NS6detail17trampoline_kernelINS0_14default_configENS1_22reduce_config_selectorIiEEZNS1_11reduce_implILb1ES3_N6thrust23THRUST_200600_302600_NS11hip_rocprim35transform_pair_of_input_iterators_tIiPsSB_NS8_12not_equal_toIsEEEEPiiNS8_4plusIiEEEE10hipError_tPvRmT1_T2_T3_mT4_P12ihipStream_tbEUlT_E0_NS1_11comp_targetILNS1_3genE10ELNS1_11target_archE1200ELNS1_3gpuE4ELNS1_3repE0EEENS1_30default_config_static_selectorELNS0_4arch9wavefront6targetE1EEEvSL_.kd
    .uniform_work_group_size: 1
    .uses_dynamic_stack: false
    .vgpr_count:     0
    .vgpr_spill_count: 0
    .wavefront_size: 64
  - .args:
      - .offset:         0
        .size:           72
        .value_kind:     by_value
    .group_segment_fixed_size: 0
    .kernarg_segment_align: 8
    .kernarg_segment_size: 72
    .language:       OpenCL C
    .language_version:
      - 2
      - 0
    .max_flat_workgroup_size: 256
    .name:           _ZN7rocprim17ROCPRIM_400000_NS6detail17trampoline_kernelINS0_14default_configENS1_22reduce_config_selectorIiEEZNS1_11reduce_implILb1ES3_N6thrust23THRUST_200600_302600_NS11hip_rocprim35transform_pair_of_input_iterators_tIiPsSB_NS8_12not_equal_toIsEEEEPiiNS8_4plusIiEEEE10hipError_tPvRmT1_T2_T3_mT4_P12ihipStream_tbEUlT_E0_NS1_11comp_targetILNS1_3genE9ELNS1_11target_archE1100ELNS1_3gpuE3ELNS1_3repE0EEENS1_30default_config_static_selectorELNS0_4arch9wavefront6targetE1EEEvSL_
    .private_segment_fixed_size: 0
    .sgpr_count:     4
    .sgpr_spill_count: 0
    .symbol:         _ZN7rocprim17ROCPRIM_400000_NS6detail17trampoline_kernelINS0_14default_configENS1_22reduce_config_selectorIiEEZNS1_11reduce_implILb1ES3_N6thrust23THRUST_200600_302600_NS11hip_rocprim35transform_pair_of_input_iterators_tIiPsSB_NS8_12not_equal_toIsEEEEPiiNS8_4plusIiEEEE10hipError_tPvRmT1_T2_T3_mT4_P12ihipStream_tbEUlT_E0_NS1_11comp_targetILNS1_3genE9ELNS1_11target_archE1100ELNS1_3gpuE3ELNS1_3repE0EEENS1_30default_config_static_selectorELNS0_4arch9wavefront6targetE1EEEvSL_.kd
    .uniform_work_group_size: 1
    .uses_dynamic_stack: false
    .vgpr_count:     0
    .vgpr_spill_count: 0
    .wavefront_size: 64
  - .args:
      - .offset:         0
        .size:           72
        .value_kind:     by_value
    .group_segment_fixed_size: 0
    .kernarg_segment_align: 8
    .kernarg_segment_size: 72
    .language:       OpenCL C
    .language_version:
      - 2
      - 0
    .max_flat_workgroup_size: 256
    .name:           _ZN7rocprim17ROCPRIM_400000_NS6detail17trampoline_kernelINS0_14default_configENS1_22reduce_config_selectorIiEEZNS1_11reduce_implILb1ES3_N6thrust23THRUST_200600_302600_NS11hip_rocprim35transform_pair_of_input_iterators_tIiPsSB_NS8_12not_equal_toIsEEEEPiiNS8_4plusIiEEEE10hipError_tPvRmT1_T2_T3_mT4_P12ihipStream_tbEUlT_E0_NS1_11comp_targetILNS1_3genE8ELNS1_11target_archE1030ELNS1_3gpuE2ELNS1_3repE0EEENS1_30default_config_static_selectorELNS0_4arch9wavefront6targetE1EEEvSL_
    .private_segment_fixed_size: 0
    .sgpr_count:     4
    .sgpr_spill_count: 0
    .symbol:         _ZN7rocprim17ROCPRIM_400000_NS6detail17trampoline_kernelINS0_14default_configENS1_22reduce_config_selectorIiEEZNS1_11reduce_implILb1ES3_N6thrust23THRUST_200600_302600_NS11hip_rocprim35transform_pair_of_input_iterators_tIiPsSB_NS8_12not_equal_toIsEEEEPiiNS8_4plusIiEEEE10hipError_tPvRmT1_T2_T3_mT4_P12ihipStream_tbEUlT_E0_NS1_11comp_targetILNS1_3genE8ELNS1_11target_archE1030ELNS1_3gpuE2ELNS1_3repE0EEENS1_30default_config_static_selectorELNS0_4arch9wavefront6targetE1EEEvSL_.kd
    .uniform_work_group_size: 1
    .uses_dynamic_stack: false
    .vgpr_count:     0
    .vgpr_spill_count: 0
    .wavefront_size: 64
  - .args:
      - .offset:         0
        .size:           56
        .value_kind:     by_value
    .group_segment_fixed_size: 0
    .kernarg_segment_align: 8
    .kernarg_segment_size: 56
    .language:       OpenCL C
    .language_version:
      - 2
      - 0
    .max_flat_workgroup_size: 256
    .name:           _ZN7rocprim17ROCPRIM_400000_NS6detail17trampoline_kernelINS0_14default_configENS1_22reduce_config_selectorIiEEZNS1_11reduce_implILb1ES3_N6thrust23THRUST_200600_302600_NS11hip_rocprim35transform_pair_of_input_iterators_tIiPsSB_NS8_12not_equal_toIsEEEEPiiNS8_4plusIiEEEE10hipError_tPvRmT1_T2_T3_mT4_P12ihipStream_tbEUlT_E1_NS1_11comp_targetILNS1_3genE0ELNS1_11target_archE4294967295ELNS1_3gpuE0ELNS1_3repE0EEENS1_30default_config_static_selectorELNS0_4arch9wavefront6targetE1EEEvSL_
    .private_segment_fixed_size: 0
    .sgpr_count:     4
    .sgpr_spill_count: 0
    .symbol:         _ZN7rocprim17ROCPRIM_400000_NS6detail17trampoline_kernelINS0_14default_configENS1_22reduce_config_selectorIiEEZNS1_11reduce_implILb1ES3_N6thrust23THRUST_200600_302600_NS11hip_rocprim35transform_pair_of_input_iterators_tIiPsSB_NS8_12not_equal_toIsEEEEPiiNS8_4plusIiEEEE10hipError_tPvRmT1_T2_T3_mT4_P12ihipStream_tbEUlT_E1_NS1_11comp_targetILNS1_3genE0ELNS1_11target_archE4294967295ELNS1_3gpuE0ELNS1_3repE0EEENS1_30default_config_static_selectorELNS0_4arch9wavefront6targetE1EEEvSL_.kd
    .uniform_work_group_size: 1
    .uses_dynamic_stack: false
    .vgpr_count:     0
    .vgpr_spill_count: 0
    .wavefront_size: 64
  - .args:
      - .offset:         0
        .size:           56
        .value_kind:     by_value
    .group_segment_fixed_size: 0
    .kernarg_segment_align: 8
    .kernarg_segment_size: 56
    .language:       OpenCL C
    .language_version:
      - 2
      - 0
    .max_flat_workgroup_size: 256
    .name:           _ZN7rocprim17ROCPRIM_400000_NS6detail17trampoline_kernelINS0_14default_configENS1_22reduce_config_selectorIiEEZNS1_11reduce_implILb1ES3_N6thrust23THRUST_200600_302600_NS11hip_rocprim35transform_pair_of_input_iterators_tIiPsSB_NS8_12not_equal_toIsEEEEPiiNS8_4plusIiEEEE10hipError_tPvRmT1_T2_T3_mT4_P12ihipStream_tbEUlT_E1_NS1_11comp_targetILNS1_3genE5ELNS1_11target_archE942ELNS1_3gpuE9ELNS1_3repE0EEENS1_30default_config_static_selectorELNS0_4arch9wavefront6targetE1EEEvSL_
    .private_segment_fixed_size: 0
    .sgpr_count:     4
    .sgpr_spill_count: 0
    .symbol:         _ZN7rocprim17ROCPRIM_400000_NS6detail17trampoline_kernelINS0_14default_configENS1_22reduce_config_selectorIiEEZNS1_11reduce_implILb1ES3_N6thrust23THRUST_200600_302600_NS11hip_rocprim35transform_pair_of_input_iterators_tIiPsSB_NS8_12not_equal_toIsEEEEPiiNS8_4plusIiEEEE10hipError_tPvRmT1_T2_T3_mT4_P12ihipStream_tbEUlT_E1_NS1_11comp_targetILNS1_3genE5ELNS1_11target_archE942ELNS1_3gpuE9ELNS1_3repE0EEENS1_30default_config_static_selectorELNS0_4arch9wavefront6targetE1EEEvSL_.kd
    .uniform_work_group_size: 1
    .uses_dynamic_stack: false
    .vgpr_count:     0
    .vgpr_spill_count: 0
    .wavefront_size: 64
  - .args:
      - .offset:         0
        .size:           56
        .value_kind:     by_value
    .group_segment_fixed_size: 0
    .kernarg_segment_align: 8
    .kernarg_segment_size: 56
    .language:       OpenCL C
    .language_version:
      - 2
      - 0
    .max_flat_workgroup_size: 128
    .name:           _ZN7rocprim17ROCPRIM_400000_NS6detail17trampoline_kernelINS0_14default_configENS1_22reduce_config_selectorIiEEZNS1_11reduce_implILb1ES3_N6thrust23THRUST_200600_302600_NS11hip_rocprim35transform_pair_of_input_iterators_tIiPsSB_NS8_12not_equal_toIsEEEEPiiNS8_4plusIiEEEE10hipError_tPvRmT1_T2_T3_mT4_P12ihipStream_tbEUlT_E1_NS1_11comp_targetILNS1_3genE4ELNS1_11target_archE910ELNS1_3gpuE8ELNS1_3repE0EEENS1_30default_config_static_selectorELNS0_4arch9wavefront6targetE1EEEvSL_
    .private_segment_fixed_size: 0
    .sgpr_count:     4
    .sgpr_spill_count: 0
    .symbol:         _ZN7rocprim17ROCPRIM_400000_NS6detail17trampoline_kernelINS0_14default_configENS1_22reduce_config_selectorIiEEZNS1_11reduce_implILb1ES3_N6thrust23THRUST_200600_302600_NS11hip_rocprim35transform_pair_of_input_iterators_tIiPsSB_NS8_12not_equal_toIsEEEEPiiNS8_4plusIiEEEE10hipError_tPvRmT1_T2_T3_mT4_P12ihipStream_tbEUlT_E1_NS1_11comp_targetILNS1_3genE4ELNS1_11target_archE910ELNS1_3gpuE8ELNS1_3repE0EEENS1_30default_config_static_selectorELNS0_4arch9wavefront6targetE1EEEvSL_.kd
    .uniform_work_group_size: 1
    .uses_dynamic_stack: false
    .vgpr_count:     0
    .vgpr_spill_count: 0
    .wavefront_size: 64
  - .args:
      - .offset:         0
        .size:           56
        .value_kind:     by_value
    .group_segment_fixed_size: 0
    .kernarg_segment_align: 8
    .kernarg_segment_size: 56
    .language:       OpenCL C
    .language_version:
      - 2
      - 0
    .max_flat_workgroup_size: 256
    .name:           _ZN7rocprim17ROCPRIM_400000_NS6detail17trampoline_kernelINS0_14default_configENS1_22reduce_config_selectorIiEEZNS1_11reduce_implILb1ES3_N6thrust23THRUST_200600_302600_NS11hip_rocprim35transform_pair_of_input_iterators_tIiPsSB_NS8_12not_equal_toIsEEEEPiiNS8_4plusIiEEEE10hipError_tPvRmT1_T2_T3_mT4_P12ihipStream_tbEUlT_E1_NS1_11comp_targetILNS1_3genE3ELNS1_11target_archE908ELNS1_3gpuE7ELNS1_3repE0EEENS1_30default_config_static_selectorELNS0_4arch9wavefront6targetE1EEEvSL_
    .private_segment_fixed_size: 0
    .sgpr_count:     4
    .sgpr_spill_count: 0
    .symbol:         _ZN7rocprim17ROCPRIM_400000_NS6detail17trampoline_kernelINS0_14default_configENS1_22reduce_config_selectorIiEEZNS1_11reduce_implILb1ES3_N6thrust23THRUST_200600_302600_NS11hip_rocprim35transform_pair_of_input_iterators_tIiPsSB_NS8_12not_equal_toIsEEEEPiiNS8_4plusIiEEEE10hipError_tPvRmT1_T2_T3_mT4_P12ihipStream_tbEUlT_E1_NS1_11comp_targetILNS1_3genE3ELNS1_11target_archE908ELNS1_3gpuE7ELNS1_3repE0EEENS1_30default_config_static_selectorELNS0_4arch9wavefront6targetE1EEEvSL_.kd
    .uniform_work_group_size: 1
    .uses_dynamic_stack: false
    .vgpr_count:     0
    .vgpr_spill_count: 0
    .wavefront_size: 64
  - .args:
      - .offset:         0
        .size:           56
        .value_kind:     by_value
    .group_segment_fixed_size: 112
    .kernarg_segment_align: 8
    .kernarg_segment_size: 56
    .language:       OpenCL C
    .language_version:
      - 2
      - 0
    .max_flat_workgroup_size: 256
    .name:           _ZN7rocprim17ROCPRIM_400000_NS6detail17trampoline_kernelINS0_14default_configENS1_22reduce_config_selectorIiEEZNS1_11reduce_implILb1ES3_N6thrust23THRUST_200600_302600_NS11hip_rocprim35transform_pair_of_input_iterators_tIiPsSB_NS8_12not_equal_toIsEEEEPiiNS8_4plusIiEEEE10hipError_tPvRmT1_T2_T3_mT4_P12ihipStream_tbEUlT_E1_NS1_11comp_targetILNS1_3genE2ELNS1_11target_archE906ELNS1_3gpuE6ELNS1_3repE0EEENS1_30default_config_static_selectorELNS0_4arch9wavefront6targetE1EEEvSL_
    .private_segment_fixed_size: 0
    .sgpr_count:     56
    .sgpr_spill_count: 0
    .symbol:         _ZN7rocprim17ROCPRIM_400000_NS6detail17trampoline_kernelINS0_14default_configENS1_22reduce_config_selectorIiEEZNS1_11reduce_implILb1ES3_N6thrust23THRUST_200600_302600_NS11hip_rocprim35transform_pair_of_input_iterators_tIiPsSB_NS8_12not_equal_toIsEEEEPiiNS8_4plusIiEEEE10hipError_tPvRmT1_T2_T3_mT4_P12ihipStream_tbEUlT_E1_NS1_11comp_targetILNS1_3genE2ELNS1_11target_archE906ELNS1_3gpuE6ELNS1_3repE0EEENS1_30default_config_static_selectorELNS0_4arch9wavefront6targetE1EEEvSL_.kd
    .uniform_work_group_size: 1
    .uses_dynamic_stack: false
    .vgpr_count:     35
    .vgpr_spill_count: 0
    .wavefront_size: 64
  - .args:
      - .offset:         0
        .size:           56
        .value_kind:     by_value
    .group_segment_fixed_size: 0
    .kernarg_segment_align: 8
    .kernarg_segment_size: 56
    .language:       OpenCL C
    .language_version:
      - 2
      - 0
    .max_flat_workgroup_size: 256
    .name:           _ZN7rocprim17ROCPRIM_400000_NS6detail17trampoline_kernelINS0_14default_configENS1_22reduce_config_selectorIiEEZNS1_11reduce_implILb1ES3_N6thrust23THRUST_200600_302600_NS11hip_rocprim35transform_pair_of_input_iterators_tIiPsSB_NS8_12not_equal_toIsEEEEPiiNS8_4plusIiEEEE10hipError_tPvRmT1_T2_T3_mT4_P12ihipStream_tbEUlT_E1_NS1_11comp_targetILNS1_3genE10ELNS1_11target_archE1201ELNS1_3gpuE5ELNS1_3repE0EEENS1_30default_config_static_selectorELNS0_4arch9wavefront6targetE1EEEvSL_
    .private_segment_fixed_size: 0
    .sgpr_count:     4
    .sgpr_spill_count: 0
    .symbol:         _ZN7rocprim17ROCPRIM_400000_NS6detail17trampoline_kernelINS0_14default_configENS1_22reduce_config_selectorIiEEZNS1_11reduce_implILb1ES3_N6thrust23THRUST_200600_302600_NS11hip_rocprim35transform_pair_of_input_iterators_tIiPsSB_NS8_12not_equal_toIsEEEEPiiNS8_4plusIiEEEE10hipError_tPvRmT1_T2_T3_mT4_P12ihipStream_tbEUlT_E1_NS1_11comp_targetILNS1_3genE10ELNS1_11target_archE1201ELNS1_3gpuE5ELNS1_3repE0EEENS1_30default_config_static_selectorELNS0_4arch9wavefront6targetE1EEEvSL_.kd
    .uniform_work_group_size: 1
    .uses_dynamic_stack: false
    .vgpr_count:     0
    .vgpr_spill_count: 0
    .wavefront_size: 64
  - .args:
      - .offset:         0
        .size:           56
        .value_kind:     by_value
    .group_segment_fixed_size: 0
    .kernarg_segment_align: 8
    .kernarg_segment_size: 56
    .language:       OpenCL C
    .language_version:
      - 2
      - 0
    .max_flat_workgroup_size: 256
    .name:           _ZN7rocprim17ROCPRIM_400000_NS6detail17trampoline_kernelINS0_14default_configENS1_22reduce_config_selectorIiEEZNS1_11reduce_implILb1ES3_N6thrust23THRUST_200600_302600_NS11hip_rocprim35transform_pair_of_input_iterators_tIiPsSB_NS8_12not_equal_toIsEEEEPiiNS8_4plusIiEEEE10hipError_tPvRmT1_T2_T3_mT4_P12ihipStream_tbEUlT_E1_NS1_11comp_targetILNS1_3genE10ELNS1_11target_archE1200ELNS1_3gpuE4ELNS1_3repE0EEENS1_30default_config_static_selectorELNS0_4arch9wavefront6targetE1EEEvSL_
    .private_segment_fixed_size: 0
    .sgpr_count:     4
    .sgpr_spill_count: 0
    .symbol:         _ZN7rocprim17ROCPRIM_400000_NS6detail17trampoline_kernelINS0_14default_configENS1_22reduce_config_selectorIiEEZNS1_11reduce_implILb1ES3_N6thrust23THRUST_200600_302600_NS11hip_rocprim35transform_pair_of_input_iterators_tIiPsSB_NS8_12not_equal_toIsEEEEPiiNS8_4plusIiEEEE10hipError_tPvRmT1_T2_T3_mT4_P12ihipStream_tbEUlT_E1_NS1_11comp_targetILNS1_3genE10ELNS1_11target_archE1200ELNS1_3gpuE4ELNS1_3repE0EEENS1_30default_config_static_selectorELNS0_4arch9wavefront6targetE1EEEvSL_.kd
    .uniform_work_group_size: 1
    .uses_dynamic_stack: false
    .vgpr_count:     0
    .vgpr_spill_count: 0
    .wavefront_size: 64
  - .args:
      - .offset:         0
        .size:           56
        .value_kind:     by_value
    .group_segment_fixed_size: 0
    .kernarg_segment_align: 8
    .kernarg_segment_size: 56
    .language:       OpenCL C
    .language_version:
      - 2
      - 0
    .max_flat_workgroup_size: 256
    .name:           _ZN7rocprim17ROCPRIM_400000_NS6detail17trampoline_kernelINS0_14default_configENS1_22reduce_config_selectorIiEEZNS1_11reduce_implILb1ES3_N6thrust23THRUST_200600_302600_NS11hip_rocprim35transform_pair_of_input_iterators_tIiPsSB_NS8_12not_equal_toIsEEEEPiiNS8_4plusIiEEEE10hipError_tPvRmT1_T2_T3_mT4_P12ihipStream_tbEUlT_E1_NS1_11comp_targetILNS1_3genE9ELNS1_11target_archE1100ELNS1_3gpuE3ELNS1_3repE0EEENS1_30default_config_static_selectorELNS0_4arch9wavefront6targetE1EEEvSL_
    .private_segment_fixed_size: 0
    .sgpr_count:     4
    .sgpr_spill_count: 0
    .symbol:         _ZN7rocprim17ROCPRIM_400000_NS6detail17trampoline_kernelINS0_14default_configENS1_22reduce_config_selectorIiEEZNS1_11reduce_implILb1ES3_N6thrust23THRUST_200600_302600_NS11hip_rocprim35transform_pair_of_input_iterators_tIiPsSB_NS8_12not_equal_toIsEEEEPiiNS8_4plusIiEEEE10hipError_tPvRmT1_T2_T3_mT4_P12ihipStream_tbEUlT_E1_NS1_11comp_targetILNS1_3genE9ELNS1_11target_archE1100ELNS1_3gpuE3ELNS1_3repE0EEENS1_30default_config_static_selectorELNS0_4arch9wavefront6targetE1EEEvSL_.kd
    .uniform_work_group_size: 1
    .uses_dynamic_stack: false
    .vgpr_count:     0
    .vgpr_spill_count: 0
    .wavefront_size: 64
  - .args:
      - .offset:         0
        .size:           56
        .value_kind:     by_value
    .group_segment_fixed_size: 0
    .kernarg_segment_align: 8
    .kernarg_segment_size: 56
    .language:       OpenCL C
    .language_version:
      - 2
      - 0
    .max_flat_workgroup_size: 256
    .name:           _ZN7rocprim17ROCPRIM_400000_NS6detail17trampoline_kernelINS0_14default_configENS1_22reduce_config_selectorIiEEZNS1_11reduce_implILb1ES3_N6thrust23THRUST_200600_302600_NS11hip_rocprim35transform_pair_of_input_iterators_tIiPsSB_NS8_12not_equal_toIsEEEEPiiNS8_4plusIiEEEE10hipError_tPvRmT1_T2_T3_mT4_P12ihipStream_tbEUlT_E1_NS1_11comp_targetILNS1_3genE8ELNS1_11target_archE1030ELNS1_3gpuE2ELNS1_3repE0EEENS1_30default_config_static_selectorELNS0_4arch9wavefront6targetE1EEEvSL_
    .private_segment_fixed_size: 0
    .sgpr_count:     4
    .sgpr_spill_count: 0
    .symbol:         _ZN7rocprim17ROCPRIM_400000_NS6detail17trampoline_kernelINS0_14default_configENS1_22reduce_config_selectorIiEEZNS1_11reduce_implILb1ES3_N6thrust23THRUST_200600_302600_NS11hip_rocprim35transform_pair_of_input_iterators_tIiPsSB_NS8_12not_equal_toIsEEEEPiiNS8_4plusIiEEEE10hipError_tPvRmT1_T2_T3_mT4_P12ihipStream_tbEUlT_E1_NS1_11comp_targetILNS1_3genE8ELNS1_11target_archE1030ELNS1_3gpuE2ELNS1_3repE0EEENS1_30default_config_static_selectorELNS0_4arch9wavefront6targetE1EEEvSL_.kd
    .uniform_work_group_size: 1
    .uses_dynamic_stack: false
    .vgpr_count:     0
    .vgpr_spill_count: 0
    .wavefront_size: 64
  - .args:
      - .offset:         0
        .size:           144
        .value_kind:     by_value
    .group_segment_fixed_size: 0
    .kernarg_segment_align: 8
    .kernarg_segment_size: 144
    .language:       OpenCL C
    .language_version:
      - 2
      - 0
    .max_flat_workgroup_size: 256
    .name:           _ZN7rocprim17ROCPRIM_400000_NS6detail17trampoline_kernelINS0_14default_configENS1_29reduce_by_key_config_selectorIslN6thrust23THRUST_200600_302600_NS4plusIlEEEEZZNS1_33reduce_by_key_impl_wrapped_configILNS1_25lookback_scan_determinismE0ES3_S9_PsNS6_17constant_iteratorIiNS6_11use_defaultESE_EENS6_10device_ptrIsEENSG_IlEEPmS8_NS6_8equal_toIsEEEE10hipError_tPvRmT2_T3_mT4_T5_T6_T7_T8_P12ihipStream_tbENKUlT_T0_E_clISt17integral_constantIbLb0EES13_EEDaSY_SZ_EUlSY_E_NS1_11comp_targetILNS1_3genE0ELNS1_11target_archE4294967295ELNS1_3gpuE0ELNS1_3repE0EEENS1_30default_config_static_selectorELNS0_4arch9wavefront6targetE1EEEvT1_
    .private_segment_fixed_size: 0
    .sgpr_count:     4
    .sgpr_spill_count: 0
    .symbol:         _ZN7rocprim17ROCPRIM_400000_NS6detail17trampoline_kernelINS0_14default_configENS1_29reduce_by_key_config_selectorIslN6thrust23THRUST_200600_302600_NS4plusIlEEEEZZNS1_33reduce_by_key_impl_wrapped_configILNS1_25lookback_scan_determinismE0ES3_S9_PsNS6_17constant_iteratorIiNS6_11use_defaultESE_EENS6_10device_ptrIsEENSG_IlEEPmS8_NS6_8equal_toIsEEEE10hipError_tPvRmT2_T3_mT4_T5_T6_T7_T8_P12ihipStream_tbENKUlT_T0_E_clISt17integral_constantIbLb0EES13_EEDaSY_SZ_EUlSY_E_NS1_11comp_targetILNS1_3genE0ELNS1_11target_archE4294967295ELNS1_3gpuE0ELNS1_3repE0EEENS1_30default_config_static_selectorELNS0_4arch9wavefront6targetE1EEEvT1_.kd
    .uniform_work_group_size: 1
    .uses_dynamic_stack: false
    .vgpr_count:     0
    .vgpr_spill_count: 0
    .wavefront_size: 64
  - .args:
      - .offset:         0
        .size:           144
        .value_kind:     by_value
    .group_segment_fixed_size: 0
    .kernarg_segment_align: 8
    .kernarg_segment_size: 144
    .language:       OpenCL C
    .language_version:
      - 2
      - 0
    .max_flat_workgroup_size: 256
    .name:           _ZN7rocprim17ROCPRIM_400000_NS6detail17trampoline_kernelINS0_14default_configENS1_29reduce_by_key_config_selectorIslN6thrust23THRUST_200600_302600_NS4plusIlEEEEZZNS1_33reduce_by_key_impl_wrapped_configILNS1_25lookback_scan_determinismE0ES3_S9_PsNS6_17constant_iteratorIiNS6_11use_defaultESE_EENS6_10device_ptrIsEENSG_IlEEPmS8_NS6_8equal_toIsEEEE10hipError_tPvRmT2_T3_mT4_T5_T6_T7_T8_P12ihipStream_tbENKUlT_T0_E_clISt17integral_constantIbLb0EES13_EEDaSY_SZ_EUlSY_E_NS1_11comp_targetILNS1_3genE5ELNS1_11target_archE942ELNS1_3gpuE9ELNS1_3repE0EEENS1_30default_config_static_selectorELNS0_4arch9wavefront6targetE1EEEvT1_
    .private_segment_fixed_size: 0
    .sgpr_count:     4
    .sgpr_spill_count: 0
    .symbol:         _ZN7rocprim17ROCPRIM_400000_NS6detail17trampoline_kernelINS0_14default_configENS1_29reduce_by_key_config_selectorIslN6thrust23THRUST_200600_302600_NS4plusIlEEEEZZNS1_33reduce_by_key_impl_wrapped_configILNS1_25lookback_scan_determinismE0ES3_S9_PsNS6_17constant_iteratorIiNS6_11use_defaultESE_EENS6_10device_ptrIsEENSG_IlEEPmS8_NS6_8equal_toIsEEEE10hipError_tPvRmT2_T3_mT4_T5_T6_T7_T8_P12ihipStream_tbENKUlT_T0_E_clISt17integral_constantIbLb0EES13_EEDaSY_SZ_EUlSY_E_NS1_11comp_targetILNS1_3genE5ELNS1_11target_archE942ELNS1_3gpuE9ELNS1_3repE0EEENS1_30default_config_static_selectorELNS0_4arch9wavefront6targetE1EEEvT1_.kd
    .uniform_work_group_size: 1
    .uses_dynamic_stack: false
    .vgpr_count:     0
    .vgpr_spill_count: 0
    .wavefront_size: 64
  - .args:
      - .offset:         0
        .size:           144
        .value_kind:     by_value
    .group_segment_fixed_size: 0
    .kernarg_segment_align: 8
    .kernarg_segment_size: 144
    .language:       OpenCL C
    .language_version:
      - 2
      - 0
    .max_flat_workgroup_size: 256
    .name:           _ZN7rocprim17ROCPRIM_400000_NS6detail17trampoline_kernelINS0_14default_configENS1_29reduce_by_key_config_selectorIslN6thrust23THRUST_200600_302600_NS4plusIlEEEEZZNS1_33reduce_by_key_impl_wrapped_configILNS1_25lookback_scan_determinismE0ES3_S9_PsNS6_17constant_iteratorIiNS6_11use_defaultESE_EENS6_10device_ptrIsEENSG_IlEEPmS8_NS6_8equal_toIsEEEE10hipError_tPvRmT2_T3_mT4_T5_T6_T7_T8_P12ihipStream_tbENKUlT_T0_E_clISt17integral_constantIbLb0EES13_EEDaSY_SZ_EUlSY_E_NS1_11comp_targetILNS1_3genE4ELNS1_11target_archE910ELNS1_3gpuE8ELNS1_3repE0EEENS1_30default_config_static_selectorELNS0_4arch9wavefront6targetE1EEEvT1_
    .private_segment_fixed_size: 0
    .sgpr_count:     4
    .sgpr_spill_count: 0
    .symbol:         _ZN7rocprim17ROCPRIM_400000_NS6detail17trampoline_kernelINS0_14default_configENS1_29reduce_by_key_config_selectorIslN6thrust23THRUST_200600_302600_NS4plusIlEEEEZZNS1_33reduce_by_key_impl_wrapped_configILNS1_25lookback_scan_determinismE0ES3_S9_PsNS6_17constant_iteratorIiNS6_11use_defaultESE_EENS6_10device_ptrIsEENSG_IlEEPmS8_NS6_8equal_toIsEEEE10hipError_tPvRmT2_T3_mT4_T5_T6_T7_T8_P12ihipStream_tbENKUlT_T0_E_clISt17integral_constantIbLb0EES13_EEDaSY_SZ_EUlSY_E_NS1_11comp_targetILNS1_3genE4ELNS1_11target_archE910ELNS1_3gpuE8ELNS1_3repE0EEENS1_30default_config_static_selectorELNS0_4arch9wavefront6targetE1EEEvT1_.kd
    .uniform_work_group_size: 1
    .uses_dynamic_stack: false
    .vgpr_count:     0
    .vgpr_spill_count: 0
    .wavefront_size: 64
  - .args:
      - .offset:         0
        .size:           144
        .value_kind:     by_value
    .group_segment_fixed_size: 0
    .kernarg_segment_align: 8
    .kernarg_segment_size: 144
    .language:       OpenCL C
    .language_version:
      - 2
      - 0
    .max_flat_workgroup_size: 256
    .name:           _ZN7rocprim17ROCPRIM_400000_NS6detail17trampoline_kernelINS0_14default_configENS1_29reduce_by_key_config_selectorIslN6thrust23THRUST_200600_302600_NS4plusIlEEEEZZNS1_33reduce_by_key_impl_wrapped_configILNS1_25lookback_scan_determinismE0ES3_S9_PsNS6_17constant_iteratorIiNS6_11use_defaultESE_EENS6_10device_ptrIsEENSG_IlEEPmS8_NS6_8equal_toIsEEEE10hipError_tPvRmT2_T3_mT4_T5_T6_T7_T8_P12ihipStream_tbENKUlT_T0_E_clISt17integral_constantIbLb0EES13_EEDaSY_SZ_EUlSY_E_NS1_11comp_targetILNS1_3genE3ELNS1_11target_archE908ELNS1_3gpuE7ELNS1_3repE0EEENS1_30default_config_static_selectorELNS0_4arch9wavefront6targetE1EEEvT1_
    .private_segment_fixed_size: 0
    .sgpr_count:     4
    .sgpr_spill_count: 0
    .symbol:         _ZN7rocprim17ROCPRIM_400000_NS6detail17trampoline_kernelINS0_14default_configENS1_29reduce_by_key_config_selectorIslN6thrust23THRUST_200600_302600_NS4plusIlEEEEZZNS1_33reduce_by_key_impl_wrapped_configILNS1_25lookback_scan_determinismE0ES3_S9_PsNS6_17constant_iteratorIiNS6_11use_defaultESE_EENS6_10device_ptrIsEENSG_IlEEPmS8_NS6_8equal_toIsEEEE10hipError_tPvRmT2_T3_mT4_T5_T6_T7_T8_P12ihipStream_tbENKUlT_T0_E_clISt17integral_constantIbLb0EES13_EEDaSY_SZ_EUlSY_E_NS1_11comp_targetILNS1_3genE3ELNS1_11target_archE908ELNS1_3gpuE7ELNS1_3repE0EEENS1_30default_config_static_selectorELNS0_4arch9wavefront6targetE1EEEvT1_.kd
    .uniform_work_group_size: 1
    .uses_dynamic_stack: false
    .vgpr_count:     0
    .vgpr_spill_count: 0
    .wavefront_size: 64
  - .args:
      - .offset:         0
        .size:           144
        .value_kind:     by_value
    .group_segment_fixed_size: 30720
    .kernarg_segment_align: 8
    .kernarg_segment_size: 144
    .language:       OpenCL C
    .language_version:
      - 2
      - 0
    .max_flat_workgroup_size: 256
    .name:           _ZN7rocprim17ROCPRIM_400000_NS6detail17trampoline_kernelINS0_14default_configENS1_29reduce_by_key_config_selectorIslN6thrust23THRUST_200600_302600_NS4plusIlEEEEZZNS1_33reduce_by_key_impl_wrapped_configILNS1_25lookback_scan_determinismE0ES3_S9_PsNS6_17constant_iteratorIiNS6_11use_defaultESE_EENS6_10device_ptrIsEENSG_IlEEPmS8_NS6_8equal_toIsEEEE10hipError_tPvRmT2_T3_mT4_T5_T6_T7_T8_P12ihipStream_tbENKUlT_T0_E_clISt17integral_constantIbLb0EES13_EEDaSY_SZ_EUlSY_E_NS1_11comp_targetILNS1_3genE2ELNS1_11target_archE906ELNS1_3gpuE6ELNS1_3repE0EEENS1_30default_config_static_selectorELNS0_4arch9wavefront6targetE1EEEvT1_
    .private_segment_fixed_size: 64
    .sgpr_count:     70
    .sgpr_spill_count: 0
    .symbol:         _ZN7rocprim17ROCPRIM_400000_NS6detail17trampoline_kernelINS0_14default_configENS1_29reduce_by_key_config_selectorIslN6thrust23THRUST_200600_302600_NS4plusIlEEEEZZNS1_33reduce_by_key_impl_wrapped_configILNS1_25lookback_scan_determinismE0ES3_S9_PsNS6_17constant_iteratorIiNS6_11use_defaultESE_EENS6_10device_ptrIsEENSG_IlEEPmS8_NS6_8equal_toIsEEEE10hipError_tPvRmT2_T3_mT4_T5_T6_T7_T8_P12ihipStream_tbENKUlT_T0_E_clISt17integral_constantIbLb0EES13_EEDaSY_SZ_EUlSY_E_NS1_11comp_targetILNS1_3genE2ELNS1_11target_archE906ELNS1_3gpuE6ELNS1_3repE0EEENS1_30default_config_static_selectorELNS0_4arch9wavefront6targetE1EEEvT1_.kd
    .uniform_work_group_size: 1
    .uses_dynamic_stack: false
    .vgpr_count:     106
    .vgpr_spill_count: 0
    .wavefront_size: 64
  - .args:
      - .offset:         0
        .size:           144
        .value_kind:     by_value
    .group_segment_fixed_size: 0
    .kernarg_segment_align: 8
    .kernarg_segment_size: 144
    .language:       OpenCL C
    .language_version:
      - 2
      - 0
    .max_flat_workgroup_size: 256
    .name:           _ZN7rocprim17ROCPRIM_400000_NS6detail17trampoline_kernelINS0_14default_configENS1_29reduce_by_key_config_selectorIslN6thrust23THRUST_200600_302600_NS4plusIlEEEEZZNS1_33reduce_by_key_impl_wrapped_configILNS1_25lookback_scan_determinismE0ES3_S9_PsNS6_17constant_iteratorIiNS6_11use_defaultESE_EENS6_10device_ptrIsEENSG_IlEEPmS8_NS6_8equal_toIsEEEE10hipError_tPvRmT2_T3_mT4_T5_T6_T7_T8_P12ihipStream_tbENKUlT_T0_E_clISt17integral_constantIbLb0EES13_EEDaSY_SZ_EUlSY_E_NS1_11comp_targetILNS1_3genE10ELNS1_11target_archE1201ELNS1_3gpuE5ELNS1_3repE0EEENS1_30default_config_static_selectorELNS0_4arch9wavefront6targetE1EEEvT1_
    .private_segment_fixed_size: 0
    .sgpr_count:     4
    .sgpr_spill_count: 0
    .symbol:         _ZN7rocprim17ROCPRIM_400000_NS6detail17trampoline_kernelINS0_14default_configENS1_29reduce_by_key_config_selectorIslN6thrust23THRUST_200600_302600_NS4plusIlEEEEZZNS1_33reduce_by_key_impl_wrapped_configILNS1_25lookback_scan_determinismE0ES3_S9_PsNS6_17constant_iteratorIiNS6_11use_defaultESE_EENS6_10device_ptrIsEENSG_IlEEPmS8_NS6_8equal_toIsEEEE10hipError_tPvRmT2_T3_mT4_T5_T6_T7_T8_P12ihipStream_tbENKUlT_T0_E_clISt17integral_constantIbLb0EES13_EEDaSY_SZ_EUlSY_E_NS1_11comp_targetILNS1_3genE10ELNS1_11target_archE1201ELNS1_3gpuE5ELNS1_3repE0EEENS1_30default_config_static_selectorELNS0_4arch9wavefront6targetE1EEEvT1_.kd
    .uniform_work_group_size: 1
    .uses_dynamic_stack: false
    .vgpr_count:     0
    .vgpr_spill_count: 0
    .wavefront_size: 64
  - .args:
      - .offset:         0
        .size:           144
        .value_kind:     by_value
    .group_segment_fixed_size: 0
    .kernarg_segment_align: 8
    .kernarg_segment_size: 144
    .language:       OpenCL C
    .language_version:
      - 2
      - 0
    .max_flat_workgroup_size: 256
    .name:           _ZN7rocprim17ROCPRIM_400000_NS6detail17trampoline_kernelINS0_14default_configENS1_29reduce_by_key_config_selectorIslN6thrust23THRUST_200600_302600_NS4plusIlEEEEZZNS1_33reduce_by_key_impl_wrapped_configILNS1_25lookback_scan_determinismE0ES3_S9_PsNS6_17constant_iteratorIiNS6_11use_defaultESE_EENS6_10device_ptrIsEENSG_IlEEPmS8_NS6_8equal_toIsEEEE10hipError_tPvRmT2_T3_mT4_T5_T6_T7_T8_P12ihipStream_tbENKUlT_T0_E_clISt17integral_constantIbLb0EES13_EEDaSY_SZ_EUlSY_E_NS1_11comp_targetILNS1_3genE10ELNS1_11target_archE1200ELNS1_3gpuE4ELNS1_3repE0EEENS1_30default_config_static_selectorELNS0_4arch9wavefront6targetE1EEEvT1_
    .private_segment_fixed_size: 0
    .sgpr_count:     4
    .sgpr_spill_count: 0
    .symbol:         _ZN7rocprim17ROCPRIM_400000_NS6detail17trampoline_kernelINS0_14default_configENS1_29reduce_by_key_config_selectorIslN6thrust23THRUST_200600_302600_NS4plusIlEEEEZZNS1_33reduce_by_key_impl_wrapped_configILNS1_25lookback_scan_determinismE0ES3_S9_PsNS6_17constant_iteratorIiNS6_11use_defaultESE_EENS6_10device_ptrIsEENSG_IlEEPmS8_NS6_8equal_toIsEEEE10hipError_tPvRmT2_T3_mT4_T5_T6_T7_T8_P12ihipStream_tbENKUlT_T0_E_clISt17integral_constantIbLb0EES13_EEDaSY_SZ_EUlSY_E_NS1_11comp_targetILNS1_3genE10ELNS1_11target_archE1200ELNS1_3gpuE4ELNS1_3repE0EEENS1_30default_config_static_selectorELNS0_4arch9wavefront6targetE1EEEvT1_.kd
    .uniform_work_group_size: 1
    .uses_dynamic_stack: false
    .vgpr_count:     0
    .vgpr_spill_count: 0
    .wavefront_size: 64
  - .args:
      - .offset:         0
        .size:           144
        .value_kind:     by_value
    .group_segment_fixed_size: 0
    .kernarg_segment_align: 8
    .kernarg_segment_size: 144
    .language:       OpenCL C
    .language_version:
      - 2
      - 0
    .max_flat_workgroup_size: 256
    .name:           _ZN7rocprim17ROCPRIM_400000_NS6detail17trampoline_kernelINS0_14default_configENS1_29reduce_by_key_config_selectorIslN6thrust23THRUST_200600_302600_NS4plusIlEEEEZZNS1_33reduce_by_key_impl_wrapped_configILNS1_25lookback_scan_determinismE0ES3_S9_PsNS6_17constant_iteratorIiNS6_11use_defaultESE_EENS6_10device_ptrIsEENSG_IlEEPmS8_NS6_8equal_toIsEEEE10hipError_tPvRmT2_T3_mT4_T5_T6_T7_T8_P12ihipStream_tbENKUlT_T0_E_clISt17integral_constantIbLb0EES13_EEDaSY_SZ_EUlSY_E_NS1_11comp_targetILNS1_3genE9ELNS1_11target_archE1100ELNS1_3gpuE3ELNS1_3repE0EEENS1_30default_config_static_selectorELNS0_4arch9wavefront6targetE1EEEvT1_
    .private_segment_fixed_size: 0
    .sgpr_count:     4
    .sgpr_spill_count: 0
    .symbol:         _ZN7rocprim17ROCPRIM_400000_NS6detail17trampoline_kernelINS0_14default_configENS1_29reduce_by_key_config_selectorIslN6thrust23THRUST_200600_302600_NS4plusIlEEEEZZNS1_33reduce_by_key_impl_wrapped_configILNS1_25lookback_scan_determinismE0ES3_S9_PsNS6_17constant_iteratorIiNS6_11use_defaultESE_EENS6_10device_ptrIsEENSG_IlEEPmS8_NS6_8equal_toIsEEEE10hipError_tPvRmT2_T3_mT4_T5_T6_T7_T8_P12ihipStream_tbENKUlT_T0_E_clISt17integral_constantIbLb0EES13_EEDaSY_SZ_EUlSY_E_NS1_11comp_targetILNS1_3genE9ELNS1_11target_archE1100ELNS1_3gpuE3ELNS1_3repE0EEENS1_30default_config_static_selectorELNS0_4arch9wavefront6targetE1EEEvT1_.kd
    .uniform_work_group_size: 1
    .uses_dynamic_stack: false
    .vgpr_count:     0
    .vgpr_spill_count: 0
    .wavefront_size: 64
  - .args:
      - .offset:         0
        .size:           144
        .value_kind:     by_value
    .group_segment_fixed_size: 0
    .kernarg_segment_align: 8
    .kernarg_segment_size: 144
    .language:       OpenCL C
    .language_version:
      - 2
      - 0
    .max_flat_workgroup_size: 256
    .name:           _ZN7rocprim17ROCPRIM_400000_NS6detail17trampoline_kernelINS0_14default_configENS1_29reduce_by_key_config_selectorIslN6thrust23THRUST_200600_302600_NS4plusIlEEEEZZNS1_33reduce_by_key_impl_wrapped_configILNS1_25lookback_scan_determinismE0ES3_S9_PsNS6_17constant_iteratorIiNS6_11use_defaultESE_EENS6_10device_ptrIsEENSG_IlEEPmS8_NS6_8equal_toIsEEEE10hipError_tPvRmT2_T3_mT4_T5_T6_T7_T8_P12ihipStream_tbENKUlT_T0_E_clISt17integral_constantIbLb0EES13_EEDaSY_SZ_EUlSY_E_NS1_11comp_targetILNS1_3genE8ELNS1_11target_archE1030ELNS1_3gpuE2ELNS1_3repE0EEENS1_30default_config_static_selectorELNS0_4arch9wavefront6targetE1EEEvT1_
    .private_segment_fixed_size: 0
    .sgpr_count:     4
    .sgpr_spill_count: 0
    .symbol:         _ZN7rocprim17ROCPRIM_400000_NS6detail17trampoline_kernelINS0_14default_configENS1_29reduce_by_key_config_selectorIslN6thrust23THRUST_200600_302600_NS4plusIlEEEEZZNS1_33reduce_by_key_impl_wrapped_configILNS1_25lookback_scan_determinismE0ES3_S9_PsNS6_17constant_iteratorIiNS6_11use_defaultESE_EENS6_10device_ptrIsEENSG_IlEEPmS8_NS6_8equal_toIsEEEE10hipError_tPvRmT2_T3_mT4_T5_T6_T7_T8_P12ihipStream_tbENKUlT_T0_E_clISt17integral_constantIbLb0EES13_EEDaSY_SZ_EUlSY_E_NS1_11comp_targetILNS1_3genE8ELNS1_11target_archE1030ELNS1_3gpuE2ELNS1_3repE0EEENS1_30default_config_static_selectorELNS0_4arch9wavefront6targetE1EEEvT1_.kd
    .uniform_work_group_size: 1
    .uses_dynamic_stack: false
    .vgpr_count:     0
    .vgpr_spill_count: 0
    .wavefront_size: 64
  - .args:
      - .offset:         0
        .size:           144
        .value_kind:     by_value
    .group_segment_fixed_size: 0
    .kernarg_segment_align: 8
    .kernarg_segment_size: 144
    .language:       OpenCL C
    .language_version:
      - 2
      - 0
    .max_flat_workgroup_size: 256
    .name:           _ZN7rocprim17ROCPRIM_400000_NS6detail17trampoline_kernelINS0_14default_configENS1_29reduce_by_key_config_selectorIslN6thrust23THRUST_200600_302600_NS4plusIlEEEEZZNS1_33reduce_by_key_impl_wrapped_configILNS1_25lookback_scan_determinismE0ES3_S9_PsNS6_17constant_iteratorIiNS6_11use_defaultESE_EENS6_10device_ptrIsEENSG_IlEEPmS8_NS6_8equal_toIsEEEE10hipError_tPvRmT2_T3_mT4_T5_T6_T7_T8_P12ihipStream_tbENKUlT_T0_E_clISt17integral_constantIbLb1EES13_EEDaSY_SZ_EUlSY_E_NS1_11comp_targetILNS1_3genE0ELNS1_11target_archE4294967295ELNS1_3gpuE0ELNS1_3repE0EEENS1_30default_config_static_selectorELNS0_4arch9wavefront6targetE1EEEvT1_
    .private_segment_fixed_size: 0
    .sgpr_count:     4
    .sgpr_spill_count: 0
    .symbol:         _ZN7rocprim17ROCPRIM_400000_NS6detail17trampoline_kernelINS0_14default_configENS1_29reduce_by_key_config_selectorIslN6thrust23THRUST_200600_302600_NS4plusIlEEEEZZNS1_33reduce_by_key_impl_wrapped_configILNS1_25lookback_scan_determinismE0ES3_S9_PsNS6_17constant_iteratorIiNS6_11use_defaultESE_EENS6_10device_ptrIsEENSG_IlEEPmS8_NS6_8equal_toIsEEEE10hipError_tPvRmT2_T3_mT4_T5_T6_T7_T8_P12ihipStream_tbENKUlT_T0_E_clISt17integral_constantIbLb1EES13_EEDaSY_SZ_EUlSY_E_NS1_11comp_targetILNS1_3genE0ELNS1_11target_archE4294967295ELNS1_3gpuE0ELNS1_3repE0EEENS1_30default_config_static_selectorELNS0_4arch9wavefront6targetE1EEEvT1_.kd
    .uniform_work_group_size: 1
    .uses_dynamic_stack: false
    .vgpr_count:     0
    .vgpr_spill_count: 0
    .wavefront_size: 64
  - .args:
      - .offset:         0
        .size:           144
        .value_kind:     by_value
    .group_segment_fixed_size: 0
    .kernarg_segment_align: 8
    .kernarg_segment_size: 144
    .language:       OpenCL C
    .language_version:
      - 2
      - 0
    .max_flat_workgroup_size: 256
    .name:           _ZN7rocprim17ROCPRIM_400000_NS6detail17trampoline_kernelINS0_14default_configENS1_29reduce_by_key_config_selectorIslN6thrust23THRUST_200600_302600_NS4plusIlEEEEZZNS1_33reduce_by_key_impl_wrapped_configILNS1_25lookback_scan_determinismE0ES3_S9_PsNS6_17constant_iteratorIiNS6_11use_defaultESE_EENS6_10device_ptrIsEENSG_IlEEPmS8_NS6_8equal_toIsEEEE10hipError_tPvRmT2_T3_mT4_T5_T6_T7_T8_P12ihipStream_tbENKUlT_T0_E_clISt17integral_constantIbLb1EES13_EEDaSY_SZ_EUlSY_E_NS1_11comp_targetILNS1_3genE5ELNS1_11target_archE942ELNS1_3gpuE9ELNS1_3repE0EEENS1_30default_config_static_selectorELNS0_4arch9wavefront6targetE1EEEvT1_
    .private_segment_fixed_size: 0
    .sgpr_count:     4
    .sgpr_spill_count: 0
    .symbol:         _ZN7rocprim17ROCPRIM_400000_NS6detail17trampoline_kernelINS0_14default_configENS1_29reduce_by_key_config_selectorIslN6thrust23THRUST_200600_302600_NS4plusIlEEEEZZNS1_33reduce_by_key_impl_wrapped_configILNS1_25lookback_scan_determinismE0ES3_S9_PsNS6_17constant_iteratorIiNS6_11use_defaultESE_EENS6_10device_ptrIsEENSG_IlEEPmS8_NS6_8equal_toIsEEEE10hipError_tPvRmT2_T3_mT4_T5_T6_T7_T8_P12ihipStream_tbENKUlT_T0_E_clISt17integral_constantIbLb1EES13_EEDaSY_SZ_EUlSY_E_NS1_11comp_targetILNS1_3genE5ELNS1_11target_archE942ELNS1_3gpuE9ELNS1_3repE0EEENS1_30default_config_static_selectorELNS0_4arch9wavefront6targetE1EEEvT1_.kd
    .uniform_work_group_size: 1
    .uses_dynamic_stack: false
    .vgpr_count:     0
    .vgpr_spill_count: 0
    .wavefront_size: 64
  - .args:
      - .offset:         0
        .size:           144
        .value_kind:     by_value
    .group_segment_fixed_size: 0
    .kernarg_segment_align: 8
    .kernarg_segment_size: 144
    .language:       OpenCL C
    .language_version:
      - 2
      - 0
    .max_flat_workgroup_size: 256
    .name:           _ZN7rocprim17ROCPRIM_400000_NS6detail17trampoline_kernelINS0_14default_configENS1_29reduce_by_key_config_selectorIslN6thrust23THRUST_200600_302600_NS4plusIlEEEEZZNS1_33reduce_by_key_impl_wrapped_configILNS1_25lookback_scan_determinismE0ES3_S9_PsNS6_17constant_iteratorIiNS6_11use_defaultESE_EENS6_10device_ptrIsEENSG_IlEEPmS8_NS6_8equal_toIsEEEE10hipError_tPvRmT2_T3_mT4_T5_T6_T7_T8_P12ihipStream_tbENKUlT_T0_E_clISt17integral_constantIbLb1EES13_EEDaSY_SZ_EUlSY_E_NS1_11comp_targetILNS1_3genE4ELNS1_11target_archE910ELNS1_3gpuE8ELNS1_3repE0EEENS1_30default_config_static_selectorELNS0_4arch9wavefront6targetE1EEEvT1_
    .private_segment_fixed_size: 0
    .sgpr_count:     4
    .sgpr_spill_count: 0
    .symbol:         _ZN7rocprim17ROCPRIM_400000_NS6detail17trampoline_kernelINS0_14default_configENS1_29reduce_by_key_config_selectorIslN6thrust23THRUST_200600_302600_NS4plusIlEEEEZZNS1_33reduce_by_key_impl_wrapped_configILNS1_25lookback_scan_determinismE0ES3_S9_PsNS6_17constant_iteratorIiNS6_11use_defaultESE_EENS6_10device_ptrIsEENSG_IlEEPmS8_NS6_8equal_toIsEEEE10hipError_tPvRmT2_T3_mT4_T5_T6_T7_T8_P12ihipStream_tbENKUlT_T0_E_clISt17integral_constantIbLb1EES13_EEDaSY_SZ_EUlSY_E_NS1_11comp_targetILNS1_3genE4ELNS1_11target_archE910ELNS1_3gpuE8ELNS1_3repE0EEENS1_30default_config_static_selectorELNS0_4arch9wavefront6targetE1EEEvT1_.kd
    .uniform_work_group_size: 1
    .uses_dynamic_stack: false
    .vgpr_count:     0
    .vgpr_spill_count: 0
    .wavefront_size: 64
  - .args:
      - .offset:         0
        .size:           144
        .value_kind:     by_value
    .group_segment_fixed_size: 0
    .kernarg_segment_align: 8
    .kernarg_segment_size: 144
    .language:       OpenCL C
    .language_version:
      - 2
      - 0
    .max_flat_workgroup_size: 256
    .name:           _ZN7rocprim17ROCPRIM_400000_NS6detail17trampoline_kernelINS0_14default_configENS1_29reduce_by_key_config_selectorIslN6thrust23THRUST_200600_302600_NS4plusIlEEEEZZNS1_33reduce_by_key_impl_wrapped_configILNS1_25lookback_scan_determinismE0ES3_S9_PsNS6_17constant_iteratorIiNS6_11use_defaultESE_EENS6_10device_ptrIsEENSG_IlEEPmS8_NS6_8equal_toIsEEEE10hipError_tPvRmT2_T3_mT4_T5_T6_T7_T8_P12ihipStream_tbENKUlT_T0_E_clISt17integral_constantIbLb1EES13_EEDaSY_SZ_EUlSY_E_NS1_11comp_targetILNS1_3genE3ELNS1_11target_archE908ELNS1_3gpuE7ELNS1_3repE0EEENS1_30default_config_static_selectorELNS0_4arch9wavefront6targetE1EEEvT1_
    .private_segment_fixed_size: 0
    .sgpr_count:     4
    .sgpr_spill_count: 0
    .symbol:         _ZN7rocprim17ROCPRIM_400000_NS6detail17trampoline_kernelINS0_14default_configENS1_29reduce_by_key_config_selectorIslN6thrust23THRUST_200600_302600_NS4plusIlEEEEZZNS1_33reduce_by_key_impl_wrapped_configILNS1_25lookback_scan_determinismE0ES3_S9_PsNS6_17constant_iteratorIiNS6_11use_defaultESE_EENS6_10device_ptrIsEENSG_IlEEPmS8_NS6_8equal_toIsEEEE10hipError_tPvRmT2_T3_mT4_T5_T6_T7_T8_P12ihipStream_tbENKUlT_T0_E_clISt17integral_constantIbLb1EES13_EEDaSY_SZ_EUlSY_E_NS1_11comp_targetILNS1_3genE3ELNS1_11target_archE908ELNS1_3gpuE7ELNS1_3repE0EEENS1_30default_config_static_selectorELNS0_4arch9wavefront6targetE1EEEvT1_.kd
    .uniform_work_group_size: 1
    .uses_dynamic_stack: false
    .vgpr_count:     0
    .vgpr_spill_count: 0
    .wavefront_size: 64
  - .args:
      - .offset:         0
        .size:           144
        .value_kind:     by_value
    .group_segment_fixed_size: 0
    .kernarg_segment_align: 8
    .kernarg_segment_size: 144
    .language:       OpenCL C
    .language_version:
      - 2
      - 0
    .max_flat_workgroup_size: 256
    .name:           _ZN7rocprim17ROCPRIM_400000_NS6detail17trampoline_kernelINS0_14default_configENS1_29reduce_by_key_config_selectorIslN6thrust23THRUST_200600_302600_NS4plusIlEEEEZZNS1_33reduce_by_key_impl_wrapped_configILNS1_25lookback_scan_determinismE0ES3_S9_PsNS6_17constant_iteratorIiNS6_11use_defaultESE_EENS6_10device_ptrIsEENSG_IlEEPmS8_NS6_8equal_toIsEEEE10hipError_tPvRmT2_T3_mT4_T5_T6_T7_T8_P12ihipStream_tbENKUlT_T0_E_clISt17integral_constantIbLb1EES13_EEDaSY_SZ_EUlSY_E_NS1_11comp_targetILNS1_3genE2ELNS1_11target_archE906ELNS1_3gpuE6ELNS1_3repE0EEENS1_30default_config_static_selectorELNS0_4arch9wavefront6targetE1EEEvT1_
    .private_segment_fixed_size: 0
    .sgpr_count:     4
    .sgpr_spill_count: 0
    .symbol:         _ZN7rocprim17ROCPRIM_400000_NS6detail17trampoline_kernelINS0_14default_configENS1_29reduce_by_key_config_selectorIslN6thrust23THRUST_200600_302600_NS4plusIlEEEEZZNS1_33reduce_by_key_impl_wrapped_configILNS1_25lookback_scan_determinismE0ES3_S9_PsNS6_17constant_iteratorIiNS6_11use_defaultESE_EENS6_10device_ptrIsEENSG_IlEEPmS8_NS6_8equal_toIsEEEE10hipError_tPvRmT2_T3_mT4_T5_T6_T7_T8_P12ihipStream_tbENKUlT_T0_E_clISt17integral_constantIbLb1EES13_EEDaSY_SZ_EUlSY_E_NS1_11comp_targetILNS1_3genE2ELNS1_11target_archE906ELNS1_3gpuE6ELNS1_3repE0EEENS1_30default_config_static_selectorELNS0_4arch9wavefront6targetE1EEEvT1_.kd
    .uniform_work_group_size: 1
    .uses_dynamic_stack: false
    .vgpr_count:     0
    .vgpr_spill_count: 0
    .wavefront_size: 64
  - .args:
      - .offset:         0
        .size:           144
        .value_kind:     by_value
    .group_segment_fixed_size: 0
    .kernarg_segment_align: 8
    .kernarg_segment_size: 144
    .language:       OpenCL C
    .language_version:
      - 2
      - 0
    .max_flat_workgroup_size: 256
    .name:           _ZN7rocprim17ROCPRIM_400000_NS6detail17trampoline_kernelINS0_14default_configENS1_29reduce_by_key_config_selectorIslN6thrust23THRUST_200600_302600_NS4plusIlEEEEZZNS1_33reduce_by_key_impl_wrapped_configILNS1_25lookback_scan_determinismE0ES3_S9_PsNS6_17constant_iteratorIiNS6_11use_defaultESE_EENS6_10device_ptrIsEENSG_IlEEPmS8_NS6_8equal_toIsEEEE10hipError_tPvRmT2_T3_mT4_T5_T6_T7_T8_P12ihipStream_tbENKUlT_T0_E_clISt17integral_constantIbLb1EES13_EEDaSY_SZ_EUlSY_E_NS1_11comp_targetILNS1_3genE10ELNS1_11target_archE1201ELNS1_3gpuE5ELNS1_3repE0EEENS1_30default_config_static_selectorELNS0_4arch9wavefront6targetE1EEEvT1_
    .private_segment_fixed_size: 0
    .sgpr_count:     4
    .sgpr_spill_count: 0
    .symbol:         _ZN7rocprim17ROCPRIM_400000_NS6detail17trampoline_kernelINS0_14default_configENS1_29reduce_by_key_config_selectorIslN6thrust23THRUST_200600_302600_NS4plusIlEEEEZZNS1_33reduce_by_key_impl_wrapped_configILNS1_25lookback_scan_determinismE0ES3_S9_PsNS6_17constant_iteratorIiNS6_11use_defaultESE_EENS6_10device_ptrIsEENSG_IlEEPmS8_NS6_8equal_toIsEEEE10hipError_tPvRmT2_T3_mT4_T5_T6_T7_T8_P12ihipStream_tbENKUlT_T0_E_clISt17integral_constantIbLb1EES13_EEDaSY_SZ_EUlSY_E_NS1_11comp_targetILNS1_3genE10ELNS1_11target_archE1201ELNS1_3gpuE5ELNS1_3repE0EEENS1_30default_config_static_selectorELNS0_4arch9wavefront6targetE1EEEvT1_.kd
    .uniform_work_group_size: 1
    .uses_dynamic_stack: false
    .vgpr_count:     0
    .vgpr_spill_count: 0
    .wavefront_size: 64
  - .args:
      - .offset:         0
        .size:           144
        .value_kind:     by_value
    .group_segment_fixed_size: 0
    .kernarg_segment_align: 8
    .kernarg_segment_size: 144
    .language:       OpenCL C
    .language_version:
      - 2
      - 0
    .max_flat_workgroup_size: 256
    .name:           _ZN7rocprim17ROCPRIM_400000_NS6detail17trampoline_kernelINS0_14default_configENS1_29reduce_by_key_config_selectorIslN6thrust23THRUST_200600_302600_NS4plusIlEEEEZZNS1_33reduce_by_key_impl_wrapped_configILNS1_25lookback_scan_determinismE0ES3_S9_PsNS6_17constant_iteratorIiNS6_11use_defaultESE_EENS6_10device_ptrIsEENSG_IlEEPmS8_NS6_8equal_toIsEEEE10hipError_tPvRmT2_T3_mT4_T5_T6_T7_T8_P12ihipStream_tbENKUlT_T0_E_clISt17integral_constantIbLb1EES13_EEDaSY_SZ_EUlSY_E_NS1_11comp_targetILNS1_3genE10ELNS1_11target_archE1200ELNS1_3gpuE4ELNS1_3repE0EEENS1_30default_config_static_selectorELNS0_4arch9wavefront6targetE1EEEvT1_
    .private_segment_fixed_size: 0
    .sgpr_count:     4
    .sgpr_spill_count: 0
    .symbol:         _ZN7rocprim17ROCPRIM_400000_NS6detail17trampoline_kernelINS0_14default_configENS1_29reduce_by_key_config_selectorIslN6thrust23THRUST_200600_302600_NS4plusIlEEEEZZNS1_33reduce_by_key_impl_wrapped_configILNS1_25lookback_scan_determinismE0ES3_S9_PsNS6_17constant_iteratorIiNS6_11use_defaultESE_EENS6_10device_ptrIsEENSG_IlEEPmS8_NS6_8equal_toIsEEEE10hipError_tPvRmT2_T3_mT4_T5_T6_T7_T8_P12ihipStream_tbENKUlT_T0_E_clISt17integral_constantIbLb1EES13_EEDaSY_SZ_EUlSY_E_NS1_11comp_targetILNS1_3genE10ELNS1_11target_archE1200ELNS1_3gpuE4ELNS1_3repE0EEENS1_30default_config_static_selectorELNS0_4arch9wavefront6targetE1EEEvT1_.kd
    .uniform_work_group_size: 1
    .uses_dynamic_stack: false
    .vgpr_count:     0
    .vgpr_spill_count: 0
    .wavefront_size: 64
  - .args:
      - .offset:         0
        .size:           144
        .value_kind:     by_value
    .group_segment_fixed_size: 0
    .kernarg_segment_align: 8
    .kernarg_segment_size: 144
    .language:       OpenCL C
    .language_version:
      - 2
      - 0
    .max_flat_workgroup_size: 256
    .name:           _ZN7rocprim17ROCPRIM_400000_NS6detail17trampoline_kernelINS0_14default_configENS1_29reduce_by_key_config_selectorIslN6thrust23THRUST_200600_302600_NS4plusIlEEEEZZNS1_33reduce_by_key_impl_wrapped_configILNS1_25lookback_scan_determinismE0ES3_S9_PsNS6_17constant_iteratorIiNS6_11use_defaultESE_EENS6_10device_ptrIsEENSG_IlEEPmS8_NS6_8equal_toIsEEEE10hipError_tPvRmT2_T3_mT4_T5_T6_T7_T8_P12ihipStream_tbENKUlT_T0_E_clISt17integral_constantIbLb1EES13_EEDaSY_SZ_EUlSY_E_NS1_11comp_targetILNS1_3genE9ELNS1_11target_archE1100ELNS1_3gpuE3ELNS1_3repE0EEENS1_30default_config_static_selectorELNS0_4arch9wavefront6targetE1EEEvT1_
    .private_segment_fixed_size: 0
    .sgpr_count:     4
    .sgpr_spill_count: 0
    .symbol:         _ZN7rocprim17ROCPRIM_400000_NS6detail17trampoline_kernelINS0_14default_configENS1_29reduce_by_key_config_selectorIslN6thrust23THRUST_200600_302600_NS4plusIlEEEEZZNS1_33reduce_by_key_impl_wrapped_configILNS1_25lookback_scan_determinismE0ES3_S9_PsNS6_17constant_iteratorIiNS6_11use_defaultESE_EENS6_10device_ptrIsEENSG_IlEEPmS8_NS6_8equal_toIsEEEE10hipError_tPvRmT2_T3_mT4_T5_T6_T7_T8_P12ihipStream_tbENKUlT_T0_E_clISt17integral_constantIbLb1EES13_EEDaSY_SZ_EUlSY_E_NS1_11comp_targetILNS1_3genE9ELNS1_11target_archE1100ELNS1_3gpuE3ELNS1_3repE0EEENS1_30default_config_static_selectorELNS0_4arch9wavefront6targetE1EEEvT1_.kd
    .uniform_work_group_size: 1
    .uses_dynamic_stack: false
    .vgpr_count:     0
    .vgpr_spill_count: 0
    .wavefront_size: 64
  - .args:
      - .offset:         0
        .size:           144
        .value_kind:     by_value
    .group_segment_fixed_size: 0
    .kernarg_segment_align: 8
    .kernarg_segment_size: 144
    .language:       OpenCL C
    .language_version:
      - 2
      - 0
    .max_flat_workgroup_size: 256
    .name:           _ZN7rocprim17ROCPRIM_400000_NS6detail17trampoline_kernelINS0_14default_configENS1_29reduce_by_key_config_selectorIslN6thrust23THRUST_200600_302600_NS4plusIlEEEEZZNS1_33reduce_by_key_impl_wrapped_configILNS1_25lookback_scan_determinismE0ES3_S9_PsNS6_17constant_iteratorIiNS6_11use_defaultESE_EENS6_10device_ptrIsEENSG_IlEEPmS8_NS6_8equal_toIsEEEE10hipError_tPvRmT2_T3_mT4_T5_T6_T7_T8_P12ihipStream_tbENKUlT_T0_E_clISt17integral_constantIbLb1EES13_EEDaSY_SZ_EUlSY_E_NS1_11comp_targetILNS1_3genE8ELNS1_11target_archE1030ELNS1_3gpuE2ELNS1_3repE0EEENS1_30default_config_static_selectorELNS0_4arch9wavefront6targetE1EEEvT1_
    .private_segment_fixed_size: 0
    .sgpr_count:     4
    .sgpr_spill_count: 0
    .symbol:         _ZN7rocprim17ROCPRIM_400000_NS6detail17trampoline_kernelINS0_14default_configENS1_29reduce_by_key_config_selectorIslN6thrust23THRUST_200600_302600_NS4plusIlEEEEZZNS1_33reduce_by_key_impl_wrapped_configILNS1_25lookback_scan_determinismE0ES3_S9_PsNS6_17constant_iteratorIiNS6_11use_defaultESE_EENS6_10device_ptrIsEENSG_IlEEPmS8_NS6_8equal_toIsEEEE10hipError_tPvRmT2_T3_mT4_T5_T6_T7_T8_P12ihipStream_tbENKUlT_T0_E_clISt17integral_constantIbLb1EES13_EEDaSY_SZ_EUlSY_E_NS1_11comp_targetILNS1_3genE8ELNS1_11target_archE1030ELNS1_3gpuE2ELNS1_3repE0EEENS1_30default_config_static_selectorELNS0_4arch9wavefront6targetE1EEEvT1_.kd
    .uniform_work_group_size: 1
    .uses_dynamic_stack: false
    .vgpr_count:     0
    .vgpr_spill_count: 0
    .wavefront_size: 64
  - .args:
      - .offset:         0
        .size:           144
        .value_kind:     by_value
    .group_segment_fixed_size: 0
    .kernarg_segment_align: 8
    .kernarg_segment_size: 144
    .language:       OpenCL C
    .language_version:
      - 2
      - 0
    .max_flat_workgroup_size: 256
    .name:           _ZN7rocprim17ROCPRIM_400000_NS6detail17trampoline_kernelINS0_14default_configENS1_29reduce_by_key_config_selectorIslN6thrust23THRUST_200600_302600_NS4plusIlEEEEZZNS1_33reduce_by_key_impl_wrapped_configILNS1_25lookback_scan_determinismE0ES3_S9_PsNS6_17constant_iteratorIiNS6_11use_defaultESE_EENS6_10device_ptrIsEENSG_IlEEPmS8_NS6_8equal_toIsEEEE10hipError_tPvRmT2_T3_mT4_T5_T6_T7_T8_P12ihipStream_tbENKUlT_T0_E_clISt17integral_constantIbLb1EES12_IbLb0EEEEDaSY_SZ_EUlSY_E_NS1_11comp_targetILNS1_3genE0ELNS1_11target_archE4294967295ELNS1_3gpuE0ELNS1_3repE0EEENS1_30default_config_static_selectorELNS0_4arch9wavefront6targetE1EEEvT1_
    .private_segment_fixed_size: 0
    .sgpr_count:     4
    .sgpr_spill_count: 0
    .symbol:         _ZN7rocprim17ROCPRIM_400000_NS6detail17trampoline_kernelINS0_14default_configENS1_29reduce_by_key_config_selectorIslN6thrust23THRUST_200600_302600_NS4plusIlEEEEZZNS1_33reduce_by_key_impl_wrapped_configILNS1_25lookback_scan_determinismE0ES3_S9_PsNS6_17constant_iteratorIiNS6_11use_defaultESE_EENS6_10device_ptrIsEENSG_IlEEPmS8_NS6_8equal_toIsEEEE10hipError_tPvRmT2_T3_mT4_T5_T6_T7_T8_P12ihipStream_tbENKUlT_T0_E_clISt17integral_constantIbLb1EES12_IbLb0EEEEDaSY_SZ_EUlSY_E_NS1_11comp_targetILNS1_3genE0ELNS1_11target_archE4294967295ELNS1_3gpuE0ELNS1_3repE0EEENS1_30default_config_static_selectorELNS0_4arch9wavefront6targetE1EEEvT1_.kd
    .uniform_work_group_size: 1
    .uses_dynamic_stack: false
    .vgpr_count:     0
    .vgpr_spill_count: 0
    .wavefront_size: 64
  - .args:
      - .offset:         0
        .size:           144
        .value_kind:     by_value
    .group_segment_fixed_size: 0
    .kernarg_segment_align: 8
    .kernarg_segment_size: 144
    .language:       OpenCL C
    .language_version:
      - 2
      - 0
    .max_flat_workgroup_size: 256
    .name:           _ZN7rocprim17ROCPRIM_400000_NS6detail17trampoline_kernelINS0_14default_configENS1_29reduce_by_key_config_selectorIslN6thrust23THRUST_200600_302600_NS4plusIlEEEEZZNS1_33reduce_by_key_impl_wrapped_configILNS1_25lookback_scan_determinismE0ES3_S9_PsNS6_17constant_iteratorIiNS6_11use_defaultESE_EENS6_10device_ptrIsEENSG_IlEEPmS8_NS6_8equal_toIsEEEE10hipError_tPvRmT2_T3_mT4_T5_T6_T7_T8_P12ihipStream_tbENKUlT_T0_E_clISt17integral_constantIbLb1EES12_IbLb0EEEEDaSY_SZ_EUlSY_E_NS1_11comp_targetILNS1_3genE5ELNS1_11target_archE942ELNS1_3gpuE9ELNS1_3repE0EEENS1_30default_config_static_selectorELNS0_4arch9wavefront6targetE1EEEvT1_
    .private_segment_fixed_size: 0
    .sgpr_count:     4
    .sgpr_spill_count: 0
    .symbol:         _ZN7rocprim17ROCPRIM_400000_NS6detail17trampoline_kernelINS0_14default_configENS1_29reduce_by_key_config_selectorIslN6thrust23THRUST_200600_302600_NS4plusIlEEEEZZNS1_33reduce_by_key_impl_wrapped_configILNS1_25lookback_scan_determinismE0ES3_S9_PsNS6_17constant_iteratorIiNS6_11use_defaultESE_EENS6_10device_ptrIsEENSG_IlEEPmS8_NS6_8equal_toIsEEEE10hipError_tPvRmT2_T3_mT4_T5_T6_T7_T8_P12ihipStream_tbENKUlT_T0_E_clISt17integral_constantIbLb1EES12_IbLb0EEEEDaSY_SZ_EUlSY_E_NS1_11comp_targetILNS1_3genE5ELNS1_11target_archE942ELNS1_3gpuE9ELNS1_3repE0EEENS1_30default_config_static_selectorELNS0_4arch9wavefront6targetE1EEEvT1_.kd
    .uniform_work_group_size: 1
    .uses_dynamic_stack: false
    .vgpr_count:     0
    .vgpr_spill_count: 0
    .wavefront_size: 64
  - .args:
      - .offset:         0
        .size:           144
        .value_kind:     by_value
    .group_segment_fixed_size: 0
    .kernarg_segment_align: 8
    .kernarg_segment_size: 144
    .language:       OpenCL C
    .language_version:
      - 2
      - 0
    .max_flat_workgroup_size: 256
    .name:           _ZN7rocprim17ROCPRIM_400000_NS6detail17trampoline_kernelINS0_14default_configENS1_29reduce_by_key_config_selectorIslN6thrust23THRUST_200600_302600_NS4plusIlEEEEZZNS1_33reduce_by_key_impl_wrapped_configILNS1_25lookback_scan_determinismE0ES3_S9_PsNS6_17constant_iteratorIiNS6_11use_defaultESE_EENS6_10device_ptrIsEENSG_IlEEPmS8_NS6_8equal_toIsEEEE10hipError_tPvRmT2_T3_mT4_T5_T6_T7_T8_P12ihipStream_tbENKUlT_T0_E_clISt17integral_constantIbLb1EES12_IbLb0EEEEDaSY_SZ_EUlSY_E_NS1_11comp_targetILNS1_3genE4ELNS1_11target_archE910ELNS1_3gpuE8ELNS1_3repE0EEENS1_30default_config_static_selectorELNS0_4arch9wavefront6targetE1EEEvT1_
    .private_segment_fixed_size: 0
    .sgpr_count:     4
    .sgpr_spill_count: 0
    .symbol:         _ZN7rocprim17ROCPRIM_400000_NS6detail17trampoline_kernelINS0_14default_configENS1_29reduce_by_key_config_selectorIslN6thrust23THRUST_200600_302600_NS4plusIlEEEEZZNS1_33reduce_by_key_impl_wrapped_configILNS1_25lookback_scan_determinismE0ES3_S9_PsNS6_17constant_iteratorIiNS6_11use_defaultESE_EENS6_10device_ptrIsEENSG_IlEEPmS8_NS6_8equal_toIsEEEE10hipError_tPvRmT2_T3_mT4_T5_T6_T7_T8_P12ihipStream_tbENKUlT_T0_E_clISt17integral_constantIbLb1EES12_IbLb0EEEEDaSY_SZ_EUlSY_E_NS1_11comp_targetILNS1_3genE4ELNS1_11target_archE910ELNS1_3gpuE8ELNS1_3repE0EEENS1_30default_config_static_selectorELNS0_4arch9wavefront6targetE1EEEvT1_.kd
    .uniform_work_group_size: 1
    .uses_dynamic_stack: false
    .vgpr_count:     0
    .vgpr_spill_count: 0
    .wavefront_size: 64
  - .args:
      - .offset:         0
        .size:           144
        .value_kind:     by_value
    .group_segment_fixed_size: 0
    .kernarg_segment_align: 8
    .kernarg_segment_size: 144
    .language:       OpenCL C
    .language_version:
      - 2
      - 0
    .max_flat_workgroup_size: 256
    .name:           _ZN7rocprim17ROCPRIM_400000_NS6detail17trampoline_kernelINS0_14default_configENS1_29reduce_by_key_config_selectorIslN6thrust23THRUST_200600_302600_NS4plusIlEEEEZZNS1_33reduce_by_key_impl_wrapped_configILNS1_25lookback_scan_determinismE0ES3_S9_PsNS6_17constant_iteratorIiNS6_11use_defaultESE_EENS6_10device_ptrIsEENSG_IlEEPmS8_NS6_8equal_toIsEEEE10hipError_tPvRmT2_T3_mT4_T5_T6_T7_T8_P12ihipStream_tbENKUlT_T0_E_clISt17integral_constantIbLb1EES12_IbLb0EEEEDaSY_SZ_EUlSY_E_NS1_11comp_targetILNS1_3genE3ELNS1_11target_archE908ELNS1_3gpuE7ELNS1_3repE0EEENS1_30default_config_static_selectorELNS0_4arch9wavefront6targetE1EEEvT1_
    .private_segment_fixed_size: 0
    .sgpr_count:     4
    .sgpr_spill_count: 0
    .symbol:         _ZN7rocprim17ROCPRIM_400000_NS6detail17trampoline_kernelINS0_14default_configENS1_29reduce_by_key_config_selectorIslN6thrust23THRUST_200600_302600_NS4plusIlEEEEZZNS1_33reduce_by_key_impl_wrapped_configILNS1_25lookback_scan_determinismE0ES3_S9_PsNS6_17constant_iteratorIiNS6_11use_defaultESE_EENS6_10device_ptrIsEENSG_IlEEPmS8_NS6_8equal_toIsEEEE10hipError_tPvRmT2_T3_mT4_T5_T6_T7_T8_P12ihipStream_tbENKUlT_T0_E_clISt17integral_constantIbLb1EES12_IbLb0EEEEDaSY_SZ_EUlSY_E_NS1_11comp_targetILNS1_3genE3ELNS1_11target_archE908ELNS1_3gpuE7ELNS1_3repE0EEENS1_30default_config_static_selectorELNS0_4arch9wavefront6targetE1EEEvT1_.kd
    .uniform_work_group_size: 1
    .uses_dynamic_stack: false
    .vgpr_count:     0
    .vgpr_spill_count: 0
    .wavefront_size: 64
  - .args:
      - .offset:         0
        .size:           144
        .value_kind:     by_value
    .group_segment_fixed_size: 0
    .kernarg_segment_align: 8
    .kernarg_segment_size: 144
    .language:       OpenCL C
    .language_version:
      - 2
      - 0
    .max_flat_workgroup_size: 256
    .name:           _ZN7rocprim17ROCPRIM_400000_NS6detail17trampoline_kernelINS0_14default_configENS1_29reduce_by_key_config_selectorIslN6thrust23THRUST_200600_302600_NS4plusIlEEEEZZNS1_33reduce_by_key_impl_wrapped_configILNS1_25lookback_scan_determinismE0ES3_S9_PsNS6_17constant_iteratorIiNS6_11use_defaultESE_EENS6_10device_ptrIsEENSG_IlEEPmS8_NS6_8equal_toIsEEEE10hipError_tPvRmT2_T3_mT4_T5_T6_T7_T8_P12ihipStream_tbENKUlT_T0_E_clISt17integral_constantIbLb1EES12_IbLb0EEEEDaSY_SZ_EUlSY_E_NS1_11comp_targetILNS1_3genE2ELNS1_11target_archE906ELNS1_3gpuE6ELNS1_3repE0EEENS1_30default_config_static_selectorELNS0_4arch9wavefront6targetE1EEEvT1_
    .private_segment_fixed_size: 0
    .sgpr_count:     4
    .sgpr_spill_count: 0
    .symbol:         _ZN7rocprim17ROCPRIM_400000_NS6detail17trampoline_kernelINS0_14default_configENS1_29reduce_by_key_config_selectorIslN6thrust23THRUST_200600_302600_NS4plusIlEEEEZZNS1_33reduce_by_key_impl_wrapped_configILNS1_25lookback_scan_determinismE0ES3_S9_PsNS6_17constant_iteratorIiNS6_11use_defaultESE_EENS6_10device_ptrIsEENSG_IlEEPmS8_NS6_8equal_toIsEEEE10hipError_tPvRmT2_T3_mT4_T5_T6_T7_T8_P12ihipStream_tbENKUlT_T0_E_clISt17integral_constantIbLb1EES12_IbLb0EEEEDaSY_SZ_EUlSY_E_NS1_11comp_targetILNS1_3genE2ELNS1_11target_archE906ELNS1_3gpuE6ELNS1_3repE0EEENS1_30default_config_static_selectorELNS0_4arch9wavefront6targetE1EEEvT1_.kd
    .uniform_work_group_size: 1
    .uses_dynamic_stack: false
    .vgpr_count:     0
    .vgpr_spill_count: 0
    .wavefront_size: 64
  - .args:
      - .offset:         0
        .size:           144
        .value_kind:     by_value
    .group_segment_fixed_size: 0
    .kernarg_segment_align: 8
    .kernarg_segment_size: 144
    .language:       OpenCL C
    .language_version:
      - 2
      - 0
    .max_flat_workgroup_size: 256
    .name:           _ZN7rocprim17ROCPRIM_400000_NS6detail17trampoline_kernelINS0_14default_configENS1_29reduce_by_key_config_selectorIslN6thrust23THRUST_200600_302600_NS4plusIlEEEEZZNS1_33reduce_by_key_impl_wrapped_configILNS1_25lookback_scan_determinismE0ES3_S9_PsNS6_17constant_iteratorIiNS6_11use_defaultESE_EENS6_10device_ptrIsEENSG_IlEEPmS8_NS6_8equal_toIsEEEE10hipError_tPvRmT2_T3_mT4_T5_T6_T7_T8_P12ihipStream_tbENKUlT_T0_E_clISt17integral_constantIbLb1EES12_IbLb0EEEEDaSY_SZ_EUlSY_E_NS1_11comp_targetILNS1_3genE10ELNS1_11target_archE1201ELNS1_3gpuE5ELNS1_3repE0EEENS1_30default_config_static_selectorELNS0_4arch9wavefront6targetE1EEEvT1_
    .private_segment_fixed_size: 0
    .sgpr_count:     4
    .sgpr_spill_count: 0
    .symbol:         _ZN7rocprim17ROCPRIM_400000_NS6detail17trampoline_kernelINS0_14default_configENS1_29reduce_by_key_config_selectorIslN6thrust23THRUST_200600_302600_NS4plusIlEEEEZZNS1_33reduce_by_key_impl_wrapped_configILNS1_25lookback_scan_determinismE0ES3_S9_PsNS6_17constant_iteratorIiNS6_11use_defaultESE_EENS6_10device_ptrIsEENSG_IlEEPmS8_NS6_8equal_toIsEEEE10hipError_tPvRmT2_T3_mT4_T5_T6_T7_T8_P12ihipStream_tbENKUlT_T0_E_clISt17integral_constantIbLb1EES12_IbLb0EEEEDaSY_SZ_EUlSY_E_NS1_11comp_targetILNS1_3genE10ELNS1_11target_archE1201ELNS1_3gpuE5ELNS1_3repE0EEENS1_30default_config_static_selectorELNS0_4arch9wavefront6targetE1EEEvT1_.kd
    .uniform_work_group_size: 1
    .uses_dynamic_stack: false
    .vgpr_count:     0
    .vgpr_spill_count: 0
    .wavefront_size: 64
  - .args:
      - .offset:         0
        .size:           144
        .value_kind:     by_value
    .group_segment_fixed_size: 0
    .kernarg_segment_align: 8
    .kernarg_segment_size: 144
    .language:       OpenCL C
    .language_version:
      - 2
      - 0
    .max_flat_workgroup_size: 256
    .name:           _ZN7rocprim17ROCPRIM_400000_NS6detail17trampoline_kernelINS0_14default_configENS1_29reduce_by_key_config_selectorIslN6thrust23THRUST_200600_302600_NS4plusIlEEEEZZNS1_33reduce_by_key_impl_wrapped_configILNS1_25lookback_scan_determinismE0ES3_S9_PsNS6_17constant_iteratorIiNS6_11use_defaultESE_EENS6_10device_ptrIsEENSG_IlEEPmS8_NS6_8equal_toIsEEEE10hipError_tPvRmT2_T3_mT4_T5_T6_T7_T8_P12ihipStream_tbENKUlT_T0_E_clISt17integral_constantIbLb1EES12_IbLb0EEEEDaSY_SZ_EUlSY_E_NS1_11comp_targetILNS1_3genE10ELNS1_11target_archE1200ELNS1_3gpuE4ELNS1_3repE0EEENS1_30default_config_static_selectorELNS0_4arch9wavefront6targetE1EEEvT1_
    .private_segment_fixed_size: 0
    .sgpr_count:     4
    .sgpr_spill_count: 0
    .symbol:         _ZN7rocprim17ROCPRIM_400000_NS6detail17trampoline_kernelINS0_14default_configENS1_29reduce_by_key_config_selectorIslN6thrust23THRUST_200600_302600_NS4plusIlEEEEZZNS1_33reduce_by_key_impl_wrapped_configILNS1_25lookback_scan_determinismE0ES3_S9_PsNS6_17constant_iteratorIiNS6_11use_defaultESE_EENS6_10device_ptrIsEENSG_IlEEPmS8_NS6_8equal_toIsEEEE10hipError_tPvRmT2_T3_mT4_T5_T6_T7_T8_P12ihipStream_tbENKUlT_T0_E_clISt17integral_constantIbLb1EES12_IbLb0EEEEDaSY_SZ_EUlSY_E_NS1_11comp_targetILNS1_3genE10ELNS1_11target_archE1200ELNS1_3gpuE4ELNS1_3repE0EEENS1_30default_config_static_selectorELNS0_4arch9wavefront6targetE1EEEvT1_.kd
    .uniform_work_group_size: 1
    .uses_dynamic_stack: false
    .vgpr_count:     0
    .vgpr_spill_count: 0
    .wavefront_size: 64
  - .args:
      - .offset:         0
        .size:           144
        .value_kind:     by_value
    .group_segment_fixed_size: 0
    .kernarg_segment_align: 8
    .kernarg_segment_size: 144
    .language:       OpenCL C
    .language_version:
      - 2
      - 0
    .max_flat_workgroup_size: 256
    .name:           _ZN7rocprim17ROCPRIM_400000_NS6detail17trampoline_kernelINS0_14default_configENS1_29reduce_by_key_config_selectorIslN6thrust23THRUST_200600_302600_NS4plusIlEEEEZZNS1_33reduce_by_key_impl_wrapped_configILNS1_25lookback_scan_determinismE0ES3_S9_PsNS6_17constant_iteratorIiNS6_11use_defaultESE_EENS6_10device_ptrIsEENSG_IlEEPmS8_NS6_8equal_toIsEEEE10hipError_tPvRmT2_T3_mT4_T5_T6_T7_T8_P12ihipStream_tbENKUlT_T0_E_clISt17integral_constantIbLb1EES12_IbLb0EEEEDaSY_SZ_EUlSY_E_NS1_11comp_targetILNS1_3genE9ELNS1_11target_archE1100ELNS1_3gpuE3ELNS1_3repE0EEENS1_30default_config_static_selectorELNS0_4arch9wavefront6targetE1EEEvT1_
    .private_segment_fixed_size: 0
    .sgpr_count:     4
    .sgpr_spill_count: 0
    .symbol:         _ZN7rocprim17ROCPRIM_400000_NS6detail17trampoline_kernelINS0_14default_configENS1_29reduce_by_key_config_selectorIslN6thrust23THRUST_200600_302600_NS4plusIlEEEEZZNS1_33reduce_by_key_impl_wrapped_configILNS1_25lookback_scan_determinismE0ES3_S9_PsNS6_17constant_iteratorIiNS6_11use_defaultESE_EENS6_10device_ptrIsEENSG_IlEEPmS8_NS6_8equal_toIsEEEE10hipError_tPvRmT2_T3_mT4_T5_T6_T7_T8_P12ihipStream_tbENKUlT_T0_E_clISt17integral_constantIbLb1EES12_IbLb0EEEEDaSY_SZ_EUlSY_E_NS1_11comp_targetILNS1_3genE9ELNS1_11target_archE1100ELNS1_3gpuE3ELNS1_3repE0EEENS1_30default_config_static_selectorELNS0_4arch9wavefront6targetE1EEEvT1_.kd
    .uniform_work_group_size: 1
    .uses_dynamic_stack: false
    .vgpr_count:     0
    .vgpr_spill_count: 0
    .wavefront_size: 64
  - .args:
      - .offset:         0
        .size:           144
        .value_kind:     by_value
    .group_segment_fixed_size: 0
    .kernarg_segment_align: 8
    .kernarg_segment_size: 144
    .language:       OpenCL C
    .language_version:
      - 2
      - 0
    .max_flat_workgroup_size: 256
    .name:           _ZN7rocprim17ROCPRIM_400000_NS6detail17trampoline_kernelINS0_14default_configENS1_29reduce_by_key_config_selectorIslN6thrust23THRUST_200600_302600_NS4plusIlEEEEZZNS1_33reduce_by_key_impl_wrapped_configILNS1_25lookback_scan_determinismE0ES3_S9_PsNS6_17constant_iteratorIiNS6_11use_defaultESE_EENS6_10device_ptrIsEENSG_IlEEPmS8_NS6_8equal_toIsEEEE10hipError_tPvRmT2_T3_mT4_T5_T6_T7_T8_P12ihipStream_tbENKUlT_T0_E_clISt17integral_constantIbLb1EES12_IbLb0EEEEDaSY_SZ_EUlSY_E_NS1_11comp_targetILNS1_3genE8ELNS1_11target_archE1030ELNS1_3gpuE2ELNS1_3repE0EEENS1_30default_config_static_selectorELNS0_4arch9wavefront6targetE1EEEvT1_
    .private_segment_fixed_size: 0
    .sgpr_count:     4
    .sgpr_spill_count: 0
    .symbol:         _ZN7rocprim17ROCPRIM_400000_NS6detail17trampoline_kernelINS0_14default_configENS1_29reduce_by_key_config_selectorIslN6thrust23THRUST_200600_302600_NS4plusIlEEEEZZNS1_33reduce_by_key_impl_wrapped_configILNS1_25lookback_scan_determinismE0ES3_S9_PsNS6_17constant_iteratorIiNS6_11use_defaultESE_EENS6_10device_ptrIsEENSG_IlEEPmS8_NS6_8equal_toIsEEEE10hipError_tPvRmT2_T3_mT4_T5_T6_T7_T8_P12ihipStream_tbENKUlT_T0_E_clISt17integral_constantIbLb1EES12_IbLb0EEEEDaSY_SZ_EUlSY_E_NS1_11comp_targetILNS1_3genE8ELNS1_11target_archE1030ELNS1_3gpuE2ELNS1_3repE0EEENS1_30default_config_static_selectorELNS0_4arch9wavefront6targetE1EEEvT1_.kd
    .uniform_work_group_size: 1
    .uses_dynamic_stack: false
    .vgpr_count:     0
    .vgpr_spill_count: 0
    .wavefront_size: 64
  - .args:
      - .offset:         0
        .size:           144
        .value_kind:     by_value
    .group_segment_fixed_size: 0
    .kernarg_segment_align: 8
    .kernarg_segment_size: 144
    .language:       OpenCL C
    .language_version:
      - 2
      - 0
    .max_flat_workgroup_size: 256
    .name:           _ZN7rocprim17ROCPRIM_400000_NS6detail17trampoline_kernelINS0_14default_configENS1_29reduce_by_key_config_selectorIslN6thrust23THRUST_200600_302600_NS4plusIlEEEEZZNS1_33reduce_by_key_impl_wrapped_configILNS1_25lookback_scan_determinismE0ES3_S9_PsNS6_17constant_iteratorIiNS6_11use_defaultESE_EENS6_10device_ptrIsEENSG_IlEEPmS8_NS6_8equal_toIsEEEE10hipError_tPvRmT2_T3_mT4_T5_T6_T7_T8_P12ihipStream_tbENKUlT_T0_E_clISt17integral_constantIbLb0EES12_IbLb1EEEEDaSY_SZ_EUlSY_E_NS1_11comp_targetILNS1_3genE0ELNS1_11target_archE4294967295ELNS1_3gpuE0ELNS1_3repE0EEENS1_30default_config_static_selectorELNS0_4arch9wavefront6targetE1EEEvT1_
    .private_segment_fixed_size: 0
    .sgpr_count:     4
    .sgpr_spill_count: 0
    .symbol:         _ZN7rocprim17ROCPRIM_400000_NS6detail17trampoline_kernelINS0_14default_configENS1_29reduce_by_key_config_selectorIslN6thrust23THRUST_200600_302600_NS4plusIlEEEEZZNS1_33reduce_by_key_impl_wrapped_configILNS1_25lookback_scan_determinismE0ES3_S9_PsNS6_17constant_iteratorIiNS6_11use_defaultESE_EENS6_10device_ptrIsEENSG_IlEEPmS8_NS6_8equal_toIsEEEE10hipError_tPvRmT2_T3_mT4_T5_T6_T7_T8_P12ihipStream_tbENKUlT_T0_E_clISt17integral_constantIbLb0EES12_IbLb1EEEEDaSY_SZ_EUlSY_E_NS1_11comp_targetILNS1_3genE0ELNS1_11target_archE4294967295ELNS1_3gpuE0ELNS1_3repE0EEENS1_30default_config_static_selectorELNS0_4arch9wavefront6targetE1EEEvT1_.kd
    .uniform_work_group_size: 1
    .uses_dynamic_stack: false
    .vgpr_count:     0
    .vgpr_spill_count: 0
    .wavefront_size: 64
  - .args:
      - .offset:         0
        .size:           144
        .value_kind:     by_value
    .group_segment_fixed_size: 0
    .kernarg_segment_align: 8
    .kernarg_segment_size: 144
    .language:       OpenCL C
    .language_version:
      - 2
      - 0
    .max_flat_workgroup_size: 256
    .name:           _ZN7rocprim17ROCPRIM_400000_NS6detail17trampoline_kernelINS0_14default_configENS1_29reduce_by_key_config_selectorIslN6thrust23THRUST_200600_302600_NS4plusIlEEEEZZNS1_33reduce_by_key_impl_wrapped_configILNS1_25lookback_scan_determinismE0ES3_S9_PsNS6_17constant_iteratorIiNS6_11use_defaultESE_EENS6_10device_ptrIsEENSG_IlEEPmS8_NS6_8equal_toIsEEEE10hipError_tPvRmT2_T3_mT4_T5_T6_T7_T8_P12ihipStream_tbENKUlT_T0_E_clISt17integral_constantIbLb0EES12_IbLb1EEEEDaSY_SZ_EUlSY_E_NS1_11comp_targetILNS1_3genE5ELNS1_11target_archE942ELNS1_3gpuE9ELNS1_3repE0EEENS1_30default_config_static_selectorELNS0_4arch9wavefront6targetE1EEEvT1_
    .private_segment_fixed_size: 0
    .sgpr_count:     4
    .sgpr_spill_count: 0
    .symbol:         _ZN7rocprim17ROCPRIM_400000_NS6detail17trampoline_kernelINS0_14default_configENS1_29reduce_by_key_config_selectorIslN6thrust23THRUST_200600_302600_NS4plusIlEEEEZZNS1_33reduce_by_key_impl_wrapped_configILNS1_25lookback_scan_determinismE0ES3_S9_PsNS6_17constant_iteratorIiNS6_11use_defaultESE_EENS6_10device_ptrIsEENSG_IlEEPmS8_NS6_8equal_toIsEEEE10hipError_tPvRmT2_T3_mT4_T5_T6_T7_T8_P12ihipStream_tbENKUlT_T0_E_clISt17integral_constantIbLb0EES12_IbLb1EEEEDaSY_SZ_EUlSY_E_NS1_11comp_targetILNS1_3genE5ELNS1_11target_archE942ELNS1_3gpuE9ELNS1_3repE0EEENS1_30default_config_static_selectorELNS0_4arch9wavefront6targetE1EEEvT1_.kd
    .uniform_work_group_size: 1
    .uses_dynamic_stack: false
    .vgpr_count:     0
    .vgpr_spill_count: 0
    .wavefront_size: 64
  - .args:
      - .offset:         0
        .size:           144
        .value_kind:     by_value
    .group_segment_fixed_size: 0
    .kernarg_segment_align: 8
    .kernarg_segment_size: 144
    .language:       OpenCL C
    .language_version:
      - 2
      - 0
    .max_flat_workgroup_size: 256
    .name:           _ZN7rocprim17ROCPRIM_400000_NS6detail17trampoline_kernelINS0_14default_configENS1_29reduce_by_key_config_selectorIslN6thrust23THRUST_200600_302600_NS4plusIlEEEEZZNS1_33reduce_by_key_impl_wrapped_configILNS1_25lookback_scan_determinismE0ES3_S9_PsNS6_17constant_iteratorIiNS6_11use_defaultESE_EENS6_10device_ptrIsEENSG_IlEEPmS8_NS6_8equal_toIsEEEE10hipError_tPvRmT2_T3_mT4_T5_T6_T7_T8_P12ihipStream_tbENKUlT_T0_E_clISt17integral_constantIbLb0EES12_IbLb1EEEEDaSY_SZ_EUlSY_E_NS1_11comp_targetILNS1_3genE4ELNS1_11target_archE910ELNS1_3gpuE8ELNS1_3repE0EEENS1_30default_config_static_selectorELNS0_4arch9wavefront6targetE1EEEvT1_
    .private_segment_fixed_size: 0
    .sgpr_count:     4
    .sgpr_spill_count: 0
    .symbol:         _ZN7rocprim17ROCPRIM_400000_NS6detail17trampoline_kernelINS0_14default_configENS1_29reduce_by_key_config_selectorIslN6thrust23THRUST_200600_302600_NS4plusIlEEEEZZNS1_33reduce_by_key_impl_wrapped_configILNS1_25lookback_scan_determinismE0ES3_S9_PsNS6_17constant_iteratorIiNS6_11use_defaultESE_EENS6_10device_ptrIsEENSG_IlEEPmS8_NS6_8equal_toIsEEEE10hipError_tPvRmT2_T3_mT4_T5_T6_T7_T8_P12ihipStream_tbENKUlT_T0_E_clISt17integral_constantIbLb0EES12_IbLb1EEEEDaSY_SZ_EUlSY_E_NS1_11comp_targetILNS1_3genE4ELNS1_11target_archE910ELNS1_3gpuE8ELNS1_3repE0EEENS1_30default_config_static_selectorELNS0_4arch9wavefront6targetE1EEEvT1_.kd
    .uniform_work_group_size: 1
    .uses_dynamic_stack: false
    .vgpr_count:     0
    .vgpr_spill_count: 0
    .wavefront_size: 64
  - .args:
      - .offset:         0
        .size:           144
        .value_kind:     by_value
    .group_segment_fixed_size: 0
    .kernarg_segment_align: 8
    .kernarg_segment_size: 144
    .language:       OpenCL C
    .language_version:
      - 2
      - 0
    .max_flat_workgroup_size: 256
    .name:           _ZN7rocprim17ROCPRIM_400000_NS6detail17trampoline_kernelINS0_14default_configENS1_29reduce_by_key_config_selectorIslN6thrust23THRUST_200600_302600_NS4plusIlEEEEZZNS1_33reduce_by_key_impl_wrapped_configILNS1_25lookback_scan_determinismE0ES3_S9_PsNS6_17constant_iteratorIiNS6_11use_defaultESE_EENS6_10device_ptrIsEENSG_IlEEPmS8_NS6_8equal_toIsEEEE10hipError_tPvRmT2_T3_mT4_T5_T6_T7_T8_P12ihipStream_tbENKUlT_T0_E_clISt17integral_constantIbLb0EES12_IbLb1EEEEDaSY_SZ_EUlSY_E_NS1_11comp_targetILNS1_3genE3ELNS1_11target_archE908ELNS1_3gpuE7ELNS1_3repE0EEENS1_30default_config_static_selectorELNS0_4arch9wavefront6targetE1EEEvT1_
    .private_segment_fixed_size: 0
    .sgpr_count:     4
    .sgpr_spill_count: 0
    .symbol:         _ZN7rocprim17ROCPRIM_400000_NS6detail17trampoline_kernelINS0_14default_configENS1_29reduce_by_key_config_selectorIslN6thrust23THRUST_200600_302600_NS4plusIlEEEEZZNS1_33reduce_by_key_impl_wrapped_configILNS1_25lookback_scan_determinismE0ES3_S9_PsNS6_17constant_iteratorIiNS6_11use_defaultESE_EENS6_10device_ptrIsEENSG_IlEEPmS8_NS6_8equal_toIsEEEE10hipError_tPvRmT2_T3_mT4_T5_T6_T7_T8_P12ihipStream_tbENKUlT_T0_E_clISt17integral_constantIbLb0EES12_IbLb1EEEEDaSY_SZ_EUlSY_E_NS1_11comp_targetILNS1_3genE3ELNS1_11target_archE908ELNS1_3gpuE7ELNS1_3repE0EEENS1_30default_config_static_selectorELNS0_4arch9wavefront6targetE1EEEvT1_.kd
    .uniform_work_group_size: 1
    .uses_dynamic_stack: false
    .vgpr_count:     0
    .vgpr_spill_count: 0
    .wavefront_size: 64
  - .args:
      - .offset:         0
        .size:           144
        .value_kind:     by_value
    .group_segment_fixed_size: 30720
    .kernarg_segment_align: 8
    .kernarg_segment_size: 144
    .language:       OpenCL C
    .language_version:
      - 2
      - 0
    .max_flat_workgroup_size: 256
    .name:           _ZN7rocprim17ROCPRIM_400000_NS6detail17trampoline_kernelINS0_14default_configENS1_29reduce_by_key_config_selectorIslN6thrust23THRUST_200600_302600_NS4plusIlEEEEZZNS1_33reduce_by_key_impl_wrapped_configILNS1_25lookback_scan_determinismE0ES3_S9_PsNS6_17constant_iteratorIiNS6_11use_defaultESE_EENS6_10device_ptrIsEENSG_IlEEPmS8_NS6_8equal_toIsEEEE10hipError_tPvRmT2_T3_mT4_T5_T6_T7_T8_P12ihipStream_tbENKUlT_T0_E_clISt17integral_constantIbLb0EES12_IbLb1EEEEDaSY_SZ_EUlSY_E_NS1_11comp_targetILNS1_3genE2ELNS1_11target_archE906ELNS1_3gpuE6ELNS1_3repE0EEENS1_30default_config_static_selectorELNS0_4arch9wavefront6targetE1EEEvT1_
    .private_segment_fixed_size: 64
    .sgpr_count:     72
    .sgpr_spill_count: 0
    .symbol:         _ZN7rocprim17ROCPRIM_400000_NS6detail17trampoline_kernelINS0_14default_configENS1_29reduce_by_key_config_selectorIslN6thrust23THRUST_200600_302600_NS4plusIlEEEEZZNS1_33reduce_by_key_impl_wrapped_configILNS1_25lookback_scan_determinismE0ES3_S9_PsNS6_17constant_iteratorIiNS6_11use_defaultESE_EENS6_10device_ptrIsEENSG_IlEEPmS8_NS6_8equal_toIsEEEE10hipError_tPvRmT2_T3_mT4_T5_T6_T7_T8_P12ihipStream_tbENKUlT_T0_E_clISt17integral_constantIbLb0EES12_IbLb1EEEEDaSY_SZ_EUlSY_E_NS1_11comp_targetILNS1_3genE2ELNS1_11target_archE906ELNS1_3gpuE6ELNS1_3repE0EEENS1_30default_config_static_selectorELNS0_4arch9wavefront6targetE1EEEvT1_.kd
    .uniform_work_group_size: 1
    .uses_dynamic_stack: false
    .vgpr_count:     106
    .vgpr_spill_count: 0
    .wavefront_size: 64
  - .args:
      - .offset:         0
        .size:           144
        .value_kind:     by_value
    .group_segment_fixed_size: 0
    .kernarg_segment_align: 8
    .kernarg_segment_size: 144
    .language:       OpenCL C
    .language_version:
      - 2
      - 0
    .max_flat_workgroup_size: 256
    .name:           _ZN7rocprim17ROCPRIM_400000_NS6detail17trampoline_kernelINS0_14default_configENS1_29reduce_by_key_config_selectorIslN6thrust23THRUST_200600_302600_NS4plusIlEEEEZZNS1_33reduce_by_key_impl_wrapped_configILNS1_25lookback_scan_determinismE0ES3_S9_PsNS6_17constant_iteratorIiNS6_11use_defaultESE_EENS6_10device_ptrIsEENSG_IlEEPmS8_NS6_8equal_toIsEEEE10hipError_tPvRmT2_T3_mT4_T5_T6_T7_T8_P12ihipStream_tbENKUlT_T0_E_clISt17integral_constantIbLb0EES12_IbLb1EEEEDaSY_SZ_EUlSY_E_NS1_11comp_targetILNS1_3genE10ELNS1_11target_archE1201ELNS1_3gpuE5ELNS1_3repE0EEENS1_30default_config_static_selectorELNS0_4arch9wavefront6targetE1EEEvT1_
    .private_segment_fixed_size: 0
    .sgpr_count:     4
    .sgpr_spill_count: 0
    .symbol:         _ZN7rocprim17ROCPRIM_400000_NS6detail17trampoline_kernelINS0_14default_configENS1_29reduce_by_key_config_selectorIslN6thrust23THRUST_200600_302600_NS4plusIlEEEEZZNS1_33reduce_by_key_impl_wrapped_configILNS1_25lookback_scan_determinismE0ES3_S9_PsNS6_17constant_iteratorIiNS6_11use_defaultESE_EENS6_10device_ptrIsEENSG_IlEEPmS8_NS6_8equal_toIsEEEE10hipError_tPvRmT2_T3_mT4_T5_T6_T7_T8_P12ihipStream_tbENKUlT_T0_E_clISt17integral_constantIbLb0EES12_IbLb1EEEEDaSY_SZ_EUlSY_E_NS1_11comp_targetILNS1_3genE10ELNS1_11target_archE1201ELNS1_3gpuE5ELNS1_3repE0EEENS1_30default_config_static_selectorELNS0_4arch9wavefront6targetE1EEEvT1_.kd
    .uniform_work_group_size: 1
    .uses_dynamic_stack: false
    .vgpr_count:     0
    .vgpr_spill_count: 0
    .wavefront_size: 64
  - .args:
      - .offset:         0
        .size:           144
        .value_kind:     by_value
    .group_segment_fixed_size: 0
    .kernarg_segment_align: 8
    .kernarg_segment_size: 144
    .language:       OpenCL C
    .language_version:
      - 2
      - 0
    .max_flat_workgroup_size: 256
    .name:           _ZN7rocprim17ROCPRIM_400000_NS6detail17trampoline_kernelINS0_14default_configENS1_29reduce_by_key_config_selectorIslN6thrust23THRUST_200600_302600_NS4plusIlEEEEZZNS1_33reduce_by_key_impl_wrapped_configILNS1_25lookback_scan_determinismE0ES3_S9_PsNS6_17constant_iteratorIiNS6_11use_defaultESE_EENS6_10device_ptrIsEENSG_IlEEPmS8_NS6_8equal_toIsEEEE10hipError_tPvRmT2_T3_mT4_T5_T6_T7_T8_P12ihipStream_tbENKUlT_T0_E_clISt17integral_constantIbLb0EES12_IbLb1EEEEDaSY_SZ_EUlSY_E_NS1_11comp_targetILNS1_3genE10ELNS1_11target_archE1200ELNS1_3gpuE4ELNS1_3repE0EEENS1_30default_config_static_selectorELNS0_4arch9wavefront6targetE1EEEvT1_
    .private_segment_fixed_size: 0
    .sgpr_count:     4
    .sgpr_spill_count: 0
    .symbol:         _ZN7rocprim17ROCPRIM_400000_NS6detail17trampoline_kernelINS0_14default_configENS1_29reduce_by_key_config_selectorIslN6thrust23THRUST_200600_302600_NS4plusIlEEEEZZNS1_33reduce_by_key_impl_wrapped_configILNS1_25lookback_scan_determinismE0ES3_S9_PsNS6_17constant_iteratorIiNS6_11use_defaultESE_EENS6_10device_ptrIsEENSG_IlEEPmS8_NS6_8equal_toIsEEEE10hipError_tPvRmT2_T3_mT4_T5_T6_T7_T8_P12ihipStream_tbENKUlT_T0_E_clISt17integral_constantIbLb0EES12_IbLb1EEEEDaSY_SZ_EUlSY_E_NS1_11comp_targetILNS1_3genE10ELNS1_11target_archE1200ELNS1_3gpuE4ELNS1_3repE0EEENS1_30default_config_static_selectorELNS0_4arch9wavefront6targetE1EEEvT1_.kd
    .uniform_work_group_size: 1
    .uses_dynamic_stack: false
    .vgpr_count:     0
    .vgpr_spill_count: 0
    .wavefront_size: 64
  - .args:
      - .offset:         0
        .size:           144
        .value_kind:     by_value
    .group_segment_fixed_size: 0
    .kernarg_segment_align: 8
    .kernarg_segment_size: 144
    .language:       OpenCL C
    .language_version:
      - 2
      - 0
    .max_flat_workgroup_size: 256
    .name:           _ZN7rocprim17ROCPRIM_400000_NS6detail17trampoline_kernelINS0_14default_configENS1_29reduce_by_key_config_selectorIslN6thrust23THRUST_200600_302600_NS4plusIlEEEEZZNS1_33reduce_by_key_impl_wrapped_configILNS1_25lookback_scan_determinismE0ES3_S9_PsNS6_17constant_iteratorIiNS6_11use_defaultESE_EENS6_10device_ptrIsEENSG_IlEEPmS8_NS6_8equal_toIsEEEE10hipError_tPvRmT2_T3_mT4_T5_T6_T7_T8_P12ihipStream_tbENKUlT_T0_E_clISt17integral_constantIbLb0EES12_IbLb1EEEEDaSY_SZ_EUlSY_E_NS1_11comp_targetILNS1_3genE9ELNS1_11target_archE1100ELNS1_3gpuE3ELNS1_3repE0EEENS1_30default_config_static_selectorELNS0_4arch9wavefront6targetE1EEEvT1_
    .private_segment_fixed_size: 0
    .sgpr_count:     4
    .sgpr_spill_count: 0
    .symbol:         _ZN7rocprim17ROCPRIM_400000_NS6detail17trampoline_kernelINS0_14default_configENS1_29reduce_by_key_config_selectorIslN6thrust23THRUST_200600_302600_NS4plusIlEEEEZZNS1_33reduce_by_key_impl_wrapped_configILNS1_25lookback_scan_determinismE0ES3_S9_PsNS6_17constant_iteratorIiNS6_11use_defaultESE_EENS6_10device_ptrIsEENSG_IlEEPmS8_NS6_8equal_toIsEEEE10hipError_tPvRmT2_T3_mT4_T5_T6_T7_T8_P12ihipStream_tbENKUlT_T0_E_clISt17integral_constantIbLb0EES12_IbLb1EEEEDaSY_SZ_EUlSY_E_NS1_11comp_targetILNS1_3genE9ELNS1_11target_archE1100ELNS1_3gpuE3ELNS1_3repE0EEENS1_30default_config_static_selectorELNS0_4arch9wavefront6targetE1EEEvT1_.kd
    .uniform_work_group_size: 1
    .uses_dynamic_stack: false
    .vgpr_count:     0
    .vgpr_spill_count: 0
    .wavefront_size: 64
  - .args:
      - .offset:         0
        .size:           144
        .value_kind:     by_value
    .group_segment_fixed_size: 0
    .kernarg_segment_align: 8
    .kernarg_segment_size: 144
    .language:       OpenCL C
    .language_version:
      - 2
      - 0
    .max_flat_workgroup_size: 256
    .name:           _ZN7rocprim17ROCPRIM_400000_NS6detail17trampoline_kernelINS0_14default_configENS1_29reduce_by_key_config_selectorIslN6thrust23THRUST_200600_302600_NS4plusIlEEEEZZNS1_33reduce_by_key_impl_wrapped_configILNS1_25lookback_scan_determinismE0ES3_S9_PsNS6_17constant_iteratorIiNS6_11use_defaultESE_EENS6_10device_ptrIsEENSG_IlEEPmS8_NS6_8equal_toIsEEEE10hipError_tPvRmT2_T3_mT4_T5_T6_T7_T8_P12ihipStream_tbENKUlT_T0_E_clISt17integral_constantIbLb0EES12_IbLb1EEEEDaSY_SZ_EUlSY_E_NS1_11comp_targetILNS1_3genE8ELNS1_11target_archE1030ELNS1_3gpuE2ELNS1_3repE0EEENS1_30default_config_static_selectorELNS0_4arch9wavefront6targetE1EEEvT1_
    .private_segment_fixed_size: 0
    .sgpr_count:     4
    .sgpr_spill_count: 0
    .symbol:         _ZN7rocprim17ROCPRIM_400000_NS6detail17trampoline_kernelINS0_14default_configENS1_29reduce_by_key_config_selectorIslN6thrust23THRUST_200600_302600_NS4plusIlEEEEZZNS1_33reduce_by_key_impl_wrapped_configILNS1_25lookback_scan_determinismE0ES3_S9_PsNS6_17constant_iteratorIiNS6_11use_defaultESE_EENS6_10device_ptrIsEENSG_IlEEPmS8_NS6_8equal_toIsEEEE10hipError_tPvRmT2_T3_mT4_T5_T6_T7_T8_P12ihipStream_tbENKUlT_T0_E_clISt17integral_constantIbLb0EES12_IbLb1EEEEDaSY_SZ_EUlSY_E_NS1_11comp_targetILNS1_3genE8ELNS1_11target_archE1030ELNS1_3gpuE2ELNS1_3repE0EEENS1_30default_config_static_selectorELNS0_4arch9wavefront6targetE1EEEvT1_.kd
    .uniform_work_group_size: 1
    .uses_dynamic_stack: false
    .vgpr_count:     0
    .vgpr_spill_count: 0
    .wavefront_size: 64
  - .args:
      - .offset:         0
        .size:           88
        .value_kind:     by_value
    .group_segment_fixed_size: 0
    .kernarg_segment_align: 8
    .kernarg_segment_size: 88
    .language:       OpenCL C
    .language_version:
      - 2
      - 0
    .max_flat_workgroup_size: 128
    .name:           _ZN7rocprim17ROCPRIM_400000_NS6detail17trampoline_kernelINS0_14default_configENS1_22reduce_config_selectorIN6thrust23THRUST_200600_302600_NS5tupleIblNS6_9null_typeES8_S8_S8_S8_S8_S8_S8_EEEEZNS1_11reduce_implILb1ES3_NS6_12zip_iteratorINS7_INS6_11hip_rocprim26transform_input_iterator_tIbPsNS6_6detail10functional5actorINSH_9compositeIJNSH_27transparent_binary_operatorINS6_8equal_toIvEEEENSI_INSH_8argumentILj0EEEEENSH_5valueIsEEEEEEEEENSD_19counting_iterator_tIlEES8_S8_S8_S8_S8_S8_S8_S8_EEEEPS9_S9_NSD_9__find_if7functorIS9_EEEE10hipError_tPvRmT1_T2_T3_mT4_P12ihipStream_tbEUlT_E0_NS1_11comp_targetILNS1_3genE0ELNS1_11target_archE4294967295ELNS1_3gpuE0ELNS1_3repE0EEENS1_30default_config_static_selectorELNS0_4arch9wavefront6targetE1EEEvS17_
    .private_segment_fixed_size: 0
    .sgpr_count:     4
    .sgpr_spill_count: 0
    .symbol:         _ZN7rocprim17ROCPRIM_400000_NS6detail17trampoline_kernelINS0_14default_configENS1_22reduce_config_selectorIN6thrust23THRUST_200600_302600_NS5tupleIblNS6_9null_typeES8_S8_S8_S8_S8_S8_S8_EEEEZNS1_11reduce_implILb1ES3_NS6_12zip_iteratorINS7_INS6_11hip_rocprim26transform_input_iterator_tIbPsNS6_6detail10functional5actorINSH_9compositeIJNSH_27transparent_binary_operatorINS6_8equal_toIvEEEENSI_INSH_8argumentILj0EEEEENSH_5valueIsEEEEEEEEENSD_19counting_iterator_tIlEES8_S8_S8_S8_S8_S8_S8_S8_EEEEPS9_S9_NSD_9__find_if7functorIS9_EEEE10hipError_tPvRmT1_T2_T3_mT4_P12ihipStream_tbEUlT_E0_NS1_11comp_targetILNS1_3genE0ELNS1_11target_archE4294967295ELNS1_3gpuE0ELNS1_3repE0EEENS1_30default_config_static_selectorELNS0_4arch9wavefront6targetE1EEEvS17_.kd
    .uniform_work_group_size: 1
    .uses_dynamic_stack: false
    .vgpr_count:     0
    .vgpr_spill_count: 0
    .wavefront_size: 64
  - .args:
      - .offset:         0
        .size:           88
        .value_kind:     by_value
    .group_segment_fixed_size: 0
    .kernarg_segment_align: 8
    .kernarg_segment_size: 88
    .language:       OpenCL C
    .language_version:
      - 2
      - 0
    .max_flat_workgroup_size: 256
    .name:           _ZN7rocprim17ROCPRIM_400000_NS6detail17trampoline_kernelINS0_14default_configENS1_22reduce_config_selectorIN6thrust23THRUST_200600_302600_NS5tupleIblNS6_9null_typeES8_S8_S8_S8_S8_S8_S8_EEEEZNS1_11reduce_implILb1ES3_NS6_12zip_iteratorINS7_INS6_11hip_rocprim26transform_input_iterator_tIbPsNS6_6detail10functional5actorINSH_9compositeIJNSH_27transparent_binary_operatorINS6_8equal_toIvEEEENSI_INSH_8argumentILj0EEEEENSH_5valueIsEEEEEEEEENSD_19counting_iterator_tIlEES8_S8_S8_S8_S8_S8_S8_S8_EEEEPS9_S9_NSD_9__find_if7functorIS9_EEEE10hipError_tPvRmT1_T2_T3_mT4_P12ihipStream_tbEUlT_E0_NS1_11comp_targetILNS1_3genE5ELNS1_11target_archE942ELNS1_3gpuE9ELNS1_3repE0EEENS1_30default_config_static_selectorELNS0_4arch9wavefront6targetE1EEEvS17_
    .private_segment_fixed_size: 0
    .sgpr_count:     4
    .sgpr_spill_count: 0
    .symbol:         _ZN7rocprim17ROCPRIM_400000_NS6detail17trampoline_kernelINS0_14default_configENS1_22reduce_config_selectorIN6thrust23THRUST_200600_302600_NS5tupleIblNS6_9null_typeES8_S8_S8_S8_S8_S8_S8_EEEEZNS1_11reduce_implILb1ES3_NS6_12zip_iteratorINS7_INS6_11hip_rocprim26transform_input_iterator_tIbPsNS6_6detail10functional5actorINSH_9compositeIJNSH_27transparent_binary_operatorINS6_8equal_toIvEEEENSI_INSH_8argumentILj0EEEEENSH_5valueIsEEEEEEEEENSD_19counting_iterator_tIlEES8_S8_S8_S8_S8_S8_S8_S8_EEEEPS9_S9_NSD_9__find_if7functorIS9_EEEE10hipError_tPvRmT1_T2_T3_mT4_P12ihipStream_tbEUlT_E0_NS1_11comp_targetILNS1_3genE5ELNS1_11target_archE942ELNS1_3gpuE9ELNS1_3repE0EEENS1_30default_config_static_selectorELNS0_4arch9wavefront6targetE1EEEvS17_.kd
    .uniform_work_group_size: 1
    .uses_dynamic_stack: false
    .vgpr_count:     0
    .vgpr_spill_count: 0
    .wavefront_size: 64
  - .args:
      - .offset:         0
        .size:           88
        .value_kind:     by_value
    .group_segment_fixed_size: 0
    .kernarg_segment_align: 8
    .kernarg_segment_size: 88
    .language:       OpenCL C
    .language_version:
      - 2
      - 0
    .max_flat_workgroup_size: 256
    .name:           _ZN7rocprim17ROCPRIM_400000_NS6detail17trampoline_kernelINS0_14default_configENS1_22reduce_config_selectorIN6thrust23THRUST_200600_302600_NS5tupleIblNS6_9null_typeES8_S8_S8_S8_S8_S8_S8_EEEEZNS1_11reduce_implILb1ES3_NS6_12zip_iteratorINS7_INS6_11hip_rocprim26transform_input_iterator_tIbPsNS6_6detail10functional5actorINSH_9compositeIJNSH_27transparent_binary_operatorINS6_8equal_toIvEEEENSI_INSH_8argumentILj0EEEEENSH_5valueIsEEEEEEEEENSD_19counting_iterator_tIlEES8_S8_S8_S8_S8_S8_S8_S8_EEEEPS9_S9_NSD_9__find_if7functorIS9_EEEE10hipError_tPvRmT1_T2_T3_mT4_P12ihipStream_tbEUlT_E0_NS1_11comp_targetILNS1_3genE4ELNS1_11target_archE910ELNS1_3gpuE8ELNS1_3repE0EEENS1_30default_config_static_selectorELNS0_4arch9wavefront6targetE1EEEvS17_
    .private_segment_fixed_size: 0
    .sgpr_count:     4
    .sgpr_spill_count: 0
    .symbol:         _ZN7rocprim17ROCPRIM_400000_NS6detail17trampoline_kernelINS0_14default_configENS1_22reduce_config_selectorIN6thrust23THRUST_200600_302600_NS5tupleIblNS6_9null_typeES8_S8_S8_S8_S8_S8_S8_EEEEZNS1_11reduce_implILb1ES3_NS6_12zip_iteratorINS7_INS6_11hip_rocprim26transform_input_iterator_tIbPsNS6_6detail10functional5actorINSH_9compositeIJNSH_27transparent_binary_operatorINS6_8equal_toIvEEEENSI_INSH_8argumentILj0EEEEENSH_5valueIsEEEEEEEEENSD_19counting_iterator_tIlEES8_S8_S8_S8_S8_S8_S8_S8_EEEEPS9_S9_NSD_9__find_if7functorIS9_EEEE10hipError_tPvRmT1_T2_T3_mT4_P12ihipStream_tbEUlT_E0_NS1_11comp_targetILNS1_3genE4ELNS1_11target_archE910ELNS1_3gpuE8ELNS1_3repE0EEENS1_30default_config_static_selectorELNS0_4arch9wavefront6targetE1EEEvS17_.kd
    .uniform_work_group_size: 1
    .uses_dynamic_stack: false
    .vgpr_count:     0
    .vgpr_spill_count: 0
    .wavefront_size: 64
  - .args:
      - .offset:         0
        .size:           88
        .value_kind:     by_value
    .group_segment_fixed_size: 0
    .kernarg_segment_align: 8
    .kernarg_segment_size: 88
    .language:       OpenCL C
    .language_version:
      - 2
      - 0
    .max_flat_workgroup_size: 128
    .name:           _ZN7rocprim17ROCPRIM_400000_NS6detail17trampoline_kernelINS0_14default_configENS1_22reduce_config_selectorIN6thrust23THRUST_200600_302600_NS5tupleIblNS6_9null_typeES8_S8_S8_S8_S8_S8_S8_EEEEZNS1_11reduce_implILb1ES3_NS6_12zip_iteratorINS7_INS6_11hip_rocprim26transform_input_iterator_tIbPsNS6_6detail10functional5actorINSH_9compositeIJNSH_27transparent_binary_operatorINS6_8equal_toIvEEEENSI_INSH_8argumentILj0EEEEENSH_5valueIsEEEEEEEEENSD_19counting_iterator_tIlEES8_S8_S8_S8_S8_S8_S8_S8_EEEEPS9_S9_NSD_9__find_if7functorIS9_EEEE10hipError_tPvRmT1_T2_T3_mT4_P12ihipStream_tbEUlT_E0_NS1_11comp_targetILNS1_3genE3ELNS1_11target_archE908ELNS1_3gpuE7ELNS1_3repE0EEENS1_30default_config_static_selectorELNS0_4arch9wavefront6targetE1EEEvS17_
    .private_segment_fixed_size: 0
    .sgpr_count:     4
    .sgpr_spill_count: 0
    .symbol:         _ZN7rocprim17ROCPRIM_400000_NS6detail17trampoline_kernelINS0_14default_configENS1_22reduce_config_selectorIN6thrust23THRUST_200600_302600_NS5tupleIblNS6_9null_typeES8_S8_S8_S8_S8_S8_S8_EEEEZNS1_11reduce_implILb1ES3_NS6_12zip_iteratorINS7_INS6_11hip_rocprim26transform_input_iterator_tIbPsNS6_6detail10functional5actorINSH_9compositeIJNSH_27transparent_binary_operatorINS6_8equal_toIvEEEENSI_INSH_8argumentILj0EEEEENSH_5valueIsEEEEEEEEENSD_19counting_iterator_tIlEES8_S8_S8_S8_S8_S8_S8_S8_EEEEPS9_S9_NSD_9__find_if7functorIS9_EEEE10hipError_tPvRmT1_T2_T3_mT4_P12ihipStream_tbEUlT_E0_NS1_11comp_targetILNS1_3genE3ELNS1_11target_archE908ELNS1_3gpuE7ELNS1_3repE0EEENS1_30default_config_static_selectorELNS0_4arch9wavefront6targetE1EEEvS17_.kd
    .uniform_work_group_size: 1
    .uses_dynamic_stack: false
    .vgpr_count:     0
    .vgpr_spill_count: 0
    .wavefront_size: 64
  - .args:
      - .offset:         0
        .size:           88
        .value_kind:     by_value
    .group_segment_fixed_size: 64
    .kernarg_segment_align: 8
    .kernarg_segment_size: 88
    .language:       OpenCL C
    .language_version:
      - 2
      - 0
    .max_flat_workgroup_size: 128
    .name:           _ZN7rocprim17ROCPRIM_400000_NS6detail17trampoline_kernelINS0_14default_configENS1_22reduce_config_selectorIN6thrust23THRUST_200600_302600_NS5tupleIblNS6_9null_typeES8_S8_S8_S8_S8_S8_S8_EEEEZNS1_11reduce_implILb1ES3_NS6_12zip_iteratorINS7_INS6_11hip_rocprim26transform_input_iterator_tIbPsNS6_6detail10functional5actorINSH_9compositeIJNSH_27transparent_binary_operatorINS6_8equal_toIvEEEENSI_INSH_8argumentILj0EEEEENSH_5valueIsEEEEEEEEENSD_19counting_iterator_tIlEES8_S8_S8_S8_S8_S8_S8_S8_EEEEPS9_S9_NSD_9__find_if7functorIS9_EEEE10hipError_tPvRmT1_T2_T3_mT4_P12ihipStream_tbEUlT_E0_NS1_11comp_targetILNS1_3genE2ELNS1_11target_archE906ELNS1_3gpuE6ELNS1_3repE0EEENS1_30default_config_static_selectorELNS0_4arch9wavefront6targetE1EEEvS17_
    .private_segment_fixed_size: 0
    .sgpr_count:     33
    .sgpr_spill_count: 0
    .symbol:         _ZN7rocprim17ROCPRIM_400000_NS6detail17trampoline_kernelINS0_14default_configENS1_22reduce_config_selectorIN6thrust23THRUST_200600_302600_NS5tupleIblNS6_9null_typeES8_S8_S8_S8_S8_S8_S8_EEEEZNS1_11reduce_implILb1ES3_NS6_12zip_iteratorINS7_INS6_11hip_rocprim26transform_input_iterator_tIbPsNS6_6detail10functional5actorINSH_9compositeIJNSH_27transparent_binary_operatorINS6_8equal_toIvEEEENSI_INSH_8argumentILj0EEEEENSH_5valueIsEEEEEEEEENSD_19counting_iterator_tIlEES8_S8_S8_S8_S8_S8_S8_S8_EEEEPS9_S9_NSD_9__find_if7functorIS9_EEEE10hipError_tPvRmT1_T2_T3_mT4_P12ihipStream_tbEUlT_E0_NS1_11comp_targetILNS1_3genE2ELNS1_11target_archE906ELNS1_3gpuE6ELNS1_3repE0EEENS1_30default_config_static_selectorELNS0_4arch9wavefront6targetE1EEEvS17_.kd
    .uniform_work_group_size: 1
    .uses_dynamic_stack: false
    .vgpr_count:     13
    .vgpr_spill_count: 0
    .wavefront_size: 64
  - .args:
      - .offset:         0
        .size:           88
        .value_kind:     by_value
    .group_segment_fixed_size: 0
    .kernarg_segment_align: 8
    .kernarg_segment_size: 88
    .language:       OpenCL C
    .language_version:
      - 2
      - 0
    .max_flat_workgroup_size: 256
    .name:           _ZN7rocprim17ROCPRIM_400000_NS6detail17trampoline_kernelINS0_14default_configENS1_22reduce_config_selectorIN6thrust23THRUST_200600_302600_NS5tupleIblNS6_9null_typeES8_S8_S8_S8_S8_S8_S8_EEEEZNS1_11reduce_implILb1ES3_NS6_12zip_iteratorINS7_INS6_11hip_rocprim26transform_input_iterator_tIbPsNS6_6detail10functional5actorINSH_9compositeIJNSH_27transparent_binary_operatorINS6_8equal_toIvEEEENSI_INSH_8argumentILj0EEEEENSH_5valueIsEEEEEEEEENSD_19counting_iterator_tIlEES8_S8_S8_S8_S8_S8_S8_S8_EEEEPS9_S9_NSD_9__find_if7functorIS9_EEEE10hipError_tPvRmT1_T2_T3_mT4_P12ihipStream_tbEUlT_E0_NS1_11comp_targetILNS1_3genE10ELNS1_11target_archE1201ELNS1_3gpuE5ELNS1_3repE0EEENS1_30default_config_static_selectorELNS0_4arch9wavefront6targetE1EEEvS17_
    .private_segment_fixed_size: 0
    .sgpr_count:     4
    .sgpr_spill_count: 0
    .symbol:         _ZN7rocprim17ROCPRIM_400000_NS6detail17trampoline_kernelINS0_14default_configENS1_22reduce_config_selectorIN6thrust23THRUST_200600_302600_NS5tupleIblNS6_9null_typeES8_S8_S8_S8_S8_S8_S8_EEEEZNS1_11reduce_implILb1ES3_NS6_12zip_iteratorINS7_INS6_11hip_rocprim26transform_input_iterator_tIbPsNS6_6detail10functional5actorINSH_9compositeIJNSH_27transparent_binary_operatorINS6_8equal_toIvEEEENSI_INSH_8argumentILj0EEEEENSH_5valueIsEEEEEEEEENSD_19counting_iterator_tIlEES8_S8_S8_S8_S8_S8_S8_S8_EEEEPS9_S9_NSD_9__find_if7functorIS9_EEEE10hipError_tPvRmT1_T2_T3_mT4_P12ihipStream_tbEUlT_E0_NS1_11comp_targetILNS1_3genE10ELNS1_11target_archE1201ELNS1_3gpuE5ELNS1_3repE0EEENS1_30default_config_static_selectorELNS0_4arch9wavefront6targetE1EEEvS17_.kd
    .uniform_work_group_size: 1
    .uses_dynamic_stack: false
    .vgpr_count:     0
    .vgpr_spill_count: 0
    .wavefront_size: 64
  - .args:
      - .offset:         0
        .size:           88
        .value_kind:     by_value
    .group_segment_fixed_size: 0
    .kernarg_segment_align: 8
    .kernarg_segment_size: 88
    .language:       OpenCL C
    .language_version:
      - 2
      - 0
    .max_flat_workgroup_size: 256
    .name:           _ZN7rocprim17ROCPRIM_400000_NS6detail17trampoline_kernelINS0_14default_configENS1_22reduce_config_selectorIN6thrust23THRUST_200600_302600_NS5tupleIblNS6_9null_typeES8_S8_S8_S8_S8_S8_S8_EEEEZNS1_11reduce_implILb1ES3_NS6_12zip_iteratorINS7_INS6_11hip_rocprim26transform_input_iterator_tIbPsNS6_6detail10functional5actorINSH_9compositeIJNSH_27transparent_binary_operatorINS6_8equal_toIvEEEENSI_INSH_8argumentILj0EEEEENSH_5valueIsEEEEEEEEENSD_19counting_iterator_tIlEES8_S8_S8_S8_S8_S8_S8_S8_EEEEPS9_S9_NSD_9__find_if7functorIS9_EEEE10hipError_tPvRmT1_T2_T3_mT4_P12ihipStream_tbEUlT_E0_NS1_11comp_targetILNS1_3genE10ELNS1_11target_archE1200ELNS1_3gpuE4ELNS1_3repE0EEENS1_30default_config_static_selectorELNS0_4arch9wavefront6targetE1EEEvS17_
    .private_segment_fixed_size: 0
    .sgpr_count:     4
    .sgpr_spill_count: 0
    .symbol:         _ZN7rocprim17ROCPRIM_400000_NS6detail17trampoline_kernelINS0_14default_configENS1_22reduce_config_selectorIN6thrust23THRUST_200600_302600_NS5tupleIblNS6_9null_typeES8_S8_S8_S8_S8_S8_S8_EEEEZNS1_11reduce_implILb1ES3_NS6_12zip_iteratorINS7_INS6_11hip_rocprim26transform_input_iterator_tIbPsNS6_6detail10functional5actorINSH_9compositeIJNSH_27transparent_binary_operatorINS6_8equal_toIvEEEENSI_INSH_8argumentILj0EEEEENSH_5valueIsEEEEEEEEENSD_19counting_iterator_tIlEES8_S8_S8_S8_S8_S8_S8_S8_EEEEPS9_S9_NSD_9__find_if7functorIS9_EEEE10hipError_tPvRmT1_T2_T3_mT4_P12ihipStream_tbEUlT_E0_NS1_11comp_targetILNS1_3genE10ELNS1_11target_archE1200ELNS1_3gpuE4ELNS1_3repE0EEENS1_30default_config_static_selectorELNS0_4arch9wavefront6targetE1EEEvS17_.kd
    .uniform_work_group_size: 1
    .uses_dynamic_stack: false
    .vgpr_count:     0
    .vgpr_spill_count: 0
    .wavefront_size: 64
  - .args:
      - .offset:         0
        .size:           88
        .value_kind:     by_value
    .group_segment_fixed_size: 0
    .kernarg_segment_align: 8
    .kernarg_segment_size: 88
    .language:       OpenCL C
    .language_version:
      - 2
      - 0
    .max_flat_workgroup_size: 256
    .name:           _ZN7rocprim17ROCPRIM_400000_NS6detail17trampoline_kernelINS0_14default_configENS1_22reduce_config_selectorIN6thrust23THRUST_200600_302600_NS5tupleIblNS6_9null_typeES8_S8_S8_S8_S8_S8_S8_EEEEZNS1_11reduce_implILb1ES3_NS6_12zip_iteratorINS7_INS6_11hip_rocprim26transform_input_iterator_tIbPsNS6_6detail10functional5actorINSH_9compositeIJNSH_27transparent_binary_operatorINS6_8equal_toIvEEEENSI_INSH_8argumentILj0EEEEENSH_5valueIsEEEEEEEEENSD_19counting_iterator_tIlEES8_S8_S8_S8_S8_S8_S8_S8_EEEEPS9_S9_NSD_9__find_if7functorIS9_EEEE10hipError_tPvRmT1_T2_T3_mT4_P12ihipStream_tbEUlT_E0_NS1_11comp_targetILNS1_3genE9ELNS1_11target_archE1100ELNS1_3gpuE3ELNS1_3repE0EEENS1_30default_config_static_selectorELNS0_4arch9wavefront6targetE1EEEvS17_
    .private_segment_fixed_size: 0
    .sgpr_count:     4
    .sgpr_spill_count: 0
    .symbol:         _ZN7rocprim17ROCPRIM_400000_NS6detail17trampoline_kernelINS0_14default_configENS1_22reduce_config_selectorIN6thrust23THRUST_200600_302600_NS5tupleIblNS6_9null_typeES8_S8_S8_S8_S8_S8_S8_EEEEZNS1_11reduce_implILb1ES3_NS6_12zip_iteratorINS7_INS6_11hip_rocprim26transform_input_iterator_tIbPsNS6_6detail10functional5actorINSH_9compositeIJNSH_27transparent_binary_operatorINS6_8equal_toIvEEEENSI_INSH_8argumentILj0EEEEENSH_5valueIsEEEEEEEEENSD_19counting_iterator_tIlEES8_S8_S8_S8_S8_S8_S8_S8_EEEEPS9_S9_NSD_9__find_if7functorIS9_EEEE10hipError_tPvRmT1_T2_T3_mT4_P12ihipStream_tbEUlT_E0_NS1_11comp_targetILNS1_3genE9ELNS1_11target_archE1100ELNS1_3gpuE3ELNS1_3repE0EEENS1_30default_config_static_selectorELNS0_4arch9wavefront6targetE1EEEvS17_.kd
    .uniform_work_group_size: 1
    .uses_dynamic_stack: false
    .vgpr_count:     0
    .vgpr_spill_count: 0
    .wavefront_size: 64
  - .args:
      - .offset:         0
        .size:           88
        .value_kind:     by_value
    .group_segment_fixed_size: 0
    .kernarg_segment_align: 8
    .kernarg_segment_size: 88
    .language:       OpenCL C
    .language_version:
      - 2
      - 0
    .max_flat_workgroup_size: 256
    .name:           _ZN7rocprim17ROCPRIM_400000_NS6detail17trampoline_kernelINS0_14default_configENS1_22reduce_config_selectorIN6thrust23THRUST_200600_302600_NS5tupleIblNS6_9null_typeES8_S8_S8_S8_S8_S8_S8_EEEEZNS1_11reduce_implILb1ES3_NS6_12zip_iteratorINS7_INS6_11hip_rocprim26transform_input_iterator_tIbPsNS6_6detail10functional5actorINSH_9compositeIJNSH_27transparent_binary_operatorINS6_8equal_toIvEEEENSI_INSH_8argumentILj0EEEEENSH_5valueIsEEEEEEEEENSD_19counting_iterator_tIlEES8_S8_S8_S8_S8_S8_S8_S8_EEEEPS9_S9_NSD_9__find_if7functorIS9_EEEE10hipError_tPvRmT1_T2_T3_mT4_P12ihipStream_tbEUlT_E0_NS1_11comp_targetILNS1_3genE8ELNS1_11target_archE1030ELNS1_3gpuE2ELNS1_3repE0EEENS1_30default_config_static_selectorELNS0_4arch9wavefront6targetE1EEEvS17_
    .private_segment_fixed_size: 0
    .sgpr_count:     4
    .sgpr_spill_count: 0
    .symbol:         _ZN7rocprim17ROCPRIM_400000_NS6detail17trampoline_kernelINS0_14default_configENS1_22reduce_config_selectorIN6thrust23THRUST_200600_302600_NS5tupleIblNS6_9null_typeES8_S8_S8_S8_S8_S8_S8_EEEEZNS1_11reduce_implILb1ES3_NS6_12zip_iteratorINS7_INS6_11hip_rocprim26transform_input_iterator_tIbPsNS6_6detail10functional5actorINSH_9compositeIJNSH_27transparent_binary_operatorINS6_8equal_toIvEEEENSI_INSH_8argumentILj0EEEEENSH_5valueIsEEEEEEEEENSD_19counting_iterator_tIlEES8_S8_S8_S8_S8_S8_S8_S8_EEEEPS9_S9_NSD_9__find_if7functorIS9_EEEE10hipError_tPvRmT1_T2_T3_mT4_P12ihipStream_tbEUlT_E0_NS1_11comp_targetILNS1_3genE8ELNS1_11target_archE1030ELNS1_3gpuE2ELNS1_3repE0EEENS1_30default_config_static_selectorELNS0_4arch9wavefront6targetE1EEEvS17_.kd
    .uniform_work_group_size: 1
    .uses_dynamic_stack: false
    .vgpr_count:     0
    .vgpr_spill_count: 0
    .wavefront_size: 64
  - .args:
      - .offset:         0
        .size:           72
        .value_kind:     by_value
    .group_segment_fixed_size: 0
    .kernarg_segment_align: 8
    .kernarg_segment_size: 72
    .language:       OpenCL C
    .language_version:
      - 2
      - 0
    .max_flat_workgroup_size: 128
    .name:           _ZN7rocprim17ROCPRIM_400000_NS6detail17trampoline_kernelINS0_14default_configENS1_22reduce_config_selectorIN6thrust23THRUST_200600_302600_NS5tupleIblNS6_9null_typeES8_S8_S8_S8_S8_S8_S8_EEEEZNS1_11reduce_implILb1ES3_NS6_12zip_iteratorINS7_INS6_11hip_rocprim26transform_input_iterator_tIbPsNS6_6detail10functional5actorINSH_9compositeIJNSH_27transparent_binary_operatorINS6_8equal_toIvEEEENSI_INSH_8argumentILj0EEEEENSH_5valueIsEEEEEEEEENSD_19counting_iterator_tIlEES8_S8_S8_S8_S8_S8_S8_S8_EEEEPS9_S9_NSD_9__find_if7functorIS9_EEEE10hipError_tPvRmT1_T2_T3_mT4_P12ihipStream_tbEUlT_E1_NS1_11comp_targetILNS1_3genE0ELNS1_11target_archE4294967295ELNS1_3gpuE0ELNS1_3repE0EEENS1_30default_config_static_selectorELNS0_4arch9wavefront6targetE1EEEvS17_
    .private_segment_fixed_size: 0
    .sgpr_count:     4
    .sgpr_spill_count: 0
    .symbol:         _ZN7rocprim17ROCPRIM_400000_NS6detail17trampoline_kernelINS0_14default_configENS1_22reduce_config_selectorIN6thrust23THRUST_200600_302600_NS5tupleIblNS6_9null_typeES8_S8_S8_S8_S8_S8_S8_EEEEZNS1_11reduce_implILb1ES3_NS6_12zip_iteratorINS7_INS6_11hip_rocprim26transform_input_iterator_tIbPsNS6_6detail10functional5actorINSH_9compositeIJNSH_27transparent_binary_operatorINS6_8equal_toIvEEEENSI_INSH_8argumentILj0EEEEENSH_5valueIsEEEEEEEEENSD_19counting_iterator_tIlEES8_S8_S8_S8_S8_S8_S8_S8_EEEEPS9_S9_NSD_9__find_if7functorIS9_EEEE10hipError_tPvRmT1_T2_T3_mT4_P12ihipStream_tbEUlT_E1_NS1_11comp_targetILNS1_3genE0ELNS1_11target_archE4294967295ELNS1_3gpuE0ELNS1_3repE0EEENS1_30default_config_static_selectorELNS0_4arch9wavefront6targetE1EEEvS17_.kd
    .uniform_work_group_size: 1
    .uses_dynamic_stack: false
    .vgpr_count:     0
    .vgpr_spill_count: 0
    .wavefront_size: 64
  - .args:
      - .offset:         0
        .size:           72
        .value_kind:     by_value
    .group_segment_fixed_size: 0
    .kernarg_segment_align: 8
    .kernarg_segment_size: 72
    .language:       OpenCL C
    .language_version:
      - 2
      - 0
    .max_flat_workgroup_size: 256
    .name:           _ZN7rocprim17ROCPRIM_400000_NS6detail17trampoline_kernelINS0_14default_configENS1_22reduce_config_selectorIN6thrust23THRUST_200600_302600_NS5tupleIblNS6_9null_typeES8_S8_S8_S8_S8_S8_S8_EEEEZNS1_11reduce_implILb1ES3_NS6_12zip_iteratorINS7_INS6_11hip_rocprim26transform_input_iterator_tIbPsNS6_6detail10functional5actorINSH_9compositeIJNSH_27transparent_binary_operatorINS6_8equal_toIvEEEENSI_INSH_8argumentILj0EEEEENSH_5valueIsEEEEEEEEENSD_19counting_iterator_tIlEES8_S8_S8_S8_S8_S8_S8_S8_EEEEPS9_S9_NSD_9__find_if7functorIS9_EEEE10hipError_tPvRmT1_T2_T3_mT4_P12ihipStream_tbEUlT_E1_NS1_11comp_targetILNS1_3genE5ELNS1_11target_archE942ELNS1_3gpuE9ELNS1_3repE0EEENS1_30default_config_static_selectorELNS0_4arch9wavefront6targetE1EEEvS17_
    .private_segment_fixed_size: 0
    .sgpr_count:     4
    .sgpr_spill_count: 0
    .symbol:         _ZN7rocprim17ROCPRIM_400000_NS6detail17trampoline_kernelINS0_14default_configENS1_22reduce_config_selectorIN6thrust23THRUST_200600_302600_NS5tupleIblNS6_9null_typeES8_S8_S8_S8_S8_S8_S8_EEEEZNS1_11reduce_implILb1ES3_NS6_12zip_iteratorINS7_INS6_11hip_rocprim26transform_input_iterator_tIbPsNS6_6detail10functional5actorINSH_9compositeIJNSH_27transparent_binary_operatorINS6_8equal_toIvEEEENSI_INSH_8argumentILj0EEEEENSH_5valueIsEEEEEEEEENSD_19counting_iterator_tIlEES8_S8_S8_S8_S8_S8_S8_S8_EEEEPS9_S9_NSD_9__find_if7functorIS9_EEEE10hipError_tPvRmT1_T2_T3_mT4_P12ihipStream_tbEUlT_E1_NS1_11comp_targetILNS1_3genE5ELNS1_11target_archE942ELNS1_3gpuE9ELNS1_3repE0EEENS1_30default_config_static_selectorELNS0_4arch9wavefront6targetE1EEEvS17_.kd
    .uniform_work_group_size: 1
    .uses_dynamic_stack: false
    .vgpr_count:     0
    .vgpr_spill_count: 0
    .wavefront_size: 64
  - .args:
      - .offset:         0
        .size:           72
        .value_kind:     by_value
    .group_segment_fixed_size: 0
    .kernarg_segment_align: 8
    .kernarg_segment_size: 72
    .language:       OpenCL C
    .language_version:
      - 2
      - 0
    .max_flat_workgroup_size: 256
    .name:           _ZN7rocprim17ROCPRIM_400000_NS6detail17trampoline_kernelINS0_14default_configENS1_22reduce_config_selectorIN6thrust23THRUST_200600_302600_NS5tupleIblNS6_9null_typeES8_S8_S8_S8_S8_S8_S8_EEEEZNS1_11reduce_implILb1ES3_NS6_12zip_iteratorINS7_INS6_11hip_rocprim26transform_input_iterator_tIbPsNS6_6detail10functional5actorINSH_9compositeIJNSH_27transparent_binary_operatorINS6_8equal_toIvEEEENSI_INSH_8argumentILj0EEEEENSH_5valueIsEEEEEEEEENSD_19counting_iterator_tIlEES8_S8_S8_S8_S8_S8_S8_S8_EEEEPS9_S9_NSD_9__find_if7functorIS9_EEEE10hipError_tPvRmT1_T2_T3_mT4_P12ihipStream_tbEUlT_E1_NS1_11comp_targetILNS1_3genE4ELNS1_11target_archE910ELNS1_3gpuE8ELNS1_3repE0EEENS1_30default_config_static_selectorELNS0_4arch9wavefront6targetE1EEEvS17_
    .private_segment_fixed_size: 0
    .sgpr_count:     4
    .sgpr_spill_count: 0
    .symbol:         _ZN7rocprim17ROCPRIM_400000_NS6detail17trampoline_kernelINS0_14default_configENS1_22reduce_config_selectorIN6thrust23THRUST_200600_302600_NS5tupleIblNS6_9null_typeES8_S8_S8_S8_S8_S8_S8_EEEEZNS1_11reduce_implILb1ES3_NS6_12zip_iteratorINS7_INS6_11hip_rocprim26transform_input_iterator_tIbPsNS6_6detail10functional5actorINSH_9compositeIJNSH_27transparent_binary_operatorINS6_8equal_toIvEEEENSI_INSH_8argumentILj0EEEEENSH_5valueIsEEEEEEEEENSD_19counting_iterator_tIlEES8_S8_S8_S8_S8_S8_S8_S8_EEEEPS9_S9_NSD_9__find_if7functorIS9_EEEE10hipError_tPvRmT1_T2_T3_mT4_P12ihipStream_tbEUlT_E1_NS1_11comp_targetILNS1_3genE4ELNS1_11target_archE910ELNS1_3gpuE8ELNS1_3repE0EEENS1_30default_config_static_selectorELNS0_4arch9wavefront6targetE1EEEvS17_.kd
    .uniform_work_group_size: 1
    .uses_dynamic_stack: false
    .vgpr_count:     0
    .vgpr_spill_count: 0
    .wavefront_size: 64
  - .args:
      - .offset:         0
        .size:           72
        .value_kind:     by_value
    .group_segment_fixed_size: 0
    .kernarg_segment_align: 8
    .kernarg_segment_size: 72
    .language:       OpenCL C
    .language_version:
      - 2
      - 0
    .max_flat_workgroup_size: 128
    .name:           _ZN7rocprim17ROCPRIM_400000_NS6detail17trampoline_kernelINS0_14default_configENS1_22reduce_config_selectorIN6thrust23THRUST_200600_302600_NS5tupleIblNS6_9null_typeES8_S8_S8_S8_S8_S8_S8_EEEEZNS1_11reduce_implILb1ES3_NS6_12zip_iteratorINS7_INS6_11hip_rocprim26transform_input_iterator_tIbPsNS6_6detail10functional5actorINSH_9compositeIJNSH_27transparent_binary_operatorINS6_8equal_toIvEEEENSI_INSH_8argumentILj0EEEEENSH_5valueIsEEEEEEEEENSD_19counting_iterator_tIlEES8_S8_S8_S8_S8_S8_S8_S8_EEEEPS9_S9_NSD_9__find_if7functorIS9_EEEE10hipError_tPvRmT1_T2_T3_mT4_P12ihipStream_tbEUlT_E1_NS1_11comp_targetILNS1_3genE3ELNS1_11target_archE908ELNS1_3gpuE7ELNS1_3repE0EEENS1_30default_config_static_selectorELNS0_4arch9wavefront6targetE1EEEvS17_
    .private_segment_fixed_size: 0
    .sgpr_count:     4
    .sgpr_spill_count: 0
    .symbol:         _ZN7rocprim17ROCPRIM_400000_NS6detail17trampoline_kernelINS0_14default_configENS1_22reduce_config_selectorIN6thrust23THRUST_200600_302600_NS5tupleIblNS6_9null_typeES8_S8_S8_S8_S8_S8_S8_EEEEZNS1_11reduce_implILb1ES3_NS6_12zip_iteratorINS7_INS6_11hip_rocprim26transform_input_iterator_tIbPsNS6_6detail10functional5actorINSH_9compositeIJNSH_27transparent_binary_operatorINS6_8equal_toIvEEEENSI_INSH_8argumentILj0EEEEENSH_5valueIsEEEEEEEEENSD_19counting_iterator_tIlEES8_S8_S8_S8_S8_S8_S8_S8_EEEEPS9_S9_NSD_9__find_if7functorIS9_EEEE10hipError_tPvRmT1_T2_T3_mT4_P12ihipStream_tbEUlT_E1_NS1_11comp_targetILNS1_3genE3ELNS1_11target_archE908ELNS1_3gpuE7ELNS1_3repE0EEENS1_30default_config_static_selectorELNS0_4arch9wavefront6targetE1EEEvS17_.kd
    .uniform_work_group_size: 1
    .uses_dynamic_stack: false
    .vgpr_count:     0
    .vgpr_spill_count: 0
    .wavefront_size: 64
  - .args:
      - .offset:         0
        .size:           72
        .value_kind:     by_value
    .group_segment_fixed_size: 160
    .kernarg_segment_align: 8
    .kernarg_segment_size: 72
    .language:       OpenCL C
    .language_version:
      - 2
      - 0
    .max_flat_workgroup_size: 128
    .name:           _ZN7rocprim17ROCPRIM_400000_NS6detail17trampoline_kernelINS0_14default_configENS1_22reduce_config_selectorIN6thrust23THRUST_200600_302600_NS5tupleIblNS6_9null_typeES8_S8_S8_S8_S8_S8_S8_EEEEZNS1_11reduce_implILb1ES3_NS6_12zip_iteratorINS7_INS6_11hip_rocprim26transform_input_iterator_tIbPsNS6_6detail10functional5actorINSH_9compositeIJNSH_27transparent_binary_operatorINS6_8equal_toIvEEEENSI_INSH_8argumentILj0EEEEENSH_5valueIsEEEEEEEEENSD_19counting_iterator_tIlEES8_S8_S8_S8_S8_S8_S8_S8_EEEEPS9_S9_NSD_9__find_if7functorIS9_EEEE10hipError_tPvRmT1_T2_T3_mT4_P12ihipStream_tbEUlT_E1_NS1_11comp_targetILNS1_3genE2ELNS1_11target_archE906ELNS1_3gpuE6ELNS1_3repE0EEENS1_30default_config_static_selectorELNS0_4arch9wavefront6targetE1EEEvS17_
    .private_segment_fixed_size: 0
    .sgpr_count:     43
    .sgpr_spill_count: 0
    .symbol:         _ZN7rocprim17ROCPRIM_400000_NS6detail17trampoline_kernelINS0_14default_configENS1_22reduce_config_selectorIN6thrust23THRUST_200600_302600_NS5tupleIblNS6_9null_typeES8_S8_S8_S8_S8_S8_S8_EEEEZNS1_11reduce_implILb1ES3_NS6_12zip_iteratorINS7_INS6_11hip_rocprim26transform_input_iterator_tIbPsNS6_6detail10functional5actorINSH_9compositeIJNSH_27transparent_binary_operatorINS6_8equal_toIvEEEENSI_INSH_8argumentILj0EEEEENSH_5valueIsEEEEEEEEENSD_19counting_iterator_tIlEES8_S8_S8_S8_S8_S8_S8_S8_EEEEPS9_S9_NSD_9__find_if7functorIS9_EEEE10hipError_tPvRmT1_T2_T3_mT4_P12ihipStream_tbEUlT_E1_NS1_11comp_targetILNS1_3genE2ELNS1_11target_archE906ELNS1_3gpuE6ELNS1_3repE0EEENS1_30default_config_static_selectorELNS0_4arch9wavefront6targetE1EEEvS17_.kd
    .uniform_work_group_size: 1
    .uses_dynamic_stack: false
    .vgpr_count:     26
    .vgpr_spill_count: 0
    .wavefront_size: 64
  - .args:
      - .offset:         0
        .size:           72
        .value_kind:     by_value
    .group_segment_fixed_size: 0
    .kernarg_segment_align: 8
    .kernarg_segment_size: 72
    .language:       OpenCL C
    .language_version:
      - 2
      - 0
    .max_flat_workgroup_size: 256
    .name:           _ZN7rocprim17ROCPRIM_400000_NS6detail17trampoline_kernelINS0_14default_configENS1_22reduce_config_selectorIN6thrust23THRUST_200600_302600_NS5tupleIblNS6_9null_typeES8_S8_S8_S8_S8_S8_S8_EEEEZNS1_11reduce_implILb1ES3_NS6_12zip_iteratorINS7_INS6_11hip_rocprim26transform_input_iterator_tIbPsNS6_6detail10functional5actorINSH_9compositeIJNSH_27transparent_binary_operatorINS6_8equal_toIvEEEENSI_INSH_8argumentILj0EEEEENSH_5valueIsEEEEEEEEENSD_19counting_iterator_tIlEES8_S8_S8_S8_S8_S8_S8_S8_EEEEPS9_S9_NSD_9__find_if7functorIS9_EEEE10hipError_tPvRmT1_T2_T3_mT4_P12ihipStream_tbEUlT_E1_NS1_11comp_targetILNS1_3genE10ELNS1_11target_archE1201ELNS1_3gpuE5ELNS1_3repE0EEENS1_30default_config_static_selectorELNS0_4arch9wavefront6targetE1EEEvS17_
    .private_segment_fixed_size: 0
    .sgpr_count:     4
    .sgpr_spill_count: 0
    .symbol:         _ZN7rocprim17ROCPRIM_400000_NS6detail17trampoline_kernelINS0_14default_configENS1_22reduce_config_selectorIN6thrust23THRUST_200600_302600_NS5tupleIblNS6_9null_typeES8_S8_S8_S8_S8_S8_S8_EEEEZNS1_11reduce_implILb1ES3_NS6_12zip_iteratorINS7_INS6_11hip_rocprim26transform_input_iterator_tIbPsNS6_6detail10functional5actorINSH_9compositeIJNSH_27transparent_binary_operatorINS6_8equal_toIvEEEENSI_INSH_8argumentILj0EEEEENSH_5valueIsEEEEEEEEENSD_19counting_iterator_tIlEES8_S8_S8_S8_S8_S8_S8_S8_EEEEPS9_S9_NSD_9__find_if7functorIS9_EEEE10hipError_tPvRmT1_T2_T3_mT4_P12ihipStream_tbEUlT_E1_NS1_11comp_targetILNS1_3genE10ELNS1_11target_archE1201ELNS1_3gpuE5ELNS1_3repE0EEENS1_30default_config_static_selectorELNS0_4arch9wavefront6targetE1EEEvS17_.kd
    .uniform_work_group_size: 1
    .uses_dynamic_stack: false
    .vgpr_count:     0
    .vgpr_spill_count: 0
    .wavefront_size: 64
  - .args:
      - .offset:         0
        .size:           72
        .value_kind:     by_value
    .group_segment_fixed_size: 0
    .kernarg_segment_align: 8
    .kernarg_segment_size: 72
    .language:       OpenCL C
    .language_version:
      - 2
      - 0
    .max_flat_workgroup_size: 256
    .name:           _ZN7rocprim17ROCPRIM_400000_NS6detail17trampoline_kernelINS0_14default_configENS1_22reduce_config_selectorIN6thrust23THRUST_200600_302600_NS5tupleIblNS6_9null_typeES8_S8_S8_S8_S8_S8_S8_EEEEZNS1_11reduce_implILb1ES3_NS6_12zip_iteratorINS7_INS6_11hip_rocprim26transform_input_iterator_tIbPsNS6_6detail10functional5actorINSH_9compositeIJNSH_27transparent_binary_operatorINS6_8equal_toIvEEEENSI_INSH_8argumentILj0EEEEENSH_5valueIsEEEEEEEEENSD_19counting_iterator_tIlEES8_S8_S8_S8_S8_S8_S8_S8_EEEEPS9_S9_NSD_9__find_if7functorIS9_EEEE10hipError_tPvRmT1_T2_T3_mT4_P12ihipStream_tbEUlT_E1_NS1_11comp_targetILNS1_3genE10ELNS1_11target_archE1200ELNS1_3gpuE4ELNS1_3repE0EEENS1_30default_config_static_selectorELNS0_4arch9wavefront6targetE1EEEvS17_
    .private_segment_fixed_size: 0
    .sgpr_count:     4
    .sgpr_spill_count: 0
    .symbol:         _ZN7rocprim17ROCPRIM_400000_NS6detail17trampoline_kernelINS0_14default_configENS1_22reduce_config_selectorIN6thrust23THRUST_200600_302600_NS5tupleIblNS6_9null_typeES8_S8_S8_S8_S8_S8_S8_EEEEZNS1_11reduce_implILb1ES3_NS6_12zip_iteratorINS7_INS6_11hip_rocprim26transform_input_iterator_tIbPsNS6_6detail10functional5actorINSH_9compositeIJNSH_27transparent_binary_operatorINS6_8equal_toIvEEEENSI_INSH_8argumentILj0EEEEENSH_5valueIsEEEEEEEEENSD_19counting_iterator_tIlEES8_S8_S8_S8_S8_S8_S8_S8_EEEEPS9_S9_NSD_9__find_if7functorIS9_EEEE10hipError_tPvRmT1_T2_T3_mT4_P12ihipStream_tbEUlT_E1_NS1_11comp_targetILNS1_3genE10ELNS1_11target_archE1200ELNS1_3gpuE4ELNS1_3repE0EEENS1_30default_config_static_selectorELNS0_4arch9wavefront6targetE1EEEvS17_.kd
    .uniform_work_group_size: 1
    .uses_dynamic_stack: false
    .vgpr_count:     0
    .vgpr_spill_count: 0
    .wavefront_size: 64
  - .args:
      - .offset:         0
        .size:           72
        .value_kind:     by_value
    .group_segment_fixed_size: 0
    .kernarg_segment_align: 8
    .kernarg_segment_size: 72
    .language:       OpenCL C
    .language_version:
      - 2
      - 0
    .max_flat_workgroup_size: 256
    .name:           _ZN7rocprim17ROCPRIM_400000_NS6detail17trampoline_kernelINS0_14default_configENS1_22reduce_config_selectorIN6thrust23THRUST_200600_302600_NS5tupleIblNS6_9null_typeES8_S8_S8_S8_S8_S8_S8_EEEEZNS1_11reduce_implILb1ES3_NS6_12zip_iteratorINS7_INS6_11hip_rocprim26transform_input_iterator_tIbPsNS6_6detail10functional5actorINSH_9compositeIJNSH_27transparent_binary_operatorINS6_8equal_toIvEEEENSI_INSH_8argumentILj0EEEEENSH_5valueIsEEEEEEEEENSD_19counting_iterator_tIlEES8_S8_S8_S8_S8_S8_S8_S8_EEEEPS9_S9_NSD_9__find_if7functorIS9_EEEE10hipError_tPvRmT1_T2_T3_mT4_P12ihipStream_tbEUlT_E1_NS1_11comp_targetILNS1_3genE9ELNS1_11target_archE1100ELNS1_3gpuE3ELNS1_3repE0EEENS1_30default_config_static_selectorELNS0_4arch9wavefront6targetE1EEEvS17_
    .private_segment_fixed_size: 0
    .sgpr_count:     4
    .sgpr_spill_count: 0
    .symbol:         _ZN7rocprim17ROCPRIM_400000_NS6detail17trampoline_kernelINS0_14default_configENS1_22reduce_config_selectorIN6thrust23THRUST_200600_302600_NS5tupleIblNS6_9null_typeES8_S8_S8_S8_S8_S8_S8_EEEEZNS1_11reduce_implILb1ES3_NS6_12zip_iteratorINS7_INS6_11hip_rocprim26transform_input_iterator_tIbPsNS6_6detail10functional5actorINSH_9compositeIJNSH_27transparent_binary_operatorINS6_8equal_toIvEEEENSI_INSH_8argumentILj0EEEEENSH_5valueIsEEEEEEEEENSD_19counting_iterator_tIlEES8_S8_S8_S8_S8_S8_S8_S8_EEEEPS9_S9_NSD_9__find_if7functorIS9_EEEE10hipError_tPvRmT1_T2_T3_mT4_P12ihipStream_tbEUlT_E1_NS1_11comp_targetILNS1_3genE9ELNS1_11target_archE1100ELNS1_3gpuE3ELNS1_3repE0EEENS1_30default_config_static_selectorELNS0_4arch9wavefront6targetE1EEEvS17_.kd
    .uniform_work_group_size: 1
    .uses_dynamic_stack: false
    .vgpr_count:     0
    .vgpr_spill_count: 0
    .wavefront_size: 64
  - .args:
      - .offset:         0
        .size:           72
        .value_kind:     by_value
    .group_segment_fixed_size: 0
    .kernarg_segment_align: 8
    .kernarg_segment_size: 72
    .language:       OpenCL C
    .language_version:
      - 2
      - 0
    .max_flat_workgroup_size: 256
    .name:           _ZN7rocprim17ROCPRIM_400000_NS6detail17trampoline_kernelINS0_14default_configENS1_22reduce_config_selectorIN6thrust23THRUST_200600_302600_NS5tupleIblNS6_9null_typeES8_S8_S8_S8_S8_S8_S8_EEEEZNS1_11reduce_implILb1ES3_NS6_12zip_iteratorINS7_INS6_11hip_rocprim26transform_input_iterator_tIbPsNS6_6detail10functional5actorINSH_9compositeIJNSH_27transparent_binary_operatorINS6_8equal_toIvEEEENSI_INSH_8argumentILj0EEEEENSH_5valueIsEEEEEEEEENSD_19counting_iterator_tIlEES8_S8_S8_S8_S8_S8_S8_S8_EEEEPS9_S9_NSD_9__find_if7functorIS9_EEEE10hipError_tPvRmT1_T2_T3_mT4_P12ihipStream_tbEUlT_E1_NS1_11comp_targetILNS1_3genE8ELNS1_11target_archE1030ELNS1_3gpuE2ELNS1_3repE0EEENS1_30default_config_static_selectorELNS0_4arch9wavefront6targetE1EEEvS17_
    .private_segment_fixed_size: 0
    .sgpr_count:     4
    .sgpr_spill_count: 0
    .symbol:         _ZN7rocprim17ROCPRIM_400000_NS6detail17trampoline_kernelINS0_14default_configENS1_22reduce_config_selectorIN6thrust23THRUST_200600_302600_NS5tupleIblNS6_9null_typeES8_S8_S8_S8_S8_S8_S8_EEEEZNS1_11reduce_implILb1ES3_NS6_12zip_iteratorINS7_INS6_11hip_rocprim26transform_input_iterator_tIbPsNS6_6detail10functional5actorINSH_9compositeIJNSH_27transparent_binary_operatorINS6_8equal_toIvEEEENSI_INSH_8argumentILj0EEEEENSH_5valueIsEEEEEEEEENSD_19counting_iterator_tIlEES8_S8_S8_S8_S8_S8_S8_S8_EEEEPS9_S9_NSD_9__find_if7functorIS9_EEEE10hipError_tPvRmT1_T2_T3_mT4_P12ihipStream_tbEUlT_E1_NS1_11comp_targetILNS1_3genE8ELNS1_11target_archE1030ELNS1_3gpuE2ELNS1_3repE0EEENS1_30default_config_static_selectorELNS0_4arch9wavefront6targetE1EEEvS17_.kd
    .uniform_work_group_size: 1
    .uses_dynamic_stack: false
    .vgpr_count:     0
    .vgpr_spill_count: 0
    .wavefront_size: 64
  - .args:
      - .offset:         0
        .size:           48
        .value_kind:     by_value
    .group_segment_fixed_size: 0
    .kernarg_segment_align: 8
    .kernarg_segment_size: 48
    .language:       OpenCL C
    .language_version:
      - 2
      - 0
    .max_flat_workgroup_size: 256
    .name:           _ZN7rocprim17ROCPRIM_400000_NS6detail17trampoline_kernelINS0_13kernel_configILj256ELj4ELj4294967295EEENS1_37radix_sort_block_sort_config_selectorIdlEEZNS1_21radix_sort_block_sortIS4_Lb0EPdS8_N6thrust23THRUST_200600_302600_NS10device_ptrIlEESC_NS0_19identity_decomposerEEE10hipError_tT1_T2_T3_T4_jRjT5_jjP12ihipStream_tbEUlT_E_NS1_11comp_targetILNS1_3genE0ELNS1_11target_archE4294967295ELNS1_3gpuE0ELNS1_3repE0EEENS1_44radix_sort_block_sort_config_static_selectorELNS0_4arch9wavefront6targetE1EEEvSF_
    .private_segment_fixed_size: 0
    .sgpr_count:     4
    .sgpr_spill_count: 0
    .symbol:         _ZN7rocprim17ROCPRIM_400000_NS6detail17trampoline_kernelINS0_13kernel_configILj256ELj4ELj4294967295EEENS1_37radix_sort_block_sort_config_selectorIdlEEZNS1_21radix_sort_block_sortIS4_Lb0EPdS8_N6thrust23THRUST_200600_302600_NS10device_ptrIlEESC_NS0_19identity_decomposerEEE10hipError_tT1_T2_T3_T4_jRjT5_jjP12ihipStream_tbEUlT_E_NS1_11comp_targetILNS1_3genE0ELNS1_11target_archE4294967295ELNS1_3gpuE0ELNS1_3repE0EEENS1_44radix_sort_block_sort_config_static_selectorELNS0_4arch9wavefront6targetE1EEEvSF_.kd
    .uniform_work_group_size: 1
    .uses_dynamic_stack: false
    .vgpr_count:     0
    .vgpr_spill_count: 0
    .wavefront_size: 64
  - .args:
      - .offset:         0
        .size:           48
        .value_kind:     by_value
    .group_segment_fixed_size: 0
    .kernarg_segment_align: 8
    .kernarg_segment_size: 48
    .language:       OpenCL C
    .language_version:
      - 2
      - 0
    .max_flat_workgroup_size: 256
    .name:           _ZN7rocprim17ROCPRIM_400000_NS6detail17trampoline_kernelINS0_13kernel_configILj256ELj4ELj4294967295EEENS1_37radix_sort_block_sort_config_selectorIdlEEZNS1_21radix_sort_block_sortIS4_Lb0EPdS8_N6thrust23THRUST_200600_302600_NS10device_ptrIlEESC_NS0_19identity_decomposerEEE10hipError_tT1_T2_T3_T4_jRjT5_jjP12ihipStream_tbEUlT_E_NS1_11comp_targetILNS1_3genE5ELNS1_11target_archE942ELNS1_3gpuE9ELNS1_3repE0EEENS1_44radix_sort_block_sort_config_static_selectorELNS0_4arch9wavefront6targetE1EEEvSF_
    .private_segment_fixed_size: 0
    .sgpr_count:     4
    .sgpr_spill_count: 0
    .symbol:         _ZN7rocprim17ROCPRIM_400000_NS6detail17trampoline_kernelINS0_13kernel_configILj256ELj4ELj4294967295EEENS1_37radix_sort_block_sort_config_selectorIdlEEZNS1_21radix_sort_block_sortIS4_Lb0EPdS8_N6thrust23THRUST_200600_302600_NS10device_ptrIlEESC_NS0_19identity_decomposerEEE10hipError_tT1_T2_T3_T4_jRjT5_jjP12ihipStream_tbEUlT_E_NS1_11comp_targetILNS1_3genE5ELNS1_11target_archE942ELNS1_3gpuE9ELNS1_3repE0EEENS1_44radix_sort_block_sort_config_static_selectorELNS0_4arch9wavefront6targetE1EEEvSF_.kd
    .uniform_work_group_size: 1
    .uses_dynamic_stack: false
    .vgpr_count:     0
    .vgpr_spill_count: 0
    .wavefront_size: 64
  - .args:
      - .offset:         0
        .size:           48
        .value_kind:     by_value
    .group_segment_fixed_size: 0
    .kernarg_segment_align: 8
    .kernarg_segment_size: 48
    .language:       OpenCL C
    .language_version:
      - 2
      - 0
    .max_flat_workgroup_size: 256
    .name:           _ZN7rocprim17ROCPRIM_400000_NS6detail17trampoline_kernelINS0_13kernel_configILj256ELj4ELj4294967295EEENS1_37radix_sort_block_sort_config_selectorIdlEEZNS1_21radix_sort_block_sortIS4_Lb0EPdS8_N6thrust23THRUST_200600_302600_NS10device_ptrIlEESC_NS0_19identity_decomposerEEE10hipError_tT1_T2_T3_T4_jRjT5_jjP12ihipStream_tbEUlT_E_NS1_11comp_targetILNS1_3genE4ELNS1_11target_archE910ELNS1_3gpuE8ELNS1_3repE0EEENS1_44radix_sort_block_sort_config_static_selectorELNS0_4arch9wavefront6targetE1EEEvSF_
    .private_segment_fixed_size: 0
    .sgpr_count:     4
    .sgpr_spill_count: 0
    .symbol:         _ZN7rocprim17ROCPRIM_400000_NS6detail17trampoline_kernelINS0_13kernel_configILj256ELj4ELj4294967295EEENS1_37radix_sort_block_sort_config_selectorIdlEEZNS1_21radix_sort_block_sortIS4_Lb0EPdS8_N6thrust23THRUST_200600_302600_NS10device_ptrIlEESC_NS0_19identity_decomposerEEE10hipError_tT1_T2_T3_T4_jRjT5_jjP12ihipStream_tbEUlT_E_NS1_11comp_targetILNS1_3genE4ELNS1_11target_archE910ELNS1_3gpuE8ELNS1_3repE0EEENS1_44radix_sort_block_sort_config_static_selectorELNS0_4arch9wavefront6targetE1EEEvSF_.kd
    .uniform_work_group_size: 1
    .uses_dynamic_stack: false
    .vgpr_count:     0
    .vgpr_spill_count: 0
    .wavefront_size: 64
  - .args:
      - .offset:         0
        .size:           48
        .value_kind:     by_value
    .group_segment_fixed_size: 0
    .kernarg_segment_align: 8
    .kernarg_segment_size: 48
    .language:       OpenCL C
    .language_version:
      - 2
      - 0
    .max_flat_workgroup_size: 256
    .name:           _ZN7rocprim17ROCPRIM_400000_NS6detail17trampoline_kernelINS0_13kernel_configILj256ELj4ELj4294967295EEENS1_37radix_sort_block_sort_config_selectorIdlEEZNS1_21radix_sort_block_sortIS4_Lb0EPdS8_N6thrust23THRUST_200600_302600_NS10device_ptrIlEESC_NS0_19identity_decomposerEEE10hipError_tT1_T2_T3_T4_jRjT5_jjP12ihipStream_tbEUlT_E_NS1_11comp_targetILNS1_3genE3ELNS1_11target_archE908ELNS1_3gpuE7ELNS1_3repE0EEENS1_44radix_sort_block_sort_config_static_selectorELNS0_4arch9wavefront6targetE1EEEvSF_
    .private_segment_fixed_size: 0
    .sgpr_count:     4
    .sgpr_spill_count: 0
    .symbol:         _ZN7rocprim17ROCPRIM_400000_NS6detail17trampoline_kernelINS0_13kernel_configILj256ELj4ELj4294967295EEENS1_37radix_sort_block_sort_config_selectorIdlEEZNS1_21radix_sort_block_sortIS4_Lb0EPdS8_N6thrust23THRUST_200600_302600_NS10device_ptrIlEESC_NS0_19identity_decomposerEEE10hipError_tT1_T2_T3_T4_jRjT5_jjP12ihipStream_tbEUlT_E_NS1_11comp_targetILNS1_3genE3ELNS1_11target_archE908ELNS1_3gpuE7ELNS1_3repE0EEENS1_44radix_sort_block_sort_config_static_selectorELNS0_4arch9wavefront6targetE1EEEvSF_.kd
    .uniform_work_group_size: 1
    .uses_dynamic_stack: false
    .vgpr_count:     0
    .vgpr_spill_count: 0
    .wavefront_size: 64
  - .args:
      - .offset:         0
        .size:           48
        .value_kind:     by_value
      - .offset:         48
        .size:           4
        .value_kind:     hidden_block_count_x
      - .offset:         52
        .size:           4
        .value_kind:     hidden_block_count_y
      - .offset:         56
        .size:           4
        .value_kind:     hidden_block_count_z
      - .offset:         60
        .size:           2
        .value_kind:     hidden_group_size_x
      - .offset:         62
        .size:           2
        .value_kind:     hidden_group_size_y
      - .offset:         64
        .size:           2
        .value_kind:     hidden_group_size_z
      - .offset:         66
        .size:           2
        .value_kind:     hidden_remainder_x
      - .offset:         68
        .size:           2
        .value_kind:     hidden_remainder_y
      - .offset:         70
        .size:           2
        .value_kind:     hidden_remainder_z
      - .offset:         88
        .size:           8
        .value_kind:     hidden_global_offset_x
      - .offset:         96
        .size:           8
        .value_kind:     hidden_global_offset_y
      - .offset:         104
        .size:           8
        .value_kind:     hidden_global_offset_z
      - .offset:         112
        .size:           2
        .value_kind:     hidden_grid_dims
    .group_segment_fixed_size: 8192
    .kernarg_segment_align: 8
    .kernarg_segment_size: 304
    .language:       OpenCL C
    .language_version:
      - 2
      - 0
    .max_flat_workgroup_size: 256
    .name:           _ZN7rocprim17ROCPRIM_400000_NS6detail17trampoline_kernelINS0_13kernel_configILj256ELj4ELj4294967295EEENS1_37radix_sort_block_sort_config_selectorIdlEEZNS1_21radix_sort_block_sortIS4_Lb0EPdS8_N6thrust23THRUST_200600_302600_NS10device_ptrIlEESC_NS0_19identity_decomposerEEE10hipError_tT1_T2_T3_T4_jRjT5_jjP12ihipStream_tbEUlT_E_NS1_11comp_targetILNS1_3genE2ELNS1_11target_archE906ELNS1_3gpuE6ELNS1_3repE0EEENS1_44radix_sort_block_sort_config_static_selectorELNS0_4arch9wavefront6targetE1EEEvSF_
    .private_segment_fixed_size: 0
    .sgpr_count:     52
    .sgpr_spill_count: 0
    .symbol:         _ZN7rocprim17ROCPRIM_400000_NS6detail17trampoline_kernelINS0_13kernel_configILj256ELj4ELj4294967295EEENS1_37radix_sort_block_sort_config_selectorIdlEEZNS1_21radix_sort_block_sortIS4_Lb0EPdS8_N6thrust23THRUST_200600_302600_NS10device_ptrIlEESC_NS0_19identity_decomposerEEE10hipError_tT1_T2_T3_T4_jRjT5_jjP12ihipStream_tbEUlT_E_NS1_11comp_targetILNS1_3genE2ELNS1_11target_archE906ELNS1_3gpuE6ELNS1_3repE0EEENS1_44radix_sort_block_sort_config_static_selectorELNS0_4arch9wavefront6targetE1EEEvSF_.kd
    .uniform_work_group_size: 1
    .uses_dynamic_stack: false
    .vgpr_count:     50
    .vgpr_spill_count: 0
    .wavefront_size: 64
  - .args:
      - .offset:         0
        .size:           48
        .value_kind:     by_value
    .group_segment_fixed_size: 0
    .kernarg_segment_align: 8
    .kernarg_segment_size: 48
    .language:       OpenCL C
    .language_version:
      - 2
      - 0
    .max_flat_workgroup_size: 256
    .name:           _ZN7rocprim17ROCPRIM_400000_NS6detail17trampoline_kernelINS0_13kernel_configILj256ELj4ELj4294967295EEENS1_37radix_sort_block_sort_config_selectorIdlEEZNS1_21radix_sort_block_sortIS4_Lb0EPdS8_N6thrust23THRUST_200600_302600_NS10device_ptrIlEESC_NS0_19identity_decomposerEEE10hipError_tT1_T2_T3_T4_jRjT5_jjP12ihipStream_tbEUlT_E_NS1_11comp_targetILNS1_3genE10ELNS1_11target_archE1201ELNS1_3gpuE5ELNS1_3repE0EEENS1_44radix_sort_block_sort_config_static_selectorELNS0_4arch9wavefront6targetE1EEEvSF_
    .private_segment_fixed_size: 0
    .sgpr_count:     4
    .sgpr_spill_count: 0
    .symbol:         _ZN7rocprim17ROCPRIM_400000_NS6detail17trampoline_kernelINS0_13kernel_configILj256ELj4ELj4294967295EEENS1_37radix_sort_block_sort_config_selectorIdlEEZNS1_21radix_sort_block_sortIS4_Lb0EPdS8_N6thrust23THRUST_200600_302600_NS10device_ptrIlEESC_NS0_19identity_decomposerEEE10hipError_tT1_T2_T3_T4_jRjT5_jjP12ihipStream_tbEUlT_E_NS1_11comp_targetILNS1_3genE10ELNS1_11target_archE1201ELNS1_3gpuE5ELNS1_3repE0EEENS1_44radix_sort_block_sort_config_static_selectorELNS0_4arch9wavefront6targetE1EEEvSF_.kd
    .uniform_work_group_size: 1
    .uses_dynamic_stack: false
    .vgpr_count:     0
    .vgpr_spill_count: 0
    .wavefront_size: 64
  - .args:
      - .offset:         0
        .size:           48
        .value_kind:     by_value
    .group_segment_fixed_size: 0
    .kernarg_segment_align: 8
    .kernarg_segment_size: 48
    .language:       OpenCL C
    .language_version:
      - 2
      - 0
    .max_flat_workgroup_size: 256
    .name:           _ZN7rocprim17ROCPRIM_400000_NS6detail17trampoline_kernelINS0_13kernel_configILj256ELj4ELj4294967295EEENS1_37radix_sort_block_sort_config_selectorIdlEEZNS1_21radix_sort_block_sortIS4_Lb0EPdS8_N6thrust23THRUST_200600_302600_NS10device_ptrIlEESC_NS0_19identity_decomposerEEE10hipError_tT1_T2_T3_T4_jRjT5_jjP12ihipStream_tbEUlT_E_NS1_11comp_targetILNS1_3genE10ELNS1_11target_archE1200ELNS1_3gpuE4ELNS1_3repE0EEENS1_44radix_sort_block_sort_config_static_selectorELNS0_4arch9wavefront6targetE1EEEvSF_
    .private_segment_fixed_size: 0
    .sgpr_count:     4
    .sgpr_spill_count: 0
    .symbol:         _ZN7rocprim17ROCPRIM_400000_NS6detail17trampoline_kernelINS0_13kernel_configILj256ELj4ELj4294967295EEENS1_37radix_sort_block_sort_config_selectorIdlEEZNS1_21radix_sort_block_sortIS4_Lb0EPdS8_N6thrust23THRUST_200600_302600_NS10device_ptrIlEESC_NS0_19identity_decomposerEEE10hipError_tT1_T2_T3_T4_jRjT5_jjP12ihipStream_tbEUlT_E_NS1_11comp_targetILNS1_3genE10ELNS1_11target_archE1200ELNS1_3gpuE4ELNS1_3repE0EEENS1_44radix_sort_block_sort_config_static_selectorELNS0_4arch9wavefront6targetE1EEEvSF_.kd
    .uniform_work_group_size: 1
    .uses_dynamic_stack: false
    .vgpr_count:     0
    .vgpr_spill_count: 0
    .wavefront_size: 64
  - .args:
      - .offset:         0
        .size:           48
        .value_kind:     by_value
    .group_segment_fixed_size: 0
    .kernarg_segment_align: 8
    .kernarg_segment_size: 48
    .language:       OpenCL C
    .language_version:
      - 2
      - 0
    .max_flat_workgroup_size: 256
    .name:           _ZN7rocprim17ROCPRIM_400000_NS6detail17trampoline_kernelINS0_13kernel_configILj256ELj4ELj4294967295EEENS1_37radix_sort_block_sort_config_selectorIdlEEZNS1_21radix_sort_block_sortIS4_Lb0EPdS8_N6thrust23THRUST_200600_302600_NS10device_ptrIlEESC_NS0_19identity_decomposerEEE10hipError_tT1_T2_T3_T4_jRjT5_jjP12ihipStream_tbEUlT_E_NS1_11comp_targetILNS1_3genE9ELNS1_11target_archE1100ELNS1_3gpuE3ELNS1_3repE0EEENS1_44radix_sort_block_sort_config_static_selectorELNS0_4arch9wavefront6targetE1EEEvSF_
    .private_segment_fixed_size: 0
    .sgpr_count:     4
    .sgpr_spill_count: 0
    .symbol:         _ZN7rocprim17ROCPRIM_400000_NS6detail17trampoline_kernelINS0_13kernel_configILj256ELj4ELj4294967295EEENS1_37radix_sort_block_sort_config_selectorIdlEEZNS1_21radix_sort_block_sortIS4_Lb0EPdS8_N6thrust23THRUST_200600_302600_NS10device_ptrIlEESC_NS0_19identity_decomposerEEE10hipError_tT1_T2_T3_T4_jRjT5_jjP12ihipStream_tbEUlT_E_NS1_11comp_targetILNS1_3genE9ELNS1_11target_archE1100ELNS1_3gpuE3ELNS1_3repE0EEENS1_44radix_sort_block_sort_config_static_selectorELNS0_4arch9wavefront6targetE1EEEvSF_.kd
    .uniform_work_group_size: 1
    .uses_dynamic_stack: false
    .vgpr_count:     0
    .vgpr_spill_count: 0
    .wavefront_size: 64
  - .args:
      - .offset:         0
        .size:           48
        .value_kind:     by_value
    .group_segment_fixed_size: 0
    .kernarg_segment_align: 8
    .kernarg_segment_size: 48
    .language:       OpenCL C
    .language_version:
      - 2
      - 0
    .max_flat_workgroup_size: 256
    .name:           _ZN7rocprim17ROCPRIM_400000_NS6detail17trampoline_kernelINS0_13kernel_configILj256ELj4ELj4294967295EEENS1_37radix_sort_block_sort_config_selectorIdlEEZNS1_21radix_sort_block_sortIS4_Lb0EPdS8_N6thrust23THRUST_200600_302600_NS10device_ptrIlEESC_NS0_19identity_decomposerEEE10hipError_tT1_T2_T3_T4_jRjT5_jjP12ihipStream_tbEUlT_E_NS1_11comp_targetILNS1_3genE8ELNS1_11target_archE1030ELNS1_3gpuE2ELNS1_3repE0EEENS1_44radix_sort_block_sort_config_static_selectorELNS0_4arch9wavefront6targetE1EEEvSF_
    .private_segment_fixed_size: 0
    .sgpr_count:     4
    .sgpr_spill_count: 0
    .symbol:         _ZN7rocprim17ROCPRIM_400000_NS6detail17trampoline_kernelINS0_13kernel_configILj256ELj4ELj4294967295EEENS1_37radix_sort_block_sort_config_selectorIdlEEZNS1_21radix_sort_block_sortIS4_Lb0EPdS8_N6thrust23THRUST_200600_302600_NS10device_ptrIlEESC_NS0_19identity_decomposerEEE10hipError_tT1_T2_T3_T4_jRjT5_jjP12ihipStream_tbEUlT_E_NS1_11comp_targetILNS1_3genE8ELNS1_11target_archE1030ELNS1_3gpuE2ELNS1_3repE0EEENS1_44radix_sort_block_sort_config_static_selectorELNS0_4arch9wavefront6targetE1EEEvSF_.kd
    .uniform_work_group_size: 1
    .uses_dynamic_stack: false
    .vgpr_count:     0
    .vgpr_spill_count: 0
    .wavefront_size: 64
  - .args:           []
    .group_segment_fixed_size: 0
    .kernarg_segment_align: 4
    .kernarg_segment_size: 0
    .language:       OpenCL C
    .language_version:
      - 2
      - 0
    .max_flat_workgroup_size: 1024
    .name:           _ZN7rocprim17ROCPRIM_400000_NS6detail44device_merge_sort_compile_time_verifier_archINS1_11comp_targetILNS1_3genE0ELNS1_11target_archE4294967295ELNS1_3gpuE0ELNS1_3repE0EEES8_NS1_28merge_sort_block_sort_configILj256ELj4ELNS0_20block_sort_algorithmE0EEENS0_14default_configENS1_37merge_sort_block_sort_config_selectorIdlEENS1_38merge_sort_block_merge_config_selectorIdlEEEEvv
    .private_segment_fixed_size: 0
    .sgpr_count:     4
    .sgpr_spill_count: 0
    .symbol:         _ZN7rocprim17ROCPRIM_400000_NS6detail44device_merge_sort_compile_time_verifier_archINS1_11comp_targetILNS1_3genE0ELNS1_11target_archE4294967295ELNS1_3gpuE0ELNS1_3repE0EEES8_NS1_28merge_sort_block_sort_configILj256ELj4ELNS0_20block_sort_algorithmE0EEENS0_14default_configENS1_37merge_sort_block_sort_config_selectorIdlEENS1_38merge_sort_block_merge_config_selectorIdlEEEEvv.kd
    .uniform_work_group_size: 1
    .uses_dynamic_stack: false
    .vgpr_count:     0
    .vgpr_spill_count: 0
    .wavefront_size: 64
  - .args:           []
    .group_segment_fixed_size: 0
    .kernarg_segment_align: 4
    .kernarg_segment_size: 0
    .language:       OpenCL C
    .language_version:
      - 2
      - 0
    .max_flat_workgroup_size: 1024
    .name:           _ZN7rocprim17ROCPRIM_400000_NS6detail44device_merge_sort_compile_time_verifier_archINS1_11comp_targetILNS1_3genE5ELNS1_11target_archE942ELNS1_3gpuE9ELNS1_3repE0EEES8_NS1_28merge_sort_block_sort_configILj256ELj4ELNS0_20block_sort_algorithmE0EEENS0_14default_configENS1_37merge_sort_block_sort_config_selectorIdlEENS1_38merge_sort_block_merge_config_selectorIdlEEEEvv
    .private_segment_fixed_size: 0
    .sgpr_count:     4
    .sgpr_spill_count: 0
    .symbol:         _ZN7rocprim17ROCPRIM_400000_NS6detail44device_merge_sort_compile_time_verifier_archINS1_11comp_targetILNS1_3genE5ELNS1_11target_archE942ELNS1_3gpuE9ELNS1_3repE0EEES8_NS1_28merge_sort_block_sort_configILj256ELj4ELNS0_20block_sort_algorithmE0EEENS0_14default_configENS1_37merge_sort_block_sort_config_selectorIdlEENS1_38merge_sort_block_merge_config_selectorIdlEEEEvv.kd
    .uniform_work_group_size: 1
    .uses_dynamic_stack: false
    .vgpr_count:     0
    .vgpr_spill_count: 0
    .wavefront_size: 64
  - .args:           []
    .group_segment_fixed_size: 0
    .kernarg_segment_align: 4
    .kernarg_segment_size: 0
    .language:       OpenCL C
    .language_version:
      - 2
      - 0
    .max_flat_workgroup_size: 1024
    .name:           _ZN7rocprim17ROCPRIM_400000_NS6detail44device_merge_sort_compile_time_verifier_archINS1_11comp_targetILNS1_3genE4ELNS1_11target_archE910ELNS1_3gpuE8ELNS1_3repE0EEES8_NS1_28merge_sort_block_sort_configILj256ELj4ELNS0_20block_sort_algorithmE0EEENS0_14default_configENS1_37merge_sort_block_sort_config_selectorIdlEENS1_38merge_sort_block_merge_config_selectorIdlEEEEvv
    .private_segment_fixed_size: 0
    .sgpr_count:     4
    .sgpr_spill_count: 0
    .symbol:         _ZN7rocprim17ROCPRIM_400000_NS6detail44device_merge_sort_compile_time_verifier_archINS1_11comp_targetILNS1_3genE4ELNS1_11target_archE910ELNS1_3gpuE8ELNS1_3repE0EEES8_NS1_28merge_sort_block_sort_configILj256ELj4ELNS0_20block_sort_algorithmE0EEENS0_14default_configENS1_37merge_sort_block_sort_config_selectorIdlEENS1_38merge_sort_block_merge_config_selectorIdlEEEEvv.kd
    .uniform_work_group_size: 1
    .uses_dynamic_stack: false
    .vgpr_count:     0
    .vgpr_spill_count: 0
    .wavefront_size: 64
  - .args:           []
    .group_segment_fixed_size: 0
    .kernarg_segment_align: 4
    .kernarg_segment_size: 0
    .language:       OpenCL C
    .language_version:
      - 2
      - 0
    .max_flat_workgroup_size: 1024
    .name:           _ZN7rocprim17ROCPRIM_400000_NS6detail44device_merge_sort_compile_time_verifier_archINS1_11comp_targetILNS1_3genE3ELNS1_11target_archE908ELNS1_3gpuE7ELNS1_3repE0EEES8_NS1_28merge_sort_block_sort_configILj256ELj4ELNS0_20block_sort_algorithmE0EEENS0_14default_configENS1_37merge_sort_block_sort_config_selectorIdlEENS1_38merge_sort_block_merge_config_selectorIdlEEEEvv
    .private_segment_fixed_size: 0
    .sgpr_count:     4
    .sgpr_spill_count: 0
    .symbol:         _ZN7rocprim17ROCPRIM_400000_NS6detail44device_merge_sort_compile_time_verifier_archINS1_11comp_targetILNS1_3genE3ELNS1_11target_archE908ELNS1_3gpuE7ELNS1_3repE0EEES8_NS1_28merge_sort_block_sort_configILj256ELj4ELNS0_20block_sort_algorithmE0EEENS0_14default_configENS1_37merge_sort_block_sort_config_selectorIdlEENS1_38merge_sort_block_merge_config_selectorIdlEEEEvv.kd
    .uniform_work_group_size: 1
    .uses_dynamic_stack: false
    .vgpr_count:     0
    .vgpr_spill_count: 0
    .wavefront_size: 64
  - .args:           []
    .group_segment_fixed_size: 0
    .kernarg_segment_align: 4
    .kernarg_segment_size: 0
    .language:       OpenCL C
    .language_version:
      - 2
      - 0
    .max_flat_workgroup_size: 1024
    .name:           _ZN7rocprim17ROCPRIM_400000_NS6detail44device_merge_sort_compile_time_verifier_archINS1_11comp_targetILNS1_3genE2ELNS1_11target_archE906ELNS1_3gpuE6ELNS1_3repE0EEES8_NS1_28merge_sort_block_sort_configILj256ELj4ELNS0_20block_sort_algorithmE0EEENS0_14default_configENS1_37merge_sort_block_sort_config_selectorIdlEENS1_38merge_sort_block_merge_config_selectorIdlEEEEvv
    .private_segment_fixed_size: 0
    .sgpr_count:     4
    .sgpr_spill_count: 0
    .symbol:         _ZN7rocprim17ROCPRIM_400000_NS6detail44device_merge_sort_compile_time_verifier_archINS1_11comp_targetILNS1_3genE2ELNS1_11target_archE906ELNS1_3gpuE6ELNS1_3repE0EEES8_NS1_28merge_sort_block_sort_configILj256ELj4ELNS0_20block_sort_algorithmE0EEENS0_14default_configENS1_37merge_sort_block_sort_config_selectorIdlEENS1_38merge_sort_block_merge_config_selectorIdlEEEEvv.kd
    .uniform_work_group_size: 1
    .uses_dynamic_stack: false
    .vgpr_count:     0
    .vgpr_spill_count: 0
    .wavefront_size: 64
  - .args:           []
    .group_segment_fixed_size: 0
    .kernarg_segment_align: 4
    .kernarg_segment_size: 0
    .language:       OpenCL C
    .language_version:
      - 2
      - 0
    .max_flat_workgroup_size: 1024
    .name:           _ZN7rocprim17ROCPRIM_400000_NS6detail44device_merge_sort_compile_time_verifier_archINS1_11comp_targetILNS1_3genE10ELNS1_11target_archE1201ELNS1_3gpuE5ELNS1_3repE0EEES8_NS1_28merge_sort_block_sort_configILj256ELj4ELNS0_20block_sort_algorithmE0EEENS0_14default_configENS1_37merge_sort_block_sort_config_selectorIdlEENS1_38merge_sort_block_merge_config_selectorIdlEEEEvv
    .private_segment_fixed_size: 0
    .sgpr_count:     4
    .sgpr_spill_count: 0
    .symbol:         _ZN7rocprim17ROCPRIM_400000_NS6detail44device_merge_sort_compile_time_verifier_archINS1_11comp_targetILNS1_3genE10ELNS1_11target_archE1201ELNS1_3gpuE5ELNS1_3repE0EEES8_NS1_28merge_sort_block_sort_configILj256ELj4ELNS0_20block_sort_algorithmE0EEENS0_14default_configENS1_37merge_sort_block_sort_config_selectorIdlEENS1_38merge_sort_block_merge_config_selectorIdlEEEEvv.kd
    .uniform_work_group_size: 1
    .uses_dynamic_stack: false
    .vgpr_count:     0
    .vgpr_spill_count: 0
    .wavefront_size: 64
  - .args:           []
    .group_segment_fixed_size: 0
    .kernarg_segment_align: 4
    .kernarg_segment_size: 0
    .language:       OpenCL C
    .language_version:
      - 2
      - 0
    .max_flat_workgroup_size: 1024
    .name:           _ZN7rocprim17ROCPRIM_400000_NS6detail44device_merge_sort_compile_time_verifier_archINS1_11comp_targetILNS1_3genE10ELNS1_11target_archE1200ELNS1_3gpuE4ELNS1_3repE0EEENS3_ILS4_10ELS5_1201ELS6_5ELS7_0EEENS1_28merge_sort_block_sort_configILj256ELj4ELNS0_20block_sort_algorithmE0EEENS0_14default_configENS1_37merge_sort_block_sort_config_selectorIdlEENS1_38merge_sort_block_merge_config_selectorIdlEEEEvv
    .private_segment_fixed_size: 0
    .sgpr_count:     4
    .sgpr_spill_count: 0
    .symbol:         _ZN7rocprim17ROCPRIM_400000_NS6detail44device_merge_sort_compile_time_verifier_archINS1_11comp_targetILNS1_3genE10ELNS1_11target_archE1200ELNS1_3gpuE4ELNS1_3repE0EEENS3_ILS4_10ELS5_1201ELS6_5ELS7_0EEENS1_28merge_sort_block_sort_configILj256ELj4ELNS0_20block_sort_algorithmE0EEENS0_14default_configENS1_37merge_sort_block_sort_config_selectorIdlEENS1_38merge_sort_block_merge_config_selectorIdlEEEEvv.kd
    .uniform_work_group_size: 1
    .uses_dynamic_stack: false
    .vgpr_count:     0
    .vgpr_spill_count: 0
    .wavefront_size: 64
  - .args:           []
    .group_segment_fixed_size: 0
    .kernarg_segment_align: 4
    .kernarg_segment_size: 0
    .language:       OpenCL C
    .language_version:
      - 2
      - 0
    .max_flat_workgroup_size: 1024
    .name:           _ZN7rocprim17ROCPRIM_400000_NS6detail44device_merge_sort_compile_time_verifier_archINS1_11comp_targetILNS1_3genE9ELNS1_11target_archE1100ELNS1_3gpuE3ELNS1_3repE0EEES8_NS1_28merge_sort_block_sort_configILj256ELj4ELNS0_20block_sort_algorithmE0EEENS0_14default_configENS1_37merge_sort_block_sort_config_selectorIdlEENS1_38merge_sort_block_merge_config_selectorIdlEEEEvv
    .private_segment_fixed_size: 0
    .sgpr_count:     4
    .sgpr_spill_count: 0
    .symbol:         _ZN7rocprim17ROCPRIM_400000_NS6detail44device_merge_sort_compile_time_verifier_archINS1_11comp_targetILNS1_3genE9ELNS1_11target_archE1100ELNS1_3gpuE3ELNS1_3repE0EEES8_NS1_28merge_sort_block_sort_configILj256ELj4ELNS0_20block_sort_algorithmE0EEENS0_14default_configENS1_37merge_sort_block_sort_config_selectorIdlEENS1_38merge_sort_block_merge_config_selectorIdlEEEEvv.kd
    .uniform_work_group_size: 1
    .uses_dynamic_stack: false
    .vgpr_count:     0
    .vgpr_spill_count: 0
    .wavefront_size: 64
  - .args:           []
    .group_segment_fixed_size: 0
    .kernarg_segment_align: 4
    .kernarg_segment_size: 0
    .language:       OpenCL C
    .language_version:
      - 2
      - 0
    .max_flat_workgroup_size: 1024
    .name:           _ZN7rocprim17ROCPRIM_400000_NS6detail44device_merge_sort_compile_time_verifier_archINS1_11comp_targetILNS1_3genE8ELNS1_11target_archE1030ELNS1_3gpuE2ELNS1_3repE0EEES8_NS1_28merge_sort_block_sort_configILj256ELj4ELNS0_20block_sort_algorithmE0EEENS0_14default_configENS1_37merge_sort_block_sort_config_selectorIdlEENS1_38merge_sort_block_merge_config_selectorIdlEEEEvv
    .private_segment_fixed_size: 0
    .sgpr_count:     4
    .sgpr_spill_count: 0
    .symbol:         _ZN7rocprim17ROCPRIM_400000_NS6detail44device_merge_sort_compile_time_verifier_archINS1_11comp_targetILNS1_3genE8ELNS1_11target_archE1030ELNS1_3gpuE2ELNS1_3repE0EEES8_NS1_28merge_sort_block_sort_configILj256ELj4ELNS0_20block_sort_algorithmE0EEENS0_14default_configENS1_37merge_sort_block_sort_config_selectorIdlEENS1_38merge_sort_block_merge_config_selectorIdlEEEEvv.kd
    .uniform_work_group_size: 1
    .uses_dynamic_stack: false
    .vgpr_count:     0
    .vgpr_spill_count: 0
    .wavefront_size: 64
  - .args:
      - .offset:         0
        .size:           40
        .value_kind:     by_value
    .group_segment_fixed_size: 0
    .kernarg_segment_align: 8
    .kernarg_segment_size: 40
    .language:       OpenCL C
    .language_version:
      - 2
      - 0
    .max_flat_workgroup_size: 128
    .name:           _ZN7rocprim17ROCPRIM_400000_NS6detail17trampoline_kernelINS0_14default_configENS1_38merge_sort_block_merge_config_selectorIdlEEZZNS1_27merge_sort_block_merge_implIS3_PdN6thrust23THRUST_200600_302600_NS10device_ptrIlEEjNS1_19radix_merge_compareILb0ELb0EdNS0_19identity_decomposerEEEEE10hipError_tT0_T1_T2_jT3_P12ihipStream_tbPNSt15iterator_traitsISG_E10value_typeEPNSM_ISH_E10value_typeEPSI_NS1_7vsmem_tEENKUlT_SG_SH_SI_E_clIS7_S7_PlSB_EESF_SV_SG_SH_SI_EUlSV_E_NS1_11comp_targetILNS1_3genE0ELNS1_11target_archE4294967295ELNS1_3gpuE0ELNS1_3repE0EEENS1_48merge_mergepath_partition_config_static_selectorELNS0_4arch9wavefront6targetE1EEEvSH_
    .private_segment_fixed_size: 0
    .sgpr_count:     4
    .sgpr_spill_count: 0
    .symbol:         _ZN7rocprim17ROCPRIM_400000_NS6detail17trampoline_kernelINS0_14default_configENS1_38merge_sort_block_merge_config_selectorIdlEEZZNS1_27merge_sort_block_merge_implIS3_PdN6thrust23THRUST_200600_302600_NS10device_ptrIlEEjNS1_19radix_merge_compareILb0ELb0EdNS0_19identity_decomposerEEEEE10hipError_tT0_T1_T2_jT3_P12ihipStream_tbPNSt15iterator_traitsISG_E10value_typeEPNSM_ISH_E10value_typeEPSI_NS1_7vsmem_tEENKUlT_SG_SH_SI_E_clIS7_S7_PlSB_EESF_SV_SG_SH_SI_EUlSV_E_NS1_11comp_targetILNS1_3genE0ELNS1_11target_archE4294967295ELNS1_3gpuE0ELNS1_3repE0EEENS1_48merge_mergepath_partition_config_static_selectorELNS0_4arch9wavefront6targetE1EEEvSH_.kd
    .uniform_work_group_size: 1
    .uses_dynamic_stack: false
    .vgpr_count:     0
    .vgpr_spill_count: 0
    .wavefront_size: 64
  - .args:
      - .offset:         0
        .size:           40
        .value_kind:     by_value
    .group_segment_fixed_size: 0
    .kernarg_segment_align: 8
    .kernarg_segment_size: 40
    .language:       OpenCL C
    .language_version:
      - 2
      - 0
    .max_flat_workgroup_size: 128
    .name:           _ZN7rocprim17ROCPRIM_400000_NS6detail17trampoline_kernelINS0_14default_configENS1_38merge_sort_block_merge_config_selectorIdlEEZZNS1_27merge_sort_block_merge_implIS3_PdN6thrust23THRUST_200600_302600_NS10device_ptrIlEEjNS1_19radix_merge_compareILb0ELb0EdNS0_19identity_decomposerEEEEE10hipError_tT0_T1_T2_jT3_P12ihipStream_tbPNSt15iterator_traitsISG_E10value_typeEPNSM_ISH_E10value_typeEPSI_NS1_7vsmem_tEENKUlT_SG_SH_SI_E_clIS7_S7_PlSB_EESF_SV_SG_SH_SI_EUlSV_E_NS1_11comp_targetILNS1_3genE10ELNS1_11target_archE1201ELNS1_3gpuE5ELNS1_3repE0EEENS1_48merge_mergepath_partition_config_static_selectorELNS0_4arch9wavefront6targetE1EEEvSH_
    .private_segment_fixed_size: 0
    .sgpr_count:     4
    .sgpr_spill_count: 0
    .symbol:         _ZN7rocprim17ROCPRIM_400000_NS6detail17trampoline_kernelINS0_14default_configENS1_38merge_sort_block_merge_config_selectorIdlEEZZNS1_27merge_sort_block_merge_implIS3_PdN6thrust23THRUST_200600_302600_NS10device_ptrIlEEjNS1_19radix_merge_compareILb0ELb0EdNS0_19identity_decomposerEEEEE10hipError_tT0_T1_T2_jT3_P12ihipStream_tbPNSt15iterator_traitsISG_E10value_typeEPNSM_ISH_E10value_typeEPSI_NS1_7vsmem_tEENKUlT_SG_SH_SI_E_clIS7_S7_PlSB_EESF_SV_SG_SH_SI_EUlSV_E_NS1_11comp_targetILNS1_3genE10ELNS1_11target_archE1201ELNS1_3gpuE5ELNS1_3repE0EEENS1_48merge_mergepath_partition_config_static_selectorELNS0_4arch9wavefront6targetE1EEEvSH_.kd
    .uniform_work_group_size: 1
    .uses_dynamic_stack: false
    .vgpr_count:     0
    .vgpr_spill_count: 0
    .wavefront_size: 64
  - .args:
      - .offset:         0
        .size:           40
        .value_kind:     by_value
    .group_segment_fixed_size: 0
    .kernarg_segment_align: 8
    .kernarg_segment_size: 40
    .language:       OpenCL C
    .language_version:
      - 2
      - 0
    .max_flat_workgroup_size: 128
    .name:           _ZN7rocprim17ROCPRIM_400000_NS6detail17trampoline_kernelINS0_14default_configENS1_38merge_sort_block_merge_config_selectorIdlEEZZNS1_27merge_sort_block_merge_implIS3_PdN6thrust23THRUST_200600_302600_NS10device_ptrIlEEjNS1_19radix_merge_compareILb0ELb0EdNS0_19identity_decomposerEEEEE10hipError_tT0_T1_T2_jT3_P12ihipStream_tbPNSt15iterator_traitsISG_E10value_typeEPNSM_ISH_E10value_typeEPSI_NS1_7vsmem_tEENKUlT_SG_SH_SI_E_clIS7_S7_PlSB_EESF_SV_SG_SH_SI_EUlSV_E_NS1_11comp_targetILNS1_3genE5ELNS1_11target_archE942ELNS1_3gpuE9ELNS1_3repE0EEENS1_48merge_mergepath_partition_config_static_selectorELNS0_4arch9wavefront6targetE1EEEvSH_
    .private_segment_fixed_size: 0
    .sgpr_count:     4
    .sgpr_spill_count: 0
    .symbol:         _ZN7rocprim17ROCPRIM_400000_NS6detail17trampoline_kernelINS0_14default_configENS1_38merge_sort_block_merge_config_selectorIdlEEZZNS1_27merge_sort_block_merge_implIS3_PdN6thrust23THRUST_200600_302600_NS10device_ptrIlEEjNS1_19radix_merge_compareILb0ELb0EdNS0_19identity_decomposerEEEEE10hipError_tT0_T1_T2_jT3_P12ihipStream_tbPNSt15iterator_traitsISG_E10value_typeEPNSM_ISH_E10value_typeEPSI_NS1_7vsmem_tEENKUlT_SG_SH_SI_E_clIS7_S7_PlSB_EESF_SV_SG_SH_SI_EUlSV_E_NS1_11comp_targetILNS1_3genE5ELNS1_11target_archE942ELNS1_3gpuE9ELNS1_3repE0EEENS1_48merge_mergepath_partition_config_static_selectorELNS0_4arch9wavefront6targetE1EEEvSH_.kd
    .uniform_work_group_size: 1
    .uses_dynamic_stack: false
    .vgpr_count:     0
    .vgpr_spill_count: 0
    .wavefront_size: 64
  - .args:
      - .offset:         0
        .size:           40
        .value_kind:     by_value
    .group_segment_fixed_size: 0
    .kernarg_segment_align: 8
    .kernarg_segment_size: 40
    .language:       OpenCL C
    .language_version:
      - 2
      - 0
    .max_flat_workgroup_size: 128
    .name:           _ZN7rocprim17ROCPRIM_400000_NS6detail17trampoline_kernelINS0_14default_configENS1_38merge_sort_block_merge_config_selectorIdlEEZZNS1_27merge_sort_block_merge_implIS3_PdN6thrust23THRUST_200600_302600_NS10device_ptrIlEEjNS1_19radix_merge_compareILb0ELb0EdNS0_19identity_decomposerEEEEE10hipError_tT0_T1_T2_jT3_P12ihipStream_tbPNSt15iterator_traitsISG_E10value_typeEPNSM_ISH_E10value_typeEPSI_NS1_7vsmem_tEENKUlT_SG_SH_SI_E_clIS7_S7_PlSB_EESF_SV_SG_SH_SI_EUlSV_E_NS1_11comp_targetILNS1_3genE4ELNS1_11target_archE910ELNS1_3gpuE8ELNS1_3repE0EEENS1_48merge_mergepath_partition_config_static_selectorELNS0_4arch9wavefront6targetE1EEEvSH_
    .private_segment_fixed_size: 0
    .sgpr_count:     4
    .sgpr_spill_count: 0
    .symbol:         _ZN7rocprim17ROCPRIM_400000_NS6detail17trampoline_kernelINS0_14default_configENS1_38merge_sort_block_merge_config_selectorIdlEEZZNS1_27merge_sort_block_merge_implIS3_PdN6thrust23THRUST_200600_302600_NS10device_ptrIlEEjNS1_19radix_merge_compareILb0ELb0EdNS0_19identity_decomposerEEEEE10hipError_tT0_T1_T2_jT3_P12ihipStream_tbPNSt15iterator_traitsISG_E10value_typeEPNSM_ISH_E10value_typeEPSI_NS1_7vsmem_tEENKUlT_SG_SH_SI_E_clIS7_S7_PlSB_EESF_SV_SG_SH_SI_EUlSV_E_NS1_11comp_targetILNS1_3genE4ELNS1_11target_archE910ELNS1_3gpuE8ELNS1_3repE0EEENS1_48merge_mergepath_partition_config_static_selectorELNS0_4arch9wavefront6targetE1EEEvSH_.kd
    .uniform_work_group_size: 1
    .uses_dynamic_stack: false
    .vgpr_count:     0
    .vgpr_spill_count: 0
    .wavefront_size: 64
  - .args:
      - .offset:         0
        .size:           40
        .value_kind:     by_value
    .group_segment_fixed_size: 0
    .kernarg_segment_align: 8
    .kernarg_segment_size: 40
    .language:       OpenCL C
    .language_version:
      - 2
      - 0
    .max_flat_workgroup_size: 128
    .name:           _ZN7rocprim17ROCPRIM_400000_NS6detail17trampoline_kernelINS0_14default_configENS1_38merge_sort_block_merge_config_selectorIdlEEZZNS1_27merge_sort_block_merge_implIS3_PdN6thrust23THRUST_200600_302600_NS10device_ptrIlEEjNS1_19radix_merge_compareILb0ELb0EdNS0_19identity_decomposerEEEEE10hipError_tT0_T1_T2_jT3_P12ihipStream_tbPNSt15iterator_traitsISG_E10value_typeEPNSM_ISH_E10value_typeEPSI_NS1_7vsmem_tEENKUlT_SG_SH_SI_E_clIS7_S7_PlSB_EESF_SV_SG_SH_SI_EUlSV_E_NS1_11comp_targetILNS1_3genE3ELNS1_11target_archE908ELNS1_3gpuE7ELNS1_3repE0EEENS1_48merge_mergepath_partition_config_static_selectorELNS0_4arch9wavefront6targetE1EEEvSH_
    .private_segment_fixed_size: 0
    .sgpr_count:     4
    .sgpr_spill_count: 0
    .symbol:         _ZN7rocprim17ROCPRIM_400000_NS6detail17trampoline_kernelINS0_14default_configENS1_38merge_sort_block_merge_config_selectorIdlEEZZNS1_27merge_sort_block_merge_implIS3_PdN6thrust23THRUST_200600_302600_NS10device_ptrIlEEjNS1_19radix_merge_compareILb0ELb0EdNS0_19identity_decomposerEEEEE10hipError_tT0_T1_T2_jT3_P12ihipStream_tbPNSt15iterator_traitsISG_E10value_typeEPNSM_ISH_E10value_typeEPSI_NS1_7vsmem_tEENKUlT_SG_SH_SI_E_clIS7_S7_PlSB_EESF_SV_SG_SH_SI_EUlSV_E_NS1_11comp_targetILNS1_3genE3ELNS1_11target_archE908ELNS1_3gpuE7ELNS1_3repE0EEENS1_48merge_mergepath_partition_config_static_selectorELNS0_4arch9wavefront6targetE1EEEvSH_.kd
    .uniform_work_group_size: 1
    .uses_dynamic_stack: false
    .vgpr_count:     0
    .vgpr_spill_count: 0
    .wavefront_size: 64
  - .args:
      - .offset:         0
        .size:           40
        .value_kind:     by_value
    .group_segment_fixed_size: 0
    .kernarg_segment_align: 8
    .kernarg_segment_size: 40
    .language:       OpenCL C
    .language_version:
      - 2
      - 0
    .max_flat_workgroup_size: 128
    .name:           _ZN7rocprim17ROCPRIM_400000_NS6detail17trampoline_kernelINS0_14default_configENS1_38merge_sort_block_merge_config_selectorIdlEEZZNS1_27merge_sort_block_merge_implIS3_PdN6thrust23THRUST_200600_302600_NS10device_ptrIlEEjNS1_19radix_merge_compareILb0ELb0EdNS0_19identity_decomposerEEEEE10hipError_tT0_T1_T2_jT3_P12ihipStream_tbPNSt15iterator_traitsISG_E10value_typeEPNSM_ISH_E10value_typeEPSI_NS1_7vsmem_tEENKUlT_SG_SH_SI_E_clIS7_S7_PlSB_EESF_SV_SG_SH_SI_EUlSV_E_NS1_11comp_targetILNS1_3genE2ELNS1_11target_archE906ELNS1_3gpuE6ELNS1_3repE0EEENS1_48merge_mergepath_partition_config_static_selectorELNS0_4arch9wavefront6targetE1EEEvSH_
    .private_segment_fixed_size: 0
    .sgpr_count:     12
    .sgpr_spill_count: 0
    .symbol:         _ZN7rocprim17ROCPRIM_400000_NS6detail17trampoline_kernelINS0_14default_configENS1_38merge_sort_block_merge_config_selectorIdlEEZZNS1_27merge_sort_block_merge_implIS3_PdN6thrust23THRUST_200600_302600_NS10device_ptrIlEEjNS1_19radix_merge_compareILb0ELb0EdNS0_19identity_decomposerEEEEE10hipError_tT0_T1_T2_jT3_P12ihipStream_tbPNSt15iterator_traitsISG_E10value_typeEPNSM_ISH_E10value_typeEPSI_NS1_7vsmem_tEENKUlT_SG_SH_SI_E_clIS7_S7_PlSB_EESF_SV_SG_SH_SI_EUlSV_E_NS1_11comp_targetILNS1_3genE2ELNS1_11target_archE906ELNS1_3gpuE6ELNS1_3repE0EEENS1_48merge_mergepath_partition_config_static_selectorELNS0_4arch9wavefront6targetE1EEEvSH_.kd
    .uniform_work_group_size: 1
    .uses_dynamic_stack: false
    .vgpr_count:     18
    .vgpr_spill_count: 0
    .wavefront_size: 64
  - .args:
      - .offset:         0
        .size:           40
        .value_kind:     by_value
    .group_segment_fixed_size: 0
    .kernarg_segment_align: 8
    .kernarg_segment_size: 40
    .language:       OpenCL C
    .language_version:
      - 2
      - 0
    .max_flat_workgroup_size: 128
    .name:           _ZN7rocprim17ROCPRIM_400000_NS6detail17trampoline_kernelINS0_14default_configENS1_38merge_sort_block_merge_config_selectorIdlEEZZNS1_27merge_sort_block_merge_implIS3_PdN6thrust23THRUST_200600_302600_NS10device_ptrIlEEjNS1_19radix_merge_compareILb0ELb0EdNS0_19identity_decomposerEEEEE10hipError_tT0_T1_T2_jT3_P12ihipStream_tbPNSt15iterator_traitsISG_E10value_typeEPNSM_ISH_E10value_typeEPSI_NS1_7vsmem_tEENKUlT_SG_SH_SI_E_clIS7_S7_PlSB_EESF_SV_SG_SH_SI_EUlSV_E_NS1_11comp_targetILNS1_3genE9ELNS1_11target_archE1100ELNS1_3gpuE3ELNS1_3repE0EEENS1_48merge_mergepath_partition_config_static_selectorELNS0_4arch9wavefront6targetE1EEEvSH_
    .private_segment_fixed_size: 0
    .sgpr_count:     4
    .sgpr_spill_count: 0
    .symbol:         _ZN7rocprim17ROCPRIM_400000_NS6detail17trampoline_kernelINS0_14default_configENS1_38merge_sort_block_merge_config_selectorIdlEEZZNS1_27merge_sort_block_merge_implIS3_PdN6thrust23THRUST_200600_302600_NS10device_ptrIlEEjNS1_19radix_merge_compareILb0ELb0EdNS0_19identity_decomposerEEEEE10hipError_tT0_T1_T2_jT3_P12ihipStream_tbPNSt15iterator_traitsISG_E10value_typeEPNSM_ISH_E10value_typeEPSI_NS1_7vsmem_tEENKUlT_SG_SH_SI_E_clIS7_S7_PlSB_EESF_SV_SG_SH_SI_EUlSV_E_NS1_11comp_targetILNS1_3genE9ELNS1_11target_archE1100ELNS1_3gpuE3ELNS1_3repE0EEENS1_48merge_mergepath_partition_config_static_selectorELNS0_4arch9wavefront6targetE1EEEvSH_.kd
    .uniform_work_group_size: 1
    .uses_dynamic_stack: false
    .vgpr_count:     0
    .vgpr_spill_count: 0
    .wavefront_size: 64
  - .args:
      - .offset:         0
        .size:           40
        .value_kind:     by_value
    .group_segment_fixed_size: 0
    .kernarg_segment_align: 8
    .kernarg_segment_size: 40
    .language:       OpenCL C
    .language_version:
      - 2
      - 0
    .max_flat_workgroup_size: 128
    .name:           _ZN7rocprim17ROCPRIM_400000_NS6detail17trampoline_kernelINS0_14default_configENS1_38merge_sort_block_merge_config_selectorIdlEEZZNS1_27merge_sort_block_merge_implIS3_PdN6thrust23THRUST_200600_302600_NS10device_ptrIlEEjNS1_19radix_merge_compareILb0ELb0EdNS0_19identity_decomposerEEEEE10hipError_tT0_T1_T2_jT3_P12ihipStream_tbPNSt15iterator_traitsISG_E10value_typeEPNSM_ISH_E10value_typeEPSI_NS1_7vsmem_tEENKUlT_SG_SH_SI_E_clIS7_S7_PlSB_EESF_SV_SG_SH_SI_EUlSV_E_NS1_11comp_targetILNS1_3genE8ELNS1_11target_archE1030ELNS1_3gpuE2ELNS1_3repE0EEENS1_48merge_mergepath_partition_config_static_selectorELNS0_4arch9wavefront6targetE1EEEvSH_
    .private_segment_fixed_size: 0
    .sgpr_count:     4
    .sgpr_spill_count: 0
    .symbol:         _ZN7rocprim17ROCPRIM_400000_NS6detail17trampoline_kernelINS0_14default_configENS1_38merge_sort_block_merge_config_selectorIdlEEZZNS1_27merge_sort_block_merge_implIS3_PdN6thrust23THRUST_200600_302600_NS10device_ptrIlEEjNS1_19radix_merge_compareILb0ELb0EdNS0_19identity_decomposerEEEEE10hipError_tT0_T1_T2_jT3_P12ihipStream_tbPNSt15iterator_traitsISG_E10value_typeEPNSM_ISH_E10value_typeEPSI_NS1_7vsmem_tEENKUlT_SG_SH_SI_E_clIS7_S7_PlSB_EESF_SV_SG_SH_SI_EUlSV_E_NS1_11comp_targetILNS1_3genE8ELNS1_11target_archE1030ELNS1_3gpuE2ELNS1_3repE0EEENS1_48merge_mergepath_partition_config_static_selectorELNS0_4arch9wavefront6targetE1EEEvSH_.kd
    .uniform_work_group_size: 1
    .uses_dynamic_stack: false
    .vgpr_count:     0
    .vgpr_spill_count: 0
    .wavefront_size: 64
  - .args:
      - .offset:         0
        .size:           64
        .value_kind:     by_value
    .group_segment_fixed_size: 0
    .kernarg_segment_align: 8
    .kernarg_segment_size: 64
    .language:       OpenCL C
    .language_version:
      - 2
      - 0
    .max_flat_workgroup_size: 1024
    .name:           _ZN7rocprim17ROCPRIM_400000_NS6detail17trampoline_kernelINS0_14default_configENS1_38merge_sort_block_merge_config_selectorIdlEEZZNS1_27merge_sort_block_merge_implIS3_PdN6thrust23THRUST_200600_302600_NS10device_ptrIlEEjNS1_19radix_merge_compareILb0ELb0EdNS0_19identity_decomposerEEEEE10hipError_tT0_T1_T2_jT3_P12ihipStream_tbPNSt15iterator_traitsISG_E10value_typeEPNSM_ISH_E10value_typeEPSI_NS1_7vsmem_tEENKUlT_SG_SH_SI_E_clIS7_S7_PlSB_EESF_SV_SG_SH_SI_EUlSV_E0_NS1_11comp_targetILNS1_3genE0ELNS1_11target_archE4294967295ELNS1_3gpuE0ELNS1_3repE0EEENS1_38merge_mergepath_config_static_selectorELNS0_4arch9wavefront6targetE1EEEvSH_
    .private_segment_fixed_size: 0
    .sgpr_count:     4
    .sgpr_spill_count: 0
    .symbol:         _ZN7rocprim17ROCPRIM_400000_NS6detail17trampoline_kernelINS0_14default_configENS1_38merge_sort_block_merge_config_selectorIdlEEZZNS1_27merge_sort_block_merge_implIS3_PdN6thrust23THRUST_200600_302600_NS10device_ptrIlEEjNS1_19radix_merge_compareILb0ELb0EdNS0_19identity_decomposerEEEEE10hipError_tT0_T1_T2_jT3_P12ihipStream_tbPNSt15iterator_traitsISG_E10value_typeEPNSM_ISH_E10value_typeEPSI_NS1_7vsmem_tEENKUlT_SG_SH_SI_E_clIS7_S7_PlSB_EESF_SV_SG_SH_SI_EUlSV_E0_NS1_11comp_targetILNS1_3genE0ELNS1_11target_archE4294967295ELNS1_3gpuE0ELNS1_3repE0EEENS1_38merge_mergepath_config_static_selectorELNS0_4arch9wavefront6targetE1EEEvSH_.kd
    .uniform_work_group_size: 1
    .uses_dynamic_stack: false
    .vgpr_count:     0
    .vgpr_spill_count: 0
    .wavefront_size: 64
  - .args:
      - .offset:         0
        .size:           64
        .value_kind:     by_value
    .group_segment_fixed_size: 0
    .kernarg_segment_align: 8
    .kernarg_segment_size: 64
    .language:       OpenCL C
    .language_version:
      - 2
      - 0
    .max_flat_workgroup_size: 512
    .name:           _ZN7rocprim17ROCPRIM_400000_NS6detail17trampoline_kernelINS0_14default_configENS1_38merge_sort_block_merge_config_selectorIdlEEZZNS1_27merge_sort_block_merge_implIS3_PdN6thrust23THRUST_200600_302600_NS10device_ptrIlEEjNS1_19radix_merge_compareILb0ELb0EdNS0_19identity_decomposerEEEEE10hipError_tT0_T1_T2_jT3_P12ihipStream_tbPNSt15iterator_traitsISG_E10value_typeEPNSM_ISH_E10value_typeEPSI_NS1_7vsmem_tEENKUlT_SG_SH_SI_E_clIS7_S7_PlSB_EESF_SV_SG_SH_SI_EUlSV_E0_NS1_11comp_targetILNS1_3genE10ELNS1_11target_archE1201ELNS1_3gpuE5ELNS1_3repE0EEENS1_38merge_mergepath_config_static_selectorELNS0_4arch9wavefront6targetE1EEEvSH_
    .private_segment_fixed_size: 0
    .sgpr_count:     4
    .sgpr_spill_count: 0
    .symbol:         _ZN7rocprim17ROCPRIM_400000_NS6detail17trampoline_kernelINS0_14default_configENS1_38merge_sort_block_merge_config_selectorIdlEEZZNS1_27merge_sort_block_merge_implIS3_PdN6thrust23THRUST_200600_302600_NS10device_ptrIlEEjNS1_19radix_merge_compareILb0ELb0EdNS0_19identity_decomposerEEEEE10hipError_tT0_T1_T2_jT3_P12ihipStream_tbPNSt15iterator_traitsISG_E10value_typeEPNSM_ISH_E10value_typeEPSI_NS1_7vsmem_tEENKUlT_SG_SH_SI_E_clIS7_S7_PlSB_EESF_SV_SG_SH_SI_EUlSV_E0_NS1_11comp_targetILNS1_3genE10ELNS1_11target_archE1201ELNS1_3gpuE5ELNS1_3repE0EEENS1_38merge_mergepath_config_static_selectorELNS0_4arch9wavefront6targetE1EEEvSH_.kd
    .uniform_work_group_size: 1
    .uses_dynamic_stack: false
    .vgpr_count:     0
    .vgpr_spill_count: 0
    .wavefront_size: 64
  - .args:
      - .offset:         0
        .size:           64
        .value_kind:     by_value
    .group_segment_fixed_size: 0
    .kernarg_segment_align: 8
    .kernarg_segment_size: 64
    .language:       OpenCL C
    .language_version:
      - 2
      - 0
    .max_flat_workgroup_size: 256
    .name:           _ZN7rocprim17ROCPRIM_400000_NS6detail17trampoline_kernelINS0_14default_configENS1_38merge_sort_block_merge_config_selectorIdlEEZZNS1_27merge_sort_block_merge_implIS3_PdN6thrust23THRUST_200600_302600_NS10device_ptrIlEEjNS1_19radix_merge_compareILb0ELb0EdNS0_19identity_decomposerEEEEE10hipError_tT0_T1_T2_jT3_P12ihipStream_tbPNSt15iterator_traitsISG_E10value_typeEPNSM_ISH_E10value_typeEPSI_NS1_7vsmem_tEENKUlT_SG_SH_SI_E_clIS7_S7_PlSB_EESF_SV_SG_SH_SI_EUlSV_E0_NS1_11comp_targetILNS1_3genE5ELNS1_11target_archE942ELNS1_3gpuE9ELNS1_3repE0EEENS1_38merge_mergepath_config_static_selectorELNS0_4arch9wavefront6targetE1EEEvSH_
    .private_segment_fixed_size: 0
    .sgpr_count:     4
    .sgpr_spill_count: 0
    .symbol:         _ZN7rocprim17ROCPRIM_400000_NS6detail17trampoline_kernelINS0_14default_configENS1_38merge_sort_block_merge_config_selectorIdlEEZZNS1_27merge_sort_block_merge_implIS3_PdN6thrust23THRUST_200600_302600_NS10device_ptrIlEEjNS1_19radix_merge_compareILb0ELb0EdNS0_19identity_decomposerEEEEE10hipError_tT0_T1_T2_jT3_P12ihipStream_tbPNSt15iterator_traitsISG_E10value_typeEPNSM_ISH_E10value_typeEPSI_NS1_7vsmem_tEENKUlT_SG_SH_SI_E_clIS7_S7_PlSB_EESF_SV_SG_SH_SI_EUlSV_E0_NS1_11comp_targetILNS1_3genE5ELNS1_11target_archE942ELNS1_3gpuE9ELNS1_3repE0EEENS1_38merge_mergepath_config_static_selectorELNS0_4arch9wavefront6targetE1EEEvSH_.kd
    .uniform_work_group_size: 1
    .uses_dynamic_stack: false
    .vgpr_count:     0
    .vgpr_spill_count: 0
    .wavefront_size: 64
  - .args:
      - .offset:         0
        .size:           64
        .value_kind:     by_value
    .group_segment_fixed_size: 0
    .kernarg_segment_align: 8
    .kernarg_segment_size: 64
    .language:       OpenCL C
    .language_version:
      - 2
      - 0
    .max_flat_workgroup_size: 512
    .name:           _ZN7rocprim17ROCPRIM_400000_NS6detail17trampoline_kernelINS0_14default_configENS1_38merge_sort_block_merge_config_selectorIdlEEZZNS1_27merge_sort_block_merge_implIS3_PdN6thrust23THRUST_200600_302600_NS10device_ptrIlEEjNS1_19radix_merge_compareILb0ELb0EdNS0_19identity_decomposerEEEEE10hipError_tT0_T1_T2_jT3_P12ihipStream_tbPNSt15iterator_traitsISG_E10value_typeEPNSM_ISH_E10value_typeEPSI_NS1_7vsmem_tEENKUlT_SG_SH_SI_E_clIS7_S7_PlSB_EESF_SV_SG_SH_SI_EUlSV_E0_NS1_11comp_targetILNS1_3genE4ELNS1_11target_archE910ELNS1_3gpuE8ELNS1_3repE0EEENS1_38merge_mergepath_config_static_selectorELNS0_4arch9wavefront6targetE1EEEvSH_
    .private_segment_fixed_size: 0
    .sgpr_count:     4
    .sgpr_spill_count: 0
    .symbol:         _ZN7rocprim17ROCPRIM_400000_NS6detail17trampoline_kernelINS0_14default_configENS1_38merge_sort_block_merge_config_selectorIdlEEZZNS1_27merge_sort_block_merge_implIS3_PdN6thrust23THRUST_200600_302600_NS10device_ptrIlEEjNS1_19radix_merge_compareILb0ELb0EdNS0_19identity_decomposerEEEEE10hipError_tT0_T1_T2_jT3_P12ihipStream_tbPNSt15iterator_traitsISG_E10value_typeEPNSM_ISH_E10value_typeEPSI_NS1_7vsmem_tEENKUlT_SG_SH_SI_E_clIS7_S7_PlSB_EESF_SV_SG_SH_SI_EUlSV_E0_NS1_11comp_targetILNS1_3genE4ELNS1_11target_archE910ELNS1_3gpuE8ELNS1_3repE0EEENS1_38merge_mergepath_config_static_selectorELNS0_4arch9wavefront6targetE1EEEvSH_.kd
    .uniform_work_group_size: 1
    .uses_dynamic_stack: false
    .vgpr_count:     0
    .vgpr_spill_count: 0
    .wavefront_size: 64
  - .args:
      - .offset:         0
        .size:           64
        .value_kind:     by_value
    .group_segment_fixed_size: 0
    .kernarg_segment_align: 8
    .kernarg_segment_size: 64
    .language:       OpenCL C
    .language_version:
      - 2
      - 0
    .max_flat_workgroup_size: 1024
    .name:           _ZN7rocprim17ROCPRIM_400000_NS6detail17trampoline_kernelINS0_14default_configENS1_38merge_sort_block_merge_config_selectorIdlEEZZNS1_27merge_sort_block_merge_implIS3_PdN6thrust23THRUST_200600_302600_NS10device_ptrIlEEjNS1_19radix_merge_compareILb0ELb0EdNS0_19identity_decomposerEEEEE10hipError_tT0_T1_T2_jT3_P12ihipStream_tbPNSt15iterator_traitsISG_E10value_typeEPNSM_ISH_E10value_typeEPSI_NS1_7vsmem_tEENKUlT_SG_SH_SI_E_clIS7_S7_PlSB_EESF_SV_SG_SH_SI_EUlSV_E0_NS1_11comp_targetILNS1_3genE3ELNS1_11target_archE908ELNS1_3gpuE7ELNS1_3repE0EEENS1_38merge_mergepath_config_static_selectorELNS0_4arch9wavefront6targetE1EEEvSH_
    .private_segment_fixed_size: 0
    .sgpr_count:     4
    .sgpr_spill_count: 0
    .symbol:         _ZN7rocprim17ROCPRIM_400000_NS6detail17trampoline_kernelINS0_14default_configENS1_38merge_sort_block_merge_config_selectorIdlEEZZNS1_27merge_sort_block_merge_implIS3_PdN6thrust23THRUST_200600_302600_NS10device_ptrIlEEjNS1_19radix_merge_compareILb0ELb0EdNS0_19identity_decomposerEEEEE10hipError_tT0_T1_T2_jT3_P12ihipStream_tbPNSt15iterator_traitsISG_E10value_typeEPNSM_ISH_E10value_typeEPSI_NS1_7vsmem_tEENKUlT_SG_SH_SI_E_clIS7_S7_PlSB_EESF_SV_SG_SH_SI_EUlSV_E0_NS1_11comp_targetILNS1_3genE3ELNS1_11target_archE908ELNS1_3gpuE7ELNS1_3repE0EEENS1_38merge_mergepath_config_static_selectorELNS0_4arch9wavefront6targetE1EEEvSH_.kd
    .uniform_work_group_size: 1
    .uses_dynamic_stack: false
    .vgpr_count:     0
    .vgpr_spill_count: 0
    .wavefront_size: 64
  - .args:
      - .offset:         0
        .size:           64
        .value_kind:     by_value
      - .offset:         64
        .size:           4
        .value_kind:     hidden_block_count_x
      - .offset:         68
        .size:           4
        .value_kind:     hidden_block_count_y
      - .offset:         72
        .size:           4
        .value_kind:     hidden_block_count_z
      - .offset:         76
        .size:           2
        .value_kind:     hidden_group_size_x
      - .offset:         78
        .size:           2
        .value_kind:     hidden_group_size_y
      - .offset:         80
        .size:           2
        .value_kind:     hidden_group_size_z
      - .offset:         82
        .size:           2
        .value_kind:     hidden_remainder_x
      - .offset:         84
        .size:           2
        .value_kind:     hidden_remainder_y
      - .offset:         86
        .size:           2
        .value_kind:     hidden_remainder_z
      - .offset:         104
        .size:           8
        .value_kind:     hidden_global_offset_x
      - .offset:         112
        .size:           8
        .value_kind:     hidden_global_offset_y
      - .offset:         120
        .size:           8
        .value_kind:     hidden_global_offset_z
      - .offset:         128
        .size:           2
        .value_kind:     hidden_grid_dims
    .group_segment_fixed_size: 8448
    .kernarg_segment_align: 8
    .kernarg_segment_size: 320
    .language:       OpenCL C
    .language_version:
      - 2
      - 0
    .max_flat_workgroup_size: 256
    .name:           _ZN7rocprim17ROCPRIM_400000_NS6detail17trampoline_kernelINS0_14default_configENS1_38merge_sort_block_merge_config_selectorIdlEEZZNS1_27merge_sort_block_merge_implIS3_PdN6thrust23THRUST_200600_302600_NS10device_ptrIlEEjNS1_19radix_merge_compareILb0ELb0EdNS0_19identity_decomposerEEEEE10hipError_tT0_T1_T2_jT3_P12ihipStream_tbPNSt15iterator_traitsISG_E10value_typeEPNSM_ISH_E10value_typeEPSI_NS1_7vsmem_tEENKUlT_SG_SH_SI_E_clIS7_S7_PlSB_EESF_SV_SG_SH_SI_EUlSV_E0_NS1_11comp_targetILNS1_3genE2ELNS1_11target_archE906ELNS1_3gpuE6ELNS1_3repE0EEENS1_38merge_mergepath_config_static_selectorELNS0_4arch9wavefront6targetE1EEEvSH_
    .private_segment_fixed_size: 0
    .sgpr_count:     35
    .sgpr_spill_count: 0
    .symbol:         _ZN7rocprim17ROCPRIM_400000_NS6detail17trampoline_kernelINS0_14default_configENS1_38merge_sort_block_merge_config_selectorIdlEEZZNS1_27merge_sort_block_merge_implIS3_PdN6thrust23THRUST_200600_302600_NS10device_ptrIlEEjNS1_19radix_merge_compareILb0ELb0EdNS0_19identity_decomposerEEEEE10hipError_tT0_T1_T2_jT3_P12ihipStream_tbPNSt15iterator_traitsISG_E10value_typeEPNSM_ISH_E10value_typeEPSI_NS1_7vsmem_tEENKUlT_SG_SH_SI_E_clIS7_S7_PlSB_EESF_SV_SG_SH_SI_EUlSV_E0_NS1_11comp_targetILNS1_3genE2ELNS1_11target_archE906ELNS1_3gpuE6ELNS1_3repE0EEENS1_38merge_mergepath_config_static_selectorELNS0_4arch9wavefront6targetE1EEEvSH_.kd
    .uniform_work_group_size: 1
    .uses_dynamic_stack: false
    .vgpr_count:     39
    .vgpr_spill_count: 0
    .wavefront_size: 64
  - .args:
      - .offset:         0
        .size:           64
        .value_kind:     by_value
    .group_segment_fixed_size: 0
    .kernarg_segment_align: 8
    .kernarg_segment_size: 64
    .language:       OpenCL C
    .language_version:
      - 2
      - 0
    .max_flat_workgroup_size: 1024
    .name:           _ZN7rocprim17ROCPRIM_400000_NS6detail17trampoline_kernelINS0_14default_configENS1_38merge_sort_block_merge_config_selectorIdlEEZZNS1_27merge_sort_block_merge_implIS3_PdN6thrust23THRUST_200600_302600_NS10device_ptrIlEEjNS1_19radix_merge_compareILb0ELb0EdNS0_19identity_decomposerEEEEE10hipError_tT0_T1_T2_jT3_P12ihipStream_tbPNSt15iterator_traitsISG_E10value_typeEPNSM_ISH_E10value_typeEPSI_NS1_7vsmem_tEENKUlT_SG_SH_SI_E_clIS7_S7_PlSB_EESF_SV_SG_SH_SI_EUlSV_E0_NS1_11comp_targetILNS1_3genE9ELNS1_11target_archE1100ELNS1_3gpuE3ELNS1_3repE0EEENS1_38merge_mergepath_config_static_selectorELNS0_4arch9wavefront6targetE1EEEvSH_
    .private_segment_fixed_size: 0
    .sgpr_count:     4
    .sgpr_spill_count: 0
    .symbol:         _ZN7rocprim17ROCPRIM_400000_NS6detail17trampoline_kernelINS0_14default_configENS1_38merge_sort_block_merge_config_selectorIdlEEZZNS1_27merge_sort_block_merge_implIS3_PdN6thrust23THRUST_200600_302600_NS10device_ptrIlEEjNS1_19radix_merge_compareILb0ELb0EdNS0_19identity_decomposerEEEEE10hipError_tT0_T1_T2_jT3_P12ihipStream_tbPNSt15iterator_traitsISG_E10value_typeEPNSM_ISH_E10value_typeEPSI_NS1_7vsmem_tEENKUlT_SG_SH_SI_E_clIS7_S7_PlSB_EESF_SV_SG_SH_SI_EUlSV_E0_NS1_11comp_targetILNS1_3genE9ELNS1_11target_archE1100ELNS1_3gpuE3ELNS1_3repE0EEENS1_38merge_mergepath_config_static_selectorELNS0_4arch9wavefront6targetE1EEEvSH_.kd
    .uniform_work_group_size: 1
    .uses_dynamic_stack: false
    .vgpr_count:     0
    .vgpr_spill_count: 0
    .wavefront_size: 64
  - .args:
      - .offset:         0
        .size:           64
        .value_kind:     by_value
    .group_segment_fixed_size: 0
    .kernarg_segment_align: 8
    .kernarg_segment_size: 64
    .language:       OpenCL C
    .language_version:
      - 2
      - 0
    .max_flat_workgroup_size: 1024
    .name:           _ZN7rocprim17ROCPRIM_400000_NS6detail17trampoline_kernelINS0_14default_configENS1_38merge_sort_block_merge_config_selectorIdlEEZZNS1_27merge_sort_block_merge_implIS3_PdN6thrust23THRUST_200600_302600_NS10device_ptrIlEEjNS1_19radix_merge_compareILb0ELb0EdNS0_19identity_decomposerEEEEE10hipError_tT0_T1_T2_jT3_P12ihipStream_tbPNSt15iterator_traitsISG_E10value_typeEPNSM_ISH_E10value_typeEPSI_NS1_7vsmem_tEENKUlT_SG_SH_SI_E_clIS7_S7_PlSB_EESF_SV_SG_SH_SI_EUlSV_E0_NS1_11comp_targetILNS1_3genE8ELNS1_11target_archE1030ELNS1_3gpuE2ELNS1_3repE0EEENS1_38merge_mergepath_config_static_selectorELNS0_4arch9wavefront6targetE1EEEvSH_
    .private_segment_fixed_size: 0
    .sgpr_count:     4
    .sgpr_spill_count: 0
    .symbol:         _ZN7rocprim17ROCPRIM_400000_NS6detail17trampoline_kernelINS0_14default_configENS1_38merge_sort_block_merge_config_selectorIdlEEZZNS1_27merge_sort_block_merge_implIS3_PdN6thrust23THRUST_200600_302600_NS10device_ptrIlEEjNS1_19radix_merge_compareILb0ELb0EdNS0_19identity_decomposerEEEEE10hipError_tT0_T1_T2_jT3_P12ihipStream_tbPNSt15iterator_traitsISG_E10value_typeEPNSM_ISH_E10value_typeEPSI_NS1_7vsmem_tEENKUlT_SG_SH_SI_E_clIS7_S7_PlSB_EESF_SV_SG_SH_SI_EUlSV_E0_NS1_11comp_targetILNS1_3genE8ELNS1_11target_archE1030ELNS1_3gpuE2ELNS1_3repE0EEENS1_38merge_mergepath_config_static_selectorELNS0_4arch9wavefront6targetE1EEEvSH_.kd
    .uniform_work_group_size: 1
    .uses_dynamic_stack: false
    .vgpr_count:     0
    .vgpr_spill_count: 0
    .wavefront_size: 64
  - .args:
      - .offset:         0
        .size:           48
        .value_kind:     by_value
    .group_segment_fixed_size: 0
    .kernarg_segment_align: 8
    .kernarg_segment_size: 48
    .language:       OpenCL C
    .language_version:
      - 2
      - 0
    .max_flat_workgroup_size: 256
    .name:           _ZN7rocprim17ROCPRIM_400000_NS6detail17trampoline_kernelINS0_14default_configENS1_38merge_sort_block_merge_config_selectorIdlEEZZNS1_27merge_sort_block_merge_implIS3_PdN6thrust23THRUST_200600_302600_NS10device_ptrIlEEjNS1_19radix_merge_compareILb0ELb0EdNS0_19identity_decomposerEEEEE10hipError_tT0_T1_T2_jT3_P12ihipStream_tbPNSt15iterator_traitsISG_E10value_typeEPNSM_ISH_E10value_typeEPSI_NS1_7vsmem_tEENKUlT_SG_SH_SI_E_clIS7_S7_PlSB_EESF_SV_SG_SH_SI_EUlSV_E1_NS1_11comp_targetILNS1_3genE0ELNS1_11target_archE4294967295ELNS1_3gpuE0ELNS1_3repE0EEENS1_36merge_oddeven_config_static_selectorELNS0_4arch9wavefront6targetE1EEEvSH_
    .private_segment_fixed_size: 0
    .sgpr_count:     4
    .sgpr_spill_count: 0
    .symbol:         _ZN7rocprim17ROCPRIM_400000_NS6detail17trampoline_kernelINS0_14default_configENS1_38merge_sort_block_merge_config_selectorIdlEEZZNS1_27merge_sort_block_merge_implIS3_PdN6thrust23THRUST_200600_302600_NS10device_ptrIlEEjNS1_19radix_merge_compareILb0ELb0EdNS0_19identity_decomposerEEEEE10hipError_tT0_T1_T2_jT3_P12ihipStream_tbPNSt15iterator_traitsISG_E10value_typeEPNSM_ISH_E10value_typeEPSI_NS1_7vsmem_tEENKUlT_SG_SH_SI_E_clIS7_S7_PlSB_EESF_SV_SG_SH_SI_EUlSV_E1_NS1_11comp_targetILNS1_3genE0ELNS1_11target_archE4294967295ELNS1_3gpuE0ELNS1_3repE0EEENS1_36merge_oddeven_config_static_selectorELNS0_4arch9wavefront6targetE1EEEvSH_.kd
    .uniform_work_group_size: 1
    .uses_dynamic_stack: false
    .vgpr_count:     0
    .vgpr_spill_count: 0
    .wavefront_size: 64
  - .args:
      - .offset:         0
        .size:           48
        .value_kind:     by_value
    .group_segment_fixed_size: 0
    .kernarg_segment_align: 8
    .kernarg_segment_size: 48
    .language:       OpenCL C
    .language_version:
      - 2
      - 0
    .max_flat_workgroup_size: 256
    .name:           _ZN7rocprim17ROCPRIM_400000_NS6detail17trampoline_kernelINS0_14default_configENS1_38merge_sort_block_merge_config_selectorIdlEEZZNS1_27merge_sort_block_merge_implIS3_PdN6thrust23THRUST_200600_302600_NS10device_ptrIlEEjNS1_19radix_merge_compareILb0ELb0EdNS0_19identity_decomposerEEEEE10hipError_tT0_T1_T2_jT3_P12ihipStream_tbPNSt15iterator_traitsISG_E10value_typeEPNSM_ISH_E10value_typeEPSI_NS1_7vsmem_tEENKUlT_SG_SH_SI_E_clIS7_S7_PlSB_EESF_SV_SG_SH_SI_EUlSV_E1_NS1_11comp_targetILNS1_3genE10ELNS1_11target_archE1201ELNS1_3gpuE5ELNS1_3repE0EEENS1_36merge_oddeven_config_static_selectorELNS0_4arch9wavefront6targetE1EEEvSH_
    .private_segment_fixed_size: 0
    .sgpr_count:     4
    .sgpr_spill_count: 0
    .symbol:         _ZN7rocprim17ROCPRIM_400000_NS6detail17trampoline_kernelINS0_14default_configENS1_38merge_sort_block_merge_config_selectorIdlEEZZNS1_27merge_sort_block_merge_implIS3_PdN6thrust23THRUST_200600_302600_NS10device_ptrIlEEjNS1_19radix_merge_compareILb0ELb0EdNS0_19identity_decomposerEEEEE10hipError_tT0_T1_T2_jT3_P12ihipStream_tbPNSt15iterator_traitsISG_E10value_typeEPNSM_ISH_E10value_typeEPSI_NS1_7vsmem_tEENKUlT_SG_SH_SI_E_clIS7_S7_PlSB_EESF_SV_SG_SH_SI_EUlSV_E1_NS1_11comp_targetILNS1_3genE10ELNS1_11target_archE1201ELNS1_3gpuE5ELNS1_3repE0EEENS1_36merge_oddeven_config_static_selectorELNS0_4arch9wavefront6targetE1EEEvSH_.kd
    .uniform_work_group_size: 1
    .uses_dynamic_stack: false
    .vgpr_count:     0
    .vgpr_spill_count: 0
    .wavefront_size: 64
  - .args:
      - .offset:         0
        .size:           48
        .value_kind:     by_value
    .group_segment_fixed_size: 0
    .kernarg_segment_align: 8
    .kernarg_segment_size: 48
    .language:       OpenCL C
    .language_version:
      - 2
      - 0
    .max_flat_workgroup_size: 256
    .name:           _ZN7rocprim17ROCPRIM_400000_NS6detail17trampoline_kernelINS0_14default_configENS1_38merge_sort_block_merge_config_selectorIdlEEZZNS1_27merge_sort_block_merge_implIS3_PdN6thrust23THRUST_200600_302600_NS10device_ptrIlEEjNS1_19radix_merge_compareILb0ELb0EdNS0_19identity_decomposerEEEEE10hipError_tT0_T1_T2_jT3_P12ihipStream_tbPNSt15iterator_traitsISG_E10value_typeEPNSM_ISH_E10value_typeEPSI_NS1_7vsmem_tEENKUlT_SG_SH_SI_E_clIS7_S7_PlSB_EESF_SV_SG_SH_SI_EUlSV_E1_NS1_11comp_targetILNS1_3genE5ELNS1_11target_archE942ELNS1_3gpuE9ELNS1_3repE0EEENS1_36merge_oddeven_config_static_selectorELNS0_4arch9wavefront6targetE1EEEvSH_
    .private_segment_fixed_size: 0
    .sgpr_count:     4
    .sgpr_spill_count: 0
    .symbol:         _ZN7rocprim17ROCPRIM_400000_NS6detail17trampoline_kernelINS0_14default_configENS1_38merge_sort_block_merge_config_selectorIdlEEZZNS1_27merge_sort_block_merge_implIS3_PdN6thrust23THRUST_200600_302600_NS10device_ptrIlEEjNS1_19radix_merge_compareILb0ELb0EdNS0_19identity_decomposerEEEEE10hipError_tT0_T1_T2_jT3_P12ihipStream_tbPNSt15iterator_traitsISG_E10value_typeEPNSM_ISH_E10value_typeEPSI_NS1_7vsmem_tEENKUlT_SG_SH_SI_E_clIS7_S7_PlSB_EESF_SV_SG_SH_SI_EUlSV_E1_NS1_11comp_targetILNS1_3genE5ELNS1_11target_archE942ELNS1_3gpuE9ELNS1_3repE0EEENS1_36merge_oddeven_config_static_selectorELNS0_4arch9wavefront6targetE1EEEvSH_.kd
    .uniform_work_group_size: 1
    .uses_dynamic_stack: false
    .vgpr_count:     0
    .vgpr_spill_count: 0
    .wavefront_size: 64
  - .args:
      - .offset:         0
        .size:           48
        .value_kind:     by_value
    .group_segment_fixed_size: 0
    .kernarg_segment_align: 8
    .kernarg_segment_size: 48
    .language:       OpenCL C
    .language_version:
      - 2
      - 0
    .max_flat_workgroup_size: 256
    .name:           _ZN7rocprim17ROCPRIM_400000_NS6detail17trampoline_kernelINS0_14default_configENS1_38merge_sort_block_merge_config_selectorIdlEEZZNS1_27merge_sort_block_merge_implIS3_PdN6thrust23THRUST_200600_302600_NS10device_ptrIlEEjNS1_19radix_merge_compareILb0ELb0EdNS0_19identity_decomposerEEEEE10hipError_tT0_T1_T2_jT3_P12ihipStream_tbPNSt15iterator_traitsISG_E10value_typeEPNSM_ISH_E10value_typeEPSI_NS1_7vsmem_tEENKUlT_SG_SH_SI_E_clIS7_S7_PlSB_EESF_SV_SG_SH_SI_EUlSV_E1_NS1_11comp_targetILNS1_3genE4ELNS1_11target_archE910ELNS1_3gpuE8ELNS1_3repE0EEENS1_36merge_oddeven_config_static_selectorELNS0_4arch9wavefront6targetE1EEEvSH_
    .private_segment_fixed_size: 0
    .sgpr_count:     4
    .sgpr_spill_count: 0
    .symbol:         _ZN7rocprim17ROCPRIM_400000_NS6detail17trampoline_kernelINS0_14default_configENS1_38merge_sort_block_merge_config_selectorIdlEEZZNS1_27merge_sort_block_merge_implIS3_PdN6thrust23THRUST_200600_302600_NS10device_ptrIlEEjNS1_19radix_merge_compareILb0ELb0EdNS0_19identity_decomposerEEEEE10hipError_tT0_T1_T2_jT3_P12ihipStream_tbPNSt15iterator_traitsISG_E10value_typeEPNSM_ISH_E10value_typeEPSI_NS1_7vsmem_tEENKUlT_SG_SH_SI_E_clIS7_S7_PlSB_EESF_SV_SG_SH_SI_EUlSV_E1_NS1_11comp_targetILNS1_3genE4ELNS1_11target_archE910ELNS1_3gpuE8ELNS1_3repE0EEENS1_36merge_oddeven_config_static_selectorELNS0_4arch9wavefront6targetE1EEEvSH_.kd
    .uniform_work_group_size: 1
    .uses_dynamic_stack: false
    .vgpr_count:     0
    .vgpr_spill_count: 0
    .wavefront_size: 64
  - .args:
      - .offset:         0
        .size:           48
        .value_kind:     by_value
    .group_segment_fixed_size: 0
    .kernarg_segment_align: 8
    .kernarg_segment_size: 48
    .language:       OpenCL C
    .language_version:
      - 2
      - 0
    .max_flat_workgroup_size: 256
    .name:           _ZN7rocprim17ROCPRIM_400000_NS6detail17trampoline_kernelINS0_14default_configENS1_38merge_sort_block_merge_config_selectorIdlEEZZNS1_27merge_sort_block_merge_implIS3_PdN6thrust23THRUST_200600_302600_NS10device_ptrIlEEjNS1_19radix_merge_compareILb0ELb0EdNS0_19identity_decomposerEEEEE10hipError_tT0_T1_T2_jT3_P12ihipStream_tbPNSt15iterator_traitsISG_E10value_typeEPNSM_ISH_E10value_typeEPSI_NS1_7vsmem_tEENKUlT_SG_SH_SI_E_clIS7_S7_PlSB_EESF_SV_SG_SH_SI_EUlSV_E1_NS1_11comp_targetILNS1_3genE3ELNS1_11target_archE908ELNS1_3gpuE7ELNS1_3repE0EEENS1_36merge_oddeven_config_static_selectorELNS0_4arch9wavefront6targetE1EEEvSH_
    .private_segment_fixed_size: 0
    .sgpr_count:     4
    .sgpr_spill_count: 0
    .symbol:         _ZN7rocprim17ROCPRIM_400000_NS6detail17trampoline_kernelINS0_14default_configENS1_38merge_sort_block_merge_config_selectorIdlEEZZNS1_27merge_sort_block_merge_implIS3_PdN6thrust23THRUST_200600_302600_NS10device_ptrIlEEjNS1_19radix_merge_compareILb0ELb0EdNS0_19identity_decomposerEEEEE10hipError_tT0_T1_T2_jT3_P12ihipStream_tbPNSt15iterator_traitsISG_E10value_typeEPNSM_ISH_E10value_typeEPSI_NS1_7vsmem_tEENKUlT_SG_SH_SI_E_clIS7_S7_PlSB_EESF_SV_SG_SH_SI_EUlSV_E1_NS1_11comp_targetILNS1_3genE3ELNS1_11target_archE908ELNS1_3gpuE7ELNS1_3repE0EEENS1_36merge_oddeven_config_static_selectorELNS0_4arch9wavefront6targetE1EEEvSH_.kd
    .uniform_work_group_size: 1
    .uses_dynamic_stack: false
    .vgpr_count:     0
    .vgpr_spill_count: 0
    .wavefront_size: 64
  - .args:
      - .offset:         0
        .size:           48
        .value_kind:     by_value
    .group_segment_fixed_size: 0
    .kernarg_segment_align: 8
    .kernarg_segment_size: 48
    .language:       OpenCL C
    .language_version:
      - 2
      - 0
    .max_flat_workgroup_size: 256
    .name:           _ZN7rocprim17ROCPRIM_400000_NS6detail17trampoline_kernelINS0_14default_configENS1_38merge_sort_block_merge_config_selectorIdlEEZZNS1_27merge_sort_block_merge_implIS3_PdN6thrust23THRUST_200600_302600_NS10device_ptrIlEEjNS1_19radix_merge_compareILb0ELb0EdNS0_19identity_decomposerEEEEE10hipError_tT0_T1_T2_jT3_P12ihipStream_tbPNSt15iterator_traitsISG_E10value_typeEPNSM_ISH_E10value_typeEPSI_NS1_7vsmem_tEENKUlT_SG_SH_SI_E_clIS7_S7_PlSB_EESF_SV_SG_SH_SI_EUlSV_E1_NS1_11comp_targetILNS1_3genE2ELNS1_11target_archE906ELNS1_3gpuE6ELNS1_3repE0EEENS1_36merge_oddeven_config_static_selectorELNS0_4arch9wavefront6targetE1EEEvSH_
    .private_segment_fixed_size: 0
    .sgpr_count:     26
    .sgpr_spill_count: 0
    .symbol:         _ZN7rocprim17ROCPRIM_400000_NS6detail17trampoline_kernelINS0_14default_configENS1_38merge_sort_block_merge_config_selectorIdlEEZZNS1_27merge_sort_block_merge_implIS3_PdN6thrust23THRUST_200600_302600_NS10device_ptrIlEEjNS1_19radix_merge_compareILb0ELb0EdNS0_19identity_decomposerEEEEE10hipError_tT0_T1_T2_jT3_P12ihipStream_tbPNSt15iterator_traitsISG_E10value_typeEPNSM_ISH_E10value_typeEPSI_NS1_7vsmem_tEENKUlT_SG_SH_SI_E_clIS7_S7_PlSB_EESF_SV_SG_SH_SI_EUlSV_E1_NS1_11comp_targetILNS1_3genE2ELNS1_11target_archE906ELNS1_3gpuE6ELNS1_3repE0EEENS1_36merge_oddeven_config_static_selectorELNS0_4arch9wavefront6targetE1EEEvSH_.kd
    .uniform_work_group_size: 1
    .uses_dynamic_stack: false
    .vgpr_count:     17
    .vgpr_spill_count: 0
    .wavefront_size: 64
  - .args:
      - .offset:         0
        .size:           48
        .value_kind:     by_value
    .group_segment_fixed_size: 0
    .kernarg_segment_align: 8
    .kernarg_segment_size: 48
    .language:       OpenCL C
    .language_version:
      - 2
      - 0
    .max_flat_workgroup_size: 256
    .name:           _ZN7rocprim17ROCPRIM_400000_NS6detail17trampoline_kernelINS0_14default_configENS1_38merge_sort_block_merge_config_selectorIdlEEZZNS1_27merge_sort_block_merge_implIS3_PdN6thrust23THRUST_200600_302600_NS10device_ptrIlEEjNS1_19radix_merge_compareILb0ELb0EdNS0_19identity_decomposerEEEEE10hipError_tT0_T1_T2_jT3_P12ihipStream_tbPNSt15iterator_traitsISG_E10value_typeEPNSM_ISH_E10value_typeEPSI_NS1_7vsmem_tEENKUlT_SG_SH_SI_E_clIS7_S7_PlSB_EESF_SV_SG_SH_SI_EUlSV_E1_NS1_11comp_targetILNS1_3genE9ELNS1_11target_archE1100ELNS1_3gpuE3ELNS1_3repE0EEENS1_36merge_oddeven_config_static_selectorELNS0_4arch9wavefront6targetE1EEEvSH_
    .private_segment_fixed_size: 0
    .sgpr_count:     4
    .sgpr_spill_count: 0
    .symbol:         _ZN7rocprim17ROCPRIM_400000_NS6detail17trampoline_kernelINS0_14default_configENS1_38merge_sort_block_merge_config_selectorIdlEEZZNS1_27merge_sort_block_merge_implIS3_PdN6thrust23THRUST_200600_302600_NS10device_ptrIlEEjNS1_19radix_merge_compareILb0ELb0EdNS0_19identity_decomposerEEEEE10hipError_tT0_T1_T2_jT3_P12ihipStream_tbPNSt15iterator_traitsISG_E10value_typeEPNSM_ISH_E10value_typeEPSI_NS1_7vsmem_tEENKUlT_SG_SH_SI_E_clIS7_S7_PlSB_EESF_SV_SG_SH_SI_EUlSV_E1_NS1_11comp_targetILNS1_3genE9ELNS1_11target_archE1100ELNS1_3gpuE3ELNS1_3repE0EEENS1_36merge_oddeven_config_static_selectorELNS0_4arch9wavefront6targetE1EEEvSH_.kd
    .uniform_work_group_size: 1
    .uses_dynamic_stack: false
    .vgpr_count:     0
    .vgpr_spill_count: 0
    .wavefront_size: 64
  - .args:
      - .offset:         0
        .size:           48
        .value_kind:     by_value
    .group_segment_fixed_size: 0
    .kernarg_segment_align: 8
    .kernarg_segment_size: 48
    .language:       OpenCL C
    .language_version:
      - 2
      - 0
    .max_flat_workgroup_size: 256
    .name:           _ZN7rocprim17ROCPRIM_400000_NS6detail17trampoline_kernelINS0_14default_configENS1_38merge_sort_block_merge_config_selectorIdlEEZZNS1_27merge_sort_block_merge_implIS3_PdN6thrust23THRUST_200600_302600_NS10device_ptrIlEEjNS1_19radix_merge_compareILb0ELb0EdNS0_19identity_decomposerEEEEE10hipError_tT0_T1_T2_jT3_P12ihipStream_tbPNSt15iterator_traitsISG_E10value_typeEPNSM_ISH_E10value_typeEPSI_NS1_7vsmem_tEENKUlT_SG_SH_SI_E_clIS7_S7_PlSB_EESF_SV_SG_SH_SI_EUlSV_E1_NS1_11comp_targetILNS1_3genE8ELNS1_11target_archE1030ELNS1_3gpuE2ELNS1_3repE0EEENS1_36merge_oddeven_config_static_selectorELNS0_4arch9wavefront6targetE1EEEvSH_
    .private_segment_fixed_size: 0
    .sgpr_count:     4
    .sgpr_spill_count: 0
    .symbol:         _ZN7rocprim17ROCPRIM_400000_NS6detail17trampoline_kernelINS0_14default_configENS1_38merge_sort_block_merge_config_selectorIdlEEZZNS1_27merge_sort_block_merge_implIS3_PdN6thrust23THRUST_200600_302600_NS10device_ptrIlEEjNS1_19radix_merge_compareILb0ELb0EdNS0_19identity_decomposerEEEEE10hipError_tT0_T1_T2_jT3_P12ihipStream_tbPNSt15iterator_traitsISG_E10value_typeEPNSM_ISH_E10value_typeEPSI_NS1_7vsmem_tEENKUlT_SG_SH_SI_E_clIS7_S7_PlSB_EESF_SV_SG_SH_SI_EUlSV_E1_NS1_11comp_targetILNS1_3genE8ELNS1_11target_archE1030ELNS1_3gpuE2ELNS1_3repE0EEENS1_36merge_oddeven_config_static_selectorELNS0_4arch9wavefront6targetE1EEEvSH_.kd
    .uniform_work_group_size: 1
    .uses_dynamic_stack: false
    .vgpr_count:     0
    .vgpr_spill_count: 0
    .wavefront_size: 64
  - .args:
      - .offset:         0
        .size:           40
        .value_kind:     by_value
    .group_segment_fixed_size: 0
    .kernarg_segment_align: 8
    .kernarg_segment_size: 40
    .language:       OpenCL C
    .language_version:
      - 2
      - 0
    .max_flat_workgroup_size: 128
    .name:           _ZN7rocprim17ROCPRIM_400000_NS6detail17trampoline_kernelINS0_14default_configENS1_38merge_sort_block_merge_config_selectorIdlEEZZNS1_27merge_sort_block_merge_implIS3_PdN6thrust23THRUST_200600_302600_NS10device_ptrIlEEjNS1_19radix_merge_compareILb0ELb0EdNS0_19identity_decomposerEEEEE10hipError_tT0_T1_T2_jT3_P12ihipStream_tbPNSt15iterator_traitsISG_E10value_typeEPNSM_ISH_E10value_typeEPSI_NS1_7vsmem_tEENKUlT_SG_SH_SI_E_clIS7_S7_SB_PlEESF_SV_SG_SH_SI_EUlSV_E_NS1_11comp_targetILNS1_3genE0ELNS1_11target_archE4294967295ELNS1_3gpuE0ELNS1_3repE0EEENS1_48merge_mergepath_partition_config_static_selectorELNS0_4arch9wavefront6targetE1EEEvSH_
    .private_segment_fixed_size: 0
    .sgpr_count:     4
    .sgpr_spill_count: 0
    .symbol:         _ZN7rocprim17ROCPRIM_400000_NS6detail17trampoline_kernelINS0_14default_configENS1_38merge_sort_block_merge_config_selectorIdlEEZZNS1_27merge_sort_block_merge_implIS3_PdN6thrust23THRUST_200600_302600_NS10device_ptrIlEEjNS1_19radix_merge_compareILb0ELb0EdNS0_19identity_decomposerEEEEE10hipError_tT0_T1_T2_jT3_P12ihipStream_tbPNSt15iterator_traitsISG_E10value_typeEPNSM_ISH_E10value_typeEPSI_NS1_7vsmem_tEENKUlT_SG_SH_SI_E_clIS7_S7_SB_PlEESF_SV_SG_SH_SI_EUlSV_E_NS1_11comp_targetILNS1_3genE0ELNS1_11target_archE4294967295ELNS1_3gpuE0ELNS1_3repE0EEENS1_48merge_mergepath_partition_config_static_selectorELNS0_4arch9wavefront6targetE1EEEvSH_.kd
    .uniform_work_group_size: 1
    .uses_dynamic_stack: false
    .vgpr_count:     0
    .vgpr_spill_count: 0
    .wavefront_size: 64
  - .args:
      - .offset:         0
        .size:           40
        .value_kind:     by_value
    .group_segment_fixed_size: 0
    .kernarg_segment_align: 8
    .kernarg_segment_size: 40
    .language:       OpenCL C
    .language_version:
      - 2
      - 0
    .max_flat_workgroup_size: 128
    .name:           _ZN7rocprim17ROCPRIM_400000_NS6detail17trampoline_kernelINS0_14default_configENS1_38merge_sort_block_merge_config_selectorIdlEEZZNS1_27merge_sort_block_merge_implIS3_PdN6thrust23THRUST_200600_302600_NS10device_ptrIlEEjNS1_19radix_merge_compareILb0ELb0EdNS0_19identity_decomposerEEEEE10hipError_tT0_T1_T2_jT3_P12ihipStream_tbPNSt15iterator_traitsISG_E10value_typeEPNSM_ISH_E10value_typeEPSI_NS1_7vsmem_tEENKUlT_SG_SH_SI_E_clIS7_S7_SB_PlEESF_SV_SG_SH_SI_EUlSV_E_NS1_11comp_targetILNS1_3genE10ELNS1_11target_archE1201ELNS1_3gpuE5ELNS1_3repE0EEENS1_48merge_mergepath_partition_config_static_selectorELNS0_4arch9wavefront6targetE1EEEvSH_
    .private_segment_fixed_size: 0
    .sgpr_count:     4
    .sgpr_spill_count: 0
    .symbol:         _ZN7rocprim17ROCPRIM_400000_NS6detail17trampoline_kernelINS0_14default_configENS1_38merge_sort_block_merge_config_selectorIdlEEZZNS1_27merge_sort_block_merge_implIS3_PdN6thrust23THRUST_200600_302600_NS10device_ptrIlEEjNS1_19radix_merge_compareILb0ELb0EdNS0_19identity_decomposerEEEEE10hipError_tT0_T1_T2_jT3_P12ihipStream_tbPNSt15iterator_traitsISG_E10value_typeEPNSM_ISH_E10value_typeEPSI_NS1_7vsmem_tEENKUlT_SG_SH_SI_E_clIS7_S7_SB_PlEESF_SV_SG_SH_SI_EUlSV_E_NS1_11comp_targetILNS1_3genE10ELNS1_11target_archE1201ELNS1_3gpuE5ELNS1_3repE0EEENS1_48merge_mergepath_partition_config_static_selectorELNS0_4arch9wavefront6targetE1EEEvSH_.kd
    .uniform_work_group_size: 1
    .uses_dynamic_stack: false
    .vgpr_count:     0
    .vgpr_spill_count: 0
    .wavefront_size: 64
  - .args:
      - .offset:         0
        .size:           40
        .value_kind:     by_value
    .group_segment_fixed_size: 0
    .kernarg_segment_align: 8
    .kernarg_segment_size: 40
    .language:       OpenCL C
    .language_version:
      - 2
      - 0
    .max_flat_workgroup_size: 128
    .name:           _ZN7rocprim17ROCPRIM_400000_NS6detail17trampoline_kernelINS0_14default_configENS1_38merge_sort_block_merge_config_selectorIdlEEZZNS1_27merge_sort_block_merge_implIS3_PdN6thrust23THRUST_200600_302600_NS10device_ptrIlEEjNS1_19radix_merge_compareILb0ELb0EdNS0_19identity_decomposerEEEEE10hipError_tT0_T1_T2_jT3_P12ihipStream_tbPNSt15iterator_traitsISG_E10value_typeEPNSM_ISH_E10value_typeEPSI_NS1_7vsmem_tEENKUlT_SG_SH_SI_E_clIS7_S7_SB_PlEESF_SV_SG_SH_SI_EUlSV_E_NS1_11comp_targetILNS1_3genE5ELNS1_11target_archE942ELNS1_3gpuE9ELNS1_3repE0EEENS1_48merge_mergepath_partition_config_static_selectorELNS0_4arch9wavefront6targetE1EEEvSH_
    .private_segment_fixed_size: 0
    .sgpr_count:     4
    .sgpr_spill_count: 0
    .symbol:         _ZN7rocprim17ROCPRIM_400000_NS6detail17trampoline_kernelINS0_14default_configENS1_38merge_sort_block_merge_config_selectorIdlEEZZNS1_27merge_sort_block_merge_implIS3_PdN6thrust23THRUST_200600_302600_NS10device_ptrIlEEjNS1_19radix_merge_compareILb0ELb0EdNS0_19identity_decomposerEEEEE10hipError_tT0_T1_T2_jT3_P12ihipStream_tbPNSt15iterator_traitsISG_E10value_typeEPNSM_ISH_E10value_typeEPSI_NS1_7vsmem_tEENKUlT_SG_SH_SI_E_clIS7_S7_SB_PlEESF_SV_SG_SH_SI_EUlSV_E_NS1_11comp_targetILNS1_3genE5ELNS1_11target_archE942ELNS1_3gpuE9ELNS1_3repE0EEENS1_48merge_mergepath_partition_config_static_selectorELNS0_4arch9wavefront6targetE1EEEvSH_.kd
    .uniform_work_group_size: 1
    .uses_dynamic_stack: false
    .vgpr_count:     0
    .vgpr_spill_count: 0
    .wavefront_size: 64
  - .args:
      - .offset:         0
        .size:           40
        .value_kind:     by_value
    .group_segment_fixed_size: 0
    .kernarg_segment_align: 8
    .kernarg_segment_size: 40
    .language:       OpenCL C
    .language_version:
      - 2
      - 0
    .max_flat_workgroup_size: 128
    .name:           _ZN7rocprim17ROCPRIM_400000_NS6detail17trampoline_kernelINS0_14default_configENS1_38merge_sort_block_merge_config_selectorIdlEEZZNS1_27merge_sort_block_merge_implIS3_PdN6thrust23THRUST_200600_302600_NS10device_ptrIlEEjNS1_19radix_merge_compareILb0ELb0EdNS0_19identity_decomposerEEEEE10hipError_tT0_T1_T2_jT3_P12ihipStream_tbPNSt15iterator_traitsISG_E10value_typeEPNSM_ISH_E10value_typeEPSI_NS1_7vsmem_tEENKUlT_SG_SH_SI_E_clIS7_S7_SB_PlEESF_SV_SG_SH_SI_EUlSV_E_NS1_11comp_targetILNS1_3genE4ELNS1_11target_archE910ELNS1_3gpuE8ELNS1_3repE0EEENS1_48merge_mergepath_partition_config_static_selectorELNS0_4arch9wavefront6targetE1EEEvSH_
    .private_segment_fixed_size: 0
    .sgpr_count:     4
    .sgpr_spill_count: 0
    .symbol:         _ZN7rocprim17ROCPRIM_400000_NS6detail17trampoline_kernelINS0_14default_configENS1_38merge_sort_block_merge_config_selectorIdlEEZZNS1_27merge_sort_block_merge_implIS3_PdN6thrust23THRUST_200600_302600_NS10device_ptrIlEEjNS1_19radix_merge_compareILb0ELb0EdNS0_19identity_decomposerEEEEE10hipError_tT0_T1_T2_jT3_P12ihipStream_tbPNSt15iterator_traitsISG_E10value_typeEPNSM_ISH_E10value_typeEPSI_NS1_7vsmem_tEENKUlT_SG_SH_SI_E_clIS7_S7_SB_PlEESF_SV_SG_SH_SI_EUlSV_E_NS1_11comp_targetILNS1_3genE4ELNS1_11target_archE910ELNS1_3gpuE8ELNS1_3repE0EEENS1_48merge_mergepath_partition_config_static_selectorELNS0_4arch9wavefront6targetE1EEEvSH_.kd
    .uniform_work_group_size: 1
    .uses_dynamic_stack: false
    .vgpr_count:     0
    .vgpr_spill_count: 0
    .wavefront_size: 64
  - .args:
      - .offset:         0
        .size:           40
        .value_kind:     by_value
    .group_segment_fixed_size: 0
    .kernarg_segment_align: 8
    .kernarg_segment_size: 40
    .language:       OpenCL C
    .language_version:
      - 2
      - 0
    .max_flat_workgroup_size: 128
    .name:           _ZN7rocprim17ROCPRIM_400000_NS6detail17trampoline_kernelINS0_14default_configENS1_38merge_sort_block_merge_config_selectorIdlEEZZNS1_27merge_sort_block_merge_implIS3_PdN6thrust23THRUST_200600_302600_NS10device_ptrIlEEjNS1_19radix_merge_compareILb0ELb0EdNS0_19identity_decomposerEEEEE10hipError_tT0_T1_T2_jT3_P12ihipStream_tbPNSt15iterator_traitsISG_E10value_typeEPNSM_ISH_E10value_typeEPSI_NS1_7vsmem_tEENKUlT_SG_SH_SI_E_clIS7_S7_SB_PlEESF_SV_SG_SH_SI_EUlSV_E_NS1_11comp_targetILNS1_3genE3ELNS1_11target_archE908ELNS1_3gpuE7ELNS1_3repE0EEENS1_48merge_mergepath_partition_config_static_selectorELNS0_4arch9wavefront6targetE1EEEvSH_
    .private_segment_fixed_size: 0
    .sgpr_count:     4
    .sgpr_spill_count: 0
    .symbol:         _ZN7rocprim17ROCPRIM_400000_NS6detail17trampoline_kernelINS0_14default_configENS1_38merge_sort_block_merge_config_selectorIdlEEZZNS1_27merge_sort_block_merge_implIS3_PdN6thrust23THRUST_200600_302600_NS10device_ptrIlEEjNS1_19radix_merge_compareILb0ELb0EdNS0_19identity_decomposerEEEEE10hipError_tT0_T1_T2_jT3_P12ihipStream_tbPNSt15iterator_traitsISG_E10value_typeEPNSM_ISH_E10value_typeEPSI_NS1_7vsmem_tEENKUlT_SG_SH_SI_E_clIS7_S7_SB_PlEESF_SV_SG_SH_SI_EUlSV_E_NS1_11comp_targetILNS1_3genE3ELNS1_11target_archE908ELNS1_3gpuE7ELNS1_3repE0EEENS1_48merge_mergepath_partition_config_static_selectorELNS0_4arch9wavefront6targetE1EEEvSH_.kd
    .uniform_work_group_size: 1
    .uses_dynamic_stack: false
    .vgpr_count:     0
    .vgpr_spill_count: 0
    .wavefront_size: 64
  - .args:
      - .offset:         0
        .size:           40
        .value_kind:     by_value
    .group_segment_fixed_size: 0
    .kernarg_segment_align: 8
    .kernarg_segment_size: 40
    .language:       OpenCL C
    .language_version:
      - 2
      - 0
    .max_flat_workgroup_size: 128
    .name:           _ZN7rocprim17ROCPRIM_400000_NS6detail17trampoline_kernelINS0_14default_configENS1_38merge_sort_block_merge_config_selectorIdlEEZZNS1_27merge_sort_block_merge_implIS3_PdN6thrust23THRUST_200600_302600_NS10device_ptrIlEEjNS1_19radix_merge_compareILb0ELb0EdNS0_19identity_decomposerEEEEE10hipError_tT0_T1_T2_jT3_P12ihipStream_tbPNSt15iterator_traitsISG_E10value_typeEPNSM_ISH_E10value_typeEPSI_NS1_7vsmem_tEENKUlT_SG_SH_SI_E_clIS7_S7_SB_PlEESF_SV_SG_SH_SI_EUlSV_E_NS1_11comp_targetILNS1_3genE2ELNS1_11target_archE906ELNS1_3gpuE6ELNS1_3repE0EEENS1_48merge_mergepath_partition_config_static_selectorELNS0_4arch9wavefront6targetE1EEEvSH_
    .private_segment_fixed_size: 0
    .sgpr_count:     12
    .sgpr_spill_count: 0
    .symbol:         _ZN7rocprim17ROCPRIM_400000_NS6detail17trampoline_kernelINS0_14default_configENS1_38merge_sort_block_merge_config_selectorIdlEEZZNS1_27merge_sort_block_merge_implIS3_PdN6thrust23THRUST_200600_302600_NS10device_ptrIlEEjNS1_19radix_merge_compareILb0ELb0EdNS0_19identity_decomposerEEEEE10hipError_tT0_T1_T2_jT3_P12ihipStream_tbPNSt15iterator_traitsISG_E10value_typeEPNSM_ISH_E10value_typeEPSI_NS1_7vsmem_tEENKUlT_SG_SH_SI_E_clIS7_S7_SB_PlEESF_SV_SG_SH_SI_EUlSV_E_NS1_11comp_targetILNS1_3genE2ELNS1_11target_archE906ELNS1_3gpuE6ELNS1_3repE0EEENS1_48merge_mergepath_partition_config_static_selectorELNS0_4arch9wavefront6targetE1EEEvSH_.kd
    .uniform_work_group_size: 1
    .uses_dynamic_stack: false
    .vgpr_count:     18
    .vgpr_spill_count: 0
    .wavefront_size: 64
  - .args:
      - .offset:         0
        .size:           40
        .value_kind:     by_value
    .group_segment_fixed_size: 0
    .kernarg_segment_align: 8
    .kernarg_segment_size: 40
    .language:       OpenCL C
    .language_version:
      - 2
      - 0
    .max_flat_workgroup_size: 128
    .name:           _ZN7rocprim17ROCPRIM_400000_NS6detail17trampoline_kernelINS0_14default_configENS1_38merge_sort_block_merge_config_selectorIdlEEZZNS1_27merge_sort_block_merge_implIS3_PdN6thrust23THRUST_200600_302600_NS10device_ptrIlEEjNS1_19radix_merge_compareILb0ELb0EdNS0_19identity_decomposerEEEEE10hipError_tT0_T1_T2_jT3_P12ihipStream_tbPNSt15iterator_traitsISG_E10value_typeEPNSM_ISH_E10value_typeEPSI_NS1_7vsmem_tEENKUlT_SG_SH_SI_E_clIS7_S7_SB_PlEESF_SV_SG_SH_SI_EUlSV_E_NS1_11comp_targetILNS1_3genE9ELNS1_11target_archE1100ELNS1_3gpuE3ELNS1_3repE0EEENS1_48merge_mergepath_partition_config_static_selectorELNS0_4arch9wavefront6targetE1EEEvSH_
    .private_segment_fixed_size: 0
    .sgpr_count:     4
    .sgpr_spill_count: 0
    .symbol:         _ZN7rocprim17ROCPRIM_400000_NS6detail17trampoline_kernelINS0_14default_configENS1_38merge_sort_block_merge_config_selectorIdlEEZZNS1_27merge_sort_block_merge_implIS3_PdN6thrust23THRUST_200600_302600_NS10device_ptrIlEEjNS1_19radix_merge_compareILb0ELb0EdNS0_19identity_decomposerEEEEE10hipError_tT0_T1_T2_jT3_P12ihipStream_tbPNSt15iterator_traitsISG_E10value_typeEPNSM_ISH_E10value_typeEPSI_NS1_7vsmem_tEENKUlT_SG_SH_SI_E_clIS7_S7_SB_PlEESF_SV_SG_SH_SI_EUlSV_E_NS1_11comp_targetILNS1_3genE9ELNS1_11target_archE1100ELNS1_3gpuE3ELNS1_3repE0EEENS1_48merge_mergepath_partition_config_static_selectorELNS0_4arch9wavefront6targetE1EEEvSH_.kd
    .uniform_work_group_size: 1
    .uses_dynamic_stack: false
    .vgpr_count:     0
    .vgpr_spill_count: 0
    .wavefront_size: 64
  - .args:
      - .offset:         0
        .size:           40
        .value_kind:     by_value
    .group_segment_fixed_size: 0
    .kernarg_segment_align: 8
    .kernarg_segment_size: 40
    .language:       OpenCL C
    .language_version:
      - 2
      - 0
    .max_flat_workgroup_size: 128
    .name:           _ZN7rocprim17ROCPRIM_400000_NS6detail17trampoline_kernelINS0_14default_configENS1_38merge_sort_block_merge_config_selectorIdlEEZZNS1_27merge_sort_block_merge_implIS3_PdN6thrust23THRUST_200600_302600_NS10device_ptrIlEEjNS1_19radix_merge_compareILb0ELb0EdNS0_19identity_decomposerEEEEE10hipError_tT0_T1_T2_jT3_P12ihipStream_tbPNSt15iterator_traitsISG_E10value_typeEPNSM_ISH_E10value_typeEPSI_NS1_7vsmem_tEENKUlT_SG_SH_SI_E_clIS7_S7_SB_PlEESF_SV_SG_SH_SI_EUlSV_E_NS1_11comp_targetILNS1_3genE8ELNS1_11target_archE1030ELNS1_3gpuE2ELNS1_3repE0EEENS1_48merge_mergepath_partition_config_static_selectorELNS0_4arch9wavefront6targetE1EEEvSH_
    .private_segment_fixed_size: 0
    .sgpr_count:     4
    .sgpr_spill_count: 0
    .symbol:         _ZN7rocprim17ROCPRIM_400000_NS6detail17trampoline_kernelINS0_14default_configENS1_38merge_sort_block_merge_config_selectorIdlEEZZNS1_27merge_sort_block_merge_implIS3_PdN6thrust23THRUST_200600_302600_NS10device_ptrIlEEjNS1_19radix_merge_compareILb0ELb0EdNS0_19identity_decomposerEEEEE10hipError_tT0_T1_T2_jT3_P12ihipStream_tbPNSt15iterator_traitsISG_E10value_typeEPNSM_ISH_E10value_typeEPSI_NS1_7vsmem_tEENKUlT_SG_SH_SI_E_clIS7_S7_SB_PlEESF_SV_SG_SH_SI_EUlSV_E_NS1_11comp_targetILNS1_3genE8ELNS1_11target_archE1030ELNS1_3gpuE2ELNS1_3repE0EEENS1_48merge_mergepath_partition_config_static_selectorELNS0_4arch9wavefront6targetE1EEEvSH_.kd
    .uniform_work_group_size: 1
    .uses_dynamic_stack: false
    .vgpr_count:     0
    .vgpr_spill_count: 0
    .wavefront_size: 64
  - .args:
      - .offset:         0
        .size:           64
        .value_kind:     by_value
    .group_segment_fixed_size: 0
    .kernarg_segment_align: 8
    .kernarg_segment_size: 64
    .language:       OpenCL C
    .language_version:
      - 2
      - 0
    .max_flat_workgroup_size: 1024
    .name:           _ZN7rocprim17ROCPRIM_400000_NS6detail17trampoline_kernelINS0_14default_configENS1_38merge_sort_block_merge_config_selectorIdlEEZZNS1_27merge_sort_block_merge_implIS3_PdN6thrust23THRUST_200600_302600_NS10device_ptrIlEEjNS1_19radix_merge_compareILb0ELb0EdNS0_19identity_decomposerEEEEE10hipError_tT0_T1_T2_jT3_P12ihipStream_tbPNSt15iterator_traitsISG_E10value_typeEPNSM_ISH_E10value_typeEPSI_NS1_7vsmem_tEENKUlT_SG_SH_SI_E_clIS7_S7_SB_PlEESF_SV_SG_SH_SI_EUlSV_E0_NS1_11comp_targetILNS1_3genE0ELNS1_11target_archE4294967295ELNS1_3gpuE0ELNS1_3repE0EEENS1_38merge_mergepath_config_static_selectorELNS0_4arch9wavefront6targetE1EEEvSH_
    .private_segment_fixed_size: 0
    .sgpr_count:     4
    .sgpr_spill_count: 0
    .symbol:         _ZN7rocprim17ROCPRIM_400000_NS6detail17trampoline_kernelINS0_14default_configENS1_38merge_sort_block_merge_config_selectorIdlEEZZNS1_27merge_sort_block_merge_implIS3_PdN6thrust23THRUST_200600_302600_NS10device_ptrIlEEjNS1_19radix_merge_compareILb0ELb0EdNS0_19identity_decomposerEEEEE10hipError_tT0_T1_T2_jT3_P12ihipStream_tbPNSt15iterator_traitsISG_E10value_typeEPNSM_ISH_E10value_typeEPSI_NS1_7vsmem_tEENKUlT_SG_SH_SI_E_clIS7_S7_SB_PlEESF_SV_SG_SH_SI_EUlSV_E0_NS1_11comp_targetILNS1_3genE0ELNS1_11target_archE4294967295ELNS1_3gpuE0ELNS1_3repE0EEENS1_38merge_mergepath_config_static_selectorELNS0_4arch9wavefront6targetE1EEEvSH_.kd
    .uniform_work_group_size: 1
    .uses_dynamic_stack: false
    .vgpr_count:     0
    .vgpr_spill_count: 0
    .wavefront_size: 64
  - .args:
      - .offset:         0
        .size:           64
        .value_kind:     by_value
    .group_segment_fixed_size: 0
    .kernarg_segment_align: 8
    .kernarg_segment_size: 64
    .language:       OpenCL C
    .language_version:
      - 2
      - 0
    .max_flat_workgroup_size: 512
    .name:           _ZN7rocprim17ROCPRIM_400000_NS6detail17trampoline_kernelINS0_14default_configENS1_38merge_sort_block_merge_config_selectorIdlEEZZNS1_27merge_sort_block_merge_implIS3_PdN6thrust23THRUST_200600_302600_NS10device_ptrIlEEjNS1_19radix_merge_compareILb0ELb0EdNS0_19identity_decomposerEEEEE10hipError_tT0_T1_T2_jT3_P12ihipStream_tbPNSt15iterator_traitsISG_E10value_typeEPNSM_ISH_E10value_typeEPSI_NS1_7vsmem_tEENKUlT_SG_SH_SI_E_clIS7_S7_SB_PlEESF_SV_SG_SH_SI_EUlSV_E0_NS1_11comp_targetILNS1_3genE10ELNS1_11target_archE1201ELNS1_3gpuE5ELNS1_3repE0EEENS1_38merge_mergepath_config_static_selectorELNS0_4arch9wavefront6targetE1EEEvSH_
    .private_segment_fixed_size: 0
    .sgpr_count:     4
    .sgpr_spill_count: 0
    .symbol:         _ZN7rocprim17ROCPRIM_400000_NS6detail17trampoline_kernelINS0_14default_configENS1_38merge_sort_block_merge_config_selectorIdlEEZZNS1_27merge_sort_block_merge_implIS3_PdN6thrust23THRUST_200600_302600_NS10device_ptrIlEEjNS1_19radix_merge_compareILb0ELb0EdNS0_19identity_decomposerEEEEE10hipError_tT0_T1_T2_jT3_P12ihipStream_tbPNSt15iterator_traitsISG_E10value_typeEPNSM_ISH_E10value_typeEPSI_NS1_7vsmem_tEENKUlT_SG_SH_SI_E_clIS7_S7_SB_PlEESF_SV_SG_SH_SI_EUlSV_E0_NS1_11comp_targetILNS1_3genE10ELNS1_11target_archE1201ELNS1_3gpuE5ELNS1_3repE0EEENS1_38merge_mergepath_config_static_selectorELNS0_4arch9wavefront6targetE1EEEvSH_.kd
    .uniform_work_group_size: 1
    .uses_dynamic_stack: false
    .vgpr_count:     0
    .vgpr_spill_count: 0
    .wavefront_size: 64
  - .args:
      - .offset:         0
        .size:           64
        .value_kind:     by_value
    .group_segment_fixed_size: 0
    .kernarg_segment_align: 8
    .kernarg_segment_size: 64
    .language:       OpenCL C
    .language_version:
      - 2
      - 0
    .max_flat_workgroup_size: 256
    .name:           _ZN7rocprim17ROCPRIM_400000_NS6detail17trampoline_kernelINS0_14default_configENS1_38merge_sort_block_merge_config_selectorIdlEEZZNS1_27merge_sort_block_merge_implIS3_PdN6thrust23THRUST_200600_302600_NS10device_ptrIlEEjNS1_19radix_merge_compareILb0ELb0EdNS0_19identity_decomposerEEEEE10hipError_tT0_T1_T2_jT3_P12ihipStream_tbPNSt15iterator_traitsISG_E10value_typeEPNSM_ISH_E10value_typeEPSI_NS1_7vsmem_tEENKUlT_SG_SH_SI_E_clIS7_S7_SB_PlEESF_SV_SG_SH_SI_EUlSV_E0_NS1_11comp_targetILNS1_3genE5ELNS1_11target_archE942ELNS1_3gpuE9ELNS1_3repE0EEENS1_38merge_mergepath_config_static_selectorELNS0_4arch9wavefront6targetE1EEEvSH_
    .private_segment_fixed_size: 0
    .sgpr_count:     4
    .sgpr_spill_count: 0
    .symbol:         _ZN7rocprim17ROCPRIM_400000_NS6detail17trampoline_kernelINS0_14default_configENS1_38merge_sort_block_merge_config_selectorIdlEEZZNS1_27merge_sort_block_merge_implIS3_PdN6thrust23THRUST_200600_302600_NS10device_ptrIlEEjNS1_19radix_merge_compareILb0ELb0EdNS0_19identity_decomposerEEEEE10hipError_tT0_T1_T2_jT3_P12ihipStream_tbPNSt15iterator_traitsISG_E10value_typeEPNSM_ISH_E10value_typeEPSI_NS1_7vsmem_tEENKUlT_SG_SH_SI_E_clIS7_S7_SB_PlEESF_SV_SG_SH_SI_EUlSV_E0_NS1_11comp_targetILNS1_3genE5ELNS1_11target_archE942ELNS1_3gpuE9ELNS1_3repE0EEENS1_38merge_mergepath_config_static_selectorELNS0_4arch9wavefront6targetE1EEEvSH_.kd
    .uniform_work_group_size: 1
    .uses_dynamic_stack: false
    .vgpr_count:     0
    .vgpr_spill_count: 0
    .wavefront_size: 64
  - .args:
      - .offset:         0
        .size:           64
        .value_kind:     by_value
    .group_segment_fixed_size: 0
    .kernarg_segment_align: 8
    .kernarg_segment_size: 64
    .language:       OpenCL C
    .language_version:
      - 2
      - 0
    .max_flat_workgroup_size: 512
    .name:           _ZN7rocprim17ROCPRIM_400000_NS6detail17trampoline_kernelINS0_14default_configENS1_38merge_sort_block_merge_config_selectorIdlEEZZNS1_27merge_sort_block_merge_implIS3_PdN6thrust23THRUST_200600_302600_NS10device_ptrIlEEjNS1_19radix_merge_compareILb0ELb0EdNS0_19identity_decomposerEEEEE10hipError_tT0_T1_T2_jT3_P12ihipStream_tbPNSt15iterator_traitsISG_E10value_typeEPNSM_ISH_E10value_typeEPSI_NS1_7vsmem_tEENKUlT_SG_SH_SI_E_clIS7_S7_SB_PlEESF_SV_SG_SH_SI_EUlSV_E0_NS1_11comp_targetILNS1_3genE4ELNS1_11target_archE910ELNS1_3gpuE8ELNS1_3repE0EEENS1_38merge_mergepath_config_static_selectorELNS0_4arch9wavefront6targetE1EEEvSH_
    .private_segment_fixed_size: 0
    .sgpr_count:     4
    .sgpr_spill_count: 0
    .symbol:         _ZN7rocprim17ROCPRIM_400000_NS6detail17trampoline_kernelINS0_14default_configENS1_38merge_sort_block_merge_config_selectorIdlEEZZNS1_27merge_sort_block_merge_implIS3_PdN6thrust23THRUST_200600_302600_NS10device_ptrIlEEjNS1_19radix_merge_compareILb0ELb0EdNS0_19identity_decomposerEEEEE10hipError_tT0_T1_T2_jT3_P12ihipStream_tbPNSt15iterator_traitsISG_E10value_typeEPNSM_ISH_E10value_typeEPSI_NS1_7vsmem_tEENKUlT_SG_SH_SI_E_clIS7_S7_SB_PlEESF_SV_SG_SH_SI_EUlSV_E0_NS1_11comp_targetILNS1_3genE4ELNS1_11target_archE910ELNS1_3gpuE8ELNS1_3repE0EEENS1_38merge_mergepath_config_static_selectorELNS0_4arch9wavefront6targetE1EEEvSH_.kd
    .uniform_work_group_size: 1
    .uses_dynamic_stack: false
    .vgpr_count:     0
    .vgpr_spill_count: 0
    .wavefront_size: 64
  - .args:
      - .offset:         0
        .size:           64
        .value_kind:     by_value
    .group_segment_fixed_size: 0
    .kernarg_segment_align: 8
    .kernarg_segment_size: 64
    .language:       OpenCL C
    .language_version:
      - 2
      - 0
    .max_flat_workgroup_size: 1024
    .name:           _ZN7rocprim17ROCPRIM_400000_NS6detail17trampoline_kernelINS0_14default_configENS1_38merge_sort_block_merge_config_selectorIdlEEZZNS1_27merge_sort_block_merge_implIS3_PdN6thrust23THRUST_200600_302600_NS10device_ptrIlEEjNS1_19radix_merge_compareILb0ELb0EdNS0_19identity_decomposerEEEEE10hipError_tT0_T1_T2_jT3_P12ihipStream_tbPNSt15iterator_traitsISG_E10value_typeEPNSM_ISH_E10value_typeEPSI_NS1_7vsmem_tEENKUlT_SG_SH_SI_E_clIS7_S7_SB_PlEESF_SV_SG_SH_SI_EUlSV_E0_NS1_11comp_targetILNS1_3genE3ELNS1_11target_archE908ELNS1_3gpuE7ELNS1_3repE0EEENS1_38merge_mergepath_config_static_selectorELNS0_4arch9wavefront6targetE1EEEvSH_
    .private_segment_fixed_size: 0
    .sgpr_count:     4
    .sgpr_spill_count: 0
    .symbol:         _ZN7rocprim17ROCPRIM_400000_NS6detail17trampoline_kernelINS0_14default_configENS1_38merge_sort_block_merge_config_selectorIdlEEZZNS1_27merge_sort_block_merge_implIS3_PdN6thrust23THRUST_200600_302600_NS10device_ptrIlEEjNS1_19radix_merge_compareILb0ELb0EdNS0_19identity_decomposerEEEEE10hipError_tT0_T1_T2_jT3_P12ihipStream_tbPNSt15iterator_traitsISG_E10value_typeEPNSM_ISH_E10value_typeEPSI_NS1_7vsmem_tEENKUlT_SG_SH_SI_E_clIS7_S7_SB_PlEESF_SV_SG_SH_SI_EUlSV_E0_NS1_11comp_targetILNS1_3genE3ELNS1_11target_archE908ELNS1_3gpuE7ELNS1_3repE0EEENS1_38merge_mergepath_config_static_selectorELNS0_4arch9wavefront6targetE1EEEvSH_.kd
    .uniform_work_group_size: 1
    .uses_dynamic_stack: false
    .vgpr_count:     0
    .vgpr_spill_count: 0
    .wavefront_size: 64
  - .args:
      - .offset:         0
        .size:           64
        .value_kind:     by_value
      - .offset:         64
        .size:           4
        .value_kind:     hidden_block_count_x
      - .offset:         68
        .size:           4
        .value_kind:     hidden_block_count_y
      - .offset:         72
        .size:           4
        .value_kind:     hidden_block_count_z
      - .offset:         76
        .size:           2
        .value_kind:     hidden_group_size_x
      - .offset:         78
        .size:           2
        .value_kind:     hidden_group_size_y
      - .offset:         80
        .size:           2
        .value_kind:     hidden_group_size_z
      - .offset:         82
        .size:           2
        .value_kind:     hidden_remainder_x
      - .offset:         84
        .size:           2
        .value_kind:     hidden_remainder_y
      - .offset:         86
        .size:           2
        .value_kind:     hidden_remainder_z
      - .offset:         104
        .size:           8
        .value_kind:     hidden_global_offset_x
      - .offset:         112
        .size:           8
        .value_kind:     hidden_global_offset_y
      - .offset:         120
        .size:           8
        .value_kind:     hidden_global_offset_z
      - .offset:         128
        .size:           2
        .value_kind:     hidden_grid_dims
    .group_segment_fixed_size: 8448
    .kernarg_segment_align: 8
    .kernarg_segment_size: 320
    .language:       OpenCL C
    .language_version:
      - 2
      - 0
    .max_flat_workgroup_size: 256
    .name:           _ZN7rocprim17ROCPRIM_400000_NS6detail17trampoline_kernelINS0_14default_configENS1_38merge_sort_block_merge_config_selectorIdlEEZZNS1_27merge_sort_block_merge_implIS3_PdN6thrust23THRUST_200600_302600_NS10device_ptrIlEEjNS1_19radix_merge_compareILb0ELb0EdNS0_19identity_decomposerEEEEE10hipError_tT0_T1_T2_jT3_P12ihipStream_tbPNSt15iterator_traitsISG_E10value_typeEPNSM_ISH_E10value_typeEPSI_NS1_7vsmem_tEENKUlT_SG_SH_SI_E_clIS7_S7_SB_PlEESF_SV_SG_SH_SI_EUlSV_E0_NS1_11comp_targetILNS1_3genE2ELNS1_11target_archE906ELNS1_3gpuE6ELNS1_3repE0EEENS1_38merge_mergepath_config_static_selectorELNS0_4arch9wavefront6targetE1EEEvSH_
    .private_segment_fixed_size: 0
    .sgpr_count:     35
    .sgpr_spill_count: 0
    .symbol:         _ZN7rocprim17ROCPRIM_400000_NS6detail17trampoline_kernelINS0_14default_configENS1_38merge_sort_block_merge_config_selectorIdlEEZZNS1_27merge_sort_block_merge_implIS3_PdN6thrust23THRUST_200600_302600_NS10device_ptrIlEEjNS1_19radix_merge_compareILb0ELb0EdNS0_19identity_decomposerEEEEE10hipError_tT0_T1_T2_jT3_P12ihipStream_tbPNSt15iterator_traitsISG_E10value_typeEPNSM_ISH_E10value_typeEPSI_NS1_7vsmem_tEENKUlT_SG_SH_SI_E_clIS7_S7_SB_PlEESF_SV_SG_SH_SI_EUlSV_E0_NS1_11comp_targetILNS1_3genE2ELNS1_11target_archE906ELNS1_3gpuE6ELNS1_3repE0EEENS1_38merge_mergepath_config_static_selectorELNS0_4arch9wavefront6targetE1EEEvSH_.kd
    .uniform_work_group_size: 1
    .uses_dynamic_stack: false
    .vgpr_count:     39
    .vgpr_spill_count: 0
    .wavefront_size: 64
  - .args:
      - .offset:         0
        .size:           64
        .value_kind:     by_value
    .group_segment_fixed_size: 0
    .kernarg_segment_align: 8
    .kernarg_segment_size: 64
    .language:       OpenCL C
    .language_version:
      - 2
      - 0
    .max_flat_workgroup_size: 1024
    .name:           _ZN7rocprim17ROCPRIM_400000_NS6detail17trampoline_kernelINS0_14default_configENS1_38merge_sort_block_merge_config_selectorIdlEEZZNS1_27merge_sort_block_merge_implIS3_PdN6thrust23THRUST_200600_302600_NS10device_ptrIlEEjNS1_19radix_merge_compareILb0ELb0EdNS0_19identity_decomposerEEEEE10hipError_tT0_T1_T2_jT3_P12ihipStream_tbPNSt15iterator_traitsISG_E10value_typeEPNSM_ISH_E10value_typeEPSI_NS1_7vsmem_tEENKUlT_SG_SH_SI_E_clIS7_S7_SB_PlEESF_SV_SG_SH_SI_EUlSV_E0_NS1_11comp_targetILNS1_3genE9ELNS1_11target_archE1100ELNS1_3gpuE3ELNS1_3repE0EEENS1_38merge_mergepath_config_static_selectorELNS0_4arch9wavefront6targetE1EEEvSH_
    .private_segment_fixed_size: 0
    .sgpr_count:     4
    .sgpr_spill_count: 0
    .symbol:         _ZN7rocprim17ROCPRIM_400000_NS6detail17trampoline_kernelINS0_14default_configENS1_38merge_sort_block_merge_config_selectorIdlEEZZNS1_27merge_sort_block_merge_implIS3_PdN6thrust23THRUST_200600_302600_NS10device_ptrIlEEjNS1_19radix_merge_compareILb0ELb0EdNS0_19identity_decomposerEEEEE10hipError_tT0_T1_T2_jT3_P12ihipStream_tbPNSt15iterator_traitsISG_E10value_typeEPNSM_ISH_E10value_typeEPSI_NS1_7vsmem_tEENKUlT_SG_SH_SI_E_clIS7_S7_SB_PlEESF_SV_SG_SH_SI_EUlSV_E0_NS1_11comp_targetILNS1_3genE9ELNS1_11target_archE1100ELNS1_3gpuE3ELNS1_3repE0EEENS1_38merge_mergepath_config_static_selectorELNS0_4arch9wavefront6targetE1EEEvSH_.kd
    .uniform_work_group_size: 1
    .uses_dynamic_stack: false
    .vgpr_count:     0
    .vgpr_spill_count: 0
    .wavefront_size: 64
  - .args:
      - .offset:         0
        .size:           64
        .value_kind:     by_value
    .group_segment_fixed_size: 0
    .kernarg_segment_align: 8
    .kernarg_segment_size: 64
    .language:       OpenCL C
    .language_version:
      - 2
      - 0
    .max_flat_workgroup_size: 1024
    .name:           _ZN7rocprim17ROCPRIM_400000_NS6detail17trampoline_kernelINS0_14default_configENS1_38merge_sort_block_merge_config_selectorIdlEEZZNS1_27merge_sort_block_merge_implIS3_PdN6thrust23THRUST_200600_302600_NS10device_ptrIlEEjNS1_19radix_merge_compareILb0ELb0EdNS0_19identity_decomposerEEEEE10hipError_tT0_T1_T2_jT3_P12ihipStream_tbPNSt15iterator_traitsISG_E10value_typeEPNSM_ISH_E10value_typeEPSI_NS1_7vsmem_tEENKUlT_SG_SH_SI_E_clIS7_S7_SB_PlEESF_SV_SG_SH_SI_EUlSV_E0_NS1_11comp_targetILNS1_3genE8ELNS1_11target_archE1030ELNS1_3gpuE2ELNS1_3repE0EEENS1_38merge_mergepath_config_static_selectorELNS0_4arch9wavefront6targetE1EEEvSH_
    .private_segment_fixed_size: 0
    .sgpr_count:     4
    .sgpr_spill_count: 0
    .symbol:         _ZN7rocprim17ROCPRIM_400000_NS6detail17trampoline_kernelINS0_14default_configENS1_38merge_sort_block_merge_config_selectorIdlEEZZNS1_27merge_sort_block_merge_implIS3_PdN6thrust23THRUST_200600_302600_NS10device_ptrIlEEjNS1_19radix_merge_compareILb0ELb0EdNS0_19identity_decomposerEEEEE10hipError_tT0_T1_T2_jT3_P12ihipStream_tbPNSt15iterator_traitsISG_E10value_typeEPNSM_ISH_E10value_typeEPSI_NS1_7vsmem_tEENKUlT_SG_SH_SI_E_clIS7_S7_SB_PlEESF_SV_SG_SH_SI_EUlSV_E0_NS1_11comp_targetILNS1_3genE8ELNS1_11target_archE1030ELNS1_3gpuE2ELNS1_3repE0EEENS1_38merge_mergepath_config_static_selectorELNS0_4arch9wavefront6targetE1EEEvSH_.kd
    .uniform_work_group_size: 1
    .uses_dynamic_stack: false
    .vgpr_count:     0
    .vgpr_spill_count: 0
    .wavefront_size: 64
  - .args:
      - .offset:         0
        .size:           48
        .value_kind:     by_value
    .group_segment_fixed_size: 0
    .kernarg_segment_align: 8
    .kernarg_segment_size: 48
    .language:       OpenCL C
    .language_version:
      - 2
      - 0
    .max_flat_workgroup_size: 256
    .name:           _ZN7rocprim17ROCPRIM_400000_NS6detail17trampoline_kernelINS0_14default_configENS1_38merge_sort_block_merge_config_selectorIdlEEZZNS1_27merge_sort_block_merge_implIS3_PdN6thrust23THRUST_200600_302600_NS10device_ptrIlEEjNS1_19radix_merge_compareILb0ELb0EdNS0_19identity_decomposerEEEEE10hipError_tT0_T1_T2_jT3_P12ihipStream_tbPNSt15iterator_traitsISG_E10value_typeEPNSM_ISH_E10value_typeEPSI_NS1_7vsmem_tEENKUlT_SG_SH_SI_E_clIS7_S7_SB_PlEESF_SV_SG_SH_SI_EUlSV_E1_NS1_11comp_targetILNS1_3genE0ELNS1_11target_archE4294967295ELNS1_3gpuE0ELNS1_3repE0EEENS1_36merge_oddeven_config_static_selectorELNS0_4arch9wavefront6targetE1EEEvSH_
    .private_segment_fixed_size: 0
    .sgpr_count:     4
    .sgpr_spill_count: 0
    .symbol:         _ZN7rocprim17ROCPRIM_400000_NS6detail17trampoline_kernelINS0_14default_configENS1_38merge_sort_block_merge_config_selectorIdlEEZZNS1_27merge_sort_block_merge_implIS3_PdN6thrust23THRUST_200600_302600_NS10device_ptrIlEEjNS1_19radix_merge_compareILb0ELb0EdNS0_19identity_decomposerEEEEE10hipError_tT0_T1_T2_jT3_P12ihipStream_tbPNSt15iterator_traitsISG_E10value_typeEPNSM_ISH_E10value_typeEPSI_NS1_7vsmem_tEENKUlT_SG_SH_SI_E_clIS7_S7_SB_PlEESF_SV_SG_SH_SI_EUlSV_E1_NS1_11comp_targetILNS1_3genE0ELNS1_11target_archE4294967295ELNS1_3gpuE0ELNS1_3repE0EEENS1_36merge_oddeven_config_static_selectorELNS0_4arch9wavefront6targetE1EEEvSH_.kd
    .uniform_work_group_size: 1
    .uses_dynamic_stack: false
    .vgpr_count:     0
    .vgpr_spill_count: 0
    .wavefront_size: 64
  - .args:
      - .offset:         0
        .size:           48
        .value_kind:     by_value
    .group_segment_fixed_size: 0
    .kernarg_segment_align: 8
    .kernarg_segment_size: 48
    .language:       OpenCL C
    .language_version:
      - 2
      - 0
    .max_flat_workgroup_size: 256
    .name:           _ZN7rocprim17ROCPRIM_400000_NS6detail17trampoline_kernelINS0_14default_configENS1_38merge_sort_block_merge_config_selectorIdlEEZZNS1_27merge_sort_block_merge_implIS3_PdN6thrust23THRUST_200600_302600_NS10device_ptrIlEEjNS1_19radix_merge_compareILb0ELb0EdNS0_19identity_decomposerEEEEE10hipError_tT0_T1_T2_jT3_P12ihipStream_tbPNSt15iterator_traitsISG_E10value_typeEPNSM_ISH_E10value_typeEPSI_NS1_7vsmem_tEENKUlT_SG_SH_SI_E_clIS7_S7_SB_PlEESF_SV_SG_SH_SI_EUlSV_E1_NS1_11comp_targetILNS1_3genE10ELNS1_11target_archE1201ELNS1_3gpuE5ELNS1_3repE0EEENS1_36merge_oddeven_config_static_selectorELNS0_4arch9wavefront6targetE1EEEvSH_
    .private_segment_fixed_size: 0
    .sgpr_count:     4
    .sgpr_spill_count: 0
    .symbol:         _ZN7rocprim17ROCPRIM_400000_NS6detail17trampoline_kernelINS0_14default_configENS1_38merge_sort_block_merge_config_selectorIdlEEZZNS1_27merge_sort_block_merge_implIS3_PdN6thrust23THRUST_200600_302600_NS10device_ptrIlEEjNS1_19radix_merge_compareILb0ELb0EdNS0_19identity_decomposerEEEEE10hipError_tT0_T1_T2_jT3_P12ihipStream_tbPNSt15iterator_traitsISG_E10value_typeEPNSM_ISH_E10value_typeEPSI_NS1_7vsmem_tEENKUlT_SG_SH_SI_E_clIS7_S7_SB_PlEESF_SV_SG_SH_SI_EUlSV_E1_NS1_11comp_targetILNS1_3genE10ELNS1_11target_archE1201ELNS1_3gpuE5ELNS1_3repE0EEENS1_36merge_oddeven_config_static_selectorELNS0_4arch9wavefront6targetE1EEEvSH_.kd
    .uniform_work_group_size: 1
    .uses_dynamic_stack: false
    .vgpr_count:     0
    .vgpr_spill_count: 0
    .wavefront_size: 64
  - .args:
      - .offset:         0
        .size:           48
        .value_kind:     by_value
    .group_segment_fixed_size: 0
    .kernarg_segment_align: 8
    .kernarg_segment_size: 48
    .language:       OpenCL C
    .language_version:
      - 2
      - 0
    .max_flat_workgroup_size: 256
    .name:           _ZN7rocprim17ROCPRIM_400000_NS6detail17trampoline_kernelINS0_14default_configENS1_38merge_sort_block_merge_config_selectorIdlEEZZNS1_27merge_sort_block_merge_implIS3_PdN6thrust23THRUST_200600_302600_NS10device_ptrIlEEjNS1_19radix_merge_compareILb0ELb0EdNS0_19identity_decomposerEEEEE10hipError_tT0_T1_T2_jT3_P12ihipStream_tbPNSt15iterator_traitsISG_E10value_typeEPNSM_ISH_E10value_typeEPSI_NS1_7vsmem_tEENKUlT_SG_SH_SI_E_clIS7_S7_SB_PlEESF_SV_SG_SH_SI_EUlSV_E1_NS1_11comp_targetILNS1_3genE5ELNS1_11target_archE942ELNS1_3gpuE9ELNS1_3repE0EEENS1_36merge_oddeven_config_static_selectorELNS0_4arch9wavefront6targetE1EEEvSH_
    .private_segment_fixed_size: 0
    .sgpr_count:     4
    .sgpr_spill_count: 0
    .symbol:         _ZN7rocprim17ROCPRIM_400000_NS6detail17trampoline_kernelINS0_14default_configENS1_38merge_sort_block_merge_config_selectorIdlEEZZNS1_27merge_sort_block_merge_implIS3_PdN6thrust23THRUST_200600_302600_NS10device_ptrIlEEjNS1_19radix_merge_compareILb0ELb0EdNS0_19identity_decomposerEEEEE10hipError_tT0_T1_T2_jT3_P12ihipStream_tbPNSt15iterator_traitsISG_E10value_typeEPNSM_ISH_E10value_typeEPSI_NS1_7vsmem_tEENKUlT_SG_SH_SI_E_clIS7_S7_SB_PlEESF_SV_SG_SH_SI_EUlSV_E1_NS1_11comp_targetILNS1_3genE5ELNS1_11target_archE942ELNS1_3gpuE9ELNS1_3repE0EEENS1_36merge_oddeven_config_static_selectorELNS0_4arch9wavefront6targetE1EEEvSH_.kd
    .uniform_work_group_size: 1
    .uses_dynamic_stack: false
    .vgpr_count:     0
    .vgpr_spill_count: 0
    .wavefront_size: 64
  - .args:
      - .offset:         0
        .size:           48
        .value_kind:     by_value
    .group_segment_fixed_size: 0
    .kernarg_segment_align: 8
    .kernarg_segment_size: 48
    .language:       OpenCL C
    .language_version:
      - 2
      - 0
    .max_flat_workgroup_size: 256
    .name:           _ZN7rocprim17ROCPRIM_400000_NS6detail17trampoline_kernelINS0_14default_configENS1_38merge_sort_block_merge_config_selectorIdlEEZZNS1_27merge_sort_block_merge_implIS3_PdN6thrust23THRUST_200600_302600_NS10device_ptrIlEEjNS1_19radix_merge_compareILb0ELb0EdNS0_19identity_decomposerEEEEE10hipError_tT0_T1_T2_jT3_P12ihipStream_tbPNSt15iterator_traitsISG_E10value_typeEPNSM_ISH_E10value_typeEPSI_NS1_7vsmem_tEENKUlT_SG_SH_SI_E_clIS7_S7_SB_PlEESF_SV_SG_SH_SI_EUlSV_E1_NS1_11comp_targetILNS1_3genE4ELNS1_11target_archE910ELNS1_3gpuE8ELNS1_3repE0EEENS1_36merge_oddeven_config_static_selectorELNS0_4arch9wavefront6targetE1EEEvSH_
    .private_segment_fixed_size: 0
    .sgpr_count:     4
    .sgpr_spill_count: 0
    .symbol:         _ZN7rocprim17ROCPRIM_400000_NS6detail17trampoline_kernelINS0_14default_configENS1_38merge_sort_block_merge_config_selectorIdlEEZZNS1_27merge_sort_block_merge_implIS3_PdN6thrust23THRUST_200600_302600_NS10device_ptrIlEEjNS1_19radix_merge_compareILb0ELb0EdNS0_19identity_decomposerEEEEE10hipError_tT0_T1_T2_jT3_P12ihipStream_tbPNSt15iterator_traitsISG_E10value_typeEPNSM_ISH_E10value_typeEPSI_NS1_7vsmem_tEENKUlT_SG_SH_SI_E_clIS7_S7_SB_PlEESF_SV_SG_SH_SI_EUlSV_E1_NS1_11comp_targetILNS1_3genE4ELNS1_11target_archE910ELNS1_3gpuE8ELNS1_3repE0EEENS1_36merge_oddeven_config_static_selectorELNS0_4arch9wavefront6targetE1EEEvSH_.kd
    .uniform_work_group_size: 1
    .uses_dynamic_stack: false
    .vgpr_count:     0
    .vgpr_spill_count: 0
    .wavefront_size: 64
  - .args:
      - .offset:         0
        .size:           48
        .value_kind:     by_value
    .group_segment_fixed_size: 0
    .kernarg_segment_align: 8
    .kernarg_segment_size: 48
    .language:       OpenCL C
    .language_version:
      - 2
      - 0
    .max_flat_workgroup_size: 256
    .name:           _ZN7rocprim17ROCPRIM_400000_NS6detail17trampoline_kernelINS0_14default_configENS1_38merge_sort_block_merge_config_selectorIdlEEZZNS1_27merge_sort_block_merge_implIS3_PdN6thrust23THRUST_200600_302600_NS10device_ptrIlEEjNS1_19radix_merge_compareILb0ELb0EdNS0_19identity_decomposerEEEEE10hipError_tT0_T1_T2_jT3_P12ihipStream_tbPNSt15iterator_traitsISG_E10value_typeEPNSM_ISH_E10value_typeEPSI_NS1_7vsmem_tEENKUlT_SG_SH_SI_E_clIS7_S7_SB_PlEESF_SV_SG_SH_SI_EUlSV_E1_NS1_11comp_targetILNS1_3genE3ELNS1_11target_archE908ELNS1_3gpuE7ELNS1_3repE0EEENS1_36merge_oddeven_config_static_selectorELNS0_4arch9wavefront6targetE1EEEvSH_
    .private_segment_fixed_size: 0
    .sgpr_count:     4
    .sgpr_spill_count: 0
    .symbol:         _ZN7rocprim17ROCPRIM_400000_NS6detail17trampoline_kernelINS0_14default_configENS1_38merge_sort_block_merge_config_selectorIdlEEZZNS1_27merge_sort_block_merge_implIS3_PdN6thrust23THRUST_200600_302600_NS10device_ptrIlEEjNS1_19radix_merge_compareILb0ELb0EdNS0_19identity_decomposerEEEEE10hipError_tT0_T1_T2_jT3_P12ihipStream_tbPNSt15iterator_traitsISG_E10value_typeEPNSM_ISH_E10value_typeEPSI_NS1_7vsmem_tEENKUlT_SG_SH_SI_E_clIS7_S7_SB_PlEESF_SV_SG_SH_SI_EUlSV_E1_NS1_11comp_targetILNS1_3genE3ELNS1_11target_archE908ELNS1_3gpuE7ELNS1_3repE0EEENS1_36merge_oddeven_config_static_selectorELNS0_4arch9wavefront6targetE1EEEvSH_.kd
    .uniform_work_group_size: 1
    .uses_dynamic_stack: false
    .vgpr_count:     0
    .vgpr_spill_count: 0
    .wavefront_size: 64
  - .args:
      - .offset:         0
        .size:           48
        .value_kind:     by_value
    .group_segment_fixed_size: 0
    .kernarg_segment_align: 8
    .kernarg_segment_size: 48
    .language:       OpenCL C
    .language_version:
      - 2
      - 0
    .max_flat_workgroup_size: 256
    .name:           _ZN7rocprim17ROCPRIM_400000_NS6detail17trampoline_kernelINS0_14default_configENS1_38merge_sort_block_merge_config_selectorIdlEEZZNS1_27merge_sort_block_merge_implIS3_PdN6thrust23THRUST_200600_302600_NS10device_ptrIlEEjNS1_19radix_merge_compareILb0ELb0EdNS0_19identity_decomposerEEEEE10hipError_tT0_T1_T2_jT3_P12ihipStream_tbPNSt15iterator_traitsISG_E10value_typeEPNSM_ISH_E10value_typeEPSI_NS1_7vsmem_tEENKUlT_SG_SH_SI_E_clIS7_S7_SB_PlEESF_SV_SG_SH_SI_EUlSV_E1_NS1_11comp_targetILNS1_3genE2ELNS1_11target_archE906ELNS1_3gpuE6ELNS1_3repE0EEENS1_36merge_oddeven_config_static_selectorELNS0_4arch9wavefront6targetE1EEEvSH_
    .private_segment_fixed_size: 0
    .sgpr_count:     26
    .sgpr_spill_count: 0
    .symbol:         _ZN7rocprim17ROCPRIM_400000_NS6detail17trampoline_kernelINS0_14default_configENS1_38merge_sort_block_merge_config_selectorIdlEEZZNS1_27merge_sort_block_merge_implIS3_PdN6thrust23THRUST_200600_302600_NS10device_ptrIlEEjNS1_19radix_merge_compareILb0ELb0EdNS0_19identity_decomposerEEEEE10hipError_tT0_T1_T2_jT3_P12ihipStream_tbPNSt15iterator_traitsISG_E10value_typeEPNSM_ISH_E10value_typeEPSI_NS1_7vsmem_tEENKUlT_SG_SH_SI_E_clIS7_S7_SB_PlEESF_SV_SG_SH_SI_EUlSV_E1_NS1_11comp_targetILNS1_3genE2ELNS1_11target_archE906ELNS1_3gpuE6ELNS1_3repE0EEENS1_36merge_oddeven_config_static_selectorELNS0_4arch9wavefront6targetE1EEEvSH_.kd
    .uniform_work_group_size: 1
    .uses_dynamic_stack: false
    .vgpr_count:     17
    .vgpr_spill_count: 0
    .wavefront_size: 64
  - .args:
      - .offset:         0
        .size:           48
        .value_kind:     by_value
    .group_segment_fixed_size: 0
    .kernarg_segment_align: 8
    .kernarg_segment_size: 48
    .language:       OpenCL C
    .language_version:
      - 2
      - 0
    .max_flat_workgroup_size: 256
    .name:           _ZN7rocprim17ROCPRIM_400000_NS6detail17trampoline_kernelINS0_14default_configENS1_38merge_sort_block_merge_config_selectorIdlEEZZNS1_27merge_sort_block_merge_implIS3_PdN6thrust23THRUST_200600_302600_NS10device_ptrIlEEjNS1_19radix_merge_compareILb0ELb0EdNS0_19identity_decomposerEEEEE10hipError_tT0_T1_T2_jT3_P12ihipStream_tbPNSt15iterator_traitsISG_E10value_typeEPNSM_ISH_E10value_typeEPSI_NS1_7vsmem_tEENKUlT_SG_SH_SI_E_clIS7_S7_SB_PlEESF_SV_SG_SH_SI_EUlSV_E1_NS1_11comp_targetILNS1_3genE9ELNS1_11target_archE1100ELNS1_3gpuE3ELNS1_3repE0EEENS1_36merge_oddeven_config_static_selectorELNS0_4arch9wavefront6targetE1EEEvSH_
    .private_segment_fixed_size: 0
    .sgpr_count:     4
    .sgpr_spill_count: 0
    .symbol:         _ZN7rocprim17ROCPRIM_400000_NS6detail17trampoline_kernelINS0_14default_configENS1_38merge_sort_block_merge_config_selectorIdlEEZZNS1_27merge_sort_block_merge_implIS3_PdN6thrust23THRUST_200600_302600_NS10device_ptrIlEEjNS1_19radix_merge_compareILb0ELb0EdNS0_19identity_decomposerEEEEE10hipError_tT0_T1_T2_jT3_P12ihipStream_tbPNSt15iterator_traitsISG_E10value_typeEPNSM_ISH_E10value_typeEPSI_NS1_7vsmem_tEENKUlT_SG_SH_SI_E_clIS7_S7_SB_PlEESF_SV_SG_SH_SI_EUlSV_E1_NS1_11comp_targetILNS1_3genE9ELNS1_11target_archE1100ELNS1_3gpuE3ELNS1_3repE0EEENS1_36merge_oddeven_config_static_selectorELNS0_4arch9wavefront6targetE1EEEvSH_.kd
    .uniform_work_group_size: 1
    .uses_dynamic_stack: false
    .vgpr_count:     0
    .vgpr_spill_count: 0
    .wavefront_size: 64
  - .args:
      - .offset:         0
        .size:           48
        .value_kind:     by_value
    .group_segment_fixed_size: 0
    .kernarg_segment_align: 8
    .kernarg_segment_size: 48
    .language:       OpenCL C
    .language_version:
      - 2
      - 0
    .max_flat_workgroup_size: 256
    .name:           _ZN7rocprim17ROCPRIM_400000_NS6detail17trampoline_kernelINS0_14default_configENS1_38merge_sort_block_merge_config_selectorIdlEEZZNS1_27merge_sort_block_merge_implIS3_PdN6thrust23THRUST_200600_302600_NS10device_ptrIlEEjNS1_19radix_merge_compareILb0ELb0EdNS0_19identity_decomposerEEEEE10hipError_tT0_T1_T2_jT3_P12ihipStream_tbPNSt15iterator_traitsISG_E10value_typeEPNSM_ISH_E10value_typeEPSI_NS1_7vsmem_tEENKUlT_SG_SH_SI_E_clIS7_S7_SB_PlEESF_SV_SG_SH_SI_EUlSV_E1_NS1_11comp_targetILNS1_3genE8ELNS1_11target_archE1030ELNS1_3gpuE2ELNS1_3repE0EEENS1_36merge_oddeven_config_static_selectorELNS0_4arch9wavefront6targetE1EEEvSH_
    .private_segment_fixed_size: 0
    .sgpr_count:     4
    .sgpr_spill_count: 0
    .symbol:         _ZN7rocprim17ROCPRIM_400000_NS6detail17trampoline_kernelINS0_14default_configENS1_38merge_sort_block_merge_config_selectorIdlEEZZNS1_27merge_sort_block_merge_implIS3_PdN6thrust23THRUST_200600_302600_NS10device_ptrIlEEjNS1_19radix_merge_compareILb0ELb0EdNS0_19identity_decomposerEEEEE10hipError_tT0_T1_T2_jT3_P12ihipStream_tbPNSt15iterator_traitsISG_E10value_typeEPNSM_ISH_E10value_typeEPSI_NS1_7vsmem_tEENKUlT_SG_SH_SI_E_clIS7_S7_SB_PlEESF_SV_SG_SH_SI_EUlSV_E1_NS1_11comp_targetILNS1_3genE8ELNS1_11target_archE1030ELNS1_3gpuE2ELNS1_3repE0EEENS1_36merge_oddeven_config_static_selectorELNS0_4arch9wavefront6targetE1EEEvSH_.kd
    .uniform_work_group_size: 1
    .uses_dynamic_stack: false
    .vgpr_count:     0
    .vgpr_spill_count: 0
    .wavefront_size: 64
  - .args:
      - .offset:         0
        .size:           40
        .value_kind:     by_value
    .group_segment_fixed_size: 0
    .kernarg_segment_align: 8
    .kernarg_segment_size: 40
    .language:       OpenCL C
    .language_version:
      - 2
      - 0
    .max_flat_workgroup_size: 128
    .name:           _ZN7rocprim17ROCPRIM_400000_NS6detail17trampoline_kernelINS0_14default_configENS1_25transform_config_selectorIdLb1EEEZNS1_14transform_implILb1ES3_S5_PdS7_NS0_8identityIdEEEE10hipError_tT2_T3_mT4_P12ihipStream_tbEUlT_E_NS1_11comp_targetILNS1_3genE0ELNS1_11target_archE4294967295ELNS1_3gpuE0ELNS1_3repE0EEENS1_30default_config_static_selectorELNS0_4arch9wavefront6targetE1EEEvT1_
    .private_segment_fixed_size: 0
    .sgpr_count:     4
    .sgpr_spill_count: 0
    .symbol:         _ZN7rocprim17ROCPRIM_400000_NS6detail17trampoline_kernelINS0_14default_configENS1_25transform_config_selectorIdLb1EEEZNS1_14transform_implILb1ES3_S5_PdS7_NS0_8identityIdEEEE10hipError_tT2_T3_mT4_P12ihipStream_tbEUlT_E_NS1_11comp_targetILNS1_3genE0ELNS1_11target_archE4294967295ELNS1_3gpuE0ELNS1_3repE0EEENS1_30default_config_static_selectorELNS0_4arch9wavefront6targetE1EEEvT1_.kd
    .uniform_work_group_size: 1
    .uses_dynamic_stack: false
    .vgpr_count:     0
    .vgpr_spill_count: 0
    .wavefront_size: 64
  - .args:
      - .offset:         0
        .size:           40
        .value_kind:     by_value
    .group_segment_fixed_size: 0
    .kernarg_segment_align: 8
    .kernarg_segment_size: 40
    .language:       OpenCL C
    .language_version:
      - 2
      - 0
    .max_flat_workgroup_size: 1024
    .name:           _ZN7rocprim17ROCPRIM_400000_NS6detail17trampoline_kernelINS0_14default_configENS1_25transform_config_selectorIdLb1EEEZNS1_14transform_implILb1ES3_S5_PdS7_NS0_8identityIdEEEE10hipError_tT2_T3_mT4_P12ihipStream_tbEUlT_E_NS1_11comp_targetILNS1_3genE10ELNS1_11target_archE1201ELNS1_3gpuE5ELNS1_3repE0EEENS1_30default_config_static_selectorELNS0_4arch9wavefront6targetE1EEEvT1_
    .private_segment_fixed_size: 0
    .sgpr_count:     4
    .sgpr_spill_count: 0
    .symbol:         _ZN7rocprim17ROCPRIM_400000_NS6detail17trampoline_kernelINS0_14default_configENS1_25transform_config_selectorIdLb1EEEZNS1_14transform_implILb1ES3_S5_PdS7_NS0_8identityIdEEEE10hipError_tT2_T3_mT4_P12ihipStream_tbEUlT_E_NS1_11comp_targetILNS1_3genE10ELNS1_11target_archE1201ELNS1_3gpuE5ELNS1_3repE0EEENS1_30default_config_static_selectorELNS0_4arch9wavefront6targetE1EEEvT1_.kd
    .uniform_work_group_size: 1
    .uses_dynamic_stack: false
    .vgpr_count:     0
    .vgpr_spill_count: 0
    .wavefront_size: 64
  - .args:
      - .offset:         0
        .size:           40
        .value_kind:     by_value
    .group_segment_fixed_size: 0
    .kernarg_segment_align: 8
    .kernarg_segment_size: 40
    .language:       OpenCL C
    .language_version:
      - 2
      - 0
    .max_flat_workgroup_size: 1024
    .name:           _ZN7rocprim17ROCPRIM_400000_NS6detail17trampoline_kernelINS0_14default_configENS1_25transform_config_selectorIdLb1EEEZNS1_14transform_implILb1ES3_S5_PdS7_NS0_8identityIdEEEE10hipError_tT2_T3_mT4_P12ihipStream_tbEUlT_E_NS1_11comp_targetILNS1_3genE5ELNS1_11target_archE942ELNS1_3gpuE9ELNS1_3repE0EEENS1_30default_config_static_selectorELNS0_4arch9wavefront6targetE1EEEvT1_
    .private_segment_fixed_size: 0
    .sgpr_count:     4
    .sgpr_spill_count: 0
    .symbol:         _ZN7rocprim17ROCPRIM_400000_NS6detail17trampoline_kernelINS0_14default_configENS1_25transform_config_selectorIdLb1EEEZNS1_14transform_implILb1ES3_S5_PdS7_NS0_8identityIdEEEE10hipError_tT2_T3_mT4_P12ihipStream_tbEUlT_E_NS1_11comp_targetILNS1_3genE5ELNS1_11target_archE942ELNS1_3gpuE9ELNS1_3repE0EEENS1_30default_config_static_selectorELNS0_4arch9wavefront6targetE1EEEvT1_.kd
    .uniform_work_group_size: 1
    .uses_dynamic_stack: false
    .vgpr_count:     0
    .vgpr_spill_count: 0
    .wavefront_size: 64
  - .args:
      - .offset:         0
        .size:           40
        .value_kind:     by_value
    .group_segment_fixed_size: 0
    .kernarg_segment_align: 8
    .kernarg_segment_size: 40
    .language:       OpenCL C
    .language_version:
      - 2
      - 0
    .max_flat_workgroup_size: 1024
    .name:           _ZN7rocprim17ROCPRIM_400000_NS6detail17trampoline_kernelINS0_14default_configENS1_25transform_config_selectorIdLb1EEEZNS1_14transform_implILb1ES3_S5_PdS7_NS0_8identityIdEEEE10hipError_tT2_T3_mT4_P12ihipStream_tbEUlT_E_NS1_11comp_targetILNS1_3genE4ELNS1_11target_archE910ELNS1_3gpuE8ELNS1_3repE0EEENS1_30default_config_static_selectorELNS0_4arch9wavefront6targetE1EEEvT1_
    .private_segment_fixed_size: 0
    .sgpr_count:     4
    .sgpr_spill_count: 0
    .symbol:         _ZN7rocprim17ROCPRIM_400000_NS6detail17trampoline_kernelINS0_14default_configENS1_25transform_config_selectorIdLb1EEEZNS1_14transform_implILb1ES3_S5_PdS7_NS0_8identityIdEEEE10hipError_tT2_T3_mT4_P12ihipStream_tbEUlT_E_NS1_11comp_targetILNS1_3genE4ELNS1_11target_archE910ELNS1_3gpuE8ELNS1_3repE0EEENS1_30default_config_static_selectorELNS0_4arch9wavefront6targetE1EEEvT1_.kd
    .uniform_work_group_size: 1
    .uses_dynamic_stack: false
    .vgpr_count:     0
    .vgpr_spill_count: 0
    .wavefront_size: 64
  - .args:
      - .offset:         0
        .size:           40
        .value_kind:     by_value
    .group_segment_fixed_size: 0
    .kernarg_segment_align: 8
    .kernarg_segment_size: 40
    .language:       OpenCL C
    .language_version:
      - 2
      - 0
    .max_flat_workgroup_size: 128
    .name:           _ZN7rocprim17ROCPRIM_400000_NS6detail17trampoline_kernelINS0_14default_configENS1_25transform_config_selectorIdLb1EEEZNS1_14transform_implILb1ES3_S5_PdS7_NS0_8identityIdEEEE10hipError_tT2_T3_mT4_P12ihipStream_tbEUlT_E_NS1_11comp_targetILNS1_3genE3ELNS1_11target_archE908ELNS1_3gpuE7ELNS1_3repE0EEENS1_30default_config_static_selectorELNS0_4arch9wavefront6targetE1EEEvT1_
    .private_segment_fixed_size: 0
    .sgpr_count:     4
    .sgpr_spill_count: 0
    .symbol:         _ZN7rocprim17ROCPRIM_400000_NS6detail17trampoline_kernelINS0_14default_configENS1_25transform_config_selectorIdLb1EEEZNS1_14transform_implILb1ES3_S5_PdS7_NS0_8identityIdEEEE10hipError_tT2_T3_mT4_P12ihipStream_tbEUlT_E_NS1_11comp_targetILNS1_3genE3ELNS1_11target_archE908ELNS1_3gpuE7ELNS1_3repE0EEENS1_30default_config_static_selectorELNS0_4arch9wavefront6targetE1EEEvT1_.kd
    .uniform_work_group_size: 1
    .uses_dynamic_stack: false
    .vgpr_count:     0
    .vgpr_spill_count: 0
    .wavefront_size: 64
  - .args:
      - .offset:         0
        .size:           40
        .value_kind:     by_value
      - .offset:         40
        .size:           4
        .value_kind:     hidden_block_count_x
      - .offset:         44
        .size:           4
        .value_kind:     hidden_block_count_y
      - .offset:         48
        .size:           4
        .value_kind:     hidden_block_count_z
      - .offset:         52
        .size:           2
        .value_kind:     hidden_group_size_x
      - .offset:         54
        .size:           2
        .value_kind:     hidden_group_size_y
      - .offset:         56
        .size:           2
        .value_kind:     hidden_group_size_z
      - .offset:         58
        .size:           2
        .value_kind:     hidden_remainder_x
      - .offset:         60
        .size:           2
        .value_kind:     hidden_remainder_y
      - .offset:         62
        .size:           2
        .value_kind:     hidden_remainder_z
      - .offset:         80
        .size:           8
        .value_kind:     hidden_global_offset_x
      - .offset:         88
        .size:           8
        .value_kind:     hidden_global_offset_y
      - .offset:         96
        .size:           8
        .value_kind:     hidden_global_offset_z
      - .offset:         104
        .size:           2
        .value_kind:     hidden_grid_dims
    .group_segment_fixed_size: 0
    .kernarg_segment_align: 8
    .kernarg_segment_size: 296
    .language:       OpenCL C
    .language_version:
      - 2
      - 0
    .max_flat_workgroup_size: 1024
    .name:           _ZN7rocprim17ROCPRIM_400000_NS6detail17trampoline_kernelINS0_14default_configENS1_25transform_config_selectorIdLb1EEEZNS1_14transform_implILb1ES3_S5_PdS7_NS0_8identityIdEEEE10hipError_tT2_T3_mT4_P12ihipStream_tbEUlT_E_NS1_11comp_targetILNS1_3genE2ELNS1_11target_archE906ELNS1_3gpuE6ELNS1_3repE0EEENS1_30default_config_static_selectorELNS0_4arch9wavefront6targetE1EEEvT1_
    .private_segment_fixed_size: 0
    .sgpr_count:     16
    .sgpr_spill_count: 0
    .symbol:         _ZN7rocprim17ROCPRIM_400000_NS6detail17trampoline_kernelINS0_14default_configENS1_25transform_config_selectorIdLb1EEEZNS1_14transform_implILb1ES3_S5_PdS7_NS0_8identityIdEEEE10hipError_tT2_T3_mT4_P12ihipStream_tbEUlT_E_NS1_11comp_targetILNS1_3genE2ELNS1_11target_archE906ELNS1_3gpuE6ELNS1_3repE0EEENS1_30default_config_static_selectorELNS0_4arch9wavefront6targetE1EEEvT1_.kd
    .uniform_work_group_size: 1
    .uses_dynamic_stack: false
    .vgpr_count:     3
    .vgpr_spill_count: 0
    .wavefront_size: 64
  - .args:
      - .offset:         0
        .size:           40
        .value_kind:     by_value
    .group_segment_fixed_size: 0
    .kernarg_segment_align: 8
    .kernarg_segment_size: 40
    .language:       OpenCL C
    .language_version:
      - 2
      - 0
    .max_flat_workgroup_size: 1024
    .name:           _ZN7rocprim17ROCPRIM_400000_NS6detail17trampoline_kernelINS0_14default_configENS1_25transform_config_selectorIdLb1EEEZNS1_14transform_implILb1ES3_S5_PdS7_NS0_8identityIdEEEE10hipError_tT2_T3_mT4_P12ihipStream_tbEUlT_E_NS1_11comp_targetILNS1_3genE9ELNS1_11target_archE1100ELNS1_3gpuE3ELNS1_3repE0EEENS1_30default_config_static_selectorELNS0_4arch9wavefront6targetE1EEEvT1_
    .private_segment_fixed_size: 0
    .sgpr_count:     4
    .sgpr_spill_count: 0
    .symbol:         _ZN7rocprim17ROCPRIM_400000_NS6detail17trampoline_kernelINS0_14default_configENS1_25transform_config_selectorIdLb1EEEZNS1_14transform_implILb1ES3_S5_PdS7_NS0_8identityIdEEEE10hipError_tT2_T3_mT4_P12ihipStream_tbEUlT_E_NS1_11comp_targetILNS1_3genE9ELNS1_11target_archE1100ELNS1_3gpuE3ELNS1_3repE0EEENS1_30default_config_static_selectorELNS0_4arch9wavefront6targetE1EEEvT1_.kd
    .uniform_work_group_size: 1
    .uses_dynamic_stack: false
    .vgpr_count:     0
    .vgpr_spill_count: 0
    .wavefront_size: 64
  - .args:
      - .offset:         0
        .size:           40
        .value_kind:     by_value
    .group_segment_fixed_size: 0
    .kernarg_segment_align: 8
    .kernarg_segment_size: 40
    .language:       OpenCL C
    .language_version:
      - 2
      - 0
    .max_flat_workgroup_size: 1024
    .name:           _ZN7rocprim17ROCPRIM_400000_NS6detail17trampoline_kernelINS0_14default_configENS1_25transform_config_selectorIdLb1EEEZNS1_14transform_implILb1ES3_S5_PdS7_NS0_8identityIdEEEE10hipError_tT2_T3_mT4_P12ihipStream_tbEUlT_E_NS1_11comp_targetILNS1_3genE8ELNS1_11target_archE1030ELNS1_3gpuE2ELNS1_3repE0EEENS1_30default_config_static_selectorELNS0_4arch9wavefront6targetE1EEEvT1_
    .private_segment_fixed_size: 0
    .sgpr_count:     4
    .sgpr_spill_count: 0
    .symbol:         _ZN7rocprim17ROCPRIM_400000_NS6detail17trampoline_kernelINS0_14default_configENS1_25transform_config_selectorIdLb1EEEZNS1_14transform_implILb1ES3_S5_PdS7_NS0_8identityIdEEEE10hipError_tT2_T3_mT4_P12ihipStream_tbEUlT_E_NS1_11comp_targetILNS1_3genE8ELNS1_11target_archE1030ELNS1_3gpuE2ELNS1_3repE0EEENS1_30default_config_static_selectorELNS0_4arch9wavefront6targetE1EEEvT1_.kd
    .uniform_work_group_size: 1
    .uses_dynamic_stack: false
    .vgpr_count:     0
    .vgpr_spill_count: 0
    .wavefront_size: 64
  - .args:
      - .offset:         0
        .size:           40
        .value_kind:     by_value
    .group_segment_fixed_size: 0
    .kernarg_segment_align: 8
    .kernarg_segment_size: 40
    .language:       OpenCL C
    .language_version:
      - 2
      - 0
    .max_flat_workgroup_size: 512
    .name:           _ZN7rocprim17ROCPRIM_400000_NS6detail17trampoline_kernelINS0_14default_configENS1_35radix_sort_onesweep_config_selectorIdlEEZNS1_34radix_sort_onesweep_global_offsetsIS3_Lb0EPdN6thrust23THRUST_200600_302600_NS10device_ptrIlEEjNS0_19identity_decomposerEEE10hipError_tT1_T2_PT3_SG_jT4_jjP12ihipStream_tbEUlT_E_NS1_11comp_targetILNS1_3genE0ELNS1_11target_archE4294967295ELNS1_3gpuE0ELNS1_3repE0EEENS1_52radix_sort_onesweep_histogram_config_static_selectorELNS0_4arch9wavefront6targetE1EEEvSE_
    .private_segment_fixed_size: 0
    .sgpr_count:     4
    .sgpr_spill_count: 0
    .symbol:         _ZN7rocprim17ROCPRIM_400000_NS6detail17trampoline_kernelINS0_14default_configENS1_35radix_sort_onesweep_config_selectorIdlEEZNS1_34radix_sort_onesweep_global_offsetsIS3_Lb0EPdN6thrust23THRUST_200600_302600_NS10device_ptrIlEEjNS0_19identity_decomposerEEE10hipError_tT1_T2_PT3_SG_jT4_jjP12ihipStream_tbEUlT_E_NS1_11comp_targetILNS1_3genE0ELNS1_11target_archE4294967295ELNS1_3gpuE0ELNS1_3repE0EEENS1_52radix_sort_onesweep_histogram_config_static_selectorELNS0_4arch9wavefront6targetE1EEEvSE_.kd
    .uniform_work_group_size: 1
    .uses_dynamic_stack: false
    .vgpr_count:     0
    .vgpr_spill_count: 0
    .wavefront_size: 64
  - .args:
      - .offset:         0
        .size:           40
        .value_kind:     by_value
    .group_segment_fixed_size: 0
    .kernarg_segment_align: 8
    .kernarg_segment_size: 40
    .language:       OpenCL C
    .language_version:
      - 2
      - 0
    .max_flat_workgroup_size: 1024
    .name:           _ZN7rocprim17ROCPRIM_400000_NS6detail17trampoline_kernelINS0_14default_configENS1_35radix_sort_onesweep_config_selectorIdlEEZNS1_34radix_sort_onesweep_global_offsetsIS3_Lb0EPdN6thrust23THRUST_200600_302600_NS10device_ptrIlEEjNS0_19identity_decomposerEEE10hipError_tT1_T2_PT3_SG_jT4_jjP12ihipStream_tbEUlT_E_NS1_11comp_targetILNS1_3genE6ELNS1_11target_archE950ELNS1_3gpuE13ELNS1_3repE0EEENS1_52radix_sort_onesweep_histogram_config_static_selectorELNS0_4arch9wavefront6targetE1EEEvSE_
    .private_segment_fixed_size: 0
    .sgpr_count:     4
    .sgpr_spill_count: 0
    .symbol:         _ZN7rocprim17ROCPRIM_400000_NS6detail17trampoline_kernelINS0_14default_configENS1_35radix_sort_onesweep_config_selectorIdlEEZNS1_34radix_sort_onesweep_global_offsetsIS3_Lb0EPdN6thrust23THRUST_200600_302600_NS10device_ptrIlEEjNS0_19identity_decomposerEEE10hipError_tT1_T2_PT3_SG_jT4_jjP12ihipStream_tbEUlT_E_NS1_11comp_targetILNS1_3genE6ELNS1_11target_archE950ELNS1_3gpuE13ELNS1_3repE0EEENS1_52radix_sort_onesweep_histogram_config_static_selectorELNS0_4arch9wavefront6targetE1EEEvSE_.kd
    .uniform_work_group_size: 1
    .uses_dynamic_stack: false
    .vgpr_count:     0
    .vgpr_spill_count: 0
    .wavefront_size: 64
  - .args:
      - .offset:         0
        .size:           40
        .value_kind:     by_value
    .group_segment_fixed_size: 0
    .kernarg_segment_align: 8
    .kernarg_segment_size: 40
    .language:       OpenCL C
    .language_version:
      - 2
      - 0
    .max_flat_workgroup_size: 1024
    .name:           _ZN7rocprim17ROCPRIM_400000_NS6detail17trampoline_kernelINS0_14default_configENS1_35radix_sort_onesweep_config_selectorIdlEEZNS1_34radix_sort_onesweep_global_offsetsIS3_Lb0EPdN6thrust23THRUST_200600_302600_NS10device_ptrIlEEjNS0_19identity_decomposerEEE10hipError_tT1_T2_PT3_SG_jT4_jjP12ihipStream_tbEUlT_E_NS1_11comp_targetILNS1_3genE5ELNS1_11target_archE942ELNS1_3gpuE9ELNS1_3repE0EEENS1_52radix_sort_onesweep_histogram_config_static_selectorELNS0_4arch9wavefront6targetE1EEEvSE_
    .private_segment_fixed_size: 0
    .sgpr_count:     4
    .sgpr_spill_count: 0
    .symbol:         _ZN7rocprim17ROCPRIM_400000_NS6detail17trampoline_kernelINS0_14default_configENS1_35radix_sort_onesweep_config_selectorIdlEEZNS1_34radix_sort_onesweep_global_offsetsIS3_Lb0EPdN6thrust23THRUST_200600_302600_NS10device_ptrIlEEjNS0_19identity_decomposerEEE10hipError_tT1_T2_PT3_SG_jT4_jjP12ihipStream_tbEUlT_E_NS1_11comp_targetILNS1_3genE5ELNS1_11target_archE942ELNS1_3gpuE9ELNS1_3repE0EEENS1_52radix_sort_onesweep_histogram_config_static_selectorELNS0_4arch9wavefront6targetE1EEEvSE_.kd
    .uniform_work_group_size: 1
    .uses_dynamic_stack: false
    .vgpr_count:     0
    .vgpr_spill_count: 0
    .wavefront_size: 64
  - .args:
      - .offset:         0
        .size:           40
        .value_kind:     by_value
    .group_segment_fixed_size: 32768
    .kernarg_segment_align: 8
    .kernarg_segment_size: 40
    .language:       OpenCL C
    .language_version:
      - 2
      - 0
    .max_flat_workgroup_size: 512
    .name:           _ZN7rocprim17ROCPRIM_400000_NS6detail17trampoline_kernelINS0_14default_configENS1_35radix_sort_onesweep_config_selectorIdlEEZNS1_34radix_sort_onesweep_global_offsetsIS3_Lb0EPdN6thrust23THRUST_200600_302600_NS10device_ptrIlEEjNS0_19identity_decomposerEEE10hipError_tT1_T2_PT3_SG_jT4_jjP12ihipStream_tbEUlT_E_NS1_11comp_targetILNS1_3genE2ELNS1_11target_archE906ELNS1_3gpuE6ELNS1_3repE0EEENS1_52radix_sort_onesweep_histogram_config_static_selectorELNS0_4arch9wavefront6targetE1EEEvSE_
    .private_segment_fixed_size: 0
    .sgpr_count:     23
    .sgpr_spill_count: 0
    .symbol:         _ZN7rocprim17ROCPRIM_400000_NS6detail17trampoline_kernelINS0_14default_configENS1_35radix_sort_onesweep_config_selectorIdlEEZNS1_34radix_sort_onesweep_global_offsetsIS3_Lb0EPdN6thrust23THRUST_200600_302600_NS10device_ptrIlEEjNS0_19identity_decomposerEEE10hipError_tT1_T2_PT3_SG_jT4_jjP12ihipStream_tbEUlT_E_NS1_11comp_targetILNS1_3genE2ELNS1_11target_archE906ELNS1_3gpuE6ELNS1_3repE0EEENS1_52radix_sort_onesweep_histogram_config_static_selectorELNS0_4arch9wavefront6targetE1EEEvSE_.kd
    .uniform_work_group_size: 1
    .uses_dynamic_stack: false
    .vgpr_count:     24
    .vgpr_spill_count: 0
    .wavefront_size: 64
  - .args:
      - .offset:         0
        .size:           40
        .value_kind:     by_value
    .group_segment_fixed_size: 0
    .kernarg_segment_align: 8
    .kernarg_segment_size: 40
    .language:       OpenCL C
    .language_version:
      - 2
      - 0
    .max_flat_workgroup_size: 1024
    .name:           _ZN7rocprim17ROCPRIM_400000_NS6detail17trampoline_kernelINS0_14default_configENS1_35radix_sort_onesweep_config_selectorIdlEEZNS1_34radix_sort_onesweep_global_offsetsIS3_Lb0EPdN6thrust23THRUST_200600_302600_NS10device_ptrIlEEjNS0_19identity_decomposerEEE10hipError_tT1_T2_PT3_SG_jT4_jjP12ihipStream_tbEUlT_E_NS1_11comp_targetILNS1_3genE4ELNS1_11target_archE910ELNS1_3gpuE8ELNS1_3repE0EEENS1_52radix_sort_onesweep_histogram_config_static_selectorELNS0_4arch9wavefront6targetE1EEEvSE_
    .private_segment_fixed_size: 0
    .sgpr_count:     4
    .sgpr_spill_count: 0
    .symbol:         _ZN7rocprim17ROCPRIM_400000_NS6detail17trampoline_kernelINS0_14default_configENS1_35radix_sort_onesweep_config_selectorIdlEEZNS1_34radix_sort_onesweep_global_offsetsIS3_Lb0EPdN6thrust23THRUST_200600_302600_NS10device_ptrIlEEjNS0_19identity_decomposerEEE10hipError_tT1_T2_PT3_SG_jT4_jjP12ihipStream_tbEUlT_E_NS1_11comp_targetILNS1_3genE4ELNS1_11target_archE910ELNS1_3gpuE8ELNS1_3repE0EEENS1_52radix_sort_onesweep_histogram_config_static_selectorELNS0_4arch9wavefront6targetE1EEEvSE_.kd
    .uniform_work_group_size: 1
    .uses_dynamic_stack: false
    .vgpr_count:     0
    .vgpr_spill_count: 0
    .wavefront_size: 64
  - .args:
      - .offset:         0
        .size:           40
        .value_kind:     by_value
    .group_segment_fixed_size: 0
    .kernarg_segment_align: 8
    .kernarg_segment_size: 40
    .language:       OpenCL C
    .language_version:
      - 2
      - 0
    .max_flat_workgroup_size: 512
    .name:           _ZN7rocprim17ROCPRIM_400000_NS6detail17trampoline_kernelINS0_14default_configENS1_35radix_sort_onesweep_config_selectorIdlEEZNS1_34radix_sort_onesweep_global_offsetsIS3_Lb0EPdN6thrust23THRUST_200600_302600_NS10device_ptrIlEEjNS0_19identity_decomposerEEE10hipError_tT1_T2_PT3_SG_jT4_jjP12ihipStream_tbEUlT_E_NS1_11comp_targetILNS1_3genE3ELNS1_11target_archE908ELNS1_3gpuE7ELNS1_3repE0EEENS1_52radix_sort_onesweep_histogram_config_static_selectorELNS0_4arch9wavefront6targetE1EEEvSE_
    .private_segment_fixed_size: 0
    .sgpr_count:     4
    .sgpr_spill_count: 0
    .symbol:         _ZN7rocprim17ROCPRIM_400000_NS6detail17trampoline_kernelINS0_14default_configENS1_35radix_sort_onesweep_config_selectorIdlEEZNS1_34radix_sort_onesweep_global_offsetsIS3_Lb0EPdN6thrust23THRUST_200600_302600_NS10device_ptrIlEEjNS0_19identity_decomposerEEE10hipError_tT1_T2_PT3_SG_jT4_jjP12ihipStream_tbEUlT_E_NS1_11comp_targetILNS1_3genE3ELNS1_11target_archE908ELNS1_3gpuE7ELNS1_3repE0EEENS1_52radix_sort_onesweep_histogram_config_static_selectorELNS0_4arch9wavefront6targetE1EEEvSE_.kd
    .uniform_work_group_size: 1
    .uses_dynamic_stack: false
    .vgpr_count:     0
    .vgpr_spill_count: 0
    .wavefront_size: 64
  - .args:
      - .offset:         0
        .size:           40
        .value_kind:     by_value
    .group_segment_fixed_size: 0
    .kernarg_segment_align: 8
    .kernarg_segment_size: 40
    .language:       OpenCL C
    .language_version:
      - 2
      - 0
    .max_flat_workgroup_size: 1024
    .name:           _ZN7rocprim17ROCPRIM_400000_NS6detail17trampoline_kernelINS0_14default_configENS1_35radix_sort_onesweep_config_selectorIdlEEZNS1_34radix_sort_onesweep_global_offsetsIS3_Lb0EPdN6thrust23THRUST_200600_302600_NS10device_ptrIlEEjNS0_19identity_decomposerEEE10hipError_tT1_T2_PT3_SG_jT4_jjP12ihipStream_tbEUlT_E_NS1_11comp_targetILNS1_3genE10ELNS1_11target_archE1201ELNS1_3gpuE5ELNS1_3repE0EEENS1_52radix_sort_onesweep_histogram_config_static_selectorELNS0_4arch9wavefront6targetE1EEEvSE_
    .private_segment_fixed_size: 0
    .sgpr_count:     4
    .sgpr_spill_count: 0
    .symbol:         _ZN7rocprim17ROCPRIM_400000_NS6detail17trampoline_kernelINS0_14default_configENS1_35radix_sort_onesweep_config_selectorIdlEEZNS1_34radix_sort_onesweep_global_offsetsIS3_Lb0EPdN6thrust23THRUST_200600_302600_NS10device_ptrIlEEjNS0_19identity_decomposerEEE10hipError_tT1_T2_PT3_SG_jT4_jjP12ihipStream_tbEUlT_E_NS1_11comp_targetILNS1_3genE10ELNS1_11target_archE1201ELNS1_3gpuE5ELNS1_3repE0EEENS1_52radix_sort_onesweep_histogram_config_static_selectorELNS0_4arch9wavefront6targetE1EEEvSE_.kd
    .uniform_work_group_size: 1
    .uses_dynamic_stack: false
    .vgpr_count:     0
    .vgpr_spill_count: 0
    .wavefront_size: 64
  - .args:
      - .offset:         0
        .size:           40
        .value_kind:     by_value
    .group_segment_fixed_size: 0
    .kernarg_segment_align: 8
    .kernarg_segment_size: 40
    .language:       OpenCL C
    .language_version:
      - 2
      - 0
    .max_flat_workgroup_size: 1024
    .name:           _ZN7rocprim17ROCPRIM_400000_NS6detail17trampoline_kernelINS0_14default_configENS1_35radix_sort_onesweep_config_selectorIdlEEZNS1_34radix_sort_onesweep_global_offsetsIS3_Lb0EPdN6thrust23THRUST_200600_302600_NS10device_ptrIlEEjNS0_19identity_decomposerEEE10hipError_tT1_T2_PT3_SG_jT4_jjP12ihipStream_tbEUlT_E_NS1_11comp_targetILNS1_3genE9ELNS1_11target_archE1100ELNS1_3gpuE3ELNS1_3repE0EEENS1_52radix_sort_onesweep_histogram_config_static_selectorELNS0_4arch9wavefront6targetE1EEEvSE_
    .private_segment_fixed_size: 0
    .sgpr_count:     4
    .sgpr_spill_count: 0
    .symbol:         _ZN7rocprim17ROCPRIM_400000_NS6detail17trampoline_kernelINS0_14default_configENS1_35radix_sort_onesweep_config_selectorIdlEEZNS1_34radix_sort_onesweep_global_offsetsIS3_Lb0EPdN6thrust23THRUST_200600_302600_NS10device_ptrIlEEjNS0_19identity_decomposerEEE10hipError_tT1_T2_PT3_SG_jT4_jjP12ihipStream_tbEUlT_E_NS1_11comp_targetILNS1_3genE9ELNS1_11target_archE1100ELNS1_3gpuE3ELNS1_3repE0EEENS1_52radix_sort_onesweep_histogram_config_static_selectorELNS0_4arch9wavefront6targetE1EEEvSE_.kd
    .uniform_work_group_size: 1
    .uses_dynamic_stack: false
    .vgpr_count:     0
    .vgpr_spill_count: 0
    .wavefront_size: 64
  - .args:
      - .offset:         0
        .size:           40
        .value_kind:     by_value
    .group_segment_fixed_size: 0
    .kernarg_segment_align: 8
    .kernarg_segment_size: 40
    .language:       OpenCL C
    .language_version:
      - 2
      - 0
    .max_flat_workgroup_size: 1024
    .name:           _ZN7rocprim17ROCPRIM_400000_NS6detail17trampoline_kernelINS0_14default_configENS1_35radix_sort_onesweep_config_selectorIdlEEZNS1_34radix_sort_onesweep_global_offsetsIS3_Lb0EPdN6thrust23THRUST_200600_302600_NS10device_ptrIlEEjNS0_19identity_decomposerEEE10hipError_tT1_T2_PT3_SG_jT4_jjP12ihipStream_tbEUlT_E_NS1_11comp_targetILNS1_3genE8ELNS1_11target_archE1030ELNS1_3gpuE2ELNS1_3repE0EEENS1_52radix_sort_onesweep_histogram_config_static_selectorELNS0_4arch9wavefront6targetE1EEEvSE_
    .private_segment_fixed_size: 0
    .sgpr_count:     4
    .sgpr_spill_count: 0
    .symbol:         _ZN7rocprim17ROCPRIM_400000_NS6detail17trampoline_kernelINS0_14default_configENS1_35radix_sort_onesweep_config_selectorIdlEEZNS1_34radix_sort_onesweep_global_offsetsIS3_Lb0EPdN6thrust23THRUST_200600_302600_NS10device_ptrIlEEjNS0_19identity_decomposerEEE10hipError_tT1_T2_PT3_SG_jT4_jjP12ihipStream_tbEUlT_E_NS1_11comp_targetILNS1_3genE8ELNS1_11target_archE1030ELNS1_3gpuE2ELNS1_3repE0EEENS1_52radix_sort_onesweep_histogram_config_static_selectorELNS0_4arch9wavefront6targetE1EEEvSE_.kd
    .uniform_work_group_size: 1
    .uses_dynamic_stack: false
    .vgpr_count:     0
    .vgpr_spill_count: 0
    .wavefront_size: 64
  - .args:
      - .address_space:  global
        .offset:         0
        .size:           8
        .value_kind:     global_buffer
    .group_segment_fixed_size: 0
    .kernarg_segment_align: 8
    .kernarg_segment_size: 8
    .language:       OpenCL C
    .language_version:
      - 2
      - 0
    .max_flat_workgroup_size: 512
    .name:           _ZN7rocprim17ROCPRIM_400000_NS6detail17trampoline_kernelINS0_14default_configENS1_35radix_sort_onesweep_config_selectorIdlEEZNS1_34radix_sort_onesweep_global_offsetsIS3_Lb0EPdN6thrust23THRUST_200600_302600_NS10device_ptrIlEEjNS0_19identity_decomposerEEE10hipError_tT1_T2_PT3_SG_jT4_jjP12ihipStream_tbEUlT_E0_NS1_11comp_targetILNS1_3genE0ELNS1_11target_archE4294967295ELNS1_3gpuE0ELNS1_3repE0EEENS1_52radix_sort_onesweep_histogram_config_static_selectorELNS0_4arch9wavefront6targetE1EEEvSE_
    .private_segment_fixed_size: 0
    .sgpr_count:     4
    .sgpr_spill_count: 0
    .symbol:         _ZN7rocprim17ROCPRIM_400000_NS6detail17trampoline_kernelINS0_14default_configENS1_35radix_sort_onesweep_config_selectorIdlEEZNS1_34radix_sort_onesweep_global_offsetsIS3_Lb0EPdN6thrust23THRUST_200600_302600_NS10device_ptrIlEEjNS0_19identity_decomposerEEE10hipError_tT1_T2_PT3_SG_jT4_jjP12ihipStream_tbEUlT_E0_NS1_11comp_targetILNS1_3genE0ELNS1_11target_archE4294967295ELNS1_3gpuE0ELNS1_3repE0EEENS1_52radix_sort_onesweep_histogram_config_static_selectorELNS0_4arch9wavefront6targetE1EEEvSE_.kd
    .uniform_work_group_size: 1
    .uses_dynamic_stack: false
    .vgpr_count:     0
    .vgpr_spill_count: 0
    .wavefront_size: 64
  - .args:
      - .address_space:  global
        .offset:         0
        .size:           8
        .value_kind:     global_buffer
    .group_segment_fixed_size: 0
    .kernarg_segment_align: 8
    .kernarg_segment_size: 8
    .language:       OpenCL C
    .language_version:
      - 2
      - 0
    .max_flat_workgroup_size: 1024
    .name:           _ZN7rocprim17ROCPRIM_400000_NS6detail17trampoline_kernelINS0_14default_configENS1_35radix_sort_onesweep_config_selectorIdlEEZNS1_34radix_sort_onesweep_global_offsetsIS3_Lb0EPdN6thrust23THRUST_200600_302600_NS10device_ptrIlEEjNS0_19identity_decomposerEEE10hipError_tT1_T2_PT3_SG_jT4_jjP12ihipStream_tbEUlT_E0_NS1_11comp_targetILNS1_3genE6ELNS1_11target_archE950ELNS1_3gpuE13ELNS1_3repE0EEENS1_52radix_sort_onesweep_histogram_config_static_selectorELNS0_4arch9wavefront6targetE1EEEvSE_
    .private_segment_fixed_size: 0
    .sgpr_count:     4
    .sgpr_spill_count: 0
    .symbol:         _ZN7rocprim17ROCPRIM_400000_NS6detail17trampoline_kernelINS0_14default_configENS1_35radix_sort_onesweep_config_selectorIdlEEZNS1_34radix_sort_onesweep_global_offsetsIS3_Lb0EPdN6thrust23THRUST_200600_302600_NS10device_ptrIlEEjNS0_19identity_decomposerEEE10hipError_tT1_T2_PT3_SG_jT4_jjP12ihipStream_tbEUlT_E0_NS1_11comp_targetILNS1_3genE6ELNS1_11target_archE950ELNS1_3gpuE13ELNS1_3repE0EEENS1_52radix_sort_onesweep_histogram_config_static_selectorELNS0_4arch9wavefront6targetE1EEEvSE_.kd
    .uniform_work_group_size: 1
    .uses_dynamic_stack: false
    .vgpr_count:     0
    .vgpr_spill_count: 0
    .wavefront_size: 64
  - .args:
      - .address_space:  global
        .offset:         0
        .size:           8
        .value_kind:     global_buffer
    .group_segment_fixed_size: 0
    .kernarg_segment_align: 8
    .kernarg_segment_size: 8
    .language:       OpenCL C
    .language_version:
      - 2
      - 0
    .max_flat_workgroup_size: 1024
    .name:           _ZN7rocprim17ROCPRIM_400000_NS6detail17trampoline_kernelINS0_14default_configENS1_35radix_sort_onesweep_config_selectorIdlEEZNS1_34radix_sort_onesweep_global_offsetsIS3_Lb0EPdN6thrust23THRUST_200600_302600_NS10device_ptrIlEEjNS0_19identity_decomposerEEE10hipError_tT1_T2_PT3_SG_jT4_jjP12ihipStream_tbEUlT_E0_NS1_11comp_targetILNS1_3genE5ELNS1_11target_archE942ELNS1_3gpuE9ELNS1_3repE0EEENS1_52radix_sort_onesweep_histogram_config_static_selectorELNS0_4arch9wavefront6targetE1EEEvSE_
    .private_segment_fixed_size: 0
    .sgpr_count:     4
    .sgpr_spill_count: 0
    .symbol:         _ZN7rocprim17ROCPRIM_400000_NS6detail17trampoline_kernelINS0_14default_configENS1_35radix_sort_onesweep_config_selectorIdlEEZNS1_34radix_sort_onesweep_global_offsetsIS3_Lb0EPdN6thrust23THRUST_200600_302600_NS10device_ptrIlEEjNS0_19identity_decomposerEEE10hipError_tT1_T2_PT3_SG_jT4_jjP12ihipStream_tbEUlT_E0_NS1_11comp_targetILNS1_3genE5ELNS1_11target_archE942ELNS1_3gpuE9ELNS1_3repE0EEENS1_52radix_sort_onesweep_histogram_config_static_selectorELNS0_4arch9wavefront6targetE1EEEvSE_.kd
    .uniform_work_group_size: 1
    .uses_dynamic_stack: false
    .vgpr_count:     0
    .vgpr_spill_count: 0
    .wavefront_size: 64
  - .args:
      - .address_space:  global
        .offset:         0
        .size:           8
        .value_kind:     global_buffer
    .group_segment_fixed_size: 32
    .kernarg_segment_align: 8
    .kernarg_segment_size: 8
    .language:       OpenCL C
    .language_version:
      - 2
      - 0
    .max_flat_workgroup_size: 512
    .name:           _ZN7rocprim17ROCPRIM_400000_NS6detail17trampoline_kernelINS0_14default_configENS1_35radix_sort_onesweep_config_selectorIdlEEZNS1_34radix_sort_onesweep_global_offsetsIS3_Lb0EPdN6thrust23THRUST_200600_302600_NS10device_ptrIlEEjNS0_19identity_decomposerEEE10hipError_tT1_T2_PT3_SG_jT4_jjP12ihipStream_tbEUlT_E0_NS1_11comp_targetILNS1_3genE2ELNS1_11target_archE906ELNS1_3gpuE6ELNS1_3repE0EEENS1_52radix_sort_onesweep_histogram_config_static_selectorELNS0_4arch9wavefront6targetE1EEEvSE_
    .private_segment_fixed_size: 0
    .sgpr_count:     11
    .sgpr_spill_count: 0
    .symbol:         _ZN7rocprim17ROCPRIM_400000_NS6detail17trampoline_kernelINS0_14default_configENS1_35radix_sort_onesweep_config_selectorIdlEEZNS1_34radix_sort_onesweep_global_offsetsIS3_Lb0EPdN6thrust23THRUST_200600_302600_NS10device_ptrIlEEjNS0_19identity_decomposerEEE10hipError_tT1_T2_PT3_SG_jT4_jjP12ihipStream_tbEUlT_E0_NS1_11comp_targetILNS1_3genE2ELNS1_11target_archE906ELNS1_3gpuE6ELNS1_3repE0EEENS1_52radix_sort_onesweep_histogram_config_static_selectorELNS0_4arch9wavefront6targetE1EEEvSE_.kd
    .uniform_work_group_size: 1
    .uses_dynamic_stack: false
    .vgpr_count:     8
    .vgpr_spill_count: 0
    .wavefront_size: 64
  - .args:
      - .address_space:  global
        .offset:         0
        .size:           8
        .value_kind:     global_buffer
    .group_segment_fixed_size: 0
    .kernarg_segment_align: 8
    .kernarg_segment_size: 8
    .language:       OpenCL C
    .language_version:
      - 2
      - 0
    .max_flat_workgroup_size: 1024
    .name:           _ZN7rocprim17ROCPRIM_400000_NS6detail17trampoline_kernelINS0_14default_configENS1_35radix_sort_onesweep_config_selectorIdlEEZNS1_34radix_sort_onesweep_global_offsetsIS3_Lb0EPdN6thrust23THRUST_200600_302600_NS10device_ptrIlEEjNS0_19identity_decomposerEEE10hipError_tT1_T2_PT3_SG_jT4_jjP12ihipStream_tbEUlT_E0_NS1_11comp_targetILNS1_3genE4ELNS1_11target_archE910ELNS1_3gpuE8ELNS1_3repE0EEENS1_52radix_sort_onesweep_histogram_config_static_selectorELNS0_4arch9wavefront6targetE1EEEvSE_
    .private_segment_fixed_size: 0
    .sgpr_count:     4
    .sgpr_spill_count: 0
    .symbol:         _ZN7rocprim17ROCPRIM_400000_NS6detail17trampoline_kernelINS0_14default_configENS1_35radix_sort_onesweep_config_selectorIdlEEZNS1_34radix_sort_onesweep_global_offsetsIS3_Lb0EPdN6thrust23THRUST_200600_302600_NS10device_ptrIlEEjNS0_19identity_decomposerEEE10hipError_tT1_T2_PT3_SG_jT4_jjP12ihipStream_tbEUlT_E0_NS1_11comp_targetILNS1_3genE4ELNS1_11target_archE910ELNS1_3gpuE8ELNS1_3repE0EEENS1_52radix_sort_onesweep_histogram_config_static_selectorELNS0_4arch9wavefront6targetE1EEEvSE_.kd
    .uniform_work_group_size: 1
    .uses_dynamic_stack: false
    .vgpr_count:     0
    .vgpr_spill_count: 0
    .wavefront_size: 64
  - .args:
      - .address_space:  global
        .offset:         0
        .size:           8
        .value_kind:     global_buffer
    .group_segment_fixed_size: 0
    .kernarg_segment_align: 8
    .kernarg_segment_size: 8
    .language:       OpenCL C
    .language_version:
      - 2
      - 0
    .max_flat_workgroup_size: 512
    .name:           _ZN7rocprim17ROCPRIM_400000_NS6detail17trampoline_kernelINS0_14default_configENS1_35radix_sort_onesweep_config_selectorIdlEEZNS1_34radix_sort_onesweep_global_offsetsIS3_Lb0EPdN6thrust23THRUST_200600_302600_NS10device_ptrIlEEjNS0_19identity_decomposerEEE10hipError_tT1_T2_PT3_SG_jT4_jjP12ihipStream_tbEUlT_E0_NS1_11comp_targetILNS1_3genE3ELNS1_11target_archE908ELNS1_3gpuE7ELNS1_3repE0EEENS1_52radix_sort_onesweep_histogram_config_static_selectorELNS0_4arch9wavefront6targetE1EEEvSE_
    .private_segment_fixed_size: 0
    .sgpr_count:     4
    .sgpr_spill_count: 0
    .symbol:         _ZN7rocprim17ROCPRIM_400000_NS6detail17trampoline_kernelINS0_14default_configENS1_35radix_sort_onesweep_config_selectorIdlEEZNS1_34radix_sort_onesweep_global_offsetsIS3_Lb0EPdN6thrust23THRUST_200600_302600_NS10device_ptrIlEEjNS0_19identity_decomposerEEE10hipError_tT1_T2_PT3_SG_jT4_jjP12ihipStream_tbEUlT_E0_NS1_11comp_targetILNS1_3genE3ELNS1_11target_archE908ELNS1_3gpuE7ELNS1_3repE0EEENS1_52radix_sort_onesweep_histogram_config_static_selectorELNS0_4arch9wavefront6targetE1EEEvSE_.kd
    .uniform_work_group_size: 1
    .uses_dynamic_stack: false
    .vgpr_count:     0
    .vgpr_spill_count: 0
    .wavefront_size: 64
  - .args:
      - .address_space:  global
        .offset:         0
        .size:           8
        .value_kind:     global_buffer
    .group_segment_fixed_size: 0
    .kernarg_segment_align: 8
    .kernarg_segment_size: 8
    .language:       OpenCL C
    .language_version:
      - 2
      - 0
    .max_flat_workgroup_size: 1024
    .name:           _ZN7rocprim17ROCPRIM_400000_NS6detail17trampoline_kernelINS0_14default_configENS1_35radix_sort_onesweep_config_selectorIdlEEZNS1_34radix_sort_onesweep_global_offsetsIS3_Lb0EPdN6thrust23THRUST_200600_302600_NS10device_ptrIlEEjNS0_19identity_decomposerEEE10hipError_tT1_T2_PT3_SG_jT4_jjP12ihipStream_tbEUlT_E0_NS1_11comp_targetILNS1_3genE10ELNS1_11target_archE1201ELNS1_3gpuE5ELNS1_3repE0EEENS1_52radix_sort_onesweep_histogram_config_static_selectorELNS0_4arch9wavefront6targetE1EEEvSE_
    .private_segment_fixed_size: 0
    .sgpr_count:     4
    .sgpr_spill_count: 0
    .symbol:         _ZN7rocprim17ROCPRIM_400000_NS6detail17trampoline_kernelINS0_14default_configENS1_35radix_sort_onesweep_config_selectorIdlEEZNS1_34radix_sort_onesweep_global_offsetsIS3_Lb0EPdN6thrust23THRUST_200600_302600_NS10device_ptrIlEEjNS0_19identity_decomposerEEE10hipError_tT1_T2_PT3_SG_jT4_jjP12ihipStream_tbEUlT_E0_NS1_11comp_targetILNS1_3genE10ELNS1_11target_archE1201ELNS1_3gpuE5ELNS1_3repE0EEENS1_52radix_sort_onesweep_histogram_config_static_selectorELNS0_4arch9wavefront6targetE1EEEvSE_.kd
    .uniform_work_group_size: 1
    .uses_dynamic_stack: false
    .vgpr_count:     0
    .vgpr_spill_count: 0
    .wavefront_size: 64
  - .args:
      - .address_space:  global
        .offset:         0
        .size:           8
        .value_kind:     global_buffer
    .group_segment_fixed_size: 0
    .kernarg_segment_align: 8
    .kernarg_segment_size: 8
    .language:       OpenCL C
    .language_version:
      - 2
      - 0
    .max_flat_workgroup_size: 1024
    .name:           _ZN7rocprim17ROCPRIM_400000_NS6detail17trampoline_kernelINS0_14default_configENS1_35radix_sort_onesweep_config_selectorIdlEEZNS1_34radix_sort_onesweep_global_offsetsIS3_Lb0EPdN6thrust23THRUST_200600_302600_NS10device_ptrIlEEjNS0_19identity_decomposerEEE10hipError_tT1_T2_PT3_SG_jT4_jjP12ihipStream_tbEUlT_E0_NS1_11comp_targetILNS1_3genE9ELNS1_11target_archE1100ELNS1_3gpuE3ELNS1_3repE0EEENS1_52radix_sort_onesweep_histogram_config_static_selectorELNS0_4arch9wavefront6targetE1EEEvSE_
    .private_segment_fixed_size: 0
    .sgpr_count:     4
    .sgpr_spill_count: 0
    .symbol:         _ZN7rocprim17ROCPRIM_400000_NS6detail17trampoline_kernelINS0_14default_configENS1_35radix_sort_onesweep_config_selectorIdlEEZNS1_34radix_sort_onesweep_global_offsetsIS3_Lb0EPdN6thrust23THRUST_200600_302600_NS10device_ptrIlEEjNS0_19identity_decomposerEEE10hipError_tT1_T2_PT3_SG_jT4_jjP12ihipStream_tbEUlT_E0_NS1_11comp_targetILNS1_3genE9ELNS1_11target_archE1100ELNS1_3gpuE3ELNS1_3repE0EEENS1_52radix_sort_onesweep_histogram_config_static_selectorELNS0_4arch9wavefront6targetE1EEEvSE_.kd
    .uniform_work_group_size: 1
    .uses_dynamic_stack: false
    .vgpr_count:     0
    .vgpr_spill_count: 0
    .wavefront_size: 64
  - .args:
      - .address_space:  global
        .offset:         0
        .size:           8
        .value_kind:     global_buffer
    .group_segment_fixed_size: 0
    .kernarg_segment_align: 8
    .kernarg_segment_size: 8
    .language:       OpenCL C
    .language_version:
      - 2
      - 0
    .max_flat_workgroup_size: 1024
    .name:           _ZN7rocprim17ROCPRIM_400000_NS6detail17trampoline_kernelINS0_14default_configENS1_35radix_sort_onesweep_config_selectorIdlEEZNS1_34radix_sort_onesweep_global_offsetsIS3_Lb0EPdN6thrust23THRUST_200600_302600_NS10device_ptrIlEEjNS0_19identity_decomposerEEE10hipError_tT1_T2_PT3_SG_jT4_jjP12ihipStream_tbEUlT_E0_NS1_11comp_targetILNS1_3genE8ELNS1_11target_archE1030ELNS1_3gpuE2ELNS1_3repE0EEENS1_52radix_sort_onesweep_histogram_config_static_selectorELNS0_4arch9wavefront6targetE1EEEvSE_
    .private_segment_fixed_size: 0
    .sgpr_count:     4
    .sgpr_spill_count: 0
    .symbol:         _ZN7rocprim17ROCPRIM_400000_NS6detail17trampoline_kernelINS0_14default_configENS1_35radix_sort_onesweep_config_selectorIdlEEZNS1_34radix_sort_onesweep_global_offsetsIS3_Lb0EPdN6thrust23THRUST_200600_302600_NS10device_ptrIlEEjNS0_19identity_decomposerEEE10hipError_tT1_T2_PT3_SG_jT4_jjP12ihipStream_tbEUlT_E0_NS1_11comp_targetILNS1_3genE8ELNS1_11target_archE1030ELNS1_3gpuE2ELNS1_3repE0EEENS1_52radix_sort_onesweep_histogram_config_static_selectorELNS0_4arch9wavefront6targetE1EEEvSE_.kd
    .uniform_work_group_size: 1
    .uses_dynamic_stack: false
    .vgpr_count:     0
    .vgpr_spill_count: 0
    .wavefront_size: 64
  - .args:
      - .offset:         0
        .size:           88
        .value_kind:     by_value
    .group_segment_fixed_size: 0
    .kernarg_segment_align: 8
    .kernarg_segment_size: 88
    .language:       OpenCL C
    .language_version:
      - 2
      - 0
    .max_flat_workgroup_size: 512
    .name:           _ZN7rocprim17ROCPRIM_400000_NS6detail17trampoline_kernelINS0_14default_configENS1_35radix_sort_onesweep_config_selectorIdlEEZZNS1_29radix_sort_onesweep_iterationIS3_Lb0EPdS7_N6thrust23THRUST_200600_302600_NS10device_ptrIlEESB_jNS0_19identity_decomposerENS1_16block_id_wrapperIjLb1EEEEE10hipError_tT1_PNSt15iterator_traitsISG_E10value_typeET2_T3_PNSH_ISM_E10value_typeET4_T5_PSR_SS_PNS1_23onesweep_lookback_stateEbbT6_jjT7_P12ihipStream_tbENKUlT_T0_SG_SL_E_clIS7_S7_SB_SB_EEDaSZ_S10_SG_SL_EUlSZ_E_NS1_11comp_targetILNS1_3genE0ELNS1_11target_archE4294967295ELNS1_3gpuE0ELNS1_3repE0EEENS1_47radix_sort_onesweep_sort_config_static_selectorELNS0_4arch9wavefront6targetE1EEEvSG_
    .private_segment_fixed_size: 0
    .sgpr_count:     4
    .sgpr_spill_count: 0
    .symbol:         _ZN7rocprim17ROCPRIM_400000_NS6detail17trampoline_kernelINS0_14default_configENS1_35radix_sort_onesweep_config_selectorIdlEEZZNS1_29radix_sort_onesweep_iterationIS3_Lb0EPdS7_N6thrust23THRUST_200600_302600_NS10device_ptrIlEESB_jNS0_19identity_decomposerENS1_16block_id_wrapperIjLb1EEEEE10hipError_tT1_PNSt15iterator_traitsISG_E10value_typeET2_T3_PNSH_ISM_E10value_typeET4_T5_PSR_SS_PNS1_23onesweep_lookback_stateEbbT6_jjT7_P12ihipStream_tbENKUlT_T0_SG_SL_E_clIS7_S7_SB_SB_EEDaSZ_S10_SG_SL_EUlSZ_E_NS1_11comp_targetILNS1_3genE0ELNS1_11target_archE4294967295ELNS1_3gpuE0ELNS1_3repE0EEENS1_47radix_sort_onesweep_sort_config_static_selectorELNS0_4arch9wavefront6targetE1EEEvSG_.kd
    .uniform_work_group_size: 1
    .uses_dynamic_stack: false
    .vgpr_count:     0
    .vgpr_spill_count: 0
    .wavefront_size: 64
  - .args:
      - .offset:         0
        .size:           88
        .value_kind:     by_value
    .group_segment_fixed_size: 0
    .kernarg_segment_align: 8
    .kernarg_segment_size: 88
    .language:       OpenCL C
    .language_version:
      - 2
      - 0
    .max_flat_workgroup_size: 1024
    .name:           _ZN7rocprim17ROCPRIM_400000_NS6detail17trampoline_kernelINS0_14default_configENS1_35radix_sort_onesweep_config_selectorIdlEEZZNS1_29radix_sort_onesweep_iterationIS3_Lb0EPdS7_N6thrust23THRUST_200600_302600_NS10device_ptrIlEESB_jNS0_19identity_decomposerENS1_16block_id_wrapperIjLb1EEEEE10hipError_tT1_PNSt15iterator_traitsISG_E10value_typeET2_T3_PNSH_ISM_E10value_typeET4_T5_PSR_SS_PNS1_23onesweep_lookback_stateEbbT6_jjT7_P12ihipStream_tbENKUlT_T0_SG_SL_E_clIS7_S7_SB_SB_EEDaSZ_S10_SG_SL_EUlSZ_E_NS1_11comp_targetILNS1_3genE6ELNS1_11target_archE950ELNS1_3gpuE13ELNS1_3repE0EEENS1_47radix_sort_onesweep_sort_config_static_selectorELNS0_4arch9wavefront6targetE1EEEvSG_
    .private_segment_fixed_size: 0
    .sgpr_count:     4
    .sgpr_spill_count: 0
    .symbol:         _ZN7rocprim17ROCPRIM_400000_NS6detail17trampoline_kernelINS0_14default_configENS1_35radix_sort_onesweep_config_selectorIdlEEZZNS1_29radix_sort_onesweep_iterationIS3_Lb0EPdS7_N6thrust23THRUST_200600_302600_NS10device_ptrIlEESB_jNS0_19identity_decomposerENS1_16block_id_wrapperIjLb1EEEEE10hipError_tT1_PNSt15iterator_traitsISG_E10value_typeET2_T3_PNSH_ISM_E10value_typeET4_T5_PSR_SS_PNS1_23onesweep_lookback_stateEbbT6_jjT7_P12ihipStream_tbENKUlT_T0_SG_SL_E_clIS7_S7_SB_SB_EEDaSZ_S10_SG_SL_EUlSZ_E_NS1_11comp_targetILNS1_3genE6ELNS1_11target_archE950ELNS1_3gpuE13ELNS1_3repE0EEENS1_47radix_sort_onesweep_sort_config_static_selectorELNS0_4arch9wavefront6targetE1EEEvSG_.kd
    .uniform_work_group_size: 1
    .uses_dynamic_stack: false
    .vgpr_count:     0
    .vgpr_spill_count: 0
    .wavefront_size: 64
  - .args:
      - .offset:         0
        .size:           88
        .value_kind:     by_value
    .group_segment_fixed_size: 0
    .kernarg_segment_align: 8
    .kernarg_segment_size: 88
    .language:       OpenCL C
    .language_version:
      - 2
      - 0
    .max_flat_workgroup_size: 1024
    .name:           _ZN7rocprim17ROCPRIM_400000_NS6detail17trampoline_kernelINS0_14default_configENS1_35radix_sort_onesweep_config_selectorIdlEEZZNS1_29radix_sort_onesweep_iterationIS3_Lb0EPdS7_N6thrust23THRUST_200600_302600_NS10device_ptrIlEESB_jNS0_19identity_decomposerENS1_16block_id_wrapperIjLb1EEEEE10hipError_tT1_PNSt15iterator_traitsISG_E10value_typeET2_T3_PNSH_ISM_E10value_typeET4_T5_PSR_SS_PNS1_23onesweep_lookback_stateEbbT6_jjT7_P12ihipStream_tbENKUlT_T0_SG_SL_E_clIS7_S7_SB_SB_EEDaSZ_S10_SG_SL_EUlSZ_E_NS1_11comp_targetILNS1_3genE5ELNS1_11target_archE942ELNS1_3gpuE9ELNS1_3repE0EEENS1_47radix_sort_onesweep_sort_config_static_selectorELNS0_4arch9wavefront6targetE1EEEvSG_
    .private_segment_fixed_size: 0
    .sgpr_count:     4
    .sgpr_spill_count: 0
    .symbol:         _ZN7rocprim17ROCPRIM_400000_NS6detail17trampoline_kernelINS0_14default_configENS1_35radix_sort_onesweep_config_selectorIdlEEZZNS1_29radix_sort_onesweep_iterationIS3_Lb0EPdS7_N6thrust23THRUST_200600_302600_NS10device_ptrIlEESB_jNS0_19identity_decomposerENS1_16block_id_wrapperIjLb1EEEEE10hipError_tT1_PNSt15iterator_traitsISG_E10value_typeET2_T3_PNSH_ISM_E10value_typeET4_T5_PSR_SS_PNS1_23onesweep_lookback_stateEbbT6_jjT7_P12ihipStream_tbENKUlT_T0_SG_SL_E_clIS7_S7_SB_SB_EEDaSZ_S10_SG_SL_EUlSZ_E_NS1_11comp_targetILNS1_3genE5ELNS1_11target_archE942ELNS1_3gpuE9ELNS1_3repE0EEENS1_47radix_sort_onesweep_sort_config_static_selectorELNS0_4arch9wavefront6targetE1EEEvSG_.kd
    .uniform_work_group_size: 1
    .uses_dynamic_stack: false
    .vgpr_count:     0
    .vgpr_spill_count: 0
    .wavefront_size: 64
  - .args:
      - .offset:         0
        .size:           88
        .value_kind:     by_value
      - .offset:         88
        .size:           4
        .value_kind:     hidden_block_count_x
      - .offset:         92
        .size:           4
        .value_kind:     hidden_block_count_y
      - .offset:         96
        .size:           4
        .value_kind:     hidden_block_count_z
      - .offset:         100
        .size:           2
        .value_kind:     hidden_group_size_x
      - .offset:         102
        .size:           2
        .value_kind:     hidden_group_size_y
      - .offset:         104
        .size:           2
        .value_kind:     hidden_group_size_z
      - .offset:         106
        .size:           2
        .value_kind:     hidden_remainder_x
      - .offset:         108
        .size:           2
        .value_kind:     hidden_remainder_y
      - .offset:         110
        .size:           2
        .value_kind:     hidden_remainder_z
      - .offset:         128
        .size:           8
        .value_kind:     hidden_global_offset_x
      - .offset:         136
        .size:           8
        .value_kind:     hidden_global_offset_y
      - .offset:         144
        .size:           8
        .value_kind:     hidden_global_offset_z
      - .offset:         152
        .size:           2
        .value_kind:     hidden_grid_dims
    .group_segment_fixed_size: 10280
    .kernarg_segment_align: 8
    .kernarg_segment_size: 344
    .language:       OpenCL C
    .language_version:
      - 2
      - 0
    .max_flat_workgroup_size: 512
    .name:           _ZN7rocprim17ROCPRIM_400000_NS6detail17trampoline_kernelINS0_14default_configENS1_35radix_sort_onesweep_config_selectorIdlEEZZNS1_29radix_sort_onesweep_iterationIS3_Lb0EPdS7_N6thrust23THRUST_200600_302600_NS10device_ptrIlEESB_jNS0_19identity_decomposerENS1_16block_id_wrapperIjLb1EEEEE10hipError_tT1_PNSt15iterator_traitsISG_E10value_typeET2_T3_PNSH_ISM_E10value_typeET4_T5_PSR_SS_PNS1_23onesweep_lookback_stateEbbT6_jjT7_P12ihipStream_tbENKUlT_T0_SG_SL_E_clIS7_S7_SB_SB_EEDaSZ_S10_SG_SL_EUlSZ_E_NS1_11comp_targetILNS1_3genE2ELNS1_11target_archE906ELNS1_3gpuE6ELNS1_3repE0EEENS1_47radix_sort_onesweep_sort_config_static_selectorELNS0_4arch9wavefront6targetE1EEEvSG_
    .private_segment_fixed_size: 32
    .sgpr_count:     61
    .sgpr_spill_count: 0
    .symbol:         _ZN7rocprim17ROCPRIM_400000_NS6detail17trampoline_kernelINS0_14default_configENS1_35radix_sort_onesweep_config_selectorIdlEEZZNS1_29radix_sort_onesweep_iterationIS3_Lb0EPdS7_N6thrust23THRUST_200600_302600_NS10device_ptrIlEESB_jNS0_19identity_decomposerENS1_16block_id_wrapperIjLb1EEEEE10hipError_tT1_PNSt15iterator_traitsISG_E10value_typeET2_T3_PNSH_ISM_E10value_typeET4_T5_PSR_SS_PNS1_23onesweep_lookback_stateEbbT6_jjT7_P12ihipStream_tbENKUlT_T0_SG_SL_E_clIS7_S7_SB_SB_EEDaSZ_S10_SG_SL_EUlSZ_E_NS1_11comp_targetILNS1_3genE2ELNS1_11target_archE906ELNS1_3gpuE6ELNS1_3repE0EEENS1_47radix_sort_onesweep_sort_config_static_selectorELNS0_4arch9wavefront6targetE1EEEvSG_.kd
    .uniform_work_group_size: 1
    .uses_dynamic_stack: false
    .vgpr_count:     47
    .vgpr_spill_count: 0
    .wavefront_size: 64
  - .args:
      - .offset:         0
        .size:           88
        .value_kind:     by_value
    .group_segment_fixed_size: 0
    .kernarg_segment_align: 8
    .kernarg_segment_size: 88
    .language:       OpenCL C
    .language_version:
      - 2
      - 0
    .max_flat_workgroup_size: 1024
    .name:           _ZN7rocprim17ROCPRIM_400000_NS6detail17trampoline_kernelINS0_14default_configENS1_35radix_sort_onesweep_config_selectorIdlEEZZNS1_29radix_sort_onesweep_iterationIS3_Lb0EPdS7_N6thrust23THRUST_200600_302600_NS10device_ptrIlEESB_jNS0_19identity_decomposerENS1_16block_id_wrapperIjLb1EEEEE10hipError_tT1_PNSt15iterator_traitsISG_E10value_typeET2_T3_PNSH_ISM_E10value_typeET4_T5_PSR_SS_PNS1_23onesweep_lookback_stateEbbT6_jjT7_P12ihipStream_tbENKUlT_T0_SG_SL_E_clIS7_S7_SB_SB_EEDaSZ_S10_SG_SL_EUlSZ_E_NS1_11comp_targetILNS1_3genE4ELNS1_11target_archE910ELNS1_3gpuE8ELNS1_3repE0EEENS1_47radix_sort_onesweep_sort_config_static_selectorELNS0_4arch9wavefront6targetE1EEEvSG_
    .private_segment_fixed_size: 0
    .sgpr_count:     4
    .sgpr_spill_count: 0
    .symbol:         _ZN7rocprim17ROCPRIM_400000_NS6detail17trampoline_kernelINS0_14default_configENS1_35radix_sort_onesweep_config_selectorIdlEEZZNS1_29radix_sort_onesweep_iterationIS3_Lb0EPdS7_N6thrust23THRUST_200600_302600_NS10device_ptrIlEESB_jNS0_19identity_decomposerENS1_16block_id_wrapperIjLb1EEEEE10hipError_tT1_PNSt15iterator_traitsISG_E10value_typeET2_T3_PNSH_ISM_E10value_typeET4_T5_PSR_SS_PNS1_23onesweep_lookback_stateEbbT6_jjT7_P12ihipStream_tbENKUlT_T0_SG_SL_E_clIS7_S7_SB_SB_EEDaSZ_S10_SG_SL_EUlSZ_E_NS1_11comp_targetILNS1_3genE4ELNS1_11target_archE910ELNS1_3gpuE8ELNS1_3repE0EEENS1_47radix_sort_onesweep_sort_config_static_selectorELNS0_4arch9wavefront6targetE1EEEvSG_.kd
    .uniform_work_group_size: 1
    .uses_dynamic_stack: false
    .vgpr_count:     0
    .vgpr_spill_count: 0
    .wavefront_size: 64
  - .args:
      - .offset:         0
        .size:           88
        .value_kind:     by_value
    .group_segment_fixed_size: 0
    .kernarg_segment_align: 8
    .kernarg_segment_size: 88
    .language:       OpenCL C
    .language_version:
      - 2
      - 0
    .max_flat_workgroup_size: 512
    .name:           _ZN7rocprim17ROCPRIM_400000_NS6detail17trampoline_kernelINS0_14default_configENS1_35radix_sort_onesweep_config_selectorIdlEEZZNS1_29radix_sort_onesweep_iterationIS3_Lb0EPdS7_N6thrust23THRUST_200600_302600_NS10device_ptrIlEESB_jNS0_19identity_decomposerENS1_16block_id_wrapperIjLb1EEEEE10hipError_tT1_PNSt15iterator_traitsISG_E10value_typeET2_T3_PNSH_ISM_E10value_typeET4_T5_PSR_SS_PNS1_23onesweep_lookback_stateEbbT6_jjT7_P12ihipStream_tbENKUlT_T0_SG_SL_E_clIS7_S7_SB_SB_EEDaSZ_S10_SG_SL_EUlSZ_E_NS1_11comp_targetILNS1_3genE3ELNS1_11target_archE908ELNS1_3gpuE7ELNS1_3repE0EEENS1_47radix_sort_onesweep_sort_config_static_selectorELNS0_4arch9wavefront6targetE1EEEvSG_
    .private_segment_fixed_size: 0
    .sgpr_count:     4
    .sgpr_spill_count: 0
    .symbol:         _ZN7rocprim17ROCPRIM_400000_NS6detail17trampoline_kernelINS0_14default_configENS1_35radix_sort_onesweep_config_selectorIdlEEZZNS1_29radix_sort_onesweep_iterationIS3_Lb0EPdS7_N6thrust23THRUST_200600_302600_NS10device_ptrIlEESB_jNS0_19identity_decomposerENS1_16block_id_wrapperIjLb1EEEEE10hipError_tT1_PNSt15iterator_traitsISG_E10value_typeET2_T3_PNSH_ISM_E10value_typeET4_T5_PSR_SS_PNS1_23onesweep_lookback_stateEbbT6_jjT7_P12ihipStream_tbENKUlT_T0_SG_SL_E_clIS7_S7_SB_SB_EEDaSZ_S10_SG_SL_EUlSZ_E_NS1_11comp_targetILNS1_3genE3ELNS1_11target_archE908ELNS1_3gpuE7ELNS1_3repE0EEENS1_47radix_sort_onesweep_sort_config_static_selectorELNS0_4arch9wavefront6targetE1EEEvSG_.kd
    .uniform_work_group_size: 1
    .uses_dynamic_stack: false
    .vgpr_count:     0
    .vgpr_spill_count: 0
    .wavefront_size: 64
  - .args:
      - .offset:         0
        .size:           88
        .value_kind:     by_value
    .group_segment_fixed_size: 0
    .kernarg_segment_align: 8
    .kernarg_segment_size: 88
    .language:       OpenCL C
    .language_version:
      - 2
      - 0
    .max_flat_workgroup_size: 1024
    .name:           _ZN7rocprim17ROCPRIM_400000_NS6detail17trampoline_kernelINS0_14default_configENS1_35radix_sort_onesweep_config_selectorIdlEEZZNS1_29radix_sort_onesweep_iterationIS3_Lb0EPdS7_N6thrust23THRUST_200600_302600_NS10device_ptrIlEESB_jNS0_19identity_decomposerENS1_16block_id_wrapperIjLb1EEEEE10hipError_tT1_PNSt15iterator_traitsISG_E10value_typeET2_T3_PNSH_ISM_E10value_typeET4_T5_PSR_SS_PNS1_23onesweep_lookback_stateEbbT6_jjT7_P12ihipStream_tbENKUlT_T0_SG_SL_E_clIS7_S7_SB_SB_EEDaSZ_S10_SG_SL_EUlSZ_E_NS1_11comp_targetILNS1_3genE10ELNS1_11target_archE1201ELNS1_3gpuE5ELNS1_3repE0EEENS1_47radix_sort_onesweep_sort_config_static_selectorELNS0_4arch9wavefront6targetE1EEEvSG_
    .private_segment_fixed_size: 0
    .sgpr_count:     4
    .sgpr_spill_count: 0
    .symbol:         _ZN7rocprim17ROCPRIM_400000_NS6detail17trampoline_kernelINS0_14default_configENS1_35radix_sort_onesweep_config_selectorIdlEEZZNS1_29radix_sort_onesweep_iterationIS3_Lb0EPdS7_N6thrust23THRUST_200600_302600_NS10device_ptrIlEESB_jNS0_19identity_decomposerENS1_16block_id_wrapperIjLb1EEEEE10hipError_tT1_PNSt15iterator_traitsISG_E10value_typeET2_T3_PNSH_ISM_E10value_typeET4_T5_PSR_SS_PNS1_23onesweep_lookback_stateEbbT6_jjT7_P12ihipStream_tbENKUlT_T0_SG_SL_E_clIS7_S7_SB_SB_EEDaSZ_S10_SG_SL_EUlSZ_E_NS1_11comp_targetILNS1_3genE10ELNS1_11target_archE1201ELNS1_3gpuE5ELNS1_3repE0EEENS1_47radix_sort_onesweep_sort_config_static_selectorELNS0_4arch9wavefront6targetE1EEEvSG_.kd
    .uniform_work_group_size: 1
    .uses_dynamic_stack: false
    .vgpr_count:     0
    .vgpr_spill_count: 0
    .wavefront_size: 64
  - .args:
      - .offset:         0
        .size:           88
        .value_kind:     by_value
    .group_segment_fixed_size: 0
    .kernarg_segment_align: 8
    .kernarg_segment_size: 88
    .language:       OpenCL C
    .language_version:
      - 2
      - 0
    .max_flat_workgroup_size: 1024
    .name:           _ZN7rocprim17ROCPRIM_400000_NS6detail17trampoline_kernelINS0_14default_configENS1_35radix_sort_onesweep_config_selectorIdlEEZZNS1_29radix_sort_onesweep_iterationIS3_Lb0EPdS7_N6thrust23THRUST_200600_302600_NS10device_ptrIlEESB_jNS0_19identity_decomposerENS1_16block_id_wrapperIjLb1EEEEE10hipError_tT1_PNSt15iterator_traitsISG_E10value_typeET2_T3_PNSH_ISM_E10value_typeET4_T5_PSR_SS_PNS1_23onesweep_lookback_stateEbbT6_jjT7_P12ihipStream_tbENKUlT_T0_SG_SL_E_clIS7_S7_SB_SB_EEDaSZ_S10_SG_SL_EUlSZ_E_NS1_11comp_targetILNS1_3genE9ELNS1_11target_archE1100ELNS1_3gpuE3ELNS1_3repE0EEENS1_47radix_sort_onesweep_sort_config_static_selectorELNS0_4arch9wavefront6targetE1EEEvSG_
    .private_segment_fixed_size: 0
    .sgpr_count:     4
    .sgpr_spill_count: 0
    .symbol:         _ZN7rocprim17ROCPRIM_400000_NS6detail17trampoline_kernelINS0_14default_configENS1_35radix_sort_onesweep_config_selectorIdlEEZZNS1_29radix_sort_onesweep_iterationIS3_Lb0EPdS7_N6thrust23THRUST_200600_302600_NS10device_ptrIlEESB_jNS0_19identity_decomposerENS1_16block_id_wrapperIjLb1EEEEE10hipError_tT1_PNSt15iterator_traitsISG_E10value_typeET2_T3_PNSH_ISM_E10value_typeET4_T5_PSR_SS_PNS1_23onesweep_lookback_stateEbbT6_jjT7_P12ihipStream_tbENKUlT_T0_SG_SL_E_clIS7_S7_SB_SB_EEDaSZ_S10_SG_SL_EUlSZ_E_NS1_11comp_targetILNS1_3genE9ELNS1_11target_archE1100ELNS1_3gpuE3ELNS1_3repE0EEENS1_47radix_sort_onesweep_sort_config_static_selectorELNS0_4arch9wavefront6targetE1EEEvSG_.kd
    .uniform_work_group_size: 1
    .uses_dynamic_stack: false
    .vgpr_count:     0
    .vgpr_spill_count: 0
    .wavefront_size: 64
  - .args:
      - .offset:         0
        .size:           88
        .value_kind:     by_value
    .group_segment_fixed_size: 0
    .kernarg_segment_align: 8
    .kernarg_segment_size: 88
    .language:       OpenCL C
    .language_version:
      - 2
      - 0
    .max_flat_workgroup_size: 1024
    .name:           _ZN7rocprim17ROCPRIM_400000_NS6detail17trampoline_kernelINS0_14default_configENS1_35radix_sort_onesweep_config_selectorIdlEEZZNS1_29radix_sort_onesweep_iterationIS3_Lb0EPdS7_N6thrust23THRUST_200600_302600_NS10device_ptrIlEESB_jNS0_19identity_decomposerENS1_16block_id_wrapperIjLb1EEEEE10hipError_tT1_PNSt15iterator_traitsISG_E10value_typeET2_T3_PNSH_ISM_E10value_typeET4_T5_PSR_SS_PNS1_23onesweep_lookback_stateEbbT6_jjT7_P12ihipStream_tbENKUlT_T0_SG_SL_E_clIS7_S7_SB_SB_EEDaSZ_S10_SG_SL_EUlSZ_E_NS1_11comp_targetILNS1_3genE8ELNS1_11target_archE1030ELNS1_3gpuE2ELNS1_3repE0EEENS1_47radix_sort_onesweep_sort_config_static_selectorELNS0_4arch9wavefront6targetE1EEEvSG_
    .private_segment_fixed_size: 0
    .sgpr_count:     4
    .sgpr_spill_count: 0
    .symbol:         _ZN7rocprim17ROCPRIM_400000_NS6detail17trampoline_kernelINS0_14default_configENS1_35radix_sort_onesweep_config_selectorIdlEEZZNS1_29radix_sort_onesweep_iterationIS3_Lb0EPdS7_N6thrust23THRUST_200600_302600_NS10device_ptrIlEESB_jNS0_19identity_decomposerENS1_16block_id_wrapperIjLb1EEEEE10hipError_tT1_PNSt15iterator_traitsISG_E10value_typeET2_T3_PNSH_ISM_E10value_typeET4_T5_PSR_SS_PNS1_23onesweep_lookback_stateEbbT6_jjT7_P12ihipStream_tbENKUlT_T0_SG_SL_E_clIS7_S7_SB_SB_EEDaSZ_S10_SG_SL_EUlSZ_E_NS1_11comp_targetILNS1_3genE8ELNS1_11target_archE1030ELNS1_3gpuE2ELNS1_3repE0EEENS1_47radix_sort_onesweep_sort_config_static_selectorELNS0_4arch9wavefront6targetE1EEEvSG_.kd
    .uniform_work_group_size: 1
    .uses_dynamic_stack: false
    .vgpr_count:     0
    .vgpr_spill_count: 0
    .wavefront_size: 64
  - .args:
      - .offset:         0
        .size:           88
        .value_kind:     by_value
    .group_segment_fixed_size: 0
    .kernarg_segment_align: 8
    .kernarg_segment_size: 88
    .language:       OpenCL C
    .language_version:
      - 2
      - 0
    .max_flat_workgroup_size: 512
    .name:           _ZN7rocprim17ROCPRIM_400000_NS6detail17trampoline_kernelINS0_14default_configENS1_35radix_sort_onesweep_config_selectorIdlEEZZNS1_29radix_sort_onesweep_iterationIS3_Lb0EPdS7_N6thrust23THRUST_200600_302600_NS10device_ptrIlEESB_jNS0_19identity_decomposerENS1_16block_id_wrapperIjLb1EEEEE10hipError_tT1_PNSt15iterator_traitsISG_E10value_typeET2_T3_PNSH_ISM_E10value_typeET4_T5_PSR_SS_PNS1_23onesweep_lookback_stateEbbT6_jjT7_P12ihipStream_tbENKUlT_T0_SG_SL_E_clIS7_S7_SB_PlEEDaSZ_S10_SG_SL_EUlSZ_E_NS1_11comp_targetILNS1_3genE0ELNS1_11target_archE4294967295ELNS1_3gpuE0ELNS1_3repE0EEENS1_47radix_sort_onesweep_sort_config_static_selectorELNS0_4arch9wavefront6targetE1EEEvSG_
    .private_segment_fixed_size: 0
    .sgpr_count:     4
    .sgpr_spill_count: 0
    .symbol:         _ZN7rocprim17ROCPRIM_400000_NS6detail17trampoline_kernelINS0_14default_configENS1_35radix_sort_onesweep_config_selectorIdlEEZZNS1_29radix_sort_onesweep_iterationIS3_Lb0EPdS7_N6thrust23THRUST_200600_302600_NS10device_ptrIlEESB_jNS0_19identity_decomposerENS1_16block_id_wrapperIjLb1EEEEE10hipError_tT1_PNSt15iterator_traitsISG_E10value_typeET2_T3_PNSH_ISM_E10value_typeET4_T5_PSR_SS_PNS1_23onesweep_lookback_stateEbbT6_jjT7_P12ihipStream_tbENKUlT_T0_SG_SL_E_clIS7_S7_SB_PlEEDaSZ_S10_SG_SL_EUlSZ_E_NS1_11comp_targetILNS1_3genE0ELNS1_11target_archE4294967295ELNS1_3gpuE0ELNS1_3repE0EEENS1_47radix_sort_onesweep_sort_config_static_selectorELNS0_4arch9wavefront6targetE1EEEvSG_.kd
    .uniform_work_group_size: 1
    .uses_dynamic_stack: false
    .vgpr_count:     0
    .vgpr_spill_count: 0
    .wavefront_size: 64
  - .args:
      - .offset:         0
        .size:           88
        .value_kind:     by_value
    .group_segment_fixed_size: 0
    .kernarg_segment_align: 8
    .kernarg_segment_size: 88
    .language:       OpenCL C
    .language_version:
      - 2
      - 0
    .max_flat_workgroup_size: 1024
    .name:           _ZN7rocprim17ROCPRIM_400000_NS6detail17trampoline_kernelINS0_14default_configENS1_35radix_sort_onesweep_config_selectorIdlEEZZNS1_29radix_sort_onesweep_iterationIS3_Lb0EPdS7_N6thrust23THRUST_200600_302600_NS10device_ptrIlEESB_jNS0_19identity_decomposerENS1_16block_id_wrapperIjLb1EEEEE10hipError_tT1_PNSt15iterator_traitsISG_E10value_typeET2_T3_PNSH_ISM_E10value_typeET4_T5_PSR_SS_PNS1_23onesweep_lookback_stateEbbT6_jjT7_P12ihipStream_tbENKUlT_T0_SG_SL_E_clIS7_S7_SB_PlEEDaSZ_S10_SG_SL_EUlSZ_E_NS1_11comp_targetILNS1_3genE6ELNS1_11target_archE950ELNS1_3gpuE13ELNS1_3repE0EEENS1_47radix_sort_onesweep_sort_config_static_selectorELNS0_4arch9wavefront6targetE1EEEvSG_
    .private_segment_fixed_size: 0
    .sgpr_count:     4
    .sgpr_spill_count: 0
    .symbol:         _ZN7rocprim17ROCPRIM_400000_NS6detail17trampoline_kernelINS0_14default_configENS1_35radix_sort_onesweep_config_selectorIdlEEZZNS1_29radix_sort_onesweep_iterationIS3_Lb0EPdS7_N6thrust23THRUST_200600_302600_NS10device_ptrIlEESB_jNS0_19identity_decomposerENS1_16block_id_wrapperIjLb1EEEEE10hipError_tT1_PNSt15iterator_traitsISG_E10value_typeET2_T3_PNSH_ISM_E10value_typeET4_T5_PSR_SS_PNS1_23onesweep_lookback_stateEbbT6_jjT7_P12ihipStream_tbENKUlT_T0_SG_SL_E_clIS7_S7_SB_PlEEDaSZ_S10_SG_SL_EUlSZ_E_NS1_11comp_targetILNS1_3genE6ELNS1_11target_archE950ELNS1_3gpuE13ELNS1_3repE0EEENS1_47radix_sort_onesweep_sort_config_static_selectorELNS0_4arch9wavefront6targetE1EEEvSG_.kd
    .uniform_work_group_size: 1
    .uses_dynamic_stack: false
    .vgpr_count:     0
    .vgpr_spill_count: 0
    .wavefront_size: 64
  - .args:
      - .offset:         0
        .size:           88
        .value_kind:     by_value
    .group_segment_fixed_size: 0
    .kernarg_segment_align: 8
    .kernarg_segment_size: 88
    .language:       OpenCL C
    .language_version:
      - 2
      - 0
    .max_flat_workgroup_size: 1024
    .name:           _ZN7rocprim17ROCPRIM_400000_NS6detail17trampoline_kernelINS0_14default_configENS1_35radix_sort_onesweep_config_selectorIdlEEZZNS1_29radix_sort_onesweep_iterationIS3_Lb0EPdS7_N6thrust23THRUST_200600_302600_NS10device_ptrIlEESB_jNS0_19identity_decomposerENS1_16block_id_wrapperIjLb1EEEEE10hipError_tT1_PNSt15iterator_traitsISG_E10value_typeET2_T3_PNSH_ISM_E10value_typeET4_T5_PSR_SS_PNS1_23onesweep_lookback_stateEbbT6_jjT7_P12ihipStream_tbENKUlT_T0_SG_SL_E_clIS7_S7_SB_PlEEDaSZ_S10_SG_SL_EUlSZ_E_NS1_11comp_targetILNS1_3genE5ELNS1_11target_archE942ELNS1_3gpuE9ELNS1_3repE0EEENS1_47radix_sort_onesweep_sort_config_static_selectorELNS0_4arch9wavefront6targetE1EEEvSG_
    .private_segment_fixed_size: 0
    .sgpr_count:     4
    .sgpr_spill_count: 0
    .symbol:         _ZN7rocprim17ROCPRIM_400000_NS6detail17trampoline_kernelINS0_14default_configENS1_35radix_sort_onesweep_config_selectorIdlEEZZNS1_29radix_sort_onesweep_iterationIS3_Lb0EPdS7_N6thrust23THRUST_200600_302600_NS10device_ptrIlEESB_jNS0_19identity_decomposerENS1_16block_id_wrapperIjLb1EEEEE10hipError_tT1_PNSt15iterator_traitsISG_E10value_typeET2_T3_PNSH_ISM_E10value_typeET4_T5_PSR_SS_PNS1_23onesweep_lookback_stateEbbT6_jjT7_P12ihipStream_tbENKUlT_T0_SG_SL_E_clIS7_S7_SB_PlEEDaSZ_S10_SG_SL_EUlSZ_E_NS1_11comp_targetILNS1_3genE5ELNS1_11target_archE942ELNS1_3gpuE9ELNS1_3repE0EEENS1_47radix_sort_onesweep_sort_config_static_selectorELNS0_4arch9wavefront6targetE1EEEvSG_.kd
    .uniform_work_group_size: 1
    .uses_dynamic_stack: false
    .vgpr_count:     0
    .vgpr_spill_count: 0
    .wavefront_size: 64
  - .args:
      - .offset:         0
        .size:           88
        .value_kind:     by_value
      - .offset:         88
        .size:           4
        .value_kind:     hidden_block_count_x
      - .offset:         92
        .size:           4
        .value_kind:     hidden_block_count_y
      - .offset:         96
        .size:           4
        .value_kind:     hidden_block_count_z
      - .offset:         100
        .size:           2
        .value_kind:     hidden_group_size_x
      - .offset:         102
        .size:           2
        .value_kind:     hidden_group_size_y
      - .offset:         104
        .size:           2
        .value_kind:     hidden_group_size_z
      - .offset:         106
        .size:           2
        .value_kind:     hidden_remainder_x
      - .offset:         108
        .size:           2
        .value_kind:     hidden_remainder_y
      - .offset:         110
        .size:           2
        .value_kind:     hidden_remainder_z
      - .offset:         128
        .size:           8
        .value_kind:     hidden_global_offset_x
      - .offset:         136
        .size:           8
        .value_kind:     hidden_global_offset_y
      - .offset:         144
        .size:           8
        .value_kind:     hidden_global_offset_z
      - .offset:         152
        .size:           2
        .value_kind:     hidden_grid_dims
    .group_segment_fixed_size: 10280
    .kernarg_segment_align: 8
    .kernarg_segment_size: 344
    .language:       OpenCL C
    .language_version:
      - 2
      - 0
    .max_flat_workgroup_size: 512
    .name:           _ZN7rocprim17ROCPRIM_400000_NS6detail17trampoline_kernelINS0_14default_configENS1_35radix_sort_onesweep_config_selectorIdlEEZZNS1_29radix_sort_onesweep_iterationIS3_Lb0EPdS7_N6thrust23THRUST_200600_302600_NS10device_ptrIlEESB_jNS0_19identity_decomposerENS1_16block_id_wrapperIjLb1EEEEE10hipError_tT1_PNSt15iterator_traitsISG_E10value_typeET2_T3_PNSH_ISM_E10value_typeET4_T5_PSR_SS_PNS1_23onesweep_lookback_stateEbbT6_jjT7_P12ihipStream_tbENKUlT_T0_SG_SL_E_clIS7_S7_SB_PlEEDaSZ_S10_SG_SL_EUlSZ_E_NS1_11comp_targetILNS1_3genE2ELNS1_11target_archE906ELNS1_3gpuE6ELNS1_3repE0EEENS1_47radix_sort_onesweep_sort_config_static_selectorELNS0_4arch9wavefront6targetE1EEEvSG_
    .private_segment_fixed_size: 32
    .sgpr_count:     61
    .sgpr_spill_count: 0
    .symbol:         _ZN7rocprim17ROCPRIM_400000_NS6detail17trampoline_kernelINS0_14default_configENS1_35radix_sort_onesweep_config_selectorIdlEEZZNS1_29radix_sort_onesweep_iterationIS3_Lb0EPdS7_N6thrust23THRUST_200600_302600_NS10device_ptrIlEESB_jNS0_19identity_decomposerENS1_16block_id_wrapperIjLb1EEEEE10hipError_tT1_PNSt15iterator_traitsISG_E10value_typeET2_T3_PNSH_ISM_E10value_typeET4_T5_PSR_SS_PNS1_23onesweep_lookback_stateEbbT6_jjT7_P12ihipStream_tbENKUlT_T0_SG_SL_E_clIS7_S7_SB_PlEEDaSZ_S10_SG_SL_EUlSZ_E_NS1_11comp_targetILNS1_3genE2ELNS1_11target_archE906ELNS1_3gpuE6ELNS1_3repE0EEENS1_47radix_sort_onesweep_sort_config_static_selectorELNS0_4arch9wavefront6targetE1EEEvSG_.kd
    .uniform_work_group_size: 1
    .uses_dynamic_stack: false
    .vgpr_count:     47
    .vgpr_spill_count: 0
    .wavefront_size: 64
  - .args:
      - .offset:         0
        .size:           88
        .value_kind:     by_value
    .group_segment_fixed_size: 0
    .kernarg_segment_align: 8
    .kernarg_segment_size: 88
    .language:       OpenCL C
    .language_version:
      - 2
      - 0
    .max_flat_workgroup_size: 1024
    .name:           _ZN7rocprim17ROCPRIM_400000_NS6detail17trampoline_kernelINS0_14default_configENS1_35radix_sort_onesweep_config_selectorIdlEEZZNS1_29radix_sort_onesweep_iterationIS3_Lb0EPdS7_N6thrust23THRUST_200600_302600_NS10device_ptrIlEESB_jNS0_19identity_decomposerENS1_16block_id_wrapperIjLb1EEEEE10hipError_tT1_PNSt15iterator_traitsISG_E10value_typeET2_T3_PNSH_ISM_E10value_typeET4_T5_PSR_SS_PNS1_23onesweep_lookback_stateEbbT6_jjT7_P12ihipStream_tbENKUlT_T0_SG_SL_E_clIS7_S7_SB_PlEEDaSZ_S10_SG_SL_EUlSZ_E_NS1_11comp_targetILNS1_3genE4ELNS1_11target_archE910ELNS1_3gpuE8ELNS1_3repE0EEENS1_47radix_sort_onesweep_sort_config_static_selectorELNS0_4arch9wavefront6targetE1EEEvSG_
    .private_segment_fixed_size: 0
    .sgpr_count:     4
    .sgpr_spill_count: 0
    .symbol:         _ZN7rocprim17ROCPRIM_400000_NS6detail17trampoline_kernelINS0_14default_configENS1_35radix_sort_onesweep_config_selectorIdlEEZZNS1_29radix_sort_onesweep_iterationIS3_Lb0EPdS7_N6thrust23THRUST_200600_302600_NS10device_ptrIlEESB_jNS0_19identity_decomposerENS1_16block_id_wrapperIjLb1EEEEE10hipError_tT1_PNSt15iterator_traitsISG_E10value_typeET2_T3_PNSH_ISM_E10value_typeET4_T5_PSR_SS_PNS1_23onesweep_lookback_stateEbbT6_jjT7_P12ihipStream_tbENKUlT_T0_SG_SL_E_clIS7_S7_SB_PlEEDaSZ_S10_SG_SL_EUlSZ_E_NS1_11comp_targetILNS1_3genE4ELNS1_11target_archE910ELNS1_3gpuE8ELNS1_3repE0EEENS1_47radix_sort_onesweep_sort_config_static_selectorELNS0_4arch9wavefront6targetE1EEEvSG_.kd
    .uniform_work_group_size: 1
    .uses_dynamic_stack: false
    .vgpr_count:     0
    .vgpr_spill_count: 0
    .wavefront_size: 64
  - .args:
      - .offset:         0
        .size:           88
        .value_kind:     by_value
    .group_segment_fixed_size: 0
    .kernarg_segment_align: 8
    .kernarg_segment_size: 88
    .language:       OpenCL C
    .language_version:
      - 2
      - 0
    .max_flat_workgroup_size: 512
    .name:           _ZN7rocprim17ROCPRIM_400000_NS6detail17trampoline_kernelINS0_14default_configENS1_35radix_sort_onesweep_config_selectorIdlEEZZNS1_29radix_sort_onesweep_iterationIS3_Lb0EPdS7_N6thrust23THRUST_200600_302600_NS10device_ptrIlEESB_jNS0_19identity_decomposerENS1_16block_id_wrapperIjLb1EEEEE10hipError_tT1_PNSt15iterator_traitsISG_E10value_typeET2_T3_PNSH_ISM_E10value_typeET4_T5_PSR_SS_PNS1_23onesweep_lookback_stateEbbT6_jjT7_P12ihipStream_tbENKUlT_T0_SG_SL_E_clIS7_S7_SB_PlEEDaSZ_S10_SG_SL_EUlSZ_E_NS1_11comp_targetILNS1_3genE3ELNS1_11target_archE908ELNS1_3gpuE7ELNS1_3repE0EEENS1_47radix_sort_onesweep_sort_config_static_selectorELNS0_4arch9wavefront6targetE1EEEvSG_
    .private_segment_fixed_size: 0
    .sgpr_count:     4
    .sgpr_spill_count: 0
    .symbol:         _ZN7rocprim17ROCPRIM_400000_NS6detail17trampoline_kernelINS0_14default_configENS1_35radix_sort_onesweep_config_selectorIdlEEZZNS1_29radix_sort_onesweep_iterationIS3_Lb0EPdS7_N6thrust23THRUST_200600_302600_NS10device_ptrIlEESB_jNS0_19identity_decomposerENS1_16block_id_wrapperIjLb1EEEEE10hipError_tT1_PNSt15iterator_traitsISG_E10value_typeET2_T3_PNSH_ISM_E10value_typeET4_T5_PSR_SS_PNS1_23onesweep_lookback_stateEbbT6_jjT7_P12ihipStream_tbENKUlT_T0_SG_SL_E_clIS7_S7_SB_PlEEDaSZ_S10_SG_SL_EUlSZ_E_NS1_11comp_targetILNS1_3genE3ELNS1_11target_archE908ELNS1_3gpuE7ELNS1_3repE0EEENS1_47radix_sort_onesweep_sort_config_static_selectorELNS0_4arch9wavefront6targetE1EEEvSG_.kd
    .uniform_work_group_size: 1
    .uses_dynamic_stack: false
    .vgpr_count:     0
    .vgpr_spill_count: 0
    .wavefront_size: 64
  - .args:
      - .offset:         0
        .size:           88
        .value_kind:     by_value
    .group_segment_fixed_size: 0
    .kernarg_segment_align: 8
    .kernarg_segment_size: 88
    .language:       OpenCL C
    .language_version:
      - 2
      - 0
    .max_flat_workgroup_size: 1024
    .name:           _ZN7rocprim17ROCPRIM_400000_NS6detail17trampoline_kernelINS0_14default_configENS1_35radix_sort_onesweep_config_selectorIdlEEZZNS1_29radix_sort_onesweep_iterationIS3_Lb0EPdS7_N6thrust23THRUST_200600_302600_NS10device_ptrIlEESB_jNS0_19identity_decomposerENS1_16block_id_wrapperIjLb1EEEEE10hipError_tT1_PNSt15iterator_traitsISG_E10value_typeET2_T3_PNSH_ISM_E10value_typeET4_T5_PSR_SS_PNS1_23onesweep_lookback_stateEbbT6_jjT7_P12ihipStream_tbENKUlT_T0_SG_SL_E_clIS7_S7_SB_PlEEDaSZ_S10_SG_SL_EUlSZ_E_NS1_11comp_targetILNS1_3genE10ELNS1_11target_archE1201ELNS1_3gpuE5ELNS1_3repE0EEENS1_47radix_sort_onesweep_sort_config_static_selectorELNS0_4arch9wavefront6targetE1EEEvSG_
    .private_segment_fixed_size: 0
    .sgpr_count:     4
    .sgpr_spill_count: 0
    .symbol:         _ZN7rocprim17ROCPRIM_400000_NS6detail17trampoline_kernelINS0_14default_configENS1_35radix_sort_onesweep_config_selectorIdlEEZZNS1_29radix_sort_onesweep_iterationIS3_Lb0EPdS7_N6thrust23THRUST_200600_302600_NS10device_ptrIlEESB_jNS0_19identity_decomposerENS1_16block_id_wrapperIjLb1EEEEE10hipError_tT1_PNSt15iterator_traitsISG_E10value_typeET2_T3_PNSH_ISM_E10value_typeET4_T5_PSR_SS_PNS1_23onesweep_lookback_stateEbbT6_jjT7_P12ihipStream_tbENKUlT_T0_SG_SL_E_clIS7_S7_SB_PlEEDaSZ_S10_SG_SL_EUlSZ_E_NS1_11comp_targetILNS1_3genE10ELNS1_11target_archE1201ELNS1_3gpuE5ELNS1_3repE0EEENS1_47radix_sort_onesweep_sort_config_static_selectorELNS0_4arch9wavefront6targetE1EEEvSG_.kd
    .uniform_work_group_size: 1
    .uses_dynamic_stack: false
    .vgpr_count:     0
    .vgpr_spill_count: 0
    .wavefront_size: 64
  - .args:
      - .offset:         0
        .size:           88
        .value_kind:     by_value
    .group_segment_fixed_size: 0
    .kernarg_segment_align: 8
    .kernarg_segment_size: 88
    .language:       OpenCL C
    .language_version:
      - 2
      - 0
    .max_flat_workgroup_size: 1024
    .name:           _ZN7rocprim17ROCPRIM_400000_NS6detail17trampoline_kernelINS0_14default_configENS1_35radix_sort_onesweep_config_selectorIdlEEZZNS1_29radix_sort_onesweep_iterationIS3_Lb0EPdS7_N6thrust23THRUST_200600_302600_NS10device_ptrIlEESB_jNS0_19identity_decomposerENS1_16block_id_wrapperIjLb1EEEEE10hipError_tT1_PNSt15iterator_traitsISG_E10value_typeET2_T3_PNSH_ISM_E10value_typeET4_T5_PSR_SS_PNS1_23onesweep_lookback_stateEbbT6_jjT7_P12ihipStream_tbENKUlT_T0_SG_SL_E_clIS7_S7_SB_PlEEDaSZ_S10_SG_SL_EUlSZ_E_NS1_11comp_targetILNS1_3genE9ELNS1_11target_archE1100ELNS1_3gpuE3ELNS1_3repE0EEENS1_47radix_sort_onesweep_sort_config_static_selectorELNS0_4arch9wavefront6targetE1EEEvSG_
    .private_segment_fixed_size: 0
    .sgpr_count:     4
    .sgpr_spill_count: 0
    .symbol:         _ZN7rocprim17ROCPRIM_400000_NS6detail17trampoline_kernelINS0_14default_configENS1_35radix_sort_onesweep_config_selectorIdlEEZZNS1_29radix_sort_onesweep_iterationIS3_Lb0EPdS7_N6thrust23THRUST_200600_302600_NS10device_ptrIlEESB_jNS0_19identity_decomposerENS1_16block_id_wrapperIjLb1EEEEE10hipError_tT1_PNSt15iterator_traitsISG_E10value_typeET2_T3_PNSH_ISM_E10value_typeET4_T5_PSR_SS_PNS1_23onesweep_lookback_stateEbbT6_jjT7_P12ihipStream_tbENKUlT_T0_SG_SL_E_clIS7_S7_SB_PlEEDaSZ_S10_SG_SL_EUlSZ_E_NS1_11comp_targetILNS1_3genE9ELNS1_11target_archE1100ELNS1_3gpuE3ELNS1_3repE0EEENS1_47radix_sort_onesweep_sort_config_static_selectorELNS0_4arch9wavefront6targetE1EEEvSG_.kd
    .uniform_work_group_size: 1
    .uses_dynamic_stack: false
    .vgpr_count:     0
    .vgpr_spill_count: 0
    .wavefront_size: 64
  - .args:
      - .offset:         0
        .size:           88
        .value_kind:     by_value
    .group_segment_fixed_size: 0
    .kernarg_segment_align: 8
    .kernarg_segment_size: 88
    .language:       OpenCL C
    .language_version:
      - 2
      - 0
    .max_flat_workgroup_size: 1024
    .name:           _ZN7rocprim17ROCPRIM_400000_NS6detail17trampoline_kernelINS0_14default_configENS1_35radix_sort_onesweep_config_selectorIdlEEZZNS1_29radix_sort_onesweep_iterationIS3_Lb0EPdS7_N6thrust23THRUST_200600_302600_NS10device_ptrIlEESB_jNS0_19identity_decomposerENS1_16block_id_wrapperIjLb1EEEEE10hipError_tT1_PNSt15iterator_traitsISG_E10value_typeET2_T3_PNSH_ISM_E10value_typeET4_T5_PSR_SS_PNS1_23onesweep_lookback_stateEbbT6_jjT7_P12ihipStream_tbENKUlT_T0_SG_SL_E_clIS7_S7_SB_PlEEDaSZ_S10_SG_SL_EUlSZ_E_NS1_11comp_targetILNS1_3genE8ELNS1_11target_archE1030ELNS1_3gpuE2ELNS1_3repE0EEENS1_47radix_sort_onesweep_sort_config_static_selectorELNS0_4arch9wavefront6targetE1EEEvSG_
    .private_segment_fixed_size: 0
    .sgpr_count:     4
    .sgpr_spill_count: 0
    .symbol:         _ZN7rocprim17ROCPRIM_400000_NS6detail17trampoline_kernelINS0_14default_configENS1_35radix_sort_onesweep_config_selectorIdlEEZZNS1_29radix_sort_onesweep_iterationIS3_Lb0EPdS7_N6thrust23THRUST_200600_302600_NS10device_ptrIlEESB_jNS0_19identity_decomposerENS1_16block_id_wrapperIjLb1EEEEE10hipError_tT1_PNSt15iterator_traitsISG_E10value_typeET2_T3_PNSH_ISM_E10value_typeET4_T5_PSR_SS_PNS1_23onesweep_lookback_stateEbbT6_jjT7_P12ihipStream_tbENKUlT_T0_SG_SL_E_clIS7_S7_SB_PlEEDaSZ_S10_SG_SL_EUlSZ_E_NS1_11comp_targetILNS1_3genE8ELNS1_11target_archE1030ELNS1_3gpuE2ELNS1_3repE0EEENS1_47radix_sort_onesweep_sort_config_static_selectorELNS0_4arch9wavefront6targetE1EEEvSG_.kd
    .uniform_work_group_size: 1
    .uses_dynamic_stack: false
    .vgpr_count:     0
    .vgpr_spill_count: 0
    .wavefront_size: 64
  - .args:
      - .offset:         0
        .size:           88
        .value_kind:     by_value
    .group_segment_fixed_size: 0
    .kernarg_segment_align: 8
    .kernarg_segment_size: 88
    .language:       OpenCL C
    .language_version:
      - 2
      - 0
    .max_flat_workgroup_size: 512
    .name:           _ZN7rocprim17ROCPRIM_400000_NS6detail17trampoline_kernelINS0_14default_configENS1_35radix_sort_onesweep_config_selectorIdlEEZZNS1_29radix_sort_onesweep_iterationIS3_Lb0EPdS7_N6thrust23THRUST_200600_302600_NS10device_ptrIlEESB_jNS0_19identity_decomposerENS1_16block_id_wrapperIjLb1EEEEE10hipError_tT1_PNSt15iterator_traitsISG_E10value_typeET2_T3_PNSH_ISM_E10value_typeET4_T5_PSR_SS_PNS1_23onesweep_lookback_stateEbbT6_jjT7_P12ihipStream_tbENKUlT_T0_SG_SL_E_clIS7_S7_PlSB_EEDaSZ_S10_SG_SL_EUlSZ_E_NS1_11comp_targetILNS1_3genE0ELNS1_11target_archE4294967295ELNS1_3gpuE0ELNS1_3repE0EEENS1_47radix_sort_onesweep_sort_config_static_selectorELNS0_4arch9wavefront6targetE1EEEvSG_
    .private_segment_fixed_size: 0
    .sgpr_count:     4
    .sgpr_spill_count: 0
    .symbol:         _ZN7rocprim17ROCPRIM_400000_NS6detail17trampoline_kernelINS0_14default_configENS1_35radix_sort_onesweep_config_selectorIdlEEZZNS1_29radix_sort_onesweep_iterationIS3_Lb0EPdS7_N6thrust23THRUST_200600_302600_NS10device_ptrIlEESB_jNS0_19identity_decomposerENS1_16block_id_wrapperIjLb1EEEEE10hipError_tT1_PNSt15iterator_traitsISG_E10value_typeET2_T3_PNSH_ISM_E10value_typeET4_T5_PSR_SS_PNS1_23onesweep_lookback_stateEbbT6_jjT7_P12ihipStream_tbENKUlT_T0_SG_SL_E_clIS7_S7_PlSB_EEDaSZ_S10_SG_SL_EUlSZ_E_NS1_11comp_targetILNS1_3genE0ELNS1_11target_archE4294967295ELNS1_3gpuE0ELNS1_3repE0EEENS1_47radix_sort_onesweep_sort_config_static_selectorELNS0_4arch9wavefront6targetE1EEEvSG_.kd
    .uniform_work_group_size: 1
    .uses_dynamic_stack: false
    .vgpr_count:     0
    .vgpr_spill_count: 0
    .wavefront_size: 64
  - .args:
      - .offset:         0
        .size:           88
        .value_kind:     by_value
    .group_segment_fixed_size: 0
    .kernarg_segment_align: 8
    .kernarg_segment_size: 88
    .language:       OpenCL C
    .language_version:
      - 2
      - 0
    .max_flat_workgroup_size: 1024
    .name:           _ZN7rocprim17ROCPRIM_400000_NS6detail17trampoline_kernelINS0_14default_configENS1_35radix_sort_onesweep_config_selectorIdlEEZZNS1_29radix_sort_onesweep_iterationIS3_Lb0EPdS7_N6thrust23THRUST_200600_302600_NS10device_ptrIlEESB_jNS0_19identity_decomposerENS1_16block_id_wrapperIjLb1EEEEE10hipError_tT1_PNSt15iterator_traitsISG_E10value_typeET2_T3_PNSH_ISM_E10value_typeET4_T5_PSR_SS_PNS1_23onesweep_lookback_stateEbbT6_jjT7_P12ihipStream_tbENKUlT_T0_SG_SL_E_clIS7_S7_PlSB_EEDaSZ_S10_SG_SL_EUlSZ_E_NS1_11comp_targetILNS1_3genE6ELNS1_11target_archE950ELNS1_3gpuE13ELNS1_3repE0EEENS1_47radix_sort_onesweep_sort_config_static_selectorELNS0_4arch9wavefront6targetE1EEEvSG_
    .private_segment_fixed_size: 0
    .sgpr_count:     4
    .sgpr_spill_count: 0
    .symbol:         _ZN7rocprim17ROCPRIM_400000_NS6detail17trampoline_kernelINS0_14default_configENS1_35radix_sort_onesweep_config_selectorIdlEEZZNS1_29radix_sort_onesweep_iterationIS3_Lb0EPdS7_N6thrust23THRUST_200600_302600_NS10device_ptrIlEESB_jNS0_19identity_decomposerENS1_16block_id_wrapperIjLb1EEEEE10hipError_tT1_PNSt15iterator_traitsISG_E10value_typeET2_T3_PNSH_ISM_E10value_typeET4_T5_PSR_SS_PNS1_23onesweep_lookback_stateEbbT6_jjT7_P12ihipStream_tbENKUlT_T0_SG_SL_E_clIS7_S7_PlSB_EEDaSZ_S10_SG_SL_EUlSZ_E_NS1_11comp_targetILNS1_3genE6ELNS1_11target_archE950ELNS1_3gpuE13ELNS1_3repE0EEENS1_47radix_sort_onesweep_sort_config_static_selectorELNS0_4arch9wavefront6targetE1EEEvSG_.kd
    .uniform_work_group_size: 1
    .uses_dynamic_stack: false
    .vgpr_count:     0
    .vgpr_spill_count: 0
    .wavefront_size: 64
  - .args:
      - .offset:         0
        .size:           88
        .value_kind:     by_value
    .group_segment_fixed_size: 0
    .kernarg_segment_align: 8
    .kernarg_segment_size: 88
    .language:       OpenCL C
    .language_version:
      - 2
      - 0
    .max_flat_workgroup_size: 1024
    .name:           _ZN7rocprim17ROCPRIM_400000_NS6detail17trampoline_kernelINS0_14default_configENS1_35radix_sort_onesweep_config_selectorIdlEEZZNS1_29radix_sort_onesweep_iterationIS3_Lb0EPdS7_N6thrust23THRUST_200600_302600_NS10device_ptrIlEESB_jNS0_19identity_decomposerENS1_16block_id_wrapperIjLb1EEEEE10hipError_tT1_PNSt15iterator_traitsISG_E10value_typeET2_T3_PNSH_ISM_E10value_typeET4_T5_PSR_SS_PNS1_23onesweep_lookback_stateEbbT6_jjT7_P12ihipStream_tbENKUlT_T0_SG_SL_E_clIS7_S7_PlSB_EEDaSZ_S10_SG_SL_EUlSZ_E_NS1_11comp_targetILNS1_3genE5ELNS1_11target_archE942ELNS1_3gpuE9ELNS1_3repE0EEENS1_47radix_sort_onesweep_sort_config_static_selectorELNS0_4arch9wavefront6targetE1EEEvSG_
    .private_segment_fixed_size: 0
    .sgpr_count:     4
    .sgpr_spill_count: 0
    .symbol:         _ZN7rocprim17ROCPRIM_400000_NS6detail17trampoline_kernelINS0_14default_configENS1_35radix_sort_onesweep_config_selectorIdlEEZZNS1_29radix_sort_onesweep_iterationIS3_Lb0EPdS7_N6thrust23THRUST_200600_302600_NS10device_ptrIlEESB_jNS0_19identity_decomposerENS1_16block_id_wrapperIjLb1EEEEE10hipError_tT1_PNSt15iterator_traitsISG_E10value_typeET2_T3_PNSH_ISM_E10value_typeET4_T5_PSR_SS_PNS1_23onesweep_lookback_stateEbbT6_jjT7_P12ihipStream_tbENKUlT_T0_SG_SL_E_clIS7_S7_PlSB_EEDaSZ_S10_SG_SL_EUlSZ_E_NS1_11comp_targetILNS1_3genE5ELNS1_11target_archE942ELNS1_3gpuE9ELNS1_3repE0EEENS1_47radix_sort_onesweep_sort_config_static_selectorELNS0_4arch9wavefront6targetE1EEEvSG_.kd
    .uniform_work_group_size: 1
    .uses_dynamic_stack: false
    .vgpr_count:     0
    .vgpr_spill_count: 0
    .wavefront_size: 64
  - .args:
      - .offset:         0
        .size:           88
        .value_kind:     by_value
      - .offset:         88
        .size:           4
        .value_kind:     hidden_block_count_x
      - .offset:         92
        .size:           4
        .value_kind:     hidden_block_count_y
      - .offset:         96
        .size:           4
        .value_kind:     hidden_block_count_z
      - .offset:         100
        .size:           2
        .value_kind:     hidden_group_size_x
      - .offset:         102
        .size:           2
        .value_kind:     hidden_group_size_y
      - .offset:         104
        .size:           2
        .value_kind:     hidden_group_size_z
      - .offset:         106
        .size:           2
        .value_kind:     hidden_remainder_x
      - .offset:         108
        .size:           2
        .value_kind:     hidden_remainder_y
      - .offset:         110
        .size:           2
        .value_kind:     hidden_remainder_z
      - .offset:         128
        .size:           8
        .value_kind:     hidden_global_offset_x
      - .offset:         136
        .size:           8
        .value_kind:     hidden_global_offset_y
      - .offset:         144
        .size:           8
        .value_kind:     hidden_global_offset_z
      - .offset:         152
        .size:           2
        .value_kind:     hidden_grid_dims
    .group_segment_fixed_size: 10280
    .kernarg_segment_align: 8
    .kernarg_segment_size: 344
    .language:       OpenCL C
    .language_version:
      - 2
      - 0
    .max_flat_workgroup_size: 512
    .name:           _ZN7rocprim17ROCPRIM_400000_NS6detail17trampoline_kernelINS0_14default_configENS1_35radix_sort_onesweep_config_selectorIdlEEZZNS1_29radix_sort_onesweep_iterationIS3_Lb0EPdS7_N6thrust23THRUST_200600_302600_NS10device_ptrIlEESB_jNS0_19identity_decomposerENS1_16block_id_wrapperIjLb1EEEEE10hipError_tT1_PNSt15iterator_traitsISG_E10value_typeET2_T3_PNSH_ISM_E10value_typeET4_T5_PSR_SS_PNS1_23onesweep_lookback_stateEbbT6_jjT7_P12ihipStream_tbENKUlT_T0_SG_SL_E_clIS7_S7_PlSB_EEDaSZ_S10_SG_SL_EUlSZ_E_NS1_11comp_targetILNS1_3genE2ELNS1_11target_archE906ELNS1_3gpuE6ELNS1_3repE0EEENS1_47radix_sort_onesweep_sort_config_static_selectorELNS0_4arch9wavefront6targetE1EEEvSG_
    .private_segment_fixed_size: 32
    .sgpr_count:     61
    .sgpr_spill_count: 0
    .symbol:         _ZN7rocprim17ROCPRIM_400000_NS6detail17trampoline_kernelINS0_14default_configENS1_35radix_sort_onesweep_config_selectorIdlEEZZNS1_29radix_sort_onesweep_iterationIS3_Lb0EPdS7_N6thrust23THRUST_200600_302600_NS10device_ptrIlEESB_jNS0_19identity_decomposerENS1_16block_id_wrapperIjLb1EEEEE10hipError_tT1_PNSt15iterator_traitsISG_E10value_typeET2_T3_PNSH_ISM_E10value_typeET4_T5_PSR_SS_PNS1_23onesweep_lookback_stateEbbT6_jjT7_P12ihipStream_tbENKUlT_T0_SG_SL_E_clIS7_S7_PlSB_EEDaSZ_S10_SG_SL_EUlSZ_E_NS1_11comp_targetILNS1_3genE2ELNS1_11target_archE906ELNS1_3gpuE6ELNS1_3repE0EEENS1_47radix_sort_onesweep_sort_config_static_selectorELNS0_4arch9wavefront6targetE1EEEvSG_.kd
    .uniform_work_group_size: 1
    .uses_dynamic_stack: false
    .vgpr_count:     47
    .vgpr_spill_count: 0
    .wavefront_size: 64
  - .args:
      - .offset:         0
        .size:           88
        .value_kind:     by_value
    .group_segment_fixed_size: 0
    .kernarg_segment_align: 8
    .kernarg_segment_size: 88
    .language:       OpenCL C
    .language_version:
      - 2
      - 0
    .max_flat_workgroup_size: 1024
    .name:           _ZN7rocprim17ROCPRIM_400000_NS6detail17trampoline_kernelINS0_14default_configENS1_35radix_sort_onesweep_config_selectorIdlEEZZNS1_29radix_sort_onesweep_iterationIS3_Lb0EPdS7_N6thrust23THRUST_200600_302600_NS10device_ptrIlEESB_jNS0_19identity_decomposerENS1_16block_id_wrapperIjLb1EEEEE10hipError_tT1_PNSt15iterator_traitsISG_E10value_typeET2_T3_PNSH_ISM_E10value_typeET4_T5_PSR_SS_PNS1_23onesweep_lookback_stateEbbT6_jjT7_P12ihipStream_tbENKUlT_T0_SG_SL_E_clIS7_S7_PlSB_EEDaSZ_S10_SG_SL_EUlSZ_E_NS1_11comp_targetILNS1_3genE4ELNS1_11target_archE910ELNS1_3gpuE8ELNS1_3repE0EEENS1_47radix_sort_onesweep_sort_config_static_selectorELNS0_4arch9wavefront6targetE1EEEvSG_
    .private_segment_fixed_size: 0
    .sgpr_count:     4
    .sgpr_spill_count: 0
    .symbol:         _ZN7rocprim17ROCPRIM_400000_NS6detail17trampoline_kernelINS0_14default_configENS1_35radix_sort_onesweep_config_selectorIdlEEZZNS1_29radix_sort_onesweep_iterationIS3_Lb0EPdS7_N6thrust23THRUST_200600_302600_NS10device_ptrIlEESB_jNS0_19identity_decomposerENS1_16block_id_wrapperIjLb1EEEEE10hipError_tT1_PNSt15iterator_traitsISG_E10value_typeET2_T3_PNSH_ISM_E10value_typeET4_T5_PSR_SS_PNS1_23onesweep_lookback_stateEbbT6_jjT7_P12ihipStream_tbENKUlT_T0_SG_SL_E_clIS7_S7_PlSB_EEDaSZ_S10_SG_SL_EUlSZ_E_NS1_11comp_targetILNS1_3genE4ELNS1_11target_archE910ELNS1_3gpuE8ELNS1_3repE0EEENS1_47radix_sort_onesweep_sort_config_static_selectorELNS0_4arch9wavefront6targetE1EEEvSG_.kd
    .uniform_work_group_size: 1
    .uses_dynamic_stack: false
    .vgpr_count:     0
    .vgpr_spill_count: 0
    .wavefront_size: 64
  - .args:
      - .offset:         0
        .size:           88
        .value_kind:     by_value
    .group_segment_fixed_size: 0
    .kernarg_segment_align: 8
    .kernarg_segment_size: 88
    .language:       OpenCL C
    .language_version:
      - 2
      - 0
    .max_flat_workgroup_size: 512
    .name:           _ZN7rocprim17ROCPRIM_400000_NS6detail17trampoline_kernelINS0_14default_configENS1_35radix_sort_onesweep_config_selectorIdlEEZZNS1_29radix_sort_onesweep_iterationIS3_Lb0EPdS7_N6thrust23THRUST_200600_302600_NS10device_ptrIlEESB_jNS0_19identity_decomposerENS1_16block_id_wrapperIjLb1EEEEE10hipError_tT1_PNSt15iterator_traitsISG_E10value_typeET2_T3_PNSH_ISM_E10value_typeET4_T5_PSR_SS_PNS1_23onesweep_lookback_stateEbbT6_jjT7_P12ihipStream_tbENKUlT_T0_SG_SL_E_clIS7_S7_PlSB_EEDaSZ_S10_SG_SL_EUlSZ_E_NS1_11comp_targetILNS1_3genE3ELNS1_11target_archE908ELNS1_3gpuE7ELNS1_3repE0EEENS1_47radix_sort_onesweep_sort_config_static_selectorELNS0_4arch9wavefront6targetE1EEEvSG_
    .private_segment_fixed_size: 0
    .sgpr_count:     4
    .sgpr_spill_count: 0
    .symbol:         _ZN7rocprim17ROCPRIM_400000_NS6detail17trampoline_kernelINS0_14default_configENS1_35radix_sort_onesweep_config_selectorIdlEEZZNS1_29radix_sort_onesweep_iterationIS3_Lb0EPdS7_N6thrust23THRUST_200600_302600_NS10device_ptrIlEESB_jNS0_19identity_decomposerENS1_16block_id_wrapperIjLb1EEEEE10hipError_tT1_PNSt15iterator_traitsISG_E10value_typeET2_T3_PNSH_ISM_E10value_typeET4_T5_PSR_SS_PNS1_23onesweep_lookback_stateEbbT6_jjT7_P12ihipStream_tbENKUlT_T0_SG_SL_E_clIS7_S7_PlSB_EEDaSZ_S10_SG_SL_EUlSZ_E_NS1_11comp_targetILNS1_3genE3ELNS1_11target_archE908ELNS1_3gpuE7ELNS1_3repE0EEENS1_47radix_sort_onesweep_sort_config_static_selectorELNS0_4arch9wavefront6targetE1EEEvSG_.kd
    .uniform_work_group_size: 1
    .uses_dynamic_stack: false
    .vgpr_count:     0
    .vgpr_spill_count: 0
    .wavefront_size: 64
  - .args:
      - .offset:         0
        .size:           88
        .value_kind:     by_value
    .group_segment_fixed_size: 0
    .kernarg_segment_align: 8
    .kernarg_segment_size: 88
    .language:       OpenCL C
    .language_version:
      - 2
      - 0
    .max_flat_workgroup_size: 1024
    .name:           _ZN7rocprim17ROCPRIM_400000_NS6detail17trampoline_kernelINS0_14default_configENS1_35radix_sort_onesweep_config_selectorIdlEEZZNS1_29radix_sort_onesweep_iterationIS3_Lb0EPdS7_N6thrust23THRUST_200600_302600_NS10device_ptrIlEESB_jNS0_19identity_decomposerENS1_16block_id_wrapperIjLb1EEEEE10hipError_tT1_PNSt15iterator_traitsISG_E10value_typeET2_T3_PNSH_ISM_E10value_typeET4_T5_PSR_SS_PNS1_23onesweep_lookback_stateEbbT6_jjT7_P12ihipStream_tbENKUlT_T0_SG_SL_E_clIS7_S7_PlSB_EEDaSZ_S10_SG_SL_EUlSZ_E_NS1_11comp_targetILNS1_3genE10ELNS1_11target_archE1201ELNS1_3gpuE5ELNS1_3repE0EEENS1_47radix_sort_onesweep_sort_config_static_selectorELNS0_4arch9wavefront6targetE1EEEvSG_
    .private_segment_fixed_size: 0
    .sgpr_count:     4
    .sgpr_spill_count: 0
    .symbol:         _ZN7rocprim17ROCPRIM_400000_NS6detail17trampoline_kernelINS0_14default_configENS1_35radix_sort_onesweep_config_selectorIdlEEZZNS1_29radix_sort_onesweep_iterationIS3_Lb0EPdS7_N6thrust23THRUST_200600_302600_NS10device_ptrIlEESB_jNS0_19identity_decomposerENS1_16block_id_wrapperIjLb1EEEEE10hipError_tT1_PNSt15iterator_traitsISG_E10value_typeET2_T3_PNSH_ISM_E10value_typeET4_T5_PSR_SS_PNS1_23onesweep_lookback_stateEbbT6_jjT7_P12ihipStream_tbENKUlT_T0_SG_SL_E_clIS7_S7_PlSB_EEDaSZ_S10_SG_SL_EUlSZ_E_NS1_11comp_targetILNS1_3genE10ELNS1_11target_archE1201ELNS1_3gpuE5ELNS1_3repE0EEENS1_47radix_sort_onesweep_sort_config_static_selectorELNS0_4arch9wavefront6targetE1EEEvSG_.kd
    .uniform_work_group_size: 1
    .uses_dynamic_stack: false
    .vgpr_count:     0
    .vgpr_spill_count: 0
    .wavefront_size: 64
  - .args:
      - .offset:         0
        .size:           88
        .value_kind:     by_value
    .group_segment_fixed_size: 0
    .kernarg_segment_align: 8
    .kernarg_segment_size: 88
    .language:       OpenCL C
    .language_version:
      - 2
      - 0
    .max_flat_workgroup_size: 1024
    .name:           _ZN7rocprim17ROCPRIM_400000_NS6detail17trampoline_kernelINS0_14default_configENS1_35radix_sort_onesweep_config_selectorIdlEEZZNS1_29radix_sort_onesweep_iterationIS3_Lb0EPdS7_N6thrust23THRUST_200600_302600_NS10device_ptrIlEESB_jNS0_19identity_decomposerENS1_16block_id_wrapperIjLb1EEEEE10hipError_tT1_PNSt15iterator_traitsISG_E10value_typeET2_T3_PNSH_ISM_E10value_typeET4_T5_PSR_SS_PNS1_23onesweep_lookback_stateEbbT6_jjT7_P12ihipStream_tbENKUlT_T0_SG_SL_E_clIS7_S7_PlSB_EEDaSZ_S10_SG_SL_EUlSZ_E_NS1_11comp_targetILNS1_3genE9ELNS1_11target_archE1100ELNS1_3gpuE3ELNS1_3repE0EEENS1_47radix_sort_onesweep_sort_config_static_selectorELNS0_4arch9wavefront6targetE1EEEvSG_
    .private_segment_fixed_size: 0
    .sgpr_count:     4
    .sgpr_spill_count: 0
    .symbol:         _ZN7rocprim17ROCPRIM_400000_NS6detail17trampoline_kernelINS0_14default_configENS1_35radix_sort_onesweep_config_selectorIdlEEZZNS1_29radix_sort_onesweep_iterationIS3_Lb0EPdS7_N6thrust23THRUST_200600_302600_NS10device_ptrIlEESB_jNS0_19identity_decomposerENS1_16block_id_wrapperIjLb1EEEEE10hipError_tT1_PNSt15iterator_traitsISG_E10value_typeET2_T3_PNSH_ISM_E10value_typeET4_T5_PSR_SS_PNS1_23onesweep_lookback_stateEbbT6_jjT7_P12ihipStream_tbENKUlT_T0_SG_SL_E_clIS7_S7_PlSB_EEDaSZ_S10_SG_SL_EUlSZ_E_NS1_11comp_targetILNS1_3genE9ELNS1_11target_archE1100ELNS1_3gpuE3ELNS1_3repE0EEENS1_47radix_sort_onesweep_sort_config_static_selectorELNS0_4arch9wavefront6targetE1EEEvSG_.kd
    .uniform_work_group_size: 1
    .uses_dynamic_stack: false
    .vgpr_count:     0
    .vgpr_spill_count: 0
    .wavefront_size: 64
  - .args:
      - .offset:         0
        .size:           88
        .value_kind:     by_value
    .group_segment_fixed_size: 0
    .kernarg_segment_align: 8
    .kernarg_segment_size: 88
    .language:       OpenCL C
    .language_version:
      - 2
      - 0
    .max_flat_workgroup_size: 1024
    .name:           _ZN7rocprim17ROCPRIM_400000_NS6detail17trampoline_kernelINS0_14default_configENS1_35radix_sort_onesweep_config_selectorIdlEEZZNS1_29radix_sort_onesweep_iterationIS3_Lb0EPdS7_N6thrust23THRUST_200600_302600_NS10device_ptrIlEESB_jNS0_19identity_decomposerENS1_16block_id_wrapperIjLb1EEEEE10hipError_tT1_PNSt15iterator_traitsISG_E10value_typeET2_T3_PNSH_ISM_E10value_typeET4_T5_PSR_SS_PNS1_23onesweep_lookback_stateEbbT6_jjT7_P12ihipStream_tbENKUlT_T0_SG_SL_E_clIS7_S7_PlSB_EEDaSZ_S10_SG_SL_EUlSZ_E_NS1_11comp_targetILNS1_3genE8ELNS1_11target_archE1030ELNS1_3gpuE2ELNS1_3repE0EEENS1_47radix_sort_onesweep_sort_config_static_selectorELNS0_4arch9wavefront6targetE1EEEvSG_
    .private_segment_fixed_size: 0
    .sgpr_count:     4
    .sgpr_spill_count: 0
    .symbol:         _ZN7rocprim17ROCPRIM_400000_NS6detail17trampoline_kernelINS0_14default_configENS1_35radix_sort_onesweep_config_selectorIdlEEZZNS1_29radix_sort_onesweep_iterationIS3_Lb0EPdS7_N6thrust23THRUST_200600_302600_NS10device_ptrIlEESB_jNS0_19identity_decomposerENS1_16block_id_wrapperIjLb1EEEEE10hipError_tT1_PNSt15iterator_traitsISG_E10value_typeET2_T3_PNSH_ISM_E10value_typeET4_T5_PSR_SS_PNS1_23onesweep_lookback_stateEbbT6_jjT7_P12ihipStream_tbENKUlT_T0_SG_SL_E_clIS7_S7_PlSB_EEDaSZ_S10_SG_SL_EUlSZ_E_NS1_11comp_targetILNS1_3genE8ELNS1_11target_archE1030ELNS1_3gpuE2ELNS1_3repE0EEENS1_47radix_sort_onesweep_sort_config_static_selectorELNS0_4arch9wavefront6targetE1EEEvSG_.kd
    .uniform_work_group_size: 1
    .uses_dynamic_stack: false
    .vgpr_count:     0
    .vgpr_spill_count: 0
    .wavefront_size: 64
  - .args:
      - .offset:         0
        .size:           88
        .value_kind:     by_value
    .group_segment_fixed_size: 0
    .kernarg_segment_align: 8
    .kernarg_segment_size: 88
    .language:       OpenCL C
    .language_version:
      - 2
      - 0
    .max_flat_workgroup_size: 512
    .name:           _ZN7rocprim17ROCPRIM_400000_NS6detail17trampoline_kernelINS0_14default_configENS1_35radix_sort_onesweep_config_selectorIdlEEZZNS1_29radix_sort_onesweep_iterationIS3_Lb0EPdS7_N6thrust23THRUST_200600_302600_NS10device_ptrIlEESB_jNS0_19identity_decomposerENS1_16block_id_wrapperIjLb0EEEEE10hipError_tT1_PNSt15iterator_traitsISG_E10value_typeET2_T3_PNSH_ISM_E10value_typeET4_T5_PSR_SS_PNS1_23onesweep_lookback_stateEbbT6_jjT7_P12ihipStream_tbENKUlT_T0_SG_SL_E_clIS7_S7_SB_SB_EEDaSZ_S10_SG_SL_EUlSZ_E_NS1_11comp_targetILNS1_3genE0ELNS1_11target_archE4294967295ELNS1_3gpuE0ELNS1_3repE0EEENS1_47radix_sort_onesweep_sort_config_static_selectorELNS0_4arch9wavefront6targetE1EEEvSG_
    .private_segment_fixed_size: 0
    .sgpr_count:     4
    .sgpr_spill_count: 0
    .symbol:         _ZN7rocprim17ROCPRIM_400000_NS6detail17trampoline_kernelINS0_14default_configENS1_35radix_sort_onesweep_config_selectorIdlEEZZNS1_29radix_sort_onesweep_iterationIS3_Lb0EPdS7_N6thrust23THRUST_200600_302600_NS10device_ptrIlEESB_jNS0_19identity_decomposerENS1_16block_id_wrapperIjLb0EEEEE10hipError_tT1_PNSt15iterator_traitsISG_E10value_typeET2_T3_PNSH_ISM_E10value_typeET4_T5_PSR_SS_PNS1_23onesweep_lookback_stateEbbT6_jjT7_P12ihipStream_tbENKUlT_T0_SG_SL_E_clIS7_S7_SB_SB_EEDaSZ_S10_SG_SL_EUlSZ_E_NS1_11comp_targetILNS1_3genE0ELNS1_11target_archE4294967295ELNS1_3gpuE0ELNS1_3repE0EEENS1_47radix_sort_onesweep_sort_config_static_selectorELNS0_4arch9wavefront6targetE1EEEvSG_.kd
    .uniform_work_group_size: 1
    .uses_dynamic_stack: false
    .vgpr_count:     0
    .vgpr_spill_count: 0
    .wavefront_size: 64
  - .args:
      - .offset:         0
        .size:           88
        .value_kind:     by_value
    .group_segment_fixed_size: 0
    .kernarg_segment_align: 8
    .kernarg_segment_size: 88
    .language:       OpenCL C
    .language_version:
      - 2
      - 0
    .max_flat_workgroup_size: 1024
    .name:           _ZN7rocprim17ROCPRIM_400000_NS6detail17trampoline_kernelINS0_14default_configENS1_35radix_sort_onesweep_config_selectorIdlEEZZNS1_29radix_sort_onesweep_iterationIS3_Lb0EPdS7_N6thrust23THRUST_200600_302600_NS10device_ptrIlEESB_jNS0_19identity_decomposerENS1_16block_id_wrapperIjLb0EEEEE10hipError_tT1_PNSt15iterator_traitsISG_E10value_typeET2_T3_PNSH_ISM_E10value_typeET4_T5_PSR_SS_PNS1_23onesweep_lookback_stateEbbT6_jjT7_P12ihipStream_tbENKUlT_T0_SG_SL_E_clIS7_S7_SB_SB_EEDaSZ_S10_SG_SL_EUlSZ_E_NS1_11comp_targetILNS1_3genE6ELNS1_11target_archE950ELNS1_3gpuE13ELNS1_3repE0EEENS1_47radix_sort_onesweep_sort_config_static_selectorELNS0_4arch9wavefront6targetE1EEEvSG_
    .private_segment_fixed_size: 0
    .sgpr_count:     4
    .sgpr_spill_count: 0
    .symbol:         _ZN7rocprim17ROCPRIM_400000_NS6detail17trampoline_kernelINS0_14default_configENS1_35radix_sort_onesweep_config_selectorIdlEEZZNS1_29radix_sort_onesweep_iterationIS3_Lb0EPdS7_N6thrust23THRUST_200600_302600_NS10device_ptrIlEESB_jNS0_19identity_decomposerENS1_16block_id_wrapperIjLb0EEEEE10hipError_tT1_PNSt15iterator_traitsISG_E10value_typeET2_T3_PNSH_ISM_E10value_typeET4_T5_PSR_SS_PNS1_23onesweep_lookback_stateEbbT6_jjT7_P12ihipStream_tbENKUlT_T0_SG_SL_E_clIS7_S7_SB_SB_EEDaSZ_S10_SG_SL_EUlSZ_E_NS1_11comp_targetILNS1_3genE6ELNS1_11target_archE950ELNS1_3gpuE13ELNS1_3repE0EEENS1_47radix_sort_onesweep_sort_config_static_selectorELNS0_4arch9wavefront6targetE1EEEvSG_.kd
    .uniform_work_group_size: 1
    .uses_dynamic_stack: false
    .vgpr_count:     0
    .vgpr_spill_count: 0
    .wavefront_size: 64
  - .args:
      - .offset:         0
        .size:           88
        .value_kind:     by_value
    .group_segment_fixed_size: 0
    .kernarg_segment_align: 8
    .kernarg_segment_size: 88
    .language:       OpenCL C
    .language_version:
      - 2
      - 0
    .max_flat_workgroup_size: 1024
    .name:           _ZN7rocprim17ROCPRIM_400000_NS6detail17trampoline_kernelINS0_14default_configENS1_35radix_sort_onesweep_config_selectorIdlEEZZNS1_29radix_sort_onesweep_iterationIS3_Lb0EPdS7_N6thrust23THRUST_200600_302600_NS10device_ptrIlEESB_jNS0_19identity_decomposerENS1_16block_id_wrapperIjLb0EEEEE10hipError_tT1_PNSt15iterator_traitsISG_E10value_typeET2_T3_PNSH_ISM_E10value_typeET4_T5_PSR_SS_PNS1_23onesweep_lookback_stateEbbT6_jjT7_P12ihipStream_tbENKUlT_T0_SG_SL_E_clIS7_S7_SB_SB_EEDaSZ_S10_SG_SL_EUlSZ_E_NS1_11comp_targetILNS1_3genE5ELNS1_11target_archE942ELNS1_3gpuE9ELNS1_3repE0EEENS1_47radix_sort_onesweep_sort_config_static_selectorELNS0_4arch9wavefront6targetE1EEEvSG_
    .private_segment_fixed_size: 0
    .sgpr_count:     4
    .sgpr_spill_count: 0
    .symbol:         _ZN7rocprim17ROCPRIM_400000_NS6detail17trampoline_kernelINS0_14default_configENS1_35radix_sort_onesweep_config_selectorIdlEEZZNS1_29radix_sort_onesweep_iterationIS3_Lb0EPdS7_N6thrust23THRUST_200600_302600_NS10device_ptrIlEESB_jNS0_19identity_decomposerENS1_16block_id_wrapperIjLb0EEEEE10hipError_tT1_PNSt15iterator_traitsISG_E10value_typeET2_T3_PNSH_ISM_E10value_typeET4_T5_PSR_SS_PNS1_23onesweep_lookback_stateEbbT6_jjT7_P12ihipStream_tbENKUlT_T0_SG_SL_E_clIS7_S7_SB_SB_EEDaSZ_S10_SG_SL_EUlSZ_E_NS1_11comp_targetILNS1_3genE5ELNS1_11target_archE942ELNS1_3gpuE9ELNS1_3repE0EEENS1_47radix_sort_onesweep_sort_config_static_selectorELNS0_4arch9wavefront6targetE1EEEvSG_.kd
    .uniform_work_group_size: 1
    .uses_dynamic_stack: false
    .vgpr_count:     0
    .vgpr_spill_count: 0
    .wavefront_size: 64
  - .args:
      - .offset:         0
        .size:           88
        .value_kind:     by_value
      - .offset:         88
        .size:           4
        .value_kind:     hidden_block_count_x
      - .offset:         92
        .size:           4
        .value_kind:     hidden_block_count_y
      - .offset:         96
        .size:           4
        .value_kind:     hidden_block_count_z
      - .offset:         100
        .size:           2
        .value_kind:     hidden_group_size_x
      - .offset:         102
        .size:           2
        .value_kind:     hidden_group_size_y
      - .offset:         104
        .size:           2
        .value_kind:     hidden_group_size_z
      - .offset:         106
        .size:           2
        .value_kind:     hidden_remainder_x
      - .offset:         108
        .size:           2
        .value_kind:     hidden_remainder_y
      - .offset:         110
        .size:           2
        .value_kind:     hidden_remainder_z
      - .offset:         128
        .size:           8
        .value_kind:     hidden_global_offset_x
      - .offset:         136
        .size:           8
        .value_kind:     hidden_global_offset_y
      - .offset:         144
        .size:           8
        .value_kind:     hidden_global_offset_z
      - .offset:         152
        .size:           2
        .value_kind:     hidden_grid_dims
    .group_segment_fixed_size: 10280
    .kernarg_segment_align: 8
    .kernarg_segment_size: 344
    .language:       OpenCL C
    .language_version:
      - 2
      - 0
    .max_flat_workgroup_size: 512
    .name:           _ZN7rocprim17ROCPRIM_400000_NS6detail17trampoline_kernelINS0_14default_configENS1_35radix_sort_onesweep_config_selectorIdlEEZZNS1_29radix_sort_onesweep_iterationIS3_Lb0EPdS7_N6thrust23THRUST_200600_302600_NS10device_ptrIlEESB_jNS0_19identity_decomposerENS1_16block_id_wrapperIjLb0EEEEE10hipError_tT1_PNSt15iterator_traitsISG_E10value_typeET2_T3_PNSH_ISM_E10value_typeET4_T5_PSR_SS_PNS1_23onesweep_lookback_stateEbbT6_jjT7_P12ihipStream_tbENKUlT_T0_SG_SL_E_clIS7_S7_SB_SB_EEDaSZ_S10_SG_SL_EUlSZ_E_NS1_11comp_targetILNS1_3genE2ELNS1_11target_archE906ELNS1_3gpuE6ELNS1_3repE0EEENS1_47radix_sort_onesweep_sort_config_static_selectorELNS0_4arch9wavefront6targetE1EEEvSG_
    .private_segment_fixed_size: 32
    .sgpr_count:     58
    .sgpr_spill_count: 0
    .symbol:         _ZN7rocprim17ROCPRIM_400000_NS6detail17trampoline_kernelINS0_14default_configENS1_35radix_sort_onesweep_config_selectorIdlEEZZNS1_29radix_sort_onesweep_iterationIS3_Lb0EPdS7_N6thrust23THRUST_200600_302600_NS10device_ptrIlEESB_jNS0_19identity_decomposerENS1_16block_id_wrapperIjLb0EEEEE10hipError_tT1_PNSt15iterator_traitsISG_E10value_typeET2_T3_PNSH_ISM_E10value_typeET4_T5_PSR_SS_PNS1_23onesweep_lookback_stateEbbT6_jjT7_P12ihipStream_tbENKUlT_T0_SG_SL_E_clIS7_S7_SB_SB_EEDaSZ_S10_SG_SL_EUlSZ_E_NS1_11comp_targetILNS1_3genE2ELNS1_11target_archE906ELNS1_3gpuE6ELNS1_3repE0EEENS1_47radix_sort_onesweep_sort_config_static_selectorELNS0_4arch9wavefront6targetE1EEEvSG_.kd
    .uniform_work_group_size: 1
    .uses_dynamic_stack: false
    .vgpr_count:     47
    .vgpr_spill_count: 0
    .wavefront_size: 64
  - .args:
      - .offset:         0
        .size:           88
        .value_kind:     by_value
    .group_segment_fixed_size: 0
    .kernarg_segment_align: 8
    .kernarg_segment_size: 88
    .language:       OpenCL C
    .language_version:
      - 2
      - 0
    .max_flat_workgroup_size: 1024
    .name:           _ZN7rocprim17ROCPRIM_400000_NS6detail17trampoline_kernelINS0_14default_configENS1_35radix_sort_onesweep_config_selectorIdlEEZZNS1_29radix_sort_onesweep_iterationIS3_Lb0EPdS7_N6thrust23THRUST_200600_302600_NS10device_ptrIlEESB_jNS0_19identity_decomposerENS1_16block_id_wrapperIjLb0EEEEE10hipError_tT1_PNSt15iterator_traitsISG_E10value_typeET2_T3_PNSH_ISM_E10value_typeET4_T5_PSR_SS_PNS1_23onesweep_lookback_stateEbbT6_jjT7_P12ihipStream_tbENKUlT_T0_SG_SL_E_clIS7_S7_SB_SB_EEDaSZ_S10_SG_SL_EUlSZ_E_NS1_11comp_targetILNS1_3genE4ELNS1_11target_archE910ELNS1_3gpuE8ELNS1_3repE0EEENS1_47radix_sort_onesweep_sort_config_static_selectorELNS0_4arch9wavefront6targetE1EEEvSG_
    .private_segment_fixed_size: 0
    .sgpr_count:     4
    .sgpr_spill_count: 0
    .symbol:         _ZN7rocprim17ROCPRIM_400000_NS6detail17trampoline_kernelINS0_14default_configENS1_35radix_sort_onesweep_config_selectorIdlEEZZNS1_29radix_sort_onesweep_iterationIS3_Lb0EPdS7_N6thrust23THRUST_200600_302600_NS10device_ptrIlEESB_jNS0_19identity_decomposerENS1_16block_id_wrapperIjLb0EEEEE10hipError_tT1_PNSt15iterator_traitsISG_E10value_typeET2_T3_PNSH_ISM_E10value_typeET4_T5_PSR_SS_PNS1_23onesweep_lookback_stateEbbT6_jjT7_P12ihipStream_tbENKUlT_T0_SG_SL_E_clIS7_S7_SB_SB_EEDaSZ_S10_SG_SL_EUlSZ_E_NS1_11comp_targetILNS1_3genE4ELNS1_11target_archE910ELNS1_3gpuE8ELNS1_3repE0EEENS1_47radix_sort_onesweep_sort_config_static_selectorELNS0_4arch9wavefront6targetE1EEEvSG_.kd
    .uniform_work_group_size: 1
    .uses_dynamic_stack: false
    .vgpr_count:     0
    .vgpr_spill_count: 0
    .wavefront_size: 64
  - .args:
      - .offset:         0
        .size:           88
        .value_kind:     by_value
    .group_segment_fixed_size: 0
    .kernarg_segment_align: 8
    .kernarg_segment_size: 88
    .language:       OpenCL C
    .language_version:
      - 2
      - 0
    .max_flat_workgroup_size: 512
    .name:           _ZN7rocprim17ROCPRIM_400000_NS6detail17trampoline_kernelINS0_14default_configENS1_35radix_sort_onesweep_config_selectorIdlEEZZNS1_29radix_sort_onesweep_iterationIS3_Lb0EPdS7_N6thrust23THRUST_200600_302600_NS10device_ptrIlEESB_jNS0_19identity_decomposerENS1_16block_id_wrapperIjLb0EEEEE10hipError_tT1_PNSt15iterator_traitsISG_E10value_typeET2_T3_PNSH_ISM_E10value_typeET4_T5_PSR_SS_PNS1_23onesweep_lookback_stateEbbT6_jjT7_P12ihipStream_tbENKUlT_T0_SG_SL_E_clIS7_S7_SB_SB_EEDaSZ_S10_SG_SL_EUlSZ_E_NS1_11comp_targetILNS1_3genE3ELNS1_11target_archE908ELNS1_3gpuE7ELNS1_3repE0EEENS1_47radix_sort_onesweep_sort_config_static_selectorELNS0_4arch9wavefront6targetE1EEEvSG_
    .private_segment_fixed_size: 0
    .sgpr_count:     4
    .sgpr_spill_count: 0
    .symbol:         _ZN7rocprim17ROCPRIM_400000_NS6detail17trampoline_kernelINS0_14default_configENS1_35radix_sort_onesweep_config_selectorIdlEEZZNS1_29radix_sort_onesweep_iterationIS3_Lb0EPdS7_N6thrust23THRUST_200600_302600_NS10device_ptrIlEESB_jNS0_19identity_decomposerENS1_16block_id_wrapperIjLb0EEEEE10hipError_tT1_PNSt15iterator_traitsISG_E10value_typeET2_T3_PNSH_ISM_E10value_typeET4_T5_PSR_SS_PNS1_23onesweep_lookback_stateEbbT6_jjT7_P12ihipStream_tbENKUlT_T0_SG_SL_E_clIS7_S7_SB_SB_EEDaSZ_S10_SG_SL_EUlSZ_E_NS1_11comp_targetILNS1_3genE3ELNS1_11target_archE908ELNS1_3gpuE7ELNS1_3repE0EEENS1_47radix_sort_onesweep_sort_config_static_selectorELNS0_4arch9wavefront6targetE1EEEvSG_.kd
    .uniform_work_group_size: 1
    .uses_dynamic_stack: false
    .vgpr_count:     0
    .vgpr_spill_count: 0
    .wavefront_size: 64
  - .args:
      - .offset:         0
        .size:           88
        .value_kind:     by_value
    .group_segment_fixed_size: 0
    .kernarg_segment_align: 8
    .kernarg_segment_size: 88
    .language:       OpenCL C
    .language_version:
      - 2
      - 0
    .max_flat_workgroup_size: 1024
    .name:           _ZN7rocprim17ROCPRIM_400000_NS6detail17trampoline_kernelINS0_14default_configENS1_35radix_sort_onesweep_config_selectorIdlEEZZNS1_29radix_sort_onesweep_iterationIS3_Lb0EPdS7_N6thrust23THRUST_200600_302600_NS10device_ptrIlEESB_jNS0_19identity_decomposerENS1_16block_id_wrapperIjLb0EEEEE10hipError_tT1_PNSt15iterator_traitsISG_E10value_typeET2_T3_PNSH_ISM_E10value_typeET4_T5_PSR_SS_PNS1_23onesweep_lookback_stateEbbT6_jjT7_P12ihipStream_tbENKUlT_T0_SG_SL_E_clIS7_S7_SB_SB_EEDaSZ_S10_SG_SL_EUlSZ_E_NS1_11comp_targetILNS1_3genE10ELNS1_11target_archE1201ELNS1_3gpuE5ELNS1_3repE0EEENS1_47radix_sort_onesweep_sort_config_static_selectorELNS0_4arch9wavefront6targetE1EEEvSG_
    .private_segment_fixed_size: 0
    .sgpr_count:     4
    .sgpr_spill_count: 0
    .symbol:         _ZN7rocprim17ROCPRIM_400000_NS6detail17trampoline_kernelINS0_14default_configENS1_35radix_sort_onesweep_config_selectorIdlEEZZNS1_29radix_sort_onesweep_iterationIS3_Lb0EPdS7_N6thrust23THRUST_200600_302600_NS10device_ptrIlEESB_jNS0_19identity_decomposerENS1_16block_id_wrapperIjLb0EEEEE10hipError_tT1_PNSt15iterator_traitsISG_E10value_typeET2_T3_PNSH_ISM_E10value_typeET4_T5_PSR_SS_PNS1_23onesweep_lookback_stateEbbT6_jjT7_P12ihipStream_tbENKUlT_T0_SG_SL_E_clIS7_S7_SB_SB_EEDaSZ_S10_SG_SL_EUlSZ_E_NS1_11comp_targetILNS1_3genE10ELNS1_11target_archE1201ELNS1_3gpuE5ELNS1_3repE0EEENS1_47radix_sort_onesweep_sort_config_static_selectorELNS0_4arch9wavefront6targetE1EEEvSG_.kd
    .uniform_work_group_size: 1
    .uses_dynamic_stack: false
    .vgpr_count:     0
    .vgpr_spill_count: 0
    .wavefront_size: 64
  - .args:
      - .offset:         0
        .size:           88
        .value_kind:     by_value
    .group_segment_fixed_size: 0
    .kernarg_segment_align: 8
    .kernarg_segment_size: 88
    .language:       OpenCL C
    .language_version:
      - 2
      - 0
    .max_flat_workgroup_size: 1024
    .name:           _ZN7rocprim17ROCPRIM_400000_NS6detail17trampoline_kernelINS0_14default_configENS1_35radix_sort_onesweep_config_selectorIdlEEZZNS1_29radix_sort_onesweep_iterationIS3_Lb0EPdS7_N6thrust23THRUST_200600_302600_NS10device_ptrIlEESB_jNS0_19identity_decomposerENS1_16block_id_wrapperIjLb0EEEEE10hipError_tT1_PNSt15iterator_traitsISG_E10value_typeET2_T3_PNSH_ISM_E10value_typeET4_T5_PSR_SS_PNS1_23onesweep_lookback_stateEbbT6_jjT7_P12ihipStream_tbENKUlT_T0_SG_SL_E_clIS7_S7_SB_SB_EEDaSZ_S10_SG_SL_EUlSZ_E_NS1_11comp_targetILNS1_3genE9ELNS1_11target_archE1100ELNS1_3gpuE3ELNS1_3repE0EEENS1_47radix_sort_onesweep_sort_config_static_selectorELNS0_4arch9wavefront6targetE1EEEvSG_
    .private_segment_fixed_size: 0
    .sgpr_count:     4
    .sgpr_spill_count: 0
    .symbol:         _ZN7rocprim17ROCPRIM_400000_NS6detail17trampoline_kernelINS0_14default_configENS1_35radix_sort_onesweep_config_selectorIdlEEZZNS1_29radix_sort_onesweep_iterationIS3_Lb0EPdS7_N6thrust23THRUST_200600_302600_NS10device_ptrIlEESB_jNS0_19identity_decomposerENS1_16block_id_wrapperIjLb0EEEEE10hipError_tT1_PNSt15iterator_traitsISG_E10value_typeET2_T3_PNSH_ISM_E10value_typeET4_T5_PSR_SS_PNS1_23onesweep_lookback_stateEbbT6_jjT7_P12ihipStream_tbENKUlT_T0_SG_SL_E_clIS7_S7_SB_SB_EEDaSZ_S10_SG_SL_EUlSZ_E_NS1_11comp_targetILNS1_3genE9ELNS1_11target_archE1100ELNS1_3gpuE3ELNS1_3repE0EEENS1_47radix_sort_onesweep_sort_config_static_selectorELNS0_4arch9wavefront6targetE1EEEvSG_.kd
    .uniform_work_group_size: 1
    .uses_dynamic_stack: false
    .vgpr_count:     0
    .vgpr_spill_count: 0
    .wavefront_size: 64
  - .args:
      - .offset:         0
        .size:           88
        .value_kind:     by_value
    .group_segment_fixed_size: 0
    .kernarg_segment_align: 8
    .kernarg_segment_size: 88
    .language:       OpenCL C
    .language_version:
      - 2
      - 0
    .max_flat_workgroup_size: 1024
    .name:           _ZN7rocprim17ROCPRIM_400000_NS6detail17trampoline_kernelINS0_14default_configENS1_35radix_sort_onesweep_config_selectorIdlEEZZNS1_29radix_sort_onesweep_iterationIS3_Lb0EPdS7_N6thrust23THRUST_200600_302600_NS10device_ptrIlEESB_jNS0_19identity_decomposerENS1_16block_id_wrapperIjLb0EEEEE10hipError_tT1_PNSt15iterator_traitsISG_E10value_typeET2_T3_PNSH_ISM_E10value_typeET4_T5_PSR_SS_PNS1_23onesweep_lookback_stateEbbT6_jjT7_P12ihipStream_tbENKUlT_T0_SG_SL_E_clIS7_S7_SB_SB_EEDaSZ_S10_SG_SL_EUlSZ_E_NS1_11comp_targetILNS1_3genE8ELNS1_11target_archE1030ELNS1_3gpuE2ELNS1_3repE0EEENS1_47radix_sort_onesweep_sort_config_static_selectorELNS0_4arch9wavefront6targetE1EEEvSG_
    .private_segment_fixed_size: 0
    .sgpr_count:     4
    .sgpr_spill_count: 0
    .symbol:         _ZN7rocprim17ROCPRIM_400000_NS6detail17trampoline_kernelINS0_14default_configENS1_35radix_sort_onesweep_config_selectorIdlEEZZNS1_29radix_sort_onesweep_iterationIS3_Lb0EPdS7_N6thrust23THRUST_200600_302600_NS10device_ptrIlEESB_jNS0_19identity_decomposerENS1_16block_id_wrapperIjLb0EEEEE10hipError_tT1_PNSt15iterator_traitsISG_E10value_typeET2_T3_PNSH_ISM_E10value_typeET4_T5_PSR_SS_PNS1_23onesweep_lookback_stateEbbT6_jjT7_P12ihipStream_tbENKUlT_T0_SG_SL_E_clIS7_S7_SB_SB_EEDaSZ_S10_SG_SL_EUlSZ_E_NS1_11comp_targetILNS1_3genE8ELNS1_11target_archE1030ELNS1_3gpuE2ELNS1_3repE0EEENS1_47radix_sort_onesweep_sort_config_static_selectorELNS0_4arch9wavefront6targetE1EEEvSG_.kd
    .uniform_work_group_size: 1
    .uses_dynamic_stack: false
    .vgpr_count:     0
    .vgpr_spill_count: 0
    .wavefront_size: 64
  - .args:
      - .offset:         0
        .size:           88
        .value_kind:     by_value
    .group_segment_fixed_size: 0
    .kernarg_segment_align: 8
    .kernarg_segment_size: 88
    .language:       OpenCL C
    .language_version:
      - 2
      - 0
    .max_flat_workgroup_size: 512
    .name:           _ZN7rocprim17ROCPRIM_400000_NS6detail17trampoline_kernelINS0_14default_configENS1_35radix_sort_onesweep_config_selectorIdlEEZZNS1_29radix_sort_onesweep_iterationIS3_Lb0EPdS7_N6thrust23THRUST_200600_302600_NS10device_ptrIlEESB_jNS0_19identity_decomposerENS1_16block_id_wrapperIjLb0EEEEE10hipError_tT1_PNSt15iterator_traitsISG_E10value_typeET2_T3_PNSH_ISM_E10value_typeET4_T5_PSR_SS_PNS1_23onesweep_lookback_stateEbbT6_jjT7_P12ihipStream_tbENKUlT_T0_SG_SL_E_clIS7_S7_SB_PlEEDaSZ_S10_SG_SL_EUlSZ_E_NS1_11comp_targetILNS1_3genE0ELNS1_11target_archE4294967295ELNS1_3gpuE0ELNS1_3repE0EEENS1_47radix_sort_onesweep_sort_config_static_selectorELNS0_4arch9wavefront6targetE1EEEvSG_
    .private_segment_fixed_size: 0
    .sgpr_count:     4
    .sgpr_spill_count: 0
    .symbol:         _ZN7rocprim17ROCPRIM_400000_NS6detail17trampoline_kernelINS0_14default_configENS1_35radix_sort_onesweep_config_selectorIdlEEZZNS1_29radix_sort_onesweep_iterationIS3_Lb0EPdS7_N6thrust23THRUST_200600_302600_NS10device_ptrIlEESB_jNS0_19identity_decomposerENS1_16block_id_wrapperIjLb0EEEEE10hipError_tT1_PNSt15iterator_traitsISG_E10value_typeET2_T3_PNSH_ISM_E10value_typeET4_T5_PSR_SS_PNS1_23onesweep_lookback_stateEbbT6_jjT7_P12ihipStream_tbENKUlT_T0_SG_SL_E_clIS7_S7_SB_PlEEDaSZ_S10_SG_SL_EUlSZ_E_NS1_11comp_targetILNS1_3genE0ELNS1_11target_archE4294967295ELNS1_3gpuE0ELNS1_3repE0EEENS1_47radix_sort_onesweep_sort_config_static_selectorELNS0_4arch9wavefront6targetE1EEEvSG_.kd
    .uniform_work_group_size: 1
    .uses_dynamic_stack: false
    .vgpr_count:     0
    .vgpr_spill_count: 0
    .wavefront_size: 64
  - .args:
      - .offset:         0
        .size:           88
        .value_kind:     by_value
    .group_segment_fixed_size: 0
    .kernarg_segment_align: 8
    .kernarg_segment_size: 88
    .language:       OpenCL C
    .language_version:
      - 2
      - 0
    .max_flat_workgroup_size: 1024
    .name:           _ZN7rocprim17ROCPRIM_400000_NS6detail17trampoline_kernelINS0_14default_configENS1_35radix_sort_onesweep_config_selectorIdlEEZZNS1_29radix_sort_onesweep_iterationIS3_Lb0EPdS7_N6thrust23THRUST_200600_302600_NS10device_ptrIlEESB_jNS0_19identity_decomposerENS1_16block_id_wrapperIjLb0EEEEE10hipError_tT1_PNSt15iterator_traitsISG_E10value_typeET2_T3_PNSH_ISM_E10value_typeET4_T5_PSR_SS_PNS1_23onesweep_lookback_stateEbbT6_jjT7_P12ihipStream_tbENKUlT_T0_SG_SL_E_clIS7_S7_SB_PlEEDaSZ_S10_SG_SL_EUlSZ_E_NS1_11comp_targetILNS1_3genE6ELNS1_11target_archE950ELNS1_3gpuE13ELNS1_3repE0EEENS1_47radix_sort_onesweep_sort_config_static_selectorELNS0_4arch9wavefront6targetE1EEEvSG_
    .private_segment_fixed_size: 0
    .sgpr_count:     4
    .sgpr_spill_count: 0
    .symbol:         _ZN7rocprim17ROCPRIM_400000_NS6detail17trampoline_kernelINS0_14default_configENS1_35radix_sort_onesweep_config_selectorIdlEEZZNS1_29radix_sort_onesweep_iterationIS3_Lb0EPdS7_N6thrust23THRUST_200600_302600_NS10device_ptrIlEESB_jNS0_19identity_decomposerENS1_16block_id_wrapperIjLb0EEEEE10hipError_tT1_PNSt15iterator_traitsISG_E10value_typeET2_T3_PNSH_ISM_E10value_typeET4_T5_PSR_SS_PNS1_23onesweep_lookback_stateEbbT6_jjT7_P12ihipStream_tbENKUlT_T0_SG_SL_E_clIS7_S7_SB_PlEEDaSZ_S10_SG_SL_EUlSZ_E_NS1_11comp_targetILNS1_3genE6ELNS1_11target_archE950ELNS1_3gpuE13ELNS1_3repE0EEENS1_47radix_sort_onesweep_sort_config_static_selectorELNS0_4arch9wavefront6targetE1EEEvSG_.kd
    .uniform_work_group_size: 1
    .uses_dynamic_stack: false
    .vgpr_count:     0
    .vgpr_spill_count: 0
    .wavefront_size: 64
  - .args:
      - .offset:         0
        .size:           88
        .value_kind:     by_value
    .group_segment_fixed_size: 0
    .kernarg_segment_align: 8
    .kernarg_segment_size: 88
    .language:       OpenCL C
    .language_version:
      - 2
      - 0
    .max_flat_workgroup_size: 1024
    .name:           _ZN7rocprim17ROCPRIM_400000_NS6detail17trampoline_kernelINS0_14default_configENS1_35radix_sort_onesweep_config_selectorIdlEEZZNS1_29radix_sort_onesweep_iterationIS3_Lb0EPdS7_N6thrust23THRUST_200600_302600_NS10device_ptrIlEESB_jNS0_19identity_decomposerENS1_16block_id_wrapperIjLb0EEEEE10hipError_tT1_PNSt15iterator_traitsISG_E10value_typeET2_T3_PNSH_ISM_E10value_typeET4_T5_PSR_SS_PNS1_23onesweep_lookback_stateEbbT6_jjT7_P12ihipStream_tbENKUlT_T0_SG_SL_E_clIS7_S7_SB_PlEEDaSZ_S10_SG_SL_EUlSZ_E_NS1_11comp_targetILNS1_3genE5ELNS1_11target_archE942ELNS1_3gpuE9ELNS1_3repE0EEENS1_47radix_sort_onesweep_sort_config_static_selectorELNS0_4arch9wavefront6targetE1EEEvSG_
    .private_segment_fixed_size: 0
    .sgpr_count:     4
    .sgpr_spill_count: 0
    .symbol:         _ZN7rocprim17ROCPRIM_400000_NS6detail17trampoline_kernelINS0_14default_configENS1_35radix_sort_onesweep_config_selectorIdlEEZZNS1_29radix_sort_onesweep_iterationIS3_Lb0EPdS7_N6thrust23THRUST_200600_302600_NS10device_ptrIlEESB_jNS0_19identity_decomposerENS1_16block_id_wrapperIjLb0EEEEE10hipError_tT1_PNSt15iterator_traitsISG_E10value_typeET2_T3_PNSH_ISM_E10value_typeET4_T5_PSR_SS_PNS1_23onesweep_lookback_stateEbbT6_jjT7_P12ihipStream_tbENKUlT_T0_SG_SL_E_clIS7_S7_SB_PlEEDaSZ_S10_SG_SL_EUlSZ_E_NS1_11comp_targetILNS1_3genE5ELNS1_11target_archE942ELNS1_3gpuE9ELNS1_3repE0EEENS1_47radix_sort_onesweep_sort_config_static_selectorELNS0_4arch9wavefront6targetE1EEEvSG_.kd
    .uniform_work_group_size: 1
    .uses_dynamic_stack: false
    .vgpr_count:     0
    .vgpr_spill_count: 0
    .wavefront_size: 64
  - .args:
      - .offset:         0
        .size:           88
        .value_kind:     by_value
      - .offset:         88
        .size:           4
        .value_kind:     hidden_block_count_x
      - .offset:         92
        .size:           4
        .value_kind:     hidden_block_count_y
      - .offset:         96
        .size:           4
        .value_kind:     hidden_block_count_z
      - .offset:         100
        .size:           2
        .value_kind:     hidden_group_size_x
      - .offset:         102
        .size:           2
        .value_kind:     hidden_group_size_y
      - .offset:         104
        .size:           2
        .value_kind:     hidden_group_size_z
      - .offset:         106
        .size:           2
        .value_kind:     hidden_remainder_x
      - .offset:         108
        .size:           2
        .value_kind:     hidden_remainder_y
      - .offset:         110
        .size:           2
        .value_kind:     hidden_remainder_z
      - .offset:         128
        .size:           8
        .value_kind:     hidden_global_offset_x
      - .offset:         136
        .size:           8
        .value_kind:     hidden_global_offset_y
      - .offset:         144
        .size:           8
        .value_kind:     hidden_global_offset_z
      - .offset:         152
        .size:           2
        .value_kind:     hidden_grid_dims
    .group_segment_fixed_size: 10280
    .kernarg_segment_align: 8
    .kernarg_segment_size: 344
    .language:       OpenCL C
    .language_version:
      - 2
      - 0
    .max_flat_workgroup_size: 512
    .name:           _ZN7rocprim17ROCPRIM_400000_NS6detail17trampoline_kernelINS0_14default_configENS1_35radix_sort_onesweep_config_selectorIdlEEZZNS1_29radix_sort_onesweep_iterationIS3_Lb0EPdS7_N6thrust23THRUST_200600_302600_NS10device_ptrIlEESB_jNS0_19identity_decomposerENS1_16block_id_wrapperIjLb0EEEEE10hipError_tT1_PNSt15iterator_traitsISG_E10value_typeET2_T3_PNSH_ISM_E10value_typeET4_T5_PSR_SS_PNS1_23onesweep_lookback_stateEbbT6_jjT7_P12ihipStream_tbENKUlT_T0_SG_SL_E_clIS7_S7_SB_PlEEDaSZ_S10_SG_SL_EUlSZ_E_NS1_11comp_targetILNS1_3genE2ELNS1_11target_archE906ELNS1_3gpuE6ELNS1_3repE0EEENS1_47radix_sort_onesweep_sort_config_static_selectorELNS0_4arch9wavefront6targetE1EEEvSG_
    .private_segment_fixed_size: 32
    .sgpr_count:     58
    .sgpr_spill_count: 0
    .symbol:         _ZN7rocprim17ROCPRIM_400000_NS6detail17trampoline_kernelINS0_14default_configENS1_35radix_sort_onesweep_config_selectorIdlEEZZNS1_29radix_sort_onesweep_iterationIS3_Lb0EPdS7_N6thrust23THRUST_200600_302600_NS10device_ptrIlEESB_jNS0_19identity_decomposerENS1_16block_id_wrapperIjLb0EEEEE10hipError_tT1_PNSt15iterator_traitsISG_E10value_typeET2_T3_PNSH_ISM_E10value_typeET4_T5_PSR_SS_PNS1_23onesweep_lookback_stateEbbT6_jjT7_P12ihipStream_tbENKUlT_T0_SG_SL_E_clIS7_S7_SB_PlEEDaSZ_S10_SG_SL_EUlSZ_E_NS1_11comp_targetILNS1_3genE2ELNS1_11target_archE906ELNS1_3gpuE6ELNS1_3repE0EEENS1_47radix_sort_onesweep_sort_config_static_selectorELNS0_4arch9wavefront6targetE1EEEvSG_.kd
    .uniform_work_group_size: 1
    .uses_dynamic_stack: false
    .vgpr_count:     47
    .vgpr_spill_count: 0
    .wavefront_size: 64
  - .args:
      - .offset:         0
        .size:           88
        .value_kind:     by_value
    .group_segment_fixed_size: 0
    .kernarg_segment_align: 8
    .kernarg_segment_size: 88
    .language:       OpenCL C
    .language_version:
      - 2
      - 0
    .max_flat_workgroup_size: 1024
    .name:           _ZN7rocprim17ROCPRIM_400000_NS6detail17trampoline_kernelINS0_14default_configENS1_35radix_sort_onesweep_config_selectorIdlEEZZNS1_29radix_sort_onesweep_iterationIS3_Lb0EPdS7_N6thrust23THRUST_200600_302600_NS10device_ptrIlEESB_jNS0_19identity_decomposerENS1_16block_id_wrapperIjLb0EEEEE10hipError_tT1_PNSt15iterator_traitsISG_E10value_typeET2_T3_PNSH_ISM_E10value_typeET4_T5_PSR_SS_PNS1_23onesweep_lookback_stateEbbT6_jjT7_P12ihipStream_tbENKUlT_T0_SG_SL_E_clIS7_S7_SB_PlEEDaSZ_S10_SG_SL_EUlSZ_E_NS1_11comp_targetILNS1_3genE4ELNS1_11target_archE910ELNS1_3gpuE8ELNS1_3repE0EEENS1_47radix_sort_onesweep_sort_config_static_selectorELNS0_4arch9wavefront6targetE1EEEvSG_
    .private_segment_fixed_size: 0
    .sgpr_count:     4
    .sgpr_spill_count: 0
    .symbol:         _ZN7rocprim17ROCPRIM_400000_NS6detail17trampoline_kernelINS0_14default_configENS1_35radix_sort_onesweep_config_selectorIdlEEZZNS1_29radix_sort_onesweep_iterationIS3_Lb0EPdS7_N6thrust23THRUST_200600_302600_NS10device_ptrIlEESB_jNS0_19identity_decomposerENS1_16block_id_wrapperIjLb0EEEEE10hipError_tT1_PNSt15iterator_traitsISG_E10value_typeET2_T3_PNSH_ISM_E10value_typeET4_T5_PSR_SS_PNS1_23onesweep_lookback_stateEbbT6_jjT7_P12ihipStream_tbENKUlT_T0_SG_SL_E_clIS7_S7_SB_PlEEDaSZ_S10_SG_SL_EUlSZ_E_NS1_11comp_targetILNS1_3genE4ELNS1_11target_archE910ELNS1_3gpuE8ELNS1_3repE0EEENS1_47radix_sort_onesweep_sort_config_static_selectorELNS0_4arch9wavefront6targetE1EEEvSG_.kd
    .uniform_work_group_size: 1
    .uses_dynamic_stack: false
    .vgpr_count:     0
    .vgpr_spill_count: 0
    .wavefront_size: 64
  - .args:
      - .offset:         0
        .size:           88
        .value_kind:     by_value
    .group_segment_fixed_size: 0
    .kernarg_segment_align: 8
    .kernarg_segment_size: 88
    .language:       OpenCL C
    .language_version:
      - 2
      - 0
    .max_flat_workgroup_size: 512
    .name:           _ZN7rocprim17ROCPRIM_400000_NS6detail17trampoline_kernelINS0_14default_configENS1_35radix_sort_onesweep_config_selectorIdlEEZZNS1_29radix_sort_onesweep_iterationIS3_Lb0EPdS7_N6thrust23THRUST_200600_302600_NS10device_ptrIlEESB_jNS0_19identity_decomposerENS1_16block_id_wrapperIjLb0EEEEE10hipError_tT1_PNSt15iterator_traitsISG_E10value_typeET2_T3_PNSH_ISM_E10value_typeET4_T5_PSR_SS_PNS1_23onesweep_lookback_stateEbbT6_jjT7_P12ihipStream_tbENKUlT_T0_SG_SL_E_clIS7_S7_SB_PlEEDaSZ_S10_SG_SL_EUlSZ_E_NS1_11comp_targetILNS1_3genE3ELNS1_11target_archE908ELNS1_3gpuE7ELNS1_3repE0EEENS1_47radix_sort_onesweep_sort_config_static_selectorELNS0_4arch9wavefront6targetE1EEEvSG_
    .private_segment_fixed_size: 0
    .sgpr_count:     4
    .sgpr_spill_count: 0
    .symbol:         _ZN7rocprim17ROCPRIM_400000_NS6detail17trampoline_kernelINS0_14default_configENS1_35radix_sort_onesweep_config_selectorIdlEEZZNS1_29radix_sort_onesweep_iterationIS3_Lb0EPdS7_N6thrust23THRUST_200600_302600_NS10device_ptrIlEESB_jNS0_19identity_decomposerENS1_16block_id_wrapperIjLb0EEEEE10hipError_tT1_PNSt15iterator_traitsISG_E10value_typeET2_T3_PNSH_ISM_E10value_typeET4_T5_PSR_SS_PNS1_23onesweep_lookback_stateEbbT6_jjT7_P12ihipStream_tbENKUlT_T0_SG_SL_E_clIS7_S7_SB_PlEEDaSZ_S10_SG_SL_EUlSZ_E_NS1_11comp_targetILNS1_3genE3ELNS1_11target_archE908ELNS1_3gpuE7ELNS1_3repE0EEENS1_47radix_sort_onesweep_sort_config_static_selectorELNS0_4arch9wavefront6targetE1EEEvSG_.kd
    .uniform_work_group_size: 1
    .uses_dynamic_stack: false
    .vgpr_count:     0
    .vgpr_spill_count: 0
    .wavefront_size: 64
  - .args:
      - .offset:         0
        .size:           88
        .value_kind:     by_value
    .group_segment_fixed_size: 0
    .kernarg_segment_align: 8
    .kernarg_segment_size: 88
    .language:       OpenCL C
    .language_version:
      - 2
      - 0
    .max_flat_workgroup_size: 1024
    .name:           _ZN7rocprim17ROCPRIM_400000_NS6detail17trampoline_kernelINS0_14default_configENS1_35radix_sort_onesweep_config_selectorIdlEEZZNS1_29radix_sort_onesweep_iterationIS3_Lb0EPdS7_N6thrust23THRUST_200600_302600_NS10device_ptrIlEESB_jNS0_19identity_decomposerENS1_16block_id_wrapperIjLb0EEEEE10hipError_tT1_PNSt15iterator_traitsISG_E10value_typeET2_T3_PNSH_ISM_E10value_typeET4_T5_PSR_SS_PNS1_23onesweep_lookback_stateEbbT6_jjT7_P12ihipStream_tbENKUlT_T0_SG_SL_E_clIS7_S7_SB_PlEEDaSZ_S10_SG_SL_EUlSZ_E_NS1_11comp_targetILNS1_3genE10ELNS1_11target_archE1201ELNS1_3gpuE5ELNS1_3repE0EEENS1_47radix_sort_onesweep_sort_config_static_selectorELNS0_4arch9wavefront6targetE1EEEvSG_
    .private_segment_fixed_size: 0
    .sgpr_count:     4
    .sgpr_spill_count: 0
    .symbol:         _ZN7rocprim17ROCPRIM_400000_NS6detail17trampoline_kernelINS0_14default_configENS1_35radix_sort_onesweep_config_selectorIdlEEZZNS1_29radix_sort_onesweep_iterationIS3_Lb0EPdS7_N6thrust23THRUST_200600_302600_NS10device_ptrIlEESB_jNS0_19identity_decomposerENS1_16block_id_wrapperIjLb0EEEEE10hipError_tT1_PNSt15iterator_traitsISG_E10value_typeET2_T3_PNSH_ISM_E10value_typeET4_T5_PSR_SS_PNS1_23onesweep_lookback_stateEbbT6_jjT7_P12ihipStream_tbENKUlT_T0_SG_SL_E_clIS7_S7_SB_PlEEDaSZ_S10_SG_SL_EUlSZ_E_NS1_11comp_targetILNS1_3genE10ELNS1_11target_archE1201ELNS1_3gpuE5ELNS1_3repE0EEENS1_47radix_sort_onesweep_sort_config_static_selectorELNS0_4arch9wavefront6targetE1EEEvSG_.kd
    .uniform_work_group_size: 1
    .uses_dynamic_stack: false
    .vgpr_count:     0
    .vgpr_spill_count: 0
    .wavefront_size: 64
  - .args:
      - .offset:         0
        .size:           88
        .value_kind:     by_value
    .group_segment_fixed_size: 0
    .kernarg_segment_align: 8
    .kernarg_segment_size: 88
    .language:       OpenCL C
    .language_version:
      - 2
      - 0
    .max_flat_workgroup_size: 1024
    .name:           _ZN7rocprim17ROCPRIM_400000_NS6detail17trampoline_kernelINS0_14default_configENS1_35radix_sort_onesweep_config_selectorIdlEEZZNS1_29radix_sort_onesweep_iterationIS3_Lb0EPdS7_N6thrust23THRUST_200600_302600_NS10device_ptrIlEESB_jNS0_19identity_decomposerENS1_16block_id_wrapperIjLb0EEEEE10hipError_tT1_PNSt15iterator_traitsISG_E10value_typeET2_T3_PNSH_ISM_E10value_typeET4_T5_PSR_SS_PNS1_23onesweep_lookback_stateEbbT6_jjT7_P12ihipStream_tbENKUlT_T0_SG_SL_E_clIS7_S7_SB_PlEEDaSZ_S10_SG_SL_EUlSZ_E_NS1_11comp_targetILNS1_3genE9ELNS1_11target_archE1100ELNS1_3gpuE3ELNS1_3repE0EEENS1_47radix_sort_onesweep_sort_config_static_selectorELNS0_4arch9wavefront6targetE1EEEvSG_
    .private_segment_fixed_size: 0
    .sgpr_count:     4
    .sgpr_spill_count: 0
    .symbol:         _ZN7rocprim17ROCPRIM_400000_NS6detail17trampoline_kernelINS0_14default_configENS1_35radix_sort_onesweep_config_selectorIdlEEZZNS1_29radix_sort_onesweep_iterationIS3_Lb0EPdS7_N6thrust23THRUST_200600_302600_NS10device_ptrIlEESB_jNS0_19identity_decomposerENS1_16block_id_wrapperIjLb0EEEEE10hipError_tT1_PNSt15iterator_traitsISG_E10value_typeET2_T3_PNSH_ISM_E10value_typeET4_T5_PSR_SS_PNS1_23onesweep_lookback_stateEbbT6_jjT7_P12ihipStream_tbENKUlT_T0_SG_SL_E_clIS7_S7_SB_PlEEDaSZ_S10_SG_SL_EUlSZ_E_NS1_11comp_targetILNS1_3genE9ELNS1_11target_archE1100ELNS1_3gpuE3ELNS1_3repE0EEENS1_47radix_sort_onesweep_sort_config_static_selectorELNS0_4arch9wavefront6targetE1EEEvSG_.kd
    .uniform_work_group_size: 1
    .uses_dynamic_stack: false
    .vgpr_count:     0
    .vgpr_spill_count: 0
    .wavefront_size: 64
  - .args:
      - .offset:         0
        .size:           88
        .value_kind:     by_value
    .group_segment_fixed_size: 0
    .kernarg_segment_align: 8
    .kernarg_segment_size: 88
    .language:       OpenCL C
    .language_version:
      - 2
      - 0
    .max_flat_workgroup_size: 1024
    .name:           _ZN7rocprim17ROCPRIM_400000_NS6detail17trampoline_kernelINS0_14default_configENS1_35radix_sort_onesweep_config_selectorIdlEEZZNS1_29radix_sort_onesweep_iterationIS3_Lb0EPdS7_N6thrust23THRUST_200600_302600_NS10device_ptrIlEESB_jNS0_19identity_decomposerENS1_16block_id_wrapperIjLb0EEEEE10hipError_tT1_PNSt15iterator_traitsISG_E10value_typeET2_T3_PNSH_ISM_E10value_typeET4_T5_PSR_SS_PNS1_23onesweep_lookback_stateEbbT6_jjT7_P12ihipStream_tbENKUlT_T0_SG_SL_E_clIS7_S7_SB_PlEEDaSZ_S10_SG_SL_EUlSZ_E_NS1_11comp_targetILNS1_3genE8ELNS1_11target_archE1030ELNS1_3gpuE2ELNS1_3repE0EEENS1_47radix_sort_onesweep_sort_config_static_selectorELNS0_4arch9wavefront6targetE1EEEvSG_
    .private_segment_fixed_size: 0
    .sgpr_count:     4
    .sgpr_spill_count: 0
    .symbol:         _ZN7rocprim17ROCPRIM_400000_NS6detail17trampoline_kernelINS0_14default_configENS1_35radix_sort_onesweep_config_selectorIdlEEZZNS1_29radix_sort_onesweep_iterationIS3_Lb0EPdS7_N6thrust23THRUST_200600_302600_NS10device_ptrIlEESB_jNS0_19identity_decomposerENS1_16block_id_wrapperIjLb0EEEEE10hipError_tT1_PNSt15iterator_traitsISG_E10value_typeET2_T3_PNSH_ISM_E10value_typeET4_T5_PSR_SS_PNS1_23onesweep_lookback_stateEbbT6_jjT7_P12ihipStream_tbENKUlT_T0_SG_SL_E_clIS7_S7_SB_PlEEDaSZ_S10_SG_SL_EUlSZ_E_NS1_11comp_targetILNS1_3genE8ELNS1_11target_archE1030ELNS1_3gpuE2ELNS1_3repE0EEENS1_47radix_sort_onesweep_sort_config_static_selectorELNS0_4arch9wavefront6targetE1EEEvSG_.kd
    .uniform_work_group_size: 1
    .uses_dynamic_stack: false
    .vgpr_count:     0
    .vgpr_spill_count: 0
    .wavefront_size: 64
  - .args:
      - .offset:         0
        .size:           88
        .value_kind:     by_value
    .group_segment_fixed_size: 0
    .kernarg_segment_align: 8
    .kernarg_segment_size: 88
    .language:       OpenCL C
    .language_version:
      - 2
      - 0
    .max_flat_workgroup_size: 512
    .name:           _ZN7rocprim17ROCPRIM_400000_NS6detail17trampoline_kernelINS0_14default_configENS1_35radix_sort_onesweep_config_selectorIdlEEZZNS1_29radix_sort_onesweep_iterationIS3_Lb0EPdS7_N6thrust23THRUST_200600_302600_NS10device_ptrIlEESB_jNS0_19identity_decomposerENS1_16block_id_wrapperIjLb0EEEEE10hipError_tT1_PNSt15iterator_traitsISG_E10value_typeET2_T3_PNSH_ISM_E10value_typeET4_T5_PSR_SS_PNS1_23onesweep_lookback_stateEbbT6_jjT7_P12ihipStream_tbENKUlT_T0_SG_SL_E_clIS7_S7_PlSB_EEDaSZ_S10_SG_SL_EUlSZ_E_NS1_11comp_targetILNS1_3genE0ELNS1_11target_archE4294967295ELNS1_3gpuE0ELNS1_3repE0EEENS1_47radix_sort_onesweep_sort_config_static_selectorELNS0_4arch9wavefront6targetE1EEEvSG_
    .private_segment_fixed_size: 0
    .sgpr_count:     4
    .sgpr_spill_count: 0
    .symbol:         _ZN7rocprim17ROCPRIM_400000_NS6detail17trampoline_kernelINS0_14default_configENS1_35radix_sort_onesweep_config_selectorIdlEEZZNS1_29radix_sort_onesweep_iterationIS3_Lb0EPdS7_N6thrust23THRUST_200600_302600_NS10device_ptrIlEESB_jNS0_19identity_decomposerENS1_16block_id_wrapperIjLb0EEEEE10hipError_tT1_PNSt15iterator_traitsISG_E10value_typeET2_T3_PNSH_ISM_E10value_typeET4_T5_PSR_SS_PNS1_23onesweep_lookback_stateEbbT6_jjT7_P12ihipStream_tbENKUlT_T0_SG_SL_E_clIS7_S7_PlSB_EEDaSZ_S10_SG_SL_EUlSZ_E_NS1_11comp_targetILNS1_3genE0ELNS1_11target_archE4294967295ELNS1_3gpuE0ELNS1_3repE0EEENS1_47radix_sort_onesweep_sort_config_static_selectorELNS0_4arch9wavefront6targetE1EEEvSG_.kd
    .uniform_work_group_size: 1
    .uses_dynamic_stack: false
    .vgpr_count:     0
    .vgpr_spill_count: 0
    .wavefront_size: 64
  - .args:
      - .offset:         0
        .size:           88
        .value_kind:     by_value
    .group_segment_fixed_size: 0
    .kernarg_segment_align: 8
    .kernarg_segment_size: 88
    .language:       OpenCL C
    .language_version:
      - 2
      - 0
    .max_flat_workgroup_size: 1024
    .name:           _ZN7rocprim17ROCPRIM_400000_NS6detail17trampoline_kernelINS0_14default_configENS1_35radix_sort_onesweep_config_selectorIdlEEZZNS1_29radix_sort_onesweep_iterationIS3_Lb0EPdS7_N6thrust23THRUST_200600_302600_NS10device_ptrIlEESB_jNS0_19identity_decomposerENS1_16block_id_wrapperIjLb0EEEEE10hipError_tT1_PNSt15iterator_traitsISG_E10value_typeET2_T3_PNSH_ISM_E10value_typeET4_T5_PSR_SS_PNS1_23onesweep_lookback_stateEbbT6_jjT7_P12ihipStream_tbENKUlT_T0_SG_SL_E_clIS7_S7_PlSB_EEDaSZ_S10_SG_SL_EUlSZ_E_NS1_11comp_targetILNS1_3genE6ELNS1_11target_archE950ELNS1_3gpuE13ELNS1_3repE0EEENS1_47radix_sort_onesweep_sort_config_static_selectorELNS0_4arch9wavefront6targetE1EEEvSG_
    .private_segment_fixed_size: 0
    .sgpr_count:     4
    .sgpr_spill_count: 0
    .symbol:         _ZN7rocprim17ROCPRIM_400000_NS6detail17trampoline_kernelINS0_14default_configENS1_35radix_sort_onesweep_config_selectorIdlEEZZNS1_29radix_sort_onesweep_iterationIS3_Lb0EPdS7_N6thrust23THRUST_200600_302600_NS10device_ptrIlEESB_jNS0_19identity_decomposerENS1_16block_id_wrapperIjLb0EEEEE10hipError_tT1_PNSt15iterator_traitsISG_E10value_typeET2_T3_PNSH_ISM_E10value_typeET4_T5_PSR_SS_PNS1_23onesweep_lookback_stateEbbT6_jjT7_P12ihipStream_tbENKUlT_T0_SG_SL_E_clIS7_S7_PlSB_EEDaSZ_S10_SG_SL_EUlSZ_E_NS1_11comp_targetILNS1_3genE6ELNS1_11target_archE950ELNS1_3gpuE13ELNS1_3repE0EEENS1_47radix_sort_onesweep_sort_config_static_selectorELNS0_4arch9wavefront6targetE1EEEvSG_.kd
    .uniform_work_group_size: 1
    .uses_dynamic_stack: false
    .vgpr_count:     0
    .vgpr_spill_count: 0
    .wavefront_size: 64
  - .args:
      - .offset:         0
        .size:           88
        .value_kind:     by_value
    .group_segment_fixed_size: 0
    .kernarg_segment_align: 8
    .kernarg_segment_size: 88
    .language:       OpenCL C
    .language_version:
      - 2
      - 0
    .max_flat_workgroup_size: 1024
    .name:           _ZN7rocprim17ROCPRIM_400000_NS6detail17trampoline_kernelINS0_14default_configENS1_35radix_sort_onesweep_config_selectorIdlEEZZNS1_29radix_sort_onesweep_iterationIS3_Lb0EPdS7_N6thrust23THRUST_200600_302600_NS10device_ptrIlEESB_jNS0_19identity_decomposerENS1_16block_id_wrapperIjLb0EEEEE10hipError_tT1_PNSt15iterator_traitsISG_E10value_typeET2_T3_PNSH_ISM_E10value_typeET4_T5_PSR_SS_PNS1_23onesweep_lookback_stateEbbT6_jjT7_P12ihipStream_tbENKUlT_T0_SG_SL_E_clIS7_S7_PlSB_EEDaSZ_S10_SG_SL_EUlSZ_E_NS1_11comp_targetILNS1_3genE5ELNS1_11target_archE942ELNS1_3gpuE9ELNS1_3repE0EEENS1_47radix_sort_onesweep_sort_config_static_selectorELNS0_4arch9wavefront6targetE1EEEvSG_
    .private_segment_fixed_size: 0
    .sgpr_count:     4
    .sgpr_spill_count: 0
    .symbol:         _ZN7rocprim17ROCPRIM_400000_NS6detail17trampoline_kernelINS0_14default_configENS1_35radix_sort_onesweep_config_selectorIdlEEZZNS1_29radix_sort_onesweep_iterationIS3_Lb0EPdS7_N6thrust23THRUST_200600_302600_NS10device_ptrIlEESB_jNS0_19identity_decomposerENS1_16block_id_wrapperIjLb0EEEEE10hipError_tT1_PNSt15iterator_traitsISG_E10value_typeET2_T3_PNSH_ISM_E10value_typeET4_T5_PSR_SS_PNS1_23onesweep_lookback_stateEbbT6_jjT7_P12ihipStream_tbENKUlT_T0_SG_SL_E_clIS7_S7_PlSB_EEDaSZ_S10_SG_SL_EUlSZ_E_NS1_11comp_targetILNS1_3genE5ELNS1_11target_archE942ELNS1_3gpuE9ELNS1_3repE0EEENS1_47radix_sort_onesweep_sort_config_static_selectorELNS0_4arch9wavefront6targetE1EEEvSG_.kd
    .uniform_work_group_size: 1
    .uses_dynamic_stack: false
    .vgpr_count:     0
    .vgpr_spill_count: 0
    .wavefront_size: 64
  - .args:
      - .offset:         0
        .size:           88
        .value_kind:     by_value
      - .offset:         88
        .size:           4
        .value_kind:     hidden_block_count_x
      - .offset:         92
        .size:           4
        .value_kind:     hidden_block_count_y
      - .offset:         96
        .size:           4
        .value_kind:     hidden_block_count_z
      - .offset:         100
        .size:           2
        .value_kind:     hidden_group_size_x
      - .offset:         102
        .size:           2
        .value_kind:     hidden_group_size_y
      - .offset:         104
        .size:           2
        .value_kind:     hidden_group_size_z
      - .offset:         106
        .size:           2
        .value_kind:     hidden_remainder_x
      - .offset:         108
        .size:           2
        .value_kind:     hidden_remainder_y
      - .offset:         110
        .size:           2
        .value_kind:     hidden_remainder_z
      - .offset:         128
        .size:           8
        .value_kind:     hidden_global_offset_x
      - .offset:         136
        .size:           8
        .value_kind:     hidden_global_offset_y
      - .offset:         144
        .size:           8
        .value_kind:     hidden_global_offset_z
      - .offset:         152
        .size:           2
        .value_kind:     hidden_grid_dims
    .group_segment_fixed_size: 10280
    .kernarg_segment_align: 8
    .kernarg_segment_size: 344
    .language:       OpenCL C
    .language_version:
      - 2
      - 0
    .max_flat_workgroup_size: 512
    .name:           _ZN7rocprim17ROCPRIM_400000_NS6detail17trampoline_kernelINS0_14default_configENS1_35radix_sort_onesweep_config_selectorIdlEEZZNS1_29radix_sort_onesweep_iterationIS3_Lb0EPdS7_N6thrust23THRUST_200600_302600_NS10device_ptrIlEESB_jNS0_19identity_decomposerENS1_16block_id_wrapperIjLb0EEEEE10hipError_tT1_PNSt15iterator_traitsISG_E10value_typeET2_T3_PNSH_ISM_E10value_typeET4_T5_PSR_SS_PNS1_23onesweep_lookback_stateEbbT6_jjT7_P12ihipStream_tbENKUlT_T0_SG_SL_E_clIS7_S7_PlSB_EEDaSZ_S10_SG_SL_EUlSZ_E_NS1_11comp_targetILNS1_3genE2ELNS1_11target_archE906ELNS1_3gpuE6ELNS1_3repE0EEENS1_47radix_sort_onesweep_sort_config_static_selectorELNS0_4arch9wavefront6targetE1EEEvSG_
    .private_segment_fixed_size: 32
    .sgpr_count:     58
    .sgpr_spill_count: 0
    .symbol:         _ZN7rocprim17ROCPRIM_400000_NS6detail17trampoline_kernelINS0_14default_configENS1_35radix_sort_onesweep_config_selectorIdlEEZZNS1_29radix_sort_onesweep_iterationIS3_Lb0EPdS7_N6thrust23THRUST_200600_302600_NS10device_ptrIlEESB_jNS0_19identity_decomposerENS1_16block_id_wrapperIjLb0EEEEE10hipError_tT1_PNSt15iterator_traitsISG_E10value_typeET2_T3_PNSH_ISM_E10value_typeET4_T5_PSR_SS_PNS1_23onesweep_lookback_stateEbbT6_jjT7_P12ihipStream_tbENKUlT_T0_SG_SL_E_clIS7_S7_PlSB_EEDaSZ_S10_SG_SL_EUlSZ_E_NS1_11comp_targetILNS1_3genE2ELNS1_11target_archE906ELNS1_3gpuE6ELNS1_3repE0EEENS1_47radix_sort_onesweep_sort_config_static_selectorELNS0_4arch9wavefront6targetE1EEEvSG_.kd
    .uniform_work_group_size: 1
    .uses_dynamic_stack: false
    .vgpr_count:     47
    .vgpr_spill_count: 0
    .wavefront_size: 64
  - .args:
      - .offset:         0
        .size:           88
        .value_kind:     by_value
    .group_segment_fixed_size: 0
    .kernarg_segment_align: 8
    .kernarg_segment_size: 88
    .language:       OpenCL C
    .language_version:
      - 2
      - 0
    .max_flat_workgroup_size: 1024
    .name:           _ZN7rocprim17ROCPRIM_400000_NS6detail17trampoline_kernelINS0_14default_configENS1_35radix_sort_onesweep_config_selectorIdlEEZZNS1_29radix_sort_onesweep_iterationIS3_Lb0EPdS7_N6thrust23THRUST_200600_302600_NS10device_ptrIlEESB_jNS0_19identity_decomposerENS1_16block_id_wrapperIjLb0EEEEE10hipError_tT1_PNSt15iterator_traitsISG_E10value_typeET2_T3_PNSH_ISM_E10value_typeET4_T5_PSR_SS_PNS1_23onesweep_lookback_stateEbbT6_jjT7_P12ihipStream_tbENKUlT_T0_SG_SL_E_clIS7_S7_PlSB_EEDaSZ_S10_SG_SL_EUlSZ_E_NS1_11comp_targetILNS1_3genE4ELNS1_11target_archE910ELNS1_3gpuE8ELNS1_3repE0EEENS1_47radix_sort_onesweep_sort_config_static_selectorELNS0_4arch9wavefront6targetE1EEEvSG_
    .private_segment_fixed_size: 0
    .sgpr_count:     4
    .sgpr_spill_count: 0
    .symbol:         _ZN7rocprim17ROCPRIM_400000_NS6detail17trampoline_kernelINS0_14default_configENS1_35radix_sort_onesweep_config_selectorIdlEEZZNS1_29radix_sort_onesweep_iterationIS3_Lb0EPdS7_N6thrust23THRUST_200600_302600_NS10device_ptrIlEESB_jNS0_19identity_decomposerENS1_16block_id_wrapperIjLb0EEEEE10hipError_tT1_PNSt15iterator_traitsISG_E10value_typeET2_T3_PNSH_ISM_E10value_typeET4_T5_PSR_SS_PNS1_23onesweep_lookback_stateEbbT6_jjT7_P12ihipStream_tbENKUlT_T0_SG_SL_E_clIS7_S7_PlSB_EEDaSZ_S10_SG_SL_EUlSZ_E_NS1_11comp_targetILNS1_3genE4ELNS1_11target_archE910ELNS1_3gpuE8ELNS1_3repE0EEENS1_47radix_sort_onesweep_sort_config_static_selectorELNS0_4arch9wavefront6targetE1EEEvSG_.kd
    .uniform_work_group_size: 1
    .uses_dynamic_stack: false
    .vgpr_count:     0
    .vgpr_spill_count: 0
    .wavefront_size: 64
  - .args:
      - .offset:         0
        .size:           88
        .value_kind:     by_value
    .group_segment_fixed_size: 0
    .kernarg_segment_align: 8
    .kernarg_segment_size: 88
    .language:       OpenCL C
    .language_version:
      - 2
      - 0
    .max_flat_workgroup_size: 512
    .name:           _ZN7rocprim17ROCPRIM_400000_NS6detail17trampoline_kernelINS0_14default_configENS1_35radix_sort_onesweep_config_selectorIdlEEZZNS1_29radix_sort_onesweep_iterationIS3_Lb0EPdS7_N6thrust23THRUST_200600_302600_NS10device_ptrIlEESB_jNS0_19identity_decomposerENS1_16block_id_wrapperIjLb0EEEEE10hipError_tT1_PNSt15iterator_traitsISG_E10value_typeET2_T3_PNSH_ISM_E10value_typeET4_T5_PSR_SS_PNS1_23onesweep_lookback_stateEbbT6_jjT7_P12ihipStream_tbENKUlT_T0_SG_SL_E_clIS7_S7_PlSB_EEDaSZ_S10_SG_SL_EUlSZ_E_NS1_11comp_targetILNS1_3genE3ELNS1_11target_archE908ELNS1_3gpuE7ELNS1_3repE0EEENS1_47radix_sort_onesweep_sort_config_static_selectorELNS0_4arch9wavefront6targetE1EEEvSG_
    .private_segment_fixed_size: 0
    .sgpr_count:     4
    .sgpr_spill_count: 0
    .symbol:         _ZN7rocprim17ROCPRIM_400000_NS6detail17trampoline_kernelINS0_14default_configENS1_35radix_sort_onesweep_config_selectorIdlEEZZNS1_29radix_sort_onesweep_iterationIS3_Lb0EPdS7_N6thrust23THRUST_200600_302600_NS10device_ptrIlEESB_jNS0_19identity_decomposerENS1_16block_id_wrapperIjLb0EEEEE10hipError_tT1_PNSt15iterator_traitsISG_E10value_typeET2_T3_PNSH_ISM_E10value_typeET4_T5_PSR_SS_PNS1_23onesweep_lookback_stateEbbT6_jjT7_P12ihipStream_tbENKUlT_T0_SG_SL_E_clIS7_S7_PlSB_EEDaSZ_S10_SG_SL_EUlSZ_E_NS1_11comp_targetILNS1_3genE3ELNS1_11target_archE908ELNS1_3gpuE7ELNS1_3repE0EEENS1_47radix_sort_onesweep_sort_config_static_selectorELNS0_4arch9wavefront6targetE1EEEvSG_.kd
    .uniform_work_group_size: 1
    .uses_dynamic_stack: false
    .vgpr_count:     0
    .vgpr_spill_count: 0
    .wavefront_size: 64
  - .args:
      - .offset:         0
        .size:           88
        .value_kind:     by_value
    .group_segment_fixed_size: 0
    .kernarg_segment_align: 8
    .kernarg_segment_size: 88
    .language:       OpenCL C
    .language_version:
      - 2
      - 0
    .max_flat_workgroup_size: 1024
    .name:           _ZN7rocprim17ROCPRIM_400000_NS6detail17trampoline_kernelINS0_14default_configENS1_35radix_sort_onesweep_config_selectorIdlEEZZNS1_29radix_sort_onesweep_iterationIS3_Lb0EPdS7_N6thrust23THRUST_200600_302600_NS10device_ptrIlEESB_jNS0_19identity_decomposerENS1_16block_id_wrapperIjLb0EEEEE10hipError_tT1_PNSt15iterator_traitsISG_E10value_typeET2_T3_PNSH_ISM_E10value_typeET4_T5_PSR_SS_PNS1_23onesweep_lookback_stateEbbT6_jjT7_P12ihipStream_tbENKUlT_T0_SG_SL_E_clIS7_S7_PlSB_EEDaSZ_S10_SG_SL_EUlSZ_E_NS1_11comp_targetILNS1_3genE10ELNS1_11target_archE1201ELNS1_3gpuE5ELNS1_3repE0EEENS1_47radix_sort_onesweep_sort_config_static_selectorELNS0_4arch9wavefront6targetE1EEEvSG_
    .private_segment_fixed_size: 0
    .sgpr_count:     4
    .sgpr_spill_count: 0
    .symbol:         _ZN7rocprim17ROCPRIM_400000_NS6detail17trampoline_kernelINS0_14default_configENS1_35radix_sort_onesweep_config_selectorIdlEEZZNS1_29radix_sort_onesweep_iterationIS3_Lb0EPdS7_N6thrust23THRUST_200600_302600_NS10device_ptrIlEESB_jNS0_19identity_decomposerENS1_16block_id_wrapperIjLb0EEEEE10hipError_tT1_PNSt15iterator_traitsISG_E10value_typeET2_T3_PNSH_ISM_E10value_typeET4_T5_PSR_SS_PNS1_23onesweep_lookback_stateEbbT6_jjT7_P12ihipStream_tbENKUlT_T0_SG_SL_E_clIS7_S7_PlSB_EEDaSZ_S10_SG_SL_EUlSZ_E_NS1_11comp_targetILNS1_3genE10ELNS1_11target_archE1201ELNS1_3gpuE5ELNS1_3repE0EEENS1_47radix_sort_onesweep_sort_config_static_selectorELNS0_4arch9wavefront6targetE1EEEvSG_.kd
    .uniform_work_group_size: 1
    .uses_dynamic_stack: false
    .vgpr_count:     0
    .vgpr_spill_count: 0
    .wavefront_size: 64
  - .args:
      - .offset:         0
        .size:           88
        .value_kind:     by_value
    .group_segment_fixed_size: 0
    .kernarg_segment_align: 8
    .kernarg_segment_size: 88
    .language:       OpenCL C
    .language_version:
      - 2
      - 0
    .max_flat_workgroup_size: 1024
    .name:           _ZN7rocprim17ROCPRIM_400000_NS6detail17trampoline_kernelINS0_14default_configENS1_35radix_sort_onesweep_config_selectorIdlEEZZNS1_29radix_sort_onesweep_iterationIS3_Lb0EPdS7_N6thrust23THRUST_200600_302600_NS10device_ptrIlEESB_jNS0_19identity_decomposerENS1_16block_id_wrapperIjLb0EEEEE10hipError_tT1_PNSt15iterator_traitsISG_E10value_typeET2_T3_PNSH_ISM_E10value_typeET4_T5_PSR_SS_PNS1_23onesweep_lookback_stateEbbT6_jjT7_P12ihipStream_tbENKUlT_T0_SG_SL_E_clIS7_S7_PlSB_EEDaSZ_S10_SG_SL_EUlSZ_E_NS1_11comp_targetILNS1_3genE9ELNS1_11target_archE1100ELNS1_3gpuE3ELNS1_3repE0EEENS1_47radix_sort_onesweep_sort_config_static_selectorELNS0_4arch9wavefront6targetE1EEEvSG_
    .private_segment_fixed_size: 0
    .sgpr_count:     4
    .sgpr_spill_count: 0
    .symbol:         _ZN7rocprim17ROCPRIM_400000_NS6detail17trampoline_kernelINS0_14default_configENS1_35radix_sort_onesweep_config_selectorIdlEEZZNS1_29radix_sort_onesweep_iterationIS3_Lb0EPdS7_N6thrust23THRUST_200600_302600_NS10device_ptrIlEESB_jNS0_19identity_decomposerENS1_16block_id_wrapperIjLb0EEEEE10hipError_tT1_PNSt15iterator_traitsISG_E10value_typeET2_T3_PNSH_ISM_E10value_typeET4_T5_PSR_SS_PNS1_23onesweep_lookback_stateEbbT6_jjT7_P12ihipStream_tbENKUlT_T0_SG_SL_E_clIS7_S7_PlSB_EEDaSZ_S10_SG_SL_EUlSZ_E_NS1_11comp_targetILNS1_3genE9ELNS1_11target_archE1100ELNS1_3gpuE3ELNS1_3repE0EEENS1_47radix_sort_onesweep_sort_config_static_selectorELNS0_4arch9wavefront6targetE1EEEvSG_.kd
    .uniform_work_group_size: 1
    .uses_dynamic_stack: false
    .vgpr_count:     0
    .vgpr_spill_count: 0
    .wavefront_size: 64
  - .args:
      - .offset:         0
        .size:           88
        .value_kind:     by_value
    .group_segment_fixed_size: 0
    .kernarg_segment_align: 8
    .kernarg_segment_size: 88
    .language:       OpenCL C
    .language_version:
      - 2
      - 0
    .max_flat_workgroup_size: 1024
    .name:           _ZN7rocprim17ROCPRIM_400000_NS6detail17trampoline_kernelINS0_14default_configENS1_35radix_sort_onesweep_config_selectorIdlEEZZNS1_29radix_sort_onesweep_iterationIS3_Lb0EPdS7_N6thrust23THRUST_200600_302600_NS10device_ptrIlEESB_jNS0_19identity_decomposerENS1_16block_id_wrapperIjLb0EEEEE10hipError_tT1_PNSt15iterator_traitsISG_E10value_typeET2_T3_PNSH_ISM_E10value_typeET4_T5_PSR_SS_PNS1_23onesweep_lookback_stateEbbT6_jjT7_P12ihipStream_tbENKUlT_T0_SG_SL_E_clIS7_S7_PlSB_EEDaSZ_S10_SG_SL_EUlSZ_E_NS1_11comp_targetILNS1_3genE8ELNS1_11target_archE1030ELNS1_3gpuE2ELNS1_3repE0EEENS1_47radix_sort_onesweep_sort_config_static_selectorELNS0_4arch9wavefront6targetE1EEEvSG_
    .private_segment_fixed_size: 0
    .sgpr_count:     4
    .sgpr_spill_count: 0
    .symbol:         _ZN7rocprim17ROCPRIM_400000_NS6detail17trampoline_kernelINS0_14default_configENS1_35radix_sort_onesweep_config_selectorIdlEEZZNS1_29radix_sort_onesweep_iterationIS3_Lb0EPdS7_N6thrust23THRUST_200600_302600_NS10device_ptrIlEESB_jNS0_19identity_decomposerENS1_16block_id_wrapperIjLb0EEEEE10hipError_tT1_PNSt15iterator_traitsISG_E10value_typeET2_T3_PNSH_ISM_E10value_typeET4_T5_PSR_SS_PNS1_23onesweep_lookback_stateEbbT6_jjT7_P12ihipStream_tbENKUlT_T0_SG_SL_E_clIS7_S7_PlSB_EEDaSZ_S10_SG_SL_EUlSZ_E_NS1_11comp_targetILNS1_3genE8ELNS1_11target_archE1030ELNS1_3gpuE2ELNS1_3repE0EEENS1_47radix_sort_onesweep_sort_config_static_selectorELNS0_4arch9wavefront6targetE1EEEvSG_.kd
    .uniform_work_group_size: 1
    .uses_dynamic_stack: false
    .vgpr_count:     0
    .vgpr_spill_count: 0
    .wavefront_size: 64
  - .args:
      - .offset:         0
        .size:           72
        .value_kind:     by_value
    .group_segment_fixed_size: 0
    .kernarg_segment_align: 8
    .kernarg_segment_size: 72
    .language:       OpenCL C
    .language_version:
      - 2
      - 0
    .max_flat_workgroup_size: 256
    .name:           _ZN7rocprim17ROCPRIM_400000_NS6detail17trampoline_kernelINS0_14default_configENS1_22reduce_config_selectorIiEEZNS1_11reduce_implILb1ES3_N6thrust23THRUST_200600_302600_NS11hip_rocprim35transform_pair_of_input_iterators_tIiPdSB_NS8_12not_equal_toIdEEEEPiiNS8_4plusIiEEEE10hipError_tPvRmT1_T2_T3_mT4_P12ihipStream_tbEUlT_E0_NS1_11comp_targetILNS1_3genE0ELNS1_11target_archE4294967295ELNS1_3gpuE0ELNS1_3repE0EEENS1_30default_config_static_selectorELNS0_4arch9wavefront6targetE1EEEvSL_
    .private_segment_fixed_size: 0
    .sgpr_count:     4
    .sgpr_spill_count: 0
    .symbol:         _ZN7rocprim17ROCPRIM_400000_NS6detail17trampoline_kernelINS0_14default_configENS1_22reduce_config_selectorIiEEZNS1_11reduce_implILb1ES3_N6thrust23THRUST_200600_302600_NS11hip_rocprim35transform_pair_of_input_iterators_tIiPdSB_NS8_12not_equal_toIdEEEEPiiNS8_4plusIiEEEE10hipError_tPvRmT1_T2_T3_mT4_P12ihipStream_tbEUlT_E0_NS1_11comp_targetILNS1_3genE0ELNS1_11target_archE4294967295ELNS1_3gpuE0ELNS1_3repE0EEENS1_30default_config_static_selectorELNS0_4arch9wavefront6targetE1EEEvSL_.kd
    .uniform_work_group_size: 1
    .uses_dynamic_stack: false
    .vgpr_count:     0
    .vgpr_spill_count: 0
    .wavefront_size: 64
  - .args:
      - .offset:         0
        .size:           72
        .value_kind:     by_value
    .group_segment_fixed_size: 0
    .kernarg_segment_align: 8
    .kernarg_segment_size: 72
    .language:       OpenCL C
    .language_version:
      - 2
      - 0
    .max_flat_workgroup_size: 256
    .name:           _ZN7rocprim17ROCPRIM_400000_NS6detail17trampoline_kernelINS0_14default_configENS1_22reduce_config_selectorIiEEZNS1_11reduce_implILb1ES3_N6thrust23THRUST_200600_302600_NS11hip_rocprim35transform_pair_of_input_iterators_tIiPdSB_NS8_12not_equal_toIdEEEEPiiNS8_4plusIiEEEE10hipError_tPvRmT1_T2_T3_mT4_P12ihipStream_tbEUlT_E0_NS1_11comp_targetILNS1_3genE5ELNS1_11target_archE942ELNS1_3gpuE9ELNS1_3repE0EEENS1_30default_config_static_selectorELNS0_4arch9wavefront6targetE1EEEvSL_
    .private_segment_fixed_size: 0
    .sgpr_count:     4
    .sgpr_spill_count: 0
    .symbol:         _ZN7rocprim17ROCPRIM_400000_NS6detail17trampoline_kernelINS0_14default_configENS1_22reduce_config_selectorIiEEZNS1_11reduce_implILb1ES3_N6thrust23THRUST_200600_302600_NS11hip_rocprim35transform_pair_of_input_iterators_tIiPdSB_NS8_12not_equal_toIdEEEEPiiNS8_4plusIiEEEE10hipError_tPvRmT1_T2_T3_mT4_P12ihipStream_tbEUlT_E0_NS1_11comp_targetILNS1_3genE5ELNS1_11target_archE942ELNS1_3gpuE9ELNS1_3repE0EEENS1_30default_config_static_selectorELNS0_4arch9wavefront6targetE1EEEvSL_.kd
    .uniform_work_group_size: 1
    .uses_dynamic_stack: false
    .vgpr_count:     0
    .vgpr_spill_count: 0
    .wavefront_size: 64
  - .args:
      - .offset:         0
        .size:           72
        .value_kind:     by_value
    .group_segment_fixed_size: 0
    .kernarg_segment_align: 8
    .kernarg_segment_size: 72
    .language:       OpenCL C
    .language_version:
      - 2
      - 0
    .max_flat_workgroup_size: 128
    .name:           _ZN7rocprim17ROCPRIM_400000_NS6detail17trampoline_kernelINS0_14default_configENS1_22reduce_config_selectorIiEEZNS1_11reduce_implILb1ES3_N6thrust23THRUST_200600_302600_NS11hip_rocprim35transform_pair_of_input_iterators_tIiPdSB_NS8_12not_equal_toIdEEEEPiiNS8_4plusIiEEEE10hipError_tPvRmT1_T2_T3_mT4_P12ihipStream_tbEUlT_E0_NS1_11comp_targetILNS1_3genE4ELNS1_11target_archE910ELNS1_3gpuE8ELNS1_3repE0EEENS1_30default_config_static_selectorELNS0_4arch9wavefront6targetE1EEEvSL_
    .private_segment_fixed_size: 0
    .sgpr_count:     4
    .sgpr_spill_count: 0
    .symbol:         _ZN7rocprim17ROCPRIM_400000_NS6detail17trampoline_kernelINS0_14default_configENS1_22reduce_config_selectorIiEEZNS1_11reduce_implILb1ES3_N6thrust23THRUST_200600_302600_NS11hip_rocprim35transform_pair_of_input_iterators_tIiPdSB_NS8_12not_equal_toIdEEEEPiiNS8_4plusIiEEEE10hipError_tPvRmT1_T2_T3_mT4_P12ihipStream_tbEUlT_E0_NS1_11comp_targetILNS1_3genE4ELNS1_11target_archE910ELNS1_3gpuE8ELNS1_3repE0EEENS1_30default_config_static_selectorELNS0_4arch9wavefront6targetE1EEEvSL_.kd
    .uniform_work_group_size: 1
    .uses_dynamic_stack: false
    .vgpr_count:     0
    .vgpr_spill_count: 0
    .wavefront_size: 64
  - .args:
      - .offset:         0
        .size:           72
        .value_kind:     by_value
    .group_segment_fixed_size: 0
    .kernarg_segment_align: 8
    .kernarg_segment_size: 72
    .language:       OpenCL C
    .language_version:
      - 2
      - 0
    .max_flat_workgroup_size: 256
    .name:           _ZN7rocprim17ROCPRIM_400000_NS6detail17trampoline_kernelINS0_14default_configENS1_22reduce_config_selectorIiEEZNS1_11reduce_implILb1ES3_N6thrust23THRUST_200600_302600_NS11hip_rocprim35transform_pair_of_input_iterators_tIiPdSB_NS8_12not_equal_toIdEEEEPiiNS8_4plusIiEEEE10hipError_tPvRmT1_T2_T3_mT4_P12ihipStream_tbEUlT_E0_NS1_11comp_targetILNS1_3genE3ELNS1_11target_archE908ELNS1_3gpuE7ELNS1_3repE0EEENS1_30default_config_static_selectorELNS0_4arch9wavefront6targetE1EEEvSL_
    .private_segment_fixed_size: 0
    .sgpr_count:     4
    .sgpr_spill_count: 0
    .symbol:         _ZN7rocprim17ROCPRIM_400000_NS6detail17trampoline_kernelINS0_14default_configENS1_22reduce_config_selectorIiEEZNS1_11reduce_implILb1ES3_N6thrust23THRUST_200600_302600_NS11hip_rocprim35transform_pair_of_input_iterators_tIiPdSB_NS8_12not_equal_toIdEEEEPiiNS8_4plusIiEEEE10hipError_tPvRmT1_T2_T3_mT4_P12ihipStream_tbEUlT_E0_NS1_11comp_targetILNS1_3genE3ELNS1_11target_archE908ELNS1_3gpuE7ELNS1_3repE0EEENS1_30default_config_static_selectorELNS0_4arch9wavefront6targetE1EEEvSL_.kd
    .uniform_work_group_size: 1
    .uses_dynamic_stack: false
    .vgpr_count:     0
    .vgpr_spill_count: 0
    .wavefront_size: 64
  - .args:
      - .offset:         0
        .size:           72
        .value_kind:     by_value
    .group_segment_fixed_size: 32
    .kernarg_segment_align: 8
    .kernarg_segment_size: 72
    .language:       OpenCL C
    .language_version:
      - 2
      - 0
    .max_flat_workgroup_size: 256
    .name:           _ZN7rocprim17ROCPRIM_400000_NS6detail17trampoline_kernelINS0_14default_configENS1_22reduce_config_selectorIiEEZNS1_11reduce_implILb1ES3_N6thrust23THRUST_200600_302600_NS11hip_rocprim35transform_pair_of_input_iterators_tIiPdSB_NS8_12not_equal_toIdEEEEPiiNS8_4plusIiEEEE10hipError_tPvRmT1_T2_T3_mT4_P12ihipStream_tbEUlT_E0_NS1_11comp_targetILNS1_3genE2ELNS1_11target_archE906ELNS1_3gpuE6ELNS1_3repE0EEENS1_30default_config_static_selectorELNS0_4arch9wavefront6targetE1EEEvSL_
    .private_segment_fixed_size: 0
    .sgpr_count:     28
    .sgpr_spill_count: 0
    .symbol:         _ZN7rocprim17ROCPRIM_400000_NS6detail17trampoline_kernelINS0_14default_configENS1_22reduce_config_selectorIiEEZNS1_11reduce_implILb1ES3_N6thrust23THRUST_200600_302600_NS11hip_rocprim35transform_pair_of_input_iterators_tIiPdSB_NS8_12not_equal_toIdEEEEPiiNS8_4plusIiEEEE10hipError_tPvRmT1_T2_T3_mT4_P12ihipStream_tbEUlT_E0_NS1_11comp_targetILNS1_3genE2ELNS1_11target_archE906ELNS1_3gpuE6ELNS1_3repE0EEENS1_30default_config_static_selectorELNS0_4arch9wavefront6targetE1EEEvSL_.kd
    .uniform_work_group_size: 1
    .uses_dynamic_stack: false
    .vgpr_count:     23
    .vgpr_spill_count: 0
    .wavefront_size: 64
  - .args:
      - .offset:         0
        .size:           72
        .value_kind:     by_value
    .group_segment_fixed_size: 0
    .kernarg_segment_align: 8
    .kernarg_segment_size: 72
    .language:       OpenCL C
    .language_version:
      - 2
      - 0
    .max_flat_workgroup_size: 256
    .name:           _ZN7rocprim17ROCPRIM_400000_NS6detail17trampoline_kernelINS0_14default_configENS1_22reduce_config_selectorIiEEZNS1_11reduce_implILb1ES3_N6thrust23THRUST_200600_302600_NS11hip_rocprim35transform_pair_of_input_iterators_tIiPdSB_NS8_12not_equal_toIdEEEEPiiNS8_4plusIiEEEE10hipError_tPvRmT1_T2_T3_mT4_P12ihipStream_tbEUlT_E0_NS1_11comp_targetILNS1_3genE10ELNS1_11target_archE1201ELNS1_3gpuE5ELNS1_3repE0EEENS1_30default_config_static_selectorELNS0_4arch9wavefront6targetE1EEEvSL_
    .private_segment_fixed_size: 0
    .sgpr_count:     4
    .sgpr_spill_count: 0
    .symbol:         _ZN7rocprim17ROCPRIM_400000_NS6detail17trampoline_kernelINS0_14default_configENS1_22reduce_config_selectorIiEEZNS1_11reduce_implILb1ES3_N6thrust23THRUST_200600_302600_NS11hip_rocprim35transform_pair_of_input_iterators_tIiPdSB_NS8_12not_equal_toIdEEEEPiiNS8_4plusIiEEEE10hipError_tPvRmT1_T2_T3_mT4_P12ihipStream_tbEUlT_E0_NS1_11comp_targetILNS1_3genE10ELNS1_11target_archE1201ELNS1_3gpuE5ELNS1_3repE0EEENS1_30default_config_static_selectorELNS0_4arch9wavefront6targetE1EEEvSL_.kd
    .uniform_work_group_size: 1
    .uses_dynamic_stack: false
    .vgpr_count:     0
    .vgpr_spill_count: 0
    .wavefront_size: 64
  - .args:
      - .offset:         0
        .size:           72
        .value_kind:     by_value
    .group_segment_fixed_size: 0
    .kernarg_segment_align: 8
    .kernarg_segment_size: 72
    .language:       OpenCL C
    .language_version:
      - 2
      - 0
    .max_flat_workgroup_size: 256
    .name:           _ZN7rocprim17ROCPRIM_400000_NS6detail17trampoline_kernelINS0_14default_configENS1_22reduce_config_selectorIiEEZNS1_11reduce_implILb1ES3_N6thrust23THRUST_200600_302600_NS11hip_rocprim35transform_pair_of_input_iterators_tIiPdSB_NS8_12not_equal_toIdEEEEPiiNS8_4plusIiEEEE10hipError_tPvRmT1_T2_T3_mT4_P12ihipStream_tbEUlT_E0_NS1_11comp_targetILNS1_3genE10ELNS1_11target_archE1200ELNS1_3gpuE4ELNS1_3repE0EEENS1_30default_config_static_selectorELNS0_4arch9wavefront6targetE1EEEvSL_
    .private_segment_fixed_size: 0
    .sgpr_count:     4
    .sgpr_spill_count: 0
    .symbol:         _ZN7rocprim17ROCPRIM_400000_NS6detail17trampoline_kernelINS0_14default_configENS1_22reduce_config_selectorIiEEZNS1_11reduce_implILb1ES3_N6thrust23THRUST_200600_302600_NS11hip_rocprim35transform_pair_of_input_iterators_tIiPdSB_NS8_12not_equal_toIdEEEEPiiNS8_4plusIiEEEE10hipError_tPvRmT1_T2_T3_mT4_P12ihipStream_tbEUlT_E0_NS1_11comp_targetILNS1_3genE10ELNS1_11target_archE1200ELNS1_3gpuE4ELNS1_3repE0EEENS1_30default_config_static_selectorELNS0_4arch9wavefront6targetE1EEEvSL_.kd
    .uniform_work_group_size: 1
    .uses_dynamic_stack: false
    .vgpr_count:     0
    .vgpr_spill_count: 0
    .wavefront_size: 64
  - .args:
      - .offset:         0
        .size:           72
        .value_kind:     by_value
    .group_segment_fixed_size: 0
    .kernarg_segment_align: 8
    .kernarg_segment_size: 72
    .language:       OpenCL C
    .language_version:
      - 2
      - 0
    .max_flat_workgroup_size: 256
    .name:           _ZN7rocprim17ROCPRIM_400000_NS6detail17trampoline_kernelINS0_14default_configENS1_22reduce_config_selectorIiEEZNS1_11reduce_implILb1ES3_N6thrust23THRUST_200600_302600_NS11hip_rocprim35transform_pair_of_input_iterators_tIiPdSB_NS8_12not_equal_toIdEEEEPiiNS8_4plusIiEEEE10hipError_tPvRmT1_T2_T3_mT4_P12ihipStream_tbEUlT_E0_NS1_11comp_targetILNS1_3genE9ELNS1_11target_archE1100ELNS1_3gpuE3ELNS1_3repE0EEENS1_30default_config_static_selectorELNS0_4arch9wavefront6targetE1EEEvSL_
    .private_segment_fixed_size: 0
    .sgpr_count:     4
    .sgpr_spill_count: 0
    .symbol:         _ZN7rocprim17ROCPRIM_400000_NS6detail17trampoline_kernelINS0_14default_configENS1_22reduce_config_selectorIiEEZNS1_11reduce_implILb1ES3_N6thrust23THRUST_200600_302600_NS11hip_rocprim35transform_pair_of_input_iterators_tIiPdSB_NS8_12not_equal_toIdEEEEPiiNS8_4plusIiEEEE10hipError_tPvRmT1_T2_T3_mT4_P12ihipStream_tbEUlT_E0_NS1_11comp_targetILNS1_3genE9ELNS1_11target_archE1100ELNS1_3gpuE3ELNS1_3repE0EEENS1_30default_config_static_selectorELNS0_4arch9wavefront6targetE1EEEvSL_.kd
    .uniform_work_group_size: 1
    .uses_dynamic_stack: false
    .vgpr_count:     0
    .vgpr_spill_count: 0
    .wavefront_size: 64
  - .args:
      - .offset:         0
        .size:           72
        .value_kind:     by_value
    .group_segment_fixed_size: 0
    .kernarg_segment_align: 8
    .kernarg_segment_size: 72
    .language:       OpenCL C
    .language_version:
      - 2
      - 0
    .max_flat_workgroup_size: 256
    .name:           _ZN7rocprim17ROCPRIM_400000_NS6detail17trampoline_kernelINS0_14default_configENS1_22reduce_config_selectorIiEEZNS1_11reduce_implILb1ES3_N6thrust23THRUST_200600_302600_NS11hip_rocprim35transform_pair_of_input_iterators_tIiPdSB_NS8_12not_equal_toIdEEEEPiiNS8_4plusIiEEEE10hipError_tPvRmT1_T2_T3_mT4_P12ihipStream_tbEUlT_E0_NS1_11comp_targetILNS1_3genE8ELNS1_11target_archE1030ELNS1_3gpuE2ELNS1_3repE0EEENS1_30default_config_static_selectorELNS0_4arch9wavefront6targetE1EEEvSL_
    .private_segment_fixed_size: 0
    .sgpr_count:     4
    .sgpr_spill_count: 0
    .symbol:         _ZN7rocprim17ROCPRIM_400000_NS6detail17trampoline_kernelINS0_14default_configENS1_22reduce_config_selectorIiEEZNS1_11reduce_implILb1ES3_N6thrust23THRUST_200600_302600_NS11hip_rocprim35transform_pair_of_input_iterators_tIiPdSB_NS8_12not_equal_toIdEEEEPiiNS8_4plusIiEEEE10hipError_tPvRmT1_T2_T3_mT4_P12ihipStream_tbEUlT_E0_NS1_11comp_targetILNS1_3genE8ELNS1_11target_archE1030ELNS1_3gpuE2ELNS1_3repE0EEENS1_30default_config_static_selectorELNS0_4arch9wavefront6targetE1EEEvSL_.kd
    .uniform_work_group_size: 1
    .uses_dynamic_stack: false
    .vgpr_count:     0
    .vgpr_spill_count: 0
    .wavefront_size: 64
  - .args:
      - .offset:         0
        .size:           56
        .value_kind:     by_value
    .group_segment_fixed_size: 0
    .kernarg_segment_align: 8
    .kernarg_segment_size: 56
    .language:       OpenCL C
    .language_version:
      - 2
      - 0
    .max_flat_workgroup_size: 256
    .name:           _ZN7rocprim17ROCPRIM_400000_NS6detail17trampoline_kernelINS0_14default_configENS1_22reduce_config_selectorIiEEZNS1_11reduce_implILb1ES3_N6thrust23THRUST_200600_302600_NS11hip_rocprim35transform_pair_of_input_iterators_tIiPdSB_NS8_12not_equal_toIdEEEEPiiNS8_4plusIiEEEE10hipError_tPvRmT1_T2_T3_mT4_P12ihipStream_tbEUlT_E1_NS1_11comp_targetILNS1_3genE0ELNS1_11target_archE4294967295ELNS1_3gpuE0ELNS1_3repE0EEENS1_30default_config_static_selectorELNS0_4arch9wavefront6targetE1EEEvSL_
    .private_segment_fixed_size: 0
    .sgpr_count:     4
    .sgpr_spill_count: 0
    .symbol:         _ZN7rocprim17ROCPRIM_400000_NS6detail17trampoline_kernelINS0_14default_configENS1_22reduce_config_selectorIiEEZNS1_11reduce_implILb1ES3_N6thrust23THRUST_200600_302600_NS11hip_rocprim35transform_pair_of_input_iterators_tIiPdSB_NS8_12not_equal_toIdEEEEPiiNS8_4plusIiEEEE10hipError_tPvRmT1_T2_T3_mT4_P12ihipStream_tbEUlT_E1_NS1_11comp_targetILNS1_3genE0ELNS1_11target_archE4294967295ELNS1_3gpuE0ELNS1_3repE0EEENS1_30default_config_static_selectorELNS0_4arch9wavefront6targetE1EEEvSL_.kd
    .uniform_work_group_size: 1
    .uses_dynamic_stack: false
    .vgpr_count:     0
    .vgpr_spill_count: 0
    .wavefront_size: 64
  - .args:
      - .offset:         0
        .size:           56
        .value_kind:     by_value
    .group_segment_fixed_size: 0
    .kernarg_segment_align: 8
    .kernarg_segment_size: 56
    .language:       OpenCL C
    .language_version:
      - 2
      - 0
    .max_flat_workgroup_size: 256
    .name:           _ZN7rocprim17ROCPRIM_400000_NS6detail17trampoline_kernelINS0_14default_configENS1_22reduce_config_selectorIiEEZNS1_11reduce_implILb1ES3_N6thrust23THRUST_200600_302600_NS11hip_rocprim35transform_pair_of_input_iterators_tIiPdSB_NS8_12not_equal_toIdEEEEPiiNS8_4plusIiEEEE10hipError_tPvRmT1_T2_T3_mT4_P12ihipStream_tbEUlT_E1_NS1_11comp_targetILNS1_3genE5ELNS1_11target_archE942ELNS1_3gpuE9ELNS1_3repE0EEENS1_30default_config_static_selectorELNS0_4arch9wavefront6targetE1EEEvSL_
    .private_segment_fixed_size: 0
    .sgpr_count:     4
    .sgpr_spill_count: 0
    .symbol:         _ZN7rocprim17ROCPRIM_400000_NS6detail17trampoline_kernelINS0_14default_configENS1_22reduce_config_selectorIiEEZNS1_11reduce_implILb1ES3_N6thrust23THRUST_200600_302600_NS11hip_rocprim35transform_pair_of_input_iterators_tIiPdSB_NS8_12not_equal_toIdEEEEPiiNS8_4plusIiEEEE10hipError_tPvRmT1_T2_T3_mT4_P12ihipStream_tbEUlT_E1_NS1_11comp_targetILNS1_3genE5ELNS1_11target_archE942ELNS1_3gpuE9ELNS1_3repE0EEENS1_30default_config_static_selectorELNS0_4arch9wavefront6targetE1EEEvSL_.kd
    .uniform_work_group_size: 1
    .uses_dynamic_stack: false
    .vgpr_count:     0
    .vgpr_spill_count: 0
    .wavefront_size: 64
  - .args:
      - .offset:         0
        .size:           56
        .value_kind:     by_value
    .group_segment_fixed_size: 0
    .kernarg_segment_align: 8
    .kernarg_segment_size: 56
    .language:       OpenCL C
    .language_version:
      - 2
      - 0
    .max_flat_workgroup_size: 128
    .name:           _ZN7rocprim17ROCPRIM_400000_NS6detail17trampoline_kernelINS0_14default_configENS1_22reduce_config_selectorIiEEZNS1_11reduce_implILb1ES3_N6thrust23THRUST_200600_302600_NS11hip_rocprim35transform_pair_of_input_iterators_tIiPdSB_NS8_12not_equal_toIdEEEEPiiNS8_4plusIiEEEE10hipError_tPvRmT1_T2_T3_mT4_P12ihipStream_tbEUlT_E1_NS1_11comp_targetILNS1_3genE4ELNS1_11target_archE910ELNS1_3gpuE8ELNS1_3repE0EEENS1_30default_config_static_selectorELNS0_4arch9wavefront6targetE1EEEvSL_
    .private_segment_fixed_size: 0
    .sgpr_count:     4
    .sgpr_spill_count: 0
    .symbol:         _ZN7rocprim17ROCPRIM_400000_NS6detail17trampoline_kernelINS0_14default_configENS1_22reduce_config_selectorIiEEZNS1_11reduce_implILb1ES3_N6thrust23THRUST_200600_302600_NS11hip_rocprim35transform_pair_of_input_iterators_tIiPdSB_NS8_12not_equal_toIdEEEEPiiNS8_4plusIiEEEE10hipError_tPvRmT1_T2_T3_mT4_P12ihipStream_tbEUlT_E1_NS1_11comp_targetILNS1_3genE4ELNS1_11target_archE910ELNS1_3gpuE8ELNS1_3repE0EEENS1_30default_config_static_selectorELNS0_4arch9wavefront6targetE1EEEvSL_.kd
    .uniform_work_group_size: 1
    .uses_dynamic_stack: false
    .vgpr_count:     0
    .vgpr_spill_count: 0
    .wavefront_size: 64
  - .args:
      - .offset:         0
        .size:           56
        .value_kind:     by_value
    .group_segment_fixed_size: 0
    .kernarg_segment_align: 8
    .kernarg_segment_size: 56
    .language:       OpenCL C
    .language_version:
      - 2
      - 0
    .max_flat_workgroup_size: 256
    .name:           _ZN7rocprim17ROCPRIM_400000_NS6detail17trampoline_kernelINS0_14default_configENS1_22reduce_config_selectorIiEEZNS1_11reduce_implILb1ES3_N6thrust23THRUST_200600_302600_NS11hip_rocprim35transform_pair_of_input_iterators_tIiPdSB_NS8_12not_equal_toIdEEEEPiiNS8_4plusIiEEEE10hipError_tPvRmT1_T2_T3_mT4_P12ihipStream_tbEUlT_E1_NS1_11comp_targetILNS1_3genE3ELNS1_11target_archE908ELNS1_3gpuE7ELNS1_3repE0EEENS1_30default_config_static_selectorELNS0_4arch9wavefront6targetE1EEEvSL_
    .private_segment_fixed_size: 0
    .sgpr_count:     4
    .sgpr_spill_count: 0
    .symbol:         _ZN7rocprim17ROCPRIM_400000_NS6detail17trampoline_kernelINS0_14default_configENS1_22reduce_config_selectorIiEEZNS1_11reduce_implILb1ES3_N6thrust23THRUST_200600_302600_NS11hip_rocprim35transform_pair_of_input_iterators_tIiPdSB_NS8_12not_equal_toIdEEEEPiiNS8_4plusIiEEEE10hipError_tPvRmT1_T2_T3_mT4_P12ihipStream_tbEUlT_E1_NS1_11comp_targetILNS1_3genE3ELNS1_11target_archE908ELNS1_3gpuE7ELNS1_3repE0EEENS1_30default_config_static_selectorELNS0_4arch9wavefront6targetE1EEEvSL_.kd
    .uniform_work_group_size: 1
    .uses_dynamic_stack: false
    .vgpr_count:     0
    .vgpr_spill_count: 0
    .wavefront_size: 64
  - .args:
      - .offset:         0
        .size:           56
        .value_kind:     by_value
    .group_segment_fixed_size: 112
    .kernarg_segment_align: 8
    .kernarg_segment_size: 56
    .language:       OpenCL C
    .language_version:
      - 2
      - 0
    .max_flat_workgroup_size: 256
    .name:           _ZN7rocprim17ROCPRIM_400000_NS6detail17trampoline_kernelINS0_14default_configENS1_22reduce_config_selectorIiEEZNS1_11reduce_implILb1ES3_N6thrust23THRUST_200600_302600_NS11hip_rocprim35transform_pair_of_input_iterators_tIiPdSB_NS8_12not_equal_toIdEEEEPiiNS8_4plusIiEEEE10hipError_tPvRmT1_T2_T3_mT4_P12ihipStream_tbEUlT_E1_NS1_11comp_targetILNS1_3genE2ELNS1_11target_archE906ELNS1_3gpuE6ELNS1_3repE0EEENS1_30default_config_static_selectorELNS0_4arch9wavefront6targetE1EEEvSL_
    .private_segment_fixed_size: 0
    .sgpr_count:     53
    .sgpr_spill_count: 0
    .symbol:         _ZN7rocprim17ROCPRIM_400000_NS6detail17trampoline_kernelINS0_14default_configENS1_22reduce_config_selectorIiEEZNS1_11reduce_implILb1ES3_N6thrust23THRUST_200600_302600_NS11hip_rocprim35transform_pair_of_input_iterators_tIiPdSB_NS8_12not_equal_toIdEEEEPiiNS8_4plusIiEEEE10hipError_tPvRmT1_T2_T3_mT4_P12ihipStream_tbEUlT_E1_NS1_11comp_targetILNS1_3genE2ELNS1_11target_archE906ELNS1_3gpuE6ELNS1_3repE0EEENS1_30default_config_static_selectorELNS0_4arch9wavefront6targetE1EEEvSL_.kd
    .uniform_work_group_size: 1
    .uses_dynamic_stack: false
    .vgpr_count:     44
    .vgpr_spill_count: 0
    .wavefront_size: 64
  - .args:
      - .offset:         0
        .size:           56
        .value_kind:     by_value
    .group_segment_fixed_size: 0
    .kernarg_segment_align: 8
    .kernarg_segment_size: 56
    .language:       OpenCL C
    .language_version:
      - 2
      - 0
    .max_flat_workgroup_size: 256
    .name:           _ZN7rocprim17ROCPRIM_400000_NS6detail17trampoline_kernelINS0_14default_configENS1_22reduce_config_selectorIiEEZNS1_11reduce_implILb1ES3_N6thrust23THRUST_200600_302600_NS11hip_rocprim35transform_pair_of_input_iterators_tIiPdSB_NS8_12not_equal_toIdEEEEPiiNS8_4plusIiEEEE10hipError_tPvRmT1_T2_T3_mT4_P12ihipStream_tbEUlT_E1_NS1_11comp_targetILNS1_3genE10ELNS1_11target_archE1201ELNS1_3gpuE5ELNS1_3repE0EEENS1_30default_config_static_selectorELNS0_4arch9wavefront6targetE1EEEvSL_
    .private_segment_fixed_size: 0
    .sgpr_count:     4
    .sgpr_spill_count: 0
    .symbol:         _ZN7rocprim17ROCPRIM_400000_NS6detail17trampoline_kernelINS0_14default_configENS1_22reduce_config_selectorIiEEZNS1_11reduce_implILb1ES3_N6thrust23THRUST_200600_302600_NS11hip_rocprim35transform_pair_of_input_iterators_tIiPdSB_NS8_12not_equal_toIdEEEEPiiNS8_4plusIiEEEE10hipError_tPvRmT1_T2_T3_mT4_P12ihipStream_tbEUlT_E1_NS1_11comp_targetILNS1_3genE10ELNS1_11target_archE1201ELNS1_3gpuE5ELNS1_3repE0EEENS1_30default_config_static_selectorELNS0_4arch9wavefront6targetE1EEEvSL_.kd
    .uniform_work_group_size: 1
    .uses_dynamic_stack: false
    .vgpr_count:     0
    .vgpr_spill_count: 0
    .wavefront_size: 64
  - .args:
      - .offset:         0
        .size:           56
        .value_kind:     by_value
    .group_segment_fixed_size: 0
    .kernarg_segment_align: 8
    .kernarg_segment_size: 56
    .language:       OpenCL C
    .language_version:
      - 2
      - 0
    .max_flat_workgroup_size: 256
    .name:           _ZN7rocprim17ROCPRIM_400000_NS6detail17trampoline_kernelINS0_14default_configENS1_22reduce_config_selectorIiEEZNS1_11reduce_implILb1ES3_N6thrust23THRUST_200600_302600_NS11hip_rocprim35transform_pair_of_input_iterators_tIiPdSB_NS8_12not_equal_toIdEEEEPiiNS8_4plusIiEEEE10hipError_tPvRmT1_T2_T3_mT4_P12ihipStream_tbEUlT_E1_NS1_11comp_targetILNS1_3genE10ELNS1_11target_archE1200ELNS1_3gpuE4ELNS1_3repE0EEENS1_30default_config_static_selectorELNS0_4arch9wavefront6targetE1EEEvSL_
    .private_segment_fixed_size: 0
    .sgpr_count:     4
    .sgpr_spill_count: 0
    .symbol:         _ZN7rocprim17ROCPRIM_400000_NS6detail17trampoline_kernelINS0_14default_configENS1_22reduce_config_selectorIiEEZNS1_11reduce_implILb1ES3_N6thrust23THRUST_200600_302600_NS11hip_rocprim35transform_pair_of_input_iterators_tIiPdSB_NS8_12not_equal_toIdEEEEPiiNS8_4plusIiEEEE10hipError_tPvRmT1_T2_T3_mT4_P12ihipStream_tbEUlT_E1_NS1_11comp_targetILNS1_3genE10ELNS1_11target_archE1200ELNS1_3gpuE4ELNS1_3repE0EEENS1_30default_config_static_selectorELNS0_4arch9wavefront6targetE1EEEvSL_.kd
    .uniform_work_group_size: 1
    .uses_dynamic_stack: false
    .vgpr_count:     0
    .vgpr_spill_count: 0
    .wavefront_size: 64
  - .args:
      - .offset:         0
        .size:           56
        .value_kind:     by_value
    .group_segment_fixed_size: 0
    .kernarg_segment_align: 8
    .kernarg_segment_size: 56
    .language:       OpenCL C
    .language_version:
      - 2
      - 0
    .max_flat_workgroup_size: 256
    .name:           _ZN7rocprim17ROCPRIM_400000_NS6detail17trampoline_kernelINS0_14default_configENS1_22reduce_config_selectorIiEEZNS1_11reduce_implILb1ES3_N6thrust23THRUST_200600_302600_NS11hip_rocprim35transform_pair_of_input_iterators_tIiPdSB_NS8_12not_equal_toIdEEEEPiiNS8_4plusIiEEEE10hipError_tPvRmT1_T2_T3_mT4_P12ihipStream_tbEUlT_E1_NS1_11comp_targetILNS1_3genE9ELNS1_11target_archE1100ELNS1_3gpuE3ELNS1_3repE0EEENS1_30default_config_static_selectorELNS0_4arch9wavefront6targetE1EEEvSL_
    .private_segment_fixed_size: 0
    .sgpr_count:     4
    .sgpr_spill_count: 0
    .symbol:         _ZN7rocprim17ROCPRIM_400000_NS6detail17trampoline_kernelINS0_14default_configENS1_22reduce_config_selectorIiEEZNS1_11reduce_implILb1ES3_N6thrust23THRUST_200600_302600_NS11hip_rocprim35transform_pair_of_input_iterators_tIiPdSB_NS8_12not_equal_toIdEEEEPiiNS8_4plusIiEEEE10hipError_tPvRmT1_T2_T3_mT4_P12ihipStream_tbEUlT_E1_NS1_11comp_targetILNS1_3genE9ELNS1_11target_archE1100ELNS1_3gpuE3ELNS1_3repE0EEENS1_30default_config_static_selectorELNS0_4arch9wavefront6targetE1EEEvSL_.kd
    .uniform_work_group_size: 1
    .uses_dynamic_stack: false
    .vgpr_count:     0
    .vgpr_spill_count: 0
    .wavefront_size: 64
  - .args:
      - .offset:         0
        .size:           56
        .value_kind:     by_value
    .group_segment_fixed_size: 0
    .kernarg_segment_align: 8
    .kernarg_segment_size: 56
    .language:       OpenCL C
    .language_version:
      - 2
      - 0
    .max_flat_workgroup_size: 256
    .name:           _ZN7rocprim17ROCPRIM_400000_NS6detail17trampoline_kernelINS0_14default_configENS1_22reduce_config_selectorIiEEZNS1_11reduce_implILb1ES3_N6thrust23THRUST_200600_302600_NS11hip_rocprim35transform_pair_of_input_iterators_tIiPdSB_NS8_12not_equal_toIdEEEEPiiNS8_4plusIiEEEE10hipError_tPvRmT1_T2_T3_mT4_P12ihipStream_tbEUlT_E1_NS1_11comp_targetILNS1_3genE8ELNS1_11target_archE1030ELNS1_3gpuE2ELNS1_3repE0EEENS1_30default_config_static_selectorELNS0_4arch9wavefront6targetE1EEEvSL_
    .private_segment_fixed_size: 0
    .sgpr_count:     4
    .sgpr_spill_count: 0
    .symbol:         _ZN7rocprim17ROCPRIM_400000_NS6detail17trampoline_kernelINS0_14default_configENS1_22reduce_config_selectorIiEEZNS1_11reduce_implILb1ES3_N6thrust23THRUST_200600_302600_NS11hip_rocprim35transform_pair_of_input_iterators_tIiPdSB_NS8_12not_equal_toIdEEEEPiiNS8_4plusIiEEEE10hipError_tPvRmT1_T2_T3_mT4_P12ihipStream_tbEUlT_E1_NS1_11comp_targetILNS1_3genE8ELNS1_11target_archE1030ELNS1_3gpuE2ELNS1_3repE0EEENS1_30default_config_static_selectorELNS0_4arch9wavefront6targetE1EEEvSL_.kd
    .uniform_work_group_size: 1
    .uses_dynamic_stack: false
    .vgpr_count:     0
    .vgpr_spill_count: 0
    .wavefront_size: 64
  - .args:
      - .offset:         0
        .size:           144
        .value_kind:     by_value
    .group_segment_fixed_size: 0
    .kernarg_segment_align: 8
    .kernarg_segment_size: 144
    .language:       OpenCL C
    .language_version:
      - 2
      - 0
    .max_flat_workgroup_size: 256
    .name:           _ZN7rocprim17ROCPRIM_400000_NS6detail17trampoline_kernelINS0_14default_configENS1_29reduce_by_key_config_selectorIdlN6thrust23THRUST_200600_302600_NS4plusIlEEEEZZNS1_33reduce_by_key_impl_wrapped_configILNS1_25lookback_scan_determinismE0ES3_S9_PdNS6_17constant_iteratorIiNS6_11use_defaultESE_EENS6_10device_ptrIdEENSG_IlEEPmS8_NS6_8equal_toIdEEEE10hipError_tPvRmT2_T3_mT4_T5_T6_T7_T8_P12ihipStream_tbENKUlT_T0_E_clISt17integral_constantIbLb0EES13_EEDaSY_SZ_EUlSY_E_NS1_11comp_targetILNS1_3genE0ELNS1_11target_archE4294967295ELNS1_3gpuE0ELNS1_3repE0EEENS1_30default_config_static_selectorELNS0_4arch9wavefront6targetE1EEEvT1_
    .private_segment_fixed_size: 0
    .sgpr_count:     4
    .sgpr_spill_count: 0
    .symbol:         _ZN7rocprim17ROCPRIM_400000_NS6detail17trampoline_kernelINS0_14default_configENS1_29reduce_by_key_config_selectorIdlN6thrust23THRUST_200600_302600_NS4plusIlEEEEZZNS1_33reduce_by_key_impl_wrapped_configILNS1_25lookback_scan_determinismE0ES3_S9_PdNS6_17constant_iteratorIiNS6_11use_defaultESE_EENS6_10device_ptrIdEENSG_IlEEPmS8_NS6_8equal_toIdEEEE10hipError_tPvRmT2_T3_mT4_T5_T6_T7_T8_P12ihipStream_tbENKUlT_T0_E_clISt17integral_constantIbLb0EES13_EEDaSY_SZ_EUlSY_E_NS1_11comp_targetILNS1_3genE0ELNS1_11target_archE4294967295ELNS1_3gpuE0ELNS1_3repE0EEENS1_30default_config_static_selectorELNS0_4arch9wavefront6targetE1EEEvT1_.kd
    .uniform_work_group_size: 1
    .uses_dynamic_stack: false
    .vgpr_count:     0
    .vgpr_spill_count: 0
    .wavefront_size: 64
  - .args:
      - .offset:         0
        .size:           144
        .value_kind:     by_value
    .group_segment_fixed_size: 0
    .kernarg_segment_align: 8
    .kernarg_segment_size: 144
    .language:       OpenCL C
    .language_version:
      - 2
      - 0
    .max_flat_workgroup_size: 256
    .name:           _ZN7rocprim17ROCPRIM_400000_NS6detail17trampoline_kernelINS0_14default_configENS1_29reduce_by_key_config_selectorIdlN6thrust23THRUST_200600_302600_NS4plusIlEEEEZZNS1_33reduce_by_key_impl_wrapped_configILNS1_25lookback_scan_determinismE0ES3_S9_PdNS6_17constant_iteratorIiNS6_11use_defaultESE_EENS6_10device_ptrIdEENSG_IlEEPmS8_NS6_8equal_toIdEEEE10hipError_tPvRmT2_T3_mT4_T5_T6_T7_T8_P12ihipStream_tbENKUlT_T0_E_clISt17integral_constantIbLb0EES13_EEDaSY_SZ_EUlSY_E_NS1_11comp_targetILNS1_3genE5ELNS1_11target_archE942ELNS1_3gpuE9ELNS1_3repE0EEENS1_30default_config_static_selectorELNS0_4arch9wavefront6targetE1EEEvT1_
    .private_segment_fixed_size: 0
    .sgpr_count:     4
    .sgpr_spill_count: 0
    .symbol:         _ZN7rocprim17ROCPRIM_400000_NS6detail17trampoline_kernelINS0_14default_configENS1_29reduce_by_key_config_selectorIdlN6thrust23THRUST_200600_302600_NS4plusIlEEEEZZNS1_33reduce_by_key_impl_wrapped_configILNS1_25lookback_scan_determinismE0ES3_S9_PdNS6_17constant_iteratorIiNS6_11use_defaultESE_EENS6_10device_ptrIdEENSG_IlEEPmS8_NS6_8equal_toIdEEEE10hipError_tPvRmT2_T3_mT4_T5_T6_T7_T8_P12ihipStream_tbENKUlT_T0_E_clISt17integral_constantIbLb0EES13_EEDaSY_SZ_EUlSY_E_NS1_11comp_targetILNS1_3genE5ELNS1_11target_archE942ELNS1_3gpuE9ELNS1_3repE0EEENS1_30default_config_static_selectorELNS0_4arch9wavefront6targetE1EEEvT1_.kd
    .uniform_work_group_size: 1
    .uses_dynamic_stack: false
    .vgpr_count:     0
    .vgpr_spill_count: 0
    .wavefront_size: 64
  - .args:
      - .offset:         0
        .size:           144
        .value_kind:     by_value
    .group_segment_fixed_size: 0
    .kernarg_segment_align: 8
    .kernarg_segment_size: 144
    .language:       OpenCL C
    .language_version:
      - 2
      - 0
    .max_flat_workgroup_size: 256
    .name:           _ZN7rocprim17ROCPRIM_400000_NS6detail17trampoline_kernelINS0_14default_configENS1_29reduce_by_key_config_selectorIdlN6thrust23THRUST_200600_302600_NS4plusIlEEEEZZNS1_33reduce_by_key_impl_wrapped_configILNS1_25lookback_scan_determinismE0ES3_S9_PdNS6_17constant_iteratorIiNS6_11use_defaultESE_EENS6_10device_ptrIdEENSG_IlEEPmS8_NS6_8equal_toIdEEEE10hipError_tPvRmT2_T3_mT4_T5_T6_T7_T8_P12ihipStream_tbENKUlT_T0_E_clISt17integral_constantIbLb0EES13_EEDaSY_SZ_EUlSY_E_NS1_11comp_targetILNS1_3genE4ELNS1_11target_archE910ELNS1_3gpuE8ELNS1_3repE0EEENS1_30default_config_static_selectorELNS0_4arch9wavefront6targetE1EEEvT1_
    .private_segment_fixed_size: 0
    .sgpr_count:     4
    .sgpr_spill_count: 0
    .symbol:         _ZN7rocprim17ROCPRIM_400000_NS6detail17trampoline_kernelINS0_14default_configENS1_29reduce_by_key_config_selectorIdlN6thrust23THRUST_200600_302600_NS4plusIlEEEEZZNS1_33reduce_by_key_impl_wrapped_configILNS1_25lookback_scan_determinismE0ES3_S9_PdNS6_17constant_iteratorIiNS6_11use_defaultESE_EENS6_10device_ptrIdEENSG_IlEEPmS8_NS6_8equal_toIdEEEE10hipError_tPvRmT2_T3_mT4_T5_T6_T7_T8_P12ihipStream_tbENKUlT_T0_E_clISt17integral_constantIbLb0EES13_EEDaSY_SZ_EUlSY_E_NS1_11comp_targetILNS1_3genE4ELNS1_11target_archE910ELNS1_3gpuE8ELNS1_3repE0EEENS1_30default_config_static_selectorELNS0_4arch9wavefront6targetE1EEEvT1_.kd
    .uniform_work_group_size: 1
    .uses_dynamic_stack: false
    .vgpr_count:     0
    .vgpr_spill_count: 0
    .wavefront_size: 64
  - .args:
      - .offset:         0
        .size:           144
        .value_kind:     by_value
    .group_segment_fixed_size: 0
    .kernarg_segment_align: 8
    .kernarg_segment_size: 144
    .language:       OpenCL C
    .language_version:
      - 2
      - 0
    .max_flat_workgroup_size: 256
    .name:           _ZN7rocprim17ROCPRIM_400000_NS6detail17trampoline_kernelINS0_14default_configENS1_29reduce_by_key_config_selectorIdlN6thrust23THRUST_200600_302600_NS4plusIlEEEEZZNS1_33reduce_by_key_impl_wrapped_configILNS1_25lookback_scan_determinismE0ES3_S9_PdNS6_17constant_iteratorIiNS6_11use_defaultESE_EENS6_10device_ptrIdEENSG_IlEEPmS8_NS6_8equal_toIdEEEE10hipError_tPvRmT2_T3_mT4_T5_T6_T7_T8_P12ihipStream_tbENKUlT_T0_E_clISt17integral_constantIbLb0EES13_EEDaSY_SZ_EUlSY_E_NS1_11comp_targetILNS1_3genE3ELNS1_11target_archE908ELNS1_3gpuE7ELNS1_3repE0EEENS1_30default_config_static_selectorELNS0_4arch9wavefront6targetE1EEEvT1_
    .private_segment_fixed_size: 0
    .sgpr_count:     4
    .sgpr_spill_count: 0
    .symbol:         _ZN7rocprim17ROCPRIM_400000_NS6detail17trampoline_kernelINS0_14default_configENS1_29reduce_by_key_config_selectorIdlN6thrust23THRUST_200600_302600_NS4plusIlEEEEZZNS1_33reduce_by_key_impl_wrapped_configILNS1_25lookback_scan_determinismE0ES3_S9_PdNS6_17constant_iteratorIiNS6_11use_defaultESE_EENS6_10device_ptrIdEENSG_IlEEPmS8_NS6_8equal_toIdEEEE10hipError_tPvRmT2_T3_mT4_T5_T6_T7_T8_P12ihipStream_tbENKUlT_T0_E_clISt17integral_constantIbLb0EES13_EEDaSY_SZ_EUlSY_E_NS1_11comp_targetILNS1_3genE3ELNS1_11target_archE908ELNS1_3gpuE7ELNS1_3repE0EEENS1_30default_config_static_selectorELNS0_4arch9wavefront6targetE1EEEvT1_.kd
    .uniform_work_group_size: 1
    .uses_dynamic_stack: false
    .vgpr_count:     0
    .vgpr_spill_count: 0
    .wavefront_size: 64
  - .args:
      - .offset:         0
        .size:           144
        .value_kind:     by_value
    .group_segment_fixed_size: 30720
    .kernarg_segment_align: 8
    .kernarg_segment_size: 144
    .language:       OpenCL C
    .language_version:
      - 2
      - 0
    .max_flat_workgroup_size: 256
    .name:           _ZN7rocprim17ROCPRIM_400000_NS6detail17trampoline_kernelINS0_14default_configENS1_29reduce_by_key_config_selectorIdlN6thrust23THRUST_200600_302600_NS4plusIlEEEEZZNS1_33reduce_by_key_impl_wrapped_configILNS1_25lookback_scan_determinismE0ES3_S9_PdNS6_17constant_iteratorIiNS6_11use_defaultESE_EENS6_10device_ptrIdEENSG_IlEEPmS8_NS6_8equal_toIdEEEE10hipError_tPvRmT2_T3_mT4_T5_T6_T7_T8_P12ihipStream_tbENKUlT_T0_E_clISt17integral_constantIbLb0EES13_EEDaSY_SZ_EUlSY_E_NS1_11comp_targetILNS1_3genE2ELNS1_11target_archE906ELNS1_3gpuE6ELNS1_3repE0EEENS1_30default_config_static_selectorELNS0_4arch9wavefront6targetE1EEEvT1_
    .private_segment_fixed_size: 64
    .sgpr_count:     70
    .sgpr_spill_count: 0
    .symbol:         _ZN7rocprim17ROCPRIM_400000_NS6detail17trampoline_kernelINS0_14default_configENS1_29reduce_by_key_config_selectorIdlN6thrust23THRUST_200600_302600_NS4plusIlEEEEZZNS1_33reduce_by_key_impl_wrapped_configILNS1_25lookback_scan_determinismE0ES3_S9_PdNS6_17constant_iteratorIiNS6_11use_defaultESE_EENS6_10device_ptrIdEENSG_IlEEPmS8_NS6_8equal_toIdEEEE10hipError_tPvRmT2_T3_mT4_T5_T6_T7_T8_P12ihipStream_tbENKUlT_T0_E_clISt17integral_constantIbLb0EES13_EEDaSY_SZ_EUlSY_E_NS1_11comp_targetILNS1_3genE2ELNS1_11target_archE906ELNS1_3gpuE6ELNS1_3repE0EEENS1_30default_config_static_selectorELNS0_4arch9wavefront6targetE1EEEvT1_.kd
    .uniform_work_group_size: 1
    .uses_dynamic_stack: false
    .vgpr_count:     119
    .vgpr_spill_count: 0
    .wavefront_size: 64
  - .args:
      - .offset:         0
        .size:           144
        .value_kind:     by_value
    .group_segment_fixed_size: 0
    .kernarg_segment_align: 8
    .kernarg_segment_size: 144
    .language:       OpenCL C
    .language_version:
      - 2
      - 0
    .max_flat_workgroup_size: 256
    .name:           _ZN7rocprim17ROCPRIM_400000_NS6detail17trampoline_kernelINS0_14default_configENS1_29reduce_by_key_config_selectorIdlN6thrust23THRUST_200600_302600_NS4plusIlEEEEZZNS1_33reduce_by_key_impl_wrapped_configILNS1_25lookback_scan_determinismE0ES3_S9_PdNS6_17constant_iteratorIiNS6_11use_defaultESE_EENS6_10device_ptrIdEENSG_IlEEPmS8_NS6_8equal_toIdEEEE10hipError_tPvRmT2_T3_mT4_T5_T6_T7_T8_P12ihipStream_tbENKUlT_T0_E_clISt17integral_constantIbLb0EES13_EEDaSY_SZ_EUlSY_E_NS1_11comp_targetILNS1_3genE10ELNS1_11target_archE1201ELNS1_3gpuE5ELNS1_3repE0EEENS1_30default_config_static_selectorELNS0_4arch9wavefront6targetE1EEEvT1_
    .private_segment_fixed_size: 0
    .sgpr_count:     4
    .sgpr_spill_count: 0
    .symbol:         _ZN7rocprim17ROCPRIM_400000_NS6detail17trampoline_kernelINS0_14default_configENS1_29reduce_by_key_config_selectorIdlN6thrust23THRUST_200600_302600_NS4plusIlEEEEZZNS1_33reduce_by_key_impl_wrapped_configILNS1_25lookback_scan_determinismE0ES3_S9_PdNS6_17constant_iteratorIiNS6_11use_defaultESE_EENS6_10device_ptrIdEENSG_IlEEPmS8_NS6_8equal_toIdEEEE10hipError_tPvRmT2_T3_mT4_T5_T6_T7_T8_P12ihipStream_tbENKUlT_T0_E_clISt17integral_constantIbLb0EES13_EEDaSY_SZ_EUlSY_E_NS1_11comp_targetILNS1_3genE10ELNS1_11target_archE1201ELNS1_3gpuE5ELNS1_3repE0EEENS1_30default_config_static_selectorELNS0_4arch9wavefront6targetE1EEEvT1_.kd
    .uniform_work_group_size: 1
    .uses_dynamic_stack: false
    .vgpr_count:     0
    .vgpr_spill_count: 0
    .wavefront_size: 64
  - .args:
      - .offset:         0
        .size:           144
        .value_kind:     by_value
    .group_segment_fixed_size: 0
    .kernarg_segment_align: 8
    .kernarg_segment_size: 144
    .language:       OpenCL C
    .language_version:
      - 2
      - 0
    .max_flat_workgroup_size: 256
    .name:           _ZN7rocprim17ROCPRIM_400000_NS6detail17trampoline_kernelINS0_14default_configENS1_29reduce_by_key_config_selectorIdlN6thrust23THRUST_200600_302600_NS4plusIlEEEEZZNS1_33reduce_by_key_impl_wrapped_configILNS1_25lookback_scan_determinismE0ES3_S9_PdNS6_17constant_iteratorIiNS6_11use_defaultESE_EENS6_10device_ptrIdEENSG_IlEEPmS8_NS6_8equal_toIdEEEE10hipError_tPvRmT2_T3_mT4_T5_T6_T7_T8_P12ihipStream_tbENKUlT_T0_E_clISt17integral_constantIbLb0EES13_EEDaSY_SZ_EUlSY_E_NS1_11comp_targetILNS1_3genE10ELNS1_11target_archE1200ELNS1_3gpuE4ELNS1_3repE0EEENS1_30default_config_static_selectorELNS0_4arch9wavefront6targetE1EEEvT1_
    .private_segment_fixed_size: 0
    .sgpr_count:     4
    .sgpr_spill_count: 0
    .symbol:         _ZN7rocprim17ROCPRIM_400000_NS6detail17trampoline_kernelINS0_14default_configENS1_29reduce_by_key_config_selectorIdlN6thrust23THRUST_200600_302600_NS4plusIlEEEEZZNS1_33reduce_by_key_impl_wrapped_configILNS1_25lookback_scan_determinismE0ES3_S9_PdNS6_17constant_iteratorIiNS6_11use_defaultESE_EENS6_10device_ptrIdEENSG_IlEEPmS8_NS6_8equal_toIdEEEE10hipError_tPvRmT2_T3_mT4_T5_T6_T7_T8_P12ihipStream_tbENKUlT_T0_E_clISt17integral_constantIbLb0EES13_EEDaSY_SZ_EUlSY_E_NS1_11comp_targetILNS1_3genE10ELNS1_11target_archE1200ELNS1_3gpuE4ELNS1_3repE0EEENS1_30default_config_static_selectorELNS0_4arch9wavefront6targetE1EEEvT1_.kd
    .uniform_work_group_size: 1
    .uses_dynamic_stack: false
    .vgpr_count:     0
    .vgpr_spill_count: 0
    .wavefront_size: 64
  - .args:
      - .offset:         0
        .size:           144
        .value_kind:     by_value
    .group_segment_fixed_size: 0
    .kernarg_segment_align: 8
    .kernarg_segment_size: 144
    .language:       OpenCL C
    .language_version:
      - 2
      - 0
    .max_flat_workgroup_size: 256
    .name:           _ZN7rocprim17ROCPRIM_400000_NS6detail17trampoline_kernelINS0_14default_configENS1_29reduce_by_key_config_selectorIdlN6thrust23THRUST_200600_302600_NS4plusIlEEEEZZNS1_33reduce_by_key_impl_wrapped_configILNS1_25lookback_scan_determinismE0ES3_S9_PdNS6_17constant_iteratorIiNS6_11use_defaultESE_EENS6_10device_ptrIdEENSG_IlEEPmS8_NS6_8equal_toIdEEEE10hipError_tPvRmT2_T3_mT4_T5_T6_T7_T8_P12ihipStream_tbENKUlT_T0_E_clISt17integral_constantIbLb0EES13_EEDaSY_SZ_EUlSY_E_NS1_11comp_targetILNS1_3genE9ELNS1_11target_archE1100ELNS1_3gpuE3ELNS1_3repE0EEENS1_30default_config_static_selectorELNS0_4arch9wavefront6targetE1EEEvT1_
    .private_segment_fixed_size: 0
    .sgpr_count:     4
    .sgpr_spill_count: 0
    .symbol:         _ZN7rocprim17ROCPRIM_400000_NS6detail17trampoline_kernelINS0_14default_configENS1_29reduce_by_key_config_selectorIdlN6thrust23THRUST_200600_302600_NS4plusIlEEEEZZNS1_33reduce_by_key_impl_wrapped_configILNS1_25lookback_scan_determinismE0ES3_S9_PdNS6_17constant_iteratorIiNS6_11use_defaultESE_EENS6_10device_ptrIdEENSG_IlEEPmS8_NS6_8equal_toIdEEEE10hipError_tPvRmT2_T3_mT4_T5_T6_T7_T8_P12ihipStream_tbENKUlT_T0_E_clISt17integral_constantIbLb0EES13_EEDaSY_SZ_EUlSY_E_NS1_11comp_targetILNS1_3genE9ELNS1_11target_archE1100ELNS1_3gpuE3ELNS1_3repE0EEENS1_30default_config_static_selectorELNS0_4arch9wavefront6targetE1EEEvT1_.kd
    .uniform_work_group_size: 1
    .uses_dynamic_stack: false
    .vgpr_count:     0
    .vgpr_spill_count: 0
    .wavefront_size: 64
  - .args:
      - .offset:         0
        .size:           144
        .value_kind:     by_value
    .group_segment_fixed_size: 0
    .kernarg_segment_align: 8
    .kernarg_segment_size: 144
    .language:       OpenCL C
    .language_version:
      - 2
      - 0
    .max_flat_workgroup_size: 256
    .name:           _ZN7rocprim17ROCPRIM_400000_NS6detail17trampoline_kernelINS0_14default_configENS1_29reduce_by_key_config_selectorIdlN6thrust23THRUST_200600_302600_NS4plusIlEEEEZZNS1_33reduce_by_key_impl_wrapped_configILNS1_25lookback_scan_determinismE0ES3_S9_PdNS6_17constant_iteratorIiNS6_11use_defaultESE_EENS6_10device_ptrIdEENSG_IlEEPmS8_NS6_8equal_toIdEEEE10hipError_tPvRmT2_T3_mT4_T5_T6_T7_T8_P12ihipStream_tbENKUlT_T0_E_clISt17integral_constantIbLb0EES13_EEDaSY_SZ_EUlSY_E_NS1_11comp_targetILNS1_3genE8ELNS1_11target_archE1030ELNS1_3gpuE2ELNS1_3repE0EEENS1_30default_config_static_selectorELNS0_4arch9wavefront6targetE1EEEvT1_
    .private_segment_fixed_size: 0
    .sgpr_count:     4
    .sgpr_spill_count: 0
    .symbol:         _ZN7rocprim17ROCPRIM_400000_NS6detail17trampoline_kernelINS0_14default_configENS1_29reduce_by_key_config_selectorIdlN6thrust23THRUST_200600_302600_NS4plusIlEEEEZZNS1_33reduce_by_key_impl_wrapped_configILNS1_25lookback_scan_determinismE0ES3_S9_PdNS6_17constant_iteratorIiNS6_11use_defaultESE_EENS6_10device_ptrIdEENSG_IlEEPmS8_NS6_8equal_toIdEEEE10hipError_tPvRmT2_T3_mT4_T5_T6_T7_T8_P12ihipStream_tbENKUlT_T0_E_clISt17integral_constantIbLb0EES13_EEDaSY_SZ_EUlSY_E_NS1_11comp_targetILNS1_3genE8ELNS1_11target_archE1030ELNS1_3gpuE2ELNS1_3repE0EEENS1_30default_config_static_selectorELNS0_4arch9wavefront6targetE1EEEvT1_.kd
    .uniform_work_group_size: 1
    .uses_dynamic_stack: false
    .vgpr_count:     0
    .vgpr_spill_count: 0
    .wavefront_size: 64
  - .args:
      - .offset:         0
        .size:           144
        .value_kind:     by_value
    .group_segment_fixed_size: 0
    .kernarg_segment_align: 8
    .kernarg_segment_size: 144
    .language:       OpenCL C
    .language_version:
      - 2
      - 0
    .max_flat_workgroup_size: 256
    .name:           _ZN7rocprim17ROCPRIM_400000_NS6detail17trampoline_kernelINS0_14default_configENS1_29reduce_by_key_config_selectorIdlN6thrust23THRUST_200600_302600_NS4plusIlEEEEZZNS1_33reduce_by_key_impl_wrapped_configILNS1_25lookback_scan_determinismE0ES3_S9_PdNS6_17constant_iteratorIiNS6_11use_defaultESE_EENS6_10device_ptrIdEENSG_IlEEPmS8_NS6_8equal_toIdEEEE10hipError_tPvRmT2_T3_mT4_T5_T6_T7_T8_P12ihipStream_tbENKUlT_T0_E_clISt17integral_constantIbLb1EES13_EEDaSY_SZ_EUlSY_E_NS1_11comp_targetILNS1_3genE0ELNS1_11target_archE4294967295ELNS1_3gpuE0ELNS1_3repE0EEENS1_30default_config_static_selectorELNS0_4arch9wavefront6targetE1EEEvT1_
    .private_segment_fixed_size: 0
    .sgpr_count:     4
    .sgpr_spill_count: 0
    .symbol:         _ZN7rocprim17ROCPRIM_400000_NS6detail17trampoline_kernelINS0_14default_configENS1_29reduce_by_key_config_selectorIdlN6thrust23THRUST_200600_302600_NS4plusIlEEEEZZNS1_33reduce_by_key_impl_wrapped_configILNS1_25lookback_scan_determinismE0ES3_S9_PdNS6_17constant_iteratorIiNS6_11use_defaultESE_EENS6_10device_ptrIdEENSG_IlEEPmS8_NS6_8equal_toIdEEEE10hipError_tPvRmT2_T3_mT4_T5_T6_T7_T8_P12ihipStream_tbENKUlT_T0_E_clISt17integral_constantIbLb1EES13_EEDaSY_SZ_EUlSY_E_NS1_11comp_targetILNS1_3genE0ELNS1_11target_archE4294967295ELNS1_3gpuE0ELNS1_3repE0EEENS1_30default_config_static_selectorELNS0_4arch9wavefront6targetE1EEEvT1_.kd
    .uniform_work_group_size: 1
    .uses_dynamic_stack: false
    .vgpr_count:     0
    .vgpr_spill_count: 0
    .wavefront_size: 64
  - .args:
      - .offset:         0
        .size:           144
        .value_kind:     by_value
    .group_segment_fixed_size: 0
    .kernarg_segment_align: 8
    .kernarg_segment_size: 144
    .language:       OpenCL C
    .language_version:
      - 2
      - 0
    .max_flat_workgroup_size: 256
    .name:           _ZN7rocprim17ROCPRIM_400000_NS6detail17trampoline_kernelINS0_14default_configENS1_29reduce_by_key_config_selectorIdlN6thrust23THRUST_200600_302600_NS4plusIlEEEEZZNS1_33reduce_by_key_impl_wrapped_configILNS1_25lookback_scan_determinismE0ES3_S9_PdNS6_17constant_iteratorIiNS6_11use_defaultESE_EENS6_10device_ptrIdEENSG_IlEEPmS8_NS6_8equal_toIdEEEE10hipError_tPvRmT2_T3_mT4_T5_T6_T7_T8_P12ihipStream_tbENKUlT_T0_E_clISt17integral_constantIbLb1EES13_EEDaSY_SZ_EUlSY_E_NS1_11comp_targetILNS1_3genE5ELNS1_11target_archE942ELNS1_3gpuE9ELNS1_3repE0EEENS1_30default_config_static_selectorELNS0_4arch9wavefront6targetE1EEEvT1_
    .private_segment_fixed_size: 0
    .sgpr_count:     4
    .sgpr_spill_count: 0
    .symbol:         _ZN7rocprim17ROCPRIM_400000_NS6detail17trampoline_kernelINS0_14default_configENS1_29reduce_by_key_config_selectorIdlN6thrust23THRUST_200600_302600_NS4plusIlEEEEZZNS1_33reduce_by_key_impl_wrapped_configILNS1_25lookback_scan_determinismE0ES3_S9_PdNS6_17constant_iteratorIiNS6_11use_defaultESE_EENS6_10device_ptrIdEENSG_IlEEPmS8_NS6_8equal_toIdEEEE10hipError_tPvRmT2_T3_mT4_T5_T6_T7_T8_P12ihipStream_tbENKUlT_T0_E_clISt17integral_constantIbLb1EES13_EEDaSY_SZ_EUlSY_E_NS1_11comp_targetILNS1_3genE5ELNS1_11target_archE942ELNS1_3gpuE9ELNS1_3repE0EEENS1_30default_config_static_selectorELNS0_4arch9wavefront6targetE1EEEvT1_.kd
    .uniform_work_group_size: 1
    .uses_dynamic_stack: false
    .vgpr_count:     0
    .vgpr_spill_count: 0
    .wavefront_size: 64
  - .args:
      - .offset:         0
        .size:           144
        .value_kind:     by_value
    .group_segment_fixed_size: 0
    .kernarg_segment_align: 8
    .kernarg_segment_size: 144
    .language:       OpenCL C
    .language_version:
      - 2
      - 0
    .max_flat_workgroup_size: 256
    .name:           _ZN7rocprim17ROCPRIM_400000_NS6detail17trampoline_kernelINS0_14default_configENS1_29reduce_by_key_config_selectorIdlN6thrust23THRUST_200600_302600_NS4plusIlEEEEZZNS1_33reduce_by_key_impl_wrapped_configILNS1_25lookback_scan_determinismE0ES3_S9_PdNS6_17constant_iteratorIiNS6_11use_defaultESE_EENS6_10device_ptrIdEENSG_IlEEPmS8_NS6_8equal_toIdEEEE10hipError_tPvRmT2_T3_mT4_T5_T6_T7_T8_P12ihipStream_tbENKUlT_T0_E_clISt17integral_constantIbLb1EES13_EEDaSY_SZ_EUlSY_E_NS1_11comp_targetILNS1_3genE4ELNS1_11target_archE910ELNS1_3gpuE8ELNS1_3repE0EEENS1_30default_config_static_selectorELNS0_4arch9wavefront6targetE1EEEvT1_
    .private_segment_fixed_size: 0
    .sgpr_count:     4
    .sgpr_spill_count: 0
    .symbol:         _ZN7rocprim17ROCPRIM_400000_NS6detail17trampoline_kernelINS0_14default_configENS1_29reduce_by_key_config_selectorIdlN6thrust23THRUST_200600_302600_NS4plusIlEEEEZZNS1_33reduce_by_key_impl_wrapped_configILNS1_25lookback_scan_determinismE0ES3_S9_PdNS6_17constant_iteratorIiNS6_11use_defaultESE_EENS6_10device_ptrIdEENSG_IlEEPmS8_NS6_8equal_toIdEEEE10hipError_tPvRmT2_T3_mT4_T5_T6_T7_T8_P12ihipStream_tbENKUlT_T0_E_clISt17integral_constantIbLb1EES13_EEDaSY_SZ_EUlSY_E_NS1_11comp_targetILNS1_3genE4ELNS1_11target_archE910ELNS1_3gpuE8ELNS1_3repE0EEENS1_30default_config_static_selectorELNS0_4arch9wavefront6targetE1EEEvT1_.kd
    .uniform_work_group_size: 1
    .uses_dynamic_stack: false
    .vgpr_count:     0
    .vgpr_spill_count: 0
    .wavefront_size: 64
  - .args:
      - .offset:         0
        .size:           144
        .value_kind:     by_value
    .group_segment_fixed_size: 0
    .kernarg_segment_align: 8
    .kernarg_segment_size: 144
    .language:       OpenCL C
    .language_version:
      - 2
      - 0
    .max_flat_workgroup_size: 256
    .name:           _ZN7rocprim17ROCPRIM_400000_NS6detail17trampoline_kernelINS0_14default_configENS1_29reduce_by_key_config_selectorIdlN6thrust23THRUST_200600_302600_NS4plusIlEEEEZZNS1_33reduce_by_key_impl_wrapped_configILNS1_25lookback_scan_determinismE0ES3_S9_PdNS6_17constant_iteratorIiNS6_11use_defaultESE_EENS6_10device_ptrIdEENSG_IlEEPmS8_NS6_8equal_toIdEEEE10hipError_tPvRmT2_T3_mT4_T5_T6_T7_T8_P12ihipStream_tbENKUlT_T0_E_clISt17integral_constantIbLb1EES13_EEDaSY_SZ_EUlSY_E_NS1_11comp_targetILNS1_3genE3ELNS1_11target_archE908ELNS1_3gpuE7ELNS1_3repE0EEENS1_30default_config_static_selectorELNS0_4arch9wavefront6targetE1EEEvT1_
    .private_segment_fixed_size: 0
    .sgpr_count:     4
    .sgpr_spill_count: 0
    .symbol:         _ZN7rocprim17ROCPRIM_400000_NS6detail17trampoline_kernelINS0_14default_configENS1_29reduce_by_key_config_selectorIdlN6thrust23THRUST_200600_302600_NS4plusIlEEEEZZNS1_33reduce_by_key_impl_wrapped_configILNS1_25lookback_scan_determinismE0ES3_S9_PdNS6_17constant_iteratorIiNS6_11use_defaultESE_EENS6_10device_ptrIdEENSG_IlEEPmS8_NS6_8equal_toIdEEEE10hipError_tPvRmT2_T3_mT4_T5_T6_T7_T8_P12ihipStream_tbENKUlT_T0_E_clISt17integral_constantIbLb1EES13_EEDaSY_SZ_EUlSY_E_NS1_11comp_targetILNS1_3genE3ELNS1_11target_archE908ELNS1_3gpuE7ELNS1_3repE0EEENS1_30default_config_static_selectorELNS0_4arch9wavefront6targetE1EEEvT1_.kd
    .uniform_work_group_size: 1
    .uses_dynamic_stack: false
    .vgpr_count:     0
    .vgpr_spill_count: 0
    .wavefront_size: 64
  - .args:
      - .offset:         0
        .size:           144
        .value_kind:     by_value
    .group_segment_fixed_size: 0
    .kernarg_segment_align: 8
    .kernarg_segment_size: 144
    .language:       OpenCL C
    .language_version:
      - 2
      - 0
    .max_flat_workgroup_size: 256
    .name:           _ZN7rocprim17ROCPRIM_400000_NS6detail17trampoline_kernelINS0_14default_configENS1_29reduce_by_key_config_selectorIdlN6thrust23THRUST_200600_302600_NS4plusIlEEEEZZNS1_33reduce_by_key_impl_wrapped_configILNS1_25lookback_scan_determinismE0ES3_S9_PdNS6_17constant_iteratorIiNS6_11use_defaultESE_EENS6_10device_ptrIdEENSG_IlEEPmS8_NS6_8equal_toIdEEEE10hipError_tPvRmT2_T3_mT4_T5_T6_T7_T8_P12ihipStream_tbENKUlT_T0_E_clISt17integral_constantIbLb1EES13_EEDaSY_SZ_EUlSY_E_NS1_11comp_targetILNS1_3genE2ELNS1_11target_archE906ELNS1_3gpuE6ELNS1_3repE0EEENS1_30default_config_static_selectorELNS0_4arch9wavefront6targetE1EEEvT1_
    .private_segment_fixed_size: 0
    .sgpr_count:     4
    .sgpr_spill_count: 0
    .symbol:         _ZN7rocprim17ROCPRIM_400000_NS6detail17trampoline_kernelINS0_14default_configENS1_29reduce_by_key_config_selectorIdlN6thrust23THRUST_200600_302600_NS4plusIlEEEEZZNS1_33reduce_by_key_impl_wrapped_configILNS1_25lookback_scan_determinismE0ES3_S9_PdNS6_17constant_iteratorIiNS6_11use_defaultESE_EENS6_10device_ptrIdEENSG_IlEEPmS8_NS6_8equal_toIdEEEE10hipError_tPvRmT2_T3_mT4_T5_T6_T7_T8_P12ihipStream_tbENKUlT_T0_E_clISt17integral_constantIbLb1EES13_EEDaSY_SZ_EUlSY_E_NS1_11comp_targetILNS1_3genE2ELNS1_11target_archE906ELNS1_3gpuE6ELNS1_3repE0EEENS1_30default_config_static_selectorELNS0_4arch9wavefront6targetE1EEEvT1_.kd
    .uniform_work_group_size: 1
    .uses_dynamic_stack: false
    .vgpr_count:     0
    .vgpr_spill_count: 0
    .wavefront_size: 64
  - .args:
      - .offset:         0
        .size:           144
        .value_kind:     by_value
    .group_segment_fixed_size: 0
    .kernarg_segment_align: 8
    .kernarg_segment_size: 144
    .language:       OpenCL C
    .language_version:
      - 2
      - 0
    .max_flat_workgroup_size: 256
    .name:           _ZN7rocprim17ROCPRIM_400000_NS6detail17trampoline_kernelINS0_14default_configENS1_29reduce_by_key_config_selectorIdlN6thrust23THRUST_200600_302600_NS4plusIlEEEEZZNS1_33reduce_by_key_impl_wrapped_configILNS1_25lookback_scan_determinismE0ES3_S9_PdNS6_17constant_iteratorIiNS6_11use_defaultESE_EENS6_10device_ptrIdEENSG_IlEEPmS8_NS6_8equal_toIdEEEE10hipError_tPvRmT2_T3_mT4_T5_T6_T7_T8_P12ihipStream_tbENKUlT_T0_E_clISt17integral_constantIbLb1EES13_EEDaSY_SZ_EUlSY_E_NS1_11comp_targetILNS1_3genE10ELNS1_11target_archE1201ELNS1_3gpuE5ELNS1_3repE0EEENS1_30default_config_static_selectorELNS0_4arch9wavefront6targetE1EEEvT1_
    .private_segment_fixed_size: 0
    .sgpr_count:     4
    .sgpr_spill_count: 0
    .symbol:         _ZN7rocprim17ROCPRIM_400000_NS6detail17trampoline_kernelINS0_14default_configENS1_29reduce_by_key_config_selectorIdlN6thrust23THRUST_200600_302600_NS4plusIlEEEEZZNS1_33reduce_by_key_impl_wrapped_configILNS1_25lookback_scan_determinismE0ES3_S9_PdNS6_17constant_iteratorIiNS6_11use_defaultESE_EENS6_10device_ptrIdEENSG_IlEEPmS8_NS6_8equal_toIdEEEE10hipError_tPvRmT2_T3_mT4_T5_T6_T7_T8_P12ihipStream_tbENKUlT_T0_E_clISt17integral_constantIbLb1EES13_EEDaSY_SZ_EUlSY_E_NS1_11comp_targetILNS1_3genE10ELNS1_11target_archE1201ELNS1_3gpuE5ELNS1_3repE0EEENS1_30default_config_static_selectorELNS0_4arch9wavefront6targetE1EEEvT1_.kd
    .uniform_work_group_size: 1
    .uses_dynamic_stack: false
    .vgpr_count:     0
    .vgpr_spill_count: 0
    .wavefront_size: 64
  - .args:
      - .offset:         0
        .size:           144
        .value_kind:     by_value
    .group_segment_fixed_size: 0
    .kernarg_segment_align: 8
    .kernarg_segment_size: 144
    .language:       OpenCL C
    .language_version:
      - 2
      - 0
    .max_flat_workgroup_size: 256
    .name:           _ZN7rocprim17ROCPRIM_400000_NS6detail17trampoline_kernelINS0_14default_configENS1_29reduce_by_key_config_selectorIdlN6thrust23THRUST_200600_302600_NS4plusIlEEEEZZNS1_33reduce_by_key_impl_wrapped_configILNS1_25lookback_scan_determinismE0ES3_S9_PdNS6_17constant_iteratorIiNS6_11use_defaultESE_EENS6_10device_ptrIdEENSG_IlEEPmS8_NS6_8equal_toIdEEEE10hipError_tPvRmT2_T3_mT4_T5_T6_T7_T8_P12ihipStream_tbENKUlT_T0_E_clISt17integral_constantIbLb1EES13_EEDaSY_SZ_EUlSY_E_NS1_11comp_targetILNS1_3genE10ELNS1_11target_archE1200ELNS1_3gpuE4ELNS1_3repE0EEENS1_30default_config_static_selectorELNS0_4arch9wavefront6targetE1EEEvT1_
    .private_segment_fixed_size: 0
    .sgpr_count:     4
    .sgpr_spill_count: 0
    .symbol:         _ZN7rocprim17ROCPRIM_400000_NS6detail17trampoline_kernelINS0_14default_configENS1_29reduce_by_key_config_selectorIdlN6thrust23THRUST_200600_302600_NS4plusIlEEEEZZNS1_33reduce_by_key_impl_wrapped_configILNS1_25lookback_scan_determinismE0ES3_S9_PdNS6_17constant_iteratorIiNS6_11use_defaultESE_EENS6_10device_ptrIdEENSG_IlEEPmS8_NS6_8equal_toIdEEEE10hipError_tPvRmT2_T3_mT4_T5_T6_T7_T8_P12ihipStream_tbENKUlT_T0_E_clISt17integral_constantIbLb1EES13_EEDaSY_SZ_EUlSY_E_NS1_11comp_targetILNS1_3genE10ELNS1_11target_archE1200ELNS1_3gpuE4ELNS1_3repE0EEENS1_30default_config_static_selectorELNS0_4arch9wavefront6targetE1EEEvT1_.kd
    .uniform_work_group_size: 1
    .uses_dynamic_stack: false
    .vgpr_count:     0
    .vgpr_spill_count: 0
    .wavefront_size: 64
  - .args:
      - .offset:         0
        .size:           144
        .value_kind:     by_value
    .group_segment_fixed_size: 0
    .kernarg_segment_align: 8
    .kernarg_segment_size: 144
    .language:       OpenCL C
    .language_version:
      - 2
      - 0
    .max_flat_workgroup_size: 256
    .name:           _ZN7rocprim17ROCPRIM_400000_NS6detail17trampoline_kernelINS0_14default_configENS1_29reduce_by_key_config_selectorIdlN6thrust23THRUST_200600_302600_NS4plusIlEEEEZZNS1_33reduce_by_key_impl_wrapped_configILNS1_25lookback_scan_determinismE0ES3_S9_PdNS6_17constant_iteratorIiNS6_11use_defaultESE_EENS6_10device_ptrIdEENSG_IlEEPmS8_NS6_8equal_toIdEEEE10hipError_tPvRmT2_T3_mT4_T5_T6_T7_T8_P12ihipStream_tbENKUlT_T0_E_clISt17integral_constantIbLb1EES13_EEDaSY_SZ_EUlSY_E_NS1_11comp_targetILNS1_3genE9ELNS1_11target_archE1100ELNS1_3gpuE3ELNS1_3repE0EEENS1_30default_config_static_selectorELNS0_4arch9wavefront6targetE1EEEvT1_
    .private_segment_fixed_size: 0
    .sgpr_count:     4
    .sgpr_spill_count: 0
    .symbol:         _ZN7rocprim17ROCPRIM_400000_NS6detail17trampoline_kernelINS0_14default_configENS1_29reduce_by_key_config_selectorIdlN6thrust23THRUST_200600_302600_NS4plusIlEEEEZZNS1_33reduce_by_key_impl_wrapped_configILNS1_25lookback_scan_determinismE0ES3_S9_PdNS6_17constant_iteratorIiNS6_11use_defaultESE_EENS6_10device_ptrIdEENSG_IlEEPmS8_NS6_8equal_toIdEEEE10hipError_tPvRmT2_T3_mT4_T5_T6_T7_T8_P12ihipStream_tbENKUlT_T0_E_clISt17integral_constantIbLb1EES13_EEDaSY_SZ_EUlSY_E_NS1_11comp_targetILNS1_3genE9ELNS1_11target_archE1100ELNS1_3gpuE3ELNS1_3repE0EEENS1_30default_config_static_selectorELNS0_4arch9wavefront6targetE1EEEvT1_.kd
    .uniform_work_group_size: 1
    .uses_dynamic_stack: false
    .vgpr_count:     0
    .vgpr_spill_count: 0
    .wavefront_size: 64
  - .args:
      - .offset:         0
        .size:           144
        .value_kind:     by_value
    .group_segment_fixed_size: 0
    .kernarg_segment_align: 8
    .kernarg_segment_size: 144
    .language:       OpenCL C
    .language_version:
      - 2
      - 0
    .max_flat_workgroup_size: 256
    .name:           _ZN7rocprim17ROCPRIM_400000_NS6detail17trampoline_kernelINS0_14default_configENS1_29reduce_by_key_config_selectorIdlN6thrust23THRUST_200600_302600_NS4plusIlEEEEZZNS1_33reduce_by_key_impl_wrapped_configILNS1_25lookback_scan_determinismE0ES3_S9_PdNS6_17constant_iteratorIiNS6_11use_defaultESE_EENS6_10device_ptrIdEENSG_IlEEPmS8_NS6_8equal_toIdEEEE10hipError_tPvRmT2_T3_mT4_T5_T6_T7_T8_P12ihipStream_tbENKUlT_T0_E_clISt17integral_constantIbLb1EES13_EEDaSY_SZ_EUlSY_E_NS1_11comp_targetILNS1_3genE8ELNS1_11target_archE1030ELNS1_3gpuE2ELNS1_3repE0EEENS1_30default_config_static_selectorELNS0_4arch9wavefront6targetE1EEEvT1_
    .private_segment_fixed_size: 0
    .sgpr_count:     4
    .sgpr_spill_count: 0
    .symbol:         _ZN7rocprim17ROCPRIM_400000_NS6detail17trampoline_kernelINS0_14default_configENS1_29reduce_by_key_config_selectorIdlN6thrust23THRUST_200600_302600_NS4plusIlEEEEZZNS1_33reduce_by_key_impl_wrapped_configILNS1_25lookback_scan_determinismE0ES3_S9_PdNS6_17constant_iteratorIiNS6_11use_defaultESE_EENS6_10device_ptrIdEENSG_IlEEPmS8_NS6_8equal_toIdEEEE10hipError_tPvRmT2_T3_mT4_T5_T6_T7_T8_P12ihipStream_tbENKUlT_T0_E_clISt17integral_constantIbLb1EES13_EEDaSY_SZ_EUlSY_E_NS1_11comp_targetILNS1_3genE8ELNS1_11target_archE1030ELNS1_3gpuE2ELNS1_3repE0EEENS1_30default_config_static_selectorELNS0_4arch9wavefront6targetE1EEEvT1_.kd
    .uniform_work_group_size: 1
    .uses_dynamic_stack: false
    .vgpr_count:     0
    .vgpr_spill_count: 0
    .wavefront_size: 64
  - .args:
      - .offset:         0
        .size:           144
        .value_kind:     by_value
    .group_segment_fixed_size: 0
    .kernarg_segment_align: 8
    .kernarg_segment_size: 144
    .language:       OpenCL C
    .language_version:
      - 2
      - 0
    .max_flat_workgroup_size: 256
    .name:           _ZN7rocprim17ROCPRIM_400000_NS6detail17trampoline_kernelINS0_14default_configENS1_29reduce_by_key_config_selectorIdlN6thrust23THRUST_200600_302600_NS4plusIlEEEEZZNS1_33reduce_by_key_impl_wrapped_configILNS1_25lookback_scan_determinismE0ES3_S9_PdNS6_17constant_iteratorIiNS6_11use_defaultESE_EENS6_10device_ptrIdEENSG_IlEEPmS8_NS6_8equal_toIdEEEE10hipError_tPvRmT2_T3_mT4_T5_T6_T7_T8_P12ihipStream_tbENKUlT_T0_E_clISt17integral_constantIbLb1EES12_IbLb0EEEEDaSY_SZ_EUlSY_E_NS1_11comp_targetILNS1_3genE0ELNS1_11target_archE4294967295ELNS1_3gpuE0ELNS1_3repE0EEENS1_30default_config_static_selectorELNS0_4arch9wavefront6targetE1EEEvT1_
    .private_segment_fixed_size: 0
    .sgpr_count:     4
    .sgpr_spill_count: 0
    .symbol:         _ZN7rocprim17ROCPRIM_400000_NS6detail17trampoline_kernelINS0_14default_configENS1_29reduce_by_key_config_selectorIdlN6thrust23THRUST_200600_302600_NS4plusIlEEEEZZNS1_33reduce_by_key_impl_wrapped_configILNS1_25lookback_scan_determinismE0ES3_S9_PdNS6_17constant_iteratorIiNS6_11use_defaultESE_EENS6_10device_ptrIdEENSG_IlEEPmS8_NS6_8equal_toIdEEEE10hipError_tPvRmT2_T3_mT4_T5_T6_T7_T8_P12ihipStream_tbENKUlT_T0_E_clISt17integral_constantIbLb1EES12_IbLb0EEEEDaSY_SZ_EUlSY_E_NS1_11comp_targetILNS1_3genE0ELNS1_11target_archE4294967295ELNS1_3gpuE0ELNS1_3repE0EEENS1_30default_config_static_selectorELNS0_4arch9wavefront6targetE1EEEvT1_.kd
    .uniform_work_group_size: 1
    .uses_dynamic_stack: false
    .vgpr_count:     0
    .vgpr_spill_count: 0
    .wavefront_size: 64
  - .args:
      - .offset:         0
        .size:           144
        .value_kind:     by_value
    .group_segment_fixed_size: 0
    .kernarg_segment_align: 8
    .kernarg_segment_size: 144
    .language:       OpenCL C
    .language_version:
      - 2
      - 0
    .max_flat_workgroup_size: 256
    .name:           _ZN7rocprim17ROCPRIM_400000_NS6detail17trampoline_kernelINS0_14default_configENS1_29reduce_by_key_config_selectorIdlN6thrust23THRUST_200600_302600_NS4plusIlEEEEZZNS1_33reduce_by_key_impl_wrapped_configILNS1_25lookback_scan_determinismE0ES3_S9_PdNS6_17constant_iteratorIiNS6_11use_defaultESE_EENS6_10device_ptrIdEENSG_IlEEPmS8_NS6_8equal_toIdEEEE10hipError_tPvRmT2_T3_mT4_T5_T6_T7_T8_P12ihipStream_tbENKUlT_T0_E_clISt17integral_constantIbLb1EES12_IbLb0EEEEDaSY_SZ_EUlSY_E_NS1_11comp_targetILNS1_3genE5ELNS1_11target_archE942ELNS1_3gpuE9ELNS1_3repE0EEENS1_30default_config_static_selectorELNS0_4arch9wavefront6targetE1EEEvT1_
    .private_segment_fixed_size: 0
    .sgpr_count:     4
    .sgpr_spill_count: 0
    .symbol:         _ZN7rocprim17ROCPRIM_400000_NS6detail17trampoline_kernelINS0_14default_configENS1_29reduce_by_key_config_selectorIdlN6thrust23THRUST_200600_302600_NS4plusIlEEEEZZNS1_33reduce_by_key_impl_wrapped_configILNS1_25lookback_scan_determinismE0ES3_S9_PdNS6_17constant_iteratorIiNS6_11use_defaultESE_EENS6_10device_ptrIdEENSG_IlEEPmS8_NS6_8equal_toIdEEEE10hipError_tPvRmT2_T3_mT4_T5_T6_T7_T8_P12ihipStream_tbENKUlT_T0_E_clISt17integral_constantIbLb1EES12_IbLb0EEEEDaSY_SZ_EUlSY_E_NS1_11comp_targetILNS1_3genE5ELNS1_11target_archE942ELNS1_3gpuE9ELNS1_3repE0EEENS1_30default_config_static_selectorELNS0_4arch9wavefront6targetE1EEEvT1_.kd
    .uniform_work_group_size: 1
    .uses_dynamic_stack: false
    .vgpr_count:     0
    .vgpr_spill_count: 0
    .wavefront_size: 64
  - .args:
      - .offset:         0
        .size:           144
        .value_kind:     by_value
    .group_segment_fixed_size: 0
    .kernarg_segment_align: 8
    .kernarg_segment_size: 144
    .language:       OpenCL C
    .language_version:
      - 2
      - 0
    .max_flat_workgroup_size: 256
    .name:           _ZN7rocprim17ROCPRIM_400000_NS6detail17trampoline_kernelINS0_14default_configENS1_29reduce_by_key_config_selectorIdlN6thrust23THRUST_200600_302600_NS4plusIlEEEEZZNS1_33reduce_by_key_impl_wrapped_configILNS1_25lookback_scan_determinismE0ES3_S9_PdNS6_17constant_iteratorIiNS6_11use_defaultESE_EENS6_10device_ptrIdEENSG_IlEEPmS8_NS6_8equal_toIdEEEE10hipError_tPvRmT2_T3_mT4_T5_T6_T7_T8_P12ihipStream_tbENKUlT_T0_E_clISt17integral_constantIbLb1EES12_IbLb0EEEEDaSY_SZ_EUlSY_E_NS1_11comp_targetILNS1_3genE4ELNS1_11target_archE910ELNS1_3gpuE8ELNS1_3repE0EEENS1_30default_config_static_selectorELNS0_4arch9wavefront6targetE1EEEvT1_
    .private_segment_fixed_size: 0
    .sgpr_count:     4
    .sgpr_spill_count: 0
    .symbol:         _ZN7rocprim17ROCPRIM_400000_NS6detail17trampoline_kernelINS0_14default_configENS1_29reduce_by_key_config_selectorIdlN6thrust23THRUST_200600_302600_NS4plusIlEEEEZZNS1_33reduce_by_key_impl_wrapped_configILNS1_25lookback_scan_determinismE0ES3_S9_PdNS6_17constant_iteratorIiNS6_11use_defaultESE_EENS6_10device_ptrIdEENSG_IlEEPmS8_NS6_8equal_toIdEEEE10hipError_tPvRmT2_T3_mT4_T5_T6_T7_T8_P12ihipStream_tbENKUlT_T0_E_clISt17integral_constantIbLb1EES12_IbLb0EEEEDaSY_SZ_EUlSY_E_NS1_11comp_targetILNS1_3genE4ELNS1_11target_archE910ELNS1_3gpuE8ELNS1_3repE0EEENS1_30default_config_static_selectorELNS0_4arch9wavefront6targetE1EEEvT1_.kd
    .uniform_work_group_size: 1
    .uses_dynamic_stack: false
    .vgpr_count:     0
    .vgpr_spill_count: 0
    .wavefront_size: 64
  - .args:
      - .offset:         0
        .size:           144
        .value_kind:     by_value
    .group_segment_fixed_size: 0
    .kernarg_segment_align: 8
    .kernarg_segment_size: 144
    .language:       OpenCL C
    .language_version:
      - 2
      - 0
    .max_flat_workgroup_size: 256
    .name:           _ZN7rocprim17ROCPRIM_400000_NS6detail17trampoline_kernelINS0_14default_configENS1_29reduce_by_key_config_selectorIdlN6thrust23THRUST_200600_302600_NS4plusIlEEEEZZNS1_33reduce_by_key_impl_wrapped_configILNS1_25lookback_scan_determinismE0ES3_S9_PdNS6_17constant_iteratorIiNS6_11use_defaultESE_EENS6_10device_ptrIdEENSG_IlEEPmS8_NS6_8equal_toIdEEEE10hipError_tPvRmT2_T3_mT4_T5_T6_T7_T8_P12ihipStream_tbENKUlT_T0_E_clISt17integral_constantIbLb1EES12_IbLb0EEEEDaSY_SZ_EUlSY_E_NS1_11comp_targetILNS1_3genE3ELNS1_11target_archE908ELNS1_3gpuE7ELNS1_3repE0EEENS1_30default_config_static_selectorELNS0_4arch9wavefront6targetE1EEEvT1_
    .private_segment_fixed_size: 0
    .sgpr_count:     4
    .sgpr_spill_count: 0
    .symbol:         _ZN7rocprim17ROCPRIM_400000_NS6detail17trampoline_kernelINS0_14default_configENS1_29reduce_by_key_config_selectorIdlN6thrust23THRUST_200600_302600_NS4plusIlEEEEZZNS1_33reduce_by_key_impl_wrapped_configILNS1_25lookback_scan_determinismE0ES3_S9_PdNS6_17constant_iteratorIiNS6_11use_defaultESE_EENS6_10device_ptrIdEENSG_IlEEPmS8_NS6_8equal_toIdEEEE10hipError_tPvRmT2_T3_mT4_T5_T6_T7_T8_P12ihipStream_tbENKUlT_T0_E_clISt17integral_constantIbLb1EES12_IbLb0EEEEDaSY_SZ_EUlSY_E_NS1_11comp_targetILNS1_3genE3ELNS1_11target_archE908ELNS1_3gpuE7ELNS1_3repE0EEENS1_30default_config_static_selectorELNS0_4arch9wavefront6targetE1EEEvT1_.kd
    .uniform_work_group_size: 1
    .uses_dynamic_stack: false
    .vgpr_count:     0
    .vgpr_spill_count: 0
    .wavefront_size: 64
  - .args:
      - .offset:         0
        .size:           144
        .value_kind:     by_value
    .group_segment_fixed_size: 0
    .kernarg_segment_align: 8
    .kernarg_segment_size: 144
    .language:       OpenCL C
    .language_version:
      - 2
      - 0
    .max_flat_workgroup_size: 256
    .name:           _ZN7rocprim17ROCPRIM_400000_NS6detail17trampoline_kernelINS0_14default_configENS1_29reduce_by_key_config_selectorIdlN6thrust23THRUST_200600_302600_NS4plusIlEEEEZZNS1_33reduce_by_key_impl_wrapped_configILNS1_25lookback_scan_determinismE0ES3_S9_PdNS6_17constant_iteratorIiNS6_11use_defaultESE_EENS6_10device_ptrIdEENSG_IlEEPmS8_NS6_8equal_toIdEEEE10hipError_tPvRmT2_T3_mT4_T5_T6_T7_T8_P12ihipStream_tbENKUlT_T0_E_clISt17integral_constantIbLb1EES12_IbLb0EEEEDaSY_SZ_EUlSY_E_NS1_11comp_targetILNS1_3genE2ELNS1_11target_archE906ELNS1_3gpuE6ELNS1_3repE0EEENS1_30default_config_static_selectorELNS0_4arch9wavefront6targetE1EEEvT1_
    .private_segment_fixed_size: 0
    .sgpr_count:     4
    .sgpr_spill_count: 0
    .symbol:         _ZN7rocprim17ROCPRIM_400000_NS6detail17trampoline_kernelINS0_14default_configENS1_29reduce_by_key_config_selectorIdlN6thrust23THRUST_200600_302600_NS4plusIlEEEEZZNS1_33reduce_by_key_impl_wrapped_configILNS1_25lookback_scan_determinismE0ES3_S9_PdNS6_17constant_iteratorIiNS6_11use_defaultESE_EENS6_10device_ptrIdEENSG_IlEEPmS8_NS6_8equal_toIdEEEE10hipError_tPvRmT2_T3_mT4_T5_T6_T7_T8_P12ihipStream_tbENKUlT_T0_E_clISt17integral_constantIbLb1EES12_IbLb0EEEEDaSY_SZ_EUlSY_E_NS1_11comp_targetILNS1_3genE2ELNS1_11target_archE906ELNS1_3gpuE6ELNS1_3repE0EEENS1_30default_config_static_selectorELNS0_4arch9wavefront6targetE1EEEvT1_.kd
    .uniform_work_group_size: 1
    .uses_dynamic_stack: false
    .vgpr_count:     0
    .vgpr_spill_count: 0
    .wavefront_size: 64
  - .args:
      - .offset:         0
        .size:           144
        .value_kind:     by_value
    .group_segment_fixed_size: 0
    .kernarg_segment_align: 8
    .kernarg_segment_size: 144
    .language:       OpenCL C
    .language_version:
      - 2
      - 0
    .max_flat_workgroup_size: 256
    .name:           _ZN7rocprim17ROCPRIM_400000_NS6detail17trampoline_kernelINS0_14default_configENS1_29reduce_by_key_config_selectorIdlN6thrust23THRUST_200600_302600_NS4plusIlEEEEZZNS1_33reduce_by_key_impl_wrapped_configILNS1_25lookback_scan_determinismE0ES3_S9_PdNS6_17constant_iteratorIiNS6_11use_defaultESE_EENS6_10device_ptrIdEENSG_IlEEPmS8_NS6_8equal_toIdEEEE10hipError_tPvRmT2_T3_mT4_T5_T6_T7_T8_P12ihipStream_tbENKUlT_T0_E_clISt17integral_constantIbLb1EES12_IbLb0EEEEDaSY_SZ_EUlSY_E_NS1_11comp_targetILNS1_3genE10ELNS1_11target_archE1201ELNS1_3gpuE5ELNS1_3repE0EEENS1_30default_config_static_selectorELNS0_4arch9wavefront6targetE1EEEvT1_
    .private_segment_fixed_size: 0
    .sgpr_count:     4
    .sgpr_spill_count: 0
    .symbol:         _ZN7rocprim17ROCPRIM_400000_NS6detail17trampoline_kernelINS0_14default_configENS1_29reduce_by_key_config_selectorIdlN6thrust23THRUST_200600_302600_NS4plusIlEEEEZZNS1_33reduce_by_key_impl_wrapped_configILNS1_25lookback_scan_determinismE0ES3_S9_PdNS6_17constant_iteratorIiNS6_11use_defaultESE_EENS6_10device_ptrIdEENSG_IlEEPmS8_NS6_8equal_toIdEEEE10hipError_tPvRmT2_T3_mT4_T5_T6_T7_T8_P12ihipStream_tbENKUlT_T0_E_clISt17integral_constantIbLb1EES12_IbLb0EEEEDaSY_SZ_EUlSY_E_NS1_11comp_targetILNS1_3genE10ELNS1_11target_archE1201ELNS1_3gpuE5ELNS1_3repE0EEENS1_30default_config_static_selectorELNS0_4arch9wavefront6targetE1EEEvT1_.kd
    .uniform_work_group_size: 1
    .uses_dynamic_stack: false
    .vgpr_count:     0
    .vgpr_spill_count: 0
    .wavefront_size: 64
  - .args:
      - .offset:         0
        .size:           144
        .value_kind:     by_value
    .group_segment_fixed_size: 0
    .kernarg_segment_align: 8
    .kernarg_segment_size: 144
    .language:       OpenCL C
    .language_version:
      - 2
      - 0
    .max_flat_workgroup_size: 256
    .name:           _ZN7rocprim17ROCPRIM_400000_NS6detail17trampoline_kernelINS0_14default_configENS1_29reduce_by_key_config_selectorIdlN6thrust23THRUST_200600_302600_NS4plusIlEEEEZZNS1_33reduce_by_key_impl_wrapped_configILNS1_25lookback_scan_determinismE0ES3_S9_PdNS6_17constant_iteratorIiNS6_11use_defaultESE_EENS6_10device_ptrIdEENSG_IlEEPmS8_NS6_8equal_toIdEEEE10hipError_tPvRmT2_T3_mT4_T5_T6_T7_T8_P12ihipStream_tbENKUlT_T0_E_clISt17integral_constantIbLb1EES12_IbLb0EEEEDaSY_SZ_EUlSY_E_NS1_11comp_targetILNS1_3genE10ELNS1_11target_archE1200ELNS1_3gpuE4ELNS1_3repE0EEENS1_30default_config_static_selectorELNS0_4arch9wavefront6targetE1EEEvT1_
    .private_segment_fixed_size: 0
    .sgpr_count:     4
    .sgpr_spill_count: 0
    .symbol:         _ZN7rocprim17ROCPRIM_400000_NS6detail17trampoline_kernelINS0_14default_configENS1_29reduce_by_key_config_selectorIdlN6thrust23THRUST_200600_302600_NS4plusIlEEEEZZNS1_33reduce_by_key_impl_wrapped_configILNS1_25lookback_scan_determinismE0ES3_S9_PdNS6_17constant_iteratorIiNS6_11use_defaultESE_EENS6_10device_ptrIdEENSG_IlEEPmS8_NS6_8equal_toIdEEEE10hipError_tPvRmT2_T3_mT4_T5_T6_T7_T8_P12ihipStream_tbENKUlT_T0_E_clISt17integral_constantIbLb1EES12_IbLb0EEEEDaSY_SZ_EUlSY_E_NS1_11comp_targetILNS1_3genE10ELNS1_11target_archE1200ELNS1_3gpuE4ELNS1_3repE0EEENS1_30default_config_static_selectorELNS0_4arch9wavefront6targetE1EEEvT1_.kd
    .uniform_work_group_size: 1
    .uses_dynamic_stack: false
    .vgpr_count:     0
    .vgpr_spill_count: 0
    .wavefront_size: 64
  - .args:
      - .offset:         0
        .size:           144
        .value_kind:     by_value
    .group_segment_fixed_size: 0
    .kernarg_segment_align: 8
    .kernarg_segment_size: 144
    .language:       OpenCL C
    .language_version:
      - 2
      - 0
    .max_flat_workgroup_size: 256
    .name:           _ZN7rocprim17ROCPRIM_400000_NS6detail17trampoline_kernelINS0_14default_configENS1_29reduce_by_key_config_selectorIdlN6thrust23THRUST_200600_302600_NS4plusIlEEEEZZNS1_33reduce_by_key_impl_wrapped_configILNS1_25lookback_scan_determinismE0ES3_S9_PdNS6_17constant_iteratorIiNS6_11use_defaultESE_EENS6_10device_ptrIdEENSG_IlEEPmS8_NS6_8equal_toIdEEEE10hipError_tPvRmT2_T3_mT4_T5_T6_T7_T8_P12ihipStream_tbENKUlT_T0_E_clISt17integral_constantIbLb1EES12_IbLb0EEEEDaSY_SZ_EUlSY_E_NS1_11comp_targetILNS1_3genE9ELNS1_11target_archE1100ELNS1_3gpuE3ELNS1_3repE0EEENS1_30default_config_static_selectorELNS0_4arch9wavefront6targetE1EEEvT1_
    .private_segment_fixed_size: 0
    .sgpr_count:     4
    .sgpr_spill_count: 0
    .symbol:         _ZN7rocprim17ROCPRIM_400000_NS6detail17trampoline_kernelINS0_14default_configENS1_29reduce_by_key_config_selectorIdlN6thrust23THRUST_200600_302600_NS4plusIlEEEEZZNS1_33reduce_by_key_impl_wrapped_configILNS1_25lookback_scan_determinismE0ES3_S9_PdNS6_17constant_iteratorIiNS6_11use_defaultESE_EENS6_10device_ptrIdEENSG_IlEEPmS8_NS6_8equal_toIdEEEE10hipError_tPvRmT2_T3_mT4_T5_T6_T7_T8_P12ihipStream_tbENKUlT_T0_E_clISt17integral_constantIbLb1EES12_IbLb0EEEEDaSY_SZ_EUlSY_E_NS1_11comp_targetILNS1_3genE9ELNS1_11target_archE1100ELNS1_3gpuE3ELNS1_3repE0EEENS1_30default_config_static_selectorELNS0_4arch9wavefront6targetE1EEEvT1_.kd
    .uniform_work_group_size: 1
    .uses_dynamic_stack: false
    .vgpr_count:     0
    .vgpr_spill_count: 0
    .wavefront_size: 64
  - .args:
      - .offset:         0
        .size:           144
        .value_kind:     by_value
    .group_segment_fixed_size: 0
    .kernarg_segment_align: 8
    .kernarg_segment_size: 144
    .language:       OpenCL C
    .language_version:
      - 2
      - 0
    .max_flat_workgroup_size: 256
    .name:           _ZN7rocprim17ROCPRIM_400000_NS6detail17trampoline_kernelINS0_14default_configENS1_29reduce_by_key_config_selectorIdlN6thrust23THRUST_200600_302600_NS4plusIlEEEEZZNS1_33reduce_by_key_impl_wrapped_configILNS1_25lookback_scan_determinismE0ES3_S9_PdNS6_17constant_iteratorIiNS6_11use_defaultESE_EENS6_10device_ptrIdEENSG_IlEEPmS8_NS6_8equal_toIdEEEE10hipError_tPvRmT2_T3_mT4_T5_T6_T7_T8_P12ihipStream_tbENKUlT_T0_E_clISt17integral_constantIbLb1EES12_IbLb0EEEEDaSY_SZ_EUlSY_E_NS1_11comp_targetILNS1_3genE8ELNS1_11target_archE1030ELNS1_3gpuE2ELNS1_3repE0EEENS1_30default_config_static_selectorELNS0_4arch9wavefront6targetE1EEEvT1_
    .private_segment_fixed_size: 0
    .sgpr_count:     4
    .sgpr_spill_count: 0
    .symbol:         _ZN7rocprim17ROCPRIM_400000_NS6detail17trampoline_kernelINS0_14default_configENS1_29reduce_by_key_config_selectorIdlN6thrust23THRUST_200600_302600_NS4plusIlEEEEZZNS1_33reduce_by_key_impl_wrapped_configILNS1_25lookback_scan_determinismE0ES3_S9_PdNS6_17constant_iteratorIiNS6_11use_defaultESE_EENS6_10device_ptrIdEENSG_IlEEPmS8_NS6_8equal_toIdEEEE10hipError_tPvRmT2_T3_mT4_T5_T6_T7_T8_P12ihipStream_tbENKUlT_T0_E_clISt17integral_constantIbLb1EES12_IbLb0EEEEDaSY_SZ_EUlSY_E_NS1_11comp_targetILNS1_3genE8ELNS1_11target_archE1030ELNS1_3gpuE2ELNS1_3repE0EEENS1_30default_config_static_selectorELNS0_4arch9wavefront6targetE1EEEvT1_.kd
    .uniform_work_group_size: 1
    .uses_dynamic_stack: false
    .vgpr_count:     0
    .vgpr_spill_count: 0
    .wavefront_size: 64
  - .args:
      - .offset:         0
        .size:           144
        .value_kind:     by_value
    .group_segment_fixed_size: 0
    .kernarg_segment_align: 8
    .kernarg_segment_size: 144
    .language:       OpenCL C
    .language_version:
      - 2
      - 0
    .max_flat_workgroup_size: 256
    .name:           _ZN7rocprim17ROCPRIM_400000_NS6detail17trampoline_kernelINS0_14default_configENS1_29reduce_by_key_config_selectorIdlN6thrust23THRUST_200600_302600_NS4plusIlEEEEZZNS1_33reduce_by_key_impl_wrapped_configILNS1_25lookback_scan_determinismE0ES3_S9_PdNS6_17constant_iteratorIiNS6_11use_defaultESE_EENS6_10device_ptrIdEENSG_IlEEPmS8_NS6_8equal_toIdEEEE10hipError_tPvRmT2_T3_mT4_T5_T6_T7_T8_P12ihipStream_tbENKUlT_T0_E_clISt17integral_constantIbLb0EES12_IbLb1EEEEDaSY_SZ_EUlSY_E_NS1_11comp_targetILNS1_3genE0ELNS1_11target_archE4294967295ELNS1_3gpuE0ELNS1_3repE0EEENS1_30default_config_static_selectorELNS0_4arch9wavefront6targetE1EEEvT1_
    .private_segment_fixed_size: 0
    .sgpr_count:     4
    .sgpr_spill_count: 0
    .symbol:         _ZN7rocprim17ROCPRIM_400000_NS6detail17trampoline_kernelINS0_14default_configENS1_29reduce_by_key_config_selectorIdlN6thrust23THRUST_200600_302600_NS4plusIlEEEEZZNS1_33reduce_by_key_impl_wrapped_configILNS1_25lookback_scan_determinismE0ES3_S9_PdNS6_17constant_iteratorIiNS6_11use_defaultESE_EENS6_10device_ptrIdEENSG_IlEEPmS8_NS6_8equal_toIdEEEE10hipError_tPvRmT2_T3_mT4_T5_T6_T7_T8_P12ihipStream_tbENKUlT_T0_E_clISt17integral_constantIbLb0EES12_IbLb1EEEEDaSY_SZ_EUlSY_E_NS1_11comp_targetILNS1_3genE0ELNS1_11target_archE4294967295ELNS1_3gpuE0ELNS1_3repE0EEENS1_30default_config_static_selectorELNS0_4arch9wavefront6targetE1EEEvT1_.kd
    .uniform_work_group_size: 1
    .uses_dynamic_stack: false
    .vgpr_count:     0
    .vgpr_spill_count: 0
    .wavefront_size: 64
  - .args:
      - .offset:         0
        .size:           144
        .value_kind:     by_value
    .group_segment_fixed_size: 0
    .kernarg_segment_align: 8
    .kernarg_segment_size: 144
    .language:       OpenCL C
    .language_version:
      - 2
      - 0
    .max_flat_workgroup_size: 256
    .name:           _ZN7rocprim17ROCPRIM_400000_NS6detail17trampoline_kernelINS0_14default_configENS1_29reduce_by_key_config_selectorIdlN6thrust23THRUST_200600_302600_NS4plusIlEEEEZZNS1_33reduce_by_key_impl_wrapped_configILNS1_25lookback_scan_determinismE0ES3_S9_PdNS6_17constant_iteratorIiNS6_11use_defaultESE_EENS6_10device_ptrIdEENSG_IlEEPmS8_NS6_8equal_toIdEEEE10hipError_tPvRmT2_T3_mT4_T5_T6_T7_T8_P12ihipStream_tbENKUlT_T0_E_clISt17integral_constantIbLb0EES12_IbLb1EEEEDaSY_SZ_EUlSY_E_NS1_11comp_targetILNS1_3genE5ELNS1_11target_archE942ELNS1_3gpuE9ELNS1_3repE0EEENS1_30default_config_static_selectorELNS0_4arch9wavefront6targetE1EEEvT1_
    .private_segment_fixed_size: 0
    .sgpr_count:     4
    .sgpr_spill_count: 0
    .symbol:         _ZN7rocprim17ROCPRIM_400000_NS6detail17trampoline_kernelINS0_14default_configENS1_29reduce_by_key_config_selectorIdlN6thrust23THRUST_200600_302600_NS4plusIlEEEEZZNS1_33reduce_by_key_impl_wrapped_configILNS1_25lookback_scan_determinismE0ES3_S9_PdNS6_17constant_iteratorIiNS6_11use_defaultESE_EENS6_10device_ptrIdEENSG_IlEEPmS8_NS6_8equal_toIdEEEE10hipError_tPvRmT2_T3_mT4_T5_T6_T7_T8_P12ihipStream_tbENKUlT_T0_E_clISt17integral_constantIbLb0EES12_IbLb1EEEEDaSY_SZ_EUlSY_E_NS1_11comp_targetILNS1_3genE5ELNS1_11target_archE942ELNS1_3gpuE9ELNS1_3repE0EEENS1_30default_config_static_selectorELNS0_4arch9wavefront6targetE1EEEvT1_.kd
    .uniform_work_group_size: 1
    .uses_dynamic_stack: false
    .vgpr_count:     0
    .vgpr_spill_count: 0
    .wavefront_size: 64
  - .args:
      - .offset:         0
        .size:           144
        .value_kind:     by_value
    .group_segment_fixed_size: 0
    .kernarg_segment_align: 8
    .kernarg_segment_size: 144
    .language:       OpenCL C
    .language_version:
      - 2
      - 0
    .max_flat_workgroup_size: 256
    .name:           _ZN7rocprim17ROCPRIM_400000_NS6detail17trampoline_kernelINS0_14default_configENS1_29reduce_by_key_config_selectorIdlN6thrust23THRUST_200600_302600_NS4plusIlEEEEZZNS1_33reduce_by_key_impl_wrapped_configILNS1_25lookback_scan_determinismE0ES3_S9_PdNS6_17constant_iteratorIiNS6_11use_defaultESE_EENS6_10device_ptrIdEENSG_IlEEPmS8_NS6_8equal_toIdEEEE10hipError_tPvRmT2_T3_mT4_T5_T6_T7_T8_P12ihipStream_tbENKUlT_T0_E_clISt17integral_constantIbLb0EES12_IbLb1EEEEDaSY_SZ_EUlSY_E_NS1_11comp_targetILNS1_3genE4ELNS1_11target_archE910ELNS1_3gpuE8ELNS1_3repE0EEENS1_30default_config_static_selectorELNS0_4arch9wavefront6targetE1EEEvT1_
    .private_segment_fixed_size: 0
    .sgpr_count:     4
    .sgpr_spill_count: 0
    .symbol:         _ZN7rocprim17ROCPRIM_400000_NS6detail17trampoline_kernelINS0_14default_configENS1_29reduce_by_key_config_selectorIdlN6thrust23THRUST_200600_302600_NS4plusIlEEEEZZNS1_33reduce_by_key_impl_wrapped_configILNS1_25lookback_scan_determinismE0ES3_S9_PdNS6_17constant_iteratorIiNS6_11use_defaultESE_EENS6_10device_ptrIdEENSG_IlEEPmS8_NS6_8equal_toIdEEEE10hipError_tPvRmT2_T3_mT4_T5_T6_T7_T8_P12ihipStream_tbENKUlT_T0_E_clISt17integral_constantIbLb0EES12_IbLb1EEEEDaSY_SZ_EUlSY_E_NS1_11comp_targetILNS1_3genE4ELNS1_11target_archE910ELNS1_3gpuE8ELNS1_3repE0EEENS1_30default_config_static_selectorELNS0_4arch9wavefront6targetE1EEEvT1_.kd
    .uniform_work_group_size: 1
    .uses_dynamic_stack: false
    .vgpr_count:     0
    .vgpr_spill_count: 0
    .wavefront_size: 64
  - .args:
      - .offset:         0
        .size:           144
        .value_kind:     by_value
    .group_segment_fixed_size: 0
    .kernarg_segment_align: 8
    .kernarg_segment_size: 144
    .language:       OpenCL C
    .language_version:
      - 2
      - 0
    .max_flat_workgroup_size: 256
    .name:           _ZN7rocprim17ROCPRIM_400000_NS6detail17trampoline_kernelINS0_14default_configENS1_29reduce_by_key_config_selectorIdlN6thrust23THRUST_200600_302600_NS4plusIlEEEEZZNS1_33reduce_by_key_impl_wrapped_configILNS1_25lookback_scan_determinismE0ES3_S9_PdNS6_17constant_iteratorIiNS6_11use_defaultESE_EENS6_10device_ptrIdEENSG_IlEEPmS8_NS6_8equal_toIdEEEE10hipError_tPvRmT2_T3_mT4_T5_T6_T7_T8_P12ihipStream_tbENKUlT_T0_E_clISt17integral_constantIbLb0EES12_IbLb1EEEEDaSY_SZ_EUlSY_E_NS1_11comp_targetILNS1_3genE3ELNS1_11target_archE908ELNS1_3gpuE7ELNS1_3repE0EEENS1_30default_config_static_selectorELNS0_4arch9wavefront6targetE1EEEvT1_
    .private_segment_fixed_size: 0
    .sgpr_count:     4
    .sgpr_spill_count: 0
    .symbol:         _ZN7rocprim17ROCPRIM_400000_NS6detail17trampoline_kernelINS0_14default_configENS1_29reduce_by_key_config_selectorIdlN6thrust23THRUST_200600_302600_NS4plusIlEEEEZZNS1_33reduce_by_key_impl_wrapped_configILNS1_25lookback_scan_determinismE0ES3_S9_PdNS6_17constant_iteratorIiNS6_11use_defaultESE_EENS6_10device_ptrIdEENSG_IlEEPmS8_NS6_8equal_toIdEEEE10hipError_tPvRmT2_T3_mT4_T5_T6_T7_T8_P12ihipStream_tbENKUlT_T0_E_clISt17integral_constantIbLb0EES12_IbLb1EEEEDaSY_SZ_EUlSY_E_NS1_11comp_targetILNS1_3genE3ELNS1_11target_archE908ELNS1_3gpuE7ELNS1_3repE0EEENS1_30default_config_static_selectorELNS0_4arch9wavefront6targetE1EEEvT1_.kd
    .uniform_work_group_size: 1
    .uses_dynamic_stack: false
    .vgpr_count:     0
    .vgpr_spill_count: 0
    .wavefront_size: 64
  - .args:
      - .offset:         0
        .size:           144
        .value_kind:     by_value
    .group_segment_fixed_size: 30720
    .kernarg_segment_align: 8
    .kernarg_segment_size: 144
    .language:       OpenCL C
    .language_version:
      - 2
      - 0
    .max_flat_workgroup_size: 256
    .name:           _ZN7rocprim17ROCPRIM_400000_NS6detail17trampoline_kernelINS0_14default_configENS1_29reduce_by_key_config_selectorIdlN6thrust23THRUST_200600_302600_NS4plusIlEEEEZZNS1_33reduce_by_key_impl_wrapped_configILNS1_25lookback_scan_determinismE0ES3_S9_PdNS6_17constant_iteratorIiNS6_11use_defaultESE_EENS6_10device_ptrIdEENSG_IlEEPmS8_NS6_8equal_toIdEEEE10hipError_tPvRmT2_T3_mT4_T5_T6_T7_T8_P12ihipStream_tbENKUlT_T0_E_clISt17integral_constantIbLb0EES12_IbLb1EEEEDaSY_SZ_EUlSY_E_NS1_11comp_targetILNS1_3genE2ELNS1_11target_archE906ELNS1_3gpuE6ELNS1_3repE0EEENS1_30default_config_static_selectorELNS0_4arch9wavefront6targetE1EEEvT1_
    .private_segment_fixed_size: 64
    .sgpr_count:     72
    .sgpr_spill_count: 0
    .symbol:         _ZN7rocprim17ROCPRIM_400000_NS6detail17trampoline_kernelINS0_14default_configENS1_29reduce_by_key_config_selectorIdlN6thrust23THRUST_200600_302600_NS4plusIlEEEEZZNS1_33reduce_by_key_impl_wrapped_configILNS1_25lookback_scan_determinismE0ES3_S9_PdNS6_17constant_iteratorIiNS6_11use_defaultESE_EENS6_10device_ptrIdEENSG_IlEEPmS8_NS6_8equal_toIdEEEE10hipError_tPvRmT2_T3_mT4_T5_T6_T7_T8_P12ihipStream_tbENKUlT_T0_E_clISt17integral_constantIbLb0EES12_IbLb1EEEEDaSY_SZ_EUlSY_E_NS1_11comp_targetILNS1_3genE2ELNS1_11target_archE906ELNS1_3gpuE6ELNS1_3repE0EEENS1_30default_config_static_selectorELNS0_4arch9wavefront6targetE1EEEvT1_.kd
    .uniform_work_group_size: 1
    .uses_dynamic_stack: false
    .vgpr_count:     119
    .vgpr_spill_count: 0
    .wavefront_size: 64
  - .args:
      - .offset:         0
        .size:           144
        .value_kind:     by_value
    .group_segment_fixed_size: 0
    .kernarg_segment_align: 8
    .kernarg_segment_size: 144
    .language:       OpenCL C
    .language_version:
      - 2
      - 0
    .max_flat_workgroup_size: 256
    .name:           _ZN7rocprim17ROCPRIM_400000_NS6detail17trampoline_kernelINS0_14default_configENS1_29reduce_by_key_config_selectorIdlN6thrust23THRUST_200600_302600_NS4plusIlEEEEZZNS1_33reduce_by_key_impl_wrapped_configILNS1_25lookback_scan_determinismE0ES3_S9_PdNS6_17constant_iteratorIiNS6_11use_defaultESE_EENS6_10device_ptrIdEENSG_IlEEPmS8_NS6_8equal_toIdEEEE10hipError_tPvRmT2_T3_mT4_T5_T6_T7_T8_P12ihipStream_tbENKUlT_T0_E_clISt17integral_constantIbLb0EES12_IbLb1EEEEDaSY_SZ_EUlSY_E_NS1_11comp_targetILNS1_3genE10ELNS1_11target_archE1201ELNS1_3gpuE5ELNS1_3repE0EEENS1_30default_config_static_selectorELNS0_4arch9wavefront6targetE1EEEvT1_
    .private_segment_fixed_size: 0
    .sgpr_count:     4
    .sgpr_spill_count: 0
    .symbol:         _ZN7rocprim17ROCPRIM_400000_NS6detail17trampoline_kernelINS0_14default_configENS1_29reduce_by_key_config_selectorIdlN6thrust23THRUST_200600_302600_NS4plusIlEEEEZZNS1_33reduce_by_key_impl_wrapped_configILNS1_25lookback_scan_determinismE0ES3_S9_PdNS6_17constant_iteratorIiNS6_11use_defaultESE_EENS6_10device_ptrIdEENSG_IlEEPmS8_NS6_8equal_toIdEEEE10hipError_tPvRmT2_T3_mT4_T5_T6_T7_T8_P12ihipStream_tbENKUlT_T0_E_clISt17integral_constantIbLb0EES12_IbLb1EEEEDaSY_SZ_EUlSY_E_NS1_11comp_targetILNS1_3genE10ELNS1_11target_archE1201ELNS1_3gpuE5ELNS1_3repE0EEENS1_30default_config_static_selectorELNS0_4arch9wavefront6targetE1EEEvT1_.kd
    .uniform_work_group_size: 1
    .uses_dynamic_stack: false
    .vgpr_count:     0
    .vgpr_spill_count: 0
    .wavefront_size: 64
  - .args:
      - .offset:         0
        .size:           144
        .value_kind:     by_value
    .group_segment_fixed_size: 0
    .kernarg_segment_align: 8
    .kernarg_segment_size: 144
    .language:       OpenCL C
    .language_version:
      - 2
      - 0
    .max_flat_workgroup_size: 256
    .name:           _ZN7rocprim17ROCPRIM_400000_NS6detail17trampoline_kernelINS0_14default_configENS1_29reduce_by_key_config_selectorIdlN6thrust23THRUST_200600_302600_NS4plusIlEEEEZZNS1_33reduce_by_key_impl_wrapped_configILNS1_25lookback_scan_determinismE0ES3_S9_PdNS6_17constant_iteratorIiNS6_11use_defaultESE_EENS6_10device_ptrIdEENSG_IlEEPmS8_NS6_8equal_toIdEEEE10hipError_tPvRmT2_T3_mT4_T5_T6_T7_T8_P12ihipStream_tbENKUlT_T0_E_clISt17integral_constantIbLb0EES12_IbLb1EEEEDaSY_SZ_EUlSY_E_NS1_11comp_targetILNS1_3genE10ELNS1_11target_archE1200ELNS1_3gpuE4ELNS1_3repE0EEENS1_30default_config_static_selectorELNS0_4arch9wavefront6targetE1EEEvT1_
    .private_segment_fixed_size: 0
    .sgpr_count:     4
    .sgpr_spill_count: 0
    .symbol:         _ZN7rocprim17ROCPRIM_400000_NS6detail17trampoline_kernelINS0_14default_configENS1_29reduce_by_key_config_selectorIdlN6thrust23THRUST_200600_302600_NS4plusIlEEEEZZNS1_33reduce_by_key_impl_wrapped_configILNS1_25lookback_scan_determinismE0ES3_S9_PdNS6_17constant_iteratorIiNS6_11use_defaultESE_EENS6_10device_ptrIdEENSG_IlEEPmS8_NS6_8equal_toIdEEEE10hipError_tPvRmT2_T3_mT4_T5_T6_T7_T8_P12ihipStream_tbENKUlT_T0_E_clISt17integral_constantIbLb0EES12_IbLb1EEEEDaSY_SZ_EUlSY_E_NS1_11comp_targetILNS1_3genE10ELNS1_11target_archE1200ELNS1_3gpuE4ELNS1_3repE0EEENS1_30default_config_static_selectorELNS0_4arch9wavefront6targetE1EEEvT1_.kd
    .uniform_work_group_size: 1
    .uses_dynamic_stack: false
    .vgpr_count:     0
    .vgpr_spill_count: 0
    .wavefront_size: 64
  - .args:
      - .offset:         0
        .size:           144
        .value_kind:     by_value
    .group_segment_fixed_size: 0
    .kernarg_segment_align: 8
    .kernarg_segment_size: 144
    .language:       OpenCL C
    .language_version:
      - 2
      - 0
    .max_flat_workgroup_size: 256
    .name:           _ZN7rocprim17ROCPRIM_400000_NS6detail17trampoline_kernelINS0_14default_configENS1_29reduce_by_key_config_selectorIdlN6thrust23THRUST_200600_302600_NS4plusIlEEEEZZNS1_33reduce_by_key_impl_wrapped_configILNS1_25lookback_scan_determinismE0ES3_S9_PdNS6_17constant_iteratorIiNS6_11use_defaultESE_EENS6_10device_ptrIdEENSG_IlEEPmS8_NS6_8equal_toIdEEEE10hipError_tPvRmT2_T3_mT4_T5_T6_T7_T8_P12ihipStream_tbENKUlT_T0_E_clISt17integral_constantIbLb0EES12_IbLb1EEEEDaSY_SZ_EUlSY_E_NS1_11comp_targetILNS1_3genE9ELNS1_11target_archE1100ELNS1_3gpuE3ELNS1_3repE0EEENS1_30default_config_static_selectorELNS0_4arch9wavefront6targetE1EEEvT1_
    .private_segment_fixed_size: 0
    .sgpr_count:     4
    .sgpr_spill_count: 0
    .symbol:         _ZN7rocprim17ROCPRIM_400000_NS6detail17trampoline_kernelINS0_14default_configENS1_29reduce_by_key_config_selectorIdlN6thrust23THRUST_200600_302600_NS4plusIlEEEEZZNS1_33reduce_by_key_impl_wrapped_configILNS1_25lookback_scan_determinismE0ES3_S9_PdNS6_17constant_iteratorIiNS6_11use_defaultESE_EENS6_10device_ptrIdEENSG_IlEEPmS8_NS6_8equal_toIdEEEE10hipError_tPvRmT2_T3_mT4_T5_T6_T7_T8_P12ihipStream_tbENKUlT_T0_E_clISt17integral_constantIbLb0EES12_IbLb1EEEEDaSY_SZ_EUlSY_E_NS1_11comp_targetILNS1_3genE9ELNS1_11target_archE1100ELNS1_3gpuE3ELNS1_3repE0EEENS1_30default_config_static_selectorELNS0_4arch9wavefront6targetE1EEEvT1_.kd
    .uniform_work_group_size: 1
    .uses_dynamic_stack: false
    .vgpr_count:     0
    .vgpr_spill_count: 0
    .wavefront_size: 64
  - .args:
      - .offset:         0
        .size:           144
        .value_kind:     by_value
    .group_segment_fixed_size: 0
    .kernarg_segment_align: 8
    .kernarg_segment_size: 144
    .language:       OpenCL C
    .language_version:
      - 2
      - 0
    .max_flat_workgroup_size: 256
    .name:           _ZN7rocprim17ROCPRIM_400000_NS6detail17trampoline_kernelINS0_14default_configENS1_29reduce_by_key_config_selectorIdlN6thrust23THRUST_200600_302600_NS4plusIlEEEEZZNS1_33reduce_by_key_impl_wrapped_configILNS1_25lookback_scan_determinismE0ES3_S9_PdNS6_17constant_iteratorIiNS6_11use_defaultESE_EENS6_10device_ptrIdEENSG_IlEEPmS8_NS6_8equal_toIdEEEE10hipError_tPvRmT2_T3_mT4_T5_T6_T7_T8_P12ihipStream_tbENKUlT_T0_E_clISt17integral_constantIbLb0EES12_IbLb1EEEEDaSY_SZ_EUlSY_E_NS1_11comp_targetILNS1_3genE8ELNS1_11target_archE1030ELNS1_3gpuE2ELNS1_3repE0EEENS1_30default_config_static_selectorELNS0_4arch9wavefront6targetE1EEEvT1_
    .private_segment_fixed_size: 0
    .sgpr_count:     4
    .sgpr_spill_count: 0
    .symbol:         _ZN7rocprim17ROCPRIM_400000_NS6detail17trampoline_kernelINS0_14default_configENS1_29reduce_by_key_config_selectorIdlN6thrust23THRUST_200600_302600_NS4plusIlEEEEZZNS1_33reduce_by_key_impl_wrapped_configILNS1_25lookback_scan_determinismE0ES3_S9_PdNS6_17constant_iteratorIiNS6_11use_defaultESE_EENS6_10device_ptrIdEENSG_IlEEPmS8_NS6_8equal_toIdEEEE10hipError_tPvRmT2_T3_mT4_T5_T6_T7_T8_P12ihipStream_tbENKUlT_T0_E_clISt17integral_constantIbLb0EES12_IbLb1EEEEDaSY_SZ_EUlSY_E_NS1_11comp_targetILNS1_3genE8ELNS1_11target_archE1030ELNS1_3gpuE2ELNS1_3repE0EEENS1_30default_config_static_selectorELNS0_4arch9wavefront6targetE1EEEvT1_.kd
    .uniform_work_group_size: 1
    .uses_dynamic_stack: false
    .vgpr_count:     0
    .vgpr_spill_count: 0
    .wavefront_size: 64
  - .args:
      - .offset:         0
        .size:           96
        .value_kind:     by_value
    .group_segment_fixed_size: 0
    .kernarg_segment_align: 8
    .kernarg_segment_size: 96
    .language:       OpenCL C
    .language_version:
      - 2
      - 0
    .max_flat_workgroup_size: 128
    .name:           _ZN7rocprim17ROCPRIM_400000_NS6detail17trampoline_kernelINS0_14default_configENS1_22reduce_config_selectorIN6thrust23THRUST_200600_302600_NS5tupleIblNS6_9null_typeES8_S8_S8_S8_S8_S8_S8_EEEEZNS1_11reduce_implILb1ES3_NS6_12zip_iteratorINS7_INS6_11hip_rocprim26transform_input_iterator_tIbPdNS6_6detail10functional5actorINSH_9compositeIJNSH_27transparent_binary_operatorINS6_8equal_toIvEEEENSI_INSH_8argumentILj0EEEEENSH_5valueIdEEEEEEEEENSD_19counting_iterator_tIlEES8_S8_S8_S8_S8_S8_S8_S8_EEEEPS9_S9_NSD_9__find_if7functorIS9_EEEE10hipError_tPvRmT1_T2_T3_mT4_P12ihipStream_tbEUlT_E0_NS1_11comp_targetILNS1_3genE0ELNS1_11target_archE4294967295ELNS1_3gpuE0ELNS1_3repE0EEENS1_30default_config_static_selectorELNS0_4arch9wavefront6targetE1EEEvS17_
    .private_segment_fixed_size: 0
    .sgpr_count:     4
    .sgpr_spill_count: 0
    .symbol:         _ZN7rocprim17ROCPRIM_400000_NS6detail17trampoline_kernelINS0_14default_configENS1_22reduce_config_selectorIN6thrust23THRUST_200600_302600_NS5tupleIblNS6_9null_typeES8_S8_S8_S8_S8_S8_S8_EEEEZNS1_11reduce_implILb1ES3_NS6_12zip_iteratorINS7_INS6_11hip_rocprim26transform_input_iterator_tIbPdNS6_6detail10functional5actorINSH_9compositeIJNSH_27transparent_binary_operatorINS6_8equal_toIvEEEENSI_INSH_8argumentILj0EEEEENSH_5valueIdEEEEEEEEENSD_19counting_iterator_tIlEES8_S8_S8_S8_S8_S8_S8_S8_EEEEPS9_S9_NSD_9__find_if7functorIS9_EEEE10hipError_tPvRmT1_T2_T3_mT4_P12ihipStream_tbEUlT_E0_NS1_11comp_targetILNS1_3genE0ELNS1_11target_archE4294967295ELNS1_3gpuE0ELNS1_3repE0EEENS1_30default_config_static_selectorELNS0_4arch9wavefront6targetE1EEEvS17_.kd
    .uniform_work_group_size: 1
    .uses_dynamic_stack: false
    .vgpr_count:     0
    .vgpr_spill_count: 0
    .wavefront_size: 64
  - .args:
      - .offset:         0
        .size:           96
        .value_kind:     by_value
    .group_segment_fixed_size: 0
    .kernarg_segment_align: 8
    .kernarg_segment_size: 96
    .language:       OpenCL C
    .language_version:
      - 2
      - 0
    .max_flat_workgroup_size: 256
    .name:           _ZN7rocprim17ROCPRIM_400000_NS6detail17trampoline_kernelINS0_14default_configENS1_22reduce_config_selectorIN6thrust23THRUST_200600_302600_NS5tupleIblNS6_9null_typeES8_S8_S8_S8_S8_S8_S8_EEEEZNS1_11reduce_implILb1ES3_NS6_12zip_iteratorINS7_INS6_11hip_rocprim26transform_input_iterator_tIbPdNS6_6detail10functional5actorINSH_9compositeIJNSH_27transparent_binary_operatorINS6_8equal_toIvEEEENSI_INSH_8argumentILj0EEEEENSH_5valueIdEEEEEEEEENSD_19counting_iterator_tIlEES8_S8_S8_S8_S8_S8_S8_S8_EEEEPS9_S9_NSD_9__find_if7functorIS9_EEEE10hipError_tPvRmT1_T2_T3_mT4_P12ihipStream_tbEUlT_E0_NS1_11comp_targetILNS1_3genE5ELNS1_11target_archE942ELNS1_3gpuE9ELNS1_3repE0EEENS1_30default_config_static_selectorELNS0_4arch9wavefront6targetE1EEEvS17_
    .private_segment_fixed_size: 0
    .sgpr_count:     4
    .sgpr_spill_count: 0
    .symbol:         _ZN7rocprim17ROCPRIM_400000_NS6detail17trampoline_kernelINS0_14default_configENS1_22reduce_config_selectorIN6thrust23THRUST_200600_302600_NS5tupleIblNS6_9null_typeES8_S8_S8_S8_S8_S8_S8_EEEEZNS1_11reduce_implILb1ES3_NS6_12zip_iteratorINS7_INS6_11hip_rocprim26transform_input_iterator_tIbPdNS6_6detail10functional5actorINSH_9compositeIJNSH_27transparent_binary_operatorINS6_8equal_toIvEEEENSI_INSH_8argumentILj0EEEEENSH_5valueIdEEEEEEEEENSD_19counting_iterator_tIlEES8_S8_S8_S8_S8_S8_S8_S8_EEEEPS9_S9_NSD_9__find_if7functorIS9_EEEE10hipError_tPvRmT1_T2_T3_mT4_P12ihipStream_tbEUlT_E0_NS1_11comp_targetILNS1_3genE5ELNS1_11target_archE942ELNS1_3gpuE9ELNS1_3repE0EEENS1_30default_config_static_selectorELNS0_4arch9wavefront6targetE1EEEvS17_.kd
    .uniform_work_group_size: 1
    .uses_dynamic_stack: false
    .vgpr_count:     0
    .vgpr_spill_count: 0
    .wavefront_size: 64
  - .args:
      - .offset:         0
        .size:           96
        .value_kind:     by_value
    .group_segment_fixed_size: 0
    .kernarg_segment_align: 8
    .kernarg_segment_size: 96
    .language:       OpenCL C
    .language_version:
      - 2
      - 0
    .max_flat_workgroup_size: 256
    .name:           _ZN7rocprim17ROCPRIM_400000_NS6detail17trampoline_kernelINS0_14default_configENS1_22reduce_config_selectorIN6thrust23THRUST_200600_302600_NS5tupleIblNS6_9null_typeES8_S8_S8_S8_S8_S8_S8_EEEEZNS1_11reduce_implILb1ES3_NS6_12zip_iteratorINS7_INS6_11hip_rocprim26transform_input_iterator_tIbPdNS6_6detail10functional5actorINSH_9compositeIJNSH_27transparent_binary_operatorINS6_8equal_toIvEEEENSI_INSH_8argumentILj0EEEEENSH_5valueIdEEEEEEEEENSD_19counting_iterator_tIlEES8_S8_S8_S8_S8_S8_S8_S8_EEEEPS9_S9_NSD_9__find_if7functorIS9_EEEE10hipError_tPvRmT1_T2_T3_mT4_P12ihipStream_tbEUlT_E0_NS1_11comp_targetILNS1_3genE4ELNS1_11target_archE910ELNS1_3gpuE8ELNS1_3repE0EEENS1_30default_config_static_selectorELNS0_4arch9wavefront6targetE1EEEvS17_
    .private_segment_fixed_size: 0
    .sgpr_count:     4
    .sgpr_spill_count: 0
    .symbol:         _ZN7rocprim17ROCPRIM_400000_NS6detail17trampoline_kernelINS0_14default_configENS1_22reduce_config_selectorIN6thrust23THRUST_200600_302600_NS5tupleIblNS6_9null_typeES8_S8_S8_S8_S8_S8_S8_EEEEZNS1_11reduce_implILb1ES3_NS6_12zip_iteratorINS7_INS6_11hip_rocprim26transform_input_iterator_tIbPdNS6_6detail10functional5actorINSH_9compositeIJNSH_27transparent_binary_operatorINS6_8equal_toIvEEEENSI_INSH_8argumentILj0EEEEENSH_5valueIdEEEEEEEEENSD_19counting_iterator_tIlEES8_S8_S8_S8_S8_S8_S8_S8_EEEEPS9_S9_NSD_9__find_if7functorIS9_EEEE10hipError_tPvRmT1_T2_T3_mT4_P12ihipStream_tbEUlT_E0_NS1_11comp_targetILNS1_3genE4ELNS1_11target_archE910ELNS1_3gpuE8ELNS1_3repE0EEENS1_30default_config_static_selectorELNS0_4arch9wavefront6targetE1EEEvS17_.kd
    .uniform_work_group_size: 1
    .uses_dynamic_stack: false
    .vgpr_count:     0
    .vgpr_spill_count: 0
    .wavefront_size: 64
  - .args:
      - .offset:         0
        .size:           96
        .value_kind:     by_value
    .group_segment_fixed_size: 0
    .kernarg_segment_align: 8
    .kernarg_segment_size: 96
    .language:       OpenCL C
    .language_version:
      - 2
      - 0
    .max_flat_workgroup_size: 128
    .name:           _ZN7rocprim17ROCPRIM_400000_NS6detail17trampoline_kernelINS0_14default_configENS1_22reduce_config_selectorIN6thrust23THRUST_200600_302600_NS5tupleIblNS6_9null_typeES8_S8_S8_S8_S8_S8_S8_EEEEZNS1_11reduce_implILb1ES3_NS6_12zip_iteratorINS7_INS6_11hip_rocprim26transform_input_iterator_tIbPdNS6_6detail10functional5actorINSH_9compositeIJNSH_27transparent_binary_operatorINS6_8equal_toIvEEEENSI_INSH_8argumentILj0EEEEENSH_5valueIdEEEEEEEEENSD_19counting_iterator_tIlEES8_S8_S8_S8_S8_S8_S8_S8_EEEEPS9_S9_NSD_9__find_if7functorIS9_EEEE10hipError_tPvRmT1_T2_T3_mT4_P12ihipStream_tbEUlT_E0_NS1_11comp_targetILNS1_3genE3ELNS1_11target_archE908ELNS1_3gpuE7ELNS1_3repE0EEENS1_30default_config_static_selectorELNS0_4arch9wavefront6targetE1EEEvS17_
    .private_segment_fixed_size: 0
    .sgpr_count:     4
    .sgpr_spill_count: 0
    .symbol:         _ZN7rocprim17ROCPRIM_400000_NS6detail17trampoline_kernelINS0_14default_configENS1_22reduce_config_selectorIN6thrust23THRUST_200600_302600_NS5tupleIblNS6_9null_typeES8_S8_S8_S8_S8_S8_S8_EEEEZNS1_11reduce_implILb1ES3_NS6_12zip_iteratorINS7_INS6_11hip_rocprim26transform_input_iterator_tIbPdNS6_6detail10functional5actorINSH_9compositeIJNSH_27transparent_binary_operatorINS6_8equal_toIvEEEENSI_INSH_8argumentILj0EEEEENSH_5valueIdEEEEEEEEENSD_19counting_iterator_tIlEES8_S8_S8_S8_S8_S8_S8_S8_EEEEPS9_S9_NSD_9__find_if7functorIS9_EEEE10hipError_tPvRmT1_T2_T3_mT4_P12ihipStream_tbEUlT_E0_NS1_11comp_targetILNS1_3genE3ELNS1_11target_archE908ELNS1_3gpuE7ELNS1_3repE0EEENS1_30default_config_static_selectorELNS0_4arch9wavefront6targetE1EEEvS17_.kd
    .uniform_work_group_size: 1
    .uses_dynamic_stack: false
    .vgpr_count:     0
    .vgpr_spill_count: 0
    .wavefront_size: 64
  - .args:
      - .offset:         0
        .size:           96
        .value_kind:     by_value
    .group_segment_fixed_size: 64
    .kernarg_segment_align: 8
    .kernarg_segment_size: 96
    .language:       OpenCL C
    .language_version:
      - 2
      - 0
    .max_flat_workgroup_size: 128
    .name:           _ZN7rocprim17ROCPRIM_400000_NS6detail17trampoline_kernelINS0_14default_configENS1_22reduce_config_selectorIN6thrust23THRUST_200600_302600_NS5tupleIblNS6_9null_typeES8_S8_S8_S8_S8_S8_S8_EEEEZNS1_11reduce_implILb1ES3_NS6_12zip_iteratorINS7_INS6_11hip_rocprim26transform_input_iterator_tIbPdNS6_6detail10functional5actorINSH_9compositeIJNSH_27transparent_binary_operatorINS6_8equal_toIvEEEENSI_INSH_8argumentILj0EEEEENSH_5valueIdEEEEEEEEENSD_19counting_iterator_tIlEES8_S8_S8_S8_S8_S8_S8_S8_EEEEPS9_S9_NSD_9__find_if7functorIS9_EEEE10hipError_tPvRmT1_T2_T3_mT4_P12ihipStream_tbEUlT_E0_NS1_11comp_targetILNS1_3genE2ELNS1_11target_archE906ELNS1_3gpuE6ELNS1_3repE0EEENS1_30default_config_static_selectorELNS0_4arch9wavefront6targetE1EEEvS17_
    .private_segment_fixed_size: 0
    .sgpr_count:     36
    .sgpr_spill_count: 0
    .symbol:         _ZN7rocprim17ROCPRIM_400000_NS6detail17trampoline_kernelINS0_14default_configENS1_22reduce_config_selectorIN6thrust23THRUST_200600_302600_NS5tupleIblNS6_9null_typeES8_S8_S8_S8_S8_S8_S8_EEEEZNS1_11reduce_implILb1ES3_NS6_12zip_iteratorINS7_INS6_11hip_rocprim26transform_input_iterator_tIbPdNS6_6detail10functional5actorINSH_9compositeIJNSH_27transparent_binary_operatorINS6_8equal_toIvEEEENSI_INSH_8argumentILj0EEEEENSH_5valueIdEEEEEEEEENSD_19counting_iterator_tIlEES8_S8_S8_S8_S8_S8_S8_S8_EEEEPS9_S9_NSD_9__find_if7functorIS9_EEEE10hipError_tPvRmT1_T2_T3_mT4_P12ihipStream_tbEUlT_E0_NS1_11comp_targetILNS1_3genE2ELNS1_11target_archE906ELNS1_3gpuE6ELNS1_3repE0EEENS1_30default_config_static_selectorELNS0_4arch9wavefront6targetE1EEEvS17_.kd
    .uniform_work_group_size: 1
    .uses_dynamic_stack: false
    .vgpr_count:     13
    .vgpr_spill_count: 0
    .wavefront_size: 64
  - .args:
      - .offset:         0
        .size:           96
        .value_kind:     by_value
    .group_segment_fixed_size: 0
    .kernarg_segment_align: 8
    .kernarg_segment_size: 96
    .language:       OpenCL C
    .language_version:
      - 2
      - 0
    .max_flat_workgroup_size: 256
    .name:           _ZN7rocprim17ROCPRIM_400000_NS6detail17trampoline_kernelINS0_14default_configENS1_22reduce_config_selectorIN6thrust23THRUST_200600_302600_NS5tupleIblNS6_9null_typeES8_S8_S8_S8_S8_S8_S8_EEEEZNS1_11reduce_implILb1ES3_NS6_12zip_iteratorINS7_INS6_11hip_rocprim26transform_input_iterator_tIbPdNS6_6detail10functional5actorINSH_9compositeIJNSH_27transparent_binary_operatorINS6_8equal_toIvEEEENSI_INSH_8argumentILj0EEEEENSH_5valueIdEEEEEEEEENSD_19counting_iterator_tIlEES8_S8_S8_S8_S8_S8_S8_S8_EEEEPS9_S9_NSD_9__find_if7functorIS9_EEEE10hipError_tPvRmT1_T2_T3_mT4_P12ihipStream_tbEUlT_E0_NS1_11comp_targetILNS1_3genE10ELNS1_11target_archE1201ELNS1_3gpuE5ELNS1_3repE0EEENS1_30default_config_static_selectorELNS0_4arch9wavefront6targetE1EEEvS17_
    .private_segment_fixed_size: 0
    .sgpr_count:     4
    .sgpr_spill_count: 0
    .symbol:         _ZN7rocprim17ROCPRIM_400000_NS6detail17trampoline_kernelINS0_14default_configENS1_22reduce_config_selectorIN6thrust23THRUST_200600_302600_NS5tupleIblNS6_9null_typeES8_S8_S8_S8_S8_S8_S8_EEEEZNS1_11reduce_implILb1ES3_NS6_12zip_iteratorINS7_INS6_11hip_rocprim26transform_input_iterator_tIbPdNS6_6detail10functional5actorINSH_9compositeIJNSH_27transparent_binary_operatorINS6_8equal_toIvEEEENSI_INSH_8argumentILj0EEEEENSH_5valueIdEEEEEEEEENSD_19counting_iterator_tIlEES8_S8_S8_S8_S8_S8_S8_S8_EEEEPS9_S9_NSD_9__find_if7functorIS9_EEEE10hipError_tPvRmT1_T2_T3_mT4_P12ihipStream_tbEUlT_E0_NS1_11comp_targetILNS1_3genE10ELNS1_11target_archE1201ELNS1_3gpuE5ELNS1_3repE0EEENS1_30default_config_static_selectorELNS0_4arch9wavefront6targetE1EEEvS17_.kd
    .uniform_work_group_size: 1
    .uses_dynamic_stack: false
    .vgpr_count:     0
    .vgpr_spill_count: 0
    .wavefront_size: 64
  - .args:
      - .offset:         0
        .size:           96
        .value_kind:     by_value
    .group_segment_fixed_size: 0
    .kernarg_segment_align: 8
    .kernarg_segment_size: 96
    .language:       OpenCL C
    .language_version:
      - 2
      - 0
    .max_flat_workgroup_size: 256
    .name:           _ZN7rocprim17ROCPRIM_400000_NS6detail17trampoline_kernelINS0_14default_configENS1_22reduce_config_selectorIN6thrust23THRUST_200600_302600_NS5tupleIblNS6_9null_typeES8_S8_S8_S8_S8_S8_S8_EEEEZNS1_11reduce_implILb1ES3_NS6_12zip_iteratorINS7_INS6_11hip_rocprim26transform_input_iterator_tIbPdNS6_6detail10functional5actorINSH_9compositeIJNSH_27transparent_binary_operatorINS6_8equal_toIvEEEENSI_INSH_8argumentILj0EEEEENSH_5valueIdEEEEEEEEENSD_19counting_iterator_tIlEES8_S8_S8_S8_S8_S8_S8_S8_EEEEPS9_S9_NSD_9__find_if7functorIS9_EEEE10hipError_tPvRmT1_T2_T3_mT4_P12ihipStream_tbEUlT_E0_NS1_11comp_targetILNS1_3genE10ELNS1_11target_archE1200ELNS1_3gpuE4ELNS1_3repE0EEENS1_30default_config_static_selectorELNS0_4arch9wavefront6targetE1EEEvS17_
    .private_segment_fixed_size: 0
    .sgpr_count:     4
    .sgpr_spill_count: 0
    .symbol:         _ZN7rocprim17ROCPRIM_400000_NS6detail17trampoline_kernelINS0_14default_configENS1_22reduce_config_selectorIN6thrust23THRUST_200600_302600_NS5tupleIblNS6_9null_typeES8_S8_S8_S8_S8_S8_S8_EEEEZNS1_11reduce_implILb1ES3_NS6_12zip_iteratorINS7_INS6_11hip_rocprim26transform_input_iterator_tIbPdNS6_6detail10functional5actorINSH_9compositeIJNSH_27transparent_binary_operatorINS6_8equal_toIvEEEENSI_INSH_8argumentILj0EEEEENSH_5valueIdEEEEEEEEENSD_19counting_iterator_tIlEES8_S8_S8_S8_S8_S8_S8_S8_EEEEPS9_S9_NSD_9__find_if7functorIS9_EEEE10hipError_tPvRmT1_T2_T3_mT4_P12ihipStream_tbEUlT_E0_NS1_11comp_targetILNS1_3genE10ELNS1_11target_archE1200ELNS1_3gpuE4ELNS1_3repE0EEENS1_30default_config_static_selectorELNS0_4arch9wavefront6targetE1EEEvS17_.kd
    .uniform_work_group_size: 1
    .uses_dynamic_stack: false
    .vgpr_count:     0
    .vgpr_spill_count: 0
    .wavefront_size: 64
  - .args:
      - .offset:         0
        .size:           96
        .value_kind:     by_value
    .group_segment_fixed_size: 0
    .kernarg_segment_align: 8
    .kernarg_segment_size: 96
    .language:       OpenCL C
    .language_version:
      - 2
      - 0
    .max_flat_workgroup_size: 256
    .name:           _ZN7rocprim17ROCPRIM_400000_NS6detail17trampoline_kernelINS0_14default_configENS1_22reduce_config_selectorIN6thrust23THRUST_200600_302600_NS5tupleIblNS6_9null_typeES8_S8_S8_S8_S8_S8_S8_EEEEZNS1_11reduce_implILb1ES3_NS6_12zip_iteratorINS7_INS6_11hip_rocprim26transform_input_iterator_tIbPdNS6_6detail10functional5actorINSH_9compositeIJNSH_27transparent_binary_operatorINS6_8equal_toIvEEEENSI_INSH_8argumentILj0EEEEENSH_5valueIdEEEEEEEEENSD_19counting_iterator_tIlEES8_S8_S8_S8_S8_S8_S8_S8_EEEEPS9_S9_NSD_9__find_if7functorIS9_EEEE10hipError_tPvRmT1_T2_T3_mT4_P12ihipStream_tbEUlT_E0_NS1_11comp_targetILNS1_3genE9ELNS1_11target_archE1100ELNS1_3gpuE3ELNS1_3repE0EEENS1_30default_config_static_selectorELNS0_4arch9wavefront6targetE1EEEvS17_
    .private_segment_fixed_size: 0
    .sgpr_count:     4
    .sgpr_spill_count: 0
    .symbol:         _ZN7rocprim17ROCPRIM_400000_NS6detail17trampoline_kernelINS0_14default_configENS1_22reduce_config_selectorIN6thrust23THRUST_200600_302600_NS5tupleIblNS6_9null_typeES8_S8_S8_S8_S8_S8_S8_EEEEZNS1_11reduce_implILb1ES3_NS6_12zip_iteratorINS7_INS6_11hip_rocprim26transform_input_iterator_tIbPdNS6_6detail10functional5actorINSH_9compositeIJNSH_27transparent_binary_operatorINS6_8equal_toIvEEEENSI_INSH_8argumentILj0EEEEENSH_5valueIdEEEEEEEEENSD_19counting_iterator_tIlEES8_S8_S8_S8_S8_S8_S8_S8_EEEEPS9_S9_NSD_9__find_if7functorIS9_EEEE10hipError_tPvRmT1_T2_T3_mT4_P12ihipStream_tbEUlT_E0_NS1_11comp_targetILNS1_3genE9ELNS1_11target_archE1100ELNS1_3gpuE3ELNS1_3repE0EEENS1_30default_config_static_selectorELNS0_4arch9wavefront6targetE1EEEvS17_.kd
    .uniform_work_group_size: 1
    .uses_dynamic_stack: false
    .vgpr_count:     0
    .vgpr_spill_count: 0
    .wavefront_size: 64
  - .args:
      - .offset:         0
        .size:           96
        .value_kind:     by_value
    .group_segment_fixed_size: 0
    .kernarg_segment_align: 8
    .kernarg_segment_size: 96
    .language:       OpenCL C
    .language_version:
      - 2
      - 0
    .max_flat_workgroup_size: 256
    .name:           _ZN7rocprim17ROCPRIM_400000_NS6detail17trampoline_kernelINS0_14default_configENS1_22reduce_config_selectorIN6thrust23THRUST_200600_302600_NS5tupleIblNS6_9null_typeES8_S8_S8_S8_S8_S8_S8_EEEEZNS1_11reduce_implILb1ES3_NS6_12zip_iteratorINS7_INS6_11hip_rocprim26transform_input_iterator_tIbPdNS6_6detail10functional5actorINSH_9compositeIJNSH_27transparent_binary_operatorINS6_8equal_toIvEEEENSI_INSH_8argumentILj0EEEEENSH_5valueIdEEEEEEEEENSD_19counting_iterator_tIlEES8_S8_S8_S8_S8_S8_S8_S8_EEEEPS9_S9_NSD_9__find_if7functorIS9_EEEE10hipError_tPvRmT1_T2_T3_mT4_P12ihipStream_tbEUlT_E0_NS1_11comp_targetILNS1_3genE8ELNS1_11target_archE1030ELNS1_3gpuE2ELNS1_3repE0EEENS1_30default_config_static_selectorELNS0_4arch9wavefront6targetE1EEEvS17_
    .private_segment_fixed_size: 0
    .sgpr_count:     4
    .sgpr_spill_count: 0
    .symbol:         _ZN7rocprim17ROCPRIM_400000_NS6detail17trampoline_kernelINS0_14default_configENS1_22reduce_config_selectorIN6thrust23THRUST_200600_302600_NS5tupleIblNS6_9null_typeES8_S8_S8_S8_S8_S8_S8_EEEEZNS1_11reduce_implILb1ES3_NS6_12zip_iteratorINS7_INS6_11hip_rocprim26transform_input_iterator_tIbPdNS6_6detail10functional5actorINSH_9compositeIJNSH_27transparent_binary_operatorINS6_8equal_toIvEEEENSI_INSH_8argumentILj0EEEEENSH_5valueIdEEEEEEEEENSD_19counting_iterator_tIlEES8_S8_S8_S8_S8_S8_S8_S8_EEEEPS9_S9_NSD_9__find_if7functorIS9_EEEE10hipError_tPvRmT1_T2_T3_mT4_P12ihipStream_tbEUlT_E0_NS1_11comp_targetILNS1_3genE8ELNS1_11target_archE1030ELNS1_3gpuE2ELNS1_3repE0EEENS1_30default_config_static_selectorELNS0_4arch9wavefront6targetE1EEEvS17_.kd
    .uniform_work_group_size: 1
    .uses_dynamic_stack: false
    .vgpr_count:     0
    .vgpr_spill_count: 0
    .wavefront_size: 64
  - .args:
      - .offset:         0
        .size:           80
        .value_kind:     by_value
    .group_segment_fixed_size: 0
    .kernarg_segment_align: 8
    .kernarg_segment_size: 80
    .language:       OpenCL C
    .language_version:
      - 2
      - 0
    .max_flat_workgroup_size: 128
    .name:           _ZN7rocprim17ROCPRIM_400000_NS6detail17trampoline_kernelINS0_14default_configENS1_22reduce_config_selectorIN6thrust23THRUST_200600_302600_NS5tupleIblNS6_9null_typeES8_S8_S8_S8_S8_S8_S8_EEEEZNS1_11reduce_implILb1ES3_NS6_12zip_iteratorINS7_INS6_11hip_rocprim26transform_input_iterator_tIbPdNS6_6detail10functional5actorINSH_9compositeIJNSH_27transparent_binary_operatorINS6_8equal_toIvEEEENSI_INSH_8argumentILj0EEEEENSH_5valueIdEEEEEEEEENSD_19counting_iterator_tIlEES8_S8_S8_S8_S8_S8_S8_S8_EEEEPS9_S9_NSD_9__find_if7functorIS9_EEEE10hipError_tPvRmT1_T2_T3_mT4_P12ihipStream_tbEUlT_E1_NS1_11comp_targetILNS1_3genE0ELNS1_11target_archE4294967295ELNS1_3gpuE0ELNS1_3repE0EEENS1_30default_config_static_selectorELNS0_4arch9wavefront6targetE1EEEvS17_
    .private_segment_fixed_size: 0
    .sgpr_count:     4
    .sgpr_spill_count: 0
    .symbol:         _ZN7rocprim17ROCPRIM_400000_NS6detail17trampoline_kernelINS0_14default_configENS1_22reduce_config_selectorIN6thrust23THRUST_200600_302600_NS5tupleIblNS6_9null_typeES8_S8_S8_S8_S8_S8_S8_EEEEZNS1_11reduce_implILb1ES3_NS6_12zip_iteratorINS7_INS6_11hip_rocprim26transform_input_iterator_tIbPdNS6_6detail10functional5actorINSH_9compositeIJNSH_27transparent_binary_operatorINS6_8equal_toIvEEEENSI_INSH_8argumentILj0EEEEENSH_5valueIdEEEEEEEEENSD_19counting_iterator_tIlEES8_S8_S8_S8_S8_S8_S8_S8_EEEEPS9_S9_NSD_9__find_if7functorIS9_EEEE10hipError_tPvRmT1_T2_T3_mT4_P12ihipStream_tbEUlT_E1_NS1_11comp_targetILNS1_3genE0ELNS1_11target_archE4294967295ELNS1_3gpuE0ELNS1_3repE0EEENS1_30default_config_static_selectorELNS0_4arch9wavefront6targetE1EEEvS17_.kd
    .uniform_work_group_size: 1
    .uses_dynamic_stack: false
    .vgpr_count:     0
    .vgpr_spill_count: 0
    .wavefront_size: 64
  - .args:
      - .offset:         0
        .size:           80
        .value_kind:     by_value
    .group_segment_fixed_size: 0
    .kernarg_segment_align: 8
    .kernarg_segment_size: 80
    .language:       OpenCL C
    .language_version:
      - 2
      - 0
    .max_flat_workgroup_size: 256
    .name:           _ZN7rocprim17ROCPRIM_400000_NS6detail17trampoline_kernelINS0_14default_configENS1_22reduce_config_selectorIN6thrust23THRUST_200600_302600_NS5tupleIblNS6_9null_typeES8_S8_S8_S8_S8_S8_S8_EEEEZNS1_11reduce_implILb1ES3_NS6_12zip_iteratorINS7_INS6_11hip_rocprim26transform_input_iterator_tIbPdNS6_6detail10functional5actorINSH_9compositeIJNSH_27transparent_binary_operatorINS6_8equal_toIvEEEENSI_INSH_8argumentILj0EEEEENSH_5valueIdEEEEEEEEENSD_19counting_iterator_tIlEES8_S8_S8_S8_S8_S8_S8_S8_EEEEPS9_S9_NSD_9__find_if7functorIS9_EEEE10hipError_tPvRmT1_T2_T3_mT4_P12ihipStream_tbEUlT_E1_NS1_11comp_targetILNS1_3genE5ELNS1_11target_archE942ELNS1_3gpuE9ELNS1_3repE0EEENS1_30default_config_static_selectorELNS0_4arch9wavefront6targetE1EEEvS17_
    .private_segment_fixed_size: 0
    .sgpr_count:     4
    .sgpr_spill_count: 0
    .symbol:         _ZN7rocprim17ROCPRIM_400000_NS6detail17trampoline_kernelINS0_14default_configENS1_22reduce_config_selectorIN6thrust23THRUST_200600_302600_NS5tupleIblNS6_9null_typeES8_S8_S8_S8_S8_S8_S8_EEEEZNS1_11reduce_implILb1ES3_NS6_12zip_iteratorINS7_INS6_11hip_rocprim26transform_input_iterator_tIbPdNS6_6detail10functional5actorINSH_9compositeIJNSH_27transparent_binary_operatorINS6_8equal_toIvEEEENSI_INSH_8argumentILj0EEEEENSH_5valueIdEEEEEEEEENSD_19counting_iterator_tIlEES8_S8_S8_S8_S8_S8_S8_S8_EEEEPS9_S9_NSD_9__find_if7functorIS9_EEEE10hipError_tPvRmT1_T2_T3_mT4_P12ihipStream_tbEUlT_E1_NS1_11comp_targetILNS1_3genE5ELNS1_11target_archE942ELNS1_3gpuE9ELNS1_3repE0EEENS1_30default_config_static_selectorELNS0_4arch9wavefront6targetE1EEEvS17_.kd
    .uniform_work_group_size: 1
    .uses_dynamic_stack: false
    .vgpr_count:     0
    .vgpr_spill_count: 0
    .wavefront_size: 64
  - .args:
      - .offset:         0
        .size:           80
        .value_kind:     by_value
    .group_segment_fixed_size: 0
    .kernarg_segment_align: 8
    .kernarg_segment_size: 80
    .language:       OpenCL C
    .language_version:
      - 2
      - 0
    .max_flat_workgroup_size: 256
    .name:           _ZN7rocprim17ROCPRIM_400000_NS6detail17trampoline_kernelINS0_14default_configENS1_22reduce_config_selectorIN6thrust23THRUST_200600_302600_NS5tupleIblNS6_9null_typeES8_S8_S8_S8_S8_S8_S8_EEEEZNS1_11reduce_implILb1ES3_NS6_12zip_iteratorINS7_INS6_11hip_rocprim26transform_input_iterator_tIbPdNS6_6detail10functional5actorINSH_9compositeIJNSH_27transparent_binary_operatorINS6_8equal_toIvEEEENSI_INSH_8argumentILj0EEEEENSH_5valueIdEEEEEEEEENSD_19counting_iterator_tIlEES8_S8_S8_S8_S8_S8_S8_S8_EEEEPS9_S9_NSD_9__find_if7functorIS9_EEEE10hipError_tPvRmT1_T2_T3_mT4_P12ihipStream_tbEUlT_E1_NS1_11comp_targetILNS1_3genE4ELNS1_11target_archE910ELNS1_3gpuE8ELNS1_3repE0EEENS1_30default_config_static_selectorELNS0_4arch9wavefront6targetE1EEEvS17_
    .private_segment_fixed_size: 0
    .sgpr_count:     4
    .sgpr_spill_count: 0
    .symbol:         _ZN7rocprim17ROCPRIM_400000_NS6detail17trampoline_kernelINS0_14default_configENS1_22reduce_config_selectorIN6thrust23THRUST_200600_302600_NS5tupleIblNS6_9null_typeES8_S8_S8_S8_S8_S8_S8_EEEEZNS1_11reduce_implILb1ES3_NS6_12zip_iteratorINS7_INS6_11hip_rocprim26transform_input_iterator_tIbPdNS6_6detail10functional5actorINSH_9compositeIJNSH_27transparent_binary_operatorINS6_8equal_toIvEEEENSI_INSH_8argumentILj0EEEEENSH_5valueIdEEEEEEEEENSD_19counting_iterator_tIlEES8_S8_S8_S8_S8_S8_S8_S8_EEEEPS9_S9_NSD_9__find_if7functorIS9_EEEE10hipError_tPvRmT1_T2_T3_mT4_P12ihipStream_tbEUlT_E1_NS1_11comp_targetILNS1_3genE4ELNS1_11target_archE910ELNS1_3gpuE8ELNS1_3repE0EEENS1_30default_config_static_selectorELNS0_4arch9wavefront6targetE1EEEvS17_.kd
    .uniform_work_group_size: 1
    .uses_dynamic_stack: false
    .vgpr_count:     0
    .vgpr_spill_count: 0
    .wavefront_size: 64
  - .args:
      - .offset:         0
        .size:           80
        .value_kind:     by_value
    .group_segment_fixed_size: 0
    .kernarg_segment_align: 8
    .kernarg_segment_size: 80
    .language:       OpenCL C
    .language_version:
      - 2
      - 0
    .max_flat_workgroup_size: 128
    .name:           _ZN7rocprim17ROCPRIM_400000_NS6detail17trampoline_kernelINS0_14default_configENS1_22reduce_config_selectorIN6thrust23THRUST_200600_302600_NS5tupleIblNS6_9null_typeES8_S8_S8_S8_S8_S8_S8_EEEEZNS1_11reduce_implILb1ES3_NS6_12zip_iteratorINS7_INS6_11hip_rocprim26transform_input_iterator_tIbPdNS6_6detail10functional5actorINSH_9compositeIJNSH_27transparent_binary_operatorINS6_8equal_toIvEEEENSI_INSH_8argumentILj0EEEEENSH_5valueIdEEEEEEEEENSD_19counting_iterator_tIlEES8_S8_S8_S8_S8_S8_S8_S8_EEEEPS9_S9_NSD_9__find_if7functorIS9_EEEE10hipError_tPvRmT1_T2_T3_mT4_P12ihipStream_tbEUlT_E1_NS1_11comp_targetILNS1_3genE3ELNS1_11target_archE908ELNS1_3gpuE7ELNS1_3repE0EEENS1_30default_config_static_selectorELNS0_4arch9wavefront6targetE1EEEvS17_
    .private_segment_fixed_size: 0
    .sgpr_count:     4
    .sgpr_spill_count: 0
    .symbol:         _ZN7rocprim17ROCPRIM_400000_NS6detail17trampoline_kernelINS0_14default_configENS1_22reduce_config_selectorIN6thrust23THRUST_200600_302600_NS5tupleIblNS6_9null_typeES8_S8_S8_S8_S8_S8_S8_EEEEZNS1_11reduce_implILb1ES3_NS6_12zip_iteratorINS7_INS6_11hip_rocprim26transform_input_iterator_tIbPdNS6_6detail10functional5actorINSH_9compositeIJNSH_27transparent_binary_operatorINS6_8equal_toIvEEEENSI_INSH_8argumentILj0EEEEENSH_5valueIdEEEEEEEEENSD_19counting_iterator_tIlEES8_S8_S8_S8_S8_S8_S8_S8_EEEEPS9_S9_NSD_9__find_if7functorIS9_EEEE10hipError_tPvRmT1_T2_T3_mT4_P12ihipStream_tbEUlT_E1_NS1_11comp_targetILNS1_3genE3ELNS1_11target_archE908ELNS1_3gpuE7ELNS1_3repE0EEENS1_30default_config_static_selectorELNS0_4arch9wavefront6targetE1EEEvS17_.kd
    .uniform_work_group_size: 1
    .uses_dynamic_stack: false
    .vgpr_count:     0
    .vgpr_spill_count: 0
    .wavefront_size: 64
  - .args:
      - .offset:         0
        .size:           80
        .value_kind:     by_value
    .group_segment_fixed_size: 160
    .kernarg_segment_align: 8
    .kernarg_segment_size: 80
    .language:       OpenCL C
    .language_version:
      - 2
      - 0
    .max_flat_workgroup_size: 128
    .name:           _ZN7rocprim17ROCPRIM_400000_NS6detail17trampoline_kernelINS0_14default_configENS1_22reduce_config_selectorIN6thrust23THRUST_200600_302600_NS5tupleIblNS6_9null_typeES8_S8_S8_S8_S8_S8_S8_EEEEZNS1_11reduce_implILb1ES3_NS6_12zip_iteratorINS7_INS6_11hip_rocprim26transform_input_iterator_tIbPdNS6_6detail10functional5actorINSH_9compositeIJNSH_27transparent_binary_operatorINS6_8equal_toIvEEEENSI_INSH_8argumentILj0EEEEENSH_5valueIdEEEEEEEEENSD_19counting_iterator_tIlEES8_S8_S8_S8_S8_S8_S8_S8_EEEEPS9_S9_NSD_9__find_if7functorIS9_EEEE10hipError_tPvRmT1_T2_T3_mT4_P12ihipStream_tbEUlT_E1_NS1_11comp_targetILNS1_3genE2ELNS1_11target_archE906ELNS1_3gpuE6ELNS1_3repE0EEENS1_30default_config_static_selectorELNS0_4arch9wavefront6targetE1EEEvS17_
    .private_segment_fixed_size: 0
    .sgpr_count:     44
    .sgpr_spill_count: 0
    .symbol:         _ZN7rocprim17ROCPRIM_400000_NS6detail17trampoline_kernelINS0_14default_configENS1_22reduce_config_selectorIN6thrust23THRUST_200600_302600_NS5tupleIblNS6_9null_typeES8_S8_S8_S8_S8_S8_S8_EEEEZNS1_11reduce_implILb1ES3_NS6_12zip_iteratorINS7_INS6_11hip_rocprim26transform_input_iterator_tIbPdNS6_6detail10functional5actorINSH_9compositeIJNSH_27transparent_binary_operatorINS6_8equal_toIvEEEENSI_INSH_8argumentILj0EEEEENSH_5valueIdEEEEEEEEENSD_19counting_iterator_tIlEES8_S8_S8_S8_S8_S8_S8_S8_EEEEPS9_S9_NSD_9__find_if7functorIS9_EEEE10hipError_tPvRmT1_T2_T3_mT4_P12ihipStream_tbEUlT_E1_NS1_11comp_targetILNS1_3genE2ELNS1_11target_archE906ELNS1_3gpuE6ELNS1_3repE0EEENS1_30default_config_static_selectorELNS0_4arch9wavefront6targetE1EEEvS17_.kd
    .uniform_work_group_size: 1
    .uses_dynamic_stack: false
    .vgpr_count:     28
    .vgpr_spill_count: 0
    .wavefront_size: 64
  - .args:
      - .offset:         0
        .size:           80
        .value_kind:     by_value
    .group_segment_fixed_size: 0
    .kernarg_segment_align: 8
    .kernarg_segment_size: 80
    .language:       OpenCL C
    .language_version:
      - 2
      - 0
    .max_flat_workgroup_size: 256
    .name:           _ZN7rocprim17ROCPRIM_400000_NS6detail17trampoline_kernelINS0_14default_configENS1_22reduce_config_selectorIN6thrust23THRUST_200600_302600_NS5tupleIblNS6_9null_typeES8_S8_S8_S8_S8_S8_S8_EEEEZNS1_11reduce_implILb1ES3_NS6_12zip_iteratorINS7_INS6_11hip_rocprim26transform_input_iterator_tIbPdNS6_6detail10functional5actorINSH_9compositeIJNSH_27transparent_binary_operatorINS6_8equal_toIvEEEENSI_INSH_8argumentILj0EEEEENSH_5valueIdEEEEEEEEENSD_19counting_iterator_tIlEES8_S8_S8_S8_S8_S8_S8_S8_EEEEPS9_S9_NSD_9__find_if7functorIS9_EEEE10hipError_tPvRmT1_T2_T3_mT4_P12ihipStream_tbEUlT_E1_NS1_11comp_targetILNS1_3genE10ELNS1_11target_archE1201ELNS1_3gpuE5ELNS1_3repE0EEENS1_30default_config_static_selectorELNS0_4arch9wavefront6targetE1EEEvS17_
    .private_segment_fixed_size: 0
    .sgpr_count:     4
    .sgpr_spill_count: 0
    .symbol:         _ZN7rocprim17ROCPRIM_400000_NS6detail17trampoline_kernelINS0_14default_configENS1_22reduce_config_selectorIN6thrust23THRUST_200600_302600_NS5tupleIblNS6_9null_typeES8_S8_S8_S8_S8_S8_S8_EEEEZNS1_11reduce_implILb1ES3_NS6_12zip_iteratorINS7_INS6_11hip_rocprim26transform_input_iterator_tIbPdNS6_6detail10functional5actorINSH_9compositeIJNSH_27transparent_binary_operatorINS6_8equal_toIvEEEENSI_INSH_8argumentILj0EEEEENSH_5valueIdEEEEEEEEENSD_19counting_iterator_tIlEES8_S8_S8_S8_S8_S8_S8_S8_EEEEPS9_S9_NSD_9__find_if7functorIS9_EEEE10hipError_tPvRmT1_T2_T3_mT4_P12ihipStream_tbEUlT_E1_NS1_11comp_targetILNS1_3genE10ELNS1_11target_archE1201ELNS1_3gpuE5ELNS1_3repE0EEENS1_30default_config_static_selectorELNS0_4arch9wavefront6targetE1EEEvS17_.kd
    .uniform_work_group_size: 1
    .uses_dynamic_stack: false
    .vgpr_count:     0
    .vgpr_spill_count: 0
    .wavefront_size: 64
  - .args:
      - .offset:         0
        .size:           80
        .value_kind:     by_value
    .group_segment_fixed_size: 0
    .kernarg_segment_align: 8
    .kernarg_segment_size: 80
    .language:       OpenCL C
    .language_version:
      - 2
      - 0
    .max_flat_workgroup_size: 256
    .name:           _ZN7rocprim17ROCPRIM_400000_NS6detail17trampoline_kernelINS0_14default_configENS1_22reduce_config_selectorIN6thrust23THRUST_200600_302600_NS5tupleIblNS6_9null_typeES8_S8_S8_S8_S8_S8_S8_EEEEZNS1_11reduce_implILb1ES3_NS6_12zip_iteratorINS7_INS6_11hip_rocprim26transform_input_iterator_tIbPdNS6_6detail10functional5actorINSH_9compositeIJNSH_27transparent_binary_operatorINS6_8equal_toIvEEEENSI_INSH_8argumentILj0EEEEENSH_5valueIdEEEEEEEEENSD_19counting_iterator_tIlEES8_S8_S8_S8_S8_S8_S8_S8_EEEEPS9_S9_NSD_9__find_if7functorIS9_EEEE10hipError_tPvRmT1_T2_T3_mT4_P12ihipStream_tbEUlT_E1_NS1_11comp_targetILNS1_3genE10ELNS1_11target_archE1200ELNS1_3gpuE4ELNS1_3repE0EEENS1_30default_config_static_selectorELNS0_4arch9wavefront6targetE1EEEvS17_
    .private_segment_fixed_size: 0
    .sgpr_count:     4
    .sgpr_spill_count: 0
    .symbol:         _ZN7rocprim17ROCPRIM_400000_NS6detail17trampoline_kernelINS0_14default_configENS1_22reduce_config_selectorIN6thrust23THRUST_200600_302600_NS5tupleIblNS6_9null_typeES8_S8_S8_S8_S8_S8_S8_EEEEZNS1_11reduce_implILb1ES3_NS6_12zip_iteratorINS7_INS6_11hip_rocprim26transform_input_iterator_tIbPdNS6_6detail10functional5actorINSH_9compositeIJNSH_27transparent_binary_operatorINS6_8equal_toIvEEEENSI_INSH_8argumentILj0EEEEENSH_5valueIdEEEEEEEEENSD_19counting_iterator_tIlEES8_S8_S8_S8_S8_S8_S8_S8_EEEEPS9_S9_NSD_9__find_if7functorIS9_EEEE10hipError_tPvRmT1_T2_T3_mT4_P12ihipStream_tbEUlT_E1_NS1_11comp_targetILNS1_3genE10ELNS1_11target_archE1200ELNS1_3gpuE4ELNS1_3repE0EEENS1_30default_config_static_selectorELNS0_4arch9wavefront6targetE1EEEvS17_.kd
    .uniform_work_group_size: 1
    .uses_dynamic_stack: false
    .vgpr_count:     0
    .vgpr_spill_count: 0
    .wavefront_size: 64
  - .args:
      - .offset:         0
        .size:           80
        .value_kind:     by_value
    .group_segment_fixed_size: 0
    .kernarg_segment_align: 8
    .kernarg_segment_size: 80
    .language:       OpenCL C
    .language_version:
      - 2
      - 0
    .max_flat_workgroup_size: 256
    .name:           _ZN7rocprim17ROCPRIM_400000_NS6detail17trampoline_kernelINS0_14default_configENS1_22reduce_config_selectorIN6thrust23THRUST_200600_302600_NS5tupleIblNS6_9null_typeES8_S8_S8_S8_S8_S8_S8_EEEEZNS1_11reduce_implILb1ES3_NS6_12zip_iteratorINS7_INS6_11hip_rocprim26transform_input_iterator_tIbPdNS6_6detail10functional5actorINSH_9compositeIJNSH_27transparent_binary_operatorINS6_8equal_toIvEEEENSI_INSH_8argumentILj0EEEEENSH_5valueIdEEEEEEEEENSD_19counting_iterator_tIlEES8_S8_S8_S8_S8_S8_S8_S8_EEEEPS9_S9_NSD_9__find_if7functorIS9_EEEE10hipError_tPvRmT1_T2_T3_mT4_P12ihipStream_tbEUlT_E1_NS1_11comp_targetILNS1_3genE9ELNS1_11target_archE1100ELNS1_3gpuE3ELNS1_3repE0EEENS1_30default_config_static_selectorELNS0_4arch9wavefront6targetE1EEEvS17_
    .private_segment_fixed_size: 0
    .sgpr_count:     4
    .sgpr_spill_count: 0
    .symbol:         _ZN7rocprim17ROCPRIM_400000_NS6detail17trampoline_kernelINS0_14default_configENS1_22reduce_config_selectorIN6thrust23THRUST_200600_302600_NS5tupleIblNS6_9null_typeES8_S8_S8_S8_S8_S8_S8_EEEEZNS1_11reduce_implILb1ES3_NS6_12zip_iteratorINS7_INS6_11hip_rocprim26transform_input_iterator_tIbPdNS6_6detail10functional5actorINSH_9compositeIJNSH_27transparent_binary_operatorINS6_8equal_toIvEEEENSI_INSH_8argumentILj0EEEEENSH_5valueIdEEEEEEEEENSD_19counting_iterator_tIlEES8_S8_S8_S8_S8_S8_S8_S8_EEEEPS9_S9_NSD_9__find_if7functorIS9_EEEE10hipError_tPvRmT1_T2_T3_mT4_P12ihipStream_tbEUlT_E1_NS1_11comp_targetILNS1_3genE9ELNS1_11target_archE1100ELNS1_3gpuE3ELNS1_3repE0EEENS1_30default_config_static_selectorELNS0_4arch9wavefront6targetE1EEEvS17_.kd
    .uniform_work_group_size: 1
    .uses_dynamic_stack: false
    .vgpr_count:     0
    .vgpr_spill_count: 0
    .wavefront_size: 64
  - .args:
      - .offset:         0
        .size:           80
        .value_kind:     by_value
    .group_segment_fixed_size: 0
    .kernarg_segment_align: 8
    .kernarg_segment_size: 80
    .language:       OpenCL C
    .language_version:
      - 2
      - 0
    .max_flat_workgroup_size: 256
    .name:           _ZN7rocprim17ROCPRIM_400000_NS6detail17trampoline_kernelINS0_14default_configENS1_22reduce_config_selectorIN6thrust23THRUST_200600_302600_NS5tupleIblNS6_9null_typeES8_S8_S8_S8_S8_S8_S8_EEEEZNS1_11reduce_implILb1ES3_NS6_12zip_iteratorINS7_INS6_11hip_rocprim26transform_input_iterator_tIbPdNS6_6detail10functional5actorINSH_9compositeIJNSH_27transparent_binary_operatorINS6_8equal_toIvEEEENSI_INSH_8argumentILj0EEEEENSH_5valueIdEEEEEEEEENSD_19counting_iterator_tIlEES8_S8_S8_S8_S8_S8_S8_S8_EEEEPS9_S9_NSD_9__find_if7functorIS9_EEEE10hipError_tPvRmT1_T2_T3_mT4_P12ihipStream_tbEUlT_E1_NS1_11comp_targetILNS1_3genE8ELNS1_11target_archE1030ELNS1_3gpuE2ELNS1_3repE0EEENS1_30default_config_static_selectorELNS0_4arch9wavefront6targetE1EEEvS17_
    .private_segment_fixed_size: 0
    .sgpr_count:     4
    .sgpr_spill_count: 0
    .symbol:         _ZN7rocprim17ROCPRIM_400000_NS6detail17trampoline_kernelINS0_14default_configENS1_22reduce_config_selectorIN6thrust23THRUST_200600_302600_NS5tupleIblNS6_9null_typeES8_S8_S8_S8_S8_S8_S8_EEEEZNS1_11reduce_implILb1ES3_NS6_12zip_iteratorINS7_INS6_11hip_rocprim26transform_input_iterator_tIbPdNS6_6detail10functional5actorINSH_9compositeIJNSH_27transparent_binary_operatorINS6_8equal_toIvEEEENSI_INSH_8argumentILj0EEEEENSH_5valueIdEEEEEEEEENSD_19counting_iterator_tIlEES8_S8_S8_S8_S8_S8_S8_S8_EEEEPS9_S9_NSD_9__find_if7functorIS9_EEEE10hipError_tPvRmT1_T2_T3_mT4_P12ihipStream_tbEUlT_E1_NS1_11comp_targetILNS1_3genE8ELNS1_11target_archE1030ELNS1_3gpuE2ELNS1_3repE0EEENS1_30default_config_static_selectorELNS0_4arch9wavefront6targetE1EEEvS17_.kd
    .uniform_work_group_size: 1
    .uses_dynamic_stack: false
    .vgpr_count:     0
    .vgpr_spill_count: 0
    .wavefront_size: 64
  - .args:
      - .offset:         0
        .size:           48
        .value_kind:     by_value
    .group_segment_fixed_size: 0
    .kernarg_segment_align: 8
    .kernarg_segment_size: 48
    .language:       OpenCL C
    .language_version:
      - 2
      - 0
    .max_flat_workgroup_size: 256
    .name:           _ZN7rocprim17ROCPRIM_400000_NS6detail17trampoline_kernelINS0_13kernel_configILj256ELj4ELj4294967295EEENS1_37radix_sort_block_sort_config_selectorIflEEZNS1_21radix_sort_block_sortIS4_Lb0EPfS8_N6thrust23THRUST_200600_302600_NS10device_ptrIlEESC_NS0_19identity_decomposerEEE10hipError_tT1_T2_T3_T4_jRjT5_jjP12ihipStream_tbEUlT_E_NS1_11comp_targetILNS1_3genE0ELNS1_11target_archE4294967295ELNS1_3gpuE0ELNS1_3repE0EEENS1_44radix_sort_block_sort_config_static_selectorELNS0_4arch9wavefront6targetE1EEEvSF_
    .private_segment_fixed_size: 0
    .sgpr_count:     4
    .sgpr_spill_count: 0
    .symbol:         _ZN7rocprim17ROCPRIM_400000_NS6detail17trampoline_kernelINS0_13kernel_configILj256ELj4ELj4294967295EEENS1_37radix_sort_block_sort_config_selectorIflEEZNS1_21radix_sort_block_sortIS4_Lb0EPfS8_N6thrust23THRUST_200600_302600_NS10device_ptrIlEESC_NS0_19identity_decomposerEEE10hipError_tT1_T2_T3_T4_jRjT5_jjP12ihipStream_tbEUlT_E_NS1_11comp_targetILNS1_3genE0ELNS1_11target_archE4294967295ELNS1_3gpuE0ELNS1_3repE0EEENS1_44radix_sort_block_sort_config_static_selectorELNS0_4arch9wavefront6targetE1EEEvSF_.kd
    .uniform_work_group_size: 1
    .uses_dynamic_stack: false
    .vgpr_count:     0
    .vgpr_spill_count: 0
    .wavefront_size: 64
  - .args:
      - .offset:         0
        .size:           48
        .value_kind:     by_value
    .group_segment_fixed_size: 0
    .kernarg_segment_align: 8
    .kernarg_segment_size: 48
    .language:       OpenCL C
    .language_version:
      - 2
      - 0
    .max_flat_workgroup_size: 256
    .name:           _ZN7rocprim17ROCPRIM_400000_NS6detail17trampoline_kernelINS0_13kernel_configILj256ELj4ELj4294967295EEENS1_37radix_sort_block_sort_config_selectorIflEEZNS1_21radix_sort_block_sortIS4_Lb0EPfS8_N6thrust23THRUST_200600_302600_NS10device_ptrIlEESC_NS0_19identity_decomposerEEE10hipError_tT1_T2_T3_T4_jRjT5_jjP12ihipStream_tbEUlT_E_NS1_11comp_targetILNS1_3genE5ELNS1_11target_archE942ELNS1_3gpuE9ELNS1_3repE0EEENS1_44radix_sort_block_sort_config_static_selectorELNS0_4arch9wavefront6targetE1EEEvSF_
    .private_segment_fixed_size: 0
    .sgpr_count:     4
    .sgpr_spill_count: 0
    .symbol:         _ZN7rocprim17ROCPRIM_400000_NS6detail17trampoline_kernelINS0_13kernel_configILj256ELj4ELj4294967295EEENS1_37radix_sort_block_sort_config_selectorIflEEZNS1_21radix_sort_block_sortIS4_Lb0EPfS8_N6thrust23THRUST_200600_302600_NS10device_ptrIlEESC_NS0_19identity_decomposerEEE10hipError_tT1_T2_T3_T4_jRjT5_jjP12ihipStream_tbEUlT_E_NS1_11comp_targetILNS1_3genE5ELNS1_11target_archE942ELNS1_3gpuE9ELNS1_3repE0EEENS1_44radix_sort_block_sort_config_static_selectorELNS0_4arch9wavefront6targetE1EEEvSF_.kd
    .uniform_work_group_size: 1
    .uses_dynamic_stack: false
    .vgpr_count:     0
    .vgpr_spill_count: 0
    .wavefront_size: 64
  - .args:
      - .offset:         0
        .size:           48
        .value_kind:     by_value
    .group_segment_fixed_size: 0
    .kernarg_segment_align: 8
    .kernarg_segment_size: 48
    .language:       OpenCL C
    .language_version:
      - 2
      - 0
    .max_flat_workgroup_size: 256
    .name:           _ZN7rocprim17ROCPRIM_400000_NS6detail17trampoline_kernelINS0_13kernel_configILj256ELj4ELj4294967295EEENS1_37radix_sort_block_sort_config_selectorIflEEZNS1_21radix_sort_block_sortIS4_Lb0EPfS8_N6thrust23THRUST_200600_302600_NS10device_ptrIlEESC_NS0_19identity_decomposerEEE10hipError_tT1_T2_T3_T4_jRjT5_jjP12ihipStream_tbEUlT_E_NS1_11comp_targetILNS1_3genE4ELNS1_11target_archE910ELNS1_3gpuE8ELNS1_3repE0EEENS1_44radix_sort_block_sort_config_static_selectorELNS0_4arch9wavefront6targetE1EEEvSF_
    .private_segment_fixed_size: 0
    .sgpr_count:     4
    .sgpr_spill_count: 0
    .symbol:         _ZN7rocprim17ROCPRIM_400000_NS6detail17trampoline_kernelINS0_13kernel_configILj256ELj4ELj4294967295EEENS1_37radix_sort_block_sort_config_selectorIflEEZNS1_21radix_sort_block_sortIS4_Lb0EPfS8_N6thrust23THRUST_200600_302600_NS10device_ptrIlEESC_NS0_19identity_decomposerEEE10hipError_tT1_T2_T3_T4_jRjT5_jjP12ihipStream_tbEUlT_E_NS1_11comp_targetILNS1_3genE4ELNS1_11target_archE910ELNS1_3gpuE8ELNS1_3repE0EEENS1_44radix_sort_block_sort_config_static_selectorELNS0_4arch9wavefront6targetE1EEEvSF_.kd
    .uniform_work_group_size: 1
    .uses_dynamic_stack: false
    .vgpr_count:     0
    .vgpr_spill_count: 0
    .wavefront_size: 64
  - .args:
      - .offset:         0
        .size:           48
        .value_kind:     by_value
    .group_segment_fixed_size: 0
    .kernarg_segment_align: 8
    .kernarg_segment_size: 48
    .language:       OpenCL C
    .language_version:
      - 2
      - 0
    .max_flat_workgroup_size: 256
    .name:           _ZN7rocprim17ROCPRIM_400000_NS6detail17trampoline_kernelINS0_13kernel_configILj256ELj4ELj4294967295EEENS1_37radix_sort_block_sort_config_selectorIflEEZNS1_21radix_sort_block_sortIS4_Lb0EPfS8_N6thrust23THRUST_200600_302600_NS10device_ptrIlEESC_NS0_19identity_decomposerEEE10hipError_tT1_T2_T3_T4_jRjT5_jjP12ihipStream_tbEUlT_E_NS1_11comp_targetILNS1_3genE3ELNS1_11target_archE908ELNS1_3gpuE7ELNS1_3repE0EEENS1_44radix_sort_block_sort_config_static_selectorELNS0_4arch9wavefront6targetE1EEEvSF_
    .private_segment_fixed_size: 0
    .sgpr_count:     4
    .sgpr_spill_count: 0
    .symbol:         _ZN7rocprim17ROCPRIM_400000_NS6detail17trampoline_kernelINS0_13kernel_configILj256ELj4ELj4294967295EEENS1_37radix_sort_block_sort_config_selectorIflEEZNS1_21radix_sort_block_sortIS4_Lb0EPfS8_N6thrust23THRUST_200600_302600_NS10device_ptrIlEESC_NS0_19identity_decomposerEEE10hipError_tT1_T2_T3_T4_jRjT5_jjP12ihipStream_tbEUlT_E_NS1_11comp_targetILNS1_3genE3ELNS1_11target_archE908ELNS1_3gpuE7ELNS1_3repE0EEENS1_44radix_sort_block_sort_config_static_selectorELNS0_4arch9wavefront6targetE1EEEvSF_.kd
    .uniform_work_group_size: 1
    .uses_dynamic_stack: false
    .vgpr_count:     0
    .vgpr_spill_count: 0
    .wavefront_size: 64
  - .args:
      - .offset:         0
        .size:           48
        .value_kind:     by_value
      - .offset:         48
        .size:           4
        .value_kind:     hidden_block_count_x
      - .offset:         52
        .size:           4
        .value_kind:     hidden_block_count_y
      - .offset:         56
        .size:           4
        .value_kind:     hidden_block_count_z
      - .offset:         60
        .size:           2
        .value_kind:     hidden_group_size_x
      - .offset:         62
        .size:           2
        .value_kind:     hidden_group_size_y
      - .offset:         64
        .size:           2
        .value_kind:     hidden_group_size_z
      - .offset:         66
        .size:           2
        .value_kind:     hidden_remainder_x
      - .offset:         68
        .size:           2
        .value_kind:     hidden_remainder_y
      - .offset:         70
        .size:           2
        .value_kind:     hidden_remainder_z
      - .offset:         88
        .size:           8
        .value_kind:     hidden_global_offset_x
      - .offset:         96
        .size:           8
        .value_kind:     hidden_global_offset_y
      - .offset:         104
        .size:           8
        .value_kind:     hidden_global_offset_z
      - .offset:         112
        .size:           2
        .value_kind:     hidden_grid_dims
    .group_segment_fixed_size: 8192
    .kernarg_segment_align: 8
    .kernarg_segment_size: 304
    .language:       OpenCL C
    .language_version:
      - 2
      - 0
    .max_flat_workgroup_size: 256
    .name:           _ZN7rocprim17ROCPRIM_400000_NS6detail17trampoline_kernelINS0_13kernel_configILj256ELj4ELj4294967295EEENS1_37radix_sort_block_sort_config_selectorIflEEZNS1_21radix_sort_block_sortIS4_Lb0EPfS8_N6thrust23THRUST_200600_302600_NS10device_ptrIlEESC_NS0_19identity_decomposerEEE10hipError_tT1_T2_T3_T4_jRjT5_jjP12ihipStream_tbEUlT_E_NS1_11comp_targetILNS1_3genE2ELNS1_11target_archE906ELNS1_3gpuE6ELNS1_3repE0EEENS1_44radix_sort_block_sort_config_static_selectorELNS0_4arch9wavefront6targetE1EEEvSF_
    .private_segment_fixed_size: 0
    .sgpr_count:     52
    .sgpr_spill_count: 0
    .symbol:         _ZN7rocprim17ROCPRIM_400000_NS6detail17trampoline_kernelINS0_13kernel_configILj256ELj4ELj4294967295EEENS1_37radix_sort_block_sort_config_selectorIflEEZNS1_21radix_sort_block_sortIS4_Lb0EPfS8_N6thrust23THRUST_200600_302600_NS10device_ptrIlEESC_NS0_19identity_decomposerEEE10hipError_tT1_T2_T3_T4_jRjT5_jjP12ihipStream_tbEUlT_E_NS1_11comp_targetILNS1_3genE2ELNS1_11target_archE906ELNS1_3gpuE6ELNS1_3repE0EEENS1_44radix_sort_block_sort_config_static_selectorELNS0_4arch9wavefront6targetE1EEEvSF_.kd
    .uniform_work_group_size: 1
    .uses_dynamic_stack: false
    .vgpr_count:     47
    .vgpr_spill_count: 0
    .wavefront_size: 64
  - .args:
      - .offset:         0
        .size:           48
        .value_kind:     by_value
    .group_segment_fixed_size: 0
    .kernarg_segment_align: 8
    .kernarg_segment_size: 48
    .language:       OpenCL C
    .language_version:
      - 2
      - 0
    .max_flat_workgroup_size: 256
    .name:           _ZN7rocprim17ROCPRIM_400000_NS6detail17trampoline_kernelINS0_13kernel_configILj256ELj4ELj4294967295EEENS1_37radix_sort_block_sort_config_selectorIflEEZNS1_21radix_sort_block_sortIS4_Lb0EPfS8_N6thrust23THRUST_200600_302600_NS10device_ptrIlEESC_NS0_19identity_decomposerEEE10hipError_tT1_T2_T3_T4_jRjT5_jjP12ihipStream_tbEUlT_E_NS1_11comp_targetILNS1_3genE10ELNS1_11target_archE1201ELNS1_3gpuE5ELNS1_3repE0EEENS1_44radix_sort_block_sort_config_static_selectorELNS0_4arch9wavefront6targetE1EEEvSF_
    .private_segment_fixed_size: 0
    .sgpr_count:     4
    .sgpr_spill_count: 0
    .symbol:         _ZN7rocprim17ROCPRIM_400000_NS6detail17trampoline_kernelINS0_13kernel_configILj256ELj4ELj4294967295EEENS1_37radix_sort_block_sort_config_selectorIflEEZNS1_21radix_sort_block_sortIS4_Lb0EPfS8_N6thrust23THRUST_200600_302600_NS10device_ptrIlEESC_NS0_19identity_decomposerEEE10hipError_tT1_T2_T3_T4_jRjT5_jjP12ihipStream_tbEUlT_E_NS1_11comp_targetILNS1_3genE10ELNS1_11target_archE1201ELNS1_3gpuE5ELNS1_3repE0EEENS1_44radix_sort_block_sort_config_static_selectorELNS0_4arch9wavefront6targetE1EEEvSF_.kd
    .uniform_work_group_size: 1
    .uses_dynamic_stack: false
    .vgpr_count:     0
    .vgpr_spill_count: 0
    .wavefront_size: 64
  - .args:
      - .offset:         0
        .size:           48
        .value_kind:     by_value
    .group_segment_fixed_size: 0
    .kernarg_segment_align: 8
    .kernarg_segment_size: 48
    .language:       OpenCL C
    .language_version:
      - 2
      - 0
    .max_flat_workgroup_size: 256
    .name:           _ZN7rocprim17ROCPRIM_400000_NS6detail17trampoline_kernelINS0_13kernel_configILj256ELj4ELj4294967295EEENS1_37radix_sort_block_sort_config_selectorIflEEZNS1_21radix_sort_block_sortIS4_Lb0EPfS8_N6thrust23THRUST_200600_302600_NS10device_ptrIlEESC_NS0_19identity_decomposerEEE10hipError_tT1_T2_T3_T4_jRjT5_jjP12ihipStream_tbEUlT_E_NS1_11comp_targetILNS1_3genE10ELNS1_11target_archE1200ELNS1_3gpuE4ELNS1_3repE0EEENS1_44radix_sort_block_sort_config_static_selectorELNS0_4arch9wavefront6targetE1EEEvSF_
    .private_segment_fixed_size: 0
    .sgpr_count:     4
    .sgpr_spill_count: 0
    .symbol:         _ZN7rocprim17ROCPRIM_400000_NS6detail17trampoline_kernelINS0_13kernel_configILj256ELj4ELj4294967295EEENS1_37radix_sort_block_sort_config_selectorIflEEZNS1_21radix_sort_block_sortIS4_Lb0EPfS8_N6thrust23THRUST_200600_302600_NS10device_ptrIlEESC_NS0_19identity_decomposerEEE10hipError_tT1_T2_T3_T4_jRjT5_jjP12ihipStream_tbEUlT_E_NS1_11comp_targetILNS1_3genE10ELNS1_11target_archE1200ELNS1_3gpuE4ELNS1_3repE0EEENS1_44radix_sort_block_sort_config_static_selectorELNS0_4arch9wavefront6targetE1EEEvSF_.kd
    .uniform_work_group_size: 1
    .uses_dynamic_stack: false
    .vgpr_count:     0
    .vgpr_spill_count: 0
    .wavefront_size: 64
  - .args:
      - .offset:         0
        .size:           48
        .value_kind:     by_value
    .group_segment_fixed_size: 0
    .kernarg_segment_align: 8
    .kernarg_segment_size: 48
    .language:       OpenCL C
    .language_version:
      - 2
      - 0
    .max_flat_workgroup_size: 256
    .name:           _ZN7rocprim17ROCPRIM_400000_NS6detail17trampoline_kernelINS0_13kernel_configILj256ELj4ELj4294967295EEENS1_37radix_sort_block_sort_config_selectorIflEEZNS1_21radix_sort_block_sortIS4_Lb0EPfS8_N6thrust23THRUST_200600_302600_NS10device_ptrIlEESC_NS0_19identity_decomposerEEE10hipError_tT1_T2_T3_T4_jRjT5_jjP12ihipStream_tbEUlT_E_NS1_11comp_targetILNS1_3genE9ELNS1_11target_archE1100ELNS1_3gpuE3ELNS1_3repE0EEENS1_44radix_sort_block_sort_config_static_selectorELNS0_4arch9wavefront6targetE1EEEvSF_
    .private_segment_fixed_size: 0
    .sgpr_count:     4
    .sgpr_spill_count: 0
    .symbol:         _ZN7rocprim17ROCPRIM_400000_NS6detail17trampoline_kernelINS0_13kernel_configILj256ELj4ELj4294967295EEENS1_37radix_sort_block_sort_config_selectorIflEEZNS1_21radix_sort_block_sortIS4_Lb0EPfS8_N6thrust23THRUST_200600_302600_NS10device_ptrIlEESC_NS0_19identity_decomposerEEE10hipError_tT1_T2_T3_T4_jRjT5_jjP12ihipStream_tbEUlT_E_NS1_11comp_targetILNS1_3genE9ELNS1_11target_archE1100ELNS1_3gpuE3ELNS1_3repE0EEENS1_44radix_sort_block_sort_config_static_selectorELNS0_4arch9wavefront6targetE1EEEvSF_.kd
    .uniform_work_group_size: 1
    .uses_dynamic_stack: false
    .vgpr_count:     0
    .vgpr_spill_count: 0
    .wavefront_size: 64
  - .args:
      - .offset:         0
        .size:           48
        .value_kind:     by_value
    .group_segment_fixed_size: 0
    .kernarg_segment_align: 8
    .kernarg_segment_size: 48
    .language:       OpenCL C
    .language_version:
      - 2
      - 0
    .max_flat_workgroup_size: 256
    .name:           _ZN7rocprim17ROCPRIM_400000_NS6detail17trampoline_kernelINS0_13kernel_configILj256ELj4ELj4294967295EEENS1_37radix_sort_block_sort_config_selectorIflEEZNS1_21radix_sort_block_sortIS4_Lb0EPfS8_N6thrust23THRUST_200600_302600_NS10device_ptrIlEESC_NS0_19identity_decomposerEEE10hipError_tT1_T2_T3_T4_jRjT5_jjP12ihipStream_tbEUlT_E_NS1_11comp_targetILNS1_3genE8ELNS1_11target_archE1030ELNS1_3gpuE2ELNS1_3repE0EEENS1_44radix_sort_block_sort_config_static_selectorELNS0_4arch9wavefront6targetE1EEEvSF_
    .private_segment_fixed_size: 0
    .sgpr_count:     4
    .sgpr_spill_count: 0
    .symbol:         _ZN7rocprim17ROCPRIM_400000_NS6detail17trampoline_kernelINS0_13kernel_configILj256ELj4ELj4294967295EEENS1_37radix_sort_block_sort_config_selectorIflEEZNS1_21radix_sort_block_sortIS4_Lb0EPfS8_N6thrust23THRUST_200600_302600_NS10device_ptrIlEESC_NS0_19identity_decomposerEEE10hipError_tT1_T2_T3_T4_jRjT5_jjP12ihipStream_tbEUlT_E_NS1_11comp_targetILNS1_3genE8ELNS1_11target_archE1030ELNS1_3gpuE2ELNS1_3repE0EEENS1_44radix_sort_block_sort_config_static_selectorELNS0_4arch9wavefront6targetE1EEEvSF_.kd
    .uniform_work_group_size: 1
    .uses_dynamic_stack: false
    .vgpr_count:     0
    .vgpr_spill_count: 0
    .wavefront_size: 64
  - .args:           []
    .group_segment_fixed_size: 0
    .kernarg_segment_align: 4
    .kernarg_segment_size: 0
    .language:       OpenCL C
    .language_version:
      - 2
      - 0
    .max_flat_workgroup_size: 1024
    .name:           _ZN7rocprim17ROCPRIM_400000_NS6detail44device_merge_sort_compile_time_verifier_archINS1_11comp_targetILNS1_3genE0ELNS1_11target_archE4294967295ELNS1_3gpuE0ELNS1_3repE0EEES8_NS1_28merge_sort_block_sort_configILj256ELj4ELNS0_20block_sort_algorithmE0EEENS0_14default_configENS1_37merge_sort_block_sort_config_selectorIflEENS1_38merge_sort_block_merge_config_selectorIflEEEEvv
    .private_segment_fixed_size: 0
    .sgpr_count:     4
    .sgpr_spill_count: 0
    .symbol:         _ZN7rocprim17ROCPRIM_400000_NS6detail44device_merge_sort_compile_time_verifier_archINS1_11comp_targetILNS1_3genE0ELNS1_11target_archE4294967295ELNS1_3gpuE0ELNS1_3repE0EEES8_NS1_28merge_sort_block_sort_configILj256ELj4ELNS0_20block_sort_algorithmE0EEENS0_14default_configENS1_37merge_sort_block_sort_config_selectorIflEENS1_38merge_sort_block_merge_config_selectorIflEEEEvv.kd
    .uniform_work_group_size: 1
    .uses_dynamic_stack: false
    .vgpr_count:     0
    .vgpr_spill_count: 0
    .wavefront_size: 64
  - .args:           []
    .group_segment_fixed_size: 0
    .kernarg_segment_align: 4
    .kernarg_segment_size: 0
    .language:       OpenCL C
    .language_version:
      - 2
      - 0
    .max_flat_workgroup_size: 1024
    .name:           _ZN7rocprim17ROCPRIM_400000_NS6detail44device_merge_sort_compile_time_verifier_archINS1_11comp_targetILNS1_3genE5ELNS1_11target_archE942ELNS1_3gpuE9ELNS1_3repE0EEES8_NS1_28merge_sort_block_sort_configILj256ELj4ELNS0_20block_sort_algorithmE0EEENS0_14default_configENS1_37merge_sort_block_sort_config_selectorIflEENS1_38merge_sort_block_merge_config_selectorIflEEEEvv
    .private_segment_fixed_size: 0
    .sgpr_count:     4
    .sgpr_spill_count: 0
    .symbol:         _ZN7rocprim17ROCPRIM_400000_NS6detail44device_merge_sort_compile_time_verifier_archINS1_11comp_targetILNS1_3genE5ELNS1_11target_archE942ELNS1_3gpuE9ELNS1_3repE0EEES8_NS1_28merge_sort_block_sort_configILj256ELj4ELNS0_20block_sort_algorithmE0EEENS0_14default_configENS1_37merge_sort_block_sort_config_selectorIflEENS1_38merge_sort_block_merge_config_selectorIflEEEEvv.kd
    .uniform_work_group_size: 1
    .uses_dynamic_stack: false
    .vgpr_count:     0
    .vgpr_spill_count: 0
    .wavefront_size: 64
  - .args:           []
    .group_segment_fixed_size: 0
    .kernarg_segment_align: 4
    .kernarg_segment_size: 0
    .language:       OpenCL C
    .language_version:
      - 2
      - 0
    .max_flat_workgroup_size: 1024
    .name:           _ZN7rocprim17ROCPRIM_400000_NS6detail44device_merge_sort_compile_time_verifier_archINS1_11comp_targetILNS1_3genE4ELNS1_11target_archE910ELNS1_3gpuE8ELNS1_3repE0EEES8_NS1_28merge_sort_block_sort_configILj256ELj4ELNS0_20block_sort_algorithmE0EEENS0_14default_configENS1_37merge_sort_block_sort_config_selectorIflEENS1_38merge_sort_block_merge_config_selectorIflEEEEvv
    .private_segment_fixed_size: 0
    .sgpr_count:     4
    .sgpr_spill_count: 0
    .symbol:         _ZN7rocprim17ROCPRIM_400000_NS6detail44device_merge_sort_compile_time_verifier_archINS1_11comp_targetILNS1_3genE4ELNS1_11target_archE910ELNS1_3gpuE8ELNS1_3repE0EEES8_NS1_28merge_sort_block_sort_configILj256ELj4ELNS0_20block_sort_algorithmE0EEENS0_14default_configENS1_37merge_sort_block_sort_config_selectorIflEENS1_38merge_sort_block_merge_config_selectorIflEEEEvv.kd
    .uniform_work_group_size: 1
    .uses_dynamic_stack: false
    .vgpr_count:     0
    .vgpr_spill_count: 0
    .wavefront_size: 64
  - .args:           []
    .group_segment_fixed_size: 0
    .kernarg_segment_align: 4
    .kernarg_segment_size: 0
    .language:       OpenCL C
    .language_version:
      - 2
      - 0
    .max_flat_workgroup_size: 1024
    .name:           _ZN7rocprim17ROCPRIM_400000_NS6detail44device_merge_sort_compile_time_verifier_archINS1_11comp_targetILNS1_3genE3ELNS1_11target_archE908ELNS1_3gpuE7ELNS1_3repE0EEES8_NS1_28merge_sort_block_sort_configILj256ELj4ELNS0_20block_sort_algorithmE0EEENS0_14default_configENS1_37merge_sort_block_sort_config_selectorIflEENS1_38merge_sort_block_merge_config_selectorIflEEEEvv
    .private_segment_fixed_size: 0
    .sgpr_count:     4
    .sgpr_spill_count: 0
    .symbol:         _ZN7rocprim17ROCPRIM_400000_NS6detail44device_merge_sort_compile_time_verifier_archINS1_11comp_targetILNS1_3genE3ELNS1_11target_archE908ELNS1_3gpuE7ELNS1_3repE0EEES8_NS1_28merge_sort_block_sort_configILj256ELj4ELNS0_20block_sort_algorithmE0EEENS0_14default_configENS1_37merge_sort_block_sort_config_selectorIflEENS1_38merge_sort_block_merge_config_selectorIflEEEEvv.kd
    .uniform_work_group_size: 1
    .uses_dynamic_stack: false
    .vgpr_count:     0
    .vgpr_spill_count: 0
    .wavefront_size: 64
  - .args:           []
    .group_segment_fixed_size: 0
    .kernarg_segment_align: 4
    .kernarg_segment_size: 0
    .language:       OpenCL C
    .language_version:
      - 2
      - 0
    .max_flat_workgroup_size: 1024
    .name:           _ZN7rocprim17ROCPRIM_400000_NS6detail44device_merge_sort_compile_time_verifier_archINS1_11comp_targetILNS1_3genE2ELNS1_11target_archE906ELNS1_3gpuE6ELNS1_3repE0EEES8_NS1_28merge_sort_block_sort_configILj256ELj4ELNS0_20block_sort_algorithmE0EEENS0_14default_configENS1_37merge_sort_block_sort_config_selectorIflEENS1_38merge_sort_block_merge_config_selectorIflEEEEvv
    .private_segment_fixed_size: 0
    .sgpr_count:     4
    .sgpr_spill_count: 0
    .symbol:         _ZN7rocprim17ROCPRIM_400000_NS6detail44device_merge_sort_compile_time_verifier_archINS1_11comp_targetILNS1_3genE2ELNS1_11target_archE906ELNS1_3gpuE6ELNS1_3repE0EEES8_NS1_28merge_sort_block_sort_configILj256ELj4ELNS0_20block_sort_algorithmE0EEENS0_14default_configENS1_37merge_sort_block_sort_config_selectorIflEENS1_38merge_sort_block_merge_config_selectorIflEEEEvv.kd
    .uniform_work_group_size: 1
    .uses_dynamic_stack: false
    .vgpr_count:     0
    .vgpr_spill_count: 0
    .wavefront_size: 64
  - .args:           []
    .group_segment_fixed_size: 0
    .kernarg_segment_align: 4
    .kernarg_segment_size: 0
    .language:       OpenCL C
    .language_version:
      - 2
      - 0
    .max_flat_workgroup_size: 1024
    .name:           _ZN7rocprim17ROCPRIM_400000_NS6detail44device_merge_sort_compile_time_verifier_archINS1_11comp_targetILNS1_3genE10ELNS1_11target_archE1201ELNS1_3gpuE5ELNS1_3repE0EEES8_NS1_28merge_sort_block_sort_configILj256ELj4ELNS0_20block_sort_algorithmE0EEENS0_14default_configENS1_37merge_sort_block_sort_config_selectorIflEENS1_38merge_sort_block_merge_config_selectorIflEEEEvv
    .private_segment_fixed_size: 0
    .sgpr_count:     4
    .sgpr_spill_count: 0
    .symbol:         _ZN7rocprim17ROCPRIM_400000_NS6detail44device_merge_sort_compile_time_verifier_archINS1_11comp_targetILNS1_3genE10ELNS1_11target_archE1201ELNS1_3gpuE5ELNS1_3repE0EEES8_NS1_28merge_sort_block_sort_configILj256ELj4ELNS0_20block_sort_algorithmE0EEENS0_14default_configENS1_37merge_sort_block_sort_config_selectorIflEENS1_38merge_sort_block_merge_config_selectorIflEEEEvv.kd
    .uniform_work_group_size: 1
    .uses_dynamic_stack: false
    .vgpr_count:     0
    .vgpr_spill_count: 0
    .wavefront_size: 64
  - .args:           []
    .group_segment_fixed_size: 0
    .kernarg_segment_align: 4
    .kernarg_segment_size: 0
    .language:       OpenCL C
    .language_version:
      - 2
      - 0
    .max_flat_workgroup_size: 1024
    .name:           _ZN7rocprim17ROCPRIM_400000_NS6detail44device_merge_sort_compile_time_verifier_archINS1_11comp_targetILNS1_3genE10ELNS1_11target_archE1200ELNS1_3gpuE4ELNS1_3repE0EEENS3_ILS4_10ELS5_1201ELS6_5ELS7_0EEENS1_28merge_sort_block_sort_configILj256ELj4ELNS0_20block_sort_algorithmE0EEENS0_14default_configENS1_37merge_sort_block_sort_config_selectorIflEENS1_38merge_sort_block_merge_config_selectorIflEEEEvv
    .private_segment_fixed_size: 0
    .sgpr_count:     4
    .sgpr_spill_count: 0
    .symbol:         _ZN7rocprim17ROCPRIM_400000_NS6detail44device_merge_sort_compile_time_verifier_archINS1_11comp_targetILNS1_3genE10ELNS1_11target_archE1200ELNS1_3gpuE4ELNS1_3repE0EEENS3_ILS4_10ELS5_1201ELS6_5ELS7_0EEENS1_28merge_sort_block_sort_configILj256ELj4ELNS0_20block_sort_algorithmE0EEENS0_14default_configENS1_37merge_sort_block_sort_config_selectorIflEENS1_38merge_sort_block_merge_config_selectorIflEEEEvv.kd
    .uniform_work_group_size: 1
    .uses_dynamic_stack: false
    .vgpr_count:     0
    .vgpr_spill_count: 0
    .wavefront_size: 64
  - .args:           []
    .group_segment_fixed_size: 0
    .kernarg_segment_align: 4
    .kernarg_segment_size: 0
    .language:       OpenCL C
    .language_version:
      - 2
      - 0
    .max_flat_workgroup_size: 1024
    .name:           _ZN7rocprim17ROCPRIM_400000_NS6detail44device_merge_sort_compile_time_verifier_archINS1_11comp_targetILNS1_3genE9ELNS1_11target_archE1100ELNS1_3gpuE3ELNS1_3repE0EEES8_NS1_28merge_sort_block_sort_configILj256ELj4ELNS0_20block_sort_algorithmE0EEENS0_14default_configENS1_37merge_sort_block_sort_config_selectorIflEENS1_38merge_sort_block_merge_config_selectorIflEEEEvv
    .private_segment_fixed_size: 0
    .sgpr_count:     4
    .sgpr_spill_count: 0
    .symbol:         _ZN7rocprim17ROCPRIM_400000_NS6detail44device_merge_sort_compile_time_verifier_archINS1_11comp_targetILNS1_3genE9ELNS1_11target_archE1100ELNS1_3gpuE3ELNS1_3repE0EEES8_NS1_28merge_sort_block_sort_configILj256ELj4ELNS0_20block_sort_algorithmE0EEENS0_14default_configENS1_37merge_sort_block_sort_config_selectorIflEENS1_38merge_sort_block_merge_config_selectorIflEEEEvv.kd
    .uniform_work_group_size: 1
    .uses_dynamic_stack: false
    .vgpr_count:     0
    .vgpr_spill_count: 0
    .wavefront_size: 64
  - .args:           []
    .group_segment_fixed_size: 0
    .kernarg_segment_align: 4
    .kernarg_segment_size: 0
    .language:       OpenCL C
    .language_version:
      - 2
      - 0
    .max_flat_workgroup_size: 1024
    .name:           _ZN7rocprim17ROCPRIM_400000_NS6detail44device_merge_sort_compile_time_verifier_archINS1_11comp_targetILNS1_3genE8ELNS1_11target_archE1030ELNS1_3gpuE2ELNS1_3repE0EEES8_NS1_28merge_sort_block_sort_configILj256ELj4ELNS0_20block_sort_algorithmE0EEENS0_14default_configENS1_37merge_sort_block_sort_config_selectorIflEENS1_38merge_sort_block_merge_config_selectorIflEEEEvv
    .private_segment_fixed_size: 0
    .sgpr_count:     4
    .sgpr_spill_count: 0
    .symbol:         _ZN7rocprim17ROCPRIM_400000_NS6detail44device_merge_sort_compile_time_verifier_archINS1_11comp_targetILNS1_3genE8ELNS1_11target_archE1030ELNS1_3gpuE2ELNS1_3repE0EEES8_NS1_28merge_sort_block_sort_configILj256ELj4ELNS0_20block_sort_algorithmE0EEENS0_14default_configENS1_37merge_sort_block_sort_config_selectorIflEENS1_38merge_sort_block_merge_config_selectorIflEEEEvv.kd
    .uniform_work_group_size: 1
    .uses_dynamic_stack: false
    .vgpr_count:     0
    .vgpr_spill_count: 0
    .wavefront_size: 64
  - .args:
      - .offset:         0
        .size:           40
        .value_kind:     by_value
    .group_segment_fixed_size: 0
    .kernarg_segment_align: 8
    .kernarg_segment_size: 40
    .language:       OpenCL C
    .language_version:
      - 2
      - 0
    .max_flat_workgroup_size: 128
    .name:           _ZN7rocprim17ROCPRIM_400000_NS6detail17trampoline_kernelINS0_14default_configENS1_38merge_sort_block_merge_config_selectorIflEEZZNS1_27merge_sort_block_merge_implIS3_PfN6thrust23THRUST_200600_302600_NS10device_ptrIlEEjNS1_19radix_merge_compareILb0ELb0EfNS0_19identity_decomposerEEEEE10hipError_tT0_T1_T2_jT3_P12ihipStream_tbPNSt15iterator_traitsISG_E10value_typeEPNSM_ISH_E10value_typeEPSI_NS1_7vsmem_tEENKUlT_SG_SH_SI_E_clIS7_S7_PlSB_EESF_SV_SG_SH_SI_EUlSV_E_NS1_11comp_targetILNS1_3genE0ELNS1_11target_archE4294967295ELNS1_3gpuE0ELNS1_3repE0EEENS1_48merge_mergepath_partition_config_static_selectorELNS0_4arch9wavefront6targetE1EEEvSH_
    .private_segment_fixed_size: 0
    .sgpr_count:     4
    .sgpr_spill_count: 0
    .symbol:         _ZN7rocprim17ROCPRIM_400000_NS6detail17trampoline_kernelINS0_14default_configENS1_38merge_sort_block_merge_config_selectorIflEEZZNS1_27merge_sort_block_merge_implIS3_PfN6thrust23THRUST_200600_302600_NS10device_ptrIlEEjNS1_19radix_merge_compareILb0ELb0EfNS0_19identity_decomposerEEEEE10hipError_tT0_T1_T2_jT3_P12ihipStream_tbPNSt15iterator_traitsISG_E10value_typeEPNSM_ISH_E10value_typeEPSI_NS1_7vsmem_tEENKUlT_SG_SH_SI_E_clIS7_S7_PlSB_EESF_SV_SG_SH_SI_EUlSV_E_NS1_11comp_targetILNS1_3genE0ELNS1_11target_archE4294967295ELNS1_3gpuE0ELNS1_3repE0EEENS1_48merge_mergepath_partition_config_static_selectorELNS0_4arch9wavefront6targetE1EEEvSH_.kd
    .uniform_work_group_size: 1
    .uses_dynamic_stack: false
    .vgpr_count:     0
    .vgpr_spill_count: 0
    .wavefront_size: 64
  - .args:
      - .offset:         0
        .size:           40
        .value_kind:     by_value
    .group_segment_fixed_size: 0
    .kernarg_segment_align: 8
    .kernarg_segment_size: 40
    .language:       OpenCL C
    .language_version:
      - 2
      - 0
    .max_flat_workgroup_size: 128
    .name:           _ZN7rocprim17ROCPRIM_400000_NS6detail17trampoline_kernelINS0_14default_configENS1_38merge_sort_block_merge_config_selectorIflEEZZNS1_27merge_sort_block_merge_implIS3_PfN6thrust23THRUST_200600_302600_NS10device_ptrIlEEjNS1_19radix_merge_compareILb0ELb0EfNS0_19identity_decomposerEEEEE10hipError_tT0_T1_T2_jT3_P12ihipStream_tbPNSt15iterator_traitsISG_E10value_typeEPNSM_ISH_E10value_typeEPSI_NS1_7vsmem_tEENKUlT_SG_SH_SI_E_clIS7_S7_PlSB_EESF_SV_SG_SH_SI_EUlSV_E_NS1_11comp_targetILNS1_3genE10ELNS1_11target_archE1201ELNS1_3gpuE5ELNS1_3repE0EEENS1_48merge_mergepath_partition_config_static_selectorELNS0_4arch9wavefront6targetE1EEEvSH_
    .private_segment_fixed_size: 0
    .sgpr_count:     4
    .sgpr_spill_count: 0
    .symbol:         _ZN7rocprim17ROCPRIM_400000_NS6detail17trampoline_kernelINS0_14default_configENS1_38merge_sort_block_merge_config_selectorIflEEZZNS1_27merge_sort_block_merge_implIS3_PfN6thrust23THRUST_200600_302600_NS10device_ptrIlEEjNS1_19radix_merge_compareILb0ELb0EfNS0_19identity_decomposerEEEEE10hipError_tT0_T1_T2_jT3_P12ihipStream_tbPNSt15iterator_traitsISG_E10value_typeEPNSM_ISH_E10value_typeEPSI_NS1_7vsmem_tEENKUlT_SG_SH_SI_E_clIS7_S7_PlSB_EESF_SV_SG_SH_SI_EUlSV_E_NS1_11comp_targetILNS1_3genE10ELNS1_11target_archE1201ELNS1_3gpuE5ELNS1_3repE0EEENS1_48merge_mergepath_partition_config_static_selectorELNS0_4arch9wavefront6targetE1EEEvSH_.kd
    .uniform_work_group_size: 1
    .uses_dynamic_stack: false
    .vgpr_count:     0
    .vgpr_spill_count: 0
    .wavefront_size: 64
  - .args:
      - .offset:         0
        .size:           40
        .value_kind:     by_value
    .group_segment_fixed_size: 0
    .kernarg_segment_align: 8
    .kernarg_segment_size: 40
    .language:       OpenCL C
    .language_version:
      - 2
      - 0
    .max_flat_workgroup_size: 128
    .name:           _ZN7rocprim17ROCPRIM_400000_NS6detail17trampoline_kernelINS0_14default_configENS1_38merge_sort_block_merge_config_selectorIflEEZZNS1_27merge_sort_block_merge_implIS3_PfN6thrust23THRUST_200600_302600_NS10device_ptrIlEEjNS1_19radix_merge_compareILb0ELb0EfNS0_19identity_decomposerEEEEE10hipError_tT0_T1_T2_jT3_P12ihipStream_tbPNSt15iterator_traitsISG_E10value_typeEPNSM_ISH_E10value_typeEPSI_NS1_7vsmem_tEENKUlT_SG_SH_SI_E_clIS7_S7_PlSB_EESF_SV_SG_SH_SI_EUlSV_E_NS1_11comp_targetILNS1_3genE5ELNS1_11target_archE942ELNS1_3gpuE9ELNS1_3repE0EEENS1_48merge_mergepath_partition_config_static_selectorELNS0_4arch9wavefront6targetE1EEEvSH_
    .private_segment_fixed_size: 0
    .sgpr_count:     4
    .sgpr_spill_count: 0
    .symbol:         _ZN7rocprim17ROCPRIM_400000_NS6detail17trampoline_kernelINS0_14default_configENS1_38merge_sort_block_merge_config_selectorIflEEZZNS1_27merge_sort_block_merge_implIS3_PfN6thrust23THRUST_200600_302600_NS10device_ptrIlEEjNS1_19radix_merge_compareILb0ELb0EfNS0_19identity_decomposerEEEEE10hipError_tT0_T1_T2_jT3_P12ihipStream_tbPNSt15iterator_traitsISG_E10value_typeEPNSM_ISH_E10value_typeEPSI_NS1_7vsmem_tEENKUlT_SG_SH_SI_E_clIS7_S7_PlSB_EESF_SV_SG_SH_SI_EUlSV_E_NS1_11comp_targetILNS1_3genE5ELNS1_11target_archE942ELNS1_3gpuE9ELNS1_3repE0EEENS1_48merge_mergepath_partition_config_static_selectorELNS0_4arch9wavefront6targetE1EEEvSH_.kd
    .uniform_work_group_size: 1
    .uses_dynamic_stack: false
    .vgpr_count:     0
    .vgpr_spill_count: 0
    .wavefront_size: 64
  - .args:
      - .offset:         0
        .size:           40
        .value_kind:     by_value
    .group_segment_fixed_size: 0
    .kernarg_segment_align: 8
    .kernarg_segment_size: 40
    .language:       OpenCL C
    .language_version:
      - 2
      - 0
    .max_flat_workgroup_size: 128
    .name:           _ZN7rocprim17ROCPRIM_400000_NS6detail17trampoline_kernelINS0_14default_configENS1_38merge_sort_block_merge_config_selectorIflEEZZNS1_27merge_sort_block_merge_implIS3_PfN6thrust23THRUST_200600_302600_NS10device_ptrIlEEjNS1_19radix_merge_compareILb0ELb0EfNS0_19identity_decomposerEEEEE10hipError_tT0_T1_T2_jT3_P12ihipStream_tbPNSt15iterator_traitsISG_E10value_typeEPNSM_ISH_E10value_typeEPSI_NS1_7vsmem_tEENKUlT_SG_SH_SI_E_clIS7_S7_PlSB_EESF_SV_SG_SH_SI_EUlSV_E_NS1_11comp_targetILNS1_3genE4ELNS1_11target_archE910ELNS1_3gpuE8ELNS1_3repE0EEENS1_48merge_mergepath_partition_config_static_selectorELNS0_4arch9wavefront6targetE1EEEvSH_
    .private_segment_fixed_size: 0
    .sgpr_count:     4
    .sgpr_spill_count: 0
    .symbol:         _ZN7rocprim17ROCPRIM_400000_NS6detail17trampoline_kernelINS0_14default_configENS1_38merge_sort_block_merge_config_selectorIflEEZZNS1_27merge_sort_block_merge_implIS3_PfN6thrust23THRUST_200600_302600_NS10device_ptrIlEEjNS1_19radix_merge_compareILb0ELb0EfNS0_19identity_decomposerEEEEE10hipError_tT0_T1_T2_jT3_P12ihipStream_tbPNSt15iterator_traitsISG_E10value_typeEPNSM_ISH_E10value_typeEPSI_NS1_7vsmem_tEENKUlT_SG_SH_SI_E_clIS7_S7_PlSB_EESF_SV_SG_SH_SI_EUlSV_E_NS1_11comp_targetILNS1_3genE4ELNS1_11target_archE910ELNS1_3gpuE8ELNS1_3repE0EEENS1_48merge_mergepath_partition_config_static_selectorELNS0_4arch9wavefront6targetE1EEEvSH_.kd
    .uniform_work_group_size: 1
    .uses_dynamic_stack: false
    .vgpr_count:     0
    .vgpr_spill_count: 0
    .wavefront_size: 64
  - .args:
      - .offset:         0
        .size:           40
        .value_kind:     by_value
    .group_segment_fixed_size: 0
    .kernarg_segment_align: 8
    .kernarg_segment_size: 40
    .language:       OpenCL C
    .language_version:
      - 2
      - 0
    .max_flat_workgroup_size: 128
    .name:           _ZN7rocprim17ROCPRIM_400000_NS6detail17trampoline_kernelINS0_14default_configENS1_38merge_sort_block_merge_config_selectorIflEEZZNS1_27merge_sort_block_merge_implIS3_PfN6thrust23THRUST_200600_302600_NS10device_ptrIlEEjNS1_19radix_merge_compareILb0ELb0EfNS0_19identity_decomposerEEEEE10hipError_tT0_T1_T2_jT3_P12ihipStream_tbPNSt15iterator_traitsISG_E10value_typeEPNSM_ISH_E10value_typeEPSI_NS1_7vsmem_tEENKUlT_SG_SH_SI_E_clIS7_S7_PlSB_EESF_SV_SG_SH_SI_EUlSV_E_NS1_11comp_targetILNS1_3genE3ELNS1_11target_archE908ELNS1_3gpuE7ELNS1_3repE0EEENS1_48merge_mergepath_partition_config_static_selectorELNS0_4arch9wavefront6targetE1EEEvSH_
    .private_segment_fixed_size: 0
    .sgpr_count:     4
    .sgpr_spill_count: 0
    .symbol:         _ZN7rocprim17ROCPRIM_400000_NS6detail17trampoline_kernelINS0_14default_configENS1_38merge_sort_block_merge_config_selectorIflEEZZNS1_27merge_sort_block_merge_implIS3_PfN6thrust23THRUST_200600_302600_NS10device_ptrIlEEjNS1_19radix_merge_compareILb0ELb0EfNS0_19identity_decomposerEEEEE10hipError_tT0_T1_T2_jT3_P12ihipStream_tbPNSt15iterator_traitsISG_E10value_typeEPNSM_ISH_E10value_typeEPSI_NS1_7vsmem_tEENKUlT_SG_SH_SI_E_clIS7_S7_PlSB_EESF_SV_SG_SH_SI_EUlSV_E_NS1_11comp_targetILNS1_3genE3ELNS1_11target_archE908ELNS1_3gpuE7ELNS1_3repE0EEENS1_48merge_mergepath_partition_config_static_selectorELNS0_4arch9wavefront6targetE1EEEvSH_.kd
    .uniform_work_group_size: 1
    .uses_dynamic_stack: false
    .vgpr_count:     0
    .vgpr_spill_count: 0
    .wavefront_size: 64
  - .args:
      - .offset:         0
        .size:           40
        .value_kind:     by_value
    .group_segment_fixed_size: 0
    .kernarg_segment_align: 8
    .kernarg_segment_size: 40
    .language:       OpenCL C
    .language_version:
      - 2
      - 0
    .max_flat_workgroup_size: 128
    .name:           _ZN7rocprim17ROCPRIM_400000_NS6detail17trampoline_kernelINS0_14default_configENS1_38merge_sort_block_merge_config_selectorIflEEZZNS1_27merge_sort_block_merge_implIS3_PfN6thrust23THRUST_200600_302600_NS10device_ptrIlEEjNS1_19radix_merge_compareILb0ELb0EfNS0_19identity_decomposerEEEEE10hipError_tT0_T1_T2_jT3_P12ihipStream_tbPNSt15iterator_traitsISG_E10value_typeEPNSM_ISH_E10value_typeEPSI_NS1_7vsmem_tEENKUlT_SG_SH_SI_E_clIS7_S7_PlSB_EESF_SV_SG_SH_SI_EUlSV_E_NS1_11comp_targetILNS1_3genE2ELNS1_11target_archE906ELNS1_3gpuE6ELNS1_3repE0EEENS1_48merge_mergepath_partition_config_static_selectorELNS0_4arch9wavefront6targetE1EEEvSH_
    .private_segment_fixed_size: 0
    .sgpr_count:     12
    .sgpr_spill_count: 0
    .symbol:         _ZN7rocprim17ROCPRIM_400000_NS6detail17trampoline_kernelINS0_14default_configENS1_38merge_sort_block_merge_config_selectorIflEEZZNS1_27merge_sort_block_merge_implIS3_PfN6thrust23THRUST_200600_302600_NS10device_ptrIlEEjNS1_19radix_merge_compareILb0ELb0EfNS0_19identity_decomposerEEEEE10hipError_tT0_T1_T2_jT3_P12ihipStream_tbPNSt15iterator_traitsISG_E10value_typeEPNSM_ISH_E10value_typeEPSI_NS1_7vsmem_tEENKUlT_SG_SH_SI_E_clIS7_S7_PlSB_EESF_SV_SG_SH_SI_EUlSV_E_NS1_11comp_targetILNS1_3genE2ELNS1_11target_archE906ELNS1_3gpuE6ELNS1_3repE0EEENS1_48merge_mergepath_partition_config_static_selectorELNS0_4arch9wavefront6targetE1EEEvSH_.kd
    .uniform_work_group_size: 1
    .uses_dynamic_stack: false
    .vgpr_count:     17
    .vgpr_spill_count: 0
    .wavefront_size: 64
  - .args:
      - .offset:         0
        .size:           40
        .value_kind:     by_value
    .group_segment_fixed_size: 0
    .kernarg_segment_align: 8
    .kernarg_segment_size: 40
    .language:       OpenCL C
    .language_version:
      - 2
      - 0
    .max_flat_workgroup_size: 128
    .name:           _ZN7rocprim17ROCPRIM_400000_NS6detail17trampoline_kernelINS0_14default_configENS1_38merge_sort_block_merge_config_selectorIflEEZZNS1_27merge_sort_block_merge_implIS3_PfN6thrust23THRUST_200600_302600_NS10device_ptrIlEEjNS1_19radix_merge_compareILb0ELb0EfNS0_19identity_decomposerEEEEE10hipError_tT0_T1_T2_jT3_P12ihipStream_tbPNSt15iterator_traitsISG_E10value_typeEPNSM_ISH_E10value_typeEPSI_NS1_7vsmem_tEENKUlT_SG_SH_SI_E_clIS7_S7_PlSB_EESF_SV_SG_SH_SI_EUlSV_E_NS1_11comp_targetILNS1_3genE9ELNS1_11target_archE1100ELNS1_3gpuE3ELNS1_3repE0EEENS1_48merge_mergepath_partition_config_static_selectorELNS0_4arch9wavefront6targetE1EEEvSH_
    .private_segment_fixed_size: 0
    .sgpr_count:     4
    .sgpr_spill_count: 0
    .symbol:         _ZN7rocprim17ROCPRIM_400000_NS6detail17trampoline_kernelINS0_14default_configENS1_38merge_sort_block_merge_config_selectorIflEEZZNS1_27merge_sort_block_merge_implIS3_PfN6thrust23THRUST_200600_302600_NS10device_ptrIlEEjNS1_19radix_merge_compareILb0ELb0EfNS0_19identity_decomposerEEEEE10hipError_tT0_T1_T2_jT3_P12ihipStream_tbPNSt15iterator_traitsISG_E10value_typeEPNSM_ISH_E10value_typeEPSI_NS1_7vsmem_tEENKUlT_SG_SH_SI_E_clIS7_S7_PlSB_EESF_SV_SG_SH_SI_EUlSV_E_NS1_11comp_targetILNS1_3genE9ELNS1_11target_archE1100ELNS1_3gpuE3ELNS1_3repE0EEENS1_48merge_mergepath_partition_config_static_selectorELNS0_4arch9wavefront6targetE1EEEvSH_.kd
    .uniform_work_group_size: 1
    .uses_dynamic_stack: false
    .vgpr_count:     0
    .vgpr_spill_count: 0
    .wavefront_size: 64
  - .args:
      - .offset:         0
        .size:           40
        .value_kind:     by_value
    .group_segment_fixed_size: 0
    .kernarg_segment_align: 8
    .kernarg_segment_size: 40
    .language:       OpenCL C
    .language_version:
      - 2
      - 0
    .max_flat_workgroup_size: 128
    .name:           _ZN7rocprim17ROCPRIM_400000_NS6detail17trampoline_kernelINS0_14default_configENS1_38merge_sort_block_merge_config_selectorIflEEZZNS1_27merge_sort_block_merge_implIS3_PfN6thrust23THRUST_200600_302600_NS10device_ptrIlEEjNS1_19radix_merge_compareILb0ELb0EfNS0_19identity_decomposerEEEEE10hipError_tT0_T1_T2_jT3_P12ihipStream_tbPNSt15iterator_traitsISG_E10value_typeEPNSM_ISH_E10value_typeEPSI_NS1_7vsmem_tEENKUlT_SG_SH_SI_E_clIS7_S7_PlSB_EESF_SV_SG_SH_SI_EUlSV_E_NS1_11comp_targetILNS1_3genE8ELNS1_11target_archE1030ELNS1_3gpuE2ELNS1_3repE0EEENS1_48merge_mergepath_partition_config_static_selectorELNS0_4arch9wavefront6targetE1EEEvSH_
    .private_segment_fixed_size: 0
    .sgpr_count:     4
    .sgpr_spill_count: 0
    .symbol:         _ZN7rocprim17ROCPRIM_400000_NS6detail17trampoline_kernelINS0_14default_configENS1_38merge_sort_block_merge_config_selectorIflEEZZNS1_27merge_sort_block_merge_implIS3_PfN6thrust23THRUST_200600_302600_NS10device_ptrIlEEjNS1_19radix_merge_compareILb0ELb0EfNS0_19identity_decomposerEEEEE10hipError_tT0_T1_T2_jT3_P12ihipStream_tbPNSt15iterator_traitsISG_E10value_typeEPNSM_ISH_E10value_typeEPSI_NS1_7vsmem_tEENKUlT_SG_SH_SI_E_clIS7_S7_PlSB_EESF_SV_SG_SH_SI_EUlSV_E_NS1_11comp_targetILNS1_3genE8ELNS1_11target_archE1030ELNS1_3gpuE2ELNS1_3repE0EEENS1_48merge_mergepath_partition_config_static_selectorELNS0_4arch9wavefront6targetE1EEEvSH_.kd
    .uniform_work_group_size: 1
    .uses_dynamic_stack: false
    .vgpr_count:     0
    .vgpr_spill_count: 0
    .wavefront_size: 64
  - .args:
      - .offset:         0
        .size:           64
        .value_kind:     by_value
    .group_segment_fixed_size: 0
    .kernarg_segment_align: 8
    .kernarg_segment_size: 64
    .language:       OpenCL C
    .language_version:
      - 2
      - 0
    .max_flat_workgroup_size: 512
    .name:           _ZN7rocprim17ROCPRIM_400000_NS6detail17trampoline_kernelINS0_14default_configENS1_38merge_sort_block_merge_config_selectorIflEEZZNS1_27merge_sort_block_merge_implIS3_PfN6thrust23THRUST_200600_302600_NS10device_ptrIlEEjNS1_19radix_merge_compareILb0ELb0EfNS0_19identity_decomposerEEEEE10hipError_tT0_T1_T2_jT3_P12ihipStream_tbPNSt15iterator_traitsISG_E10value_typeEPNSM_ISH_E10value_typeEPSI_NS1_7vsmem_tEENKUlT_SG_SH_SI_E_clIS7_S7_PlSB_EESF_SV_SG_SH_SI_EUlSV_E0_NS1_11comp_targetILNS1_3genE0ELNS1_11target_archE4294967295ELNS1_3gpuE0ELNS1_3repE0EEENS1_38merge_mergepath_config_static_selectorELNS0_4arch9wavefront6targetE1EEEvSH_
    .private_segment_fixed_size: 0
    .sgpr_count:     4
    .sgpr_spill_count: 0
    .symbol:         _ZN7rocprim17ROCPRIM_400000_NS6detail17trampoline_kernelINS0_14default_configENS1_38merge_sort_block_merge_config_selectorIflEEZZNS1_27merge_sort_block_merge_implIS3_PfN6thrust23THRUST_200600_302600_NS10device_ptrIlEEjNS1_19radix_merge_compareILb0ELb0EfNS0_19identity_decomposerEEEEE10hipError_tT0_T1_T2_jT3_P12ihipStream_tbPNSt15iterator_traitsISG_E10value_typeEPNSM_ISH_E10value_typeEPSI_NS1_7vsmem_tEENKUlT_SG_SH_SI_E_clIS7_S7_PlSB_EESF_SV_SG_SH_SI_EUlSV_E0_NS1_11comp_targetILNS1_3genE0ELNS1_11target_archE4294967295ELNS1_3gpuE0ELNS1_3repE0EEENS1_38merge_mergepath_config_static_selectorELNS0_4arch9wavefront6targetE1EEEvSH_.kd
    .uniform_work_group_size: 1
    .uses_dynamic_stack: false
    .vgpr_count:     0
    .vgpr_spill_count: 0
    .wavefront_size: 64
  - .args:
      - .offset:         0
        .size:           64
        .value_kind:     by_value
    .group_segment_fixed_size: 0
    .kernarg_segment_align: 8
    .kernarg_segment_size: 64
    .language:       OpenCL C
    .language_version:
      - 2
      - 0
    .max_flat_workgroup_size: 512
    .name:           _ZN7rocprim17ROCPRIM_400000_NS6detail17trampoline_kernelINS0_14default_configENS1_38merge_sort_block_merge_config_selectorIflEEZZNS1_27merge_sort_block_merge_implIS3_PfN6thrust23THRUST_200600_302600_NS10device_ptrIlEEjNS1_19radix_merge_compareILb0ELb0EfNS0_19identity_decomposerEEEEE10hipError_tT0_T1_T2_jT3_P12ihipStream_tbPNSt15iterator_traitsISG_E10value_typeEPNSM_ISH_E10value_typeEPSI_NS1_7vsmem_tEENKUlT_SG_SH_SI_E_clIS7_S7_PlSB_EESF_SV_SG_SH_SI_EUlSV_E0_NS1_11comp_targetILNS1_3genE10ELNS1_11target_archE1201ELNS1_3gpuE5ELNS1_3repE0EEENS1_38merge_mergepath_config_static_selectorELNS0_4arch9wavefront6targetE1EEEvSH_
    .private_segment_fixed_size: 0
    .sgpr_count:     4
    .sgpr_spill_count: 0
    .symbol:         _ZN7rocprim17ROCPRIM_400000_NS6detail17trampoline_kernelINS0_14default_configENS1_38merge_sort_block_merge_config_selectorIflEEZZNS1_27merge_sort_block_merge_implIS3_PfN6thrust23THRUST_200600_302600_NS10device_ptrIlEEjNS1_19radix_merge_compareILb0ELb0EfNS0_19identity_decomposerEEEEE10hipError_tT0_T1_T2_jT3_P12ihipStream_tbPNSt15iterator_traitsISG_E10value_typeEPNSM_ISH_E10value_typeEPSI_NS1_7vsmem_tEENKUlT_SG_SH_SI_E_clIS7_S7_PlSB_EESF_SV_SG_SH_SI_EUlSV_E0_NS1_11comp_targetILNS1_3genE10ELNS1_11target_archE1201ELNS1_3gpuE5ELNS1_3repE0EEENS1_38merge_mergepath_config_static_selectorELNS0_4arch9wavefront6targetE1EEEvSH_.kd
    .uniform_work_group_size: 1
    .uses_dynamic_stack: false
    .vgpr_count:     0
    .vgpr_spill_count: 0
    .wavefront_size: 64
  - .args:
      - .offset:         0
        .size:           64
        .value_kind:     by_value
    .group_segment_fixed_size: 0
    .kernarg_segment_align: 8
    .kernarg_segment_size: 64
    .language:       OpenCL C
    .language_version:
      - 2
      - 0
    .max_flat_workgroup_size: 128
    .name:           _ZN7rocprim17ROCPRIM_400000_NS6detail17trampoline_kernelINS0_14default_configENS1_38merge_sort_block_merge_config_selectorIflEEZZNS1_27merge_sort_block_merge_implIS3_PfN6thrust23THRUST_200600_302600_NS10device_ptrIlEEjNS1_19radix_merge_compareILb0ELb0EfNS0_19identity_decomposerEEEEE10hipError_tT0_T1_T2_jT3_P12ihipStream_tbPNSt15iterator_traitsISG_E10value_typeEPNSM_ISH_E10value_typeEPSI_NS1_7vsmem_tEENKUlT_SG_SH_SI_E_clIS7_S7_PlSB_EESF_SV_SG_SH_SI_EUlSV_E0_NS1_11comp_targetILNS1_3genE5ELNS1_11target_archE942ELNS1_3gpuE9ELNS1_3repE0EEENS1_38merge_mergepath_config_static_selectorELNS0_4arch9wavefront6targetE1EEEvSH_
    .private_segment_fixed_size: 0
    .sgpr_count:     4
    .sgpr_spill_count: 0
    .symbol:         _ZN7rocprim17ROCPRIM_400000_NS6detail17trampoline_kernelINS0_14default_configENS1_38merge_sort_block_merge_config_selectorIflEEZZNS1_27merge_sort_block_merge_implIS3_PfN6thrust23THRUST_200600_302600_NS10device_ptrIlEEjNS1_19radix_merge_compareILb0ELb0EfNS0_19identity_decomposerEEEEE10hipError_tT0_T1_T2_jT3_P12ihipStream_tbPNSt15iterator_traitsISG_E10value_typeEPNSM_ISH_E10value_typeEPSI_NS1_7vsmem_tEENKUlT_SG_SH_SI_E_clIS7_S7_PlSB_EESF_SV_SG_SH_SI_EUlSV_E0_NS1_11comp_targetILNS1_3genE5ELNS1_11target_archE942ELNS1_3gpuE9ELNS1_3repE0EEENS1_38merge_mergepath_config_static_selectorELNS0_4arch9wavefront6targetE1EEEvSH_.kd
    .uniform_work_group_size: 1
    .uses_dynamic_stack: false
    .vgpr_count:     0
    .vgpr_spill_count: 0
    .wavefront_size: 64
  - .args:
      - .offset:         0
        .size:           64
        .value_kind:     by_value
    .group_segment_fixed_size: 0
    .kernarg_segment_align: 8
    .kernarg_segment_size: 64
    .language:       OpenCL C
    .language_version:
      - 2
      - 0
    .max_flat_workgroup_size: 256
    .name:           _ZN7rocprim17ROCPRIM_400000_NS6detail17trampoline_kernelINS0_14default_configENS1_38merge_sort_block_merge_config_selectorIflEEZZNS1_27merge_sort_block_merge_implIS3_PfN6thrust23THRUST_200600_302600_NS10device_ptrIlEEjNS1_19radix_merge_compareILb0ELb0EfNS0_19identity_decomposerEEEEE10hipError_tT0_T1_T2_jT3_P12ihipStream_tbPNSt15iterator_traitsISG_E10value_typeEPNSM_ISH_E10value_typeEPSI_NS1_7vsmem_tEENKUlT_SG_SH_SI_E_clIS7_S7_PlSB_EESF_SV_SG_SH_SI_EUlSV_E0_NS1_11comp_targetILNS1_3genE4ELNS1_11target_archE910ELNS1_3gpuE8ELNS1_3repE0EEENS1_38merge_mergepath_config_static_selectorELNS0_4arch9wavefront6targetE1EEEvSH_
    .private_segment_fixed_size: 0
    .sgpr_count:     4
    .sgpr_spill_count: 0
    .symbol:         _ZN7rocprim17ROCPRIM_400000_NS6detail17trampoline_kernelINS0_14default_configENS1_38merge_sort_block_merge_config_selectorIflEEZZNS1_27merge_sort_block_merge_implIS3_PfN6thrust23THRUST_200600_302600_NS10device_ptrIlEEjNS1_19radix_merge_compareILb0ELb0EfNS0_19identity_decomposerEEEEE10hipError_tT0_T1_T2_jT3_P12ihipStream_tbPNSt15iterator_traitsISG_E10value_typeEPNSM_ISH_E10value_typeEPSI_NS1_7vsmem_tEENKUlT_SG_SH_SI_E_clIS7_S7_PlSB_EESF_SV_SG_SH_SI_EUlSV_E0_NS1_11comp_targetILNS1_3genE4ELNS1_11target_archE910ELNS1_3gpuE8ELNS1_3repE0EEENS1_38merge_mergepath_config_static_selectorELNS0_4arch9wavefront6targetE1EEEvSH_.kd
    .uniform_work_group_size: 1
    .uses_dynamic_stack: false
    .vgpr_count:     0
    .vgpr_spill_count: 0
    .wavefront_size: 64
  - .args:
      - .offset:         0
        .size:           64
        .value_kind:     by_value
    .group_segment_fixed_size: 0
    .kernarg_segment_align: 8
    .kernarg_segment_size: 64
    .language:       OpenCL C
    .language_version:
      - 2
      - 0
    .max_flat_workgroup_size: 512
    .name:           _ZN7rocprim17ROCPRIM_400000_NS6detail17trampoline_kernelINS0_14default_configENS1_38merge_sort_block_merge_config_selectorIflEEZZNS1_27merge_sort_block_merge_implIS3_PfN6thrust23THRUST_200600_302600_NS10device_ptrIlEEjNS1_19radix_merge_compareILb0ELb0EfNS0_19identity_decomposerEEEEE10hipError_tT0_T1_T2_jT3_P12ihipStream_tbPNSt15iterator_traitsISG_E10value_typeEPNSM_ISH_E10value_typeEPSI_NS1_7vsmem_tEENKUlT_SG_SH_SI_E_clIS7_S7_PlSB_EESF_SV_SG_SH_SI_EUlSV_E0_NS1_11comp_targetILNS1_3genE3ELNS1_11target_archE908ELNS1_3gpuE7ELNS1_3repE0EEENS1_38merge_mergepath_config_static_selectorELNS0_4arch9wavefront6targetE1EEEvSH_
    .private_segment_fixed_size: 0
    .sgpr_count:     4
    .sgpr_spill_count: 0
    .symbol:         _ZN7rocprim17ROCPRIM_400000_NS6detail17trampoline_kernelINS0_14default_configENS1_38merge_sort_block_merge_config_selectorIflEEZZNS1_27merge_sort_block_merge_implIS3_PfN6thrust23THRUST_200600_302600_NS10device_ptrIlEEjNS1_19radix_merge_compareILb0ELb0EfNS0_19identity_decomposerEEEEE10hipError_tT0_T1_T2_jT3_P12ihipStream_tbPNSt15iterator_traitsISG_E10value_typeEPNSM_ISH_E10value_typeEPSI_NS1_7vsmem_tEENKUlT_SG_SH_SI_E_clIS7_S7_PlSB_EESF_SV_SG_SH_SI_EUlSV_E0_NS1_11comp_targetILNS1_3genE3ELNS1_11target_archE908ELNS1_3gpuE7ELNS1_3repE0EEENS1_38merge_mergepath_config_static_selectorELNS0_4arch9wavefront6targetE1EEEvSH_.kd
    .uniform_work_group_size: 1
    .uses_dynamic_stack: false
    .vgpr_count:     0
    .vgpr_spill_count: 0
    .wavefront_size: 64
  - .args:
      - .offset:         0
        .size:           64
        .value_kind:     by_value
      - .offset:         64
        .size:           4
        .value_kind:     hidden_block_count_x
      - .offset:         68
        .size:           4
        .value_kind:     hidden_block_count_y
      - .offset:         72
        .size:           4
        .value_kind:     hidden_block_count_z
      - .offset:         76
        .size:           2
        .value_kind:     hidden_group_size_x
      - .offset:         78
        .size:           2
        .value_kind:     hidden_group_size_y
      - .offset:         80
        .size:           2
        .value_kind:     hidden_group_size_z
      - .offset:         82
        .size:           2
        .value_kind:     hidden_remainder_x
      - .offset:         84
        .size:           2
        .value_kind:     hidden_remainder_y
      - .offset:         86
        .size:           2
        .value_kind:     hidden_remainder_z
      - .offset:         104
        .size:           8
        .value_kind:     hidden_global_offset_x
      - .offset:         112
        .size:           8
        .value_kind:     hidden_global_offset_y
      - .offset:         120
        .size:           8
        .value_kind:     hidden_global_offset_z
      - .offset:         128
        .size:           2
        .value_kind:     hidden_grid_dims
    .group_segment_fixed_size: 8448
    .kernarg_segment_align: 8
    .kernarg_segment_size: 320
    .language:       OpenCL C
    .language_version:
      - 2
      - 0
    .max_flat_workgroup_size: 256
    .name:           _ZN7rocprim17ROCPRIM_400000_NS6detail17trampoline_kernelINS0_14default_configENS1_38merge_sort_block_merge_config_selectorIflEEZZNS1_27merge_sort_block_merge_implIS3_PfN6thrust23THRUST_200600_302600_NS10device_ptrIlEEjNS1_19radix_merge_compareILb0ELb0EfNS0_19identity_decomposerEEEEE10hipError_tT0_T1_T2_jT3_P12ihipStream_tbPNSt15iterator_traitsISG_E10value_typeEPNSM_ISH_E10value_typeEPSI_NS1_7vsmem_tEENKUlT_SG_SH_SI_E_clIS7_S7_PlSB_EESF_SV_SG_SH_SI_EUlSV_E0_NS1_11comp_targetILNS1_3genE2ELNS1_11target_archE906ELNS1_3gpuE6ELNS1_3repE0EEENS1_38merge_mergepath_config_static_selectorELNS0_4arch9wavefront6targetE1EEEvSH_
    .private_segment_fixed_size: 0
    .sgpr_count:     35
    .sgpr_spill_count: 0
    .symbol:         _ZN7rocprim17ROCPRIM_400000_NS6detail17trampoline_kernelINS0_14default_configENS1_38merge_sort_block_merge_config_selectorIflEEZZNS1_27merge_sort_block_merge_implIS3_PfN6thrust23THRUST_200600_302600_NS10device_ptrIlEEjNS1_19radix_merge_compareILb0ELb0EfNS0_19identity_decomposerEEEEE10hipError_tT0_T1_T2_jT3_P12ihipStream_tbPNSt15iterator_traitsISG_E10value_typeEPNSM_ISH_E10value_typeEPSI_NS1_7vsmem_tEENKUlT_SG_SH_SI_E_clIS7_S7_PlSB_EESF_SV_SG_SH_SI_EUlSV_E0_NS1_11comp_targetILNS1_3genE2ELNS1_11target_archE906ELNS1_3gpuE6ELNS1_3repE0EEENS1_38merge_mergepath_config_static_selectorELNS0_4arch9wavefront6targetE1EEEvSH_.kd
    .uniform_work_group_size: 1
    .uses_dynamic_stack: false
    .vgpr_count:     35
    .vgpr_spill_count: 0
    .wavefront_size: 64
  - .args:
      - .offset:         0
        .size:           64
        .value_kind:     by_value
    .group_segment_fixed_size: 0
    .kernarg_segment_align: 8
    .kernarg_segment_size: 64
    .language:       OpenCL C
    .language_version:
      - 2
      - 0
    .max_flat_workgroup_size: 512
    .name:           _ZN7rocprim17ROCPRIM_400000_NS6detail17trampoline_kernelINS0_14default_configENS1_38merge_sort_block_merge_config_selectorIflEEZZNS1_27merge_sort_block_merge_implIS3_PfN6thrust23THRUST_200600_302600_NS10device_ptrIlEEjNS1_19radix_merge_compareILb0ELb0EfNS0_19identity_decomposerEEEEE10hipError_tT0_T1_T2_jT3_P12ihipStream_tbPNSt15iterator_traitsISG_E10value_typeEPNSM_ISH_E10value_typeEPSI_NS1_7vsmem_tEENKUlT_SG_SH_SI_E_clIS7_S7_PlSB_EESF_SV_SG_SH_SI_EUlSV_E0_NS1_11comp_targetILNS1_3genE9ELNS1_11target_archE1100ELNS1_3gpuE3ELNS1_3repE0EEENS1_38merge_mergepath_config_static_selectorELNS0_4arch9wavefront6targetE1EEEvSH_
    .private_segment_fixed_size: 0
    .sgpr_count:     4
    .sgpr_spill_count: 0
    .symbol:         _ZN7rocprim17ROCPRIM_400000_NS6detail17trampoline_kernelINS0_14default_configENS1_38merge_sort_block_merge_config_selectorIflEEZZNS1_27merge_sort_block_merge_implIS3_PfN6thrust23THRUST_200600_302600_NS10device_ptrIlEEjNS1_19radix_merge_compareILb0ELb0EfNS0_19identity_decomposerEEEEE10hipError_tT0_T1_T2_jT3_P12ihipStream_tbPNSt15iterator_traitsISG_E10value_typeEPNSM_ISH_E10value_typeEPSI_NS1_7vsmem_tEENKUlT_SG_SH_SI_E_clIS7_S7_PlSB_EESF_SV_SG_SH_SI_EUlSV_E0_NS1_11comp_targetILNS1_3genE9ELNS1_11target_archE1100ELNS1_3gpuE3ELNS1_3repE0EEENS1_38merge_mergepath_config_static_selectorELNS0_4arch9wavefront6targetE1EEEvSH_.kd
    .uniform_work_group_size: 1
    .uses_dynamic_stack: false
    .vgpr_count:     0
    .vgpr_spill_count: 0
    .wavefront_size: 64
  - .args:
      - .offset:         0
        .size:           64
        .value_kind:     by_value
    .group_segment_fixed_size: 0
    .kernarg_segment_align: 8
    .kernarg_segment_size: 64
    .language:       OpenCL C
    .language_version:
      - 2
      - 0
    .max_flat_workgroup_size: 1024
    .name:           _ZN7rocprim17ROCPRIM_400000_NS6detail17trampoline_kernelINS0_14default_configENS1_38merge_sort_block_merge_config_selectorIflEEZZNS1_27merge_sort_block_merge_implIS3_PfN6thrust23THRUST_200600_302600_NS10device_ptrIlEEjNS1_19radix_merge_compareILb0ELb0EfNS0_19identity_decomposerEEEEE10hipError_tT0_T1_T2_jT3_P12ihipStream_tbPNSt15iterator_traitsISG_E10value_typeEPNSM_ISH_E10value_typeEPSI_NS1_7vsmem_tEENKUlT_SG_SH_SI_E_clIS7_S7_PlSB_EESF_SV_SG_SH_SI_EUlSV_E0_NS1_11comp_targetILNS1_3genE8ELNS1_11target_archE1030ELNS1_3gpuE2ELNS1_3repE0EEENS1_38merge_mergepath_config_static_selectorELNS0_4arch9wavefront6targetE1EEEvSH_
    .private_segment_fixed_size: 0
    .sgpr_count:     4
    .sgpr_spill_count: 0
    .symbol:         _ZN7rocprim17ROCPRIM_400000_NS6detail17trampoline_kernelINS0_14default_configENS1_38merge_sort_block_merge_config_selectorIflEEZZNS1_27merge_sort_block_merge_implIS3_PfN6thrust23THRUST_200600_302600_NS10device_ptrIlEEjNS1_19radix_merge_compareILb0ELb0EfNS0_19identity_decomposerEEEEE10hipError_tT0_T1_T2_jT3_P12ihipStream_tbPNSt15iterator_traitsISG_E10value_typeEPNSM_ISH_E10value_typeEPSI_NS1_7vsmem_tEENKUlT_SG_SH_SI_E_clIS7_S7_PlSB_EESF_SV_SG_SH_SI_EUlSV_E0_NS1_11comp_targetILNS1_3genE8ELNS1_11target_archE1030ELNS1_3gpuE2ELNS1_3repE0EEENS1_38merge_mergepath_config_static_selectorELNS0_4arch9wavefront6targetE1EEEvSH_.kd
    .uniform_work_group_size: 1
    .uses_dynamic_stack: false
    .vgpr_count:     0
    .vgpr_spill_count: 0
    .wavefront_size: 64
  - .args:
      - .offset:         0
        .size:           48
        .value_kind:     by_value
    .group_segment_fixed_size: 0
    .kernarg_segment_align: 8
    .kernarg_segment_size: 48
    .language:       OpenCL C
    .language_version:
      - 2
      - 0
    .max_flat_workgroup_size: 256
    .name:           _ZN7rocprim17ROCPRIM_400000_NS6detail17trampoline_kernelINS0_14default_configENS1_38merge_sort_block_merge_config_selectorIflEEZZNS1_27merge_sort_block_merge_implIS3_PfN6thrust23THRUST_200600_302600_NS10device_ptrIlEEjNS1_19radix_merge_compareILb0ELb0EfNS0_19identity_decomposerEEEEE10hipError_tT0_T1_T2_jT3_P12ihipStream_tbPNSt15iterator_traitsISG_E10value_typeEPNSM_ISH_E10value_typeEPSI_NS1_7vsmem_tEENKUlT_SG_SH_SI_E_clIS7_S7_PlSB_EESF_SV_SG_SH_SI_EUlSV_E1_NS1_11comp_targetILNS1_3genE0ELNS1_11target_archE4294967295ELNS1_3gpuE0ELNS1_3repE0EEENS1_36merge_oddeven_config_static_selectorELNS0_4arch9wavefront6targetE1EEEvSH_
    .private_segment_fixed_size: 0
    .sgpr_count:     4
    .sgpr_spill_count: 0
    .symbol:         _ZN7rocprim17ROCPRIM_400000_NS6detail17trampoline_kernelINS0_14default_configENS1_38merge_sort_block_merge_config_selectorIflEEZZNS1_27merge_sort_block_merge_implIS3_PfN6thrust23THRUST_200600_302600_NS10device_ptrIlEEjNS1_19radix_merge_compareILb0ELb0EfNS0_19identity_decomposerEEEEE10hipError_tT0_T1_T2_jT3_P12ihipStream_tbPNSt15iterator_traitsISG_E10value_typeEPNSM_ISH_E10value_typeEPSI_NS1_7vsmem_tEENKUlT_SG_SH_SI_E_clIS7_S7_PlSB_EESF_SV_SG_SH_SI_EUlSV_E1_NS1_11comp_targetILNS1_3genE0ELNS1_11target_archE4294967295ELNS1_3gpuE0ELNS1_3repE0EEENS1_36merge_oddeven_config_static_selectorELNS0_4arch9wavefront6targetE1EEEvSH_.kd
    .uniform_work_group_size: 1
    .uses_dynamic_stack: false
    .vgpr_count:     0
    .vgpr_spill_count: 0
    .wavefront_size: 64
  - .args:
      - .offset:         0
        .size:           48
        .value_kind:     by_value
    .group_segment_fixed_size: 0
    .kernarg_segment_align: 8
    .kernarg_segment_size: 48
    .language:       OpenCL C
    .language_version:
      - 2
      - 0
    .max_flat_workgroup_size: 256
    .name:           _ZN7rocprim17ROCPRIM_400000_NS6detail17trampoline_kernelINS0_14default_configENS1_38merge_sort_block_merge_config_selectorIflEEZZNS1_27merge_sort_block_merge_implIS3_PfN6thrust23THRUST_200600_302600_NS10device_ptrIlEEjNS1_19radix_merge_compareILb0ELb0EfNS0_19identity_decomposerEEEEE10hipError_tT0_T1_T2_jT3_P12ihipStream_tbPNSt15iterator_traitsISG_E10value_typeEPNSM_ISH_E10value_typeEPSI_NS1_7vsmem_tEENKUlT_SG_SH_SI_E_clIS7_S7_PlSB_EESF_SV_SG_SH_SI_EUlSV_E1_NS1_11comp_targetILNS1_3genE10ELNS1_11target_archE1201ELNS1_3gpuE5ELNS1_3repE0EEENS1_36merge_oddeven_config_static_selectorELNS0_4arch9wavefront6targetE1EEEvSH_
    .private_segment_fixed_size: 0
    .sgpr_count:     4
    .sgpr_spill_count: 0
    .symbol:         _ZN7rocprim17ROCPRIM_400000_NS6detail17trampoline_kernelINS0_14default_configENS1_38merge_sort_block_merge_config_selectorIflEEZZNS1_27merge_sort_block_merge_implIS3_PfN6thrust23THRUST_200600_302600_NS10device_ptrIlEEjNS1_19radix_merge_compareILb0ELb0EfNS0_19identity_decomposerEEEEE10hipError_tT0_T1_T2_jT3_P12ihipStream_tbPNSt15iterator_traitsISG_E10value_typeEPNSM_ISH_E10value_typeEPSI_NS1_7vsmem_tEENKUlT_SG_SH_SI_E_clIS7_S7_PlSB_EESF_SV_SG_SH_SI_EUlSV_E1_NS1_11comp_targetILNS1_3genE10ELNS1_11target_archE1201ELNS1_3gpuE5ELNS1_3repE0EEENS1_36merge_oddeven_config_static_selectorELNS0_4arch9wavefront6targetE1EEEvSH_.kd
    .uniform_work_group_size: 1
    .uses_dynamic_stack: false
    .vgpr_count:     0
    .vgpr_spill_count: 0
    .wavefront_size: 64
  - .args:
      - .offset:         0
        .size:           48
        .value_kind:     by_value
    .group_segment_fixed_size: 0
    .kernarg_segment_align: 8
    .kernarg_segment_size: 48
    .language:       OpenCL C
    .language_version:
      - 2
      - 0
    .max_flat_workgroup_size: 256
    .name:           _ZN7rocprim17ROCPRIM_400000_NS6detail17trampoline_kernelINS0_14default_configENS1_38merge_sort_block_merge_config_selectorIflEEZZNS1_27merge_sort_block_merge_implIS3_PfN6thrust23THRUST_200600_302600_NS10device_ptrIlEEjNS1_19radix_merge_compareILb0ELb0EfNS0_19identity_decomposerEEEEE10hipError_tT0_T1_T2_jT3_P12ihipStream_tbPNSt15iterator_traitsISG_E10value_typeEPNSM_ISH_E10value_typeEPSI_NS1_7vsmem_tEENKUlT_SG_SH_SI_E_clIS7_S7_PlSB_EESF_SV_SG_SH_SI_EUlSV_E1_NS1_11comp_targetILNS1_3genE5ELNS1_11target_archE942ELNS1_3gpuE9ELNS1_3repE0EEENS1_36merge_oddeven_config_static_selectorELNS0_4arch9wavefront6targetE1EEEvSH_
    .private_segment_fixed_size: 0
    .sgpr_count:     4
    .sgpr_spill_count: 0
    .symbol:         _ZN7rocprim17ROCPRIM_400000_NS6detail17trampoline_kernelINS0_14default_configENS1_38merge_sort_block_merge_config_selectorIflEEZZNS1_27merge_sort_block_merge_implIS3_PfN6thrust23THRUST_200600_302600_NS10device_ptrIlEEjNS1_19radix_merge_compareILb0ELb0EfNS0_19identity_decomposerEEEEE10hipError_tT0_T1_T2_jT3_P12ihipStream_tbPNSt15iterator_traitsISG_E10value_typeEPNSM_ISH_E10value_typeEPSI_NS1_7vsmem_tEENKUlT_SG_SH_SI_E_clIS7_S7_PlSB_EESF_SV_SG_SH_SI_EUlSV_E1_NS1_11comp_targetILNS1_3genE5ELNS1_11target_archE942ELNS1_3gpuE9ELNS1_3repE0EEENS1_36merge_oddeven_config_static_selectorELNS0_4arch9wavefront6targetE1EEEvSH_.kd
    .uniform_work_group_size: 1
    .uses_dynamic_stack: false
    .vgpr_count:     0
    .vgpr_spill_count: 0
    .wavefront_size: 64
  - .args:
      - .offset:         0
        .size:           48
        .value_kind:     by_value
    .group_segment_fixed_size: 0
    .kernarg_segment_align: 8
    .kernarg_segment_size: 48
    .language:       OpenCL C
    .language_version:
      - 2
      - 0
    .max_flat_workgroup_size: 256
    .name:           _ZN7rocprim17ROCPRIM_400000_NS6detail17trampoline_kernelINS0_14default_configENS1_38merge_sort_block_merge_config_selectorIflEEZZNS1_27merge_sort_block_merge_implIS3_PfN6thrust23THRUST_200600_302600_NS10device_ptrIlEEjNS1_19radix_merge_compareILb0ELb0EfNS0_19identity_decomposerEEEEE10hipError_tT0_T1_T2_jT3_P12ihipStream_tbPNSt15iterator_traitsISG_E10value_typeEPNSM_ISH_E10value_typeEPSI_NS1_7vsmem_tEENKUlT_SG_SH_SI_E_clIS7_S7_PlSB_EESF_SV_SG_SH_SI_EUlSV_E1_NS1_11comp_targetILNS1_3genE4ELNS1_11target_archE910ELNS1_3gpuE8ELNS1_3repE0EEENS1_36merge_oddeven_config_static_selectorELNS0_4arch9wavefront6targetE1EEEvSH_
    .private_segment_fixed_size: 0
    .sgpr_count:     4
    .sgpr_spill_count: 0
    .symbol:         _ZN7rocprim17ROCPRIM_400000_NS6detail17trampoline_kernelINS0_14default_configENS1_38merge_sort_block_merge_config_selectorIflEEZZNS1_27merge_sort_block_merge_implIS3_PfN6thrust23THRUST_200600_302600_NS10device_ptrIlEEjNS1_19radix_merge_compareILb0ELb0EfNS0_19identity_decomposerEEEEE10hipError_tT0_T1_T2_jT3_P12ihipStream_tbPNSt15iterator_traitsISG_E10value_typeEPNSM_ISH_E10value_typeEPSI_NS1_7vsmem_tEENKUlT_SG_SH_SI_E_clIS7_S7_PlSB_EESF_SV_SG_SH_SI_EUlSV_E1_NS1_11comp_targetILNS1_3genE4ELNS1_11target_archE910ELNS1_3gpuE8ELNS1_3repE0EEENS1_36merge_oddeven_config_static_selectorELNS0_4arch9wavefront6targetE1EEEvSH_.kd
    .uniform_work_group_size: 1
    .uses_dynamic_stack: false
    .vgpr_count:     0
    .vgpr_spill_count: 0
    .wavefront_size: 64
  - .args:
      - .offset:         0
        .size:           48
        .value_kind:     by_value
    .group_segment_fixed_size: 0
    .kernarg_segment_align: 8
    .kernarg_segment_size: 48
    .language:       OpenCL C
    .language_version:
      - 2
      - 0
    .max_flat_workgroup_size: 256
    .name:           _ZN7rocprim17ROCPRIM_400000_NS6detail17trampoline_kernelINS0_14default_configENS1_38merge_sort_block_merge_config_selectorIflEEZZNS1_27merge_sort_block_merge_implIS3_PfN6thrust23THRUST_200600_302600_NS10device_ptrIlEEjNS1_19radix_merge_compareILb0ELb0EfNS0_19identity_decomposerEEEEE10hipError_tT0_T1_T2_jT3_P12ihipStream_tbPNSt15iterator_traitsISG_E10value_typeEPNSM_ISH_E10value_typeEPSI_NS1_7vsmem_tEENKUlT_SG_SH_SI_E_clIS7_S7_PlSB_EESF_SV_SG_SH_SI_EUlSV_E1_NS1_11comp_targetILNS1_3genE3ELNS1_11target_archE908ELNS1_3gpuE7ELNS1_3repE0EEENS1_36merge_oddeven_config_static_selectorELNS0_4arch9wavefront6targetE1EEEvSH_
    .private_segment_fixed_size: 0
    .sgpr_count:     4
    .sgpr_spill_count: 0
    .symbol:         _ZN7rocprim17ROCPRIM_400000_NS6detail17trampoline_kernelINS0_14default_configENS1_38merge_sort_block_merge_config_selectorIflEEZZNS1_27merge_sort_block_merge_implIS3_PfN6thrust23THRUST_200600_302600_NS10device_ptrIlEEjNS1_19radix_merge_compareILb0ELb0EfNS0_19identity_decomposerEEEEE10hipError_tT0_T1_T2_jT3_P12ihipStream_tbPNSt15iterator_traitsISG_E10value_typeEPNSM_ISH_E10value_typeEPSI_NS1_7vsmem_tEENKUlT_SG_SH_SI_E_clIS7_S7_PlSB_EESF_SV_SG_SH_SI_EUlSV_E1_NS1_11comp_targetILNS1_3genE3ELNS1_11target_archE908ELNS1_3gpuE7ELNS1_3repE0EEENS1_36merge_oddeven_config_static_selectorELNS0_4arch9wavefront6targetE1EEEvSH_.kd
    .uniform_work_group_size: 1
    .uses_dynamic_stack: false
    .vgpr_count:     0
    .vgpr_spill_count: 0
    .wavefront_size: 64
  - .args:
      - .offset:         0
        .size:           48
        .value_kind:     by_value
    .group_segment_fixed_size: 0
    .kernarg_segment_align: 8
    .kernarg_segment_size: 48
    .language:       OpenCL C
    .language_version:
      - 2
      - 0
    .max_flat_workgroup_size: 256
    .name:           _ZN7rocprim17ROCPRIM_400000_NS6detail17trampoline_kernelINS0_14default_configENS1_38merge_sort_block_merge_config_selectorIflEEZZNS1_27merge_sort_block_merge_implIS3_PfN6thrust23THRUST_200600_302600_NS10device_ptrIlEEjNS1_19radix_merge_compareILb0ELb0EfNS0_19identity_decomposerEEEEE10hipError_tT0_T1_T2_jT3_P12ihipStream_tbPNSt15iterator_traitsISG_E10value_typeEPNSM_ISH_E10value_typeEPSI_NS1_7vsmem_tEENKUlT_SG_SH_SI_E_clIS7_S7_PlSB_EESF_SV_SG_SH_SI_EUlSV_E1_NS1_11comp_targetILNS1_3genE2ELNS1_11target_archE906ELNS1_3gpuE6ELNS1_3repE0EEENS1_36merge_oddeven_config_static_selectorELNS0_4arch9wavefront6targetE1EEEvSH_
    .private_segment_fixed_size: 0
    .sgpr_count:     26
    .sgpr_spill_count: 0
    .symbol:         _ZN7rocprim17ROCPRIM_400000_NS6detail17trampoline_kernelINS0_14default_configENS1_38merge_sort_block_merge_config_selectorIflEEZZNS1_27merge_sort_block_merge_implIS3_PfN6thrust23THRUST_200600_302600_NS10device_ptrIlEEjNS1_19radix_merge_compareILb0ELb0EfNS0_19identity_decomposerEEEEE10hipError_tT0_T1_T2_jT3_P12ihipStream_tbPNSt15iterator_traitsISG_E10value_typeEPNSM_ISH_E10value_typeEPSI_NS1_7vsmem_tEENKUlT_SG_SH_SI_E_clIS7_S7_PlSB_EESF_SV_SG_SH_SI_EUlSV_E1_NS1_11comp_targetILNS1_3genE2ELNS1_11target_archE906ELNS1_3gpuE6ELNS1_3repE0EEENS1_36merge_oddeven_config_static_selectorELNS0_4arch9wavefront6targetE1EEEvSH_.kd
    .uniform_work_group_size: 1
    .uses_dynamic_stack: false
    .vgpr_count:     13
    .vgpr_spill_count: 0
    .wavefront_size: 64
  - .args:
      - .offset:         0
        .size:           48
        .value_kind:     by_value
    .group_segment_fixed_size: 0
    .kernarg_segment_align: 8
    .kernarg_segment_size: 48
    .language:       OpenCL C
    .language_version:
      - 2
      - 0
    .max_flat_workgroup_size: 256
    .name:           _ZN7rocprim17ROCPRIM_400000_NS6detail17trampoline_kernelINS0_14default_configENS1_38merge_sort_block_merge_config_selectorIflEEZZNS1_27merge_sort_block_merge_implIS3_PfN6thrust23THRUST_200600_302600_NS10device_ptrIlEEjNS1_19radix_merge_compareILb0ELb0EfNS0_19identity_decomposerEEEEE10hipError_tT0_T1_T2_jT3_P12ihipStream_tbPNSt15iterator_traitsISG_E10value_typeEPNSM_ISH_E10value_typeEPSI_NS1_7vsmem_tEENKUlT_SG_SH_SI_E_clIS7_S7_PlSB_EESF_SV_SG_SH_SI_EUlSV_E1_NS1_11comp_targetILNS1_3genE9ELNS1_11target_archE1100ELNS1_3gpuE3ELNS1_3repE0EEENS1_36merge_oddeven_config_static_selectorELNS0_4arch9wavefront6targetE1EEEvSH_
    .private_segment_fixed_size: 0
    .sgpr_count:     4
    .sgpr_spill_count: 0
    .symbol:         _ZN7rocprim17ROCPRIM_400000_NS6detail17trampoline_kernelINS0_14default_configENS1_38merge_sort_block_merge_config_selectorIflEEZZNS1_27merge_sort_block_merge_implIS3_PfN6thrust23THRUST_200600_302600_NS10device_ptrIlEEjNS1_19radix_merge_compareILb0ELb0EfNS0_19identity_decomposerEEEEE10hipError_tT0_T1_T2_jT3_P12ihipStream_tbPNSt15iterator_traitsISG_E10value_typeEPNSM_ISH_E10value_typeEPSI_NS1_7vsmem_tEENKUlT_SG_SH_SI_E_clIS7_S7_PlSB_EESF_SV_SG_SH_SI_EUlSV_E1_NS1_11comp_targetILNS1_3genE9ELNS1_11target_archE1100ELNS1_3gpuE3ELNS1_3repE0EEENS1_36merge_oddeven_config_static_selectorELNS0_4arch9wavefront6targetE1EEEvSH_.kd
    .uniform_work_group_size: 1
    .uses_dynamic_stack: false
    .vgpr_count:     0
    .vgpr_spill_count: 0
    .wavefront_size: 64
  - .args:
      - .offset:         0
        .size:           48
        .value_kind:     by_value
    .group_segment_fixed_size: 0
    .kernarg_segment_align: 8
    .kernarg_segment_size: 48
    .language:       OpenCL C
    .language_version:
      - 2
      - 0
    .max_flat_workgroup_size: 256
    .name:           _ZN7rocprim17ROCPRIM_400000_NS6detail17trampoline_kernelINS0_14default_configENS1_38merge_sort_block_merge_config_selectorIflEEZZNS1_27merge_sort_block_merge_implIS3_PfN6thrust23THRUST_200600_302600_NS10device_ptrIlEEjNS1_19radix_merge_compareILb0ELb0EfNS0_19identity_decomposerEEEEE10hipError_tT0_T1_T2_jT3_P12ihipStream_tbPNSt15iterator_traitsISG_E10value_typeEPNSM_ISH_E10value_typeEPSI_NS1_7vsmem_tEENKUlT_SG_SH_SI_E_clIS7_S7_PlSB_EESF_SV_SG_SH_SI_EUlSV_E1_NS1_11comp_targetILNS1_3genE8ELNS1_11target_archE1030ELNS1_3gpuE2ELNS1_3repE0EEENS1_36merge_oddeven_config_static_selectorELNS0_4arch9wavefront6targetE1EEEvSH_
    .private_segment_fixed_size: 0
    .sgpr_count:     4
    .sgpr_spill_count: 0
    .symbol:         _ZN7rocprim17ROCPRIM_400000_NS6detail17trampoline_kernelINS0_14default_configENS1_38merge_sort_block_merge_config_selectorIflEEZZNS1_27merge_sort_block_merge_implIS3_PfN6thrust23THRUST_200600_302600_NS10device_ptrIlEEjNS1_19radix_merge_compareILb0ELb0EfNS0_19identity_decomposerEEEEE10hipError_tT0_T1_T2_jT3_P12ihipStream_tbPNSt15iterator_traitsISG_E10value_typeEPNSM_ISH_E10value_typeEPSI_NS1_7vsmem_tEENKUlT_SG_SH_SI_E_clIS7_S7_PlSB_EESF_SV_SG_SH_SI_EUlSV_E1_NS1_11comp_targetILNS1_3genE8ELNS1_11target_archE1030ELNS1_3gpuE2ELNS1_3repE0EEENS1_36merge_oddeven_config_static_selectorELNS0_4arch9wavefront6targetE1EEEvSH_.kd
    .uniform_work_group_size: 1
    .uses_dynamic_stack: false
    .vgpr_count:     0
    .vgpr_spill_count: 0
    .wavefront_size: 64
  - .args:
      - .offset:         0
        .size:           40
        .value_kind:     by_value
    .group_segment_fixed_size: 0
    .kernarg_segment_align: 8
    .kernarg_segment_size: 40
    .language:       OpenCL C
    .language_version:
      - 2
      - 0
    .max_flat_workgroup_size: 128
    .name:           _ZN7rocprim17ROCPRIM_400000_NS6detail17trampoline_kernelINS0_14default_configENS1_38merge_sort_block_merge_config_selectorIflEEZZNS1_27merge_sort_block_merge_implIS3_PfN6thrust23THRUST_200600_302600_NS10device_ptrIlEEjNS1_19radix_merge_compareILb0ELb0EfNS0_19identity_decomposerEEEEE10hipError_tT0_T1_T2_jT3_P12ihipStream_tbPNSt15iterator_traitsISG_E10value_typeEPNSM_ISH_E10value_typeEPSI_NS1_7vsmem_tEENKUlT_SG_SH_SI_E_clIS7_S7_SB_PlEESF_SV_SG_SH_SI_EUlSV_E_NS1_11comp_targetILNS1_3genE0ELNS1_11target_archE4294967295ELNS1_3gpuE0ELNS1_3repE0EEENS1_48merge_mergepath_partition_config_static_selectorELNS0_4arch9wavefront6targetE1EEEvSH_
    .private_segment_fixed_size: 0
    .sgpr_count:     4
    .sgpr_spill_count: 0
    .symbol:         _ZN7rocprim17ROCPRIM_400000_NS6detail17trampoline_kernelINS0_14default_configENS1_38merge_sort_block_merge_config_selectorIflEEZZNS1_27merge_sort_block_merge_implIS3_PfN6thrust23THRUST_200600_302600_NS10device_ptrIlEEjNS1_19radix_merge_compareILb0ELb0EfNS0_19identity_decomposerEEEEE10hipError_tT0_T1_T2_jT3_P12ihipStream_tbPNSt15iterator_traitsISG_E10value_typeEPNSM_ISH_E10value_typeEPSI_NS1_7vsmem_tEENKUlT_SG_SH_SI_E_clIS7_S7_SB_PlEESF_SV_SG_SH_SI_EUlSV_E_NS1_11comp_targetILNS1_3genE0ELNS1_11target_archE4294967295ELNS1_3gpuE0ELNS1_3repE0EEENS1_48merge_mergepath_partition_config_static_selectorELNS0_4arch9wavefront6targetE1EEEvSH_.kd
    .uniform_work_group_size: 1
    .uses_dynamic_stack: false
    .vgpr_count:     0
    .vgpr_spill_count: 0
    .wavefront_size: 64
  - .args:
      - .offset:         0
        .size:           40
        .value_kind:     by_value
    .group_segment_fixed_size: 0
    .kernarg_segment_align: 8
    .kernarg_segment_size: 40
    .language:       OpenCL C
    .language_version:
      - 2
      - 0
    .max_flat_workgroup_size: 128
    .name:           _ZN7rocprim17ROCPRIM_400000_NS6detail17trampoline_kernelINS0_14default_configENS1_38merge_sort_block_merge_config_selectorIflEEZZNS1_27merge_sort_block_merge_implIS3_PfN6thrust23THRUST_200600_302600_NS10device_ptrIlEEjNS1_19radix_merge_compareILb0ELb0EfNS0_19identity_decomposerEEEEE10hipError_tT0_T1_T2_jT3_P12ihipStream_tbPNSt15iterator_traitsISG_E10value_typeEPNSM_ISH_E10value_typeEPSI_NS1_7vsmem_tEENKUlT_SG_SH_SI_E_clIS7_S7_SB_PlEESF_SV_SG_SH_SI_EUlSV_E_NS1_11comp_targetILNS1_3genE10ELNS1_11target_archE1201ELNS1_3gpuE5ELNS1_3repE0EEENS1_48merge_mergepath_partition_config_static_selectorELNS0_4arch9wavefront6targetE1EEEvSH_
    .private_segment_fixed_size: 0
    .sgpr_count:     4
    .sgpr_spill_count: 0
    .symbol:         _ZN7rocprim17ROCPRIM_400000_NS6detail17trampoline_kernelINS0_14default_configENS1_38merge_sort_block_merge_config_selectorIflEEZZNS1_27merge_sort_block_merge_implIS3_PfN6thrust23THRUST_200600_302600_NS10device_ptrIlEEjNS1_19radix_merge_compareILb0ELb0EfNS0_19identity_decomposerEEEEE10hipError_tT0_T1_T2_jT3_P12ihipStream_tbPNSt15iterator_traitsISG_E10value_typeEPNSM_ISH_E10value_typeEPSI_NS1_7vsmem_tEENKUlT_SG_SH_SI_E_clIS7_S7_SB_PlEESF_SV_SG_SH_SI_EUlSV_E_NS1_11comp_targetILNS1_3genE10ELNS1_11target_archE1201ELNS1_3gpuE5ELNS1_3repE0EEENS1_48merge_mergepath_partition_config_static_selectorELNS0_4arch9wavefront6targetE1EEEvSH_.kd
    .uniform_work_group_size: 1
    .uses_dynamic_stack: false
    .vgpr_count:     0
    .vgpr_spill_count: 0
    .wavefront_size: 64
  - .args:
      - .offset:         0
        .size:           40
        .value_kind:     by_value
    .group_segment_fixed_size: 0
    .kernarg_segment_align: 8
    .kernarg_segment_size: 40
    .language:       OpenCL C
    .language_version:
      - 2
      - 0
    .max_flat_workgroup_size: 128
    .name:           _ZN7rocprim17ROCPRIM_400000_NS6detail17trampoline_kernelINS0_14default_configENS1_38merge_sort_block_merge_config_selectorIflEEZZNS1_27merge_sort_block_merge_implIS3_PfN6thrust23THRUST_200600_302600_NS10device_ptrIlEEjNS1_19radix_merge_compareILb0ELb0EfNS0_19identity_decomposerEEEEE10hipError_tT0_T1_T2_jT3_P12ihipStream_tbPNSt15iterator_traitsISG_E10value_typeEPNSM_ISH_E10value_typeEPSI_NS1_7vsmem_tEENKUlT_SG_SH_SI_E_clIS7_S7_SB_PlEESF_SV_SG_SH_SI_EUlSV_E_NS1_11comp_targetILNS1_3genE5ELNS1_11target_archE942ELNS1_3gpuE9ELNS1_3repE0EEENS1_48merge_mergepath_partition_config_static_selectorELNS0_4arch9wavefront6targetE1EEEvSH_
    .private_segment_fixed_size: 0
    .sgpr_count:     4
    .sgpr_spill_count: 0
    .symbol:         _ZN7rocprim17ROCPRIM_400000_NS6detail17trampoline_kernelINS0_14default_configENS1_38merge_sort_block_merge_config_selectorIflEEZZNS1_27merge_sort_block_merge_implIS3_PfN6thrust23THRUST_200600_302600_NS10device_ptrIlEEjNS1_19radix_merge_compareILb0ELb0EfNS0_19identity_decomposerEEEEE10hipError_tT0_T1_T2_jT3_P12ihipStream_tbPNSt15iterator_traitsISG_E10value_typeEPNSM_ISH_E10value_typeEPSI_NS1_7vsmem_tEENKUlT_SG_SH_SI_E_clIS7_S7_SB_PlEESF_SV_SG_SH_SI_EUlSV_E_NS1_11comp_targetILNS1_3genE5ELNS1_11target_archE942ELNS1_3gpuE9ELNS1_3repE0EEENS1_48merge_mergepath_partition_config_static_selectorELNS0_4arch9wavefront6targetE1EEEvSH_.kd
    .uniform_work_group_size: 1
    .uses_dynamic_stack: false
    .vgpr_count:     0
    .vgpr_spill_count: 0
    .wavefront_size: 64
  - .args:
      - .offset:         0
        .size:           40
        .value_kind:     by_value
    .group_segment_fixed_size: 0
    .kernarg_segment_align: 8
    .kernarg_segment_size: 40
    .language:       OpenCL C
    .language_version:
      - 2
      - 0
    .max_flat_workgroup_size: 128
    .name:           _ZN7rocprim17ROCPRIM_400000_NS6detail17trampoline_kernelINS0_14default_configENS1_38merge_sort_block_merge_config_selectorIflEEZZNS1_27merge_sort_block_merge_implIS3_PfN6thrust23THRUST_200600_302600_NS10device_ptrIlEEjNS1_19radix_merge_compareILb0ELb0EfNS0_19identity_decomposerEEEEE10hipError_tT0_T1_T2_jT3_P12ihipStream_tbPNSt15iterator_traitsISG_E10value_typeEPNSM_ISH_E10value_typeEPSI_NS1_7vsmem_tEENKUlT_SG_SH_SI_E_clIS7_S7_SB_PlEESF_SV_SG_SH_SI_EUlSV_E_NS1_11comp_targetILNS1_3genE4ELNS1_11target_archE910ELNS1_3gpuE8ELNS1_3repE0EEENS1_48merge_mergepath_partition_config_static_selectorELNS0_4arch9wavefront6targetE1EEEvSH_
    .private_segment_fixed_size: 0
    .sgpr_count:     4
    .sgpr_spill_count: 0
    .symbol:         _ZN7rocprim17ROCPRIM_400000_NS6detail17trampoline_kernelINS0_14default_configENS1_38merge_sort_block_merge_config_selectorIflEEZZNS1_27merge_sort_block_merge_implIS3_PfN6thrust23THRUST_200600_302600_NS10device_ptrIlEEjNS1_19radix_merge_compareILb0ELb0EfNS0_19identity_decomposerEEEEE10hipError_tT0_T1_T2_jT3_P12ihipStream_tbPNSt15iterator_traitsISG_E10value_typeEPNSM_ISH_E10value_typeEPSI_NS1_7vsmem_tEENKUlT_SG_SH_SI_E_clIS7_S7_SB_PlEESF_SV_SG_SH_SI_EUlSV_E_NS1_11comp_targetILNS1_3genE4ELNS1_11target_archE910ELNS1_3gpuE8ELNS1_3repE0EEENS1_48merge_mergepath_partition_config_static_selectorELNS0_4arch9wavefront6targetE1EEEvSH_.kd
    .uniform_work_group_size: 1
    .uses_dynamic_stack: false
    .vgpr_count:     0
    .vgpr_spill_count: 0
    .wavefront_size: 64
  - .args:
      - .offset:         0
        .size:           40
        .value_kind:     by_value
    .group_segment_fixed_size: 0
    .kernarg_segment_align: 8
    .kernarg_segment_size: 40
    .language:       OpenCL C
    .language_version:
      - 2
      - 0
    .max_flat_workgroup_size: 128
    .name:           _ZN7rocprim17ROCPRIM_400000_NS6detail17trampoline_kernelINS0_14default_configENS1_38merge_sort_block_merge_config_selectorIflEEZZNS1_27merge_sort_block_merge_implIS3_PfN6thrust23THRUST_200600_302600_NS10device_ptrIlEEjNS1_19radix_merge_compareILb0ELb0EfNS0_19identity_decomposerEEEEE10hipError_tT0_T1_T2_jT3_P12ihipStream_tbPNSt15iterator_traitsISG_E10value_typeEPNSM_ISH_E10value_typeEPSI_NS1_7vsmem_tEENKUlT_SG_SH_SI_E_clIS7_S7_SB_PlEESF_SV_SG_SH_SI_EUlSV_E_NS1_11comp_targetILNS1_3genE3ELNS1_11target_archE908ELNS1_3gpuE7ELNS1_3repE0EEENS1_48merge_mergepath_partition_config_static_selectorELNS0_4arch9wavefront6targetE1EEEvSH_
    .private_segment_fixed_size: 0
    .sgpr_count:     4
    .sgpr_spill_count: 0
    .symbol:         _ZN7rocprim17ROCPRIM_400000_NS6detail17trampoline_kernelINS0_14default_configENS1_38merge_sort_block_merge_config_selectorIflEEZZNS1_27merge_sort_block_merge_implIS3_PfN6thrust23THRUST_200600_302600_NS10device_ptrIlEEjNS1_19radix_merge_compareILb0ELb0EfNS0_19identity_decomposerEEEEE10hipError_tT0_T1_T2_jT3_P12ihipStream_tbPNSt15iterator_traitsISG_E10value_typeEPNSM_ISH_E10value_typeEPSI_NS1_7vsmem_tEENKUlT_SG_SH_SI_E_clIS7_S7_SB_PlEESF_SV_SG_SH_SI_EUlSV_E_NS1_11comp_targetILNS1_3genE3ELNS1_11target_archE908ELNS1_3gpuE7ELNS1_3repE0EEENS1_48merge_mergepath_partition_config_static_selectorELNS0_4arch9wavefront6targetE1EEEvSH_.kd
    .uniform_work_group_size: 1
    .uses_dynamic_stack: false
    .vgpr_count:     0
    .vgpr_spill_count: 0
    .wavefront_size: 64
  - .args:
      - .offset:         0
        .size:           40
        .value_kind:     by_value
    .group_segment_fixed_size: 0
    .kernarg_segment_align: 8
    .kernarg_segment_size: 40
    .language:       OpenCL C
    .language_version:
      - 2
      - 0
    .max_flat_workgroup_size: 128
    .name:           _ZN7rocprim17ROCPRIM_400000_NS6detail17trampoline_kernelINS0_14default_configENS1_38merge_sort_block_merge_config_selectorIflEEZZNS1_27merge_sort_block_merge_implIS3_PfN6thrust23THRUST_200600_302600_NS10device_ptrIlEEjNS1_19radix_merge_compareILb0ELb0EfNS0_19identity_decomposerEEEEE10hipError_tT0_T1_T2_jT3_P12ihipStream_tbPNSt15iterator_traitsISG_E10value_typeEPNSM_ISH_E10value_typeEPSI_NS1_7vsmem_tEENKUlT_SG_SH_SI_E_clIS7_S7_SB_PlEESF_SV_SG_SH_SI_EUlSV_E_NS1_11comp_targetILNS1_3genE2ELNS1_11target_archE906ELNS1_3gpuE6ELNS1_3repE0EEENS1_48merge_mergepath_partition_config_static_selectorELNS0_4arch9wavefront6targetE1EEEvSH_
    .private_segment_fixed_size: 0
    .sgpr_count:     12
    .sgpr_spill_count: 0
    .symbol:         _ZN7rocprim17ROCPRIM_400000_NS6detail17trampoline_kernelINS0_14default_configENS1_38merge_sort_block_merge_config_selectorIflEEZZNS1_27merge_sort_block_merge_implIS3_PfN6thrust23THRUST_200600_302600_NS10device_ptrIlEEjNS1_19radix_merge_compareILb0ELb0EfNS0_19identity_decomposerEEEEE10hipError_tT0_T1_T2_jT3_P12ihipStream_tbPNSt15iterator_traitsISG_E10value_typeEPNSM_ISH_E10value_typeEPSI_NS1_7vsmem_tEENKUlT_SG_SH_SI_E_clIS7_S7_SB_PlEESF_SV_SG_SH_SI_EUlSV_E_NS1_11comp_targetILNS1_3genE2ELNS1_11target_archE906ELNS1_3gpuE6ELNS1_3repE0EEENS1_48merge_mergepath_partition_config_static_selectorELNS0_4arch9wavefront6targetE1EEEvSH_.kd
    .uniform_work_group_size: 1
    .uses_dynamic_stack: false
    .vgpr_count:     17
    .vgpr_spill_count: 0
    .wavefront_size: 64
  - .args:
      - .offset:         0
        .size:           40
        .value_kind:     by_value
    .group_segment_fixed_size: 0
    .kernarg_segment_align: 8
    .kernarg_segment_size: 40
    .language:       OpenCL C
    .language_version:
      - 2
      - 0
    .max_flat_workgroup_size: 128
    .name:           _ZN7rocprim17ROCPRIM_400000_NS6detail17trampoline_kernelINS0_14default_configENS1_38merge_sort_block_merge_config_selectorIflEEZZNS1_27merge_sort_block_merge_implIS3_PfN6thrust23THRUST_200600_302600_NS10device_ptrIlEEjNS1_19radix_merge_compareILb0ELb0EfNS0_19identity_decomposerEEEEE10hipError_tT0_T1_T2_jT3_P12ihipStream_tbPNSt15iterator_traitsISG_E10value_typeEPNSM_ISH_E10value_typeEPSI_NS1_7vsmem_tEENKUlT_SG_SH_SI_E_clIS7_S7_SB_PlEESF_SV_SG_SH_SI_EUlSV_E_NS1_11comp_targetILNS1_3genE9ELNS1_11target_archE1100ELNS1_3gpuE3ELNS1_3repE0EEENS1_48merge_mergepath_partition_config_static_selectorELNS0_4arch9wavefront6targetE1EEEvSH_
    .private_segment_fixed_size: 0
    .sgpr_count:     4
    .sgpr_spill_count: 0
    .symbol:         _ZN7rocprim17ROCPRIM_400000_NS6detail17trampoline_kernelINS0_14default_configENS1_38merge_sort_block_merge_config_selectorIflEEZZNS1_27merge_sort_block_merge_implIS3_PfN6thrust23THRUST_200600_302600_NS10device_ptrIlEEjNS1_19radix_merge_compareILb0ELb0EfNS0_19identity_decomposerEEEEE10hipError_tT0_T1_T2_jT3_P12ihipStream_tbPNSt15iterator_traitsISG_E10value_typeEPNSM_ISH_E10value_typeEPSI_NS1_7vsmem_tEENKUlT_SG_SH_SI_E_clIS7_S7_SB_PlEESF_SV_SG_SH_SI_EUlSV_E_NS1_11comp_targetILNS1_3genE9ELNS1_11target_archE1100ELNS1_3gpuE3ELNS1_3repE0EEENS1_48merge_mergepath_partition_config_static_selectorELNS0_4arch9wavefront6targetE1EEEvSH_.kd
    .uniform_work_group_size: 1
    .uses_dynamic_stack: false
    .vgpr_count:     0
    .vgpr_spill_count: 0
    .wavefront_size: 64
  - .args:
      - .offset:         0
        .size:           40
        .value_kind:     by_value
    .group_segment_fixed_size: 0
    .kernarg_segment_align: 8
    .kernarg_segment_size: 40
    .language:       OpenCL C
    .language_version:
      - 2
      - 0
    .max_flat_workgroup_size: 128
    .name:           _ZN7rocprim17ROCPRIM_400000_NS6detail17trampoline_kernelINS0_14default_configENS1_38merge_sort_block_merge_config_selectorIflEEZZNS1_27merge_sort_block_merge_implIS3_PfN6thrust23THRUST_200600_302600_NS10device_ptrIlEEjNS1_19radix_merge_compareILb0ELb0EfNS0_19identity_decomposerEEEEE10hipError_tT0_T1_T2_jT3_P12ihipStream_tbPNSt15iterator_traitsISG_E10value_typeEPNSM_ISH_E10value_typeEPSI_NS1_7vsmem_tEENKUlT_SG_SH_SI_E_clIS7_S7_SB_PlEESF_SV_SG_SH_SI_EUlSV_E_NS1_11comp_targetILNS1_3genE8ELNS1_11target_archE1030ELNS1_3gpuE2ELNS1_3repE0EEENS1_48merge_mergepath_partition_config_static_selectorELNS0_4arch9wavefront6targetE1EEEvSH_
    .private_segment_fixed_size: 0
    .sgpr_count:     4
    .sgpr_spill_count: 0
    .symbol:         _ZN7rocprim17ROCPRIM_400000_NS6detail17trampoline_kernelINS0_14default_configENS1_38merge_sort_block_merge_config_selectorIflEEZZNS1_27merge_sort_block_merge_implIS3_PfN6thrust23THRUST_200600_302600_NS10device_ptrIlEEjNS1_19radix_merge_compareILb0ELb0EfNS0_19identity_decomposerEEEEE10hipError_tT0_T1_T2_jT3_P12ihipStream_tbPNSt15iterator_traitsISG_E10value_typeEPNSM_ISH_E10value_typeEPSI_NS1_7vsmem_tEENKUlT_SG_SH_SI_E_clIS7_S7_SB_PlEESF_SV_SG_SH_SI_EUlSV_E_NS1_11comp_targetILNS1_3genE8ELNS1_11target_archE1030ELNS1_3gpuE2ELNS1_3repE0EEENS1_48merge_mergepath_partition_config_static_selectorELNS0_4arch9wavefront6targetE1EEEvSH_.kd
    .uniform_work_group_size: 1
    .uses_dynamic_stack: false
    .vgpr_count:     0
    .vgpr_spill_count: 0
    .wavefront_size: 64
  - .args:
      - .offset:         0
        .size:           64
        .value_kind:     by_value
    .group_segment_fixed_size: 0
    .kernarg_segment_align: 8
    .kernarg_segment_size: 64
    .language:       OpenCL C
    .language_version:
      - 2
      - 0
    .max_flat_workgroup_size: 512
    .name:           _ZN7rocprim17ROCPRIM_400000_NS6detail17trampoline_kernelINS0_14default_configENS1_38merge_sort_block_merge_config_selectorIflEEZZNS1_27merge_sort_block_merge_implIS3_PfN6thrust23THRUST_200600_302600_NS10device_ptrIlEEjNS1_19radix_merge_compareILb0ELb0EfNS0_19identity_decomposerEEEEE10hipError_tT0_T1_T2_jT3_P12ihipStream_tbPNSt15iterator_traitsISG_E10value_typeEPNSM_ISH_E10value_typeEPSI_NS1_7vsmem_tEENKUlT_SG_SH_SI_E_clIS7_S7_SB_PlEESF_SV_SG_SH_SI_EUlSV_E0_NS1_11comp_targetILNS1_3genE0ELNS1_11target_archE4294967295ELNS1_3gpuE0ELNS1_3repE0EEENS1_38merge_mergepath_config_static_selectorELNS0_4arch9wavefront6targetE1EEEvSH_
    .private_segment_fixed_size: 0
    .sgpr_count:     4
    .sgpr_spill_count: 0
    .symbol:         _ZN7rocprim17ROCPRIM_400000_NS6detail17trampoline_kernelINS0_14default_configENS1_38merge_sort_block_merge_config_selectorIflEEZZNS1_27merge_sort_block_merge_implIS3_PfN6thrust23THRUST_200600_302600_NS10device_ptrIlEEjNS1_19radix_merge_compareILb0ELb0EfNS0_19identity_decomposerEEEEE10hipError_tT0_T1_T2_jT3_P12ihipStream_tbPNSt15iterator_traitsISG_E10value_typeEPNSM_ISH_E10value_typeEPSI_NS1_7vsmem_tEENKUlT_SG_SH_SI_E_clIS7_S7_SB_PlEESF_SV_SG_SH_SI_EUlSV_E0_NS1_11comp_targetILNS1_3genE0ELNS1_11target_archE4294967295ELNS1_3gpuE0ELNS1_3repE0EEENS1_38merge_mergepath_config_static_selectorELNS0_4arch9wavefront6targetE1EEEvSH_.kd
    .uniform_work_group_size: 1
    .uses_dynamic_stack: false
    .vgpr_count:     0
    .vgpr_spill_count: 0
    .wavefront_size: 64
  - .args:
      - .offset:         0
        .size:           64
        .value_kind:     by_value
    .group_segment_fixed_size: 0
    .kernarg_segment_align: 8
    .kernarg_segment_size: 64
    .language:       OpenCL C
    .language_version:
      - 2
      - 0
    .max_flat_workgroup_size: 512
    .name:           _ZN7rocprim17ROCPRIM_400000_NS6detail17trampoline_kernelINS0_14default_configENS1_38merge_sort_block_merge_config_selectorIflEEZZNS1_27merge_sort_block_merge_implIS3_PfN6thrust23THRUST_200600_302600_NS10device_ptrIlEEjNS1_19radix_merge_compareILb0ELb0EfNS0_19identity_decomposerEEEEE10hipError_tT0_T1_T2_jT3_P12ihipStream_tbPNSt15iterator_traitsISG_E10value_typeEPNSM_ISH_E10value_typeEPSI_NS1_7vsmem_tEENKUlT_SG_SH_SI_E_clIS7_S7_SB_PlEESF_SV_SG_SH_SI_EUlSV_E0_NS1_11comp_targetILNS1_3genE10ELNS1_11target_archE1201ELNS1_3gpuE5ELNS1_3repE0EEENS1_38merge_mergepath_config_static_selectorELNS0_4arch9wavefront6targetE1EEEvSH_
    .private_segment_fixed_size: 0
    .sgpr_count:     4
    .sgpr_spill_count: 0
    .symbol:         _ZN7rocprim17ROCPRIM_400000_NS6detail17trampoline_kernelINS0_14default_configENS1_38merge_sort_block_merge_config_selectorIflEEZZNS1_27merge_sort_block_merge_implIS3_PfN6thrust23THRUST_200600_302600_NS10device_ptrIlEEjNS1_19radix_merge_compareILb0ELb0EfNS0_19identity_decomposerEEEEE10hipError_tT0_T1_T2_jT3_P12ihipStream_tbPNSt15iterator_traitsISG_E10value_typeEPNSM_ISH_E10value_typeEPSI_NS1_7vsmem_tEENKUlT_SG_SH_SI_E_clIS7_S7_SB_PlEESF_SV_SG_SH_SI_EUlSV_E0_NS1_11comp_targetILNS1_3genE10ELNS1_11target_archE1201ELNS1_3gpuE5ELNS1_3repE0EEENS1_38merge_mergepath_config_static_selectorELNS0_4arch9wavefront6targetE1EEEvSH_.kd
    .uniform_work_group_size: 1
    .uses_dynamic_stack: false
    .vgpr_count:     0
    .vgpr_spill_count: 0
    .wavefront_size: 64
  - .args:
      - .offset:         0
        .size:           64
        .value_kind:     by_value
    .group_segment_fixed_size: 0
    .kernarg_segment_align: 8
    .kernarg_segment_size: 64
    .language:       OpenCL C
    .language_version:
      - 2
      - 0
    .max_flat_workgroup_size: 128
    .name:           _ZN7rocprim17ROCPRIM_400000_NS6detail17trampoline_kernelINS0_14default_configENS1_38merge_sort_block_merge_config_selectorIflEEZZNS1_27merge_sort_block_merge_implIS3_PfN6thrust23THRUST_200600_302600_NS10device_ptrIlEEjNS1_19radix_merge_compareILb0ELb0EfNS0_19identity_decomposerEEEEE10hipError_tT0_T1_T2_jT3_P12ihipStream_tbPNSt15iterator_traitsISG_E10value_typeEPNSM_ISH_E10value_typeEPSI_NS1_7vsmem_tEENKUlT_SG_SH_SI_E_clIS7_S7_SB_PlEESF_SV_SG_SH_SI_EUlSV_E0_NS1_11comp_targetILNS1_3genE5ELNS1_11target_archE942ELNS1_3gpuE9ELNS1_3repE0EEENS1_38merge_mergepath_config_static_selectorELNS0_4arch9wavefront6targetE1EEEvSH_
    .private_segment_fixed_size: 0
    .sgpr_count:     4
    .sgpr_spill_count: 0
    .symbol:         _ZN7rocprim17ROCPRIM_400000_NS6detail17trampoline_kernelINS0_14default_configENS1_38merge_sort_block_merge_config_selectorIflEEZZNS1_27merge_sort_block_merge_implIS3_PfN6thrust23THRUST_200600_302600_NS10device_ptrIlEEjNS1_19radix_merge_compareILb0ELb0EfNS0_19identity_decomposerEEEEE10hipError_tT0_T1_T2_jT3_P12ihipStream_tbPNSt15iterator_traitsISG_E10value_typeEPNSM_ISH_E10value_typeEPSI_NS1_7vsmem_tEENKUlT_SG_SH_SI_E_clIS7_S7_SB_PlEESF_SV_SG_SH_SI_EUlSV_E0_NS1_11comp_targetILNS1_3genE5ELNS1_11target_archE942ELNS1_3gpuE9ELNS1_3repE0EEENS1_38merge_mergepath_config_static_selectorELNS0_4arch9wavefront6targetE1EEEvSH_.kd
    .uniform_work_group_size: 1
    .uses_dynamic_stack: false
    .vgpr_count:     0
    .vgpr_spill_count: 0
    .wavefront_size: 64
  - .args:
      - .offset:         0
        .size:           64
        .value_kind:     by_value
    .group_segment_fixed_size: 0
    .kernarg_segment_align: 8
    .kernarg_segment_size: 64
    .language:       OpenCL C
    .language_version:
      - 2
      - 0
    .max_flat_workgroup_size: 256
    .name:           _ZN7rocprim17ROCPRIM_400000_NS6detail17trampoline_kernelINS0_14default_configENS1_38merge_sort_block_merge_config_selectorIflEEZZNS1_27merge_sort_block_merge_implIS3_PfN6thrust23THRUST_200600_302600_NS10device_ptrIlEEjNS1_19radix_merge_compareILb0ELb0EfNS0_19identity_decomposerEEEEE10hipError_tT0_T1_T2_jT3_P12ihipStream_tbPNSt15iterator_traitsISG_E10value_typeEPNSM_ISH_E10value_typeEPSI_NS1_7vsmem_tEENKUlT_SG_SH_SI_E_clIS7_S7_SB_PlEESF_SV_SG_SH_SI_EUlSV_E0_NS1_11comp_targetILNS1_3genE4ELNS1_11target_archE910ELNS1_3gpuE8ELNS1_3repE0EEENS1_38merge_mergepath_config_static_selectorELNS0_4arch9wavefront6targetE1EEEvSH_
    .private_segment_fixed_size: 0
    .sgpr_count:     4
    .sgpr_spill_count: 0
    .symbol:         _ZN7rocprim17ROCPRIM_400000_NS6detail17trampoline_kernelINS0_14default_configENS1_38merge_sort_block_merge_config_selectorIflEEZZNS1_27merge_sort_block_merge_implIS3_PfN6thrust23THRUST_200600_302600_NS10device_ptrIlEEjNS1_19radix_merge_compareILb0ELb0EfNS0_19identity_decomposerEEEEE10hipError_tT0_T1_T2_jT3_P12ihipStream_tbPNSt15iterator_traitsISG_E10value_typeEPNSM_ISH_E10value_typeEPSI_NS1_7vsmem_tEENKUlT_SG_SH_SI_E_clIS7_S7_SB_PlEESF_SV_SG_SH_SI_EUlSV_E0_NS1_11comp_targetILNS1_3genE4ELNS1_11target_archE910ELNS1_3gpuE8ELNS1_3repE0EEENS1_38merge_mergepath_config_static_selectorELNS0_4arch9wavefront6targetE1EEEvSH_.kd
    .uniform_work_group_size: 1
    .uses_dynamic_stack: false
    .vgpr_count:     0
    .vgpr_spill_count: 0
    .wavefront_size: 64
  - .args:
      - .offset:         0
        .size:           64
        .value_kind:     by_value
    .group_segment_fixed_size: 0
    .kernarg_segment_align: 8
    .kernarg_segment_size: 64
    .language:       OpenCL C
    .language_version:
      - 2
      - 0
    .max_flat_workgroup_size: 512
    .name:           _ZN7rocprim17ROCPRIM_400000_NS6detail17trampoline_kernelINS0_14default_configENS1_38merge_sort_block_merge_config_selectorIflEEZZNS1_27merge_sort_block_merge_implIS3_PfN6thrust23THRUST_200600_302600_NS10device_ptrIlEEjNS1_19radix_merge_compareILb0ELb0EfNS0_19identity_decomposerEEEEE10hipError_tT0_T1_T2_jT3_P12ihipStream_tbPNSt15iterator_traitsISG_E10value_typeEPNSM_ISH_E10value_typeEPSI_NS1_7vsmem_tEENKUlT_SG_SH_SI_E_clIS7_S7_SB_PlEESF_SV_SG_SH_SI_EUlSV_E0_NS1_11comp_targetILNS1_3genE3ELNS1_11target_archE908ELNS1_3gpuE7ELNS1_3repE0EEENS1_38merge_mergepath_config_static_selectorELNS0_4arch9wavefront6targetE1EEEvSH_
    .private_segment_fixed_size: 0
    .sgpr_count:     4
    .sgpr_spill_count: 0
    .symbol:         _ZN7rocprim17ROCPRIM_400000_NS6detail17trampoline_kernelINS0_14default_configENS1_38merge_sort_block_merge_config_selectorIflEEZZNS1_27merge_sort_block_merge_implIS3_PfN6thrust23THRUST_200600_302600_NS10device_ptrIlEEjNS1_19radix_merge_compareILb0ELb0EfNS0_19identity_decomposerEEEEE10hipError_tT0_T1_T2_jT3_P12ihipStream_tbPNSt15iterator_traitsISG_E10value_typeEPNSM_ISH_E10value_typeEPSI_NS1_7vsmem_tEENKUlT_SG_SH_SI_E_clIS7_S7_SB_PlEESF_SV_SG_SH_SI_EUlSV_E0_NS1_11comp_targetILNS1_3genE3ELNS1_11target_archE908ELNS1_3gpuE7ELNS1_3repE0EEENS1_38merge_mergepath_config_static_selectorELNS0_4arch9wavefront6targetE1EEEvSH_.kd
    .uniform_work_group_size: 1
    .uses_dynamic_stack: false
    .vgpr_count:     0
    .vgpr_spill_count: 0
    .wavefront_size: 64
  - .args:
      - .offset:         0
        .size:           64
        .value_kind:     by_value
      - .offset:         64
        .size:           4
        .value_kind:     hidden_block_count_x
      - .offset:         68
        .size:           4
        .value_kind:     hidden_block_count_y
      - .offset:         72
        .size:           4
        .value_kind:     hidden_block_count_z
      - .offset:         76
        .size:           2
        .value_kind:     hidden_group_size_x
      - .offset:         78
        .size:           2
        .value_kind:     hidden_group_size_y
      - .offset:         80
        .size:           2
        .value_kind:     hidden_group_size_z
      - .offset:         82
        .size:           2
        .value_kind:     hidden_remainder_x
      - .offset:         84
        .size:           2
        .value_kind:     hidden_remainder_y
      - .offset:         86
        .size:           2
        .value_kind:     hidden_remainder_z
      - .offset:         104
        .size:           8
        .value_kind:     hidden_global_offset_x
      - .offset:         112
        .size:           8
        .value_kind:     hidden_global_offset_y
      - .offset:         120
        .size:           8
        .value_kind:     hidden_global_offset_z
      - .offset:         128
        .size:           2
        .value_kind:     hidden_grid_dims
    .group_segment_fixed_size: 8448
    .kernarg_segment_align: 8
    .kernarg_segment_size: 320
    .language:       OpenCL C
    .language_version:
      - 2
      - 0
    .max_flat_workgroup_size: 256
    .name:           _ZN7rocprim17ROCPRIM_400000_NS6detail17trampoline_kernelINS0_14default_configENS1_38merge_sort_block_merge_config_selectorIflEEZZNS1_27merge_sort_block_merge_implIS3_PfN6thrust23THRUST_200600_302600_NS10device_ptrIlEEjNS1_19radix_merge_compareILb0ELb0EfNS0_19identity_decomposerEEEEE10hipError_tT0_T1_T2_jT3_P12ihipStream_tbPNSt15iterator_traitsISG_E10value_typeEPNSM_ISH_E10value_typeEPSI_NS1_7vsmem_tEENKUlT_SG_SH_SI_E_clIS7_S7_SB_PlEESF_SV_SG_SH_SI_EUlSV_E0_NS1_11comp_targetILNS1_3genE2ELNS1_11target_archE906ELNS1_3gpuE6ELNS1_3repE0EEENS1_38merge_mergepath_config_static_selectorELNS0_4arch9wavefront6targetE1EEEvSH_
    .private_segment_fixed_size: 0
    .sgpr_count:     35
    .sgpr_spill_count: 0
    .symbol:         _ZN7rocprim17ROCPRIM_400000_NS6detail17trampoline_kernelINS0_14default_configENS1_38merge_sort_block_merge_config_selectorIflEEZZNS1_27merge_sort_block_merge_implIS3_PfN6thrust23THRUST_200600_302600_NS10device_ptrIlEEjNS1_19radix_merge_compareILb0ELb0EfNS0_19identity_decomposerEEEEE10hipError_tT0_T1_T2_jT3_P12ihipStream_tbPNSt15iterator_traitsISG_E10value_typeEPNSM_ISH_E10value_typeEPSI_NS1_7vsmem_tEENKUlT_SG_SH_SI_E_clIS7_S7_SB_PlEESF_SV_SG_SH_SI_EUlSV_E0_NS1_11comp_targetILNS1_3genE2ELNS1_11target_archE906ELNS1_3gpuE6ELNS1_3repE0EEENS1_38merge_mergepath_config_static_selectorELNS0_4arch9wavefront6targetE1EEEvSH_.kd
    .uniform_work_group_size: 1
    .uses_dynamic_stack: false
    .vgpr_count:     35
    .vgpr_spill_count: 0
    .wavefront_size: 64
  - .args:
      - .offset:         0
        .size:           64
        .value_kind:     by_value
    .group_segment_fixed_size: 0
    .kernarg_segment_align: 8
    .kernarg_segment_size: 64
    .language:       OpenCL C
    .language_version:
      - 2
      - 0
    .max_flat_workgroup_size: 512
    .name:           _ZN7rocprim17ROCPRIM_400000_NS6detail17trampoline_kernelINS0_14default_configENS1_38merge_sort_block_merge_config_selectorIflEEZZNS1_27merge_sort_block_merge_implIS3_PfN6thrust23THRUST_200600_302600_NS10device_ptrIlEEjNS1_19radix_merge_compareILb0ELb0EfNS0_19identity_decomposerEEEEE10hipError_tT0_T1_T2_jT3_P12ihipStream_tbPNSt15iterator_traitsISG_E10value_typeEPNSM_ISH_E10value_typeEPSI_NS1_7vsmem_tEENKUlT_SG_SH_SI_E_clIS7_S7_SB_PlEESF_SV_SG_SH_SI_EUlSV_E0_NS1_11comp_targetILNS1_3genE9ELNS1_11target_archE1100ELNS1_3gpuE3ELNS1_3repE0EEENS1_38merge_mergepath_config_static_selectorELNS0_4arch9wavefront6targetE1EEEvSH_
    .private_segment_fixed_size: 0
    .sgpr_count:     4
    .sgpr_spill_count: 0
    .symbol:         _ZN7rocprim17ROCPRIM_400000_NS6detail17trampoline_kernelINS0_14default_configENS1_38merge_sort_block_merge_config_selectorIflEEZZNS1_27merge_sort_block_merge_implIS3_PfN6thrust23THRUST_200600_302600_NS10device_ptrIlEEjNS1_19radix_merge_compareILb0ELb0EfNS0_19identity_decomposerEEEEE10hipError_tT0_T1_T2_jT3_P12ihipStream_tbPNSt15iterator_traitsISG_E10value_typeEPNSM_ISH_E10value_typeEPSI_NS1_7vsmem_tEENKUlT_SG_SH_SI_E_clIS7_S7_SB_PlEESF_SV_SG_SH_SI_EUlSV_E0_NS1_11comp_targetILNS1_3genE9ELNS1_11target_archE1100ELNS1_3gpuE3ELNS1_3repE0EEENS1_38merge_mergepath_config_static_selectorELNS0_4arch9wavefront6targetE1EEEvSH_.kd
    .uniform_work_group_size: 1
    .uses_dynamic_stack: false
    .vgpr_count:     0
    .vgpr_spill_count: 0
    .wavefront_size: 64
  - .args:
      - .offset:         0
        .size:           64
        .value_kind:     by_value
    .group_segment_fixed_size: 0
    .kernarg_segment_align: 8
    .kernarg_segment_size: 64
    .language:       OpenCL C
    .language_version:
      - 2
      - 0
    .max_flat_workgroup_size: 1024
    .name:           _ZN7rocprim17ROCPRIM_400000_NS6detail17trampoline_kernelINS0_14default_configENS1_38merge_sort_block_merge_config_selectorIflEEZZNS1_27merge_sort_block_merge_implIS3_PfN6thrust23THRUST_200600_302600_NS10device_ptrIlEEjNS1_19radix_merge_compareILb0ELb0EfNS0_19identity_decomposerEEEEE10hipError_tT0_T1_T2_jT3_P12ihipStream_tbPNSt15iterator_traitsISG_E10value_typeEPNSM_ISH_E10value_typeEPSI_NS1_7vsmem_tEENKUlT_SG_SH_SI_E_clIS7_S7_SB_PlEESF_SV_SG_SH_SI_EUlSV_E0_NS1_11comp_targetILNS1_3genE8ELNS1_11target_archE1030ELNS1_3gpuE2ELNS1_3repE0EEENS1_38merge_mergepath_config_static_selectorELNS0_4arch9wavefront6targetE1EEEvSH_
    .private_segment_fixed_size: 0
    .sgpr_count:     4
    .sgpr_spill_count: 0
    .symbol:         _ZN7rocprim17ROCPRIM_400000_NS6detail17trampoline_kernelINS0_14default_configENS1_38merge_sort_block_merge_config_selectorIflEEZZNS1_27merge_sort_block_merge_implIS3_PfN6thrust23THRUST_200600_302600_NS10device_ptrIlEEjNS1_19radix_merge_compareILb0ELb0EfNS0_19identity_decomposerEEEEE10hipError_tT0_T1_T2_jT3_P12ihipStream_tbPNSt15iterator_traitsISG_E10value_typeEPNSM_ISH_E10value_typeEPSI_NS1_7vsmem_tEENKUlT_SG_SH_SI_E_clIS7_S7_SB_PlEESF_SV_SG_SH_SI_EUlSV_E0_NS1_11comp_targetILNS1_3genE8ELNS1_11target_archE1030ELNS1_3gpuE2ELNS1_3repE0EEENS1_38merge_mergepath_config_static_selectorELNS0_4arch9wavefront6targetE1EEEvSH_.kd
    .uniform_work_group_size: 1
    .uses_dynamic_stack: false
    .vgpr_count:     0
    .vgpr_spill_count: 0
    .wavefront_size: 64
  - .args:
      - .offset:         0
        .size:           48
        .value_kind:     by_value
    .group_segment_fixed_size: 0
    .kernarg_segment_align: 8
    .kernarg_segment_size: 48
    .language:       OpenCL C
    .language_version:
      - 2
      - 0
    .max_flat_workgroup_size: 256
    .name:           _ZN7rocprim17ROCPRIM_400000_NS6detail17trampoline_kernelINS0_14default_configENS1_38merge_sort_block_merge_config_selectorIflEEZZNS1_27merge_sort_block_merge_implIS3_PfN6thrust23THRUST_200600_302600_NS10device_ptrIlEEjNS1_19radix_merge_compareILb0ELb0EfNS0_19identity_decomposerEEEEE10hipError_tT0_T1_T2_jT3_P12ihipStream_tbPNSt15iterator_traitsISG_E10value_typeEPNSM_ISH_E10value_typeEPSI_NS1_7vsmem_tEENKUlT_SG_SH_SI_E_clIS7_S7_SB_PlEESF_SV_SG_SH_SI_EUlSV_E1_NS1_11comp_targetILNS1_3genE0ELNS1_11target_archE4294967295ELNS1_3gpuE0ELNS1_3repE0EEENS1_36merge_oddeven_config_static_selectorELNS0_4arch9wavefront6targetE1EEEvSH_
    .private_segment_fixed_size: 0
    .sgpr_count:     4
    .sgpr_spill_count: 0
    .symbol:         _ZN7rocprim17ROCPRIM_400000_NS6detail17trampoline_kernelINS0_14default_configENS1_38merge_sort_block_merge_config_selectorIflEEZZNS1_27merge_sort_block_merge_implIS3_PfN6thrust23THRUST_200600_302600_NS10device_ptrIlEEjNS1_19radix_merge_compareILb0ELb0EfNS0_19identity_decomposerEEEEE10hipError_tT0_T1_T2_jT3_P12ihipStream_tbPNSt15iterator_traitsISG_E10value_typeEPNSM_ISH_E10value_typeEPSI_NS1_7vsmem_tEENKUlT_SG_SH_SI_E_clIS7_S7_SB_PlEESF_SV_SG_SH_SI_EUlSV_E1_NS1_11comp_targetILNS1_3genE0ELNS1_11target_archE4294967295ELNS1_3gpuE0ELNS1_3repE0EEENS1_36merge_oddeven_config_static_selectorELNS0_4arch9wavefront6targetE1EEEvSH_.kd
    .uniform_work_group_size: 1
    .uses_dynamic_stack: false
    .vgpr_count:     0
    .vgpr_spill_count: 0
    .wavefront_size: 64
  - .args:
      - .offset:         0
        .size:           48
        .value_kind:     by_value
    .group_segment_fixed_size: 0
    .kernarg_segment_align: 8
    .kernarg_segment_size: 48
    .language:       OpenCL C
    .language_version:
      - 2
      - 0
    .max_flat_workgroup_size: 256
    .name:           _ZN7rocprim17ROCPRIM_400000_NS6detail17trampoline_kernelINS0_14default_configENS1_38merge_sort_block_merge_config_selectorIflEEZZNS1_27merge_sort_block_merge_implIS3_PfN6thrust23THRUST_200600_302600_NS10device_ptrIlEEjNS1_19radix_merge_compareILb0ELb0EfNS0_19identity_decomposerEEEEE10hipError_tT0_T1_T2_jT3_P12ihipStream_tbPNSt15iterator_traitsISG_E10value_typeEPNSM_ISH_E10value_typeEPSI_NS1_7vsmem_tEENKUlT_SG_SH_SI_E_clIS7_S7_SB_PlEESF_SV_SG_SH_SI_EUlSV_E1_NS1_11comp_targetILNS1_3genE10ELNS1_11target_archE1201ELNS1_3gpuE5ELNS1_3repE0EEENS1_36merge_oddeven_config_static_selectorELNS0_4arch9wavefront6targetE1EEEvSH_
    .private_segment_fixed_size: 0
    .sgpr_count:     4
    .sgpr_spill_count: 0
    .symbol:         _ZN7rocprim17ROCPRIM_400000_NS6detail17trampoline_kernelINS0_14default_configENS1_38merge_sort_block_merge_config_selectorIflEEZZNS1_27merge_sort_block_merge_implIS3_PfN6thrust23THRUST_200600_302600_NS10device_ptrIlEEjNS1_19radix_merge_compareILb0ELb0EfNS0_19identity_decomposerEEEEE10hipError_tT0_T1_T2_jT3_P12ihipStream_tbPNSt15iterator_traitsISG_E10value_typeEPNSM_ISH_E10value_typeEPSI_NS1_7vsmem_tEENKUlT_SG_SH_SI_E_clIS7_S7_SB_PlEESF_SV_SG_SH_SI_EUlSV_E1_NS1_11comp_targetILNS1_3genE10ELNS1_11target_archE1201ELNS1_3gpuE5ELNS1_3repE0EEENS1_36merge_oddeven_config_static_selectorELNS0_4arch9wavefront6targetE1EEEvSH_.kd
    .uniform_work_group_size: 1
    .uses_dynamic_stack: false
    .vgpr_count:     0
    .vgpr_spill_count: 0
    .wavefront_size: 64
  - .args:
      - .offset:         0
        .size:           48
        .value_kind:     by_value
    .group_segment_fixed_size: 0
    .kernarg_segment_align: 8
    .kernarg_segment_size: 48
    .language:       OpenCL C
    .language_version:
      - 2
      - 0
    .max_flat_workgroup_size: 256
    .name:           _ZN7rocprim17ROCPRIM_400000_NS6detail17trampoline_kernelINS0_14default_configENS1_38merge_sort_block_merge_config_selectorIflEEZZNS1_27merge_sort_block_merge_implIS3_PfN6thrust23THRUST_200600_302600_NS10device_ptrIlEEjNS1_19radix_merge_compareILb0ELb0EfNS0_19identity_decomposerEEEEE10hipError_tT0_T1_T2_jT3_P12ihipStream_tbPNSt15iterator_traitsISG_E10value_typeEPNSM_ISH_E10value_typeEPSI_NS1_7vsmem_tEENKUlT_SG_SH_SI_E_clIS7_S7_SB_PlEESF_SV_SG_SH_SI_EUlSV_E1_NS1_11comp_targetILNS1_3genE5ELNS1_11target_archE942ELNS1_3gpuE9ELNS1_3repE0EEENS1_36merge_oddeven_config_static_selectorELNS0_4arch9wavefront6targetE1EEEvSH_
    .private_segment_fixed_size: 0
    .sgpr_count:     4
    .sgpr_spill_count: 0
    .symbol:         _ZN7rocprim17ROCPRIM_400000_NS6detail17trampoline_kernelINS0_14default_configENS1_38merge_sort_block_merge_config_selectorIflEEZZNS1_27merge_sort_block_merge_implIS3_PfN6thrust23THRUST_200600_302600_NS10device_ptrIlEEjNS1_19radix_merge_compareILb0ELb0EfNS0_19identity_decomposerEEEEE10hipError_tT0_T1_T2_jT3_P12ihipStream_tbPNSt15iterator_traitsISG_E10value_typeEPNSM_ISH_E10value_typeEPSI_NS1_7vsmem_tEENKUlT_SG_SH_SI_E_clIS7_S7_SB_PlEESF_SV_SG_SH_SI_EUlSV_E1_NS1_11comp_targetILNS1_3genE5ELNS1_11target_archE942ELNS1_3gpuE9ELNS1_3repE0EEENS1_36merge_oddeven_config_static_selectorELNS0_4arch9wavefront6targetE1EEEvSH_.kd
    .uniform_work_group_size: 1
    .uses_dynamic_stack: false
    .vgpr_count:     0
    .vgpr_spill_count: 0
    .wavefront_size: 64
  - .args:
      - .offset:         0
        .size:           48
        .value_kind:     by_value
    .group_segment_fixed_size: 0
    .kernarg_segment_align: 8
    .kernarg_segment_size: 48
    .language:       OpenCL C
    .language_version:
      - 2
      - 0
    .max_flat_workgroup_size: 256
    .name:           _ZN7rocprim17ROCPRIM_400000_NS6detail17trampoline_kernelINS0_14default_configENS1_38merge_sort_block_merge_config_selectorIflEEZZNS1_27merge_sort_block_merge_implIS3_PfN6thrust23THRUST_200600_302600_NS10device_ptrIlEEjNS1_19radix_merge_compareILb0ELb0EfNS0_19identity_decomposerEEEEE10hipError_tT0_T1_T2_jT3_P12ihipStream_tbPNSt15iterator_traitsISG_E10value_typeEPNSM_ISH_E10value_typeEPSI_NS1_7vsmem_tEENKUlT_SG_SH_SI_E_clIS7_S7_SB_PlEESF_SV_SG_SH_SI_EUlSV_E1_NS1_11comp_targetILNS1_3genE4ELNS1_11target_archE910ELNS1_3gpuE8ELNS1_3repE0EEENS1_36merge_oddeven_config_static_selectorELNS0_4arch9wavefront6targetE1EEEvSH_
    .private_segment_fixed_size: 0
    .sgpr_count:     4
    .sgpr_spill_count: 0
    .symbol:         _ZN7rocprim17ROCPRIM_400000_NS6detail17trampoline_kernelINS0_14default_configENS1_38merge_sort_block_merge_config_selectorIflEEZZNS1_27merge_sort_block_merge_implIS3_PfN6thrust23THRUST_200600_302600_NS10device_ptrIlEEjNS1_19radix_merge_compareILb0ELb0EfNS0_19identity_decomposerEEEEE10hipError_tT0_T1_T2_jT3_P12ihipStream_tbPNSt15iterator_traitsISG_E10value_typeEPNSM_ISH_E10value_typeEPSI_NS1_7vsmem_tEENKUlT_SG_SH_SI_E_clIS7_S7_SB_PlEESF_SV_SG_SH_SI_EUlSV_E1_NS1_11comp_targetILNS1_3genE4ELNS1_11target_archE910ELNS1_3gpuE8ELNS1_3repE0EEENS1_36merge_oddeven_config_static_selectorELNS0_4arch9wavefront6targetE1EEEvSH_.kd
    .uniform_work_group_size: 1
    .uses_dynamic_stack: false
    .vgpr_count:     0
    .vgpr_spill_count: 0
    .wavefront_size: 64
  - .args:
      - .offset:         0
        .size:           48
        .value_kind:     by_value
    .group_segment_fixed_size: 0
    .kernarg_segment_align: 8
    .kernarg_segment_size: 48
    .language:       OpenCL C
    .language_version:
      - 2
      - 0
    .max_flat_workgroup_size: 256
    .name:           _ZN7rocprim17ROCPRIM_400000_NS6detail17trampoline_kernelINS0_14default_configENS1_38merge_sort_block_merge_config_selectorIflEEZZNS1_27merge_sort_block_merge_implIS3_PfN6thrust23THRUST_200600_302600_NS10device_ptrIlEEjNS1_19radix_merge_compareILb0ELb0EfNS0_19identity_decomposerEEEEE10hipError_tT0_T1_T2_jT3_P12ihipStream_tbPNSt15iterator_traitsISG_E10value_typeEPNSM_ISH_E10value_typeEPSI_NS1_7vsmem_tEENKUlT_SG_SH_SI_E_clIS7_S7_SB_PlEESF_SV_SG_SH_SI_EUlSV_E1_NS1_11comp_targetILNS1_3genE3ELNS1_11target_archE908ELNS1_3gpuE7ELNS1_3repE0EEENS1_36merge_oddeven_config_static_selectorELNS0_4arch9wavefront6targetE1EEEvSH_
    .private_segment_fixed_size: 0
    .sgpr_count:     4
    .sgpr_spill_count: 0
    .symbol:         _ZN7rocprim17ROCPRIM_400000_NS6detail17trampoline_kernelINS0_14default_configENS1_38merge_sort_block_merge_config_selectorIflEEZZNS1_27merge_sort_block_merge_implIS3_PfN6thrust23THRUST_200600_302600_NS10device_ptrIlEEjNS1_19radix_merge_compareILb0ELb0EfNS0_19identity_decomposerEEEEE10hipError_tT0_T1_T2_jT3_P12ihipStream_tbPNSt15iterator_traitsISG_E10value_typeEPNSM_ISH_E10value_typeEPSI_NS1_7vsmem_tEENKUlT_SG_SH_SI_E_clIS7_S7_SB_PlEESF_SV_SG_SH_SI_EUlSV_E1_NS1_11comp_targetILNS1_3genE3ELNS1_11target_archE908ELNS1_3gpuE7ELNS1_3repE0EEENS1_36merge_oddeven_config_static_selectorELNS0_4arch9wavefront6targetE1EEEvSH_.kd
    .uniform_work_group_size: 1
    .uses_dynamic_stack: false
    .vgpr_count:     0
    .vgpr_spill_count: 0
    .wavefront_size: 64
  - .args:
      - .offset:         0
        .size:           48
        .value_kind:     by_value
    .group_segment_fixed_size: 0
    .kernarg_segment_align: 8
    .kernarg_segment_size: 48
    .language:       OpenCL C
    .language_version:
      - 2
      - 0
    .max_flat_workgroup_size: 256
    .name:           _ZN7rocprim17ROCPRIM_400000_NS6detail17trampoline_kernelINS0_14default_configENS1_38merge_sort_block_merge_config_selectorIflEEZZNS1_27merge_sort_block_merge_implIS3_PfN6thrust23THRUST_200600_302600_NS10device_ptrIlEEjNS1_19radix_merge_compareILb0ELb0EfNS0_19identity_decomposerEEEEE10hipError_tT0_T1_T2_jT3_P12ihipStream_tbPNSt15iterator_traitsISG_E10value_typeEPNSM_ISH_E10value_typeEPSI_NS1_7vsmem_tEENKUlT_SG_SH_SI_E_clIS7_S7_SB_PlEESF_SV_SG_SH_SI_EUlSV_E1_NS1_11comp_targetILNS1_3genE2ELNS1_11target_archE906ELNS1_3gpuE6ELNS1_3repE0EEENS1_36merge_oddeven_config_static_selectorELNS0_4arch9wavefront6targetE1EEEvSH_
    .private_segment_fixed_size: 0
    .sgpr_count:     26
    .sgpr_spill_count: 0
    .symbol:         _ZN7rocprim17ROCPRIM_400000_NS6detail17trampoline_kernelINS0_14default_configENS1_38merge_sort_block_merge_config_selectorIflEEZZNS1_27merge_sort_block_merge_implIS3_PfN6thrust23THRUST_200600_302600_NS10device_ptrIlEEjNS1_19radix_merge_compareILb0ELb0EfNS0_19identity_decomposerEEEEE10hipError_tT0_T1_T2_jT3_P12ihipStream_tbPNSt15iterator_traitsISG_E10value_typeEPNSM_ISH_E10value_typeEPSI_NS1_7vsmem_tEENKUlT_SG_SH_SI_E_clIS7_S7_SB_PlEESF_SV_SG_SH_SI_EUlSV_E1_NS1_11comp_targetILNS1_3genE2ELNS1_11target_archE906ELNS1_3gpuE6ELNS1_3repE0EEENS1_36merge_oddeven_config_static_selectorELNS0_4arch9wavefront6targetE1EEEvSH_.kd
    .uniform_work_group_size: 1
    .uses_dynamic_stack: false
    .vgpr_count:     13
    .vgpr_spill_count: 0
    .wavefront_size: 64
  - .args:
      - .offset:         0
        .size:           48
        .value_kind:     by_value
    .group_segment_fixed_size: 0
    .kernarg_segment_align: 8
    .kernarg_segment_size: 48
    .language:       OpenCL C
    .language_version:
      - 2
      - 0
    .max_flat_workgroup_size: 256
    .name:           _ZN7rocprim17ROCPRIM_400000_NS6detail17trampoline_kernelINS0_14default_configENS1_38merge_sort_block_merge_config_selectorIflEEZZNS1_27merge_sort_block_merge_implIS3_PfN6thrust23THRUST_200600_302600_NS10device_ptrIlEEjNS1_19radix_merge_compareILb0ELb0EfNS0_19identity_decomposerEEEEE10hipError_tT0_T1_T2_jT3_P12ihipStream_tbPNSt15iterator_traitsISG_E10value_typeEPNSM_ISH_E10value_typeEPSI_NS1_7vsmem_tEENKUlT_SG_SH_SI_E_clIS7_S7_SB_PlEESF_SV_SG_SH_SI_EUlSV_E1_NS1_11comp_targetILNS1_3genE9ELNS1_11target_archE1100ELNS1_3gpuE3ELNS1_3repE0EEENS1_36merge_oddeven_config_static_selectorELNS0_4arch9wavefront6targetE1EEEvSH_
    .private_segment_fixed_size: 0
    .sgpr_count:     4
    .sgpr_spill_count: 0
    .symbol:         _ZN7rocprim17ROCPRIM_400000_NS6detail17trampoline_kernelINS0_14default_configENS1_38merge_sort_block_merge_config_selectorIflEEZZNS1_27merge_sort_block_merge_implIS3_PfN6thrust23THRUST_200600_302600_NS10device_ptrIlEEjNS1_19radix_merge_compareILb0ELb0EfNS0_19identity_decomposerEEEEE10hipError_tT0_T1_T2_jT3_P12ihipStream_tbPNSt15iterator_traitsISG_E10value_typeEPNSM_ISH_E10value_typeEPSI_NS1_7vsmem_tEENKUlT_SG_SH_SI_E_clIS7_S7_SB_PlEESF_SV_SG_SH_SI_EUlSV_E1_NS1_11comp_targetILNS1_3genE9ELNS1_11target_archE1100ELNS1_3gpuE3ELNS1_3repE0EEENS1_36merge_oddeven_config_static_selectorELNS0_4arch9wavefront6targetE1EEEvSH_.kd
    .uniform_work_group_size: 1
    .uses_dynamic_stack: false
    .vgpr_count:     0
    .vgpr_spill_count: 0
    .wavefront_size: 64
  - .args:
      - .offset:         0
        .size:           48
        .value_kind:     by_value
    .group_segment_fixed_size: 0
    .kernarg_segment_align: 8
    .kernarg_segment_size: 48
    .language:       OpenCL C
    .language_version:
      - 2
      - 0
    .max_flat_workgroup_size: 256
    .name:           _ZN7rocprim17ROCPRIM_400000_NS6detail17trampoline_kernelINS0_14default_configENS1_38merge_sort_block_merge_config_selectorIflEEZZNS1_27merge_sort_block_merge_implIS3_PfN6thrust23THRUST_200600_302600_NS10device_ptrIlEEjNS1_19radix_merge_compareILb0ELb0EfNS0_19identity_decomposerEEEEE10hipError_tT0_T1_T2_jT3_P12ihipStream_tbPNSt15iterator_traitsISG_E10value_typeEPNSM_ISH_E10value_typeEPSI_NS1_7vsmem_tEENKUlT_SG_SH_SI_E_clIS7_S7_SB_PlEESF_SV_SG_SH_SI_EUlSV_E1_NS1_11comp_targetILNS1_3genE8ELNS1_11target_archE1030ELNS1_3gpuE2ELNS1_3repE0EEENS1_36merge_oddeven_config_static_selectorELNS0_4arch9wavefront6targetE1EEEvSH_
    .private_segment_fixed_size: 0
    .sgpr_count:     4
    .sgpr_spill_count: 0
    .symbol:         _ZN7rocprim17ROCPRIM_400000_NS6detail17trampoline_kernelINS0_14default_configENS1_38merge_sort_block_merge_config_selectorIflEEZZNS1_27merge_sort_block_merge_implIS3_PfN6thrust23THRUST_200600_302600_NS10device_ptrIlEEjNS1_19radix_merge_compareILb0ELb0EfNS0_19identity_decomposerEEEEE10hipError_tT0_T1_T2_jT3_P12ihipStream_tbPNSt15iterator_traitsISG_E10value_typeEPNSM_ISH_E10value_typeEPSI_NS1_7vsmem_tEENKUlT_SG_SH_SI_E_clIS7_S7_SB_PlEESF_SV_SG_SH_SI_EUlSV_E1_NS1_11comp_targetILNS1_3genE8ELNS1_11target_archE1030ELNS1_3gpuE2ELNS1_3repE0EEENS1_36merge_oddeven_config_static_selectorELNS0_4arch9wavefront6targetE1EEEvSH_.kd
    .uniform_work_group_size: 1
    .uses_dynamic_stack: false
    .vgpr_count:     0
    .vgpr_spill_count: 0
    .wavefront_size: 64
  - .args:
      - .offset:         0
        .size:           40
        .value_kind:     by_value
    .group_segment_fixed_size: 0
    .kernarg_segment_align: 8
    .kernarg_segment_size: 40
    .language:       OpenCL C
    .language_version:
      - 2
      - 0
    .max_flat_workgroup_size: 128
    .name:           _ZN7rocprim17ROCPRIM_400000_NS6detail17trampoline_kernelINS0_14default_configENS1_25transform_config_selectorIfLb1EEEZNS1_14transform_implILb1ES3_S5_PfS7_NS0_8identityIfEEEE10hipError_tT2_T3_mT4_P12ihipStream_tbEUlT_E_NS1_11comp_targetILNS1_3genE0ELNS1_11target_archE4294967295ELNS1_3gpuE0ELNS1_3repE0EEENS1_30default_config_static_selectorELNS0_4arch9wavefront6targetE1EEEvT1_
    .private_segment_fixed_size: 0
    .sgpr_count:     4
    .sgpr_spill_count: 0
    .symbol:         _ZN7rocprim17ROCPRIM_400000_NS6detail17trampoline_kernelINS0_14default_configENS1_25transform_config_selectorIfLb1EEEZNS1_14transform_implILb1ES3_S5_PfS7_NS0_8identityIfEEEE10hipError_tT2_T3_mT4_P12ihipStream_tbEUlT_E_NS1_11comp_targetILNS1_3genE0ELNS1_11target_archE4294967295ELNS1_3gpuE0ELNS1_3repE0EEENS1_30default_config_static_selectorELNS0_4arch9wavefront6targetE1EEEvT1_.kd
    .uniform_work_group_size: 1
    .uses_dynamic_stack: false
    .vgpr_count:     0
    .vgpr_spill_count: 0
    .wavefront_size: 64
  - .args:
      - .offset:         0
        .size:           40
        .value_kind:     by_value
    .group_segment_fixed_size: 0
    .kernarg_segment_align: 8
    .kernarg_segment_size: 40
    .language:       OpenCL C
    .language_version:
      - 2
      - 0
    .max_flat_workgroup_size: 1024
    .name:           _ZN7rocprim17ROCPRIM_400000_NS6detail17trampoline_kernelINS0_14default_configENS1_25transform_config_selectorIfLb1EEEZNS1_14transform_implILb1ES3_S5_PfS7_NS0_8identityIfEEEE10hipError_tT2_T3_mT4_P12ihipStream_tbEUlT_E_NS1_11comp_targetILNS1_3genE10ELNS1_11target_archE1201ELNS1_3gpuE5ELNS1_3repE0EEENS1_30default_config_static_selectorELNS0_4arch9wavefront6targetE1EEEvT1_
    .private_segment_fixed_size: 0
    .sgpr_count:     4
    .sgpr_spill_count: 0
    .symbol:         _ZN7rocprim17ROCPRIM_400000_NS6detail17trampoline_kernelINS0_14default_configENS1_25transform_config_selectorIfLb1EEEZNS1_14transform_implILb1ES3_S5_PfS7_NS0_8identityIfEEEE10hipError_tT2_T3_mT4_P12ihipStream_tbEUlT_E_NS1_11comp_targetILNS1_3genE10ELNS1_11target_archE1201ELNS1_3gpuE5ELNS1_3repE0EEENS1_30default_config_static_selectorELNS0_4arch9wavefront6targetE1EEEvT1_.kd
    .uniform_work_group_size: 1
    .uses_dynamic_stack: false
    .vgpr_count:     0
    .vgpr_spill_count: 0
    .wavefront_size: 64
  - .args:
      - .offset:         0
        .size:           40
        .value_kind:     by_value
    .group_segment_fixed_size: 0
    .kernarg_segment_align: 8
    .kernarg_segment_size: 40
    .language:       OpenCL C
    .language_version:
      - 2
      - 0
    .max_flat_workgroup_size: 256
    .name:           _ZN7rocprim17ROCPRIM_400000_NS6detail17trampoline_kernelINS0_14default_configENS1_25transform_config_selectorIfLb1EEEZNS1_14transform_implILb1ES3_S5_PfS7_NS0_8identityIfEEEE10hipError_tT2_T3_mT4_P12ihipStream_tbEUlT_E_NS1_11comp_targetILNS1_3genE5ELNS1_11target_archE942ELNS1_3gpuE9ELNS1_3repE0EEENS1_30default_config_static_selectorELNS0_4arch9wavefront6targetE1EEEvT1_
    .private_segment_fixed_size: 0
    .sgpr_count:     4
    .sgpr_spill_count: 0
    .symbol:         _ZN7rocprim17ROCPRIM_400000_NS6detail17trampoline_kernelINS0_14default_configENS1_25transform_config_selectorIfLb1EEEZNS1_14transform_implILb1ES3_S5_PfS7_NS0_8identityIfEEEE10hipError_tT2_T3_mT4_P12ihipStream_tbEUlT_E_NS1_11comp_targetILNS1_3genE5ELNS1_11target_archE942ELNS1_3gpuE9ELNS1_3repE0EEENS1_30default_config_static_selectorELNS0_4arch9wavefront6targetE1EEEvT1_.kd
    .uniform_work_group_size: 1
    .uses_dynamic_stack: false
    .vgpr_count:     0
    .vgpr_spill_count: 0
    .wavefront_size: 64
  - .args:
      - .offset:         0
        .size:           40
        .value_kind:     by_value
    .group_segment_fixed_size: 0
    .kernarg_segment_align: 8
    .kernarg_segment_size: 40
    .language:       OpenCL C
    .language_version:
      - 2
      - 0
    .max_flat_workgroup_size: 1024
    .name:           _ZN7rocprim17ROCPRIM_400000_NS6detail17trampoline_kernelINS0_14default_configENS1_25transform_config_selectorIfLb1EEEZNS1_14transform_implILb1ES3_S5_PfS7_NS0_8identityIfEEEE10hipError_tT2_T3_mT4_P12ihipStream_tbEUlT_E_NS1_11comp_targetILNS1_3genE4ELNS1_11target_archE910ELNS1_3gpuE8ELNS1_3repE0EEENS1_30default_config_static_selectorELNS0_4arch9wavefront6targetE1EEEvT1_
    .private_segment_fixed_size: 0
    .sgpr_count:     4
    .sgpr_spill_count: 0
    .symbol:         _ZN7rocprim17ROCPRIM_400000_NS6detail17trampoline_kernelINS0_14default_configENS1_25transform_config_selectorIfLb1EEEZNS1_14transform_implILb1ES3_S5_PfS7_NS0_8identityIfEEEE10hipError_tT2_T3_mT4_P12ihipStream_tbEUlT_E_NS1_11comp_targetILNS1_3genE4ELNS1_11target_archE910ELNS1_3gpuE8ELNS1_3repE0EEENS1_30default_config_static_selectorELNS0_4arch9wavefront6targetE1EEEvT1_.kd
    .uniform_work_group_size: 1
    .uses_dynamic_stack: false
    .vgpr_count:     0
    .vgpr_spill_count: 0
    .wavefront_size: 64
  - .args:
      - .offset:         0
        .size:           40
        .value_kind:     by_value
    .group_segment_fixed_size: 0
    .kernarg_segment_align: 8
    .kernarg_segment_size: 40
    .language:       OpenCL C
    .language_version:
      - 2
      - 0
    .max_flat_workgroup_size: 128
    .name:           _ZN7rocprim17ROCPRIM_400000_NS6detail17trampoline_kernelINS0_14default_configENS1_25transform_config_selectorIfLb1EEEZNS1_14transform_implILb1ES3_S5_PfS7_NS0_8identityIfEEEE10hipError_tT2_T3_mT4_P12ihipStream_tbEUlT_E_NS1_11comp_targetILNS1_3genE3ELNS1_11target_archE908ELNS1_3gpuE7ELNS1_3repE0EEENS1_30default_config_static_selectorELNS0_4arch9wavefront6targetE1EEEvT1_
    .private_segment_fixed_size: 0
    .sgpr_count:     4
    .sgpr_spill_count: 0
    .symbol:         _ZN7rocprim17ROCPRIM_400000_NS6detail17trampoline_kernelINS0_14default_configENS1_25transform_config_selectorIfLb1EEEZNS1_14transform_implILb1ES3_S5_PfS7_NS0_8identityIfEEEE10hipError_tT2_T3_mT4_P12ihipStream_tbEUlT_E_NS1_11comp_targetILNS1_3genE3ELNS1_11target_archE908ELNS1_3gpuE7ELNS1_3repE0EEENS1_30default_config_static_selectorELNS0_4arch9wavefront6targetE1EEEvT1_.kd
    .uniform_work_group_size: 1
    .uses_dynamic_stack: false
    .vgpr_count:     0
    .vgpr_spill_count: 0
    .wavefront_size: 64
  - .args:
      - .offset:         0
        .size:           40
        .value_kind:     by_value
      - .offset:         40
        .size:           4
        .value_kind:     hidden_block_count_x
      - .offset:         44
        .size:           4
        .value_kind:     hidden_block_count_y
      - .offset:         48
        .size:           4
        .value_kind:     hidden_block_count_z
      - .offset:         52
        .size:           2
        .value_kind:     hidden_group_size_x
      - .offset:         54
        .size:           2
        .value_kind:     hidden_group_size_y
      - .offset:         56
        .size:           2
        .value_kind:     hidden_group_size_z
      - .offset:         58
        .size:           2
        .value_kind:     hidden_remainder_x
      - .offset:         60
        .size:           2
        .value_kind:     hidden_remainder_y
      - .offset:         62
        .size:           2
        .value_kind:     hidden_remainder_z
      - .offset:         80
        .size:           8
        .value_kind:     hidden_global_offset_x
      - .offset:         88
        .size:           8
        .value_kind:     hidden_global_offset_y
      - .offset:         96
        .size:           8
        .value_kind:     hidden_global_offset_z
      - .offset:         104
        .size:           2
        .value_kind:     hidden_grid_dims
    .group_segment_fixed_size: 0
    .kernarg_segment_align: 8
    .kernarg_segment_size: 296
    .language:       OpenCL C
    .language_version:
      - 2
      - 0
    .max_flat_workgroup_size: 1024
    .name:           _ZN7rocprim17ROCPRIM_400000_NS6detail17trampoline_kernelINS0_14default_configENS1_25transform_config_selectorIfLb1EEEZNS1_14transform_implILb1ES3_S5_PfS7_NS0_8identityIfEEEE10hipError_tT2_T3_mT4_P12ihipStream_tbEUlT_E_NS1_11comp_targetILNS1_3genE2ELNS1_11target_archE906ELNS1_3gpuE6ELNS1_3repE0EEENS1_30default_config_static_selectorELNS0_4arch9wavefront6targetE1EEEvT1_
    .private_segment_fixed_size: 0
    .sgpr_count:     20
    .sgpr_spill_count: 0
    .symbol:         _ZN7rocprim17ROCPRIM_400000_NS6detail17trampoline_kernelINS0_14default_configENS1_25transform_config_selectorIfLb1EEEZNS1_14transform_implILb1ES3_S5_PfS7_NS0_8identityIfEEEE10hipError_tT2_T3_mT4_P12ihipStream_tbEUlT_E_NS1_11comp_targetILNS1_3genE2ELNS1_11target_archE906ELNS1_3gpuE6ELNS1_3repE0EEENS1_30default_config_static_selectorELNS0_4arch9wavefront6targetE1EEEvT1_.kd
    .uniform_work_group_size: 1
    .uses_dynamic_stack: false
    .vgpr_count:     10
    .vgpr_spill_count: 0
    .wavefront_size: 64
  - .args:
      - .offset:         0
        .size:           40
        .value_kind:     by_value
    .group_segment_fixed_size: 0
    .kernarg_segment_align: 8
    .kernarg_segment_size: 40
    .language:       OpenCL C
    .language_version:
      - 2
      - 0
    .max_flat_workgroup_size: 1024
    .name:           _ZN7rocprim17ROCPRIM_400000_NS6detail17trampoline_kernelINS0_14default_configENS1_25transform_config_selectorIfLb1EEEZNS1_14transform_implILb1ES3_S5_PfS7_NS0_8identityIfEEEE10hipError_tT2_T3_mT4_P12ihipStream_tbEUlT_E_NS1_11comp_targetILNS1_3genE9ELNS1_11target_archE1100ELNS1_3gpuE3ELNS1_3repE0EEENS1_30default_config_static_selectorELNS0_4arch9wavefront6targetE1EEEvT1_
    .private_segment_fixed_size: 0
    .sgpr_count:     4
    .sgpr_spill_count: 0
    .symbol:         _ZN7rocprim17ROCPRIM_400000_NS6detail17trampoline_kernelINS0_14default_configENS1_25transform_config_selectorIfLb1EEEZNS1_14transform_implILb1ES3_S5_PfS7_NS0_8identityIfEEEE10hipError_tT2_T3_mT4_P12ihipStream_tbEUlT_E_NS1_11comp_targetILNS1_3genE9ELNS1_11target_archE1100ELNS1_3gpuE3ELNS1_3repE0EEENS1_30default_config_static_selectorELNS0_4arch9wavefront6targetE1EEEvT1_.kd
    .uniform_work_group_size: 1
    .uses_dynamic_stack: false
    .vgpr_count:     0
    .vgpr_spill_count: 0
    .wavefront_size: 64
  - .args:
      - .offset:         0
        .size:           40
        .value_kind:     by_value
    .group_segment_fixed_size: 0
    .kernarg_segment_align: 8
    .kernarg_segment_size: 40
    .language:       OpenCL C
    .language_version:
      - 2
      - 0
    .max_flat_workgroup_size: 1024
    .name:           _ZN7rocprim17ROCPRIM_400000_NS6detail17trampoline_kernelINS0_14default_configENS1_25transform_config_selectorIfLb1EEEZNS1_14transform_implILb1ES3_S5_PfS7_NS0_8identityIfEEEE10hipError_tT2_T3_mT4_P12ihipStream_tbEUlT_E_NS1_11comp_targetILNS1_3genE8ELNS1_11target_archE1030ELNS1_3gpuE2ELNS1_3repE0EEENS1_30default_config_static_selectorELNS0_4arch9wavefront6targetE1EEEvT1_
    .private_segment_fixed_size: 0
    .sgpr_count:     4
    .sgpr_spill_count: 0
    .symbol:         _ZN7rocprim17ROCPRIM_400000_NS6detail17trampoline_kernelINS0_14default_configENS1_25transform_config_selectorIfLb1EEEZNS1_14transform_implILb1ES3_S5_PfS7_NS0_8identityIfEEEE10hipError_tT2_T3_mT4_P12ihipStream_tbEUlT_E_NS1_11comp_targetILNS1_3genE8ELNS1_11target_archE1030ELNS1_3gpuE2ELNS1_3repE0EEENS1_30default_config_static_selectorELNS0_4arch9wavefront6targetE1EEEvT1_.kd
    .uniform_work_group_size: 1
    .uses_dynamic_stack: false
    .vgpr_count:     0
    .vgpr_spill_count: 0
    .wavefront_size: 64
  - .args:
      - .offset:         0
        .size:           40
        .value_kind:     by_value
    .group_segment_fixed_size: 0
    .kernarg_segment_align: 8
    .kernarg_segment_size: 40
    .language:       OpenCL C
    .language_version:
      - 2
      - 0
    .max_flat_workgroup_size: 512
    .name:           _ZN7rocprim17ROCPRIM_400000_NS6detail17trampoline_kernelINS0_14default_configENS1_35radix_sort_onesweep_config_selectorIflEEZNS1_34radix_sort_onesweep_global_offsetsIS3_Lb0EPfN6thrust23THRUST_200600_302600_NS10device_ptrIlEEjNS0_19identity_decomposerEEE10hipError_tT1_T2_PT3_SG_jT4_jjP12ihipStream_tbEUlT_E_NS1_11comp_targetILNS1_3genE0ELNS1_11target_archE4294967295ELNS1_3gpuE0ELNS1_3repE0EEENS1_52radix_sort_onesweep_histogram_config_static_selectorELNS0_4arch9wavefront6targetE1EEEvSE_
    .private_segment_fixed_size: 0
    .sgpr_count:     4
    .sgpr_spill_count: 0
    .symbol:         _ZN7rocprim17ROCPRIM_400000_NS6detail17trampoline_kernelINS0_14default_configENS1_35radix_sort_onesweep_config_selectorIflEEZNS1_34radix_sort_onesweep_global_offsetsIS3_Lb0EPfN6thrust23THRUST_200600_302600_NS10device_ptrIlEEjNS0_19identity_decomposerEEE10hipError_tT1_T2_PT3_SG_jT4_jjP12ihipStream_tbEUlT_E_NS1_11comp_targetILNS1_3genE0ELNS1_11target_archE4294967295ELNS1_3gpuE0ELNS1_3repE0EEENS1_52radix_sort_onesweep_histogram_config_static_selectorELNS0_4arch9wavefront6targetE1EEEvSE_.kd
    .uniform_work_group_size: 1
    .uses_dynamic_stack: false
    .vgpr_count:     0
    .vgpr_spill_count: 0
    .wavefront_size: 64
  - .args:
      - .offset:         0
        .size:           40
        .value_kind:     by_value
    .group_segment_fixed_size: 0
    .kernarg_segment_align: 8
    .kernarg_segment_size: 40
    .language:       OpenCL C
    .language_version:
      - 2
      - 0
    .max_flat_workgroup_size: 512
    .name:           _ZN7rocprim17ROCPRIM_400000_NS6detail17trampoline_kernelINS0_14default_configENS1_35radix_sort_onesweep_config_selectorIflEEZNS1_34radix_sort_onesweep_global_offsetsIS3_Lb0EPfN6thrust23THRUST_200600_302600_NS10device_ptrIlEEjNS0_19identity_decomposerEEE10hipError_tT1_T2_PT3_SG_jT4_jjP12ihipStream_tbEUlT_E_NS1_11comp_targetILNS1_3genE6ELNS1_11target_archE950ELNS1_3gpuE13ELNS1_3repE0EEENS1_52radix_sort_onesweep_histogram_config_static_selectorELNS0_4arch9wavefront6targetE1EEEvSE_
    .private_segment_fixed_size: 0
    .sgpr_count:     4
    .sgpr_spill_count: 0
    .symbol:         _ZN7rocprim17ROCPRIM_400000_NS6detail17trampoline_kernelINS0_14default_configENS1_35radix_sort_onesweep_config_selectorIflEEZNS1_34radix_sort_onesweep_global_offsetsIS3_Lb0EPfN6thrust23THRUST_200600_302600_NS10device_ptrIlEEjNS0_19identity_decomposerEEE10hipError_tT1_T2_PT3_SG_jT4_jjP12ihipStream_tbEUlT_E_NS1_11comp_targetILNS1_3genE6ELNS1_11target_archE950ELNS1_3gpuE13ELNS1_3repE0EEENS1_52radix_sort_onesweep_histogram_config_static_selectorELNS0_4arch9wavefront6targetE1EEEvSE_.kd
    .uniform_work_group_size: 1
    .uses_dynamic_stack: false
    .vgpr_count:     0
    .vgpr_spill_count: 0
    .wavefront_size: 64
  - .args:
      - .offset:         0
        .size:           40
        .value_kind:     by_value
    .group_segment_fixed_size: 0
    .kernarg_segment_align: 8
    .kernarg_segment_size: 40
    .language:       OpenCL C
    .language_version:
      - 2
      - 0
    .max_flat_workgroup_size: 512
    .name:           _ZN7rocprim17ROCPRIM_400000_NS6detail17trampoline_kernelINS0_14default_configENS1_35radix_sort_onesweep_config_selectorIflEEZNS1_34radix_sort_onesweep_global_offsetsIS3_Lb0EPfN6thrust23THRUST_200600_302600_NS10device_ptrIlEEjNS0_19identity_decomposerEEE10hipError_tT1_T2_PT3_SG_jT4_jjP12ihipStream_tbEUlT_E_NS1_11comp_targetILNS1_3genE5ELNS1_11target_archE942ELNS1_3gpuE9ELNS1_3repE0EEENS1_52radix_sort_onesweep_histogram_config_static_selectorELNS0_4arch9wavefront6targetE1EEEvSE_
    .private_segment_fixed_size: 0
    .sgpr_count:     4
    .sgpr_spill_count: 0
    .symbol:         _ZN7rocprim17ROCPRIM_400000_NS6detail17trampoline_kernelINS0_14default_configENS1_35radix_sort_onesweep_config_selectorIflEEZNS1_34radix_sort_onesweep_global_offsetsIS3_Lb0EPfN6thrust23THRUST_200600_302600_NS10device_ptrIlEEjNS0_19identity_decomposerEEE10hipError_tT1_T2_PT3_SG_jT4_jjP12ihipStream_tbEUlT_E_NS1_11comp_targetILNS1_3genE5ELNS1_11target_archE942ELNS1_3gpuE9ELNS1_3repE0EEENS1_52radix_sort_onesweep_histogram_config_static_selectorELNS0_4arch9wavefront6targetE1EEEvSE_.kd
    .uniform_work_group_size: 1
    .uses_dynamic_stack: false
    .vgpr_count:     0
    .vgpr_spill_count: 0
    .wavefront_size: 64
  - .args:
      - .offset:         0
        .size:           40
        .value_kind:     by_value
    .group_segment_fixed_size: 16384
    .kernarg_segment_align: 8
    .kernarg_segment_size: 40
    .language:       OpenCL C
    .language_version:
      - 2
      - 0
    .max_flat_workgroup_size: 512
    .name:           _ZN7rocprim17ROCPRIM_400000_NS6detail17trampoline_kernelINS0_14default_configENS1_35radix_sort_onesweep_config_selectorIflEEZNS1_34radix_sort_onesweep_global_offsetsIS3_Lb0EPfN6thrust23THRUST_200600_302600_NS10device_ptrIlEEjNS0_19identity_decomposerEEE10hipError_tT1_T2_PT3_SG_jT4_jjP12ihipStream_tbEUlT_E_NS1_11comp_targetILNS1_3genE2ELNS1_11target_archE906ELNS1_3gpuE6ELNS1_3repE0EEENS1_52radix_sort_onesweep_histogram_config_static_selectorELNS0_4arch9wavefront6targetE1EEEvSE_
    .private_segment_fixed_size: 0
    .sgpr_count:     23
    .sgpr_spill_count: 0
    .symbol:         _ZN7rocprim17ROCPRIM_400000_NS6detail17trampoline_kernelINS0_14default_configENS1_35radix_sort_onesweep_config_selectorIflEEZNS1_34radix_sort_onesweep_global_offsetsIS3_Lb0EPfN6thrust23THRUST_200600_302600_NS10device_ptrIlEEjNS0_19identity_decomposerEEE10hipError_tT1_T2_PT3_SG_jT4_jjP12ihipStream_tbEUlT_E_NS1_11comp_targetILNS1_3genE2ELNS1_11target_archE906ELNS1_3gpuE6ELNS1_3repE0EEENS1_52radix_sort_onesweep_histogram_config_static_selectorELNS0_4arch9wavefront6targetE1EEEvSE_.kd
    .uniform_work_group_size: 1
    .uses_dynamic_stack: false
    .vgpr_count:     20
    .vgpr_spill_count: 0
    .wavefront_size: 64
  - .args:
      - .offset:         0
        .size:           40
        .value_kind:     by_value
    .group_segment_fixed_size: 0
    .kernarg_segment_align: 8
    .kernarg_segment_size: 40
    .language:       OpenCL C
    .language_version:
      - 2
      - 0
    .max_flat_workgroup_size: 1024
    .name:           _ZN7rocprim17ROCPRIM_400000_NS6detail17trampoline_kernelINS0_14default_configENS1_35radix_sort_onesweep_config_selectorIflEEZNS1_34radix_sort_onesweep_global_offsetsIS3_Lb0EPfN6thrust23THRUST_200600_302600_NS10device_ptrIlEEjNS0_19identity_decomposerEEE10hipError_tT1_T2_PT3_SG_jT4_jjP12ihipStream_tbEUlT_E_NS1_11comp_targetILNS1_3genE4ELNS1_11target_archE910ELNS1_3gpuE8ELNS1_3repE0EEENS1_52radix_sort_onesweep_histogram_config_static_selectorELNS0_4arch9wavefront6targetE1EEEvSE_
    .private_segment_fixed_size: 0
    .sgpr_count:     4
    .sgpr_spill_count: 0
    .symbol:         _ZN7rocprim17ROCPRIM_400000_NS6detail17trampoline_kernelINS0_14default_configENS1_35radix_sort_onesweep_config_selectorIflEEZNS1_34radix_sort_onesweep_global_offsetsIS3_Lb0EPfN6thrust23THRUST_200600_302600_NS10device_ptrIlEEjNS0_19identity_decomposerEEE10hipError_tT1_T2_PT3_SG_jT4_jjP12ihipStream_tbEUlT_E_NS1_11comp_targetILNS1_3genE4ELNS1_11target_archE910ELNS1_3gpuE8ELNS1_3repE0EEENS1_52radix_sort_onesweep_histogram_config_static_selectorELNS0_4arch9wavefront6targetE1EEEvSE_.kd
    .uniform_work_group_size: 1
    .uses_dynamic_stack: false
    .vgpr_count:     0
    .vgpr_spill_count: 0
    .wavefront_size: 64
  - .args:
      - .offset:         0
        .size:           40
        .value_kind:     by_value
    .group_segment_fixed_size: 0
    .kernarg_segment_align: 8
    .kernarg_segment_size: 40
    .language:       OpenCL C
    .language_version:
      - 2
      - 0
    .max_flat_workgroup_size: 512
    .name:           _ZN7rocprim17ROCPRIM_400000_NS6detail17trampoline_kernelINS0_14default_configENS1_35radix_sort_onesweep_config_selectorIflEEZNS1_34radix_sort_onesweep_global_offsetsIS3_Lb0EPfN6thrust23THRUST_200600_302600_NS10device_ptrIlEEjNS0_19identity_decomposerEEE10hipError_tT1_T2_PT3_SG_jT4_jjP12ihipStream_tbEUlT_E_NS1_11comp_targetILNS1_3genE3ELNS1_11target_archE908ELNS1_3gpuE7ELNS1_3repE0EEENS1_52radix_sort_onesweep_histogram_config_static_selectorELNS0_4arch9wavefront6targetE1EEEvSE_
    .private_segment_fixed_size: 0
    .sgpr_count:     4
    .sgpr_spill_count: 0
    .symbol:         _ZN7rocprim17ROCPRIM_400000_NS6detail17trampoline_kernelINS0_14default_configENS1_35radix_sort_onesweep_config_selectorIflEEZNS1_34radix_sort_onesweep_global_offsetsIS3_Lb0EPfN6thrust23THRUST_200600_302600_NS10device_ptrIlEEjNS0_19identity_decomposerEEE10hipError_tT1_T2_PT3_SG_jT4_jjP12ihipStream_tbEUlT_E_NS1_11comp_targetILNS1_3genE3ELNS1_11target_archE908ELNS1_3gpuE7ELNS1_3repE0EEENS1_52radix_sort_onesweep_histogram_config_static_selectorELNS0_4arch9wavefront6targetE1EEEvSE_.kd
    .uniform_work_group_size: 1
    .uses_dynamic_stack: false
    .vgpr_count:     0
    .vgpr_spill_count: 0
    .wavefront_size: 64
  - .args:
      - .offset:         0
        .size:           40
        .value_kind:     by_value
    .group_segment_fixed_size: 0
    .kernarg_segment_align: 8
    .kernarg_segment_size: 40
    .language:       OpenCL C
    .language_version:
      - 2
      - 0
    .max_flat_workgroup_size: 1024
    .name:           _ZN7rocprim17ROCPRIM_400000_NS6detail17trampoline_kernelINS0_14default_configENS1_35radix_sort_onesweep_config_selectorIflEEZNS1_34radix_sort_onesweep_global_offsetsIS3_Lb0EPfN6thrust23THRUST_200600_302600_NS10device_ptrIlEEjNS0_19identity_decomposerEEE10hipError_tT1_T2_PT3_SG_jT4_jjP12ihipStream_tbEUlT_E_NS1_11comp_targetILNS1_3genE10ELNS1_11target_archE1201ELNS1_3gpuE5ELNS1_3repE0EEENS1_52radix_sort_onesweep_histogram_config_static_selectorELNS0_4arch9wavefront6targetE1EEEvSE_
    .private_segment_fixed_size: 0
    .sgpr_count:     4
    .sgpr_spill_count: 0
    .symbol:         _ZN7rocprim17ROCPRIM_400000_NS6detail17trampoline_kernelINS0_14default_configENS1_35radix_sort_onesweep_config_selectorIflEEZNS1_34radix_sort_onesweep_global_offsetsIS3_Lb0EPfN6thrust23THRUST_200600_302600_NS10device_ptrIlEEjNS0_19identity_decomposerEEE10hipError_tT1_T2_PT3_SG_jT4_jjP12ihipStream_tbEUlT_E_NS1_11comp_targetILNS1_3genE10ELNS1_11target_archE1201ELNS1_3gpuE5ELNS1_3repE0EEENS1_52radix_sort_onesweep_histogram_config_static_selectorELNS0_4arch9wavefront6targetE1EEEvSE_.kd
    .uniform_work_group_size: 1
    .uses_dynamic_stack: false
    .vgpr_count:     0
    .vgpr_spill_count: 0
    .wavefront_size: 64
  - .args:
      - .offset:         0
        .size:           40
        .value_kind:     by_value
    .group_segment_fixed_size: 0
    .kernarg_segment_align: 8
    .kernarg_segment_size: 40
    .language:       OpenCL C
    .language_version:
      - 2
      - 0
    .max_flat_workgroup_size: 1024
    .name:           _ZN7rocprim17ROCPRIM_400000_NS6detail17trampoline_kernelINS0_14default_configENS1_35radix_sort_onesweep_config_selectorIflEEZNS1_34radix_sort_onesweep_global_offsetsIS3_Lb0EPfN6thrust23THRUST_200600_302600_NS10device_ptrIlEEjNS0_19identity_decomposerEEE10hipError_tT1_T2_PT3_SG_jT4_jjP12ihipStream_tbEUlT_E_NS1_11comp_targetILNS1_3genE9ELNS1_11target_archE1100ELNS1_3gpuE3ELNS1_3repE0EEENS1_52radix_sort_onesweep_histogram_config_static_selectorELNS0_4arch9wavefront6targetE1EEEvSE_
    .private_segment_fixed_size: 0
    .sgpr_count:     4
    .sgpr_spill_count: 0
    .symbol:         _ZN7rocprim17ROCPRIM_400000_NS6detail17trampoline_kernelINS0_14default_configENS1_35radix_sort_onesweep_config_selectorIflEEZNS1_34radix_sort_onesweep_global_offsetsIS3_Lb0EPfN6thrust23THRUST_200600_302600_NS10device_ptrIlEEjNS0_19identity_decomposerEEE10hipError_tT1_T2_PT3_SG_jT4_jjP12ihipStream_tbEUlT_E_NS1_11comp_targetILNS1_3genE9ELNS1_11target_archE1100ELNS1_3gpuE3ELNS1_3repE0EEENS1_52radix_sort_onesweep_histogram_config_static_selectorELNS0_4arch9wavefront6targetE1EEEvSE_.kd
    .uniform_work_group_size: 1
    .uses_dynamic_stack: false
    .vgpr_count:     0
    .vgpr_spill_count: 0
    .wavefront_size: 64
  - .args:
      - .offset:         0
        .size:           40
        .value_kind:     by_value
    .group_segment_fixed_size: 0
    .kernarg_segment_align: 8
    .kernarg_segment_size: 40
    .language:       OpenCL C
    .language_version:
      - 2
      - 0
    .max_flat_workgroup_size: 1024
    .name:           _ZN7rocprim17ROCPRIM_400000_NS6detail17trampoline_kernelINS0_14default_configENS1_35radix_sort_onesweep_config_selectorIflEEZNS1_34radix_sort_onesweep_global_offsetsIS3_Lb0EPfN6thrust23THRUST_200600_302600_NS10device_ptrIlEEjNS0_19identity_decomposerEEE10hipError_tT1_T2_PT3_SG_jT4_jjP12ihipStream_tbEUlT_E_NS1_11comp_targetILNS1_3genE8ELNS1_11target_archE1030ELNS1_3gpuE2ELNS1_3repE0EEENS1_52radix_sort_onesweep_histogram_config_static_selectorELNS0_4arch9wavefront6targetE1EEEvSE_
    .private_segment_fixed_size: 0
    .sgpr_count:     4
    .sgpr_spill_count: 0
    .symbol:         _ZN7rocprim17ROCPRIM_400000_NS6detail17trampoline_kernelINS0_14default_configENS1_35radix_sort_onesweep_config_selectorIflEEZNS1_34radix_sort_onesweep_global_offsetsIS3_Lb0EPfN6thrust23THRUST_200600_302600_NS10device_ptrIlEEjNS0_19identity_decomposerEEE10hipError_tT1_T2_PT3_SG_jT4_jjP12ihipStream_tbEUlT_E_NS1_11comp_targetILNS1_3genE8ELNS1_11target_archE1030ELNS1_3gpuE2ELNS1_3repE0EEENS1_52radix_sort_onesweep_histogram_config_static_selectorELNS0_4arch9wavefront6targetE1EEEvSE_.kd
    .uniform_work_group_size: 1
    .uses_dynamic_stack: false
    .vgpr_count:     0
    .vgpr_spill_count: 0
    .wavefront_size: 64
  - .args:
      - .address_space:  global
        .offset:         0
        .size:           8
        .value_kind:     global_buffer
    .group_segment_fixed_size: 0
    .kernarg_segment_align: 8
    .kernarg_segment_size: 8
    .language:       OpenCL C
    .language_version:
      - 2
      - 0
    .max_flat_workgroup_size: 512
    .name:           _ZN7rocprim17ROCPRIM_400000_NS6detail17trampoline_kernelINS0_14default_configENS1_35radix_sort_onesweep_config_selectorIflEEZNS1_34radix_sort_onesweep_global_offsetsIS3_Lb0EPfN6thrust23THRUST_200600_302600_NS10device_ptrIlEEjNS0_19identity_decomposerEEE10hipError_tT1_T2_PT3_SG_jT4_jjP12ihipStream_tbEUlT_E0_NS1_11comp_targetILNS1_3genE0ELNS1_11target_archE4294967295ELNS1_3gpuE0ELNS1_3repE0EEENS1_52radix_sort_onesweep_histogram_config_static_selectorELNS0_4arch9wavefront6targetE1EEEvSE_
    .private_segment_fixed_size: 0
    .sgpr_count:     4
    .sgpr_spill_count: 0
    .symbol:         _ZN7rocprim17ROCPRIM_400000_NS6detail17trampoline_kernelINS0_14default_configENS1_35radix_sort_onesweep_config_selectorIflEEZNS1_34radix_sort_onesweep_global_offsetsIS3_Lb0EPfN6thrust23THRUST_200600_302600_NS10device_ptrIlEEjNS0_19identity_decomposerEEE10hipError_tT1_T2_PT3_SG_jT4_jjP12ihipStream_tbEUlT_E0_NS1_11comp_targetILNS1_3genE0ELNS1_11target_archE4294967295ELNS1_3gpuE0ELNS1_3repE0EEENS1_52radix_sort_onesweep_histogram_config_static_selectorELNS0_4arch9wavefront6targetE1EEEvSE_.kd
    .uniform_work_group_size: 1
    .uses_dynamic_stack: false
    .vgpr_count:     0
    .vgpr_spill_count: 0
    .wavefront_size: 64
  - .args:
      - .address_space:  global
        .offset:         0
        .size:           8
        .value_kind:     global_buffer
    .group_segment_fixed_size: 0
    .kernarg_segment_align: 8
    .kernarg_segment_size: 8
    .language:       OpenCL C
    .language_version:
      - 2
      - 0
    .max_flat_workgroup_size: 512
    .name:           _ZN7rocprim17ROCPRIM_400000_NS6detail17trampoline_kernelINS0_14default_configENS1_35radix_sort_onesweep_config_selectorIflEEZNS1_34radix_sort_onesweep_global_offsetsIS3_Lb0EPfN6thrust23THRUST_200600_302600_NS10device_ptrIlEEjNS0_19identity_decomposerEEE10hipError_tT1_T2_PT3_SG_jT4_jjP12ihipStream_tbEUlT_E0_NS1_11comp_targetILNS1_3genE6ELNS1_11target_archE950ELNS1_3gpuE13ELNS1_3repE0EEENS1_52radix_sort_onesweep_histogram_config_static_selectorELNS0_4arch9wavefront6targetE1EEEvSE_
    .private_segment_fixed_size: 0
    .sgpr_count:     4
    .sgpr_spill_count: 0
    .symbol:         _ZN7rocprim17ROCPRIM_400000_NS6detail17trampoline_kernelINS0_14default_configENS1_35radix_sort_onesweep_config_selectorIflEEZNS1_34radix_sort_onesweep_global_offsetsIS3_Lb0EPfN6thrust23THRUST_200600_302600_NS10device_ptrIlEEjNS0_19identity_decomposerEEE10hipError_tT1_T2_PT3_SG_jT4_jjP12ihipStream_tbEUlT_E0_NS1_11comp_targetILNS1_3genE6ELNS1_11target_archE950ELNS1_3gpuE13ELNS1_3repE0EEENS1_52radix_sort_onesweep_histogram_config_static_selectorELNS0_4arch9wavefront6targetE1EEEvSE_.kd
    .uniform_work_group_size: 1
    .uses_dynamic_stack: false
    .vgpr_count:     0
    .vgpr_spill_count: 0
    .wavefront_size: 64
  - .args:
      - .address_space:  global
        .offset:         0
        .size:           8
        .value_kind:     global_buffer
    .group_segment_fixed_size: 0
    .kernarg_segment_align: 8
    .kernarg_segment_size: 8
    .language:       OpenCL C
    .language_version:
      - 2
      - 0
    .max_flat_workgroup_size: 512
    .name:           _ZN7rocprim17ROCPRIM_400000_NS6detail17trampoline_kernelINS0_14default_configENS1_35radix_sort_onesweep_config_selectorIflEEZNS1_34radix_sort_onesweep_global_offsetsIS3_Lb0EPfN6thrust23THRUST_200600_302600_NS10device_ptrIlEEjNS0_19identity_decomposerEEE10hipError_tT1_T2_PT3_SG_jT4_jjP12ihipStream_tbEUlT_E0_NS1_11comp_targetILNS1_3genE5ELNS1_11target_archE942ELNS1_3gpuE9ELNS1_3repE0EEENS1_52radix_sort_onesweep_histogram_config_static_selectorELNS0_4arch9wavefront6targetE1EEEvSE_
    .private_segment_fixed_size: 0
    .sgpr_count:     4
    .sgpr_spill_count: 0
    .symbol:         _ZN7rocprim17ROCPRIM_400000_NS6detail17trampoline_kernelINS0_14default_configENS1_35radix_sort_onesweep_config_selectorIflEEZNS1_34radix_sort_onesweep_global_offsetsIS3_Lb0EPfN6thrust23THRUST_200600_302600_NS10device_ptrIlEEjNS0_19identity_decomposerEEE10hipError_tT1_T2_PT3_SG_jT4_jjP12ihipStream_tbEUlT_E0_NS1_11comp_targetILNS1_3genE5ELNS1_11target_archE942ELNS1_3gpuE9ELNS1_3repE0EEENS1_52radix_sort_onesweep_histogram_config_static_selectorELNS0_4arch9wavefront6targetE1EEEvSE_.kd
    .uniform_work_group_size: 1
    .uses_dynamic_stack: false
    .vgpr_count:     0
    .vgpr_spill_count: 0
    .wavefront_size: 64
  - .args:
      - .address_space:  global
        .offset:         0
        .size:           8
        .value_kind:     global_buffer
    .group_segment_fixed_size: 32
    .kernarg_segment_align: 8
    .kernarg_segment_size: 8
    .language:       OpenCL C
    .language_version:
      - 2
      - 0
    .max_flat_workgroup_size: 512
    .name:           _ZN7rocprim17ROCPRIM_400000_NS6detail17trampoline_kernelINS0_14default_configENS1_35radix_sort_onesweep_config_selectorIflEEZNS1_34radix_sort_onesweep_global_offsetsIS3_Lb0EPfN6thrust23THRUST_200600_302600_NS10device_ptrIlEEjNS0_19identity_decomposerEEE10hipError_tT1_T2_PT3_SG_jT4_jjP12ihipStream_tbEUlT_E0_NS1_11comp_targetILNS1_3genE2ELNS1_11target_archE906ELNS1_3gpuE6ELNS1_3repE0EEENS1_52radix_sort_onesweep_histogram_config_static_selectorELNS0_4arch9wavefront6targetE1EEEvSE_
    .private_segment_fixed_size: 0
    .sgpr_count:     11
    .sgpr_spill_count: 0
    .symbol:         _ZN7rocprim17ROCPRIM_400000_NS6detail17trampoline_kernelINS0_14default_configENS1_35radix_sort_onesweep_config_selectorIflEEZNS1_34radix_sort_onesweep_global_offsetsIS3_Lb0EPfN6thrust23THRUST_200600_302600_NS10device_ptrIlEEjNS0_19identity_decomposerEEE10hipError_tT1_T2_PT3_SG_jT4_jjP12ihipStream_tbEUlT_E0_NS1_11comp_targetILNS1_3genE2ELNS1_11target_archE906ELNS1_3gpuE6ELNS1_3repE0EEENS1_52radix_sort_onesweep_histogram_config_static_selectorELNS0_4arch9wavefront6targetE1EEEvSE_.kd
    .uniform_work_group_size: 1
    .uses_dynamic_stack: false
    .vgpr_count:     8
    .vgpr_spill_count: 0
    .wavefront_size: 64
  - .args:
      - .address_space:  global
        .offset:         0
        .size:           8
        .value_kind:     global_buffer
    .group_segment_fixed_size: 0
    .kernarg_segment_align: 8
    .kernarg_segment_size: 8
    .language:       OpenCL C
    .language_version:
      - 2
      - 0
    .max_flat_workgroup_size: 1024
    .name:           _ZN7rocprim17ROCPRIM_400000_NS6detail17trampoline_kernelINS0_14default_configENS1_35radix_sort_onesweep_config_selectorIflEEZNS1_34radix_sort_onesweep_global_offsetsIS3_Lb0EPfN6thrust23THRUST_200600_302600_NS10device_ptrIlEEjNS0_19identity_decomposerEEE10hipError_tT1_T2_PT3_SG_jT4_jjP12ihipStream_tbEUlT_E0_NS1_11comp_targetILNS1_3genE4ELNS1_11target_archE910ELNS1_3gpuE8ELNS1_3repE0EEENS1_52radix_sort_onesweep_histogram_config_static_selectorELNS0_4arch9wavefront6targetE1EEEvSE_
    .private_segment_fixed_size: 0
    .sgpr_count:     4
    .sgpr_spill_count: 0
    .symbol:         _ZN7rocprim17ROCPRIM_400000_NS6detail17trampoline_kernelINS0_14default_configENS1_35radix_sort_onesweep_config_selectorIflEEZNS1_34radix_sort_onesweep_global_offsetsIS3_Lb0EPfN6thrust23THRUST_200600_302600_NS10device_ptrIlEEjNS0_19identity_decomposerEEE10hipError_tT1_T2_PT3_SG_jT4_jjP12ihipStream_tbEUlT_E0_NS1_11comp_targetILNS1_3genE4ELNS1_11target_archE910ELNS1_3gpuE8ELNS1_3repE0EEENS1_52radix_sort_onesweep_histogram_config_static_selectorELNS0_4arch9wavefront6targetE1EEEvSE_.kd
    .uniform_work_group_size: 1
    .uses_dynamic_stack: false
    .vgpr_count:     0
    .vgpr_spill_count: 0
    .wavefront_size: 64
  - .args:
      - .address_space:  global
        .offset:         0
        .size:           8
        .value_kind:     global_buffer
    .group_segment_fixed_size: 0
    .kernarg_segment_align: 8
    .kernarg_segment_size: 8
    .language:       OpenCL C
    .language_version:
      - 2
      - 0
    .max_flat_workgroup_size: 512
    .name:           _ZN7rocprim17ROCPRIM_400000_NS6detail17trampoline_kernelINS0_14default_configENS1_35radix_sort_onesweep_config_selectorIflEEZNS1_34radix_sort_onesweep_global_offsetsIS3_Lb0EPfN6thrust23THRUST_200600_302600_NS10device_ptrIlEEjNS0_19identity_decomposerEEE10hipError_tT1_T2_PT3_SG_jT4_jjP12ihipStream_tbEUlT_E0_NS1_11comp_targetILNS1_3genE3ELNS1_11target_archE908ELNS1_3gpuE7ELNS1_3repE0EEENS1_52radix_sort_onesweep_histogram_config_static_selectorELNS0_4arch9wavefront6targetE1EEEvSE_
    .private_segment_fixed_size: 0
    .sgpr_count:     4
    .sgpr_spill_count: 0
    .symbol:         _ZN7rocprim17ROCPRIM_400000_NS6detail17trampoline_kernelINS0_14default_configENS1_35radix_sort_onesweep_config_selectorIflEEZNS1_34radix_sort_onesweep_global_offsetsIS3_Lb0EPfN6thrust23THRUST_200600_302600_NS10device_ptrIlEEjNS0_19identity_decomposerEEE10hipError_tT1_T2_PT3_SG_jT4_jjP12ihipStream_tbEUlT_E0_NS1_11comp_targetILNS1_3genE3ELNS1_11target_archE908ELNS1_3gpuE7ELNS1_3repE0EEENS1_52radix_sort_onesweep_histogram_config_static_selectorELNS0_4arch9wavefront6targetE1EEEvSE_.kd
    .uniform_work_group_size: 1
    .uses_dynamic_stack: false
    .vgpr_count:     0
    .vgpr_spill_count: 0
    .wavefront_size: 64
  - .args:
      - .address_space:  global
        .offset:         0
        .size:           8
        .value_kind:     global_buffer
    .group_segment_fixed_size: 0
    .kernarg_segment_align: 8
    .kernarg_segment_size: 8
    .language:       OpenCL C
    .language_version:
      - 2
      - 0
    .max_flat_workgroup_size: 1024
    .name:           _ZN7rocprim17ROCPRIM_400000_NS6detail17trampoline_kernelINS0_14default_configENS1_35radix_sort_onesweep_config_selectorIflEEZNS1_34radix_sort_onesweep_global_offsetsIS3_Lb0EPfN6thrust23THRUST_200600_302600_NS10device_ptrIlEEjNS0_19identity_decomposerEEE10hipError_tT1_T2_PT3_SG_jT4_jjP12ihipStream_tbEUlT_E0_NS1_11comp_targetILNS1_3genE10ELNS1_11target_archE1201ELNS1_3gpuE5ELNS1_3repE0EEENS1_52radix_sort_onesweep_histogram_config_static_selectorELNS0_4arch9wavefront6targetE1EEEvSE_
    .private_segment_fixed_size: 0
    .sgpr_count:     4
    .sgpr_spill_count: 0
    .symbol:         _ZN7rocprim17ROCPRIM_400000_NS6detail17trampoline_kernelINS0_14default_configENS1_35radix_sort_onesweep_config_selectorIflEEZNS1_34radix_sort_onesweep_global_offsetsIS3_Lb0EPfN6thrust23THRUST_200600_302600_NS10device_ptrIlEEjNS0_19identity_decomposerEEE10hipError_tT1_T2_PT3_SG_jT4_jjP12ihipStream_tbEUlT_E0_NS1_11comp_targetILNS1_3genE10ELNS1_11target_archE1201ELNS1_3gpuE5ELNS1_3repE0EEENS1_52radix_sort_onesweep_histogram_config_static_selectorELNS0_4arch9wavefront6targetE1EEEvSE_.kd
    .uniform_work_group_size: 1
    .uses_dynamic_stack: false
    .vgpr_count:     0
    .vgpr_spill_count: 0
    .wavefront_size: 64
  - .args:
      - .address_space:  global
        .offset:         0
        .size:           8
        .value_kind:     global_buffer
    .group_segment_fixed_size: 0
    .kernarg_segment_align: 8
    .kernarg_segment_size: 8
    .language:       OpenCL C
    .language_version:
      - 2
      - 0
    .max_flat_workgroup_size: 1024
    .name:           _ZN7rocprim17ROCPRIM_400000_NS6detail17trampoline_kernelINS0_14default_configENS1_35radix_sort_onesweep_config_selectorIflEEZNS1_34radix_sort_onesweep_global_offsetsIS3_Lb0EPfN6thrust23THRUST_200600_302600_NS10device_ptrIlEEjNS0_19identity_decomposerEEE10hipError_tT1_T2_PT3_SG_jT4_jjP12ihipStream_tbEUlT_E0_NS1_11comp_targetILNS1_3genE9ELNS1_11target_archE1100ELNS1_3gpuE3ELNS1_3repE0EEENS1_52radix_sort_onesweep_histogram_config_static_selectorELNS0_4arch9wavefront6targetE1EEEvSE_
    .private_segment_fixed_size: 0
    .sgpr_count:     4
    .sgpr_spill_count: 0
    .symbol:         _ZN7rocprim17ROCPRIM_400000_NS6detail17trampoline_kernelINS0_14default_configENS1_35radix_sort_onesweep_config_selectorIflEEZNS1_34radix_sort_onesweep_global_offsetsIS3_Lb0EPfN6thrust23THRUST_200600_302600_NS10device_ptrIlEEjNS0_19identity_decomposerEEE10hipError_tT1_T2_PT3_SG_jT4_jjP12ihipStream_tbEUlT_E0_NS1_11comp_targetILNS1_3genE9ELNS1_11target_archE1100ELNS1_3gpuE3ELNS1_3repE0EEENS1_52radix_sort_onesweep_histogram_config_static_selectorELNS0_4arch9wavefront6targetE1EEEvSE_.kd
    .uniform_work_group_size: 1
    .uses_dynamic_stack: false
    .vgpr_count:     0
    .vgpr_spill_count: 0
    .wavefront_size: 64
  - .args:
      - .address_space:  global
        .offset:         0
        .size:           8
        .value_kind:     global_buffer
    .group_segment_fixed_size: 0
    .kernarg_segment_align: 8
    .kernarg_segment_size: 8
    .language:       OpenCL C
    .language_version:
      - 2
      - 0
    .max_flat_workgroup_size: 1024
    .name:           _ZN7rocprim17ROCPRIM_400000_NS6detail17trampoline_kernelINS0_14default_configENS1_35radix_sort_onesweep_config_selectorIflEEZNS1_34radix_sort_onesweep_global_offsetsIS3_Lb0EPfN6thrust23THRUST_200600_302600_NS10device_ptrIlEEjNS0_19identity_decomposerEEE10hipError_tT1_T2_PT3_SG_jT4_jjP12ihipStream_tbEUlT_E0_NS1_11comp_targetILNS1_3genE8ELNS1_11target_archE1030ELNS1_3gpuE2ELNS1_3repE0EEENS1_52radix_sort_onesweep_histogram_config_static_selectorELNS0_4arch9wavefront6targetE1EEEvSE_
    .private_segment_fixed_size: 0
    .sgpr_count:     4
    .sgpr_spill_count: 0
    .symbol:         _ZN7rocprim17ROCPRIM_400000_NS6detail17trampoline_kernelINS0_14default_configENS1_35radix_sort_onesweep_config_selectorIflEEZNS1_34radix_sort_onesweep_global_offsetsIS3_Lb0EPfN6thrust23THRUST_200600_302600_NS10device_ptrIlEEjNS0_19identity_decomposerEEE10hipError_tT1_T2_PT3_SG_jT4_jjP12ihipStream_tbEUlT_E0_NS1_11comp_targetILNS1_3genE8ELNS1_11target_archE1030ELNS1_3gpuE2ELNS1_3repE0EEENS1_52radix_sort_onesweep_histogram_config_static_selectorELNS0_4arch9wavefront6targetE1EEEvSE_.kd
    .uniform_work_group_size: 1
    .uses_dynamic_stack: false
    .vgpr_count:     0
    .vgpr_spill_count: 0
    .wavefront_size: 64
  - .args:
      - .offset:         0
        .size:           88
        .value_kind:     by_value
    .group_segment_fixed_size: 0
    .kernarg_segment_align: 8
    .kernarg_segment_size: 88
    .language:       OpenCL C
    .language_version:
      - 2
      - 0
    .max_flat_workgroup_size: 512
    .name:           _ZN7rocprim17ROCPRIM_400000_NS6detail17trampoline_kernelINS0_14default_configENS1_35radix_sort_onesweep_config_selectorIflEEZZNS1_29radix_sort_onesweep_iterationIS3_Lb0EPfS7_N6thrust23THRUST_200600_302600_NS10device_ptrIlEESB_jNS0_19identity_decomposerENS1_16block_id_wrapperIjLb1EEEEE10hipError_tT1_PNSt15iterator_traitsISG_E10value_typeET2_T3_PNSH_ISM_E10value_typeET4_T5_PSR_SS_PNS1_23onesweep_lookback_stateEbbT6_jjT7_P12ihipStream_tbENKUlT_T0_SG_SL_E_clIS7_S7_SB_SB_EEDaSZ_S10_SG_SL_EUlSZ_E_NS1_11comp_targetILNS1_3genE0ELNS1_11target_archE4294967295ELNS1_3gpuE0ELNS1_3repE0EEENS1_47radix_sort_onesweep_sort_config_static_selectorELNS0_4arch9wavefront6targetE1EEEvSG_
    .private_segment_fixed_size: 0
    .sgpr_count:     4
    .sgpr_spill_count: 0
    .symbol:         _ZN7rocprim17ROCPRIM_400000_NS6detail17trampoline_kernelINS0_14default_configENS1_35radix_sort_onesweep_config_selectorIflEEZZNS1_29radix_sort_onesweep_iterationIS3_Lb0EPfS7_N6thrust23THRUST_200600_302600_NS10device_ptrIlEESB_jNS0_19identity_decomposerENS1_16block_id_wrapperIjLb1EEEEE10hipError_tT1_PNSt15iterator_traitsISG_E10value_typeET2_T3_PNSH_ISM_E10value_typeET4_T5_PSR_SS_PNS1_23onesweep_lookback_stateEbbT6_jjT7_P12ihipStream_tbENKUlT_T0_SG_SL_E_clIS7_S7_SB_SB_EEDaSZ_S10_SG_SL_EUlSZ_E_NS1_11comp_targetILNS1_3genE0ELNS1_11target_archE4294967295ELNS1_3gpuE0ELNS1_3repE0EEENS1_47radix_sort_onesweep_sort_config_static_selectorELNS0_4arch9wavefront6targetE1EEEvSG_.kd
    .uniform_work_group_size: 1
    .uses_dynamic_stack: false
    .vgpr_count:     0
    .vgpr_spill_count: 0
    .wavefront_size: 64
  - .args:
      - .offset:         0
        .size:           88
        .value_kind:     by_value
    .group_segment_fixed_size: 0
    .kernarg_segment_align: 8
    .kernarg_segment_size: 88
    .language:       OpenCL C
    .language_version:
      - 2
      - 0
    .max_flat_workgroup_size: 512
    .name:           _ZN7rocprim17ROCPRIM_400000_NS6detail17trampoline_kernelINS0_14default_configENS1_35radix_sort_onesweep_config_selectorIflEEZZNS1_29radix_sort_onesweep_iterationIS3_Lb0EPfS7_N6thrust23THRUST_200600_302600_NS10device_ptrIlEESB_jNS0_19identity_decomposerENS1_16block_id_wrapperIjLb1EEEEE10hipError_tT1_PNSt15iterator_traitsISG_E10value_typeET2_T3_PNSH_ISM_E10value_typeET4_T5_PSR_SS_PNS1_23onesweep_lookback_stateEbbT6_jjT7_P12ihipStream_tbENKUlT_T0_SG_SL_E_clIS7_S7_SB_SB_EEDaSZ_S10_SG_SL_EUlSZ_E_NS1_11comp_targetILNS1_3genE6ELNS1_11target_archE950ELNS1_3gpuE13ELNS1_3repE0EEENS1_47radix_sort_onesweep_sort_config_static_selectorELNS0_4arch9wavefront6targetE1EEEvSG_
    .private_segment_fixed_size: 0
    .sgpr_count:     4
    .sgpr_spill_count: 0
    .symbol:         _ZN7rocprim17ROCPRIM_400000_NS6detail17trampoline_kernelINS0_14default_configENS1_35radix_sort_onesweep_config_selectorIflEEZZNS1_29radix_sort_onesweep_iterationIS3_Lb0EPfS7_N6thrust23THRUST_200600_302600_NS10device_ptrIlEESB_jNS0_19identity_decomposerENS1_16block_id_wrapperIjLb1EEEEE10hipError_tT1_PNSt15iterator_traitsISG_E10value_typeET2_T3_PNSH_ISM_E10value_typeET4_T5_PSR_SS_PNS1_23onesweep_lookback_stateEbbT6_jjT7_P12ihipStream_tbENKUlT_T0_SG_SL_E_clIS7_S7_SB_SB_EEDaSZ_S10_SG_SL_EUlSZ_E_NS1_11comp_targetILNS1_3genE6ELNS1_11target_archE950ELNS1_3gpuE13ELNS1_3repE0EEENS1_47radix_sort_onesweep_sort_config_static_selectorELNS0_4arch9wavefront6targetE1EEEvSG_.kd
    .uniform_work_group_size: 1
    .uses_dynamic_stack: false
    .vgpr_count:     0
    .vgpr_spill_count: 0
    .wavefront_size: 64
  - .args:
      - .offset:         0
        .size:           88
        .value_kind:     by_value
    .group_segment_fixed_size: 0
    .kernarg_segment_align: 8
    .kernarg_segment_size: 88
    .language:       OpenCL C
    .language_version:
      - 2
      - 0
    .max_flat_workgroup_size: 512
    .name:           _ZN7rocprim17ROCPRIM_400000_NS6detail17trampoline_kernelINS0_14default_configENS1_35radix_sort_onesweep_config_selectorIflEEZZNS1_29radix_sort_onesweep_iterationIS3_Lb0EPfS7_N6thrust23THRUST_200600_302600_NS10device_ptrIlEESB_jNS0_19identity_decomposerENS1_16block_id_wrapperIjLb1EEEEE10hipError_tT1_PNSt15iterator_traitsISG_E10value_typeET2_T3_PNSH_ISM_E10value_typeET4_T5_PSR_SS_PNS1_23onesweep_lookback_stateEbbT6_jjT7_P12ihipStream_tbENKUlT_T0_SG_SL_E_clIS7_S7_SB_SB_EEDaSZ_S10_SG_SL_EUlSZ_E_NS1_11comp_targetILNS1_3genE5ELNS1_11target_archE942ELNS1_3gpuE9ELNS1_3repE0EEENS1_47radix_sort_onesweep_sort_config_static_selectorELNS0_4arch9wavefront6targetE1EEEvSG_
    .private_segment_fixed_size: 0
    .sgpr_count:     4
    .sgpr_spill_count: 0
    .symbol:         _ZN7rocprim17ROCPRIM_400000_NS6detail17trampoline_kernelINS0_14default_configENS1_35radix_sort_onesweep_config_selectorIflEEZZNS1_29radix_sort_onesweep_iterationIS3_Lb0EPfS7_N6thrust23THRUST_200600_302600_NS10device_ptrIlEESB_jNS0_19identity_decomposerENS1_16block_id_wrapperIjLb1EEEEE10hipError_tT1_PNSt15iterator_traitsISG_E10value_typeET2_T3_PNSH_ISM_E10value_typeET4_T5_PSR_SS_PNS1_23onesweep_lookback_stateEbbT6_jjT7_P12ihipStream_tbENKUlT_T0_SG_SL_E_clIS7_S7_SB_SB_EEDaSZ_S10_SG_SL_EUlSZ_E_NS1_11comp_targetILNS1_3genE5ELNS1_11target_archE942ELNS1_3gpuE9ELNS1_3repE0EEENS1_47radix_sort_onesweep_sort_config_static_selectorELNS0_4arch9wavefront6targetE1EEEvSG_.kd
    .uniform_work_group_size: 1
    .uses_dynamic_stack: false
    .vgpr_count:     0
    .vgpr_spill_count: 0
    .wavefront_size: 64
  - .args:
      - .offset:         0
        .size:           88
        .value_kind:     by_value
      - .offset:         88
        .size:           4
        .value_kind:     hidden_block_count_x
      - .offset:         92
        .size:           4
        .value_kind:     hidden_block_count_y
      - .offset:         96
        .size:           4
        .value_kind:     hidden_block_count_z
      - .offset:         100
        .size:           2
        .value_kind:     hidden_group_size_x
      - .offset:         102
        .size:           2
        .value_kind:     hidden_group_size_y
      - .offset:         104
        .size:           2
        .value_kind:     hidden_group_size_z
      - .offset:         106
        .size:           2
        .value_kind:     hidden_remainder_x
      - .offset:         108
        .size:           2
        .value_kind:     hidden_remainder_y
      - .offset:         110
        .size:           2
        .value_kind:     hidden_remainder_z
      - .offset:         128
        .size:           8
        .value_kind:     hidden_global_offset_x
      - .offset:         136
        .size:           8
        .value_kind:     hidden_global_offset_y
      - .offset:         144
        .size:           8
        .value_kind:     hidden_global_offset_z
      - .offset:         152
        .size:           2
        .value_kind:     hidden_grid_dims
    .group_segment_fixed_size: 10280
    .kernarg_segment_align: 8
    .kernarg_segment_size: 344
    .language:       OpenCL C
    .language_version:
      - 2
      - 0
    .max_flat_workgroup_size: 512
    .name:           _ZN7rocprim17ROCPRIM_400000_NS6detail17trampoline_kernelINS0_14default_configENS1_35radix_sort_onesweep_config_selectorIflEEZZNS1_29radix_sort_onesweep_iterationIS3_Lb0EPfS7_N6thrust23THRUST_200600_302600_NS10device_ptrIlEESB_jNS0_19identity_decomposerENS1_16block_id_wrapperIjLb1EEEEE10hipError_tT1_PNSt15iterator_traitsISG_E10value_typeET2_T3_PNSH_ISM_E10value_typeET4_T5_PSR_SS_PNS1_23onesweep_lookback_stateEbbT6_jjT7_P12ihipStream_tbENKUlT_T0_SG_SL_E_clIS7_S7_SB_SB_EEDaSZ_S10_SG_SL_EUlSZ_E_NS1_11comp_targetILNS1_3genE2ELNS1_11target_archE906ELNS1_3gpuE6ELNS1_3repE0EEENS1_47radix_sort_onesweep_sort_config_static_selectorELNS0_4arch9wavefront6targetE1EEEvSG_
    .private_segment_fixed_size: 48
    .sgpr_count:     64
    .sgpr_spill_count: 0
    .symbol:         _ZN7rocprim17ROCPRIM_400000_NS6detail17trampoline_kernelINS0_14default_configENS1_35radix_sort_onesweep_config_selectorIflEEZZNS1_29radix_sort_onesweep_iterationIS3_Lb0EPfS7_N6thrust23THRUST_200600_302600_NS10device_ptrIlEESB_jNS0_19identity_decomposerENS1_16block_id_wrapperIjLb1EEEEE10hipError_tT1_PNSt15iterator_traitsISG_E10value_typeET2_T3_PNSH_ISM_E10value_typeET4_T5_PSR_SS_PNS1_23onesweep_lookback_stateEbbT6_jjT7_P12ihipStream_tbENKUlT_T0_SG_SL_E_clIS7_S7_SB_SB_EEDaSZ_S10_SG_SL_EUlSZ_E_NS1_11comp_targetILNS1_3genE2ELNS1_11target_archE906ELNS1_3gpuE6ELNS1_3repE0EEENS1_47radix_sort_onesweep_sort_config_static_selectorELNS0_4arch9wavefront6targetE1EEEvSG_.kd
    .uniform_work_group_size: 1
    .uses_dynamic_stack: false
    .vgpr_count:     58
    .vgpr_spill_count: 0
    .wavefront_size: 64
  - .args:
      - .offset:         0
        .size:           88
        .value_kind:     by_value
    .group_segment_fixed_size: 0
    .kernarg_segment_align: 8
    .kernarg_segment_size: 88
    .language:       OpenCL C
    .language_version:
      - 2
      - 0
    .max_flat_workgroup_size: 1024
    .name:           _ZN7rocprim17ROCPRIM_400000_NS6detail17trampoline_kernelINS0_14default_configENS1_35radix_sort_onesweep_config_selectorIflEEZZNS1_29radix_sort_onesweep_iterationIS3_Lb0EPfS7_N6thrust23THRUST_200600_302600_NS10device_ptrIlEESB_jNS0_19identity_decomposerENS1_16block_id_wrapperIjLb1EEEEE10hipError_tT1_PNSt15iterator_traitsISG_E10value_typeET2_T3_PNSH_ISM_E10value_typeET4_T5_PSR_SS_PNS1_23onesweep_lookback_stateEbbT6_jjT7_P12ihipStream_tbENKUlT_T0_SG_SL_E_clIS7_S7_SB_SB_EEDaSZ_S10_SG_SL_EUlSZ_E_NS1_11comp_targetILNS1_3genE4ELNS1_11target_archE910ELNS1_3gpuE8ELNS1_3repE0EEENS1_47radix_sort_onesweep_sort_config_static_selectorELNS0_4arch9wavefront6targetE1EEEvSG_
    .private_segment_fixed_size: 0
    .sgpr_count:     4
    .sgpr_spill_count: 0
    .symbol:         _ZN7rocprim17ROCPRIM_400000_NS6detail17trampoline_kernelINS0_14default_configENS1_35radix_sort_onesweep_config_selectorIflEEZZNS1_29radix_sort_onesweep_iterationIS3_Lb0EPfS7_N6thrust23THRUST_200600_302600_NS10device_ptrIlEESB_jNS0_19identity_decomposerENS1_16block_id_wrapperIjLb1EEEEE10hipError_tT1_PNSt15iterator_traitsISG_E10value_typeET2_T3_PNSH_ISM_E10value_typeET4_T5_PSR_SS_PNS1_23onesweep_lookback_stateEbbT6_jjT7_P12ihipStream_tbENKUlT_T0_SG_SL_E_clIS7_S7_SB_SB_EEDaSZ_S10_SG_SL_EUlSZ_E_NS1_11comp_targetILNS1_3genE4ELNS1_11target_archE910ELNS1_3gpuE8ELNS1_3repE0EEENS1_47radix_sort_onesweep_sort_config_static_selectorELNS0_4arch9wavefront6targetE1EEEvSG_.kd
    .uniform_work_group_size: 1
    .uses_dynamic_stack: false
    .vgpr_count:     0
    .vgpr_spill_count: 0
    .wavefront_size: 64
  - .args:
      - .offset:         0
        .size:           88
        .value_kind:     by_value
    .group_segment_fixed_size: 0
    .kernarg_segment_align: 8
    .kernarg_segment_size: 88
    .language:       OpenCL C
    .language_version:
      - 2
      - 0
    .max_flat_workgroup_size: 512
    .name:           _ZN7rocprim17ROCPRIM_400000_NS6detail17trampoline_kernelINS0_14default_configENS1_35radix_sort_onesweep_config_selectorIflEEZZNS1_29radix_sort_onesweep_iterationIS3_Lb0EPfS7_N6thrust23THRUST_200600_302600_NS10device_ptrIlEESB_jNS0_19identity_decomposerENS1_16block_id_wrapperIjLb1EEEEE10hipError_tT1_PNSt15iterator_traitsISG_E10value_typeET2_T3_PNSH_ISM_E10value_typeET4_T5_PSR_SS_PNS1_23onesweep_lookback_stateEbbT6_jjT7_P12ihipStream_tbENKUlT_T0_SG_SL_E_clIS7_S7_SB_SB_EEDaSZ_S10_SG_SL_EUlSZ_E_NS1_11comp_targetILNS1_3genE3ELNS1_11target_archE908ELNS1_3gpuE7ELNS1_3repE0EEENS1_47radix_sort_onesweep_sort_config_static_selectorELNS0_4arch9wavefront6targetE1EEEvSG_
    .private_segment_fixed_size: 0
    .sgpr_count:     4
    .sgpr_spill_count: 0
    .symbol:         _ZN7rocprim17ROCPRIM_400000_NS6detail17trampoline_kernelINS0_14default_configENS1_35radix_sort_onesweep_config_selectorIflEEZZNS1_29radix_sort_onesweep_iterationIS3_Lb0EPfS7_N6thrust23THRUST_200600_302600_NS10device_ptrIlEESB_jNS0_19identity_decomposerENS1_16block_id_wrapperIjLb1EEEEE10hipError_tT1_PNSt15iterator_traitsISG_E10value_typeET2_T3_PNSH_ISM_E10value_typeET4_T5_PSR_SS_PNS1_23onesweep_lookback_stateEbbT6_jjT7_P12ihipStream_tbENKUlT_T0_SG_SL_E_clIS7_S7_SB_SB_EEDaSZ_S10_SG_SL_EUlSZ_E_NS1_11comp_targetILNS1_3genE3ELNS1_11target_archE908ELNS1_3gpuE7ELNS1_3repE0EEENS1_47radix_sort_onesweep_sort_config_static_selectorELNS0_4arch9wavefront6targetE1EEEvSG_.kd
    .uniform_work_group_size: 1
    .uses_dynamic_stack: false
    .vgpr_count:     0
    .vgpr_spill_count: 0
    .wavefront_size: 64
  - .args:
      - .offset:         0
        .size:           88
        .value_kind:     by_value
    .group_segment_fixed_size: 0
    .kernarg_segment_align: 8
    .kernarg_segment_size: 88
    .language:       OpenCL C
    .language_version:
      - 2
      - 0
    .max_flat_workgroup_size: 1024
    .name:           _ZN7rocprim17ROCPRIM_400000_NS6detail17trampoline_kernelINS0_14default_configENS1_35radix_sort_onesweep_config_selectorIflEEZZNS1_29radix_sort_onesweep_iterationIS3_Lb0EPfS7_N6thrust23THRUST_200600_302600_NS10device_ptrIlEESB_jNS0_19identity_decomposerENS1_16block_id_wrapperIjLb1EEEEE10hipError_tT1_PNSt15iterator_traitsISG_E10value_typeET2_T3_PNSH_ISM_E10value_typeET4_T5_PSR_SS_PNS1_23onesweep_lookback_stateEbbT6_jjT7_P12ihipStream_tbENKUlT_T0_SG_SL_E_clIS7_S7_SB_SB_EEDaSZ_S10_SG_SL_EUlSZ_E_NS1_11comp_targetILNS1_3genE10ELNS1_11target_archE1201ELNS1_3gpuE5ELNS1_3repE0EEENS1_47radix_sort_onesweep_sort_config_static_selectorELNS0_4arch9wavefront6targetE1EEEvSG_
    .private_segment_fixed_size: 0
    .sgpr_count:     4
    .sgpr_spill_count: 0
    .symbol:         _ZN7rocprim17ROCPRIM_400000_NS6detail17trampoline_kernelINS0_14default_configENS1_35radix_sort_onesweep_config_selectorIflEEZZNS1_29radix_sort_onesweep_iterationIS3_Lb0EPfS7_N6thrust23THRUST_200600_302600_NS10device_ptrIlEESB_jNS0_19identity_decomposerENS1_16block_id_wrapperIjLb1EEEEE10hipError_tT1_PNSt15iterator_traitsISG_E10value_typeET2_T3_PNSH_ISM_E10value_typeET4_T5_PSR_SS_PNS1_23onesweep_lookback_stateEbbT6_jjT7_P12ihipStream_tbENKUlT_T0_SG_SL_E_clIS7_S7_SB_SB_EEDaSZ_S10_SG_SL_EUlSZ_E_NS1_11comp_targetILNS1_3genE10ELNS1_11target_archE1201ELNS1_3gpuE5ELNS1_3repE0EEENS1_47radix_sort_onesweep_sort_config_static_selectorELNS0_4arch9wavefront6targetE1EEEvSG_.kd
    .uniform_work_group_size: 1
    .uses_dynamic_stack: false
    .vgpr_count:     0
    .vgpr_spill_count: 0
    .wavefront_size: 64
  - .args:
      - .offset:         0
        .size:           88
        .value_kind:     by_value
    .group_segment_fixed_size: 0
    .kernarg_segment_align: 8
    .kernarg_segment_size: 88
    .language:       OpenCL C
    .language_version:
      - 2
      - 0
    .max_flat_workgroup_size: 1024
    .name:           _ZN7rocprim17ROCPRIM_400000_NS6detail17trampoline_kernelINS0_14default_configENS1_35radix_sort_onesweep_config_selectorIflEEZZNS1_29radix_sort_onesweep_iterationIS3_Lb0EPfS7_N6thrust23THRUST_200600_302600_NS10device_ptrIlEESB_jNS0_19identity_decomposerENS1_16block_id_wrapperIjLb1EEEEE10hipError_tT1_PNSt15iterator_traitsISG_E10value_typeET2_T3_PNSH_ISM_E10value_typeET4_T5_PSR_SS_PNS1_23onesweep_lookback_stateEbbT6_jjT7_P12ihipStream_tbENKUlT_T0_SG_SL_E_clIS7_S7_SB_SB_EEDaSZ_S10_SG_SL_EUlSZ_E_NS1_11comp_targetILNS1_3genE9ELNS1_11target_archE1100ELNS1_3gpuE3ELNS1_3repE0EEENS1_47radix_sort_onesweep_sort_config_static_selectorELNS0_4arch9wavefront6targetE1EEEvSG_
    .private_segment_fixed_size: 0
    .sgpr_count:     4
    .sgpr_spill_count: 0
    .symbol:         _ZN7rocprim17ROCPRIM_400000_NS6detail17trampoline_kernelINS0_14default_configENS1_35radix_sort_onesweep_config_selectorIflEEZZNS1_29radix_sort_onesweep_iterationIS3_Lb0EPfS7_N6thrust23THRUST_200600_302600_NS10device_ptrIlEESB_jNS0_19identity_decomposerENS1_16block_id_wrapperIjLb1EEEEE10hipError_tT1_PNSt15iterator_traitsISG_E10value_typeET2_T3_PNSH_ISM_E10value_typeET4_T5_PSR_SS_PNS1_23onesweep_lookback_stateEbbT6_jjT7_P12ihipStream_tbENKUlT_T0_SG_SL_E_clIS7_S7_SB_SB_EEDaSZ_S10_SG_SL_EUlSZ_E_NS1_11comp_targetILNS1_3genE9ELNS1_11target_archE1100ELNS1_3gpuE3ELNS1_3repE0EEENS1_47radix_sort_onesweep_sort_config_static_selectorELNS0_4arch9wavefront6targetE1EEEvSG_.kd
    .uniform_work_group_size: 1
    .uses_dynamic_stack: false
    .vgpr_count:     0
    .vgpr_spill_count: 0
    .wavefront_size: 64
  - .args:
      - .offset:         0
        .size:           88
        .value_kind:     by_value
    .group_segment_fixed_size: 0
    .kernarg_segment_align: 8
    .kernarg_segment_size: 88
    .language:       OpenCL C
    .language_version:
      - 2
      - 0
    .max_flat_workgroup_size: 1024
    .name:           _ZN7rocprim17ROCPRIM_400000_NS6detail17trampoline_kernelINS0_14default_configENS1_35radix_sort_onesweep_config_selectorIflEEZZNS1_29radix_sort_onesweep_iterationIS3_Lb0EPfS7_N6thrust23THRUST_200600_302600_NS10device_ptrIlEESB_jNS0_19identity_decomposerENS1_16block_id_wrapperIjLb1EEEEE10hipError_tT1_PNSt15iterator_traitsISG_E10value_typeET2_T3_PNSH_ISM_E10value_typeET4_T5_PSR_SS_PNS1_23onesweep_lookback_stateEbbT6_jjT7_P12ihipStream_tbENKUlT_T0_SG_SL_E_clIS7_S7_SB_SB_EEDaSZ_S10_SG_SL_EUlSZ_E_NS1_11comp_targetILNS1_3genE8ELNS1_11target_archE1030ELNS1_3gpuE2ELNS1_3repE0EEENS1_47radix_sort_onesweep_sort_config_static_selectorELNS0_4arch9wavefront6targetE1EEEvSG_
    .private_segment_fixed_size: 0
    .sgpr_count:     4
    .sgpr_spill_count: 0
    .symbol:         _ZN7rocprim17ROCPRIM_400000_NS6detail17trampoline_kernelINS0_14default_configENS1_35radix_sort_onesweep_config_selectorIflEEZZNS1_29radix_sort_onesweep_iterationIS3_Lb0EPfS7_N6thrust23THRUST_200600_302600_NS10device_ptrIlEESB_jNS0_19identity_decomposerENS1_16block_id_wrapperIjLb1EEEEE10hipError_tT1_PNSt15iterator_traitsISG_E10value_typeET2_T3_PNSH_ISM_E10value_typeET4_T5_PSR_SS_PNS1_23onesweep_lookback_stateEbbT6_jjT7_P12ihipStream_tbENKUlT_T0_SG_SL_E_clIS7_S7_SB_SB_EEDaSZ_S10_SG_SL_EUlSZ_E_NS1_11comp_targetILNS1_3genE8ELNS1_11target_archE1030ELNS1_3gpuE2ELNS1_3repE0EEENS1_47radix_sort_onesweep_sort_config_static_selectorELNS0_4arch9wavefront6targetE1EEEvSG_.kd
    .uniform_work_group_size: 1
    .uses_dynamic_stack: false
    .vgpr_count:     0
    .vgpr_spill_count: 0
    .wavefront_size: 64
  - .args:
      - .offset:         0
        .size:           88
        .value_kind:     by_value
    .group_segment_fixed_size: 0
    .kernarg_segment_align: 8
    .kernarg_segment_size: 88
    .language:       OpenCL C
    .language_version:
      - 2
      - 0
    .max_flat_workgroup_size: 512
    .name:           _ZN7rocprim17ROCPRIM_400000_NS6detail17trampoline_kernelINS0_14default_configENS1_35radix_sort_onesweep_config_selectorIflEEZZNS1_29radix_sort_onesweep_iterationIS3_Lb0EPfS7_N6thrust23THRUST_200600_302600_NS10device_ptrIlEESB_jNS0_19identity_decomposerENS1_16block_id_wrapperIjLb1EEEEE10hipError_tT1_PNSt15iterator_traitsISG_E10value_typeET2_T3_PNSH_ISM_E10value_typeET4_T5_PSR_SS_PNS1_23onesweep_lookback_stateEbbT6_jjT7_P12ihipStream_tbENKUlT_T0_SG_SL_E_clIS7_S7_SB_PlEEDaSZ_S10_SG_SL_EUlSZ_E_NS1_11comp_targetILNS1_3genE0ELNS1_11target_archE4294967295ELNS1_3gpuE0ELNS1_3repE0EEENS1_47radix_sort_onesweep_sort_config_static_selectorELNS0_4arch9wavefront6targetE1EEEvSG_
    .private_segment_fixed_size: 0
    .sgpr_count:     4
    .sgpr_spill_count: 0
    .symbol:         _ZN7rocprim17ROCPRIM_400000_NS6detail17trampoline_kernelINS0_14default_configENS1_35radix_sort_onesweep_config_selectorIflEEZZNS1_29radix_sort_onesweep_iterationIS3_Lb0EPfS7_N6thrust23THRUST_200600_302600_NS10device_ptrIlEESB_jNS0_19identity_decomposerENS1_16block_id_wrapperIjLb1EEEEE10hipError_tT1_PNSt15iterator_traitsISG_E10value_typeET2_T3_PNSH_ISM_E10value_typeET4_T5_PSR_SS_PNS1_23onesweep_lookback_stateEbbT6_jjT7_P12ihipStream_tbENKUlT_T0_SG_SL_E_clIS7_S7_SB_PlEEDaSZ_S10_SG_SL_EUlSZ_E_NS1_11comp_targetILNS1_3genE0ELNS1_11target_archE4294967295ELNS1_3gpuE0ELNS1_3repE0EEENS1_47radix_sort_onesweep_sort_config_static_selectorELNS0_4arch9wavefront6targetE1EEEvSG_.kd
    .uniform_work_group_size: 1
    .uses_dynamic_stack: false
    .vgpr_count:     0
    .vgpr_spill_count: 0
    .wavefront_size: 64
  - .args:
      - .offset:         0
        .size:           88
        .value_kind:     by_value
    .group_segment_fixed_size: 0
    .kernarg_segment_align: 8
    .kernarg_segment_size: 88
    .language:       OpenCL C
    .language_version:
      - 2
      - 0
    .max_flat_workgroup_size: 512
    .name:           _ZN7rocprim17ROCPRIM_400000_NS6detail17trampoline_kernelINS0_14default_configENS1_35radix_sort_onesweep_config_selectorIflEEZZNS1_29radix_sort_onesweep_iterationIS3_Lb0EPfS7_N6thrust23THRUST_200600_302600_NS10device_ptrIlEESB_jNS0_19identity_decomposerENS1_16block_id_wrapperIjLb1EEEEE10hipError_tT1_PNSt15iterator_traitsISG_E10value_typeET2_T3_PNSH_ISM_E10value_typeET4_T5_PSR_SS_PNS1_23onesweep_lookback_stateEbbT6_jjT7_P12ihipStream_tbENKUlT_T0_SG_SL_E_clIS7_S7_SB_PlEEDaSZ_S10_SG_SL_EUlSZ_E_NS1_11comp_targetILNS1_3genE6ELNS1_11target_archE950ELNS1_3gpuE13ELNS1_3repE0EEENS1_47radix_sort_onesweep_sort_config_static_selectorELNS0_4arch9wavefront6targetE1EEEvSG_
    .private_segment_fixed_size: 0
    .sgpr_count:     4
    .sgpr_spill_count: 0
    .symbol:         _ZN7rocprim17ROCPRIM_400000_NS6detail17trampoline_kernelINS0_14default_configENS1_35radix_sort_onesweep_config_selectorIflEEZZNS1_29radix_sort_onesweep_iterationIS3_Lb0EPfS7_N6thrust23THRUST_200600_302600_NS10device_ptrIlEESB_jNS0_19identity_decomposerENS1_16block_id_wrapperIjLb1EEEEE10hipError_tT1_PNSt15iterator_traitsISG_E10value_typeET2_T3_PNSH_ISM_E10value_typeET4_T5_PSR_SS_PNS1_23onesweep_lookback_stateEbbT6_jjT7_P12ihipStream_tbENKUlT_T0_SG_SL_E_clIS7_S7_SB_PlEEDaSZ_S10_SG_SL_EUlSZ_E_NS1_11comp_targetILNS1_3genE6ELNS1_11target_archE950ELNS1_3gpuE13ELNS1_3repE0EEENS1_47radix_sort_onesweep_sort_config_static_selectorELNS0_4arch9wavefront6targetE1EEEvSG_.kd
    .uniform_work_group_size: 1
    .uses_dynamic_stack: false
    .vgpr_count:     0
    .vgpr_spill_count: 0
    .wavefront_size: 64
  - .args:
      - .offset:         0
        .size:           88
        .value_kind:     by_value
    .group_segment_fixed_size: 0
    .kernarg_segment_align: 8
    .kernarg_segment_size: 88
    .language:       OpenCL C
    .language_version:
      - 2
      - 0
    .max_flat_workgroup_size: 512
    .name:           _ZN7rocprim17ROCPRIM_400000_NS6detail17trampoline_kernelINS0_14default_configENS1_35radix_sort_onesweep_config_selectorIflEEZZNS1_29radix_sort_onesweep_iterationIS3_Lb0EPfS7_N6thrust23THRUST_200600_302600_NS10device_ptrIlEESB_jNS0_19identity_decomposerENS1_16block_id_wrapperIjLb1EEEEE10hipError_tT1_PNSt15iterator_traitsISG_E10value_typeET2_T3_PNSH_ISM_E10value_typeET4_T5_PSR_SS_PNS1_23onesweep_lookback_stateEbbT6_jjT7_P12ihipStream_tbENKUlT_T0_SG_SL_E_clIS7_S7_SB_PlEEDaSZ_S10_SG_SL_EUlSZ_E_NS1_11comp_targetILNS1_3genE5ELNS1_11target_archE942ELNS1_3gpuE9ELNS1_3repE0EEENS1_47radix_sort_onesweep_sort_config_static_selectorELNS0_4arch9wavefront6targetE1EEEvSG_
    .private_segment_fixed_size: 0
    .sgpr_count:     4
    .sgpr_spill_count: 0
    .symbol:         _ZN7rocprim17ROCPRIM_400000_NS6detail17trampoline_kernelINS0_14default_configENS1_35radix_sort_onesweep_config_selectorIflEEZZNS1_29radix_sort_onesweep_iterationIS3_Lb0EPfS7_N6thrust23THRUST_200600_302600_NS10device_ptrIlEESB_jNS0_19identity_decomposerENS1_16block_id_wrapperIjLb1EEEEE10hipError_tT1_PNSt15iterator_traitsISG_E10value_typeET2_T3_PNSH_ISM_E10value_typeET4_T5_PSR_SS_PNS1_23onesweep_lookback_stateEbbT6_jjT7_P12ihipStream_tbENKUlT_T0_SG_SL_E_clIS7_S7_SB_PlEEDaSZ_S10_SG_SL_EUlSZ_E_NS1_11comp_targetILNS1_3genE5ELNS1_11target_archE942ELNS1_3gpuE9ELNS1_3repE0EEENS1_47radix_sort_onesweep_sort_config_static_selectorELNS0_4arch9wavefront6targetE1EEEvSG_.kd
    .uniform_work_group_size: 1
    .uses_dynamic_stack: false
    .vgpr_count:     0
    .vgpr_spill_count: 0
    .wavefront_size: 64
  - .args:
      - .offset:         0
        .size:           88
        .value_kind:     by_value
      - .offset:         88
        .size:           4
        .value_kind:     hidden_block_count_x
      - .offset:         92
        .size:           4
        .value_kind:     hidden_block_count_y
      - .offset:         96
        .size:           4
        .value_kind:     hidden_block_count_z
      - .offset:         100
        .size:           2
        .value_kind:     hidden_group_size_x
      - .offset:         102
        .size:           2
        .value_kind:     hidden_group_size_y
      - .offset:         104
        .size:           2
        .value_kind:     hidden_group_size_z
      - .offset:         106
        .size:           2
        .value_kind:     hidden_remainder_x
      - .offset:         108
        .size:           2
        .value_kind:     hidden_remainder_y
      - .offset:         110
        .size:           2
        .value_kind:     hidden_remainder_z
      - .offset:         128
        .size:           8
        .value_kind:     hidden_global_offset_x
      - .offset:         136
        .size:           8
        .value_kind:     hidden_global_offset_y
      - .offset:         144
        .size:           8
        .value_kind:     hidden_global_offset_z
      - .offset:         152
        .size:           2
        .value_kind:     hidden_grid_dims
    .group_segment_fixed_size: 10280
    .kernarg_segment_align: 8
    .kernarg_segment_size: 344
    .language:       OpenCL C
    .language_version:
      - 2
      - 0
    .max_flat_workgroup_size: 512
    .name:           _ZN7rocprim17ROCPRIM_400000_NS6detail17trampoline_kernelINS0_14default_configENS1_35radix_sort_onesweep_config_selectorIflEEZZNS1_29radix_sort_onesweep_iterationIS3_Lb0EPfS7_N6thrust23THRUST_200600_302600_NS10device_ptrIlEESB_jNS0_19identity_decomposerENS1_16block_id_wrapperIjLb1EEEEE10hipError_tT1_PNSt15iterator_traitsISG_E10value_typeET2_T3_PNSH_ISM_E10value_typeET4_T5_PSR_SS_PNS1_23onesweep_lookback_stateEbbT6_jjT7_P12ihipStream_tbENKUlT_T0_SG_SL_E_clIS7_S7_SB_PlEEDaSZ_S10_SG_SL_EUlSZ_E_NS1_11comp_targetILNS1_3genE2ELNS1_11target_archE906ELNS1_3gpuE6ELNS1_3repE0EEENS1_47radix_sort_onesweep_sort_config_static_selectorELNS0_4arch9wavefront6targetE1EEEvSG_
    .private_segment_fixed_size: 48
    .sgpr_count:     64
    .sgpr_spill_count: 0
    .symbol:         _ZN7rocprim17ROCPRIM_400000_NS6detail17trampoline_kernelINS0_14default_configENS1_35radix_sort_onesweep_config_selectorIflEEZZNS1_29radix_sort_onesweep_iterationIS3_Lb0EPfS7_N6thrust23THRUST_200600_302600_NS10device_ptrIlEESB_jNS0_19identity_decomposerENS1_16block_id_wrapperIjLb1EEEEE10hipError_tT1_PNSt15iterator_traitsISG_E10value_typeET2_T3_PNSH_ISM_E10value_typeET4_T5_PSR_SS_PNS1_23onesweep_lookback_stateEbbT6_jjT7_P12ihipStream_tbENKUlT_T0_SG_SL_E_clIS7_S7_SB_PlEEDaSZ_S10_SG_SL_EUlSZ_E_NS1_11comp_targetILNS1_3genE2ELNS1_11target_archE906ELNS1_3gpuE6ELNS1_3repE0EEENS1_47radix_sort_onesweep_sort_config_static_selectorELNS0_4arch9wavefront6targetE1EEEvSG_.kd
    .uniform_work_group_size: 1
    .uses_dynamic_stack: false
    .vgpr_count:     58
    .vgpr_spill_count: 0
    .wavefront_size: 64
  - .args:
      - .offset:         0
        .size:           88
        .value_kind:     by_value
    .group_segment_fixed_size: 0
    .kernarg_segment_align: 8
    .kernarg_segment_size: 88
    .language:       OpenCL C
    .language_version:
      - 2
      - 0
    .max_flat_workgroup_size: 1024
    .name:           _ZN7rocprim17ROCPRIM_400000_NS6detail17trampoline_kernelINS0_14default_configENS1_35radix_sort_onesweep_config_selectorIflEEZZNS1_29radix_sort_onesweep_iterationIS3_Lb0EPfS7_N6thrust23THRUST_200600_302600_NS10device_ptrIlEESB_jNS0_19identity_decomposerENS1_16block_id_wrapperIjLb1EEEEE10hipError_tT1_PNSt15iterator_traitsISG_E10value_typeET2_T3_PNSH_ISM_E10value_typeET4_T5_PSR_SS_PNS1_23onesweep_lookback_stateEbbT6_jjT7_P12ihipStream_tbENKUlT_T0_SG_SL_E_clIS7_S7_SB_PlEEDaSZ_S10_SG_SL_EUlSZ_E_NS1_11comp_targetILNS1_3genE4ELNS1_11target_archE910ELNS1_3gpuE8ELNS1_3repE0EEENS1_47radix_sort_onesweep_sort_config_static_selectorELNS0_4arch9wavefront6targetE1EEEvSG_
    .private_segment_fixed_size: 0
    .sgpr_count:     4
    .sgpr_spill_count: 0
    .symbol:         _ZN7rocprim17ROCPRIM_400000_NS6detail17trampoline_kernelINS0_14default_configENS1_35radix_sort_onesweep_config_selectorIflEEZZNS1_29radix_sort_onesweep_iterationIS3_Lb0EPfS7_N6thrust23THRUST_200600_302600_NS10device_ptrIlEESB_jNS0_19identity_decomposerENS1_16block_id_wrapperIjLb1EEEEE10hipError_tT1_PNSt15iterator_traitsISG_E10value_typeET2_T3_PNSH_ISM_E10value_typeET4_T5_PSR_SS_PNS1_23onesweep_lookback_stateEbbT6_jjT7_P12ihipStream_tbENKUlT_T0_SG_SL_E_clIS7_S7_SB_PlEEDaSZ_S10_SG_SL_EUlSZ_E_NS1_11comp_targetILNS1_3genE4ELNS1_11target_archE910ELNS1_3gpuE8ELNS1_3repE0EEENS1_47radix_sort_onesweep_sort_config_static_selectorELNS0_4arch9wavefront6targetE1EEEvSG_.kd
    .uniform_work_group_size: 1
    .uses_dynamic_stack: false
    .vgpr_count:     0
    .vgpr_spill_count: 0
    .wavefront_size: 64
  - .args:
      - .offset:         0
        .size:           88
        .value_kind:     by_value
    .group_segment_fixed_size: 0
    .kernarg_segment_align: 8
    .kernarg_segment_size: 88
    .language:       OpenCL C
    .language_version:
      - 2
      - 0
    .max_flat_workgroup_size: 512
    .name:           _ZN7rocprim17ROCPRIM_400000_NS6detail17trampoline_kernelINS0_14default_configENS1_35radix_sort_onesweep_config_selectorIflEEZZNS1_29radix_sort_onesweep_iterationIS3_Lb0EPfS7_N6thrust23THRUST_200600_302600_NS10device_ptrIlEESB_jNS0_19identity_decomposerENS1_16block_id_wrapperIjLb1EEEEE10hipError_tT1_PNSt15iterator_traitsISG_E10value_typeET2_T3_PNSH_ISM_E10value_typeET4_T5_PSR_SS_PNS1_23onesweep_lookback_stateEbbT6_jjT7_P12ihipStream_tbENKUlT_T0_SG_SL_E_clIS7_S7_SB_PlEEDaSZ_S10_SG_SL_EUlSZ_E_NS1_11comp_targetILNS1_3genE3ELNS1_11target_archE908ELNS1_3gpuE7ELNS1_3repE0EEENS1_47radix_sort_onesweep_sort_config_static_selectorELNS0_4arch9wavefront6targetE1EEEvSG_
    .private_segment_fixed_size: 0
    .sgpr_count:     4
    .sgpr_spill_count: 0
    .symbol:         _ZN7rocprim17ROCPRIM_400000_NS6detail17trampoline_kernelINS0_14default_configENS1_35radix_sort_onesweep_config_selectorIflEEZZNS1_29radix_sort_onesweep_iterationIS3_Lb0EPfS7_N6thrust23THRUST_200600_302600_NS10device_ptrIlEESB_jNS0_19identity_decomposerENS1_16block_id_wrapperIjLb1EEEEE10hipError_tT1_PNSt15iterator_traitsISG_E10value_typeET2_T3_PNSH_ISM_E10value_typeET4_T5_PSR_SS_PNS1_23onesweep_lookback_stateEbbT6_jjT7_P12ihipStream_tbENKUlT_T0_SG_SL_E_clIS7_S7_SB_PlEEDaSZ_S10_SG_SL_EUlSZ_E_NS1_11comp_targetILNS1_3genE3ELNS1_11target_archE908ELNS1_3gpuE7ELNS1_3repE0EEENS1_47radix_sort_onesweep_sort_config_static_selectorELNS0_4arch9wavefront6targetE1EEEvSG_.kd
    .uniform_work_group_size: 1
    .uses_dynamic_stack: false
    .vgpr_count:     0
    .vgpr_spill_count: 0
    .wavefront_size: 64
  - .args:
      - .offset:         0
        .size:           88
        .value_kind:     by_value
    .group_segment_fixed_size: 0
    .kernarg_segment_align: 8
    .kernarg_segment_size: 88
    .language:       OpenCL C
    .language_version:
      - 2
      - 0
    .max_flat_workgroup_size: 1024
    .name:           _ZN7rocprim17ROCPRIM_400000_NS6detail17trampoline_kernelINS0_14default_configENS1_35radix_sort_onesweep_config_selectorIflEEZZNS1_29radix_sort_onesweep_iterationIS3_Lb0EPfS7_N6thrust23THRUST_200600_302600_NS10device_ptrIlEESB_jNS0_19identity_decomposerENS1_16block_id_wrapperIjLb1EEEEE10hipError_tT1_PNSt15iterator_traitsISG_E10value_typeET2_T3_PNSH_ISM_E10value_typeET4_T5_PSR_SS_PNS1_23onesweep_lookback_stateEbbT6_jjT7_P12ihipStream_tbENKUlT_T0_SG_SL_E_clIS7_S7_SB_PlEEDaSZ_S10_SG_SL_EUlSZ_E_NS1_11comp_targetILNS1_3genE10ELNS1_11target_archE1201ELNS1_3gpuE5ELNS1_3repE0EEENS1_47radix_sort_onesweep_sort_config_static_selectorELNS0_4arch9wavefront6targetE1EEEvSG_
    .private_segment_fixed_size: 0
    .sgpr_count:     4
    .sgpr_spill_count: 0
    .symbol:         _ZN7rocprim17ROCPRIM_400000_NS6detail17trampoline_kernelINS0_14default_configENS1_35radix_sort_onesweep_config_selectorIflEEZZNS1_29radix_sort_onesweep_iterationIS3_Lb0EPfS7_N6thrust23THRUST_200600_302600_NS10device_ptrIlEESB_jNS0_19identity_decomposerENS1_16block_id_wrapperIjLb1EEEEE10hipError_tT1_PNSt15iterator_traitsISG_E10value_typeET2_T3_PNSH_ISM_E10value_typeET4_T5_PSR_SS_PNS1_23onesweep_lookback_stateEbbT6_jjT7_P12ihipStream_tbENKUlT_T0_SG_SL_E_clIS7_S7_SB_PlEEDaSZ_S10_SG_SL_EUlSZ_E_NS1_11comp_targetILNS1_3genE10ELNS1_11target_archE1201ELNS1_3gpuE5ELNS1_3repE0EEENS1_47radix_sort_onesweep_sort_config_static_selectorELNS0_4arch9wavefront6targetE1EEEvSG_.kd
    .uniform_work_group_size: 1
    .uses_dynamic_stack: false
    .vgpr_count:     0
    .vgpr_spill_count: 0
    .wavefront_size: 64
  - .args:
      - .offset:         0
        .size:           88
        .value_kind:     by_value
    .group_segment_fixed_size: 0
    .kernarg_segment_align: 8
    .kernarg_segment_size: 88
    .language:       OpenCL C
    .language_version:
      - 2
      - 0
    .max_flat_workgroup_size: 1024
    .name:           _ZN7rocprim17ROCPRIM_400000_NS6detail17trampoline_kernelINS0_14default_configENS1_35radix_sort_onesweep_config_selectorIflEEZZNS1_29radix_sort_onesweep_iterationIS3_Lb0EPfS7_N6thrust23THRUST_200600_302600_NS10device_ptrIlEESB_jNS0_19identity_decomposerENS1_16block_id_wrapperIjLb1EEEEE10hipError_tT1_PNSt15iterator_traitsISG_E10value_typeET2_T3_PNSH_ISM_E10value_typeET4_T5_PSR_SS_PNS1_23onesweep_lookback_stateEbbT6_jjT7_P12ihipStream_tbENKUlT_T0_SG_SL_E_clIS7_S7_SB_PlEEDaSZ_S10_SG_SL_EUlSZ_E_NS1_11comp_targetILNS1_3genE9ELNS1_11target_archE1100ELNS1_3gpuE3ELNS1_3repE0EEENS1_47radix_sort_onesweep_sort_config_static_selectorELNS0_4arch9wavefront6targetE1EEEvSG_
    .private_segment_fixed_size: 0
    .sgpr_count:     4
    .sgpr_spill_count: 0
    .symbol:         _ZN7rocprim17ROCPRIM_400000_NS6detail17trampoline_kernelINS0_14default_configENS1_35radix_sort_onesweep_config_selectorIflEEZZNS1_29radix_sort_onesweep_iterationIS3_Lb0EPfS7_N6thrust23THRUST_200600_302600_NS10device_ptrIlEESB_jNS0_19identity_decomposerENS1_16block_id_wrapperIjLb1EEEEE10hipError_tT1_PNSt15iterator_traitsISG_E10value_typeET2_T3_PNSH_ISM_E10value_typeET4_T5_PSR_SS_PNS1_23onesweep_lookback_stateEbbT6_jjT7_P12ihipStream_tbENKUlT_T0_SG_SL_E_clIS7_S7_SB_PlEEDaSZ_S10_SG_SL_EUlSZ_E_NS1_11comp_targetILNS1_3genE9ELNS1_11target_archE1100ELNS1_3gpuE3ELNS1_3repE0EEENS1_47radix_sort_onesweep_sort_config_static_selectorELNS0_4arch9wavefront6targetE1EEEvSG_.kd
    .uniform_work_group_size: 1
    .uses_dynamic_stack: false
    .vgpr_count:     0
    .vgpr_spill_count: 0
    .wavefront_size: 64
  - .args:
      - .offset:         0
        .size:           88
        .value_kind:     by_value
    .group_segment_fixed_size: 0
    .kernarg_segment_align: 8
    .kernarg_segment_size: 88
    .language:       OpenCL C
    .language_version:
      - 2
      - 0
    .max_flat_workgroup_size: 1024
    .name:           _ZN7rocprim17ROCPRIM_400000_NS6detail17trampoline_kernelINS0_14default_configENS1_35radix_sort_onesweep_config_selectorIflEEZZNS1_29radix_sort_onesweep_iterationIS3_Lb0EPfS7_N6thrust23THRUST_200600_302600_NS10device_ptrIlEESB_jNS0_19identity_decomposerENS1_16block_id_wrapperIjLb1EEEEE10hipError_tT1_PNSt15iterator_traitsISG_E10value_typeET2_T3_PNSH_ISM_E10value_typeET4_T5_PSR_SS_PNS1_23onesweep_lookback_stateEbbT6_jjT7_P12ihipStream_tbENKUlT_T0_SG_SL_E_clIS7_S7_SB_PlEEDaSZ_S10_SG_SL_EUlSZ_E_NS1_11comp_targetILNS1_3genE8ELNS1_11target_archE1030ELNS1_3gpuE2ELNS1_3repE0EEENS1_47radix_sort_onesweep_sort_config_static_selectorELNS0_4arch9wavefront6targetE1EEEvSG_
    .private_segment_fixed_size: 0
    .sgpr_count:     4
    .sgpr_spill_count: 0
    .symbol:         _ZN7rocprim17ROCPRIM_400000_NS6detail17trampoline_kernelINS0_14default_configENS1_35radix_sort_onesweep_config_selectorIflEEZZNS1_29radix_sort_onesweep_iterationIS3_Lb0EPfS7_N6thrust23THRUST_200600_302600_NS10device_ptrIlEESB_jNS0_19identity_decomposerENS1_16block_id_wrapperIjLb1EEEEE10hipError_tT1_PNSt15iterator_traitsISG_E10value_typeET2_T3_PNSH_ISM_E10value_typeET4_T5_PSR_SS_PNS1_23onesweep_lookback_stateEbbT6_jjT7_P12ihipStream_tbENKUlT_T0_SG_SL_E_clIS7_S7_SB_PlEEDaSZ_S10_SG_SL_EUlSZ_E_NS1_11comp_targetILNS1_3genE8ELNS1_11target_archE1030ELNS1_3gpuE2ELNS1_3repE0EEENS1_47radix_sort_onesweep_sort_config_static_selectorELNS0_4arch9wavefront6targetE1EEEvSG_.kd
    .uniform_work_group_size: 1
    .uses_dynamic_stack: false
    .vgpr_count:     0
    .vgpr_spill_count: 0
    .wavefront_size: 64
  - .args:
      - .offset:         0
        .size:           88
        .value_kind:     by_value
    .group_segment_fixed_size: 0
    .kernarg_segment_align: 8
    .kernarg_segment_size: 88
    .language:       OpenCL C
    .language_version:
      - 2
      - 0
    .max_flat_workgroup_size: 512
    .name:           _ZN7rocprim17ROCPRIM_400000_NS6detail17trampoline_kernelINS0_14default_configENS1_35radix_sort_onesweep_config_selectorIflEEZZNS1_29radix_sort_onesweep_iterationIS3_Lb0EPfS7_N6thrust23THRUST_200600_302600_NS10device_ptrIlEESB_jNS0_19identity_decomposerENS1_16block_id_wrapperIjLb1EEEEE10hipError_tT1_PNSt15iterator_traitsISG_E10value_typeET2_T3_PNSH_ISM_E10value_typeET4_T5_PSR_SS_PNS1_23onesweep_lookback_stateEbbT6_jjT7_P12ihipStream_tbENKUlT_T0_SG_SL_E_clIS7_S7_PlSB_EEDaSZ_S10_SG_SL_EUlSZ_E_NS1_11comp_targetILNS1_3genE0ELNS1_11target_archE4294967295ELNS1_3gpuE0ELNS1_3repE0EEENS1_47radix_sort_onesweep_sort_config_static_selectorELNS0_4arch9wavefront6targetE1EEEvSG_
    .private_segment_fixed_size: 0
    .sgpr_count:     4
    .sgpr_spill_count: 0
    .symbol:         _ZN7rocprim17ROCPRIM_400000_NS6detail17trampoline_kernelINS0_14default_configENS1_35radix_sort_onesweep_config_selectorIflEEZZNS1_29radix_sort_onesweep_iterationIS3_Lb0EPfS7_N6thrust23THRUST_200600_302600_NS10device_ptrIlEESB_jNS0_19identity_decomposerENS1_16block_id_wrapperIjLb1EEEEE10hipError_tT1_PNSt15iterator_traitsISG_E10value_typeET2_T3_PNSH_ISM_E10value_typeET4_T5_PSR_SS_PNS1_23onesweep_lookback_stateEbbT6_jjT7_P12ihipStream_tbENKUlT_T0_SG_SL_E_clIS7_S7_PlSB_EEDaSZ_S10_SG_SL_EUlSZ_E_NS1_11comp_targetILNS1_3genE0ELNS1_11target_archE4294967295ELNS1_3gpuE0ELNS1_3repE0EEENS1_47radix_sort_onesweep_sort_config_static_selectorELNS0_4arch9wavefront6targetE1EEEvSG_.kd
    .uniform_work_group_size: 1
    .uses_dynamic_stack: false
    .vgpr_count:     0
    .vgpr_spill_count: 0
    .wavefront_size: 64
  - .args:
      - .offset:         0
        .size:           88
        .value_kind:     by_value
    .group_segment_fixed_size: 0
    .kernarg_segment_align: 8
    .kernarg_segment_size: 88
    .language:       OpenCL C
    .language_version:
      - 2
      - 0
    .max_flat_workgroup_size: 512
    .name:           _ZN7rocprim17ROCPRIM_400000_NS6detail17trampoline_kernelINS0_14default_configENS1_35radix_sort_onesweep_config_selectorIflEEZZNS1_29radix_sort_onesweep_iterationIS3_Lb0EPfS7_N6thrust23THRUST_200600_302600_NS10device_ptrIlEESB_jNS0_19identity_decomposerENS1_16block_id_wrapperIjLb1EEEEE10hipError_tT1_PNSt15iterator_traitsISG_E10value_typeET2_T3_PNSH_ISM_E10value_typeET4_T5_PSR_SS_PNS1_23onesweep_lookback_stateEbbT6_jjT7_P12ihipStream_tbENKUlT_T0_SG_SL_E_clIS7_S7_PlSB_EEDaSZ_S10_SG_SL_EUlSZ_E_NS1_11comp_targetILNS1_3genE6ELNS1_11target_archE950ELNS1_3gpuE13ELNS1_3repE0EEENS1_47radix_sort_onesweep_sort_config_static_selectorELNS0_4arch9wavefront6targetE1EEEvSG_
    .private_segment_fixed_size: 0
    .sgpr_count:     4
    .sgpr_spill_count: 0
    .symbol:         _ZN7rocprim17ROCPRIM_400000_NS6detail17trampoline_kernelINS0_14default_configENS1_35radix_sort_onesweep_config_selectorIflEEZZNS1_29radix_sort_onesweep_iterationIS3_Lb0EPfS7_N6thrust23THRUST_200600_302600_NS10device_ptrIlEESB_jNS0_19identity_decomposerENS1_16block_id_wrapperIjLb1EEEEE10hipError_tT1_PNSt15iterator_traitsISG_E10value_typeET2_T3_PNSH_ISM_E10value_typeET4_T5_PSR_SS_PNS1_23onesweep_lookback_stateEbbT6_jjT7_P12ihipStream_tbENKUlT_T0_SG_SL_E_clIS7_S7_PlSB_EEDaSZ_S10_SG_SL_EUlSZ_E_NS1_11comp_targetILNS1_3genE6ELNS1_11target_archE950ELNS1_3gpuE13ELNS1_3repE0EEENS1_47radix_sort_onesweep_sort_config_static_selectorELNS0_4arch9wavefront6targetE1EEEvSG_.kd
    .uniform_work_group_size: 1
    .uses_dynamic_stack: false
    .vgpr_count:     0
    .vgpr_spill_count: 0
    .wavefront_size: 64
  - .args:
      - .offset:         0
        .size:           88
        .value_kind:     by_value
    .group_segment_fixed_size: 0
    .kernarg_segment_align: 8
    .kernarg_segment_size: 88
    .language:       OpenCL C
    .language_version:
      - 2
      - 0
    .max_flat_workgroup_size: 512
    .name:           _ZN7rocprim17ROCPRIM_400000_NS6detail17trampoline_kernelINS0_14default_configENS1_35radix_sort_onesweep_config_selectorIflEEZZNS1_29radix_sort_onesweep_iterationIS3_Lb0EPfS7_N6thrust23THRUST_200600_302600_NS10device_ptrIlEESB_jNS0_19identity_decomposerENS1_16block_id_wrapperIjLb1EEEEE10hipError_tT1_PNSt15iterator_traitsISG_E10value_typeET2_T3_PNSH_ISM_E10value_typeET4_T5_PSR_SS_PNS1_23onesweep_lookback_stateEbbT6_jjT7_P12ihipStream_tbENKUlT_T0_SG_SL_E_clIS7_S7_PlSB_EEDaSZ_S10_SG_SL_EUlSZ_E_NS1_11comp_targetILNS1_3genE5ELNS1_11target_archE942ELNS1_3gpuE9ELNS1_3repE0EEENS1_47radix_sort_onesweep_sort_config_static_selectorELNS0_4arch9wavefront6targetE1EEEvSG_
    .private_segment_fixed_size: 0
    .sgpr_count:     4
    .sgpr_spill_count: 0
    .symbol:         _ZN7rocprim17ROCPRIM_400000_NS6detail17trampoline_kernelINS0_14default_configENS1_35radix_sort_onesweep_config_selectorIflEEZZNS1_29radix_sort_onesweep_iterationIS3_Lb0EPfS7_N6thrust23THRUST_200600_302600_NS10device_ptrIlEESB_jNS0_19identity_decomposerENS1_16block_id_wrapperIjLb1EEEEE10hipError_tT1_PNSt15iterator_traitsISG_E10value_typeET2_T3_PNSH_ISM_E10value_typeET4_T5_PSR_SS_PNS1_23onesweep_lookback_stateEbbT6_jjT7_P12ihipStream_tbENKUlT_T0_SG_SL_E_clIS7_S7_PlSB_EEDaSZ_S10_SG_SL_EUlSZ_E_NS1_11comp_targetILNS1_3genE5ELNS1_11target_archE942ELNS1_3gpuE9ELNS1_3repE0EEENS1_47radix_sort_onesweep_sort_config_static_selectorELNS0_4arch9wavefront6targetE1EEEvSG_.kd
    .uniform_work_group_size: 1
    .uses_dynamic_stack: false
    .vgpr_count:     0
    .vgpr_spill_count: 0
    .wavefront_size: 64
  - .args:
      - .offset:         0
        .size:           88
        .value_kind:     by_value
      - .offset:         88
        .size:           4
        .value_kind:     hidden_block_count_x
      - .offset:         92
        .size:           4
        .value_kind:     hidden_block_count_y
      - .offset:         96
        .size:           4
        .value_kind:     hidden_block_count_z
      - .offset:         100
        .size:           2
        .value_kind:     hidden_group_size_x
      - .offset:         102
        .size:           2
        .value_kind:     hidden_group_size_y
      - .offset:         104
        .size:           2
        .value_kind:     hidden_group_size_z
      - .offset:         106
        .size:           2
        .value_kind:     hidden_remainder_x
      - .offset:         108
        .size:           2
        .value_kind:     hidden_remainder_y
      - .offset:         110
        .size:           2
        .value_kind:     hidden_remainder_z
      - .offset:         128
        .size:           8
        .value_kind:     hidden_global_offset_x
      - .offset:         136
        .size:           8
        .value_kind:     hidden_global_offset_y
      - .offset:         144
        .size:           8
        .value_kind:     hidden_global_offset_z
      - .offset:         152
        .size:           2
        .value_kind:     hidden_grid_dims
    .group_segment_fixed_size: 10280
    .kernarg_segment_align: 8
    .kernarg_segment_size: 344
    .language:       OpenCL C
    .language_version:
      - 2
      - 0
    .max_flat_workgroup_size: 512
    .name:           _ZN7rocprim17ROCPRIM_400000_NS6detail17trampoline_kernelINS0_14default_configENS1_35radix_sort_onesweep_config_selectorIflEEZZNS1_29radix_sort_onesweep_iterationIS3_Lb0EPfS7_N6thrust23THRUST_200600_302600_NS10device_ptrIlEESB_jNS0_19identity_decomposerENS1_16block_id_wrapperIjLb1EEEEE10hipError_tT1_PNSt15iterator_traitsISG_E10value_typeET2_T3_PNSH_ISM_E10value_typeET4_T5_PSR_SS_PNS1_23onesweep_lookback_stateEbbT6_jjT7_P12ihipStream_tbENKUlT_T0_SG_SL_E_clIS7_S7_PlSB_EEDaSZ_S10_SG_SL_EUlSZ_E_NS1_11comp_targetILNS1_3genE2ELNS1_11target_archE906ELNS1_3gpuE6ELNS1_3repE0EEENS1_47radix_sort_onesweep_sort_config_static_selectorELNS0_4arch9wavefront6targetE1EEEvSG_
    .private_segment_fixed_size: 48
    .sgpr_count:     64
    .sgpr_spill_count: 0
    .symbol:         _ZN7rocprim17ROCPRIM_400000_NS6detail17trampoline_kernelINS0_14default_configENS1_35radix_sort_onesweep_config_selectorIflEEZZNS1_29radix_sort_onesweep_iterationIS3_Lb0EPfS7_N6thrust23THRUST_200600_302600_NS10device_ptrIlEESB_jNS0_19identity_decomposerENS1_16block_id_wrapperIjLb1EEEEE10hipError_tT1_PNSt15iterator_traitsISG_E10value_typeET2_T3_PNSH_ISM_E10value_typeET4_T5_PSR_SS_PNS1_23onesweep_lookback_stateEbbT6_jjT7_P12ihipStream_tbENKUlT_T0_SG_SL_E_clIS7_S7_PlSB_EEDaSZ_S10_SG_SL_EUlSZ_E_NS1_11comp_targetILNS1_3genE2ELNS1_11target_archE906ELNS1_3gpuE6ELNS1_3repE0EEENS1_47radix_sort_onesweep_sort_config_static_selectorELNS0_4arch9wavefront6targetE1EEEvSG_.kd
    .uniform_work_group_size: 1
    .uses_dynamic_stack: false
    .vgpr_count:     58
    .vgpr_spill_count: 0
    .wavefront_size: 64
  - .args:
      - .offset:         0
        .size:           88
        .value_kind:     by_value
    .group_segment_fixed_size: 0
    .kernarg_segment_align: 8
    .kernarg_segment_size: 88
    .language:       OpenCL C
    .language_version:
      - 2
      - 0
    .max_flat_workgroup_size: 1024
    .name:           _ZN7rocprim17ROCPRIM_400000_NS6detail17trampoline_kernelINS0_14default_configENS1_35radix_sort_onesweep_config_selectorIflEEZZNS1_29radix_sort_onesweep_iterationIS3_Lb0EPfS7_N6thrust23THRUST_200600_302600_NS10device_ptrIlEESB_jNS0_19identity_decomposerENS1_16block_id_wrapperIjLb1EEEEE10hipError_tT1_PNSt15iterator_traitsISG_E10value_typeET2_T3_PNSH_ISM_E10value_typeET4_T5_PSR_SS_PNS1_23onesweep_lookback_stateEbbT6_jjT7_P12ihipStream_tbENKUlT_T0_SG_SL_E_clIS7_S7_PlSB_EEDaSZ_S10_SG_SL_EUlSZ_E_NS1_11comp_targetILNS1_3genE4ELNS1_11target_archE910ELNS1_3gpuE8ELNS1_3repE0EEENS1_47radix_sort_onesweep_sort_config_static_selectorELNS0_4arch9wavefront6targetE1EEEvSG_
    .private_segment_fixed_size: 0
    .sgpr_count:     4
    .sgpr_spill_count: 0
    .symbol:         _ZN7rocprim17ROCPRIM_400000_NS6detail17trampoline_kernelINS0_14default_configENS1_35radix_sort_onesweep_config_selectorIflEEZZNS1_29radix_sort_onesweep_iterationIS3_Lb0EPfS7_N6thrust23THRUST_200600_302600_NS10device_ptrIlEESB_jNS0_19identity_decomposerENS1_16block_id_wrapperIjLb1EEEEE10hipError_tT1_PNSt15iterator_traitsISG_E10value_typeET2_T3_PNSH_ISM_E10value_typeET4_T5_PSR_SS_PNS1_23onesweep_lookback_stateEbbT6_jjT7_P12ihipStream_tbENKUlT_T0_SG_SL_E_clIS7_S7_PlSB_EEDaSZ_S10_SG_SL_EUlSZ_E_NS1_11comp_targetILNS1_3genE4ELNS1_11target_archE910ELNS1_3gpuE8ELNS1_3repE0EEENS1_47radix_sort_onesweep_sort_config_static_selectorELNS0_4arch9wavefront6targetE1EEEvSG_.kd
    .uniform_work_group_size: 1
    .uses_dynamic_stack: false
    .vgpr_count:     0
    .vgpr_spill_count: 0
    .wavefront_size: 64
  - .args:
      - .offset:         0
        .size:           88
        .value_kind:     by_value
    .group_segment_fixed_size: 0
    .kernarg_segment_align: 8
    .kernarg_segment_size: 88
    .language:       OpenCL C
    .language_version:
      - 2
      - 0
    .max_flat_workgroup_size: 512
    .name:           _ZN7rocprim17ROCPRIM_400000_NS6detail17trampoline_kernelINS0_14default_configENS1_35radix_sort_onesweep_config_selectorIflEEZZNS1_29radix_sort_onesweep_iterationIS3_Lb0EPfS7_N6thrust23THRUST_200600_302600_NS10device_ptrIlEESB_jNS0_19identity_decomposerENS1_16block_id_wrapperIjLb1EEEEE10hipError_tT1_PNSt15iterator_traitsISG_E10value_typeET2_T3_PNSH_ISM_E10value_typeET4_T5_PSR_SS_PNS1_23onesweep_lookback_stateEbbT6_jjT7_P12ihipStream_tbENKUlT_T0_SG_SL_E_clIS7_S7_PlSB_EEDaSZ_S10_SG_SL_EUlSZ_E_NS1_11comp_targetILNS1_3genE3ELNS1_11target_archE908ELNS1_3gpuE7ELNS1_3repE0EEENS1_47radix_sort_onesweep_sort_config_static_selectorELNS0_4arch9wavefront6targetE1EEEvSG_
    .private_segment_fixed_size: 0
    .sgpr_count:     4
    .sgpr_spill_count: 0
    .symbol:         _ZN7rocprim17ROCPRIM_400000_NS6detail17trampoline_kernelINS0_14default_configENS1_35radix_sort_onesweep_config_selectorIflEEZZNS1_29radix_sort_onesweep_iterationIS3_Lb0EPfS7_N6thrust23THRUST_200600_302600_NS10device_ptrIlEESB_jNS0_19identity_decomposerENS1_16block_id_wrapperIjLb1EEEEE10hipError_tT1_PNSt15iterator_traitsISG_E10value_typeET2_T3_PNSH_ISM_E10value_typeET4_T5_PSR_SS_PNS1_23onesweep_lookback_stateEbbT6_jjT7_P12ihipStream_tbENKUlT_T0_SG_SL_E_clIS7_S7_PlSB_EEDaSZ_S10_SG_SL_EUlSZ_E_NS1_11comp_targetILNS1_3genE3ELNS1_11target_archE908ELNS1_3gpuE7ELNS1_3repE0EEENS1_47radix_sort_onesweep_sort_config_static_selectorELNS0_4arch9wavefront6targetE1EEEvSG_.kd
    .uniform_work_group_size: 1
    .uses_dynamic_stack: false
    .vgpr_count:     0
    .vgpr_spill_count: 0
    .wavefront_size: 64
  - .args:
      - .offset:         0
        .size:           88
        .value_kind:     by_value
    .group_segment_fixed_size: 0
    .kernarg_segment_align: 8
    .kernarg_segment_size: 88
    .language:       OpenCL C
    .language_version:
      - 2
      - 0
    .max_flat_workgroup_size: 1024
    .name:           _ZN7rocprim17ROCPRIM_400000_NS6detail17trampoline_kernelINS0_14default_configENS1_35radix_sort_onesweep_config_selectorIflEEZZNS1_29radix_sort_onesweep_iterationIS3_Lb0EPfS7_N6thrust23THRUST_200600_302600_NS10device_ptrIlEESB_jNS0_19identity_decomposerENS1_16block_id_wrapperIjLb1EEEEE10hipError_tT1_PNSt15iterator_traitsISG_E10value_typeET2_T3_PNSH_ISM_E10value_typeET4_T5_PSR_SS_PNS1_23onesweep_lookback_stateEbbT6_jjT7_P12ihipStream_tbENKUlT_T0_SG_SL_E_clIS7_S7_PlSB_EEDaSZ_S10_SG_SL_EUlSZ_E_NS1_11comp_targetILNS1_3genE10ELNS1_11target_archE1201ELNS1_3gpuE5ELNS1_3repE0EEENS1_47radix_sort_onesweep_sort_config_static_selectorELNS0_4arch9wavefront6targetE1EEEvSG_
    .private_segment_fixed_size: 0
    .sgpr_count:     4
    .sgpr_spill_count: 0
    .symbol:         _ZN7rocprim17ROCPRIM_400000_NS6detail17trampoline_kernelINS0_14default_configENS1_35radix_sort_onesweep_config_selectorIflEEZZNS1_29radix_sort_onesweep_iterationIS3_Lb0EPfS7_N6thrust23THRUST_200600_302600_NS10device_ptrIlEESB_jNS0_19identity_decomposerENS1_16block_id_wrapperIjLb1EEEEE10hipError_tT1_PNSt15iterator_traitsISG_E10value_typeET2_T3_PNSH_ISM_E10value_typeET4_T5_PSR_SS_PNS1_23onesweep_lookback_stateEbbT6_jjT7_P12ihipStream_tbENKUlT_T0_SG_SL_E_clIS7_S7_PlSB_EEDaSZ_S10_SG_SL_EUlSZ_E_NS1_11comp_targetILNS1_3genE10ELNS1_11target_archE1201ELNS1_3gpuE5ELNS1_3repE0EEENS1_47radix_sort_onesweep_sort_config_static_selectorELNS0_4arch9wavefront6targetE1EEEvSG_.kd
    .uniform_work_group_size: 1
    .uses_dynamic_stack: false
    .vgpr_count:     0
    .vgpr_spill_count: 0
    .wavefront_size: 64
  - .args:
      - .offset:         0
        .size:           88
        .value_kind:     by_value
    .group_segment_fixed_size: 0
    .kernarg_segment_align: 8
    .kernarg_segment_size: 88
    .language:       OpenCL C
    .language_version:
      - 2
      - 0
    .max_flat_workgroup_size: 1024
    .name:           _ZN7rocprim17ROCPRIM_400000_NS6detail17trampoline_kernelINS0_14default_configENS1_35radix_sort_onesweep_config_selectorIflEEZZNS1_29radix_sort_onesweep_iterationIS3_Lb0EPfS7_N6thrust23THRUST_200600_302600_NS10device_ptrIlEESB_jNS0_19identity_decomposerENS1_16block_id_wrapperIjLb1EEEEE10hipError_tT1_PNSt15iterator_traitsISG_E10value_typeET2_T3_PNSH_ISM_E10value_typeET4_T5_PSR_SS_PNS1_23onesweep_lookback_stateEbbT6_jjT7_P12ihipStream_tbENKUlT_T0_SG_SL_E_clIS7_S7_PlSB_EEDaSZ_S10_SG_SL_EUlSZ_E_NS1_11comp_targetILNS1_3genE9ELNS1_11target_archE1100ELNS1_3gpuE3ELNS1_3repE0EEENS1_47radix_sort_onesweep_sort_config_static_selectorELNS0_4arch9wavefront6targetE1EEEvSG_
    .private_segment_fixed_size: 0
    .sgpr_count:     4
    .sgpr_spill_count: 0
    .symbol:         _ZN7rocprim17ROCPRIM_400000_NS6detail17trampoline_kernelINS0_14default_configENS1_35radix_sort_onesweep_config_selectorIflEEZZNS1_29radix_sort_onesweep_iterationIS3_Lb0EPfS7_N6thrust23THRUST_200600_302600_NS10device_ptrIlEESB_jNS0_19identity_decomposerENS1_16block_id_wrapperIjLb1EEEEE10hipError_tT1_PNSt15iterator_traitsISG_E10value_typeET2_T3_PNSH_ISM_E10value_typeET4_T5_PSR_SS_PNS1_23onesweep_lookback_stateEbbT6_jjT7_P12ihipStream_tbENKUlT_T0_SG_SL_E_clIS7_S7_PlSB_EEDaSZ_S10_SG_SL_EUlSZ_E_NS1_11comp_targetILNS1_3genE9ELNS1_11target_archE1100ELNS1_3gpuE3ELNS1_3repE0EEENS1_47radix_sort_onesweep_sort_config_static_selectorELNS0_4arch9wavefront6targetE1EEEvSG_.kd
    .uniform_work_group_size: 1
    .uses_dynamic_stack: false
    .vgpr_count:     0
    .vgpr_spill_count: 0
    .wavefront_size: 64
  - .args:
      - .offset:         0
        .size:           88
        .value_kind:     by_value
    .group_segment_fixed_size: 0
    .kernarg_segment_align: 8
    .kernarg_segment_size: 88
    .language:       OpenCL C
    .language_version:
      - 2
      - 0
    .max_flat_workgroup_size: 1024
    .name:           _ZN7rocprim17ROCPRIM_400000_NS6detail17trampoline_kernelINS0_14default_configENS1_35radix_sort_onesweep_config_selectorIflEEZZNS1_29radix_sort_onesweep_iterationIS3_Lb0EPfS7_N6thrust23THRUST_200600_302600_NS10device_ptrIlEESB_jNS0_19identity_decomposerENS1_16block_id_wrapperIjLb1EEEEE10hipError_tT1_PNSt15iterator_traitsISG_E10value_typeET2_T3_PNSH_ISM_E10value_typeET4_T5_PSR_SS_PNS1_23onesweep_lookback_stateEbbT6_jjT7_P12ihipStream_tbENKUlT_T0_SG_SL_E_clIS7_S7_PlSB_EEDaSZ_S10_SG_SL_EUlSZ_E_NS1_11comp_targetILNS1_3genE8ELNS1_11target_archE1030ELNS1_3gpuE2ELNS1_3repE0EEENS1_47radix_sort_onesweep_sort_config_static_selectorELNS0_4arch9wavefront6targetE1EEEvSG_
    .private_segment_fixed_size: 0
    .sgpr_count:     4
    .sgpr_spill_count: 0
    .symbol:         _ZN7rocprim17ROCPRIM_400000_NS6detail17trampoline_kernelINS0_14default_configENS1_35radix_sort_onesweep_config_selectorIflEEZZNS1_29radix_sort_onesweep_iterationIS3_Lb0EPfS7_N6thrust23THRUST_200600_302600_NS10device_ptrIlEESB_jNS0_19identity_decomposerENS1_16block_id_wrapperIjLb1EEEEE10hipError_tT1_PNSt15iterator_traitsISG_E10value_typeET2_T3_PNSH_ISM_E10value_typeET4_T5_PSR_SS_PNS1_23onesweep_lookback_stateEbbT6_jjT7_P12ihipStream_tbENKUlT_T0_SG_SL_E_clIS7_S7_PlSB_EEDaSZ_S10_SG_SL_EUlSZ_E_NS1_11comp_targetILNS1_3genE8ELNS1_11target_archE1030ELNS1_3gpuE2ELNS1_3repE0EEENS1_47radix_sort_onesweep_sort_config_static_selectorELNS0_4arch9wavefront6targetE1EEEvSG_.kd
    .uniform_work_group_size: 1
    .uses_dynamic_stack: false
    .vgpr_count:     0
    .vgpr_spill_count: 0
    .wavefront_size: 64
  - .args:
      - .offset:         0
        .size:           88
        .value_kind:     by_value
    .group_segment_fixed_size: 0
    .kernarg_segment_align: 8
    .kernarg_segment_size: 88
    .language:       OpenCL C
    .language_version:
      - 2
      - 0
    .max_flat_workgroup_size: 512
    .name:           _ZN7rocprim17ROCPRIM_400000_NS6detail17trampoline_kernelINS0_14default_configENS1_35radix_sort_onesweep_config_selectorIflEEZZNS1_29radix_sort_onesweep_iterationIS3_Lb0EPfS7_N6thrust23THRUST_200600_302600_NS10device_ptrIlEESB_jNS0_19identity_decomposerENS1_16block_id_wrapperIjLb0EEEEE10hipError_tT1_PNSt15iterator_traitsISG_E10value_typeET2_T3_PNSH_ISM_E10value_typeET4_T5_PSR_SS_PNS1_23onesweep_lookback_stateEbbT6_jjT7_P12ihipStream_tbENKUlT_T0_SG_SL_E_clIS7_S7_SB_SB_EEDaSZ_S10_SG_SL_EUlSZ_E_NS1_11comp_targetILNS1_3genE0ELNS1_11target_archE4294967295ELNS1_3gpuE0ELNS1_3repE0EEENS1_47radix_sort_onesweep_sort_config_static_selectorELNS0_4arch9wavefront6targetE1EEEvSG_
    .private_segment_fixed_size: 0
    .sgpr_count:     4
    .sgpr_spill_count: 0
    .symbol:         _ZN7rocprim17ROCPRIM_400000_NS6detail17trampoline_kernelINS0_14default_configENS1_35radix_sort_onesweep_config_selectorIflEEZZNS1_29radix_sort_onesweep_iterationIS3_Lb0EPfS7_N6thrust23THRUST_200600_302600_NS10device_ptrIlEESB_jNS0_19identity_decomposerENS1_16block_id_wrapperIjLb0EEEEE10hipError_tT1_PNSt15iterator_traitsISG_E10value_typeET2_T3_PNSH_ISM_E10value_typeET4_T5_PSR_SS_PNS1_23onesweep_lookback_stateEbbT6_jjT7_P12ihipStream_tbENKUlT_T0_SG_SL_E_clIS7_S7_SB_SB_EEDaSZ_S10_SG_SL_EUlSZ_E_NS1_11comp_targetILNS1_3genE0ELNS1_11target_archE4294967295ELNS1_3gpuE0ELNS1_3repE0EEENS1_47radix_sort_onesweep_sort_config_static_selectorELNS0_4arch9wavefront6targetE1EEEvSG_.kd
    .uniform_work_group_size: 1
    .uses_dynamic_stack: false
    .vgpr_count:     0
    .vgpr_spill_count: 0
    .wavefront_size: 64
  - .args:
      - .offset:         0
        .size:           88
        .value_kind:     by_value
    .group_segment_fixed_size: 0
    .kernarg_segment_align: 8
    .kernarg_segment_size: 88
    .language:       OpenCL C
    .language_version:
      - 2
      - 0
    .max_flat_workgroup_size: 512
    .name:           _ZN7rocprim17ROCPRIM_400000_NS6detail17trampoline_kernelINS0_14default_configENS1_35radix_sort_onesweep_config_selectorIflEEZZNS1_29radix_sort_onesweep_iterationIS3_Lb0EPfS7_N6thrust23THRUST_200600_302600_NS10device_ptrIlEESB_jNS0_19identity_decomposerENS1_16block_id_wrapperIjLb0EEEEE10hipError_tT1_PNSt15iterator_traitsISG_E10value_typeET2_T3_PNSH_ISM_E10value_typeET4_T5_PSR_SS_PNS1_23onesweep_lookback_stateEbbT6_jjT7_P12ihipStream_tbENKUlT_T0_SG_SL_E_clIS7_S7_SB_SB_EEDaSZ_S10_SG_SL_EUlSZ_E_NS1_11comp_targetILNS1_3genE6ELNS1_11target_archE950ELNS1_3gpuE13ELNS1_3repE0EEENS1_47radix_sort_onesweep_sort_config_static_selectorELNS0_4arch9wavefront6targetE1EEEvSG_
    .private_segment_fixed_size: 0
    .sgpr_count:     4
    .sgpr_spill_count: 0
    .symbol:         _ZN7rocprim17ROCPRIM_400000_NS6detail17trampoline_kernelINS0_14default_configENS1_35radix_sort_onesweep_config_selectorIflEEZZNS1_29radix_sort_onesweep_iterationIS3_Lb0EPfS7_N6thrust23THRUST_200600_302600_NS10device_ptrIlEESB_jNS0_19identity_decomposerENS1_16block_id_wrapperIjLb0EEEEE10hipError_tT1_PNSt15iterator_traitsISG_E10value_typeET2_T3_PNSH_ISM_E10value_typeET4_T5_PSR_SS_PNS1_23onesweep_lookback_stateEbbT6_jjT7_P12ihipStream_tbENKUlT_T0_SG_SL_E_clIS7_S7_SB_SB_EEDaSZ_S10_SG_SL_EUlSZ_E_NS1_11comp_targetILNS1_3genE6ELNS1_11target_archE950ELNS1_3gpuE13ELNS1_3repE0EEENS1_47radix_sort_onesweep_sort_config_static_selectorELNS0_4arch9wavefront6targetE1EEEvSG_.kd
    .uniform_work_group_size: 1
    .uses_dynamic_stack: false
    .vgpr_count:     0
    .vgpr_spill_count: 0
    .wavefront_size: 64
  - .args:
      - .offset:         0
        .size:           88
        .value_kind:     by_value
    .group_segment_fixed_size: 0
    .kernarg_segment_align: 8
    .kernarg_segment_size: 88
    .language:       OpenCL C
    .language_version:
      - 2
      - 0
    .max_flat_workgroup_size: 512
    .name:           _ZN7rocprim17ROCPRIM_400000_NS6detail17trampoline_kernelINS0_14default_configENS1_35radix_sort_onesweep_config_selectorIflEEZZNS1_29radix_sort_onesweep_iterationIS3_Lb0EPfS7_N6thrust23THRUST_200600_302600_NS10device_ptrIlEESB_jNS0_19identity_decomposerENS1_16block_id_wrapperIjLb0EEEEE10hipError_tT1_PNSt15iterator_traitsISG_E10value_typeET2_T3_PNSH_ISM_E10value_typeET4_T5_PSR_SS_PNS1_23onesweep_lookback_stateEbbT6_jjT7_P12ihipStream_tbENKUlT_T0_SG_SL_E_clIS7_S7_SB_SB_EEDaSZ_S10_SG_SL_EUlSZ_E_NS1_11comp_targetILNS1_3genE5ELNS1_11target_archE942ELNS1_3gpuE9ELNS1_3repE0EEENS1_47radix_sort_onesweep_sort_config_static_selectorELNS0_4arch9wavefront6targetE1EEEvSG_
    .private_segment_fixed_size: 0
    .sgpr_count:     4
    .sgpr_spill_count: 0
    .symbol:         _ZN7rocprim17ROCPRIM_400000_NS6detail17trampoline_kernelINS0_14default_configENS1_35radix_sort_onesweep_config_selectorIflEEZZNS1_29radix_sort_onesweep_iterationIS3_Lb0EPfS7_N6thrust23THRUST_200600_302600_NS10device_ptrIlEESB_jNS0_19identity_decomposerENS1_16block_id_wrapperIjLb0EEEEE10hipError_tT1_PNSt15iterator_traitsISG_E10value_typeET2_T3_PNSH_ISM_E10value_typeET4_T5_PSR_SS_PNS1_23onesweep_lookback_stateEbbT6_jjT7_P12ihipStream_tbENKUlT_T0_SG_SL_E_clIS7_S7_SB_SB_EEDaSZ_S10_SG_SL_EUlSZ_E_NS1_11comp_targetILNS1_3genE5ELNS1_11target_archE942ELNS1_3gpuE9ELNS1_3repE0EEENS1_47radix_sort_onesweep_sort_config_static_selectorELNS0_4arch9wavefront6targetE1EEEvSG_.kd
    .uniform_work_group_size: 1
    .uses_dynamic_stack: false
    .vgpr_count:     0
    .vgpr_spill_count: 0
    .wavefront_size: 64
  - .args:
      - .offset:         0
        .size:           88
        .value_kind:     by_value
      - .offset:         88
        .size:           4
        .value_kind:     hidden_block_count_x
      - .offset:         92
        .size:           4
        .value_kind:     hidden_block_count_y
      - .offset:         96
        .size:           4
        .value_kind:     hidden_block_count_z
      - .offset:         100
        .size:           2
        .value_kind:     hidden_group_size_x
      - .offset:         102
        .size:           2
        .value_kind:     hidden_group_size_y
      - .offset:         104
        .size:           2
        .value_kind:     hidden_group_size_z
      - .offset:         106
        .size:           2
        .value_kind:     hidden_remainder_x
      - .offset:         108
        .size:           2
        .value_kind:     hidden_remainder_y
      - .offset:         110
        .size:           2
        .value_kind:     hidden_remainder_z
      - .offset:         128
        .size:           8
        .value_kind:     hidden_global_offset_x
      - .offset:         136
        .size:           8
        .value_kind:     hidden_global_offset_y
      - .offset:         144
        .size:           8
        .value_kind:     hidden_global_offset_z
      - .offset:         152
        .size:           2
        .value_kind:     hidden_grid_dims
    .group_segment_fixed_size: 10280
    .kernarg_segment_align: 8
    .kernarg_segment_size: 344
    .language:       OpenCL C
    .language_version:
      - 2
      - 0
    .max_flat_workgroup_size: 512
    .name:           _ZN7rocprim17ROCPRIM_400000_NS6detail17trampoline_kernelINS0_14default_configENS1_35radix_sort_onesweep_config_selectorIflEEZZNS1_29radix_sort_onesweep_iterationIS3_Lb0EPfS7_N6thrust23THRUST_200600_302600_NS10device_ptrIlEESB_jNS0_19identity_decomposerENS1_16block_id_wrapperIjLb0EEEEE10hipError_tT1_PNSt15iterator_traitsISG_E10value_typeET2_T3_PNSH_ISM_E10value_typeET4_T5_PSR_SS_PNS1_23onesweep_lookback_stateEbbT6_jjT7_P12ihipStream_tbENKUlT_T0_SG_SL_E_clIS7_S7_SB_SB_EEDaSZ_S10_SG_SL_EUlSZ_E_NS1_11comp_targetILNS1_3genE2ELNS1_11target_archE906ELNS1_3gpuE6ELNS1_3repE0EEENS1_47radix_sort_onesweep_sort_config_static_selectorELNS0_4arch9wavefront6targetE1EEEvSG_
    .private_segment_fixed_size: 48
    .sgpr_count:     61
    .sgpr_spill_count: 0
    .symbol:         _ZN7rocprim17ROCPRIM_400000_NS6detail17trampoline_kernelINS0_14default_configENS1_35radix_sort_onesweep_config_selectorIflEEZZNS1_29radix_sort_onesweep_iterationIS3_Lb0EPfS7_N6thrust23THRUST_200600_302600_NS10device_ptrIlEESB_jNS0_19identity_decomposerENS1_16block_id_wrapperIjLb0EEEEE10hipError_tT1_PNSt15iterator_traitsISG_E10value_typeET2_T3_PNSH_ISM_E10value_typeET4_T5_PSR_SS_PNS1_23onesweep_lookback_stateEbbT6_jjT7_P12ihipStream_tbENKUlT_T0_SG_SL_E_clIS7_S7_SB_SB_EEDaSZ_S10_SG_SL_EUlSZ_E_NS1_11comp_targetILNS1_3genE2ELNS1_11target_archE906ELNS1_3gpuE6ELNS1_3repE0EEENS1_47radix_sort_onesweep_sort_config_static_selectorELNS0_4arch9wavefront6targetE1EEEvSG_.kd
    .uniform_work_group_size: 1
    .uses_dynamic_stack: false
    .vgpr_count:     58
    .vgpr_spill_count: 0
    .wavefront_size: 64
  - .args:
      - .offset:         0
        .size:           88
        .value_kind:     by_value
    .group_segment_fixed_size: 0
    .kernarg_segment_align: 8
    .kernarg_segment_size: 88
    .language:       OpenCL C
    .language_version:
      - 2
      - 0
    .max_flat_workgroup_size: 1024
    .name:           _ZN7rocprim17ROCPRIM_400000_NS6detail17trampoline_kernelINS0_14default_configENS1_35radix_sort_onesweep_config_selectorIflEEZZNS1_29radix_sort_onesweep_iterationIS3_Lb0EPfS7_N6thrust23THRUST_200600_302600_NS10device_ptrIlEESB_jNS0_19identity_decomposerENS1_16block_id_wrapperIjLb0EEEEE10hipError_tT1_PNSt15iterator_traitsISG_E10value_typeET2_T3_PNSH_ISM_E10value_typeET4_T5_PSR_SS_PNS1_23onesweep_lookback_stateEbbT6_jjT7_P12ihipStream_tbENKUlT_T0_SG_SL_E_clIS7_S7_SB_SB_EEDaSZ_S10_SG_SL_EUlSZ_E_NS1_11comp_targetILNS1_3genE4ELNS1_11target_archE910ELNS1_3gpuE8ELNS1_3repE0EEENS1_47radix_sort_onesweep_sort_config_static_selectorELNS0_4arch9wavefront6targetE1EEEvSG_
    .private_segment_fixed_size: 0
    .sgpr_count:     4
    .sgpr_spill_count: 0
    .symbol:         _ZN7rocprim17ROCPRIM_400000_NS6detail17trampoline_kernelINS0_14default_configENS1_35radix_sort_onesweep_config_selectorIflEEZZNS1_29radix_sort_onesweep_iterationIS3_Lb0EPfS7_N6thrust23THRUST_200600_302600_NS10device_ptrIlEESB_jNS0_19identity_decomposerENS1_16block_id_wrapperIjLb0EEEEE10hipError_tT1_PNSt15iterator_traitsISG_E10value_typeET2_T3_PNSH_ISM_E10value_typeET4_T5_PSR_SS_PNS1_23onesweep_lookback_stateEbbT6_jjT7_P12ihipStream_tbENKUlT_T0_SG_SL_E_clIS7_S7_SB_SB_EEDaSZ_S10_SG_SL_EUlSZ_E_NS1_11comp_targetILNS1_3genE4ELNS1_11target_archE910ELNS1_3gpuE8ELNS1_3repE0EEENS1_47radix_sort_onesweep_sort_config_static_selectorELNS0_4arch9wavefront6targetE1EEEvSG_.kd
    .uniform_work_group_size: 1
    .uses_dynamic_stack: false
    .vgpr_count:     0
    .vgpr_spill_count: 0
    .wavefront_size: 64
  - .args:
      - .offset:         0
        .size:           88
        .value_kind:     by_value
    .group_segment_fixed_size: 0
    .kernarg_segment_align: 8
    .kernarg_segment_size: 88
    .language:       OpenCL C
    .language_version:
      - 2
      - 0
    .max_flat_workgroup_size: 512
    .name:           _ZN7rocprim17ROCPRIM_400000_NS6detail17trampoline_kernelINS0_14default_configENS1_35radix_sort_onesweep_config_selectorIflEEZZNS1_29radix_sort_onesweep_iterationIS3_Lb0EPfS7_N6thrust23THRUST_200600_302600_NS10device_ptrIlEESB_jNS0_19identity_decomposerENS1_16block_id_wrapperIjLb0EEEEE10hipError_tT1_PNSt15iterator_traitsISG_E10value_typeET2_T3_PNSH_ISM_E10value_typeET4_T5_PSR_SS_PNS1_23onesweep_lookback_stateEbbT6_jjT7_P12ihipStream_tbENKUlT_T0_SG_SL_E_clIS7_S7_SB_SB_EEDaSZ_S10_SG_SL_EUlSZ_E_NS1_11comp_targetILNS1_3genE3ELNS1_11target_archE908ELNS1_3gpuE7ELNS1_3repE0EEENS1_47radix_sort_onesweep_sort_config_static_selectorELNS0_4arch9wavefront6targetE1EEEvSG_
    .private_segment_fixed_size: 0
    .sgpr_count:     4
    .sgpr_spill_count: 0
    .symbol:         _ZN7rocprim17ROCPRIM_400000_NS6detail17trampoline_kernelINS0_14default_configENS1_35radix_sort_onesweep_config_selectorIflEEZZNS1_29radix_sort_onesweep_iterationIS3_Lb0EPfS7_N6thrust23THRUST_200600_302600_NS10device_ptrIlEESB_jNS0_19identity_decomposerENS1_16block_id_wrapperIjLb0EEEEE10hipError_tT1_PNSt15iterator_traitsISG_E10value_typeET2_T3_PNSH_ISM_E10value_typeET4_T5_PSR_SS_PNS1_23onesweep_lookback_stateEbbT6_jjT7_P12ihipStream_tbENKUlT_T0_SG_SL_E_clIS7_S7_SB_SB_EEDaSZ_S10_SG_SL_EUlSZ_E_NS1_11comp_targetILNS1_3genE3ELNS1_11target_archE908ELNS1_3gpuE7ELNS1_3repE0EEENS1_47radix_sort_onesweep_sort_config_static_selectorELNS0_4arch9wavefront6targetE1EEEvSG_.kd
    .uniform_work_group_size: 1
    .uses_dynamic_stack: false
    .vgpr_count:     0
    .vgpr_spill_count: 0
    .wavefront_size: 64
  - .args:
      - .offset:         0
        .size:           88
        .value_kind:     by_value
    .group_segment_fixed_size: 0
    .kernarg_segment_align: 8
    .kernarg_segment_size: 88
    .language:       OpenCL C
    .language_version:
      - 2
      - 0
    .max_flat_workgroup_size: 1024
    .name:           _ZN7rocprim17ROCPRIM_400000_NS6detail17trampoline_kernelINS0_14default_configENS1_35radix_sort_onesweep_config_selectorIflEEZZNS1_29radix_sort_onesweep_iterationIS3_Lb0EPfS7_N6thrust23THRUST_200600_302600_NS10device_ptrIlEESB_jNS0_19identity_decomposerENS1_16block_id_wrapperIjLb0EEEEE10hipError_tT1_PNSt15iterator_traitsISG_E10value_typeET2_T3_PNSH_ISM_E10value_typeET4_T5_PSR_SS_PNS1_23onesweep_lookback_stateEbbT6_jjT7_P12ihipStream_tbENKUlT_T0_SG_SL_E_clIS7_S7_SB_SB_EEDaSZ_S10_SG_SL_EUlSZ_E_NS1_11comp_targetILNS1_3genE10ELNS1_11target_archE1201ELNS1_3gpuE5ELNS1_3repE0EEENS1_47radix_sort_onesweep_sort_config_static_selectorELNS0_4arch9wavefront6targetE1EEEvSG_
    .private_segment_fixed_size: 0
    .sgpr_count:     4
    .sgpr_spill_count: 0
    .symbol:         _ZN7rocprim17ROCPRIM_400000_NS6detail17trampoline_kernelINS0_14default_configENS1_35radix_sort_onesweep_config_selectorIflEEZZNS1_29radix_sort_onesweep_iterationIS3_Lb0EPfS7_N6thrust23THRUST_200600_302600_NS10device_ptrIlEESB_jNS0_19identity_decomposerENS1_16block_id_wrapperIjLb0EEEEE10hipError_tT1_PNSt15iterator_traitsISG_E10value_typeET2_T3_PNSH_ISM_E10value_typeET4_T5_PSR_SS_PNS1_23onesweep_lookback_stateEbbT6_jjT7_P12ihipStream_tbENKUlT_T0_SG_SL_E_clIS7_S7_SB_SB_EEDaSZ_S10_SG_SL_EUlSZ_E_NS1_11comp_targetILNS1_3genE10ELNS1_11target_archE1201ELNS1_3gpuE5ELNS1_3repE0EEENS1_47radix_sort_onesweep_sort_config_static_selectorELNS0_4arch9wavefront6targetE1EEEvSG_.kd
    .uniform_work_group_size: 1
    .uses_dynamic_stack: false
    .vgpr_count:     0
    .vgpr_spill_count: 0
    .wavefront_size: 64
  - .args:
      - .offset:         0
        .size:           88
        .value_kind:     by_value
    .group_segment_fixed_size: 0
    .kernarg_segment_align: 8
    .kernarg_segment_size: 88
    .language:       OpenCL C
    .language_version:
      - 2
      - 0
    .max_flat_workgroup_size: 1024
    .name:           _ZN7rocprim17ROCPRIM_400000_NS6detail17trampoline_kernelINS0_14default_configENS1_35radix_sort_onesweep_config_selectorIflEEZZNS1_29radix_sort_onesweep_iterationIS3_Lb0EPfS7_N6thrust23THRUST_200600_302600_NS10device_ptrIlEESB_jNS0_19identity_decomposerENS1_16block_id_wrapperIjLb0EEEEE10hipError_tT1_PNSt15iterator_traitsISG_E10value_typeET2_T3_PNSH_ISM_E10value_typeET4_T5_PSR_SS_PNS1_23onesweep_lookback_stateEbbT6_jjT7_P12ihipStream_tbENKUlT_T0_SG_SL_E_clIS7_S7_SB_SB_EEDaSZ_S10_SG_SL_EUlSZ_E_NS1_11comp_targetILNS1_3genE9ELNS1_11target_archE1100ELNS1_3gpuE3ELNS1_3repE0EEENS1_47radix_sort_onesweep_sort_config_static_selectorELNS0_4arch9wavefront6targetE1EEEvSG_
    .private_segment_fixed_size: 0
    .sgpr_count:     4
    .sgpr_spill_count: 0
    .symbol:         _ZN7rocprim17ROCPRIM_400000_NS6detail17trampoline_kernelINS0_14default_configENS1_35radix_sort_onesweep_config_selectorIflEEZZNS1_29radix_sort_onesweep_iterationIS3_Lb0EPfS7_N6thrust23THRUST_200600_302600_NS10device_ptrIlEESB_jNS0_19identity_decomposerENS1_16block_id_wrapperIjLb0EEEEE10hipError_tT1_PNSt15iterator_traitsISG_E10value_typeET2_T3_PNSH_ISM_E10value_typeET4_T5_PSR_SS_PNS1_23onesweep_lookback_stateEbbT6_jjT7_P12ihipStream_tbENKUlT_T0_SG_SL_E_clIS7_S7_SB_SB_EEDaSZ_S10_SG_SL_EUlSZ_E_NS1_11comp_targetILNS1_3genE9ELNS1_11target_archE1100ELNS1_3gpuE3ELNS1_3repE0EEENS1_47radix_sort_onesweep_sort_config_static_selectorELNS0_4arch9wavefront6targetE1EEEvSG_.kd
    .uniform_work_group_size: 1
    .uses_dynamic_stack: false
    .vgpr_count:     0
    .vgpr_spill_count: 0
    .wavefront_size: 64
  - .args:
      - .offset:         0
        .size:           88
        .value_kind:     by_value
    .group_segment_fixed_size: 0
    .kernarg_segment_align: 8
    .kernarg_segment_size: 88
    .language:       OpenCL C
    .language_version:
      - 2
      - 0
    .max_flat_workgroup_size: 1024
    .name:           _ZN7rocprim17ROCPRIM_400000_NS6detail17trampoline_kernelINS0_14default_configENS1_35radix_sort_onesweep_config_selectorIflEEZZNS1_29radix_sort_onesweep_iterationIS3_Lb0EPfS7_N6thrust23THRUST_200600_302600_NS10device_ptrIlEESB_jNS0_19identity_decomposerENS1_16block_id_wrapperIjLb0EEEEE10hipError_tT1_PNSt15iterator_traitsISG_E10value_typeET2_T3_PNSH_ISM_E10value_typeET4_T5_PSR_SS_PNS1_23onesweep_lookback_stateEbbT6_jjT7_P12ihipStream_tbENKUlT_T0_SG_SL_E_clIS7_S7_SB_SB_EEDaSZ_S10_SG_SL_EUlSZ_E_NS1_11comp_targetILNS1_3genE8ELNS1_11target_archE1030ELNS1_3gpuE2ELNS1_3repE0EEENS1_47radix_sort_onesweep_sort_config_static_selectorELNS0_4arch9wavefront6targetE1EEEvSG_
    .private_segment_fixed_size: 0
    .sgpr_count:     4
    .sgpr_spill_count: 0
    .symbol:         _ZN7rocprim17ROCPRIM_400000_NS6detail17trampoline_kernelINS0_14default_configENS1_35radix_sort_onesweep_config_selectorIflEEZZNS1_29radix_sort_onesweep_iterationIS3_Lb0EPfS7_N6thrust23THRUST_200600_302600_NS10device_ptrIlEESB_jNS0_19identity_decomposerENS1_16block_id_wrapperIjLb0EEEEE10hipError_tT1_PNSt15iterator_traitsISG_E10value_typeET2_T3_PNSH_ISM_E10value_typeET4_T5_PSR_SS_PNS1_23onesweep_lookback_stateEbbT6_jjT7_P12ihipStream_tbENKUlT_T0_SG_SL_E_clIS7_S7_SB_SB_EEDaSZ_S10_SG_SL_EUlSZ_E_NS1_11comp_targetILNS1_3genE8ELNS1_11target_archE1030ELNS1_3gpuE2ELNS1_3repE0EEENS1_47radix_sort_onesweep_sort_config_static_selectorELNS0_4arch9wavefront6targetE1EEEvSG_.kd
    .uniform_work_group_size: 1
    .uses_dynamic_stack: false
    .vgpr_count:     0
    .vgpr_spill_count: 0
    .wavefront_size: 64
  - .args:
      - .offset:         0
        .size:           88
        .value_kind:     by_value
    .group_segment_fixed_size: 0
    .kernarg_segment_align: 8
    .kernarg_segment_size: 88
    .language:       OpenCL C
    .language_version:
      - 2
      - 0
    .max_flat_workgroup_size: 512
    .name:           _ZN7rocprim17ROCPRIM_400000_NS6detail17trampoline_kernelINS0_14default_configENS1_35radix_sort_onesweep_config_selectorIflEEZZNS1_29radix_sort_onesweep_iterationIS3_Lb0EPfS7_N6thrust23THRUST_200600_302600_NS10device_ptrIlEESB_jNS0_19identity_decomposerENS1_16block_id_wrapperIjLb0EEEEE10hipError_tT1_PNSt15iterator_traitsISG_E10value_typeET2_T3_PNSH_ISM_E10value_typeET4_T5_PSR_SS_PNS1_23onesweep_lookback_stateEbbT6_jjT7_P12ihipStream_tbENKUlT_T0_SG_SL_E_clIS7_S7_SB_PlEEDaSZ_S10_SG_SL_EUlSZ_E_NS1_11comp_targetILNS1_3genE0ELNS1_11target_archE4294967295ELNS1_3gpuE0ELNS1_3repE0EEENS1_47radix_sort_onesweep_sort_config_static_selectorELNS0_4arch9wavefront6targetE1EEEvSG_
    .private_segment_fixed_size: 0
    .sgpr_count:     4
    .sgpr_spill_count: 0
    .symbol:         _ZN7rocprim17ROCPRIM_400000_NS6detail17trampoline_kernelINS0_14default_configENS1_35radix_sort_onesweep_config_selectorIflEEZZNS1_29radix_sort_onesweep_iterationIS3_Lb0EPfS7_N6thrust23THRUST_200600_302600_NS10device_ptrIlEESB_jNS0_19identity_decomposerENS1_16block_id_wrapperIjLb0EEEEE10hipError_tT1_PNSt15iterator_traitsISG_E10value_typeET2_T3_PNSH_ISM_E10value_typeET4_T5_PSR_SS_PNS1_23onesweep_lookback_stateEbbT6_jjT7_P12ihipStream_tbENKUlT_T0_SG_SL_E_clIS7_S7_SB_PlEEDaSZ_S10_SG_SL_EUlSZ_E_NS1_11comp_targetILNS1_3genE0ELNS1_11target_archE4294967295ELNS1_3gpuE0ELNS1_3repE0EEENS1_47radix_sort_onesweep_sort_config_static_selectorELNS0_4arch9wavefront6targetE1EEEvSG_.kd
    .uniform_work_group_size: 1
    .uses_dynamic_stack: false
    .vgpr_count:     0
    .vgpr_spill_count: 0
    .wavefront_size: 64
  - .args:
      - .offset:         0
        .size:           88
        .value_kind:     by_value
    .group_segment_fixed_size: 0
    .kernarg_segment_align: 8
    .kernarg_segment_size: 88
    .language:       OpenCL C
    .language_version:
      - 2
      - 0
    .max_flat_workgroup_size: 512
    .name:           _ZN7rocprim17ROCPRIM_400000_NS6detail17trampoline_kernelINS0_14default_configENS1_35radix_sort_onesweep_config_selectorIflEEZZNS1_29radix_sort_onesweep_iterationIS3_Lb0EPfS7_N6thrust23THRUST_200600_302600_NS10device_ptrIlEESB_jNS0_19identity_decomposerENS1_16block_id_wrapperIjLb0EEEEE10hipError_tT1_PNSt15iterator_traitsISG_E10value_typeET2_T3_PNSH_ISM_E10value_typeET4_T5_PSR_SS_PNS1_23onesweep_lookback_stateEbbT6_jjT7_P12ihipStream_tbENKUlT_T0_SG_SL_E_clIS7_S7_SB_PlEEDaSZ_S10_SG_SL_EUlSZ_E_NS1_11comp_targetILNS1_3genE6ELNS1_11target_archE950ELNS1_3gpuE13ELNS1_3repE0EEENS1_47radix_sort_onesweep_sort_config_static_selectorELNS0_4arch9wavefront6targetE1EEEvSG_
    .private_segment_fixed_size: 0
    .sgpr_count:     4
    .sgpr_spill_count: 0
    .symbol:         _ZN7rocprim17ROCPRIM_400000_NS6detail17trampoline_kernelINS0_14default_configENS1_35radix_sort_onesweep_config_selectorIflEEZZNS1_29radix_sort_onesweep_iterationIS3_Lb0EPfS7_N6thrust23THRUST_200600_302600_NS10device_ptrIlEESB_jNS0_19identity_decomposerENS1_16block_id_wrapperIjLb0EEEEE10hipError_tT1_PNSt15iterator_traitsISG_E10value_typeET2_T3_PNSH_ISM_E10value_typeET4_T5_PSR_SS_PNS1_23onesweep_lookback_stateEbbT6_jjT7_P12ihipStream_tbENKUlT_T0_SG_SL_E_clIS7_S7_SB_PlEEDaSZ_S10_SG_SL_EUlSZ_E_NS1_11comp_targetILNS1_3genE6ELNS1_11target_archE950ELNS1_3gpuE13ELNS1_3repE0EEENS1_47radix_sort_onesweep_sort_config_static_selectorELNS0_4arch9wavefront6targetE1EEEvSG_.kd
    .uniform_work_group_size: 1
    .uses_dynamic_stack: false
    .vgpr_count:     0
    .vgpr_spill_count: 0
    .wavefront_size: 64
  - .args:
      - .offset:         0
        .size:           88
        .value_kind:     by_value
    .group_segment_fixed_size: 0
    .kernarg_segment_align: 8
    .kernarg_segment_size: 88
    .language:       OpenCL C
    .language_version:
      - 2
      - 0
    .max_flat_workgroup_size: 512
    .name:           _ZN7rocprim17ROCPRIM_400000_NS6detail17trampoline_kernelINS0_14default_configENS1_35radix_sort_onesweep_config_selectorIflEEZZNS1_29radix_sort_onesweep_iterationIS3_Lb0EPfS7_N6thrust23THRUST_200600_302600_NS10device_ptrIlEESB_jNS0_19identity_decomposerENS1_16block_id_wrapperIjLb0EEEEE10hipError_tT1_PNSt15iterator_traitsISG_E10value_typeET2_T3_PNSH_ISM_E10value_typeET4_T5_PSR_SS_PNS1_23onesweep_lookback_stateEbbT6_jjT7_P12ihipStream_tbENKUlT_T0_SG_SL_E_clIS7_S7_SB_PlEEDaSZ_S10_SG_SL_EUlSZ_E_NS1_11comp_targetILNS1_3genE5ELNS1_11target_archE942ELNS1_3gpuE9ELNS1_3repE0EEENS1_47radix_sort_onesweep_sort_config_static_selectorELNS0_4arch9wavefront6targetE1EEEvSG_
    .private_segment_fixed_size: 0
    .sgpr_count:     4
    .sgpr_spill_count: 0
    .symbol:         _ZN7rocprim17ROCPRIM_400000_NS6detail17trampoline_kernelINS0_14default_configENS1_35radix_sort_onesweep_config_selectorIflEEZZNS1_29radix_sort_onesweep_iterationIS3_Lb0EPfS7_N6thrust23THRUST_200600_302600_NS10device_ptrIlEESB_jNS0_19identity_decomposerENS1_16block_id_wrapperIjLb0EEEEE10hipError_tT1_PNSt15iterator_traitsISG_E10value_typeET2_T3_PNSH_ISM_E10value_typeET4_T5_PSR_SS_PNS1_23onesweep_lookback_stateEbbT6_jjT7_P12ihipStream_tbENKUlT_T0_SG_SL_E_clIS7_S7_SB_PlEEDaSZ_S10_SG_SL_EUlSZ_E_NS1_11comp_targetILNS1_3genE5ELNS1_11target_archE942ELNS1_3gpuE9ELNS1_3repE0EEENS1_47radix_sort_onesweep_sort_config_static_selectorELNS0_4arch9wavefront6targetE1EEEvSG_.kd
    .uniform_work_group_size: 1
    .uses_dynamic_stack: false
    .vgpr_count:     0
    .vgpr_spill_count: 0
    .wavefront_size: 64
  - .args:
      - .offset:         0
        .size:           88
        .value_kind:     by_value
      - .offset:         88
        .size:           4
        .value_kind:     hidden_block_count_x
      - .offset:         92
        .size:           4
        .value_kind:     hidden_block_count_y
      - .offset:         96
        .size:           4
        .value_kind:     hidden_block_count_z
      - .offset:         100
        .size:           2
        .value_kind:     hidden_group_size_x
      - .offset:         102
        .size:           2
        .value_kind:     hidden_group_size_y
      - .offset:         104
        .size:           2
        .value_kind:     hidden_group_size_z
      - .offset:         106
        .size:           2
        .value_kind:     hidden_remainder_x
      - .offset:         108
        .size:           2
        .value_kind:     hidden_remainder_y
      - .offset:         110
        .size:           2
        .value_kind:     hidden_remainder_z
      - .offset:         128
        .size:           8
        .value_kind:     hidden_global_offset_x
      - .offset:         136
        .size:           8
        .value_kind:     hidden_global_offset_y
      - .offset:         144
        .size:           8
        .value_kind:     hidden_global_offset_z
      - .offset:         152
        .size:           2
        .value_kind:     hidden_grid_dims
    .group_segment_fixed_size: 10280
    .kernarg_segment_align: 8
    .kernarg_segment_size: 344
    .language:       OpenCL C
    .language_version:
      - 2
      - 0
    .max_flat_workgroup_size: 512
    .name:           _ZN7rocprim17ROCPRIM_400000_NS6detail17trampoline_kernelINS0_14default_configENS1_35radix_sort_onesweep_config_selectorIflEEZZNS1_29radix_sort_onesweep_iterationIS3_Lb0EPfS7_N6thrust23THRUST_200600_302600_NS10device_ptrIlEESB_jNS0_19identity_decomposerENS1_16block_id_wrapperIjLb0EEEEE10hipError_tT1_PNSt15iterator_traitsISG_E10value_typeET2_T3_PNSH_ISM_E10value_typeET4_T5_PSR_SS_PNS1_23onesweep_lookback_stateEbbT6_jjT7_P12ihipStream_tbENKUlT_T0_SG_SL_E_clIS7_S7_SB_PlEEDaSZ_S10_SG_SL_EUlSZ_E_NS1_11comp_targetILNS1_3genE2ELNS1_11target_archE906ELNS1_3gpuE6ELNS1_3repE0EEENS1_47radix_sort_onesweep_sort_config_static_selectorELNS0_4arch9wavefront6targetE1EEEvSG_
    .private_segment_fixed_size: 48
    .sgpr_count:     61
    .sgpr_spill_count: 0
    .symbol:         _ZN7rocprim17ROCPRIM_400000_NS6detail17trampoline_kernelINS0_14default_configENS1_35radix_sort_onesweep_config_selectorIflEEZZNS1_29radix_sort_onesweep_iterationIS3_Lb0EPfS7_N6thrust23THRUST_200600_302600_NS10device_ptrIlEESB_jNS0_19identity_decomposerENS1_16block_id_wrapperIjLb0EEEEE10hipError_tT1_PNSt15iterator_traitsISG_E10value_typeET2_T3_PNSH_ISM_E10value_typeET4_T5_PSR_SS_PNS1_23onesweep_lookback_stateEbbT6_jjT7_P12ihipStream_tbENKUlT_T0_SG_SL_E_clIS7_S7_SB_PlEEDaSZ_S10_SG_SL_EUlSZ_E_NS1_11comp_targetILNS1_3genE2ELNS1_11target_archE906ELNS1_3gpuE6ELNS1_3repE0EEENS1_47radix_sort_onesweep_sort_config_static_selectorELNS0_4arch9wavefront6targetE1EEEvSG_.kd
    .uniform_work_group_size: 1
    .uses_dynamic_stack: false
    .vgpr_count:     58
    .vgpr_spill_count: 0
    .wavefront_size: 64
  - .args:
      - .offset:         0
        .size:           88
        .value_kind:     by_value
    .group_segment_fixed_size: 0
    .kernarg_segment_align: 8
    .kernarg_segment_size: 88
    .language:       OpenCL C
    .language_version:
      - 2
      - 0
    .max_flat_workgroup_size: 1024
    .name:           _ZN7rocprim17ROCPRIM_400000_NS6detail17trampoline_kernelINS0_14default_configENS1_35radix_sort_onesweep_config_selectorIflEEZZNS1_29radix_sort_onesweep_iterationIS3_Lb0EPfS7_N6thrust23THRUST_200600_302600_NS10device_ptrIlEESB_jNS0_19identity_decomposerENS1_16block_id_wrapperIjLb0EEEEE10hipError_tT1_PNSt15iterator_traitsISG_E10value_typeET2_T3_PNSH_ISM_E10value_typeET4_T5_PSR_SS_PNS1_23onesweep_lookback_stateEbbT6_jjT7_P12ihipStream_tbENKUlT_T0_SG_SL_E_clIS7_S7_SB_PlEEDaSZ_S10_SG_SL_EUlSZ_E_NS1_11comp_targetILNS1_3genE4ELNS1_11target_archE910ELNS1_3gpuE8ELNS1_3repE0EEENS1_47radix_sort_onesweep_sort_config_static_selectorELNS0_4arch9wavefront6targetE1EEEvSG_
    .private_segment_fixed_size: 0
    .sgpr_count:     4
    .sgpr_spill_count: 0
    .symbol:         _ZN7rocprim17ROCPRIM_400000_NS6detail17trampoline_kernelINS0_14default_configENS1_35radix_sort_onesweep_config_selectorIflEEZZNS1_29radix_sort_onesweep_iterationIS3_Lb0EPfS7_N6thrust23THRUST_200600_302600_NS10device_ptrIlEESB_jNS0_19identity_decomposerENS1_16block_id_wrapperIjLb0EEEEE10hipError_tT1_PNSt15iterator_traitsISG_E10value_typeET2_T3_PNSH_ISM_E10value_typeET4_T5_PSR_SS_PNS1_23onesweep_lookback_stateEbbT6_jjT7_P12ihipStream_tbENKUlT_T0_SG_SL_E_clIS7_S7_SB_PlEEDaSZ_S10_SG_SL_EUlSZ_E_NS1_11comp_targetILNS1_3genE4ELNS1_11target_archE910ELNS1_3gpuE8ELNS1_3repE0EEENS1_47radix_sort_onesweep_sort_config_static_selectorELNS0_4arch9wavefront6targetE1EEEvSG_.kd
    .uniform_work_group_size: 1
    .uses_dynamic_stack: false
    .vgpr_count:     0
    .vgpr_spill_count: 0
    .wavefront_size: 64
  - .args:
      - .offset:         0
        .size:           88
        .value_kind:     by_value
    .group_segment_fixed_size: 0
    .kernarg_segment_align: 8
    .kernarg_segment_size: 88
    .language:       OpenCL C
    .language_version:
      - 2
      - 0
    .max_flat_workgroup_size: 512
    .name:           _ZN7rocprim17ROCPRIM_400000_NS6detail17trampoline_kernelINS0_14default_configENS1_35radix_sort_onesweep_config_selectorIflEEZZNS1_29radix_sort_onesweep_iterationIS3_Lb0EPfS7_N6thrust23THRUST_200600_302600_NS10device_ptrIlEESB_jNS0_19identity_decomposerENS1_16block_id_wrapperIjLb0EEEEE10hipError_tT1_PNSt15iterator_traitsISG_E10value_typeET2_T3_PNSH_ISM_E10value_typeET4_T5_PSR_SS_PNS1_23onesweep_lookback_stateEbbT6_jjT7_P12ihipStream_tbENKUlT_T0_SG_SL_E_clIS7_S7_SB_PlEEDaSZ_S10_SG_SL_EUlSZ_E_NS1_11comp_targetILNS1_3genE3ELNS1_11target_archE908ELNS1_3gpuE7ELNS1_3repE0EEENS1_47radix_sort_onesweep_sort_config_static_selectorELNS0_4arch9wavefront6targetE1EEEvSG_
    .private_segment_fixed_size: 0
    .sgpr_count:     4
    .sgpr_spill_count: 0
    .symbol:         _ZN7rocprim17ROCPRIM_400000_NS6detail17trampoline_kernelINS0_14default_configENS1_35radix_sort_onesweep_config_selectorIflEEZZNS1_29radix_sort_onesweep_iterationIS3_Lb0EPfS7_N6thrust23THRUST_200600_302600_NS10device_ptrIlEESB_jNS0_19identity_decomposerENS1_16block_id_wrapperIjLb0EEEEE10hipError_tT1_PNSt15iterator_traitsISG_E10value_typeET2_T3_PNSH_ISM_E10value_typeET4_T5_PSR_SS_PNS1_23onesweep_lookback_stateEbbT6_jjT7_P12ihipStream_tbENKUlT_T0_SG_SL_E_clIS7_S7_SB_PlEEDaSZ_S10_SG_SL_EUlSZ_E_NS1_11comp_targetILNS1_3genE3ELNS1_11target_archE908ELNS1_3gpuE7ELNS1_3repE0EEENS1_47radix_sort_onesweep_sort_config_static_selectorELNS0_4arch9wavefront6targetE1EEEvSG_.kd
    .uniform_work_group_size: 1
    .uses_dynamic_stack: false
    .vgpr_count:     0
    .vgpr_spill_count: 0
    .wavefront_size: 64
  - .args:
      - .offset:         0
        .size:           88
        .value_kind:     by_value
    .group_segment_fixed_size: 0
    .kernarg_segment_align: 8
    .kernarg_segment_size: 88
    .language:       OpenCL C
    .language_version:
      - 2
      - 0
    .max_flat_workgroup_size: 1024
    .name:           _ZN7rocprim17ROCPRIM_400000_NS6detail17trampoline_kernelINS0_14default_configENS1_35radix_sort_onesweep_config_selectorIflEEZZNS1_29radix_sort_onesweep_iterationIS3_Lb0EPfS7_N6thrust23THRUST_200600_302600_NS10device_ptrIlEESB_jNS0_19identity_decomposerENS1_16block_id_wrapperIjLb0EEEEE10hipError_tT1_PNSt15iterator_traitsISG_E10value_typeET2_T3_PNSH_ISM_E10value_typeET4_T5_PSR_SS_PNS1_23onesweep_lookback_stateEbbT6_jjT7_P12ihipStream_tbENKUlT_T0_SG_SL_E_clIS7_S7_SB_PlEEDaSZ_S10_SG_SL_EUlSZ_E_NS1_11comp_targetILNS1_3genE10ELNS1_11target_archE1201ELNS1_3gpuE5ELNS1_3repE0EEENS1_47radix_sort_onesweep_sort_config_static_selectorELNS0_4arch9wavefront6targetE1EEEvSG_
    .private_segment_fixed_size: 0
    .sgpr_count:     4
    .sgpr_spill_count: 0
    .symbol:         _ZN7rocprim17ROCPRIM_400000_NS6detail17trampoline_kernelINS0_14default_configENS1_35radix_sort_onesweep_config_selectorIflEEZZNS1_29radix_sort_onesweep_iterationIS3_Lb0EPfS7_N6thrust23THRUST_200600_302600_NS10device_ptrIlEESB_jNS0_19identity_decomposerENS1_16block_id_wrapperIjLb0EEEEE10hipError_tT1_PNSt15iterator_traitsISG_E10value_typeET2_T3_PNSH_ISM_E10value_typeET4_T5_PSR_SS_PNS1_23onesweep_lookback_stateEbbT6_jjT7_P12ihipStream_tbENKUlT_T0_SG_SL_E_clIS7_S7_SB_PlEEDaSZ_S10_SG_SL_EUlSZ_E_NS1_11comp_targetILNS1_3genE10ELNS1_11target_archE1201ELNS1_3gpuE5ELNS1_3repE0EEENS1_47radix_sort_onesweep_sort_config_static_selectorELNS0_4arch9wavefront6targetE1EEEvSG_.kd
    .uniform_work_group_size: 1
    .uses_dynamic_stack: false
    .vgpr_count:     0
    .vgpr_spill_count: 0
    .wavefront_size: 64
  - .args:
      - .offset:         0
        .size:           88
        .value_kind:     by_value
    .group_segment_fixed_size: 0
    .kernarg_segment_align: 8
    .kernarg_segment_size: 88
    .language:       OpenCL C
    .language_version:
      - 2
      - 0
    .max_flat_workgroup_size: 1024
    .name:           _ZN7rocprim17ROCPRIM_400000_NS6detail17trampoline_kernelINS0_14default_configENS1_35radix_sort_onesweep_config_selectorIflEEZZNS1_29radix_sort_onesweep_iterationIS3_Lb0EPfS7_N6thrust23THRUST_200600_302600_NS10device_ptrIlEESB_jNS0_19identity_decomposerENS1_16block_id_wrapperIjLb0EEEEE10hipError_tT1_PNSt15iterator_traitsISG_E10value_typeET2_T3_PNSH_ISM_E10value_typeET4_T5_PSR_SS_PNS1_23onesweep_lookback_stateEbbT6_jjT7_P12ihipStream_tbENKUlT_T0_SG_SL_E_clIS7_S7_SB_PlEEDaSZ_S10_SG_SL_EUlSZ_E_NS1_11comp_targetILNS1_3genE9ELNS1_11target_archE1100ELNS1_3gpuE3ELNS1_3repE0EEENS1_47radix_sort_onesweep_sort_config_static_selectorELNS0_4arch9wavefront6targetE1EEEvSG_
    .private_segment_fixed_size: 0
    .sgpr_count:     4
    .sgpr_spill_count: 0
    .symbol:         _ZN7rocprim17ROCPRIM_400000_NS6detail17trampoline_kernelINS0_14default_configENS1_35radix_sort_onesweep_config_selectorIflEEZZNS1_29radix_sort_onesweep_iterationIS3_Lb0EPfS7_N6thrust23THRUST_200600_302600_NS10device_ptrIlEESB_jNS0_19identity_decomposerENS1_16block_id_wrapperIjLb0EEEEE10hipError_tT1_PNSt15iterator_traitsISG_E10value_typeET2_T3_PNSH_ISM_E10value_typeET4_T5_PSR_SS_PNS1_23onesweep_lookback_stateEbbT6_jjT7_P12ihipStream_tbENKUlT_T0_SG_SL_E_clIS7_S7_SB_PlEEDaSZ_S10_SG_SL_EUlSZ_E_NS1_11comp_targetILNS1_3genE9ELNS1_11target_archE1100ELNS1_3gpuE3ELNS1_3repE0EEENS1_47radix_sort_onesweep_sort_config_static_selectorELNS0_4arch9wavefront6targetE1EEEvSG_.kd
    .uniform_work_group_size: 1
    .uses_dynamic_stack: false
    .vgpr_count:     0
    .vgpr_spill_count: 0
    .wavefront_size: 64
  - .args:
      - .offset:         0
        .size:           88
        .value_kind:     by_value
    .group_segment_fixed_size: 0
    .kernarg_segment_align: 8
    .kernarg_segment_size: 88
    .language:       OpenCL C
    .language_version:
      - 2
      - 0
    .max_flat_workgroup_size: 1024
    .name:           _ZN7rocprim17ROCPRIM_400000_NS6detail17trampoline_kernelINS0_14default_configENS1_35radix_sort_onesweep_config_selectorIflEEZZNS1_29radix_sort_onesweep_iterationIS3_Lb0EPfS7_N6thrust23THRUST_200600_302600_NS10device_ptrIlEESB_jNS0_19identity_decomposerENS1_16block_id_wrapperIjLb0EEEEE10hipError_tT1_PNSt15iterator_traitsISG_E10value_typeET2_T3_PNSH_ISM_E10value_typeET4_T5_PSR_SS_PNS1_23onesweep_lookback_stateEbbT6_jjT7_P12ihipStream_tbENKUlT_T0_SG_SL_E_clIS7_S7_SB_PlEEDaSZ_S10_SG_SL_EUlSZ_E_NS1_11comp_targetILNS1_3genE8ELNS1_11target_archE1030ELNS1_3gpuE2ELNS1_3repE0EEENS1_47radix_sort_onesweep_sort_config_static_selectorELNS0_4arch9wavefront6targetE1EEEvSG_
    .private_segment_fixed_size: 0
    .sgpr_count:     4
    .sgpr_spill_count: 0
    .symbol:         _ZN7rocprim17ROCPRIM_400000_NS6detail17trampoline_kernelINS0_14default_configENS1_35radix_sort_onesweep_config_selectorIflEEZZNS1_29radix_sort_onesweep_iterationIS3_Lb0EPfS7_N6thrust23THRUST_200600_302600_NS10device_ptrIlEESB_jNS0_19identity_decomposerENS1_16block_id_wrapperIjLb0EEEEE10hipError_tT1_PNSt15iterator_traitsISG_E10value_typeET2_T3_PNSH_ISM_E10value_typeET4_T5_PSR_SS_PNS1_23onesweep_lookback_stateEbbT6_jjT7_P12ihipStream_tbENKUlT_T0_SG_SL_E_clIS7_S7_SB_PlEEDaSZ_S10_SG_SL_EUlSZ_E_NS1_11comp_targetILNS1_3genE8ELNS1_11target_archE1030ELNS1_3gpuE2ELNS1_3repE0EEENS1_47radix_sort_onesweep_sort_config_static_selectorELNS0_4arch9wavefront6targetE1EEEvSG_.kd
    .uniform_work_group_size: 1
    .uses_dynamic_stack: false
    .vgpr_count:     0
    .vgpr_spill_count: 0
    .wavefront_size: 64
  - .args:
      - .offset:         0
        .size:           88
        .value_kind:     by_value
    .group_segment_fixed_size: 0
    .kernarg_segment_align: 8
    .kernarg_segment_size: 88
    .language:       OpenCL C
    .language_version:
      - 2
      - 0
    .max_flat_workgroup_size: 512
    .name:           _ZN7rocprim17ROCPRIM_400000_NS6detail17trampoline_kernelINS0_14default_configENS1_35radix_sort_onesweep_config_selectorIflEEZZNS1_29radix_sort_onesweep_iterationIS3_Lb0EPfS7_N6thrust23THRUST_200600_302600_NS10device_ptrIlEESB_jNS0_19identity_decomposerENS1_16block_id_wrapperIjLb0EEEEE10hipError_tT1_PNSt15iterator_traitsISG_E10value_typeET2_T3_PNSH_ISM_E10value_typeET4_T5_PSR_SS_PNS1_23onesweep_lookback_stateEbbT6_jjT7_P12ihipStream_tbENKUlT_T0_SG_SL_E_clIS7_S7_PlSB_EEDaSZ_S10_SG_SL_EUlSZ_E_NS1_11comp_targetILNS1_3genE0ELNS1_11target_archE4294967295ELNS1_3gpuE0ELNS1_3repE0EEENS1_47radix_sort_onesweep_sort_config_static_selectorELNS0_4arch9wavefront6targetE1EEEvSG_
    .private_segment_fixed_size: 0
    .sgpr_count:     4
    .sgpr_spill_count: 0
    .symbol:         _ZN7rocprim17ROCPRIM_400000_NS6detail17trampoline_kernelINS0_14default_configENS1_35radix_sort_onesweep_config_selectorIflEEZZNS1_29radix_sort_onesweep_iterationIS3_Lb0EPfS7_N6thrust23THRUST_200600_302600_NS10device_ptrIlEESB_jNS0_19identity_decomposerENS1_16block_id_wrapperIjLb0EEEEE10hipError_tT1_PNSt15iterator_traitsISG_E10value_typeET2_T3_PNSH_ISM_E10value_typeET4_T5_PSR_SS_PNS1_23onesweep_lookback_stateEbbT6_jjT7_P12ihipStream_tbENKUlT_T0_SG_SL_E_clIS7_S7_PlSB_EEDaSZ_S10_SG_SL_EUlSZ_E_NS1_11comp_targetILNS1_3genE0ELNS1_11target_archE4294967295ELNS1_3gpuE0ELNS1_3repE0EEENS1_47radix_sort_onesweep_sort_config_static_selectorELNS0_4arch9wavefront6targetE1EEEvSG_.kd
    .uniform_work_group_size: 1
    .uses_dynamic_stack: false
    .vgpr_count:     0
    .vgpr_spill_count: 0
    .wavefront_size: 64
  - .args:
      - .offset:         0
        .size:           88
        .value_kind:     by_value
    .group_segment_fixed_size: 0
    .kernarg_segment_align: 8
    .kernarg_segment_size: 88
    .language:       OpenCL C
    .language_version:
      - 2
      - 0
    .max_flat_workgroup_size: 512
    .name:           _ZN7rocprim17ROCPRIM_400000_NS6detail17trampoline_kernelINS0_14default_configENS1_35radix_sort_onesweep_config_selectorIflEEZZNS1_29radix_sort_onesweep_iterationIS3_Lb0EPfS7_N6thrust23THRUST_200600_302600_NS10device_ptrIlEESB_jNS0_19identity_decomposerENS1_16block_id_wrapperIjLb0EEEEE10hipError_tT1_PNSt15iterator_traitsISG_E10value_typeET2_T3_PNSH_ISM_E10value_typeET4_T5_PSR_SS_PNS1_23onesweep_lookback_stateEbbT6_jjT7_P12ihipStream_tbENKUlT_T0_SG_SL_E_clIS7_S7_PlSB_EEDaSZ_S10_SG_SL_EUlSZ_E_NS1_11comp_targetILNS1_3genE6ELNS1_11target_archE950ELNS1_3gpuE13ELNS1_3repE0EEENS1_47radix_sort_onesweep_sort_config_static_selectorELNS0_4arch9wavefront6targetE1EEEvSG_
    .private_segment_fixed_size: 0
    .sgpr_count:     4
    .sgpr_spill_count: 0
    .symbol:         _ZN7rocprim17ROCPRIM_400000_NS6detail17trampoline_kernelINS0_14default_configENS1_35radix_sort_onesweep_config_selectorIflEEZZNS1_29radix_sort_onesweep_iterationIS3_Lb0EPfS7_N6thrust23THRUST_200600_302600_NS10device_ptrIlEESB_jNS0_19identity_decomposerENS1_16block_id_wrapperIjLb0EEEEE10hipError_tT1_PNSt15iterator_traitsISG_E10value_typeET2_T3_PNSH_ISM_E10value_typeET4_T5_PSR_SS_PNS1_23onesweep_lookback_stateEbbT6_jjT7_P12ihipStream_tbENKUlT_T0_SG_SL_E_clIS7_S7_PlSB_EEDaSZ_S10_SG_SL_EUlSZ_E_NS1_11comp_targetILNS1_3genE6ELNS1_11target_archE950ELNS1_3gpuE13ELNS1_3repE0EEENS1_47radix_sort_onesweep_sort_config_static_selectorELNS0_4arch9wavefront6targetE1EEEvSG_.kd
    .uniform_work_group_size: 1
    .uses_dynamic_stack: false
    .vgpr_count:     0
    .vgpr_spill_count: 0
    .wavefront_size: 64
  - .args:
      - .offset:         0
        .size:           88
        .value_kind:     by_value
    .group_segment_fixed_size: 0
    .kernarg_segment_align: 8
    .kernarg_segment_size: 88
    .language:       OpenCL C
    .language_version:
      - 2
      - 0
    .max_flat_workgroup_size: 512
    .name:           _ZN7rocprim17ROCPRIM_400000_NS6detail17trampoline_kernelINS0_14default_configENS1_35radix_sort_onesweep_config_selectorIflEEZZNS1_29radix_sort_onesweep_iterationIS3_Lb0EPfS7_N6thrust23THRUST_200600_302600_NS10device_ptrIlEESB_jNS0_19identity_decomposerENS1_16block_id_wrapperIjLb0EEEEE10hipError_tT1_PNSt15iterator_traitsISG_E10value_typeET2_T3_PNSH_ISM_E10value_typeET4_T5_PSR_SS_PNS1_23onesweep_lookback_stateEbbT6_jjT7_P12ihipStream_tbENKUlT_T0_SG_SL_E_clIS7_S7_PlSB_EEDaSZ_S10_SG_SL_EUlSZ_E_NS1_11comp_targetILNS1_3genE5ELNS1_11target_archE942ELNS1_3gpuE9ELNS1_3repE0EEENS1_47radix_sort_onesweep_sort_config_static_selectorELNS0_4arch9wavefront6targetE1EEEvSG_
    .private_segment_fixed_size: 0
    .sgpr_count:     4
    .sgpr_spill_count: 0
    .symbol:         _ZN7rocprim17ROCPRIM_400000_NS6detail17trampoline_kernelINS0_14default_configENS1_35radix_sort_onesweep_config_selectorIflEEZZNS1_29radix_sort_onesweep_iterationIS3_Lb0EPfS7_N6thrust23THRUST_200600_302600_NS10device_ptrIlEESB_jNS0_19identity_decomposerENS1_16block_id_wrapperIjLb0EEEEE10hipError_tT1_PNSt15iterator_traitsISG_E10value_typeET2_T3_PNSH_ISM_E10value_typeET4_T5_PSR_SS_PNS1_23onesweep_lookback_stateEbbT6_jjT7_P12ihipStream_tbENKUlT_T0_SG_SL_E_clIS7_S7_PlSB_EEDaSZ_S10_SG_SL_EUlSZ_E_NS1_11comp_targetILNS1_3genE5ELNS1_11target_archE942ELNS1_3gpuE9ELNS1_3repE0EEENS1_47radix_sort_onesweep_sort_config_static_selectorELNS0_4arch9wavefront6targetE1EEEvSG_.kd
    .uniform_work_group_size: 1
    .uses_dynamic_stack: false
    .vgpr_count:     0
    .vgpr_spill_count: 0
    .wavefront_size: 64
  - .args:
      - .offset:         0
        .size:           88
        .value_kind:     by_value
      - .offset:         88
        .size:           4
        .value_kind:     hidden_block_count_x
      - .offset:         92
        .size:           4
        .value_kind:     hidden_block_count_y
      - .offset:         96
        .size:           4
        .value_kind:     hidden_block_count_z
      - .offset:         100
        .size:           2
        .value_kind:     hidden_group_size_x
      - .offset:         102
        .size:           2
        .value_kind:     hidden_group_size_y
      - .offset:         104
        .size:           2
        .value_kind:     hidden_group_size_z
      - .offset:         106
        .size:           2
        .value_kind:     hidden_remainder_x
      - .offset:         108
        .size:           2
        .value_kind:     hidden_remainder_y
      - .offset:         110
        .size:           2
        .value_kind:     hidden_remainder_z
      - .offset:         128
        .size:           8
        .value_kind:     hidden_global_offset_x
      - .offset:         136
        .size:           8
        .value_kind:     hidden_global_offset_y
      - .offset:         144
        .size:           8
        .value_kind:     hidden_global_offset_z
      - .offset:         152
        .size:           2
        .value_kind:     hidden_grid_dims
    .group_segment_fixed_size: 10280
    .kernarg_segment_align: 8
    .kernarg_segment_size: 344
    .language:       OpenCL C
    .language_version:
      - 2
      - 0
    .max_flat_workgroup_size: 512
    .name:           _ZN7rocprim17ROCPRIM_400000_NS6detail17trampoline_kernelINS0_14default_configENS1_35radix_sort_onesweep_config_selectorIflEEZZNS1_29radix_sort_onesweep_iterationIS3_Lb0EPfS7_N6thrust23THRUST_200600_302600_NS10device_ptrIlEESB_jNS0_19identity_decomposerENS1_16block_id_wrapperIjLb0EEEEE10hipError_tT1_PNSt15iterator_traitsISG_E10value_typeET2_T3_PNSH_ISM_E10value_typeET4_T5_PSR_SS_PNS1_23onesweep_lookback_stateEbbT6_jjT7_P12ihipStream_tbENKUlT_T0_SG_SL_E_clIS7_S7_PlSB_EEDaSZ_S10_SG_SL_EUlSZ_E_NS1_11comp_targetILNS1_3genE2ELNS1_11target_archE906ELNS1_3gpuE6ELNS1_3repE0EEENS1_47radix_sort_onesweep_sort_config_static_selectorELNS0_4arch9wavefront6targetE1EEEvSG_
    .private_segment_fixed_size: 48
    .sgpr_count:     61
    .sgpr_spill_count: 0
    .symbol:         _ZN7rocprim17ROCPRIM_400000_NS6detail17trampoline_kernelINS0_14default_configENS1_35radix_sort_onesweep_config_selectorIflEEZZNS1_29radix_sort_onesweep_iterationIS3_Lb0EPfS7_N6thrust23THRUST_200600_302600_NS10device_ptrIlEESB_jNS0_19identity_decomposerENS1_16block_id_wrapperIjLb0EEEEE10hipError_tT1_PNSt15iterator_traitsISG_E10value_typeET2_T3_PNSH_ISM_E10value_typeET4_T5_PSR_SS_PNS1_23onesweep_lookback_stateEbbT6_jjT7_P12ihipStream_tbENKUlT_T0_SG_SL_E_clIS7_S7_PlSB_EEDaSZ_S10_SG_SL_EUlSZ_E_NS1_11comp_targetILNS1_3genE2ELNS1_11target_archE906ELNS1_3gpuE6ELNS1_3repE0EEENS1_47radix_sort_onesweep_sort_config_static_selectorELNS0_4arch9wavefront6targetE1EEEvSG_.kd
    .uniform_work_group_size: 1
    .uses_dynamic_stack: false
    .vgpr_count:     58
    .vgpr_spill_count: 0
    .wavefront_size: 64
  - .args:
      - .offset:         0
        .size:           88
        .value_kind:     by_value
    .group_segment_fixed_size: 0
    .kernarg_segment_align: 8
    .kernarg_segment_size: 88
    .language:       OpenCL C
    .language_version:
      - 2
      - 0
    .max_flat_workgroup_size: 1024
    .name:           _ZN7rocprim17ROCPRIM_400000_NS6detail17trampoline_kernelINS0_14default_configENS1_35radix_sort_onesweep_config_selectorIflEEZZNS1_29radix_sort_onesweep_iterationIS3_Lb0EPfS7_N6thrust23THRUST_200600_302600_NS10device_ptrIlEESB_jNS0_19identity_decomposerENS1_16block_id_wrapperIjLb0EEEEE10hipError_tT1_PNSt15iterator_traitsISG_E10value_typeET2_T3_PNSH_ISM_E10value_typeET4_T5_PSR_SS_PNS1_23onesweep_lookback_stateEbbT6_jjT7_P12ihipStream_tbENKUlT_T0_SG_SL_E_clIS7_S7_PlSB_EEDaSZ_S10_SG_SL_EUlSZ_E_NS1_11comp_targetILNS1_3genE4ELNS1_11target_archE910ELNS1_3gpuE8ELNS1_3repE0EEENS1_47radix_sort_onesweep_sort_config_static_selectorELNS0_4arch9wavefront6targetE1EEEvSG_
    .private_segment_fixed_size: 0
    .sgpr_count:     4
    .sgpr_spill_count: 0
    .symbol:         _ZN7rocprim17ROCPRIM_400000_NS6detail17trampoline_kernelINS0_14default_configENS1_35radix_sort_onesweep_config_selectorIflEEZZNS1_29radix_sort_onesweep_iterationIS3_Lb0EPfS7_N6thrust23THRUST_200600_302600_NS10device_ptrIlEESB_jNS0_19identity_decomposerENS1_16block_id_wrapperIjLb0EEEEE10hipError_tT1_PNSt15iterator_traitsISG_E10value_typeET2_T3_PNSH_ISM_E10value_typeET4_T5_PSR_SS_PNS1_23onesweep_lookback_stateEbbT6_jjT7_P12ihipStream_tbENKUlT_T0_SG_SL_E_clIS7_S7_PlSB_EEDaSZ_S10_SG_SL_EUlSZ_E_NS1_11comp_targetILNS1_3genE4ELNS1_11target_archE910ELNS1_3gpuE8ELNS1_3repE0EEENS1_47radix_sort_onesweep_sort_config_static_selectorELNS0_4arch9wavefront6targetE1EEEvSG_.kd
    .uniform_work_group_size: 1
    .uses_dynamic_stack: false
    .vgpr_count:     0
    .vgpr_spill_count: 0
    .wavefront_size: 64
  - .args:
      - .offset:         0
        .size:           88
        .value_kind:     by_value
    .group_segment_fixed_size: 0
    .kernarg_segment_align: 8
    .kernarg_segment_size: 88
    .language:       OpenCL C
    .language_version:
      - 2
      - 0
    .max_flat_workgroup_size: 512
    .name:           _ZN7rocprim17ROCPRIM_400000_NS6detail17trampoline_kernelINS0_14default_configENS1_35radix_sort_onesweep_config_selectorIflEEZZNS1_29radix_sort_onesweep_iterationIS3_Lb0EPfS7_N6thrust23THRUST_200600_302600_NS10device_ptrIlEESB_jNS0_19identity_decomposerENS1_16block_id_wrapperIjLb0EEEEE10hipError_tT1_PNSt15iterator_traitsISG_E10value_typeET2_T3_PNSH_ISM_E10value_typeET4_T5_PSR_SS_PNS1_23onesweep_lookback_stateEbbT6_jjT7_P12ihipStream_tbENKUlT_T0_SG_SL_E_clIS7_S7_PlSB_EEDaSZ_S10_SG_SL_EUlSZ_E_NS1_11comp_targetILNS1_3genE3ELNS1_11target_archE908ELNS1_3gpuE7ELNS1_3repE0EEENS1_47radix_sort_onesweep_sort_config_static_selectorELNS0_4arch9wavefront6targetE1EEEvSG_
    .private_segment_fixed_size: 0
    .sgpr_count:     4
    .sgpr_spill_count: 0
    .symbol:         _ZN7rocprim17ROCPRIM_400000_NS6detail17trampoline_kernelINS0_14default_configENS1_35radix_sort_onesweep_config_selectorIflEEZZNS1_29radix_sort_onesweep_iterationIS3_Lb0EPfS7_N6thrust23THRUST_200600_302600_NS10device_ptrIlEESB_jNS0_19identity_decomposerENS1_16block_id_wrapperIjLb0EEEEE10hipError_tT1_PNSt15iterator_traitsISG_E10value_typeET2_T3_PNSH_ISM_E10value_typeET4_T5_PSR_SS_PNS1_23onesweep_lookback_stateEbbT6_jjT7_P12ihipStream_tbENKUlT_T0_SG_SL_E_clIS7_S7_PlSB_EEDaSZ_S10_SG_SL_EUlSZ_E_NS1_11comp_targetILNS1_3genE3ELNS1_11target_archE908ELNS1_3gpuE7ELNS1_3repE0EEENS1_47radix_sort_onesweep_sort_config_static_selectorELNS0_4arch9wavefront6targetE1EEEvSG_.kd
    .uniform_work_group_size: 1
    .uses_dynamic_stack: false
    .vgpr_count:     0
    .vgpr_spill_count: 0
    .wavefront_size: 64
  - .args:
      - .offset:         0
        .size:           88
        .value_kind:     by_value
    .group_segment_fixed_size: 0
    .kernarg_segment_align: 8
    .kernarg_segment_size: 88
    .language:       OpenCL C
    .language_version:
      - 2
      - 0
    .max_flat_workgroup_size: 1024
    .name:           _ZN7rocprim17ROCPRIM_400000_NS6detail17trampoline_kernelINS0_14default_configENS1_35radix_sort_onesweep_config_selectorIflEEZZNS1_29radix_sort_onesweep_iterationIS3_Lb0EPfS7_N6thrust23THRUST_200600_302600_NS10device_ptrIlEESB_jNS0_19identity_decomposerENS1_16block_id_wrapperIjLb0EEEEE10hipError_tT1_PNSt15iterator_traitsISG_E10value_typeET2_T3_PNSH_ISM_E10value_typeET4_T5_PSR_SS_PNS1_23onesweep_lookback_stateEbbT6_jjT7_P12ihipStream_tbENKUlT_T0_SG_SL_E_clIS7_S7_PlSB_EEDaSZ_S10_SG_SL_EUlSZ_E_NS1_11comp_targetILNS1_3genE10ELNS1_11target_archE1201ELNS1_3gpuE5ELNS1_3repE0EEENS1_47radix_sort_onesweep_sort_config_static_selectorELNS0_4arch9wavefront6targetE1EEEvSG_
    .private_segment_fixed_size: 0
    .sgpr_count:     4
    .sgpr_spill_count: 0
    .symbol:         _ZN7rocprim17ROCPRIM_400000_NS6detail17trampoline_kernelINS0_14default_configENS1_35radix_sort_onesweep_config_selectorIflEEZZNS1_29radix_sort_onesweep_iterationIS3_Lb0EPfS7_N6thrust23THRUST_200600_302600_NS10device_ptrIlEESB_jNS0_19identity_decomposerENS1_16block_id_wrapperIjLb0EEEEE10hipError_tT1_PNSt15iterator_traitsISG_E10value_typeET2_T3_PNSH_ISM_E10value_typeET4_T5_PSR_SS_PNS1_23onesweep_lookback_stateEbbT6_jjT7_P12ihipStream_tbENKUlT_T0_SG_SL_E_clIS7_S7_PlSB_EEDaSZ_S10_SG_SL_EUlSZ_E_NS1_11comp_targetILNS1_3genE10ELNS1_11target_archE1201ELNS1_3gpuE5ELNS1_3repE0EEENS1_47radix_sort_onesweep_sort_config_static_selectorELNS0_4arch9wavefront6targetE1EEEvSG_.kd
    .uniform_work_group_size: 1
    .uses_dynamic_stack: false
    .vgpr_count:     0
    .vgpr_spill_count: 0
    .wavefront_size: 64
  - .args:
      - .offset:         0
        .size:           88
        .value_kind:     by_value
    .group_segment_fixed_size: 0
    .kernarg_segment_align: 8
    .kernarg_segment_size: 88
    .language:       OpenCL C
    .language_version:
      - 2
      - 0
    .max_flat_workgroup_size: 1024
    .name:           _ZN7rocprim17ROCPRIM_400000_NS6detail17trampoline_kernelINS0_14default_configENS1_35radix_sort_onesweep_config_selectorIflEEZZNS1_29radix_sort_onesweep_iterationIS3_Lb0EPfS7_N6thrust23THRUST_200600_302600_NS10device_ptrIlEESB_jNS0_19identity_decomposerENS1_16block_id_wrapperIjLb0EEEEE10hipError_tT1_PNSt15iterator_traitsISG_E10value_typeET2_T3_PNSH_ISM_E10value_typeET4_T5_PSR_SS_PNS1_23onesweep_lookback_stateEbbT6_jjT7_P12ihipStream_tbENKUlT_T0_SG_SL_E_clIS7_S7_PlSB_EEDaSZ_S10_SG_SL_EUlSZ_E_NS1_11comp_targetILNS1_3genE9ELNS1_11target_archE1100ELNS1_3gpuE3ELNS1_3repE0EEENS1_47radix_sort_onesweep_sort_config_static_selectorELNS0_4arch9wavefront6targetE1EEEvSG_
    .private_segment_fixed_size: 0
    .sgpr_count:     4
    .sgpr_spill_count: 0
    .symbol:         _ZN7rocprim17ROCPRIM_400000_NS6detail17trampoline_kernelINS0_14default_configENS1_35radix_sort_onesweep_config_selectorIflEEZZNS1_29radix_sort_onesweep_iterationIS3_Lb0EPfS7_N6thrust23THRUST_200600_302600_NS10device_ptrIlEESB_jNS0_19identity_decomposerENS1_16block_id_wrapperIjLb0EEEEE10hipError_tT1_PNSt15iterator_traitsISG_E10value_typeET2_T3_PNSH_ISM_E10value_typeET4_T5_PSR_SS_PNS1_23onesweep_lookback_stateEbbT6_jjT7_P12ihipStream_tbENKUlT_T0_SG_SL_E_clIS7_S7_PlSB_EEDaSZ_S10_SG_SL_EUlSZ_E_NS1_11comp_targetILNS1_3genE9ELNS1_11target_archE1100ELNS1_3gpuE3ELNS1_3repE0EEENS1_47radix_sort_onesweep_sort_config_static_selectorELNS0_4arch9wavefront6targetE1EEEvSG_.kd
    .uniform_work_group_size: 1
    .uses_dynamic_stack: false
    .vgpr_count:     0
    .vgpr_spill_count: 0
    .wavefront_size: 64
  - .args:
      - .offset:         0
        .size:           88
        .value_kind:     by_value
    .group_segment_fixed_size: 0
    .kernarg_segment_align: 8
    .kernarg_segment_size: 88
    .language:       OpenCL C
    .language_version:
      - 2
      - 0
    .max_flat_workgroup_size: 1024
    .name:           _ZN7rocprim17ROCPRIM_400000_NS6detail17trampoline_kernelINS0_14default_configENS1_35radix_sort_onesweep_config_selectorIflEEZZNS1_29radix_sort_onesweep_iterationIS3_Lb0EPfS7_N6thrust23THRUST_200600_302600_NS10device_ptrIlEESB_jNS0_19identity_decomposerENS1_16block_id_wrapperIjLb0EEEEE10hipError_tT1_PNSt15iterator_traitsISG_E10value_typeET2_T3_PNSH_ISM_E10value_typeET4_T5_PSR_SS_PNS1_23onesweep_lookback_stateEbbT6_jjT7_P12ihipStream_tbENKUlT_T0_SG_SL_E_clIS7_S7_PlSB_EEDaSZ_S10_SG_SL_EUlSZ_E_NS1_11comp_targetILNS1_3genE8ELNS1_11target_archE1030ELNS1_3gpuE2ELNS1_3repE0EEENS1_47radix_sort_onesweep_sort_config_static_selectorELNS0_4arch9wavefront6targetE1EEEvSG_
    .private_segment_fixed_size: 0
    .sgpr_count:     4
    .sgpr_spill_count: 0
    .symbol:         _ZN7rocprim17ROCPRIM_400000_NS6detail17trampoline_kernelINS0_14default_configENS1_35radix_sort_onesweep_config_selectorIflEEZZNS1_29radix_sort_onesweep_iterationIS3_Lb0EPfS7_N6thrust23THRUST_200600_302600_NS10device_ptrIlEESB_jNS0_19identity_decomposerENS1_16block_id_wrapperIjLb0EEEEE10hipError_tT1_PNSt15iterator_traitsISG_E10value_typeET2_T3_PNSH_ISM_E10value_typeET4_T5_PSR_SS_PNS1_23onesweep_lookback_stateEbbT6_jjT7_P12ihipStream_tbENKUlT_T0_SG_SL_E_clIS7_S7_PlSB_EEDaSZ_S10_SG_SL_EUlSZ_E_NS1_11comp_targetILNS1_3genE8ELNS1_11target_archE1030ELNS1_3gpuE2ELNS1_3repE0EEENS1_47radix_sort_onesweep_sort_config_static_selectorELNS0_4arch9wavefront6targetE1EEEvSG_.kd
    .uniform_work_group_size: 1
    .uses_dynamic_stack: false
    .vgpr_count:     0
    .vgpr_spill_count: 0
    .wavefront_size: 64
  - .args:
      - .offset:         0
        .size:           72
        .value_kind:     by_value
    .group_segment_fixed_size: 0
    .kernarg_segment_align: 8
    .kernarg_segment_size: 72
    .language:       OpenCL C
    .language_version:
      - 2
      - 0
    .max_flat_workgroup_size: 256
    .name:           _ZN7rocprim17ROCPRIM_400000_NS6detail17trampoline_kernelINS0_14default_configENS1_22reduce_config_selectorIiEEZNS1_11reduce_implILb1ES3_N6thrust23THRUST_200600_302600_NS11hip_rocprim35transform_pair_of_input_iterators_tIiPfSB_NS8_12not_equal_toIfEEEEPiiNS8_4plusIiEEEE10hipError_tPvRmT1_T2_T3_mT4_P12ihipStream_tbEUlT_E0_NS1_11comp_targetILNS1_3genE0ELNS1_11target_archE4294967295ELNS1_3gpuE0ELNS1_3repE0EEENS1_30default_config_static_selectorELNS0_4arch9wavefront6targetE1EEEvSL_
    .private_segment_fixed_size: 0
    .sgpr_count:     4
    .sgpr_spill_count: 0
    .symbol:         _ZN7rocprim17ROCPRIM_400000_NS6detail17trampoline_kernelINS0_14default_configENS1_22reduce_config_selectorIiEEZNS1_11reduce_implILb1ES3_N6thrust23THRUST_200600_302600_NS11hip_rocprim35transform_pair_of_input_iterators_tIiPfSB_NS8_12not_equal_toIfEEEEPiiNS8_4plusIiEEEE10hipError_tPvRmT1_T2_T3_mT4_P12ihipStream_tbEUlT_E0_NS1_11comp_targetILNS1_3genE0ELNS1_11target_archE4294967295ELNS1_3gpuE0ELNS1_3repE0EEENS1_30default_config_static_selectorELNS0_4arch9wavefront6targetE1EEEvSL_.kd
    .uniform_work_group_size: 1
    .uses_dynamic_stack: false
    .vgpr_count:     0
    .vgpr_spill_count: 0
    .wavefront_size: 64
  - .args:
      - .offset:         0
        .size:           72
        .value_kind:     by_value
    .group_segment_fixed_size: 0
    .kernarg_segment_align: 8
    .kernarg_segment_size: 72
    .language:       OpenCL C
    .language_version:
      - 2
      - 0
    .max_flat_workgroup_size: 256
    .name:           _ZN7rocprim17ROCPRIM_400000_NS6detail17trampoline_kernelINS0_14default_configENS1_22reduce_config_selectorIiEEZNS1_11reduce_implILb1ES3_N6thrust23THRUST_200600_302600_NS11hip_rocprim35transform_pair_of_input_iterators_tIiPfSB_NS8_12not_equal_toIfEEEEPiiNS8_4plusIiEEEE10hipError_tPvRmT1_T2_T3_mT4_P12ihipStream_tbEUlT_E0_NS1_11comp_targetILNS1_3genE5ELNS1_11target_archE942ELNS1_3gpuE9ELNS1_3repE0EEENS1_30default_config_static_selectorELNS0_4arch9wavefront6targetE1EEEvSL_
    .private_segment_fixed_size: 0
    .sgpr_count:     4
    .sgpr_spill_count: 0
    .symbol:         _ZN7rocprim17ROCPRIM_400000_NS6detail17trampoline_kernelINS0_14default_configENS1_22reduce_config_selectorIiEEZNS1_11reduce_implILb1ES3_N6thrust23THRUST_200600_302600_NS11hip_rocprim35transform_pair_of_input_iterators_tIiPfSB_NS8_12not_equal_toIfEEEEPiiNS8_4plusIiEEEE10hipError_tPvRmT1_T2_T3_mT4_P12ihipStream_tbEUlT_E0_NS1_11comp_targetILNS1_3genE5ELNS1_11target_archE942ELNS1_3gpuE9ELNS1_3repE0EEENS1_30default_config_static_selectorELNS0_4arch9wavefront6targetE1EEEvSL_.kd
    .uniform_work_group_size: 1
    .uses_dynamic_stack: false
    .vgpr_count:     0
    .vgpr_spill_count: 0
    .wavefront_size: 64
  - .args:
      - .offset:         0
        .size:           72
        .value_kind:     by_value
    .group_segment_fixed_size: 0
    .kernarg_segment_align: 8
    .kernarg_segment_size: 72
    .language:       OpenCL C
    .language_version:
      - 2
      - 0
    .max_flat_workgroup_size: 128
    .name:           _ZN7rocprim17ROCPRIM_400000_NS6detail17trampoline_kernelINS0_14default_configENS1_22reduce_config_selectorIiEEZNS1_11reduce_implILb1ES3_N6thrust23THRUST_200600_302600_NS11hip_rocprim35transform_pair_of_input_iterators_tIiPfSB_NS8_12not_equal_toIfEEEEPiiNS8_4plusIiEEEE10hipError_tPvRmT1_T2_T3_mT4_P12ihipStream_tbEUlT_E0_NS1_11comp_targetILNS1_3genE4ELNS1_11target_archE910ELNS1_3gpuE8ELNS1_3repE0EEENS1_30default_config_static_selectorELNS0_4arch9wavefront6targetE1EEEvSL_
    .private_segment_fixed_size: 0
    .sgpr_count:     4
    .sgpr_spill_count: 0
    .symbol:         _ZN7rocprim17ROCPRIM_400000_NS6detail17trampoline_kernelINS0_14default_configENS1_22reduce_config_selectorIiEEZNS1_11reduce_implILb1ES3_N6thrust23THRUST_200600_302600_NS11hip_rocprim35transform_pair_of_input_iterators_tIiPfSB_NS8_12not_equal_toIfEEEEPiiNS8_4plusIiEEEE10hipError_tPvRmT1_T2_T3_mT4_P12ihipStream_tbEUlT_E0_NS1_11comp_targetILNS1_3genE4ELNS1_11target_archE910ELNS1_3gpuE8ELNS1_3repE0EEENS1_30default_config_static_selectorELNS0_4arch9wavefront6targetE1EEEvSL_.kd
    .uniform_work_group_size: 1
    .uses_dynamic_stack: false
    .vgpr_count:     0
    .vgpr_spill_count: 0
    .wavefront_size: 64
  - .args:
      - .offset:         0
        .size:           72
        .value_kind:     by_value
    .group_segment_fixed_size: 0
    .kernarg_segment_align: 8
    .kernarg_segment_size: 72
    .language:       OpenCL C
    .language_version:
      - 2
      - 0
    .max_flat_workgroup_size: 256
    .name:           _ZN7rocprim17ROCPRIM_400000_NS6detail17trampoline_kernelINS0_14default_configENS1_22reduce_config_selectorIiEEZNS1_11reduce_implILb1ES3_N6thrust23THRUST_200600_302600_NS11hip_rocprim35transform_pair_of_input_iterators_tIiPfSB_NS8_12not_equal_toIfEEEEPiiNS8_4plusIiEEEE10hipError_tPvRmT1_T2_T3_mT4_P12ihipStream_tbEUlT_E0_NS1_11comp_targetILNS1_3genE3ELNS1_11target_archE908ELNS1_3gpuE7ELNS1_3repE0EEENS1_30default_config_static_selectorELNS0_4arch9wavefront6targetE1EEEvSL_
    .private_segment_fixed_size: 0
    .sgpr_count:     4
    .sgpr_spill_count: 0
    .symbol:         _ZN7rocprim17ROCPRIM_400000_NS6detail17trampoline_kernelINS0_14default_configENS1_22reduce_config_selectorIiEEZNS1_11reduce_implILb1ES3_N6thrust23THRUST_200600_302600_NS11hip_rocprim35transform_pair_of_input_iterators_tIiPfSB_NS8_12not_equal_toIfEEEEPiiNS8_4plusIiEEEE10hipError_tPvRmT1_T2_T3_mT4_P12ihipStream_tbEUlT_E0_NS1_11comp_targetILNS1_3genE3ELNS1_11target_archE908ELNS1_3gpuE7ELNS1_3repE0EEENS1_30default_config_static_selectorELNS0_4arch9wavefront6targetE1EEEvSL_.kd
    .uniform_work_group_size: 1
    .uses_dynamic_stack: false
    .vgpr_count:     0
    .vgpr_spill_count: 0
    .wavefront_size: 64
  - .args:
      - .offset:         0
        .size:           72
        .value_kind:     by_value
    .group_segment_fixed_size: 32
    .kernarg_segment_align: 8
    .kernarg_segment_size: 72
    .language:       OpenCL C
    .language_version:
      - 2
      - 0
    .max_flat_workgroup_size: 256
    .name:           _ZN7rocprim17ROCPRIM_400000_NS6detail17trampoline_kernelINS0_14default_configENS1_22reduce_config_selectorIiEEZNS1_11reduce_implILb1ES3_N6thrust23THRUST_200600_302600_NS11hip_rocprim35transform_pair_of_input_iterators_tIiPfSB_NS8_12not_equal_toIfEEEEPiiNS8_4plusIiEEEE10hipError_tPvRmT1_T2_T3_mT4_P12ihipStream_tbEUlT_E0_NS1_11comp_targetILNS1_3genE2ELNS1_11target_archE906ELNS1_3gpuE6ELNS1_3repE0EEENS1_30default_config_static_selectorELNS0_4arch9wavefront6targetE1EEEvSL_
    .private_segment_fixed_size: 0
    .sgpr_count:     28
    .sgpr_spill_count: 0
    .symbol:         _ZN7rocprim17ROCPRIM_400000_NS6detail17trampoline_kernelINS0_14default_configENS1_22reduce_config_selectorIiEEZNS1_11reduce_implILb1ES3_N6thrust23THRUST_200600_302600_NS11hip_rocprim35transform_pair_of_input_iterators_tIiPfSB_NS8_12not_equal_toIfEEEEPiiNS8_4plusIiEEEE10hipError_tPvRmT1_T2_T3_mT4_P12ihipStream_tbEUlT_E0_NS1_11comp_targetILNS1_3genE2ELNS1_11target_archE906ELNS1_3gpuE6ELNS1_3repE0EEENS1_30default_config_static_selectorELNS0_4arch9wavefront6targetE1EEEvSL_.kd
    .uniform_work_group_size: 1
    .uses_dynamic_stack: false
    .vgpr_count:     13
    .vgpr_spill_count: 0
    .wavefront_size: 64
  - .args:
      - .offset:         0
        .size:           72
        .value_kind:     by_value
    .group_segment_fixed_size: 0
    .kernarg_segment_align: 8
    .kernarg_segment_size: 72
    .language:       OpenCL C
    .language_version:
      - 2
      - 0
    .max_flat_workgroup_size: 256
    .name:           _ZN7rocprim17ROCPRIM_400000_NS6detail17trampoline_kernelINS0_14default_configENS1_22reduce_config_selectorIiEEZNS1_11reduce_implILb1ES3_N6thrust23THRUST_200600_302600_NS11hip_rocprim35transform_pair_of_input_iterators_tIiPfSB_NS8_12not_equal_toIfEEEEPiiNS8_4plusIiEEEE10hipError_tPvRmT1_T2_T3_mT4_P12ihipStream_tbEUlT_E0_NS1_11comp_targetILNS1_3genE10ELNS1_11target_archE1201ELNS1_3gpuE5ELNS1_3repE0EEENS1_30default_config_static_selectorELNS0_4arch9wavefront6targetE1EEEvSL_
    .private_segment_fixed_size: 0
    .sgpr_count:     4
    .sgpr_spill_count: 0
    .symbol:         _ZN7rocprim17ROCPRIM_400000_NS6detail17trampoline_kernelINS0_14default_configENS1_22reduce_config_selectorIiEEZNS1_11reduce_implILb1ES3_N6thrust23THRUST_200600_302600_NS11hip_rocprim35transform_pair_of_input_iterators_tIiPfSB_NS8_12not_equal_toIfEEEEPiiNS8_4plusIiEEEE10hipError_tPvRmT1_T2_T3_mT4_P12ihipStream_tbEUlT_E0_NS1_11comp_targetILNS1_3genE10ELNS1_11target_archE1201ELNS1_3gpuE5ELNS1_3repE0EEENS1_30default_config_static_selectorELNS0_4arch9wavefront6targetE1EEEvSL_.kd
    .uniform_work_group_size: 1
    .uses_dynamic_stack: false
    .vgpr_count:     0
    .vgpr_spill_count: 0
    .wavefront_size: 64
  - .args:
      - .offset:         0
        .size:           72
        .value_kind:     by_value
    .group_segment_fixed_size: 0
    .kernarg_segment_align: 8
    .kernarg_segment_size: 72
    .language:       OpenCL C
    .language_version:
      - 2
      - 0
    .max_flat_workgroup_size: 256
    .name:           _ZN7rocprim17ROCPRIM_400000_NS6detail17trampoline_kernelINS0_14default_configENS1_22reduce_config_selectorIiEEZNS1_11reduce_implILb1ES3_N6thrust23THRUST_200600_302600_NS11hip_rocprim35transform_pair_of_input_iterators_tIiPfSB_NS8_12not_equal_toIfEEEEPiiNS8_4plusIiEEEE10hipError_tPvRmT1_T2_T3_mT4_P12ihipStream_tbEUlT_E0_NS1_11comp_targetILNS1_3genE10ELNS1_11target_archE1200ELNS1_3gpuE4ELNS1_3repE0EEENS1_30default_config_static_selectorELNS0_4arch9wavefront6targetE1EEEvSL_
    .private_segment_fixed_size: 0
    .sgpr_count:     4
    .sgpr_spill_count: 0
    .symbol:         _ZN7rocprim17ROCPRIM_400000_NS6detail17trampoline_kernelINS0_14default_configENS1_22reduce_config_selectorIiEEZNS1_11reduce_implILb1ES3_N6thrust23THRUST_200600_302600_NS11hip_rocprim35transform_pair_of_input_iterators_tIiPfSB_NS8_12not_equal_toIfEEEEPiiNS8_4plusIiEEEE10hipError_tPvRmT1_T2_T3_mT4_P12ihipStream_tbEUlT_E0_NS1_11comp_targetILNS1_3genE10ELNS1_11target_archE1200ELNS1_3gpuE4ELNS1_3repE0EEENS1_30default_config_static_selectorELNS0_4arch9wavefront6targetE1EEEvSL_.kd
    .uniform_work_group_size: 1
    .uses_dynamic_stack: false
    .vgpr_count:     0
    .vgpr_spill_count: 0
    .wavefront_size: 64
  - .args:
      - .offset:         0
        .size:           72
        .value_kind:     by_value
    .group_segment_fixed_size: 0
    .kernarg_segment_align: 8
    .kernarg_segment_size: 72
    .language:       OpenCL C
    .language_version:
      - 2
      - 0
    .max_flat_workgroup_size: 256
    .name:           _ZN7rocprim17ROCPRIM_400000_NS6detail17trampoline_kernelINS0_14default_configENS1_22reduce_config_selectorIiEEZNS1_11reduce_implILb1ES3_N6thrust23THRUST_200600_302600_NS11hip_rocprim35transform_pair_of_input_iterators_tIiPfSB_NS8_12not_equal_toIfEEEEPiiNS8_4plusIiEEEE10hipError_tPvRmT1_T2_T3_mT4_P12ihipStream_tbEUlT_E0_NS1_11comp_targetILNS1_3genE9ELNS1_11target_archE1100ELNS1_3gpuE3ELNS1_3repE0EEENS1_30default_config_static_selectorELNS0_4arch9wavefront6targetE1EEEvSL_
    .private_segment_fixed_size: 0
    .sgpr_count:     4
    .sgpr_spill_count: 0
    .symbol:         _ZN7rocprim17ROCPRIM_400000_NS6detail17trampoline_kernelINS0_14default_configENS1_22reduce_config_selectorIiEEZNS1_11reduce_implILb1ES3_N6thrust23THRUST_200600_302600_NS11hip_rocprim35transform_pair_of_input_iterators_tIiPfSB_NS8_12not_equal_toIfEEEEPiiNS8_4plusIiEEEE10hipError_tPvRmT1_T2_T3_mT4_P12ihipStream_tbEUlT_E0_NS1_11comp_targetILNS1_3genE9ELNS1_11target_archE1100ELNS1_3gpuE3ELNS1_3repE0EEENS1_30default_config_static_selectorELNS0_4arch9wavefront6targetE1EEEvSL_.kd
    .uniform_work_group_size: 1
    .uses_dynamic_stack: false
    .vgpr_count:     0
    .vgpr_spill_count: 0
    .wavefront_size: 64
  - .args:
      - .offset:         0
        .size:           72
        .value_kind:     by_value
    .group_segment_fixed_size: 0
    .kernarg_segment_align: 8
    .kernarg_segment_size: 72
    .language:       OpenCL C
    .language_version:
      - 2
      - 0
    .max_flat_workgroup_size: 256
    .name:           _ZN7rocprim17ROCPRIM_400000_NS6detail17trampoline_kernelINS0_14default_configENS1_22reduce_config_selectorIiEEZNS1_11reduce_implILb1ES3_N6thrust23THRUST_200600_302600_NS11hip_rocprim35transform_pair_of_input_iterators_tIiPfSB_NS8_12not_equal_toIfEEEEPiiNS8_4plusIiEEEE10hipError_tPvRmT1_T2_T3_mT4_P12ihipStream_tbEUlT_E0_NS1_11comp_targetILNS1_3genE8ELNS1_11target_archE1030ELNS1_3gpuE2ELNS1_3repE0EEENS1_30default_config_static_selectorELNS0_4arch9wavefront6targetE1EEEvSL_
    .private_segment_fixed_size: 0
    .sgpr_count:     4
    .sgpr_spill_count: 0
    .symbol:         _ZN7rocprim17ROCPRIM_400000_NS6detail17trampoline_kernelINS0_14default_configENS1_22reduce_config_selectorIiEEZNS1_11reduce_implILb1ES3_N6thrust23THRUST_200600_302600_NS11hip_rocprim35transform_pair_of_input_iterators_tIiPfSB_NS8_12not_equal_toIfEEEEPiiNS8_4plusIiEEEE10hipError_tPvRmT1_T2_T3_mT4_P12ihipStream_tbEUlT_E0_NS1_11comp_targetILNS1_3genE8ELNS1_11target_archE1030ELNS1_3gpuE2ELNS1_3repE0EEENS1_30default_config_static_selectorELNS0_4arch9wavefront6targetE1EEEvSL_.kd
    .uniform_work_group_size: 1
    .uses_dynamic_stack: false
    .vgpr_count:     0
    .vgpr_spill_count: 0
    .wavefront_size: 64
  - .args:
      - .offset:         0
        .size:           56
        .value_kind:     by_value
    .group_segment_fixed_size: 0
    .kernarg_segment_align: 8
    .kernarg_segment_size: 56
    .language:       OpenCL C
    .language_version:
      - 2
      - 0
    .max_flat_workgroup_size: 256
    .name:           _ZN7rocprim17ROCPRIM_400000_NS6detail17trampoline_kernelINS0_14default_configENS1_22reduce_config_selectorIiEEZNS1_11reduce_implILb1ES3_N6thrust23THRUST_200600_302600_NS11hip_rocprim35transform_pair_of_input_iterators_tIiPfSB_NS8_12not_equal_toIfEEEEPiiNS8_4plusIiEEEE10hipError_tPvRmT1_T2_T3_mT4_P12ihipStream_tbEUlT_E1_NS1_11comp_targetILNS1_3genE0ELNS1_11target_archE4294967295ELNS1_3gpuE0ELNS1_3repE0EEENS1_30default_config_static_selectorELNS0_4arch9wavefront6targetE1EEEvSL_
    .private_segment_fixed_size: 0
    .sgpr_count:     4
    .sgpr_spill_count: 0
    .symbol:         _ZN7rocprim17ROCPRIM_400000_NS6detail17trampoline_kernelINS0_14default_configENS1_22reduce_config_selectorIiEEZNS1_11reduce_implILb1ES3_N6thrust23THRUST_200600_302600_NS11hip_rocprim35transform_pair_of_input_iterators_tIiPfSB_NS8_12not_equal_toIfEEEEPiiNS8_4plusIiEEEE10hipError_tPvRmT1_T2_T3_mT4_P12ihipStream_tbEUlT_E1_NS1_11comp_targetILNS1_3genE0ELNS1_11target_archE4294967295ELNS1_3gpuE0ELNS1_3repE0EEENS1_30default_config_static_selectorELNS0_4arch9wavefront6targetE1EEEvSL_.kd
    .uniform_work_group_size: 1
    .uses_dynamic_stack: false
    .vgpr_count:     0
    .vgpr_spill_count: 0
    .wavefront_size: 64
  - .args:
      - .offset:         0
        .size:           56
        .value_kind:     by_value
    .group_segment_fixed_size: 0
    .kernarg_segment_align: 8
    .kernarg_segment_size: 56
    .language:       OpenCL C
    .language_version:
      - 2
      - 0
    .max_flat_workgroup_size: 256
    .name:           _ZN7rocprim17ROCPRIM_400000_NS6detail17trampoline_kernelINS0_14default_configENS1_22reduce_config_selectorIiEEZNS1_11reduce_implILb1ES3_N6thrust23THRUST_200600_302600_NS11hip_rocprim35transform_pair_of_input_iterators_tIiPfSB_NS8_12not_equal_toIfEEEEPiiNS8_4plusIiEEEE10hipError_tPvRmT1_T2_T3_mT4_P12ihipStream_tbEUlT_E1_NS1_11comp_targetILNS1_3genE5ELNS1_11target_archE942ELNS1_3gpuE9ELNS1_3repE0EEENS1_30default_config_static_selectorELNS0_4arch9wavefront6targetE1EEEvSL_
    .private_segment_fixed_size: 0
    .sgpr_count:     4
    .sgpr_spill_count: 0
    .symbol:         _ZN7rocprim17ROCPRIM_400000_NS6detail17trampoline_kernelINS0_14default_configENS1_22reduce_config_selectorIiEEZNS1_11reduce_implILb1ES3_N6thrust23THRUST_200600_302600_NS11hip_rocprim35transform_pair_of_input_iterators_tIiPfSB_NS8_12not_equal_toIfEEEEPiiNS8_4plusIiEEEE10hipError_tPvRmT1_T2_T3_mT4_P12ihipStream_tbEUlT_E1_NS1_11comp_targetILNS1_3genE5ELNS1_11target_archE942ELNS1_3gpuE9ELNS1_3repE0EEENS1_30default_config_static_selectorELNS0_4arch9wavefront6targetE1EEEvSL_.kd
    .uniform_work_group_size: 1
    .uses_dynamic_stack: false
    .vgpr_count:     0
    .vgpr_spill_count: 0
    .wavefront_size: 64
  - .args:
      - .offset:         0
        .size:           56
        .value_kind:     by_value
    .group_segment_fixed_size: 0
    .kernarg_segment_align: 8
    .kernarg_segment_size: 56
    .language:       OpenCL C
    .language_version:
      - 2
      - 0
    .max_flat_workgroup_size: 128
    .name:           _ZN7rocprim17ROCPRIM_400000_NS6detail17trampoline_kernelINS0_14default_configENS1_22reduce_config_selectorIiEEZNS1_11reduce_implILb1ES3_N6thrust23THRUST_200600_302600_NS11hip_rocprim35transform_pair_of_input_iterators_tIiPfSB_NS8_12not_equal_toIfEEEEPiiNS8_4plusIiEEEE10hipError_tPvRmT1_T2_T3_mT4_P12ihipStream_tbEUlT_E1_NS1_11comp_targetILNS1_3genE4ELNS1_11target_archE910ELNS1_3gpuE8ELNS1_3repE0EEENS1_30default_config_static_selectorELNS0_4arch9wavefront6targetE1EEEvSL_
    .private_segment_fixed_size: 0
    .sgpr_count:     4
    .sgpr_spill_count: 0
    .symbol:         _ZN7rocprim17ROCPRIM_400000_NS6detail17trampoline_kernelINS0_14default_configENS1_22reduce_config_selectorIiEEZNS1_11reduce_implILb1ES3_N6thrust23THRUST_200600_302600_NS11hip_rocprim35transform_pair_of_input_iterators_tIiPfSB_NS8_12not_equal_toIfEEEEPiiNS8_4plusIiEEEE10hipError_tPvRmT1_T2_T3_mT4_P12ihipStream_tbEUlT_E1_NS1_11comp_targetILNS1_3genE4ELNS1_11target_archE910ELNS1_3gpuE8ELNS1_3repE0EEENS1_30default_config_static_selectorELNS0_4arch9wavefront6targetE1EEEvSL_.kd
    .uniform_work_group_size: 1
    .uses_dynamic_stack: false
    .vgpr_count:     0
    .vgpr_spill_count: 0
    .wavefront_size: 64
  - .args:
      - .offset:         0
        .size:           56
        .value_kind:     by_value
    .group_segment_fixed_size: 0
    .kernarg_segment_align: 8
    .kernarg_segment_size: 56
    .language:       OpenCL C
    .language_version:
      - 2
      - 0
    .max_flat_workgroup_size: 256
    .name:           _ZN7rocprim17ROCPRIM_400000_NS6detail17trampoline_kernelINS0_14default_configENS1_22reduce_config_selectorIiEEZNS1_11reduce_implILb1ES3_N6thrust23THRUST_200600_302600_NS11hip_rocprim35transform_pair_of_input_iterators_tIiPfSB_NS8_12not_equal_toIfEEEEPiiNS8_4plusIiEEEE10hipError_tPvRmT1_T2_T3_mT4_P12ihipStream_tbEUlT_E1_NS1_11comp_targetILNS1_3genE3ELNS1_11target_archE908ELNS1_3gpuE7ELNS1_3repE0EEENS1_30default_config_static_selectorELNS0_4arch9wavefront6targetE1EEEvSL_
    .private_segment_fixed_size: 0
    .sgpr_count:     4
    .sgpr_spill_count: 0
    .symbol:         _ZN7rocprim17ROCPRIM_400000_NS6detail17trampoline_kernelINS0_14default_configENS1_22reduce_config_selectorIiEEZNS1_11reduce_implILb1ES3_N6thrust23THRUST_200600_302600_NS11hip_rocprim35transform_pair_of_input_iterators_tIiPfSB_NS8_12not_equal_toIfEEEEPiiNS8_4plusIiEEEE10hipError_tPvRmT1_T2_T3_mT4_P12ihipStream_tbEUlT_E1_NS1_11comp_targetILNS1_3genE3ELNS1_11target_archE908ELNS1_3gpuE7ELNS1_3repE0EEENS1_30default_config_static_selectorELNS0_4arch9wavefront6targetE1EEEvSL_.kd
    .uniform_work_group_size: 1
    .uses_dynamic_stack: false
    .vgpr_count:     0
    .vgpr_spill_count: 0
    .wavefront_size: 64
  - .args:
      - .offset:         0
        .size:           56
        .value_kind:     by_value
    .group_segment_fixed_size: 112
    .kernarg_segment_align: 8
    .kernarg_segment_size: 56
    .language:       OpenCL C
    .language_version:
      - 2
      - 0
    .max_flat_workgroup_size: 256
    .name:           _ZN7rocprim17ROCPRIM_400000_NS6detail17trampoline_kernelINS0_14default_configENS1_22reduce_config_selectorIiEEZNS1_11reduce_implILb1ES3_N6thrust23THRUST_200600_302600_NS11hip_rocprim35transform_pair_of_input_iterators_tIiPfSB_NS8_12not_equal_toIfEEEEPiiNS8_4plusIiEEEE10hipError_tPvRmT1_T2_T3_mT4_P12ihipStream_tbEUlT_E1_NS1_11comp_targetILNS1_3genE2ELNS1_11target_archE906ELNS1_3gpuE6ELNS1_3repE0EEENS1_30default_config_static_selectorELNS0_4arch9wavefront6targetE1EEEvSL_
    .private_segment_fixed_size: 0
    .sgpr_count:     53
    .sgpr_spill_count: 0
    .symbol:         _ZN7rocprim17ROCPRIM_400000_NS6detail17trampoline_kernelINS0_14default_configENS1_22reduce_config_selectorIiEEZNS1_11reduce_implILb1ES3_N6thrust23THRUST_200600_302600_NS11hip_rocprim35transform_pair_of_input_iterators_tIiPfSB_NS8_12not_equal_toIfEEEEPiiNS8_4plusIiEEEE10hipError_tPvRmT1_T2_T3_mT4_P12ihipStream_tbEUlT_E1_NS1_11comp_targetILNS1_3genE2ELNS1_11target_archE906ELNS1_3gpuE6ELNS1_3repE0EEENS1_30default_config_static_selectorELNS0_4arch9wavefront6targetE1EEEvSL_.kd
    .uniform_work_group_size: 1
    .uses_dynamic_stack: false
    .vgpr_count:     40
    .vgpr_spill_count: 0
    .wavefront_size: 64
  - .args:
      - .offset:         0
        .size:           56
        .value_kind:     by_value
    .group_segment_fixed_size: 0
    .kernarg_segment_align: 8
    .kernarg_segment_size: 56
    .language:       OpenCL C
    .language_version:
      - 2
      - 0
    .max_flat_workgroup_size: 256
    .name:           _ZN7rocprim17ROCPRIM_400000_NS6detail17trampoline_kernelINS0_14default_configENS1_22reduce_config_selectorIiEEZNS1_11reduce_implILb1ES3_N6thrust23THRUST_200600_302600_NS11hip_rocprim35transform_pair_of_input_iterators_tIiPfSB_NS8_12not_equal_toIfEEEEPiiNS8_4plusIiEEEE10hipError_tPvRmT1_T2_T3_mT4_P12ihipStream_tbEUlT_E1_NS1_11comp_targetILNS1_3genE10ELNS1_11target_archE1201ELNS1_3gpuE5ELNS1_3repE0EEENS1_30default_config_static_selectorELNS0_4arch9wavefront6targetE1EEEvSL_
    .private_segment_fixed_size: 0
    .sgpr_count:     4
    .sgpr_spill_count: 0
    .symbol:         _ZN7rocprim17ROCPRIM_400000_NS6detail17trampoline_kernelINS0_14default_configENS1_22reduce_config_selectorIiEEZNS1_11reduce_implILb1ES3_N6thrust23THRUST_200600_302600_NS11hip_rocprim35transform_pair_of_input_iterators_tIiPfSB_NS8_12not_equal_toIfEEEEPiiNS8_4plusIiEEEE10hipError_tPvRmT1_T2_T3_mT4_P12ihipStream_tbEUlT_E1_NS1_11comp_targetILNS1_3genE10ELNS1_11target_archE1201ELNS1_3gpuE5ELNS1_3repE0EEENS1_30default_config_static_selectorELNS0_4arch9wavefront6targetE1EEEvSL_.kd
    .uniform_work_group_size: 1
    .uses_dynamic_stack: false
    .vgpr_count:     0
    .vgpr_spill_count: 0
    .wavefront_size: 64
  - .args:
      - .offset:         0
        .size:           56
        .value_kind:     by_value
    .group_segment_fixed_size: 0
    .kernarg_segment_align: 8
    .kernarg_segment_size: 56
    .language:       OpenCL C
    .language_version:
      - 2
      - 0
    .max_flat_workgroup_size: 256
    .name:           _ZN7rocprim17ROCPRIM_400000_NS6detail17trampoline_kernelINS0_14default_configENS1_22reduce_config_selectorIiEEZNS1_11reduce_implILb1ES3_N6thrust23THRUST_200600_302600_NS11hip_rocprim35transform_pair_of_input_iterators_tIiPfSB_NS8_12not_equal_toIfEEEEPiiNS8_4plusIiEEEE10hipError_tPvRmT1_T2_T3_mT4_P12ihipStream_tbEUlT_E1_NS1_11comp_targetILNS1_3genE10ELNS1_11target_archE1200ELNS1_3gpuE4ELNS1_3repE0EEENS1_30default_config_static_selectorELNS0_4arch9wavefront6targetE1EEEvSL_
    .private_segment_fixed_size: 0
    .sgpr_count:     4
    .sgpr_spill_count: 0
    .symbol:         _ZN7rocprim17ROCPRIM_400000_NS6detail17trampoline_kernelINS0_14default_configENS1_22reduce_config_selectorIiEEZNS1_11reduce_implILb1ES3_N6thrust23THRUST_200600_302600_NS11hip_rocprim35transform_pair_of_input_iterators_tIiPfSB_NS8_12not_equal_toIfEEEEPiiNS8_4plusIiEEEE10hipError_tPvRmT1_T2_T3_mT4_P12ihipStream_tbEUlT_E1_NS1_11comp_targetILNS1_3genE10ELNS1_11target_archE1200ELNS1_3gpuE4ELNS1_3repE0EEENS1_30default_config_static_selectorELNS0_4arch9wavefront6targetE1EEEvSL_.kd
    .uniform_work_group_size: 1
    .uses_dynamic_stack: false
    .vgpr_count:     0
    .vgpr_spill_count: 0
    .wavefront_size: 64
  - .args:
      - .offset:         0
        .size:           56
        .value_kind:     by_value
    .group_segment_fixed_size: 0
    .kernarg_segment_align: 8
    .kernarg_segment_size: 56
    .language:       OpenCL C
    .language_version:
      - 2
      - 0
    .max_flat_workgroup_size: 256
    .name:           _ZN7rocprim17ROCPRIM_400000_NS6detail17trampoline_kernelINS0_14default_configENS1_22reduce_config_selectorIiEEZNS1_11reduce_implILb1ES3_N6thrust23THRUST_200600_302600_NS11hip_rocprim35transform_pair_of_input_iterators_tIiPfSB_NS8_12not_equal_toIfEEEEPiiNS8_4plusIiEEEE10hipError_tPvRmT1_T2_T3_mT4_P12ihipStream_tbEUlT_E1_NS1_11comp_targetILNS1_3genE9ELNS1_11target_archE1100ELNS1_3gpuE3ELNS1_3repE0EEENS1_30default_config_static_selectorELNS0_4arch9wavefront6targetE1EEEvSL_
    .private_segment_fixed_size: 0
    .sgpr_count:     4
    .sgpr_spill_count: 0
    .symbol:         _ZN7rocprim17ROCPRIM_400000_NS6detail17trampoline_kernelINS0_14default_configENS1_22reduce_config_selectorIiEEZNS1_11reduce_implILb1ES3_N6thrust23THRUST_200600_302600_NS11hip_rocprim35transform_pair_of_input_iterators_tIiPfSB_NS8_12not_equal_toIfEEEEPiiNS8_4plusIiEEEE10hipError_tPvRmT1_T2_T3_mT4_P12ihipStream_tbEUlT_E1_NS1_11comp_targetILNS1_3genE9ELNS1_11target_archE1100ELNS1_3gpuE3ELNS1_3repE0EEENS1_30default_config_static_selectorELNS0_4arch9wavefront6targetE1EEEvSL_.kd
    .uniform_work_group_size: 1
    .uses_dynamic_stack: false
    .vgpr_count:     0
    .vgpr_spill_count: 0
    .wavefront_size: 64
  - .args:
      - .offset:         0
        .size:           56
        .value_kind:     by_value
    .group_segment_fixed_size: 0
    .kernarg_segment_align: 8
    .kernarg_segment_size: 56
    .language:       OpenCL C
    .language_version:
      - 2
      - 0
    .max_flat_workgroup_size: 256
    .name:           _ZN7rocprim17ROCPRIM_400000_NS6detail17trampoline_kernelINS0_14default_configENS1_22reduce_config_selectorIiEEZNS1_11reduce_implILb1ES3_N6thrust23THRUST_200600_302600_NS11hip_rocprim35transform_pair_of_input_iterators_tIiPfSB_NS8_12not_equal_toIfEEEEPiiNS8_4plusIiEEEE10hipError_tPvRmT1_T2_T3_mT4_P12ihipStream_tbEUlT_E1_NS1_11comp_targetILNS1_3genE8ELNS1_11target_archE1030ELNS1_3gpuE2ELNS1_3repE0EEENS1_30default_config_static_selectorELNS0_4arch9wavefront6targetE1EEEvSL_
    .private_segment_fixed_size: 0
    .sgpr_count:     4
    .sgpr_spill_count: 0
    .symbol:         _ZN7rocprim17ROCPRIM_400000_NS6detail17trampoline_kernelINS0_14default_configENS1_22reduce_config_selectorIiEEZNS1_11reduce_implILb1ES3_N6thrust23THRUST_200600_302600_NS11hip_rocprim35transform_pair_of_input_iterators_tIiPfSB_NS8_12not_equal_toIfEEEEPiiNS8_4plusIiEEEE10hipError_tPvRmT1_T2_T3_mT4_P12ihipStream_tbEUlT_E1_NS1_11comp_targetILNS1_3genE8ELNS1_11target_archE1030ELNS1_3gpuE2ELNS1_3repE0EEENS1_30default_config_static_selectorELNS0_4arch9wavefront6targetE1EEEvSL_.kd
    .uniform_work_group_size: 1
    .uses_dynamic_stack: false
    .vgpr_count:     0
    .vgpr_spill_count: 0
    .wavefront_size: 64
  - .args:
      - .offset:         0
        .size:           144
        .value_kind:     by_value
    .group_segment_fixed_size: 0
    .kernarg_segment_align: 8
    .kernarg_segment_size: 144
    .language:       OpenCL C
    .language_version:
      - 2
      - 0
    .max_flat_workgroup_size: 256
    .name:           _ZN7rocprim17ROCPRIM_400000_NS6detail17trampoline_kernelINS0_14default_configENS1_29reduce_by_key_config_selectorIflN6thrust23THRUST_200600_302600_NS4plusIlEEEEZZNS1_33reduce_by_key_impl_wrapped_configILNS1_25lookback_scan_determinismE0ES3_S9_PfNS6_17constant_iteratorIiNS6_11use_defaultESE_EENS6_10device_ptrIfEENSG_IlEEPmS8_NS6_8equal_toIfEEEE10hipError_tPvRmT2_T3_mT4_T5_T6_T7_T8_P12ihipStream_tbENKUlT_T0_E_clISt17integral_constantIbLb0EES13_EEDaSY_SZ_EUlSY_E_NS1_11comp_targetILNS1_3genE0ELNS1_11target_archE4294967295ELNS1_3gpuE0ELNS1_3repE0EEENS1_30default_config_static_selectorELNS0_4arch9wavefront6targetE1EEEvT1_
    .private_segment_fixed_size: 0
    .sgpr_count:     4
    .sgpr_spill_count: 0
    .symbol:         _ZN7rocprim17ROCPRIM_400000_NS6detail17trampoline_kernelINS0_14default_configENS1_29reduce_by_key_config_selectorIflN6thrust23THRUST_200600_302600_NS4plusIlEEEEZZNS1_33reduce_by_key_impl_wrapped_configILNS1_25lookback_scan_determinismE0ES3_S9_PfNS6_17constant_iteratorIiNS6_11use_defaultESE_EENS6_10device_ptrIfEENSG_IlEEPmS8_NS6_8equal_toIfEEEE10hipError_tPvRmT2_T3_mT4_T5_T6_T7_T8_P12ihipStream_tbENKUlT_T0_E_clISt17integral_constantIbLb0EES13_EEDaSY_SZ_EUlSY_E_NS1_11comp_targetILNS1_3genE0ELNS1_11target_archE4294967295ELNS1_3gpuE0ELNS1_3repE0EEENS1_30default_config_static_selectorELNS0_4arch9wavefront6targetE1EEEvT1_.kd
    .uniform_work_group_size: 1
    .uses_dynamic_stack: false
    .vgpr_count:     0
    .vgpr_spill_count: 0
    .wavefront_size: 64
  - .args:
      - .offset:         0
        .size:           144
        .value_kind:     by_value
    .group_segment_fixed_size: 0
    .kernarg_segment_align: 8
    .kernarg_segment_size: 144
    .language:       OpenCL C
    .language_version:
      - 2
      - 0
    .max_flat_workgroup_size: 256
    .name:           _ZN7rocprim17ROCPRIM_400000_NS6detail17trampoline_kernelINS0_14default_configENS1_29reduce_by_key_config_selectorIflN6thrust23THRUST_200600_302600_NS4plusIlEEEEZZNS1_33reduce_by_key_impl_wrapped_configILNS1_25lookback_scan_determinismE0ES3_S9_PfNS6_17constant_iteratorIiNS6_11use_defaultESE_EENS6_10device_ptrIfEENSG_IlEEPmS8_NS6_8equal_toIfEEEE10hipError_tPvRmT2_T3_mT4_T5_T6_T7_T8_P12ihipStream_tbENKUlT_T0_E_clISt17integral_constantIbLb0EES13_EEDaSY_SZ_EUlSY_E_NS1_11comp_targetILNS1_3genE5ELNS1_11target_archE942ELNS1_3gpuE9ELNS1_3repE0EEENS1_30default_config_static_selectorELNS0_4arch9wavefront6targetE1EEEvT1_
    .private_segment_fixed_size: 0
    .sgpr_count:     4
    .sgpr_spill_count: 0
    .symbol:         _ZN7rocprim17ROCPRIM_400000_NS6detail17trampoline_kernelINS0_14default_configENS1_29reduce_by_key_config_selectorIflN6thrust23THRUST_200600_302600_NS4plusIlEEEEZZNS1_33reduce_by_key_impl_wrapped_configILNS1_25lookback_scan_determinismE0ES3_S9_PfNS6_17constant_iteratorIiNS6_11use_defaultESE_EENS6_10device_ptrIfEENSG_IlEEPmS8_NS6_8equal_toIfEEEE10hipError_tPvRmT2_T3_mT4_T5_T6_T7_T8_P12ihipStream_tbENKUlT_T0_E_clISt17integral_constantIbLb0EES13_EEDaSY_SZ_EUlSY_E_NS1_11comp_targetILNS1_3genE5ELNS1_11target_archE942ELNS1_3gpuE9ELNS1_3repE0EEENS1_30default_config_static_selectorELNS0_4arch9wavefront6targetE1EEEvT1_.kd
    .uniform_work_group_size: 1
    .uses_dynamic_stack: false
    .vgpr_count:     0
    .vgpr_spill_count: 0
    .wavefront_size: 64
  - .args:
      - .offset:         0
        .size:           144
        .value_kind:     by_value
    .group_segment_fixed_size: 0
    .kernarg_segment_align: 8
    .kernarg_segment_size: 144
    .language:       OpenCL C
    .language_version:
      - 2
      - 0
    .max_flat_workgroup_size: 256
    .name:           _ZN7rocprim17ROCPRIM_400000_NS6detail17trampoline_kernelINS0_14default_configENS1_29reduce_by_key_config_selectorIflN6thrust23THRUST_200600_302600_NS4plusIlEEEEZZNS1_33reduce_by_key_impl_wrapped_configILNS1_25lookback_scan_determinismE0ES3_S9_PfNS6_17constant_iteratorIiNS6_11use_defaultESE_EENS6_10device_ptrIfEENSG_IlEEPmS8_NS6_8equal_toIfEEEE10hipError_tPvRmT2_T3_mT4_T5_T6_T7_T8_P12ihipStream_tbENKUlT_T0_E_clISt17integral_constantIbLb0EES13_EEDaSY_SZ_EUlSY_E_NS1_11comp_targetILNS1_3genE4ELNS1_11target_archE910ELNS1_3gpuE8ELNS1_3repE0EEENS1_30default_config_static_selectorELNS0_4arch9wavefront6targetE1EEEvT1_
    .private_segment_fixed_size: 0
    .sgpr_count:     4
    .sgpr_spill_count: 0
    .symbol:         _ZN7rocprim17ROCPRIM_400000_NS6detail17trampoline_kernelINS0_14default_configENS1_29reduce_by_key_config_selectorIflN6thrust23THRUST_200600_302600_NS4plusIlEEEEZZNS1_33reduce_by_key_impl_wrapped_configILNS1_25lookback_scan_determinismE0ES3_S9_PfNS6_17constant_iteratorIiNS6_11use_defaultESE_EENS6_10device_ptrIfEENSG_IlEEPmS8_NS6_8equal_toIfEEEE10hipError_tPvRmT2_T3_mT4_T5_T6_T7_T8_P12ihipStream_tbENKUlT_T0_E_clISt17integral_constantIbLb0EES13_EEDaSY_SZ_EUlSY_E_NS1_11comp_targetILNS1_3genE4ELNS1_11target_archE910ELNS1_3gpuE8ELNS1_3repE0EEENS1_30default_config_static_selectorELNS0_4arch9wavefront6targetE1EEEvT1_.kd
    .uniform_work_group_size: 1
    .uses_dynamic_stack: false
    .vgpr_count:     0
    .vgpr_spill_count: 0
    .wavefront_size: 64
  - .args:
      - .offset:         0
        .size:           144
        .value_kind:     by_value
    .group_segment_fixed_size: 0
    .kernarg_segment_align: 8
    .kernarg_segment_size: 144
    .language:       OpenCL C
    .language_version:
      - 2
      - 0
    .max_flat_workgroup_size: 256
    .name:           _ZN7rocprim17ROCPRIM_400000_NS6detail17trampoline_kernelINS0_14default_configENS1_29reduce_by_key_config_selectorIflN6thrust23THRUST_200600_302600_NS4plusIlEEEEZZNS1_33reduce_by_key_impl_wrapped_configILNS1_25lookback_scan_determinismE0ES3_S9_PfNS6_17constant_iteratorIiNS6_11use_defaultESE_EENS6_10device_ptrIfEENSG_IlEEPmS8_NS6_8equal_toIfEEEE10hipError_tPvRmT2_T3_mT4_T5_T6_T7_T8_P12ihipStream_tbENKUlT_T0_E_clISt17integral_constantIbLb0EES13_EEDaSY_SZ_EUlSY_E_NS1_11comp_targetILNS1_3genE3ELNS1_11target_archE908ELNS1_3gpuE7ELNS1_3repE0EEENS1_30default_config_static_selectorELNS0_4arch9wavefront6targetE1EEEvT1_
    .private_segment_fixed_size: 0
    .sgpr_count:     4
    .sgpr_spill_count: 0
    .symbol:         _ZN7rocprim17ROCPRIM_400000_NS6detail17trampoline_kernelINS0_14default_configENS1_29reduce_by_key_config_selectorIflN6thrust23THRUST_200600_302600_NS4plusIlEEEEZZNS1_33reduce_by_key_impl_wrapped_configILNS1_25lookback_scan_determinismE0ES3_S9_PfNS6_17constant_iteratorIiNS6_11use_defaultESE_EENS6_10device_ptrIfEENSG_IlEEPmS8_NS6_8equal_toIfEEEE10hipError_tPvRmT2_T3_mT4_T5_T6_T7_T8_P12ihipStream_tbENKUlT_T0_E_clISt17integral_constantIbLb0EES13_EEDaSY_SZ_EUlSY_E_NS1_11comp_targetILNS1_3genE3ELNS1_11target_archE908ELNS1_3gpuE7ELNS1_3repE0EEENS1_30default_config_static_selectorELNS0_4arch9wavefront6targetE1EEEvT1_.kd
    .uniform_work_group_size: 1
    .uses_dynamic_stack: false
    .vgpr_count:     0
    .vgpr_spill_count: 0
    .wavefront_size: 64
  - .args:
      - .offset:         0
        .size:           144
        .value_kind:     by_value
    .group_segment_fixed_size: 30720
    .kernarg_segment_align: 8
    .kernarg_segment_size: 144
    .language:       OpenCL C
    .language_version:
      - 2
      - 0
    .max_flat_workgroup_size: 256
    .name:           _ZN7rocprim17ROCPRIM_400000_NS6detail17trampoline_kernelINS0_14default_configENS1_29reduce_by_key_config_selectorIflN6thrust23THRUST_200600_302600_NS4plusIlEEEEZZNS1_33reduce_by_key_impl_wrapped_configILNS1_25lookback_scan_determinismE0ES3_S9_PfNS6_17constant_iteratorIiNS6_11use_defaultESE_EENS6_10device_ptrIfEENSG_IlEEPmS8_NS6_8equal_toIfEEEE10hipError_tPvRmT2_T3_mT4_T5_T6_T7_T8_P12ihipStream_tbENKUlT_T0_E_clISt17integral_constantIbLb0EES13_EEDaSY_SZ_EUlSY_E_NS1_11comp_targetILNS1_3genE2ELNS1_11target_archE906ELNS1_3gpuE6ELNS1_3repE0EEENS1_30default_config_static_selectorELNS0_4arch9wavefront6targetE1EEEvT1_
    .private_segment_fixed_size: 64
    .sgpr_count:     70
    .sgpr_spill_count: 0
    .symbol:         _ZN7rocprim17ROCPRIM_400000_NS6detail17trampoline_kernelINS0_14default_configENS1_29reduce_by_key_config_selectorIflN6thrust23THRUST_200600_302600_NS4plusIlEEEEZZNS1_33reduce_by_key_impl_wrapped_configILNS1_25lookback_scan_determinismE0ES3_S9_PfNS6_17constant_iteratorIiNS6_11use_defaultESE_EENS6_10device_ptrIfEENSG_IlEEPmS8_NS6_8equal_toIfEEEE10hipError_tPvRmT2_T3_mT4_T5_T6_T7_T8_P12ihipStream_tbENKUlT_T0_E_clISt17integral_constantIbLb0EES13_EEDaSY_SZ_EUlSY_E_NS1_11comp_targetILNS1_3genE2ELNS1_11target_archE906ELNS1_3gpuE6ELNS1_3repE0EEENS1_30default_config_static_selectorELNS0_4arch9wavefront6targetE1EEEvT1_.kd
    .uniform_work_group_size: 1
    .uses_dynamic_stack: false
    .vgpr_count:     102
    .vgpr_spill_count: 0
    .wavefront_size: 64
  - .args:
      - .offset:         0
        .size:           144
        .value_kind:     by_value
    .group_segment_fixed_size: 0
    .kernarg_segment_align: 8
    .kernarg_segment_size: 144
    .language:       OpenCL C
    .language_version:
      - 2
      - 0
    .max_flat_workgroup_size: 256
    .name:           _ZN7rocprim17ROCPRIM_400000_NS6detail17trampoline_kernelINS0_14default_configENS1_29reduce_by_key_config_selectorIflN6thrust23THRUST_200600_302600_NS4plusIlEEEEZZNS1_33reduce_by_key_impl_wrapped_configILNS1_25lookback_scan_determinismE0ES3_S9_PfNS6_17constant_iteratorIiNS6_11use_defaultESE_EENS6_10device_ptrIfEENSG_IlEEPmS8_NS6_8equal_toIfEEEE10hipError_tPvRmT2_T3_mT4_T5_T6_T7_T8_P12ihipStream_tbENKUlT_T0_E_clISt17integral_constantIbLb0EES13_EEDaSY_SZ_EUlSY_E_NS1_11comp_targetILNS1_3genE10ELNS1_11target_archE1201ELNS1_3gpuE5ELNS1_3repE0EEENS1_30default_config_static_selectorELNS0_4arch9wavefront6targetE1EEEvT1_
    .private_segment_fixed_size: 0
    .sgpr_count:     4
    .sgpr_spill_count: 0
    .symbol:         _ZN7rocprim17ROCPRIM_400000_NS6detail17trampoline_kernelINS0_14default_configENS1_29reduce_by_key_config_selectorIflN6thrust23THRUST_200600_302600_NS4plusIlEEEEZZNS1_33reduce_by_key_impl_wrapped_configILNS1_25lookback_scan_determinismE0ES3_S9_PfNS6_17constant_iteratorIiNS6_11use_defaultESE_EENS6_10device_ptrIfEENSG_IlEEPmS8_NS6_8equal_toIfEEEE10hipError_tPvRmT2_T3_mT4_T5_T6_T7_T8_P12ihipStream_tbENKUlT_T0_E_clISt17integral_constantIbLb0EES13_EEDaSY_SZ_EUlSY_E_NS1_11comp_targetILNS1_3genE10ELNS1_11target_archE1201ELNS1_3gpuE5ELNS1_3repE0EEENS1_30default_config_static_selectorELNS0_4arch9wavefront6targetE1EEEvT1_.kd
    .uniform_work_group_size: 1
    .uses_dynamic_stack: false
    .vgpr_count:     0
    .vgpr_spill_count: 0
    .wavefront_size: 64
  - .args:
      - .offset:         0
        .size:           144
        .value_kind:     by_value
    .group_segment_fixed_size: 0
    .kernarg_segment_align: 8
    .kernarg_segment_size: 144
    .language:       OpenCL C
    .language_version:
      - 2
      - 0
    .max_flat_workgroup_size: 256
    .name:           _ZN7rocprim17ROCPRIM_400000_NS6detail17trampoline_kernelINS0_14default_configENS1_29reduce_by_key_config_selectorIflN6thrust23THRUST_200600_302600_NS4plusIlEEEEZZNS1_33reduce_by_key_impl_wrapped_configILNS1_25lookback_scan_determinismE0ES3_S9_PfNS6_17constant_iteratorIiNS6_11use_defaultESE_EENS6_10device_ptrIfEENSG_IlEEPmS8_NS6_8equal_toIfEEEE10hipError_tPvRmT2_T3_mT4_T5_T6_T7_T8_P12ihipStream_tbENKUlT_T0_E_clISt17integral_constantIbLb0EES13_EEDaSY_SZ_EUlSY_E_NS1_11comp_targetILNS1_3genE10ELNS1_11target_archE1200ELNS1_3gpuE4ELNS1_3repE0EEENS1_30default_config_static_selectorELNS0_4arch9wavefront6targetE1EEEvT1_
    .private_segment_fixed_size: 0
    .sgpr_count:     4
    .sgpr_spill_count: 0
    .symbol:         _ZN7rocprim17ROCPRIM_400000_NS6detail17trampoline_kernelINS0_14default_configENS1_29reduce_by_key_config_selectorIflN6thrust23THRUST_200600_302600_NS4plusIlEEEEZZNS1_33reduce_by_key_impl_wrapped_configILNS1_25lookback_scan_determinismE0ES3_S9_PfNS6_17constant_iteratorIiNS6_11use_defaultESE_EENS6_10device_ptrIfEENSG_IlEEPmS8_NS6_8equal_toIfEEEE10hipError_tPvRmT2_T3_mT4_T5_T6_T7_T8_P12ihipStream_tbENKUlT_T0_E_clISt17integral_constantIbLb0EES13_EEDaSY_SZ_EUlSY_E_NS1_11comp_targetILNS1_3genE10ELNS1_11target_archE1200ELNS1_3gpuE4ELNS1_3repE0EEENS1_30default_config_static_selectorELNS0_4arch9wavefront6targetE1EEEvT1_.kd
    .uniform_work_group_size: 1
    .uses_dynamic_stack: false
    .vgpr_count:     0
    .vgpr_spill_count: 0
    .wavefront_size: 64
  - .args:
      - .offset:         0
        .size:           144
        .value_kind:     by_value
    .group_segment_fixed_size: 0
    .kernarg_segment_align: 8
    .kernarg_segment_size: 144
    .language:       OpenCL C
    .language_version:
      - 2
      - 0
    .max_flat_workgroup_size: 256
    .name:           _ZN7rocprim17ROCPRIM_400000_NS6detail17trampoline_kernelINS0_14default_configENS1_29reduce_by_key_config_selectorIflN6thrust23THRUST_200600_302600_NS4plusIlEEEEZZNS1_33reduce_by_key_impl_wrapped_configILNS1_25lookback_scan_determinismE0ES3_S9_PfNS6_17constant_iteratorIiNS6_11use_defaultESE_EENS6_10device_ptrIfEENSG_IlEEPmS8_NS6_8equal_toIfEEEE10hipError_tPvRmT2_T3_mT4_T5_T6_T7_T8_P12ihipStream_tbENKUlT_T0_E_clISt17integral_constantIbLb0EES13_EEDaSY_SZ_EUlSY_E_NS1_11comp_targetILNS1_3genE9ELNS1_11target_archE1100ELNS1_3gpuE3ELNS1_3repE0EEENS1_30default_config_static_selectorELNS0_4arch9wavefront6targetE1EEEvT1_
    .private_segment_fixed_size: 0
    .sgpr_count:     4
    .sgpr_spill_count: 0
    .symbol:         _ZN7rocprim17ROCPRIM_400000_NS6detail17trampoline_kernelINS0_14default_configENS1_29reduce_by_key_config_selectorIflN6thrust23THRUST_200600_302600_NS4plusIlEEEEZZNS1_33reduce_by_key_impl_wrapped_configILNS1_25lookback_scan_determinismE0ES3_S9_PfNS6_17constant_iteratorIiNS6_11use_defaultESE_EENS6_10device_ptrIfEENSG_IlEEPmS8_NS6_8equal_toIfEEEE10hipError_tPvRmT2_T3_mT4_T5_T6_T7_T8_P12ihipStream_tbENKUlT_T0_E_clISt17integral_constantIbLb0EES13_EEDaSY_SZ_EUlSY_E_NS1_11comp_targetILNS1_3genE9ELNS1_11target_archE1100ELNS1_3gpuE3ELNS1_3repE0EEENS1_30default_config_static_selectorELNS0_4arch9wavefront6targetE1EEEvT1_.kd
    .uniform_work_group_size: 1
    .uses_dynamic_stack: false
    .vgpr_count:     0
    .vgpr_spill_count: 0
    .wavefront_size: 64
  - .args:
      - .offset:         0
        .size:           144
        .value_kind:     by_value
    .group_segment_fixed_size: 0
    .kernarg_segment_align: 8
    .kernarg_segment_size: 144
    .language:       OpenCL C
    .language_version:
      - 2
      - 0
    .max_flat_workgroup_size: 256
    .name:           _ZN7rocprim17ROCPRIM_400000_NS6detail17trampoline_kernelINS0_14default_configENS1_29reduce_by_key_config_selectorIflN6thrust23THRUST_200600_302600_NS4plusIlEEEEZZNS1_33reduce_by_key_impl_wrapped_configILNS1_25lookback_scan_determinismE0ES3_S9_PfNS6_17constant_iteratorIiNS6_11use_defaultESE_EENS6_10device_ptrIfEENSG_IlEEPmS8_NS6_8equal_toIfEEEE10hipError_tPvRmT2_T3_mT4_T5_T6_T7_T8_P12ihipStream_tbENKUlT_T0_E_clISt17integral_constantIbLb0EES13_EEDaSY_SZ_EUlSY_E_NS1_11comp_targetILNS1_3genE8ELNS1_11target_archE1030ELNS1_3gpuE2ELNS1_3repE0EEENS1_30default_config_static_selectorELNS0_4arch9wavefront6targetE1EEEvT1_
    .private_segment_fixed_size: 0
    .sgpr_count:     4
    .sgpr_spill_count: 0
    .symbol:         _ZN7rocprim17ROCPRIM_400000_NS6detail17trampoline_kernelINS0_14default_configENS1_29reduce_by_key_config_selectorIflN6thrust23THRUST_200600_302600_NS4plusIlEEEEZZNS1_33reduce_by_key_impl_wrapped_configILNS1_25lookback_scan_determinismE0ES3_S9_PfNS6_17constant_iteratorIiNS6_11use_defaultESE_EENS6_10device_ptrIfEENSG_IlEEPmS8_NS6_8equal_toIfEEEE10hipError_tPvRmT2_T3_mT4_T5_T6_T7_T8_P12ihipStream_tbENKUlT_T0_E_clISt17integral_constantIbLb0EES13_EEDaSY_SZ_EUlSY_E_NS1_11comp_targetILNS1_3genE8ELNS1_11target_archE1030ELNS1_3gpuE2ELNS1_3repE0EEENS1_30default_config_static_selectorELNS0_4arch9wavefront6targetE1EEEvT1_.kd
    .uniform_work_group_size: 1
    .uses_dynamic_stack: false
    .vgpr_count:     0
    .vgpr_spill_count: 0
    .wavefront_size: 64
  - .args:
      - .offset:         0
        .size:           144
        .value_kind:     by_value
    .group_segment_fixed_size: 0
    .kernarg_segment_align: 8
    .kernarg_segment_size: 144
    .language:       OpenCL C
    .language_version:
      - 2
      - 0
    .max_flat_workgroup_size: 256
    .name:           _ZN7rocprim17ROCPRIM_400000_NS6detail17trampoline_kernelINS0_14default_configENS1_29reduce_by_key_config_selectorIflN6thrust23THRUST_200600_302600_NS4plusIlEEEEZZNS1_33reduce_by_key_impl_wrapped_configILNS1_25lookback_scan_determinismE0ES3_S9_PfNS6_17constant_iteratorIiNS6_11use_defaultESE_EENS6_10device_ptrIfEENSG_IlEEPmS8_NS6_8equal_toIfEEEE10hipError_tPvRmT2_T3_mT4_T5_T6_T7_T8_P12ihipStream_tbENKUlT_T0_E_clISt17integral_constantIbLb1EES13_EEDaSY_SZ_EUlSY_E_NS1_11comp_targetILNS1_3genE0ELNS1_11target_archE4294967295ELNS1_3gpuE0ELNS1_3repE0EEENS1_30default_config_static_selectorELNS0_4arch9wavefront6targetE1EEEvT1_
    .private_segment_fixed_size: 0
    .sgpr_count:     4
    .sgpr_spill_count: 0
    .symbol:         _ZN7rocprim17ROCPRIM_400000_NS6detail17trampoline_kernelINS0_14default_configENS1_29reduce_by_key_config_selectorIflN6thrust23THRUST_200600_302600_NS4plusIlEEEEZZNS1_33reduce_by_key_impl_wrapped_configILNS1_25lookback_scan_determinismE0ES3_S9_PfNS6_17constant_iteratorIiNS6_11use_defaultESE_EENS6_10device_ptrIfEENSG_IlEEPmS8_NS6_8equal_toIfEEEE10hipError_tPvRmT2_T3_mT4_T5_T6_T7_T8_P12ihipStream_tbENKUlT_T0_E_clISt17integral_constantIbLb1EES13_EEDaSY_SZ_EUlSY_E_NS1_11comp_targetILNS1_3genE0ELNS1_11target_archE4294967295ELNS1_3gpuE0ELNS1_3repE0EEENS1_30default_config_static_selectorELNS0_4arch9wavefront6targetE1EEEvT1_.kd
    .uniform_work_group_size: 1
    .uses_dynamic_stack: false
    .vgpr_count:     0
    .vgpr_spill_count: 0
    .wavefront_size: 64
  - .args:
      - .offset:         0
        .size:           144
        .value_kind:     by_value
    .group_segment_fixed_size: 0
    .kernarg_segment_align: 8
    .kernarg_segment_size: 144
    .language:       OpenCL C
    .language_version:
      - 2
      - 0
    .max_flat_workgroup_size: 256
    .name:           _ZN7rocprim17ROCPRIM_400000_NS6detail17trampoline_kernelINS0_14default_configENS1_29reduce_by_key_config_selectorIflN6thrust23THRUST_200600_302600_NS4plusIlEEEEZZNS1_33reduce_by_key_impl_wrapped_configILNS1_25lookback_scan_determinismE0ES3_S9_PfNS6_17constant_iteratorIiNS6_11use_defaultESE_EENS6_10device_ptrIfEENSG_IlEEPmS8_NS6_8equal_toIfEEEE10hipError_tPvRmT2_T3_mT4_T5_T6_T7_T8_P12ihipStream_tbENKUlT_T0_E_clISt17integral_constantIbLb1EES13_EEDaSY_SZ_EUlSY_E_NS1_11comp_targetILNS1_3genE5ELNS1_11target_archE942ELNS1_3gpuE9ELNS1_3repE0EEENS1_30default_config_static_selectorELNS0_4arch9wavefront6targetE1EEEvT1_
    .private_segment_fixed_size: 0
    .sgpr_count:     4
    .sgpr_spill_count: 0
    .symbol:         _ZN7rocprim17ROCPRIM_400000_NS6detail17trampoline_kernelINS0_14default_configENS1_29reduce_by_key_config_selectorIflN6thrust23THRUST_200600_302600_NS4plusIlEEEEZZNS1_33reduce_by_key_impl_wrapped_configILNS1_25lookback_scan_determinismE0ES3_S9_PfNS6_17constant_iteratorIiNS6_11use_defaultESE_EENS6_10device_ptrIfEENSG_IlEEPmS8_NS6_8equal_toIfEEEE10hipError_tPvRmT2_T3_mT4_T5_T6_T7_T8_P12ihipStream_tbENKUlT_T0_E_clISt17integral_constantIbLb1EES13_EEDaSY_SZ_EUlSY_E_NS1_11comp_targetILNS1_3genE5ELNS1_11target_archE942ELNS1_3gpuE9ELNS1_3repE0EEENS1_30default_config_static_selectorELNS0_4arch9wavefront6targetE1EEEvT1_.kd
    .uniform_work_group_size: 1
    .uses_dynamic_stack: false
    .vgpr_count:     0
    .vgpr_spill_count: 0
    .wavefront_size: 64
  - .args:
      - .offset:         0
        .size:           144
        .value_kind:     by_value
    .group_segment_fixed_size: 0
    .kernarg_segment_align: 8
    .kernarg_segment_size: 144
    .language:       OpenCL C
    .language_version:
      - 2
      - 0
    .max_flat_workgroup_size: 256
    .name:           _ZN7rocprim17ROCPRIM_400000_NS6detail17trampoline_kernelINS0_14default_configENS1_29reduce_by_key_config_selectorIflN6thrust23THRUST_200600_302600_NS4plusIlEEEEZZNS1_33reduce_by_key_impl_wrapped_configILNS1_25lookback_scan_determinismE0ES3_S9_PfNS6_17constant_iteratorIiNS6_11use_defaultESE_EENS6_10device_ptrIfEENSG_IlEEPmS8_NS6_8equal_toIfEEEE10hipError_tPvRmT2_T3_mT4_T5_T6_T7_T8_P12ihipStream_tbENKUlT_T0_E_clISt17integral_constantIbLb1EES13_EEDaSY_SZ_EUlSY_E_NS1_11comp_targetILNS1_3genE4ELNS1_11target_archE910ELNS1_3gpuE8ELNS1_3repE0EEENS1_30default_config_static_selectorELNS0_4arch9wavefront6targetE1EEEvT1_
    .private_segment_fixed_size: 0
    .sgpr_count:     4
    .sgpr_spill_count: 0
    .symbol:         _ZN7rocprim17ROCPRIM_400000_NS6detail17trampoline_kernelINS0_14default_configENS1_29reduce_by_key_config_selectorIflN6thrust23THRUST_200600_302600_NS4plusIlEEEEZZNS1_33reduce_by_key_impl_wrapped_configILNS1_25lookback_scan_determinismE0ES3_S9_PfNS6_17constant_iteratorIiNS6_11use_defaultESE_EENS6_10device_ptrIfEENSG_IlEEPmS8_NS6_8equal_toIfEEEE10hipError_tPvRmT2_T3_mT4_T5_T6_T7_T8_P12ihipStream_tbENKUlT_T0_E_clISt17integral_constantIbLb1EES13_EEDaSY_SZ_EUlSY_E_NS1_11comp_targetILNS1_3genE4ELNS1_11target_archE910ELNS1_3gpuE8ELNS1_3repE0EEENS1_30default_config_static_selectorELNS0_4arch9wavefront6targetE1EEEvT1_.kd
    .uniform_work_group_size: 1
    .uses_dynamic_stack: false
    .vgpr_count:     0
    .vgpr_spill_count: 0
    .wavefront_size: 64
  - .args:
      - .offset:         0
        .size:           144
        .value_kind:     by_value
    .group_segment_fixed_size: 0
    .kernarg_segment_align: 8
    .kernarg_segment_size: 144
    .language:       OpenCL C
    .language_version:
      - 2
      - 0
    .max_flat_workgroup_size: 256
    .name:           _ZN7rocprim17ROCPRIM_400000_NS6detail17trampoline_kernelINS0_14default_configENS1_29reduce_by_key_config_selectorIflN6thrust23THRUST_200600_302600_NS4plusIlEEEEZZNS1_33reduce_by_key_impl_wrapped_configILNS1_25lookback_scan_determinismE0ES3_S9_PfNS6_17constant_iteratorIiNS6_11use_defaultESE_EENS6_10device_ptrIfEENSG_IlEEPmS8_NS6_8equal_toIfEEEE10hipError_tPvRmT2_T3_mT4_T5_T6_T7_T8_P12ihipStream_tbENKUlT_T0_E_clISt17integral_constantIbLb1EES13_EEDaSY_SZ_EUlSY_E_NS1_11comp_targetILNS1_3genE3ELNS1_11target_archE908ELNS1_3gpuE7ELNS1_3repE0EEENS1_30default_config_static_selectorELNS0_4arch9wavefront6targetE1EEEvT1_
    .private_segment_fixed_size: 0
    .sgpr_count:     4
    .sgpr_spill_count: 0
    .symbol:         _ZN7rocprim17ROCPRIM_400000_NS6detail17trampoline_kernelINS0_14default_configENS1_29reduce_by_key_config_selectorIflN6thrust23THRUST_200600_302600_NS4plusIlEEEEZZNS1_33reduce_by_key_impl_wrapped_configILNS1_25lookback_scan_determinismE0ES3_S9_PfNS6_17constant_iteratorIiNS6_11use_defaultESE_EENS6_10device_ptrIfEENSG_IlEEPmS8_NS6_8equal_toIfEEEE10hipError_tPvRmT2_T3_mT4_T5_T6_T7_T8_P12ihipStream_tbENKUlT_T0_E_clISt17integral_constantIbLb1EES13_EEDaSY_SZ_EUlSY_E_NS1_11comp_targetILNS1_3genE3ELNS1_11target_archE908ELNS1_3gpuE7ELNS1_3repE0EEENS1_30default_config_static_selectorELNS0_4arch9wavefront6targetE1EEEvT1_.kd
    .uniform_work_group_size: 1
    .uses_dynamic_stack: false
    .vgpr_count:     0
    .vgpr_spill_count: 0
    .wavefront_size: 64
  - .args:
      - .offset:         0
        .size:           144
        .value_kind:     by_value
    .group_segment_fixed_size: 0
    .kernarg_segment_align: 8
    .kernarg_segment_size: 144
    .language:       OpenCL C
    .language_version:
      - 2
      - 0
    .max_flat_workgroup_size: 256
    .name:           _ZN7rocprim17ROCPRIM_400000_NS6detail17trampoline_kernelINS0_14default_configENS1_29reduce_by_key_config_selectorIflN6thrust23THRUST_200600_302600_NS4plusIlEEEEZZNS1_33reduce_by_key_impl_wrapped_configILNS1_25lookback_scan_determinismE0ES3_S9_PfNS6_17constant_iteratorIiNS6_11use_defaultESE_EENS6_10device_ptrIfEENSG_IlEEPmS8_NS6_8equal_toIfEEEE10hipError_tPvRmT2_T3_mT4_T5_T6_T7_T8_P12ihipStream_tbENKUlT_T0_E_clISt17integral_constantIbLb1EES13_EEDaSY_SZ_EUlSY_E_NS1_11comp_targetILNS1_3genE2ELNS1_11target_archE906ELNS1_3gpuE6ELNS1_3repE0EEENS1_30default_config_static_selectorELNS0_4arch9wavefront6targetE1EEEvT1_
    .private_segment_fixed_size: 0
    .sgpr_count:     4
    .sgpr_spill_count: 0
    .symbol:         _ZN7rocprim17ROCPRIM_400000_NS6detail17trampoline_kernelINS0_14default_configENS1_29reduce_by_key_config_selectorIflN6thrust23THRUST_200600_302600_NS4plusIlEEEEZZNS1_33reduce_by_key_impl_wrapped_configILNS1_25lookback_scan_determinismE0ES3_S9_PfNS6_17constant_iteratorIiNS6_11use_defaultESE_EENS6_10device_ptrIfEENSG_IlEEPmS8_NS6_8equal_toIfEEEE10hipError_tPvRmT2_T3_mT4_T5_T6_T7_T8_P12ihipStream_tbENKUlT_T0_E_clISt17integral_constantIbLb1EES13_EEDaSY_SZ_EUlSY_E_NS1_11comp_targetILNS1_3genE2ELNS1_11target_archE906ELNS1_3gpuE6ELNS1_3repE0EEENS1_30default_config_static_selectorELNS0_4arch9wavefront6targetE1EEEvT1_.kd
    .uniform_work_group_size: 1
    .uses_dynamic_stack: false
    .vgpr_count:     0
    .vgpr_spill_count: 0
    .wavefront_size: 64
  - .args:
      - .offset:         0
        .size:           144
        .value_kind:     by_value
    .group_segment_fixed_size: 0
    .kernarg_segment_align: 8
    .kernarg_segment_size: 144
    .language:       OpenCL C
    .language_version:
      - 2
      - 0
    .max_flat_workgroup_size: 256
    .name:           _ZN7rocprim17ROCPRIM_400000_NS6detail17trampoline_kernelINS0_14default_configENS1_29reduce_by_key_config_selectorIflN6thrust23THRUST_200600_302600_NS4plusIlEEEEZZNS1_33reduce_by_key_impl_wrapped_configILNS1_25lookback_scan_determinismE0ES3_S9_PfNS6_17constant_iteratorIiNS6_11use_defaultESE_EENS6_10device_ptrIfEENSG_IlEEPmS8_NS6_8equal_toIfEEEE10hipError_tPvRmT2_T3_mT4_T5_T6_T7_T8_P12ihipStream_tbENKUlT_T0_E_clISt17integral_constantIbLb1EES13_EEDaSY_SZ_EUlSY_E_NS1_11comp_targetILNS1_3genE10ELNS1_11target_archE1201ELNS1_3gpuE5ELNS1_3repE0EEENS1_30default_config_static_selectorELNS0_4arch9wavefront6targetE1EEEvT1_
    .private_segment_fixed_size: 0
    .sgpr_count:     4
    .sgpr_spill_count: 0
    .symbol:         _ZN7rocprim17ROCPRIM_400000_NS6detail17trampoline_kernelINS0_14default_configENS1_29reduce_by_key_config_selectorIflN6thrust23THRUST_200600_302600_NS4plusIlEEEEZZNS1_33reduce_by_key_impl_wrapped_configILNS1_25lookback_scan_determinismE0ES3_S9_PfNS6_17constant_iteratorIiNS6_11use_defaultESE_EENS6_10device_ptrIfEENSG_IlEEPmS8_NS6_8equal_toIfEEEE10hipError_tPvRmT2_T3_mT4_T5_T6_T7_T8_P12ihipStream_tbENKUlT_T0_E_clISt17integral_constantIbLb1EES13_EEDaSY_SZ_EUlSY_E_NS1_11comp_targetILNS1_3genE10ELNS1_11target_archE1201ELNS1_3gpuE5ELNS1_3repE0EEENS1_30default_config_static_selectorELNS0_4arch9wavefront6targetE1EEEvT1_.kd
    .uniform_work_group_size: 1
    .uses_dynamic_stack: false
    .vgpr_count:     0
    .vgpr_spill_count: 0
    .wavefront_size: 64
  - .args:
      - .offset:         0
        .size:           144
        .value_kind:     by_value
    .group_segment_fixed_size: 0
    .kernarg_segment_align: 8
    .kernarg_segment_size: 144
    .language:       OpenCL C
    .language_version:
      - 2
      - 0
    .max_flat_workgroup_size: 256
    .name:           _ZN7rocprim17ROCPRIM_400000_NS6detail17trampoline_kernelINS0_14default_configENS1_29reduce_by_key_config_selectorIflN6thrust23THRUST_200600_302600_NS4plusIlEEEEZZNS1_33reduce_by_key_impl_wrapped_configILNS1_25lookback_scan_determinismE0ES3_S9_PfNS6_17constant_iteratorIiNS6_11use_defaultESE_EENS6_10device_ptrIfEENSG_IlEEPmS8_NS6_8equal_toIfEEEE10hipError_tPvRmT2_T3_mT4_T5_T6_T7_T8_P12ihipStream_tbENKUlT_T0_E_clISt17integral_constantIbLb1EES13_EEDaSY_SZ_EUlSY_E_NS1_11comp_targetILNS1_3genE10ELNS1_11target_archE1200ELNS1_3gpuE4ELNS1_3repE0EEENS1_30default_config_static_selectorELNS0_4arch9wavefront6targetE1EEEvT1_
    .private_segment_fixed_size: 0
    .sgpr_count:     4
    .sgpr_spill_count: 0
    .symbol:         _ZN7rocprim17ROCPRIM_400000_NS6detail17trampoline_kernelINS0_14default_configENS1_29reduce_by_key_config_selectorIflN6thrust23THRUST_200600_302600_NS4plusIlEEEEZZNS1_33reduce_by_key_impl_wrapped_configILNS1_25lookback_scan_determinismE0ES3_S9_PfNS6_17constant_iteratorIiNS6_11use_defaultESE_EENS6_10device_ptrIfEENSG_IlEEPmS8_NS6_8equal_toIfEEEE10hipError_tPvRmT2_T3_mT4_T5_T6_T7_T8_P12ihipStream_tbENKUlT_T0_E_clISt17integral_constantIbLb1EES13_EEDaSY_SZ_EUlSY_E_NS1_11comp_targetILNS1_3genE10ELNS1_11target_archE1200ELNS1_3gpuE4ELNS1_3repE0EEENS1_30default_config_static_selectorELNS0_4arch9wavefront6targetE1EEEvT1_.kd
    .uniform_work_group_size: 1
    .uses_dynamic_stack: false
    .vgpr_count:     0
    .vgpr_spill_count: 0
    .wavefront_size: 64
  - .args:
      - .offset:         0
        .size:           144
        .value_kind:     by_value
    .group_segment_fixed_size: 0
    .kernarg_segment_align: 8
    .kernarg_segment_size: 144
    .language:       OpenCL C
    .language_version:
      - 2
      - 0
    .max_flat_workgroup_size: 256
    .name:           _ZN7rocprim17ROCPRIM_400000_NS6detail17trampoline_kernelINS0_14default_configENS1_29reduce_by_key_config_selectorIflN6thrust23THRUST_200600_302600_NS4plusIlEEEEZZNS1_33reduce_by_key_impl_wrapped_configILNS1_25lookback_scan_determinismE0ES3_S9_PfNS6_17constant_iteratorIiNS6_11use_defaultESE_EENS6_10device_ptrIfEENSG_IlEEPmS8_NS6_8equal_toIfEEEE10hipError_tPvRmT2_T3_mT4_T5_T6_T7_T8_P12ihipStream_tbENKUlT_T0_E_clISt17integral_constantIbLb1EES13_EEDaSY_SZ_EUlSY_E_NS1_11comp_targetILNS1_3genE9ELNS1_11target_archE1100ELNS1_3gpuE3ELNS1_3repE0EEENS1_30default_config_static_selectorELNS0_4arch9wavefront6targetE1EEEvT1_
    .private_segment_fixed_size: 0
    .sgpr_count:     4
    .sgpr_spill_count: 0
    .symbol:         _ZN7rocprim17ROCPRIM_400000_NS6detail17trampoline_kernelINS0_14default_configENS1_29reduce_by_key_config_selectorIflN6thrust23THRUST_200600_302600_NS4plusIlEEEEZZNS1_33reduce_by_key_impl_wrapped_configILNS1_25lookback_scan_determinismE0ES3_S9_PfNS6_17constant_iteratorIiNS6_11use_defaultESE_EENS6_10device_ptrIfEENSG_IlEEPmS8_NS6_8equal_toIfEEEE10hipError_tPvRmT2_T3_mT4_T5_T6_T7_T8_P12ihipStream_tbENKUlT_T0_E_clISt17integral_constantIbLb1EES13_EEDaSY_SZ_EUlSY_E_NS1_11comp_targetILNS1_3genE9ELNS1_11target_archE1100ELNS1_3gpuE3ELNS1_3repE0EEENS1_30default_config_static_selectorELNS0_4arch9wavefront6targetE1EEEvT1_.kd
    .uniform_work_group_size: 1
    .uses_dynamic_stack: false
    .vgpr_count:     0
    .vgpr_spill_count: 0
    .wavefront_size: 64
  - .args:
      - .offset:         0
        .size:           144
        .value_kind:     by_value
    .group_segment_fixed_size: 0
    .kernarg_segment_align: 8
    .kernarg_segment_size: 144
    .language:       OpenCL C
    .language_version:
      - 2
      - 0
    .max_flat_workgroup_size: 256
    .name:           _ZN7rocprim17ROCPRIM_400000_NS6detail17trampoline_kernelINS0_14default_configENS1_29reduce_by_key_config_selectorIflN6thrust23THRUST_200600_302600_NS4plusIlEEEEZZNS1_33reduce_by_key_impl_wrapped_configILNS1_25lookback_scan_determinismE0ES3_S9_PfNS6_17constant_iteratorIiNS6_11use_defaultESE_EENS6_10device_ptrIfEENSG_IlEEPmS8_NS6_8equal_toIfEEEE10hipError_tPvRmT2_T3_mT4_T5_T6_T7_T8_P12ihipStream_tbENKUlT_T0_E_clISt17integral_constantIbLb1EES13_EEDaSY_SZ_EUlSY_E_NS1_11comp_targetILNS1_3genE8ELNS1_11target_archE1030ELNS1_3gpuE2ELNS1_3repE0EEENS1_30default_config_static_selectorELNS0_4arch9wavefront6targetE1EEEvT1_
    .private_segment_fixed_size: 0
    .sgpr_count:     4
    .sgpr_spill_count: 0
    .symbol:         _ZN7rocprim17ROCPRIM_400000_NS6detail17trampoline_kernelINS0_14default_configENS1_29reduce_by_key_config_selectorIflN6thrust23THRUST_200600_302600_NS4plusIlEEEEZZNS1_33reduce_by_key_impl_wrapped_configILNS1_25lookback_scan_determinismE0ES3_S9_PfNS6_17constant_iteratorIiNS6_11use_defaultESE_EENS6_10device_ptrIfEENSG_IlEEPmS8_NS6_8equal_toIfEEEE10hipError_tPvRmT2_T3_mT4_T5_T6_T7_T8_P12ihipStream_tbENKUlT_T0_E_clISt17integral_constantIbLb1EES13_EEDaSY_SZ_EUlSY_E_NS1_11comp_targetILNS1_3genE8ELNS1_11target_archE1030ELNS1_3gpuE2ELNS1_3repE0EEENS1_30default_config_static_selectorELNS0_4arch9wavefront6targetE1EEEvT1_.kd
    .uniform_work_group_size: 1
    .uses_dynamic_stack: false
    .vgpr_count:     0
    .vgpr_spill_count: 0
    .wavefront_size: 64
  - .args:
      - .offset:         0
        .size:           144
        .value_kind:     by_value
    .group_segment_fixed_size: 0
    .kernarg_segment_align: 8
    .kernarg_segment_size: 144
    .language:       OpenCL C
    .language_version:
      - 2
      - 0
    .max_flat_workgroup_size: 256
    .name:           _ZN7rocprim17ROCPRIM_400000_NS6detail17trampoline_kernelINS0_14default_configENS1_29reduce_by_key_config_selectorIflN6thrust23THRUST_200600_302600_NS4plusIlEEEEZZNS1_33reduce_by_key_impl_wrapped_configILNS1_25lookback_scan_determinismE0ES3_S9_PfNS6_17constant_iteratorIiNS6_11use_defaultESE_EENS6_10device_ptrIfEENSG_IlEEPmS8_NS6_8equal_toIfEEEE10hipError_tPvRmT2_T3_mT4_T5_T6_T7_T8_P12ihipStream_tbENKUlT_T0_E_clISt17integral_constantIbLb1EES12_IbLb0EEEEDaSY_SZ_EUlSY_E_NS1_11comp_targetILNS1_3genE0ELNS1_11target_archE4294967295ELNS1_3gpuE0ELNS1_3repE0EEENS1_30default_config_static_selectorELNS0_4arch9wavefront6targetE1EEEvT1_
    .private_segment_fixed_size: 0
    .sgpr_count:     4
    .sgpr_spill_count: 0
    .symbol:         _ZN7rocprim17ROCPRIM_400000_NS6detail17trampoline_kernelINS0_14default_configENS1_29reduce_by_key_config_selectorIflN6thrust23THRUST_200600_302600_NS4plusIlEEEEZZNS1_33reduce_by_key_impl_wrapped_configILNS1_25lookback_scan_determinismE0ES3_S9_PfNS6_17constant_iteratorIiNS6_11use_defaultESE_EENS6_10device_ptrIfEENSG_IlEEPmS8_NS6_8equal_toIfEEEE10hipError_tPvRmT2_T3_mT4_T5_T6_T7_T8_P12ihipStream_tbENKUlT_T0_E_clISt17integral_constantIbLb1EES12_IbLb0EEEEDaSY_SZ_EUlSY_E_NS1_11comp_targetILNS1_3genE0ELNS1_11target_archE4294967295ELNS1_3gpuE0ELNS1_3repE0EEENS1_30default_config_static_selectorELNS0_4arch9wavefront6targetE1EEEvT1_.kd
    .uniform_work_group_size: 1
    .uses_dynamic_stack: false
    .vgpr_count:     0
    .vgpr_spill_count: 0
    .wavefront_size: 64
  - .args:
      - .offset:         0
        .size:           144
        .value_kind:     by_value
    .group_segment_fixed_size: 0
    .kernarg_segment_align: 8
    .kernarg_segment_size: 144
    .language:       OpenCL C
    .language_version:
      - 2
      - 0
    .max_flat_workgroup_size: 256
    .name:           _ZN7rocprim17ROCPRIM_400000_NS6detail17trampoline_kernelINS0_14default_configENS1_29reduce_by_key_config_selectorIflN6thrust23THRUST_200600_302600_NS4plusIlEEEEZZNS1_33reduce_by_key_impl_wrapped_configILNS1_25lookback_scan_determinismE0ES3_S9_PfNS6_17constant_iteratorIiNS6_11use_defaultESE_EENS6_10device_ptrIfEENSG_IlEEPmS8_NS6_8equal_toIfEEEE10hipError_tPvRmT2_T3_mT4_T5_T6_T7_T8_P12ihipStream_tbENKUlT_T0_E_clISt17integral_constantIbLb1EES12_IbLb0EEEEDaSY_SZ_EUlSY_E_NS1_11comp_targetILNS1_3genE5ELNS1_11target_archE942ELNS1_3gpuE9ELNS1_3repE0EEENS1_30default_config_static_selectorELNS0_4arch9wavefront6targetE1EEEvT1_
    .private_segment_fixed_size: 0
    .sgpr_count:     4
    .sgpr_spill_count: 0
    .symbol:         _ZN7rocprim17ROCPRIM_400000_NS6detail17trampoline_kernelINS0_14default_configENS1_29reduce_by_key_config_selectorIflN6thrust23THRUST_200600_302600_NS4plusIlEEEEZZNS1_33reduce_by_key_impl_wrapped_configILNS1_25lookback_scan_determinismE0ES3_S9_PfNS6_17constant_iteratorIiNS6_11use_defaultESE_EENS6_10device_ptrIfEENSG_IlEEPmS8_NS6_8equal_toIfEEEE10hipError_tPvRmT2_T3_mT4_T5_T6_T7_T8_P12ihipStream_tbENKUlT_T0_E_clISt17integral_constantIbLb1EES12_IbLb0EEEEDaSY_SZ_EUlSY_E_NS1_11comp_targetILNS1_3genE5ELNS1_11target_archE942ELNS1_3gpuE9ELNS1_3repE0EEENS1_30default_config_static_selectorELNS0_4arch9wavefront6targetE1EEEvT1_.kd
    .uniform_work_group_size: 1
    .uses_dynamic_stack: false
    .vgpr_count:     0
    .vgpr_spill_count: 0
    .wavefront_size: 64
  - .args:
      - .offset:         0
        .size:           144
        .value_kind:     by_value
    .group_segment_fixed_size: 0
    .kernarg_segment_align: 8
    .kernarg_segment_size: 144
    .language:       OpenCL C
    .language_version:
      - 2
      - 0
    .max_flat_workgroup_size: 256
    .name:           _ZN7rocprim17ROCPRIM_400000_NS6detail17trampoline_kernelINS0_14default_configENS1_29reduce_by_key_config_selectorIflN6thrust23THRUST_200600_302600_NS4plusIlEEEEZZNS1_33reduce_by_key_impl_wrapped_configILNS1_25lookback_scan_determinismE0ES3_S9_PfNS6_17constant_iteratorIiNS6_11use_defaultESE_EENS6_10device_ptrIfEENSG_IlEEPmS8_NS6_8equal_toIfEEEE10hipError_tPvRmT2_T3_mT4_T5_T6_T7_T8_P12ihipStream_tbENKUlT_T0_E_clISt17integral_constantIbLb1EES12_IbLb0EEEEDaSY_SZ_EUlSY_E_NS1_11comp_targetILNS1_3genE4ELNS1_11target_archE910ELNS1_3gpuE8ELNS1_3repE0EEENS1_30default_config_static_selectorELNS0_4arch9wavefront6targetE1EEEvT1_
    .private_segment_fixed_size: 0
    .sgpr_count:     4
    .sgpr_spill_count: 0
    .symbol:         _ZN7rocprim17ROCPRIM_400000_NS6detail17trampoline_kernelINS0_14default_configENS1_29reduce_by_key_config_selectorIflN6thrust23THRUST_200600_302600_NS4plusIlEEEEZZNS1_33reduce_by_key_impl_wrapped_configILNS1_25lookback_scan_determinismE0ES3_S9_PfNS6_17constant_iteratorIiNS6_11use_defaultESE_EENS6_10device_ptrIfEENSG_IlEEPmS8_NS6_8equal_toIfEEEE10hipError_tPvRmT2_T3_mT4_T5_T6_T7_T8_P12ihipStream_tbENKUlT_T0_E_clISt17integral_constantIbLb1EES12_IbLb0EEEEDaSY_SZ_EUlSY_E_NS1_11comp_targetILNS1_3genE4ELNS1_11target_archE910ELNS1_3gpuE8ELNS1_3repE0EEENS1_30default_config_static_selectorELNS0_4arch9wavefront6targetE1EEEvT1_.kd
    .uniform_work_group_size: 1
    .uses_dynamic_stack: false
    .vgpr_count:     0
    .vgpr_spill_count: 0
    .wavefront_size: 64
  - .args:
      - .offset:         0
        .size:           144
        .value_kind:     by_value
    .group_segment_fixed_size: 0
    .kernarg_segment_align: 8
    .kernarg_segment_size: 144
    .language:       OpenCL C
    .language_version:
      - 2
      - 0
    .max_flat_workgroup_size: 256
    .name:           _ZN7rocprim17ROCPRIM_400000_NS6detail17trampoline_kernelINS0_14default_configENS1_29reduce_by_key_config_selectorIflN6thrust23THRUST_200600_302600_NS4plusIlEEEEZZNS1_33reduce_by_key_impl_wrapped_configILNS1_25lookback_scan_determinismE0ES3_S9_PfNS6_17constant_iteratorIiNS6_11use_defaultESE_EENS6_10device_ptrIfEENSG_IlEEPmS8_NS6_8equal_toIfEEEE10hipError_tPvRmT2_T3_mT4_T5_T6_T7_T8_P12ihipStream_tbENKUlT_T0_E_clISt17integral_constantIbLb1EES12_IbLb0EEEEDaSY_SZ_EUlSY_E_NS1_11comp_targetILNS1_3genE3ELNS1_11target_archE908ELNS1_3gpuE7ELNS1_3repE0EEENS1_30default_config_static_selectorELNS0_4arch9wavefront6targetE1EEEvT1_
    .private_segment_fixed_size: 0
    .sgpr_count:     4
    .sgpr_spill_count: 0
    .symbol:         _ZN7rocprim17ROCPRIM_400000_NS6detail17trampoline_kernelINS0_14default_configENS1_29reduce_by_key_config_selectorIflN6thrust23THRUST_200600_302600_NS4plusIlEEEEZZNS1_33reduce_by_key_impl_wrapped_configILNS1_25lookback_scan_determinismE0ES3_S9_PfNS6_17constant_iteratorIiNS6_11use_defaultESE_EENS6_10device_ptrIfEENSG_IlEEPmS8_NS6_8equal_toIfEEEE10hipError_tPvRmT2_T3_mT4_T5_T6_T7_T8_P12ihipStream_tbENKUlT_T0_E_clISt17integral_constantIbLb1EES12_IbLb0EEEEDaSY_SZ_EUlSY_E_NS1_11comp_targetILNS1_3genE3ELNS1_11target_archE908ELNS1_3gpuE7ELNS1_3repE0EEENS1_30default_config_static_selectorELNS0_4arch9wavefront6targetE1EEEvT1_.kd
    .uniform_work_group_size: 1
    .uses_dynamic_stack: false
    .vgpr_count:     0
    .vgpr_spill_count: 0
    .wavefront_size: 64
  - .args:
      - .offset:         0
        .size:           144
        .value_kind:     by_value
    .group_segment_fixed_size: 0
    .kernarg_segment_align: 8
    .kernarg_segment_size: 144
    .language:       OpenCL C
    .language_version:
      - 2
      - 0
    .max_flat_workgroup_size: 256
    .name:           _ZN7rocprim17ROCPRIM_400000_NS6detail17trampoline_kernelINS0_14default_configENS1_29reduce_by_key_config_selectorIflN6thrust23THRUST_200600_302600_NS4plusIlEEEEZZNS1_33reduce_by_key_impl_wrapped_configILNS1_25lookback_scan_determinismE0ES3_S9_PfNS6_17constant_iteratorIiNS6_11use_defaultESE_EENS6_10device_ptrIfEENSG_IlEEPmS8_NS6_8equal_toIfEEEE10hipError_tPvRmT2_T3_mT4_T5_T6_T7_T8_P12ihipStream_tbENKUlT_T0_E_clISt17integral_constantIbLb1EES12_IbLb0EEEEDaSY_SZ_EUlSY_E_NS1_11comp_targetILNS1_3genE2ELNS1_11target_archE906ELNS1_3gpuE6ELNS1_3repE0EEENS1_30default_config_static_selectorELNS0_4arch9wavefront6targetE1EEEvT1_
    .private_segment_fixed_size: 0
    .sgpr_count:     4
    .sgpr_spill_count: 0
    .symbol:         _ZN7rocprim17ROCPRIM_400000_NS6detail17trampoline_kernelINS0_14default_configENS1_29reduce_by_key_config_selectorIflN6thrust23THRUST_200600_302600_NS4plusIlEEEEZZNS1_33reduce_by_key_impl_wrapped_configILNS1_25lookback_scan_determinismE0ES3_S9_PfNS6_17constant_iteratorIiNS6_11use_defaultESE_EENS6_10device_ptrIfEENSG_IlEEPmS8_NS6_8equal_toIfEEEE10hipError_tPvRmT2_T3_mT4_T5_T6_T7_T8_P12ihipStream_tbENKUlT_T0_E_clISt17integral_constantIbLb1EES12_IbLb0EEEEDaSY_SZ_EUlSY_E_NS1_11comp_targetILNS1_3genE2ELNS1_11target_archE906ELNS1_3gpuE6ELNS1_3repE0EEENS1_30default_config_static_selectorELNS0_4arch9wavefront6targetE1EEEvT1_.kd
    .uniform_work_group_size: 1
    .uses_dynamic_stack: false
    .vgpr_count:     0
    .vgpr_spill_count: 0
    .wavefront_size: 64
  - .args:
      - .offset:         0
        .size:           144
        .value_kind:     by_value
    .group_segment_fixed_size: 0
    .kernarg_segment_align: 8
    .kernarg_segment_size: 144
    .language:       OpenCL C
    .language_version:
      - 2
      - 0
    .max_flat_workgroup_size: 256
    .name:           _ZN7rocprim17ROCPRIM_400000_NS6detail17trampoline_kernelINS0_14default_configENS1_29reduce_by_key_config_selectorIflN6thrust23THRUST_200600_302600_NS4plusIlEEEEZZNS1_33reduce_by_key_impl_wrapped_configILNS1_25lookback_scan_determinismE0ES3_S9_PfNS6_17constant_iteratorIiNS6_11use_defaultESE_EENS6_10device_ptrIfEENSG_IlEEPmS8_NS6_8equal_toIfEEEE10hipError_tPvRmT2_T3_mT4_T5_T6_T7_T8_P12ihipStream_tbENKUlT_T0_E_clISt17integral_constantIbLb1EES12_IbLb0EEEEDaSY_SZ_EUlSY_E_NS1_11comp_targetILNS1_3genE10ELNS1_11target_archE1201ELNS1_3gpuE5ELNS1_3repE0EEENS1_30default_config_static_selectorELNS0_4arch9wavefront6targetE1EEEvT1_
    .private_segment_fixed_size: 0
    .sgpr_count:     4
    .sgpr_spill_count: 0
    .symbol:         _ZN7rocprim17ROCPRIM_400000_NS6detail17trampoline_kernelINS0_14default_configENS1_29reduce_by_key_config_selectorIflN6thrust23THRUST_200600_302600_NS4plusIlEEEEZZNS1_33reduce_by_key_impl_wrapped_configILNS1_25lookback_scan_determinismE0ES3_S9_PfNS6_17constant_iteratorIiNS6_11use_defaultESE_EENS6_10device_ptrIfEENSG_IlEEPmS8_NS6_8equal_toIfEEEE10hipError_tPvRmT2_T3_mT4_T5_T6_T7_T8_P12ihipStream_tbENKUlT_T0_E_clISt17integral_constantIbLb1EES12_IbLb0EEEEDaSY_SZ_EUlSY_E_NS1_11comp_targetILNS1_3genE10ELNS1_11target_archE1201ELNS1_3gpuE5ELNS1_3repE0EEENS1_30default_config_static_selectorELNS0_4arch9wavefront6targetE1EEEvT1_.kd
    .uniform_work_group_size: 1
    .uses_dynamic_stack: false
    .vgpr_count:     0
    .vgpr_spill_count: 0
    .wavefront_size: 64
  - .args:
      - .offset:         0
        .size:           144
        .value_kind:     by_value
    .group_segment_fixed_size: 0
    .kernarg_segment_align: 8
    .kernarg_segment_size: 144
    .language:       OpenCL C
    .language_version:
      - 2
      - 0
    .max_flat_workgroup_size: 256
    .name:           _ZN7rocprim17ROCPRIM_400000_NS6detail17trampoline_kernelINS0_14default_configENS1_29reduce_by_key_config_selectorIflN6thrust23THRUST_200600_302600_NS4plusIlEEEEZZNS1_33reduce_by_key_impl_wrapped_configILNS1_25lookback_scan_determinismE0ES3_S9_PfNS6_17constant_iteratorIiNS6_11use_defaultESE_EENS6_10device_ptrIfEENSG_IlEEPmS8_NS6_8equal_toIfEEEE10hipError_tPvRmT2_T3_mT4_T5_T6_T7_T8_P12ihipStream_tbENKUlT_T0_E_clISt17integral_constantIbLb1EES12_IbLb0EEEEDaSY_SZ_EUlSY_E_NS1_11comp_targetILNS1_3genE10ELNS1_11target_archE1200ELNS1_3gpuE4ELNS1_3repE0EEENS1_30default_config_static_selectorELNS0_4arch9wavefront6targetE1EEEvT1_
    .private_segment_fixed_size: 0
    .sgpr_count:     4
    .sgpr_spill_count: 0
    .symbol:         _ZN7rocprim17ROCPRIM_400000_NS6detail17trampoline_kernelINS0_14default_configENS1_29reduce_by_key_config_selectorIflN6thrust23THRUST_200600_302600_NS4plusIlEEEEZZNS1_33reduce_by_key_impl_wrapped_configILNS1_25lookback_scan_determinismE0ES3_S9_PfNS6_17constant_iteratorIiNS6_11use_defaultESE_EENS6_10device_ptrIfEENSG_IlEEPmS8_NS6_8equal_toIfEEEE10hipError_tPvRmT2_T3_mT4_T5_T6_T7_T8_P12ihipStream_tbENKUlT_T0_E_clISt17integral_constantIbLb1EES12_IbLb0EEEEDaSY_SZ_EUlSY_E_NS1_11comp_targetILNS1_3genE10ELNS1_11target_archE1200ELNS1_3gpuE4ELNS1_3repE0EEENS1_30default_config_static_selectorELNS0_4arch9wavefront6targetE1EEEvT1_.kd
    .uniform_work_group_size: 1
    .uses_dynamic_stack: false
    .vgpr_count:     0
    .vgpr_spill_count: 0
    .wavefront_size: 64
  - .args:
      - .offset:         0
        .size:           144
        .value_kind:     by_value
    .group_segment_fixed_size: 0
    .kernarg_segment_align: 8
    .kernarg_segment_size: 144
    .language:       OpenCL C
    .language_version:
      - 2
      - 0
    .max_flat_workgroup_size: 256
    .name:           _ZN7rocprim17ROCPRIM_400000_NS6detail17trampoline_kernelINS0_14default_configENS1_29reduce_by_key_config_selectorIflN6thrust23THRUST_200600_302600_NS4plusIlEEEEZZNS1_33reduce_by_key_impl_wrapped_configILNS1_25lookback_scan_determinismE0ES3_S9_PfNS6_17constant_iteratorIiNS6_11use_defaultESE_EENS6_10device_ptrIfEENSG_IlEEPmS8_NS6_8equal_toIfEEEE10hipError_tPvRmT2_T3_mT4_T5_T6_T7_T8_P12ihipStream_tbENKUlT_T0_E_clISt17integral_constantIbLb1EES12_IbLb0EEEEDaSY_SZ_EUlSY_E_NS1_11comp_targetILNS1_3genE9ELNS1_11target_archE1100ELNS1_3gpuE3ELNS1_3repE0EEENS1_30default_config_static_selectorELNS0_4arch9wavefront6targetE1EEEvT1_
    .private_segment_fixed_size: 0
    .sgpr_count:     4
    .sgpr_spill_count: 0
    .symbol:         _ZN7rocprim17ROCPRIM_400000_NS6detail17trampoline_kernelINS0_14default_configENS1_29reduce_by_key_config_selectorIflN6thrust23THRUST_200600_302600_NS4plusIlEEEEZZNS1_33reduce_by_key_impl_wrapped_configILNS1_25lookback_scan_determinismE0ES3_S9_PfNS6_17constant_iteratorIiNS6_11use_defaultESE_EENS6_10device_ptrIfEENSG_IlEEPmS8_NS6_8equal_toIfEEEE10hipError_tPvRmT2_T3_mT4_T5_T6_T7_T8_P12ihipStream_tbENKUlT_T0_E_clISt17integral_constantIbLb1EES12_IbLb0EEEEDaSY_SZ_EUlSY_E_NS1_11comp_targetILNS1_3genE9ELNS1_11target_archE1100ELNS1_3gpuE3ELNS1_3repE0EEENS1_30default_config_static_selectorELNS0_4arch9wavefront6targetE1EEEvT1_.kd
    .uniform_work_group_size: 1
    .uses_dynamic_stack: false
    .vgpr_count:     0
    .vgpr_spill_count: 0
    .wavefront_size: 64
  - .args:
      - .offset:         0
        .size:           144
        .value_kind:     by_value
    .group_segment_fixed_size: 0
    .kernarg_segment_align: 8
    .kernarg_segment_size: 144
    .language:       OpenCL C
    .language_version:
      - 2
      - 0
    .max_flat_workgroup_size: 256
    .name:           _ZN7rocprim17ROCPRIM_400000_NS6detail17trampoline_kernelINS0_14default_configENS1_29reduce_by_key_config_selectorIflN6thrust23THRUST_200600_302600_NS4plusIlEEEEZZNS1_33reduce_by_key_impl_wrapped_configILNS1_25lookback_scan_determinismE0ES3_S9_PfNS6_17constant_iteratorIiNS6_11use_defaultESE_EENS6_10device_ptrIfEENSG_IlEEPmS8_NS6_8equal_toIfEEEE10hipError_tPvRmT2_T3_mT4_T5_T6_T7_T8_P12ihipStream_tbENKUlT_T0_E_clISt17integral_constantIbLb1EES12_IbLb0EEEEDaSY_SZ_EUlSY_E_NS1_11comp_targetILNS1_3genE8ELNS1_11target_archE1030ELNS1_3gpuE2ELNS1_3repE0EEENS1_30default_config_static_selectorELNS0_4arch9wavefront6targetE1EEEvT1_
    .private_segment_fixed_size: 0
    .sgpr_count:     4
    .sgpr_spill_count: 0
    .symbol:         _ZN7rocprim17ROCPRIM_400000_NS6detail17trampoline_kernelINS0_14default_configENS1_29reduce_by_key_config_selectorIflN6thrust23THRUST_200600_302600_NS4plusIlEEEEZZNS1_33reduce_by_key_impl_wrapped_configILNS1_25lookback_scan_determinismE0ES3_S9_PfNS6_17constant_iteratorIiNS6_11use_defaultESE_EENS6_10device_ptrIfEENSG_IlEEPmS8_NS6_8equal_toIfEEEE10hipError_tPvRmT2_T3_mT4_T5_T6_T7_T8_P12ihipStream_tbENKUlT_T0_E_clISt17integral_constantIbLb1EES12_IbLb0EEEEDaSY_SZ_EUlSY_E_NS1_11comp_targetILNS1_3genE8ELNS1_11target_archE1030ELNS1_3gpuE2ELNS1_3repE0EEENS1_30default_config_static_selectorELNS0_4arch9wavefront6targetE1EEEvT1_.kd
    .uniform_work_group_size: 1
    .uses_dynamic_stack: false
    .vgpr_count:     0
    .vgpr_spill_count: 0
    .wavefront_size: 64
  - .args:
      - .offset:         0
        .size:           144
        .value_kind:     by_value
    .group_segment_fixed_size: 0
    .kernarg_segment_align: 8
    .kernarg_segment_size: 144
    .language:       OpenCL C
    .language_version:
      - 2
      - 0
    .max_flat_workgroup_size: 256
    .name:           _ZN7rocprim17ROCPRIM_400000_NS6detail17trampoline_kernelINS0_14default_configENS1_29reduce_by_key_config_selectorIflN6thrust23THRUST_200600_302600_NS4plusIlEEEEZZNS1_33reduce_by_key_impl_wrapped_configILNS1_25lookback_scan_determinismE0ES3_S9_PfNS6_17constant_iteratorIiNS6_11use_defaultESE_EENS6_10device_ptrIfEENSG_IlEEPmS8_NS6_8equal_toIfEEEE10hipError_tPvRmT2_T3_mT4_T5_T6_T7_T8_P12ihipStream_tbENKUlT_T0_E_clISt17integral_constantIbLb0EES12_IbLb1EEEEDaSY_SZ_EUlSY_E_NS1_11comp_targetILNS1_3genE0ELNS1_11target_archE4294967295ELNS1_3gpuE0ELNS1_3repE0EEENS1_30default_config_static_selectorELNS0_4arch9wavefront6targetE1EEEvT1_
    .private_segment_fixed_size: 0
    .sgpr_count:     4
    .sgpr_spill_count: 0
    .symbol:         _ZN7rocprim17ROCPRIM_400000_NS6detail17trampoline_kernelINS0_14default_configENS1_29reduce_by_key_config_selectorIflN6thrust23THRUST_200600_302600_NS4plusIlEEEEZZNS1_33reduce_by_key_impl_wrapped_configILNS1_25lookback_scan_determinismE0ES3_S9_PfNS6_17constant_iteratorIiNS6_11use_defaultESE_EENS6_10device_ptrIfEENSG_IlEEPmS8_NS6_8equal_toIfEEEE10hipError_tPvRmT2_T3_mT4_T5_T6_T7_T8_P12ihipStream_tbENKUlT_T0_E_clISt17integral_constantIbLb0EES12_IbLb1EEEEDaSY_SZ_EUlSY_E_NS1_11comp_targetILNS1_3genE0ELNS1_11target_archE4294967295ELNS1_3gpuE0ELNS1_3repE0EEENS1_30default_config_static_selectorELNS0_4arch9wavefront6targetE1EEEvT1_.kd
    .uniform_work_group_size: 1
    .uses_dynamic_stack: false
    .vgpr_count:     0
    .vgpr_spill_count: 0
    .wavefront_size: 64
  - .args:
      - .offset:         0
        .size:           144
        .value_kind:     by_value
    .group_segment_fixed_size: 0
    .kernarg_segment_align: 8
    .kernarg_segment_size: 144
    .language:       OpenCL C
    .language_version:
      - 2
      - 0
    .max_flat_workgroup_size: 256
    .name:           _ZN7rocprim17ROCPRIM_400000_NS6detail17trampoline_kernelINS0_14default_configENS1_29reduce_by_key_config_selectorIflN6thrust23THRUST_200600_302600_NS4plusIlEEEEZZNS1_33reduce_by_key_impl_wrapped_configILNS1_25lookback_scan_determinismE0ES3_S9_PfNS6_17constant_iteratorIiNS6_11use_defaultESE_EENS6_10device_ptrIfEENSG_IlEEPmS8_NS6_8equal_toIfEEEE10hipError_tPvRmT2_T3_mT4_T5_T6_T7_T8_P12ihipStream_tbENKUlT_T0_E_clISt17integral_constantIbLb0EES12_IbLb1EEEEDaSY_SZ_EUlSY_E_NS1_11comp_targetILNS1_3genE5ELNS1_11target_archE942ELNS1_3gpuE9ELNS1_3repE0EEENS1_30default_config_static_selectorELNS0_4arch9wavefront6targetE1EEEvT1_
    .private_segment_fixed_size: 0
    .sgpr_count:     4
    .sgpr_spill_count: 0
    .symbol:         _ZN7rocprim17ROCPRIM_400000_NS6detail17trampoline_kernelINS0_14default_configENS1_29reduce_by_key_config_selectorIflN6thrust23THRUST_200600_302600_NS4plusIlEEEEZZNS1_33reduce_by_key_impl_wrapped_configILNS1_25lookback_scan_determinismE0ES3_S9_PfNS6_17constant_iteratorIiNS6_11use_defaultESE_EENS6_10device_ptrIfEENSG_IlEEPmS8_NS6_8equal_toIfEEEE10hipError_tPvRmT2_T3_mT4_T5_T6_T7_T8_P12ihipStream_tbENKUlT_T0_E_clISt17integral_constantIbLb0EES12_IbLb1EEEEDaSY_SZ_EUlSY_E_NS1_11comp_targetILNS1_3genE5ELNS1_11target_archE942ELNS1_3gpuE9ELNS1_3repE0EEENS1_30default_config_static_selectorELNS0_4arch9wavefront6targetE1EEEvT1_.kd
    .uniform_work_group_size: 1
    .uses_dynamic_stack: false
    .vgpr_count:     0
    .vgpr_spill_count: 0
    .wavefront_size: 64
  - .args:
      - .offset:         0
        .size:           144
        .value_kind:     by_value
    .group_segment_fixed_size: 0
    .kernarg_segment_align: 8
    .kernarg_segment_size: 144
    .language:       OpenCL C
    .language_version:
      - 2
      - 0
    .max_flat_workgroup_size: 256
    .name:           _ZN7rocprim17ROCPRIM_400000_NS6detail17trampoline_kernelINS0_14default_configENS1_29reduce_by_key_config_selectorIflN6thrust23THRUST_200600_302600_NS4plusIlEEEEZZNS1_33reduce_by_key_impl_wrapped_configILNS1_25lookback_scan_determinismE0ES3_S9_PfNS6_17constant_iteratorIiNS6_11use_defaultESE_EENS6_10device_ptrIfEENSG_IlEEPmS8_NS6_8equal_toIfEEEE10hipError_tPvRmT2_T3_mT4_T5_T6_T7_T8_P12ihipStream_tbENKUlT_T0_E_clISt17integral_constantIbLb0EES12_IbLb1EEEEDaSY_SZ_EUlSY_E_NS1_11comp_targetILNS1_3genE4ELNS1_11target_archE910ELNS1_3gpuE8ELNS1_3repE0EEENS1_30default_config_static_selectorELNS0_4arch9wavefront6targetE1EEEvT1_
    .private_segment_fixed_size: 0
    .sgpr_count:     4
    .sgpr_spill_count: 0
    .symbol:         _ZN7rocprim17ROCPRIM_400000_NS6detail17trampoline_kernelINS0_14default_configENS1_29reduce_by_key_config_selectorIflN6thrust23THRUST_200600_302600_NS4plusIlEEEEZZNS1_33reduce_by_key_impl_wrapped_configILNS1_25lookback_scan_determinismE0ES3_S9_PfNS6_17constant_iteratorIiNS6_11use_defaultESE_EENS6_10device_ptrIfEENSG_IlEEPmS8_NS6_8equal_toIfEEEE10hipError_tPvRmT2_T3_mT4_T5_T6_T7_T8_P12ihipStream_tbENKUlT_T0_E_clISt17integral_constantIbLb0EES12_IbLb1EEEEDaSY_SZ_EUlSY_E_NS1_11comp_targetILNS1_3genE4ELNS1_11target_archE910ELNS1_3gpuE8ELNS1_3repE0EEENS1_30default_config_static_selectorELNS0_4arch9wavefront6targetE1EEEvT1_.kd
    .uniform_work_group_size: 1
    .uses_dynamic_stack: false
    .vgpr_count:     0
    .vgpr_spill_count: 0
    .wavefront_size: 64
  - .args:
      - .offset:         0
        .size:           144
        .value_kind:     by_value
    .group_segment_fixed_size: 0
    .kernarg_segment_align: 8
    .kernarg_segment_size: 144
    .language:       OpenCL C
    .language_version:
      - 2
      - 0
    .max_flat_workgroup_size: 256
    .name:           _ZN7rocprim17ROCPRIM_400000_NS6detail17trampoline_kernelINS0_14default_configENS1_29reduce_by_key_config_selectorIflN6thrust23THRUST_200600_302600_NS4plusIlEEEEZZNS1_33reduce_by_key_impl_wrapped_configILNS1_25lookback_scan_determinismE0ES3_S9_PfNS6_17constant_iteratorIiNS6_11use_defaultESE_EENS6_10device_ptrIfEENSG_IlEEPmS8_NS6_8equal_toIfEEEE10hipError_tPvRmT2_T3_mT4_T5_T6_T7_T8_P12ihipStream_tbENKUlT_T0_E_clISt17integral_constantIbLb0EES12_IbLb1EEEEDaSY_SZ_EUlSY_E_NS1_11comp_targetILNS1_3genE3ELNS1_11target_archE908ELNS1_3gpuE7ELNS1_3repE0EEENS1_30default_config_static_selectorELNS0_4arch9wavefront6targetE1EEEvT1_
    .private_segment_fixed_size: 0
    .sgpr_count:     4
    .sgpr_spill_count: 0
    .symbol:         _ZN7rocprim17ROCPRIM_400000_NS6detail17trampoline_kernelINS0_14default_configENS1_29reduce_by_key_config_selectorIflN6thrust23THRUST_200600_302600_NS4plusIlEEEEZZNS1_33reduce_by_key_impl_wrapped_configILNS1_25lookback_scan_determinismE0ES3_S9_PfNS6_17constant_iteratorIiNS6_11use_defaultESE_EENS6_10device_ptrIfEENSG_IlEEPmS8_NS6_8equal_toIfEEEE10hipError_tPvRmT2_T3_mT4_T5_T6_T7_T8_P12ihipStream_tbENKUlT_T0_E_clISt17integral_constantIbLb0EES12_IbLb1EEEEDaSY_SZ_EUlSY_E_NS1_11comp_targetILNS1_3genE3ELNS1_11target_archE908ELNS1_3gpuE7ELNS1_3repE0EEENS1_30default_config_static_selectorELNS0_4arch9wavefront6targetE1EEEvT1_.kd
    .uniform_work_group_size: 1
    .uses_dynamic_stack: false
    .vgpr_count:     0
    .vgpr_spill_count: 0
    .wavefront_size: 64
  - .args:
      - .offset:         0
        .size:           144
        .value_kind:     by_value
    .group_segment_fixed_size: 30720
    .kernarg_segment_align: 8
    .kernarg_segment_size: 144
    .language:       OpenCL C
    .language_version:
      - 2
      - 0
    .max_flat_workgroup_size: 256
    .name:           _ZN7rocprim17ROCPRIM_400000_NS6detail17trampoline_kernelINS0_14default_configENS1_29reduce_by_key_config_selectorIflN6thrust23THRUST_200600_302600_NS4plusIlEEEEZZNS1_33reduce_by_key_impl_wrapped_configILNS1_25lookback_scan_determinismE0ES3_S9_PfNS6_17constant_iteratorIiNS6_11use_defaultESE_EENS6_10device_ptrIfEENSG_IlEEPmS8_NS6_8equal_toIfEEEE10hipError_tPvRmT2_T3_mT4_T5_T6_T7_T8_P12ihipStream_tbENKUlT_T0_E_clISt17integral_constantIbLb0EES12_IbLb1EEEEDaSY_SZ_EUlSY_E_NS1_11comp_targetILNS1_3genE2ELNS1_11target_archE906ELNS1_3gpuE6ELNS1_3repE0EEENS1_30default_config_static_selectorELNS0_4arch9wavefront6targetE1EEEvT1_
    .private_segment_fixed_size: 64
    .sgpr_count:     72
    .sgpr_spill_count: 0
    .symbol:         _ZN7rocprim17ROCPRIM_400000_NS6detail17trampoline_kernelINS0_14default_configENS1_29reduce_by_key_config_selectorIflN6thrust23THRUST_200600_302600_NS4plusIlEEEEZZNS1_33reduce_by_key_impl_wrapped_configILNS1_25lookback_scan_determinismE0ES3_S9_PfNS6_17constant_iteratorIiNS6_11use_defaultESE_EENS6_10device_ptrIfEENSG_IlEEPmS8_NS6_8equal_toIfEEEE10hipError_tPvRmT2_T3_mT4_T5_T6_T7_T8_P12ihipStream_tbENKUlT_T0_E_clISt17integral_constantIbLb0EES12_IbLb1EEEEDaSY_SZ_EUlSY_E_NS1_11comp_targetILNS1_3genE2ELNS1_11target_archE906ELNS1_3gpuE6ELNS1_3repE0EEENS1_30default_config_static_selectorELNS0_4arch9wavefront6targetE1EEEvT1_.kd
    .uniform_work_group_size: 1
    .uses_dynamic_stack: false
    .vgpr_count:     102
    .vgpr_spill_count: 0
    .wavefront_size: 64
  - .args:
      - .offset:         0
        .size:           144
        .value_kind:     by_value
    .group_segment_fixed_size: 0
    .kernarg_segment_align: 8
    .kernarg_segment_size: 144
    .language:       OpenCL C
    .language_version:
      - 2
      - 0
    .max_flat_workgroup_size: 256
    .name:           _ZN7rocprim17ROCPRIM_400000_NS6detail17trampoline_kernelINS0_14default_configENS1_29reduce_by_key_config_selectorIflN6thrust23THRUST_200600_302600_NS4plusIlEEEEZZNS1_33reduce_by_key_impl_wrapped_configILNS1_25lookback_scan_determinismE0ES3_S9_PfNS6_17constant_iteratorIiNS6_11use_defaultESE_EENS6_10device_ptrIfEENSG_IlEEPmS8_NS6_8equal_toIfEEEE10hipError_tPvRmT2_T3_mT4_T5_T6_T7_T8_P12ihipStream_tbENKUlT_T0_E_clISt17integral_constantIbLb0EES12_IbLb1EEEEDaSY_SZ_EUlSY_E_NS1_11comp_targetILNS1_3genE10ELNS1_11target_archE1201ELNS1_3gpuE5ELNS1_3repE0EEENS1_30default_config_static_selectorELNS0_4arch9wavefront6targetE1EEEvT1_
    .private_segment_fixed_size: 0
    .sgpr_count:     4
    .sgpr_spill_count: 0
    .symbol:         _ZN7rocprim17ROCPRIM_400000_NS6detail17trampoline_kernelINS0_14default_configENS1_29reduce_by_key_config_selectorIflN6thrust23THRUST_200600_302600_NS4plusIlEEEEZZNS1_33reduce_by_key_impl_wrapped_configILNS1_25lookback_scan_determinismE0ES3_S9_PfNS6_17constant_iteratorIiNS6_11use_defaultESE_EENS6_10device_ptrIfEENSG_IlEEPmS8_NS6_8equal_toIfEEEE10hipError_tPvRmT2_T3_mT4_T5_T6_T7_T8_P12ihipStream_tbENKUlT_T0_E_clISt17integral_constantIbLb0EES12_IbLb1EEEEDaSY_SZ_EUlSY_E_NS1_11comp_targetILNS1_3genE10ELNS1_11target_archE1201ELNS1_3gpuE5ELNS1_3repE0EEENS1_30default_config_static_selectorELNS0_4arch9wavefront6targetE1EEEvT1_.kd
    .uniform_work_group_size: 1
    .uses_dynamic_stack: false
    .vgpr_count:     0
    .vgpr_spill_count: 0
    .wavefront_size: 64
  - .args:
      - .offset:         0
        .size:           144
        .value_kind:     by_value
    .group_segment_fixed_size: 0
    .kernarg_segment_align: 8
    .kernarg_segment_size: 144
    .language:       OpenCL C
    .language_version:
      - 2
      - 0
    .max_flat_workgroup_size: 256
    .name:           _ZN7rocprim17ROCPRIM_400000_NS6detail17trampoline_kernelINS0_14default_configENS1_29reduce_by_key_config_selectorIflN6thrust23THRUST_200600_302600_NS4plusIlEEEEZZNS1_33reduce_by_key_impl_wrapped_configILNS1_25lookback_scan_determinismE0ES3_S9_PfNS6_17constant_iteratorIiNS6_11use_defaultESE_EENS6_10device_ptrIfEENSG_IlEEPmS8_NS6_8equal_toIfEEEE10hipError_tPvRmT2_T3_mT4_T5_T6_T7_T8_P12ihipStream_tbENKUlT_T0_E_clISt17integral_constantIbLb0EES12_IbLb1EEEEDaSY_SZ_EUlSY_E_NS1_11comp_targetILNS1_3genE10ELNS1_11target_archE1200ELNS1_3gpuE4ELNS1_3repE0EEENS1_30default_config_static_selectorELNS0_4arch9wavefront6targetE1EEEvT1_
    .private_segment_fixed_size: 0
    .sgpr_count:     4
    .sgpr_spill_count: 0
    .symbol:         _ZN7rocprim17ROCPRIM_400000_NS6detail17trampoline_kernelINS0_14default_configENS1_29reduce_by_key_config_selectorIflN6thrust23THRUST_200600_302600_NS4plusIlEEEEZZNS1_33reduce_by_key_impl_wrapped_configILNS1_25lookback_scan_determinismE0ES3_S9_PfNS6_17constant_iteratorIiNS6_11use_defaultESE_EENS6_10device_ptrIfEENSG_IlEEPmS8_NS6_8equal_toIfEEEE10hipError_tPvRmT2_T3_mT4_T5_T6_T7_T8_P12ihipStream_tbENKUlT_T0_E_clISt17integral_constantIbLb0EES12_IbLb1EEEEDaSY_SZ_EUlSY_E_NS1_11comp_targetILNS1_3genE10ELNS1_11target_archE1200ELNS1_3gpuE4ELNS1_3repE0EEENS1_30default_config_static_selectorELNS0_4arch9wavefront6targetE1EEEvT1_.kd
    .uniform_work_group_size: 1
    .uses_dynamic_stack: false
    .vgpr_count:     0
    .vgpr_spill_count: 0
    .wavefront_size: 64
  - .args:
      - .offset:         0
        .size:           144
        .value_kind:     by_value
    .group_segment_fixed_size: 0
    .kernarg_segment_align: 8
    .kernarg_segment_size: 144
    .language:       OpenCL C
    .language_version:
      - 2
      - 0
    .max_flat_workgroup_size: 256
    .name:           _ZN7rocprim17ROCPRIM_400000_NS6detail17trampoline_kernelINS0_14default_configENS1_29reduce_by_key_config_selectorIflN6thrust23THRUST_200600_302600_NS4plusIlEEEEZZNS1_33reduce_by_key_impl_wrapped_configILNS1_25lookback_scan_determinismE0ES3_S9_PfNS6_17constant_iteratorIiNS6_11use_defaultESE_EENS6_10device_ptrIfEENSG_IlEEPmS8_NS6_8equal_toIfEEEE10hipError_tPvRmT2_T3_mT4_T5_T6_T7_T8_P12ihipStream_tbENKUlT_T0_E_clISt17integral_constantIbLb0EES12_IbLb1EEEEDaSY_SZ_EUlSY_E_NS1_11comp_targetILNS1_3genE9ELNS1_11target_archE1100ELNS1_3gpuE3ELNS1_3repE0EEENS1_30default_config_static_selectorELNS0_4arch9wavefront6targetE1EEEvT1_
    .private_segment_fixed_size: 0
    .sgpr_count:     4
    .sgpr_spill_count: 0
    .symbol:         _ZN7rocprim17ROCPRIM_400000_NS6detail17trampoline_kernelINS0_14default_configENS1_29reduce_by_key_config_selectorIflN6thrust23THRUST_200600_302600_NS4plusIlEEEEZZNS1_33reduce_by_key_impl_wrapped_configILNS1_25lookback_scan_determinismE0ES3_S9_PfNS6_17constant_iteratorIiNS6_11use_defaultESE_EENS6_10device_ptrIfEENSG_IlEEPmS8_NS6_8equal_toIfEEEE10hipError_tPvRmT2_T3_mT4_T5_T6_T7_T8_P12ihipStream_tbENKUlT_T0_E_clISt17integral_constantIbLb0EES12_IbLb1EEEEDaSY_SZ_EUlSY_E_NS1_11comp_targetILNS1_3genE9ELNS1_11target_archE1100ELNS1_3gpuE3ELNS1_3repE0EEENS1_30default_config_static_selectorELNS0_4arch9wavefront6targetE1EEEvT1_.kd
    .uniform_work_group_size: 1
    .uses_dynamic_stack: false
    .vgpr_count:     0
    .vgpr_spill_count: 0
    .wavefront_size: 64
  - .args:
      - .offset:         0
        .size:           144
        .value_kind:     by_value
    .group_segment_fixed_size: 0
    .kernarg_segment_align: 8
    .kernarg_segment_size: 144
    .language:       OpenCL C
    .language_version:
      - 2
      - 0
    .max_flat_workgroup_size: 256
    .name:           _ZN7rocprim17ROCPRIM_400000_NS6detail17trampoline_kernelINS0_14default_configENS1_29reduce_by_key_config_selectorIflN6thrust23THRUST_200600_302600_NS4plusIlEEEEZZNS1_33reduce_by_key_impl_wrapped_configILNS1_25lookback_scan_determinismE0ES3_S9_PfNS6_17constant_iteratorIiNS6_11use_defaultESE_EENS6_10device_ptrIfEENSG_IlEEPmS8_NS6_8equal_toIfEEEE10hipError_tPvRmT2_T3_mT4_T5_T6_T7_T8_P12ihipStream_tbENKUlT_T0_E_clISt17integral_constantIbLb0EES12_IbLb1EEEEDaSY_SZ_EUlSY_E_NS1_11comp_targetILNS1_3genE8ELNS1_11target_archE1030ELNS1_3gpuE2ELNS1_3repE0EEENS1_30default_config_static_selectorELNS0_4arch9wavefront6targetE1EEEvT1_
    .private_segment_fixed_size: 0
    .sgpr_count:     4
    .sgpr_spill_count: 0
    .symbol:         _ZN7rocprim17ROCPRIM_400000_NS6detail17trampoline_kernelINS0_14default_configENS1_29reduce_by_key_config_selectorIflN6thrust23THRUST_200600_302600_NS4plusIlEEEEZZNS1_33reduce_by_key_impl_wrapped_configILNS1_25lookback_scan_determinismE0ES3_S9_PfNS6_17constant_iteratorIiNS6_11use_defaultESE_EENS6_10device_ptrIfEENSG_IlEEPmS8_NS6_8equal_toIfEEEE10hipError_tPvRmT2_T3_mT4_T5_T6_T7_T8_P12ihipStream_tbENKUlT_T0_E_clISt17integral_constantIbLb0EES12_IbLb1EEEEDaSY_SZ_EUlSY_E_NS1_11comp_targetILNS1_3genE8ELNS1_11target_archE1030ELNS1_3gpuE2ELNS1_3repE0EEENS1_30default_config_static_selectorELNS0_4arch9wavefront6targetE1EEEvT1_.kd
    .uniform_work_group_size: 1
    .uses_dynamic_stack: false
    .vgpr_count:     0
    .vgpr_spill_count: 0
    .wavefront_size: 64
  - .args:
      - .offset:         0
        .size:           88
        .value_kind:     by_value
    .group_segment_fixed_size: 0
    .kernarg_segment_align: 8
    .kernarg_segment_size: 88
    .language:       OpenCL C
    .language_version:
      - 2
      - 0
    .max_flat_workgroup_size: 128
    .name:           _ZN7rocprim17ROCPRIM_400000_NS6detail17trampoline_kernelINS0_14default_configENS1_22reduce_config_selectorIN6thrust23THRUST_200600_302600_NS5tupleIblNS6_9null_typeES8_S8_S8_S8_S8_S8_S8_EEEEZNS1_11reduce_implILb1ES3_NS6_12zip_iteratorINS7_INS6_11hip_rocprim26transform_input_iterator_tIbPfNS6_6detail10functional5actorINSH_9compositeIJNSH_27transparent_binary_operatorINS6_8equal_toIvEEEENSI_INSH_8argumentILj0EEEEENSH_5valueIfEEEEEEEEENSD_19counting_iterator_tIlEES8_S8_S8_S8_S8_S8_S8_S8_EEEEPS9_S9_NSD_9__find_if7functorIS9_EEEE10hipError_tPvRmT1_T2_T3_mT4_P12ihipStream_tbEUlT_E0_NS1_11comp_targetILNS1_3genE0ELNS1_11target_archE4294967295ELNS1_3gpuE0ELNS1_3repE0EEENS1_30default_config_static_selectorELNS0_4arch9wavefront6targetE1EEEvS17_
    .private_segment_fixed_size: 0
    .sgpr_count:     4
    .sgpr_spill_count: 0
    .symbol:         _ZN7rocprim17ROCPRIM_400000_NS6detail17trampoline_kernelINS0_14default_configENS1_22reduce_config_selectorIN6thrust23THRUST_200600_302600_NS5tupleIblNS6_9null_typeES8_S8_S8_S8_S8_S8_S8_EEEEZNS1_11reduce_implILb1ES3_NS6_12zip_iteratorINS7_INS6_11hip_rocprim26transform_input_iterator_tIbPfNS6_6detail10functional5actorINSH_9compositeIJNSH_27transparent_binary_operatorINS6_8equal_toIvEEEENSI_INSH_8argumentILj0EEEEENSH_5valueIfEEEEEEEEENSD_19counting_iterator_tIlEES8_S8_S8_S8_S8_S8_S8_S8_EEEEPS9_S9_NSD_9__find_if7functorIS9_EEEE10hipError_tPvRmT1_T2_T3_mT4_P12ihipStream_tbEUlT_E0_NS1_11comp_targetILNS1_3genE0ELNS1_11target_archE4294967295ELNS1_3gpuE0ELNS1_3repE0EEENS1_30default_config_static_selectorELNS0_4arch9wavefront6targetE1EEEvS17_.kd
    .uniform_work_group_size: 1
    .uses_dynamic_stack: false
    .vgpr_count:     0
    .vgpr_spill_count: 0
    .wavefront_size: 64
  - .args:
      - .offset:         0
        .size:           88
        .value_kind:     by_value
    .group_segment_fixed_size: 0
    .kernarg_segment_align: 8
    .kernarg_segment_size: 88
    .language:       OpenCL C
    .language_version:
      - 2
      - 0
    .max_flat_workgroup_size: 256
    .name:           _ZN7rocprim17ROCPRIM_400000_NS6detail17trampoline_kernelINS0_14default_configENS1_22reduce_config_selectorIN6thrust23THRUST_200600_302600_NS5tupleIblNS6_9null_typeES8_S8_S8_S8_S8_S8_S8_EEEEZNS1_11reduce_implILb1ES3_NS6_12zip_iteratorINS7_INS6_11hip_rocprim26transform_input_iterator_tIbPfNS6_6detail10functional5actorINSH_9compositeIJNSH_27transparent_binary_operatorINS6_8equal_toIvEEEENSI_INSH_8argumentILj0EEEEENSH_5valueIfEEEEEEEEENSD_19counting_iterator_tIlEES8_S8_S8_S8_S8_S8_S8_S8_EEEEPS9_S9_NSD_9__find_if7functorIS9_EEEE10hipError_tPvRmT1_T2_T3_mT4_P12ihipStream_tbEUlT_E0_NS1_11comp_targetILNS1_3genE5ELNS1_11target_archE942ELNS1_3gpuE9ELNS1_3repE0EEENS1_30default_config_static_selectorELNS0_4arch9wavefront6targetE1EEEvS17_
    .private_segment_fixed_size: 0
    .sgpr_count:     4
    .sgpr_spill_count: 0
    .symbol:         _ZN7rocprim17ROCPRIM_400000_NS6detail17trampoline_kernelINS0_14default_configENS1_22reduce_config_selectorIN6thrust23THRUST_200600_302600_NS5tupleIblNS6_9null_typeES8_S8_S8_S8_S8_S8_S8_EEEEZNS1_11reduce_implILb1ES3_NS6_12zip_iteratorINS7_INS6_11hip_rocprim26transform_input_iterator_tIbPfNS6_6detail10functional5actorINSH_9compositeIJNSH_27transparent_binary_operatorINS6_8equal_toIvEEEENSI_INSH_8argumentILj0EEEEENSH_5valueIfEEEEEEEEENSD_19counting_iterator_tIlEES8_S8_S8_S8_S8_S8_S8_S8_EEEEPS9_S9_NSD_9__find_if7functorIS9_EEEE10hipError_tPvRmT1_T2_T3_mT4_P12ihipStream_tbEUlT_E0_NS1_11comp_targetILNS1_3genE5ELNS1_11target_archE942ELNS1_3gpuE9ELNS1_3repE0EEENS1_30default_config_static_selectorELNS0_4arch9wavefront6targetE1EEEvS17_.kd
    .uniform_work_group_size: 1
    .uses_dynamic_stack: false
    .vgpr_count:     0
    .vgpr_spill_count: 0
    .wavefront_size: 64
  - .args:
      - .offset:         0
        .size:           88
        .value_kind:     by_value
    .group_segment_fixed_size: 0
    .kernarg_segment_align: 8
    .kernarg_segment_size: 88
    .language:       OpenCL C
    .language_version:
      - 2
      - 0
    .max_flat_workgroup_size: 256
    .name:           _ZN7rocprim17ROCPRIM_400000_NS6detail17trampoline_kernelINS0_14default_configENS1_22reduce_config_selectorIN6thrust23THRUST_200600_302600_NS5tupleIblNS6_9null_typeES8_S8_S8_S8_S8_S8_S8_EEEEZNS1_11reduce_implILb1ES3_NS6_12zip_iteratorINS7_INS6_11hip_rocprim26transform_input_iterator_tIbPfNS6_6detail10functional5actorINSH_9compositeIJNSH_27transparent_binary_operatorINS6_8equal_toIvEEEENSI_INSH_8argumentILj0EEEEENSH_5valueIfEEEEEEEEENSD_19counting_iterator_tIlEES8_S8_S8_S8_S8_S8_S8_S8_EEEEPS9_S9_NSD_9__find_if7functorIS9_EEEE10hipError_tPvRmT1_T2_T3_mT4_P12ihipStream_tbEUlT_E0_NS1_11comp_targetILNS1_3genE4ELNS1_11target_archE910ELNS1_3gpuE8ELNS1_3repE0EEENS1_30default_config_static_selectorELNS0_4arch9wavefront6targetE1EEEvS17_
    .private_segment_fixed_size: 0
    .sgpr_count:     4
    .sgpr_spill_count: 0
    .symbol:         _ZN7rocprim17ROCPRIM_400000_NS6detail17trampoline_kernelINS0_14default_configENS1_22reduce_config_selectorIN6thrust23THRUST_200600_302600_NS5tupleIblNS6_9null_typeES8_S8_S8_S8_S8_S8_S8_EEEEZNS1_11reduce_implILb1ES3_NS6_12zip_iteratorINS7_INS6_11hip_rocprim26transform_input_iterator_tIbPfNS6_6detail10functional5actorINSH_9compositeIJNSH_27transparent_binary_operatorINS6_8equal_toIvEEEENSI_INSH_8argumentILj0EEEEENSH_5valueIfEEEEEEEEENSD_19counting_iterator_tIlEES8_S8_S8_S8_S8_S8_S8_S8_EEEEPS9_S9_NSD_9__find_if7functorIS9_EEEE10hipError_tPvRmT1_T2_T3_mT4_P12ihipStream_tbEUlT_E0_NS1_11comp_targetILNS1_3genE4ELNS1_11target_archE910ELNS1_3gpuE8ELNS1_3repE0EEENS1_30default_config_static_selectorELNS0_4arch9wavefront6targetE1EEEvS17_.kd
    .uniform_work_group_size: 1
    .uses_dynamic_stack: false
    .vgpr_count:     0
    .vgpr_spill_count: 0
    .wavefront_size: 64
  - .args:
      - .offset:         0
        .size:           88
        .value_kind:     by_value
    .group_segment_fixed_size: 0
    .kernarg_segment_align: 8
    .kernarg_segment_size: 88
    .language:       OpenCL C
    .language_version:
      - 2
      - 0
    .max_flat_workgroup_size: 128
    .name:           _ZN7rocprim17ROCPRIM_400000_NS6detail17trampoline_kernelINS0_14default_configENS1_22reduce_config_selectorIN6thrust23THRUST_200600_302600_NS5tupleIblNS6_9null_typeES8_S8_S8_S8_S8_S8_S8_EEEEZNS1_11reduce_implILb1ES3_NS6_12zip_iteratorINS7_INS6_11hip_rocprim26transform_input_iterator_tIbPfNS6_6detail10functional5actorINSH_9compositeIJNSH_27transparent_binary_operatorINS6_8equal_toIvEEEENSI_INSH_8argumentILj0EEEEENSH_5valueIfEEEEEEEEENSD_19counting_iterator_tIlEES8_S8_S8_S8_S8_S8_S8_S8_EEEEPS9_S9_NSD_9__find_if7functorIS9_EEEE10hipError_tPvRmT1_T2_T3_mT4_P12ihipStream_tbEUlT_E0_NS1_11comp_targetILNS1_3genE3ELNS1_11target_archE908ELNS1_3gpuE7ELNS1_3repE0EEENS1_30default_config_static_selectorELNS0_4arch9wavefront6targetE1EEEvS17_
    .private_segment_fixed_size: 0
    .sgpr_count:     4
    .sgpr_spill_count: 0
    .symbol:         _ZN7rocprim17ROCPRIM_400000_NS6detail17trampoline_kernelINS0_14default_configENS1_22reduce_config_selectorIN6thrust23THRUST_200600_302600_NS5tupleIblNS6_9null_typeES8_S8_S8_S8_S8_S8_S8_EEEEZNS1_11reduce_implILb1ES3_NS6_12zip_iteratorINS7_INS6_11hip_rocprim26transform_input_iterator_tIbPfNS6_6detail10functional5actorINSH_9compositeIJNSH_27transparent_binary_operatorINS6_8equal_toIvEEEENSI_INSH_8argumentILj0EEEEENSH_5valueIfEEEEEEEEENSD_19counting_iterator_tIlEES8_S8_S8_S8_S8_S8_S8_S8_EEEEPS9_S9_NSD_9__find_if7functorIS9_EEEE10hipError_tPvRmT1_T2_T3_mT4_P12ihipStream_tbEUlT_E0_NS1_11comp_targetILNS1_3genE3ELNS1_11target_archE908ELNS1_3gpuE7ELNS1_3repE0EEENS1_30default_config_static_selectorELNS0_4arch9wavefront6targetE1EEEvS17_.kd
    .uniform_work_group_size: 1
    .uses_dynamic_stack: false
    .vgpr_count:     0
    .vgpr_spill_count: 0
    .wavefront_size: 64
  - .args:
      - .offset:         0
        .size:           88
        .value_kind:     by_value
    .group_segment_fixed_size: 64
    .kernarg_segment_align: 8
    .kernarg_segment_size: 88
    .language:       OpenCL C
    .language_version:
      - 2
      - 0
    .max_flat_workgroup_size: 128
    .name:           _ZN7rocprim17ROCPRIM_400000_NS6detail17trampoline_kernelINS0_14default_configENS1_22reduce_config_selectorIN6thrust23THRUST_200600_302600_NS5tupleIblNS6_9null_typeES8_S8_S8_S8_S8_S8_S8_EEEEZNS1_11reduce_implILb1ES3_NS6_12zip_iteratorINS7_INS6_11hip_rocprim26transform_input_iterator_tIbPfNS6_6detail10functional5actorINSH_9compositeIJNSH_27transparent_binary_operatorINS6_8equal_toIvEEEENSI_INSH_8argumentILj0EEEEENSH_5valueIfEEEEEEEEENSD_19counting_iterator_tIlEES8_S8_S8_S8_S8_S8_S8_S8_EEEEPS9_S9_NSD_9__find_if7functorIS9_EEEE10hipError_tPvRmT1_T2_T3_mT4_P12ihipStream_tbEUlT_E0_NS1_11comp_targetILNS1_3genE2ELNS1_11target_archE906ELNS1_3gpuE6ELNS1_3repE0EEENS1_30default_config_static_selectorELNS0_4arch9wavefront6targetE1EEEvS17_
    .private_segment_fixed_size: 0
    .sgpr_count:     33
    .sgpr_spill_count: 0
    .symbol:         _ZN7rocprim17ROCPRIM_400000_NS6detail17trampoline_kernelINS0_14default_configENS1_22reduce_config_selectorIN6thrust23THRUST_200600_302600_NS5tupleIblNS6_9null_typeES8_S8_S8_S8_S8_S8_S8_EEEEZNS1_11reduce_implILb1ES3_NS6_12zip_iteratorINS7_INS6_11hip_rocprim26transform_input_iterator_tIbPfNS6_6detail10functional5actorINSH_9compositeIJNSH_27transparent_binary_operatorINS6_8equal_toIvEEEENSI_INSH_8argumentILj0EEEEENSH_5valueIfEEEEEEEEENSD_19counting_iterator_tIlEES8_S8_S8_S8_S8_S8_S8_S8_EEEEPS9_S9_NSD_9__find_if7functorIS9_EEEE10hipError_tPvRmT1_T2_T3_mT4_P12ihipStream_tbEUlT_E0_NS1_11comp_targetILNS1_3genE2ELNS1_11target_archE906ELNS1_3gpuE6ELNS1_3repE0EEENS1_30default_config_static_selectorELNS0_4arch9wavefront6targetE1EEEvS17_.kd
    .uniform_work_group_size: 1
    .uses_dynamic_stack: false
    .vgpr_count:     13
    .vgpr_spill_count: 0
    .wavefront_size: 64
  - .args:
      - .offset:         0
        .size:           88
        .value_kind:     by_value
    .group_segment_fixed_size: 0
    .kernarg_segment_align: 8
    .kernarg_segment_size: 88
    .language:       OpenCL C
    .language_version:
      - 2
      - 0
    .max_flat_workgroup_size: 256
    .name:           _ZN7rocprim17ROCPRIM_400000_NS6detail17trampoline_kernelINS0_14default_configENS1_22reduce_config_selectorIN6thrust23THRUST_200600_302600_NS5tupleIblNS6_9null_typeES8_S8_S8_S8_S8_S8_S8_EEEEZNS1_11reduce_implILb1ES3_NS6_12zip_iteratorINS7_INS6_11hip_rocprim26transform_input_iterator_tIbPfNS6_6detail10functional5actorINSH_9compositeIJNSH_27transparent_binary_operatorINS6_8equal_toIvEEEENSI_INSH_8argumentILj0EEEEENSH_5valueIfEEEEEEEEENSD_19counting_iterator_tIlEES8_S8_S8_S8_S8_S8_S8_S8_EEEEPS9_S9_NSD_9__find_if7functorIS9_EEEE10hipError_tPvRmT1_T2_T3_mT4_P12ihipStream_tbEUlT_E0_NS1_11comp_targetILNS1_3genE10ELNS1_11target_archE1201ELNS1_3gpuE5ELNS1_3repE0EEENS1_30default_config_static_selectorELNS0_4arch9wavefront6targetE1EEEvS17_
    .private_segment_fixed_size: 0
    .sgpr_count:     4
    .sgpr_spill_count: 0
    .symbol:         _ZN7rocprim17ROCPRIM_400000_NS6detail17trampoline_kernelINS0_14default_configENS1_22reduce_config_selectorIN6thrust23THRUST_200600_302600_NS5tupleIblNS6_9null_typeES8_S8_S8_S8_S8_S8_S8_EEEEZNS1_11reduce_implILb1ES3_NS6_12zip_iteratorINS7_INS6_11hip_rocprim26transform_input_iterator_tIbPfNS6_6detail10functional5actorINSH_9compositeIJNSH_27transparent_binary_operatorINS6_8equal_toIvEEEENSI_INSH_8argumentILj0EEEEENSH_5valueIfEEEEEEEEENSD_19counting_iterator_tIlEES8_S8_S8_S8_S8_S8_S8_S8_EEEEPS9_S9_NSD_9__find_if7functorIS9_EEEE10hipError_tPvRmT1_T2_T3_mT4_P12ihipStream_tbEUlT_E0_NS1_11comp_targetILNS1_3genE10ELNS1_11target_archE1201ELNS1_3gpuE5ELNS1_3repE0EEENS1_30default_config_static_selectorELNS0_4arch9wavefront6targetE1EEEvS17_.kd
    .uniform_work_group_size: 1
    .uses_dynamic_stack: false
    .vgpr_count:     0
    .vgpr_spill_count: 0
    .wavefront_size: 64
  - .args:
      - .offset:         0
        .size:           88
        .value_kind:     by_value
    .group_segment_fixed_size: 0
    .kernarg_segment_align: 8
    .kernarg_segment_size: 88
    .language:       OpenCL C
    .language_version:
      - 2
      - 0
    .max_flat_workgroup_size: 256
    .name:           _ZN7rocprim17ROCPRIM_400000_NS6detail17trampoline_kernelINS0_14default_configENS1_22reduce_config_selectorIN6thrust23THRUST_200600_302600_NS5tupleIblNS6_9null_typeES8_S8_S8_S8_S8_S8_S8_EEEEZNS1_11reduce_implILb1ES3_NS6_12zip_iteratorINS7_INS6_11hip_rocprim26transform_input_iterator_tIbPfNS6_6detail10functional5actorINSH_9compositeIJNSH_27transparent_binary_operatorINS6_8equal_toIvEEEENSI_INSH_8argumentILj0EEEEENSH_5valueIfEEEEEEEEENSD_19counting_iterator_tIlEES8_S8_S8_S8_S8_S8_S8_S8_EEEEPS9_S9_NSD_9__find_if7functorIS9_EEEE10hipError_tPvRmT1_T2_T3_mT4_P12ihipStream_tbEUlT_E0_NS1_11comp_targetILNS1_3genE10ELNS1_11target_archE1200ELNS1_3gpuE4ELNS1_3repE0EEENS1_30default_config_static_selectorELNS0_4arch9wavefront6targetE1EEEvS17_
    .private_segment_fixed_size: 0
    .sgpr_count:     4
    .sgpr_spill_count: 0
    .symbol:         _ZN7rocprim17ROCPRIM_400000_NS6detail17trampoline_kernelINS0_14default_configENS1_22reduce_config_selectorIN6thrust23THRUST_200600_302600_NS5tupleIblNS6_9null_typeES8_S8_S8_S8_S8_S8_S8_EEEEZNS1_11reduce_implILb1ES3_NS6_12zip_iteratorINS7_INS6_11hip_rocprim26transform_input_iterator_tIbPfNS6_6detail10functional5actorINSH_9compositeIJNSH_27transparent_binary_operatorINS6_8equal_toIvEEEENSI_INSH_8argumentILj0EEEEENSH_5valueIfEEEEEEEEENSD_19counting_iterator_tIlEES8_S8_S8_S8_S8_S8_S8_S8_EEEEPS9_S9_NSD_9__find_if7functorIS9_EEEE10hipError_tPvRmT1_T2_T3_mT4_P12ihipStream_tbEUlT_E0_NS1_11comp_targetILNS1_3genE10ELNS1_11target_archE1200ELNS1_3gpuE4ELNS1_3repE0EEENS1_30default_config_static_selectorELNS0_4arch9wavefront6targetE1EEEvS17_.kd
    .uniform_work_group_size: 1
    .uses_dynamic_stack: false
    .vgpr_count:     0
    .vgpr_spill_count: 0
    .wavefront_size: 64
  - .args:
      - .offset:         0
        .size:           88
        .value_kind:     by_value
    .group_segment_fixed_size: 0
    .kernarg_segment_align: 8
    .kernarg_segment_size: 88
    .language:       OpenCL C
    .language_version:
      - 2
      - 0
    .max_flat_workgroup_size: 256
    .name:           _ZN7rocprim17ROCPRIM_400000_NS6detail17trampoline_kernelINS0_14default_configENS1_22reduce_config_selectorIN6thrust23THRUST_200600_302600_NS5tupleIblNS6_9null_typeES8_S8_S8_S8_S8_S8_S8_EEEEZNS1_11reduce_implILb1ES3_NS6_12zip_iteratorINS7_INS6_11hip_rocprim26transform_input_iterator_tIbPfNS6_6detail10functional5actorINSH_9compositeIJNSH_27transparent_binary_operatorINS6_8equal_toIvEEEENSI_INSH_8argumentILj0EEEEENSH_5valueIfEEEEEEEEENSD_19counting_iterator_tIlEES8_S8_S8_S8_S8_S8_S8_S8_EEEEPS9_S9_NSD_9__find_if7functorIS9_EEEE10hipError_tPvRmT1_T2_T3_mT4_P12ihipStream_tbEUlT_E0_NS1_11comp_targetILNS1_3genE9ELNS1_11target_archE1100ELNS1_3gpuE3ELNS1_3repE0EEENS1_30default_config_static_selectorELNS0_4arch9wavefront6targetE1EEEvS17_
    .private_segment_fixed_size: 0
    .sgpr_count:     4
    .sgpr_spill_count: 0
    .symbol:         _ZN7rocprim17ROCPRIM_400000_NS6detail17trampoline_kernelINS0_14default_configENS1_22reduce_config_selectorIN6thrust23THRUST_200600_302600_NS5tupleIblNS6_9null_typeES8_S8_S8_S8_S8_S8_S8_EEEEZNS1_11reduce_implILb1ES3_NS6_12zip_iteratorINS7_INS6_11hip_rocprim26transform_input_iterator_tIbPfNS6_6detail10functional5actorINSH_9compositeIJNSH_27transparent_binary_operatorINS6_8equal_toIvEEEENSI_INSH_8argumentILj0EEEEENSH_5valueIfEEEEEEEEENSD_19counting_iterator_tIlEES8_S8_S8_S8_S8_S8_S8_S8_EEEEPS9_S9_NSD_9__find_if7functorIS9_EEEE10hipError_tPvRmT1_T2_T3_mT4_P12ihipStream_tbEUlT_E0_NS1_11comp_targetILNS1_3genE9ELNS1_11target_archE1100ELNS1_3gpuE3ELNS1_3repE0EEENS1_30default_config_static_selectorELNS0_4arch9wavefront6targetE1EEEvS17_.kd
    .uniform_work_group_size: 1
    .uses_dynamic_stack: false
    .vgpr_count:     0
    .vgpr_spill_count: 0
    .wavefront_size: 64
  - .args:
      - .offset:         0
        .size:           88
        .value_kind:     by_value
    .group_segment_fixed_size: 0
    .kernarg_segment_align: 8
    .kernarg_segment_size: 88
    .language:       OpenCL C
    .language_version:
      - 2
      - 0
    .max_flat_workgroup_size: 256
    .name:           _ZN7rocprim17ROCPRIM_400000_NS6detail17trampoline_kernelINS0_14default_configENS1_22reduce_config_selectorIN6thrust23THRUST_200600_302600_NS5tupleIblNS6_9null_typeES8_S8_S8_S8_S8_S8_S8_EEEEZNS1_11reduce_implILb1ES3_NS6_12zip_iteratorINS7_INS6_11hip_rocprim26transform_input_iterator_tIbPfNS6_6detail10functional5actorINSH_9compositeIJNSH_27transparent_binary_operatorINS6_8equal_toIvEEEENSI_INSH_8argumentILj0EEEEENSH_5valueIfEEEEEEEEENSD_19counting_iterator_tIlEES8_S8_S8_S8_S8_S8_S8_S8_EEEEPS9_S9_NSD_9__find_if7functorIS9_EEEE10hipError_tPvRmT1_T2_T3_mT4_P12ihipStream_tbEUlT_E0_NS1_11comp_targetILNS1_3genE8ELNS1_11target_archE1030ELNS1_3gpuE2ELNS1_3repE0EEENS1_30default_config_static_selectorELNS0_4arch9wavefront6targetE1EEEvS17_
    .private_segment_fixed_size: 0
    .sgpr_count:     4
    .sgpr_spill_count: 0
    .symbol:         _ZN7rocprim17ROCPRIM_400000_NS6detail17trampoline_kernelINS0_14default_configENS1_22reduce_config_selectorIN6thrust23THRUST_200600_302600_NS5tupleIblNS6_9null_typeES8_S8_S8_S8_S8_S8_S8_EEEEZNS1_11reduce_implILb1ES3_NS6_12zip_iteratorINS7_INS6_11hip_rocprim26transform_input_iterator_tIbPfNS6_6detail10functional5actorINSH_9compositeIJNSH_27transparent_binary_operatorINS6_8equal_toIvEEEENSI_INSH_8argumentILj0EEEEENSH_5valueIfEEEEEEEEENSD_19counting_iterator_tIlEES8_S8_S8_S8_S8_S8_S8_S8_EEEEPS9_S9_NSD_9__find_if7functorIS9_EEEE10hipError_tPvRmT1_T2_T3_mT4_P12ihipStream_tbEUlT_E0_NS1_11comp_targetILNS1_3genE8ELNS1_11target_archE1030ELNS1_3gpuE2ELNS1_3repE0EEENS1_30default_config_static_selectorELNS0_4arch9wavefront6targetE1EEEvS17_.kd
    .uniform_work_group_size: 1
    .uses_dynamic_stack: false
    .vgpr_count:     0
    .vgpr_spill_count: 0
    .wavefront_size: 64
  - .args:
      - .offset:         0
        .size:           72
        .value_kind:     by_value
    .group_segment_fixed_size: 0
    .kernarg_segment_align: 8
    .kernarg_segment_size: 72
    .language:       OpenCL C
    .language_version:
      - 2
      - 0
    .max_flat_workgroup_size: 128
    .name:           _ZN7rocprim17ROCPRIM_400000_NS6detail17trampoline_kernelINS0_14default_configENS1_22reduce_config_selectorIN6thrust23THRUST_200600_302600_NS5tupleIblNS6_9null_typeES8_S8_S8_S8_S8_S8_S8_EEEEZNS1_11reduce_implILb1ES3_NS6_12zip_iteratorINS7_INS6_11hip_rocprim26transform_input_iterator_tIbPfNS6_6detail10functional5actorINSH_9compositeIJNSH_27transparent_binary_operatorINS6_8equal_toIvEEEENSI_INSH_8argumentILj0EEEEENSH_5valueIfEEEEEEEEENSD_19counting_iterator_tIlEES8_S8_S8_S8_S8_S8_S8_S8_EEEEPS9_S9_NSD_9__find_if7functorIS9_EEEE10hipError_tPvRmT1_T2_T3_mT4_P12ihipStream_tbEUlT_E1_NS1_11comp_targetILNS1_3genE0ELNS1_11target_archE4294967295ELNS1_3gpuE0ELNS1_3repE0EEENS1_30default_config_static_selectorELNS0_4arch9wavefront6targetE1EEEvS17_
    .private_segment_fixed_size: 0
    .sgpr_count:     4
    .sgpr_spill_count: 0
    .symbol:         _ZN7rocprim17ROCPRIM_400000_NS6detail17trampoline_kernelINS0_14default_configENS1_22reduce_config_selectorIN6thrust23THRUST_200600_302600_NS5tupleIblNS6_9null_typeES8_S8_S8_S8_S8_S8_S8_EEEEZNS1_11reduce_implILb1ES3_NS6_12zip_iteratorINS7_INS6_11hip_rocprim26transform_input_iterator_tIbPfNS6_6detail10functional5actorINSH_9compositeIJNSH_27transparent_binary_operatorINS6_8equal_toIvEEEENSI_INSH_8argumentILj0EEEEENSH_5valueIfEEEEEEEEENSD_19counting_iterator_tIlEES8_S8_S8_S8_S8_S8_S8_S8_EEEEPS9_S9_NSD_9__find_if7functorIS9_EEEE10hipError_tPvRmT1_T2_T3_mT4_P12ihipStream_tbEUlT_E1_NS1_11comp_targetILNS1_3genE0ELNS1_11target_archE4294967295ELNS1_3gpuE0ELNS1_3repE0EEENS1_30default_config_static_selectorELNS0_4arch9wavefront6targetE1EEEvS17_.kd
    .uniform_work_group_size: 1
    .uses_dynamic_stack: false
    .vgpr_count:     0
    .vgpr_spill_count: 0
    .wavefront_size: 64
  - .args:
      - .offset:         0
        .size:           72
        .value_kind:     by_value
    .group_segment_fixed_size: 0
    .kernarg_segment_align: 8
    .kernarg_segment_size: 72
    .language:       OpenCL C
    .language_version:
      - 2
      - 0
    .max_flat_workgroup_size: 256
    .name:           _ZN7rocprim17ROCPRIM_400000_NS6detail17trampoline_kernelINS0_14default_configENS1_22reduce_config_selectorIN6thrust23THRUST_200600_302600_NS5tupleIblNS6_9null_typeES8_S8_S8_S8_S8_S8_S8_EEEEZNS1_11reduce_implILb1ES3_NS6_12zip_iteratorINS7_INS6_11hip_rocprim26transform_input_iterator_tIbPfNS6_6detail10functional5actorINSH_9compositeIJNSH_27transparent_binary_operatorINS6_8equal_toIvEEEENSI_INSH_8argumentILj0EEEEENSH_5valueIfEEEEEEEEENSD_19counting_iterator_tIlEES8_S8_S8_S8_S8_S8_S8_S8_EEEEPS9_S9_NSD_9__find_if7functorIS9_EEEE10hipError_tPvRmT1_T2_T3_mT4_P12ihipStream_tbEUlT_E1_NS1_11comp_targetILNS1_3genE5ELNS1_11target_archE942ELNS1_3gpuE9ELNS1_3repE0EEENS1_30default_config_static_selectorELNS0_4arch9wavefront6targetE1EEEvS17_
    .private_segment_fixed_size: 0
    .sgpr_count:     4
    .sgpr_spill_count: 0
    .symbol:         _ZN7rocprim17ROCPRIM_400000_NS6detail17trampoline_kernelINS0_14default_configENS1_22reduce_config_selectorIN6thrust23THRUST_200600_302600_NS5tupleIblNS6_9null_typeES8_S8_S8_S8_S8_S8_S8_EEEEZNS1_11reduce_implILb1ES3_NS6_12zip_iteratorINS7_INS6_11hip_rocprim26transform_input_iterator_tIbPfNS6_6detail10functional5actorINSH_9compositeIJNSH_27transparent_binary_operatorINS6_8equal_toIvEEEENSI_INSH_8argumentILj0EEEEENSH_5valueIfEEEEEEEEENSD_19counting_iterator_tIlEES8_S8_S8_S8_S8_S8_S8_S8_EEEEPS9_S9_NSD_9__find_if7functorIS9_EEEE10hipError_tPvRmT1_T2_T3_mT4_P12ihipStream_tbEUlT_E1_NS1_11comp_targetILNS1_3genE5ELNS1_11target_archE942ELNS1_3gpuE9ELNS1_3repE0EEENS1_30default_config_static_selectorELNS0_4arch9wavefront6targetE1EEEvS17_.kd
    .uniform_work_group_size: 1
    .uses_dynamic_stack: false
    .vgpr_count:     0
    .vgpr_spill_count: 0
    .wavefront_size: 64
  - .args:
      - .offset:         0
        .size:           72
        .value_kind:     by_value
    .group_segment_fixed_size: 0
    .kernarg_segment_align: 8
    .kernarg_segment_size: 72
    .language:       OpenCL C
    .language_version:
      - 2
      - 0
    .max_flat_workgroup_size: 256
    .name:           _ZN7rocprim17ROCPRIM_400000_NS6detail17trampoline_kernelINS0_14default_configENS1_22reduce_config_selectorIN6thrust23THRUST_200600_302600_NS5tupleIblNS6_9null_typeES8_S8_S8_S8_S8_S8_S8_EEEEZNS1_11reduce_implILb1ES3_NS6_12zip_iteratorINS7_INS6_11hip_rocprim26transform_input_iterator_tIbPfNS6_6detail10functional5actorINSH_9compositeIJNSH_27transparent_binary_operatorINS6_8equal_toIvEEEENSI_INSH_8argumentILj0EEEEENSH_5valueIfEEEEEEEEENSD_19counting_iterator_tIlEES8_S8_S8_S8_S8_S8_S8_S8_EEEEPS9_S9_NSD_9__find_if7functorIS9_EEEE10hipError_tPvRmT1_T2_T3_mT4_P12ihipStream_tbEUlT_E1_NS1_11comp_targetILNS1_3genE4ELNS1_11target_archE910ELNS1_3gpuE8ELNS1_3repE0EEENS1_30default_config_static_selectorELNS0_4arch9wavefront6targetE1EEEvS17_
    .private_segment_fixed_size: 0
    .sgpr_count:     4
    .sgpr_spill_count: 0
    .symbol:         _ZN7rocprim17ROCPRIM_400000_NS6detail17trampoline_kernelINS0_14default_configENS1_22reduce_config_selectorIN6thrust23THRUST_200600_302600_NS5tupleIblNS6_9null_typeES8_S8_S8_S8_S8_S8_S8_EEEEZNS1_11reduce_implILb1ES3_NS6_12zip_iteratorINS7_INS6_11hip_rocprim26transform_input_iterator_tIbPfNS6_6detail10functional5actorINSH_9compositeIJNSH_27transparent_binary_operatorINS6_8equal_toIvEEEENSI_INSH_8argumentILj0EEEEENSH_5valueIfEEEEEEEEENSD_19counting_iterator_tIlEES8_S8_S8_S8_S8_S8_S8_S8_EEEEPS9_S9_NSD_9__find_if7functorIS9_EEEE10hipError_tPvRmT1_T2_T3_mT4_P12ihipStream_tbEUlT_E1_NS1_11comp_targetILNS1_3genE4ELNS1_11target_archE910ELNS1_3gpuE8ELNS1_3repE0EEENS1_30default_config_static_selectorELNS0_4arch9wavefront6targetE1EEEvS17_.kd
    .uniform_work_group_size: 1
    .uses_dynamic_stack: false
    .vgpr_count:     0
    .vgpr_spill_count: 0
    .wavefront_size: 64
  - .args:
      - .offset:         0
        .size:           72
        .value_kind:     by_value
    .group_segment_fixed_size: 0
    .kernarg_segment_align: 8
    .kernarg_segment_size: 72
    .language:       OpenCL C
    .language_version:
      - 2
      - 0
    .max_flat_workgroup_size: 128
    .name:           _ZN7rocprim17ROCPRIM_400000_NS6detail17trampoline_kernelINS0_14default_configENS1_22reduce_config_selectorIN6thrust23THRUST_200600_302600_NS5tupleIblNS6_9null_typeES8_S8_S8_S8_S8_S8_S8_EEEEZNS1_11reduce_implILb1ES3_NS6_12zip_iteratorINS7_INS6_11hip_rocprim26transform_input_iterator_tIbPfNS6_6detail10functional5actorINSH_9compositeIJNSH_27transparent_binary_operatorINS6_8equal_toIvEEEENSI_INSH_8argumentILj0EEEEENSH_5valueIfEEEEEEEEENSD_19counting_iterator_tIlEES8_S8_S8_S8_S8_S8_S8_S8_EEEEPS9_S9_NSD_9__find_if7functorIS9_EEEE10hipError_tPvRmT1_T2_T3_mT4_P12ihipStream_tbEUlT_E1_NS1_11comp_targetILNS1_3genE3ELNS1_11target_archE908ELNS1_3gpuE7ELNS1_3repE0EEENS1_30default_config_static_selectorELNS0_4arch9wavefront6targetE1EEEvS17_
    .private_segment_fixed_size: 0
    .sgpr_count:     4
    .sgpr_spill_count: 0
    .symbol:         _ZN7rocprim17ROCPRIM_400000_NS6detail17trampoline_kernelINS0_14default_configENS1_22reduce_config_selectorIN6thrust23THRUST_200600_302600_NS5tupleIblNS6_9null_typeES8_S8_S8_S8_S8_S8_S8_EEEEZNS1_11reduce_implILb1ES3_NS6_12zip_iteratorINS7_INS6_11hip_rocprim26transform_input_iterator_tIbPfNS6_6detail10functional5actorINSH_9compositeIJNSH_27transparent_binary_operatorINS6_8equal_toIvEEEENSI_INSH_8argumentILj0EEEEENSH_5valueIfEEEEEEEEENSD_19counting_iterator_tIlEES8_S8_S8_S8_S8_S8_S8_S8_EEEEPS9_S9_NSD_9__find_if7functorIS9_EEEE10hipError_tPvRmT1_T2_T3_mT4_P12ihipStream_tbEUlT_E1_NS1_11comp_targetILNS1_3genE3ELNS1_11target_archE908ELNS1_3gpuE7ELNS1_3repE0EEENS1_30default_config_static_selectorELNS0_4arch9wavefront6targetE1EEEvS17_.kd
    .uniform_work_group_size: 1
    .uses_dynamic_stack: false
    .vgpr_count:     0
    .vgpr_spill_count: 0
    .wavefront_size: 64
  - .args:
      - .offset:         0
        .size:           72
        .value_kind:     by_value
    .group_segment_fixed_size: 160
    .kernarg_segment_align: 8
    .kernarg_segment_size: 72
    .language:       OpenCL C
    .language_version:
      - 2
      - 0
    .max_flat_workgroup_size: 128
    .name:           _ZN7rocprim17ROCPRIM_400000_NS6detail17trampoline_kernelINS0_14default_configENS1_22reduce_config_selectorIN6thrust23THRUST_200600_302600_NS5tupleIblNS6_9null_typeES8_S8_S8_S8_S8_S8_S8_EEEEZNS1_11reduce_implILb1ES3_NS6_12zip_iteratorINS7_INS6_11hip_rocprim26transform_input_iterator_tIbPfNS6_6detail10functional5actorINSH_9compositeIJNSH_27transparent_binary_operatorINS6_8equal_toIvEEEENSI_INSH_8argumentILj0EEEEENSH_5valueIfEEEEEEEEENSD_19counting_iterator_tIlEES8_S8_S8_S8_S8_S8_S8_S8_EEEEPS9_S9_NSD_9__find_if7functorIS9_EEEE10hipError_tPvRmT1_T2_T3_mT4_P12ihipStream_tbEUlT_E1_NS1_11comp_targetILNS1_3genE2ELNS1_11target_archE906ELNS1_3gpuE6ELNS1_3repE0EEENS1_30default_config_static_selectorELNS0_4arch9wavefront6targetE1EEEvS17_
    .private_segment_fixed_size: 0
    .sgpr_count:     43
    .sgpr_spill_count: 0
    .symbol:         _ZN7rocprim17ROCPRIM_400000_NS6detail17trampoline_kernelINS0_14default_configENS1_22reduce_config_selectorIN6thrust23THRUST_200600_302600_NS5tupleIblNS6_9null_typeES8_S8_S8_S8_S8_S8_S8_EEEEZNS1_11reduce_implILb1ES3_NS6_12zip_iteratorINS7_INS6_11hip_rocprim26transform_input_iterator_tIbPfNS6_6detail10functional5actorINSH_9compositeIJNSH_27transparent_binary_operatorINS6_8equal_toIvEEEENSI_INSH_8argumentILj0EEEEENSH_5valueIfEEEEEEEEENSD_19counting_iterator_tIlEES8_S8_S8_S8_S8_S8_S8_S8_EEEEPS9_S9_NSD_9__find_if7functorIS9_EEEE10hipError_tPvRmT1_T2_T3_mT4_P12ihipStream_tbEUlT_E1_NS1_11comp_targetILNS1_3genE2ELNS1_11target_archE906ELNS1_3gpuE6ELNS1_3repE0EEENS1_30default_config_static_selectorELNS0_4arch9wavefront6targetE1EEEvS17_.kd
    .uniform_work_group_size: 1
    .uses_dynamic_stack: false
    .vgpr_count:     26
    .vgpr_spill_count: 0
    .wavefront_size: 64
  - .args:
      - .offset:         0
        .size:           72
        .value_kind:     by_value
    .group_segment_fixed_size: 0
    .kernarg_segment_align: 8
    .kernarg_segment_size: 72
    .language:       OpenCL C
    .language_version:
      - 2
      - 0
    .max_flat_workgroup_size: 256
    .name:           _ZN7rocprim17ROCPRIM_400000_NS6detail17trampoline_kernelINS0_14default_configENS1_22reduce_config_selectorIN6thrust23THRUST_200600_302600_NS5tupleIblNS6_9null_typeES8_S8_S8_S8_S8_S8_S8_EEEEZNS1_11reduce_implILb1ES3_NS6_12zip_iteratorINS7_INS6_11hip_rocprim26transform_input_iterator_tIbPfNS6_6detail10functional5actorINSH_9compositeIJNSH_27transparent_binary_operatorINS6_8equal_toIvEEEENSI_INSH_8argumentILj0EEEEENSH_5valueIfEEEEEEEEENSD_19counting_iterator_tIlEES8_S8_S8_S8_S8_S8_S8_S8_EEEEPS9_S9_NSD_9__find_if7functorIS9_EEEE10hipError_tPvRmT1_T2_T3_mT4_P12ihipStream_tbEUlT_E1_NS1_11comp_targetILNS1_3genE10ELNS1_11target_archE1201ELNS1_3gpuE5ELNS1_3repE0EEENS1_30default_config_static_selectorELNS0_4arch9wavefront6targetE1EEEvS17_
    .private_segment_fixed_size: 0
    .sgpr_count:     4
    .sgpr_spill_count: 0
    .symbol:         _ZN7rocprim17ROCPRIM_400000_NS6detail17trampoline_kernelINS0_14default_configENS1_22reduce_config_selectorIN6thrust23THRUST_200600_302600_NS5tupleIblNS6_9null_typeES8_S8_S8_S8_S8_S8_S8_EEEEZNS1_11reduce_implILb1ES3_NS6_12zip_iteratorINS7_INS6_11hip_rocprim26transform_input_iterator_tIbPfNS6_6detail10functional5actorINSH_9compositeIJNSH_27transparent_binary_operatorINS6_8equal_toIvEEEENSI_INSH_8argumentILj0EEEEENSH_5valueIfEEEEEEEEENSD_19counting_iterator_tIlEES8_S8_S8_S8_S8_S8_S8_S8_EEEEPS9_S9_NSD_9__find_if7functorIS9_EEEE10hipError_tPvRmT1_T2_T3_mT4_P12ihipStream_tbEUlT_E1_NS1_11comp_targetILNS1_3genE10ELNS1_11target_archE1201ELNS1_3gpuE5ELNS1_3repE0EEENS1_30default_config_static_selectorELNS0_4arch9wavefront6targetE1EEEvS17_.kd
    .uniform_work_group_size: 1
    .uses_dynamic_stack: false
    .vgpr_count:     0
    .vgpr_spill_count: 0
    .wavefront_size: 64
  - .args:
      - .offset:         0
        .size:           72
        .value_kind:     by_value
    .group_segment_fixed_size: 0
    .kernarg_segment_align: 8
    .kernarg_segment_size: 72
    .language:       OpenCL C
    .language_version:
      - 2
      - 0
    .max_flat_workgroup_size: 256
    .name:           _ZN7rocprim17ROCPRIM_400000_NS6detail17trampoline_kernelINS0_14default_configENS1_22reduce_config_selectorIN6thrust23THRUST_200600_302600_NS5tupleIblNS6_9null_typeES8_S8_S8_S8_S8_S8_S8_EEEEZNS1_11reduce_implILb1ES3_NS6_12zip_iteratorINS7_INS6_11hip_rocprim26transform_input_iterator_tIbPfNS6_6detail10functional5actorINSH_9compositeIJNSH_27transparent_binary_operatorINS6_8equal_toIvEEEENSI_INSH_8argumentILj0EEEEENSH_5valueIfEEEEEEEEENSD_19counting_iterator_tIlEES8_S8_S8_S8_S8_S8_S8_S8_EEEEPS9_S9_NSD_9__find_if7functorIS9_EEEE10hipError_tPvRmT1_T2_T3_mT4_P12ihipStream_tbEUlT_E1_NS1_11comp_targetILNS1_3genE10ELNS1_11target_archE1200ELNS1_3gpuE4ELNS1_3repE0EEENS1_30default_config_static_selectorELNS0_4arch9wavefront6targetE1EEEvS17_
    .private_segment_fixed_size: 0
    .sgpr_count:     4
    .sgpr_spill_count: 0
    .symbol:         _ZN7rocprim17ROCPRIM_400000_NS6detail17trampoline_kernelINS0_14default_configENS1_22reduce_config_selectorIN6thrust23THRUST_200600_302600_NS5tupleIblNS6_9null_typeES8_S8_S8_S8_S8_S8_S8_EEEEZNS1_11reduce_implILb1ES3_NS6_12zip_iteratorINS7_INS6_11hip_rocprim26transform_input_iterator_tIbPfNS6_6detail10functional5actorINSH_9compositeIJNSH_27transparent_binary_operatorINS6_8equal_toIvEEEENSI_INSH_8argumentILj0EEEEENSH_5valueIfEEEEEEEEENSD_19counting_iterator_tIlEES8_S8_S8_S8_S8_S8_S8_S8_EEEEPS9_S9_NSD_9__find_if7functorIS9_EEEE10hipError_tPvRmT1_T2_T3_mT4_P12ihipStream_tbEUlT_E1_NS1_11comp_targetILNS1_3genE10ELNS1_11target_archE1200ELNS1_3gpuE4ELNS1_3repE0EEENS1_30default_config_static_selectorELNS0_4arch9wavefront6targetE1EEEvS17_.kd
    .uniform_work_group_size: 1
    .uses_dynamic_stack: false
    .vgpr_count:     0
    .vgpr_spill_count: 0
    .wavefront_size: 64
  - .args:
      - .offset:         0
        .size:           72
        .value_kind:     by_value
    .group_segment_fixed_size: 0
    .kernarg_segment_align: 8
    .kernarg_segment_size: 72
    .language:       OpenCL C
    .language_version:
      - 2
      - 0
    .max_flat_workgroup_size: 256
    .name:           _ZN7rocprim17ROCPRIM_400000_NS6detail17trampoline_kernelINS0_14default_configENS1_22reduce_config_selectorIN6thrust23THRUST_200600_302600_NS5tupleIblNS6_9null_typeES8_S8_S8_S8_S8_S8_S8_EEEEZNS1_11reduce_implILb1ES3_NS6_12zip_iteratorINS7_INS6_11hip_rocprim26transform_input_iterator_tIbPfNS6_6detail10functional5actorINSH_9compositeIJNSH_27transparent_binary_operatorINS6_8equal_toIvEEEENSI_INSH_8argumentILj0EEEEENSH_5valueIfEEEEEEEEENSD_19counting_iterator_tIlEES8_S8_S8_S8_S8_S8_S8_S8_EEEEPS9_S9_NSD_9__find_if7functorIS9_EEEE10hipError_tPvRmT1_T2_T3_mT4_P12ihipStream_tbEUlT_E1_NS1_11comp_targetILNS1_3genE9ELNS1_11target_archE1100ELNS1_3gpuE3ELNS1_3repE0EEENS1_30default_config_static_selectorELNS0_4arch9wavefront6targetE1EEEvS17_
    .private_segment_fixed_size: 0
    .sgpr_count:     4
    .sgpr_spill_count: 0
    .symbol:         _ZN7rocprim17ROCPRIM_400000_NS6detail17trampoline_kernelINS0_14default_configENS1_22reduce_config_selectorIN6thrust23THRUST_200600_302600_NS5tupleIblNS6_9null_typeES8_S8_S8_S8_S8_S8_S8_EEEEZNS1_11reduce_implILb1ES3_NS6_12zip_iteratorINS7_INS6_11hip_rocprim26transform_input_iterator_tIbPfNS6_6detail10functional5actorINSH_9compositeIJNSH_27transparent_binary_operatorINS6_8equal_toIvEEEENSI_INSH_8argumentILj0EEEEENSH_5valueIfEEEEEEEEENSD_19counting_iterator_tIlEES8_S8_S8_S8_S8_S8_S8_S8_EEEEPS9_S9_NSD_9__find_if7functorIS9_EEEE10hipError_tPvRmT1_T2_T3_mT4_P12ihipStream_tbEUlT_E1_NS1_11comp_targetILNS1_3genE9ELNS1_11target_archE1100ELNS1_3gpuE3ELNS1_3repE0EEENS1_30default_config_static_selectorELNS0_4arch9wavefront6targetE1EEEvS17_.kd
    .uniform_work_group_size: 1
    .uses_dynamic_stack: false
    .vgpr_count:     0
    .vgpr_spill_count: 0
    .wavefront_size: 64
  - .args:
      - .offset:         0
        .size:           72
        .value_kind:     by_value
    .group_segment_fixed_size: 0
    .kernarg_segment_align: 8
    .kernarg_segment_size: 72
    .language:       OpenCL C
    .language_version:
      - 2
      - 0
    .max_flat_workgroup_size: 256
    .name:           _ZN7rocprim17ROCPRIM_400000_NS6detail17trampoline_kernelINS0_14default_configENS1_22reduce_config_selectorIN6thrust23THRUST_200600_302600_NS5tupleIblNS6_9null_typeES8_S8_S8_S8_S8_S8_S8_EEEEZNS1_11reduce_implILb1ES3_NS6_12zip_iteratorINS7_INS6_11hip_rocprim26transform_input_iterator_tIbPfNS6_6detail10functional5actorINSH_9compositeIJNSH_27transparent_binary_operatorINS6_8equal_toIvEEEENSI_INSH_8argumentILj0EEEEENSH_5valueIfEEEEEEEEENSD_19counting_iterator_tIlEES8_S8_S8_S8_S8_S8_S8_S8_EEEEPS9_S9_NSD_9__find_if7functorIS9_EEEE10hipError_tPvRmT1_T2_T3_mT4_P12ihipStream_tbEUlT_E1_NS1_11comp_targetILNS1_3genE8ELNS1_11target_archE1030ELNS1_3gpuE2ELNS1_3repE0EEENS1_30default_config_static_selectorELNS0_4arch9wavefront6targetE1EEEvS17_
    .private_segment_fixed_size: 0
    .sgpr_count:     4
    .sgpr_spill_count: 0
    .symbol:         _ZN7rocprim17ROCPRIM_400000_NS6detail17trampoline_kernelINS0_14default_configENS1_22reduce_config_selectorIN6thrust23THRUST_200600_302600_NS5tupleIblNS6_9null_typeES8_S8_S8_S8_S8_S8_S8_EEEEZNS1_11reduce_implILb1ES3_NS6_12zip_iteratorINS7_INS6_11hip_rocprim26transform_input_iterator_tIbPfNS6_6detail10functional5actorINSH_9compositeIJNSH_27transparent_binary_operatorINS6_8equal_toIvEEEENSI_INSH_8argumentILj0EEEEENSH_5valueIfEEEEEEEEENSD_19counting_iterator_tIlEES8_S8_S8_S8_S8_S8_S8_S8_EEEEPS9_S9_NSD_9__find_if7functorIS9_EEEE10hipError_tPvRmT1_T2_T3_mT4_P12ihipStream_tbEUlT_E1_NS1_11comp_targetILNS1_3genE8ELNS1_11target_archE1030ELNS1_3gpuE2ELNS1_3repE0EEENS1_30default_config_static_selectorELNS0_4arch9wavefront6targetE1EEEvS17_.kd
    .uniform_work_group_size: 1
    .uses_dynamic_stack: false
    .vgpr_count:     0
    .vgpr_spill_count: 0
    .wavefront_size: 64
  - .args:           []
    .group_segment_fixed_size: 0
    .kernarg_segment_align: 4
    .kernarg_segment_size: 0
    .language:       OpenCL C
    .language_version:
      - 2
      - 0
    .max_flat_workgroup_size: 1024
    .name:           _ZN7rocprim17ROCPRIM_400000_NS6detail44device_merge_sort_compile_time_verifier_archINS1_11comp_targetILNS1_3genE0ELNS1_11target_archE4294967295ELNS1_3gpuE0ELNS1_3repE0EEES8_NS0_14default_configES9_NS1_37merge_sort_block_sort_config_selectorIN3c108BFloat16ElEENS1_38merge_sort_block_merge_config_selectorISC_lEEEEvv
    .private_segment_fixed_size: 0
    .sgpr_count:     4
    .sgpr_spill_count: 0
    .symbol:         _ZN7rocprim17ROCPRIM_400000_NS6detail44device_merge_sort_compile_time_verifier_archINS1_11comp_targetILNS1_3genE0ELNS1_11target_archE4294967295ELNS1_3gpuE0ELNS1_3repE0EEES8_NS0_14default_configES9_NS1_37merge_sort_block_sort_config_selectorIN3c108BFloat16ElEENS1_38merge_sort_block_merge_config_selectorISC_lEEEEvv.kd
    .uniform_work_group_size: 1
    .uses_dynamic_stack: false
    .vgpr_count:     0
    .vgpr_spill_count: 0
    .wavefront_size: 64
  - .args:           []
    .group_segment_fixed_size: 0
    .kernarg_segment_align: 4
    .kernarg_segment_size: 0
    .language:       OpenCL C
    .language_version:
      - 2
      - 0
    .max_flat_workgroup_size: 1024
    .name:           _ZN7rocprim17ROCPRIM_400000_NS6detail44device_merge_sort_compile_time_verifier_archINS1_11comp_targetILNS1_3genE5ELNS1_11target_archE942ELNS1_3gpuE9ELNS1_3repE0EEES8_NS0_14default_configES9_NS1_37merge_sort_block_sort_config_selectorIN3c108BFloat16ElEENS1_38merge_sort_block_merge_config_selectorISC_lEEEEvv
    .private_segment_fixed_size: 0
    .sgpr_count:     4
    .sgpr_spill_count: 0
    .symbol:         _ZN7rocprim17ROCPRIM_400000_NS6detail44device_merge_sort_compile_time_verifier_archINS1_11comp_targetILNS1_3genE5ELNS1_11target_archE942ELNS1_3gpuE9ELNS1_3repE0EEES8_NS0_14default_configES9_NS1_37merge_sort_block_sort_config_selectorIN3c108BFloat16ElEENS1_38merge_sort_block_merge_config_selectorISC_lEEEEvv.kd
    .uniform_work_group_size: 1
    .uses_dynamic_stack: false
    .vgpr_count:     0
    .vgpr_spill_count: 0
    .wavefront_size: 64
  - .args:           []
    .group_segment_fixed_size: 0
    .kernarg_segment_align: 4
    .kernarg_segment_size: 0
    .language:       OpenCL C
    .language_version:
      - 2
      - 0
    .max_flat_workgroup_size: 1024
    .name:           _ZN7rocprim17ROCPRIM_400000_NS6detail44device_merge_sort_compile_time_verifier_archINS1_11comp_targetILNS1_3genE4ELNS1_11target_archE910ELNS1_3gpuE8ELNS1_3repE0EEES8_NS0_14default_configES9_NS1_37merge_sort_block_sort_config_selectorIN3c108BFloat16ElEENS1_38merge_sort_block_merge_config_selectorISC_lEEEEvv
    .private_segment_fixed_size: 0
    .sgpr_count:     4
    .sgpr_spill_count: 0
    .symbol:         _ZN7rocprim17ROCPRIM_400000_NS6detail44device_merge_sort_compile_time_verifier_archINS1_11comp_targetILNS1_3genE4ELNS1_11target_archE910ELNS1_3gpuE8ELNS1_3repE0EEES8_NS0_14default_configES9_NS1_37merge_sort_block_sort_config_selectorIN3c108BFloat16ElEENS1_38merge_sort_block_merge_config_selectorISC_lEEEEvv.kd
    .uniform_work_group_size: 1
    .uses_dynamic_stack: false
    .vgpr_count:     0
    .vgpr_spill_count: 0
    .wavefront_size: 64
  - .args:           []
    .group_segment_fixed_size: 0
    .kernarg_segment_align: 4
    .kernarg_segment_size: 0
    .language:       OpenCL C
    .language_version:
      - 2
      - 0
    .max_flat_workgroup_size: 1024
    .name:           _ZN7rocprim17ROCPRIM_400000_NS6detail44device_merge_sort_compile_time_verifier_archINS1_11comp_targetILNS1_3genE3ELNS1_11target_archE908ELNS1_3gpuE7ELNS1_3repE0EEES8_NS0_14default_configES9_NS1_37merge_sort_block_sort_config_selectorIN3c108BFloat16ElEENS1_38merge_sort_block_merge_config_selectorISC_lEEEEvv
    .private_segment_fixed_size: 0
    .sgpr_count:     4
    .sgpr_spill_count: 0
    .symbol:         _ZN7rocprim17ROCPRIM_400000_NS6detail44device_merge_sort_compile_time_verifier_archINS1_11comp_targetILNS1_3genE3ELNS1_11target_archE908ELNS1_3gpuE7ELNS1_3repE0EEES8_NS0_14default_configES9_NS1_37merge_sort_block_sort_config_selectorIN3c108BFloat16ElEENS1_38merge_sort_block_merge_config_selectorISC_lEEEEvv.kd
    .uniform_work_group_size: 1
    .uses_dynamic_stack: false
    .vgpr_count:     0
    .vgpr_spill_count: 0
    .wavefront_size: 64
  - .args:           []
    .group_segment_fixed_size: 0
    .kernarg_segment_align: 4
    .kernarg_segment_size: 0
    .language:       OpenCL C
    .language_version:
      - 2
      - 0
    .max_flat_workgroup_size: 1024
    .name:           _ZN7rocprim17ROCPRIM_400000_NS6detail44device_merge_sort_compile_time_verifier_archINS1_11comp_targetILNS1_3genE2ELNS1_11target_archE906ELNS1_3gpuE6ELNS1_3repE0EEES8_NS0_14default_configES9_NS1_37merge_sort_block_sort_config_selectorIN3c108BFloat16ElEENS1_38merge_sort_block_merge_config_selectorISC_lEEEEvv
    .private_segment_fixed_size: 0
    .sgpr_count:     4
    .sgpr_spill_count: 0
    .symbol:         _ZN7rocprim17ROCPRIM_400000_NS6detail44device_merge_sort_compile_time_verifier_archINS1_11comp_targetILNS1_3genE2ELNS1_11target_archE906ELNS1_3gpuE6ELNS1_3repE0EEES8_NS0_14default_configES9_NS1_37merge_sort_block_sort_config_selectorIN3c108BFloat16ElEENS1_38merge_sort_block_merge_config_selectorISC_lEEEEvv.kd
    .uniform_work_group_size: 1
    .uses_dynamic_stack: false
    .vgpr_count:     0
    .vgpr_spill_count: 0
    .wavefront_size: 64
  - .args:           []
    .group_segment_fixed_size: 0
    .kernarg_segment_align: 4
    .kernarg_segment_size: 0
    .language:       OpenCL C
    .language_version:
      - 2
      - 0
    .max_flat_workgroup_size: 1024
    .name:           _ZN7rocprim17ROCPRIM_400000_NS6detail44device_merge_sort_compile_time_verifier_archINS1_11comp_targetILNS1_3genE10ELNS1_11target_archE1201ELNS1_3gpuE5ELNS1_3repE0EEES8_NS0_14default_configES9_NS1_37merge_sort_block_sort_config_selectorIN3c108BFloat16ElEENS1_38merge_sort_block_merge_config_selectorISC_lEEEEvv
    .private_segment_fixed_size: 0
    .sgpr_count:     4
    .sgpr_spill_count: 0
    .symbol:         _ZN7rocprim17ROCPRIM_400000_NS6detail44device_merge_sort_compile_time_verifier_archINS1_11comp_targetILNS1_3genE10ELNS1_11target_archE1201ELNS1_3gpuE5ELNS1_3repE0EEES8_NS0_14default_configES9_NS1_37merge_sort_block_sort_config_selectorIN3c108BFloat16ElEENS1_38merge_sort_block_merge_config_selectorISC_lEEEEvv.kd
    .uniform_work_group_size: 1
    .uses_dynamic_stack: false
    .vgpr_count:     0
    .vgpr_spill_count: 0
    .wavefront_size: 64
  - .args:           []
    .group_segment_fixed_size: 0
    .kernarg_segment_align: 4
    .kernarg_segment_size: 0
    .language:       OpenCL C
    .language_version:
      - 2
      - 0
    .max_flat_workgroup_size: 1024
    .name:           _ZN7rocprim17ROCPRIM_400000_NS6detail44device_merge_sort_compile_time_verifier_archINS1_11comp_targetILNS1_3genE10ELNS1_11target_archE1200ELNS1_3gpuE4ELNS1_3repE0EEENS3_ILS4_10ELS5_1201ELS6_5ELS7_0EEENS0_14default_configESA_NS1_37merge_sort_block_sort_config_selectorIN3c108BFloat16ElEENS1_38merge_sort_block_merge_config_selectorISD_lEEEEvv
    .private_segment_fixed_size: 0
    .sgpr_count:     4
    .sgpr_spill_count: 0
    .symbol:         _ZN7rocprim17ROCPRIM_400000_NS6detail44device_merge_sort_compile_time_verifier_archINS1_11comp_targetILNS1_3genE10ELNS1_11target_archE1200ELNS1_3gpuE4ELNS1_3repE0EEENS3_ILS4_10ELS5_1201ELS6_5ELS7_0EEENS0_14default_configESA_NS1_37merge_sort_block_sort_config_selectorIN3c108BFloat16ElEENS1_38merge_sort_block_merge_config_selectorISD_lEEEEvv.kd
    .uniform_work_group_size: 1
    .uses_dynamic_stack: false
    .vgpr_count:     0
    .vgpr_spill_count: 0
    .wavefront_size: 64
  - .args:           []
    .group_segment_fixed_size: 0
    .kernarg_segment_align: 4
    .kernarg_segment_size: 0
    .language:       OpenCL C
    .language_version:
      - 2
      - 0
    .max_flat_workgroup_size: 1024
    .name:           _ZN7rocprim17ROCPRIM_400000_NS6detail44device_merge_sort_compile_time_verifier_archINS1_11comp_targetILNS1_3genE9ELNS1_11target_archE1100ELNS1_3gpuE3ELNS1_3repE0EEES8_NS0_14default_configES9_NS1_37merge_sort_block_sort_config_selectorIN3c108BFloat16ElEENS1_38merge_sort_block_merge_config_selectorISC_lEEEEvv
    .private_segment_fixed_size: 0
    .sgpr_count:     4
    .sgpr_spill_count: 0
    .symbol:         _ZN7rocprim17ROCPRIM_400000_NS6detail44device_merge_sort_compile_time_verifier_archINS1_11comp_targetILNS1_3genE9ELNS1_11target_archE1100ELNS1_3gpuE3ELNS1_3repE0EEES8_NS0_14default_configES9_NS1_37merge_sort_block_sort_config_selectorIN3c108BFloat16ElEENS1_38merge_sort_block_merge_config_selectorISC_lEEEEvv.kd
    .uniform_work_group_size: 1
    .uses_dynamic_stack: false
    .vgpr_count:     0
    .vgpr_spill_count: 0
    .wavefront_size: 64
  - .args:           []
    .group_segment_fixed_size: 0
    .kernarg_segment_align: 4
    .kernarg_segment_size: 0
    .language:       OpenCL C
    .language_version:
      - 2
      - 0
    .max_flat_workgroup_size: 1024
    .name:           _ZN7rocprim17ROCPRIM_400000_NS6detail44device_merge_sort_compile_time_verifier_archINS1_11comp_targetILNS1_3genE8ELNS1_11target_archE1030ELNS1_3gpuE2ELNS1_3repE0EEES8_NS0_14default_configES9_NS1_37merge_sort_block_sort_config_selectorIN3c108BFloat16ElEENS1_38merge_sort_block_merge_config_selectorISC_lEEEEvv
    .private_segment_fixed_size: 0
    .sgpr_count:     4
    .sgpr_spill_count: 0
    .symbol:         _ZN7rocprim17ROCPRIM_400000_NS6detail44device_merge_sort_compile_time_verifier_archINS1_11comp_targetILNS1_3genE8ELNS1_11target_archE1030ELNS1_3gpuE2ELNS1_3repE0EEES8_NS0_14default_configES9_NS1_37merge_sort_block_sort_config_selectorIN3c108BFloat16ElEENS1_38merge_sort_block_merge_config_selectorISC_lEEEEvv.kd
    .uniform_work_group_size: 1
    .uses_dynamic_stack: false
    .vgpr_count:     0
    .vgpr_spill_count: 0
    .wavefront_size: 64
  - .args:
      - .offset:         0
        .size:           64
        .value_kind:     by_value
    .group_segment_fixed_size: 0
    .kernarg_segment_align: 8
    .kernarg_segment_size: 64
    .language:       OpenCL C
    .language_version:
      - 2
      - 0
    .max_flat_workgroup_size: 256
    .name:           _ZN7rocprim17ROCPRIM_400000_NS6detail17trampoline_kernelINS0_14default_configENS1_37merge_sort_block_sort_config_selectorIN3c108BFloat16ElEEZNS1_21merge_sort_block_sortIS3_PS6_S9_N6thrust23THRUST_200600_302600_NS10device_ptrIlEESD_NSB_4lessIS6_EEEE10hipError_tT0_T1_T2_T3_mRjT4_P12ihipStream_tbNS1_7vsmem_tEEUlT_E_NS1_11comp_targetILNS1_3genE0ELNS1_11target_archE4294967295ELNS1_3gpuE0ELNS1_3repE0EEENS1_30default_config_static_selectorELNS0_4arch9wavefront6targetE1EEEvSI_
    .private_segment_fixed_size: 0
    .sgpr_count:     4
    .sgpr_spill_count: 0
    .symbol:         _ZN7rocprim17ROCPRIM_400000_NS6detail17trampoline_kernelINS0_14default_configENS1_37merge_sort_block_sort_config_selectorIN3c108BFloat16ElEEZNS1_21merge_sort_block_sortIS3_PS6_S9_N6thrust23THRUST_200600_302600_NS10device_ptrIlEESD_NSB_4lessIS6_EEEE10hipError_tT0_T1_T2_T3_mRjT4_P12ihipStream_tbNS1_7vsmem_tEEUlT_E_NS1_11comp_targetILNS1_3genE0ELNS1_11target_archE4294967295ELNS1_3gpuE0ELNS1_3repE0EEENS1_30default_config_static_selectorELNS0_4arch9wavefront6targetE1EEEvSI_.kd
    .uniform_work_group_size: 1
    .uses_dynamic_stack: false
    .vgpr_count:     0
    .vgpr_spill_count: 0
    .wavefront_size: 64
  - .args:
      - .offset:         0
        .size:           64
        .value_kind:     by_value
    .group_segment_fixed_size: 0
    .kernarg_segment_align: 8
    .kernarg_segment_size: 64
    .language:       OpenCL C
    .language_version:
      - 2
      - 0
    .max_flat_workgroup_size: 256
    .name:           _ZN7rocprim17ROCPRIM_400000_NS6detail17trampoline_kernelINS0_14default_configENS1_37merge_sort_block_sort_config_selectorIN3c108BFloat16ElEEZNS1_21merge_sort_block_sortIS3_PS6_S9_N6thrust23THRUST_200600_302600_NS10device_ptrIlEESD_NSB_4lessIS6_EEEE10hipError_tT0_T1_T2_T3_mRjT4_P12ihipStream_tbNS1_7vsmem_tEEUlT_E_NS1_11comp_targetILNS1_3genE5ELNS1_11target_archE942ELNS1_3gpuE9ELNS1_3repE0EEENS1_30default_config_static_selectorELNS0_4arch9wavefront6targetE1EEEvSI_
    .private_segment_fixed_size: 0
    .sgpr_count:     4
    .sgpr_spill_count: 0
    .symbol:         _ZN7rocprim17ROCPRIM_400000_NS6detail17trampoline_kernelINS0_14default_configENS1_37merge_sort_block_sort_config_selectorIN3c108BFloat16ElEEZNS1_21merge_sort_block_sortIS3_PS6_S9_N6thrust23THRUST_200600_302600_NS10device_ptrIlEESD_NSB_4lessIS6_EEEE10hipError_tT0_T1_T2_T3_mRjT4_P12ihipStream_tbNS1_7vsmem_tEEUlT_E_NS1_11comp_targetILNS1_3genE5ELNS1_11target_archE942ELNS1_3gpuE9ELNS1_3repE0EEENS1_30default_config_static_selectorELNS0_4arch9wavefront6targetE1EEEvSI_.kd
    .uniform_work_group_size: 1
    .uses_dynamic_stack: false
    .vgpr_count:     0
    .vgpr_spill_count: 0
    .wavefront_size: 64
  - .args:
      - .offset:         0
        .size:           64
        .value_kind:     by_value
    .group_segment_fixed_size: 0
    .kernarg_segment_align: 8
    .kernarg_segment_size: 64
    .language:       OpenCL C
    .language_version:
      - 2
      - 0
    .max_flat_workgroup_size: 256
    .name:           _ZN7rocprim17ROCPRIM_400000_NS6detail17trampoline_kernelINS0_14default_configENS1_37merge_sort_block_sort_config_selectorIN3c108BFloat16ElEEZNS1_21merge_sort_block_sortIS3_PS6_S9_N6thrust23THRUST_200600_302600_NS10device_ptrIlEESD_NSB_4lessIS6_EEEE10hipError_tT0_T1_T2_T3_mRjT4_P12ihipStream_tbNS1_7vsmem_tEEUlT_E_NS1_11comp_targetILNS1_3genE4ELNS1_11target_archE910ELNS1_3gpuE8ELNS1_3repE0EEENS1_30default_config_static_selectorELNS0_4arch9wavefront6targetE1EEEvSI_
    .private_segment_fixed_size: 0
    .sgpr_count:     4
    .sgpr_spill_count: 0
    .symbol:         _ZN7rocprim17ROCPRIM_400000_NS6detail17trampoline_kernelINS0_14default_configENS1_37merge_sort_block_sort_config_selectorIN3c108BFloat16ElEEZNS1_21merge_sort_block_sortIS3_PS6_S9_N6thrust23THRUST_200600_302600_NS10device_ptrIlEESD_NSB_4lessIS6_EEEE10hipError_tT0_T1_T2_T3_mRjT4_P12ihipStream_tbNS1_7vsmem_tEEUlT_E_NS1_11comp_targetILNS1_3genE4ELNS1_11target_archE910ELNS1_3gpuE8ELNS1_3repE0EEENS1_30default_config_static_selectorELNS0_4arch9wavefront6targetE1EEEvSI_.kd
    .uniform_work_group_size: 1
    .uses_dynamic_stack: false
    .vgpr_count:     0
    .vgpr_spill_count: 0
    .wavefront_size: 64
  - .args:
      - .offset:         0
        .size:           64
        .value_kind:     by_value
    .group_segment_fixed_size: 0
    .kernarg_segment_align: 8
    .kernarg_segment_size: 64
    .language:       OpenCL C
    .language_version:
      - 2
      - 0
    .max_flat_workgroup_size: 256
    .name:           _ZN7rocprim17ROCPRIM_400000_NS6detail17trampoline_kernelINS0_14default_configENS1_37merge_sort_block_sort_config_selectorIN3c108BFloat16ElEEZNS1_21merge_sort_block_sortIS3_PS6_S9_N6thrust23THRUST_200600_302600_NS10device_ptrIlEESD_NSB_4lessIS6_EEEE10hipError_tT0_T1_T2_T3_mRjT4_P12ihipStream_tbNS1_7vsmem_tEEUlT_E_NS1_11comp_targetILNS1_3genE3ELNS1_11target_archE908ELNS1_3gpuE7ELNS1_3repE0EEENS1_30default_config_static_selectorELNS0_4arch9wavefront6targetE1EEEvSI_
    .private_segment_fixed_size: 0
    .sgpr_count:     4
    .sgpr_spill_count: 0
    .symbol:         _ZN7rocprim17ROCPRIM_400000_NS6detail17trampoline_kernelINS0_14default_configENS1_37merge_sort_block_sort_config_selectorIN3c108BFloat16ElEEZNS1_21merge_sort_block_sortIS3_PS6_S9_N6thrust23THRUST_200600_302600_NS10device_ptrIlEESD_NSB_4lessIS6_EEEE10hipError_tT0_T1_T2_T3_mRjT4_P12ihipStream_tbNS1_7vsmem_tEEUlT_E_NS1_11comp_targetILNS1_3genE3ELNS1_11target_archE908ELNS1_3gpuE7ELNS1_3repE0EEENS1_30default_config_static_selectorELNS0_4arch9wavefront6targetE1EEEvSI_.kd
    .uniform_work_group_size: 1
    .uses_dynamic_stack: false
    .vgpr_count:     0
    .vgpr_spill_count: 0
    .wavefront_size: 64
  - .args:
      - .offset:         0
        .size:           64
        .value_kind:     by_value
      - .offset:         64
        .size:           4
        .value_kind:     hidden_block_count_x
      - .offset:         68
        .size:           4
        .value_kind:     hidden_block_count_y
      - .offset:         72
        .size:           4
        .value_kind:     hidden_block_count_z
      - .offset:         76
        .size:           2
        .value_kind:     hidden_group_size_x
      - .offset:         78
        .size:           2
        .value_kind:     hidden_group_size_y
      - .offset:         80
        .size:           2
        .value_kind:     hidden_group_size_z
      - .offset:         82
        .size:           2
        .value_kind:     hidden_remainder_x
      - .offset:         84
        .size:           2
        .value_kind:     hidden_remainder_y
      - .offset:         86
        .size:           2
        .value_kind:     hidden_remainder_z
      - .offset:         104
        .size:           8
        .value_kind:     hidden_global_offset_x
      - .offset:         112
        .size:           8
        .value_kind:     hidden_global_offset_y
      - .offset:         120
        .size:           8
        .value_kind:     hidden_global_offset_z
      - .offset:         128
        .size:           2
        .value_kind:     hidden_grid_dims
    .group_segment_fixed_size: 8448
    .kernarg_segment_align: 8
    .kernarg_segment_size: 320
    .language:       OpenCL C
    .language_version:
      - 2
      - 0
    .max_flat_workgroup_size: 256
    .name:           _ZN7rocprim17ROCPRIM_400000_NS6detail17trampoline_kernelINS0_14default_configENS1_37merge_sort_block_sort_config_selectorIN3c108BFloat16ElEEZNS1_21merge_sort_block_sortIS3_PS6_S9_N6thrust23THRUST_200600_302600_NS10device_ptrIlEESD_NSB_4lessIS6_EEEE10hipError_tT0_T1_T2_T3_mRjT4_P12ihipStream_tbNS1_7vsmem_tEEUlT_E_NS1_11comp_targetILNS1_3genE2ELNS1_11target_archE906ELNS1_3gpuE6ELNS1_3repE0EEENS1_30default_config_static_selectorELNS0_4arch9wavefront6targetE1EEEvSI_
    .private_segment_fixed_size: 0
    .sgpr_count:     36
    .sgpr_spill_count: 0
    .symbol:         _ZN7rocprim17ROCPRIM_400000_NS6detail17trampoline_kernelINS0_14default_configENS1_37merge_sort_block_sort_config_selectorIN3c108BFloat16ElEEZNS1_21merge_sort_block_sortIS3_PS6_S9_N6thrust23THRUST_200600_302600_NS10device_ptrIlEESD_NSB_4lessIS6_EEEE10hipError_tT0_T1_T2_T3_mRjT4_P12ihipStream_tbNS1_7vsmem_tEEUlT_E_NS1_11comp_targetILNS1_3genE2ELNS1_11target_archE906ELNS1_3gpuE6ELNS1_3repE0EEENS1_30default_config_static_selectorELNS0_4arch9wavefront6targetE1EEEvSI_.kd
    .uniform_work_group_size: 1
    .uses_dynamic_stack: false
    .vgpr_count:     47
    .vgpr_spill_count: 0
    .wavefront_size: 64
  - .args:
      - .offset:         0
        .size:           64
        .value_kind:     by_value
    .group_segment_fixed_size: 0
    .kernarg_segment_align: 8
    .kernarg_segment_size: 64
    .language:       OpenCL C
    .language_version:
      - 2
      - 0
    .max_flat_workgroup_size: 512
    .name:           _ZN7rocprim17ROCPRIM_400000_NS6detail17trampoline_kernelINS0_14default_configENS1_37merge_sort_block_sort_config_selectorIN3c108BFloat16ElEEZNS1_21merge_sort_block_sortIS3_PS6_S9_N6thrust23THRUST_200600_302600_NS10device_ptrIlEESD_NSB_4lessIS6_EEEE10hipError_tT0_T1_T2_T3_mRjT4_P12ihipStream_tbNS1_7vsmem_tEEUlT_E_NS1_11comp_targetILNS1_3genE10ELNS1_11target_archE1201ELNS1_3gpuE5ELNS1_3repE0EEENS1_30default_config_static_selectorELNS0_4arch9wavefront6targetE1EEEvSI_
    .private_segment_fixed_size: 0
    .sgpr_count:     4
    .sgpr_spill_count: 0
    .symbol:         _ZN7rocprim17ROCPRIM_400000_NS6detail17trampoline_kernelINS0_14default_configENS1_37merge_sort_block_sort_config_selectorIN3c108BFloat16ElEEZNS1_21merge_sort_block_sortIS3_PS6_S9_N6thrust23THRUST_200600_302600_NS10device_ptrIlEESD_NSB_4lessIS6_EEEE10hipError_tT0_T1_T2_T3_mRjT4_P12ihipStream_tbNS1_7vsmem_tEEUlT_E_NS1_11comp_targetILNS1_3genE10ELNS1_11target_archE1201ELNS1_3gpuE5ELNS1_3repE0EEENS1_30default_config_static_selectorELNS0_4arch9wavefront6targetE1EEEvSI_.kd
    .uniform_work_group_size: 1
    .uses_dynamic_stack: false
    .vgpr_count:     0
    .vgpr_spill_count: 0
    .wavefront_size: 64
  - .args:
      - .offset:         0
        .size:           64
        .value_kind:     by_value
    .group_segment_fixed_size: 0
    .kernarg_segment_align: 8
    .kernarg_segment_size: 64
    .language:       OpenCL C
    .language_version:
      - 2
      - 0
    .max_flat_workgroup_size: 512
    .name:           _ZN7rocprim17ROCPRIM_400000_NS6detail17trampoline_kernelINS0_14default_configENS1_37merge_sort_block_sort_config_selectorIN3c108BFloat16ElEEZNS1_21merge_sort_block_sortIS3_PS6_S9_N6thrust23THRUST_200600_302600_NS10device_ptrIlEESD_NSB_4lessIS6_EEEE10hipError_tT0_T1_T2_T3_mRjT4_P12ihipStream_tbNS1_7vsmem_tEEUlT_E_NS1_11comp_targetILNS1_3genE10ELNS1_11target_archE1200ELNS1_3gpuE4ELNS1_3repE0EEENS1_30default_config_static_selectorELNS0_4arch9wavefront6targetE1EEEvSI_
    .private_segment_fixed_size: 0
    .sgpr_count:     4
    .sgpr_spill_count: 0
    .symbol:         _ZN7rocprim17ROCPRIM_400000_NS6detail17trampoline_kernelINS0_14default_configENS1_37merge_sort_block_sort_config_selectorIN3c108BFloat16ElEEZNS1_21merge_sort_block_sortIS3_PS6_S9_N6thrust23THRUST_200600_302600_NS10device_ptrIlEESD_NSB_4lessIS6_EEEE10hipError_tT0_T1_T2_T3_mRjT4_P12ihipStream_tbNS1_7vsmem_tEEUlT_E_NS1_11comp_targetILNS1_3genE10ELNS1_11target_archE1200ELNS1_3gpuE4ELNS1_3repE0EEENS1_30default_config_static_selectorELNS0_4arch9wavefront6targetE1EEEvSI_.kd
    .uniform_work_group_size: 1
    .uses_dynamic_stack: false
    .vgpr_count:     0
    .vgpr_spill_count: 0
    .wavefront_size: 64
  - .args:
      - .offset:         0
        .size:           64
        .value_kind:     by_value
    .group_segment_fixed_size: 0
    .kernarg_segment_align: 8
    .kernarg_segment_size: 64
    .language:       OpenCL C
    .language_version:
      - 2
      - 0
    .max_flat_workgroup_size: 512
    .name:           _ZN7rocprim17ROCPRIM_400000_NS6detail17trampoline_kernelINS0_14default_configENS1_37merge_sort_block_sort_config_selectorIN3c108BFloat16ElEEZNS1_21merge_sort_block_sortIS3_PS6_S9_N6thrust23THRUST_200600_302600_NS10device_ptrIlEESD_NSB_4lessIS6_EEEE10hipError_tT0_T1_T2_T3_mRjT4_P12ihipStream_tbNS1_7vsmem_tEEUlT_E_NS1_11comp_targetILNS1_3genE9ELNS1_11target_archE1100ELNS1_3gpuE3ELNS1_3repE0EEENS1_30default_config_static_selectorELNS0_4arch9wavefront6targetE1EEEvSI_
    .private_segment_fixed_size: 0
    .sgpr_count:     4
    .sgpr_spill_count: 0
    .symbol:         _ZN7rocprim17ROCPRIM_400000_NS6detail17trampoline_kernelINS0_14default_configENS1_37merge_sort_block_sort_config_selectorIN3c108BFloat16ElEEZNS1_21merge_sort_block_sortIS3_PS6_S9_N6thrust23THRUST_200600_302600_NS10device_ptrIlEESD_NSB_4lessIS6_EEEE10hipError_tT0_T1_T2_T3_mRjT4_P12ihipStream_tbNS1_7vsmem_tEEUlT_E_NS1_11comp_targetILNS1_3genE9ELNS1_11target_archE1100ELNS1_3gpuE3ELNS1_3repE0EEENS1_30default_config_static_selectorELNS0_4arch9wavefront6targetE1EEEvSI_.kd
    .uniform_work_group_size: 1
    .uses_dynamic_stack: false
    .vgpr_count:     0
    .vgpr_spill_count: 0
    .wavefront_size: 64
  - .args:
      - .offset:         0
        .size:           64
        .value_kind:     by_value
    .group_segment_fixed_size: 0
    .kernarg_segment_align: 8
    .kernarg_segment_size: 64
    .language:       OpenCL C
    .language_version:
      - 2
      - 0
    .max_flat_workgroup_size: 256
    .name:           _ZN7rocprim17ROCPRIM_400000_NS6detail17trampoline_kernelINS0_14default_configENS1_37merge_sort_block_sort_config_selectorIN3c108BFloat16ElEEZNS1_21merge_sort_block_sortIS3_PS6_S9_N6thrust23THRUST_200600_302600_NS10device_ptrIlEESD_NSB_4lessIS6_EEEE10hipError_tT0_T1_T2_T3_mRjT4_P12ihipStream_tbNS1_7vsmem_tEEUlT_E_NS1_11comp_targetILNS1_3genE8ELNS1_11target_archE1030ELNS1_3gpuE2ELNS1_3repE0EEENS1_30default_config_static_selectorELNS0_4arch9wavefront6targetE1EEEvSI_
    .private_segment_fixed_size: 0
    .sgpr_count:     4
    .sgpr_spill_count: 0
    .symbol:         _ZN7rocprim17ROCPRIM_400000_NS6detail17trampoline_kernelINS0_14default_configENS1_37merge_sort_block_sort_config_selectorIN3c108BFloat16ElEEZNS1_21merge_sort_block_sortIS3_PS6_S9_N6thrust23THRUST_200600_302600_NS10device_ptrIlEESD_NSB_4lessIS6_EEEE10hipError_tT0_T1_T2_T3_mRjT4_P12ihipStream_tbNS1_7vsmem_tEEUlT_E_NS1_11comp_targetILNS1_3genE8ELNS1_11target_archE1030ELNS1_3gpuE2ELNS1_3repE0EEENS1_30default_config_static_selectorELNS0_4arch9wavefront6targetE1EEEvSI_.kd
    .uniform_work_group_size: 1
    .uses_dynamic_stack: false
    .vgpr_count:     0
    .vgpr_spill_count: 0
    .wavefront_size: 64
  - .args:
      - .offset:         0
        .size:           48
        .value_kind:     by_value
    .group_segment_fixed_size: 0
    .kernarg_segment_align: 8
    .kernarg_segment_size: 48
    .language:       OpenCL C
    .language_version:
      - 2
      - 0
    .max_flat_workgroup_size: 128
    .name:           _ZN7rocprim17ROCPRIM_400000_NS6detail17trampoline_kernelINS0_14default_configENS1_38merge_sort_block_merge_config_selectorIN3c108BFloat16ElEEZZNS1_27merge_sort_block_merge_implIS3_PS6_N6thrust23THRUST_200600_302600_NS10device_ptrIlEEmNSB_4lessIS6_EEEE10hipError_tT0_T1_T2_jT3_P12ihipStream_tbPNSt15iterator_traitsISH_E10value_typeEPNSN_ISI_E10value_typeEPSJ_NS1_7vsmem_tEENKUlT_SH_SI_SJ_E_clIS9_S9_PlSD_EESG_SW_SH_SI_SJ_EUlSW_E_NS1_11comp_targetILNS1_3genE0ELNS1_11target_archE4294967295ELNS1_3gpuE0ELNS1_3repE0EEENS1_48merge_mergepath_partition_config_static_selectorELNS0_4arch9wavefront6targetE1EEEvSI_
    .private_segment_fixed_size: 0
    .sgpr_count:     4
    .sgpr_spill_count: 0
    .symbol:         _ZN7rocprim17ROCPRIM_400000_NS6detail17trampoline_kernelINS0_14default_configENS1_38merge_sort_block_merge_config_selectorIN3c108BFloat16ElEEZZNS1_27merge_sort_block_merge_implIS3_PS6_N6thrust23THRUST_200600_302600_NS10device_ptrIlEEmNSB_4lessIS6_EEEE10hipError_tT0_T1_T2_jT3_P12ihipStream_tbPNSt15iterator_traitsISH_E10value_typeEPNSN_ISI_E10value_typeEPSJ_NS1_7vsmem_tEENKUlT_SH_SI_SJ_E_clIS9_S9_PlSD_EESG_SW_SH_SI_SJ_EUlSW_E_NS1_11comp_targetILNS1_3genE0ELNS1_11target_archE4294967295ELNS1_3gpuE0ELNS1_3repE0EEENS1_48merge_mergepath_partition_config_static_selectorELNS0_4arch9wavefront6targetE1EEEvSI_.kd
    .uniform_work_group_size: 1
    .uses_dynamic_stack: false
    .vgpr_count:     0
    .vgpr_spill_count: 0
    .wavefront_size: 64
  - .args:
      - .offset:         0
        .size:           48
        .value_kind:     by_value
    .group_segment_fixed_size: 0
    .kernarg_segment_align: 8
    .kernarg_segment_size: 48
    .language:       OpenCL C
    .language_version:
      - 2
      - 0
    .max_flat_workgroup_size: 128
    .name:           _ZN7rocprim17ROCPRIM_400000_NS6detail17trampoline_kernelINS0_14default_configENS1_38merge_sort_block_merge_config_selectorIN3c108BFloat16ElEEZZNS1_27merge_sort_block_merge_implIS3_PS6_N6thrust23THRUST_200600_302600_NS10device_ptrIlEEmNSB_4lessIS6_EEEE10hipError_tT0_T1_T2_jT3_P12ihipStream_tbPNSt15iterator_traitsISH_E10value_typeEPNSN_ISI_E10value_typeEPSJ_NS1_7vsmem_tEENKUlT_SH_SI_SJ_E_clIS9_S9_PlSD_EESG_SW_SH_SI_SJ_EUlSW_E_NS1_11comp_targetILNS1_3genE10ELNS1_11target_archE1201ELNS1_3gpuE5ELNS1_3repE0EEENS1_48merge_mergepath_partition_config_static_selectorELNS0_4arch9wavefront6targetE1EEEvSI_
    .private_segment_fixed_size: 0
    .sgpr_count:     4
    .sgpr_spill_count: 0
    .symbol:         _ZN7rocprim17ROCPRIM_400000_NS6detail17trampoline_kernelINS0_14default_configENS1_38merge_sort_block_merge_config_selectorIN3c108BFloat16ElEEZZNS1_27merge_sort_block_merge_implIS3_PS6_N6thrust23THRUST_200600_302600_NS10device_ptrIlEEmNSB_4lessIS6_EEEE10hipError_tT0_T1_T2_jT3_P12ihipStream_tbPNSt15iterator_traitsISH_E10value_typeEPNSN_ISI_E10value_typeEPSJ_NS1_7vsmem_tEENKUlT_SH_SI_SJ_E_clIS9_S9_PlSD_EESG_SW_SH_SI_SJ_EUlSW_E_NS1_11comp_targetILNS1_3genE10ELNS1_11target_archE1201ELNS1_3gpuE5ELNS1_3repE0EEENS1_48merge_mergepath_partition_config_static_selectorELNS0_4arch9wavefront6targetE1EEEvSI_.kd
    .uniform_work_group_size: 1
    .uses_dynamic_stack: false
    .vgpr_count:     0
    .vgpr_spill_count: 0
    .wavefront_size: 64
  - .args:
      - .offset:         0
        .size:           48
        .value_kind:     by_value
    .group_segment_fixed_size: 0
    .kernarg_segment_align: 8
    .kernarg_segment_size: 48
    .language:       OpenCL C
    .language_version:
      - 2
      - 0
    .max_flat_workgroup_size: 128
    .name:           _ZN7rocprim17ROCPRIM_400000_NS6detail17trampoline_kernelINS0_14default_configENS1_38merge_sort_block_merge_config_selectorIN3c108BFloat16ElEEZZNS1_27merge_sort_block_merge_implIS3_PS6_N6thrust23THRUST_200600_302600_NS10device_ptrIlEEmNSB_4lessIS6_EEEE10hipError_tT0_T1_T2_jT3_P12ihipStream_tbPNSt15iterator_traitsISH_E10value_typeEPNSN_ISI_E10value_typeEPSJ_NS1_7vsmem_tEENKUlT_SH_SI_SJ_E_clIS9_S9_PlSD_EESG_SW_SH_SI_SJ_EUlSW_E_NS1_11comp_targetILNS1_3genE5ELNS1_11target_archE942ELNS1_3gpuE9ELNS1_3repE0EEENS1_48merge_mergepath_partition_config_static_selectorELNS0_4arch9wavefront6targetE1EEEvSI_
    .private_segment_fixed_size: 0
    .sgpr_count:     4
    .sgpr_spill_count: 0
    .symbol:         _ZN7rocprim17ROCPRIM_400000_NS6detail17trampoline_kernelINS0_14default_configENS1_38merge_sort_block_merge_config_selectorIN3c108BFloat16ElEEZZNS1_27merge_sort_block_merge_implIS3_PS6_N6thrust23THRUST_200600_302600_NS10device_ptrIlEEmNSB_4lessIS6_EEEE10hipError_tT0_T1_T2_jT3_P12ihipStream_tbPNSt15iterator_traitsISH_E10value_typeEPNSN_ISI_E10value_typeEPSJ_NS1_7vsmem_tEENKUlT_SH_SI_SJ_E_clIS9_S9_PlSD_EESG_SW_SH_SI_SJ_EUlSW_E_NS1_11comp_targetILNS1_3genE5ELNS1_11target_archE942ELNS1_3gpuE9ELNS1_3repE0EEENS1_48merge_mergepath_partition_config_static_selectorELNS0_4arch9wavefront6targetE1EEEvSI_.kd
    .uniform_work_group_size: 1
    .uses_dynamic_stack: false
    .vgpr_count:     0
    .vgpr_spill_count: 0
    .wavefront_size: 64
  - .args:
      - .offset:         0
        .size:           48
        .value_kind:     by_value
    .group_segment_fixed_size: 0
    .kernarg_segment_align: 8
    .kernarg_segment_size: 48
    .language:       OpenCL C
    .language_version:
      - 2
      - 0
    .max_flat_workgroup_size: 128
    .name:           _ZN7rocprim17ROCPRIM_400000_NS6detail17trampoline_kernelINS0_14default_configENS1_38merge_sort_block_merge_config_selectorIN3c108BFloat16ElEEZZNS1_27merge_sort_block_merge_implIS3_PS6_N6thrust23THRUST_200600_302600_NS10device_ptrIlEEmNSB_4lessIS6_EEEE10hipError_tT0_T1_T2_jT3_P12ihipStream_tbPNSt15iterator_traitsISH_E10value_typeEPNSN_ISI_E10value_typeEPSJ_NS1_7vsmem_tEENKUlT_SH_SI_SJ_E_clIS9_S9_PlSD_EESG_SW_SH_SI_SJ_EUlSW_E_NS1_11comp_targetILNS1_3genE4ELNS1_11target_archE910ELNS1_3gpuE8ELNS1_3repE0EEENS1_48merge_mergepath_partition_config_static_selectorELNS0_4arch9wavefront6targetE1EEEvSI_
    .private_segment_fixed_size: 0
    .sgpr_count:     4
    .sgpr_spill_count: 0
    .symbol:         _ZN7rocprim17ROCPRIM_400000_NS6detail17trampoline_kernelINS0_14default_configENS1_38merge_sort_block_merge_config_selectorIN3c108BFloat16ElEEZZNS1_27merge_sort_block_merge_implIS3_PS6_N6thrust23THRUST_200600_302600_NS10device_ptrIlEEmNSB_4lessIS6_EEEE10hipError_tT0_T1_T2_jT3_P12ihipStream_tbPNSt15iterator_traitsISH_E10value_typeEPNSN_ISI_E10value_typeEPSJ_NS1_7vsmem_tEENKUlT_SH_SI_SJ_E_clIS9_S9_PlSD_EESG_SW_SH_SI_SJ_EUlSW_E_NS1_11comp_targetILNS1_3genE4ELNS1_11target_archE910ELNS1_3gpuE8ELNS1_3repE0EEENS1_48merge_mergepath_partition_config_static_selectorELNS0_4arch9wavefront6targetE1EEEvSI_.kd
    .uniform_work_group_size: 1
    .uses_dynamic_stack: false
    .vgpr_count:     0
    .vgpr_spill_count: 0
    .wavefront_size: 64
  - .args:
      - .offset:         0
        .size:           48
        .value_kind:     by_value
    .group_segment_fixed_size: 0
    .kernarg_segment_align: 8
    .kernarg_segment_size: 48
    .language:       OpenCL C
    .language_version:
      - 2
      - 0
    .max_flat_workgroup_size: 128
    .name:           _ZN7rocprim17ROCPRIM_400000_NS6detail17trampoline_kernelINS0_14default_configENS1_38merge_sort_block_merge_config_selectorIN3c108BFloat16ElEEZZNS1_27merge_sort_block_merge_implIS3_PS6_N6thrust23THRUST_200600_302600_NS10device_ptrIlEEmNSB_4lessIS6_EEEE10hipError_tT0_T1_T2_jT3_P12ihipStream_tbPNSt15iterator_traitsISH_E10value_typeEPNSN_ISI_E10value_typeEPSJ_NS1_7vsmem_tEENKUlT_SH_SI_SJ_E_clIS9_S9_PlSD_EESG_SW_SH_SI_SJ_EUlSW_E_NS1_11comp_targetILNS1_3genE3ELNS1_11target_archE908ELNS1_3gpuE7ELNS1_3repE0EEENS1_48merge_mergepath_partition_config_static_selectorELNS0_4arch9wavefront6targetE1EEEvSI_
    .private_segment_fixed_size: 0
    .sgpr_count:     4
    .sgpr_spill_count: 0
    .symbol:         _ZN7rocprim17ROCPRIM_400000_NS6detail17trampoline_kernelINS0_14default_configENS1_38merge_sort_block_merge_config_selectorIN3c108BFloat16ElEEZZNS1_27merge_sort_block_merge_implIS3_PS6_N6thrust23THRUST_200600_302600_NS10device_ptrIlEEmNSB_4lessIS6_EEEE10hipError_tT0_T1_T2_jT3_P12ihipStream_tbPNSt15iterator_traitsISH_E10value_typeEPNSN_ISI_E10value_typeEPSJ_NS1_7vsmem_tEENKUlT_SH_SI_SJ_E_clIS9_S9_PlSD_EESG_SW_SH_SI_SJ_EUlSW_E_NS1_11comp_targetILNS1_3genE3ELNS1_11target_archE908ELNS1_3gpuE7ELNS1_3repE0EEENS1_48merge_mergepath_partition_config_static_selectorELNS0_4arch9wavefront6targetE1EEEvSI_.kd
    .uniform_work_group_size: 1
    .uses_dynamic_stack: false
    .vgpr_count:     0
    .vgpr_spill_count: 0
    .wavefront_size: 64
  - .args:
      - .offset:         0
        .size:           48
        .value_kind:     by_value
    .group_segment_fixed_size: 0
    .kernarg_segment_align: 8
    .kernarg_segment_size: 48
    .language:       OpenCL C
    .language_version:
      - 2
      - 0
    .max_flat_workgroup_size: 128
    .name:           _ZN7rocprim17ROCPRIM_400000_NS6detail17trampoline_kernelINS0_14default_configENS1_38merge_sort_block_merge_config_selectorIN3c108BFloat16ElEEZZNS1_27merge_sort_block_merge_implIS3_PS6_N6thrust23THRUST_200600_302600_NS10device_ptrIlEEmNSB_4lessIS6_EEEE10hipError_tT0_T1_T2_jT3_P12ihipStream_tbPNSt15iterator_traitsISH_E10value_typeEPNSN_ISI_E10value_typeEPSJ_NS1_7vsmem_tEENKUlT_SH_SI_SJ_E_clIS9_S9_PlSD_EESG_SW_SH_SI_SJ_EUlSW_E_NS1_11comp_targetILNS1_3genE2ELNS1_11target_archE906ELNS1_3gpuE6ELNS1_3repE0EEENS1_48merge_mergepath_partition_config_static_selectorELNS0_4arch9wavefront6targetE1EEEvSI_
    .private_segment_fixed_size: 0
    .sgpr_count:     14
    .sgpr_spill_count: 0
    .symbol:         _ZN7rocprim17ROCPRIM_400000_NS6detail17trampoline_kernelINS0_14default_configENS1_38merge_sort_block_merge_config_selectorIN3c108BFloat16ElEEZZNS1_27merge_sort_block_merge_implIS3_PS6_N6thrust23THRUST_200600_302600_NS10device_ptrIlEEmNSB_4lessIS6_EEEE10hipError_tT0_T1_T2_jT3_P12ihipStream_tbPNSt15iterator_traitsISH_E10value_typeEPNSN_ISI_E10value_typeEPSJ_NS1_7vsmem_tEENKUlT_SH_SI_SJ_E_clIS9_S9_PlSD_EESG_SW_SH_SI_SJ_EUlSW_E_NS1_11comp_targetILNS1_3genE2ELNS1_11target_archE906ELNS1_3gpuE6ELNS1_3repE0EEENS1_48merge_mergepath_partition_config_static_selectorELNS0_4arch9wavefront6targetE1EEEvSI_.kd
    .uniform_work_group_size: 1
    .uses_dynamic_stack: false
    .vgpr_count:     19
    .vgpr_spill_count: 0
    .wavefront_size: 64
  - .args:
      - .offset:         0
        .size:           48
        .value_kind:     by_value
    .group_segment_fixed_size: 0
    .kernarg_segment_align: 8
    .kernarg_segment_size: 48
    .language:       OpenCL C
    .language_version:
      - 2
      - 0
    .max_flat_workgroup_size: 128
    .name:           _ZN7rocprim17ROCPRIM_400000_NS6detail17trampoline_kernelINS0_14default_configENS1_38merge_sort_block_merge_config_selectorIN3c108BFloat16ElEEZZNS1_27merge_sort_block_merge_implIS3_PS6_N6thrust23THRUST_200600_302600_NS10device_ptrIlEEmNSB_4lessIS6_EEEE10hipError_tT0_T1_T2_jT3_P12ihipStream_tbPNSt15iterator_traitsISH_E10value_typeEPNSN_ISI_E10value_typeEPSJ_NS1_7vsmem_tEENKUlT_SH_SI_SJ_E_clIS9_S9_PlSD_EESG_SW_SH_SI_SJ_EUlSW_E_NS1_11comp_targetILNS1_3genE9ELNS1_11target_archE1100ELNS1_3gpuE3ELNS1_3repE0EEENS1_48merge_mergepath_partition_config_static_selectorELNS0_4arch9wavefront6targetE1EEEvSI_
    .private_segment_fixed_size: 0
    .sgpr_count:     4
    .sgpr_spill_count: 0
    .symbol:         _ZN7rocprim17ROCPRIM_400000_NS6detail17trampoline_kernelINS0_14default_configENS1_38merge_sort_block_merge_config_selectorIN3c108BFloat16ElEEZZNS1_27merge_sort_block_merge_implIS3_PS6_N6thrust23THRUST_200600_302600_NS10device_ptrIlEEmNSB_4lessIS6_EEEE10hipError_tT0_T1_T2_jT3_P12ihipStream_tbPNSt15iterator_traitsISH_E10value_typeEPNSN_ISI_E10value_typeEPSJ_NS1_7vsmem_tEENKUlT_SH_SI_SJ_E_clIS9_S9_PlSD_EESG_SW_SH_SI_SJ_EUlSW_E_NS1_11comp_targetILNS1_3genE9ELNS1_11target_archE1100ELNS1_3gpuE3ELNS1_3repE0EEENS1_48merge_mergepath_partition_config_static_selectorELNS0_4arch9wavefront6targetE1EEEvSI_.kd
    .uniform_work_group_size: 1
    .uses_dynamic_stack: false
    .vgpr_count:     0
    .vgpr_spill_count: 0
    .wavefront_size: 64
  - .args:
      - .offset:         0
        .size:           48
        .value_kind:     by_value
    .group_segment_fixed_size: 0
    .kernarg_segment_align: 8
    .kernarg_segment_size: 48
    .language:       OpenCL C
    .language_version:
      - 2
      - 0
    .max_flat_workgroup_size: 128
    .name:           _ZN7rocprim17ROCPRIM_400000_NS6detail17trampoline_kernelINS0_14default_configENS1_38merge_sort_block_merge_config_selectorIN3c108BFloat16ElEEZZNS1_27merge_sort_block_merge_implIS3_PS6_N6thrust23THRUST_200600_302600_NS10device_ptrIlEEmNSB_4lessIS6_EEEE10hipError_tT0_T1_T2_jT3_P12ihipStream_tbPNSt15iterator_traitsISH_E10value_typeEPNSN_ISI_E10value_typeEPSJ_NS1_7vsmem_tEENKUlT_SH_SI_SJ_E_clIS9_S9_PlSD_EESG_SW_SH_SI_SJ_EUlSW_E_NS1_11comp_targetILNS1_3genE8ELNS1_11target_archE1030ELNS1_3gpuE2ELNS1_3repE0EEENS1_48merge_mergepath_partition_config_static_selectorELNS0_4arch9wavefront6targetE1EEEvSI_
    .private_segment_fixed_size: 0
    .sgpr_count:     4
    .sgpr_spill_count: 0
    .symbol:         _ZN7rocprim17ROCPRIM_400000_NS6detail17trampoline_kernelINS0_14default_configENS1_38merge_sort_block_merge_config_selectorIN3c108BFloat16ElEEZZNS1_27merge_sort_block_merge_implIS3_PS6_N6thrust23THRUST_200600_302600_NS10device_ptrIlEEmNSB_4lessIS6_EEEE10hipError_tT0_T1_T2_jT3_P12ihipStream_tbPNSt15iterator_traitsISH_E10value_typeEPNSN_ISI_E10value_typeEPSJ_NS1_7vsmem_tEENKUlT_SH_SI_SJ_E_clIS9_S9_PlSD_EESG_SW_SH_SI_SJ_EUlSW_E_NS1_11comp_targetILNS1_3genE8ELNS1_11target_archE1030ELNS1_3gpuE2ELNS1_3repE0EEENS1_48merge_mergepath_partition_config_static_selectorELNS0_4arch9wavefront6targetE1EEEvSI_.kd
    .uniform_work_group_size: 1
    .uses_dynamic_stack: false
    .vgpr_count:     0
    .vgpr_spill_count: 0
    .wavefront_size: 64
  - .args:
      - .offset:         0
        .size:           72
        .value_kind:     by_value
    .group_segment_fixed_size: 0
    .kernarg_segment_align: 8
    .kernarg_segment_size: 72
    .language:       OpenCL C
    .language_version:
      - 2
      - 0
    .max_flat_workgroup_size: 256
    .name:           _ZN7rocprim17ROCPRIM_400000_NS6detail17trampoline_kernelINS0_14default_configENS1_38merge_sort_block_merge_config_selectorIN3c108BFloat16ElEEZZNS1_27merge_sort_block_merge_implIS3_PS6_N6thrust23THRUST_200600_302600_NS10device_ptrIlEEmNSB_4lessIS6_EEEE10hipError_tT0_T1_T2_jT3_P12ihipStream_tbPNSt15iterator_traitsISH_E10value_typeEPNSN_ISI_E10value_typeEPSJ_NS1_7vsmem_tEENKUlT_SH_SI_SJ_E_clIS9_S9_PlSD_EESG_SW_SH_SI_SJ_EUlSW_E0_NS1_11comp_targetILNS1_3genE0ELNS1_11target_archE4294967295ELNS1_3gpuE0ELNS1_3repE0EEENS1_38merge_mergepath_config_static_selectorELNS0_4arch9wavefront6targetE1EEEvSI_
    .private_segment_fixed_size: 0
    .sgpr_count:     4
    .sgpr_spill_count: 0
    .symbol:         _ZN7rocprim17ROCPRIM_400000_NS6detail17trampoline_kernelINS0_14default_configENS1_38merge_sort_block_merge_config_selectorIN3c108BFloat16ElEEZZNS1_27merge_sort_block_merge_implIS3_PS6_N6thrust23THRUST_200600_302600_NS10device_ptrIlEEmNSB_4lessIS6_EEEE10hipError_tT0_T1_T2_jT3_P12ihipStream_tbPNSt15iterator_traitsISH_E10value_typeEPNSN_ISI_E10value_typeEPSJ_NS1_7vsmem_tEENKUlT_SH_SI_SJ_E_clIS9_S9_PlSD_EESG_SW_SH_SI_SJ_EUlSW_E0_NS1_11comp_targetILNS1_3genE0ELNS1_11target_archE4294967295ELNS1_3gpuE0ELNS1_3repE0EEENS1_38merge_mergepath_config_static_selectorELNS0_4arch9wavefront6targetE1EEEvSI_.kd
    .uniform_work_group_size: 1
    .uses_dynamic_stack: false
    .vgpr_count:     0
    .vgpr_spill_count: 0
    .wavefront_size: 64
  - .args:
      - .offset:         0
        .size:           72
        .value_kind:     by_value
    .group_segment_fixed_size: 0
    .kernarg_segment_align: 8
    .kernarg_segment_size: 72
    .language:       OpenCL C
    .language_version:
      - 2
      - 0
    .max_flat_workgroup_size: 512
    .name:           _ZN7rocprim17ROCPRIM_400000_NS6detail17trampoline_kernelINS0_14default_configENS1_38merge_sort_block_merge_config_selectorIN3c108BFloat16ElEEZZNS1_27merge_sort_block_merge_implIS3_PS6_N6thrust23THRUST_200600_302600_NS10device_ptrIlEEmNSB_4lessIS6_EEEE10hipError_tT0_T1_T2_jT3_P12ihipStream_tbPNSt15iterator_traitsISH_E10value_typeEPNSN_ISI_E10value_typeEPSJ_NS1_7vsmem_tEENKUlT_SH_SI_SJ_E_clIS9_S9_PlSD_EESG_SW_SH_SI_SJ_EUlSW_E0_NS1_11comp_targetILNS1_3genE10ELNS1_11target_archE1201ELNS1_3gpuE5ELNS1_3repE0EEENS1_38merge_mergepath_config_static_selectorELNS0_4arch9wavefront6targetE1EEEvSI_
    .private_segment_fixed_size: 0
    .sgpr_count:     4
    .sgpr_spill_count: 0
    .symbol:         _ZN7rocprim17ROCPRIM_400000_NS6detail17trampoline_kernelINS0_14default_configENS1_38merge_sort_block_merge_config_selectorIN3c108BFloat16ElEEZZNS1_27merge_sort_block_merge_implIS3_PS6_N6thrust23THRUST_200600_302600_NS10device_ptrIlEEmNSB_4lessIS6_EEEE10hipError_tT0_T1_T2_jT3_P12ihipStream_tbPNSt15iterator_traitsISH_E10value_typeEPNSN_ISI_E10value_typeEPSJ_NS1_7vsmem_tEENKUlT_SH_SI_SJ_E_clIS9_S9_PlSD_EESG_SW_SH_SI_SJ_EUlSW_E0_NS1_11comp_targetILNS1_3genE10ELNS1_11target_archE1201ELNS1_3gpuE5ELNS1_3repE0EEENS1_38merge_mergepath_config_static_selectorELNS0_4arch9wavefront6targetE1EEEvSI_.kd
    .uniform_work_group_size: 1
    .uses_dynamic_stack: false
    .vgpr_count:     0
    .vgpr_spill_count: 0
    .wavefront_size: 64
  - .args:
      - .offset:         0
        .size:           72
        .value_kind:     by_value
    .group_segment_fixed_size: 0
    .kernarg_segment_align: 8
    .kernarg_segment_size: 72
    .language:       OpenCL C
    .language_version:
      - 2
      - 0
    .max_flat_workgroup_size: 256
    .name:           _ZN7rocprim17ROCPRIM_400000_NS6detail17trampoline_kernelINS0_14default_configENS1_38merge_sort_block_merge_config_selectorIN3c108BFloat16ElEEZZNS1_27merge_sort_block_merge_implIS3_PS6_N6thrust23THRUST_200600_302600_NS10device_ptrIlEEmNSB_4lessIS6_EEEE10hipError_tT0_T1_T2_jT3_P12ihipStream_tbPNSt15iterator_traitsISH_E10value_typeEPNSN_ISI_E10value_typeEPSJ_NS1_7vsmem_tEENKUlT_SH_SI_SJ_E_clIS9_S9_PlSD_EESG_SW_SH_SI_SJ_EUlSW_E0_NS1_11comp_targetILNS1_3genE5ELNS1_11target_archE942ELNS1_3gpuE9ELNS1_3repE0EEENS1_38merge_mergepath_config_static_selectorELNS0_4arch9wavefront6targetE1EEEvSI_
    .private_segment_fixed_size: 0
    .sgpr_count:     4
    .sgpr_spill_count: 0
    .symbol:         _ZN7rocprim17ROCPRIM_400000_NS6detail17trampoline_kernelINS0_14default_configENS1_38merge_sort_block_merge_config_selectorIN3c108BFloat16ElEEZZNS1_27merge_sort_block_merge_implIS3_PS6_N6thrust23THRUST_200600_302600_NS10device_ptrIlEEmNSB_4lessIS6_EEEE10hipError_tT0_T1_T2_jT3_P12ihipStream_tbPNSt15iterator_traitsISH_E10value_typeEPNSN_ISI_E10value_typeEPSJ_NS1_7vsmem_tEENKUlT_SH_SI_SJ_E_clIS9_S9_PlSD_EESG_SW_SH_SI_SJ_EUlSW_E0_NS1_11comp_targetILNS1_3genE5ELNS1_11target_archE942ELNS1_3gpuE9ELNS1_3repE0EEENS1_38merge_mergepath_config_static_selectorELNS0_4arch9wavefront6targetE1EEEvSI_.kd
    .uniform_work_group_size: 1
    .uses_dynamic_stack: false
    .vgpr_count:     0
    .vgpr_spill_count: 0
    .wavefront_size: 64
  - .args:
      - .offset:         0
        .size:           72
        .value_kind:     by_value
    .group_segment_fixed_size: 0
    .kernarg_segment_align: 8
    .kernarg_segment_size: 72
    .language:       OpenCL C
    .language_version:
      - 2
      - 0
    .max_flat_workgroup_size: 256
    .name:           _ZN7rocprim17ROCPRIM_400000_NS6detail17trampoline_kernelINS0_14default_configENS1_38merge_sort_block_merge_config_selectorIN3c108BFloat16ElEEZZNS1_27merge_sort_block_merge_implIS3_PS6_N6thrust23THRUST_200600_302600_NS10device_ptrIlEEmNSB_4lessIS6_EEEE10hipError_tT0_T1_T2_jT3_P12ihipStream_tbPNSt15iterator_traitsISH_E10value_typeEPNSN_ISI_E10value_typeEPSJ_NS1_7vsmem_tEENKUlT_SH_SI_SJ_E_clIS9_S9_PlSD_EESG_SW_SH_SI_SJ_EUlSW_E0_NS1_11comp_targetILNS1_3genE4ELNS1_11target_archE910ELNS1_3gpuE8ELNS1_3repE0EEENS1_38merge_mergepath_config_static_selectorELNS0_4arch9wavefront6targetE1EEEvSI_
    .private_segment_fixed_size: 0
    .sgpr_count:     4
    .sgpr_spill_count: 0
    .symbol:         _ZN7rocprim17ROCPRIM_400000_NS6detail17trampoline_kernelINS0_14default_configENS1_38merge_sort_block_merge_config_selectorIN3c108BFloat16ElEEZZNS1_27merge_sort_block_merge_implIS3_PS6_N6thrust23THRUST_200600_302600_NS10device_ptrIlEEmNSB_4lessIS6_EEEE10hipError_tT0_T1_T2_jT3_P12ihipStream_tbPNSt15iterator_traitsISH_E10value_typeEPNSN_ISI_E10value_typeEPSJ_NS1_7vsmem_tEENKUlT_SH_SI_SJ_E_clIS9_S9_PlSD_EESG_SW_SH_SI_SJ_EUlSW_E0_NS1_11comp_targetILNS1_3genE4ELNS1_11target_archE910ELNS1_3gpuE8ELNS1_3repE0EEENS1_38merge_mergepath_config_static_selectorELNS0_4arch9wavefront6targetE1EEEvSI_.kd
    .uniform_work_group_size: 1
    .uses_dynamic_stack: false
    .vgpr_count:     0
    .vgpr_spill_count: 0
    .wavefront_size: 64
  - .args:
      - .offset:         0
        .size:           72
        .value_kind:     by_value
    .group_segment_fixed_size: 0
    .kernarg_segment_align: 8
    .kernarg_segment_size: 72
    .language:       OpenCL C
    .language_version:
      - 2
      - 0
    .max_flat_workgroup_size: 256
    .name:           _ZN7rocprim17ROCPRIM_400000_NS6detail17trampoline_kernelINS0_14default_configENS1_38merge_sort_block_merge_config_selectorIN3c108BFloat16ElEEZZNS1_27merge_sort_block_merge_implIS3_PS6_N6thrust23THRUST_200600_302600_NS10device_ptrIlEEmNSB_4lessIS6_EEEE10hipError_tT0_T1_T2_jT3_P12ihipStream_tbPNSt15iterator_traitsISH_E10value_typeEPNSN_ISI_E10value_typeEPSJ_NS1_7vsmem_tEENKUlT_SH_SI_SJ_E_clIS9_S9_PlSD_EESG_SW_SH_SI_SJ_EUlSW_E0_NS1_11comp_targetILNS1_3genE3ELNS1_11target_archE908ELNS1_3gpuE7ELNS1_3repE0EEENS1_38merge_mergepath_config_static_selectorELNS0_4arch9wavefront6targetE1EEEvSI_
    .private_segment_fixed_size: 0
    .sgpr_count:     4
    .sgpr_spill_count: 0
    .symbol:         _ZN7rocprim17ROCPRIM_400000_NS6detail17trampoline_kernelINS0_14default_configENS1_38merge_sort_block_merge_config_selectorIN3c108BFloat16ElEEZZNS1_27merge_sort_block_merge_implIS3_PS6_N6thrust23THRUST_200600_302600_NS10device_ptrIlEEmNSB_4lessIS6_EEEE10hipError_tT0_T1_T2_jT3_P12ihipStream_tbPNSt15iterator_traitsISH_E10value_typeEPNSN_ISI_E10value_typeEPSJ_NS1_7vsmem_tEENKUlT_SH_SI_SJ_E_clIS9_S9_PlSD_EESG_SW_SH_SI_SJ_EUlSW_E0_NS1_11comp_targetILNS1_3genE3ELNS1_11target_archE908ELNS1_3gpuE7ELNS1_3repE0EEENS1_38merge_mergepath_config_static_selectorELNS0_4arch9wavefront6targetE1EEEvSI_.kd
    .uniform_work_group_size: 1
    .uses_dynamic_stack: false
    .vgpr_count:     0
    .vgpr_spill_count: 0
    .wavefront_size: 64
  - .args:
      - .offset:         0
        .size:           72
        .value_kind:     by_value
      - .offset:         72
        .size:           4
        .value_kind:     hidden_block_count_x
      - .offset:         76
        .size:           4
        .value_kind:     hidden_block_count_y
      - .offset:         80
        .size:           4
        .value_kind:     hidden_block_count_z
      - .offset:         84
        .size:           2
        .value_kind:     hidden_group_size_x
      - .offset:         86
        .size:           2
        .value_kind:     hidden_group_size_y
      - .offset:         88
        .size:           2
        .value_kind:     hidden_group_size_z
      - .offset:         90
        .size:           2
        .value_kind:     hidden_remainder_x
      - .offset:         92
        .size:           2
        .value_kind:     hidden_remainder_y
      - .offset:         94
        .size:           2
        .value_kind:     hidden_remainder_z
      - .offset:         112
        .size:           8
        .value_kind:     hidden_global_offset_x
      - .offset:         120
        .size:           8
        .value_kind:     hidden_global_offset_y
      - .offset:         128
        .size:           8
        .value_kind:     hidden_global_offset_z
      - .offset:         136
        .size:           2
        .value_kind:     hidden_grid_dims
    .group_segment_fixed_size: 8448
    .kernarg_segment_align: 8
    .kernarg_segment_size: 328
    .language:       OpenCL C
    .language_version:
      - 2
      - 0
    .max_flat_workgroup_size: 256
    .name:           _ZN7rocprim17ROCPRIM_400000_NS6detail17trampoline_kernelINS0_14default_configENS1_38merge_sort_block_merge_config_selectorIN3c108BFloat16ElEEZZNS1_27merge_sort_block_merge_implIS3_PS6_N6thrust23THRUST_200600_302600_NS10device_ptrIlEEmNSB_4lessIS6_EEEE10hipError_tT0_T1_T2_jT3_P12ihipStream_tbPNSt15iterator_traitsISH_E10value_typeEPNSN_ISI_E10value_typeEPSJ_NS1_7vsmem_tEENKUlT_SH_SI_SJ_E_clIS9_S9_PlSD_EESG_SW_SH_SI_SJ_EUlSW_E0_NS1_11comp_targetILNS1_3genE2ELNS1_11target_archE906ELNS1_3gpuE6ELNS1_3repE0EEENS1_38merge_mergepath_config_static_selectorELNS0_4arch9wavefront6targetE1EEEvSI_
    .private_segment_fixed_size: 0
    .sgpr_count:     41
    .sgpr_spill_count: 0
    .symbol:         _ZN7rocprim17ROCPRIM_400000_NS6detail17trampoline_kernelINS0_14default_configENS1_38merge_sort_block_merge_config_selectorIN3c108BFloat16ElEEZZNS1_27merge_sort_block_merge_implIS3_PS6_N6thrust23THRUST_200600_302600_NS10device_ptrIlEEmNSB_4lessIS6_EEEE10hipError_tT0_T1_T2_jT3_P12ihipStream_tbPNSt15iterator_traitsISH_E10value_typeEPNSN_ISI_E10value_typeEPSJ_NS1_7vsmem_tEENKUlT_SH_SI_SJ_E_clIS9_S9_PlSD_EESG_SW_SH_SI_SJ_EUlSW_E0_NS1_11comp_targetILNS1_3genE2ELNS1_11target_archE906ELNS1_3gpuE6ELNS1_3repE0EEENS1_38merge_mergepath_config_static_selectorELNS0_4arch9wavefront6targetE1EEEvSI_.kd
    .uniform_work_group_size: 1
    .uses_dynamic_stack: false
    .vgpr_count:     35
    .vgpr_spill_count: 0
    .wavefront_size: 64
  - .args:
      - .offset:         0
        .size:           72
        .value_kind:     by_value
    .group_segment_fixed_size: 0
    .kernarg_segment_align: 8
    .kernarg_segment_size: 72
    .language:       OpenCL C
    .language_version:
      - 2
      - 0
    .max_flat_workgroup_size: 256
    .name:           _ZN7rocprim17ROCPRIM_400000_NS6detail17trampoline_kernelINS0_14default_configENS1_38merge_sort_block_merge_config_selectorIN3c108BFloat16ElEEZZNS1_27merge_sort_block_merge_implIS3_PS6_N6thrust23THRUST_200600_302600_NS10device_ptrIlEEmNSB_4lessIS6_EEEE10hipError_tT0_T1_T2_jT3_P12ihipStream_tbPNSt15iterator_traitsISH_E10value_typeEPNSN_ISI_E10value_typeEPSJ_NS1_7vsmem_tEENKUlT_SH_SI_SJ_E_clIS9_S9_PlSD_EESG_SW_SH_SI_SJ_EUlSW_E0_NS1_11comp_targetILNS1_3genE9ELNS1_11target_archE1100ELNS1_3gpuE3ELNS1_3repE0EEENS1_38merge_mergepath_config_static_selectorELNS0_4arch9wavefront6targetE1EEEvSI_
    .private_segment_fixed_size: 0
    .sgpr_count:     4
    .sgpr_spill_count: 0
    .symbol:         _ZN7rocprim17ROCPRIM_400000_NS6detail17trampoline_kernelINS0_14default_configENS1_38merge_sort_block_merge_config_selectorIN3c108BFloat16ElEEZZNS1_27merge_sort_block_merge_implIS3_PS6_N6thrust23THRUST_200600_302600_NS10device_ptrIlEEmNSB_4lessIS6_EEEE10hipError_tT0_T1_T2_jT3_P12ihipStream_tbPNSt15iterator_traitsISH_E10value_typeEPNSN_ISI_E10value_typeEPSJ_NS1_7vsmem_tEENKUlT_SH_SI_SJ_E_clIS9_S9_PlSD_EESG_SW_SH_SI_SJ_EUlSW_E0_NS1_11comp_targetILNS1_3genE9ELNS1_11target_archE1100ELNS1_3gpuE3ELNS1_3repE0EEENS1_38merge_mergepath_config_static_selectorELNS0_4arch9wavefront6targetE1EEEvSI_.kd
    .uniform_work_group_size: 1
    .uses_dynamic_stack: false
    .vgpr_count:     0
    .vgpr_spill_count: 0
    .wavefront_size: 64
  - .args:
      - .offset:         0
        .size:           72
        .value_kind:     by_value
    .group_segment_fixed_size: 0
    .kernarg_segment_align: 8
    .kernarg_segment_size: 72
    .language:       OpenCL C
    .language_version:
      - 2
      - 0
    .max_flat_workgroup_size: 512
    .name:           _ZN7rocprim17ROCPRIM_400000_NS6detail17trampoline_kernelINS0_14default_configENS1_38merge_sort_block_merge_config_selectorIN3c108BFloat16ElEEZZNS1_27merge_sort_block_merge_implIS3_PS6_N6thrust23THRUST_200600_302600_NS10device_ptrIlEEmNSB_4lessIS6_EEEE10hipError_tT0_T1_T2_jT3_P12ihipStream_tbPNSt15iterator_traitsISH_E10value_typeEPNSN_ISI_E10value_typeEPSJ_NS1_7vsmem_tEENKUlT_SH_SI_SJ_E_clIS9_S9_PlSD_EESG_SW_SH_SI_SJ_EUlSW_E0_NS1_11comp_targetILNS1_3genE8ELNS1_11target_archE1030ELNS1_3gpuE2ELNS1_3repE0EEENS1_38merge_mergepath_config_static_selectorELNS0_4arch9wavefront6targetE1EEEvSI_
    .private_segment_fixed_size: 0
    .sgpr_count:     4
    .sgpr_spill_count: 0
    .symbol:         _ZN7rocprim17ROCPRIM_400000_NS6detail17trampoline_kernelINS0_14default_configENS1_38merge_sort_block_merge_config_selectorIN3c108BFloat16ElEEZZNS1_27merge_sort_block_merge_implIS3_PS6_N6thrust23THRUST_200600_302600_NS10device_ptrIlEEmNSB_4lessIS6_EEEE10hipError_tT0_T1_T2_jT3_P12ihipStream_tbPNSt15iterator_traitsISH_E10value_typeEPNSN_ISI_E10value_typeEPSJ_NS1_7vsmem_tEENKUlT_SH_SI_SJ_E_clIS9_S9_PlSD_EESG_SW_SH_SI_SJ_EUlSW_E0_NS1_11comp_targetILNS1_3genE8ELNS1_11target_archE1030ELNS1_3gpuE2ELNS1_3repE0EEENS1_38merge_mergepath_config_static_selectorELNS0_4arch9wavefront6targetE1EEEvSI_.kd
    .uniform_work_group_size: 1
    .uses_dynamic_stack: false
    .vgpr_count:     0
    .vgpr_spill_count: 0
    .wavefront_size: 64
  - .args:
      - .offset:         0
        .size:           56
        .value_kind:     by_value
    .group_segment_fixed_size: 0
    .kernarg_segment_align: 8
    .kernarg_segment_size: 56
    .language:       OpenCL C
    .language_version:
      - 2
      - 0
    .max_flat_workgroup_size: 256
    .name:           _ZN7rocprim17ROCPRIM_400000_NS6detail17trampoline_kernelINS0_14default_configENS1_38merge_sort_block_merge_config_selectorIN3c108BFloat16ElEEZZNS1_27merge_sort_block_merge_implIS3_PS6_N6thrust23THRUST_200600_302600_NS10device_ptrIlEEmNSB_4lessIS6_EEEE10hipError_tT0_T1_T2_jT3_P12ihipStream_tbPNSt15iterator_traitsISH_E10value_typeEPNSN_ISI_E10value_typeEPSJ_NS1_7vsmem_tEENKUlT_SH_SI_SJ_E_clIS9_S9_PlSD_EESG_SW_SH_SI_SJ_EUlSW_E1_NS1_11comp_targetILNS1_3genE0ELNS1_11target_archE4294967295ELNS1_3gpuE0ELNS1_3repE0EEENS1_36merge_oddeven_config_static_selectorELNS0_4arch9wavefront6targetE1EEEvSI_
    .private_segment_fixed_size: 0
    .sgpr_count:     4
    .sgpr_spill_count: 0
    .symbol:         _ZN7rocprim17ROCPRIM_400000_NS6detail17trampoline_kernelINS0_14default_configENS1_38merge_sort_block_merge_config_selectorIN3c108BFloat16ElEEZZNS1_27merge_sort_block_merge_implIS3_PS6_N6thrust23THRUST_200600_302600_NS10device_ptrIlEEmNSB_4lessIS6_EEEE10hipError_tT0_T1_T2_jT3_P12ihipStream_tbPNSt15iterator_traitsISH_E10value_typeEPNSN_ISI_E10value_typeEPSJ_NS1_7vsmem_tEENKUlT_SH_SI_SJ_E_clIS9_S9_PlSD_EESG_SW_SH_SI_SJ_EUlSW_E1_NS1_11comp_targetILNS1_3genE0ELNS1_11target_archE4294967295ELNS1_3gpuE0ELNS1_3repE0EEENS1_36merge_oddeven_config_static_selectorELNS0_4arch9wavefront6targetE1EEEvSI_.kd
    .uniform_work_group_size: 1
    .uses_dynamic_stack: false
    .vgpr_count:     0
    .vgpr_spill_count: 0
    .wavefront_size: 64
  - .args:
      - .offset:         0
        .size:           56
        .value_kind:     by_value
    .group_segment_fixed_size: 0
    .kernarg_segment_align: 8
    .kernarg_segment_size: 56
    .language:       OpenCL C
    .language_version:
      - 2
      - 0
    .max_flat_workgroup_size: 256
    .name:           _ZN7rocprim17ROCPRIM_400000_NS6detail17trampoline_kernelINS0_14default_configENS1_38merge_sort_block_merge_config_selectorIN3c108BFloat16ElEEZZNS1_27merge_sort_block_merge_implIS3_PS6_N6thrust23THRUST_200600_302600_NS10device_ptrIlEEmNSB_4lessIS6_EEEE10hipError_tT0_T1_T2_jT3_P12ihipStream_tbPNSt15iterator_traitsISH_E10value_typeEPNSN_ISI_E10value_typeEPSJ_NS1_7vsmem_tEENKUlT_SH_SI_SJ_E_clIS9_S9_PlSD_EESG_SW_SH_SI_SJ_EUlSW_E1_NS1_11comp_targetILNS1_3genE10ELNS1_11target_archE1201ELNS1_3gpuE5ELNS1_3repE0EEENS1_36merge_oddeven_config_static_selectorELNS0_4arch9wavefront6targetE1EEEvSI_
    .private_segment_fixed_size: 0
    .sgpr_count:     4
    .sgpr_spill_count: 0
    .symbol:         _ZN7rocprim17ROCPRIM_400000_NS6detail17trampoline_kernelINS0_14default_configENS1_38merge_sort_block_merge_config_selectorIN3c108BFloat16ElEEZZNS1_27merge_sort_block_merge_implIS3_PS6_N6thrust23THRUST_200600_302600_NS10device_ptrIlEEmNSB_4lessIS6_EEEE10hipError_tT0_T1_T2_jT3_P12ihipStream_tbPNSt15iterator_traitsISH_E10value_typeEPNSN_ISI_E10value_typeEPSJ_NS1_7vsmem_tEENKUlT_SH_SI_SJ_E_clIS9_S9_PlSD_EESG_SW_SH_SI_SJ_EUlSW_E1_NS1_11comp_targetILNS1_3genE10ELNS1_11target_archE1201ELNS1_3gpuE5ELNS1_3repE0EEENS1_36merge_oddeven_config_static_selectorELNS0_4arch9wavefront6targetE1EEEvSI_.kd
    .uniform_work_group_size: 1
    .uses_dynamic_stack: false
    .vgpr_count:     0
    .vgpr_spill_count: 0
    .wavefront_size: 64
  - .args:
      - .offset:         0
        .size:           56
        .value_kind:     by_value
    .group_segment_fixed_size: 0
    .kernarg_segment_align: 8
    .kernarg_segment_size: 56
    .language:       OpenCL C
    .language_version:
      - 2
      - 0
    .max_flat_workgroup_size: 256
    .name:           _ZN7rocprim17ROCPRIM_400000_NS6detail17trampoline_kernelINS0_14default_configENS1_38merge_sort_block_merge_config_selectorIN3c108BFloat16ElEEZZNS1_27merge_sort_block_merge_implIS3_PS6_N6thrust23THRUST_200600_302600_NS10device_ptrIlEEmNSB_4lessIS6_EEEE10hipError_tT0_T1_T2_jT3_P12ihipStream_tbPNSt15iterator_traitsISH_E10value_typeEPNSN_ISI_E10value_typeEPSJ_NS1_7vsmem_tEENKUlT_SH_SI_SJ_E_clIS9_S9_PlSD_EESG_SW_SH_SI_SJ_EUlSW_E1_NS1_11comp_targetILNS1_3genE5ELNS1_11target_archE942ELNS1_3gpuE9ELNS1_3repE0EEENS1_36merge_oddeven_config_static_selectorELNS0_4arch9wavefront6targetE1EEEvSI_
    .private_segment_fixed_size: 0
    .sgpr_count:     4
    .sgpr_spill_count: 0
    .symbol:         _ZN7rocprim17ROCPRIM_400000_NS6detail17trampoline_kernelINS0_14default_configENS1_38merge_sort_block_merge_config_selectorIN3c108BFloat16ElEEZZNS1_27merge_sort_block_merge_implIS3_PS6_N6thrust23THRUST_200600_302600_NS10device_ptrIlEEmNSB_4lessIS6_EEEE10hipError_tT0_T1_T2_jT3_P12ihipStream_tbPNSt15iterator_traitsISH_E10value_typeEPNSN_ISI_E10value_typeEPSJ_NS1_7vsmem_tEENKUlT_SH_SI_SJ_E_clIS9_S9_PlSD_EESG_SW_SH_SI_SJ_EUlSW_E1_NS1_11comp_targetILNS1_3genE5ELNS1_11target_archE942ELNS1_3gpuE9ELNS1_3repE0EEENS1_36merge_oddeven_config_static_selectorELNS0_4arch9wavefront6targetE1EEEvSI_.kd
    .uniform_work_group_size: 1
    .uses_dynamic_stack: false
    .vgpr_count:     0
    .vgpr_spill_count: 0
    .wavefront_size: 64
  - .args:
      - .offset:         0
        .size:           56
        .value_kind:     by_value
    .group_segment_fixed_size: 0
    .kernarg_segment_align: 8
    .kernarg_segment_size: 56
    .language:       OpenCL C
    .language_version:
      - 2
      - 0
    .max_flat_workgroup_size: 256
    .name:           _ZN7rocprim17ROCPRIM_400000_NS6detail17trampoline_kernelINS0_14default_configENS1_38merge_sort_block_merge_config_selectorIN3c108BFloat16ElEEZZNS1_27merge_sort_block_merge_implIS3_PS6_N6thrust23THRUST_200600_302600_NS10device_ptrIlEEmNSB_4lessIS6_EEEE10hipError_tT0_T1_T2_jT3_P12ihipStream_tbPNSt15iterator_traitsISH_E10value_typeEPNSN_ISI_E10value_typeEPSJ_NS1_7vsmem_tEENKUlT_SH_SI_SJ_E_clIS9_S9_PlSD_EESG_SW_SH_SI_SJ_EUlSW_E1_NS1_11comp_targetILNS1_3genE4ELNS1_11target_archE910ELNS1_3gpuE8ELNS1_3repE0EEENS1_36merge_oddeven_config_static_selectorELNS0_4arch9wavefront6targetE1EEEvSI_
    .private_segment_fixed_size: 0
    .sgpr_count:     4
    .sgpr_spill_count: 0
    .symbol:         _ZN7rocprim17ROCPRIM_400000_NS6detail17trampoline_kernelINS0_14default_configENS1_38merge_sort_block_merge_config_selectorIN3c108BFloat16ElEEZZNS1_27merge_sort_block_merge_implIS3_PS6_N6thrust23THRUST_200600_302600_NS10device_ptrIlEEmNSB_4lessIS6_EEEE10hipError_tT0_T1_T2_jT3_P12ihipStream_tbPNSt15iterator_traitsISH_E10value_typeEPNSN_ISI_E10value_typeEPSJ_NS1_7vsmem_tEENKUlT_SH_SI_SJ_E_clIS9_S9_PlSD_EESG_SW_SH_SI_SJ_EUlSW_E1_NS1_11comp_targetILNS1_3genE4ELNS1_11target_archE910ELNS1_3gpuE8ELNS1_3repE0EEENS1_36merge_oddeven_config_static_selectorELNS0_4arch9wavefront6targetE1EEEvSI_.kd
    .uniform_work_group_size: 1
    .uses_dynamic_stack: false
    .vgpr_count:     0
    .vgpr_spill_count: 0
    .wavefront_size: 64
  - .args:
      - .offset:         0
        .size:           56
        .value_kind:     by_value
    .group_segment_fixed_size: 0
    .kernarg_segment_align: 8
    .kernarg_segment_size: 56
    .language:       OpenCL C
    .language_version:
      - 2
      - 0
    .max_flat_workgroup_size: 256
    .name:           _ZN7rocprim17ROCPRIM_400000_NS6detail17trampoline_kernelINS0_14default_configENS1_38merge_sort_block_merge_config_selectorIN3c108BFloat16ElEEZZNS1_27merge_sort_block_merge_implIS3_PS6_N6thrust23THRUST_200600_302600_NS10device_ptrIlEEmNSB_4lessIS6_EEEE10hipError_tT0_T1_T2_jT3_P12ihipStream_tbPNSt15iterator_traitsISH_E10value_typeEPNSN_ISI_E10value_typeEPSJ_NS1_7vsmem_tEENKUlT_SH_SI_SJ_E_clIS9_S9_PlSD_EESG_SW_SH_SI_SJ_EUlSW_E1_NS1_11comp_targetILNS1_3genE3ELNS1_11target_archE908ELNS1_3gpuE7ELNS1_3repE0EEENS1_36merge_oddeven_config_static_selectorELNS0_4arch9wavefront6targetE1EEEvSI_
    .private_segment_fixed_size: 0
    .sgpr_count:     4
    .sgpr_spill_count: 0
    .symbol:         _ZN7rocprim17ROCPRIM_400000_NS6detail17trampoline_kernelINS0_14default_configENS1_38merge_sort_block_merge_config_selectorIN3c108BFloat16ElEEZZNS1_27merge_sort_block_merge_implIS3_PS6_N6thrust23THRUST_200600_302600_NS10device_ptrIlEEmNSB_4lessIS6_EEEE10hipError_tT0_T1_T2_jT3_P12ihipStream_tbPNSt15iterator_traitsISH_E10value_typeEPNSN_ISI_E10value_typeEPSJ_NS1_7vsmem_tEENKUlT_SH_SI_SJ_E_clIS9_S9_PlSD_EESG_SW_SH_SI_SJ_EUlSW_E1_NS1_11comp_targetILNS1_3genE3ELNS1_11target_archE908ELNS1_3gpuE7ELNS1_3repE0EEENS1_36merge_oddeven_config_static_selectorELNS0_4arch9wavefront6targetE1EEEvSI_.kd
    .uniform_work_group_size: 1
    .uses_dynamic_stack: false
    .vgpr_count:     0
    .vgpr_spill_count: 0
    .wavefront_size: 64
  - .args:
      - .offset:         0
        .size:           56
        .value_kind:     by_value
    .group_segment_fixed_size: 0
    .kernarg_segment_align: 8
    .kernarg_segment_size: 56
    .language:       OpenCL C
    .language_version:
      - 2
      - 0
    .max_flat_workgroup_size: 256
    .name:           _ZN7rocprim17ROCPRIM_400000_NS6detail17trampoline_kernelINS0_14default_configENS1_38merge_sort_block_merge_config_selectorIN3c108BFloat16ElEEZZNS1_27merge_sort_block_merge_implIS3_PS6_N6thrust23THRUST_200600_302600_NS10device_ptrIlEEmNSB_4lessIS6_EEEE10hipError_tT0_T1_T2_jT3_P12ihipStream_tbPNSt15iterator_traitsISH_E10value_typeEPNSN_ISI_E10value_typeEPSJ_NS1_7vsmem_tEENKUlT_SH_SI_SJ_E_clIS9_S9_PlSD_EESG_SW_SH_SI_SJ_EUlSW_E1_NS1_11comp_targetILNS1_3genE2ELNS1_11target_archE906ELNS1_3gpuE6ELNS1_3repE0EEENS1_36merge_oddeven_config_static_selectorELNS0_4arch9wavefront6targetE1EEEvSI_
    .private_segment_fixed_size: 0
    .sgpr_count:     28
    .sgpr_spill_count: 0
    .symbol:         _ZN7rocprim17ROCPRIM_400000_NS6detail17trampoline_kernelINS0_14default_configENS1_38merge_sort_block_merge_config_selectorIN3c108BFloat16ElEEZZNS1_27merge_sort_block_merge_implIS3_PS6_N6thrust23THRUST_200600_302600_NS10device_ptrIlEEmNSB_4lessIS6_EEEE10hipError_tT0_T1_T2_jT3_P12ihipStream_tbPNSt15iterator_traitsISH_E10value_typeEPNSN_ISI_E10value_typeEPSJ_NS1_7vsmem_tEENKUlT_SH_SI_SJ_E_clIS9_S9_PlSD_EESG_SW_SH_SI_SJ_EUlSW_E1_NS1_11comp_targetILNS1_3genE2ELNS1_11target_archE906ELNS1_3gpuE6ELNS1_3repE0EEENS1_36merge_oddeven_config_static_selectorELNS0_4arch9wavefront6targetE1EEEvSI_.kd
    .uniform_work_group_size: 1
    .uses_dynamic_stack: false
    .vgpr_count:     11
    .vgpr_spill_count: 0
    .wavefront_size: 64
  - .args:
      - .offset:         0
        .size:           56
        .value_kind:     by_value
    .group_segment_fixed_size: 0
    .kernarg_segment_align: 8
    .kernarg_segment_size: 56
    .language:       OpenCL C
    .language_version:
      - 2
      - 0
    .max_flat_workgroup_size: 256
    .name:           _ZN7rocprim17ROCPRIM_400000_NS6detail17trampoline_kernelINS0_14default_configENS1_38merge_sort_block_merge_config_selectorIN3c108BFloat16ElEEZZNS1_27merge_sort_block_merge_implIS3_PS6_N6thrust23THRUST_200600_302600_NS10device_ptrIlEEmNSB_4lessIS6_EEEE10hipError_tT0_T1_T2_jT3_P12ihipStream_tbPNSt15iterator_traitsISH_E10value_typeEPNSN_ISI_E10value_typeEPSJ_NS1_7vsmem_tEENKUlT_SH_SI_SJ_E_clIS9_S9_PlSD_EESG_SW_SH_SI_SJ_EUlSW_E1_NS1_11comp_targetILNS1_3genE9ELNS1_11target_archE1100ELNS1_3gpuE3ELNS1_3repE0EEENS1_36merge_oddeven_config_static_selectorELNS0_4arch9wavefront6targetE1EEEvSI_
    .private_segment_fixed_size: 0
    .sgpr_count:     4
    .sgpr_spill_count: 0
    .symbol:         _ZN7rocprim17ROCPRIM_400000_NS6detail17trampoline_kernelINS0_14default_configENS1_38merge_sort_block_merge_config_selectorIN3c108BFloat16ElEEZZNS1_27merge_sort_block_merge_implIS3_PS6_N6thrust23THRUST_200600_302600_NS10device_ptrIlEEmNSB_4lessIS6_EEEE10hipError_tT0_T1_T2_jT3_P12ihipStream_tbPNSt15iterator_traitsISH_E10value_typeEPNSN_ISI_E10value_typeEPSJ_NS1_7vsmem_tEENKUlT_SH_SI_SJ_E_clIS9_S9_PlSD_EESG_SW_SH_SI_SJ_EUlSW_E1_NS1_11comp_targetILNS1_3genE9ELNS1_11target_archE1100ELNS1_3gpuE3ELNS1_3repE0EEENS1_36merge_oddeven_config_static_selectorELNS0_4arch9wavefront6targetE1EEEvSI_.kd
    .uniform_work_group_size: 1
    .uses_dynamic_stack: false
    .vgpr_count:     0
    .vgpr_spill_count: 0
    .wavefront_size: 64
  - .args:
      - .offset:         0
        .size:           56
        .value_kind:     by_value
    .group_segment_fixed_size: 0
    .kernarg_segment_align: 8
    .kernarg_segment_size: 56
    .language:       OpenCL C
    .language_version:
      - 2
      - 0
    .max_flat_workgroup_size: 256
    .name:           _ZN7rocprim17ROCPRIM_400000_NS6detail17trampoline_kernelINS0_14default_configENS1_38merge_sort_block_merge_config_selectorIN3c108BFloat16ElEEZZNS1_27merge_sort_block_merge_implIS3_PS6_N6thrust23THRUST_200600_302600_NS10device_ptrIlEEmNSB_4lessIS6_EEEE10hipError_tT0_T1_T2_jT3_P12ihipStream_tbPNSt15iterator_traitsISH_E10value_typeEPNSN_ISI_E10value_typeEPSJ_NS1_7vsmem_tEENKUlT_SH_SI_SJ_E_clIS9_S9_PlSD_EESG_SW_SH_SI_SJ_EUlSW_E1_NS1_11comp_targetILNS1_3genE8ELNS1_11target_archE1030ELNS1_3gpuE2ELNS1_3repE0EEENS1_36merge_oddeven_config_static_selectorELNS0_4arch9wavefront6targetE1EEEvSI_
    .private_segment_fixed_size: 0
    .sgpr_count:     4
    .sgpr_spill_count: 0
    .symbol:         _ZN7rocprim17ROCPRIM_400000_NS6detail17trampoline_kernelINS0_14default_configENS1_38merge_sort_block_merge_config_selectorIN3c108BFloat16ElEEZZNS1_27merge_sort_block_merge_implIS3_PS6_N6thrust23THRUST_200600_302600_NS10device_ptrIlEEmNSB_4lessIS6_EEEE10hipError_tT0_T1_T2_jT3_P12ihipStream_tbPNSt15iterator_traitsISH_E10value_typeEPNSN_ISI_E10value_typeEPSJ_NS1_7vsmem_tEENKUlT_SH_SI_SJ_E_clIS9_S9_PlSD_EESG_SW_SH_SI_SJ_EUlSW_E1_NS1_11comp_targetILNS1_3genE8ELNS1_11target_archE1030ELNS1_3gpuE2ELNS1_3repE0EEENS1_36merge_oddeven_config_static_selectorELNS0_4arch9wavefront6targetE1EEEvSI_.kd
    .uniform_work_group_size: 1
    .uses_dynamic_stack: false
    .vgpr_count:     0
    .vgpr_spill_count: 0
    .wavefront_size: 64
  - .args:
      - .offset:         0
        .size:           48
        .value_kind:     by_value
    .group_segment_fixed_size: 0
    .kernarg_segment_align: 8
    .kernarg_segment_size: 48
    .language:       OpenCL C
    .language_version:
      - 2
      - 0
    .max_flat_workgroup_size: 128
    .name:           _ZN7rocprim17ROCPRIM_400000_NS6detail17trampoline_kernelINS0_14default_configENS1_38merge_sort_block_merge_config_selectorIN3c108BFloat16ElEEZZNS1_27merge_sort_block_merge_implIS3_PS6_N6thrust23THRUST_200600_302600_NS10device_ptrIlEEmNSB_4lessIS6_EEEE10hipError_tT0_T1_T2_jT3_P12ihipStream_tbPNSt15iterator_traitsISH_E10value_typeEPNSN_ISI_E10value_typeEPSJ_NS1_7vsmem_tEENKUlT_SH_SI_SJ_E_clIS9_S9_SD_PlEESG_SW_SH_SI_SJ_EUlSW_E_NS1_11comp_targetILNS1_3genE0ELNS1_11target_archE4294967295ELNS1_3gpuE0ELNS1_3repE0EEENS1_48merge_mergepath_partition_config_static_selectorELNS0_4arch9wavefront6targetE1EEEvSI_
    .private_segment_fixed_size: 0
    .sgpr_count:     4
    .sgpr_spill_count: 0
    .symbol:         _ZN7rocprim17ROCPRIM_400000_NS6detail17trampoline_kernelINS0_14default_configENS1_38merge_sort_block_merge_config_selectorIN3c108BFloat16ElEEZZNS1_27merge_sort_block_merge_implIS3_PS6_N6thrust23THRUST_200600_302600_NS10device_ptrIlEEmNSB_4lessIS6_EEEE10hipError_tT0_T1_T2_jT3_P12ihipStream_tbPNSt15iterator_traitsISH_E10value_typeEPNSN_ISI_E10value_typeEPSJ_NS1_7vsmem_tEENKUlT_SH_SI_SJ_E_clIS9_S9_SD_PlEESG_SW_SH_SI_SJ_EUlSW_E_NS1_11comp_targetILNS1_3genE0ELNS1_11target_archE4294967295ELNS1_3gpuE0ELNS1_3repE0EEENS1_48merge_mergepath_partition_config_static_selectorELNS0_4arch9wavefront6targetE1EEEvSI_.kd
    .uniform_work_group_size: 1
    .uses_dynamic_stack: false
    .vgpr_count:     0
    .vgpr_spill_count: 0
    .wavefront_size: 64
  - .args:
      - .offset:         0
        .size:           48
        .value_kind:     by_value
    .group_segment_fixed_size: 0
    .kernarg_segment_align: 8
    .kernarg_segment_size: 48
    .language:       OpenCL C
    .language_version:
      - 2
      - 0
    .max_flat_workgroup_size: 128
    .name:           _ZN7rocprim17ROCPRIM_400000_NS6detail17trampoline_kernelINS0_14default_configENS1_38merge_sort_block_merge_config_selectorIN3c108BFloat16ElEEZZNS1_27merge_sort_block_merge_implIS3_PS6_N6thrust23THRUST_200600_302600_NS10device_ptrIlEEmNSB_4lessIS6_EEEE10hipError_tT0_T1_T2_jT3_P12ihipStream_tbPNSt15iterator_traitsISH_E10value_typeEPNSN_ISI_E10value_typeEPSJ_NS1_7vsmem_tEENKUlT_SH_SI_SJ_E_clIS9_S9_SD_PlEESG_SW_SH_SI_SJ_EUlSW_E_NS1_11comp_targetILNS1_3genE10ELNS1_11target_archE1201ELNS1_3gpuE5ELNS1_3repE0EEENS1_48merge_mergepath_partition_config_static_selectorELNS0_4arch9wavefront6targetE1EEEvSI_
    .private_segment_fixed_size: 0
    .sgpr_count:     4
    .sgpr_spill_count: 0
    .symbol:         _ZN7rocprim17ROCPRIM_400000_NS6detail17trampoline_kernelINS0_14default_configENS1_38merge_sort_block_merge_config_selectorIN3c108BFloat16ElEEZZNS1_27merge_sort_block_merge_implIS3_PS6_N6thrust23THRUST_200600_302600_NS10device_ptrIlEEmNSB_4lessIS6_EEEE10hipError_tT0_T1_T2_jT3_P12ihipStream_tbPNSt15iterator_traitsISH_E10value_typeEPNSN_ISI_E10value_typeEPSJ_NS1_7vsmem_tEENKUlT_SH_SI_SJ_E_clIS9_S9_SD_PlEESG_SW_SH_SI_SJ_EUlSW_E_NS1_11comp_targetILNS1_3genE10ELNS1_11target_archE1201ELNS1_3gpuE5ELNS1_3repE0EEENS1_48merge_mergepath_partition_config_static_selectorELNS0_4arch9wavefront6targetE1EEEvSI_.kd
    .uniform_work_group_size: 1
    .uses_dynamic_stack: false
    .vgpr_count:     0
    .vgpr_spill_count: 0
    .wavefront_size: 64
  - .args:
      - .offset:         0
        .size:           48
        .value_kind:     by_value
    .group_segment_fixed_size: 0
    .kernarg_segment_align: 8
    .kernarg_segment_size: 48
    .language:       OpenCL C
    .language_version:
      - 2
      - 0
    .max_flat_workgroup_size: 128
    .name:           _ZN7rocprim17ROCPRIM_400000_NS6detail17trampoline_kernelINS0_14default_configENS1_38merge_sort_block_merge_config_selectorIN3c108BFloat16ElEEZZNS1_27merge_sort_block_merge_implIS3_PS6_N6thrust23THRUST_200600_302600_NS10device_ptrIlEEmNSB_4lessIS6_EEEE10hipError_tT0_T1_T2_jT3_P12ihipStream_tbPNSt15iterator_traitsISH_E10value_typeEPNSN_ISI_E10value_typeEPSJ_NS1_7vsmem_tEENKUlT_SH_SI_SJ_E_clIS9_S9_SD_PlEESG_SW_SH_SI_SJ_EUlSW_E_NS1_11comp_targetILNS1_3genE5ELNS1_11target_archE942ELNS1_3gpuE9ELNS1_3repE0EEENS1_48merge_mergepath_partition_config_static_selectorELNS0_4arch9wavefront6targetE1EEEvSI_
    .private_segment_fixed_size: 0
    .sgpr_count:     4
    .sgpr_spill_count: 0
    .symbol:         _ZN7rocprim17ROCPRIM_400000_NS6detail17trampoline_kernelINS0_14default_configENS1_38merge_sort_block_merge_config_selectorIN3c108BFloat16ElEEZZNS1_27merge_sort_block_merge_implIS3_PS6_N6thrust23THRUST_200600_302600_NS10device_ptrIlEEmNSB_4lessIS6_EEEE10hipError_tT0_T1_T2_jT3_P12ihipStream_tbPNSt15iterator_traitsISH_E10value_typeEPNSN_ISI_E10value_typeEPSJ_NS1_7vsmem_tEENKUlT_SH_SI_SJ_E_clIS9_S9_SD_PlEESG_SW_SH_SI_SJ_EUlSW_E_NS1_11comp_targetILNS1_3genE5ELNS1_11target_archE942ELNS1_3gpuE9ELNS1_3repE0EEENS1_48merge_mergepath_partition_config_static_selectorELNS0_4arch9wavefront6targetE1EEEvSI_.kd
    .uniform_work_group_size: 1
    .uses_dynamic_stack: false
    .vgpr_count:     0
    .vgpr_spill_count: 0
    .wavefront_size: 64
  - .args:
      - .offset:         0
        .size:           48
        .value_kind:     by_value
    .group_segment_fixed_size: 0
    .kernarg_segment_align: 8
    .kernarg_segment_size: 48
    .language:       OpenCL C
    .language_version:
      - 2
      - 0
    .max_flat_workgroup_size: 128
    .name:           _ZN7rocprim17ROCPRIM_400000_NS6detail17trampoline_kernelINS0_14default_configENS1_38merge_sort_block_merge_config_selectorIN3c108BFloat16ElEEZZNS1_27merge_sort_block_merge_implIS3_PS6_N6thrust23THRUST_200600_302600_NS10device_ptrIlEEmNSB_4lessIS6_EEEE10hipError_tT0_T1_T2_jT3_P12ihipStream_tbPNSt15iterator_traitsISH_E10value_typeEPNSN_ISI_E10value_typeEPSJ_NS1_7vsmem_tEENKUlT_SH_SI_SJ_E_clIS9_S9_SD_PlEESG_SW_SH_SI_SJ_EUlSW_E_NS1_11comp_targetILNS1_3genE4ELNS1_11target_archE910ELNS1_3gpuE8ELNS1_3repE0EEENS1_48merge_mergepath_partition_config_static_selectorELNS0_4arch9wavefront6targetE1EEEvSI_
    .private_segment_fixed_size: 0
    .sgpr_count:     4
    .sgpr_spill_count: 0
    .symbol:         _ZN7rocprim17ROCPRIM_400000_NS6detail17trampoline_kernelINS0_14default_configENS1_38merge_sort_block_merge_config_selectorIN3c108BFloat16ElEEZZNS1_27merge_sort_block_merge_implIS3_PS6_N6thrust23THRUST_200600_302600_NS10device_ptrIlEEmNSB_4lessIS6_EEEE10hipError_tT0_T1_T2_jT3_P12ihipStream_tbPNSt15iterator_traitsISH_E10value_typeEPNSN_ISI_E10value_typeEPSJ_NS1_7vsmem_tEENKUlT_SH_SI_SJ_E_clIS9_S9_SD_PlEESG_SW_SH_SI_SJ_EUlSW_E_NS1_11comp_targetILNS1_3genE4ELNS1_11target_archE910ELNS1_3gpuE8ELNS1_3repE0EEENS1_48merge_mergepath_partition_config_static_selectorELNS0_4arch9wavefront6targetE1EEEvSI_.kd
    .uniform_work_group_size: 1
    .uses_dynamic_stack: false
    .vgpr_count:     0
    .vgpr_spill_count: 0
    .wavefront_size: 64
  - .args:
      - .offset:         0
        .size:           48
        .value_kind:     by_value
    .group_segment_fixed_size: 0
    .kernarg_segment_align: 8
    .kernarg_segment_size: 48
    .language:       OpenCL C
    .language_version:
      - 2
      - 0
    .max_flat_workgroup_size: 128
    .name:           _ZN7rocprim17ROCPRIM_400000_NS6detail17trampoline_kernelINS0_14default_configENS1_38merge_sort_block_merge_config_selectorIN3c108BFloat16ElEEZZNS1_27merge_sort_block_merge_implIS3_PS6_N6thrust23THRUST_200600_302600_NS10device_ptrIlEEmNSB_4lessIS6_EEEE10hipError_tT0_T1_T2_jT3_P12ihipStream_tbPNSt15iterator_traitsISH_E10value_typeEPNSN_ISI_E10value_typeEPSJ_NS1_7vsmem_tEENKUlT_SH_SI_SJ_E_clIS9_S9_SD_PlEESG_SW_SH_SI_SJ_EUlSW_E_NS1_11comp_targetILNS1_3genE3ELNS1_11target_archE908ELNS1_3gpuE7ELNS1_3repE0EEENS1_48merge_mergepath_partition_config_static_selectorELNS0_4arch9wavefront6targetE1EEEvSI_
    .private_segment_fixed_size: 0
    .sgpr_count:     4
    .sgpr_spill_count: 0
    .symbol:         _ZN7rocprim17ROCPRIM_400000_NS6detail17trampoline_kernelINS0_14default_configENS1_38merge_sort_block_merge_config_selectorIN3c108BFloat16ElEEZZNS1_27merge_sort_block_merge_implIS3_PS6_N6thrust23THRUST_200600_302600_NS10device_ptrIlEEmNSB_4lessIS6_EEEE10hipError_tT0_T1_T2_jT3_P12ihipStream_tbPNSt15iterator_traitsISH_E10value_typeEPNSN_ISI_E10value_typeEPSJ_NS1_7vsmem_tEENKUlT_SH_SI_SJ_E_clIS9_S9_SD_PlEESG_SW_SH_SI_SJ_EUlSW_E_NS1_11comp_targetILNS1_3genE3ELNS1_11target_archE908ELNS1_3gpuE7ELNS1_3repE0EEENS1_48merge_mergepath_partition_config_static_selectorELNS0_4arch9wavefront6targetE1EEEvSI_.kd
    .uniform_work_group_size: 1
    .uses_dynamic_stack: false
    .vgpr_count:     0
    .vgpr_spill_count: 0
    .wavefront_size: 64
  - .args:
      - .offset:         0
        .size:           48
        .value_kind:     by_value
    .group_segment_fixed_size: 0
    .kernarg_segment_align: 8
    .kernarg_segment_size: 48
    .language:       OpenCL C
    .language_version:
      - 2
      - 0
    .max_flat_workgroup_size: 128
    .name:           _ZN7rocprim17ROCPRIM_400000_NS6detail17trampoline_kernelINS0_14default_configENS1_38merge_sort_block_merge_config_selectorIN3c108BFloat16ElEEZZNS1_27merge_sort_block_merge_implIS3_PS6_N6thrust23THRUST_200600_302600_NS10device_ptrIlEEmNSB_4lessIS6_EEEE10hipError_tT0_T1_T2_jT3_P12ihipStream_tbPNSt15iterator_traitsISH_E10value_typeEPNSN_ISI_E10value_typeEPSJ_NS1_7vsmem_tEENKUlT_SH_SI_SJ_E_clIS9_S9_SD_PlEESG_SW_SH_SI_SJ_EUlSW_E_NS1_11comp_targetILNS1_3genE2ELNS1_11target_archE906ELNS1_3gpuE6ELNS1_3repE0EEENS1_48merge_mergepath_partition_config_static_selectorELNS0_4arch9wavefront6targetE1EEEvSI_
    .private_segment_fixed_size: 0
    .sgpr_count:     14
    .sgpr_spill_count: 0
    .symbol:         _ZN7rocprim17ROCPRIM_400000_NS6detail17trampoline_kernelINS0_14default_configENS1_38merge_sort_block_merge_config_selectorIN3c108BFloat16ElEEZZNS1_27merge_sort_block_merge_implIS3_PS6_N6thrust23THRUST_200600_302600_NS10device_ptrIlEEmNSB_4lessIS6_EEEE10hipError_tT0_T1_T2_jT3_P12ihipStream_tbPNSt15iterator_traitsISH_E10value_typeEPNSN_ISI_E10value_typeEPSJ_NS1_7vsmem_tEENKUlT_SH_SI_SJ_E_clIS9_S9_SD_PlEESG_SW_SH_SI_SJ_EUlSW_E_NS1_11comp_targetILNS1_3genE2ELNS1_11target_archE906ELNS1_3gpuE6ELNS1_3repE0EEENS1_48merge_mergepath_partition_config_static_selectorELNS0_4arch9wavefront6targetE1EEEvSI_.kd
    .uniform_work_group_size: 1
    .uses_dynamic_stack: false
    .vgpr_count:     19
    .vgpr_spill_count: 0
    .wavefront_size: 64
  - .args:
      - .offset:         0
        .size:           48
        .value_kind:     by_value
    .group_segment_fixed_size: 0
    .kernarg_segment_align: 8
    .kernarg_segment_size: 48
    .language:       OpenCL C
    .language_version:
      - 2
      - 0
    .max_flat_workgroup_size: 128
    .name:           _ZN7rocprim17ROCPRIM_400000_NS6detail17trampoline_kernelINS0_14default_configENS1_38merge_sort_block_merge_config_selectorIN3c108BFloat16ElEEZZNS1_27merge_sort_block_merge_implIS3_PS6_N6thrust23THRUST_200600_302600_NS10device_ptrIlEEmNSB_4lessIS6_EEEE10hipError_tT0_T1_T2_jT3_P12ihipStream_tbPNSt15iterator_traitsISH_E10value_typeEPNSN_ISI_E10value_typeEPSJ_NS1_7vsmem_tEENKUlT_SH_SI_SJ_E_clIS9_S9_SD_PlEESG_SW_SH_SI_SJ_EUlSW_E_NS1_11comp_targetILNS1_3genE9ELNS1_11target_archE1100ELNS1_3gpuE3ELNS1_3repE0EEENS1_48merge_mergepath_partition_config_static_selectorELNS0_4arch9wavefront6targetE1EEEvSI_
    .private_segment_fixed_size: 0
    .sgpr_count:     4
    .sgpr_spill_count: 0
    .symbol:         _ZN7rocprim17ROCPRIM_400000_NS6detail17trampoline_kernelINS0_14default_configENS1_38merge_sort_block_merge_config_selectorIN3c108BFloat16ElEEZZNS1_27merge_sort_block_merge_implIS3_PS6_N6thrust23THRUST_200600_302600_NS10device_ptrIlEEmNSB_4lessIS6_EEEE10hipError_tT0_T1_T2_jT3_P12ihipStream_tbPNSt15iterator_traitsISH_E10value_typeEPNSN_ISI_E10value_typeEPSJ_NS1_7vsmem_tEENKUlT_SH_SI_SJ_E_clIS9_S9_SD_PlEESG_SW_SH_SI_SJ_EUlSW_E_NS1_11comp_targetILNS1_3genE9ELNS1_11target_archE1100ELNS1_3gpuE3ELNS1_3repE0EEENS1_48merge_mergepath_partition_config_static_selectorELNS0_4arch9wavefront6targetE1EEEvSI_.kd
    .uniform_work_group_size: 1
    .uses_dynamic_stack: false
    .vgpr_count:     0
    .vgpr_spill_count: 0
    .wavefront_size: 64
  - .args:
      - .offset:         0
        .size:           48
        .value_kind:     by_value
    .group_segment_fixed_size: 0
    .kernarg_segment_align: 8
    .kernarg_segment_size: 48
    .language:       OpenCL C
    .language_version:
      - 2
      - 0
    .max_flat_workgroup_size: 128
    .name:           _ZN7rocprim17ROCPRIM_400000_NS6detail17trampoline_kernelINS0_14default_configENS1_38merge_sort_block_merge_config_selectorIN3c108BFloat16ElEEZZNS1_27merge_sort_block_merge_implIS3_PS6_N6thrust23THRUST_200600_302600_NS10device_ptrIlEEmNSB_4lessIS6_EEEE10hipError_tT0_T1_T2_jT3_P12ihipStream_tbPNSt15iterator_traitsISH_E10value_typeEPNSN_ISI_E10value_typeEPSJ_NS1_7vsmem_tEENKUlT_SH_SI_SJ_E_clIS9_S9_SD_PlEESG_SW_SH_SI_SJ_EUlSW_E_NS1_11comp_targetILNS1_3genE8ELNS1_11target_archE1030ELNS1_3gpuE2ELNS1_3repE0EEENS1_48merge_mergepath_partition_config_static_selectorELNS0_4arch9wavefront6targetE1EEEvSI_
    .private_segment_fixed_size: 0
    .sgpr_count:     4
    .sgpr_spill_count: 0
    .symbol:         _ZN7rocprim17ROCPRIM_400000_NS6detail17trampoline_kernelINS0_14default_configENS1_38merge_sort_block_merge_config_selectorIN3c108BFloat16ElEEZZNS1_27merge_sort_block_merge_implIS3_PS6_N6thrust23THRUST_200600_302600_NS10device_ptrIlEEmNSB_4lessIS6_EEEE10hipError_tT0_T1_T2_jT3_P12ihipStream_tbPNSt15iterator_traitsISH_E10value_typeEPNSN_ISI_E10value_typeEPSJ_NS1_7vsmem_tEENKUlT_SH_SI_SJ_E_clIS9_S9_SD_PlEESG_SW_SH_SI_SJ_EUlSW_E_NS1_11comp_targetILNS1_3genE8ELNS1_11target_archE1030ELNS1_3gpuE2ELNS1_3repE0EEENS1_48merge_mergepath_partition_config_static_selectorELNS0_4arch9wavefront6targetE1EEEvSI_.kd
    .uniform_work_group_size: 1
    .uses_dynamic_stack: false
    .vgpr_count:     0
    .vgpr_spill_count: 0
    .wavefront_size: 64
  - .args:
      - .offset:         0
        .size:           72
        .value_kind:     by_value
    .group_segment_fixed_size: 0
    .kernarg_segment_align: 8
    .kernarg_segment_size: 72
    .language:       OpenCL C
    .language_version:
      - 2
      - 0
    .max_flat_workgroup_size: 256
    .name:           _ZN7rocprim17ROCPRIM_400000_NS6detail17trampoline_kernelINS0_14default_configENS1_38merge_sort_block_merge_config_selectorIN3c108BFloat16ElEEZZNS1_27merge_sort_block_merge_implIS3_PS6_N6thrust23THRUST_200600_302600_NS10device_ptrIlEEmNSB_4lessIS6_EEEE10hipError_tT0_T1_T2_jT3_P12ihipStream_tbPNSt15iterator_traitsISH_E10value_typeEPNSN_ISI_E10value_typeEPSJ_NS1_7vsmem_tEENKUlT_SH_SI_SJ_E_clIS9_S9_SD_PlEESG_SW_SH_SI_SJ_EUlSW_E0_NS1_11comp_targetILNS1_3genE0ELNS1_11target_archE4294967295ELNS1_3gpuE0ELNS1_3repE0EEENS1_38merge_mergepath_config_static_selectorELNS0_4arch9wavefront6targetE1EEEvSI_
    .private_segment_fixed_size: 0
    .sgpr_count:     4
    .sgpr_spill_count: 0
    .symbol:         _ZN7rocprim17ROCPRIM_400000_NS6detail17trampoline_kernelINS0_14default_configENS1_38merge_sort_block_merge_config_selectorIN3c108BFloat16ElEEZZNS1_27merge_sort_block_merge_implIS3_PS6_N6thrust23THRUST_200600_302600_NS10device_ptrIlEEmNSB_4lessIS6_EEEE10hipError_tT0_T1_T2_jT3_P12ihipStream_tbPNSt15iterator_traitsISH_E10value_typeEPNSN_ISI_E10value_typeEPSJ_NS1_7vsmem_tEENKUlT_SH_SI_SJ_E_clIS9_S9_SD_PlEESG_SW_SH_SI_SJ_EUlSW_E0_NS1_11comp_targetILNS1_3genE0ELNS1_11target_archE4294967295ELNS1_3gpuE0ELNS1_3repE0EEENS1_38merge_mergepath_config_static_selectorELNS0_4arch9wavefront6targetE1EEEvSI_.kd
    .uniform_work_group_size: 1
    .uses_dynamic_stack: false
    .vgpr_count:     0
    .vgpr_spill_count: 0
    .wavefront_size: 64
  - .args:
      - .offset:         0
        .size:           72
        .value_kind:     by_value
    .group_segment_fixed_size: 0
    .kernarg_segment_align: 8
    .kernarg_segment_size: 72
    .language:       OpenCL C
    .language_version:
      - 2
      - 0
    .max_flat_workgroup_size: 512
    .name:           _ZN7rocprim17ROCPRIM_400000_NS6detail17trampoline_kernelINS0_14default_configENS1_38merge_sort_block_merge_config_selectorIN3c108BFloat16ElEEZZNS1_27merge_sort_block_merge_implIS3_PS6_N6thrust23THRUST_200600_302600_NS10device_ptrIlEEmNSB_4lessIS6_EEEE10hipError_tT0_T1_T2_jT3_P12ihipStream_tbPNSt15iterator_traitsISH_E10value_typeEPNSN_ISI_E10value_typeEPSJ_NS1_7vsmem_tEENKUlT_SH_SI_SJ_E_clIS9_S9_SD_PlEESG_SW_SH_SI_SJ_EUlSW_E0_NS1_11comp_targetILNS1_3genE10ELNS1_11target_archE1201ELNS1_3gpuE5ELNS1_3repE0EEENS1_38merge_mergepath_config_static_selectorELNS0_4arch9wavefront6targetE1EEEvSI_
    .private_segment_fixed_size: 0
    .sgpr_count:     4
    .sgpr_spill_count: 0
    .symbol:         _ZN7rocprim17ROCPRIM_400000_NS6detail17trampoline_kernelINS0_14default_configENS1_38merge_sort_block_merge_config_selectorIN3c108BFloat16ElEEZZNS1_27merge_sort_block_merge_implIS3_PS6_N6thrust23THRUST_200600_302600_NS10device_ptrIlEEmNSB_4lessIS6_EEEE10hipError_tT0_T1_T2_jT3_P12ihipStream_tbPNSt15iterator_traitsISH_E10value_typeEPNSN_ISI_E10value_typeEPSJ_NS1_7vsmem_tEENKUlT_SH_SI_SJ_E_clIS9_S9_SD_PlEESG_SW_SH_SI_SJ_EUlSW_E0_NS1_11comp_targetILNS1_3genE10ELNS1_11target_archE1201ELNS1_3gpuE5ELNS1_3repE0EEENS1_38merge_mergepath_config_static_selectorELNS0_4arch9wavefront6targetE1EEEvSI_.kd
    .uniform_work_group_size: 1
    .uses_dynamic_stack: false
    .vgpr_count:     0
    .vgpr_spill_count: 0
    .wavefront_size: 64
  - .args:
      - .offset:         0
        .size:           72
        .value_kind:     by_value
    .group_segment_fixed_size: 0
    .kernarg_segment_align: 8
    .kernarg_segment_size: 72
    .language:       OpenCL C
    .language_version:
      - 2
      - 0
    .max_flat_workgroup_size: 256
    .name:           _ZN7rocprim17ROCPRIM_400000_NS6detail17trampoline_kernelINS0_14default_configENS1_38merge_sort_block_merge_config_selectorIN3c108BFloat16ElEEZZNS1_27merge_sort_block_merge_implIS3_PS6_N6thrust23THRUST_200600_302600_NS10device_ptrIlEEmNSB_4lessIS6_EEEE10hipError_tT0_T1_T2_jT3_P12ihipStream_tbPNSt15iterator_traitsISH_E10value_typeEPNSN_ISI_E10value_typeEPSJ_NS1_7vsmem_tEENKUlT_SH_SI_SJ_E_clIS9_S9_SD_PlEESG_SW_SH_SI_SJ_EUlSW_E0_NS1_11comp_targetILNS1_3genE5ELNS1_11target_archE942ELNS1_3gpuE9ELNS1_3repE0EEENS1_38merge_mergepath_config_static_selectorELNS0_4arch9wavefront6targetE1EEEvSI_
    .private_segment_fixed_size: 0
    .sgpr_count:     4
    .sgpr_spill_count: 0
    .symbol:         _ZN7rocprim17ROCPRIM_400000_NS6detail17trampoline_kernelINS0_14default_configENS1_38merge_sort_block_merge_config_selectorIN3c108BFloat16ElEEZZNS1_27merge_sort_block_merge_implIS3_PS6_N6thrust23THRUST_200600_302600_NS10device_ptrIlEEmNSB_4lessIS6_EEEE10hipError_tT0_T1_T2_jT3_P12ihipStream_tbPNSt15iterator_traitsISH_E10value_typeEPNSN_ISI_E10value_typeEPSJ_NS1_7vsmem_tEENKUlT_SH_SI_SJ_E_clIS9_S9_SD_PlEESG_SW_SH_SI_SJ_EUlSW_E0_NS1_11comp_targetILNS1_3genE5ELNS1_11target_archE942ELNS1_3gpuE9ELNS1_3repE0EEENS1_38merge_mergepath_config_static_selectorELNS0_4arch9wavefront6targetE1EEEvSI_.kd
    .uniform_work_group_size: 1
    .uses_dynamic_stack: false
    .vgpr_count:     0
    .vgpr_spill_count: 0
    .wavefront_size: 64
  - .args:
      - .offset:         0
        .size:           72
        .value_kind:     by_value
    .group_segment_fixed_size: 0
    .kernarg_segment_align: 8
    .kernarg_segment_size: 72
    .language:       OpenCL C
    .language_version:
      - 2
      - 0
    .max_flat_workgroup_size: 256
    .name:           _ZN7rocprim17ROCPRIM_400000_NS6detail17trampoline_kernelINS0_14default_configENS1_38merge_sort_block_merge_config_selectorIN3c108BFloat16ElEEZZNS1_27merge_sort_block_merge_implIS3_PS6_N6thrust23THRUST_200600_302600_NS10device_ptrIlEEmNSB_4lessIS6_EEEE10hipError_tT0_T1_T2_jT3_P12ihipStream_tbPNSt15iterator_traitsISH_E10value_typeEPNSN_ISI_E10value_typeEPSJ_NS1_7vsmem_tEENKUlT_SH_SI_SJ_E_clIS9_S9_SD_PlEESG_SW_SH_SI_SJ_EUlSW_E0_NS1_11comp_targetILNS1_3genE4ELNS1_11target_archE910ELNS1_3gpuE8ELNS1_3repE0EEENS1_38merge_mergepath_config_static_selectorELNS0_4arch9wavefront6targetE1EEEvSI_
    .private_segment_fixed_size: 0
    .sgpr_count:     4
    .sgpr_spill_count: 0
    .symbol:         _ZN7rocprim17ROCPRIM_400000_NS6detail17trampoline_kernelINS0_14default_configENS1_38merge_sort_block_merge_config_selectorIN3c108BFloat16ElEEZZNS1_27merge_sort_block_merge_implIS3_PS6_N6thrust23THRUST_200600_302600_NS10device_ptrIlEEmNSB_4lessIS6_EEEE10hipError_tT0_T1_T2_jT3_P12ihipStream_tbPNSt15iterator_traitsISH_E10value_typeEPNSN_ISI_E10value_typeEPSJ_NS1_7vsmem_tEENKUlT_SH_SI_SJ_E_clIS9_S9_SD_PlEESG_SW_SH_SI_SJ_EUlSW_E0_NS1_11comp_targetILNS1_3genE4ELNS1_11target_archE910ELNS1_3gpuE8ELNS1_3repE0EEENS1_38merge_mergepath_config_static_selectorELNS0_4arch9wavefront6targetE1EEEvSI_.kd
    .uniform_work_group_size: 1
    .uses_dynamic_stack: false
    .vgpr_count:     0
    .vgpr_spill_count: 0
    .wavefront_size: 64
  - .args:
      - .offset:         0
        .size:           72
        .value_kind:     by_value
    .group_segment_fixed_size: 0
    .kernarg_segment_align: 8
    .kernarg_segment_size: 72
    .language:       OpenCL C
    .language_version:
      - 2
      - 0
    .max_flat_workgroup_size: 256
    .name:           _ZN7rocprim17ROCPRIM_400000_NS6detail17trampoline_kernelINS0_14default_configENS1_38merge_sort_block_merge_config_selectorIN3c108BFloat16ElEEZZNS1_27merge_sort_block_merge_implIS3_PS6_N6thrust23THRUST_200600_302600_NS10device_ptrIlEEmNSB_4lessIS6_EEEE10hipError_tT0_T1_T2_jT3_P12ihipStream_tbPNSt15iterator_traitsISH_E10value_typeEPNSN_ISI_E10value_typeEPSJ_NS1_7vsmem_tEENKUlT_SH_SI_SJ_E_clIS9_S9_SD_PlEESG_SW_SH_SI_SJ_EUlSW_E0_NS1_11comp_targetILNS1_3genE3ELNS1_11target_archE908ELNS1_3gpuE7ELNS1_3repE0EEENS1_38merge_mergepath_config_static_selectorELNS0_4arch9wavefront6targetE1EEEvSI_
    .private_segment_fixed_size: 0
    .sgpr_count:     4
    .sgpr_spill_count: 0
    .symbol:         _ZN7rocprim17ROCPRIM_400000_NS6detail17trampoline_kernelINS0_14default_configENS1_38merge_sort_block_merge_config_selectorIN3c108BFloat16ElEEZZNS1_27merge_sort_block_merge_implIS3_PS6_N6thrust23THRUST_200600_302600_NS10device_ptrIlEEmNSB_4lessIS6_EEEE10hipError_tT0_T1_T2_jT3_P12ihipStream_tbPNSt15iterator_traitsISH_E10value_typeEPNSN_ISI_E10value_typeEPSJ_NS1_7vsmem_tEENKUlT_SH_SI_SJ_E_clIS9_S9_SD_PlEESG_SW_SH_SI_SJ_EUlSW_E0_NS1_11comp_targetILNS1_3genE3ELNS1_11target_archE908ELNS1_3gpuE7ELNS1_3repE0EEENS1_38merge_mergepath_config_static_selectorELNS0_4arch9wavefront6targetE1EEEvSI_.kd
    .uniform_work_group_size: 1
    .uses_dynamic_stack: false
    .vgpr_count:     0
    .vgpr_spill_count: 0
    .wavefront_size: 64
  - .args:
      - .offset:         0
        .size:           72
        .value_kind:     by_value
      - .offset:         72
        .size:           4
        .value_kind:     hidden_block_count_x
      - .offset:         76
        .size:           4
        .value_kind:     hidden_block_count_y
      - .offset:         80
        .size:           4
        .value_kind:     hidden_block_count_z
      - .offset:         84
        .size:           2
        .value_kind:     hidden_group_size_x
      - .offset:         86
        .size:           2
        .value_kind:     hidden_group_size_y
      - .offset:         88
        .size:           2
        .value_kind:     hidden_group_size_z
      - .offset:         90
        .size:           2
        .value_kind:     hidden_remainder_x
      - .offset:         92
        .size:           2
        .value_kind:     hidden_remainder_y
      - .offset:         94
        .size:           2
        .value_kind:     hidden_remainder_z
      - .offset:         112
        .size:           8
        .value_kind:     hidden_global_offset_x
      - .offset:         120
        .size:           8
        .value_kind:     hidden_global_offset_y
      - .offset:         128
        .size:           8
        .value_kind:     hidden_global_offset_z
      - .offset:         136
        .size:           2
        .value_kind:     hidden_grid_dims
    .group_segment_fixed_size: 8448
    .kernarg_segment_align: 8
    .kernarg_segment_size: 328
    .language:       OpenCL C
    .language_version:
      - 2
      - 0
    .max_flat_workgroup_size: 256
    .name:           _ZN7rocprim17ROCPRIM_400000_NS6detail17trampoline_kernelINS0_14default_configENS1_38merge_sort_block_merge_config_selectorIN3c108BFloat16ElEEZZNS1_27merge_sort_block_merge_implIS3_PS6_N6thrust23THRUST_200600_302600_NS10device_ptrIlEEmNSB_4lessIS6_EEEE10hipError_tT0_T1_T2_jT3_P12ihipStream_tbPNSt15iterator_traitsISH_E10value_typeEPNSN_ISI_E10value_typeEPSJ_NS1_7vsmem_tEENKUlT_SH_SI_SJ_E_clIS9_S9_SD_PlEESG_SW_SH_SI_SJ_EUlSW_E0_NS1_11comp_targetILNS1_3genE2ELNS1_11target_archE906ELNS1_3gpuE6ELNS1_3repE0EEENS1_38merge_mergepath_config_static_selectorELNS0_4arch9wavefront6targetE1EEEvSI_
    .private_segment_fixed_size: 0
    .sgpr_count:     41
    .sgpr_spill_count: 0
    .symbol:         _ZN7rocprim17ROCPRIM_400000_NS6detail17trampoline_kernelINS0_14default_configENS1_38merge_sort_block_merge_config_selectorIN3c108BFloat16ElEEZZNS1_27merge_sort_block_merge_implIS3_PS6_N6thrust23THRUST_200600_302600_NS10device_ptrIlEEmNSB_4lessIS6_EEEE10hipError_tT0_T1_T2_jT3_P12ihipStream_tbPNSt15iterator_traitsISH_E10value_typeEPNSN_ISI_E10value_typeEPSJ_NS1_7vsmem_tEENKUlT_SH_SI_SJ_E_clIS9_S9_SD_PlEESG_SW_SH_SI_SJ_EUlSW_E0_NS1_11comp_targetILNS1_3genE2ELNS1_11target_archE906ELNS1_3gpuE6ELNS1_3repE0EEENS1_38merge_mergepath_config_static_selectorELNS0_4arch9wavefront6targetE1EEEvSI_.kd
    .uniform_work_group_size: 1
    .uses_dynamic_stack: false
    .vgpr_count:     35
    .vgpr_spill_count: 0
    .wavefront_size: 64
  - .args:
      - .offset:         0
        .size:           72
        .value_kind:     by_value
    .group_segment_fixed_size: 0
    .kernarg_segment_align: 8
    .kernarg_segment_size: 72
    .language:       OpenCL C
    .language_version:
      - 2
      - 0
    .max_flat_workgroup_size: 256
    .name:           _ZN7rocprim17ROCPRIM_400000_NS6detail17trampoline_kernelINS0_14default_configENS1_38merge_sort_block_merge_config_selectorIN3c108BFloat16ElEEZZNS1_27merge_sort_block_merge_implIS3_PS6_N6thrust23THRUST_200600_302600_NS10device_ptrIlEEmNSB_4lessIS6_EEEE10hipError_tT0_T1_T2_jT3_P12ihipStream_tbPNSt15iterator_traitsISH_E10value_typeEPNSN_ISI_E10value_typeEPSJ_NS1_7vsmem_tEENKUlT_SH_SI_SJ_E_clIS9_S9_SD_PlEESG_SW_SH_SI_SJ_EUlSW_E0_NS1_11comp_targetILNS1_3genE9ELNS1_11target_archE1100ELNS1_3gpuE3ELNS1_3repE0EEENS1_38merge_mergepath_config_static_selectorELNS0_4arch9wavefront6targetE1EEEvSI_
    .private_segment_fixed_size: 0
    .sgpr_count:     4
    .sgpr_spill_count: 0
    .symbol:         _ZN7rocprim17ROCPRIM_400000_NS6detail17trampoline_kernelINS0_14default_configENS1_38merge_sort_block_merge_config_selectorIN3c108BFloat16ElEEZZNS1_27merge_sort_block_merge_implIS3_PS6_N6thrust23THRUST_200600_302600_NS10device_ptrIlEEmNSB_4lessIS6_EEEE10hipError_tT0_T1_T2_jT3_P12ihipStream_tbPNSt15iterator_traitsISH_E10value_typeEPNSN_ISI_E10value_typeEPSJ_NS1_7vsmem_tEENKUlT_SH_SI_SJ_E_clIS9_S9_SD_PlEESG_SW_SH_SI_SJ_EUlSW_E0_NS1_11comp_targetILNS1_3genE9ELNS1_11target_archE1100ELNS1_3gpuE3ELNS1_3repE0EEENS1_38merge_mergepath_config_static_selectorELNS0_4arch9wavefront6targetE1EEEvSI_.kd
    .uniform_work_group_size: 1
    .uses_dynamic_stack: false
    .vgpr_count:     0
    .vgpr_spill_count: 0
    .wavefront_size: 64
  - .args:
      - .offset:         0
        .size:           72
        .value_kind:     by_value
    .group_segment_fixed_size: 0
    .kernarg_segment_align: 8
    .kernarg_segment_size: 72
    .language:       OpenCL C
    .language_version:
      - 2
      - 0
    .max_flat_workgroup_size: 512
    .name:           _ZN7rocprim17ROCPRIM_400000_NS6detail17trampoline_kernelINS0_14default_configENS1_38merge_sort_block_merge_config_selectorIN3c108BFloat16ElEEZZNS1_27merge_sort_block_merge_implIS3_PS6_N6thrust23THRUST_200600_302600_NS10device_ptrIlEEmNSB_4lessIS6_EEEE10hipError_tT0_T1_T2_jT3_P12ihipStream_tbPNSt15iterator_traitsISH_E10value_typeEPNSN_ISI_E10value_typeEPSJ_NS1_7vsmem_tEENKUlT_SH_SI_SJ_E_clIS9_S9_SD_PlEESG_SW_SH_SI_SJ_EUlSW_E0_NS1_11comp_targetILNS1_3genE8ELNS1_11target_archE1030ELNS1_3gpuE2ELNS1_3repE0EEENS1_38merge_mergepath_config_static_selectorELNS0_4arch9wavefront6targetE1EEEvSI_
    .private_segment_fixed_size: 0
    .sgpr_count:     4
    .sgpr_spill_count: 0
    .symbol:         _ZN7rocprim17ROCPRIM_400000_NS6detail17trampoline_kernelINS0_14default_configENS1_38merge_sort_block_merge_config_selectorIN3c108BFloat16ElEEZZNS1_27merge_sort_block_merge_implIS3_PS6_N6thrust23THRUST_200600_302600_NS10device_ptrIlEEmNSB_4lessIS6_EEEE10hipError_tT0_T1_T2_jT3_P12ihipStream_tbPNSt15iterator_traitsISH_E10value_typeEPNSN_ISI_E10value_typeEPSJ_NS1_7vsmem_tEENKUlT_SH_SI_SJ_E_clIS9_S9_SD_PlEESG_SW_SH_SI_SJ_EUlSW_E0_NS1_11comp_targetILNS1_3genE8ELNS1_11target_archE1030ELNS1_3gpuE2ELNS1_3repE0EEENS1_38merge_mergepath_config_static_selectorELNS0_4arch9wavefront6targetE1EEEvSI_.kd
    .uniform_work_group_size: 1
    .uses_dynamic_stack: false
    .vgpr_count:     0
    .vgpr_spill_count: 0
    .wavefront_size: 64
  - .args:
      - .offset:         0
        .size:           56
        .value_kind:     by_value
    .group_segment_fixed_size: 0
    .kernarg_segment_align: 8
    .kernarg_segment_size: 56
    .language:       OpenCL C
    .language_version:
      - 2
      - 0
    .max_flat_workgroup_size: 256
    .name:           _ZN7rocprim17ROCPRIM_400000_NS6detail17trampoline_kernelINS0_14default_configENS1_38merge_sort_block_merge_config_selectorIN3c108BFloat16ElEEZZNS1_27merge_sort_block_merge_implIS3_PS6_N6thrust23THRUST_200600_302600_NS10device_ptrIlEEmNSB_4lessIS6_EEEE10hipError_tT0_T1_T2_jT3_P12ihipStream_tbPNSt15iterator_traitsISH_E10value_typeEPNSN_ISI_E10value_typeEPSJ_NS1_7vsmem_tEENKUlT_SH_SI_SJ_E_clIS9_S9_SD_PlEESG_SW_SH_SI_SJ_EUlSW_E1_NS1_11comp_targetILNS1_3genE0ELNS1_11target_archE4294967295ELNS1_3gpuE0ELNS1_3repE0EEENS1_36merge_oddeven_config_static_selectorELNS0_4arch9wavefront6targetE1EEEvSI_
    .private_segment_fixed_size: 0
    .sgpr_count:     4
    .sgpr_spill_count: 0
    .symbol:         _ZN7rocprim17ROCPRIM_400000_NS6detail17trampoline_kernelINS0_14default_configENS1_38merge_sort_block_merge_config_selectorIN3c108BFloat16ElEEZZNS1_27merge_sort_block_merge_implIS3_PS6_N6thrust23THRUST_200600_302600_NS10device_ptrIlEEmNSB_4lessIS6_EEEE10hipError_tT0_T1_T2_jT3_P12ihipStream_tbPNSt15iterator_traitsISH_E10value_typeEPNSN_ISI_E10value_typeEPSJ_NS1_7vsmem_tEENKUlT_SH_SI_SJ_E_clIS9_S9_SD_PlEESG_SW_SH_SI_SJ_EUlSW_E1_NS1_11comp_targetILNS1_3genE0ELNS1_11target_archE4294967295ELNS1_3gpuE0ELNS1_3repE0EEENS1_36merge_oddeven_config_static_selectorELNS0_4arch9wavefront6targetE1EEEvSI_.kd
    .uniform_work_group_size: 1
    .uses_dynamic_stack: false
    .vgpr_count:     0
    .vgpr_spill_count: 0
    .wavefront_size: 64
  - .args:
      - .offset:         0
        .size:           56
        .value_kind:     by_value
    .group_segment_fixed_size: 0
    .kernarg_segment_align: 8
    .kernarg_segment_size: 56
    .language:       OpenCL C
    .language_version:
      - 2
      - 0
    .max_flat_workgroup_size: 256
    .name:           _ZN7rocprim17ROCPRIM_400000_NS6detail17trampoline_kernelINS0_14default_configENS1_38merge_sort_block_merge_config_selectorIN3c108BFloat16ElEEZZNS1_27merge_sort_block_merge_implIS3_PS6_N6thrust23THRUST_200600_302600_NS10device_ptrIlEEmNSB_4lessIS6_EEEE10hipError_tT0_T1_T2_jT3_P12ihipStream_tbPNSt15iterator_traitsISH_E10value_typeEPNSN_ISI_E10value_typeEPSJ_NS1_7vsmem_tEENKUlT_SH_SI_SJ_E_clIS9_S9_SD_PlEESG_SW_SH_SI_SJ_EUlSW_E1_NS1_11comp_targetILNS1_3genE10ELNS1_11target_archE1201ELNS1_3gpuE5ELNS1_3repE0EEENS1_36merge_oddeven_config_static_selectorELNS0_4arch9wavefront6targetE1EEEvSI_
    .private_segment_fixed_size: 0
    .sgpr_count:     4
    .sgpr_spill_count: 0
    .symbol:         _ZN7rocprim17ROCPRIM_400000_NS6detail17trampoline_kernelINS0_14default_configENS1_38merge_sort_block_merge_config_selectorIN3c108BFloat16ElEEZZNS1_27merge_sort_block_merge_implIS3_PS6_N6thrust23THRUST_200600_302600_NS10device_ptrIlEEmNSB_4lessIS6_EEEE10hipError_tT0_T1_T2_jT3_P12ihipStream_tbPNSt15iterator_traitsISH_E10value_typeEPNSN_ISI_E10value_typeEPSJ_NS1_7vsmem_tEENKUlT_SH_SI_SJ_E_clIS9_S9_SD_PlEESG_SW_SH_SI_SJ_EUlSW_E1_NS1_11comp_targetILNS1_3genE10ELNS1_11target_archE1201ELNS1_3gpuE5ELNS1_3repE0EEENS1_36merge_oddeven_config_static_selectorELNS0_4arch9wavefront6targetE1EEEvSI_.kd
    .uniform_work_group_size: 1
    .uses_dynamic_stack: false
    .vgpr_count:     0
    .vgpr_spill_count: 0
    .wavefront_size: 64
  - .args:
      - .offset:         0
        .size:           56
        .value_kind:     by_value
    .group_segment_fixed_size: 0
    .kernarg_segment_align: 8
    .kernarg_segment_size: 56
    .language:       OpenCL C
    .language_version:
      - 2
      - 0
    .max_flat_workgroup_size: 256
    .name:           _ZN7rocprim17ROCPRIM_400000_NS6detail17trampoline_kernelINS0_14default_configENS1_38merge_sort_block_merge_config_selectorIN3c108BFloat16ElEEZZNS1_27merge_sort_block_merge_implIS3_PS6_N6thrust23THRUST_200600_302600_NS10device_ptrIlEEmNSB_4lessIS6_EEEE10hipError_tT0_T1_T2_jT3_P12ihipStream_tbPNSt15iterator_traitsISH_E10value_typeEPNSN_ISI_E10value_typeEPSJ_NS1_7vsmem_tEENKUlT_SH_SI_SJ_E_clIS9_S9_SD_PlEESG_SW_SH_SI_SJ_EUlSW_E1_NS1_11comp_targetILNS1_3genE5ELNS1_11target_archE942ELNS1_3gpuE9ELNS1_3repE0EEENS1_36merge_oddeven_config_static_selectorELNS0_4arch9wavefront6targetE1EEEvSI_
    .private_segment_fixed_size: 0
    .sgpr_count:     4
    .sgpr_spill_count: 0
    .symbol:         _ZN7rocprim17ROCPRIM_400000_NS6detail17trampoline_kernelINS0_14default_configENS1_38merge_sort_block_merge_config_selectorIN3c108BFloat16ElEEZZNS1_27merge_sort_block_merge_implIS3_PS6_N6thrust23THRUST_200600_302600_NS10device_ptrIlEEmNSB_4lessIS6_EEEE10hipError_tT0_T1_T2_jT3_P12ihipStream_tbPNSt15iterator_traitsISH_E10value_typeEPNSN_ISI_E10value_typeEPSJ_NS1_7vsmem_tEENKUlT_SH_SI_SJ_E_clIS9_S9_SD_PlEESG_SW_SH_SI_SJ_EUlSW_E1_NS1_11comp_targetILNS1_3genE5ELNS1_11target_archE942ELNS1_3gpuE9ELNS1_3repE0EEENS1_36merge_oddeven_config_static_selectorELNS0_4arch9wavefront6targetE1EEEvSI_.kd
    .uniform_work_group_size: 1
    .uses_dynamic_stack: false
    .vgpr_count:     0
    .vgpr_spill_count: 0
    .wavefront_size: 64
  - .args:
      - .offset:         0
        .size:           56
        .value_kind:     by_value
    .group_segment_fixed_size: 0
    .kernarg_segment_align: 8
    .kernarg_segment_size: 56
    .language:       OpenCL C
    .language_version:
      - 2
      - 0
    .max_flat_workgroup_size: 256
    .name:           _ZN7rocprim17ROCPRIM_400000_NS6detail17trampoline_kernelINS0_14default_configENS1_38merge_sort_block_merge_config_selectorIN3c108BFloat16ElEEZZNS1_27merge_sort_block_merge_implIS3_PS6_N6thrust23THRUST_200600_302600_NS10device_ptrIlEEmNSB_4lessIS6_EEEE10hipError_tT0_T1_T2_jT3_P12ihipStream_tbPNSt15iterator_traitsISH_E10value_typeEPNSN_ISI_E10value_typeEPSJ_NS1_7vsmem_tEENKUlT_SH_SI_SJ_E_clIS9_S9_SD_PlEESG_SW_SH_SI_SJ_EUlSW_E1_NS1_11comp_targetILNS1_3genE4ELNS1_11target_archE910ELNS1_3gpuE8ELNS1_3repE0EEENS1_36merge_oddeven_config_static_selectorELNS0_4arch9wavefront6targetE1EEEvSI_
    .private_segment_fixed_size: 0
    .sgpr_count:     4
    .sgpr_spill_count: 0
    .symbol:         _ZN7rocprim17ROCPRIM_400000_NS6detail17trampoline_kernelINS0_14default_configENS1_38merge_sort_block_merge_config_selectorIN3c108BFloat16ElEEZZNS1_27merge_sort_block_merge_implIS3_PS6_N6thrust23THRUST_200600_302600_NS10device_ptrIlEEmNSB_4lessIS6_EEEE10hipError_tT0_T1_T2_jT3_P12ihipStream_tbPNSt15iterator_traitsISH_E10value_typeEPNSN_ISI_E10value_typeEPSJ_NS1_7vsmem_tEENKUlT_SH_SI_SJ_E_clIS9_S9_SD_PlEESG_SW_SH_SI_SJ_EUlSW_E1_NS1_11comp_targetILNS1_3genE4ELNS1_11target_archE910ELNS1_3gpuE8ELNS1_3repE0EEENS1_36merge_oddeven_config_static_selectorELNS0_4arch9wavefront6targetE1EEEvSI_.kd
    .uniform_work_group_size: 1
    .uses_dynamic_stack: false
    .vgpr_count:     0
    .vgpr_spill_count: 0
    .wavefront_size: 64
  - .args:
      - .offset:         0
        .size:           56
        .value_kind:     by_value
    .group_segment_fixed_size: 0
    .kernarg_segment_align: 8
    .kernarg_segment_size: 56
    .language:       OpenCL C
    .language_version:
      - 2
      - 0
    .max_flat_workgroup_size: 256
    .name:           _ZN7rocprim17ROCPRIM_400000_NS6detail17trampoline_kernelINS0_14default_configENS1_38merge_sort_block_merge_config_selectorIN3c108BFloat16ElEEZZNS1_27merge_sort_block_merge_implIS3_PS6_N6thrust23THRUST_200600_302600_NS10device_ptrIlEEmNSB_4lessIS6_EEEE10hipError_tT0_T1_T2_jT3_P12ihipStream_tbPNSt15iterator_traitsISH_E10value_typeEPNSN_ISI_E10value_typeEPSJ_NS1_7vsmem_tEENKUlT_SH_SI_SJ_E_clIS9_S9_SD_PlEESG_SW_SH_SI_SJ_EUlSW_E1_NS1_11comp_targetILNS1_3genE3ELNS1_11target_archE908ELNS1_3gpuE7ELNS1_3repE0EEENS1_36merge_oddeven_config_static_selectorELNS0_4arch9wavefront6targetE1EEEvSI_
    .private_segment_fixed_size: 0
    .sgpr_count:     4
    .sgpr_spill_count: 0
    .symbol:         _ZN7rocprim17ROCPRIM_400000_NS6detail17trampoline_kernelINS0_14default_configENS1_38merge_sort_block_merge_config_selectorIN3c108BFloat16ElEEZZNS1_27merge_sort_block_merge_implIS3_PS6_N6thrust23THRUST_200600_302600_NS10device_ptrIlEEmNSB_4lessIS6_EEEE10hipError_tT0_T1_T2_jT3_P12ihipStream_tbPNSt15iterator_traitsISH_E10value_typeEPNSN_ISI_E10value_typeEPSJ_NS1_7vsmem_tEENKUlT_SH_SI_SJ_E_clIS9_S9_SD_PlEESG_SW_SH_SI_SJ_EUlSW_E1_NS1_11comp_targetILNS1_3genE3ELNS1_11target_archE908ELNS1_3gpuE7ELNS1_3repE0EEENS1_36merge_oddeven_config_static_selectorELNS0_4arch9wavefront6targetE1EEEvSI_.kd
    .uniform_work_group_size: 1
    .uses_dynamic_stack: false
    .vgpr_count:     0
    .vgpr_spill_count: 0
    .wavefront_size: 64
  - .args:
      - .offset:         0
        .size:           56
        .value_kind:     by_value
    .group_segment_fixed_size: 0
    .kernarg_segment_align: 8
    .kernarg_segment_size: 56
    .language:       OpenCL C
    .language_version:
      - 2
      - 0
    .max_flat_workgroup_size: 256
    .name:           _ZN7rocprim17ROCPRIM_400000_NS6detail17trampoline_kernelINS0_14default_configENS1_38merge_sort_block_merge_config_selectorIN3c108BFloat16ElEEZZNS1_27merge_sort_block_merge_implIS3_PS6_N6thrust23THRUST_200600_302600_NS10device_ptrIlEEmNSB_4lessIS6_EEEE10hipError_tT0_T1_T2_jT3_P12ihipStream_tbPNSt15iterator_traitsISH_E10value_typeEPNSN_ISI_E10value_typeEPSJ_NS1_7vsmem_tEENKUlT_SH_SI_SJ_E_clIS9_S9_SD_PlEESG_SW_SH_SI_SJ_EUlSW_E1_NS1_11comp_targetILNS1_3genE2ELNS1_11target_archE906ELNS1_3gpuE6ELNS1_3repE0EEENS1_36merge_oddeven_config_static_selectorELNS0_4arch9wavefront6targetE1EEEvSI_
    .private_segment_fixed_size: 0
    .sgpr_count:     28
    .sgpr_spill_count: 0
    .symbol:         _ZN7rocprim17ROCPRIM_400000_NS6detail17trampoline_kernelINS0_14default_configENS1_38merge_sort_block_merge_config_selectorIN3c108BFloat16ElEEZZNS1_27merge_sort_block_merge_implIS3_PS6_N6thrust23THRUST_200600_302600_NS10device_ptrIlEEmNSB_4lessIS6_EEEE10hipError_tT0_T1_T2_jT3_P12ihipStream_tbPNSt15iterator_traitsISH_E10value_typeEPNSN_ISI_E10value_typeEPSJ_NS1_7vsmem_tEENKUlT_SH_SI_SJ_E_clIS9_S9_SD_PlEESG_SW_SH_SI_SJ_EUlSW_E1_NS1_11comp_targetILNS1_3genE2ELNS1_11target_archE906ELNS1_3gpuE6ELNS1_3repE0EEENS1_36merge_oddeven_config_static_selectorELNS0_4arch9wavefront6targetE1EEEvSI_.kd
    .uniform_work_group_size: 1
    .uses_dynamic_stack: false
    .vgpr_count:     11
    .vgpr_spill_count: 0
    .wavefront_size: 64
  - .args:
      - .offset:         0
        .size:           56
        .value_kind:     by_value
    .group_segment_fixed_size: 0
    .kernarg_segment_align: 8
    .kernarg_segment_size: 56
    .language:       OpenCL C
    .language_version:
      - 2
      - 0
    .max_flat_workgroup_size: 256
    .name:           _ZN7rocprim17ROCPRIM_400000_NS6detail17trampoline_kernelINS0_14default_configENS1_38merge_sort_block_merge_config_selectorIN3c108BFloat16ElEEZZNS1_27merge_sort_block_merge_implIS3_PS6_N6thrust23THRUST_200600_302600_NS10device_ptrIlEEmNSB_4lessIS6_EEEE10hipError_tT0_T1_T2_jT3_P12ihipStream_tbPNSt15iterator_traitsISH_E10value_typeEPNSN_ISI_E10value_typeEPSJ_NS1_7vsmem_tEENKUlT_SH_SI_SJ_E_clIS9_S9_SD_PlEESG_SW_SH_SI_SJ_EUlSW_E1_NS1_11comp_targetILNS1_3genE9ELNS1_11target_archE1100ELNS1_3gpuE3ELNS1_3repE0EEENS1_36merge_oddeven_config_static_selectorELNS0_4arch9wavefront6targetE1EEEvSI_
    .private_segment_fixed_size: 0
    .sgpr_count:     4
    .sgpr_spill_count: 0
    .symbol:         _ZN7rocprim17ROCPRIM_400000_NS6detail17trampoline_kernelINS0_14default_configENS1_38merge_sort_block_merge_config_selectorIN3c108BFloat16ElEEZZNS1_27merge_sort_block_merge_implIS3_PS6_N6thrust23THRUST_200600_302600_NS10device_ptrIlEEmNSB_4lessIS6_EEEE10hipError_tT0_T1_T2_jT3_P12ihipStream_tbPNSt15iterator_traitsISH_E10value_typeEPNSN_ISI_E10value_typeEPSJ_NS1_7vsmem_tEENKUlT_SH_SI_SJ_E_clIS9_S9_SD_PlEESG_SW_SH_SI_SJ_EUlSW_E1_NS1_11comp_targetILNS1_3genE9ELNS1_11target_archE1100ELNS1_3gpuE3ELNS1_3repE0EEENS1_36merge_oddeven_config_static_selectorELNS0_4arch9wavefront6targetE1EEEvSI_.kd
    .uniform_work_group_size: 1
    .uses_dynamic_stack: false
    .vgpr_count:     0
    .vgpr_spill_count: 0
    .wavefront_size: 64
  - .args:
      - .offset:         0
        .size:           56
        .value_kind:     by_value
    .group_segment_fixed_size: 0
    .kernarg_segment_align: 8
    .kernarg_segment_size: 56
    .language:       OpenCL C
    .language_version:
      - 2
      - 0
    .max_flat_workgroup_size: 256
    .name:           _ZN7rocprim17ROCPRIM_400000_NS6detail17trampoline_kernelINS0_14default_configENS1_38merge_sort_block_merge_config_selectorIN3c108BFloat16ElEEZZNS1_27merge_sort_block_merge_implIS3_PS6_N6thrust23THRUST_200600_302600_NS10device_ptrIlEEmNSB_4lessIS6_EEEE10hipError_tT0_T1_T2_jT3_P12ihipStream_tbPNSt15iterator_traitsISH_E10value_typeEPNSN_ISI_E10value_typeEPSJ_NS1_7vsmem_tEENKUlT_SH_SI_SJ_E_clIS9_S9_SD_PlEESG_SW_SH_SI_SJ_EUlSW_E1_NS1_11comp_targetILNS1_3genE8ELNS1_11target_archE1030ELNS1_3gpuE2ELNS1_3repE0EEENS1_36merge_oddeven_config_static_selectorELNS0_4arch9wavefront6targetE1EEEvSI_
    .private_segment_fixed_size: 0
    .sgpr_count:     4
    .sgpr_spill_count: 0
    .symbol:         _ZN7rocprim17ROCPRIM_400000_NS6detail17trampoline_kernelINS0_14default_configENS1_38merge_sort_block_merge_config_selectorIN3c108BFloat16ElEEZZNS1_27merge_sort_block_merge_implIS3_PS6_N6thrust23THRUST_200600_302600_NS10device_ptrIlEEmNSB_4lessIS6_EEEE10hipError_tT0_T1_T2_jT3_P12ihipStream_tbPNSt15iterator_traitsISH_E10value_typeEPNSN_ISI_E10value_typeEPSJ_NS1_7vsmem_tEENKUlT_SH_SI_SJ_E_clIS9_S9_SD_PlEESG_SW_SH_SI_SJ_EUlSW_E1_NS1_11comp_targetILNS1_3genE8ELNS1_11target_archE1030ELNS1_3gpuE2ELNS1_3repE0EEENS1_36merge_oddeven_config_static_selectorELNS0_4arch9wavefront6targetE1EEEvSI_.kd
    .uniform_work_group_size: 1
    .uses_dynamic_stack: false
    .vgpr_count:     0
    .vgpr_spill_count: 0
    .wavefront_size: 64
  - .args:
      - .offset:         0
        .size:           40
        .value_kind:     by_value
    .group_segment_fixed_size: 0
    .kernarg_segment_align: 8
    .kernarg_segment_size: 40
    .language:       OpenCL C
    .language_version:
      - 2
      - 0
    .max_flat_workgroup_size: 128
    .name:           _ZN7rocprim17ROCPRIM_400000_NS6detail17trampoline_kernelINS0_14default_configENS1_25transform_config_selectorIN3c108BFloat16ELb1EEEZNS1_14transform_implILb1ES3_S7_PS6_S9_NS0_8identityIS6_EEEE10hipError_tT2_T3_mT4_P12ihipStream_tbEUlT_E_NS1_11comp_targetILNS1_3genE0ELNS1_11target_archE4294967295ELNS1_3gpuE0ELNS1_3repE0EEENS1_30default_config_static_selectorELNS0_4arch9wavefront6targetE1EEEvT1_
    .private_segment_fixed_size: 0
    .sgpr_count:     4
    .sgpr_spill_count: 0
    .symbol:         _ZN7rocprim17ROCPRIM_400000_NS6detail17trampoline_kernelINS0_14default_configENS1_25transform_config_selectorIN3c108BFloat16ELb1EEEZNS1_14transform_implILb1ES3_S7_PS6_S9_NS0_8identityIS6_EEEE10hipError_tT2_T3_mT4_P12ihipStream_tbEUlT_E_NS1_11comp_targetILNS1_3genE0ELNS1_11target_archE4294967295ELNS1_3gpuE0ELNS1_3repE0EEENS1_30default_config_static_selectorELNS0_4arch9wavefront6targetE1EEEvT1_.kd
    .uniform_work_group_size: 1
    .uses_dynamic_stack: false
    .vgpr_count:     0
    .vgpr_spill_count: 0
    .wavefront_size: 64
  - .args:
      - .offset:         0
        .size:           40
        .value_kind:     by_value
    .group_segment_fixed_size: 0
    .kernarg_segment_align: 8
    .kernarg_segment_size: 40
    .language:       OpenCL C
    .language_version:
      - 2
      - 0
    .max_flat_workgroup_size: 64
    .name:           _ZN7rocprim17ROCPRIM_400000_NS6detail17trampoline_kernelINS0_14default_configENS1_25transform_config_selectorIN3c108BFloat16ELb1EEEZNS1_14transform_implILb1ES3_S7_PS6_S9_NS0_8identityIS6_EEEE10hipError_tT2_T3_mT4_P12ihipStream_tbEUlT_E_NS1_11comp_targetILNS1_3genE10ELNS1_11target_archE1201ELNS1_3gpuE5ELNS1_3repE0EEENS1_30default_config_static_selectorELNS0_4arch9wavefront6targetE1EEEvT1_
    .private_segment_fixed_size: 0
    .sgpr_count:     4
    .sgpr_spill_count: 0
    .symbol:         _ZN7rocprim17ROCPRIM_400000_NS6detail17trampoline_kernelINS0_14default_configENS1_25transform_config_selectorIN3c108BFloat16ELb1EEEZNS1_14transform_implILb1ES3_S7_PS6_S9_NS0_8identityIS6_EEEE10hipError_tT2_T3_mT4_P12ihipStream_tbEUlT_E_NS1_11comp_targetILNS1_3genE10ELNS1_11target_archE1201ELNS1_3gpuE5ELNS1_3repE0EEENS1_30default_config_static_selectorELNS0_4arch9wavefront6targetE1EEEvT1_.kd
    .uniform_work_group_size: 1
    .uses_dynamic_stack: false
    .vgpr_count:     0
    .vgpr_spill_count: 0
    .wavefront_size: 64
  - .args:
      - .offset:         0
        .size:           40
        .value_kind:     by_value
    .group_segment_fixed_size: 0
    .kernarg_segment_align: 8
    .kernarg_segment_size: 40
    .language:       OpenCL C
    .language_version:
      - 2
      - 0
    .max_flat_workgroup_size: 256
    .name:           _ZN7rocprim17ROCPRIM_400000_NS6detail17trampoline_kernelINS0_14default_configENS1_25transform_config_selectorIN3c108BFloat16ELb1EEEZNS1_14transform_implILb1ES3_S7_PS6_S9_NS0_8identityIS6_EEEE10hipError_tT2_T3_mT4_P12ihipStream_tbEUlT_E_NS1_11comp_targetILNS1_3genE5ELNS1_11target_archE942ELNS1_3gpuE9ELNS1_3repE0EEENS1_30default_config_static_selectorELNS0_4arch9wavefront6targetE1EEEvT1_
    .private_segment_fixed_size: 0
    .sgpr_count:     4
    .sgpr_spill_count: 0
    .symbol:         _ZN7rocprim17ROCPRIM_400000_NS6detail17trampoline_kernelINS0_14default_configENS1_25transform_config_selectorIN3c108BFloat16ELb1EEEZNS1_14transform_implILb1ES3_S7_PS6_S9_NS0_8identityIS6_EEEE10hipError_tT2_T3_mT4_P12ihipStream_tbEUlT_E_NS1_11comp_targetILNS1_3genE5ELNS1_11target_archE942ELNS1_3gpuE9ELNS1_3repE0EEENS1_30default_config_static_selectorELNS0_4arch9wavefront6targetE1EEEvT1_.kd
    .uniform_work_group_size: 1
    .uses_dynamic_stack: false
    .vgpr_count:     0
    .vgpr_spill_count: 0
    .wavefront_size: 64
  - .args:
      - .offset:         0
        .size:           40
        .value_kind:     by_value
    .group_segment_fixed_size: 0
    .kernarg_segment_align: 8
    .kernarg_segment_size: 40
    .language:       OpenCL C
    .language_version:
      - 2
      - 0
    .max_flat_workgroup_size: 1024
    .name:           _ZN7rocprim17ROCPRIM_400000_NS6detail17trampoline_kernelINS0_14default_configENS1_25transform_config_selectorIN3c108BFloat16ELb1EEEZNS1_14transform_implILb1ES3_S7_PS6_S9_NS0_8identityIS6_EEEE10hipError_tT2_T3_mT4_P12ihipStream_tbEUlT_E_NS1_11comp_targetILNS1_3genE4ELNS1_11target_archE910ELNS1_3gpuE8ELNS1_3repE0EEENS1_30default_config_static_selectorELNS0_4arch9wavefront6targetE1EEEvT1_
    .private_segment_fixed_size: 0
    .sgpr_count:     4
    .sgpr_spill_count: 0
    .symbol:         _ZN7rocprim17ROCPRIM_400000_NS6detail17trampoline_kernelINS0_14default_configENS1_25transform_config_selectorIN3c108BFloat16ELb1EEEZNS1_14transform_implILb1ES3_S7_PS6_S9_NS0_8identityIS6_EEEE10hipError_tT2_T3_mT4_P12ihipStream_tbEUlT_E_NS1_11comp_targetILNS1_3genE4ELNS1_11target_archE910ELNS1_3gpuE8ELNS1_3repE0EEENS1_30default_config_static_selectorELNS0_4arch9wavefront6targetE1EEEvT1_.kd
    .uniform_work_group_size: 1
    .uses_dynamic_stack: false
    .vgpr_count:     0
    .vgpr_spill_count: 0
    .wavefront_size: 64
  - .args:
      - .offset:         0
        .size:           40
        .value_kind:     by_value
    .group_segment_fixed_size: 0
    .kernarg_segment_align: 8
    .kernarg_segment_size: 40
    .language:       OpenCL C
    .language_version:
      - 2
      - 0
    .max_flat_workgroup_size: 128
    .name:           _ZN7rocprim17ROCPRIM_400000_NS6detail17trampoline_kernelINS0_14default_configENS1_25transform_config_selectorIN3c108BFloat16ELb1EEEZNS1_14transform_implILb1ES3_S7_PS6_S9_NS0_8identityIS6_EEEE10hipError_tT2_T3_mT4_P12ihipStream_tbEUlT_E_NS1_11comp_targetILNS1_3genE3ELNS1_11target_archE908ELNS1_3gpuE7ELNS1_3repE0EEENS1_30default_config_static_selectorELNS0_4arch9wavefront6targetE1EEEvT1_
    .private_segment_fixed_size: 0
    .sgpr_count:     4
    .sgpr_spill_count: 0
    .symbol:         _ZN7rocprim17ROCPRIM_400000_NS6detail17trampoline_kernelINS0_14default_configENS1_25transform_config_selectorIN3c108BFloat16ELb1EEEZNS1_14transform_implILb1ES3_S7_PS6_S9_NS0_8identityIS6_EEEE10hipError_tT2_T3_mT4_P12ihipStream_tbEUlT_E_NS1_11comp_targetILNS1_3genE3ELNS1_11target_archE908ELNS1_3gpuE7ELNS1_3repE0EEENS1_30default_config_static_selectorELNS0_4arch9wavefront6targetE1EEEvT1_.kd
    .uniform_work_group_size: 1
    .uses_dynamic_stack: false
    .vgpr_count:     0
    .vgpr_spill_count: 0
    .wavefront_size: 64
  - .args:
      - .offset:         0
        .size:           40
        .value_kind:     by_value
      - .offset:         40
        .size:           4
        .value_kind:     hidden_block_count_x
      - .offset:         44
        .size:           4
        .value_kind:     hidden_block_count_y
      - .offset:         48
        .size:           4
        .value_kind:     hidden_block_count_z
      - .offset:         52
        .size:           2
        .value_kind:     hidden_group_size_x
      - .offset:         54
        .size:           2
        .value_kind:     hidden_group_size_y
      - .offset:         56
        .size:           2
        .value_kind:     hidden_group_size_z
      - .offset:         58
        .size:           2
        .value_kind:     hidden_remainder_x
      - .offset:         60
        .size:           2
        .value_kind:     hidden_remainder_y
      - .offset:         62
        .size:           2
        .value_kind:     hidden_remainder_z
      - .offset:         80
        .size:           8
        .value_kind:     hidden_global_offset_x
      - .offset:         88
        .size:           8
        .value_kind:     hidden_global_offset_y
      - .offset:         96
        .size:           8
        .value_kind:     hidden_global_offset_z
      - .offset:         104
        .size:           2
        .value_kind:     hidden_grid_dims
    .group_segment_fixed_size: 0
    .kernarg_segment_align: 8
    .kernarg_segment_size: 296
    .language:       OpenCL C
    .language_version:
      - 2
      - 0
    .max_flat_workgroup_size: 1024
    .name:           _ZN7rocprim17ROCPRIM_400000_NS6detail17trampoline_kernelINS0_14default_configENS1_25transform_config_selectorIN3c108BFloat16ELb1EEEZNS1_14transform_implILb1ES3_S7_PS6_S9_NS0_8identityIS6_EEEE10hipError_tT2_T3_mT4_P12ihipStream_tbEUlT_E_NS1_11comp_targetILNS1_3genE2ELNS1_11target_archE906ELNS1_3gpuE6ELNS1_3repE0EEENS1_30default_config_static_selectorELNS0_4arch9wavefront6targetE1EEEvT1_
    .private_segment_fixed_size: 0
    .sgpr_count:     26
    .sgpr_spill_count: 0
    .symbol:         _ZN7rocprim17ROCPRIM_400000_NS6detail17trampoline_kernelINS0_14default_configENS1_25transform_config_selectorIN3c108BFloat16ELb1EEEZNS1_14transform_implILb1ES3_S7_PS6_S9_NS0_8identityIS6_EEEE10hipError_tT2_T3_mT4_P12ihipStream_tbEUlT_E_NS1_11comp_targetILNS1_3genE2ELNS1_11target_archE906ELNS1_3gpuE6ELNS1_3repE0EEENS1_30default_config_static_selectorELNS0_4arch9wavefront6targetE1EEEvT1_.kd
    .uniform_work_group_size: 1
    .uses_dynamic_stack: false
    .vgpr_count:     11
    .vgpr_spill_count: 0
    .wavefront_size: 64
  - .args:
      - .offset:         0
        .size:           40
        .value_kind:     by_value
    .group_segment_fixed_size: 0
    .kernarg_segment_align: 8
    .kernarg_segment_size: 40
    .language:       OpenCL C
    .language_version:
      - 2
      - 0
    .max_flat_workgroup_size: 1024
    .name:           _ZN7rocprim17ROCPRIM_400000_NS6detail17trampoline_kernelINS0_14default_configENS1_25transform_config_selectorIN3c108BFloat16ELb1EEEZNS1_14transform_implILb1ES3_S7_PS6_S9_NS0_8identityIS6_EEEE10hipError_tT2_T3_mT4_P12ihipStream_tbEUlT_E_NS1_11comp_targetILNS1_3genE9ELNS1_11target_archE1100ELNS1_3gpuE3ELNS1_3repE0EEENS1_30default_config_static_selectorELNS0_4arch9wavefront6targetE1EEEvT1_
    .private_segment_fixed_size: 0
    .sgpr_count:     4
    .sgpr_spill_count: 0
    .symbol:         _ZN7rocprim17ROCPRIM_400000_NS6detail17trampoline_kernelINS0_14default_configENS1_25transform_config_selectorIN3c108BFloat16ELb1EEEZNS1_14transform_implILb1ES3_S7_PS6_S9_NS0_8identityIS6_EEEE10hipError_tT2_T3_mT4_P12ihipStream_tbEUlT_E_NS1_11comp_targetILNS1_3genE9ELNS1_11target_archE1100ELNS1_3gpuE3ELNS1_3repE0EEENS1_30default_config_static_selectorELNS0_4arch9wavefront6targetE1EEEvT1_.kd
    .uniform_work_group_size: 1
    .uses_dynamic_stack: false
    .vgpr_count:     0
    .vgpr_spill_count: 0
    .wavefront_size: 64
  - .args:
      - .offset:         0
        .size:           40
        .value_kind:     by_value
    .group_segment_fixed_size: 0
    .kernarg_segment_align: 8
    .kernarg_segment_size: 40
    .language:       OpenCL C
    .language_version:
      - 2
      - 0
    .max_flat_workgroup_size: 1024
    .name:           _ZN7rocprim17ROCPRIM_400000_NS6detail17trampoline_kernelINS0_14default_configENS1_25transform_config_selectorIN3c108BFloat16ELb1EEEZNS1_14transform_implILb1ES3_S7_PS6_S9_NS0_8identityIS6_EEEE10hipError_tT2_T3_mT4_P12ihipStream_tbEUlT_E_NS1_11comp_targetILNS1_3genE8ELNS1_11target_archE1030ELNS1_3gpuE2ELNS1_3repE0EEENS1_30default_config_static_selectorELNS0_4arch9wavefront6targetE1EEEvT1_
    .private_segment_fixed_size: 0
    .sgpr_count:     4
    .sgpr_spill_count: 0
    .symbol:         _ZN7rocprim17ROCPRIM_400000_NS6detail17trampoline_kernelINS0_14default_configENS1_25transform_config_selectorIN3c108BFloat16ELb1EEEZNS1_14transform_implILb1ES3_S7_PS6_S9_NS0_8identityIS6_EEEE10hipError_tT2_T3_mT4_P12ihipStream_tbEUlT_E_NS1_11comp_targetILNS1_3genE8ELNS1_11target_archE1030ELNS1_3gpuE2ELNS1_3repE0EEENS1_30default_config_static_selectorELNS0_4arch9wavefront6targetE1EEEvT1_.kd
    .uniform_work_group_size: 1
    .uses_dynamic_stack: false
    .vgpr_count:     0
    .vgpr_spill_count: 0
    .wavefront_size: 64
  - .args:
      - .offset:         0
        .size:           72
        .value_kind:     by_value
    .group_segment_fixed_size: 0
    .kernarg_segment_align: 8
    .kernarg_segment_size: 72
    .language:       OpenCL C
    .language_version:
      - 2
      - 0
    .max_flat_workgroup_size: 256
    .name:           _ZN7rocprim17ROCPRIM_400000_NS6detail17trampoline_kernelINS0_14default_configENS1_22reduce_config_selectorIiEEZNS1_11reduce_implILb1ES3_N6thrust23THRUST_200600_302600_NS11hip_rocprim35transform_pair_of_input_iterators_tIiPN3c108BFloat16ESD_NS8_12not_equal_toISC_EEEEPiiNS8_4plusIiEEEE10hipError_tPvRmT1_T2_T3_mT4_P12ihipStream_tbEUlT_E0_NS1_11comp_targetILNS1_3genE0ELNS1_11target_archE4294967295ELNS1_3gpuE0ELNS1_3repE0EEENS1_30default_config_static_selectorELNS0_4arch9wavefront6targetE1EEEvSN_
    .private_segment_fixed_size: 0
    .sgpr_count:     4
    .sgpr_spill_count: 0
    .symbol:         _ZN7rocprim17ROCPRIM_400000_NS6detail17trampoline_kernelINS0_14default_configENS1_22reduce_config_selectorIiEEZNS1_11reduce_implILb1ES3_N6thrust23THRUST_200600_302600_NS11hip_rocprim35transform_pair_of_input_iterators_tIiPN3c108BFloat16ESD_NS8_12not_equal_toISC_EEEEPiiNS8_4plusIiEEEE10hipError_tPvRmT1_T2_T3_mT4_P12ihipStream_tbEUlT_E0_NS1_11comp_targetILNS1_3genE0ELNS1_11target_archE4294967295ELNS1_3gpuE0ELNS1_3repE0EEENS1_30default_config_static_selectorELNS0_4arch9wavefront6targetE1EEEvSN_.kd
    .uniform_work_group_size: 1
    .uses_dynamic_stack: false
    .vgpr_count:     0
    .vgpr_spill_count: 0
    .wavefront_size: 64
  - .args:
      - .offset:         0
        .size:           72
        .value_kind:     by_value
    .group_segment_fixed_size: 0
    .kernarg_segment_align: 8
    .kernarg_segment_size: 72
    .language:       OpenCL C
    .language_version:
      - 2
      - 0
    .max_flat_workgroup_size: 256
    .name:           _ZN7rocprim17ROCPRIM_400000_NS6detail17trampoline_kernelINS0_14default_configENS1_22reduce_config_selectorIiEEZNS1_11reduce_implILb1ES3_N6thrust23THRUST_200600_302600_NS11hip_rocprim35transform_pair_of_input_iterators_tIiPN3c108BFloat16ESD_NS8_12not_equal_toISC_EEEEPiiNS8_4plusIiEEEE10hipError_tPvRmT1_T2_T3_mT4_P12ihipStream_tbEUlT_E0_NS1_11comp_targetILNS1_3genE5ELNS1_11target_archE942ELNS1_3gpuE9ELNS1_3repE0EEENS1_30default_config_static_selectorELNS0_4arch9wavefront6targetE1EEEvSN_
    .private_segment_fixed_size: 0
    .sgpr_count:     4
    .sgpr_spill_count: 0
    .symbol:         _ZN7rocprim17ROCPRIM_400000_NS6detail17trampoline_kernelINS0_14default_configENS1_22reduce_config_selectorIiEEZNS1_11reduce_implILb1ES3_N6thrust23THRUST_200600_302600_NS11hip_rocprim35transform_pair_of_input_iterators_tIiPN3c108BFloat16ESD_NS8_12not_equal_toISC_EEEEPiiNS8_4plusIiEEEE10hipError_tPvRmT1_T2_T3_mT4_P12ihipStream_tbEUlT_E0_NS1_11comp_targetILNS1_3genE5ELNS1_11target_archE942ELNS1_3gpuE9ELNS1_3repE0EEENS1_30default_config_static_selectorELNS0_4arch9wavefront6targetE1EEEvSN_.kd
    .uniform_work_group_size: 1
    .uses_dynamic_stack: false
    .vgpr_count:     0
    .vgpr_spill_count: 0
    .wavefront_size: 64
  - .args:
      - .offset:         0
        .size:           72
        .value_kind:     by_value
    .group_segment_fixed_size: 0
    .kernarg_segment_align: 8
    .kernarg_segment_size: 72
    .language:       OpenCL C
    .language_version:
      - 2
      - 0
    .max_flat_workgroup_size: 128
    .name:           _ZN7rocprim17ROCPRIM_400000_NS6detail17trampoline_kernelINS0_14default_configENS1_22reduce_config_selectorIiEEZNS1_11reduce_implILb1ES3_N6thrust23THRUST_200600_302600_NS11hip_rocprim35transform_pair_of_input_iterators_tIiPN3c108BFloat16ESD_NS8_12not_equal_toISC_EEEEPiiNS8_4plusIiEEEE10hipError_tPvRmT1_T2_T3_mT4_P12ihipStream_tbEUlT_E0_NS1_11comp_targetILNS1_3genE4ELNS1_11target_archE910ELNS1_3gpuE8ELNS1_3repE0EEENS1_30default_config_static_selectorELNS0_4arch9wavefront6targetE1EEEvSN_
    .private_segment_fixed_size: 0
    .sgpr_count:     4
    .sgpr_spill_count: 0
    .symbol:         _ZN7rocprim17ROCPRIM_400000_NS6detail17trampoline_kernelINS0_14default_configENS1_22reduce_config_selectorIiEEZNS1_11reduce_implILb1ES3_N6thrust23THRUST_200600_302600_NS11hip_rocprim35transform_pair_of_input_iterators_tIiPN3c108BFloat16ESD_NS8_12not_equal_toISC_EEEEPiiNS8_4plusIiEEEE10hipError_tPvRmT1_T2_T3_mT4_P12ihipStream_tbEUlT_E0_NS1_11comp_targetILNS1_3genE4ELNS1_11target_archE910ELNS1_3gpuE8ELNS1_3repE0EEENS1_30default_config_static_selectorELNS0_4arch9wavefront6targetE1EEEvSN_.kd
    .uniform_work_group_size: 1
    .uses_dynamic_stack: false
    .vgpr_count:     0
    .vgpr_spill_count: 0
    .wavefront_size: 64
  - .args:
      - .offset:         0
        .size:           72
        .value_kind:     by_value
    .group_segment_fixed_size: 0
    .kernarg_segment_align: 8
    .kernarg_segment_size: 72
    .language:       OpenCL C
    .language_version:
      - 2
      - 0
    .max_flat_workgroup_size: 256
    .name:           _ZN7rocprim17ROCPRIM_400000_NS6detail17trampoline_kernelINS0_14default_configENS1_22reduce_config_selectorIiEEZNS1_11reduce_implILb1ES3_N6thrust23THRUST_200600_302600_NS11hip_rocprim35transform_pair_of_input_iterators_tIiPN3c108BFloat16ESD_NS8_12not_equal_toISC_EEEEPiiNS8_4plusIiEEEE10hipError_tPvRmT1_T2_T3_mT4_P12ihipStream_tbEUlT_E0_NS1_11comp_targetILNS1_3genE3ELNS1_11target_archE908ELNS1_3gpuE7ELNS1_3repE0EEENS1_30default_config_static_selectorELNS0_4arch9wavefront6targetE1EEEvSN_
    .private_segment_fixed_size: 0
    .sgpr_count:     4
    .sgpr_spill_count: 0
    .symbol:         _ZN7rocprim17ROCPRIM_400000_NS6detail17trampoline_kernelINS0_14default_configENS1_22reduce_config_selectorIiEEZNS1_11reduce_implILb1ES3_N6thrust23THRUST_200600_302600_NS11hip_rocprim35transform_pair_of_input_iterators_tIiPN3c108BFloat16ESD_NS8_12not_equal_toISC_EEEEPiiNS8_4plusIiEEEE10hipError_tPvRmT1_T2_T3_mT4_P12ihipStream_tbEUlT_E0_NS1_11comp_targetILNS1_3genE3ELNS1_11target_archE908ELNS1_3gpuE7ELNS1_3repE0EEENS1_30default_config_static_selectorELNS0_4arch9wavefront6targetE1EEEvSN_.kd
    .uniform_work_group_size: 1
    .uses_dynamic_stack: false
    .vgpr_count:     0
    .vgpr_spill_count: 0
    .wavefront_size: 64
  - .args:
      - .offset:         0
        .size:           72
        .value_kind:     by_value
    .group_segment_fixed_size: 32
    .kernarg_segment_align: 8
    .kernarg_segment_size: 72
    .language:       OpenCL C
    .language_version:
      - 2
      - 0
    .max_flat_workgroup_size: 256
    .name:           _ZN7rocprim17ROCPRIM_400000_NS6detail17trampoline_kernelINS0_14default_configENS1_22reduce_config_selectorIiEEZNS1_11reduce_implILb1ES3_N6thrust23THRUST_200600_302600_NS11hip_rocprim35transform_pair_of_input_iterators_tIiPN3c108BFloat16ESD_NS8_12not_equal_toISC_EEEEPiiNS8_4plusIiEEEE10hipError_tPvRmT1_T2_T3_mT4_P12ihipStream_tbEUlT_E0_NS1_11comp_targetILNS1_3genE2ELNS1_11target_archE906ELNS1_3gpuE6ELNS1_3repE0EEENS1_30default_config_static_selectorELNS0_4arch9wavefront6targetE1EEEvSN_
    .private_segment_fixed_size: 0
    .sgpr_count:     28
    .sgpr_spill_count: 0
    .symbol:         _ZN7rocprim17ROCPRIM_400000_NS6detail17trampoline_kernelINS0_14default_configENS1_22reduce_config_selectorIiEEZNS1_11reduce_implILb1ES3_N6thrust23THRUST_200600_302600_NS11hip_rocprim35transform_pair_of_input_iterators_tIiPN3c108BFloat16ESD_NS8_12not_equal_toISC_EEEEPiiNS8_4plusIiEEEE10hipError_tPvRmT1_T2_T3_mT4_P12ihipStream_tbEUlT_E0_NS1_11comp_targetILNS1_3genE2ELNS1_11target_archE906ELNS1_3gpuE6ELNS1_3repE0EEENS1_30default_config_static_selectorELNS0_4arch9wavefront6targetE1EEEvSN_.kd
    .uniform_work_group_size: 1
    .uses_dynamic_stack: false
    .vgpr_count:     13
    .vgpr_spill_count: 0
    .wavefront_size: 64
  - .args:
      - .offset:         0
        .size:           72
        .value_kind:     by_value
    .group_segment_fixed_size: 0
    .kernarg_segment_align: 8
    .kernarg_segment_size: 72
    .language:       OpenCL C
    .language_version:
      - 2
      - 0
    .max_flat_workgroup_size: 256
    .name:           _ZN7rocprim17ROCPRIM_400000_NS6detail17trampoline_kernelINS0_14default_configENS1_22reduce_config_selectorIiEEZNS1_11reduce_implILb1ES3_N6thrust23THRUST_200600_302600_NS11hip_rocprim35transform_pair_of_input_iterators_tIiPN3c108BFloat16ESD_NS8_12not_equal_toISC_EEEEPiiNS8_4plusIiEEEE10hipError_tPvRmT1_T2_T3_mT4_P12ihipStream_tbEUlT_E0_NS1_11comp_targetILNS1_3genE10ELNS1_11target_archE1201ELNS1_3gpuE5ELNS1_3repE0EEENS1_30default_config_static_selectorELNS0_4arch9wavefront6targetE1EEEvSN_
    .private_segment_fixed_size: 0
    .sgpr_count:     4
    .sgpr_spill_count: 0
    .symbol:         _ZN7rocprim17ROCPRIM_400000_NS6detail17trampoline_kernelINS0_14default_configENS1_22reduce_config_selectorIiEEZNS1_11reduce_implILb1ES3_N6thrust23THRUST_200600_302600_NS11hip_rocprim35transform_pair_of_input_iterators_tIiPN3c108BFloat16ESD_NS8_12not_equal_toISC_EEEEPiiNS8_4plusIiEEEE10hipError_tPvRmT1_T2_T3_mT4_P12ihipStream_tbEUlT_E0_NS1_11comp_targetILNS1_3genE10ELNS1_11target_archE1201ELNS1_3gpuE5ELNS1_3repE0EEENS1_30default_config_static_selectorELNS0_4arch9wavefront6targetE1EEEvSN_.kd
    .uniform_work_group_size: 1
    .uses_dynamic_stack: false
    .vgpr_count:     0
    .vgpr_spill_count: 0
    .wavefront_size: 64
  - .args:
      - .offset:         0
        .size:           72
        .value_kind:     by_value
    .group_segment_fixed_size: 0
    .kernarg_segment_align: 8
    .kernarg_segment_size: 72
    .language:       OpenCL C
    .language_version:
      - 2
      - 0
    .max_flat_workgroup_size: 256
    .name:           _ZN7rocprim17ROCPRIM_400000_NS6detail17trampoline_kernelINS0_14default_configENS1_22reduce_config_selectorIiEEZNS1_11reduce_implILb1ES3_N6thrust23THRUST_200600_302600_NS11hip_rocprim35transform_pair_of_input_iterators_tIiPN3c108BFloat16ESD_NS8_12not_equal_toISC_EEEEPiiNS8_4plusIiEEEE10hipError_tPvRmT1_T2_T3_mT4_P12ihipStream_tbEUlT_E0_NS1_11comp_targetILNS1_3genE10ELNS1_11target_archE1200ELNS1_3gpuE4ELNS1_3repE0EEENS1_30default_config_static_selectorELNS0_4arch9wavefront6targetE1EEEvSN_
    .private_segment_fixed_size: 0
    .sgpr_count:     4
    .sgpr_spill_count: 0
    .symbol:         _ZN7rocprim17ROCPRIM_400000_NS6detail17trampoline_kernelINS0_14default_configENS1_22reduce_config_selectorIiEEZNS1_11reduce_implILb1ES3_N6thrust23THRUST_200600_302600_NS11hip_rocprim35transform_pair_of_input_iterators_tIiPN3c108BFloat16ESD_NS8_12not_equal_toISC_EEEEPiiNS8_4plusIiEEEE10hipError_tPvRmT1_T2_T3_mT4_P12ihipStream_tbEUlT_E0_NS1_11comp_targetILNS1_3genE10ELNS1_11target_archE1200ELNS1_3gpuE4ELNS1_3repE0EEENS1_30default_config_static_selectorELNS0_4arch9wavefront6targetE1EEEvSN_.kd
    .uniform_work_group_size: 1
    .uses_dynamic_stack: false
    .vgpr_count:     0
    .vgpr_spill_count: 0
    .wavefront_size: 64
  - .args:
      - .offset:         0
        .size:           72
        .value_kind:     by_value
    .group_segment_fixed_size: 0
    .kernarg_segment_align: 8
    .kernarg_segment_size: 72
    .language:       OpenCL C
    .language_version:
      - 2
      - 0
    .max_flat_workgroup_size: 256
    .name:           _ZN7rocprim17ROCPRIM_400000_NS6detail17trampoline_kernelINS0_14default_configENS1_22reduce_config_selectorIiEEZNS1_11reduce_implILb1ES3_N6thrust23THRUST_200600_302600_NS11hip_rocprim35transform_pair_of_input_iterators_tIiPN3c108BFloat16ESD_NS8_12not_equal_toISC_EEEEPiiNS8_4plusIiEEEE10hipError_tPvRmT1_T2_T3_mT4_P12ihipStream_tbEUlT_E0_NS1_11comp_targetILNS1_3genE9ELNS1_11target_archE1100ELNS1_3gpuE3ELNS1_3repE0EEENS1_30default_config_static_selectorELNS0_4arch9wavefront6targetE1EEEvSN_
    .private_segment_fixed_size: 0
    .sgpr_count:     4
    .sgpr_spill_count: 0
    .symbol:         _ZN7rocprim17ROCPRIM_400000_NS6detail17trampoline_kernelINS0_14default_configENS1_22reduce_config_selectorIiEEZNS1_11reduce_implILb1ES3_N6thrust23THRUST_200600_302600_NS11hip_rocprim35transform_pair_of_input_iterators_tIiPN3c108BFloat16ESD_NS8_12not_equal_toISC_EEEEPiiNS8_4plusIiEEEE10hipError_tPvRmT1_T2_T3_mT4_P12ihipStream_tbEUlT_E0_NS1_11comp_targetILNS1_3genE9ELNS1_11target_archE1100ELNS1_3gpuE3ELNS1_3repE0EEENS1_30default_config_static_selectorELNS0_4arch9wavefront6targetE1EEEvSN_.kd
    .uniform_work_group_size: 1
    .uses_dynamic_stack: false
    .vgpr_count:     0
    .vgpr_spill_count: 0
    .wavefront_size: 64
  - .args:
      - .offset:         0
        .size:           72
        .value_kind:     by_value
    .group_segment_fixed_size: 0
    .kernarg_segment_align: 8
    .kernarg_segment_size: 72
    .language:       OpenCL C
    .language_version:
      - 2
      - 0
    .max_flat_workgroup_size: 256
    .name:           _ZN7rocprim17ROCPRIM_400000_NS6detail17trampoline_kernelINS0_14default_configENS1_22reduce_config_selectorIiEEZNS1_11reduce_implILb1ES3_N6thrust23THRUST_200600_302600_NS11hip_rocprim35transform_pair_of_input_iterators_tIiPN3c108BFloat16ESD_NS8_12not_equal_toISC_EEEEPiiNS8_4plusIiEEEE10hipError_tPvRmT1_T2_T3_mT4_P12ihipStream_tbEUlT_E0_NS1_11comp_targetILNS1_3genE8ELNS1_11target_archE1030ELNS1_3gpuE2ELNS1_3repE0EEENS1_30default_config_static_selectorELNS0_4arch9wavefront6targetE1EEEvSN_
    .private_segment_fixed_size: 0
    .sgpr_count:     4
    .sgpr_spill_count: 0
    .symbol:         _ZN7rocprim17ROCPRIM_400000_NS6detail17trampoline_kernelINS0_14default_configENS1_22reduce_config_selectorIiEEZNS1_11reduce_implILb1ES3_N6thrust23THRUST_200600_302600_NS11hip_rocprim35transform_pair_of_input_iterators_tIiPN3c108BFloat16ESD_NS8_12not_equal_toISC_EEEEPiiNS8_4plusIiEEEE10hipError_tPvRmT1_T2_T3_mT4_P12ihipStream_tbEUlT_E0_NS1_11comp_targetILNS1_3genE8ELNS1_11target_archE1030ELNS1_3gpuE2ELNS1_3repE0EEENS1_30default_config_static_selectorELNS0_4arch9wavefront6targetE1EEEvSN_.kd
    .uniform_work_group_size: 1
    .uses_dynamic_stack: false
    .vgpr_count:     0
    .vgpr_spill_count: 0
    .wavefront_size: 64
  - .args:
      - .offset:         0
        .size:           56
        .value_kind:     by_value
    .group_segment_fixed_size: 0
    .kernarg_segment_align: 8
    .kernarg_segment_size: 56
    .language:       OpenCL C
    .language_version:
      - 2
      - 0
    .max_flat_workgroup_size: 256
    .name:           _ZN7rocprim17ROCPRIM_400000_NS6detail17trampoline_kernelINS0_14default_configENS1_22reduce_config_selectorIiEEZNS1_11reduce_implILb1ES3_N6thrust23THRUST_200600_302600_NS11hip_rocprim35transform_pair_of_input_iterators_tIiPN3c108BFloat16ESD_NS8_12not_equal_toISC_EEEEPiiNS8_4plusIiEEEE10hipError_tPvRmT1_T2_T3_mT4_P12ihipStream_tbEUlT_E1_NS1_11comp_targetILNS1_3genE0ELNS1_11target_archE4294967295ELNS1_3gpuE0ELNS1_3repE0EEENS1_30default_config_static_selectorELNS0_4arch9wavefront6targetE1EEEvSN_
    .private_segment_fixed_size: 0
    .sgpr_count:     4
    .sgpr_spill_count: 0
    .symbol:         _ZN7rocprim17ROCPRIM_400000_NS6detail17trampoline_kernelINS0_14default_configENS1_22reduce_config_selectorIiEEZNS1_11reduce_implILb1ES3_N6thrust23THRUST_200600_302600_NS11hip_rocprim35transform_pair_of_input_iterators_tIiPN3c108BFloat16ESD_NS8_12not_equal_toISC_EEEEPiiNS8_4plusIiEEEE10hipError_tPvRmT1_T2_T3_mT4_P12ihipStream_tbEUlT_E1_NS1_11comp_targetILNS1_3genE0ELNS1_11target_archE4294967295ELNS1_3gpuE0ELNS1_3repE0EEENS1_30default_config_static_selectorELNS0_4arch9wavefront6targetE1EEEvSN_.kd
    .uniform_work_group_size: 1
    .uses_dynamic_stack: false
    .vgpr_count:     0
    .vgpr_spill_count: 0
    .wavefront_size: 64
  - .args:
      - .offset:         0
        .size:           56
        .value_kind:     by_value
    .group_segment_fixed_size: 0
    .kernarg_segment_align: 8
    .kernarg_segment_size: 56
    .language:       OpenCL C
    .language_version:
      - 2
      - 0
    .max_flat_workgroup_size: 256
    .name:           _ZN7rocprim17ROCPRIM_400000_NS6detail17trampoline_kernelINS0_14default_configENS1_22reduce_config_selectorIiEEZNS1_11reduce_implILb1ES3_N6thrust23THRUST_200600_302600_NS11hip_rocprim35transform_pair_of_input_iterators_tIiPN3c108BFloat16ESD_NS8_12not_equal_toISC_EEEEPiiNS8_4plusIiEEEE10hipError_tPvRmT1_T2_T3_mT4_P12ihipStream_tbEUlT_E1_NS1_11comp_targetILNS1_3genE5ELNS1_11target_archE942ELNS1_3gpuE9ELNS1_3repE0EEENS1_30default_config_static_selectorELNS0_4arch9wavefront6targetE1EEEvSN_
    .private_segment_fixed_size: 0
    .sgpr_count:     4
    .sgpr_spill_count: 0
    .symbol:         _ZN7rocprim17ROCPRIM_400000_NS6detail17trampoline_kernelINS0_14default_configENS1_22reduce_config_selectorIiEEZNS1_11reduce_implILb1ES3_N6thrust23THRUST_200600_302600_NS11hip_rocprim35transform_pair_of_input_iterators_tIiPN3c108BFloat16ESD_NS8_12not_equal_toISC_EEEEPiiNS8_4plusIiEEEE10hipError_tPvRmT1_T2_T3_mT4_P12ihipStream_tbEUlT_E1_NS1_11comp_targetILNS1_3genE5ELNS1_11target_archE942ELNS1_3gpuE9ELNS1_3repE0EEENS1_30default_config_static_selectorELNS0_4arch9wavefront6targetE1EEEvSN_.kd
    .uniform_work_group_size: 1
    .uses_dynamic_stack: false
    .vgpr_count:     0
    .vgpr_spill_count: 0
    .wavefront_size: 64
  - .args:
      - .offset:         0
        .size:           56
        .value_kind:     by_value
    .group_segment_fixed_size: 0
    .kernarg_segment_align: 8
    .kernarg_segment_size: 56
    .language:       OpenCL C
    .language_version:
      - 2
      - 0
    .max_flat_workgroup_size: 128
    .name:           _ZN7rocprim17ROCPRIM_400000_NS6detail17trampoline_kernelINS0_14default_configENS1_22reduce_config_selectorIiEEZNS1_11reduce_implILb1ES3_N6thrust23THRUST_200600_302600_NS11hip_rocprim35transform_pair_of_input_iterators_tIiPN3c108BFloat16ESD_NS8_12not_equal_toISC_EEEEPiiNS8_4plusIiEEEE10hipError_tPvRmT1_T2_T3_mT4_P12ihipStream_tbEUlT_E1_NS1_11comp_targetILNS1_3genE4ELNS1_11target_archE910ELNS1_3gpuE8ELNS1_3repE0EEENS1_30default_config_static_selectorELNS0_4arch9wavefront6targetE1EEEvSN_
    .private_segment_fixed_size: 0
    .sgpr_count:     4
    .sgpr_spill_count: 0
    .symbol:         _ZN7rocprim17ROCPRIM_400000_NS6detail17trampoline_kernelINS0_14default_configENS1_22reduce_config_selectorIiEEZNS1_11reduce_implILb1ES3_N6thrust23THRUST_200600_302600_NS11hip_rocprim35transform_pair_of_input_iterators_tIiPN3c108BFloat16ESD_NS8_12not_equal_toISC_EEEEPiiNS8_4plusIiEEEE10hipError_tPvRmT1_T2_T3_mT4_P12ihipStream_tbEUlT_E1_NS1_11comp_targetILNS1_3genE4ELNS1_11target_archE910ELNS1_3gpuE8ELNS1_3repE0EEENS1_30default_config_static_selectorELNS0_4arch9wavefront6targetE1EEEvSN_.kd
    .uniform_work_group_size: 1
    .uses_dynamic_stack: false
    .vgpr_count:     0
    .vgpr_spill_count: 0
    .wavefront_size: 64
  - .args:
      - .offset:         0
        .size:           56
        .value_kind:     by_value
    .group_segment_fixed_size: 0
    .kernarg_segment_align: 8
    .kernarg_segment_size: 56
    .language:       OpenCL C
    .language_version:
      - 2
      - 0
    .max_flat_workgroup_size: 256
    .name:           _ZN7rocprim17ROCPRIM_400000_NS6detail17trampoline_kernelINS0_14default_configENS1_22reduce_config_selectorIiEEZNS1_11reduce_implILb1ES3_N6thrust23THRUST_200600_302600_NS11hip_rocprim35transform_pair_of_input_iterators_tIiPN3c108BFloat16ESD_NS8_12not_equal_toISC_EEEEPiiNS8_4plusIiEEEE10hipError_tPvRmT1_T2_T3_mT4_P12ihipStream_tbEUlT_E1_NS1_11comp_targetILNS1_3genE3ELNS1_11target_archE908ELNS1_3gpuE7ELNS1_3repE0EEENS1_30default_config_static_selectorELNS0_4arch9wavefront6targetE1EEEvSN_
    .private_segment_fixed_size: 0
    .sgpr_count:     4
    .sgpr_spill_count: 0
    .symbol:         _ZN7rocprim17ROCPRIM_400000_NS6detail17trampoline_kernelINS0_14default_configENS1_22reduce_config_selectorIiEEZNS1_11reduce_implILb1ES3_N6thrust23THRUST_200600_302600_NS11hip_rocprim35transform_pair_of_input_iterators_tIiPN3c108BFloat16ESD_NS8_12not_equal_toISC_EEEEPiiNS8_4plusIiEEEE10hipError_tPvRmT1_T2_T3_mT4_P12ihipStream_tbEUlT_E1_NS1_11comp_targetILNS1_3genE3ELNS1_11target_archE908ELNS1_3gpuE7ELNS1_3repE0EEENS1_30default_config_static_selectorELNS0_4arch9wavefront6targetE1EEEvSN_.kd
    .uniform_work_group_size: 1
    .uses_dynamic_stack: false
    .vgpr_count:     0
    .vgpr_spill_count: 0
    .wavefront_size: 64
  - .args:
      - .offset:         0
        .size:           56
        .value_kind:     by_value
    .group_segment_fixed_size: 112
    .kernarg_segment_align: 8
    .kernarg_segment_size: 56
    .language:       OpenCL C
    .language_version:
      - 2
      - 0
    .max_flat_workgroup_size: 256
    .name:           _ZN7rocprim17ROCPRIM_400000_NS6detail17trampoline_kernelINS0_14default_configENS1_22reduce_config_selectorIiEEZNS1_11reduce_implILb1ES3_N6thrust23THRUST_200600_302600_NS11hip_rocprim35transform_pair_of_input_iterators_tIiPN3c108BFloat16ESD_NS8_12not_equal_toISC_EEEEPiiNS8_4plusIiEEEE10hipError_tPvRmT1_T2_T3_mT4_P12ihipStream_tbEUlT_E1_NS1_11comp_targetILNS1_3genE2ELNS1_11target_archE906ELNS1_3gpuE6ELNS1_3repE0EEENS1_30default_config_static_selectorELNS0_4arch9wavefront6targetE1EEEvSN_
    .private_segment_fixed_size: 0
    .sgpr_count:     56
    .sgpr_spill_count: 0
    .symbol:         _ZN7rocprim17ROCPRIM_400000_NS6detail17trampoline_kernelINS0_14default_configENS1_22reduce_config_selectorIiEEZNS1_11reduce_implILb1ES3_N6thrust23THRUST_200600_302600_NS11hip_rocprim35transform_pair_of_input_iterators_tIiPN3c108BFloat16ESD_NS8_12not_equal_toISC_EEEEPiiNS8_4plusIiEEEE10hipError_tPvRmT1_T2_T3_mT4_P12ihipStream_tbEUlT_E1_NS1_11comp_targetILNS1_3genE2ELNS1_11target_archE906ELNS1_3gpuE6ELNS1_3repE0EEENS1_30default_config_static_selectorELNS0_4arch9wavefront6targetE1EEEvSN_.kd
    .uniform_work_group_size: 1
    .uses_dynamic_stack: false
    .vgpr_count:     35
    .vgpr_spill_count: 0
    .wavefront_size: 64
  - .args:
      - .offset:         0
        .size:           56
        .value_kind:     by_value
    .group_segment_fixed_size: 0
    .kernarg_segment_align: 8
    .kernarg_segment_size: 56
    .language:       OpenCL C
    .language_version:
      - 2
      - 0
    .max_flat_workgroup_size: 256
    .name:           _ZN7rocprim17ROCPRIM_400000_NS6detail17trampoline_kernelINS0_14default_configENS1_22reduce_config_selectorIiEEZNS1_11reduce_implILb1ES3_N6thrust23THRUST_200600_302600_NS11hip_rocprim35transform_pair_of_input_iterators_tIiPN3c108BFloat16ESD_NS8_12not_equal_toISC_EEEEPiiNS8_4plusIiEEEE10hipError_tPvRmT1_T2_T3_mT4_P12ihipStream_tbEUlT_E1_NS1_11comp_targetILNS1_3genE10ELNS1_11target_archE1201ELNS1_3gpuE5ELNS1_3repE0EEENS1_30default_config_static_selectorELNS0_4arch9wavefront6targetE1EEEvSN_
    .private_segment_fixed_size: 0
    .sgpr_count:     4
    .sgpr_spill_count: 0
    .symbol:         _ZN7rocprim17ROCPRIM_400000_NS6detail17trampoline_kernelINS0_14default_configENS1_22reduce_config_selectorIiEEZNS1_11reduce_implILb1ES3_N6thrust23THRUST_200600_302600_NS11hip_rocprim35transform_pair_of_input_iterators_tIiPN3c108BFloat16ESD_NS8_12not_equal_toISC_EEEEPiiNS8_4plusIiEEEE10hipError_tPvRmT1_T2_T3_mT4_P12ihipStream_tbEUlT_E1_NS1_11comp_targetILNS1_3genE10ELNS1_11target_archE1201ELNS1_3gpuE5ELNS1_3repE0EEENS1_30default_config_static_selectorELNS0_4arch9wavefront6targetE1EEEvSN_.kd
    .uniform_work_group_size: 1
    .uses_dynamic_stack: false
    .vgpr_count:     0
    .vgpr_spill_count: 0
    .wavefront_size: 64
  - .args:
      - .offset:         0
        .size:           56
        .value_kind:     by_value
    .group_segment_fixed_size: 0
    .kernarg_segment_align: 8
    .kernarg_segment_size: 56
    .language:       OpenCL C
    .language_version:
      - 2
      - 0
    .max_flat_workgroup_size: 256
    .name:           _ZN7rocprim17ROCPRIM_400000_NS6detail17trampoline_kernelINS0_14default_configENS1_22reduce_config_selectorIiEEZNS1_11reduce_implILb1ES3_N6thrust23THRUST_200600_302600_NS11hip_rocprim35transform_pair_of_input_iterators_tIiPN3c108BFloat16ESD_NS8_12not_equal_toISC_EEEEPiiNS8_4plusIiEEEE10hipError_tPvRmT1_T2_T3_mT4_P12ihipStream_tbEUlT_E1_NS1_11comp_targetILNS1_3genE10ELNS1_11target_archE1200ELNS1_3gpuE4ELNS1_3repE0EEENS1_30default_config_static_selectorELNS0_4arch9wavefront6targetE1EEEvSN_
    .private_segment_fixed_size: 0
    .sgpr_count:     4
    .sgpr_spill_count: 0
    .symbol:         _ZN7rocprim17ROCPRIM_400000_NS6detail17trampoline_kernelINS0_14default_configENS1_22reduce_config_selectorIiEEZNS1_11reduce_implILb1ES3_N6thrust23THRUST_200600_302600_NS11hip_rocprim35transform_pair_of_input_iterators_tIiPN3c108BFloat16ESD_NS8_12not_equal_toISC_EEEEPiiNS8_4plusIiEEEE10hipError_tPvRmT1_T2_T3_mT4_P12ihipStream_tbEUlT_E1_NS1_11comp_targetILNS1_3genE10ELNS1_11target_archE1200ELNS1_3gpuE4ELNS1_3repE0EEENS1_30default_config_static_selectorELNS0_4arch9wavefront6targetE1EEEvSN_.kd
    .uniform_work_group_size: 1
    .uses_dynamic_stack: false
    .vgpr_count:     0
    .vgpr_spill_count: 0
    .wavefront_size: 64
  - .args:
      - .offset:         0
        .size:           56
        .value_kind:     by_value
    .group_segment_fixed_size: 0
    .kernarg_segment_align: 8
    .kernarg_segment_size: 56
    .language:       OpenCL C
    .language_version:
      - 2
      - 0
    .max_flat_workgroup_size: 256
    .name:           _ZN7rocprim17ROCPRIM_400000_NS6detail17trampoline_kernelINS0_14default_configENS1_22reduce_config_selectorIiEEZNS1_11reduce_implILb1ES3_N6thrust23THRUST_200600_302600_NS11hip_rocprim35transform_pair_of_input_iterators_tIiPN3c108BFloat16ESD_NS8_12not_equal_toISC_EEEEPiiNS8_4plusIiEEEE10hipError_tPvRmT1_T2_T3_mT4_P12ihipStream_tbEUlT_E1_NS1_11comp_targetILNS1_3genE9ELNS1_11target_archE1100ELNS1_3gpuE3ELNS1_3repE0EEENS1_30default_config_static_selectorELNS0_4arch9wavefront6targetE1EEEvSN_
    .private_segment_fixed_size: 0
    .sgpr_count:     4
    .sgpr_spill_count: 0
    .symbol:         _ZN7rocprim17ROCPRIM_400000_NS6detail17trampoline_kernelINS0_14default_configENS1_22reduce_config_selectorIiEEZNS1_11reduce_implILb1ES3_N6thrust23THRUST_200600_302600_NS11hip_rocprim35transform_pair_of_input_iterators_tIiPN3c108BFloat16ESD_NS8_12not_equal_toISC_EEEEPiiNS8_4plusIiEEEE10hipError_tPvRmT1_T2_T3_mT4_P12ihipStream_tbEUlT_E1_NS1_11comp_targetILNS1_3genE9ELNS1_11target_archE1100ELNS1_3gpuE3ELNS1_3repE0EEENS1_30default_config_static_selectorELNS0_4arch9wavefront6targetE1EEEvSN_.kd
    .uniform_work_group_size: 1
    .uses_dynamic_stack: false
    .vgpr_count:     0
    .vgpr_spill_count: 0
    .wavefront_size: 64
  - .args:
      - .offset:         0
        .size:           56
        .value_kind:     by_value
    .group_segment_fixed_size: 0
    .kernarg_segment_align: 8
    .kernarg_segment_size: 56
    .language:       OpenCL C
    .language_version:
      - 2
      - 0
    .max_flat_workgroup_size: 256
    .name:           _ZN7rocprim17ROCPRIM_400000_NS6detail17trampoline_kernelINS0_14default_configENS1_22reduce_config_selectorIiEEZNS1_11reduce_implILb1ES3_N6thrust23THRUST_200600_302600_NS11hip_rocprim35transform_pair_of_input_iterators_tIiPN3c108BFloat16ESD_NS8_12not_equal_toISC_EEEEPiiNS8_4plusIiEEEE10hipError_tPvRmT1_T2_T3_mT4_P12ihipStream_tbEUlT_E1_NS1_11comp_targetILNS1_3genE8ELNS1_11target_archE1030ELNS1_3gpuE2ELNS1_3repE0EEENS1_30default_config_static_selectorELNS0_4arch9wavefront6targetE1EEEvSN_
    .private_segment_fixed_size: 0
    .sgpr_count:     4
    .sgpr_spill_count: 0
    .symbol:         _ZN7rocprim17ROCPRIM_400000_NS6detail17trampoline_kernelINS0_14default_configENS1_22reduce_config_selectorIiEEZNS1_11reduce_implILb1ES3_N6thrust23THRUST_200600_302600_NS11hip_rocprim35transform_pair_of_input_iterators_tIiPN3c108BFloat16ESD_NS8_12not_equal_toISC_EEEEPiiNS8_4plusIiEEEE10hipError_tPvRmT1_T2_T3_mT4_P12ihipStream_tbEUlT_E1_NS1_11comp_targetILNS1_3genE8ELNS1_11target_archE1030ELNS1_3gpuE2ELNS1_3repE0EEENS1_30default_config_static_selectorELNS0_4arch9wavefront6targetE1EEEvSN_.kd
    .uniform_work_group_size: 1
    .uses_dynamic_stack: false
    .vgpr_count:     0
    .vgpr_spill_count: 0
    .wavefront_size: 64
  - .args:
      - .offset:         0
        .size:           144
        .value_kind:     by_value
    .group_segment_fixed_size: 0
    .kernarg_segment_align: 8
    .kernarg_segment_size: 144
    .language:       OpenCL C
    .language_version:
      - 2
      - 0
    .max_flat_workgroup_size: 256
    .name:           _ZN7rocprim17ROCPRIM_400000_NS6detail17trampoline_kernelINS0_14default_configENS1_29reduce_by_key_config_selectorIN3c108BFloat16ElN6thrust23THRUST_200600_302600_NS4plusIlEEEEZZNS1_33reduce_by_key_impl_wrapped_configILNS1_25lookback_scan_determinismE0ES3_SB_PS6_NS8_17constant_iteratorIiNS8_11use_defaultESG_EENS8_10device_ptrIS6_EENSI_IlEEPmSA_NS8_8equal_toIS6_EEEE10hipError_tPvRmT2_T3_mT4_T5_T6_T7_T8_P12ihipStream_tbENKUlT_T0_E_clISt17integral_constantIbLb0EES15_EEDaS10_S11_EUlS10_E_NS1_11comp_targetILNS1_3genE0ELNS1_11target_archE4294967295ELNS1_3gpuE0ELNS1_3repE0EEENS1_30default_config_static_selectorELNS0_4arch9wavefront6targetE1EEEvT1_
    .private_segment_fixed_size: 0
    .sgpr_count:     4
    .sgpr_spill_count: 0
    .symbol:         _ZN7rocprim17ROCPRIM_400000_NS6detail17trampoline_kernelINS0_14default_configENS1_29reduce_by_key_config_selectorIN3c108BFloat16ElN6thrust23THRUST_200600_302600_NS4plusIlEEEEZZNS1_33reduce_by_key_impl_wrapped_configILNS1_25lookback_scan_determinismE0ES3_SB_PS6_NS8_17constant_iteratorIiNS8_11use_defaultESG_EENS8_10device_ptrIS6_EENSI_IlEEPmSA_NS8_8equal_toIS6_EEEE10hipError_tPvRmT2_T3_mT4_T5_T6_T7_T8_P12ihipStream_tbENKUlT_T0_E_clISt17integral_constantIbLb0EES15_EEDaS10_S11_EUlS10_E_NS1_11comp_targetILNS1_3genE0ELNS1_11target_archE4294967295ELNS1_3gpuE0ELNS1_3repE0EEENS1_30default_config_static_selectorELNS0_4arch9wavefront6targetE1EEEvT1_.kd
    .uniform_work_group_size: 1
    .uses_dynamic_stack: false
    .vgpr_count:     0
    .vgpr_spill_count: 0
    .wavefront_size: 64
  - .args:
      - .offset:         0
        .size:           144
        .value_kind:     by_value
    .group_segment_fixed_size: 0
    .kernarg_segment_align: 8
    .kernarg_segment_size: 144
    .language:       OpenCL C
    .language_version:
      - 2
      - 0
    .max_flat_workgroup_size: 256
    .name:           _ZN7rocprim17ROCPRIM_400000_NS6detail17trampoline_kernelINS0_14default_configENS1_29reduce_by_key_config_selectorIN3c108BFloat16ElN6thrust23THRUST_200600_302600_NS4plusIlEEEEZZNS1_33reduce_by_key_impl_wrapped_configILNS1_25lookback_scan_determinismE0ES3_SB_PS6_NS8_17constant_iteratorIiNS8_11use_defaultESG_EENS8_10device_ptrIS6_EENSI_IlEEPmSA_NS8_8equal_toIS6_EEEE10hipError_tPvRmT2_T3_mT4_T5_T6_T7_T8_P12ihipStream_tbENKUlT_T0_E_clISt17integral_constantIbLb0EES15_EEDaS10_S11_EUlS10_E_NS1_11comp_targetILNS1_3genE5ELNS1_11target_archE942ELNS1_3gpuE9ELNS1_3repE0EEENS1_30default_config_static_selectorELNS0_4arch9wavefront6targetE1EEEvT1_
    .private_segment_fixed_size: 0
    .sgpr_count:     4
    .sgpr_spill_count: 0
    .symbol:         _ZN7rocprim17ROCPRIM_400000_NS6detail17trampoline_kernelINS0_14default_configENS1_29reduce_by_key_config_selectorIN3c108BFloat16ElN6thrust23THRUST_200600_302600_NS4plusIlEEEEZZNS1_33reduce_by_key_impl_wrapped_configILNS1_25lookback_scan_determinismE0ES3_SB_PS6_NS8_17constant_iteratorIiNS8_11use_defaultESG_EENS8_10device_ptrIS6_EENSI_IlEEPmSA_NS8_8equal_toIS6_EEEE10hipError_tPvRmT2_T3_mT4_T5_T6_T7_T8_P12ihipStream_tbENKUlT_T0_E_clISt17integral_constantIbLb0EES15_EEDaS10_S11_EUlS10_E_NS1_11comp_targetILNS1_3genE5ELNS1_11target_archE942ELNS1_3gpuE9ELNS1_3repE0EEENS1_30default_config_static_selectorELNS0_4arch9wavefront6targetE1EEEvT1_.kd
    .uniform_work_group_size: 1
    .uses_dynamic_stack: false
    .vgpr_count:     0
    .vgpr_spill_count: 0
    .wavefront_size: 64
  - .args:
      - .offset:         0
        .size:           144
        .value_kind:     by_value
    .group_segment_fixed_size: 0
    .kernarg_segment_align: 8
    .kernarg_segment_size: 144
    .language:       OpenCL C
    .language_version:
      - 2
      - 0
    .max_flat_workgroup_size: 256
    .name:           _ZN7rocprim17ROCPRIM_400000_NS6detail17trampoline_kernelINS0_14default_configENS1_29reduce_by_key_config_selectorIN3c108BFloat16ElN6thrust23THRUST_200600_302600_NS4plusIlEEEEZZNS1_33reduce_by_key_impl_wrapped_configILNS1_25lookback_scan_determinismE0ES3_SB_PS6_NS8_17constant_iteratorIiNS8_11use_defaultESG_EENS8_10device_ptrIS6_EENSI_IlEEPmSA_NS8_8equal_toIS6_EEEE10hipError_tPvRmT2_T3_mT4_T5_T6_T7_T8_P12ihipStream_tbENKUlT_T0_E_clISt17integral_constantIbLb0EES15_EEDaS10_S11_EUlS10_E_NS1_11comp_targetILNS1_3genE4ELNS1_11target_archE910ELNS1_3gpuE8ELNS1_3repE0EEENS1_30default_config_static_selectorELNS0_4arch9wavefront6targetE1EEEvT1_
    .private_segment_fixed_size: 0
    .sgpr_count:     4
    .sgpr_spill_count: 0
    .symbol:         _ZN7rocprim17ROCPRIM_400000_NS6detail17trampoline_kernelINS0_14default_configENS1_29reduce_by_key_config_selectorIN3c108BFloat16ElN6thrust23THRUST_200600_302600_NS4plusIlEEEEZZNS1_33reduce_by_key_impl_wrapped_configILNS1_25lookback_scan_determinismE0ES3_SB_PS6_NS8_17constant_iteratorIiNS8_11use_defaultESG_EENS8_10device_ptrIS6_EENSI_IlEEPmSA_NS8_8equal_toIS6_EEEE10hipError_tPvRmT2_T3_mT4_T5_T6_T7_T8_P12ihipStream_tbENKUlT_T0_E_clISt17integral_constantIbLb0EES15_EEDaS10_S11_EUlS10_E_NS1_11comp_targetILNS1_3genE4ELNS1_11target_archE910ELNS1_3gpuE8ELNS1_3repE0EEENS1_30default_config_static_selectorELNS0_4arch9wavefront6targetE1EEEvT1_.kd
    .uniform_work_group_size: 1
    .uses_dynamic_stack: false
    .vgpr_count:     0
    .vgpr_spill_count: 0
    .wavefront_size: 64
  - .args:
      - .offset:         0
        .size:           144
        .value_kind:     by_value
    .group_segment_fixed_size: 0
    .kernarg_segment_align: 8
    .kernarg_segment_size: 144
    .language:       OpenCL C
    .language_version:
      - 2
      - 0
    .max_flat_workgroup_size: 256
    .name:           _ZN7rocprim17ROCPRIM_400000_NS6detail17trampoline_kernelINS0_14default_configENS1_29reduce_by_key_config_selectorIN3c108BFloat16ElN6thrust23THRUST_200600_302600_NS4plusIlEEEEZZNS1_33reduce_by_key_impl_wrapped_configILNS1_25lookback_scan_determinismE0ES3_SB_PS6_NS8_17constant_iteratorIiNS8_11use_defaultESG_EENS8_10device_ptrIS6_EENSI_IlEEPmSA_NS8_8equal_toIS6_EEEE10hipError_tPvRmT2_T3_mT4_T5_T6_T7_T8_P12ihipStream_tbENKUlT_T0_E_clISt17integral_constantIbLb0EES15_EEDaS10_S11_EUlS10_E_NS1_11comp_targetILNS1_3genE3ELNS1_11target_archE908ELNS1_3gpuE7ELNS1_3repE0EEENS1_30default_config_static_selectorELNS0_4arch9wavefront6targetE1EEEvT1_
    .private_segment_fixed_size: 0
    .sgpr_count:     4
    .sgpr_spill_count: 0
    .symbol:         _ZN7rocprim17ROCPRIM_400000_NS6detail17trampoline_kernelINS0_14default_configENS1_29reduce_by_key_config_selectorIN3c108BFloat16ElN6thrust23THRUST_200600_302600_NS4plusIlEEEEZZNS1_33reduce_by_key_impl_wrapped_configILNS1_25lookback_scan_determinismE0ES3_SB_PS6_NS8_17constant_iteratorIiNS8_11use_defaultESG_EENS8_10device_ptrIS6_EENSI_IlEEPmSA_NS8_8equal_toIS6_EEEE10hipError_tPvRmT2_T3_mT4_T5_T6_T7_T8_P12ihipStream_tbENKUlT_T0_E_clISt17integral_constantIbLb0EES15_EEDaS10_S11_EUlS10_E_NS1_11comp_targetILNS1_3genE3ELNS1_11target_archE908ELNS1_3gpuE7ELNS1_3repE0EEENS1_30default_config_static_selectorELNS0_4arch9wavefront6targetE1EEEvT1_.kd
    .uniform_work_group_size: 1
    .uses_dynamic_stack: false
    .vgpr_count:     0
    .vgpr_spill_count: 0
    .wavefront_size: 64
  - .args:
      - .offset:         0
        .size:           144
        .value_kind:     by_value
    .group_segment_fixed_size: 30720
    .kernarg_segment_align: 8
    .kernarg_segment_size: 144
    .language:       OpenCL C
    .language_version:
      - 2
      - 0
    .max_flat_workgroup_size: 256
    .name:           _ZN7rocprim17ROCPRIM_400000_NS6detail17trampoline_kernelINS0_14default_configENS1_29reduce_by_key_config_selectorIN3c108BFloat16ElN6thrust23THRUST_200600_302600_NS4plusIlEEEEZZNS1_33reduce_by_key_impl_wrapped_configILNS1_25lookback_scan_determinismE0ES3_SB_PS6_NS8_17constant_iteratorIiNS8_11use_defaultESG_EENS8_10device_ptrIS6_EENSI_IlEEPmSA_NS8_8equal_toIS6_EEEE10hipError_tPvRmT2_T3_mT4_T5_T6_T7_T8_P12ihipStream_tbENKUlT_T0_E_clISt17integral_constantIbLb0EES15_EEDaS10_S11_EUlS10_E_NS1_11comp_targetILNS1_3genE2ELNS1_11target_archE906ELNS1_3gpuE6ELNS1_3repE0EEENS1_30default_config_static_selectorELNS0_4arch9wavefront6targetE1EEEvT1_
    .private_segment_fixed_size: 64
    .sgpr_count:     70
    .sgpr_spill_count: 0
    .symbol:         _ZN7rocprim17ROCPRIM_400000_NS6detail17trampoline_kernelINS0_14default_configENS1_29reduce_by_key_config_selectorIN3c108BFloat16ElN6thrust23THRUST_200600_302600_NS4plusIlEEEEZZNS1_33reduce_by_key_impl_wrapped_configILNS1_25lookback_scan_determinismE0ES3_SB_PS6_NS8_17constant_iteratorIiNS8_11use_defaultESG_EENS8_10device_ptrIS6_EENSI_IlEEPmSA_NS8_8equal_toIS6_EEEE10hipError_tPvRmT2_T3_mT4_T5_T6_T7_T8_P12ihipStream_tbENKUlT_T0_E_clISt17integral_constantIbLb0EES15_EEDaS10_S11_EUlS10_E_NS1_11comp_targetILNS1_3genE2ELNS1_11target_archE906ELNS1_3gpuE6ELNS1_3repE0EEENS1_30default_config_static_selectorELNS0_4arch9wavefront6targetE1EEEvT1_.kd
    .uniform_work_group_size: 1
    .uses_dynamic_stack: false
    .vgpr_count:     105
    .vgpr_spill_count: 0
    .wavefront_size: 64
  - .args:
      - .offset:         0
        .size:           144
        .value_kind:     by_value
    .group_segment_fixed_size: 0
    .kernarg_segment_align: 8
    .kernarg_segment_size: 144
    .language:       OpenCL C
    .language_version:
      - 2
      - 0
    .max_flat_workgroup_size: 256
    .name:           _ZN7rocprim17ROCPRIM_400000_NS6detail17trampoline_kernelINS0_14default_configENS1_29reduce_by_key_config_selectorIN3c108BFloat16ElN6thrust23THRUST_200600_302600_NS4plusIlEEEEZZNS1_33reduce_by_key_impl_wrapped_configILNS1_25lookback_scan_determinismE0ES3_SB_PS6_NS8_17constant_iteratorIiNS8_11use_defaultESG_EENS8_10device_ptrIS6_EENSI_IlEEPmSA_NS8_8equal_toIS6_EEEE10hipError_tPvRmT2_T3_mT4_T5_T6_T7_T8_P12ihipStream_tbENKUlT_T0_E_clISt17integral_constantIbLb0EES15_EEDaS10_S11_EUlS10_E_NS1_11comp_targetILNS1_3genE10ELNS1_11target_archE1201ELNS1_3gpuE5ELNS1_3repE0EEENS1_30default_config_static_selectorELNS0_4arch9wavefront6targetE1EEEvT1_
    .private_segment_fixed_size: 0
    .sgpr_count:     4
    .sgpr_spill_count: 0
    .symbol:         _ZN7rocprim17ROCPRIM_400000_NS6detail17trampoline_kernelINS0_14default_configENS1_29reduce_by_key_config_selectorIN3c108BFloat16ElN6thrust23THRUST_200600_302600_NS4plusIlEEEEZZNS1_33reduce_by_key_impl_wrapped_configILNS1_25lookback_scan_determinismE0ES3_SB_PS6_NS8_17constant_iteratorIiNS8_11use_defaultESG_EENS8_10device_ptrIS6_EENSI_IlEEPmSA_NS8_8equal_toIS6_EEEE10hipError_tPvRmT2_T3_mT4_T5_T6_T7_T8_P12ihipStream_tbENKUlT_T0_E_clISt17integral_constantIbLb0EES15_EEDaS10_S11_EUlS10_E_NS1_11comp_targetILNS1_3genE10ELNS1_11target_archE1201ELNS1_3gpuE5ELNS1_3repE0EEENS1_30default_config_static_selectorELNS0_4arch9wavefront6targetE1EEEvT1_.kd
    .uniform_work_group_size: 1
    .uses_dynamic_stack: false
    .vgpr_count:     0
    .vgpr_spill_count: 0
    .wavefront_size: 64
  - .args:
      - .offset:         0
        .size:           144
        .value_kind:     by_value
    .group_segment_fixed_size: 0
    .kernarg_segment_align: 8
    .kernarg_segment_size: 144
    .language:       OpenCL C
    .language_version:
      - 2
      - 0
    .max_flat_workgroup_size: 256
    .name:           _ZN7rocprim17ROCPRIM_400000_NS6detail17trampoline_kernelINS0_14default_configENS1_29reduce_by_key_config_selectorIN3c108BFloat16ElN6thrust23THRUST_200600_302600_NS4plusIlEEEEZZNS1_33reduce_by_key_impl_wrapped_configILNS1_25lookback_scan_determinismE0ES3_SB_PS6_NS8_17constant_iteratorIiNS8_11use_defaultESG_EENS8_10device_ptrIS6_EENSI_IlEEPmSA_NS8_8equal_toIS6_EEEE10hipError_tPvRmT2_T3_mT4_T5_T6_T7_T8_P12ihipStream_tbENKUlT_T0_E_clISt17integral_constantIbLb0EES15_EEDaS10_S11_EUlS10_E_NS1_11comp_targetILNS1_3genE10ELNS1_11target_archE1200ELNS1_3gpuE4ELNS1_3repE0EEENS1_30default_config_static_selectorELNS0_4arch9wavefront6targetE1EEEvT1_
    .private_segment_fixed_size: 0
    .sgpr_count:     4
    .sgpr_spill_count: 0
    .symbol:         _ZN7rocprim17ROCPRIM_400000_NS6detail17trampoline_kernelINS0_14default_configENS1_29reduce_by_key_config_selectorIN3c108BFloat16ElN6thrust23THRUST_200600_302600_NS4plusIlEEEEZZNS1_33reduce_by_key_impl_wrapped_configILNS1_25lookback_scan_determinismE0ES3_SB_PS6_NS8_17constant_iteratorIiNS8_11use_defaultESG_EENS8_10device_ptrIS6_EENSI_IlEEPmSA_NS8_8equal_toIS6_EEEE10hipError_tPvRmT2_T3_mT4_T5_T6_T7_T8_P12ihipStream_tbENKUlT_T0_E_clISt17integral_constantIbLb0EES15_EEDaS10_S11_EUlS10_E_NS1_11comp_targetILNS1_3genE10ELNS1_11target_archE1200ELNS1_3gpuE4ELNS1_3repE0EEENS1_30default_config_static_selectorELNS0_4arch9wavefront6targetE1EEEvT1_.kd
    .uniform_work_group_size: 1
    .uses_dynamic_stack: false
    .vgpr_count:     0
    .vgpr_spill_count: 0
    .wavefront_size: 64
  - .args:
      - .offset:         0
        .size:           144
        .value_kind:     by_value
    .group_segment_fixed_size: 0
    .kernarg_segment_align: 8
    .kernarg_segment_size: 144
    .language:       OpenCL C
    .language_version:
      - 2
      - 0
    .max_flat_workgroup_size: 256
    .name:           _ZN7rocprim17ROCPRIM_400000_NS6detail17trampoline_kernelINS0_14default_configENS1_29reduce_by_key_config_selectorIN3c108BFloat16ElN6thrust23THRUST_200600_302600_NS4plusIlEEEEZZNS1_33reduce_by_key_impl_wrapped_configILNS1_25lookback_scan_determinismE0ES3_SB_PS6_NS8_17constant_iteratorIiNS8_11use_defaultESG_EENS8_10device_ptrIS6_EENSI_IlEEPmSA_NS8_8equal_toIS6_EEEE10hipError_tPvRmT2_T3_mT4_T5_T6_T7_T8_P12ihipStream_tbENKUlT_T0_E_clISt17integral_constantIbLb0EES15_EEDaS10_S11_EUlS10_E_NS1_11comp_targetILNS1_3genE9ELNS1_11target_archE1100ELNS1_3gpuE3ELNS1_3repE0EEENS1_30default_config_static_selectorELNS0_4arch9wavefront6targetE1EEEvT1_
    .private_segment_fixed_size: 0
    .sgpr_count:     4
    .sgpr_spill_count: 0
    .symbol:         _ZN7rocprim17ROCPRIM_400000_NS6detail17trampoline_kernelINS0_14default_configENS1_29reduce_by_key_config_selectorIN3c108BFloat16ElN6thrust23THRUST_200600_302600_NS4plusIlEEEEZZNS1_33reduce_by_key_impl_wrapped_configILNS1_25lookback_scan_determinismE0ES3_SB_PS6_NS8_17constant_iteratorIiNS8_11use_defaultESG_EENS8_10device_ptrIS6_EENSI_IlEEPmSA_NS8_8equal_toIS6_EEEE10hipError_tPvRmT2_T3_mT4_T5_T6_T7_T8_P12ihipStream_tbENKUlT_T0_E_clISt17integral_constantIbLb0EES15_EEDaS10_S11_EUlS10_E_NS1_11comp_targetILNS1_3genE9ELNS1_11target_archE1100ELNS1_3gpuE3ELNS1_3repE0EEENS1_30default_config_static_selectorELNS0_4arch9wavefront6targetE1EEEvT1_.kd
    .uniform_work_group_size: 1
    .uses_dynamic_stack: false
    .vgpr_count:     0
    .vgpr_spill_count: 0
    .wavefront_size: 64
  - .args:
      - .offset:         0
        .size:           144
        .value_kind:     by_value
    .group_segment_fixed_size: 0
    .kernarg_segment_align: 8
    .kernarg_segment_size: 144
    .language:       OpenCL C
    .language_version:
      - 2
      - 0
    .max_flat_workgroup_size: 256
    .name:           _ZN7rocprim17ROCPRIM_400000_NS6detail17trampoline_kernelINS0_14default_configENS1_29reduce_by_key_config_selectorIN3c108BFloat16ElN6thrust23THRUST_200600_302600_NS4plusIlEEEEZZNS1_33reduce_by_key_impl_wrapped_configILNS1_25lookback_scan_determinismE0ES3_SB_PS6_NS8_17constant_iteratorIiNS8_11use_defaultESG_EENS8_10device_ptrIS6_EENSI_IlEEPmSA_NS8_8equal_toIS6_EEEE10hipError_tPvRmT2_T3_mT4_T5_T6_T7_T8_P12ihipStream_tbENKUlT_T0_E_clISt17integral_constantIbLb0EES15_EEDaS10_S11_EUlS10_E_NS1_11comp_targetILNS1_3genE8ELNS1_11target_archE1030ELNS1_3gpuE2ELNS1_3repE0EEENS1_30default_config_static_selectorELNS0_4arch9wavefront6targetE1EEEvT1_
    .private_segment_fixed_size: 0
    .sgpr_count:     4
    .sgpr_spill_count: 0
    .symbol:         _ZN7rocprim17ROCPRIM_400000_NS6detail17trampoline_kernelINS0_14default_configENS1_29reduce_by_key_config_selectorIN3c108BFloat16ElN6thrust23THRUST_200600_302600_NS4plusIlEEEEZZNS1_33reduce_by_key_impl_wrapped_configILNS1_25lookback_scan_determinismE0ES3_SB_PS6_NS8_17constant_iteratorIiNS8_11use_defaultESG_EENS8_10device_ptrIS6_EENSI_IlEEPmSA_NS8_8equal_toIS6_EEEE10hipError_tPvRmT2_T3_mT4_T5_T6_T7_T8_P12ihipStream_tbENKUlT_T0_E_clISt17integral_constantIbLb0EES15_EEDaS10_S11_EUlS10_E_NS1_11comp_targetILNS1_3genE8ELNS1_11target_archE1030ELNS1_3gpuE2ELNS1_3repE0EEENS1_30default_config_static_selectorELNS0_4arch9wavefront6targetE1EEEvT1_.kd
    .uniform_work_group_size: 1
    .uses_dynamic_stack: false
    .vgpr_count:     0
    .vgpr_spill_count: 0
    .wavefront_size: 64
  - .args:
      - .offset:         0
        .size:           144
        .value_kind:     by_value
    .group_segment_fixed_size: 0
    .kernarg_segment_align: 8
    .kernarg_segment_size: 144
    .language:       OpenCL C
    .language_version:
      - 2
      - 0
    .max_flat_workgroup_size: 256
    .name:           _ZN7rocprim17ROCPRIM_400000_NS6detail17trampoline_kernelINS0_14default_configENS1_29reduce_by_key_config_selectorIN3c108BFloat16ElN6thrust23THRUST_200600_302600_NS4plusIlEEEEZZNS1_33reduce_by_key_impl_wrapped_configILNS1_25lookback_scan_determinismE0ES3_SB_PS6_NS8_17constant_iteratorIiNS8_11use_defaultESG_EENS8_10device_ptrIS6_EENSI_IlEEPmSA_NS8_8equal_toIS6_EEEE10hipError_tPvRmT2_T3_mT4_T5_T6_T7_T8_P12ihipStream_tbENKUlT_T0_E_clISt17integral_constantIbLb1EES15_EEDaS10_S11_EUlS10_E_NS1_11comp_targetILNS1_3genE0ELNS1_11target_archE4294967295ELNS1_3gpuE0ELNS1_3repE0EEENS1_30default_config_static_selectorELNS0_4arch9wavefront6targetE1EEEvT1_
    .private_segment_fixed_size: 0
    .sgpr_count:     4
    .sgpr_spill_count: 0
    .symbol:         _ZN7rocprim17ROCPRIM_400000_NS6detail17trampoline_kernelINS0_14default_configENS1_29reduce_by_key_config_selectorIN3c108BFloat16ElN6thrust23THRUST_200600_302600_NS4plusIlEEEEZZNS1_33reduce_by_key_impl_wrapped_configILNS1_25lookback_scan_determinismE0ES3_SB_PS6_NS8_17constant_iteratorIiNS8_11use_defaultESG_EENS8_10device_ptrIS6_EENSI_IlEEPmSA_NS8_8equal_toIS6_EEEE10hipError_tPvRmT2_T3_mT4_T5_T6_T7_T8_P12ihipStream_tbENKUlT_T0_E_clISt17integral_constantIbLb1EES15_EEDaS10_S11_EUlS10_E_NS1_11comp_targetILNS1_3genE0ELNS1_11target_archE4294967295ELNS1_3gpuE0ELNS1_3repE0EEENS1_30default_config_static_selectorELNS0_4arch9wavefront6targetE1EEEvT1_.kd
    .uniform_work_group_size: 1
    .uses_dynamic_stack: false
    .vgpr_count:     0
    .vgpr_spill_count: 0
    .wavefront_size: 64
  - .args:
      - .offset:         0
        .size:           144
        .value_kind:     by_value
    .group_segment_fixed_size: 0
    .kernarg_segment_align: 8
    .kernarg_segment_size: 144
    .language:       OpenCL C
    .language_version:
      - 2
      - 0
    .max_flat_workgroup_size: 256
    .name:           _ZN7rocprim17ROCPRIM_400000_NS6detail17trampoline_kernelINS0_14default_configENS1_29reduce_by_key_config_selectorIN3c108BFloat16ElN6thrust23THRUST_200600_302600_NS4plusIlEEEEZZNS1_33reduce_by_key_impl_wrapped_configILNS1_25lookback_scan_determinismE0ES3_SB_PS6_NS8_17constant_iteratorIiNS8_11use_defaultESG_EENS8_10device_ptrIS6_EENSI_IlEEPmSA_NS8_8equal_toIS6_EEEE10hipError_tPvRmT2_T3_mT4_T5_T6_T7_T8_P12ihipStream_tbENKUlT_T0_E_clISt17integral_constantIbLb1EES15_EEDaS10_S11_EUlS10_E_NS1_11comp_targetILNS1_3genE5ELNS1_11target_archE942ELNS1_3gpuE9ELNS1_3repE0EEENS1_30default_config_static_selectorELNS0_4arch9wavefront6targetE1EEEvT1_
    .private_segment_fixed_size: 0
    .sgpr_count:     4
    .sgpr_spill_count: 0
    .symbol:         _ZN7rocprim17ROCPRIM_400000_NS6detail17trampoline_kernelINS0_14default_configENS1_29reduce_by_key_config_selectorIN3c108BFloat16ElN6thrust23THRUST_200600_302600_NS4plusIlEEEEZZNS1_33reduce_by_key_impl_wrapped_configILNS1_25lookback_scan_determinismE0ES3_SB_PS6_NS8_17constant_iteratorIiNS8_11use_defaultESG_EENS8_10device_ptrIS6_EENSI_IlEEPmSA_NS8_8equal_toIS6_EEEE10hipError_tPvRmT2_T3_mT4_T5_T6_T7_T8_P12ihipStream_tbENKUlT_T0_E_clISt17integral_constantIbLb1EES15_EEDaS10_S11_EUlS10_E_NS1_11comp_targetILNS1_3genE5ELNS1_11target_archE942ELNS1_3gpuE9ELNS1_3repE0EEENS1_30default_config_static_selectorELNS0_4arch9wavefront6targetE1EEEvT1_.kd
    .uniform_work_group_size: 1
    .uses_dynamic_stack: false
    .vgpr_count:     0
    .vgpr_spill_count: 0
    .wavefront_size: 64
  - .args:
      - .offset:         0
        .size:           144
        .value_kind:     by_value
    .group_segment_fixed_size: 0
    .kernarg_segment_align: 8
    .kernarg_segment_size: 144
    .language:       OpenCL C
    .language_version:
      - 2
      - 0
    .max_flat_workgroup_size: 256
    .name:           _ZN7rocprim17ROCPRIM_400000_NS6detail17trampoline_kernelINS0_14default_configENS1_29reduce_by_key_config_selectorIN3c108BFloat16ElN6thrust23THRUST_200600_302600_NS4plusIlEEEEZZNS1_33reduce_by_key_impl_wrapped_configILNS1_25lookback_scan_determinismE0ES3_SB_PS6_NS8_17constant_iteratorIiNS8_11use_defaultESG_EENS8_10device_ptrIS6_EENSI_IlEEPmSA_NS8_8equal_toIS6_EEEE10hipError_tPvRmT2_T3_mT4_T5_T6_T7_T8_P12ihipStream_tbENKUlT_T0_E_clISt17integral_constantIbLb1EES15_EEDaS10_S11_EUlS10_E_NS1_11comp_targetILNS1_3genE4ELNS1_11target_archE910ELNS1_3gpuE8ELNS1_3repE0EEENS1_30default_config_static_selectorELNS0_4arch9wavefront6targetE1EEEvT1_
    .private_segment_fixed_size: 0
    .sgpr_count:     4
    .sgpr_spill_count: 0
    .symbol:         _ZN7rocprim17ROCPRIM_400000_NS6detail17trampoline_kernelINS0_14default_configENS1_29reduce_by_key_config_selectorIN3c108BFloat16ElN6thrust23THRUST_200600_302600_NS4plusIlEEEEZZNS1_33reduce_by_key_impl_wrapped_configILNS1_25lookback_scan_determinismE0ES3_SB_PS6_NS8_17constant_iteratorIiNS8_11use_defaultESG_EENS8_10device_ptrIS6_EENSI_IlEEPmSA_NS8_8equal_toIS6_EEEE10hipError_tPvRmT2_T3_mT4_T5_T6_T7_T8_P12ihipStream_tbENKUlT_T0_E_clISt17integral_constantIbLb1EES15_EEDaS10_S11_EUlS10_E_NS1_11comp_targetILNS1_3genE4ELNS1_11target_archE910ELNS1_3gpuE8ELNS1_3repE0EEENS1_30default_config_static_selectorELNS0_4arch9wavefront6targetE1EEEvT1_.kd
    .uniform_work_group_size: 1
    .uses_dynamic_stack: false
    .vgpr_count:     0
    .vgpr_spill_count: 0
    .wavefront_size: 64
  - .args:
      - .offset:         0
        .size:           144
        .value_kind:     by_value
    .group_segment_fixed_size: 0
    .kernarg_segment_align: 8
    .kernarg_segment_size: 144
    .language:       OpenCL C
    .language_version:
      - 2
      - 0
    .max_flat_workgroup_size: 256
    .name:           _ZN7rocprim17ROCPRIM_400000_NS6detail17trampoline_kernelINS0_14default_configENS1_29reduce_by_key_config_selectorIN3c108BFloat16ElN6thrust23THRUST_200600_302600_NS4plusIlEEEEZZNS1_33reduce_by_key_impl_wrapped_configILNS1_25lookback_scan_determinismE0ES3_SB_PS6_NS8_17constant_iteratorIiNS8_11use_defaultESG_EENS8_10device_ptrIS6_EENSI_IlEEPmSA_NS8_8equal_toIS6_EEEE10hipError_tPvRmT2_T3_mT4_T5_T6_T7_T8_P12ihipStream_tbENKUlT_T0_E_clISt17integral_constantIbLb1EES15_EEDaS10_S11_EUlS10_E_NS1_11comp_targetILNS1_3genE3ELNS1_11target_archE908ELNS1_3gpuE7ELNS1_3repE0EEENS1_30default_config_static_selectorELNS0_4arch9wavefront6targetE1EEEvT1_
    .private_segment_fixed_size: 0
    .sgpr_count:     4
    .sgpr_spill_count: 0
    .symbol:         _ZN7rocprim17ROCPRIM_400000_NS6detail17trampoline_kernelINS0_14default_configENS1_29reduce_by_key_config_selectorIN3c108BFloat16ElN6thrust23THRUST_200600_302600_NS4plusIlEEEEZZNS1_33reduce_by_key_impl_wrapped_configILNS1_25lookback_scan_determinismE0ES3_SB_PS6_NS8_17constant_iteratorIiNS8_11use_defaultESG_EENS8_10device_ptrIS6_EENSI_IlEEPmSA_NS8_8equal_toIS6_EEEE10hipError_tPvRmT2_T3_mT4_T5_T6_T7_T8_P12ihipStream_tbENKUlT_T0_E_clISt17integral_constantIbLb1EES15_EEDaS10_S11_EUlS10_E_NS1_11comp_targetILNS1_3genE3ELNS1_11target_archE908ELNS1_3gpuE7ELNS1_3repE0EEENS1_30default_config_static_selectorELNS0_4arch9wavefront6targetE1EEEvT1_.kd
    .uniform_work_group_size: 1
    .uses_dynamic_stack: false
    .vgpr_count:     0
    .vgpr_spill_count: 0
    .wavefront_size: 64
  - .args:
      - .offset:         0
        .size:           144
        .value_kind:     by_value
    .group_segment_fixed_size: 0
    .kernarg_segment_align: 8
    .kernarg_segment_size: 144
    .language:       OpenCL C
    .language_version:
      - 2
      - 0
    .max_flat_workgroup_size: 256
    .name:           _ZN7rocprim17ROCPRIM_400000_NS6detail17trampoline_kernelINS0_14default_configENS1_29reduce_by_key_config_selectorIN3c108BFloat16ElN6thrust23THRUST_200600_302600_NS4plusIlEEEEZZNS1_33reduce_by_key_impl_wrapped_configILNS1_25lookback_scan_determinismE0ES3_SB_PS6_NS8_17constant_iteratorIiNS8_11use_defaultESG_EENS8_10device_ptrIS6_EENSI_IlEEPmSA_NS8_8equal_toIS6_EEEE10hipError_tPvRmT2_T3_mT4_T5_T6_T7_T8_P12ihipStream_tbENKUlT_T0_E_clISt17integral_constantIbLb1EES15_EEDaS10_S11_EUlS10_E_NS1_11comp_targetILNS1_3genE2ELNS1_11target_archE906ELNS1_3gpuE6ELNS1_3repE0EEENS1_30default_config_static_selectorELNS0_4arch9wavefront6targetE1EEEvT1_
    .private_segment_fixed_size: 0
    .sgpr_count:     4
    .sgpr_spill_count: 0
    .symbol:         _ZN7rocprim17ROCPRIM_400000_NS6detail17trampoline_kernelINS0_14default_configENS1_29reduce_by_key_config_selectorIN3c108BFloat16ElN6thrust23THRUST_200600_302600_NS4plusIlEEEEZZNS1_33reduce_by_key_impl_wrapped_configILNS1_25lookback_scan_determinismE0ES3_SB_PS6_NS8_17constant_iteratorIiNS8_11use_defaultESG_EENS8_10device_ptrIS6_EENSI_IlEEPmSA_NS8_8equal_toIS6_EEEE10hipError_tPvRmT2_T3_mT4_T5_T6_T7_T8_P12ihipStream_tbENKUlT_T0_E_clISt17integral_constantIbLb1EES15_EEDaS10_S11_EUlS10_E_NS1_11comp_targetILNS1_3genE2ELNS1_11target_archE906ELNS1_3gpuE6ELNS1_3repE0EEENS1_30default_config_static_selectorELNS0_4arch9wavefront6targetE1EEEvT1_.kd
    .uniform_work_group_size: 1
    .uses_dynamic_stack: false
    .vgpr_count:     0
    .vgpr_spill_count: 0
    .wavefront_size: 64
  - .args:
      - .offset:         0
        .size:           144
        .value_kind:     by_value
    .group_segment_fixed_size: 0
    .kernarg_segment_align: 8
    .kernarg_segment_size: 144
    .language:       OpenCL C
    .language_version:
      - 2
      - 0
    .max_flat_workgroup_size: 256
    .name:           _ZN7rocprim17ROCPRIM_400000_NS6detail17trampoline_kernelINS0_14default_configENS1_29reduce_by_key_config_selectorIN3c108BFloat16ElN6thrust23THRUST_200600_302600_NS4plusIlEEEEZZNS1_33reduce_by_key_impl_wrapped_configILNS1_25lookback_scan_determinismE0ES3_SB_PS6_NS8_17constant_iteratorIiNS8_11use_defaultESG_EENS8_10device_ptrIS6_EENSI_IlEEPmSA_NS8_8equal_toIS6_EEEE10hipError_tPvRmT2_T3_mT4_T5_T6_T7_T8_P12ihipStream_tbENKUlT_T0_E_clISt17integral_constantIbLb1EES15_EEDaS10_S11_EUlS10_E_NS1_11comp_targetILNS1_3genE10ELNS1_11target_archE1201ELNS1_3gpuE5ELNS1_3repE0EEENS1_30default_config_static_selectorELNS0_4arch9wavefront6targetE1EEEvT1_
    .private_segment_fixed_size: 0
    .sgpr_count:     4
    .sgpr_spill_count: 0
    .symbol:         _ZN7rocprim17ROCPRIM_400000_NS6detail17trampoline_kernelINS0_14default_configENS1_29reduce_by_key_config_selectorIN3c108BFloat16ElN6thrust23THRUST_200600_302600_NS4plusIlEEEEZZNS1_33reduce_by_key_impl_wrapped_configILNS1_25lookback_scan_determinismE0ES3_SB_PS6_NS8_17constant_iteratorIiNS8_11use_defaultESG_EENS8_10device_ptrIS6_EENSI_IlEEPmSA_NS8_8equal_toIS6_EEEE10hipError_tPvRmT2_T3_mT4_T5_T6_T7_T8_P12ihipStream_tbENKUlT_T0_E_clISt17integral_constantIbLb1EES15_EEDaS10_S11_EUlS10_E_NS1_11comp_targetILNS1_3genE10ELNS1_11target_archE1201ELNS1_3gpuE5ELNS1_3repE0EEENS1_30default_config_static_selectorELNS0_4arch9wavefront6targetE1EEEvT1_.kd
    .uniform_work_group_size: 1
    .uses_dynamic_stack: false
    .vgpr_count:     0
    .vgpr_spill_count: 0
    .wavefront_size: 64
  - .args:
      - .offset:         0
        .size:           144
        .value_kind:     by_value
    .group_segment_fixed_size: 0
    .kernarg_segment_align: 8
    .kernarg_segment_size: 144
    .language:       OpenCL C
    .language_version:
      - 2
      - 0
    .max_flat_workgroup_size: 256
    .name:           _ZN7rocprim17ROCPRIM_400000_NS6detail17trampoline_kernelINS0_14default_configENS1_29reduce_by_key_config_selectorIN3c108BFloat16ElN6thrust23THRUST_200600_302600_NS4plusIlEEEEZZNS1_33reduce_by_key_impl_wrapped_configILNS1_25lookback_scan_determinismE0ES3_SB_PS6_NS8_17constant_iteratorIiNS8_11use_defaultESG_EENS8_10device_ptrIS6_EENSI_IlEEPmSA_NS8_8equal_toIS6_EEEE10hipError_tPvRmT2_T3_mT4_T5_T6_T7_T8_P12ihipStream_tbENKUlT_T0_E_clISt17integral_constantIbLb1EES15_EEDaS10_S11_EUlS10_E_NS1_11comp_targetILNS1_3genE10ELNS1_11target_archE1200ELNS1_3gpuE4ELNS1_3repE0EEENS1_30default_config_static_selectorELNS0_4arch9wavefront6targetE1EEEvT1_
    .private_segment_fixed_size: 0
    .sgpr_count:     4
    .sgpr_spill_count: 0
    .symbol:         _ZN7rocprim17ROCPRIM_400000_NS6detail17trampoline_kernelINS0_14default_configENS1_29reduce_by_key_config_selectorIN3c108BFloat16ElN6thrust23THRUST_200600_302600_NS4plusIlEEEEZZNS1_33reduce_by_key_impl_wrapped_configILNS1_25lookback_scan_determinismE0ES3_SB_PS6_NS8_17constant_iteratorIiNS8_11use_defaultESG_EENS8_10device_ptrIS6_EENSI_IlEEPmSA_NS8_8equal_toIS6_EEEE10hipError_tPvRmT2_T3_mT4_T5_T6_T7_T8_P12ihipStream_tbENKUlT_T0_E_clISt17integral_constantIbLb1EES15_EEDaS10_S11_EUlS10_E_NS1_11comp_targetILNS1_3genE10ELNS1_11target_archE1200ELNS1_3gpuE4ELNS1_3repE0EEENS1_30default_config_static_selectorELNS0_4arch9wavefront6targetE1EEEvT1_.kd
    .uniform_work_group_size: 1
    .uses_dynamic_stack: false
    .vgpr_count:     0
    .vgpr_spill_count: 0
    .wavefront_size: 64
  - .args:
      - .offset:         0
        .size:           144
        .value_kind:     by_value
    .group_segment_fixed_size: 0
    .kernarg_segment_align: 8
    .kernarg_segment_size: 144
    .language:       OpenCL C
    .language_version:
      - 2
      - 0
    .max_flat_workgroup_size: 256
    .name:           _ZN7rocprim17ROCPRIM_400000_NS6detail17trampoline_kernelINS0_14default_configENS1_29reduce_by_key_config_selectorIN3c108BFloat16ElN6thrust23THRUST_200600_302600_NS4plusIlEEEEZZNS1_33reduce_by_key_impl_wrapped_configILNS1_25lookback_scan_determinismE0ES3_SB_PS6_NS8_17constant_iteratorIiNS8_11use_defaultESG_EENS8_10device_ptrIS6_EENSI_IlEEPmSA_NS8_8equal_toIS6_EEEE10hipError_tPvRmT2_T3_mT4_T5_T6_T7_T8_P12ihipStream_tbENKUlT_T0_E_clISt17integral_constantIbLb1EES15_EEDaS10_S11_EUlS10_E_NS1_11comp_targetILNS1_3genE9ELNS1_11target_archE1100ELNS1_3gpuE3ELNS1_3repE0EEENS1_30default_config_static_selectorELNS0_4arch9wavefront6targetE1EEEvT1_
    .private_segment_fixed_size: 0
    .sgpr_count:     4
    .sgpr_spill_count: 0
    .symbol:         _ZN7rocprim17ROCPRIM_400000_NS6detail17trampoline_kernelINS0_14default_configENS1_29reduce_by_key_config_selectorIN3c108BFloat16ElN6thrust23THRUST_200600_302600_NS4plusIlEEEEZZNS1_33reduce_by_key_impl_wrapped_configILNS1_25lookback_scan_determinismE0ES3_SB_PS6_NS8_17constant_iteratorIiNS8_11use_defaultESG_EENS8_10device_ptrIS6_EENSI_IlEEPmSA_NS8_8equal_toIS6_EEEE10hipError_tPvRmT2_T3_mT4_T5_T6_T7_T8_P12ihipStream_tbENKUlT_T0_E_clISt17integral_constantIbLb1EES15_EEDaS10_S11_EUlS10_E_NS1_11comp_targetILNS1_3genE9ELNS1_11target_archE1100ELNS1_3gpuE3ELNS1_3repE0EEENS1_30default_config_static_selectorELNS0_4arch9wavefront6targetE1EEEvT1_.kd
    .uniform_work_group_size: 1
    .uses_dynamic_stack: false
    .vgpr_count:     0
    .vgpr_spill_count: 0
    .wavefront_size: 64
  - .args:
      - .offset:         0
        .size:           144
        .value_kind:     by_value
    .group_segment_fixed_size: 0
    .kernarg_segment_align: 8
    .kernarg_segment_size: 144
    .language:       OpenCL C
    .language_version:
      - 2
      - 0
    .max_flat_workgroup_size: 256
    .name:           _ZN7rocprim17ROCPRIM_400000_NS6detail17trampoline_kernelINS0_14default_configENS1_29reduce_by_key_config_selectorIN3c108BFloat16ElN6thrust23THRUST_200600_302600_NS4plusIlEEEEZZNS1_33reduce_by_key_impl_wrapped_configILNS1_25lookback_scan_determinismE0ES3_SB_PS6_NS8_17constant_iteratorIiNS8_11use_defaultESG_EENS8_10device_ptrIS6_EENSI_IlEEPmSA_NS8_8equal_toIS6_EEEE10hipError_tPvRmT2_T3_mT4_T5_T6_T7_T8_P12ihipStream_tbENKUlT_T0_E_clISt17integral_constantIbLb1EES15_EEDaS10_S11_EUlS10_E_NS1_11comp_targetILNS1_3genE8ELNS1_11target_archE1030ELNS1_3gpuE2ELNS1_3repE0EEENS1_30default_config_static_selectorELNS0_4arch9wavefront6targetE1EEEvT1_
    .private_segment_fixed_size: 0
    .sgpr_count:     4
    .sgpr_spill_count: 0
    .symbol:         _ZN7rocprim17ROCPRIM_400000_NS6detail17trampoline_kernelINS0_14default_configENS1_29reduce_by_key_config_selectorIN3c108BFloat16ElN6thrust23THRUST_200600_302600_NS4plusIlEEEEZZNS1_33reduce_by_key_impl_wrapped_configILNS1_25lookback_scan_determinismE0ES3_SB_PS6_NS8_17constant_iteratorIiNS8_11use_defaultESG_EENS8_10device_ptrIS6_EENSI_IlEEPmSA_NS8_8equal_toIS6_EEEE10hipError_tPvRmT2_T3_mT4_T5_T6_T7_T8_P12ihipStream_tbENKUlT_T0_E_clISt17integral_constantIbLb1EES15_EEDaS10_S11_EUlS10_E_NS1_11comp_targetILNS1_3genE8ELNS1_11target_archE1030ELNS1_3gpuE2ELNS1_3repE0EEENS1_30default_config_static_selectorELNS0_4arch9wavefront6targetE1EEEvT1_.kd
    .uniform_work_group_size: 1
    .uses_dynamic_stack: false
    .vgpr_count:     0
    .vgpr_spill_count: 0
    .wavefront_size: 64
  - .args:
      - .offset:         0
        .size:           144
        .value_kind:     by_value
    .group_segment_fixed_size: 0
    .kernarg_segment_align: 8
    .kernarg_segment_size: 144
    .language:       OpenCL C
    .language_version:
      - 2
      - 0
    .max_flat_workgroup_size: 256
    .name:           _ZN7rocprim17ROCPRIM_400000_NS6detail17trampoline_kernelINS0_14default_configENS1_29reduce_by_key_config_selectorIN3c108BFloat16ElN6thrust23THRUST_200600_302600_NS4plusIlEEEEZZNS1_33reduce_by_key_impl_wrapped_configILNS1_25lookback_scan_determinismE0ES3_SB_PS6_NS8_17constant_iteratorIiNS8_11use_defaultESG_EENS8_10device_ptrIS6_EENSI_IlEEPmSA_NS8_8equal_toIS6_EEEE10hipError_tPvRmT2_T3_mT4_T5_T6_T7_T8_P12ihipStream_tbENKUlT_T0_E_clISt17integral_constantIbLb1EES14_IbLb0EEEEDaS10_S11_EUlS10_E_NS1_11comp_targetILNS1_3genE0ELNS1_11target_archE4294967295ELNS1_3gpuE0ELNS1_3repE0EEENS1_30default_config_static_selectorELNS0_4arch9wavefront6targetE1EEEvT1_
    .private_segment_fixed_size: 0
    .sgpr_count:     4
    .sgpr_spill_count: 0
    .symbol:         _ZN7rocprim17ROCPRIM_400000_NS6detail17trampoline_kernelINS0_14default_configENS1_29reduce_by_key_config_selectorIN3c108BFloat16ElN6thrust23THRUST_200600_302600_NS4plusIlEEEEZZNS1_33reduce_by_key_impl_wrapped_configILNS1_25lookback_scan_determinismE0ES3_SB_PS6_NS8_17constant_iteratorIiNS8_11use_defaultESG_EENS8_10device_ptrIS6_EENSI_IlEEPmSA_NS8_8equal_toIS6_EEEE10hipError_tPvRmT2_T3_mT4_T5_T6_T7_T8_P12ihipStream_tbENKUlT_T0_E_clISt17integral_constantIbLb1EES14_IbLb0EEEEDaS10_S11_EUlS10_E_NS1_11comp_targetILNS1_3genE0ELNS1_11target_archE4294967295ELNS1_3gpuE0ELNS1_3repE0EEENS1_30default_config_static_selectorELNS0_4arch9wavefront6targetE1EEEvT1_.kd
    .uniform_work_group_size: 1
    .uses_dynamic_stack: false
    .vgpr_count:     0
    .vgpr_spill_count: 0
    .wavefront_size: 64
  - .args:
      - .offset:         0
        .size:           144
        .value_kind:     by_value
    .group_segment_fixed_size: 0
    .kernarg_segment_align: 8
    .kernarg_segment_size: 144
    .language:       OpenCL C
    .language_version:
      - 2
      - 0
    .max_flat_workgroup_size: 256
    .name:           _ZN7rocprim17ROCPRIM_400000_NS6detail17trampoline_kernelINS0_14default_configENS1_29reduce_by_key_config_selectorIN3c108BFloat16ElN6thrust23THRUST_200600_302600_NS4plusIlEEEEZZNS1_33reduce_by_key_impl_wrapped_configILNS1_25lookback_scan_determinismE0ES3_SB_PS6_NS8_17constant_iteratorIiNS8_11use_defaultESG_EENS8_10device_ptrIS6_EENSI_IlEEPmSA_NS8_8equal_toIS6_EEEE10hipError_tPvRmT2_T3_mT4_T5_T6_T7_T8_P12ihipStream_tbENKUlT_T0_E_clISt17integral_constantIbLb1EES14_IbLb0EEEEDaS10_S11_EUlS10_E_NS1_11comp_targetILNS1_3genE5ELNS1_11target_archE942ELNS1_3gpuE9ELNS1_3repE0EEENS1_30default_config_static_selectorELNS0_4arch9wavefront6targetE1EEEvT1_
    .private_segment_fixed_size: 0
    .sgpr_count:     4
    .sgpr_spill_count: 0
    .symbol:         _ZN7rocprim17ROCPRIM_400000_NS6detail17trampoline_kernelINS0_14default_configENS1_29reduce_by_key_config_selectorIN3c108BFloat16ElN6thrust23THRUST_200600_302600_NS4plusIlEEEEZZNS1_33reduce_by_key_impl_wrapped_configILNS1_25lookback_scan_determinismE0ES3_SB_PS6_NS8_17constant_iteratorIiNS8_11use_defaultESG_EENS8_10device_ptrIS6_EENSI_IlEEPmSA_NS8_8equal_toIS6_EEEE10hipError_tPvRmT2_T3_mT4_T5_T6_T7_T8_P12ihipStream_tbENKUlT_T0_E_clISt17integral_constantIbLb1EES14_IbLb0EEEEDaS10_S11_EUlS10_E_NS1_11comp_targetILNS1_3genE5ELNS1_11target_archE942ELNS1_3gpuE9ELNS1_3repE0EEENS1_30default_config_static_selectorELNS0_4arch9wavefront6targetE1EEEvT1_.kd
    .uniform_work_group_size: 1
    .uses_dynamic_stack: false
    .vgpr_count:     0
    .vgpr_spill_count: 0
    .wavefront_size: 64
  - .args:
      - .offset:         0
        .size:           144
        .value_kind:     by_value
    .group_segment_fixed_size: 0
    .kernarg_segment_align: 8
    .kernarg_segment_size: 144
    .language:       OpenCL C
    .language_version:
      - 2
      - 0
    .max_flat_workgroup_size: 256
    .name:           _ZN7rocprim17ROCPRIM_400000_NS6detail17trampoline_kernelINS0_14default_configENS1_29reduce_by_key_config_selectorIN3c108BFloat16ElN6thrust23THRUST_200600_302600_NS4plusIlEEEEZZNS1_33reduce_by_key_impl_wrapped_configILNS1_25lookback_scan_determinismE0ES3_SB_PS6_NS8_17constant_iteratorIiNS8_11use_defaultESG_EENS8_10device_ptrIS6_EENSI_IlEEPmSA_NS8_8equal_toIS6_EEEE10hipError_tPvRmT2_T3_mT4_T5_T6_T7_T8_P12ihipStream_tbENKUlT_T0_E_clISt17integral_constantIbLb1EES14_IbLb0EEEEDaS10_S11_EUlS10_E_NS1_11comp_targetILNS1_3genE4ELNS1_11target_archE910ELNS1_3gpuE8ELNS1_3repE0EEENS1_30default_config_static_selectorELNS0_4arch9wavefront6targetE1EEEvT1_
    .private_segment_fixed_size: 0
    .sgpr_count:     4
    .sgpr_spill_count: 0
    .symbol:         _ZN7rocprim17ROCPRIM_400000_NS6detail17trampoline_kernelINS0_14default_configENS1_29reduce_by_key_config_selectorIN3c108BFloat16ElN6thrust23THRUST_200600_302600_NS4plusIlEEEEZZNS1_33reduce_by_key_impl_wrapped_configILNS1_25lookback_scan_determinismE0ES3_SB_PS6_NS8_17constant_iteratorIiNS8_11use_defaultESG_EENS8_10device_ptrIS6_EENSI_IlEEPmSA_NS8_8equal_toIS6_EEEE10hipError_tPvRmT2_T3_mT4_T5_T6_T7_T8_P12ihipStream_tbENKUlT_T0_E_clISt17integral_constantIbLb1EES14_IbLb0EEEEDaS10_S11_EUlS10_E_NS1_11comp_targetILNS1_3genE4ELNS1_11target_archE910ELNS1_3gpuE8ELNS1_3repE0EEENS1_30default_config_static_selectorELNS0_4arch9wavefront6targetE1EEEvT1_.kd
    .uniform_work_group_size: 1
    .uses_dynamic_stack: false
    .vgpr_count:     0
    .vgpr_spill_count: 0
    .wavefront_size: 64
  - .args:
      - .offset:         0
        .size:           144
        .value_kind:     by_value
    .group_segment_fixed_size: 0
    .kernarg_segment_align: 8
    .kernarg_segment_size: 144
    .language:       OpenCL C
    .language_version:
      - 2
      - 0
    .max_flat_workgroup_size: 256
    .name:           _ZN7rocprim17ROCPRIM_400000_NS6detail17trampoline_kernelINS0_14default_configENS1_29reduce_by_key_config_selectorIN3c108BFloat16ElN6thrust23THRUST_200600_302600_NS4plusIlEEEEZZNS1_33reduce_by_key_impl_wrapped_configILNS1_25lookback_scan_determinismE0ES3_SB_PS6_NS8_17constant_iteratorIiNS8_11use_defaultESG_EENS8_10device_ptrIS6_EENSI_IlEEPmSA_NS8_8equal_toIS6_EEEE10hipError_tPvRmT2_T3_mT4_T5_T6_T7_T8_P12ihipStream_tbENKUlT_T0_E_clISt17integral_constantIbLb1EES14_IbLb0EEEEDaS10_S11_EUlS10_E_NS1_11comp_targetILNS1_3genE3ELNS1_11target_archE908ELNS1_3gpuE7ELNS1_3repE0EEENS1_30default_config_static_selectorELNS0_4arch9wavefront6targetE1EEEvT1_
    .private_segment_fixed_size: 0
    .sgpr_count:     4
    .sgpr_spill_count: 0
    .symbol:         _ZN7rocprim17ROCPRIM_400000_NS6detail17trampoline_kernelINS0_14default_configENS1_29reduce_by_key_config_selectorIN3c108BFloat16ElN6thrust23THRUST_200600_302600_NS4plusIlEEEEZZNS1_33reduce_by_key_impl_wrapped_configILNS1_25lookback_scan_determinismE0ES3_SB_PS6_NS8_17constant_iteratorIiNS8_11use_defaultESG_EENS8_10device_ptrIS6_EENSI_IlEEPmSA_NS8_8equal_toIS6_EEEE10hipError_tPvRmT2_T3_mT4_T5_T6_T7_T8_P12ihipStream_tbENKUlT_T0_E_clISt17integral_constantIbLb1EES14_IbLb0EEEEDaS10_S11_EUlS10_E_NS1_11comp_targetILNS1_3genE3ELNS1_11target_archE908ELNS1_3gpuE7ELNS1_3repE0EEENS1_30default_config_static_selectorELNS0_4arch9wavefront6targetE1EEEvT1_.kd
    .uniform_work_group_size: 1
    .uses_dynamic_stack: false
    .vgpr_count:     0
    .vgpr_spill_count: 0
    .wavefront_size: 64
  - .args:
      - .offset:         0
        .size:           144
        .value_kind:     by_value
    .group_segment_fixed_size: 0
    .kernarg_segment_align: 8
    .kernarg_segment_size: 144
    .language:       OpenCL C
    .language_version:
      - 2
      - 0
    .max_flat_workgroup_size: 256
    .name:           _ZN7rocprim17ROCPRIM_400000_NS6detail17trampoline_kernelINS0_14default_configENS1_29reduce_by_key_config_selectorIN3c108BFloat16ElN6thrust23THRUST_200600_302600_NS4plusIlEEEEZZNS1_33reduce_by_key_impl_wrapped_configILNS1_25lookback_scan_determinismE0ES3_SB_PS6_NS8_17constant_iteratorIiNS8_11use_defaultESG_EENS8_10device_ptrIS6_EENSI_IlEEPmSA_NS8_8equal_toIS6_EEEE10hipError_tPvRmT2_T3_mT4_T5_T6_T7_T8_P12ihipStream_tbENKUlT_T0_E_clISt17integral_constantIbLb1EES14_IbLb0EEEEDaS10_S11_EUlS10_E_NS1_11comp_targetILNS1_3genE2ELNS1_11target_archE906ELNS1_3gpuE6ELNS1_3repE0EEENS1_30default_config_static_selectorELNS0_4arch9wavefront6targetE1EEEvT1_
    .private_segment_fixed_size: 0
    .sgpr_count:     4
    .sgpr_spill_count: 0
    .symbol:         _ZN7rocprim17ROCPRIM_400000_NS6detail17trampoline_kernelINS0_14default_configENS1_29reduce_by_key_config_selectorIN3c108BFloat16ElN6thrust23THRUST_200600_302600_NS4plusIlEEEEZZNS1_33reduce_by_key_impl_wrapped_configILNS1_25lookback_scan_determinismE0ES3_SB_PS6_NS8_17constant_iteratorIiNS8_11use_defaultESG_EENS8_10device_ptrIS6_EENSI_IlEEPmSA_NS8_8equal_toIS6_EEEE10hipError_tPvRmT2_T3_mT4_T5_T6_T7_T8_P12ihipStream_tbENKUlT_T0_E_clISt17integral_constantIbLb1EES14_IbLb0EEEEDaS10_S11_EUlS10_E_NS1_11comp_targetILNS1_3genE2ELNS1_11target_archE906ELNS1_3gpuE6ELNS1_3repE0EEENS1_30default_config_static_selectorELNS0_4arch9wavefront6targetE1EEEvT1_.kd
    .uniform_work_group_size: 1
    .uses_dynamic_stack: false
    .vgpr_count:     0
    .vgpr_spill_count: 0
    .wavefront_size: 64
  - .args:
      - .offset:         0
        .size:           144
        .value_kind:     by_value
    .group_segment_fixed_size: 0
    .kernarg_segment_align: 8
    .kernarg_segment_size: 144
    .language:       OpenCL C
    .language_version:
      - 2
      - 0
    .max_flat_workgroup_size: 256
    .name:           _ZN7rocprim17ROCPRIM_400000_NS6detail17trampoline_kernelINS0_14default_configENS1_29reduce_by_key_config_selectorIN3c108BFloat16ElN6thrust23THRUST_200600_302600_NS4plusIlEEEEZZNS1_33reduce_by_key_impl_wrapped_configILNS1_25lookback_scan_determinismE0ES3_SB_PS6_NS8_17constant_iteratorIiNS8_11use_defaultESG_EENS8_10device_ptrIS6_EENSI_IlEEPmSA_NS8_8equal_toIS6_EEEE10hipError_tPvRmT2_T3_mT4_T5_T6_T7_T8_P12ihipStream_tbENKUlT_T0_E_clISt17integral_constantIbLb1EES14_IbLb0EEEEDaS10_S11_EUlS10_E_NS1_11comp_targetILNS1_3genE10ELNS1_11target_archE1201ELNS1_3gpuE5ELNS1_3repE0EEENS1_30default_config_static_selectorELNS0_4arch9wavefront6targetE1EEEvT1_
    .private_segment_fixed_size: 0
    .sgpr_count:     4
    .sgpr_spill_count: 0
    .symbol:         _ZN7rocprim17ROCPRIM_400000_NS6detail17trampoline_kernelINS0_14default_configENS1_29reduce_by_key_config_selectorIN3c108BFloat16ElN6thrust23THRUST_200600_302600_NS4plusIlEEEEZZNS1_33reduce_by_key_impl_wrapped_configILNS1_25lookback_scan_determinismE0ES3_SB_PS6_NS8_17constant_iteratorIiNS8_11use_defaultESG_EENS8_10device_ptrIS6_EENSI_IlEEPmSA_NS8_8equal_toIS6_EEEE10hipError_tPvRmT2_T3_mT4_T5_T6_T7_T8_P12ihipStream_tbENKUlT_T0_E_clISt17integral_constantIbLb1EES14_IbLb0EEEEDaS10_S11_EUlS10_E_NS1_11comp_targetILNS1_3genE10ELNS1_11target_archE1201ELNS1_3gpuE5ELNS1_3repE0EEENS1_30default_config_static_selectorELNS0_4arch9wavefront6targetE1EEEvT1_.kd
    .uniform_work_group_size: 1
    .uses_dynamic_stack: false
    .vgpr_count:     0
    .vgpr_spill_count: 0
    .wavefront_size: 64
  - .args:
      - .offset:         0
        .size:           144
        .value_kind:     by_value
    .group_segment_fixed_size: 0
    .kernarg_segment_align: 8
    .kernarg_segment_size: 144
    .language:       OpenCL C
    .language_version:
      - 2
      - 0
    .max_flat_workgroup_size: 256
    .name:           _ZN7rocprim17ROCPRIM_400000_NS6detail17trampoline_kernelINS0_14default_configENS1_29reduce_by_key_config_selectorIN3c108BFloat16ElN6thrust23THRUST_200600_302600_NS4plusIlEEEEZZNS1_33reduce_by_key_impl_wrapped_configILNS1_25lookback_scan_determinismE0ES3_SB_PS6_NS8_17constant_iteratorIiNS8_11use_defaultESG_EENS8_10device_ptrIS6_EENSI_IlEEPmSA_NS8_8equal_toIS6_EEEE10hipError_tPvRmT2_T3_mT4_T5_T6_T7_T8_P12ihipStream_tbENKUlT_T0_E_clISt17integral_constantIbLb1EES14_IbLb0EEEEDaS10_S11_EUlS10_E_NS1_11comp_targetILNS1_3genE10ELNS1_11target_archE1200ELNS1_3gpuE4ELNS1_3repE0EEENS1_30default_config_static_selectorELNS0_4arch9wavefront6targetE1EEEvT1_
    .private_segment_fixed_size: 0
    .sgpr_count:     4
    .sgpr_spill_count: 0
    .symbol:         _ZN7rocprim17ROCPRIM_400000_NS6detail17trampoline_kernelINS0_14default_configENS1_29reduce_by_key_config_selectorIN3c108BFloat16ElN6thrust23THRUST_200600_302600_NS4plusIlEEEEZZNS1_33reduce_by_key_impl_wrapped_configILNS1_25lookback_scan_determinismE0ES3_SB_PS6_NS8_17constant_iteratorIiNS8_11use_defaultESG_EENS8_10device_ptrIS6_EENSI_IlEEPmSA_NS8_8equal_toIS6_EEEE10hipError_tPvRmT2_T3_mT4_T5_T6_T7_T8_P12ihipStream_tbENKUlT_T0_E_clISt17integral_constantIbLb1EES14_IbLb0EEEEDaS10_S11_EUlS10_E_NS1_11comp_targetILNS1_3genE10ELNS1_11target_archE1200ELNS1_3gpuE4ELNS1_3repE0EEENS1_30default_config_static_selectorELNS0_4arch9wavefront6targetE1EEEvT1_.kd
    .uniform_work_group_size: 1
    .uses_dynamic_stack: false
    .vgpr_count:     0
    .vgpr_spill_count: 0
    .wavefront_size: 64
  - .args:
      - .offset:         0
        .size:           144
        .value_kind:     by_value
    .group_segment_fixed_size: 0
    .kernarg_segment_align: 8
    .kernarg_segment_size: 144
    .language:       OpenCL C
    .language_version:
      - 2
      - 0
    .max_flat_workgroup_size: 256
    .name:           _ZN7rocprim17ROCPRIM_400000_NS6detail17trampoline_kernelINS0_14default_configENS1_29reduce_by_key_config_selectorIN3c108BFloat16ElN6thrust23THRUST_200600_302600_NS4plusIlEEEEZZNS1_33reduce_by_key_impl_wrapped_configILNS1_25lookback_scan_determinismE0ES3_SB_PS6_NS8_17constant_iteratorIiNS8_11use_defaultESG_EENS8_10device_ptrIS6_EENSI_IlEEPmSA_NS8_8equal_toIS6_EEEE10hipError_tPvRmT2_T3_mT4_T5_T6_T7_T8_P12ihipStream_tbENKUlT_T0_E_clISt17integral_constantIbLb1EES14_IbLb0EEEEDaS10_S11_EUlS10_E_NS1_11comp_targetILNS1_3genE9ELNS1_11target_archE1100ELNS1_3gpuE3ELNS1_3repE0EEENS1_30default_config_static_selectorELNS0_4arch9wavefront6targetE1EEEvT1_
    .private_segment_fixed_size: 0
    .sgpr_count:     4
    .sgpr_spill_count: 0
    .symbol:         _ZN7rocprim17ROCPRIM_400000_NS6detail17trampoline_kernelINS0_14default_configENS1_29reduce_by_key_config_selectorIN3c108BFloat16ElN6thrust23THRUST_200600_302600_NS4plusIlEEEEZZNS1_33reduce_by_key_impl_wrapped_configILNS1_25lookback_scan_determinismE0ES3_SB_PS6_NS8_17constant_iteratorIiNS8_11use_defaultESG_EENS8_10device_ptrIS6_EENSI_IlEEPmSA_NS8_8equal_toIS6_EEEE10hipError_tPvRmT2_T3_mT4_T5_T6_T7_T8_P12ihipStream_tbENKUlT_T0_E_clISt17integral_constantIbLb1EES14_IbLb0EEEEDaS10_S11_EUlS10_E_NS1_11comp_targetILNS1_3genE9ELNS1_11target_archE1100ELNS1_3gpuE3ELNS1_3repE0EEENS1_30default_config_static_selectorELNS0_4arch9wavefront6targetE1EEEvT1_.kd
    .uniform_work_group_size: 1
    .uses_dynamic_stack: false
    .vgpr_count:     0
    .vgpr_spill_count: 0
    .wavefront_size: 64
  - .args:
      - .offset:         0
        .size:           144
        .value_kind:     by_value
    .group_segment_fixed_size: 0
    .kernarg_segment_align: 8
    .kernarg_segment_size: 144
    .language:       OpenCL C
    .language_version:
      - 2
      - 0
    .max_flat_workgroup_size: 256
    .name:           _ZN7rocprim17ROCPRIM_400000_NS6detail17trampoline_kernelINS0_14default_configENS1_29reduce_by_key_config_selectorIN3c108BFloat16ElN6thrust23THRUST_200600_302600_NS4plusIlEEEEZZNS1_33reduce_by_key_impl_wrapped_configILNS1_25lookback_scan_determinismE0ES3_SB_PS6_NS8_17constant_iteratorIiNS8_11use_defaultESG_EENS8_10device_ptrIS6_EENSI_IlEEPmSA_NS8_8equal_toIS6_EEEE10hipError_tPvRmT2_T3_mT4_T5_T6_T7_T8_P12ihipStream_tbENKUlT_T0_E_clISt17integral_constantIbLb1EES14_IbLb0EEEEDaS10_S11_EUlS10_E_NS1_11comp_targetILNS1_3genE8ELNS1_11target_archE1030ELNS1_3gpuE2ELNS1_3repE0EEENS1_30default_config_static_selectorELNS0_4arch9wavefront6targetE1EEEvT1_
    .private_segment_fixed_size: 0
    .sgpr_count:     4
    .sgpr_spill_count: 0
    .symbol:         _ZN7rocprim17ROCPRIM_400000_NS6detail17trampoline_kernelINS0_14default_configENS1_29reduce_by_key_config_selectorIN3c108BFloat16ElN6thrust23THRUST_200600_302600_NS4plusIlEEEEZZNS1_33reduce_by_key_impl_wrapped_configILNS1_25lookback_scan_determinismE0ES3_SB_PS6_NS8_17constant_iteratorIiNS8_11use_defaultESG_EENS8_10device_ptrIS6_EENSI_IlEEPmSA_NS8_8equal_toIS6_EEEE10hipError_tPvRmT2_T3_mT4_T5_T6_T7_T8_P12ihipStream_tbENKUlT_T0_E_clISt17integral_constantIbLb1EES14_IbLb0EEEEDaS10_S11_EUlS10_E_NS1_11comp_targetILNS1_3genE8ELNS1_11target_archE1030ELNS1_3gpuE2ELNS1_3repE0EEENS1_30default_config_static_selectorELNS0_4arch9wavefront6targetE1EEEvT1_.kd
    .uniform_work_group_size: 1
    .uses_dynamic_stack: false
    .vgpr_count:     0
    .vgpr_spill_count: 0
    .wavefront_size: 64
  - .args:
      - .offset:         0
        .size:           144
        .value_kind:     by_value
    .group_segment_fixed_size: 0
    .kernarg_segment_align: 8
    .kernarg_segment_size: 144
    .language:       OpenCL C
    .language_version:
      - 2
      - 0
    .max_flat_workgroup_size: 256
    .name:           _ZN7rocprim17ROCPRIM_400000_NS6detail17trampoline_kernelINS0_14default_configENS1_29reduce_by_key_config_selectorIN3c108BFloat16ElN6thrust23THRUST_200600_302600_NS4plusIlEEEEZZNS1_33reduce_by_key_impl_wrapped_configILNS1_25lookback_scan_determinismE0ES3_SB_PS6_NS8_17constant_iteratorIiNS8_11use_defaultESG_EENS8_10device_ptrIS6_EENSI_IlEEPmSA_NS8_8equal_toIS6_EEEE10hipError_tPvRmT2_T3_mT4_T5_T6_T7_T8_P12ihipStream_tbENKUlT_T0_E_clISt17integral_constantIbLb0EES14_IbLb1EEEEDaS10_S11_EUlS10_E_NS1_11comp_targetILNS1_3genE0ELNS1_11target_archE4294967295ELNS1_3gpuE0ELNS1_3repE0EEENS1_30default_config_static_selectorELNS0_4arch9wavefront6targetE1EEEvT1_
    .private_segment_fixed_size: 0
    .sgpr_count:     4
    .sgpr_spill_count: 0
    .symbol:         _ZN7rocprim17ROCPRIM_400000_NS6detail17trampoline_kernelINS0_14default_configENS1_29reduce_by_key_config_selectorIN3c108BFloat16ElN6thrust23THRUST_200600_302600_NS4plusIlEEEEZZNS1_33reduce_by_key_impl_wrapped_configILNS1_25lookback_scan_determinismE0ES3_SB_PS6_NS8_17constant_iteratorIiNS8_11use_defaultESG_EENS8_10device_ptrIS6_EENSI_IlEEPmSA_NS8_8equal_toIS6_EEEE10hipError_tPvRmT2_T3_mT4_T5_T6_T7_T8_P12ihipStream_tbENKUlT_T0_E_clISt17integral_constantIbLb0EES14_IbLb1EEEEDaS10_S11_EUlS10_E_NS1_11comp_targetILNS1_3genE0ELNS1_11target_archE4294967295ELNS1_3gpuE0ELNS1_3repE0EEENS1_30default_config_static_selectorELNS0_4arch9wavefront6targetE1EEEvT1_.kd
    .uniform_work_group_size: 1
    .uses_dynamic_stack: false
    .vgpr_count:     0
    .vgpr_spill_count: 0
    .wavefront_size: 64
  - .args:
      - .offset:         0
        .size:           144
        .value_kind:     by_value
    .group_segment_fixed_size: 0
    .kernarg_segment_align: 8
    .kernarg_segment_size: 144
    .language:       OpenCL C
    .language_version:
      - 2
      - 0
    .max_flat_workgroup_size: 256
    .name:           _ZN7rocprim17ROCPRIM_400000_NS6detail17trampoline_kernelINS0_14default_configENS1_29reduce_by_key_config_selectorIN3c108BFloat16ElN6thrust23THRUST_200600_302600_NS4plusIlEEEEZZNS1_33reduce_by_key_impl_wrapped_configILNS1_25lookback_scan_determinismE0ES3_SB_PS6_NS8_17constant_iteratorIiNS8_11use_defaultESG_EENS8_10device_ptrIS6_EENSI_IlEEPmSA_NS8_8equal_toIS6_EEEE10hipError_tPvRmT2_T3_mT4_T5_T6_T7_T8_P12ihipStream_tbENKUlT_T0_E_clISt17integral_constantIbLb0EES14_IbLb1EEEEDaS10_S11_EUlS10_E_NS1_11comp_targetILNS1_3genE5ELNS1_11target_archE942ELNS1_3gpuE9ELNS1_3repE0EEENS1_30default_config_static_selectorELNS0_4arch9wavefront6targetE1EEEvT1_
    .private_segment_fixed_size: 0
    .sgpr_count:     4
    .sgpr_spill_count: 0
    .symbol:         _ZN7rocprim17ROCPRIM_400000_NS6detail17trampoline_kernelINS0_14default_configENS1_29reduce_by_key_config_selectorIN3c108BFloat16ElN6thrust23THRUST_200600_302600_NS4plusIlEEEEZZNS1_33reduce_by_key_impl_wrapped_configILNS1_25lookback_scan_determinismE0ES3_SB_PS6_NS8_17constant_iteratorIiNS8_11use_defaultESG_EENS8_10device_ptrIS6_EENSI_IlEEPmSA_NS8_8equal_toIS6_EEEE10hipError_tPvRmT2_T3_mT4_T5_T6_T7_T8_P12ihipStream_tbENKUlT_T0_E_clISt17integral_constantIbLb0EES14_IbLb1EEEEDaS10_S11_EUlS10_E_NS1_11comp_targetILNS1_3genE5ELNS1_11target_archE942ELNS1_3gpuE9ELNS1_3repE0EEENS1_30default_config_static_selectorELNS0_4arch9wavefront6targetE1EEEvT1_.kd
    .uniform_work_group_size: 1
    .uses_dynamic_stack: false
    .vgpr_count:     0
    .vgpr_spill_count: 0
    .wavefront_size: 64
  - .args:
      - .offset:         0
        .size:           144
        .value_kind:     by_value
    .group_segment_fixed_size: 0
    .kernarg_segment_align: 8
    .kernarg_segment_size: 144
    .language:       OpenCL C
    .language_version:
      - 2
      - 0
    .max_flat_workgroup_size: 256
    .name:           _ZN7rocprim17ROCPRIM_400000_NS6detail17trampoline_kernelINS0_14default_configENS1_29reduce_by_key_config_selectorIN3c108BFloat16ElN6thrust23THRUST_200600_302600_NS4plusIlEEEEZZNS1_33reduce_by_key_impl_wrapped_configILNS1_25lookback_scan_determinismE0ES3_SB_PS6_NS8_17constant_iteratorIiNS8_11use_defaultESG_EENS8_10device_ptrIS6_EENSI_IlEEPmSA_NS8_8equal_toIS6_EEEE10hipError_tPvRmT2_T3_mT4_T5_T6_T7_T8_P12ihipStream_tbENKUlT_T0_E_clISt17integral_constantIbLb0EES14_IbLb1EEEEDaS10_S11_EUlS10_E_NS1_11comp_targetILNS1_3genE4ELNS1_11target_archE910ELNS1_3gpuE8ELNS1_3repE0EEENS1_30default_config_static_selectorELNS0_4arch9wavefront6targetE1EEEvT1_
    .private_segment_fixed_size: 0
    .sgpr_count:     4
    .sgpr_spill_count: 0
    .symbol:         _ZN7rocprim17ROCPRIM_400000_NS6detail17trampoline_kernelINS0_14default_configENS1_29reduce_by_key_config_selectorIN3c108BFloat16ElN6thrust23THRUST_200600_302600_NS4plusIlEEEEZZNS1_33reduce_by_key_impl_wrapped_configILNS1_25lookback_scan_determinismE0ES3_SB_PS6_NS8_17constant_iteratorIiNS8_11use_defaultESG_EENS8_10device_ptrIS6_EENSI_IlEEPmSA_NS8_8equal_toIS6_EEEE10hipError_tPvRmT2_T3_mT4_T5_T6_T7_T8_P12ihipStream_tbENKUlT_T0_E_clISt17integral_constantIbLb0EES14_IbLb1EEEEDaS10_S11_EUlS10_E_NS1_11comp_targetILNS1_3genE4ELNS1_11target_archE910ELNS1_3gpuE8ELNS1_3repE0EEENS1_30default_config_static_selectorELNS0_4arch9wavefront6targetE1EEEvT1_.kd
    .uniform_work_group_size: 1
    .uses_dynamic_stack: false
    .vgpr_count:     0
    .vgpr_spill_count: 0
    .wavefront_size: 64
  - .args:
      - .offset:         0
        .size:           144
        .value_kind:     by_value
    .group_segment_fixed_size: 0
    .kernarg_segment_align: 8
    .kernarg_segment_size: 144
    .language:       OpenCL C
    .language_version:
      - 2
      - 0
    .max_flat_workgroup_size: 256
    .name:           _ZN7rocprim17ROCPRIM_400000_NS6detail17trampoline_kernelINS0_14default_configENS1_29reduce_by_key_config_selectorIN3c108BFloat16ElN6thrust23THRUST_200600_302600_NS4plusIlEEEEZZNS1_33reduce_by_key_impl_wrapped_configILNS1_25lookback_scan_determinismE0ES3_SB_PS6_NS8_17constant_iteratorIiNS8_11use_defaultESG_EENS8_10device_ptrIS6_EENSI_IlEEPmSA_NS8_8equal_toIS6_EEEE10hipError_tPvRmT2_T3_mT4_T5_T6_T7_T8_P12ihipStream_tbENKUlT_T0_E_clISt17integral_constantIbLb0EES14_IbLb1EEEEDaS10_S11_EUlS10_E_NS1_11comp_targetILNS1_3genE3ELNS1_11target_archE908ELNS1_3gpuE7ELNS1_3repE0EEENS1_30default_config_static_selectorELNS0_4arch9wavefront6targetE1EEEvT1_
    .private_segment_fixed_size: 0
    .sgpr_count:     4
    .sgpr_spill_count: 0
    .symbol:         _ZN7rocprim17ROCPRIM_400000_NS6detail17trampoline_kernelINS0_14default_configENS1_29reduce_by_key_config_selectorIN3c108BFloat16ElN6thrust23THRUST_200600_302600_NS4plusIlEEEEZZNS1_33reduce_by_key_impl_wrapped_configILNS1_25lookback_scan_determinismE0ES3_SB_PS6_NS8_17constant_iteratorIiNS8_11use_defaultESG_EENS8_10device_ptrIS6_EENSI_IlEEPmSA_NS8_8equal_toIS6_EEEE10hipError_tPvRmT2_T3_mT4_T5_T6_T7_T8_P12ihipStream_tbENKUlT_T0_E_clISt17integral_constantIbLb0EES14_IbLb1EEEEDaS10_S11_EUlS10_E_NS1_11comp_targetILNS1_3genE3ELNS1_11target_archE908ELNS1_3gpuE7ELNS1_3repE0EEENS1_30default_config_static_selectorELNS0_4arch9wavefront6targetE1EEEvT1_.kd
    .uniform_work_group_size: 1
    .uses_dynamic_stack: false
    .vgpr_count:     0
    .vgpr_spill_count: 0
    .wavefront_size: 64
  - .args:
      - .offset:         0
        .size:           144
        .value_kind:     by_value
    .group_segment_fixed_size: 30720
    .kernarg_segment_align: 8
    .kernarg_segment_size: 144
    .language:       OpenCL C
    .language_version:
      - 2
      - 0
    .max_flat_workgroup_size: 256
    .name:           _ZN7rocprim17ROCPRIM_400000_NS6detail17trampoline_kernelINS0_14default_configENS1_29reduce_by_key_config_selectorIN3c108BFloat16ElN6thrust23THRUST_200600_302600_NS4plusIlEEEEZZNS1_33reduce_by_key_impl_wrapped_configILNS1_25lookback_scan_determinismE0ES3_SB_PS6_NS8_17constant_iteratorIiNS8_11use_defaultESG_EENS8_10device_ptrIS6_EENSI_IlEEPmSA_NS8_8equal_toIS6_EEEE10hipError_tPvRmT2_T3_mT4_T5_T6_T7_T8_P12ihipStream_tbENKUlT_T0_E_clISt17integral_constantIbLb0EES14_IbLb1EEEEDaS10_S11_EUlS10_E_NS1_11comp_targetILNS1_3genE2ELNS1_11target_archE906ELNS1_3gpuE6ELNS1_3repE0EEENS1_30default_config_static_selectorELNS0_4arch9wavefront6targetE1EEEvT1_
    .private_segment_fixed_size: 64
    .sgpr_count:     72
    .sgpr_spill_count: 0
    .symbol:         _ZN7rocprim17ROCPRIM_400000_NS6detail17trampoline_kernelINS0_14default_configENS1_29reduce_by_key_config_selectorIN3c108BFloat16ElN6thrust23THRUST_200600_302600_NS4plusIlEEEEZZNS1_33reduce_by_key_impl_wrapped_configILNS1_25lookback_scan_determinismE0ES3_SB_PS6_NS8_17constant_iteratorIiNS8_11use_defaultESG_EENS8_10device_ptrIS6_EENSI_IlEEPmSA_NS8_8equal_toIS6_EEEE10hipError_tPvRmT2_T3_mT4_T5_T6_T7_T8_P12ihipStream_tbENKUlT_T0_E_clISt17integral_constantIbLb0EES14_IbLb1EEEEDaS10_S11_EUlS10_E_NS1_11comp_targetILNS1_3genE2ELNS1_11target_archE906ELNS1_3gpuE6ELNS1_3repE0EEENS1_30default_config_static_selectorELNS0_4arch9wavefront6targetE1EEEvT1_.kd
    .uniform_work_group_size: 1
    .uses_dynamic_stack: false
    .vgpr_count:     105
    .vgpr_spill_count: 0
    .wavefront_size: 64
  - .args:
      - .offset:         0
        .size:           144
        .value_kind:     by_value
    .group_segment_fixed_size: 0
    .kernarg_segment_align: 8
    .kernarg_segment_size: 144
    .language:       OpenCL C
    .language_version:
      - 2
      - 0
    .max_flat_workgroup_size: 256
    .name:           _ZN7rocprim17ROCPRIM_400000_NS6detail17trampoline_kernelINS0_14default_configENS1_29reduce_by_key_config_selectorIN3c108BFloat16ElN6thrust23THRUST_200600_302600_NS4plusIlEEEEZZNS1_33reduce_by_key_impl_wrapped_configILNS1_25lookback_scan_determinismE0ES3_SB_PS6_NS8_17constant_iteratorIiNS8_11use_defaultESG_EENS8_10device_ptrIS6_EENSI_IlEEPmSA_NS8_8equal_toIS6_EEEE10hipError_tPvRmT2_T3_mT4_T5_T6_T7_T8_P12ihipStream_tbENKUlT_T0_E_clISt17integral_constantIbLb0EES14_IbLb1EEEEDaS10_S11_EUlS10_E_NS1_11comp_targetILNS1_3genE10ELNS1_11target_archE1201ELNS1_3gpuE5ELNS1_3repE0EEENS1_30default_config_static_selectorELNS0_4arch9wavefront6targetE1EEEvT1_
    .private_segment_fixed_size: 0
    .sgpr_count:     4
    .sgpr_spill_count: 0
    .symbol:         _ZN7rocprim17ROCPRIM_400000_NS6detail17trampoline_kernelINS0_14default_configENS1_29reduce_by_key_config_selectorIN3c108BFloat16ElN6thrust23THRUST_200600_302600_NS4plusIlEEEEZZNS1_33reduce_by_key_impl_wrapped_configILNS1_25lookback_scan_determinismE0ES3_SB_PS6_NS8_17constant_iteratorIiNS8_11use_defaultESG_EENS8_10device_ptrIS6_EENSI_IlEEPmSA_NS8_8equal_toIS6_EEEE10hipError_tPvRmT2_T3_mT4_T5_T6_T7_T8_P12ihipStream_tbENKUlT_T0_E_clISt17integral_constantIbLb0EES14_IbLb1EEEEDaS10_S11_EUlS10_E_NS1_11comp_targetILNS1_3genE10ELNS1_11target_archE1201ELNS1_3gpuE5ELNS1_3repE0EEENS1_30default_config_static_selectorELNS0_4arch9wavefront6targetE1EEEvT1_.kd
    .uniform_work_group_size: 1
    .uses_dynamic_stack: false
    .vgpr_count:     0
    .vgpr_spill_count: 0
    .wavefront_size: 64
  - .args:
      - .offset:         0
        .size:           144
        .value_kind:     by_value
    .group_segment_fixed_size: 0
    .kernarg_segment_align: 8
    .kernarg_segment_size: 144
    .language:       OpenCL C
    .language_version:
      - 2
      - 0
    .max_flat_workgroup_size: 256
    .name:           _ZN7rocprim17ROCPRIM_400000_NS6detail17trampoline_kernelINS0_14default_configENS1_29reduce_by_key_config_selectorIN3c108BFloat16ElN6thrust23THRUST_200600_302600_NS4plusIlEEEEZZNS1_33reduce_by_key_impl_wrapped_configILNS1_25lookback_scan_determinismE0ES3_SB_PS6_NS8_17constant_iteratorIiNS8_11use_defaultESG_EENS8_10device_ptrIS6_EENSI_IlEEPmSA_NS8_8equal_toIS6_EEEE10hipError_tPvRmT2_T3_mT4_T5_T6_T7_T8_P12ihipStream_tbENKUlT_T0_E_clISt17integral_constantIbLb0EES14_IbLb1EEEEDaS10_S11_EUlS10_E_NS1_11comp_targetILNS1_3genE10ELNS1_11target_archE1200ELNS1_3gpuE4ELNS1_3repE0EEENS1_30default_config_static_selectorELNS0_4arch9wavefront6targetE1EEEvT1_
    .private_segment_fixed_size: 0
    .sgpr_count:     4
    .sgpr_spill_count: 0
    .symbol:         _ZN7rocprim17ROCPRIM_400000_NS6detail17trampoline_kernelINS0_14default_configENS1_29reduce_by_key_config_selectorIN3c108BFloat16ElN6thrust23THRUST_200600_302600_NS4plusIlEEEEZZNS1_33reduce_by_key_impl_wrapped_configILNS1_25lookback_scan_determinismE0ES3_SB_PS6_NS8_17constant_iteratorIiNS8_11use_defaultESG_EENS8_10device_ptrIS6_EENSI_IlEEPmSA_NS8_8equal_toIS6_EEEE10hipError_tPvRmT2_T3_mT4_T5_T6_T7_T8_P12ihipStream_tbENKUlT_T0_E_clISt17integral_constantIbLb0EES14_IbLb1EEEEDaS10_S11_EUlS10_E_NS1_11comp_targetILNS1_3genE10ELNS1_11target_archE1200ELNS1_3gpuE4ELNS1_3repE0EEENS1_30default_config_static_selectorELNS0_4arch9wavefront6targetE1EEEvT1_.kd
    .uniform_work_group_size: 1
    .uses_dynamic_stack: false
    .vgpr_count:     0
    .vgpr_spill_count: 0
    .wavefront_size: 64
  - .args:
      - .offset:         0
        .size:           144
        .value_kind:     by_value
    .group_segment_fixed_size: 0
    .kernarg_segment_align: 8
    .kernarg_segment_size: 144
    .language:       OpenCL C
    .language_version:
      - 2
      - 0
    .max_flat_workgroup_size: 256
    .name:           _ZN7rocprim17ROCPRIM_400000_NS6detail17trampoline_kernelINS0_14default_configENS1_29reduce_by_key_config_selectorIN3c108BFloat16ElN6thrust23THRUST_200600_302600_NS4plusIlEEEEZZNS1_33reduce_by_key_impl_wrapped_configILNS1_25lookback_scan_determinismE0ES3_SB_PS6_NS8_17constant_iteratorIiNS8_11use_defaultESG_EENS8_10device_ptrIS6_EENSI_IlEEPmSA_NS8_8equal_toIS6_EEEE10hipError_tPvRmT2_T3_mT4_T5_T6_T7_T8_P12ihipStream_tbENKUlT_T0_E_clISt17integral_constantIbLb0EES14_IbLb1EEEEDaS10_S11_EUlS10_E_NS1_11comp_targetILNS1_3genE9ELNS1_11target_archE1100ELNS1_3gpuE3ELNS1_3repE0EEENS1_30default_config_static_selectorELNS0_4arch9wavefront6targetE1EEEvT1_
    .private_segment_fixed_size: 0
    .sgpr_count:     4
    .sgpr_spill_count: 0
    .symbol:         _ZN7rocprim17ROCPRIM_400000_NS6detail17trampoline_kernelINS0_14default_configENS1_29reduce_by_key_config_selectorIN3c108BFloat16ElN6thrust23THRUST_200600_302600_NS4plusIlEEEEZZNS1_33reduce_by_key_impl_wrapped_configILNS1_25lookback_scan_determinismE0ES3_SB_PS6_NS8_17constant_iteratorIiNS8_11use_defaultESG_EENS8_10device_ptrIS6_EENSI_IlEEPmSA_NS8_8equal_toIS6_EEEE10hipError_tPvRmT2_T3_mT4_T5_T6_T7_T8_P12ihipStream_tbENKUlT_T0_E_clISt17integral_constantIbLb0EES14_IbLb1EEEEDaS10_S11_EUlS10_E_NS1_11comp_targetILNS1_3genE9ELNS1_11target_archE1100ELNS1_3gpuE3ELNS1_3repE0EEENS1_30default_config_static_selectorELNS0_4arch9wavefront6targetE1EEEvT1_.kd
    .uniform_work_group_size: 1
    .uses_dynamic_stack: false
    .vgpr_count:     0
    .vgpr_spill_count: 0
    .wavefront_size: 64
  - .args:
      - .offset:         0
        .size:           144
        .value_kind:     by_value
    .group_segment_fixed_size: 0
    .kernarg_segment_align: 8
    .kernarg_segment_size: 144
    .language:       OpenCL C
    .language_version:
      - 2
      - 0
    .max_flat_workgroup_size: 256
    .name:           _ZN7rocprim17ROCPRIM_400000_NS6detail17trampoline_kernelINS0_14default_configENS1_29reduce_by_key_config_selectorIN3c108BFloat16ElN6thrust23THRUST_200600_302600_NS4plusIlEEEEZZNS1_33reduce_by_key_impl_wrapped_configILNS1_25lookback_scan_determinismE0ES3_SB_PS6_NS8_17constant_iteratorIiNS8_11use_defaultESG_EENS8_10device_ptrIS6_EENSI_IlEEPmSA_NS8_8equal_toIS6_EEEE10hipError_tPvRmT2_T3_mT4_T5_T6_T7_T8_P12ihipStream_tbENKUlT_T0_E_clISt17integral_constantIbLb0EES14_IbLb1EEEEDaS10_S11_EUlS10_E_NS1_11comp_targetILNS1_3genE8ELNS1_11target_archE1030ELNS1_3gpuE2ELNS1_3repE0EEENS1_30default_config_static_selectorELNS0_4arch9wavefront6targetE1EEEvT1_
    .private_segment_fixed_size: 0
    .sgpr_count:     4
    .sgpr_spill_count: 0
    .symbol:         _ZN7rocprim17ROCPRIM_400000_NS6detail17trampoline_kernelINS0_14default_configENS1_29reduce_by_key_config_selectorIN3c108BFloat16ElN6thrust23THRUST_200600_302600_NS4plusIlEEEEZZNS1_33reduce_by_key_impl_wrapped_configILNS1_25lookback_scan_determinismE0ES3_SB_PS6_NS8_17constant_iteratorIiNS8_11use_defaultESG_EENS8_10device_ptrIS6_EENSI_IlEEPmSA_NS8_8equal_toIS6_EEEE10hipError_tPvRmT2_T3_mT4_T5_T6_T7_T8_P12ihipStream_tbENKUlT_T0_E_clISt17integral_constantIbLb0EES14_IbLb1EEEEDaS10_S11_EUlS10_E_NS1_11comp_targetILNS1_3genE8ELNS1_11target_archE1030ELNS1_3gpuE2ELNS1_3repE0EEENS1_30default_config_static_selectorELNS0_4arch9wavefront6targetE1EEEvT1_.kd
    .uniform_work_group_size: 1
    .uses_dynamic_stack: false
    .vgpr_count:     0
    .vgpr_spill_count: 0
    .wavefront_size: 64
  - .args:
      - .offset:         0
        .size:           88
        .value_kind:     by_value
    .group_segment_fixed_size: 0
    .kernarg_segment_align: 8
    .kernarg_segment_size: 88
    .language:       OpenCL C
    .language_version:
      - 2
      - 0
    .max_flat_workgroup_size: 128
    .name:           _ZN7rocprim17ROCPRIM_400000_NS6detail17trampoline_kernelINS0_14default_configENS1_22reduce_config_selectorIN6thrust23THRUST_200600_302600_NS5tupleIblNS6_9null_typeES8_S8_S8_S8_S8_S8_S8_EEEEZNS1_11reduce_implILb1ES3_NS6_12zip_iteratorINS7_INS6_11hip_rocprim26transform_input_iterator_tIbPN3c108BFloat16ENS6_6detail10functional5actorINSJ_9compositeIJNSJ_27transparent_binary_operatorINS6_8equal_toIvEEEENSK_INSJ_8argumentILj0EEEEENSJ_5valueISG_EEEEEEEEENSD_19counting_iterator_tIlEES8_S8_S8_S8_S8_S8_S8_S8_EEEEPS9_S9_NSD_9__find_if7functorIS9_EEEE10hipError_tPvRmT1_T2_T3_mT4_P12ihipStream_tbEUlT_E0_NS1_11comp_targetILNS1_3genE0ELNS1_11target_archE4294967295ELNS1_3gpuE0ELNS1_3repE0EEENS1_30default_config_static_selectorELNS0_4arch9wavefront6targetE1EEEvS19_
    .private_segment_fixed_size: 0
    .sgpr_count:     4
    .sgpr_spill_count: 0
    .symbol:         _ZN7rocprim17ROCPRIM_400000_NS6detail17trampoline_kernelINS0_14default_configENS1_22reduce_config_selectorIN6thrust23THRUST_200600_302600_NS5tupleIblNS6_9null_typeES8_S8_S8_S8_S8_S8_S8_EEEEZNS1_11reduce_implILb1ES3_NS6_12zip_iteratorINS7_INS6_11hip_rocprim26transform_input_iterator_tIbPN3c108BFloat16ENS6_6detail10functional5actorINSJ_9compositeIJNSJ_27transparent_binary_operatorINS6_8equal_toIvEEEENSK_INSJ_8argumentILj0EEEEENSJ_5valueISG_EEEEEEEEENSD_19counting_iterator_tIlEES8_S8_S8_S8_S8_S8_S8_S8_EEEEPS9_S9_NSD_9__find_if7functorIS9_EEEE10hipError_tPvRmT1_T2_T3_mT4_P12ihipStream_tbEUlT_E0_NS1_11comp_targetILNS1_3genE0ELNS1_11target_archE4294967295ELNS1_3gpuE0ELNS1_3repE0EEENS1_30default_config_static_selectorELNS0_4arch9wavefront6targetE1EEEvS19_.kd
    .uniform_work_group_size: 1
    .uses_dynamic_stack: false
    .vgpr_count:     0
    .vgpr_spill_count: 0
    .wavefront_size: 64
  - .args:
      - .offset:         0
        .size:           88
        .value_kind:     by_value
    .group_segment_fixed_size: 0
    .kernarg_segment_align: 8
    .kernarg_segment_size: 88
    .language:       OpenCL C
    .language_version:
      - 2
      - 0
    .max_flat_workgroup_size: 256
    .name:           _ZN7rocprim17ROCPRIM_400000_NS6detail17trampoline_kernelINS0_14default_configENS1_22reduce_config_selectorIN6thrust23THRUST_200600_302600_NS5tupleIblNS6_9null_typeES8_S8_S8_S8_S8_S8_S8_EEEEZNS1_11reduce_implILb1ES3_NS6_12zip_iteratorINS7_INS6_11hip_rocprim26transform_input_iterator_tIbPN3c108BFloat16ENS6_6detail10functional5actorINSJ_9compositeIJNSJ_27transparent_binary_operatorINS6_8equal_toIvEEEENSK_INSJ_8argumentILj0EEEEENSJ_5valueISG_EEEEEEEEENSD_19counting_iterator_tIlEES8_S8_S8_S8_S8_S8_S8_S8_EEEEPS9_S9_NSD_9__find_if7functorIS9_EEEE10hipError_tPvRmT1_T2_T3_mT4_P12ihipStream_tbEUlT_E0_NS1_11comp_targetILNS1_3genE5ELNS1_11target_archE942ELNS1_3gpuE9ELNS1_3repE0EEENS1_30default_config_static_selectorELNS0_4arch9wavefront6targetE1EEEvS19_
    .private_segment_fixed_size: 0
    .sgpr_count:     4
    .sgpr_spill_count: 0
    .symbol:         _ZN7rocprim17ROCPRIM_400000_NS6detail17trampoline_kernelINS0_14default_configENS1_22reduce_config_selectorIN6thrust23THRUST_200600_302600_NS5tupleIblNS6_9null_typeES8_S8_S8_S8_S8_S8_S8_EEEEZNS1_11reduce_implILb1ES3_NS6_12zip_iteratorINS7_INS6_11hip_rocprim26transform_input_iterator_tIbPN3c108BFloat16ENS6_6detail10functional5actorINSJ_9compositeIJNSJ_27transparent_binary_operatorINS6_8equal_toIvEEEENSK_INSJ_8argumentILj0EEEEENSJ_5valueISG_EEEEEEEEENSD_19counting_iterator_tIlEES8_S8_S8_S8_S8_S8_S8_S8_EEEEPS9_S9_NSD_9__find_if7functorIS9_EEEE10hipError_tPvRmT1_T2_T3_mT4_P12ihipStream_tbEUlT_E0_NS1_11comp_targetILNS1_3genE5ELNS1_11target_archE942ELNS1_3gpuE9ELNS1_3repE0EEENS1_30default_config_static_selectorELNS0_4arch9wavefront6targetE1EEEvS19_.kd
    .uniform_work_group_size: 1
    .uses_dynamic_stack: false
    .vgpr_count:     0
    .vgpr_spill_count: 0
    .wavefront_size: 64
  - .args:
      - .offset:         0
        .size:           88
        .value_kind:     by_value
    .group_segment_fixed_size: 0
    .kernarg_segment_align: 8
    .kernarg_segment_size: 88
    .language:       OpenCL C
    .language_version:
      - 2
      - 0
    .max_flat_workgroup_size: 256
    .name:           _ZN7rocprim17ROCPRIM_400000_NS6detail17trampoline_kernelINS0_14default_configENS1_22reduce_config_selectorIN6thrust23THRUST_200600_302600_NS5tupleIblNS6_9null_typeES8_S8_S8_S8_S8_S8_S8_EEEEZNS1_11reduce_implILb1ES3_NS6_12zip_iteratorINS7_INS6_11hip_rocprim26transform_input_iterator_tIbPN3c108BFloat16ENS6_6detail10functional5actorINSJ_9compositeIJNSJ_27transparent_binary_operatorINS6_8equal_toIvEEEENSK_INSJ_8argumentILj0EEEEENSJ_5valueISG_EEEEEEEEENSD_19counting_iterator_tIlEES8_S8_S8_S8_S8_S8_S8_S8_EEEEPS9_S9_NSD_9__find_if7functorIS9_EEEE10hipError_tPvRmT1_T2_T3_mT4_P12ihipStream_tbEUlT_E0_NS1_11comp_targetILNS1_3genE4ELNS1_11target_archE910ELNS1_3gpuE8ELNS1_3repE0EEENS1_30default_config_static_selectorELNS0_4arch9wavefront6targetE1EEEvS19_
    .private_segment_fixed_size: 0
    .sgpr_count:     4
    .sgpr_spill_count: 0
    .symbol:         _ZN7rocprim17ROCPRIM_400000_NS6detail17trampoline_kernelINS0_14default_configENS1_22reduce_config_selectorIN6thrust23THRUST_200600_302600_NS5tupleIblNS6_9null_typeES8_S8_S8_S8_S8_S8_S8_EEEEZNS1_11reduce_implILb1ES3_NS6_12zip_iteratorINS7_INS6_11hip_rocprim26transform_input_iterator_tIbPN3c108BFloat16ENS6_6detail10functional5actorINSJ_9compositeIJNSJ_27transparent_binary_operatorINS6_8equal_toIvEEEENSK_INSJ_8argumentILj0EEEEENSJ_5valueISG_EEEEEEEEENSD_19counting_iterator_tIlEES8_S8_S8_S8_S8_S8_S8_S8_EEEEPS9_S9_NSD_9__find_if7functorIS9_EEEE10hipError_tPvRmT1_T2_T3_mT4_P12ihipStream_tbEUlT_E0_NS1_11comp_targetILNS1_3genE4ELNS1_11target_archE910ELNS1_3gpuE8ELNS1_3repE0EEENS1_30default_config_static_selectorELNS0_4arch9wavefront6targetE1EEEvS19_.kd
    .uniform_work_group_size: 1
    .uses_dynamic_stack: false
    .vgpr_count:     0
    .vgpr_spill_count: 0
    .wavefront_size: 64
  - .args:
      - .offset:         0
        .size:           88
        .value_kind:     by_value
    .group_segment_fixed_size: 0
    .kernarg_segment_align: 8
    .kernarg_segment_size: 88
    .language:       OpenCL C
    .language_version:
      - 2
      - 0
    .max_flat_workgroup_size: 128
    .name:           _ZN7rocprim17ROCPRIM_400000_NS6detail17trampoline_kernelINS0_14default_configENS1_22reduce_config_selectorIN6thrust23THRUST_200600_302600_NS5tupleIblNS6_9null_typeES8_S8_S8_S8_S8_S8_S8_EEEEZNS1_11reduce_implILb1ES3_NS6_12zip_iteratorINS7_INS6_11hip_rocprim26transform_input_iterator_tIbPN3c108BFloat16ENS6_6detail10functional5actorINSJ_9compositeIJNSJ_27transparent_binary_operatorINS6_8equal_toIvEEEENSK_INSJ_8argumentILj0EEEEENSJ_5valueISG_EEEEEEEEENSD_19counting_iterator_tIlEES8_S8_S8_S8_S8_S8_S8_S8_EEEEPS9_S9_NSD_9__find_if7functorIS9_EEEE10hipError_tPvRmT1_T2_T3_mT4_P12ihipStream_tbEUlT_E0_NS1_11comp_targetILNS1_3genE3ELNS1_11target_archE908ELNS1_3gpuE7ELNS1_3repE0EEENS1_30default_config_static_selectorELNS0_4arch9wavefront6targetE1EEEvS19_
    .private_segment_fixed_size: 0
    .sgpr_count:     4
    .sgpr_spill_count: 0
    .symbol:         _ZN7rocprim17ROCPRIM_400000_NS6detail17trampoline_kernelINS0_14default_configENS1_22reduce_config_selectorIN6thrust23THRUST_200600_302600_NS5tupleIblNS6_9null_typeES8_S8_S8_S8_S8_S8_S8_EEEEZNS1_11reduce_implILb1ES3_NS6_12zip_iteratorINS7_INS6_11hip_rocprim26transform_input_iterator_tIbPN3c108BFloat16ENS6_6detail10functional5actorINSJ_9compositeIJNSJ_27transparent_binary_operatorINS6_8equal_toIvEEEENSK_INSJ_8argumentILj0EEEEENSJ_5valueISG_EEEEEEEEENSD_19counting_iterator_tIlEES8_S8_S8_S8_S8_S8_S8_S8_EEEEPS9_S9_NSD_9__find_if7functorIS9_EEEE10hipError_tPvRmT1_T2_T3_mT4_P12ihipStream_tbEUlT_E0_NS1_11comp_targetILNS1_3genE3ELNS1_11target_archE908ELNS1_3gpuE7ELNS1_3repE0EEENS1_30default_config_static_selectorELNS0_4arch9wavefront6targetE1EEEvS19_.kd
    .uniform_work_group_size: 1
    .uses_dynamic_stack: false
    .vgpr_count:     0
    .vgpr_spill_count: 0
    .wavefront_size: 64
  - .args:
      - .offset:         0
        .size:           88
        .value_kind:     by_value
    .group_segment_fixed_size: 64
    .kernarg_segment_align: 8
    .kernarg_segment_size: 88
    .language:       OpenCL C
    .language_version:
      - 2
      - 0
    .max_flat_workgroup_size: 128
    .name:           _ZN7rocprim17ROCPRIM_400000_NS6detail17trampoline_kernelINS0_14default_configENS1_22reduce_config_selectorIN6thrust23THRUST_200600_302600_NS5tupleIblNS6_9null_typeES8_S8_S8_S8_S8_S8_S8_EEEEZNS1_11reduce_implILb1ES3_NS6_12zip_iteratorINS7_INS6_11hip_rocprim26transform_input_iterator_tIbPN3c108BFloat16ENS6_6detail10functional5actorINSJ_9compositeIJNSJ_27transparent_binary_operatorINS6_8equal_toIvEEEENSK_INSJ_8argumentILj0EEEEENSJ_5valueISG_EEEEEEEEENSD_19counting_iterator_tIlEES8_S8_S8_S8_S8_S8_S8_S8_EEEEPS9_S9_NSD_9__find_if7functorIS9_EEEE10hipError_tPvRmT1_T2_T3_mT4_P12ihipStream_tbEUlT_E0_NS1_11comp_targetILNS1_3genE2ELNS1_11target_archE906ELNS1_3gpuE6ELNS1_3repE0EEENS1_30default_config_static_selectorELNS0_4arch9wavefront6targetE1EEEvS19_
    .private_segment_fixed_size: 0
    .sgpr_count:     33
    .sgpr_spill_count: 0
    .symbol:         _ZN7rocprim17ROCPRIM_400000_NS6detail17trampoline_kernelINS0_14default_configENS1_22reduce_config_selectorIN6thrust23THRUST_200600_302600_NS5tupleIblNS6_9null_typeES8_S8_S8_S8_S8_S8_S8_EEEEZNS1_11reduce_implILb1ES3_NS6_12zip_iteratorINS7_INS6_11hip_rocprim26transform_input_iterator_tIbPN3c108BFloat16ENS6_6detail10functional5actorINSJ_9compositeIJNSJ_27transparent_binary_operatorINS6_8equal_toIvEEEENSK_INSJ_8argumentILj0EEEEENSJ_5valueISG_EEEEEEEEENSD_19counting_iterator_tIlEES8_S8_S8_S8_S8_S8_S8_S8_EEEEPS9_S9_NSD_9__find_if7functorIS9_EEEE10hipError_tPvRmT1_T2_T3_mT4_P12ihipStream_tbEUlT_E0_NS1_11comp_targetILNS1_3genE2ELNS1_11target_archE906ELNS1_3gpuE6ELNS1_3repE0EEENS1_30default_config_static_selectorELNS0_4arch9wavefront6targetE1EEEvS19_.kd
    .uniform_work_group_size: 1
    .uses_dynamic_stack: false
    .vgpr_count:     13
    .vgpr_spill_count: 0
    .wavefront_size: 64
  - .args:
      - .offset:         0
        .size:           88
        .value_kind:     by_value
    .group_segment_fixed_size: 0
    .kernarg_segment_align: 8
    .kernarg_segment_size: 88
    .language:       OpenCL C
    .language_version:
      - 2
      - 0
    .max_flat_workgroup_size: 256
    .name:           _ZN7rocprim17ROCPRIM_400000_NS6detail17trampoline_kernelINS0_14default_configENS1_22reduce_config_selectorIN6thrust23THRUST_200600_302600_NS5tupleIblNS6_9null_typeES8_S8_S8_S8_S8_S8_S8_EEEEZNS1_11reduce_implILb1ES3_NS6_12zip_iteratorINS7_INS6_11hip_rocprim26transform_input_iterator_tIbPN3c108BFloat16ENS6_6detail10functional5actorINSJ_9compositeIJNSJ_27transparent_binary_operatorINS6_8equal_toIvEEEENSK_INSJ_8argumentILj0EEEEENSJ_5valueISG_EEEEEEEEENSD_19counting_iterator_tIlEES8_S8_S8_S8_S8_S8_S8_S8_EEEEPS9_S9_NSD_9__find_if7functorIS9_EEEE10hipError_tPvRmT1_T2_T3_mT4_P12ihipStream_tbEUlT_E0_NS1_11comp_targetILNS1_3genE10ELNS1_11target_archE1201ELNS1_3gpuE5ELNS1_3repE0EEENS1_30default_config_static_selectorELNS0_4arch9wavefront6targetE1EEEvS19_
    .private_segment_fixed_size: 0
    .sgpr_count:     4
    .sgpr_spill_count: 0
    .symbol:         _ZN7rocprim17ROCPRIM_400000_NS6detail17trampoline_kernelINS0_14default_configENS1_22reduce_config_selectorIN6thrust23THRUST_200600_302600_NS5tupleIblNS6_9null_typeES8_S8_S8_S8_S8_S8_S8_EEEEZNS1_11reduce_implILb1ES3_NS6_12zip_iteratorINS7_INS6_11hip_rocprim26transform_input_iterator_tIbPN3c108BFloat16ENS6_6detail10functional5actorINSJ_9compositeIJNSJ_27transparent_binary_operatorINS6_8equal_toIvEEEENSK_INSJ_8argumentILj0EEEEENSJ_5valueISG_EEEEEEEEENSD_19counting_iterator_tIlEES8_S8_S8_S8_S8_S8_S8_S8_EEEEPS9_S9_NSD_9__find_if7functorIS9_EEEE10hipError_tPvRmT1_T2_T3_mT4_P12ihipStream_tbEUlT_E0_NS1_11comp_targetILNS1_3genE10ELNS1_11target_archE1201ELNS1_3gpuE5ELNS1_3repE0EEENS1_30default_config_static_selectorELNS0_4arch9wavefront6targetE1EEEvS19_.kd
    .uniform_work_group_size: 1
    .uses_dynamic_stack: false
    .vgpr_count:     0
    .vgpr_spill_count: 0
    .wavefront_size: 64
  - .args:
      - .offset:         0
        .size:           88
        .value_kind:     by_value
    .group_segment_fixed_size: 0
    .kernarg_segment_align: 8
    .kernarg_segment_size: 88
    .language:       OpenCL C
    .language_version:
      - 2
      - 0
    .max_flat_workgroup_size: 256
    .name:           _ZN7rocprim17ROCPRIM_400000_NS6detail17trampoline_kernelINS0_14default_configENS1_22reduce_config_selectorIN6thrust23THRUST_200600_302600_NS5tupleIblNS6_9null_typeES8_S8_S8_S8_S8_S8_S8_EEEEZNS1_11reduce_implILb1ES3_NS6_12zip_iteratorINS7_INS6_11hip_rocprim26transform_input_iterator_tIbPN3c108BFloat16ENS6_6detail10functional5actorINSJ_9compositeIJNSJ_27transparent_binary_operatorINS6_8equal_toIvEEEENSK_INSJ_8argumentILj0EEEEENSJ_5valueISG_EEEEEEEEENSD_19counting_iterator_tIlEES8_S8_S8_S8_S8_S8_S8_S8_EEEEPS9_S9_NSD_9__find_if7functorIS9_EEEE10hipError_tPvRmT1_T2_T3_mT4_P12ihipStream_tbEUlT_E0_NS1_11comp_targetILNS1_3genE10ELNS1_11target_archE1200ELNS1_3gpuE4ELNS1_3repE0EEENS1_30default_config_static_selectorELNS0_4arch9wavefront6targetE1EEEvS19_
    .private_segment_fixed_size: 0
    .sgpr_count:     4
    .sgpr_spill_count: 0
    .symbol:         _ZN7rocprim17ROCPRIM_400000_NS6detail17trampoline_kernelINS0_14default_configENS1_22reduce_config_selectorIN6thrust23THRUST_200600_302600_NS5tupleIblNS6_9null_typeES8_S8_S8_S8_S8_S8_S8_EEEEZNS1_11reduce_implILb1ES3_NS6_12zip_iteratorINS7_INS6_11hip_rocprim26transform_input_iterator_tIbPN3c108BFloat16ENS6_6detail10functional5actorINSJ_9compositeIJNSJ_27transparent_binary_operatorINS6_8equal_toIvEEEENSK_INSJ_8argumentILj0EEEEENSJ_5valueISG_EEEEEEEEENSD_19counting_iterator_tIlEES8_S8_S8_S8_S8_S8_S8_S8_EEEEPS9_S9_NSD_9__find_if7functorIS9_EEEE10hipError_tPvRmT1_T2_T3_mT4_P12ihipStream_tbEUlT_E0_NS1_11comp_targetILNS1_3genE10ELNS1_11target_archE1200ELNS1_3gpuE4ELNS1_3repE0EEENS1_30default_config_static_selectorELNS0_4arch9wavefront6targetE1EEEvS19_.kd
    .uniform_work_group_size: 1
    .uses_dynamic_stack: false
    .vgpr_count:     0
    .vgpr_spill_count: 0
    .wavefront_size: 64
  - .args:
      - .offset:         0
        .size:           88
        .value_kind:     by_value
    .group_segment_fixed_size: 0
    .kernarg_segment_align: 8
    .kernarg_segment_size: 88
    .language:       OpenCL C
    .language_version:
      - 2
      - 0
    .max_flat_workgroup_size: 256
    .name:           _ZN7rocprim17ROCPRIM_400000_NS6detail17trampoline_kernelINS0_14default_configENS1_22reduce_config_selectorIN6thrust23THRUST_200600_302600_NS5tupleIblNS6_9null_typeES8_S8_S8_S8_S8_S8_S8_EEEEZNS1_11reduce_implILb1ES3_NS6_12zip_iteratorINS7_INS6_11hip_rocprim26transform_input_iterator_tIbPN3c108BFloat16ENS6_6detail10functional5actorINSJ_9compositeIJNSJ_27transparent_binary_operatorINS6_8equal_toIvEEEENSK_INSJ_8argumentILj0EEEEENSJ_5valueISG_EEEEEEEEENSD_19counting_iterator_tIlEES8_S8_S8_S8_S8_S8_S8_S8_EEEEPS9_S9_NSD_9__find_if7functorIS9_EEEE10hipError_tPvRmT1_T2_T3_mT4_P12ihipStream_tbEUlT_E0_NS1_11comp_targetILNS1_3genE9ELNS1_11target_archE1100ELNS1_3gpuE3ELNS1_3repE0EEENS1_30default_config_static_selectorELNS0_4arch9wavefront6targetE1EEEvS19_
    .private_segment_fixed_size: 0
    .sgpr_count:     4
    .sgpr_spill_count: 0
    .symbol:         _ZN7rocprim17ROCPRIM_400000_NS6detail17trampoline_kernelINS0_14default_configENS1_22reduce_config_selectorIN6thrust23THRUST_200600_302600_NS5tupleIblNS6_9null_typeES8_S8_S8_S8_S8_S8_S8_EEEEZNS1_11reduce_implILb1ES3_NS6_12zip_iteratorINS7_INS6_11hip_rocprim26transform_input_iterator_tIbPN3c108BFloat16ENS6_6detail10functional5actorINSJ_9compositeIJNSJ_27transparent_binary_operatorINS6_8equal_toIvEEEENSK_INSJ_8argumentILj0EEEEENSJ_5valueISG_EEEEEEEEENSD_19counting_iterator_tIlEES8_S8_S8_S8_S8_S8_S8_S8_EEEEPS9_S9_NSD_9__find_if7functorIS9_EEEE10hipError_tPvRmT1_T2_T3_mT4_P12ihipStream_tbEUlT_E0_NS1_11comp_targetILNS1_3genE9ELNS1_11target_archE1100ELNS1_3gpuE3ELNS1_3repE0EEENS1_30default_config_static_selectorELNS0_4arch9wavefront6targetE1EEEvS19_.kd
    .uniform_work_group_size: 1
    .uses_dynamic_stack: false
    .vgpr_count:     0
    .vgpr_spill_count: 0
    .wavefront_size: 64
  - .args:
      - .offset:         0
        .size:           88
        .value_kind:     by_value
    .group_segment_fixed_size: 0
    .kernarg_segment_align: 8
    .kernarg_segment_size: 88
    .language:       OpenCL C
    .language_version:
      - 2
      - 0
    .max_flat_workgroup_size: 256
    .name:           _ZN7rocprim17ROCPRIM_400000_NS6detail17trampoline_kernelINS0_14default_configENS1_22reduce_config_selectorIN6thrust23THRUST_200600_302600_NS5tupleIblNS6_9null_typeES8_S8_S8_S8_S8_S8_S8_EEEEZNS1_11reduce_implILb1ES3_NS6_12zip_iteratorINS7_INS6_11hip_rocprim26transform_input_iterator_tIbPN3c108BFloat16ENS6_6detail10functional5actorINSJ_9compositeIJNSJ_27transparent_binary_operatorINS6_8equal_toIvEEEENSK_INSJ_8argumentILj0EEEEENSJ_5valueISG_EEEEEEEEENSD_19counting_iterator_tIlEES8_S8_S8_S8_S8_S8_S8_S8_EEEEPS9_S9_NSD_9__find_if7functorIS9_EEEE10hipError_tPvRmT1_T2_T3_mT4_P12ihipStream_tbEUlT_E0_NS1_11comp_targetILNS1_3genE8ELNS1_11target_archE1030ELNS1_3gpuE2ELNS1_3repE0EEENS1_30default_config_static_selectorELNS0_4arch9wavefront6targetE1EEEvS19_
    .private_segment_fixed_size: 0
    .sgpr_count:     4
    .sgpr_spill_count: 0
    .symbol:         _ZN7rocprim17ROCPRIM_400000_NS6detail17trampoline_kernelINS0_14default_configENS1_22reduce_config_selectorIN6thrust23THRUST_200600_302600_NS5tupleIblNS6_9null_typeES8_S8_S8_S8_S8_S8_S8_EEEEZNS1_11reduce_implILb1ES3_NS6_12zip_iteratorINS7_INS6_11hip_rocprim26transform_input_iterator_tIbPN3c108BFloat16ENS6_6detail10functional5actorINSJ_9compositeIJNSJ_27transparent_binary_operatorINS6_8equal_toIvEEEENSK_INSJ_8argumentILj0EEEEENSJ_5valueISG_EEEEEEEEENSD_19counting_iterator_tIlEES8_S8_S8_S8_S8_S8_S8_S8_EEEEPS9_S9_NSD_9__find_if7functorIS9_EEEE10hipError_tPvRmT1_T2_T3_mT4_P12ihipStream_tbEUlT_E0_NS1_11comp_targetILNS1_3genE8ELNS1_11target_archE1030ELNS1_3gpuE2ELNS1_3repE0EEENS1_30default_config_static_selectorELNS0_4arch9wavefront6targetE1EEEvS19_.kd
    .uniform_work_group_size: 1
    .uses_dynamic_stack: false
    .vgpr_count:     0
    .vgpr_spill_count: 0
    .wavefront_size: 64
  - .args:
      - .offset:         0
        .size:           72
        .value_kind:     by_value
    .group_segment_fixed_size: 0
    .kernarg_segment_align: 8
    .kernarg_segment_size: 72
    .language:       OpenCL C
    .language_version:
      - 2
      - 0
    .max_flat_workgroup_size: 128
    .name:           _ZN7rocprim17ROCPRIM_400000_NS6detail17trampoline_kernelINS0_14default_configENS1_22reduce_config_selectorIN6thrust23THRUST_200600_302600_NS5tupleIblNS6_9null_typeES8_S8_S8_S8_S8_S8_S8_EEEEZNS1_11reduce_implILb1ES3_NS6_12zip_iteratorINS7_INS6_11hip_rocprim26transform_input_iterator_tIbPN3c108BFloat16ENS6_6detail10functional5actorINSJ_9compositeIJNSJ_27transparent_binary_operatorINS6_8equal_toIvEEEENSK_INSJ_8argumentILj0EEEEENSJ_5valueISG_EEEEEEEEENSD_19counting_iterator_tIlEES8_S8_S8_S8_S8_S8_S8_S8_EEEEPS9_S9_NSD_9__find_if7functorIS9_EEEE10hipError_tPvRmT1_T2_T3_mT4_P12ihipStream_tbEUlT_E1_NS1_11comp_targetILNS1_3genE0ELNS1_11target_archE4294967295ELNS1_3gpuE0ELNS1_3repE0EEENS1_30default_config_static_selectorELNS0_4arch9wavefront6targetE1EEEvS19_
    .private_segment_fixed_size: 0
    .sgpr_count:     4
    .sgpr_spill_count: 0
    .symbol:         _ZN7rocprim17ROCPRIM_400000_NS6detail17trampoline_kernelINS0_14default_configENS1_22reduce_config_selectorIN6thrust23THRUST_200600_302600_NS5tupleIblNS6_9null_typeES8_S8_S8_S8_S8_S8_S8_EEEEZNS1_11reduce_implILb1ES3_NS6_12zip_iteratorINS7_INS6_11hip_rocprim26transform_input_iterator_tIbPN3c108BFloat16ENS6_6detail10functional5actorINSJ_9compositeIJNSJ_27transparent_binary_operatorINS6_8equal_toIvEEEENSK_INSJ_8argumentILj0EEEEENSJ_5valueISG_EEEEEEEEENSD_19counting_iterator_tIlEES8_S8_S8_S8_S8_S8_S8_S8_EEEEPS9_S9_NSD_9__find_if7functorIS9_EEEE10hipError_tPvRmT1_T2_T3_mT4_P12ihipStream_tbEUlT_E1_NS1_11comp_targetILNS1_3genE0ELNS1_11target_archE4294967295ELNS1_3gpuE0ELNS1_3repE0EEENS1_30default_config_static_selectorELNS0_4arch9wavefront6targetE1EEEvS19_.kd
    .uniform_work_group_size: 1
    .uses_dynamic_stack: false
    .vgpr_count:     0
    .vgpr_spill_count: 0
    .wavefront_size: 64
  - .args:
      - .offset:         0
        .size:           72
        .value_kind:     by_value
    .group_segment_fixed_size: 0
    .kernarg_segment_align: 8
    .kernarg_segment_size: 72
    .language:       OpenCL C
    .language_version:
      - 2
      - 0
    .max_flat_workgroup_size: 256
    .name:           _ZN7rocprim17ROCPRIM_400000_NS6detail17trampoline_kernelINS0_14default_configENS1_22reduce_config_selectorIN6thrust23THRUST_200600_302600_NS5tupleIblNS6_9null_typeES8_S8_S8_S8_S8_S8_S8_EEEEZNS1_11reduce_implILb1ES3_NS6_12zip_iteratorINS7_INS6_11hip_rocprim26transform_input_iterator_tIbPN3c108BFloat16ENS6_6detail10functional5actorINSJ_9compositeIJNSJ_27transparent_binary_operatorINS6_8equal_toIvEEEENSK_INSJ_8argumentILj0EEEEENSJ_5valueISG_EEEEEEEEENSD_19counting_iterator_tIlEES8_S8_S8_S8_S8_S8_S8_S8_EEEEPS9_S9_NSD_9__find_if7functorIS9_EEEE10hipError_tPvRmT1_T2_T3_mT4_P12ihipStream_tbEUlT_E1_NS1_11comp_targetILNS1_3genE5ELNS1_11target_archE942ELNS1_3gpuE9ELNS1_3repE0EEENS1_30default_config_static_selectorELNS0_4arch9wavefront6targetE1EEEvS19_
    .private_segment_fixed_size: 0
    .sgpr_count:     4
    .sgpr_spill_count: 0
    .symbol:         _ZN7rocprim17ROCPRIM_400000_NS6detail17trampoline_kernelINS0_14default_configENS1_22reduce_config_selectorIN6thrust23THRUST_200600_302600_NS5tupleIblNS6_9null_typeES8_S8_S8_S8_S8_S8_S8_EEEEZNS1_11reduce_implILb1ES3_NS6_12zip_iteratorINS7_INS6_11hip_rocprim26transform_input_iterator_tIbPN3c108BFloat16ENS6_6detail10functional5actorINSJ_9compositeIJNSJ_27transparent_binary_operatorINS6_8equal_toIvEEEENSK_INSJ_8argumentILj0EEEEENSJ_5valueISG_EEEEEEEEENSD_19counting_iterator_tIlEES8_S8_S8_S8_S8_S8_S8_S8_EEEEPS9_S9_NSD_9__find_if7functorIS9_EEEE10hipError_tPvRmT1_T2_T3_mT4_P12ihipStream_tbEUlT_E1_NS1_11comp_targetILNS1_3genE5ELNS1_11target_archE942ELNS1_3gpuE9ELNS1_3repE0EEENS1_30default_config_static_selectorELNS0_4arch9wavefront6targetE1EEEvS19_.kd
    .uniform_work_group_size: 1
    .uses_dynamic_stack: false
    .vgpr_count:     0
    .vgpr_spill_count: 0
    .wavefront_size: 64
  - .args:
      - .offset:         0
        .size:           72
        .value_kind:     by_value
    .group_segment_fixed_size: 0
    .kernarg_segment_align: 8
    .kernarg_segment_size: 72
    .language:       OpenCL C
    .language_version:
      - 2
      - 0
    .max_flat_workgroup_size: 256
    .name:           _ZN7rocprim17ROCPRIM_400000_NS6detail17trampoline_kernelINS0_14default_configENS1_22reduce_config_selectorIN6thrust23THRUST_200600_302600_NS5tupleIblNS6_9null_typeES8_S8_S8_S8_S8_S8_S8_EEEEZNS1_11reduce_implILb1ES3_NS6_12zip_iteratorINS7_INS6_11hip_rocprim26transform_input_iterator_tIbPN3c108BFloat16ENS6_6detail10functional5actorINSJ_9compositeIJNSJ_27transparent_binary_operatorINS6_8equal_toIvEEEENSK_INSJ_8argumentILj0EEEEENSJ_5valueISG_EEEEEEEEENSD_19counting_iterator_tIlEES8_S8_S8_S8_S8_S8_S8_S8_EEEEPS9_S9_NSD_9__find_if7functorIS9_EEEE10hipError_tPvRmT1_T2_T3_mT4_P12ihipStream_tbEUlT_E1_NS1_11comp_targetILNS1_3genE4ELNS1_11target_archE910ELNS1_3gpuE8ELNS1_3repE0EEENS1_30default_config_static_selectorELNS0_4arch9wavefront6targetE1EEEvS19_
    .private_segment_fixed_size: 0
    .sgpr_count:     4
    .sgpr_spill_count: 0
    .symbol:         _ZN7rocprim17ROCPRIM_400000_NS6detail17trampoline_kernelINS0_14default_configENS1_22reduce_config_selectorIN6thrust23THRUST_200600_302600_NS5tupleIblNS6_9null_typeES8_S8_S8_S8_S8_S8_S8_EEEEZNS1_11reduce_implILb1ES3_NS6_12zip_iteratorINS7_INS6_11hip_rocprim26transform_input_iterator_tIbPN3c108BFloat16ENS6_6detail10functional5actorINSJ_9compositeIJNSJ_27transparent_binary_operatorINS6_8equal_toIvEEEENSK_INSJ_8argumentILj0EEEEENSJ_5valueISG_EEEEEEEEENSD_19counting_iterator_tIlEES8_S8_S8_S8_S8_S8_S8_S8_EEEEPS9_S9_NSD_9__find_if7functorIS9_EEEE10hipError_tPvRmT1_T2_T3_mT4_P12ihipStream_tbEUlT_E1_NS1_11comp_targetILNS1_3genE4ELNS1_11target_archE910ELNS1_3gpuE8ELNS1_3repE0EEENS1_30default_config_static_selectorELNS0_4arch9wavefront6targetE1EEEvS19_.kd
    .uniform_work_group_size: 1
    .uses_dynamic_stack: false
    .vgpr_count:     0
    .vgpr_spill_count: 0
    .wavefront_size: 64
  - .args:
      - .offset:         0
        .size:           72
        .value_kind:     by_value
    .group_segment_fixed_size: 0
    .kernarg_segment_align: 8
    .kernarg_segment_size: 72
    .language:       OpenCL C
    .language_version:
      - 2
      - 0
    .max_flat_workgroup_size: 128
    .name:           _ZN7rocprim17ROCPRIM_400000_NS6detail17trampoline_kernelINS0_14default_configENS1_22reduce_config_selectorIN6thrust23THRUST_200600_302600_NS5tupleIblNS6_9null_typeES8_S8_S8_S8_S8_S8_S8_EEEEZNS1_11reduce_implILb1ES3_NS6_12zip_iteratorINS7_INS6_11hip_rocprim26transform_input_iterator_tIbPN3c108BFloat16ENS6_6detail10functional5actorINSJ_9compositeIJNSJ_27transparent_binary_operatorINS6_8equal_toIvEEEENSK_INSJ_8argumentILj0EEEEENSJ_5valueISG_EEEEEEEEENSD_19counting_iterator_tIlEES8_S8_S8_S8_S8_S8_S8_S8_EEEEPS9_S9_NSD_9__find_if7functorIS9_EEEE10hipError_tPvRmT1_T2_T3_mT4_P12ihipStream_tbEUlT_E1_NS1_11comp_targetILNS1_3genE3ELNS1_11target_archE908ELNS1_3gpuE7ELNS1_3repE0EEENS1_30default_config_static_selectorELNS0_4arch9wavefront6targetE1EEEvS19_
    .private_segment_fixed_size: 0
    .sgpr_count:     4
    .sgpr_spill_count: 0
    .symbol:         _ZN7rocprim17ROCPRIM_400000_NS6detail17trampoline_kernelINS0_14default_configENS1_22reduce_config_selectorIN6thrust23THRUST_200600_302600_NS5tupleIblNS6_9null_typeES8_S8_S8_S8_S8_S8_S8_EEEEZNS1_11reduce_implILb1ES3_NS6_12zip_iteratorINS7_INS6_11hip_rocprim26transform_input_iterator_tIbPN3c108BFloat16ENS6_6detail10functional5actorINSJ_9compositeIJNSJ_27transparent_binary_operatorINS6_8equal_toIvEEEENSK_INSJ_8argumentILj0EEEEENSJ_5valueISG_EEEEEEEEENSD_19counting_iterator_tIlEES8_S8_S8_S8_S8_S8_S8_S8_EEEEPS9_S9_NSD_9__find_if7functorIS9_EEEE10hipError_tPvRmT1_T2_T3_mT4_P12ihipStream_tbEUlT_E1_NS1_11comp_targetILNS1_3genE3ELNS1_11target_archE908ELNS1_3gpuE7ELNS1_3repE0EEENS1_30default_config_static_selectorELNS0_4arch9wavefront6targetE1EEEvS19_.kd
    .uniform_work_group_size: 1
    .uses_dynamic_stack: false
    .vgpr_count:     0
    .vgpr_spill_count: 0
    .wavefront_size: 64
  - .args:
      - .offset:         0
        .size:           72
        .value_kind:     by_value
    .group_segment_fixed_size: 160
    .kernarg_segment_align: 8
    .kernarg_segment_size: 72
    .language:       OpenCL C
    .language_version:
      - 2
      - 0
    .max_flat_workgroup_size: 128
    .name:           _ZN7rocprim17ROCPRIM_400000_NS6detail17trampoline_kernelINS0_14default_configENS1_22reduce_config_selectorIN6thrust23THRUST_200600_302600_NS5tupleIblNS6_9null_typeES8_S8_S8_S8_S8_S8_S8_EEEEZNS1_11reduce_implILb1ES3_NS6_12zip_iteratorINS7_INS6_11hip_rocprim26transform_input_iterator_tIbPN3c108BFloat16ENS6_6detail10functional5actorINSJ_9compositeIJNSJ_27transparent_binary_operatorINS6_8equal_toIvEEEENSK_INSJ_8argumentILj0EEEEENSJ_5valueISG_EEEEEEEEENSD_19counting_iterator_tIlEES8_S8_S8_S8_S8_S8_S8_S8_EEEEPS9_S9_NSD_9__find_if7functorIS9_EEEE10hipError_tPvRmT1_T2_T3_mT4_P12ihipStream_tbEUlT_E1_NS1_11comp_targetILNS1_3genE2ELNS1_11target_archE906ELNS1_3gpuE6ELNS1_3repE0EEENS1_30default_config_static_selectorELNS0_4arch9wavefront6targetE1EEEvS19_
    .private_segment_fixed_size: 0
    .sgpr_count:     44
    .sgpr_spill_count: 0
    .symbol:         _ZN7rocprim17ROCPRIM_400000_NS6detail17trampoline_kernelINS0_14default_configENS1_22reduce_config_selectorIN6thrust23THRUST_200600_302600_NS5tupleIblNS6_9null_typeES8_S8_S8_S8_S8_S8_S8_EEEEZNS1_11reduce_implILb1ES3_NS6_12zip_iteratorINS7_INS6_11hip_rocprim26transform_input_iterator_tIbPN3c108BFloat16ENS6_6detail10functional5actorINSJ_9compositeIJNSJ_27transparent_binary_operatorINS6_8equal_toIvEEEENSK_INSJ_8argumentILj0EEEEENSJ_5valueISG_EEEEEEEEENSD_19counting_iterator_tIlEES8_S8_S8_S8_S8_S8_S8_S8_EEEEPS9_S9_NSD_9__find_if7functorIS9_EEEE10hipError_tPvRmT1_T2_T3_mT4_P12ihipStream_tbEUlT_E1_NS1_11comp_targetILNS1_3genE2ELNS1_11target_archE906ELNS1_3gpuE6ELNS1_3repE0EEENS1_30default_config_static_selectorELNS0_4arch9wavefront6targetE1EEEvS19_.kd
    .uniform_work_group_size: 1
    .uses_dynamic_stack: false
    .vgpr_count:     26
    .vgpr_spill_count: 0
    .wavefront_size: 64
  - .args:
      - .offset:         0
        .size:           72
        .value_kind:     by_value
    .group_segment_fixed_size: 0
    .kernarg_segment_align: 8
    .kernarg_segment_size: 72
    .language:       OpenCL C
    .language_version:
      - 2
      - 0
    .max_flat_workgroup_size: 256
    .name:           _ZN7rocprim17ROCPRIM_400000_NS6detail17trampoline_kernelINS0_14default_configENS1_22reduce_config_selectorIN6thrust23THRUST_200600_302600_NS5tupleIblNS6_9null_typeES8_S8_S8_S8_S8_S8_S8_EEEEZNS1_11reduce_implILb1ES3_NS6_12zip_iteratorINS7_INS6_11hip_rocprim26transform_input_iterator_tIbPN3c108BFloat16ENS6_6detail10functional5actorINSJ_9compositeIJNSJ_27transparent_binary_operatorINS6_8equal_toIvEEEENSK_INSJ_8argumentILj0EEEEENSJ_5valueISG_EEEEEEEEENSD_19counting_iterator_tIlEES8_S8_S8_S8_S8_S8_S8_S8_EEEEPS9_S9_NSD_9__find_if7functorIS9_EEEE10hipError_tPvRmT1_T2_T3_mT4_P12ihipStream_tbEUlT_E1_NS1_11comp_targetILNS1_3genE10ELNS1_11target_archE1201ELNS1_3gpuE5ELNS1_3repE0EEENS1_30default_config_static_selectorELNS0_4arch9wavefront6targetE1EEEvS19_
    .private_segment_fixed_size: 0
    .sgpr_count:     4
    .sgpr_spill_count: 0
    .symbol:         _ZN7rocprim17ROCPRIM_400000_NS6detail17trampoline_kernelINS0_14default_configENS1_22reduce_config_selectorIN6thrust23THRUST_200600_302600_NS5tupleIblNS6_9null_typeES8_S8_S8_S8_S8_S8_S8_EEEEZNS1_11reduce_implILb1ES3_NS6_12zip_iteratorINS7_INS6_11hip_rocprim26transform_input_iterator_tIbPN3c108BFloat16ENS6_6detail10functional5actorINSJ_9compositeIJNSJ_27transparent_binary_operatorINS6_8equal_toIvEEEENSK_INSJ_8argumentILj0EEEEENSJ_5valueISG_EEEEEEEEENSD_19counting_iterator_tIlEES8_S8_S8_S8_S8_S8_S8_S8_EEEEPS9_S9_NSD_9__find_if7functorIS9_EEEE10hipError_tPvRmT1_T2_T3_mT4_P12ihipStream_tbEUlT_E1_NS1_11comp_targetILNS1_3genE10ELNS1_11target_archE1201ELNS1_3gpuE5ELNS1_3repE0EEENS1_30default_config_static_selectorELNS0_4arch9wavefront6targetE1EEEvS19_.kd
    .uniform_work_group_size: 1
    .uses_dynamic_stack: false
    .vgpr_count:     0
    .vgpr_spill_count: 0
    .wavefront_size: 64
  - .args:
      - .offset:         0
        .size:           72
        .value_kind:     by_value
    .group_segment_fixed_size: 0
    .kernarg_segment_align: 8
    .kernarg_segment_size: 72
    .language:       OpenCL C
    .language_version:
      - 2
      - 0
    .max_flat_workgroup_size: 256
    .name:           _ZN7rocprim17ROCPRIM_400000_NS6detail17trampoline_kernelINS0_14default_configENS1_22reduce_config_selectorIN6thrust23THRUST_200600_302600_NS5tupleIblNS6_9null_typeES8_S8_S8_S8_S8_S8_S8_EEEEZNS1_11reduce_implILb1ES3_NS6_12zip_iteratorINS7_INS6_11hip_rocprim26transform_input_iterator_tIbPN3c108BFloat16ENS6_6detail10functional5actorINSJ_9compositeIJNSJ_27transparent_binary_operatorINS6_8equal_toIvEEEENSK_INSJ_8argumentILj0EEEEENSJ_5valueISG_EEEEEEEEENSD_19counting_iterator_tIlEES8_S8_S8_S8_S8_S8_S8_S8_EEEEPS9_S9_NSD_9__find_if7functorIS9_EEEE10hipError_tPvRmT1_T2_T3_mT4_P12ihipStream_tbEUlT_E1_NS1_11comp_targetILNS1_3genE10ELNS1_11target_archE1200ELNS1_3gpuE4ELNS1_3repE0EEENS1_30default_config_static_selectorELNS0_4arch9wavefront6targetE1EEEvS19_
    .private_segment_fixed_size: 0
    .sgpr_count:     4
    .sgpr_spill_count: 0
    .symbol:         _ZN7rocprim17ROCPRIM_400000_NS6detail17trampoline_kernelINS0_14default_configENS1_22reduce_config_selectorIN6thrust23THRUST_200600_302600_NS5tupleIblNS6_9null_typeES8_S8_S8_S8_S8_S8_S8_EEEEZNS1_11reduce_implILb1ES3_NS6_12zip_iteratorINS7_INS6_11hip_rocprim26transform_input_iterator_tIbPN3c108BFloat16ENS6_6detail10functional5actorINSJ_9compositeIJNSJ_27transparent_binary_operatorINS6_8equal_toIvEEEENSK_INSJ_8argumentILj0EEEEENSJ_5valueISG_EEEEEEEEENSD_19counting_iterator_tIlEES8_S8_S8_S8_S8_S8_S8_S8_EEEEPS9_S9_NSD_9__find_if7functorIS9_EEEE10hipError_tPvRmT1_T2_T3_mT4_P12ihipStream_tbEUlT_E1_NS1_11comp_targetILNS1_3genE10ELNS1_11target_archE1200ELNS1_3gpuE4ELNS1_3repE0EEENS1_30default_config_static_selectorELNS0_4arch9wavefront6targetE1EEEvS19_.kd
    .uniform_work_group_size: 1
    .uses_dynamic_stack: false
    .vgpr_count:     0
    .vgpr_spill_count: 0
    .wavefront_size: 64
  - .args:
      - .offset:         0
        .size:           72
        .value_kind:     by_value
    .group_segment_fixed_size: 0
    .kernarg_segment_align: 8
    .kernarg_segment_size: 72
    .language:       OpenCL C
    .language_version:
      - 2
      - 0
    .max_flat_workgroup_size: 256
    .name:           _ZN7rocprim17ROCPRIM_400000_NS6detail17trampoline_kernelINS0_14default_configENS1_22reduce_config_selectorIN6thrust23THRUST_200600_302600_NS5tupleIblNS6_9null_typeES8_S8_S8_S8_S8_S8_S8_EEEEZNS1_11reduce_implILb1ES3_NS6_12zip_iteratorINS7_INS6_11hip_rocprim26transform_input_iterator_tIbPN3c108BFloat16ENS6_6detail10functional5actorINSJ_9compositeIJNSJ_27transparent_binary_operatorINS6_8equal_toIvEEEENSK_INSJ_8argumentILj0EEEEENSJ_5valueISG_EEEEEEEEENSD_19counting_iterator_tIlEES8_S8_S8_S8_S8_S8_S8_S8_EEEEPS9_S9_NSD_9__find_if7functorIS9_EEEE10hipError_tPvRmT1_T2_T3_mT4_P12ihipStream_tbEUlT_E1_NS1_11comp_targetILNS1_3genE9ELNS1_11target_archE1100ELNS1_3gpuE3ELNS1_3repE0EEENS1_30default_config_static_selectorELNS0_4arch9wavefront6targetE1EEEvS19_
    .private_segment_fixed_size: 0
    .sgpr_count:     4
    .sgpr_spill_count: 0
    .symbol:         _ZN7rocprim17ROCPRIM_400000_NS6detail17trampoline_kernelINS0_14default_configENS1_22reduce_config_selectorIN6thrust23THRUST_200600_302600_NS5tupleIblNS6_9null_typeES8_S8_S8_S8_S8_S8_S8_EEEEZNS1_11reduce_implILb1ES3_NS6_12zip_iteratorINS7_INS6_11hip_rocprim26transform_input_iterator_tIbPN3c108BFloat16ENS6_6detail10functional5actorINSJ_9compositeIJNSJ_27transparent_binary_operatorINS6_8equal_toIvEEEENSK_INSJ_8argumentILj0EEEEENSJ_5valueISG_EEEEEEEEENSD_19counting_iterator_tIlEES8_S8_S8_S8_S8_S8_S8_S8_EEEEPS9_S9_NSD_9__find_if7functorIS9_EEEE10hipError_tPvRmT1_T2_T3_mT4_P12ihipStream_tbEUlT_E1_NS1_11comp_targetILNS1_3genE9ELNS1_11target_archE1100ELNS1_3gpuE3ELNS1_3repE0EEENS1_30default_config_static_selectorELNS0_4arch9wavefront6targetE1EEEvS19_.kd
    .uniform_work_group_size: 1
    .uses_dynamic_stack: false
    .vgpr_count:     0
    .vgpr_spill_count: 0
    .wavefront_size: 64
  - .args:
      - .offset:         0
        .size:           72
        .value_kind:     by_value
    .group_segment_fixed_size: 0
    .kernarg_segment_align: 8
    .kernarg_segment_size: 72
    .language:       OpenCL C
    .language_version:
      - 2
      - 0
    .max_flat_workgroup_size: 256
    .name:           _ZN7rocprim17ROCPRIM_400000_NS6detail17trampoline_kernelINS0_14default_configENS1_22reduce_config_selectorIN6thrust23THRUST_200600_302600_NS5tupleIblNS6_9null_typeES8_S8_S8_S8_S8_S8_S8_EEEEZNS1_11reduce_implILb1ES3_NS6_12zip_iteratorINS7_INS6_11hip_rocprim26transform_input_iterator_tIbPN3c108BFloat16ENS6_6detail10functional5actorINSJ_9compositeIJNSJ_27transparent_binary_operatorINS6_8equal_toIvEEEENSK_INSJ_8argumentILj0EEEEENSJ_5valueISG_EEEEEEEEENSD_19counting_iterator_tIlEES8_S8_S8_S8_S8_S8_S8_S8_EEEEPS9_S9_NSD_9__find_if7functorIS9_EEEE10hipError_tPvRmT1_T2_T3_mT4_P12ihipStream_tbEUlT_E1_NS1_11comp_targetILNS1_3genE8ELNS1_11target_archE1030ELNS1_3gpuE2ELNS1_3repE0EEENS1_30default_config_static_selectorELNS0_4arch9wavefront6targetE1EEEvS19_
    .private_segment_fixed_size: 0
    .sgpr_count:     4
    .sgpr_spill_count: 0
    .symbol:         _ZN7rocprim17ROCPRIM_400000_NS6detail17trampoline_kernelINS0_14default_configENS1_22reduce_config_selectorIN6thrust23THRUST_200600_302600_NS5tupleIblNS6_9null_typeES8_S8_S8_S8_S8_S8_S8_EEEEZNS1_11reduce_implILb1ES3_NS6_12zip_iteratorINS7_INS6_11hip_rocprim26transform_input_iterator_tIbPN3c108BFloat16ENS6_6detail10functional5actorINSJ_9compositeIJNSJ_27transparent_binary_operatorINS6_8equal_toIvEEEENSK_INSJ_8argumentILj0EEEEENSJ_5valueISG_EEEEEEEEENSD_19counting_iterator_tIlEES8_S8_S8_S8_S8_S8_S8_S8_EEEEPS9_S9_NSD_9__find_if7functorIS9_EEEE10hipError_tPvRmT1_T2_T3_mT4_P12ihipStream_tbEUlT_E1_NS1_11comp_targetILNS1_3genE8ELNS1_11target_archE1030ELNS1_3gpuE2ELNS1_3repE0EEENS1_30default_config_static_selectorELNS0_4arch9wavefront6targetE1EEEvS19_.kd
    .uniform_work_group_size: 1
    .uses_dynamic_stack: false
    .vgpr_count:     0
    .vgpr_spill_count: 0
    .wavefront_size: 64
  - .args:           []
    .group_segment_fixed_size: 0
    .kernarg_segment_align: 4
    .kernarg_segment_size: 0
    .language:       OpenCL C
    .language_version:
      - 2
      - 0
    .max_flat_workgroup_size: 1024
    .name:           _ZN7rocprim17ROCPRIM_400000_NS6detail44device_merge_sort_compile_time_verifier_archINS1_11comp_targetILNS1_3genE0ELNS1_11target_archE4294967295ELNS1_3gpuE0ELNS1_3repE0EEES8_NS0_14default_configES9_NS1_37merge_sort_block_sort_config_selectorIN3c104HalfElEENS1_38merge_sort_block_merge_config_selectorISC_lEEEEvv
    .private_segment_fixed_size: 0
    .sgpr_count:     4
    .sgpr_spill_count: 0
    .symbol:         _ZN7rocprim17ROCPRIM_400000_NS6detail44device_merge_sort_compile_time_verifier_archINS1_11comp_targetILNS1_3genE0ELNS1_11target_archE4294967295ELNS1_3gpuE0ELNS1_3repE0EEES8_NS0_14default_configES9_NS1_37merge_sort_block_sort_config_selectorIN3c104HalfElEENS1_38merge_sort_block_merge_config_selectorISC_lEEEEvv.kd
    .uniform_work_group_size: 1
    .uses_dynamic_stack: false
    .vgpr_count:     0
    .vgpr_spill_count: 0
    .wavefront_size: 64
  - .args:           []
    .group_segment_fixed_size: 0
    .kernarg_segment_align: 4
    .kernarg_segment_size: 0
    .language:       OpenCL C
    .language_version:
      - 2
      - 0
    .max_flat_workgroup_size: 1024
    .name:           _ZN7rocprim17ROCPRIM_400000_NS6detail44device_merge_sort_compile_time_verifier_archINS1_11comp_targetILNS1_3genE5ELNS1_11target_archE942ELNS1_3gpuE9ELNS1_3repE0EEES8_NS0_14default_configES9_NS1_37merge_sort_block_sort_config_selectorIN3c104HalfElEENS1_38merge_sort_block_merge_config_selectorISC_lEEEEvv
    .private_segment_fixed_size: 0
    .sgpr_count:     4
    .sgpr_spill_count: 0
    .symbol:         _ZN7rocprim17ROCPRIM_400000_NS6detail44device_merge_sort_compile_time_verifier_archINS1_11comp_targetILNS1_3genE5ELNS1_11target_archE942ELNS1_3gpuE9ELNS1_3repE0EEES8_NS0_14default_configES9_NS1_37merge_sort_block_sort_config_selectorIN3c104HalfElEENS1_38merge_sort_block_merge_config_selectorISC_lEEEEvv.kd
    .uniform_work_group_size: 1
    .uses_dynamic_stack: false
    .vgpr_count:     0
    .vgpr_spill_count: 0
    .wavefront_size: 64
  - .args:           []
    .group_segment_fixed_size: 0
    .kernarg_segment_align: 4
    .kernarg_segment_size: 0
    .language:       OpenCL C
    .language_version:
      - 2
      - 0
    .max_flat_workgroup_size: 1024
    .name:           _ZN7rocprim17ROCPRIM_400000_NS6detail44device_merge_sort_compile_time_verifier_archINS1_11comp_targetILNS1_3genE4ELNS1_11target_archE910ELNS1_3gpuE8ELNS1_3repE0EEES8_NS0_14default_configES9_NS1_37merge_sort_block_sort_config_selectorIN3c104HalfElEENS1_38merge_sort_block_merge_config_selectorISC_lEEEEvv
    .private_segment_fixed_size: 0
    .sgpr_count:     4
    .sgpr_spill_count: 0
    .symbol:         _ZN7rocprim17ROCPRIM_400000_NS6detail44device_merge_sort_compile_time_verifier_archINS1_11comp_targetILNS1_3genE4ELNS1_11target_archE910ELNS1_3gpuE8ELNS1_3repE0EEES8_NS0_14default_configES9_NS1_37merge_sort_block_sort_config_selectorIN3c104HalfElEENS1_38merge_sort_block_merge_config_selectorISC_lEEEEvv.kd
    .uniform_work_group_size: 1
    .uses_dynamic_stack: false
    .vgpr_count:     0
    .vgpr_spill_count: 0
    .wavefront_size: 64
  - .args:           []
    .group_segment_fixed_size: 0
    .kernarg_segment_align: 4
    .kernarg_segment_size: 0
    .language:       OpenCL C
    .language_version:
      - 2
      - 0
    .max_flat_workgroup_size: 1024
    .name:           _ZN7rocprim17ROCPRIM_400000_NS6detail44device_merge_sort_compile_time_verifier_archINS1_11comp_targetILNS1_3genE3ELNS1_11target_archE908ELNS1_3gpuE7ELNS1_3repE0EEES8_NS0_14default_configES9_NS1_37merge_sort_block_sort_config_selectorIN3c104HalfElEENS1_38merge_sort_block_merge_config_selectorISC_lEEEEvv
    .private_segment_fixed_size: 0
    .sgpr_count:     4
    .sgpr_spill_count: 0
    .symbol:         _ZN7rocprim17ROCPRIM_400000_NS6detail44device_merge_sort_compile_time_verifier_archINS1_11comp_targetILNS1_3genE3ELNS1_11target_archE908ELNS1_3gpuE7ELNS1_3repE0EEES8_NS0_14default_configES9_NS1_37merge_sort_block_sort_config_selectorIN3c104HalfElEENS1_38merge_sort_block_merge_config_selectorISC_lEEEEvv.kd
    .uniform_work_group_size: 1
    .uses_dynamic_stack: false
    .vgpr_count:     0
    .vgpr_spill_count: 0
    .wavefront_size: 64
  - .args:           []
    .group_segment_fixed_size: 0
    .kernarg_segment_align: 4
    .kernarg_segment_size: 0
    .language:       OpenCL C
    .language_version:
      - 2
      - 0
    .max_flat_workgroup_size: 1024
    .name:           _ZN7rocprim17ROCPRIM_400000_NS6detail44device_merge_sort_compile_time_verifier_archINS1_11comp_targetILNS1_3genE2ELNS1_11target_archE906ELNS1_3gpuE6ELNS1_3repE0EEES8_NS0_14default_configES9_NS1_37merge_sort_block_sort_config_selectorIN3c104HalfElEENS1_38merge_sort_block_merge_config_selectorISC_lEEEEvv
    .private_segment_fixed_size: 0
    .sgpr_count:     4
    .sgpr_spill_count: 0
    .symbol:         _ZN7rocprim17ROCPRIM_400000_NS6detail44device_merge_sort_compile_time_verifier_archINS1_11comp_targetILNS1_3genE2ELNS1_11target_archE906ELNS1_3gpuE6ELNS1_3repE0EEES8_NS0_14default_configES9_NS1_37merge_sort_block_sort_config_selectorIN3c104HalfElEENS1_38merge_sort_block_merge_config_selectorISC_lEEEEvv.kd
    .uniform_work_group_size: 1
    .uses_dynamic_stack: false
    .vgpr_count:     0
    .vgpr_spill_count: 0
    .wavefront_size: 64
  - .args:           []
    .group_segment_fixed_size: 0
    .kernarg_segment_align: 4
    .kernarg_segment_size: 0
    .language:       OpenCL C
    .language_version:
      - 2
      - 0
    .max_flat_workgroup_size: 1024
    .name:           _ZN7rocprim17ROCPRIM_400000_NS6detail44device_merge_sort_compile_time_verifier_archINS1_11comp_targetILNS1_3genE10ELNS1_11target_archE1201ELNS1_3gpuE5ELNS1_3repE0EEES8_NS0_14default_configES9_NS1_37merge_sort_block_sort_config_selectorIN3c104HalfElEENS1_38merge_sort_block_merge_config_selectorISC_lEEEEvv
    .private_segment_fixed_size: 0
    .sgpr_count:     4
    .sgpr_spill_count: 0
    .symbol:         _ZN7rocprim17ROCPRIM_400000_NS6detail44device_merge_sort_compile_time_verifier_archINS1_11comp_targetILNS1_3genE10ELNS1_11target_archE1201ELNS1_3gpuE5ELNS1_3repE0EEES8_NS0_14default_configES9_NS1_37merge_sort_block_sort_config_selectorIN3c104HalfElEENS1_38merge_sort_block_merge_config_selectorISC_lEEEEvv.kd
    .uniform_work_group_size: 1
    .uses_dynamic_stack: false
    .vgpr_count:     0
    .vgpr_spill_count: 0
    .wavefront_size: 64
  - .args:           []
    .group_segment_fixed_size: 0
    .kernarg_segment_align: 4
    .kernarg_segment_size: 0
    .language:       OpenCL C
    .language_version:
      - 2
      - 0
    .max_flat_workgroup_size: 1024
    .name:           _ZN7rocprim17ROCPRIM_400000_NS6detail44device_merge_sort_compile_time_verifier_archINS1_11comp_targetILNS1_3genE10ELNS1_11target_archE1200ELNS1_3gpuE4ELNS1_3repE0EEENS3_ILS4_10ELS5_1201ELS6_5ELS7_0EEENS0_14default_configESA_NS1_37merge_sort_block_sort_config_selectorIN3c104HalfElEENS1_38merge_sort_block_merge_config_selectorISD_lEEEEvv
    .private_segment_fixed_size: 0
    .sgpr_count:     4
    .sgpr_spill_count: 0
    .symbol:         _ZN7rocprim17ROCPRIM_400000_NS6detail44device_merge_sort_compile_time_verifier_archINS1_11comp_targetILNS1_3genE10ELNS1_11target_archE1200ELNS1_3gpuE4ELNS1_3repE0EEENS3_ILS4_10ELS5_1201ELS6_5ELS7_0EEENS0_14default_configESA_NS1_37merge_sort_block_sort_config_selectorIN3c104HalfElEENS1_38merge_sort_block_merge_config_selectorISD_lEEEEvv.kd
    .uniform_work_group_size: 1
    .uses_dynamic_stack: false
    .vgpr_count:     0
    .vgpr_spill_count: 0
    .wavefront_size: 64
  - .args:           []
    .group_segment_fixed_size: 0
    .kernarg_segment_align: 4
    .kernarg_segment_size: 0
    .language:       OpenCL C
    .language_version:
      - 2
      - 0
    .max_flat_workgroup_size: 1024
    .name:           _ZN7rocprim17ROCPRIM_400000_NS6detail44device_merge_sort_compile_time_verifier_archINS1_11comp_targetILNS1_3genE9ELNS1_11target_archE1100ELNS1_3gpuE3ELNS1_3repE0EEES8_NS0_14default_configES9_NS1_37merge_sort_block_sort_config_selectorIN3c104HalfElEENS1_38merge_sort_block_merge_config_selectorISC_lEEEEvv
    .private_segment_fixed_size: 0
    .sgpr_count:     4
    .sgpr_spill_count: 0
    .symbol:         _ZN7rocprim17ROCPRIM_400000_NS6detail44device_merge_sort_compile_time_verifier_archINS1_11comp_targetILNS1_3genE9ELNS1_11target_archE1100ELNS1_3gpuE3ELNS1_3repE0EEES8_NS0_14default_configES9_NS1_37merge_sort_block_sort_config_selectorIN3c104HalfElEENS1_38merge_sort_block_merge_config_selectorISC_lEEEEvv.kd
    .uniform_work_group_size: 1
    .uses_dynamic_stack: false
    .vgpr_count:     0
    .vgpr_spill_count: 0
    .wavefront_size: 64
  - .args:           []
    .group_segment_fixed_size: 0
    .kernarg_segment_align: 4
    .kernarg_segment_size: 0
    .language:       OpenCL C
    .language_version:
      - 2
      - 0
    .max_flat_workgroup_size: 1024
    .name:           _ZN7rocprim17ROCPRIM_400000_NS6detail44device_merge_sort_compile_time_verifier_archINS1_11comp_targetILNS1_3genE8ELNS1_11target_archE1030ELNS1_3gpuE2ELNS1_3repE0EEES8_NS0_14default_configES9_NS1_37merge_sort_block_sort_config_selectorIN3c104HalfElEENS1_38merge_sort_block_merge_config_selectorISC_lEEEEvv
    .private_segment_fixed_size: 0
    .sgpr_count:     4
    .sgpr_spill_count: 0
    .symbol:         _ZN7rocprim17ROCPRIM_400000_NS6detail44device_merge_sort_compile_time_verifier_archINS1_11comp_targetILNS1_3genE8ELNS1_11target_archE1030ELNS1_3gpuE2ELNS1_3repE0EEES8_NS0_14default_configES9_NS1_37merge_sort_block_sort_config_selectorIN3c104HalfElEENS1_38merge_sort_block_merge_config_selectorISC_lEEEEvv.kd
    .uniform_work_group_size: 1
    .uses_dynamic_stack: false
    .vgpr_count:     0
    .vgpr_spill_count: 0
    .wavefront_size: 64
  - .args:
      - .offset:         0
        .size:           64
        .value_kind:     by_value
    .group_segment_fixed_size: 0
    .kernarg_segment_align: 8
    .kernarg_segment_size: 64
    .language:       OpenCL C
    .language_version:
      - 2
      - 0
    .max_flat_workgroup_size: 256
    .name:           _ZN7rocprim17ROCPRIM_400000_NS6detail17trampoline_kernelINS0_14default_configENS1_37merge_sort_block_sort_config_selectorIN3c104HalfElEEZNS1_21merge_sort_block_sortIS3_PS6_S9_N6thrust23THRUST_200600_302600_NS10device_ptrIlEESD_NSB_4lessIS6_EEEE10hipError_tT0_T1_T2_T3_mRjT4_P12ihipStream_tbNS1_7vsmem_tEEUlT_E_NS1_11comp_targetILNS1_3genE0ELNS1_11target_archE4294967295ELNS1_3gpuE0ELNS1_3repE0EEENS1_30default_config_static_selectorELNS0_4arch9wavefront6targetE1EEEvSI_
    .private_segment_fixed_size: 0
    .sgpr_count:     4
    .sgpr_spill_count: 0
    .symbol:         _ZN7rocprim17ROCPRIM_400000_NS6detail17trampoline_kernelINS0_14default_configENS1_37merge_sort_block_sort_config_selectorIN3c104HalfElEEZNS1_21merge_sort_block_sortIS3_PS6_S9_N6thrust23THRUST_200600_302600_NS10device_ptrIlEESD_NSB_4lessIS6_EEEE10hipError_tT0_T1_T2_T3_mRjT4_P12ihipStream_tbNS1_7vsmem_tEEUlT_E_NS1_11comp_targetILNS1_3genE0ELNS1_11target_archE4294967295ELNS1_3gpuE0ELNS1_3repE0EEENS1_30default_config_static_selectorELNS0_4arch9wavefront6targetE1EEEvSI_.kd
    .uniform_work_group_size: 1
    .uses_dynamic_stack: false
    .vgpr_count:     0
    .vgpr_spill_count: 0
    .wavefront_size: 64
  - .args:
      - .offset:         0
        .size:           64
        .value_kind:     by_value
    .group_segment_fixed_size: 0
    .kernarg_segment_align: 8
    .kernarg_segment_size: 64
    .language:       OpenCL C
    .language_version:
      - 2
      - 0
    .max_flat_workgroup_size: 256
    .name:           _ZN7rocprim17ROCPRIM_400000_NS6detail17trampoline_kernelINS0_14default_configENS1_37merge_sort_block_sort_config_selectorIN3c104HalfElEEZNS1_21merge_sort_block_sortIS3_PS6_S9_N6thrust23THRUST_200600_302600_NS10device_ptrIlEESD_NSB_4lessIS6_EEEE10hipError_tT0_T1_T2_T3_mRjT4_P12ihipStream_tbNS1_7vsmem_tEEUlT_E_NS1_11comp_targetILNS1_3genE5ELNS1_11target_archE942ELNS1_3gpuE9ELNS1_3repE0EEENS1_30default_config_static_selectorELNS0_4arch9wavefront6targetE1EEEvSI_
    .private_segment_fixed_size: 0
    .sgpr_count:     4
    .sgpr_spill_count: 0
    .symbol:         _ZN7rocprim17ROCPRIM_400000_NS6detail17trampoline_kernelINS0_14default_configENS1_37merge_sort_block_sort_config_selectorIN3c104HalfElEEZNS1_21merge_sort_block_sortIS3_PS6_S9_N6thrust23THRUST_200600_302600_NS10device_ptrIlEESD_NSB_4lessIS6_EEEE10hipError_tT0_T1_T2_T3_mRjT4_P12ihipStream_tbNS1_7vsmem_tEEUlT_E_NS1_11comp_targetILNS1_3genE5ELNS1_11target_archE942ELNS1_3gpuE9ELNS1_3repE0EEENS1_30default_config_static_selectorELNS0_4arch9wavefront6targetE1EEEvSI_.kd
    .uniform_work_group_size: 1
    .uses_dynamic_stack: false
    .vgpr_count:     0
    .vgpr_spill_count: 0
    .wavefront_size: 64
  - .args:
      - .offset:         0
        .size:           64
        .value_kind:     by_value
    .group_segment_fixed_size: 0
    .kernarg_segment_align: 8
    .kernarg_segment_size: 64
    .language:       OpenCL C
    .language_version:
      - 2
      - 0
    .max_flat_workgroup_size: 256
    .name:           _ZN7rocprim17ROCPRIM_400000_NS6detail17trampoline_kernelINS0_14default_configENS1_37merge_sort_block_sort_config_selectorIN3c104HalfElEEZNS1_21merge_sort_block_sortIS3_PS6_S9_N6thrust23THRUST_200600_302600_NS10device_ptrIlEESD_NSB_4lessIS6_EEEE10hipError_tT0_T1_T2_T3_mRjT4_P12ihipStream_tbNS1_7vsmem_tEEUlT_E_NS1_11comp_targetILNS1_3genE4ELNS1_11target_archE910ELNS1_3gpuE8ELNS1_3repE0EEENS1_30default_config_static_selectorELNS0_4arch9wavefront6targetE1EEEvSI_
    .private_segment_fixed_size: 0
    .sgpr_count:     4
    .sgpr_spill_count: 0
    .symbol:         _ZN7rocprim17ROCPRIM_400000_NS6detail17trampoline_kernelINS0_14default_configENS1_37merge_sort_block_sort_config_selectorIN3c104HalfElEEZNS1_21merge_sort_block_sortIS3_PS6_S9_N6thrust23THRUST_200600_302600_NS10device_ptrIlEESD_NSB_4lessIS6_EEEE10hipError_tT0_T1_T2_T3_mRjT4_P12ihipStream_tbNS1_7vsmem_tEEUlT_E_NS1_11comp_targetILNS1_3genE4ELNS1_11target_archE910ELNS1_3gpuE8ELNS1_3repE0EEENS1_30default_config_static_selectorELNS0_4arch9wavefront6targetE1EEEvSI_.kd
    .uniform_work_group_size: 1
    .uses_dynamic_stack: false
    .vgpr_count:     0
    .vgpr_spill_count: 0
    .wavefront_size: 64
  - .args:
      - .offset:         0
        .size:           64
        .value_kind:     by_value
    .group_segment_fixed_size: 0
    .kernarg_segment_align: 8
    .kernarg_segment_size: 64
    .language:       OpenCL C
    .language_version:
      - 2
      - 0
    .max_flat_workgroup_size: 256
    .name:           _ZN7rocprim17ROCPRIM_400000_NS6detail17trampoline_kernelINS0_14default_configENS1_37merge_sort_block_sort_config_selectorIN3c104HalfElEEZNS1_21merge_sort_block_sortIS3_PS6_S9_N6thrust23THRUST_200600_302600_NS10device_ptrIlEESD_NSB_4lessIS6_EEEE10hipError_tT0_T1_T2_T3_mRjT4_P12ihipStream_tbNS1_7vsmem_tEEUlT_E_NS1_11comp_targetILNS1_3genE3ELNS1_11target_archE908ELNS1_3gpuE7ELNS1_3repE0EEENS1_30default_config_static_selectorELNS0_4arch9wavefront6targetE1EEEvSI_
    .private_segment_fixed_size: 0
    .sgpr_count:     4
    .sgpr_spill_count: 0
    .symbol:         _ZN7rocprim17ROCPRIM_400000_NS6detail17trampoline_kernelINS0_14default_configENS1_37merge_sort_block_sort_config_selectorIN3c104HalfElEEZNS1_21merge_sort_block_sortIS3_PS6_S9_N6thrust23THRUST_200600_302600_NS10device_ptrIlEESD_NSB_4lessIS6_EEEE10hipError_tT0_T1_T2_T3_mRjT4_P12ihipStream_tbNS1_7vsmem_tEEUlT_E_NS1_11comp_targetILNS1_3genE3ELNS1_11target_archE908ELNS1_3gpuE7ELNS1_3repE0EEENS1_30default_config_static_selectorELNS0_4arch9wavefront6targetE1EEEvSI_.kd
    .uniform_work_group_size: 1
    .uses_dynamic_stack: false
    .vgpr_count:     0
    .vgpr_spill_count: 0
    .wavefront_size: 64
  - .args:
      - .offset:         0
        .size:           64
        .value_kind:     by_value
      - .offset:         64
        .size:           4
        .value_kind:     hidden_block_count_x
      - .offset:         68
        .size:           4
        .value_kind:     hidden_block_count_y
      - .offset:         72
        .size:           4
        .value_kind:     hidden_block_count_z
      - .offset:         76
        .size:           2
        .value_kind:     hidden_group_size_x
      - .offset:         78
        .size:           2
        .value_kind:     hidden_group_size_y
      - .offset:         80
        .size:           2
        .value_kind:     hidden_group_size_z
      - .offset:         82
        .size:           2
        .value_kind:     hidden_remainder_x
      - .offset:         84
        .size:           2
        .value_kind:     hidden_remainder_y
      - .offset:         86
        .size:           2
        .value_kind:     hidden_remainder_z
      - .offset:         104
        .size:           8
        .value_kind:     hidden_global_offset_x
      - .offset:         112
        .size:           8
        .value_kind:     hidden_global_offset_y
      - .offset:         120
        .size:           8
        .value_kind:     hidden_global_offset_z
      - .offset:         128
        .size:           2
        .value_kind:     hidden_grid_dims
    .group_segment_fixed_size: 8448
    .kernarg_segment_align: 8
    .kernarg_segment_size: 320
    .language:       OpenCL C
    .language_version:
      - 2
      - 0
    .max_flat_workgroup_size: 256
    .name:           _ZN7rocprim17ROCPRIM_400000_NS6detail17trampoline_kernelINS0_14default_configENS1_37merge_sort_block_sort_config_selectorIN3c104HalfElEEZNS1_21merge_sort_block_sortIS3_PS6_S9_N6thrust23THRUST_200600_302600_NS10device_ptrIlEESD_NSB_4lessIS6_EEEE10hipError_tT0_T1_T2_T3_mRjT4_P12ihipStream_tbNS1_7vsmem_tEEUlT_E_NS1_11comp_targetILNS1_3genE2ELNS1_11target_archE906ELNS1_3gpuE6ELNS1_3repE0EEENS1_30default_config_static_selectorELNS0_4arch9wavefront6targetE1EEEvSI_
    .private_segment_fixed_size: 0
    .sgpr_count:     36
    .sgpr_spill_count: 0
    .symbol:         _ZN7rocprim17ROCPRIM_400000_NS6detail17trampoline_kernelINS0_14default_configENS1_37merge_sort_block_sort_config_selectorIN3c104HalfElEEZNS1_21merge_sort_block_sortIS3_PS6_S9_N6thrust23THRUST_200600_302600_NS10device_ptrIlEESD_NSB_4lessIS6_EEEE10hipError_tT0_T1_T2_T3_mRjT4_P12ihipStream_tbNS1_7vsmem_tEEUlT_E_NS1_11comp_targetILNS1_3genE2ELNS1_11target_archE906ELNS1_3gpuE6ELNS1_3repE0EEENS1_30default_config_static_selectorELNS0_4arch9wavefront6targetE1EEEvSI_.kd
    .uniform_work_group_size: 1
    .uses_dynamic_stack: false
    .vgpr_count:     48
    .vgpr_spill_count: 0
    .wavefront_size: 64
  - .args:
      - .offset:         0
        .size:           64
        .value_kind:     by_value
    .group_segment_fixed_size: 0
    .kernarg_segment_align: 8
    .kernarg_segment_size: 64
    .language:       OpenCL C
    .language_version:
      - 2
      - 0
    .max_flat_workgroup_size: 512
    .name:           _ZN7rocprim17ROCPRIM_400000_NS6detail17trampoline_kernelINS0_14default_configENS1_37merge_sort_block_sort_config_selectorIN3c104HalfElEEZNS1_21merge_sort_block_sortIS3_PS6_S9_N6thrust23THRUST_200600_302600_NS10device_ptrIlEESD_NSB_4lessIS6_EEEE10hipError_tT0_T1_T2_T3_mRjT4_P12ihipStream_tbNS1_7vsmem_tEEUlT_E_NS1_11comp_targetILNS1_3genE10ELNS1_11target_archE1201ELNS1_3gpuE5ELNS1_3repE0EEENS1_30default_config_static_selectorELNS0_4arch9wavefront6targetE1EEEvSI_
    .private_segment_fixed_size: 0
    .sgpr_count:     4
    .sgpr_spill_count: 0
    .symbol:         _ZN7rocprim17ROCPRIM_400000_NS6detail17trampoline_kernelINS0_14default_configENS1_37merge_sort_block_sort_config_selectorIN3c104HalfElEEZNS1_21merge_sort_block_sortIS3_PS6_S9_N6thrust23THRUST_200600_302600_NS10device_ptrIlEESD_NSB_4lessIS6_EEEE10hipError_tT0_T1_T2_T3_mRjT4_P12ihipStream_tbNS1_7vsmem_tEEUlT_E_NS1_11comp_targetILNS1_3genE10ELNS1_11target_archE1201ELNS1_3gpuE5ELNS1_3repE0EEENS1_30default_config_static_selectorELNS0_4arch9wavefront6targetE1EEEvSI_.kd
    .uniform_work_group_size: 1
    .uses_dynamic_stack: false
    .vgpr_count:     0
    .vgpr_spill_count: 0
    .wavefront_size: 64
  - .args:
      - .offset:         0
        .size:           64
        .value_kind:     by_value
    .group_segment_fixed_size: 0
    .kernarg_segment_align: 8
    .kernarg_segment_size: 64
    .language:       OpenCL C
    .language_version:
      - 2
      - 0
    .max_flat_workgroup_size: 512
    .name:           _ZN7rocprim17ROCPRIM_400000_NS6detail17trampoline_kernelINS0_14default_configENS1_37merge_sort_block_sort_config_selectorIN3c104HalfElEEZNS1_21merge_sort_block_sortIS3_PS6_S9_N6thrust23THRUST_200600_302600_NS10device_ptrIlEESD_NSB_4lessIS6_EEEE10hipError_tT0_T1_T2_T3_mRjT4_P12ihipStream_tbNS1_7vsmem_tEEUlT_E_NS1_11comp_targetILNS1_3genE10ELNS1_11target_archE1200ELNS1_3gpuE4ELNS1_3repE0EEENS1_30default_config_static_selectorELNS0_4arch9wavefront6targetE1EEEvSI_
    .private_segment_fixed_size: 0
    .sgpr_count:     4
    .sgpr_spill_count: 0
    .symbol:         _ZN7rocprim17ROCPRIM_400000_NS6detail17trampoline_kernelINS0_14default_configENS1_37merge_sort_block_sort_config_selectorIN3c104HalfElEEZNS1_21merge_sort_block_sortIS3_PS6_S9_N6thrust23THRUST_200600_302600_NS10device_ptrIlEESD_NSB_4lessIS6_EEEE10hipError_tT0_T1_T2_T3_mRjT4_P12ihipStream_tbNS1_7vsmem_tEEUlT_E_NS1_11comp_targetILNS1_3genE10ELNS1_11target_archE1200ELNS1_3gpuE4ELNS1_3repE0EEENS1_30default_config_static_selectorELNS0_4arch9wavefront6targetE1EEEvSI_.kd
    .uniform_work_group_size: 1
    .uses_dynamic_stack: false
    .vgpr_count:     0
    .vgpr_spill_count: 0
    .wavefront_size: 64
  - .args:
      - .offset:         0
        .size:           64
        .value_kind:     by_value
    .group_segment_fixed_size: 0
    .kernarg_segment_align: 8
    .kernarg_segment_size: 64
    .language:       OpenCL C
    .language_version:
      - 2
      - 0
    .max_flat_workgroup_size: 512
    .name:           _ZN7rocprim17ROCPRIM_400000_NS6detail17trampoline_kernelINS0_14default_configENS1_37merge_sort_block_sort_config_selectorIN3c104HalfElEEZNS1_21merge_sort_block_sortIS3_PS6_S9_N6thrust23THRUST_200600_302600_NS10device_ptrIlEESD_NSB_4lessIS6_EEEE10hipError_tT0_T1_T2_T3_mRjT4_P12ihipStream_tbNS1_7vsmem_tEEUlT_E_NS1_11comp_targetILNS1_3genE9ELNS1_11target_archE1100ELNS1_3gpuE3ELNS1_3repE0EEENS1_30default_config_static_selectorELNS0_4arch9wavefront6targetE1EEEvSI_
    .private_segment_fixed_size: 0
    .sgpr_count:     4
    .sgpr_spill_count: 0
    .symbol:         _ZN7rocprim17ROCPRIM_400000_NS6detail17trampoline_kernelINS0_14default_configENS1_37merge_sort_block_sort_config_selectorIN3c104HalfElEEZNS1_21merge_sort_block_sortIS3_PS6_S9_N6thrust23THRUST_200600_302600_NS10device_ptrIlEESD_NSB_4lessIS6_EEEE10hipError_tT0_T1_T2_T3_mRjT4_P12ihipStream_tbNS1_7vsmem_tEEUlT_E_NS1_11comp_targetILNS1_3genE9ELNS1_11target_archE1100ELNS1_3gpuE3ELNS1_3repE0EEENS1_30default_config_static_selectorELNS0_4arch9wavefront6targetE1EEEvSI_.kd
    .uniform_work_group_size: 1
    .uses_dynamic_stack: false
    .vgpr_count:     0
    .vgpr_spill_count: 0
    .wavefront_size: 64
  - .args:
      - .offset:         0
        .size:           64
        .value_kind:     by_value
    .group_segment_fixed_size: 0
    .kernarg_segment_align: 8
    .kernarg_segment_size: 64
    .language:       OpenCL C
    .language_version:
      - 2
      - 0
    .max_flat_workgroup_size: 256
    .name:           _ZN7rocprim17ROCPRIM_400000_NS6detail17trampoline_kernelINS0_14default_configENS1_37merge_sort_block_sort_config_selectorIN3c104HalfElEEZNS1_21merge_sort_block_sortIS3_PS6_S9_N6thrust23THRUST_200600_302600_NS10device_ptrIlEESD_NSB_4lessIS6_EEEE10hipError_tT0_T1_T2_T3_mRjT4_P12ihipStream_tbNS1_7vsmem_tEEUlT_E_NS1_11comp_targetILNS1_3genE8ELNS1_11target_archE1030ELNS1_3gpuE2ELNS1_3repE0EEENS1_30default_config_static_selectorELNS0_4arch9wavefront6targetE1EEEvSI_
    .private_segment_fixed_size: 0
    .sgpr_count:     4
    .sgpr_spill_count: 0
    .symbol:         _ZN7rocprim17ROCPRIM_400000_NS6detail17trampoline_kernelINS0_14default_configENS1_37merge_sort_block_sort_config_selectorIN3c104HalfElEEZNS1_21merge_sort_block_sortIS3_PS6_S9_N6thrust23THRUST_200600_302600_NS10device_ptrIlEESD_NSB_4lessIS6_EEEE10hipError_tT0_T1_T2_T3_mRjT4_P12ihipStream_tbNS1_7vsmem_tEEUlT_E_NS1_11comp_targetILNS1_3genE8ELNS1_11target_archE1030ELNS1_3gpuE2ELNS1_3repE0EEENS1_30default_config_static_selectorELNS0_4arch9wavefront6targetE1EEEvSI_.kd
    .uniform_work_group_size: 1
    .uses_dynamic_stack: false
    .vgpr_count:     0
    .vgpr_spill_count: 0
    .wavefront_size: 64
  - .args:
      - .offset:         0
        .size:           48
        .value_kind:     by_value
    .group_segment_fixed_size: 0
    .kernarg_segment_align: 8
    .kernarg_segment_size: 48
    .language:       OpenCL C
    .language_version:
      - 2
      - 0
    .max_flat_workgroup_size: 128
    .name:           _ZN7rocprim17ROCPRIM_400000_NS6detail17trampoline_kernelINS0_14default_configENS1_38merge_sort_block_merge_config_selectorIN3c104HalfElEEZZNS1_27merge_sort_block_merge_implIS3_PS6_N6thrust23THRUST_200600_302600_NS10device_ptrIlEEmNSB_4lessIS6_EEEE10hipError_tT0_T1_T2_jT3_P12ihipStream_tbPNSt15iterator_traitsISH_E10value_typeEPNSN_ISI_E10value_typeEPSJ_NS1_7vsmem_tEENKUlT_SH_SI_SJ_E_clIS9_S9_PlSD_EESG_SW_SH_SI_SJ_EUlSW_E_NS1_11comp_targetILNS1_3genE0ELNS1_11target_archE4294967295ELNS1_3gpuE0ELNS1_3repE0EEENS1_48merge_mergepath_partition_config_static_selectorELNS0_4arch9wavefront6targetE1EEEvSI_
    .private_segment_fixed_size: 0
    .sgpr_count:     4
    .sgpr_spill_count: 0
    .symbol:         _ZN7rocprim17ROCPRIM_400000_NS6detail17trampoline_kernelINS0_14default_configENS1_38merge_sort_block_merge_config_selectorIN3c104HalfElEEZZNS1_27merge_sort_block_merge_implIS3_PS6_N6thrust23THRUST_200600_302600_NS10device_ptrIlEEmNSB_4lessIS6_EEEE10hipError_tT0_T1_T2_jT3_P12ihipStream_tbPNSt15iterator_traitsISH_E10value_typeEPNSN_ISI_E10value_typeEPSJ_NS1_7vsmem_tEENKUlT_SH_SI_SJ_E_clIS9_S9_PlSD_EESG_SW_SH_SI_SJ_EUlSW_E_NS1_11comp_targetILNS1_3genE0ELNS1_11target_archE4294967295ELNS1_3gpuE0ELNS1_3repE0EEENS1_48merge_mergepath_partition_config_static_selectorELNS0_4arch9wavefront6targetE1EEEvSI_.kd
    .uniform_work_group_size: 1
    .uses_dynamic_stack: false
    .vgpr_count:     0
    .vgpr_spill_count: 0
    .wavefront_size: 64
  - .args:
      - .offset:         0
        .size:           48
        .value_kind:     by_value
    .group_segment_fixed_size: 0
    .kernarg_segment_align: 8
    .kernarg_segment_size: 48
    .language:       OpenCL C
    .language_version:
      - 2
      - 0
    .max_flat_workgroup_size: 128
    .name:           _ZN7rocprim17ROCPRIM_400000_NS6detail17trampoline_kernelINS0_14default_configENS1_38merge_sort_block_merge_config_selectorIN3c104HalfElEEZZNS1_27merge_sort_block_merge_implIS3_PS6_N6thrust23THRUST_200600_302600_NS10device_ptrIlEEmNSB_4lessIS6_EEEE10hipError_tT0_T1_T2_jT3_P12ihipStream_tbPNSt15iterator_traitsISH_E10value_typeEPNSN_ISI_E10value_typeEPSJ_NS1_7vsmem_tEENKUlT_SH_SI_SJ_E_clIS9_S9_PlSD_EESG_SW_SH_SI_SJ_EUlSW_E_NS1_11comp_targetILNS1_3genE10ELNS1_11target_archE1201ELNS1_3gpuE5ELNS1_3repE0EEENS1_48merge_mergepath_partition_config_static_selectorELNS0_4arch9wavefront6targetE1EEEvSI_
    .private_segment_fixed_size: 0
    .sgpr_count:     4
    .sgpr_spill_count: 0
    .symbol:         _ZN7rocprim17ROCPRIM_400000_NS6detail17trampoline_kernelINS0_14default_configENS1_38merge_sort_block_merge_config_selectorIN3c104HalfElEEZZNS1_27merge_sort_block_merge_implIS3_PS6_N6thrust23THRUST_200600_302600_NS10device_ptrIlEEmNSB_4lessIS6_EEEE10hipError_tT0_T1_T2_jT3_P12ihipStream_tbPNSt15iterator_traitsISH_E10value_typeEPNSN_ISI_E10value_typeEPSJ_NS1_7vsmem_tEENKUlT_SH_SI_SJ_E_clIS9_S9_PlSD_EESG_SW_SH_SI_SJ_EUlSW_E_NS1_11comp_targetILNS1_3genE10ELNS1_11target_archE1201ELNS1_3gpuE5ELNS1_3repE0EEENS1_48merge_mergepath_partition_config_static_selectorELNS0_4arch9wavefront6targetE1EEEvSI_.kd
    .uniform_work_group_size: 1
    .uses_dynamic_stack: false
    .vgpr_count:     0
    .vgpr_spill_count: 0
    .wavefront_size: 64
  - .args:
      - .offset:         0
        .size:           48
        .value_kind:     by_value
    .group_segment_fixed_size: 0
    .kernarg_segment_align: 8
    .kernarg_segment_size: 48
    .language:       OpenCL C
    .language_version:
      - 2
      - 0
    .max_flat_workgroup_size: 128
    .name:           _ZN7rocprim17ROCPRIM_400000_NS6detail17trampoline_kernelINS0_14default_configENS1_38merge_sort_block_merge_config_selectorIN3c104HalfElEEZZNS1_27merge_sort_block_merge_implIS3_PS6_N6thrust23THRUST_200600_302600_NS10device_ptrIlEEmNSB_4lessIS6_EEEE10hipError_tT0_T1_T2_jT3_P12ihipStream_tbPNSt15iterator_traitsISH_E10value_typeEPNSN_ISI_E10value_typeEPSJ_NS1_7vsmem_tEENKUlT_SH_SI_SJ_E_clIS9_S9_PlSD_EESG_SW_SH_SI_SJ_EUlSW_E_NS1_11comp_targetILNS1_3genE5ELNS1_11target_archE942ELNS1_3gpuE9ELNS1_3repE0EEENS1_48merge_mergepath_partition_config_static_selectorELNS0_4arch9wavefront6targetE1EEEvSI_
    .private_segment_fixed_size: 0
    .sgpr_count:     4
    .sgpr_spill_count: 0
    .symbol:         _ZN7rocprim17ROCPRIM_400000_NS6detail17trampoline_kernelINS0_14default_configENS1_38merge_sort_block_merge_config_selectorIN3c104HalfElEEZZNS1_27merge_sort_block_merge_implIS3_PS6_N6thrust23THRUST_200600_302600_NS10device_ptrIlEEmNSB_4lessIS6_EEEE10hipError_tT0_T1_T2_jT3_P12ihipStream_tbPNSt15iterator_traitsISH_E10value_typeEPNSN_ISI_E10value_typeEPSJ_NS1_7vsmem_tEENKUlT_SH_SI_SJ_E_clIS9_S9_PlSD_EESG_SW_SH_SI_SJ_EUlSW_E_NS1_11comp_targetILNS1_3genE5ELNS1_11target_archE942ELNS1_3gpuE9ELNS1_3repE0EEENS1_48merge_mergepath_partition_config_static_selectorELNS0_4arch9wavefront6targetE1EEEvSI_.kd
    .uniform_work_group_size: 1
    .uses_dynamic_stack: false
    .vgpr_count:     0
    .vgpr_spill_count: 0
    .wavefront_size: 64
  - .args:
      - .offset:         0
        .size:           48
        .value_kind:     by_value
    .group_segment_fixed_size: 0
    .kernarg_segment_align: 8
    .kernarg_segment_size: 48
    .language:       OpenCL C
    .language_version:
      - 2
      - 0
    .max_flat_workgroup_size: 128
    .name:           _ZN7rocprim17ROCPRIM_400000_NS6detail17trampoline_kernelINS0_14default_configENS1_38merge_sort_block_merge_config_selectorIN3c104HalfElEEZZNS1_27merge_sort_block_merge_implIS3_PS6_N6thrust23THRUST_200600_302600_NS10device_ptrIlEEmNSB_4lessIS6_EEEE10hipError_tT0_T1_T2_jT3_P12ihipStream_tbPNSt15iterator_traitsISH_E10value_typeEPNSN_ISI_E10value_typeEPSJ_NS1_7vsmem_tEENKUlT_SH_SI_SJ_E_clIS9_S9_PlSD_EESG_SW_SH_SI_SJ_EUlSW_E_NS1_11comp_targetILNS1_3genE4ELNS1_11target_archE910ELNS1_3gpuE8ELNS1_3repE0EEENS1_48merge_mergepath_partition_config_static_selectorELNS0_4arch9wavefront6targetE1EEEvSI_
    .private_segment_fixed_size: 0
    .sgpr_count:     4
    .sgpr_spill_count: 0
    .symbol:         _ZN7rocprim17ROCPRIM_400000_NS6detail17trampoline_kernelINS0_14default_configENS1_38merge_sort_block_merge_config_selectorIN3c104HalfElEEZZNS1_27merge_sort_block_merge_implIS3_PS6_N6thrust23THRUST_200600_302600_NS10device_ptrIlEEmNSB_4lessIS6_EEEE10hipError_tT0_T1_T2_jT3_P12ihipStream_tbPNSt15iterator_traitsISH_E10value_typeEPNSN_ISI_E10value_typeEPSJ_NS1_7vsmem_tEENKUlT_SH_SI_SJ_E_clIS9_S9_PlSD_EESG_SW_SH_SI_SJ_EUlSW_E_NS1_11comp_targetILNS1_3genE4ELNS1_11target_archE910ELNS1_3gpuE8ELNS1_3repE0EEENS1_48merge_mergepath_partition_config_static_selectorELNS0_4arch9wavefront6targetE1EEEvSI_.kd
    .uniform_work_group_size: 1
    .uses_dynamic_stack: false
    .vgpr_count:     0
    .vgpr_spill_count: 0
    .wavefront_size: 64
  - .args:
      - .offset:         0
        .size:           48
        .value_kind:     by_value
    .group_segment_fixed_size: 0
    .kernarg_segment_align: 8
    .kernarg_segment_size: 48
    .language:       OpenCL C
    .language_version:
      - 2
      - 0
    .max_flat_workgroup_size: 128
    .name:           _ZN7rocprim17ROCPRIM_400000_NS6detail17trampoline_kernelINS0_14default_configENS1_38merge_sort_block_merge_config_selectorIN3c104HalfElEEZZNS1_27merge_sort_block_merge_implIS3_PS6_N6thrust23THRUST_200600_302600_NS10device_ptrIlEEmNSB_4lessIS6_EEEE10hipError_tT0_T1_T2_jT3_P12ihipStream_tbPNSt15iterator_traitsISH_E10value_typeEPNSN_ISI_E10value_typeEPSJ_NS1_7vsmem_tEENKUlT_SH_SI_SJ_E_clIS9_S9_PlSD_EESG_SW_SH_SI_SJ_EUlSW_E_NS1_11comp_targetILNS1_3genE3ELNS1_11target_archE908ELNS1_3gpuE7ELNS1_3repE0EEENS1_48merge_mergepath_partition_config_static_selectorELNS0_4arch9wavefront6targetE1EEEvSI_
    .private_segment_fixed_size: 0
    .sgpr_count:     4
    .sgpr_spill_count: 0
    .symbol:         _ZN7rocprim17ROCPRIM_400000_NS6detail17trampoline_kernelINS0_14default_configENS1_38merge_sort_block_merge_config_selectorIN3c104HalfElEEZZNS1_27merge_sort_block_merge_implIS3_PS6_N6thrust23THRUST_200600_302600_NS10device_ptrIlEEmNSB_4lessIS6_EEEE10hipError_tT0_T1_T2_jT3_P12ihipStream_tbPNSt15iterator_traitsISH_E10value_typeEPNSN_ISI_E10value_typeEPSJ_NS1_7vsmem_tEENKUlT_SH_SI_SJ_E_clIS9_S9_PlSD_EESG_SW_SH_SI_SJ_EUlSW_E_NS1_11comp_targetILNS1_3genE3ELNS1_11target_archE908ELNS1_3gpuE7ELNS1_3repE0EEENS1_48merge_mergepath_partition_config_static_selectorELNS0_4arch9wavefront6targetE1EEEvSI_.kd
    .uniform_work_group_size: 1
    .uses_dynamic_stack: false
    .vgpr_count:     0
    .vgpr_spill_count: 0
    .wavefront_size: 64
  - .args:
      - .offset:         0
        .size:           48
        .value_kind:     by_value
    .group_segment_fixed_size: 0
    .kernarg_segment_align: 8
    .kernarg_segment_size: 48
    .language:       OpenCL C
    .language_version:
      - 2
      - 0
    .max_flat_workgroup_size: 128
    .name:           _ZN7rocprim17ROCPRIM_400000_NS6detail17trampoline_kernelINS0_14default_configENS1_38merge_sort_block_merge_config_selectorIN3c104HalfElEEZZNS1_27merge_sort_block_merge_implIS3_PS6_N6thrust23THRUST_200600_302600_NS10device_ptrIlEEmNSB_4lessIS6_EEEE10hipError_tT0_T1_T2_jT3_P12ihipStream_tbPNSt15iterator_traitsISH_E10value_typeEPNSN_ISI_E10value_typeEPSJ_NS1_7vsmem_tEENKUlT_SH_SI_SJ_E_clIS9_S9_PlSD_EESG_SW_SH_SI_SJ_EUlSW_E_NS1_11comp_targetILNS1_3genE2ELNS1_11target_archE906ELNS1_3gpuE6ELNS1_3repE0EEENS1_48merge_mergepath_partition_config_static_selectorELNS0_4arch9wavefront6targetE1EEEvSI_
    .private_segment_fixed_size: 0
    .sgpr_count:     14
    .sgpr_spill_count: 0
    .symbol:         _ZN7rocprim17ROCPRIM_400000_NS6detail17trampoline_kernelINS0_14default_configENS1_38merge_sort_block_merge_config_selectorIN3c104HalfElEEZZNS1_27merge_sort_block_merge_implIS3_PS6_N6thrust23THRUST_200600_302600_NS10device_ptrIlEEmNSB_4lessIS6_EEEE10hipError_tT0_T1_T2_jT3_P12ihipStream_tbPNSt15iterator_traitsISH_E10value_typeEPNSN_ISI_E10value_typeEPSJ_NS1_7vsmem_tEENKUlT_SH_SI_SJ_E_clIS9_S9_PlSD_EESG_SW_SH_SI_SJ_EUlSW_E_NS1_11comp_targetILNS1_3genE2ELNS1_11target_archE906ELNS1_3gpuE6ELNS1_3repE0EEENS1_48merge_mergepath_partition_config_static_selectorELNS0_4arch9wavefront6targetE1EEEvSI_.kd
    .uniform_work_group_size: 1
    .uses_dynamic_stack: false
    .vgpr_count:     19
    .vgpr_spill_count: 0
    .wavefront_size: 64
  - .args:
      - .offset:         0
        .size:           48
        .value_kind:     by_value
    .group_segment_fixed_size: 0
    .kernarg_segment_align: 8
    .kernarg_segment_size: 48
    .language:       OpenCL C
    .language_version:
      - 2
      - 0
    .max_flat_workgroup_size: 128
    .name:           _ZN7rocprim17ROCPRIM_400000_NS6detail17trampoline_kernelINS0_14default_configENS1_38merge_sort_block_merge_config_selectorIN3c104HalfElEEZZNS1_27merge_sort_block_merge_implIS3_PS6_N6thrust23THRUST_200600_302600_NS10device_ptrIlEEmNSB_4lessIS6_EEEE10hipError_tT0_T1_T2_jT3_P12ihipStream_tbPNSt15iterator_traitsISH_E10value_typeEPNSN_ISI_E10value_typeEPSJ_NS1_7vsmem_tEENKUlT_SH_SI_SJ_E_clIS9_S9_PlSD_EESG_SW_SH_SI_SJ_EUlSW_E_NS1_11comp_targetILNS1_3genE9ELNS1_11target_archE1100ELNS1_3gpuE3ELNS1_3repE0EEENS1_48merge_mergepath_partition_config_static_selectorELNS0_4arch9wavefront6targetE1EEEvSI_
    .private_segment_fixed_size: 0
    .sgpr_count:     4
    .sgpr_spill_count: 0
    .symbol:         _ZN7rocprim17ROCPRIM_400000_NS6detail17trampoline_kernelINS0_14default_configENS1_38merge_sort_block_merge_config_selectorIN3c104HalfElEEZZNS1_27merge_sort_block_merge_implIS3_PS6_N6thrust23THRUST_200600_302600_NS10device_ptrIlEEmNSB_4lessIS6_EEEE10hipError_tT0_T1_T2_jT3_P12ihipStream_tbPNSt15iterator_traitsISH_E10value_typeEPNSN_ISI_E10value_typeEPSJ_NS1_7vsmem_tEENKUlT_SH_SI_SJ_E_clIS9_S9_PlSD_EESG_SW_SH_SI_SJ_EUlSW_E_NS1_11comp_targetILNS1_3genE9ELNS1_11target_archE1100ELNS1_3gpuE3ELNS1_3repE0EEENS1_48merge_mergepath_partition_config_static_selectorELNS0_4arch9wavefront6targetE1EEEvSI_.kd
    .uniform_work_group_size: 1
    .uses_dynamic_stack: false
    .vgpr_count:     0
    .vgpr_spill_count: 0
    .wavefront_size: 64
  - .args:
      - .offset:         0
        .size:           48
        .value_kind:     by_value
    .group_segment_fixed_size: 0
    .kernarg_segment_align: 8
    .kernarg_segment_size: 48
    .language:       OpenCL C
    .language_version:
      - 2
      - 0
    .max_flat_workgroup_size: 128
    .name:           _ZN7rocprim17ROCPRIM_400000_NS6detail17trampoline_kernelINS0_14default_configENS1_38merge_sort_block_merge_config_selectorIN3c104HalfElEEZZNS1_27merge_sort_block_merge_implIS3_PS6_N6thrust23THRUST_200600_302600_NS10device_ptrIlEEmNSB_4lessIS6_EEEE10hipError_tT0_T1_T2_jT3_P12ihipStream_tbPNSt15iterator_traitsISH_E10value_typeEPNSN_ISI_E10value_typeEPSJ_NS1_7vsmem_tEENKUlT_SH_SI_SJ_E_clIS9_S9_PlSD_EESG_SW_SH_SI_SJ_EUlSW_E_NS1_11comp_targetILNS1_3genE8ELNS1_11target_archE1030ELNS1_3gpuE2ELNS1_3repE0EEENS1_48merge_mergepath_partition_config_static_selectorELNS0_4arch9wavefront6targetE1EEEvSI_
    .private_segment_fixed_size: 0
    .sgpr_count:     4
    .sgpr_spill_count: 0
    .symbol:         _ZN7rocprim17ROCPRIM_400000_NS6detail17trampoline_kernelINS0_14default_configENS1_38merge_sort_block_merge_config_selectorIN3c104HalfElEEZZNS1_27merge_sort_block_merge_implIS3_PS6_N6thrust23THRUST_200600_302600_NS10device_ptrIlEEmNSB_4lessIS6_EEEE10hipError_tT0_T1_T2_jT3_P12ihipStream_tbPNSt15iterator_traitsISH_E10value_typeEPNSN_ISI_E10value_typeEPSJ_NS1_7vsmem_tEENKUlT_SH_SI_SJ_E_clIS9_S9_PlSD_EESG_SW_SH_SI_SJ_EUlSW_E_NS1_11comp_targetILNS1_3genE8ELNS1_11target_archE1030ELNS1_3gpuE2ELNS1_3repE0EEENS1_48merge_mergepath_partition_config_static_selectorELNS0_4arch9wavefront6targetE1EEEvSI_.kd
    .uniform_work_group_size: 1
    .uses_dynamic_stack: false
    .vgpr_count:     0
    .vgpr_spill_count: 0
    .wavefront_size: 64
  - .args:
      - .offset:         0
        .size:           72
        .value_kind:     by_value
    .group_segment_fixed_size: 0
    .kernarg_segment_align: 8
    .kernarg_segment_size: 72
    .language:       OpenCL C
    .language_version:
      - 2
      - 0
    .max_flat_workgroup_size: 256
    .name:           _ZN7rocprim17ROCPRIM_400000_NS6detail17trampoline_kernelINS0_14default_configENS1_38merge_sort_block_merge_config_selectorIN3c104HalfElEEZZNS1_27merge_sort_block_merge_implIS3_PS6_N6thrust23THRUST_200600_302600_NS10device_ptrIlEEmNSB_4lessIS6_EEEE10hipError_tT0_T1_T2_jT3_P12ihipStream_tbPNSt15iterator_traitsISH_E10value_typeEPNSN_ISI_E10value_typeEPSJ_NS1_7vsmem_tEENKUlT_SH_SI_SJ_E_clIS9_S9_PlSD_EESG_SW_SH_SI_SJ_EUlSW_E0_NS1_11comp_targetILNS1_3genE0ELNS1_11target_archE4294967295ELNS1_3gpuE0ELNS1_3repE0EEENS1_38merge_mergepath_config_static_selectorELNS0_4arch9wavefront6targetE1EEEvSI_
    .private_segment_fixed_size: 0
    .sgpr_count:     4
    .sgpr_spill_count: 0
    .symbol:         _ZN7rocprim17ROCPRIM_400000_NS6detail17trampoline_kernelINS0_14default_configENS1_38merge_sort_block_merge_config_selectorIN3c104HalfElEEZZNS1_27merge_sort_block_merge_implIS3_PS6_N6thrust23THRUST_200600_302600_NS10device_ptrIlEEmNSB_4lessIS6_EEEE10hipError_tT0_T1_T2_jT3_P12ihipStream_tbPNSt15iterator_traitsISH_E10value_typeEPNSN_ISI_E10value_typeEPSJ_NS1_7vsmem_tEENKUlT_SH_SI_SJ_E_clIS9_S9_PlSD_EESG_SW_SH_SI_SJ_EUlSW_E0_NS1_11comp_targetILNS1_3genE0ELNS1_11target_archE4294967295ELNS1_3gpuE0ELNS1_3repE0EEENS1_38merge_mergepath_config_static_selectorELNS0_4arch9wavefront6targetE1EEEvSI_.kd
    .uniform_work_group_size: 1
    .uses_dynamic_stack: false
    .vgpr_count:     0
    .vgpr_spill_count: 0
    .wavefront_size: 64
  - .args:
      - .offset:         0
        .size:           72
        .value_kind:     by_value
    .group_segment_fixed_size: 0
    .kernarg_segment_align: 8
    .kernarg_segment_size: 72
    .language:       OpenCL C
    .language_version:
      - 2
      - 0
    .max_flat_workgroup_size: 512
    .name:           _ZN7rocprim17ROCPRIM_400000_NS6detail17trampoline_kernelINS0_14default_configENS1_38merge_sort_block_merge_config_selectorIN3c104HalfElEEZZNS1_27merge_sort_block_merge_implIS3_PS6_N6thrust23THRUST_200600_302600_NS10device_ptrIlEEmNSB_4lessIS6_EEEE10hipError_tT0_T1_T2_jT3_P12ihipStream_tbPNSt15iterator_traitsISH_E10value_typeEPNSN_ISI_E10value_typeEPSJ_NS1_7vsmem_tEENKUlT_SH_SI_SJ_E_clIS9_S9_PlSD_EESG_SW_SH_SI_SJ_EUlSW_E0_NS1_11comp_targetILNS1_3genE10ELNS1_11target_archE1201ELNS1_3gpuE5ELNS1_3repE0EEENS1_38merge_mergepath_config_static_selectorELNS0_4arch9wavefront6targetE1EEEvSI_
    .private_segment_fixed_size: 0
    .sgpr_count:     4
    .sgpr_spill_count: 0
    .symbol:         _ZN7rocprim17ROCPRIM_400000_NS6detail17trampoline_kernelINS0_14default_configENS1_38merge_sort_block_merge_config_selectorIN3c104HalfElEEZZNS1_27merge_sort_block_merge_implIS3_PS6_N6thrust23THRUST_200600_302600_NS10device_ptrIlEEmNSB_4lessIS6_EEEE10hipError_tT0_T1_T2_jT3_P12ihipStream_tbPNSt15iterator_traitsISH_E10value_typeEPNSN_ISI_E10value_typeEPSJ_NS1_7vsmem_tEENKUlT_SH_SI_SJ_E_clIS9_S9_PlSD_EESG_SW_SH_SI_SJ_EUlSW_E0_NS1_11comp_targetILNS1_3genE10ELNS1_11target_archE1201ELNS1_3gpuE5ELNS1_3repE0EEENS1_38merge_mergepath_config_static_selectorELNS0_4arch9wavefront6targetE1EEEvSI_.kd
    .uniform_work_group_size: 1
    .uses_dynamic_stack: false
    .vgpr_count:     0
    .vgpr_spill_count: 0
    .wavefront_size: 64
  - .args:
      - .offset:         0
        .size:           72
        .value_kind:     by_value
    .group_segment_fixed_size: 0
    .kernarg_segment_align: 8
    .kernarg_segment_size: 72
    .language:       OpenCL C
    .language_version:
      - 2
      - 0
    .max_flat_workgroup_size: 256
    .name:           _ZN7rocprim17ROCPRIM_400000_NS6detail17trampoline_kernelINS0_14default_configENS1_38merge_sort_block_merge_config_selectorIN3c104HalfElEEZZNS1_27merge_sort_block_merge_implIS3_PS6_N6thrust23THRUST_200600_302600_NS10device_ptrIlEEmNSB_4lessIS6_EEEE10hipError_tT0_T1_T2_jT3_P12ihipStream_tbPNSt15iterator_traitsISH_E10value_typeEPNSN_ISI_E10value_typeEPSJ_NS1_7vsmem_tEENKUlT_SH_SI_SJ_E_clIS9_S9_PlSD_EESG_SW_SH_SI_SJ_EUlSW_E0_NS1_11comp_targetILNS1_3genE5ELNS1_11target_archE942ELNS1_3gpuE9ELNS1_3repE0EEENS1_38merge_mergepath_config_static_selectorELNS0_4arch9wavefront6targetE1EEEvSI_
    .private_segment_fixed_size: 0
    .sgpr_count:     4
    .sgpr_spill_count: 0
    .symbol:         _ZN7rocprim17ROCPRIM_400000_NS6detail17trampoline_kernelINS0_14default_configENS1_38merge_sort_block_merge_config_selectorIN3c104HalfElEEZZNS1_27merge_sort_block_merge_implIS3_PS6_N6thrust23THRUST_200600_302600_NS10device_ptrIlEEmNSB_4lessIS6_EEEE10hipError_tT0_T1_T2_jT3_P12ihipStream_tbPNSt15iterator_traitsISH_E10value_typeEPNSN_ISI_E10value_typeEPSJ_NS1_7vsmem_tEENKUlT_SH_SI_SJ_E_clIS9_S9_PlSD_EESG_SW_SH_SI_SJ_EUlSW_E0_NS1_11comp_targetILNS1_3genE5ELNS1_11target_archE942ELNS1_3gpuE9ELNS1_3repE0EEENS1_38merge_mergepath_config_static_selectorELNS0_4arch9wavefront6targetE1EEEvSI_.kd
    .uniform_work_group_size: 1
    .uses_dynamic_stack: false
    .vgpr_count:     0
    .vgpr_spill_count: 0
    .wavefront_size: 64
  - .args:
      - .offset:         0
        .size:           72
        .value_kind:     by_value
    .group_segment_fixed_size: 0
    .kernarg_segment_align: 8
    .kernarg_segment_size: 72
    .language:       OpenCL C
    .language_version:
      - 2
      - 0
    .max_flat_workgroup_size: 256
    .name:           _ZN7rocprim17ROCPRIM_400000_NS6detail17trampoline_kernelINS0_14default_configENS1_38merge_sort_block_merge_config_selectorIN3c104HalfElEEZZNS1_27merge_sort_block_merge_implIS3_PS6_N6thrust23THRUST_200600_302600_NS10device_ptrIlEEmNSB_4lessIS6_EEEE10hipError_tT0_T1_T2_jT3_P12ihipStream_tbPNSt15iterator_traitsISH_E10value_typeEPNSN_ISI_E10value_typeEPSJ_NS1_7vsmem_tEENKUlT_SH_SI_SJ_E_clIS9_S9_PlSD_EESG_SW_SH_SI_SJ_EUlSW_E0_NS1_11comp_targetILNS1_3genE4ELNS1_11target_archE910ELNS1_3gpuE8ELNS1_3repE0EEENS1_38merge_mergepath_config_static_selectorELNS0_4arch9wavefront6targetE1EEEvSI_
    .private_segment_fixed_size: 0
    .sgpr_count:     4
    .sgpr_spill_count: 0
    .symbol:         _ZN7rocprim17ROCPRIM_400000_NS6detail17trampoline_kernelINS0_14default_configENS1_38merge_sort_block_merge_config_selectorIN3c104HalfElEEZZNS1_27merge_sort_block_merge_implIS3_PS6_N6thrust23THRUST_200600_302600_NS10device_ptrIlEEmNSB_4lessIS6_EEEE10hipError_tT0_T1_T2_jT3_P12ihipStream_tbPNSt15iterator_traitsISH_E10value_typeEPNSN_ISI_E10value_typeEPSJ_NS1_7vsmem_tEENKUlT_SH_SI_SJ_E_clIS9_S9_PlSD_EESG_SW_SH_SI_SJ_EUlSW_E0_NS1_11comp_targetILNS1_3genE4ELNS1_11target_archE910ELNS1_3gpuE8ELNS1_3repE0EEENS1_38merge_mergepath_config_static_selectorELNS0_4arch9wavefront6targetE1EEEvSI_.kd
    .uniform_work_group_size: 1
    .uses_dynamic_stack: false
    .vgpr_count:     0
    .vgpr_spill_count: 0
    .wavefront_size: 64
  - .args:
      - .offset:         0
        .size:           72
        .value_kind:     by_value
    .group_segment_fixed_size: 0
    .kernarg_segment_align: 8
    .kernarg_segment_size: 72
    .language:       OpenCL C
    .language_version:
      - 2
      - 0
    .max_flat_workgroup_size: 256
    .name:           _ZN7rocprim17ROCPRIM_400000_NS6detail17trampoline_kernelINS0_14default_configENS1_38merge_sort_block_merge_config_selectorIN3c104HalfElEEZZNS1_27merge_sort_block_merge_implIS3_PS6_N6thrust23THRUST_200600_302600_NS10device_ptrIlEEmNSB_4lessIS6_EEEE10hipError_tT0_T1_T2_jT3_P12ihipStream_tbPNSt15iterator_traitsISH_E10value_typeEPNSN_ISI_E10value_typeEPSJ_NS1_7vsmem_tEENKUlT_SH_SI_SJ_E_clIS9_S9_PlSD_EESG_SW_SH_SI_SJ_EUlSW_E0_NS1_11comp_targetILNS1_3genE3ELNS1_11target_archE908ELNS1_3gpuE7ELNS1_3repE0EEENS1_38merge_mergepath_config_static_selectorELNS0_4arch9wavefront6targetE1EEEvSI_
    .private_segment_fixed_size: 0
    .sgpr_count:     4
    .sgpr_spill_count: 0
    .symbol:         _ZN7rocprim17ROCPRIM_400000_NS6detail17trampoline_kernelINS0_14default_configENS1_38merge_sort_block_merge_config_selectorIN3c104HalfElEEZZNS1_27merge_sort_block_merge_implIS3_PS6_N6thrust23THRUST_200600_302600_NS10device_ptrIlEEmNSB_4lessIS6_EEEE10hipError_tT0_T1_T2_jT3_P12ihipStream_tbPNSt15iterator_traitsISH_E10value_typeEPNSN_ISI_E10value_typeEPSJ_NS1_7vsmem_tEENKUlT_SH_SI_SJ_E_clIS9_S9_PlSD_EESG_SW_SH_SI_SJ_EUlSW_E0_NS1_11comp_targetILNS1_3genE3ELNS1_11target_archE908ELNS1_3gpuE7ELNS1_3repE0EEENS1_38merge_mergepath_config_static_selectorELNS0_4arch9wavefront6targetE1EEEvSI_.kd
    .uniform_work_group_size: 1
    .uses_dynamic_stack: false
    .vgpr_count:     0
    .vgpr_spill_count: 0
    .wavefront_size: 64
  - .args:
      - .offset:         0
        .size:           72
        .value_kind:     by_value
      - .offset:         72
        .size:           4
        .value_kind:     hidden_block_count_x
      - .offset:         76
        .size:           4
        .value_kind:     hidden_block_count_y
      - .offset:         80
        .size:           4
        .value_kind:     hidden_block_count_z
      - .offset:         84
        .size:           2
        .value_kind:     hidden_group_size_x
      - .offset:         86
        .size:           2
        .value_kind:     hidden_group_size_y
      - .offset:         88
        .size:           2
        .value_kind:     hidden_group_size_z
      - .offset:         90
        .size:           2
        .value_kind:     hidden_remainder_x
      - .offset:         92
        .size:           2
        .value_kind:     hidden_remainder_y
      - .offset:         94
        .size:           2
        .value_kind:     hidden_remainder_z
      - .offset:         112
        .size:           8
        .value_kind:     hidden_global_offset_x
      - .offset:         120
        .size:           8
        .value_kind:     hidden_global_offset_y
      - .offset:         128
        .size:           8
        .value_kind:     hidden_global_offset_z
      - .offset:         136
        .size:           2
        .value_kind:     hidden_grid_dims
    .group_segment_fixed_size: 8448
    .kernarg_segment_align: 8
    .kernarg_segment_size: 328
    .language:       OpenCL C
    .language_version:
      - 2
      - 0
    .max_flat_workgroup_size: 256
    .name:           _ZN7rocprim17ROCPRIM_400000_NS6detail17trampoline_kernelINS0_14default_configENS1_38merge_sort_block_merge_config_selectorIN3c104HalfElEEZZNS1_27merge_sort_block_merge_implIS3_PS6_N6thrust23THRUST_200600_302600_NS10device_ptrIlEEmNSB_4lessIS6_EEEE10hipError_tT0_T1_T2_jT3_P12ihipStream_tbPNSt15iterator_traitsISH_E10value_typeEPNSN_ISI_E10value_typeEPSJ_NS1_7vsmem_tEENKUlT_SH_SI_SJ_E_clIS9_S9_PlSD_EESG_SW_SH_SI_SJ_EUlSW_E0_NS1_11comp_targetILNS1_3genE2ELNS1_11target_archE906ELNS1_3gpuE6ELNS1_3repE0EEENS1_38merge_mergepath_config_static_selectorELNS0_4arch9wavefront6targetE1EEEvSI_
    .private_segment_fixed_size: 0
    .sgpr_count:     41
    .sgpr_spill_count: 0
    .symbol:         _ZN7rocprim17ROCPRIM_400000_NS6detail17trampoline_kernelINS0_14default_configENS1_38merge_sort_block_merge_config_selectorIN3c104HalfElEEZZNS1_27merge_sort_block_merge_implIS3_PS6_N6thrust23THRUST_200600_302600_NS10device_ptrIlEEmNSB_4lessIS6_EEEE10hipError_tT0_T1_T2_jT3_P12ihipStream_tbPNSt15iterator_traitsISH_E10value_typeEPNSN_ISI_E10value_typeEPSJ_NS1_7vsmem_tEENKUlT_SH_SI_SJ_E_clIS9_S9_PlSD_EESG_SW_SH_SI_SJ_EUlSW_E0_NS1_11comp_targetILNS1_3genE2ELNS1_11target_archE906ELNS1_3gpuE6ELNS1_3repE0EEENS1_38merge_mergepath_config_static_selectorELNS0_4arch9wavefront6targetE1EEEvSI_.kd
    .uniform_work_group_size: 1
    .uses_dynamic_stack: false
    .vgpr_count:     35
    .vgpr_spill_count: 0
    .wavefront_size: 64
  - .args:
      - .offset:         0
        .size:           72
        .value_kind:     by_value
    .group_segment_fixed_size: 0
    .kernarg_segment_align: 8
    .kernarg_segment_size: 72
    .language:       OpenCL C
    .language_version:
      - 2
      - 0
    .max_flat_workgroup_size: 256
    .name:           _ZN7rocprim17ROCPRIM_400000_NS6detail17trampoline_kernelINS0_14default_configENS1_38merge_sort_block_merge_config_selectorIN3c104HalfElEEZZNS1_27merge_sort_block_merge_implIS3_PS6_N6thrust23THRUST_200600_302600_NS10device_ptrIlEEmNSB_4lessIS6_EEEE10hipError_tT0_T1_T2_jT3_P12ihipStream_tbPNSt15iterator_traitsISH_E10value_typeEPNSN_ISI_E10value_typeEPSJ_NS1_7vsmem_tEENKUlT_SH_SI_SJ_E_clIS9_S9_PlSD_EESG_SW_SH_SI_SJ_EUlSW_E0_NS1_11comp_targetILNS1_3genE9ELNS1_11target_archE1100ELNS1_3gpuE3ELNS1_3repE0EEENS1_38merge_mergepath_config_static_selectorELNS0_4arch9wavefront6targetE1EEEvSI_
    .private_segment_fixed_size: 0
    .sgpr_count:     4
    .sgpr_spill_count: 0
    .symbol:         _ZN7rocprim17ROCPRIM_400000_NS6detail17trampoline_kernelINS0_14default_configENS1_38merge_sort_block_merge_config_selectorIN3c104HalfElEEZZNS1_27merge_sort_block_merge_implIS3_PS6_N6thrust23THRUST_200600_302600_NS10device_ptrIlEEmNSB_4lessIS6_EEEE10hipError_tT0_T1_T2_jT3_P12ihipStream_tbPNSt15iterator_traitsISH_E10value_typeEPNSN_ISI_E10value_typeEPSJ_NS1_7vsmem_tEENKUlT_SH_SI_SJ_E_clIS9_S9_PlSD_EESG_SW_SH_SI_SJ_EUlSW_E0_NS1_11comp_targetILNS1_3genE9ELNS1_11target_archE1100ELNS1_3gpuE3ELNS1_3repE0EEENS1_38merge_mergepath_config_static_selectorELNS0_4arch9wavefront6targetE1EEEvSI_.kd
    .uniform_work_group_size: 1
    .uses_dynamic_stack: false
    .vgpr_count:     0
    .vgpr_spill_count: 0
    .wavefront_size: 64
  - .args:
      - .offset:         0
        .size:           72
        .value_kind:     by_value
    .group_segment_fixed_size: 0
    .kernarg_segment_align: 8
    .kernarg_segment_size: 72
    .language:       OpenCL C
    .language_version:
      - 2
      - 0
    .max_flat_workgroup_size: 512
    .name:           _ZN7rocprim17ROCPRIM_400000_NS6detail17trampoline_kernelINS0_14default_configENS1_38merge_sort_block_merge_config_selectorIN3c104HalfElEEZZNS1_27merge_sort_block_merge_implIS3_PS6_N6thrust23THRUST_200600_302600_NS10device_ptrIlEEmNSB_4lessIS6_EEEE10hipError_tT0_T1_T2_jT3_P12ihipStream_tbPNSt15iterator_traitsISH_E10value_typeEPNSN_ISI_E10value_typeEPSJ_NS1_7vsmem_tEENKUlT_SH_SI_SJ_E_clIS9_S9_PlSD_EESG_SW_SH_SI_SJ_EUlSW_E0_NS1_11comp_targetILNS1_3genE8ELNS1_11target_archE1030ELNS1_3gpuE2ELNS1_3repE0EEENS1_38merge_mergepath_config_static_selectorELNS0_4arch9wavefront6targetE1EEEvSI_
    .private_segment_fixed_size: 0
    .sgpr_count:     4
    .sgpr_spill_count: 0
    .symbol:         _ZN7rocprim17ROCPRIM_400000_NS6detail17trampoline_kernelINS0_14default_configENS1_38merge_sort_block_merge_config_selectorIN3c104HalfElEEZZNS1_27merge_sort_block_merge_implIS3_PS6_N6thrust23THRUST_200600_302600_NS10device_ptrIlEEmNSB_4lessIS6_EEEE10hipError_tT0_T1_T2_jT3_P12ihipStream_tbPNSt15iterator_traitsISH_E10value_typeEPNSN_ISI_E10value_typeEPSJ_NS1_7vsmem_tEENKUlT_SH_SI_SJ_E_clIS9_S9_PlSD_EESG_SW_SH_SI_SJ_EUlSW_E0_NS1_11comp_targetILNS1_3genE8ELNS1_11target_archE1030ELNS1_3gpuE2ELNS1_3repE0EEENS1_38merge_mergepath_config_static_selectorELNS0_4arch9wavefront6targetE1EEEvSI_.kd
    .uniform_work_group_size: 1
    .uses_dynamic_stack: false
    .vgpr_count:     0
    .vgpr_spill_count: 0
    .wavefront_size: 64
  - .args:
      - .offset:         0
        .size:           56
        .value_kind:     by_value
    .group_segment_fixed_size: 0
    .kernarg_segment_align: 8
    .kernarg_segment_size: 56
    .language:       OpenCL C
    .language_version:
      - 2
      - 0
    .max_flat_workgroup_size: 256
    .name:           _ZN7rocprim17ROCPRIM_400000_NS6detail17trampoline_kernelINS0_14default_configENS1_38merge_sort_block_merge_config_selectorIN3c104HalfElEEZZNS1_27merge_sort_block_merge_implIS3_PS6_N6thrust23THRUST_200600_302600_NS10device_ptrIlEEmNSB_4lessIS6_EEEE10hipError_tT0_T1_T2_jT3_P12ihipStream_tbPNSt15iterator_traitsISH_E10value_typeEPNSN_ISI_E10value_typeEPSJ_NS1_7vsmem_tEENKUlT_SH_SI_SJ_E_clIS9_S9_PlSD_EESG_SW_SH_SI_SJ_EUlSW_E1_NS1_11comp_targetILNS1_3genE0ELNS1_11target_archE4294967295ELNS1_3gpuE0ELNS1_3repE0EEENS1_36merge_oddeven_config_static_selectorELNS0_4arch9wavefront6targetE1EEEvSI_
    .private_segment_fixed_size: 0
    .sgpr_count:     4
    .sgpr_spill_count: 0
    .symbol:         _ZN7rocprim17ROCPRIM_400000_NS6detail17trampoline_kernelINS0_14default_configENS1_38merge_sort_block_merge_config_selectorIN3c104HalfElEEZZNS1_27merge_sort_block_merge_implIS3_PS6_N6thrust23THRUST_200600_302600_NS10device_ptrIlEEmNSB_4lessIS6_EEEE10hipError_tT0_T1_T2_jT3_P12ihipStream_tbPNSt15iterator_traitsISH_E10value_typeEPNSN_ISI_E10value_typeEPSJ_NS1_7vsmem_tEENKUlT_SH_SI_SJ_E_clIS9_S9_PlSD_EESG_SW_SH_SI_SJ_EUlSW_E1_NS1_11comp_targetILNS1_3genE0ELNS1_11target_archE4294967295ELNS1_3gpuE0ELNS1_3repE0EEENS1_36merge_oddeven_config_static_selectorELNS0_4arch9wavefront6targetE1EEEvSI_.kd
    .uniform_work_group_size: 1
    .uses_dynamic_stack: false
    .vgpr_count:     0
    .vgpr_spill_count: 0
    .wavefront_size: 64
  - .args:
      - .offset:         0
        .size:           56
        .value_kind:     by_value
    .group_segment_fixed_size: 0
    .kernarg_segment_align: 8
    .kernarg_segment_size: 56
    .language:       OpenCL C
    .language_version:
      - 2
      - 0
    .max_flat_workgroup_size: 256
    .name:           _ZN7rocprim17ROCPRIM_400000_NS6detail17trampoline_kernelINS0_14default_configENS1_38merge_sort_block_merge_config_selectorIN3c104HalfElEEZZNS1_27merge_sort_block_merge_implIS3_PS6_N6thrust23THRUST_200600_302600_NS10device_ptrIlEEmNSB_4lessIS6_EEEE10hipError_tT0_T1_T2_jT3_P12ihipStream_tbPNSt15iterator_traitsISH_E10value_typeEPNSN_ISI_E10value_typeEPSJ_NS1_7vsmem_tEENKUlT_SH_SI_SJ_E_clIS9_S9_PlSD_EESG_SW_SH_SI_SJ_EUlSW_E1_NS1_11comp_targetILNS1_3genE10ELNS1_11target_archE1201ELNS1_3gpuE5ELNS1_3repE0EEENS1_36merge_oddeven_config_static_selectorELNS0_4arch9wavefront6targetE1EEEvSI_
    .private_segment_fixed_size: 0
    .sgpr_count:     4
    .sgpr_spill_count: 0
    .symbol:         _ZN7rocprim17ROCPRIM_400000_NS6detail17trampoline_kernelINS0_14default_configENS1_38merge_sort_block_merge_config_selectorIN3c104HalfElEEZZNS1_27merge_sort_block_merge_implIS3_PS6_N6thrust23THRUST_200600_302600_NS10device_ptrIlEEmNSB_4lessIS6_EEEE10hipError_tT0_T1_T2_jT3_P12ihipStream_tbPNSt15iterator_traitsISH_E10value_typeEPNSN_ISI_E10value_typeEPSJ_NS1_7vsmem_tEENKUlT_SH_SI_SJ_E_clIS9_S9_PlSD_EESG_SW_SH_SI_SJ_EUlSW_E1_NS1_11comp_targetILNS1_3genE10ELNS1_11target_archE1201ELNS1_3gpuE5ELNS1_3repE0EEENS1_36merge_oddeven_config_static_selectorELNS0_4arch9wavefront6targetE1EEEvSI_.kd
    .uniform_work_group_size: 1
    .uses_dynamic_stack: false
    .vgpr_count:     0
    .vgpr_spill_count: 0
    .wavefront_size: 64
  - .args:
      - .offset:         0
        .size:           56
        .value_kind:     by_value
    .group_segment_fixed_size: 0
    .kernarg_segment_align: 8
    .kernarg_segment_size: 56
    .language:       OpenCL C
    .language_version:
      - 2
      - 0
    .max_flat_workgroup_size: 256
    .name:           _ZN7rocprim17ROCPRIM_400000_NS6detail17trampoline_kernelINS0_14default_configENS1_38merge_sort_block_merge_config_selectorIN3c104HalfElEEZZNS1_27merge_sort_block_merge_implIS3_PS6_N6thrust23THRUST_200600_302600_NS10device_ptrIlEEmNSB_4lessIS6_EEEE10hipError_tT0_T1_T2_jT3_P12ihipStream_tbPNSt15iterator_traitsISH_E10value_typeEPNSN_ISI_E10value_typeEPSJ_NS1_7vsmem_tEENKUlT_SH_SI_SJ_E_clIS9_S9_PlSD_EESG_SW_SH_SI_SJ_EUlSW_E1_NS1_11comp_targetILNS1_3genE5ELNS1_11target_archE942ELNS1_3gpuE9ELNS1_3repE0EEENS1_36merge_oddeven_config_static_selectorELNS0_4arch9wavefront6targetE1EEEvSI_
    .private_segment_fixed_size: 0
    .sgpr_count:     4
    .sgpr_spill_count: 0
    .symbol:         _ZN7rocprim17ROCPRIM_400000_NS6detail17trampoline_kernelINS0_14default_configENS1_38merge_sort_block_merge_config_selectorIN3c104HalfElEEZZNS1_27merge_sort_block_merge_implIS3_PS6_N6thrust23THRUST_200600_302600_NS10device_ptrIlEEmNSB_4lessIS6_EEEE10hipError_tT0_T1_T2_jT3_P12ihipStream_tbPNSt15iterator_traitsISH_E10value_typeEPNSN_ISI_E10value_typeEPSJ_NS1_7vsmem_tEENKUlT_SH_SI_SJ_E_clIS9_S9_PlSD_EESG_SW_SH_SI_SJ_EUlSW_E1_NS1_11comp_targetILNS1_3genE5ELNS1_11target_archE942ELNS1_3gpuE9ELNS1_3repE0EEENS1_36merge_oddeven_config_static_selectorELNS0_4arch9wavefront6targetE1EEEvSI_.kd
    .uniform_work_group_size: 1
    .uses_dynamic_stack: false
    .vgpr_count:     0
    .vgpr_spill_count: 0
    .wavefront_size: 64
  - .args:
      - .offset:         0
        .size:           56
        .value_kind:     by_value
    .group_segment_fixed_size: 0
    .kernarg_segment_align: 8
    .kernarg_segment_size: 56
    .language:       OpenCL C
    .language_version:
      - 2
      - 0
    .max_flat_workgroup_size: 256
    .name:           _ZN7rocprim17ROCPRIM_400000_NS6detail17trampoline_kernelINS0_14default_configENS1_38merge_sort_block_merge_config_selectorIN3c104HalfElEEZZNS1_27merge_sort_block_merge_implIS3_PS6_N6thrust23THRUST_200600_302600_NS10device_ptrIlEEmNSB_4lessIS6_EEEE10hipError_tT0_T1_T2_jT3_P12ihipStream_tbPNSt15iterator_traitsISH_E10value_typeEPNSN_ISI_E10value_typeEPSJ_NS1_7vsmem_tEENKUlT_SH_SI_SJ_E_clIS9_S9_PlSD_EESG_SW_SH_SI_SJ_EUlSW_E1_NS1_11comp_targetILNS1_3genE4ELNS1_11target_archE910ELNS1_3gpuE8ELNS1_3repE0EEENS1_36merge_oddeven_config_static_selectorELNS0_4arch9wavefront6targetE1EEEvSI_
    .private_segment_fixed_size: 0
    .sgpr_count:     4
    .sgpr_spill_count: 0
    .symbol:         _ZN7rocprim17ROCPRIM_400000_NS6detail17trampoline_kernelINS0_14default_configENS1_38merge_sort_block_merge_config_selectorIN3c104HalfElEEZZNS1_27merge_sort_block_merge_implIS3_PS6_N6thrust23THRUST_200600_302600_NS10device_ptrIlEEmNSB_4lessIS6_EEEE10hipError_tT0_T1_T2_jT3_P12ihipStream_tbPNSt15iterator_traitsISH_E10value_typeEPNSN_ISI_E10value_typeEPSJ_NS1_7vsmem_tEENKUlT_SH_SI_SJ_E_clIS9_S9_PlSD_EESG_SW_SH_SI_SJ_EUlSW_E1_NS1_11comp_targetILNS1_3genE4ELNS1_11target_archE910ELNS1_3gpuE8ELNS1_3repE0EEENS1_36merge_oddeven_config_static_selectorELNS0_4arch9wavefront6targetE1EEEvSI_.kd
    .uniform_work_group_size: 1
    .uses_dynamic_stack: false
    .vgpr_count:     0
    .vgpr_spill_count: 0
    .wavefront_size: 64
  - .args:
      - .offset:         0
        .size:           56
        .value_kind:     by_value
    .group_segment_fixed_size: 0
    .kernarg_segment_align: 8
    .kernarg_segment_size: 56
    .language:       OpenCL C
    .language_version:
      - 2
      - 0
    .max_flat_workgroup_size: 256
    .name:           _ZN7rocprim17ROCPRIM_400000_NS6detail17trampoline_kernelINS0_14default_configENS1_38merge_sort_block_merge_config_selectorIN3c104HalfElEEZZNS1_27merge_sort_block_merge_implIS3_PS6_N6thrust23THRUST_200600_302600_NS10device_ptrIlEEmNSB_4lessIS6_EEEE10hipError_tT0_T1_T2_jT3_P12ihipStream_tbPNSt15iterator_traitsISH_E10value_typeEPNSN_ISI_E10value_typeEPSJ_NS1_7vsmem_tEENKUlT_SH_SI_SJ_E_clIS9_S9_PlSD_EESG_SW_SH_SI_SJ_EUlSW_E1_NS1_11comp_targetILNS1_3genE3ELNS1_11target_archE908ELNS1_3gpuE7ELNS1_3repE0EEENS1_36merge_oddeven_config_static_selectorELNS0_4arch9wavefront6targetE1EEEvSI_
    .private_segment_fixed_size: 0
    .sgpr_count:     4
    .sgpr_spill_count: 0
    .symbol:         _ZN7rocprim17ROCPRIM_400000_NS6detail17trampoline_kernelINS0_14default_configENS1_38merge_sort_block_merge_config_selectorIN3c104HalfElEEZZNS1_27merge_sort_block_merge_implIS3_PS6_N6thrust23THRUST_200600_302600_NS10device_ptrIlEEmNSB_4lessIS6_EEEE10hipError_tT0_T1_T2_jT3_P12ihipStream_tbPNSt15iterator_traitsISH_E10value_typeEPNSN_ISI_E10value_typeEPSJ_NS1_7vsmem_tEENKUlT_SH_SI_SJ_E_clIS9_S9_PlSD_EESG_SW_SH_SI_SJ_EUlSW_E1_NS1_11comp_targetILNS1_3genE3ELNS1_11target_archE908ELNS1_3gpuE7ELNS1_3repE0EEENS1_36merge_oddeven_config_static_selectorELNS0_4arch9wavefront6targetE1EEEvSI_.kd
    .uniform_work_group_size: 1
    .uses_dynamic_stack: false
    .vgpr_count:     0
    .vgpr_spill_count: 0
    .wavefront_size: 64
  - .args:
      - .offset:         0
        .size:           56
        .value_kind:     by_value
    .group_segment_fixed_size: 0
    .kernarg_segment_align: 8
    .kernarg_segment_size: 56
    .language:       OpenCL C
    .language_version:
      - 2
      - 0
    .max_flat_workgroup_size: 256
    .name:           _ZN7rocprim17ROCPRIM_400000_NS6detail17trampoline_kernelINS0_14default_configENS1_38merge_sort_block_merge_config_selectorIN3c104HalfElEEZZNS1_27merge_sort_block_merge_implIS3_PS6_N6thrust23THRUST_200600_302600_NS10device_ptrIlEEmNSB_4lessIS6_EEEE10hipError_tT0_T1_T2_jT3_P12ihipStream_tbPNSt15iterator_traitsISH_E10value_typeEPNSN_ISI_E10value_typeEPSJ_NS1_7vsmem_tEENKUlT_SH_SI_SJ_E_clIS9_S9_PlSD_EESG_SW_SH_SI_SJ_EUlSW_E1_NS1_11comp_targetILNS1_3genE2ELNS1_11target_archE906ELNS1_3gpuE6ELNS1_3repE0EEENS1_36merge_oddeven_config_static_selectorELNS0_4arch9wavefront6targetE1EEEvSI_
    .private_segment_fixed_size: 0
    .sgpr_count:     28
    .sgpr_spill_count: 0
    .symbol:         _ZN7rocprim17ROCPRIM_400000_NS6detail17trampoline_kernelINS0_14default_configENS1_38merge_sort_block_merge_config_selectorIN3c104HalfElEEZZNS1_27merge_sort_block_merge_implIS3_PS6_N6thrust23THRUST_200600_302600_NS10device_ptrIlEEmNSB_4lessIS6_EEEE10hipError_tT0_T1_T2_jT3_P12ihipStream_tbPNSt15iterator_traitsISH_E10value_typeEPNSN_ISI_E10value_typeEPSJ_NS1_7vsmem_tEENKUlT_SH_SI_SJ_E_clIS9_S9_PlSD_EESG_SW_SH_SI_SJ_EUlSW_E1_NS1_11comp_targetILNS1_3genE2ELNS1_11target_archE906ELNS1_3gpuE6ELNS1_3repE0EEENS1_36merge_oddeven_config_static_selectorELNS0_4arch9wavefront6targetE1EEEvSI_.kd
    .uniform_work_group_size: 1
    .uses_dynamic_stack: false
    .vgpr_count:     10
    .vgpr_spill_count: 0
    .wavefront_size: 64
  - .args:
      - .offset:         0
        .size:           56
        .value_kind:     by_value
    .group_segment_fixed_size: 0
    .kernarg_segment_align: 8
    .kernarg_segment_size: 56
    .language:       OpenCL C
    .language_version:
      - 2
      - 0
    .max_flat_workgroup_size: 256
    .name:           _ZN7rocprim17ROCPRIM_400000_NS6detail17trampoline_kernelINS0_14default_configENS1_38merge_sort_block_merge_config_selectorIN3c104HalfElEEZZNS1_27merge_sort_block_merge_implIS3_PS6_N6thrust23THRUST_200600_302600_NS10device_ptrIlEEmNSB_4lessIS6_EEEE10hipError_tT0_T1_T2_jT3_P12ihipStream_tbPNSt15iterator_traitsISH_E10value_typeEPNSN_ISI_E10value_typeEPSJ_NS1_7vsmem_tEENKUlT_SH_SI_SJ_E_clIS9_S9_PlSD_EESG_SW_SH_SI_SJ_EUlSW_E1_NS1_11comp_targetILNS1_3genE9ELNS1_11target_archE1100ELNS1_3gpuE3ELNS1_3repE0EEENS1_36merge_oddeven_config_static_selectorELNS0_4arch9wavefront6targetE1EEEvSI_
    .private_segment_fixed_size: 0
    .sgpr_count:     4
    .sgpr_spill_count: 0
    .symbol:         _ZN7rocprim17ROCPRIM_400000_NS6detail17trampoline_kernelINS0_14default_configENS1_38merge_sort_block_merge_config_selectorIN3c104HalfElEEZZNS1_27merge_sort_block_merge_implIS3_PS6_N6thrust23THRUST_200600_302600_NS10device_ptrIlEEmNSB_4lessIS6_EEEE10hipError_tT0_T1_T2_jT3_P12ihipStream_tbPNSt15iterator_traitsISH_E10value_typeEPNSN_ISI_E10value_typeEPSJ_NS1_7vsmem_tEENKUlT_SH_SI_SJ_E_clIS9_S9_PlSD_EESG_SW_SH_SI_SJ_EUlSW_E1_NS1_11comp_targetILNS1_3genE9ELNS1_11target_archE1100ELNS1_3gpuE3ELNS1_3repE0EEENS1_36merge_oddeven_config_static_selectorELNS0_4arch9wavefront6targetE1EEEvSI_.kd
    .uniform_work_group_size: 1
    .uses_dynamic_stack: false
    .vgpr_count:     0
    .vgpr_spill_count: 0
    .wavefront_size: 64
  - .args:
      - .offset:         0
        .size:           56
        .value_kind:     by_value
    .group_segment_fixed_size: 0
    .kernarg_segment_align: 8
    .kernarg_segment_size: 56
    .language:       OpenCL C
    .language_version:
      - 2
      - 0
    .max_flat_workgroup_size: 256
    .name:           _ZN7rocprim17ROCPRIM_400000_NS6detail17trampoline_kernelINS0_14default_configENS1_38merge_sort_block_merge_config_selectorIN3c104HalfElEEZZNS1_27merge_sort_block_merge_implIS3_PS6_N6thrust23THRUST_200600_302600_NS10device_ptrIlEEmNSB_4lessIS6_EEEE10hipError_tT0_T1_T2_jT3_P12ihipStream_tbPNSt15iterator_traitsISH_E10value_typeEPNSN_ISI_E10value_typeEPSJ_NS1_7vsmem_tEENKUlT_SH_SI_SJ_E_clIS9_S9_PlSD_EESG_SW_SH_SI_SJ_EUlSW_E1_NS1_11comp_targetILNS1_3genE8ELNS1_11target_archE1030ELNS1_3gpuE2ELNS1_3repE0EEENS1_36merge_oddeven_config_static_selectorELNS0_4arch9wavefront6targetE1EEEvSI_
    .private_segment_fixed_size: 0
    .sgpr_count:     4
    .sgpr_spill_count: 0
    .symbol:         _ZN7rocprim17ROCPRIM_400000_NS6detail17trampoline_kernelINS0_14default_configENS1_38merge_sort_block_merge_config_selectorIN3c104HalfElEEZZNS1_27merge_sort_block_merge_implIS3_PS6_N6thrust23THRUST_200600_302600_NS10device_ptrIlEEmNSB_4lessIS6_EEEE10hipError_tT0_T1_T2_jT3_P12ihipStream_tbPNSt15iterator_traitsISH_E10value_typeEPNSN_ISI_E10value_typeEPSJ_NS1_7vsmem_tEENKUlT_SH_SI_SJ_E_clIS9_S9_PlSD_EESG_SW_SH_SI_SJ_EUlSW_E1_NS1_11comp_targetILNS1_3genE8ELNS1_11target_archE1030ELNS1_3gpuE2ELNS1_3repE0EEENS1_36merge_oddeven_config_static_selectorELNS0_4arch9wavefront6targetE1EEEvSI_.kd
    .uniform_work_group_size: 1
    .uses_dynamic_stack: false
    .vgpr_count:     0
    .vgpr_spill_count: 0
    .wavefront_size: 64
  - .args:
      - .offset:         0
        .size:           48
        .value_kind:     by_value
    .group_segment_fixed_size: 0
    .kernarg_segment_align: 8
    .kernarg_segment_size: 48
    .language:       OpenCL C
    .language_version:
      - 2
      - 0
    .max_flat_workgroup_size: 128
    .name:           _ZN7rocprim17ROCPRIM_400000_NS6detail17trampoline_kernelINS0_14default_configENS1_38merge_sort_block_merge_config_selectorIN3c104HalfElEEZZNS1_27merge_sort_block_merge_implIS3_PS6_N6thrust23THRUST_200600_302600_NS10device_ptrIlEEmNSB_4lessIS6_EEEE10hipError_tT0_T1_T2_jT3_P12ihipStream_tbPNSt15iterator_traitsISH_E10value_typeEPNSN_ISI_E10value_typeEPSJ_NS1_7vsmem_tEENKUlT_SH_SI_SJ_E_clIS9_S9_SD_PlEESG_SW_SH_SI_SJ_EUlSW_E_NS1_11comp_targetILNS1_3genE0ELNS1_11target_archE4294967295ELNS1_3gpuE0ELNS1_3repE0EEENS1_48merge_mergepath_partition_config_static_selectorELNS0_4arch9wavefront6targetE1EEEvSI_
    .private_segment_fixed_size: 0
    .sgpr_count:     4
    .sgpr_spill_count: 0
    .symbol:         _ZN7rocprim17ROCPRIM_400000_NS6detail17trampoline_kernelINS0_14default_configENS1_38merge_sort_block_merge_config_selectorIN3c104HalfElEEZZNS1_27merge_sort_block_merge_implIS3_PS6_N6thrust23THRUST_200600_302600_NS10device_ptrIlEEmNSB_4lessIS6_EEEE10hipError_tT0_T1_T2_jT3_P12ihipStream_tbPNSt15iterator_traitsISH_E10value_typeEPNSN_ISI_E10value_typeEPSJ_NS1_7vsmem_tEENKUlT_SH_SI_SJ_E_clIS9_S9_SD_PlEESG_SW_SH_SI_SJ_EUlSW_E_NS1_11comp_targetILNS1_3genE0ELNS1_11target_archE4294967295ELNS1_3gpuE0ELNS1_3repE0EEENS1_48merge_mergepath_partition_config_static_selectorELNS0_4arch9wavefront6targetE1EEEvSI_.kd
    .uniform_work_group_size: 1
    .uses_dynamic_stack: false
    .vgpr_count:     0
    .vgpr_spill_count: 0
    .wavefront_size: 64
  - .args:
      - .offset:         0
        .size:           48
        .value_kind:     by_value
    .group_segment_fixed_size: 0
    .kernarg_segment_align: 8
    .kernarg_segment_size: 48
    .language:       OpenCL C
    .language_version:
      - 2
      - 0
    .max_flat_workgroup_size: 128
    .name:           _ZN7rocprim17ROCPRIM_400000_NS6detail17trampoline_kernelINS0_14default_configENS1_38merge_sort_block_merge_config_selectorIN3c104HalfElEEZZNS1_27merge_sort_block_merge_implIS3_PS6_N6thrust23THRUST_200600_302600_NS10device_ptrIlEEmNSB_4lessIS6_EEEE10hipError_tT0_T1_T2_jT3_P12ihipStream_tbPNSt15iterator_traitsISH_E10value_typeEPNSN_ISI_E10value_typeEPSJ_NS1_7vsmem_tEENKUlT_SH_SI_SJ_E_clIS9_S9_SD_PlEESG_SW_SH_SI_SJ_EUlSW_E_NS1_11comp_targetILNS1_3genE10ELNS1_11target_archE1201ELNS1_3gpuE5ELNS1_3repE0EEENS1_48merge_mergepath_partition_config_static_selectorELNS0_4arch9wavefront6targetE1EEEvSI_
    .private_segment_fixed_size: 0
    .sgpr_count:     4
    .sgpr_spill_count: 0
    .symbol:         _ZN7rocprim17ROCPRIM_400000_NS6detail17trampoline_kernelINS0_14default_configENS1_38merge_sort_block_merge_config_selectorIN3c104HalfElEEZZNS1_27merge_sort_block_merge_implIS3_PS6_N6thrust23THRUST_200600_302600_NS10device_ptrIlEEmNSB_4lessIS6_EEEE10hipError_tT0_T1_T2_jT3_P12ihipStream_tbPNSt15iterator_traitsISH_E10value_typeEPNSN_ISI_E10value_typeEPSJ_NS1_7vsmem_tEENKUlT_SH_SI_SJ_E_clIS9_S9_SD_PlEESG_SW_SH_SI_SJ_EUlSW_E_NS1_11comp_targetILNS1_3genE10ELNS1_11target_archE1201ELNS1_3gpuE5ELNS1_3repE0EEENS1_48merge_mergepath_partition_config_static_selectorELNS0_4arch9wavefront6targetE1EEEvSI_.kd
    .uniform_work_group_size: 1
    .uses_dynamic_stack: false
    .vgpr_count:     0
    .vgpr_spill_count: 0
    .wavefront_size: 64
  - .args:
      - .offset:         0
        .size:           48
        .value_kind:     by_value
    .group_segment_fixed_size: 0
    .kernarg_segment_align: 8
    .kernarg_segment_size: 48
    .language:       OpenCL C
    .language_version:
      - 2
      - 0
    .max_flat_workgroup_size: 128
    .name:           _ZN7rocprim17ROCPRIM_400000_NS6detail17trampoline_kernelINS0_14default_configENS1_38merge_sort_block_merge_config_selectorIN3c104HalfElEEZZNS1_27merge_sort_block_merge_implIS3_PS6_N6thrust23THRUST_200600_302600_NS10device_ptrIlEEmNSB_4lessIS6_EEEE10hipError_tT0_T1_T2_jT3_P12ihipStream_tbPNSt15iterator_traitsISH_E10value_typeEPNSN_ISI_E10value_typeEPSJ_NS1_7vsmem_tEENKUlT_SH_SI_SJ_E_clIS9_S9_SD_PlEESG_SW_SH_SI_SJ_EUlSW_E_NS1_11comp_targetILNS1_3genE5ELNS1_11target_archE942ELNS1_3gpuE9ELNS1_3repE0EEENS1_48merge_mergepath_partition_config_static_selectorELNS0_4arch9wavefront6targetE1EEEvSI_
    .private_segment_fixed_size: 0
    .sgpr_count:     4
    .sgpr_spill_count: 0
    .symbol:         _ZN7rocprim17ROCPRIM_400000_NS6detail17trampoline_kernelINS0_14default_configENS1_38merge_sort_block_merge_config_selectorIN3c104HalfElEEZZNS1_27merge_sort_block_merge_implIS3_PS6_N6thrust23THRUST_200600_302600_NS10device_ptrIlEEmNSB_4lessIS6_EEEE10hipError_tT0_T1_T2_jT3_P12ihipStream_tbPNSt15iterator_traitsISH_E10value_typeEPNSN_ISI_E10value_typeEPSJ_NS1_7vsmem_tEENKUlT_SH_SI_SJ_E_clIS9_S9_SD_PlEESG_SW_SH_SI_SJ_EUlSW_E_NS1_11comp_targetILNS1_3genE5ELNS1_11target_archE942ELNS1_3gpuE9ELNS1_3repE0EEENS1_48merge_mergepath_partition_config_static_selectorELNS0_4arch9wavefront6targetE1EEEvSI_.kd
    .uniform_work_group_size: 1
    .uses_dynamic_stack: false
    .vgpr_count:     0
    .vgpr_spill_count: 0
    .wavefront_size: 64
  - .args:
      - .offset:         0
        .size:           48
        .value_kind:     by_value
    .group_segment_fixed_size: 0
    .kernarg_segment_align: 8
    .kernarg_segment_size: 48
    .language:       OpenCL C
    .language_version:
      - 2
      - 0
    .max_flat_workgroup_size: 128
    .name:           _ZN7rocprim17ROCPRIM_400000_NS6detail17trampoline_kernelINS0_14default_configENS1_38merge_sort_block_merge_config_selectorIN3c104HalfElEEZZNS1_27merge_sort_block_merge_implIS3_PS6_N6thrust23THRUST_200600_302600_NS10device_ptrIlEEmNSB_4lessIS6_EEEE10hipError_tT0_T1_T2_jT3_P12ihipStream_tbPNSt15iterator_traitsISH_E10value_typeEPNSN_ISI_E10value_typeEPSJ_NS1_7vsmem_tEENKUlT_SH_SI_SJ_E_clIS9_S9_SD_PlEESG_SW_SH_SI_SJ_EUlSW_E_NS1_11comp_targetILNS1_3genE4ELNS1_11target_archE910ELNS1_3gpuE8ELNS1_3repE0EEENS1_48merge_mergepath_partition_config_static_selectorELNS0_4arch9wavefront6targetE1EEEvSI_
    .private_segment_fixed_size: 0
    .sgpr_count:     4
    .sgpr_spill_count: 0
    .symbol:         _ZN7rocprim17ROCPRIM_400000_NS6detail17trampoline_kernelINS0_14default_configENS1_38merge_sort_block_merge_config_selectorIN3c104HalfElEEZZNS1_27merge_sort_block_merge_implIS3_PS6_N6thrust23THRUST_200600_302600_NS10device_ptrIlEEmNSB_4lessIS6_EEEE10hipError_tT0_T1_T2_jT3_P12ihipStream_tbPNSt15iterator_traitsISH_E10value_typeEPNSN_ISI_E10value_typeEPSJ_NS1_7vsmem_tEENKUlT_SH_SI_SJ_E_clIS9_S9_SD_PlEESG_SW_SH_SI_SJ_EUlSW_E_NS1_11comp_targetILNS1_3genE4ELNS1_11target_archE910ELNS1_3gpuE8ELNS1_3repE0EEENS1_48merge_mergepath_partition_config_static_selectorELNS0_4arch9wavefront6targetE1EEEvSI_.kd
    .uniform_work_group_size: 1
    .uses_dynamic_stack: false
    .vgpr_count:     0
    .vgpr_spill_count: 0
    .wavefront_size: 64
  - .args:
      - .offset:         0
        .size:           48
        .value_kind:     by_value
    .group_segment_fixed_size: 0
    .kernarg_segment_align: 8
    .kernarg_segment_size: 48
    .language:       OpenCL C
    .language_version:
      - 2
      - 0
    .max_flat_workgroup_size: 128
    .name:           _ZN7rocprim17ROCPRIM_400000_NS6detail17trampoline_kernelINS0_14default_configENS1_38merge_sort_block_merge_config_selectorIN3c104HalfElEEZZNS1_27merge_sort_block_merge_implIS3_PS6_N6thrust23THRUST_200600_302600_NS10device_ptrIlEEmNSB_4lessIS6_EEEE10hipError_tT0_T1_T2_jT3_P12ihipStream_tbPNSt15iterator_traitsISH_E10value_typeEPNSN_ISI_E10value_typeEPSJ_NS1_7vsmem_tEENKUlT_SH_SI_SJ_E_clIS9_S9_SD_PlEESG_SW_SH_SI_SJ_EUlSW_E_NS1_11comp_targetILNS1_3genE3ELNS1_11target_archE908ELNS1_3gpuE7ELNS1_3repE0EEENS1_48merge_mergepath_partition_config_static_selectorELNS0_4arch9wavefront6targetE1EEEvSI_
    .private_segment_fixed_size: 0
    .sgpr_count:     4
    .sgpr_spill_count: 0
    .symbol:         _ZN7rocprim17ROCPRIM_400000_NS6detail17trampoline_kernelINS0_14default_configENS1_38merge_sort_block_merge_config_selectorIN3c104HalfElEEZZNS1_27merge_sort_block_merge_implIS3_PS6_N6thrust23THRUST_200600_302600_NS10device_ptrIlEEmNSB_4lessIS6_EEEE10hipError_tT0_T1_T2_jT3_P12ihipStream_tbPNSt15iterator_traitsISH_E10value_typeEPNSN_ISI_E10value_typeEPSJ_NS1_7vsmem_tEENKUlT_SH_SI_SJ_E_clIS9_S9_SD_PlEESG_SW_SH_SI_SJ_EUlSW_E_NS1_11comp_targetILNS1_3genE3ELNS1_11target_archE908ELNS1_3gpuE7ELNS1_3repE0EEENS1_48merge_mergepath_partition_config_static_selectorELNS0_4arch9wavefront6targetE1EEEvSI_.kd
    .uniform_work_group_size: 1
    .uses_dynamic_stack: false
    .vgpr_count:     0
    .vgpr_spill_count: 0
    .wavefront_size: 64
  - .args:
      - .offset:         0
        .size:           48
        .value_kind:     by_value
    .group_segment_fixed_size: 0
    .kernarg_segment_align: 8
    .kernarg_segment_size: 48
    .language:       OpenCL C
    .language_version:
      - 2
      - 0
    .max_flat_workgroup_size: 128
    .name:           _ZN7rocprim17ROCPRIM_400000_NS6detail17trampoline_kernelINS0_14default_configENS1_38merge_sort_block_merge_config_selectorIN3c104HalfElEEZZNS1_27merge_sort_block_merge_implIS3_PS6_N6thrust23THRUST_200600_302600_NS10device_ptrIlEEmNSB_4lessIS6_EEEE10hipError_tT0_T1_T2_jT3_P12ihipStream_tbPNSt15iterator_traitsISH_E10value_typeEPNSN_ISI_E10value_typeEPSJ_NS1_7vsmem_tEENKUlT_SH_SI_SJ_E_clIS9_S9_SD_PlEESG_SW_SH_SI_SJ_EUlSW_E_NS1_11comp_targetILNS1_3genE2ELNS1_11target_archE906ELNS1_3gpuE6ELNS1_3repE0EEENS1_48merge_mergepath_partition_config_static_selectorELNS0_4arch9wavefront6targetE1EEEvSI_
    .private_segment_fixed_size: 0
    .sgpr_count:     14
    .sgpr_spill_count: 0
    .symbol:         _ZN7rocprim17ROCPRIM_400000_NS6detail17trampoline_kernelINS0_14default_configENS1_38merge_sort_block_merge_config_selectorIN3c104HalfElEEZZNS1_27merge_sort_block_merge_implIS3_PS6_N6thrust23THRUST_200600_302600_NS10device_ptrIlEEmNSB_4lessIS6_EEEE10hipError_tT0_T1_T2_jT3_P12ihipStream_tbPNSt15iterator_traitsISH_E10value_typeEPNSN_ISI_E10value_typeEPSJ_NS1_7vsmem_tEENKUlT_SH_SI_SJ_E_clIS9_S9_SD_PlEESG_SW_SH_SI_SJ_EUlSW_E_NS1_11comp_targetILNS1_3genE2ELNS1_11target_archE906ELNS1_3gpuE6ELNS1_3repE0EEENS1_48merge_mergepath_partition_config_static_selectorELNS0_4arch9wavefront6targetE1EEEvSI_.kd
    .uniform_work_group_size: 1
    .uses_dynamic_stack: false
    .vgpr_count:     19
    .vgpr_spill_count: 0
    .wavefront_size: 64
  - .args:
      - .offset:         0
        .size:           48
        .value_kind:     by_value
    .group_segment_fixed_size: 0
    .kernarg_segment_align: 8
    .kernarg_segment_size: 48
    .language:       OpenCL C
    .language_version:
      - 2
      - 0
    .max_flat_workgroup_size: 128
    .name:           _ZN7rocprim17ROCPRIM_400000_NS6detail17trampoline_kernelINS0_14default_configENS1_38merge_sort_block_merge_config_selectorIN3c104HalfElEEZZNS1_27merge_sort_block_merge_implIS3_PS6_N6thrust23THRUST_200600_302600_NS10device_ptrIlEEmNSB_4lessIS6_EEEE10hipError_tT0_T1_T2_jT3_P12ihipStream_tbPNSt15iterator_traitsISH_E10value_typeEPNSN_ISI_E10value_typeEPSJ_NS1_7vsmem_tEENKUlT_SH_SI_SJ_E_clIS9_S9_SD_PlEESG_SW_SH_SI_SJ_EUlSW_E_NS1_11comp_targetILNS1_3genE9ELNS1_11target_archE1100ELNS1_3gpuE3ELNS1_3repE0EEENS1_48merge_mergepath_partition_config_static_selectorELNS0_4arch9wavefront6targetE1EEEvSI_
    .private_segment_fixed_size: 0
    .sgpr_count:     4
    .sgpr_spill_count: 0
    .symbol:         _ZN7rocprim17ROCPRIM_400000_NS6detail17trampoline_kernelINS0_14default_configENS1_38merge_sort_block_merge_config_selectorIN3c104HalfElEEZZNS1_27merge_sort_block_merge_implIS3_PS6_N6thrust23THRUST_200600_302600_NS10device_ptrIlEEmNSB_4lessIS6_EEEE10hipError_tT0_T1_T2_jT3_P12ihipStream_tbPNSt15iterator_traitsISH_E10value_typeEPNSN_ISI_E10value_typeEPSJ_NS1_7vsmem_tEENKUlT_SH_SI_SJ_E_clIS9_S9_SD_PlEESG_SW_SH_SI_SJ_EUlSW_E_NS1_11comp_targetILNS1_3genE9ELNS1_11target_archE1100ELNS1_3gpuE3ELNS1_3repE0EEENS1_48merge_mergepath_partition_config_static_selectorELNS0_4arch9wavefront6targetE1EEEvSI_.kd
    .uniform_work_group_size: 1
    .uses_dynamic_stack: false
    .vgpr_count:     0
    .vgpr_spill_count: 0
    .wavefront_size: 64
  - .args:
      - .offset:         0
        .size:           48
        .value_kind:     by_value
    .group_segment_fixed_size: 0
    .kernarg_segment_align: 8
    .kernarg_segment_size: 48
    .language:       OpenCL C
    .language_version:
      - 2
      - 0
    .max_flat_workgroup_size: 128
    .name:           _ZN7rocprim17ROCPRIM_400000_NS6detail17trampoline_kernelINS0_14default_configENS1_38merge_sort_block_merge_config_selectorIN3c104HalfElEEZZNS1_27merge_sort_block_merge_implIS3_PS6_N6thrust23THRUST_200600_302600_NS10device_ptrIlEEmNSB_4lessIS6_EEEE10hipError_tT0_T1_T2_jT3_P12ihipStream_tbPNSt15iterator_traitsISH_E10value_typeEPNSN_ISI_E10value_typeEPSJ_NS1_7vsmem_tEENKUlT_SH_SI_SJ_E_clIS9_S9_SD_PlEESG_SW_SH_SI_SJ_EUlSW_E_NS1_11comp_targetILNS1_3genE8ELNS1_11target_archE1030ELNS1_3gpuE2ELNS1_3repE0EEENS1_48merge_mergepath_partition_config_static_selectorELNS0_4arch9wavefront6targetE1EEEvSI_
    .private_segment_fixed_size: 0
    .sgpr_count:     4
    .sgpr_spill_count: 0
    .symbol:         _ZN7rocprim17ROCPRIM_400000_NS6detail17trampoline_kernelINS0_14default_configENS1_38merge_sort_block_merge_config_selectorIN3c104HalfElEEZZNS1_27merge_sort_block_merge_implIS3_PS6_N6thrust23THRUST_200600_302600_NS10device_ptrIlEEmNSB_4lessIS6_EEEE10hipError_tT0_T1_T2_jT3_P12ihipStream_tbPNSt15iterator_traitsISH_E10value_typeEPNSN_ISI_E10value_typeEPSJ_NS1_7vsmem_tEENKUlT_SH_SI_SJ_E_clIS9_S9_SD_PlEESG_SW_SH_SI_SJ_EUlSW_E_NS1_11comp_targetILNS1_3genE8ELNS1_11target_archE1030ELNS1_3gpuE2ELNS1_3repE0EEENS1_48merge_mergepath_partition_config_static_selectorELNS0_4arch9wavefront6targetE1EEEvSI_.kd
    .uniform_work_group_size: 1
    .uses_dynamic_stack: false
    .vgpr_count:     0
    .vgpr_spill_count: 0
    .wavefront_size: 64
  - .args:
      - .offset:         0
        .size:           72
        .value_kind:     by_value
    .group_segment_fixed_size: 0
    .kernarg_segment_align: 8
    .kernarg_segment_size: 72
    .language:       OpenCL C
    .language_version:
      - 2
      - 0
    .max_flat_workgroup_size: 256
    .name:           _ZN7rocprim17ROCPRIM_400000_NS6detail17trampoline_kernelINS0_14default_configENS1_38merge_sort_block_merge_config_selectorIN3c104HalfElEEZZNS1_27merge_sort_block_merge_implIS3_PS6_N6thrust23THRUST_200600_302600_NS10device_ptrIlEEmNSB_4lessIS6_EEEE10hipError_tT0_T1_T2_jT3_P12ihipStream_tbPNSt15iterator_traitsISH_E10value_typeEPNSN_ISI_E10value_typeEPSJ_NS1_7vsmem_tEENKUlT_SH_SI_SJ_E_clIS9_S9_SD_PlEESG_SW_SH_SI_SJ_EUlSW_E0_NS1_11comp_targetILNS1_3genE0ELNS1_11target_archE4294967295ELNS1_3gpuE0ELNS1_3repE0EEENS1_38merge_mergepath_config_static_selectorELNS0_4arch9wavefront6targetE1EEEvSI_
    .private_segment_fixed_size: 0
    .sgpr_count:     4
    .sgpr_spill_count: 0
    .symbol:         _ZN7rocprim17ROCPRIM_400000_NS6detail17trampoline_kernelINS0_14default_configENS1_38merge_sort_block_merge_config_selectorIN3c104HalfElEEZZNS1_27merge_sort_block_merge_implIS3_PS6_N6thrust23THRUST_200600_302600_NS10device_ptrIlEEmNSB_4lessIS6_EEEE10hipError_tT0_T1_T2_jT3_P12ihipStream_tbPNSt15iterator_traitsISH_E10value_typeEPNSN_ISI_E10value_typeEPSJ_NS1_7vsmem_tEENKUlT_SH_SI_SJ_E_clIS9_S9_SD_PlEESG_SW_SH_SI_SJ_EUlSW_E0_NS1_11comp_targetILNS1_3genE0ELNS1_11target_archE4294967295ELNS1_3gpuE0ELNS1_3repE0EEENS1_38merge_mergepath_config_static_selectorELNS0_4arch9wavefront6targetE1EEEvSI_.kd
    .uniform_work_group_size: 1
    .uses_dynamic_stack: false
    .vgpr_count:     0
    .vgpr_spill_count: 0
    .wavefront_size: 64
  - .args:
      - .offset:         0
        .size:           72
        .value_kind:     by_value
    .group_segment_fixed_size: 0
    .kernarg_segment_align: 8
    .kernarg_segment_size: 72
    .language:       OpenCL C
    .language_version:
      - 2
      - 0
    .max_flat_workgroup_size: 512
    .name:           _ZN7rocprim17ROCPRIM_400000_NS6detail17trampoline_kernelINS0_14default_configENS1_38merge_sort_block_merge_config_selectorIN3c104HalfElEEZZNS1_27merge_sort_block_merge_implIS3_PS6_N6thrust23THRUST_200600_302600_NS10device_ptrIlEEmNSB_4lessIS6_EEEE10hipError_tT0_T1_T2_jT3_P12ihipStream_tbPNSt15iterator_traitsISH_E10value_typeEPNSN_ISI_E10value_typeEPSJ_NS1_7vsmem_tEENKUlT_SH_SI_SJ_E_clIS9_S9_SD_PlEESG_SW_SH_SI_SJ_EUlSW_E0_NS1_11comp_targetILNS1_3genE10ELNS1_11target_archE1201ELNS1_3gpuE5ELNS1_3repE0EEENS1_38merge_mergepath_config_static_selectorELNS0_4arch9wavefront6targetE1EEEvSI_
    .private_segment_fixed_size: 0
    .sgpr_count:     4
    .sgpr_spill_count: 0
    .symbol:         _ZN7rocprim17ROCPRIM_400000_NS6detail17trampoline_kernelINS0_14default_configENS1_38merge_sort_block_merge_config_selectorIN3c104HalfElEEZZNS1_27merge_sort_block_merge_implIS3_PS6_N6thrust23THRUST_200600_302600_NS10device_ptrIlEEmNSB_4lessIS6_EEEE10hipError_tT0_T1_T2_jT3_P12ihipStream_tbPNSt15iterator_traitsISH_E10value_typeEPNSN_ISI_E10value_typeEPSJ_NS1_7vsmem_tEENKUlT_SH_SI_SJ_E_clIS9_S9_SD_PlEESG_SW_SH_SI_SJ_EUlSW_E0_NS1_11comp_targetILNS1_3genE10ELNS1_11target_archE1201ELNS1_3gpuE5ELNS1_3repE0EEENS1_38merge_mergepath_config_static_selectorELNS0_4arch9wavefront6targetE1EEEvSI_.kd
    .uniform_work_group_size: 1
    .uses_dynamic_stack: false
    .vgpr_count:     0
    .vgpr_spill_count: 0
    .wavefront_size: 64
  - .args:
      - .offset:         0
        .size:           72
        .value_kind:     by_value
    .group_segment_fixed_size: 0
    .kernarg_segment_align: 8
    .kernarg_segment_size: 72
    .language:       OpenCL C
    .language_version:
      - 2
      - 0
    .max_flat_workgroup_size: 256
    .name:           _ZN7rocprim17ROCPRIM_400000_NS6detail17trampoline_kernelINS0_14default_configENS1_38merge_sort_block_merge_config_selectorIN3c104HalfElEEZZNS1_27merge_sort_block_merge_implIS3_PS6_N6thrust23THRUST_200600_302600_NS10device_ptrIlEEmNSB_4lessIS6_EEEE10hipError_tT0_T1_T2_jT3_P12ihipStream_tbPNSt15iterator_traitsISH_E10value_typeEPNSN_ISI_E10value_typeEPSJ_NS1_7vsmem_tEENKUlT_SH_SI_SJ_E_clIS9_S9_SD_PlEESG_SW_SH_SI_SJ_EUlSW_E0_NS1_11comp_targetILNS1_3genE5ELNS1_11target_archE942ELNS1_3gpuE9ELNS1_3repE0EEENS1_38merge_mergepath_config_static_selectorELNS0_4arch9wavefront6targetE1EEEvSI_
    .private_segment_fixed_size: 0
    .sgpr_count:     4
    .sgpr_spill_count: 0
    .symbol:         _ZN7rocprim17ROCPRIM_400000_NS6detail17trampoline_kernelINS0_14default_configENS1_38merge_sort_block_merge_config_selectorIN3c104HalfElEEZZNS1_27merge_sort_block_merge_implIS3_PS6_N6thrust23THRUST_200600_302600_NS10device_ptrIlEEmNSB_4lessIS6_EEEE10hipError_tT0_T1_T2_jT3_P12ihipStream_tbPNSt15iterator_traitsISH_E10value_typeEPNSN_ISI_E10value_typeEPSJ_NS1_7vsmem_tEENKUlT_SH_SI_SJ_E_clIS9_S9_SD_PlEESG_SW_SH_SI_SJ_EUlSW_E0_NS1_11comp_targetILNS1_3genE5ELNS1_11target_archE942ELNS1_3gpuE9ELNS1_3repE0EEENS1_38merge_mergepath_config_static_selectorELNS0_4arch9wavefront6targetE1EEEvSI_.kd
    .uniform_work_group_size: 1
    .uses_dynamic_stack: false
    .vgpr_count:     0
    .vgpr_spill_count: 0
    .wavefront_size: 64
  - .args:
      - .offset:         0
        .size:           72
        .value_kind:     by_value
    .group_segment_fixed_size: 0
    .kernarg_segment_align: 8
    .kernarg_segment_size: 72
    .language:       OpenCL C
    .language_version:
      - 2
      - 0
    .max_flat_workgroup_size: 256
    .name:           _ZN7rocprim17ROCPRIM_400000_NS6detail17trampoline_kernelINS0_14default_configENS1_38merge_sort_block_merge_config_selectorIN3c104HalfElEEZZNS1_27merge_sort_block_merge_implIS3_PS6_N6thrust23THRUST_200600_302600_NS10device_ptrIlEEmNSB_4lessIS6_EEEE10hipError_tT0_T1_T2_jT3_P12ihipStream_tbPNSt15iterator_traitsISH_E10value_typeEPNSN_ISI_E10value_typeEPSJ_NS1_7vsmem_tEENKUlT_SH_SI_SJ_E_clIS9_S9_SD_PlEESG_SW_SH_SI_SJ_EUlSW_E0_NS1_11comp_targetILNS1_3genE4ELNS1_11target_archE910ELNS1_3gpuE8ELNS1_3repE0EEENS1_38merge_mergepath_config_static_selectorELNS0_4arch9wavefront6targetE1EEEvSI_
    .private_segment_fixed_size: 0
    .sgpr_count:     4
    .sgpr_spill_count: 0
    .symbol:         _ZN7rocprim17ROCPRIM_400000_NS6detail17trampoline_kernelINS0_14default_configENS1_38merge_sort_block_merge_config_selectorIN3c104HalfElEEZZNS1_27merge_sort_block_merge_implIS3_PS6_N6thrust23THRUST_200600_302600_NS10device_ptrIlEEmNSB_4lessIS6_EEEE10hipError_tT0_T1_T2_jT3_P12ihipStream_tbPNSt15iterator_traitsISH_E10value_typeEPNSN_ISI_E10value_typeEPSJ_NS1_7vsmem_tEENKUlT_SH_SI_SJ_E_clIS9_S9_SD_PlEESG_SW_SH_SI_SJ_EUlSW_E0_NS1_11comp_targetILNS1_3genE4ELNS1_11target_archE910ELNS1_3gpuE8ELNS1_3repE0EEENS1_38merge_mergepath_config_static_selectorELNS0_4arch9wavefront6targetE1EEEvSI_.kd
    .uniform_work_group_size: 1
    .uses_dynamic_stack: false
    .vgpr_count:     0
    .vgpr_spill_count: 0
    .wavefront_size: 64
  - .args:
      - .offset:         0
        .size:           72
        .value_kind:     by_value
    .group_segment_fixed_size: 0
    .kernarg_segment_align: 8
    .kernarg_segment_size: 72
    .language:       OpenCL C
    .language_version:
      - 2
      - 0
    .max_flat_workgroup_size: 256
    .name:           _ZN7rocprim17ROCPRIM_400000_NS6detail17trampoline_kernelINS0_14default_configENS1_38merge_sort_block_merge_config_selectorIN3c104HalfElEEZZNS1_27merge_sort_block_merge_implIS3_PS6_N6thrust23THRUST_200600_302600_NS10device_ptrIlEEmNSB_4lessIS6_EEEE10hipError_tT0_T1_T2_jT3_P12ihipStream_tbPNSt15iterator_traitsISH_E10value_typeEPNSN_ISI_E10value_typeEPSJ_NS1_7vsmem_tEENKUlT_SH_SI_SJ_E_clIS9_S9_SD_PlEESG_SW_SH_SI_SJ_EUlSW_E0_NS1_11comp_targetILNS1_3genE3ELNS1_11target_archE908ELNS1_3gpuE7ELNS1_3repE0EEENS1_38merge_mergepath_config_static_selectorELNS0_4arch9wavefront6targetE1EEEvSI_
    .private_segment_fixed_size: 0
    .sgpr_count:     4
    .sgpr_spill_count: 0
    .symbol:         _ZN7rocprim17ROCPRIM_400000_NS6detail17trampoline_kernelINS0_14default_configENS1_38merge_sort_block_merge_config_selectorIN3c104HalfElEEZZNS1_27merge_sort_block_merge_implIS3_PS6_N6thrust23THRUST_200600_302600_NS10device_ptrIlEEmNSB_4lessIS6_EEEE10hipError_tT0_T1_T2_jT3_P12ihipStream_tbPNSt15iterator_traitsISH_E10value_typeEPNSN_ISI_E10value_typeEPSJ_NS1_7vsmem_tEENKUlT_SH_SI_SJ_E_clIS9_S9_SD_PlEESG_SW_SH_SI_SJ_EUlSW_E0_NS1_11comp_targetILNS1_3genE3ELNS1_11target_archE908ELNS1_3gpuE7ELNS1_3repE0EEENS1_38merge_mergepath_config_static_selectorELNS0_4arch9wavefront6targetE1EEEvSI_.kd
    .uniform_work_group_size: 1
    .uses_dynamic_stack: false
    .vgpr_count:     0
    .vgpr_spill_count: 0
    .wavefront_size: 64
  - .args:
      - .offset:         0
        .size:           72
        .value_kind:     by_value
      - .offset:         72
        .size:           4
        .value_kind:     hidden_block_count_x
      - .offset:         76
        .size:           4
        .value_kind:     hidden_block_count_y
      - .offset:         80
        .size:           4
        .value_kind:     hidden_block_count_z
      - .offset:         84
        .size:           2
        .value_kind:     hidden_group_size_x
      - .offset:         86
        .size:           2
        .value_kind:     hidden_group_size_y
      - .offset:         88
        .size:           2
        .value_kind:     hidden_group_size_z
      - .offset:         90
        .size:           2
        .value_kind:     hidden_remainder_x
      - .offset:         92
        .size:           2
        .value_kind:     hidden_remainder_y
      - .offset:         94
        .size:           2
        .value_kind:     hidden_remainder_z
      - .offset:         112
        .size:           8
        .value_kind:     hidden_global_offset_x
      - .offset:         120
        .size:           8
        .value_kind:     hidden_global_offset_y
      - .offset:         128
        .size:           8
        .value_kind:     hidden_global_offset_z
      - .offset:         136
        .size:           2
        .value_kind:     hidden_grid_dims
    .group_segment_fixed_size: 8448
    .kernarg_segment_align: 8
    .kernarg_segment_size: 328
    .language:       OpenCL C
    .language_version:
      - 2
      - 0
    .max_flat_workgroup_size: 256
    .name:           _ZN7rocprim17ROCPRIM_400000_NS6detail17trampoline_kernelINS0_14default_configENS1_38merge_sort_block_merge_config_selectorIN3c104HalfElEEZZNS1_27merge_sort_block_merge_implIS3_PS6_N6thrust23THRUST_200600_302600_NS10device_ptrIlEEmNSB_4lessIS6_EEEE10hipError_tT0_T1_T2_jT3_P12ihipStream_tbPNSt15iterator_traitsISH_E10value_typeEPNSN_ISI_E10value_typeEPSJ_NS1_7vsmem_tEENKUlT_SH_SI_SJ_E_clIS9_S9_SD_PlEESG_SW_SH_SI_SJ_EUlSW_E0_NS1_11comp_targetILNS1_3genE2ELNS1_11target_archE906ELNS1_3gpuE6ELNS1_3repE0EEENS1_38merge_mergepath_config_static_selectorELNS0_4arch9wavefront6targetE1EEEvSI_
    .private_segment_fixed_size: 0
    .sgpr_count:     41
    .sgpr_spill_count: 0
    .symbol:         _ZN7rocprim17ROCPRIM_400000_NS6detail17trampoline_kernelINS0_14default_configENS1_38merge_sort_block_merge_config_selectorIN3c104HalfElEEZZNS1_27merge_sort_block_merge_implIS3_PS6_N6thrust23THRUST_200600_302600_NS10device_ptrIlEEmNSB_4lessIS6_EEEE10hipError_tT0_T1_T2_jT3_P12ihipStream_tbPNSt15iterator_traitsISH_E10value_typeEPNSN_ISI_E10value_typeEPSJ_NS1_7vsmem_tEENKUlT_SH_SI_SJ_E_clIS9_S9_SD_PlEESG_SW_SH_SI_SJ_EUlSW_E0_NS1_11comp_targetILNS1_3genE2ELNS1_11target_archE906ELNS1_3gpuE6ELNS1_3repE0EEENS1_38merge_mergepath_config_static_selectorELNS0_4arch9wavefront6targetE1EEEvSI_.kd
    .uniform_work_group_size: 1
    .uses_dynamic_stack: false
    .vgpr_count:     35
    .vgpr_spill_count: 0
    .wavefront_size: 64
  - .args:
      - .offset:         0
        .size:           72
        .value_kind:     by_value
    .group_segment_fixed_size: 0
    .kernarg_segment_align: 8
    .kernarg_segment_size: 72
    .language:       OpenCL C
    .language_version:
      - 2
      - 0
    .max_flat_workgroup_size: 256
    .name:           _ZN7rocprim17ROCPRIM_400000_NS6detail17trampoline_kernelINS0_14default_configENS1_38merge_sort_block_merge_config_selectorIN3c104HalfElEEZZNS1_27merge_sort_block_merge_implIS3_PS6_N6thrust23THRUST_200600_302600_NS10device_ptrIlEEmNSB_4lessIS6_EEEE10hipError_tT0_T1_T2_jT3_P12ihipStream_tbPNSt15iterator_traitsISH_E10value_typeEPNSN_ISI_E10value_typeEPSJ_NS1_7vsmem_tEENKUlT_SH_SI_SJ_E_clIS9_S9_SD_PlEESG_SW_SH_SI_SJ_EUlSW_E0_NS1_11comp_targetILNS1_3genE9ELNS1_11target_archE1100ELNS1_3gpuE3ELNS1_3repE0EEENS1_38merge_mergepath_config_static_selectorELNS0_4arch9wavefront6targetE1EEEvSI_
    .private_segment_fixed_size: 0
    .sgpr_count:     4
    .sgpr_spill_count: 0
    .symbol:         _ZN7rocprim17ROCPRIM_400000_NS6detail17trampoline_kernelINS0_14default_configENS1_38merge_sort_block_merge_config_selectorIN3c104HalfElEEZZNS1_27merge_sort_block_merge_implIS3_PS6_N6thrust23THRUST_200600_302600_NS10device_ptrIlEEmNSB_4lessIS6_EEEE10hipError_tT0_T1_T2_jT3_P12ihipStream_tbPNSt15iterator_traitsISH_E10value_typeEPNSN_ISI_E10value_typeEPSJ_NS1_7vsmem_tEENKUlT_SH_SI_SJ_E_clIS9_S9_SD_PlEESG_SW_SH_SI_SJ_EUlSW_E0_NS1_11comp_targetILNS1_3genE9ELNS1_11target_archE1100ELNS1_3gpuE3ELNS1_3repE0EEENS1_38merge_mergepath_config_static_selectorELNS0_4arch9wavefront6targetE1EEEvSI_.kd
    .uniform_work_group_size: 1
    .uses_dynamic_stack: false
    .vgpr_count:     0
    .vgpr_spill_count: 0
    .wavefront_size: 64
  - .args:
      - .offset:         0
        .size:           72
        .value_kind:     by_value
    .group_segment_fixed_size: 0
    .kernarg_segment_align: 8
    .kernarg_segment_size: 72
    .language:       OpenCL C
    .language_version:
      - 2
      - 0
    .max_flat_workgroup_size: 512
    .name:           _ZN7rocprim17ROCPRIM_400000_NS6detail17trampoline_kernelINS0_14default_configENS1_38merge_sort_block_merge_config_selectorIN3c104HalfElEEZZNS1_27merge_sort_block_merge_implIS3_PS6_N6thrust23THRUST_200600_302600_NS10device_ptrIlEEmNSB_4lessIS6_EEEE10hipError_tT0_T1_T2_jT3_P12ihipStream_tbPNSt15iterator_traitsISH_E10value_typeEPNSN_ISI_E10value_typeEPSJ_NS1_7vsmem_tEENKUlT_SH_SI_SJ_E_clIS9_S9_SD_PlEESG_SW_SH_SI_SJ_EUlSW_E0_NS1_11comp_targetILNS1_3genE8ELNS1_11target_archE1030ELNS1_3gpuE2ELNS1_3repE0EEENS1_38merge_mergepath_config_static_selectorELNS0_4arch9wavefront6targetE1EEEvSI_
    .private_segment_fixed_size: 0
    .sgpr_count:     4
    .sgpr_spill_count: 0
    .symbol:         _ZN7rocprim17ROCPRIM_400000_NS6detail17trampoline_kernelINS0_14default_configENS1_38merge_sort_block_merge_config_selectorIN3c104HalfElEEZZNS1_27merge_sort_block_merge_implIS3_PS6_N6thrust23THRUST_200600_302600_NS10device_ptrIlEEmNSB_4lessIS6_EEEE10hipError_tT0_T1_T2_jT3_P12ihipStream_tbPNSt15iterator_traitsISH_E10value_typeEPNSN_ISI_E10value_typeEPSJ_NS1_7vsmem_tEENKUlT_SH_SI_SJ_E_clIS9_S9_SD_PlEESG_SW_SH_SI_SJ_EUlSW_E0_NS1_11comp_targetILNS1_3genE8ELNS1_11target_archE1030ELNS1_3gpuE2ELNS1_3repE0EEENS1_38merge_mergepath_config_static_selectorELNS0_4arch9wavefront6targetE1EEEvSI_.kd
    .uniform_work_group_size: 1
    .uses_dynamic_stack: false
    .vgpr_count:     0
    .vgpr_spill_count: 0
    .wavefront_size: 64
  - .args:
      - .offset:         0
        .size:           56
        .value_kind:     by_value
    .group_segment_fixed_size: 0
    .kernarg_segment_align: 8
    .kernarg_segment_size: 56
    .language:       OpenCL C
    .language_version:
      - 2
      - 0
    .max_flat_workgroup_size: 256
    .name:           _ZN7rocprim17ROCPRIM_400000_NS6detail17trampoline_kernelINS0_14default_configENS1_38merge_sort_block_merge_config_selectorIN3c104HalfElEEZZNS1_27merge_sort_block_merge_implIS3_PS6_N6thrust23THRUST_200600_302600_NS10device_ptrIlEEmNSB_4lessIS6_EEEE10hipError_tT0_T1_T2_jT3_P12ihipStream_tbPNSt15iterator_traitsISH_E10value_typeEPNSN_ISI_E10value_typeEPSJ_NS1_7vsmem_tEENKUlT_SH_SI_SJ_E_clIS9_S9_SD_PlEESG_SW_SH_SI_SJ_EUlSW_E1_NS1_11comp_targetILNS1_3genE0ELNS1_11target_archE4294967295ELNS1_3gpuE0ELNS1_3repE0EEENS1_36merge_oddeven_config_static_selectorELNS0_4arch9wavefront6targetE1EEEvSI_
    .private_segment_fixed_size: 0
    .sgpr_count:     4
    .sgpr_spill_count: 0
    .symbol:         _ZN7rocprim17ROCPRIM_400000_NS6detail17trampoline_kernelINS0_14default_configENS1_38merge_sort_block_merge_config_selectorIN3c104HalfElEEZZNS1_27merge_sort_block_merge_implIS3_PS6_N6thrust23THRUST_200600_302600_NS10device_ptrIlEEmNSB_4lessIS6_EEEE10hipError_tT0_T1_T2_jT3_P12ihipStream_tbPNSt15iterator_traitsISH_E10value_typeEPNSN_ISI_E10value_typeEPSJ_NS1_7vsmem_tEENKUlT_SH_SI_SJ_E_clIS9_S9_SD_PlEESG_SW_SH_SI_SJ_EUlSW_E1_NS1_11comp_targetILNS1_3genE0ELNS1_11target_archE4294967295ELNS1_3gpuE0ELNS1_3repE0EEENS1_36merge_oddeven_config_static_selectorELNS0_4arch9wavefront6targetE1EEEvSI_.kd
    .uniform_work_group_size: 1
    .uses_dynamic_stack: false
    .vgpr_count:     0
    .vgpr_spill_count: 0
    .wavefront_size: 64
  - .args:
      - .offset:         0
        .size:           56
        .value_kind:     by_value
    .group_segment_fixed_size: 0
    .kernarg_segment_align: 8
    .kernarg_segment_size: 56
    .language:       OpenCL C
    .language_version:
      - 2
      - 0
    .max_flat_workgroup_size: 256
    .name:           _ZN7rocprim17ROCPRIM_400000_NS6detail17trampoline_kernelINS0_14default_configENS1_38merge_sort_block_merge_config_selectorIN3c104HalfElEEZZNS1_27merge_sort_block_merge_implIS3_PS6_N6thrust23THRUST_200600_302600_NS10device_ptrIlEEmNSB_4lessIS6_EEEE10hipError_tT0_T1_T2_jT3_P12ihipStream_tbPNSt15iterator_traitsISH_E10value_typeEPNSN_ISI_E10value_typeEPSJ_NS1_7vsmem_tEENKUlT_SH_SI_SJ_E_clIS9_S9_SD_PlEESG_SW_SH_SI_SJ_EUlSW_E1_NS1_11comp_targetILNS1_3genE10ELNS1_11target_archE1201ELNS1_3gpuE5ELNS1_3repE0EEENS1_36merge_oddeven_config_static_selectorELNS0_4arch9wavefront6targetE1EEEvSI_
    .private_segment_fixed_size: 0
    .sgpr_count:     4
    .sgpr_spill_count: 0
    .symbol:         _ZN7rocprim17ROCPRIM_400000_NS6detail17trampoline_kernelINS0_14default_configENS1_38merge_sort_block_merge_config_selectorIN3c104HalfElEEZZNS1_27merge_sort_block_merge_implIS3_PS6_N6thrust23THRUST_200600_302600_NS10device_ptrIlEEmNSB_4lessIS6_EEEE10hipError_tT0_T1_T2_jT3_P12ihipStream_tbPNSt15iterator_traitsISH_E10value_typeEPNSN_ISI_E10value_typeEPSJ_NS1_7vsmem_tEENKUlT_SH_SI_SJ_E_clIS9_S9_SD_PlEESG_SW_SH_SI_SJ_EUlSW_E1_NS1_11comp_targetILNS1_3genE10ELNS1_11target_archE1201ELNS1_3gpuE5ELNS1_3repE0EEENS1_36merge_oddeven_config_static_selectorELNS0_4arch9wavefront6targetE1EEEvSI_.kd
    .uniform_work_group_size: 1
    .uses_dynamic_stack: false
    .vgpr_count:     0
    .vgpr_spill_count: 0
    .wavefront_size: 64
  - .args:
      - .offset:         0
        .size:           56
        .value_kind:     by_value
    .group_segment_fixed_size: 0
    .kernarg_segment_align: 8
    .kernarg_segment_size: 56
    .language:       OpenCL C
    .language_version:
      - 2
      - 0
    .max_flat_workgroup_size: 256
    .name:           _ZN7rocprim17ROCPRIM_400000_NS6detail17trampoline_kernelINS0_14default_configENS1_38merge_sort_block_merge_config_selectorIN3c104HalfElEEZZNS1_27merge_sort_block_merge_implIS3_PS6_N6thrust23THRUST_200600_302600_NS10device_ptrIlEEmNSB_4lessIS6_EEEE10hipError_tT0_T1_T2_jT3_P12ihipStream_tbPNSt15iterator_traitsISH_E10value_typeEPNSN_ISI_E10value_typeEPSJ_NS1_7vsmem_tEENKUlT_SH_SI_SJ_E_clIS9_S9_SD_PlEESG_SW_SH_SI_SJ_EUlSW_E1_NS1_11comp_targetILNS1_3genE5ELNS1_11target_archE942ELNS1_3gpuE9ELNS1_3repE0EEENS1_36merge_oddeven_config_static_selectorELNS0_4arch9wavefront6targetE1EEEvSI_
    .private_segment_fixed_size: 0
    .sgpr_count:     4
    .sgpr_spill_count: 0
    .symbol:         _ZN7rocprim17ROCPRIM_400000_NS6detail17trampoline_kernelINS0_14default_configENS1_38merge_sort_block_merge_config_selectorIN3c104HalfElEEZZNS1_27merge_sort_block_merge_implIS3_PS6_N6thrust23THRUST_200600_302600_NS10device_ptrIlEEmNSB_4lessIS6_EEEE10hipError_tT0_T1_T2_jT3_P12ihipStream_tbPNSt15iterator_traitsISH_E10value_typeEPNSN_ISI_E10value_typeEPSJ_NS1_7vsmem_tEENKUlT_SH_SI_SJ_E_clIS9_S9_SD_PlEESG_SW_SH_SI_SJ_EUlSW_E1_NS1_11comp_targetILNS1_3genE5ELNS1_11target_archE942ELNS1_3gpuE9ELNS1_3repE0EEENS1_36merge_oddeven_config_static_selectorELNS0_4arch9wavefront6targetE1EEEvSI_.kd
    .uniform_work_group_size: 1
    .uses_dynamic_stack: false
    .vgpr_count:     0
    .vgpr_spill_count: 0
    .wavefront_size: 64
  - .args:
      - .offset:         0
        .size:           56
        .value_kind:     by_value
    .group_segment_fixed_size: 0
    .kernarg_segment_align: 8
    .kernarg_segment_size: 56
    .language:       OpenCL C
    .language_version:
      - 2
      - 0
    .max_flat_workgroup_size: 256
    .name:           _ZN7rocprim17ROCPRIM_400000_NS6detail17trampoline_kernelINS0_14default_configENS1_38merge_sort_block_merge_config_selectorIN3c104HalfElEEZZNS1_27merge_sort_block_merge_implIS3_PS6_N6thrust23THRUST_200600_302600_NS10device_ptrIlEEmNSB_4lessIS6_EEEE10hipError_tT0_T1_T2_jT3_P12ihipStream_tbPNSt15iterator_traitsISH_E10value_typeEPNSN_ISI_E10value_typeEPSJ_NS1_7vsmem_tEENKUlT_SH_SI_SJ_E_clIS9_S9_SD_PlEESG_SW_SH_SI_SJ_EUlSW_E1_NS1_11comp_targetILNS1_3genE4ELNS1_11target_archE910ELNS1_3gpuE8ELNS1_3repE0EEENS1_36merge_oddeven_config_static_selectorELNS0_4arch9wavefront6targetE1EEEvSI_
    .private_segment_fixed_size: 0
    .sgpr_count:     4
    .sgpr_spill_count: 0
    .symbol:         _ZN7rocprim17ROCPRIM_400000_NS6detail17trampoline_kernelINS0_14default_configENS1_38merge_sort_block_merge_config_selectorIN3c104HalfElEEZZNS1_27merge_sort_block_merge_implIS3_PS6_N6thrust23THRUST_200600_302600_NS10device_ptrIlEEmNSB_4lessIS6_EEEE10hipError_tT0_T1_T2_jT3_P12ihipStream_tbPNSt15iterator_traitsISH_E10value_typeEPNSN_ISI_E10value_typeEPSJ_NS1_7vsmem_tEENKUlT_SH_SI_SJ_E_clIS9_S9_SD_PlEESG_SW_SH_SI_SJ_EUlSW_E1_NS1_11comp_targetILNS1_3genE4ELNS1_11target_archE910ELNS1_3gpuE8ELNS1_3repE0EEENS1_36merge_oddeven_config_static_selectorELNS0_4arch9wavefront6targetE1EEEvSI_.kd
    .uniform_work_group_size: 1
    .uses_dynamic_stack: false
    .vgpr_count:     0
    .vgpr_spill_count: 0
    .wavefront_size: 64
  - .args:
      - .offset:         0
        .size:           56
        .value_kind:     by_value
    .group_segment_fixed_size: 0
    .kernarg_segment_align: 8
    .kernarg_segment_size: 56
    .language:       OpenCL C
    .language_version:
      - 2
      - 0
    .max_flat_workgroup_size: 256
    .name:           _ZN7rocprim17ROCPRIM_400000_NS6detail17trampoline_kernelINS0_14default_configENS1_38merge_sort_block_merge_config_selectorIN3c104HalfElEEZZNS1_27merge_sort_block_merge_implIS3_PS6_N6thrust23THRUST_200600_302600_NS10device_ptrIlEEmNSB_4lessIS6_EEEE10hipError_tT0_T1_T2_jT3_P12ihipStream_tbPNSt15iterator_traitsISH_E10value_typeEPNSN_ISI_E10value_typeEPSJ_NS1_7vsmem_tEENKUlT_SH_SI_SJ_E_clIS9_S9_SD_PlEESG_SW_SH_SI_SJ_EUlSW_E1_NS1_11comp_targetILNS1_3genE3ELNS1_11target_archE908ELNS1_3gpuE7ELNS1_3repE0EEENS1_36merge_oddeven_config_static_selectorELNS0_4arch9wavefront6targetE1EEEvSI_
    .private_segment_fixed_size: 0
    .sgpr_count:     4
    .sgpr_spill_count: 0
    .symbol:         _ZN7rocprim17ROCPRIM_400000_NS6detail17trampoline_kernelINS0_14default_configENS1_38merge_sort_block_merge_config_selectorIN3c104HalfElEEZZNS1_27merge_sort_block_merge_implIS3_PS6_N6thrust23THRUST_200600_302600_NS10device_ptrIlEEmNSB_4lessIS6_EEEE10hipError_tT0_T1_T2_jT3_P12ihipStream_tbPNSt15iterator_traitsISH_E10value_typeEPNSN_ISI_E10value_typeEPSJ_NS1_7vsmem_tEENKUlT_SH_SI_SJ_E_clIS9_S9_SD_PlEESG_SW_SH_SI_SJ_EUlSW_E1_NS1_11comp_targetILNS1_3genE3ELNS1_11target_archE908ELNS1_3gpuE7ELNS1_3repE0EEENS1_36merge_oddeven_config_static_selectorELNS0_4arch9wavefront6targetE1EEEvSI_.kd
    .uniform_work_group_size: 1
    .uses_dynamic_stack: false
    .vgpr_count:     0
    .vgpr_spill_count: 0
    .wavefront_size: 64
  - .args:
      - .offset:         0
        .size:           56
        .value_kind:     by_value
    .group_segment_fixed_size: 0
    .kernarg_segment_align: 8
    .kernarg_segment_size: 56
    .language:       OpenCL C
    .language_version:
      - 2
      - 0
    .max_flat_workgroup_size: 256
    .name:           _ZN7rocprim17ROCPRIM_400000_NS6detail17trampoline_kernelINS0_14default_configENS1_38merge_sort_block_merge_config_selectorIN3c104HalfElEEZZNS1_27merge_sort_block_merge_implIS3_PS6_N6thrust23THRUST_200600_302600_NS10device_ptrIlEEmNSB_4lessIS6_EEEE10hipError_tT0_T1_T2_jT3_P12ihipStream_tbPNSt15iterator_traitsISH_E10value_typeEPNSN_ISI_E10value_typeEPSJ_NS1_7vsmem_tEENKUlT_SH_SI_SJ_E_clIS9_S9_SD_PlEESG_SW_SH_SI_SJ_EUlSW_E1_NS1_11comp_targetILNS1_3genE2ELNS1_11target_archE906ELNS1_3gpuE6ELNS1_3repE0EEENS1_36merge_oddeven_config_static_selectorELNS0_4arch9wavefront6targetE1EEEvSI_
    .private_segment_fixed_size: 0
    .sgpr_count:     28
    .sgpr_spill_count: 0
    .symbol:         _ZN7rocprim17ROCPRIM_400000_NS6detail17trampoline_kernelINS0_14default_configENS1_38merge_sort_block_merge_config_selectorIN3c104HalfElEEZZNS1_27merge_sort_block_merge_implIS3_PS6_N6thrust23THRUST_200600_302600_NS10device_ptrIlEEmNSB_4lessIS6_EEEE10hipError_tT0_T1_T2_jT3_P12ihipStream_tbPNSt15iterator_traitsISH_E10value_typeEPNSN_ISI_E10value_typeEPSJ_NS1_7vsmem_tEENKUlT_SH_SI_SJ_E_clIS9_S9_SD_PlEESG_SW_SH_SI_SJ_EUlSW_E1_NS1_11comp_targetILNS1_3genE2ELNS1_11target_archE906ELNS1_3gpuE6ELNS1_3repE0EEENS1_36merge_oddeven_config_static_selectorELNS0_4arch9wavefront6targetE1EEEvSI_.kd
    .uniform_work_group_size: 1
    .uses_dynamic_stack: false
    .vgpr_count:     10
    .vgpr_spill_count: 0
    .wavefront_size: 64
  - .args:
      - .offset:         0
        .size:           56
        .value_kind:     by_value
    .group_segment_fixed_size: 0
    .kernarg_segment_align: 8
    .kernarg_segment_size: 56
    .language:       OpenCL C
    .language_version:
      - 2
      - 0
    .max_flat_workgroup_size: 256
    .name:           _ZN7rocprim17ROCPRIM_400000_NS6detail17trampoline_kernelINS0_14default_configENS1_38merge_sort_block_merge_config_selectorIN3c104HalfElEEZZNS1_27merge_sort_block_merge_implIS3_PS6_N6thrust23THRUST_200600_302600_NS10device_ptrIlEEmNSB_4lessIS6_EEEE10hipError_tT0_T1_T2_jT3_P12ihipStream_tbPNSt15iterator_traitsISH_E10value_typeEPNSN_ISI_E10value_typeEPSJ_NS1_7vsmem_tEENKUlT_SH_SI_SJ_E_clIS9_S9_SD_PlEESG_SW_SH_SI_SJ_EUlSW_E1_NS1_11comp_targetILNS1_3genE9ELNS1_11target_archE1100ELNS1_3gpuE3ELNS1_3repE0EEENS1_36merge_oddeven_config_static_selectorELNS0_4arch9wavefront6targetE1EEEvSI_
    .private_segment_fixed_size: 0
    .sgpr_count:     4
    .sgpr_spill_count: 0
    .symbol:         _ZN7rocprim17ROCPRIM_400000_NS6detail17trampoline_kernelINS0_14default_configENS1_38merge_sort_block_merge_config_selectorIN3c104HalfElEEZZNS1_27merge_sort_block_merge_implIS3_PS6_N6thrust23THRUST_200600_302600_NS10device_ptrIlEEmNSB_4lessIS6_EEEE10hipError_tT0_T1_T2_jT3_P12ihipStream_tbPNSt15iterator_traitsISH_E10value_typeEPNSN_ISI_E10value_typeEPSJ_NS1_7vsmem_tEENKUlT_SH_SI_SJ_E_clIS9_S9_SD_PlEESG_SW_SH_SI_SJ_EUlSW_E1_NS1_11comp_targetILNS1_3genE9ELNS1_11target_archE1100ELNS1_3gpuE3ELNS1_3repE0EEENS1_36merge_oddeven_config_static_selectorELNS0_4arch9wavefront6targetE1EEEvSI_.kd
    .uniform_work_group_size: 1
    .uses_dynamic_stack: false
    .vgpr_count:     0
    .vgpr_spill_count: 0
    .wavefront_size: 64
  - .args:
      - .offset:         0
        .size:           56
        .value_kind:     by_value
    .group_segment_fixed_size: 0
    .kernarg_segment_align: 8
    .kernarg_segment_size: 56
    .language:       OpenCL C
    .language_version:
      - 2
      - 0
    .max_flat_workgroup_size: 256
    .name:           _ZN7rocprim17ROCPRIM_400000_NS6detail17trampoline_kernelINS0_14default_configENS1_38merge_sort_block_merge_config_selectorIN3c104HalfElEEZZNS1_27merge_sort_block_merge_implIS3_PS6_N6thrust23THRUST_200600_302600_NS10device_ptrIlEEmNSB_4lessIS6_EEEE10hipError_tT0_T1_T2_jT3_P12ihipStream_tbPNSt15iterator_traitsISH_E10value_typeEPNSN_ISI_E10value_typeEPSJ_NS1_7vsmem_tEENKUlT_SH_SI_SJ_E_clIS9_S9_SD_PlEESG_SW_SH_SI_SJ_EUlSW_E1_NS1_11comp_targetILNS1_3genE8ELNS1_11target_archE1030ELNS1_3gpuE2ELNS1_3repE0EEENS1_36merge_oddeven_config_static_selectorELNS0_4arch9wavefront6targetE1EEEvSI_
    .private_segment_fixed_size: 0
    .sgpr_count:     4
    .sgpr_spill_count: 0
    .symbol:         _ZN7rocprim17ROCPRIM_400000_NS6detail17trampoline_kernelINS0_14default_configENS1_38merge_sort_block_merge_config_selectorIN3c104HalfElEEZZNS1_27merge_sort_block_merge_implIS3_PS6_N6thrust23THRUST_200600_302600_NS10device_ptrIlEEmNSB_4lessIS6_EEEE10hipError_tT0_T1_T2_jT3_P12ihipStream_tbPNSt15iterator_traitsISH_E10value_typeEPNSN_ISI_E10value_typeEPSJ_NS1_7vsmem_tEENKUlT_SH_SI_SJ_E_clIS9_S9_SD_PlEESG_SW_SH_SI_SJ_EUlSW_E1_NS1_11comp_targetILNS1_3genE8ELNS1_11target_archE1030ELNS1_3gpuE2ELNS1_3repE0EEENS1_36merge_oddeven_config_static_selectorELNS0_4arch9wavefront6targetE1EEEvSI_.kd
    .uniform_work_group_size: 1
    .uses_dynamic_stack: false
    .vgpr_count:     0
    .vgpr_spill_count: 0
    .wavefront_size: 64
  - .args:
      - .offset:         0
        .size:           40
        .value_kind:     by_value
    .group_segment_fixed_size: 0
    .kernarg_segment_align: 8
    .kernarg_segment_size: 40
    .language:       OpenCL C
    .language_version:
      - 2
      - 0
    .max_flat_workgroup_size: 128
    .name:           _ZN7rocprim17ROCPRIM_400000_NS6detail17trampoline_kernelINS0_14default_configENS1_25transform_config_selectorIN3c104HalfELb1EEEZNS1_14transform_implILb1ES3_S7_PS6_S9_NS0_8identityIS6_EEEE10hipError_tT2_T3_mT4_P12ihipStream_tbEUlT_E_NS1_11comp_targetILNS1_3genE0ELNS1_11target_archE4294967295ELNS1_3gpuE0ELNS1_3repE0EEENS1_30default_config_static_selectorELNS0_4arch9wavefront6targetE1EEEvT1_
    .private_segment_fixed_size: 0
    .sgpr_count:     4
    .sgpr_spill_count: 0
    .symbol:         _ZN7rocprim17ROCPRIM_400000_NS6detail17trampoline_kernelINS0_14default_configENS1_25transform_config_selectorIN3c104HalfELb1EEEZNS1_14transform_implILb1ES3_S7_PS6_S9_NS0_8identityIS6_EEEE10hipError_tT2_T3_mT4_P12ihipStream_tbEUlT_E_NS1_11comp_targetILNS1_3genE0ELNS1_11target_archE4294967295ELNS1_3gpuE0ELNS1_3repE0EEENS1_30default_config_static_selectorELNS0_4arch9wavefront6targetE1EEEvT1_.kd
    .uniform_work_group_size: 1
    .uses_dynamic_stack: false
    .vgpr_count:     0
    .vgpr_spill_count: 0
    .wavefront_size: 64
  - .args:
      - .offset:         0
        .size:           40
        .value_kind:     by_value
    .group_segment_fixed_size: 0
    .kernarg_segment_align: 8
    .kernarg_segment_size: 40
    .language:       OpenCL C
    .language_version:
      - 2
      - 0
    .max_flat_workgroup_size: 64
    .name:           _ZN7rocprim17ROCPRIM_400000_NS6detail17trampoline_kernelINS0_14default_configENS1_25transform_config_selectorIN3c104HalfELb1EEEZNS1_14transform_implILb1ES3_S7_PS6_S9_NS0_8identityIS6_EEEE10hipError_tT2_T3_mT4_P12ihipStream_tbEUlT_E_NS1_11comp_targetILNS1_3genE10ELNS1_11target_archE1201ELNS1_3gpuE5ELNS1_3repE0EEENS1_30default_config_static_selectorELNS0_4arch9wavefront6targetE1EEEvT1_
    .private_segment_fixed_size: 0
    .sgpr_count:     4
    .sgpr_spill_count: 0
    .symbol:         _ZN7rocprim17ROCPRIM_400000_NS6detail17trampoline_kernelINS0_14default_configENS1_25transform_config_selectorIN3c104HalfELb1EEEZNS1_14transform_implILb1ES3_S7_PS6_S9_NS0_8identityIS6_EEEE10hipError_tT2_T3_mT4_P12ihipStream_tbEUlT_E_NS1_11comp_targetILNS1_3genE10ELNS1_11target_archE1201ELNS1_3gpuE5ELNS1_3repE0EEENS1_30default_config_static_selectorELNS0_4arch9wavefront6targetE1EEEvT1_.kd
    .uniform_work_group_size: 1
    .uses_dynamic_stack: false
    .vgpr_count:     0
    .vgpr_spill_count: 0
    .wavefront_size: 64
  - .args:
      - .offset:         0
        .size:           40
        .value_kind:     by_value
    .group_segment_fixed_size: 0
    .kernarg_segment_align: 8
    .kernarg_segment_size: 40
    .language:       OpenCL C
    .language_version:
      - 2
      - 0
    .max_flat_workgroup_size: 256
    .name:           _ZN7rocprim17ROCPRIM_400000_NS6detail17trampoline_kernelINS0_14default_configENS1_25transform_config_selectorIN3c104HalfELb1EEEZNS1_14transform_implILb1ES3_S7_PS6_S9_NS0_8identityIS6_EEEE10hipError_tT2_T3_mT4_P12ihipStream_tbEUlT_E_NS1_11comp_targetILNS1_3genE5ELNS1_11target_archE942ELNS1_3gpuE9ELNS1_3repE0EEENS1_30default_config_static_selectorELNS0_4arch9wavefront6targetE1EEEvT1_
    .private_segment_fixed_size: 0
    .sgpr_count:     4
    .sgpr_spill_count: 0
    .symbol:         _ZN7rocprim17ROCPRIM_400000_NS6detail17trampoline_kernelINS0_14default_configENS1_25transform_config_selectorIN3c104HalfELb1EEEZNS1_14transform_implILb1ES3_S7_PS6_S9_NS0_8identityIS6_EEEE10hipError_tT2_T3_mT4_P12ihipStream_tbEUlT_E_NS1_11comp_targetILNS1_3genE5ELNS1_11target_archE942ELNS1_3gpuE9ELNS1_3repE0EEENS1_30default_config_static_selectorELNS0_4arch9wavefront6targetE1EEEvT1_.kd
    .uniform_work_group_size: 1
    .uses_dynamic_stack: false
    .vgpr_count:     0
    .vgpr_spill_count: 0
    .wavefront_size: 64
  - .args:
      - .offset:         0
        .size:           40
        .value_kind:     by_value
    .group_segment_fixed_size: 0
    .kernarg_segment_align: 8
    .kernarg_segment_size: 40
    .language:       OpenCL C
    .language_version:
      - 2
      - 0
    .max_flat_workgroup_size: 1024
    .name:           _ZN7rocprim17ROCPRIM_400000_NS6detail17trampoline_kernelINS0_14default_configENS1_25transform_config_selectorIN3c104HalfELb1EEEZNS1_14transform_implILb1ES3_S7_PS6_S9_NS0_8identityIS6_EEEE10hipError_tT2_T3_mT4_P12ihipStream_tbEUlT_E_NS1_11comp_targetILNS1_3genE4ELNS1_11target_archE910ELNS1_3gpuE8ELNS1_3repE0EEENS1_30default_config_static_selectorELNS0_4arch9wavefront6targetE1EEEvT1_
    .private_segment_fixed_size: 0
    .sgpr_count:     4
    .sgpr_spill_count: 0
    .symbol:         _ZN7rocprim17ROCPRIM_400000_NS6detail17trampoline_kernelINS0_14default_configENS1_25transform_config_selectorIN3c104HalfELb1EEEZNS1_14transform_implILb1ES3_S7_PS6_S9_NS0_8identityIS6_EEEE10hipError_tT2_T3_mT4_P12ihipStream_tbEUlT_E_NS1_11comp_targetILNS1_3genE4ELNS1_11target_archE910ELNS1_3gpuE8ELNS1_3repE0EEENS1_30default_config_static_selectorELNS0_4arch9wavefront6targetE1EEEvT1_.kd
    .uniform_work_group_size: 1
    .uses_dynamic_stack: false
    .vgpr_count:     0
    .vgpr_spill_count: 0
    .wavefront_size: 64
  - .args:
      - .offset:         0
        .size:           40
        .value_kind:     by_value
    .group_segment_fixed_size: 0
    .kernarg_segment_align: 8
    .kernarg_segment_size: 40
    .language:       OpenCL C
    .language_version:
      - 2
      - 0
    .max_flat_workgroup_size: 128
    .name:           _ZN7rocprim17ROCPRIM_400000_NS6detail17trampoline_kernelINS0_14default_configENS1_25transform_config_selectorIN3c104HalfELb1EEEZNS1_14transform_implILb1ES3_S7_PS6_S9_NS0_8identityIS6_EEEE10hipError_tT2_T3_mT4_P12ihipStream_tbEUlT_E_NS1_11comp_targetILNS1_3genE3ELNS1_11target_archE908ELNS1_3gpuE7ELNS1_3repE0EEENS1_30default_config_static_selectorELNS0_4arch9wavefront6targetE1EEEvT1_
    .private_segment_fixed_size: 0
    .sgpr_count:     4
    .sgpr_spill_count: 0
    .symbol:         _ZN7rocprim17ROCPRIM_400000_NS6detail17trampoline_kernelINS0_14default_configENS1_25transform_config_selectorIN3c104HalfELb1EEEZNS1_14transform_implILb1ES3_S7_PS6_S9_NS0_8identityIS6_EEEE10hipError_tT2_T3_mT4_P12ihipStream_tbEUlT_E_NS1_11comp_targetILNS1_3genE3ELNS1_11target_archE908ELNS1_3gpuE7ELNS1_3repE0EEENS1_30default_config_static_selectorELNS0_4arch9wavefront6targetE1EEEvT1_.kd
    .uniform_work_group_size: 1
    .uses_dynamic_stack: false
    .vgpr_count:     0
    .vgpr_spill_count: 0
    .wavefront_size: 64
  - .args:
      - .offset:         0
        .size:           40
        .value_kind:     by_value
      - .offset:         40
        .size:           4
        .value_kind:     hidden_block_count_x
      - .offset:         44
        .size:           4
        .value_kind:     hidden_block_count_y
      - .offset:         48
        .size:           4
        .value_kind:     hidden_block_count_z
      - .offset:         52
        .size:           2
        .value_kind:     hidden_group_size_x
      - .offset:         54
        .size:           2
        .value_kind:     hidden_group_size_y
      - .offset:         56
        .size:           2
        .value_kind:     hidden_group_size_z
      - .offset:         58
        .size:           2
        .value_kind:     hidden_remainder_x
      - .offset:         60
        .size:           2
        .value_kind:     hidden_remainder_y
      - .offset:         62
        .size:           2
        .value_kind:     hidden_remainder_z
      - .offset:         80
        .size:           8
        .value_kind:     hidden_global_offset_x
      - .offset:         88
        .size:           8
        .value_kind:     hidden_global_offset_y
      - .offset:         96
        .size:           8
        .value_kind:     hidden_global_offset_z
      - .offset:         104
        .size:           2
        .value_kind:     hidden_grid_dims
    .group_segment_fixed_size: 0
    .kernarg_segment_align: 8
    .kernarg_segment_size: 296
    .language:       OpenCL C
    .language_version:
      - 2
      - 0
    .max_flat_workgroup_size: 1024
    .name:           _ZN7rocprim17ROCPRIM_400000_NS6detail17trampoline_kernelINS0_14default_configENS1_25transform_config_selectorIN3c104HalfELb1EEEZNS1_14transform_implILb1ES3_S7_PS6_S9_NS0_8identityIS6_EEEE10hipError_tT2_T3_mT4_P12ihipStream_tbEUlT_E_NS1_11comp_targetILNS1_3genE2ELNS1_11target_archE906ELNS1_3gpuE6ELNS1_3repE0EEENS1_30default_config_static_selectorELNS0_4arch9wavefront6targetE1EEEvT1_
    .private_segment_fixed_size: 0
    .sgpr_count:     26
    .sgpr_spill_count: 0
    .symbol:         _ZN7rocprim17ROCPRIM_400000_NS6detail17trampoline_kernelINS0_14default_configENS1_25transform_config_selectorIN3c104HalfELb1EEEZNS1_14transform_implILb1ES3_S7_PS6_S9_NS0_8identityIS6_EEEE10hipError_tT2_T3_mT4_P12ihipStream_tbEUlT_E_NS1_11comp_targetILNS1_3genE2ELNS1_11target_archE906ELNS1_3gpuE6ELNS1_3repE0EEENS1_30default_config_static_selectorELNS0_4arch9wavefront6targetE1EEEvT1_.kd
    .uniform_work_group_size: 1
    .uses_dynamic_stack: false
    .vgpr_count:     11
    .vgpr_spill_count: 0
    .wavefront_size: 64
  - .args:
      - .offset:         0
        .size:           40
        .value_kind:     by_value
    .group_segment_fixed_size: 0
    .kernarg_segment_align: 8
    .kernarg_segment_size: 40
    .language:       OpenCL C
    .language_version:
      - 2
      - 0
    .max_flat_workgroup_size: 1024
    .name:           _ZN7rocprim17ROCPRIM_400000_NS6detail17trampoline_kernelINS0_14default_configENS1_25transform_config_selectorIN3c104HalfELb1EEEZNS1_14transform_implILb1ES3_S7_PS6_S9_NS0_8identityIS6_EEEE10hipError_tT2_T3_mT4_P12ihipStream_tbEUlT_E_NS1_11comp_targetILNS1_3genE9ELNS1_11target_archE1100ELNS1_3gpuE3ELNS1_3repE0EEENS1_30default_config_static_selectorELNS0_4arch9wavefront6targetE1EEEvT1_
    .private_segment_fixed_size: 0
    .sgpr_count:     4
    .sgpr_spill_count: 0
    .symbol:         _ZN7rocprim17ROCPRIM_400000_NS6detail17trampoline_kernelINS0_14default_configENS1_25transform_config_selectorIN3c104HalfELb1EEEZNS1_14transform_implILb1ES3_S7_PS6_S9_NS0_8identityIS6_EEEE10hipError_tT2_T3_mT4_P12ihipStream_tbEUlT_E_NS1_11comp_targetILNS1_3genE9ELNS1_11target_archE1100ELNS1_3gpuE3ELNS1_3repE0EEENS1_30default_config_static_selectorELNS0_4arch9wavefront6targetE1EEEvT1_.kd
    .uniform_work_group_size: 1
    .uses_dynamic_stack: false
    .vgpr_count:     0
    .vgpr_spill_count: 0
    .wavefront_size: 64
  - .args:
      - .offset:         0
        .size:           40
        .value_kind:     by_value
    .group_segment_fixed_size: 0
    .kernarg_segment_align: 8
    .kernarg_segment_size: 40
    .language:       OpenCL C
    .language_version:
      - 2
      - 0
    .max_flat_workgroup_size: 1024
    .name:           _ZN7rocprim17ROCPRIM_400000_NS6detail17trampoline_kernelINS0_14default_configENS1_25transform_config_selectorIN3c104HalfELb1EEEZNS1_14transform_implILb1ES3_S7_PS6_S9_NS0_8identityIS6_EEEE10hipError_tT2_T3_mT4_P12ihipStream_tbEUlT_E_NS1_11comp_targetILNS1_3genE8ELNS1_11target_archE1030ELNS1_3gpuE2ELNS1_3repE0EEENS1_30default_config_static_selectorELNS0_4arch9wavefront6targetE1EEEvT1_
    .private_segment_fixed_size: 0
    .sgpr_count:     4
    .sgpr_spill_count: 0
    .symbol:         _ZN7rocprim17ROCPRIM_400000_NS6detail17trampoline_kernelINS0_14default_configENS1_25transform_config_selectorIN3c104HalfELb1EEEZNS1_14transform_implILb1ES3_S7_PS6_S9_NS0_8identityIS6_EEEE10hipError_tT2_T3_mT4_P12ihipStream_tbEUlT_E_NS1_11comp_targetILNS1_3genE8ELNS1_11target_archE1030ELNS1_3gpuE2ELNS1_3repE0EEENS1_30default_config_static_selectorELNS0_4arch9wavefront6targetE1EEEvT1_.kd
    .uniform_work_group_size: 1
    .uses_dynamic_stack: false
    .vgpr_count:     0
    .vgpr_spill_count: 0
    .wavefront_size: 64
  - .args:
      - .offset:         0
        .size:           72
        .value_kind:     by_value
    .group_segment_fixed_size: 0
    .kernarg_segment_align: 8
    .kernarg_segment_size: 72
    .language:       OpenCL C
    .language_version:
      - 2
      - 0
    .max_flat_workgroup_size: 256
    .name:           _ZN7rocprim17ROCPRIM_400000_NS6detail17trampoline_kernelINS0_14default_configENS1_22reduce_config_selectorIiEEZNS1_11reduce_implILb1ES3_N6thrust23THRUST_200600_302600_NS11hip_rocprim35transform_pair_of_input_iterators_tIiPN3c104HalfESD_NS8_12not_equal_toISC_EEEEPiiNS8_4plusIiEEEE10hipError_tPvRmT1_T2_T3_mT4_P12ihipStream_tbEUlT_E0_NS1_11comp_targetILNS1_3genE0ELNS1_11target_archE4294967295ELNS1_3gpuE0ELNS1_3repE0EEENS1_30default_config_static_selectorELNS0_4arch9wavefront6targetE1EEEvSN_
    .private_segment_fixed_size: 0
    .sgpr_count:     4
    .sgpr_spill_count: 0
    .symbol:         _ZN7rocprim17ROCPRIM_400000_NS6detail17trampoline_kernelINS0_14default_configENS1_22reduce_config_selectorIiEEZNS1_11reduce_implILb1ES3_N6thrust23THRUST_200600_302600_NS11hip_rocprim35transform_pair_of_input_iterators_tIiPN3c104HalfESD_NS8_12not_equal_toISC_EEEEPiiNS8_4plusIiEEEE10hipError_tPvRmT1_T2_T3_mT4_P12ihipStream_tbEUlT_E0_NS1_11comp_targetILNS1_3genE0ELNS1_11target_archE4294967295ELNS1_3gpuE0ELNS1_3repE0EEENS1_30default_config_static_selectorELNS0_4arch9wavefront6targetE1EEEvSN_.kd
    .uniform_work_group_size: 1
    .uses_dynamic_stack: false
    .vgpr_count:     0
    .vgpr_spill_count: 0
    .wavefront_size: 64
  - .args:
      - .offset:         0
        .size:           72
        .value_kind:     by_value
    .group_segment_fixed_size: 0
    .kernarg_segment_align: 8
    .kernarg_segment_size: 72
    .language:       OpenCL C
    .language_version:
      - 2
      - 0
    .max_flat_workgroup_size: 256
    .name:           _ZN7rocprim17ROCPRIM_400000_NS6detail17trampoline_kernelINS0_14default_configENS1_22reduce_config_selectorIiEEZNS1_11reduce_implILb1ES3_N6thrust23THRUST_200600_302600_NS11hip_rocprim35transform_pair_of_input_iterators_tIiPN3c104HalfESD_NS8_12not_equal_toISC_EEEEPiiNS8_4plusIiEEEE10hipError_tPvRmT1_T2_T3_mT4_P12ihipStream_tbEUlT_E0_NS1_11comp_targetILNS1_3genE5ELNS1_11target_archE942ELNS1_3gpuE9ELNS1_3repE0EEENS1_30default_config_static_selectorELNS0_4arch9wavefront6targetE1EEEvSN_
    .private_segment_fixed_size: 0
    .sgpr_count:     4
    .sgpr_spill_count: 0
    .symbol:         _ZN7rocprim17ROCPRIM_400000_NS6detail17trampoline_kernelINS0_14default_configENS1_22reduce_config_selectorIiEEZNS1_11reduce_implILb1ES3_N6thrust23THRUST_200600_302600_NS11hip_rocprim35transform_pair_of_input_iterators_tIiPN3c104HalfESD_NS8_12not_equal_toISC_EEEEPiiNS8_4plusIiEEEE10hipError_tPvRmT1_T2_T3_mT4_P12ihipStream_tbEUlT_E0_NS1_11comp_targetILNS1_3genE5ELNS1_11target_archE942ELNS1_3gpuE9ELNS1_3repE0EEENS1_30default_config_static_selectorELNS0_4arch9wavefront6targetE1EEEvSN_.kd
    .uniform_work_group_size: 1
    .uses_dynamic_stack: false
    .vgpr_count:     0
    .vgpr_spill_count: 0
    .wavefront_size: 64
  - .args:
      - .offset:         0
        .size:           72
        .value_kind:     by_value
    .group_segment_fixed_size: 0
    .kernarg_segment_align: 8
    .kernarg_segment_size: 72
    .language:       OpenCL C
    .language_version:
      - 2
      - 0
    .max_flat_workgroup_size: 128
    .name:           _ZN7rocprim17ROCPRIM_400000_NS6detail17trampoline_kernelINS0_14default_configENS1_22reduce_config_selectorIiEEZNS1_11reduce_implILb1ES3_N6thrust23THRUST_200600_302600_NS11hip_rocprim35transform_pair_of_input_iterators_tIiPN3c104HalfESD_NS8_12not_equal_toISC_EEEEPiiNS8_4plusIiEEEE10hipError_tPvRmT1_T2_T3_mT4_P12ihipStream_tbEUlT_E0_NS1_11comp_targetILNS1_3genE4ELNS1_11target_archE910ELNS1_3gpuE8ELNS1_3repE0EEENS1_30default_config_static_selectorELNS0_4arch9wavefront6targetE1EEEvSN_
    .private_segment_fixed_size: 0
    .sgpr_count:     4
    .sgpr_spill_count: 0
    .symbol:         _ZN7rocprim17ROCPRIM_400000_NS6detail17trampoline_kernelINS0_14default_configENS1_22reduce_config_selectorIiEEZNS1_11reduce_implILb1ES3_N6thrust23THRUST_200600_302600_NS11hip_rocprim35transform_pair_of_input_iterators_tIiPN3c104HalfESD_NS8_12not_equal_toISC_EEEEPiiNS8_4plusIiEEEE10hipError_tPvRmT1_T2_T3_mT4_P12ihipStream_tbEUlT_E0_NS1_11comp_targetILNS1_3genE4ELNS1_11target_archE910ELNS1_3gpuE8ELNS1_3repE0EEENS1_30default_config_static_selectorELNS0_4arch9wavefront6targetE1EEEvSN_.kd
    .uniform_work_group_size: 1
    .uses_dynamic_stack: false
    .vgpr_count:     0
    .vgpr_spill_count: 0
    .wavefront_size: 64
  - .args:
      - .offset:         0
        .size:           72
        .value_kind:     by_value
    .group_segment_fixed_size: 0
    .kernarg_segment_align: 8
    .kernarg_segment_size: 72
    .language:       OpenCL C
    .language_version:
      - 2
      - 0
    .max_flat_workgroup_size: 256
    .name:           _ZN7rocprim17ROCPRIM_400000_NS6detail17trampoline_kernelINS0_14default_configENS1_22reduce_config_selectorIiEEZNS1_11reduce_implILb1ES3_N6thrust23THRUST_200600_302600_NS11hip_rocprim35transform_pair_of_input_iterators_tIiPN3c104HalfESD_NS8_12not_equal_toISC_EEEEPiiNS8_4plusIiEEEE10hipError_tPvRmT1_T2_T3_mT4_P12ihipStream_tbEUlT_E0_NS1_11comp_targetILNS1_3genE3ELNS1_11target_archE908ELNS1_3gpuE7ELNS1_3repE0EEENS1_30default_config_static_selectorELNS0_4arch9wavefront6targetE1EEEvSN_
    .private_segment_fixed_size: 0
    .sgpr_count:     4
    .sgpr_spill_count: 0
    .symbol:         _ZN7rocprim17ROCPRIM_400000_NS6detail17trampoline_kernelINS0_14default_configENS1_22reduce_config_selectorIiEEZNS1_11reduce_implILb1ES3_N6thrust23THRUST_200600_302600_NS11hip_rocprim35transform_pair_of_input_iterators_tIiPN3c104HalfESD_NS8_12not_equal_toISC_EEEEPiiNS8_4plusIiEEEE10hipError_tPvRmT1_T2_T3_mT4_P12ihipStream_tbEUlT_E0_NS1_11comp_targetILNS1_3genE3ELNS1_11target_archE908ELNS1_3gpuE7ELNS1_3repE0EEENS1_30default_config_static_selectorELNS0_4arch9wavefront6targetE1EEEvSN_.kd
    .uniform_work_group_size: 1
    .uses_dynamic_stack: false
    .vgpr_count:     0
    .vgpr_spill_count: 0
    .wavefront_size: 64
  - .args:
      - .offset:         0
        .size:           72
        .value_kind:     by_value
    .group_segment_fixed_size: 32
    .kernarg_segment_align: 8
    .kernarg_segment_size: 72
    .language:       OpenCL C
    .language_version:
      - 2
      - 0
    .max_flat_workgroup_size: 256
    .name:           _ZN7rocprim17ROCPRIM_400000_NS6detail17trampoline_kernelINS0_14default_configENS1_22reduce_config_selectorIiEEZNS1_11reduce_implILb1ES3_N6thrust23THRUST_200600_302600_NS11hip_rocprim35transform_pair_of_input_iterators_tIiPN3c104HalfESD_NS8_12not_equal_toISC_EEEEPiiNS8_4plusIiEEEE10hipError_tPvRmT1_T2_T3_mT4_P12ihipStream_tbEUlT_E0_NS1_11comp_targetILNS1_3genE2ELNS1_11target_archE906ELNS1_3gpuE6ELNS1_3repE0EEENS1_30default_config_static_selectorELNS0_4arch9wavefront6targetE1EEEvSN_
    .private_segment_fixed_size: 0
    .sgpr_count:     28
    .sgpr_spill_count: 0
    .symbol:         _ZN7rocprim17ROCPRIM_400000_NS6detail17trampoline_kernelINS0_14default_configENS1_22reduce_config_selectorIiEEZNS1_11reduce_implILb1ES3_N6thrust23THRUST_200600_302600_NS11hip_rocprim35transform_pair_of_input_iterators_tIiPN3c104HalfESD_NS8_12not_equal_toISC_EEEEPiiNS8_4plusIiEEEE10hipError_tPvRmT1_T2_T3_mT4_P12ihipStream_tbEUlT_E0_NS1_11comp_targetILNS1_3genE2ELNS1_11target_archE906ELNS1_3gpuE6ELNS1_3repE0EEENS1_30default_config_static_selectorELNS0_4arch9wavefront6targetE1EEEvSN_.kd
    .uniform_work_group_size: 1
    .uses_dynamic_stack: false
    .vgpr_count:     13
    .vgpr_spill_count: 0
    .wavefront_size: 64
  - .args:
      - .offset:         0
        .size:           72
        .value_kind:     by_value
    .group_segment_fixed_size: 0
    .kernarg_segment_align: 8
    .kernarg_segment_size: 72
    .language:       OpenCL C
    .language_version:
      - 2
      - 0
    .max_flat_workgroup_size: 256
    .name:           _ZN7rocprim17ROCPRIM_400000_NS6detail17trampoline_kernelINS0_14default_configENS1_22reduce_config_selectorIiEEZNS1_11reduce_implILb1ES3_N6thrust23THRUST_200600_302600_NS11hip_rocprim35transform_pair_of_input_iterators_tIiPN3c104HalfESD_NS8_12not_equal_toISC_EEEEPiiNS8_4plusIiEEEE10hipError_tPvRmT1_T2_T3_mT4_P12ihipStream_tbEUlT_E0_NS1_11comp_targetILNS1_3genE10ELNS1_11target_archE1201ELNS1_3gpuE5ELNS1_3repE0EEENS1_30default_config_static_selectorELNS0_4arch9wavefront6targetE1EEEvSN_
    .private_segment_fixed_size: 0
    .sgpr_count:     4
    .sgpr_spill_count: 0
    .symbol:         _ZN7rocprim17ROCPRIM_400000_NS6detail17trampoline_kernelINS0_14default_configENS1_22reduce_config_selectorIiEEZNS1_11reduce_implILb1ES3_N6thrust23THRUST_200600_302600_NS11hip_rocprim35transform_pair_of_input_iterators_tIiPN3c104HalfESD_NS8_12not_equal_toISC_EEEEPiiNS8_4plusIiEEEE10hipError_tPvRmT1_T2_T3_mT4_P12ihipStream_tbEUlT_E0_NS1_11comp_targetILNS1_3genE10ELNS1_11target_archE1201ELNS1_3gpuE5ELNS1_3repE0EEENS1_30default_config_static_selectorELNS0_4arch9wavefront6targetE1EEEvSN_.kd
    .uniform_work_group_size: 1
    .uses_dynamic_stack: false
    .vgpr_count:     0
    .vgpr_spill_count: 0
    .wavefront_size: 64
  - .args:
      - .offset:         0
        .size:           72
        .value_kind:     by_value
    .group_segment_fixed_size: 0
    .kernarg_segment_align: 8
    .kernarg_segment_size: 72
    .language:       OpenCL C
    .language_version:
      - 2
      - 0
    .max_flat_workgroup_size: 256
    .name:           _ZN7rocprim17ROCPRIM_400000_NS6detail17trampoline_kernelINS0_14default_configENS1_22reduce_config_selectorIiEEZNS1_11reduce_implILb1ES3_N6thrust23THRUST_200600_302600_NS11hip_rocprim35transform_pair_of_input_iterators_tIiPN3c104HalfESD_NS8_12not_equal_toISC_EEEEPiiNS8_4plusIiEEEE10hipError_tPvRmT1_T2_T3_mT4_P12ihipStream_tbEUlT_E0_NS1_11comp_targetILNS1_3genE10ELNS1_11target_archE1200ELNS1_3gpuE4ELNS1_3repE0EEENS1_30default_config_static_selectorELNS0_4arch9wavefront6targetE1EEEvSN_
    .private_segment_fixed_size: 0
    .sgpr_count:     4
    .sgpr_spill_count: 0
    .symbol:         _ZN7rocprim17ROCPRIM_400000_NS6detail17trampoline_kernelINS0_14default_configENS1_22reduce_config_selectorIiEEZNS1_11reduce_implILb1ES3_N6thrust23THRUST_200600_302600_NS11hip_rocprim35transform_pair_of_input_iterators_tIiPN3c104HalfESD_NS8_12not_equal_toISC_EEEEPiiNS8_4plusIiEEEE10hipError_tPvRmT1_T2_T3_mT4_P12ihipStream_tbEUlT_E0_NS1_11comp_targetILNS1_3genE10ELNS1_11target_archE1200ELNS1_3gpuE4ELNS1_3repE0EEENS1_30default_config_static_selectorELNS0_4arch9wavefront6targetE1EEEvSN_.kd
    .uniform_work_group_size: 1
    .uses_dynamic_stack: false
    .vgpr_count:     0
    .vgpr_spill_count: 0
    .wavefront_size: 64
  - .args:
      - .offset:         0
        .size:           72
        .value_kind:     by_value
    .group_segment_fixed_size: 0
    .kernarg_segment_align: 8
    .kernarg_segment_size: 72
    .language:       OpenCL C
    .language_version:
      - 2
      - 0
    .max_flat_workgroup_size: 256
    .name:           _ZN7rocprim17ROCPRIM_400000_NS6detail17trampoline_kernelINS0_14default_configENS1_22reduce_config_selectorIiEEZNS1_11reduce_implILb1ES3_N6thrust23THRUST_200600_302600_NS11hip_rocprim35transform_pair_of_input_iterators_tIiPN3c104HalfESD_NS8_12not_equal_toISC_EEEEPiiNS8_4plusIiEEEE10hipError_tPvRmT1_T2_T3_mT4_P12ihipStream_tbEUlT_E0_NS1_11comp_targetILNS1_3genE9ELNS1_11target_archE1100ELNS1_3gpuE3ELNS1_3repE0EEENS1_30default_config_static_selectorELNS0_4arch9wavefront6targetE1EEEvSN_
    .private_segment_fixed_size: 0
    .sgpr_count:     4
    .sgpr_spill_count: 0
    .symbol:         _ZN7rocprim17ROCPRIM_400000_NS6detail17trampoline_kernelINS0_14default_configENS1_22reduce_config_selectorIiEEZNS1_11reduce_implILb1ES3_N6thrust23THRUST_200600_302600_NS11hip_rocprim35transform_pair_of_input_iterators_tIiPN3c104HalfESD_NS8_12not_equal_toISC_EEEEPiiNS8_4plusIiEEEE10hipError_tPvRmT1_T2_T3_mT4_P12ihipStream_tbEUlT_E0_NS1_11comp_targetILNS1_3genE9ELNS1_11target_archE1100ELNS1_3gpuE3ELNS1_3repE0EEENS1_30default_config_static_selectorELNS0_4arch9wavefront6targetE1EEEvSN_.kd
    .uniform_work_group_size: 1
    .uses_dynamic_stack: false
    .vgpr_count:     0
    .vgpr_spill_count: 0
    .wavefront_size: 64
  - .args:
      - .offset:         0
        .size:           72
        .value_kind:     by_value
    .group_segment_fixed_size: 0
    .kernarg_segment_align: 8
    .kernarg_segment_size: 72
    .language:       OpenCL C
    .language_version:
      - 2
      - 0
    .max_flat_workgroup_size: 256
    .name:           _ZN7rocprim17ROCPRIM_400000_NS6detail17trampoline_kernelINS0_14default_configENS1_22reduce_config_selectorIiEEZNS1_11reduce_implILb1ES3_N6thrust23THRUST_200600_302600_NS11hip_rocprim35transform_pair_of_input_iterators_tIiPN3c104HalfESD_NS8_12not_equal_toISC_EEEEPiiNS8_4plusIiEEEE10hipError_tPvRmT1_T2_T3_mT4_P12ihipStream_tbEUlT_E0_NS1_11comp_targetILNS1_3genE8ELNS1_11target_archE1030ELNS1_3gpuE2ELNS1_3repE0EEENS1_30default_config_static_selectorELNS0_4arch9wavefront6targetE1EEEvSN_
    .private_segment_fixed_size: 0
    .sgpr_count:     4
    .sgpr_spill_count: 0
    .symbol:         _ZN7rocprim17ROCPRIM_400000_NS6detail17trampoline_kernelINS0_14default_configENS1_22reduce_config_selectorIiEEZNS1_11reduce_implILb1ES3_N6thrust23THRUST_200600_302600_NS11hip_rocprim35transform_pair_of_input_iterators_tIiPN3c104HalfESD_NS8_12not_equal_toISC_EEEEPiiNS8_4plusIiEEEE10hipError_tPvRmT1_T2_T3_mT4_P12ihipStream_tbEUlT_E0_NS1_11comp_targetILNS1_3genE8ELNS1_11target_archE1030ELNS1_3gpuE2ELNS1_3repE0EEENS1_30default_config_static_selectorELNS0_4arch9wavefront6targetE1EEEvSN_.kd
    .uniform_work_group_size: 1
    .uses_dynamic_stack: false
    .vgpr_count:     0
    .vgpr_spill_count: 0
    .wavefront_size: 64
  - .args:
      - .offset:         0
        .size:           56
        .value_kind:     by_value
    .group_segment_fixed_size: 0
    .kernarg_segment_align: 8
    .kernarg_segment_size: 56
    .language:       OpenCL C
    .language_version:
      - 2
      - 0
    .max_flat_workgroup_size: 256
    .name:           _ZN7rocprim17ROCPRIM_400000_NS6detail17trampoline_kernelINS0_14default_configENS1_22reduce_config_selectorIiEEZNS1_11reduce_implILb1ES3_N6thrust23THRUST_200600_302600_NS11hip_rocprim35transform_pair_of_input_iterators_tIiPN3c104HalfESD_NS8_12not_equal_toISC_EEEEPiiNS8_4plusIiEEEE10hipError_tPvRmT1_T2_T3_mT4_P12ihipStream_tbEUlT_E1_NS1_11comp_targetILNS1_3genE0ELNS1_11target_archE4294967295ELNS1_3gpuE0ELNS1_3repE0EEENS1_30default_config_static_selectorELNS0_4arch9wavefront6targetE1EEEvSN_
    .private_segment_fixed_size: 0
    .sgpr_count:     4
    .sgpr_spill_count: 0
    .symbol:         _ZN7rocprim17ROCPRIM_400000_NS6detail17trampoline_kernelINS0_14default_configENS1_22reduce_config_selectorIiEEZNS1_11reduce_implILb1ES3_N6thrust23THRUST_200600_302600_NS11hip_rocprim35transform_pair_of_input_iterators_tIiPN3c104HalfESD_NS8_12not_equal_toISC_EEEEPiiNS8_4plusIiEEEE10hipError_tPvRmT1_T2_T3_mT4_P12ihipStream_tbEUlT_E1_NS1_11comp_targetILNS1_3genE0ELNS1_11target_archE4294967295ELNS1_3gpuE0ELNS1_3repE0EEENS1_30default_config_static_selectorELNS0_4arch9wavefront6targetE1EEEvSN_.kd
    .uniform_work_group_size: 1
    .uses_dynamic_stack: false
    .vgpr_count:     0
    .vgpr_spill_count: 0
    .wavefront_size: 64
  - .args:
      - .offset:         0
        .size:           56
        .value_kind:     by_value
    .group_segment_fixed_size: 0
    .kernarg_segment_align: 8
    .kernarg_segment_size: 56
    .language:       OpenCL C
    .language_version:
      - 2
      - 0
    .max_flat_workgroup_size: 256
    .name:           _ZN7rocprim17ROCPRIM_400000_NS6detail17trampoline_kernelINS0_14default_configENS1_22reduce_config_selectorIiEEZNS1_11reduce_implILb1ES3_N6thrust23THRUST_200600_302600_NS11hip_rocprim35transform_pair_of_input_iterators_tIiPN3c104HalfESD_NS8_12not_equal_toISC_EEEEPiiNS8_4plusIiEEEE10hipError_tPvRmT1_T2_T3_mT4_P12ihipStream_tbEUlT_E1_NS1_11comp_targetILNS1_3genE5ELNS1_11target_archE942ELNS1_3gpuE9ELNS1_3repE0EEENS1_30default_config_static_selectorELNS0_4arch9wavefront6targetE1EEEvSN_
    .private_segment_fixed_size: 0
    .sgpr_count:     4
    .sgpr_spill_count: 0
    .symbol:         _ZN7rocprim17ROCPRIM_400000_NS6detail17trampoline_kernelINS0_14default_configENS1_22reduce_config_selectorIiEEZNS1_11reduce_implILb1ES3_N6thrust23THRUST_200600_302600_NS11hip_rocprim35transform_pair_of_input_iterators_tIiPN3c104HalfESD_NS8_12not_equal_toISC_EEEEPiiNS8_4plusIiEEEE10hipError_tPvRmT1_T2_T3_mT4_P12ihipStream_tbEUlT_E1_NS1_11comp_targetILNS1_3genE5ELNS1_11target_archE942ELNS1_3gpuE9ELNS1_3repE0EEENS1_30default_config_static_selectorELNS0_4arch9wavefront6targetE1EEEvSN_.kd
    .uniform_work_group_size: 1
    .uses_dynamic_stack: false
    .vgpr_count:     0
    .vgpr_spill_count: 0
    .wavefront_size: 64
  - .args:
      - .offset:         0
        .size:           56
        .value_kind:     by_value
    .group_segment_fixed_size: 0
    .kernarg_segment_align: 8
    .kernarg_segment_size: 56
    .language:       OpenCL C
    .language_version:
      - 2
      - 0
    .max_flat_workgroup_size: 128
    .name:           _ZN7rocprim17ROCPRIM_400000_NS6detail17trampoline_kernelINS0_14default_configENS1_22reduce_config_selectorIiEEZNS1_11reduce_implILb1ES3_N6thrust23THRUST_200600_302600_NS11hip_rocprim35transform_pair_of_input_iterators_tIiPN3c104HalfESD_NS8_12not_equal_toISC_EEEEPiiNS8_4plusIiEEEE10hipError_tPvRmT1_T2_T3_mT4_P12ihipStream_tbEUlT_E1_NS1_11comp_targetILNS1_3genE4ELNS1_11target_archE910ELNS1_3gpuE8ELNS1_3repE0EEENS1_30default_config_static_selectorELNS0_4arch9wavefront6targetE1EEEvSN_
    .private_segment_fixed_size: 0
    .sgpr_count:     4
    .sgpr_spill_count: 0
    .symbol:         _ZN7rocprim17ROCPRIM_400000_NS6detail17trampoline_kernelINS0_14default_configENS1_22reduce_config_selectorIiEEZNS1_11reduce_implILb1ES3_N6thrust23THRUST_200600_302600_NS11hip_rocprim35transform_pair_of_input_iterators_tIiPN3c104HalfESD_NS8_12not_equal_toISC_EEEEPiiNS8_4plusIiEEEE10hipError_tPvRmT1_T2_T3_mT4_P12ihipStream_tbEUlT_E1_NS1_11comp_targetILNS1_3genE4ELNS1_11target_archE910ELNS1_3gpuE8ELNS1_3repE0EEENS1_30default_config_static_selectorELNS0_4arch9wavefront6targetE1EEEvSN_.kd
    .uniform_work_group_size: 1
    .uses_dynamic_stack: false
    .vgpr_count:     0
    .vgpr_spill_count: 0
    .wavefront_size: 64
  - .args:
      - .offset:         0
        .size:           56
        .value_kind:     by_value
    .group_segment_fixed_size: 0
    .kernarg_segment_align: 8
    .kernarg_segment_size: 56
    .language:       OpenCL C
    .language_version:
      - 2
      - 0
    .max_flat_workgroup_size: 256
    .name:           _ZN7rocprim17ROCPRIM_400000_NS6detail17trampoline_kernelINS0_14default_configENS1_22reduce_config_selectorIiEEZNS1_11reduce_implILb1ES3_N6thrust23THRUST_200600_302600_NS11hip_rocprim35transform_pair_of_input_iterators_tIiPN3c104HalfESD_NS8_12not_equal_toISC_EEEEPiiNS8_4plusIiEEEE10hipError_tPvRmT1_T2_T3_mT4_P12ihipStream_tbEUlT_E1_NS1_11comp_targetILNS1_3genE3ELNS1_11target_archE908ELNS1_3gpuE7ELNS1_3repE0EEENS1_30default_config_static_selectorELNS0_4arch9wavefront6targetE1EEEvSN_
    .private_segment_fixed_size: 0
    .sgpr_count:     4
    .sgpr_spill_count: 0
    .symbol:         _ZN7rocprim17ROCPRIM_400000_NS6detail17trampoline_kernelINS0_14default_configENS1_22reduce_config_selectorIiEEZNS1_11reduce_implILb1ES3_N6thrust23THRUST_200600_302600_NS11hip_rocprim35transform_pair_of_input_iterators_tIiPN3c104HalfESD_NS8_12not_equal_toISC_EEEEPiiNS8_4plusIiEEEE10hipError_tPvRmT1_T2_T3_mT4_P12ihipStream_tbEUlT_E1_NS1_11comp_targetILNS1_3genE3ELNS1_11target_archE908ELNS1_3gpuE7ELNS1_3repE0EEENS1_30default_config_static_selectorELNS0_4arch9wavefront6targetE1EEEvSN_.kd
    .uniform_work_group_size: 1
    .uses_dynamic_stack: false
    .vgpr_count:     0
    .vgpr_spill_count: 0
    .wavefront_size: 64
  - .args:
      - .offset:         0
        .size:           56
        .value_kind:     by_value
    .group_segment_fixed_size: 112
    .kernarg_segment_align: 8
    .kernarg_segment_size: 56
    .language:       OpenCL C
    .language_version:
      - 2
      - 0
    .max_flat_workgroup_size: 256
    .name:           _ZN7rocprim17ROCPRIM_400000_NS6detail17trampoline_kernelINS0_14default_configENS1_22reduce_config_selectorIiEEZNS1_11reduce_implILb1ES3_N6thrust23THRUST_200600_302600_NS11hip_rocprim35transform_pair_of_input_iterators_tIiPN3c104HalfESD_NS8_12not_equal_toISC_EEEEPiiNS8_4plusIiEEEE10hipError_tPvRmT1_T2_T3_mT4_P12ihipStream_tbEUlT_E1_NS1_11comp_targetILNS1_3genE2ELNS1_11target_archE906ELNS1_3gpuE6ELNS1_3repE0EEENS1_30default_config_static_selectorELNS0_4arch9wavefront6targetE1EEEvSN_
    .private_segment_fixed_size: 0
    .sgpr_count:     56
    .sgpr_spill_count: 0
    .symbol:         _ZN7rocprim17ROCPRIM_400000_NS6detail17trampoline_kernelINS0_14default_configENS1_22reduce_config_selectorIiEEZNS1_11reduce_implILb1ES3_N6thrust23THRUST_200600_302600_NS11hip_rocprim35transform_pair_of_input_iterators_tIiPN3c104HalfESD_NS8_12not_equal_toISC_EEEEPiiNS8_4plusIiEEEE10hipError_tPvRmT1_T2_T3_mT4_P12ihipStream_tbEUlT_E1_NS1_11comp_targetILNS1_3genE2ELNS1_11target_archE906ELNS1_3gpuE6ELNS1_3repE0EEENS1_30default_config_static_selectorELNS0_4arch9wavefront6targetE1EEEvSN_.kd
    .uniform_work_group_size: 1
    .uses_dynamic_stack: false
    .vgpr_count:     35
    .vgpr_spill_count: 0
    .wavefront_size: 64
  - .args:
      - .offset:         0
        .size:           56
        .value_kind:     by_value
    .group_segment_fixed_size: 0
    .kernarg_segment_align: 8
    .kernarg_segment_size: 56
    .language:       OpenCL C
    .language_version:
      - 2
      - 0
    .max_flat_workgroup_size: 256
    .name:           _ZN7rocprim17ROCPRIM_400000_NS6detail17trampoline_kernelINS0_14default_configENS1_22reduce_config_selectorIiEEZNS1_11reduce_implILb1ES3_N6thrust23THRUST_200600_302600_NS11hip_rocprim35transform_pair_of_input_iterators_tIiPN3c104HalfESD_NS8_12not_equal_toISC_EEEEPiiNS8_4plusIiEEEE10hipError_tPvRmT1_T2_T3_mT4_P12ihipStream_tbEUlT_E1_NS1_11comp_targetILNS1_3genE10ELNS1_11target_archE1201ELNS1_3gpuE5ELNS1_3repE0EEENS1_30default_config_static_selectorELNS0_4arch9wavefront6targetE1EEEvSN_
    .private_segment_fixed_size: 0
    .sgpr_count:     4
    .sgpr_spill_count: 0
    .symbol:         _ZN7rocprim17ROCPRIM_400000_NS6detail17trampoline_kernelINS0_14default_configENS1_22reduce_config_selectorIiEEZNS1_11reduce_implILb1ES3_N6thrust23THRUST_200600_302600_NS11hip_rocprim35transform_pair_of_input_iterators_tIiPN3c104HalfESD_NS8_12not_equal_toISC_EEEEPiiNS8_4plusIiEEEE10hipError_tPvRmT1_T2_T3_mT4_P12ihipStream_tbEUlT_E1_NS1_11comp_targetILNS1_3genE10ELNS1_11target_archE1201ELNS1_3gpuE5ELNS1_3repE0EEENS1_30default_config_static_selectorELNS0_4arch9wavefront6targetE1EEEvSN_.kd
    .uniform_work_group_size: 1
    .uses_dynamic_stack: false
    .vgpr_count:     0
    .vgpr_spill_count: 0
    .wavefront_size: 64
  - .args:
      - .offset:         0
        .size:           56
        .value_kind:     by_value
    .group_segment_fixed_size: 0
    .kernarg_segment_align: 8
    .kernarg_segment_size: 56
    .language:       OpenCL C
    .language_version:
      - 2
      - 0
    .max_flat_workgroup_size: 256
    .name:           _ZN7rocprim17ROCPRIM_400000_NS6detail17trampoline_kernelINS0_14default_configENS1_22reduce_config_selectorIiEEZNS1_11reduce_implILb1ES3_N6thrust23THRUST_200600_302600_NS11hip_rocprim35transform_pair_of_input_iterators_tIiPN3c104HalfESD_NS8_12not_equal_toISC_EEEEPiiNS8_4plusIiEEEE10hipError_tPvRmT1_T2_T3_mT4_P12ihipStream_tbEUlT_E1_NS1_11comp_targetILNS1_3genE10ELNS1_11target_archE1200ELNS1_3gpuE4ELNS1_3repE0EEENS1_30default_config_static_selectorELNS0_4arch9wavefront6targetE1EEEvSN_
    .private_segment_fixed_size: 0
    .sgpr_count:     4
    .sgpr_spill_count: 0
    .symbol:         _ZN7rocprim17ROCPRIM_400000_NS6detail17trampoline_kernelINS0_14default_configENS1_22reduce_config_selectorIiEEZNS1_11reduce_implILb1ES3_N6thrust23THRUST_200600_302600_NS11hip_rocprim35transform_pair_of_input_iterators_tIiPN3c104HalfESD_NS8_12not_equal_toISC_EEEEPiiNS8_4plusIiEEEE10hipError_tPvRmT1_T2_T3_mT4_P12ihipStream_tbEUlT_E1_NS1_11comp_targetILNS1_3genE10ELNS1_11target_archE1200ELNS1_3gpuE4ELNS1_3repE0EEENS1_30default_config_static_selectorELNS0_4arch9wavefront6targetE1EEEvSN_.kd
    .uniform_work_group_size: 1
    .uses_dynamic_stack: false
    .vgpr_count:     0
    .vgpr_spill_count: 0
    .wavefront_size: 64
  - .args:
      - .offset:         0
        .size:           56
        .value_kind:     by_value
    .group_segment_fixed_size: 0
    .kernarg_segment_align: 8
    .kernarg_segment_size: 56
    .language:       OpenCL C
    .language_version:
      - 2
      - 0
    .max_flat_workgroup_size: 256
    .name:           _ZN7rocprim17ROCPRIM_400000_NS6detail17trampoline_kernelINS0_14default_configENS1_22reduce_config_selectorIiEEZNS1_11reduce_implILb1ES3_N6thrust23THRUST_200600_302600_NS11hip_rocprim35transform_pair_of_input_iterators_tIiPN3c104HalfESD_NS8_12not_equal_toISC_EEEEPiiNS8_4plusIiEEEE10hipError_tPvRmT1_T2_T3_mT4_P12ihipStream_tbEUlT_E1_NS1_11comp_targetILNS1_3genE9ELNS1_11target_archE1100ELNS1_3gpuE3ELNS1_3repE0EEENS1_30default_config_static_selectorELNS0_4arch9wavefront6targetE1EEEvSN_
    .private_segment_fixed_size: 0
    .sgpr_count:     4
    .sgpr_spill_count: 0
    .symbol:         _ZN7rocprim17ROCPRIM_400000_NS6detail17trampoline_kernelINS0_14default_configENS1_22reduce_config_selectorIiEEZNS1_11reduce_implILb1ES3_N6thrust23THRUST_200600_302600_NS11hip_rocprim35transform_pair_of_input_iterators_tIiPN3c104HalfESD_NS8_12not_equal_toISC_EEEEPiiNS8_4plusIiEEEE10hipError_tPvRmT1_T2_T3_mT4_P12ihipStream_tbEUlT_E1_NS1_11comp_targetILNS1_3genE9ELNS1_11target_archE1100ELNS1_3gpuE3ELNS1_3repE0EEENS1_30default_config_static_selectorELNS0_4arch9wavefront6targetE1EEEvSN_.kd
    .uniform_work_group_size: 1
    .uses_dynamic_stack: false
    .vgpr_count:     0
    .vgpr_spill_count: 0
    .wavefront_size: 64
  - .args:
      - .offset:         0
        .size:           56
        .value_kind:     by_value
    .group_segment_fixed_size: 0
    .kernarg_segment_align: 8
    .kernarg_segment_size: 56
    .language:       OpenCL C
    .language_version:
      - 2
      - 0
    .max_flat_workgroup_size: 256
    .name:           _ZN7rocprim17ROCPRIM_400000_NS6detail17trampoline_kernelINS0_14default_configENS1_22reduce_config_selectorIiEEZNS1_11reduce_implILb1ES3_N6thrust23THRUST_200600_302600_NS11hip_rocprim35transform_pair_of_input_iterators_tIiPN3c104HalfESD_NS8_12not_equal_toISC_EEEEPiiNS8_4plusIiEEEE10hipError_tPvRmT1_T2_T3_mT4_P12ihipStream_tbEUlT_E1_NS1_11comp_targetILNS1_3genE8ELNS1_11target_archE1030ELNS1_3gpuE2ELNS1_3repE0EEENS1_30default_config_static_selectorELNS0_4arch9wavefront6targetE1EEEvSN_
    .private_segment_fixed_size: 0
    .sgpr_count:     4
    .sgpr_spill_count: 0
    .symbol:         _ZN7rocprim17ROCPRIM_400000_NS6detail17trampoline_kernelINS0_14default_configENS1_22reduce_config_selectorIiEEZNS1_11reduce_implILb1ES3_N6thrust23THRUST_200600_302600_NS11hip_rocprim35transform_pair_of_input_iterators_tIiPN3c104HalfESD_NS8_12not_equal_toISC_EEEEPiiNS8_4plusIiEEEE10hipError_tPvRmT1_T2_T3_mT4_P12ihipStream_tbEUlT_E1_NS1_11comp_targetILNS1_3genE8ELNS1_11target_archE1030ELNS1_3gpuE2ELNS1_3repE0EEENS1_30default_config_static_selectorELNS0_4arch9wavefront6targetE1EEEvSN_.kd
    .uniform_work_group_size: 1
    .uses_dynamic_stack: false
    .vgpr_count:     0
    .vgpr_spill_count: 0
    .wavefront_size: 64
  - .args:
      - .offset:         0
        .size:           144
        .value_kind:     by_value
    .group_segment_fixed_size: 0
    .kernarg_segment_align: 8
    .kernarg_segment_size: 144
    .language:       OpenCL C
    .language_version:
      - 2
      - 0
    .max_flat_workgroup_size: 256
    .name:           _ZN7rocprim17ROCPRIM_400000_NS6detail17trampoline_kernelINS0_14default_configENS1_29reduce_by_key_config_selectorIN3c104HalfElN6thrust23THRUST_200600_302600_NS4plusIlEEEEZZNS1_33reduce_by_key_impl_wrapped_configILNS1_25lookback_scan_determinismE0ES3_SB_PS6_NS8_17constant_iteratorIiNS8_11use_defaultESG_EENS8_10device_ptrIS6_EENSI_IlEEPmSA_NS8_8equal_toIS6_EEEE10hipError_tPvRmT2_T3_mT4_T5_T6_T7_T8_P12ihipStream_tbENKUlT_T0_E_clISt17integral_constantIbLb0EES15_EEDaS10_S11_EUlS10_E_NS1_11comp_targetILNS1_3genE0ELNS1_11target_archE4294967295ELNS1_3gpuE0ELNS1_3repE0EEENS1_30default_config_static_selectorELNS0_4arch9wavefront6targetE1EEEvT1_
    .private_segment_fixed_size: 0
    .sgpr_count:     4
    .sgpr_spill_count: 0
    .symbol:         _ZN7rocprim17ROCPRIM_400000_NS6detail17trampoline_kernelINS0_14default_configENS1_29reduce_by_key_config_selectorIN3c104HalfElN6thrust23THRUST_200600_302600_NS4plusIlEEEEZZNS1_33reduce_by_key_impl_wrapped_configILNS1_25lookback_scan_determinismE0ES3_SB_PS6_NS8_17constant_iteratorIiNS8_11use_defaultESG_EENS8_10device_ptrIS6_EENSI_IlEEPmSA_NS8_8equal_toIS6_EEEE10hipError_tPvRmT2_T3_mT4_T5_T6_T7_T8_P12ihipStream_tbENKUlT_T0_E_clISt17integral_constantIbLb0EES15_EEDaS10_S11_EUlS10_E_NS1_11comp_targetILNS1_3genE0ELNS1_11target_archE4294967295ELNS1_3gpuE0ELNS1_3repE0EEENS1_30default_config_static_selectorELNS0_4arch9wavefront6targetE1EEEvT1_.kd
    .uniform_work_group_size: 1
    .uses_dynamic_stack: false
    .vgpr_count:     0
    .vgpr_spill_count: 0
    .wavefront_size: 64
  - .args:
      - .offset:         0
        .size:           144
        .value_kind:     by_value
    .group_segment_fixed_size: 0
    .kernarg_segment_align: 8
    .kernarg_segment_size: 144
    .language:       OpenCL C
    .language_version:
      - 2
      - 0
    .max_flat_workgroup_size: 256
    .name:           _ZN7rocprim17ROCPRIM_400000_NS6detail17trampoline_kernelINS0_14default_configENS1_29reduce_by_key_config_selectorIN3c104HalfElN6thrust23THRUST_200600_302600_NS4plusIlEEEEZZNS1_33reduce_by_key_impl_wrapped_configILNS1_25lookback_scan_determinismE0ES3_SB_PS6_NS8_17constant_iteratorIiNS8_11use_defaultESG_EENS8_10device_ptrIS6_EENSI_IlEEPmSA_NS8_8equal_toIS6_EEEE10hipError_tPvRmT2_T3_mT4_T5_T6_T7_T8_P12ihipStream_tbENKUlT_T0_E_clISt17integral_constantIbLb0EES15_EEDaS10_S11_EUlS10_E_NS1_11comp_targetILNS1_3genE5ELNS1_11target_archE942ELNS1_3gpuE9ELNS1_3repE0EEENS1_30default_config_static_selectorELNS0_4arch9wavefront6targetE1EEEvT1_
    .private_segment_fixed_size: 0
    .sgpr_count:     4
    .sgpr_spill_count: 0
    .symbol:         _ZN7rocprim17ROCPRIM_400000_NS6detail17trampoline_kernelINS0_14default_configENS1_29reduce_by_key_config_selectorIN3c104HalfElN6thrust23THRUST_200600_302600_NS4plusIlEEEEZZNS1_33reduce_by_key_impl_wrapped_configILNS1_25lookback_scan_determinismE0ES3_SB_PS6_NS8_17constant_iteratorIiNS8_11use_defaultESG_EENS8_10device_ptrIS6_EENSI_IlEEPmSA_NS8_8equal_toIS6_EEEE10hipError_tPvRmT2_T3_mT4_T5_T6_T7_T8_P12ihipStream_tbENKUlT_T0_E_clISt17integral_constantIbLb0EES15_EEDaS10_S11_EUlS10_E_NS1_11comp_targetILNS1_3genE5ELNS1_11target_archE942ELNS1_3gpuE9ELNS1_3repE0EEENS1_30default_config_static_selectorELNS0_4arch9wavefront6targetE1EEEvT1_.kd
    .uniform_work_group_size: 1
    .uses_dynamic_stack: false
    .vgpr_count:     0
    .vgpr_spill_count: 0
    .wavefront_size: 64
  - .args:
      - .offset:         0
        .size:           144
        .value_kind:     by_value
    .group_segment_fixed_size: 0
    .kernarg_segment_align: 8
    .kernarg_segment_size: 144
    .language:       OpenCL C
    .language_version:
      - 2
      - 0
    .max_flat_workgroup_size: 256
    .name:           _ZN7rocprim17ROCPRIM_400000_NS6detail17trampoline_kernelINS0_14default_configENS1_29reduce_by_key_config_selectorIN3c104HalfElN6thrust23THRUST_200600_302600_NS4plusIlEEEEZZNS1_33reduce_by_key_impl_wrapped_configILNS1_25lookback_scan_determinismE0ES3_SB_PS6_NS8_17constant_iteratorIiNS8_11use_defaultESG_EENS8_10device_ptrIS6_EENSI_IlEEPmSA_NS8_8equal_toIS6_EEEE10hipError_tPvRmT2_T3_mT4_T5_T6_T7_T8_P12ihipStream_tbENKUlT_T0_E_clISt17integral_constantIbLb0EES15_EEDaS10_S11_EUlS10_E_NS1_11comp_targetILNS1_3genE4ELNS1_11target_archE910ELNS1_3gpuE8ELNS1_3repE0EEENS1_30default_config_static_selectorELNS0_4arch9wavefront6targetE1EEEvT1_
    .private_segment_fixed_size: 0
    .sgpr_count:     4
    .sgpr_spill_count: 0
    .symbol:         _ZN7rocprim17ROCPRIM_400000_NS6detail17trampoline_kernelINS0_14default_configENS1_29reduce_by_key_config_selectorIN3c104HalfElN6thrust23THRUST_200600_302600_NS4plusIlEEEEZZNS1_33reduce_by_key_impl_wrapped_configILNS1_25lookback_scan_determinismE0ES3_SB_PS6_NS8_17constant_iteratorIiNS8_11use_defaultESG_EENS8_10device_ptrIS6_EENSI_IlEEPmSA_NS8_8equal_toIS6_EEEE10hipError_tPvRmT2_T3_mT4_T5_T6_T7_T8_P12ihipStream_tbENKUlT_T0_E_clISt17integral_constantIbLb0EES15_EEDaS10_S11_EUlS10_E_NS1_11comp_targetILNS1_3genE4ELNS1_11target_archE910ELNS1_3gpuE8ELNS1_3repE0EEENS1_30default_config_static_selectorELNS0_4arch9wavefront6targetE1EEEvT1_.kd
    .uniform_work_group_size: 1
    .uses_dynamic_stack: false
    .vgpr_count:     0
    .vgpr_spill_count: 0
    .wavefront_size: 64
  - .args:
      - .offset:         0
        .size:           144
        .value_kind:     by_value
    .group_segment_fixed_size: 0
    .kernarg_segment_align: 8
    .kernarg_segment_size: 144
    .language:       OpenCL C
    .language_version:
      - 2
      - 0
    .max_flat_workgroup_size: 256
    .name:           _ZN7rocprim17ROCPRIM_400000_NS6detail17trampoline_kernelINS0_14default_configENS1_29reduce_by_key_config_selectorIN3c104HalfElN6thrust23THRUST_200600_302600_NS4plusIlEEEEZZNS1_33reduce_by_key_impl_wrapped_configILNS1_25lookback_scan_determinismE0ES3_SB_PS6_NS8_17constant_iteratorIiNS8_11use_defaultESG_EENS8_10device_ptrIS6_EENSI_IlEEPmSA_NS8_8equal_toIS6_EEEE10hipError_tPvRmT2_T3_mT4_T5_T6_T7_T8_P12ihipStream_tbENKUlT_T0_E_clISt17integral_constantIbLb0EES15_EEDaS10_S11_EUlS10_E_NS1_11comp_targetILNS1_3genE3ELNS1_11target_archE908ELNS1_3gpuE7ELNS1_3repE0EEENS1_30default_config_static_selectorELNS0_4arch9wavefront6targetE1EEEvT1_
    .private_segment_fixed_size: 0
    .sgpr_count:     4
    .sgpr_spill_count: 0
    .symbol:         _ZN7rocprim17ROCPRIM_400000_NS6detail17trampoline_kernelINS0_14default_configENS1_29reduce_by_key_config_selectorIN3c104HalfElN6thrust23THRUST_200600_302600_NS4plusIlEEEEZZNS1_33reduce_by_key_impl_wrapped_configILNS1_25lookback_scan_determinismE0ES3_SB_PS6_NS8_17constant_iteratorIiNS8_11use_defaultESG_EENS8_10device_ptrIS6_EENSI_IlEEPmSA_NS8_8equal_toIS6_EEEE10hipError_tPvRmT2_T3_mT4_T5_T6_T7_T8_P12ihipStream_tbENKUlT_T0_E_clISt17integral_constantIbLb0EES15_EEDaS10_S11_EUlS10_E_NS1_11comp_targetILNS1_3genE3ELNS1_11target_archE908ELNS1_3gpuE7ELNS1_3repE0EEENS1_30default_config_static_selectorELNS0_4arch9wavefront6targetE1EEEvT1_.kd
    .uniform_work_group_size: 1
    .uses_dynamic_stack: false
    .vgpr_count:     0
    .vgpr_spill_count: 0
    .wavefront_size: 64
  - .args:
      - .offset:         0
        .size:           144
        .value_kind:     by_value
    .group_segment_fixed_size: 30720
    .kernarg_segment_align: 8
    .kernarg_segment_size: 144
    .language:       OpenCL C
    .language_version:
      - 2
      - 0
    .max_flat_workgroup_size: 256
    .name:           _ZN7rocprim17ROCPRIM_400000_NS6detail17trampoline_kernelINS0_14default_configENS1_29reduce_by_key_config_selectorIN3c104HalfElN6thrust23THRUST_200600_302600_NS4plusIlEEEEZZNS1_33reduce_by_key_impl_wrapped_configILNS1_25lookback_scan_determinismE0ES3_SB_PS6_NS8_17constant_iteratorIiNS8_11use_defaultESG_EENS8_10device_ptrIS6_EENSI_IlEEPmSA_NS8_8equal_toIS6_EEEE10hipError_tPvRmT2_T3_mT4_T5_T6_T7_T8_P12ihipStream_tbENKUlT_T0_E_clISt17integral_constantIbLb0EES15_EEDaS10_S11_EUlS10_E_NS1_11comp_targetILNS1_3genE2ELNS1_11target_archE906ELNS1_3gpuE6ELNS1_3repE0EEENS1_30default_config_static_selectorELNS0_4arch9wavefront6targetE1EEEvT1_
    .private_segment_fixed_size: 64
    .sgpr_count:     70
    .sgpr_spill_count: 0
    .symbol:         _ZN7rocprim17ROCPRIM_400000_NS6detail17trampoline_kernelINS0_14default_configENS1_29reduce_by_key_config_selectorIN3c104HalfElN6thrust23THRUST_200600_302600_NS4plusIlEEEEZZNS1_33reduce_by_key_impl_wrapped_configILNS1_25lookback_scan_determinismE0ES3_SB_PS6_NS8_17constant_iteratorIiNS8_11use_defaultESG_EENS8_10device_ptrIS6_EENSI_IlEEPmSA_NS8_8equal_toIS6_EEEE10hipError_tPvRmT2_T3_mT4_T5_T6_T7_T8_P12ihipStream_tbENKUlT_T0_E_clISt17integral_constantIbLb0EES15_EEDaS10_S11_EUlS10_E_NS1_11comp_targetILNS1_3genE2ELNS1_11target_archE906ELNS1_3gpuE6ELNS1_3repE0EEENS1_30default_config_static_selectorELNS0_4arch9wavefront6targetE1EEEvT1_.kd
    .uniform_work_group_size: 1
    .uses_dynamic_stack: false
    .vgpr_count:     106
    .vgpr_spill_count: 0
    .wavefront_size: 64
  - .args:
      - .offset:         0
        .size:           144
        .value_kind:     by_value
    .group_segment_fixed_size: 0
    .kernarg_segment_align: 8
    .kernarg_segment_size: 144
    .language:       OpenCL C
    .language_version:
      - 2
      - 0
    .max_flat_workgroup_size: 256
    .name:           _ZN7rocprim17ROCPRIM_400000_NS6detail17trampoline_kernelINS0_14default_configENS1_29reduce_by_key_config_selectorIN3c104HalfElN6thrust23THRUST_200600_302600_NS4plusIlEEEEZZNS1_33reduce_by_key_impl_wrapped_configILNS1_25lookback_scan_determinismE0ES3_SB_PS6_NS8_17constant_iteratorIiNS8_11use_defaultESG_EENS8_10device_ptrIS6_EENSI_IlEEPmSA_NS8_8equal_toIS6_EEEE10hipError_tPvRmT2_T3_mT4_T5_T6_T7_T8_P12ihipStream_tbENKUlT_T0_E_clISt17integral_constantIbLb0EES15_EEDaS10_S11_EUlS10_E_NS1_11comp_targetILNS1_3genE10ELNS1_11target_archE1201ELNS1_3gpuE5ELNS1_3repE0EEENS1_30default_config_static_selectorELNS0_4arch9wavefront6targetE1EEEvT1_
    .private_segment_fixed_size: 0
    .sgpr_count:     4
    .sgpr_spill_count: 0
    .symbol:         _ZN7rocprim17ROCPRIM_400000_NS6detail17trampoline_kernelINS0_14default_configENS1_29reduce_by_key_config_selectorIN3c104HalfElN6thrust23THRUST_200600_302600_NS4plusIlEEEEZZNS1_33reduce_by_key_impl_wrapped_configILNS1_25lookback_scan_determinismE0ES3_SB_PS6_NS8_17constant_iteratorIiNS8_11use_defaultESG_EENS8_10device_ptrIS6_EENSI_IlEEPmSA_NS8_8equal_toIS6_EEEE10hipError_tPvRmT2_T3_mT4_T5_T6_T7_T8_P12ihipStream_tbENKUlT_T0_E_clISt17integral_constantIbLb0EES15_EEDaS10_S11_EUlS10_E_NS1_11comp_targetILNS1_3genE10ELNS1_11target_archE1201ELNS1_3gpuE5ELNS1_3repE0EEENS1_30default_config_static_selectorELNS0_4arch9wavefront6targetE1EEEvT1_.kd
    .uniform_work_group_size: 1
    .uses_dynamic_stack: false
    .vgpr_count:     0
    .vgpr_spill_count: 0
    .wavefront_size: 64
  - .args:
      - .offset:         0
        .size:           144
        .value_kind:     by_value
    .group_segment_fixed_size: 0
    .kernarg_segment_align: 8
    .kernarg_segment_size: 144
    .language:       OpenCL C
    .language_version:
      - 2
      - 0
    .max_flat_workgroup_size: 256
    .name:           _ZN7rocprim17ROCPRIM_400000_NS6detail17trampoline_kernelINS0_14default_configENS1_29reduce_by_key_config_selectorIN3c104HalfElN6thrust23THRUST_200600_302600_NS4plusIlEEEEZZNS1_33reduce_by_key_impl_wrapped_configILNS1_25lookback_scan_determinismE0ES3_SB_PS6_NS8_17constant_iteratorIiNS8_11use_defaultESG_EENS8_10device_ptrIS6_EENSI_IlEEPmSA_NS8_8equal_toIS6_EEEE10hipError_tPvRmT2_T3_mT4_T5_T6_T7_T8_P12ihipStream_tbENKUlT_T0_E_clISt17integral_constantIbLb0EES15_EEDaS10_S11_EUlS10_E_NS1_11comp_targetILNS1_3genE10ELNS1_11target_archE1200ELNS1_3gpuE4ELNS1_3repE0EEENS1_30default_config_static_selectorELNS0_4arch9wavefront6targetE1EEEvT1_
    .private_segment_fixed_size: 0
    .sgpr_count:     4
    .sgpr_spill_count: 0
    .symbol:         _ZN7rocprim17ROCPRIM_400000_NS6detail17trampoline_kernelINS0_14default_configENS1_29reduce_by_key_config_selectorIN3c104HalfElN6thrust23THRUST_200600_302600_NS4plusIlEEEEZZNS1_33reduce_by_key_impl_wrapped_configILNS1_25lookback_scan_determinismE0ES3_SB_PS6_NS8_17constant_iteratorIiNS8_11use_defaultESG_EENS8_10device_ptrIS6_EENSI_IlEEPmSA_NS8_8equal_toIS6_EEEE10hipError_tPvRmT2_T3_mT4_T5_T6_T7_T8_P12ihipStream_tbENKUlT_T0_E_clISt17integral_constantIbLb0EES15_EEDaS10_S11_EUlS10_E_NS1_11comp_targetILNS1_3genE10ELNS1_11target_archE1200ELNS1_3gpuE4ELNS1_3repE0EEENS1_30default_config_static_selectorELNS0_4arch9wavefront6targetE1EEEvT1_.kd
    .uniform_work_group_size: 1
    .uses_dynamic_stack: false
    .vgpr_count:     0
    .vgpr_spill_count: 0
    .wavefront_size: 64
  - .args:
      - .offset:         0
        .size:           144
        .value_kind:     by_value
    .group_segment_fixed_size: 0
    .kernarg_segment_align: 8
    .kernarg_segment_size: 144
    .language:       OpenCL C
    .language_version:
      - 2
      - 0
    .max_flat_workgroup_size: 256
    .name:           _ZN7rocprim17ROCPRIM_400000_NS6detail17trampoline_kernelINS0_14default_configENS1_29reduce_by_key_config_selectorIN3c104HalfElN6thrust23THRUST_200600_302600_NS4plusIlEEEEZZNS1_33reduce_by_key_impl_wrapped_configILNS1_25lookback_scan_determinismE0ES3_SB_PS6_NS8_17constant_iteratorIiNS8_11use_defaultESG_EENS8_10device_ptrIS6_EENSI_IlEEPmSA_NS8_8equal_toIS6_EEEE10hipError_tPvRmT2_T3_mT4_T5_T6_T7_T8_P12ihipStream_tbENKUlT_T0_E_clISt17integral_constantIbLb0EES15_EEDaS10_S11_EUlS10_E_NS1_11comp_targetILNS1_3genE9ELNS1_11target_archE1100ELNS1_3gpuE3ELNS1_3repE0EEENS1_30default_config_static_selectorELNS0_4arch9wavefront6targetE1EEEvT1_
    .private_segment_fixed_size: 0
    .sgpr_count:     4
    .sgpr_spill_count: 0
    .symbol:         _ZN7rocprim17ROCPRIM_400000_NS6detail17trampoline_kernelINS0_14default_configENS1_29reduce_by_key_config_selectorIN3c104HalfElN6thrust23THRUST_200600_302600_NS4plusIlEEEEZZNS1_33reduce_by_key_impl_wrapped_configILNS1_25lookback_scan_determinismE0ES3_SB_PS6_NS8_17constant_iteratorIiNS8_11use_defaultESG_EENS8_10device_ptrIS6_EENSI_IlEEPmSA_NS8_8equal_toIS6_EEEE10hipError_tPvRmT2_T3_mT4_T5_T6_T7_T8_P12ihipStream_tbENKUlT_T0_E_clISt17integral_constantIbLb0EES15_EEDaS10_S11_EUlS10_E_NS1_11comp_targetILNS1_3genE9ELNS1_11target_archE1100ELNS1_3gpuE3ELNS1_3repE0EEENS1_30default_config_static_selectorELNS0_4arch9wavefront6targetE1EEEvT1_.kd
    .uniform_work_group_size: 1
    .uses_dynamic_stack: false
    .vgpr_count:     0
    .vgpr_spill_count: 0
    .wavefront_size: 64
  - .args:
      - .offset:         0
        .size:           144
        .value_kind:     by_value
    .group_segment_fixed_size: 0
    .kernarg_segment_align: 8
    .kernarg_segment_size: 144
    .language:       OpenCL C
    .language_version:
      - 2
      - 0
    .max_flat_workgroup_size: 256
    .name:           _ZN7rocprim17ROCPRIM_400000_NS6detail17trampoline_kernelINS0_14default_configENS1_29reduce_by_key_config_selectorIN3c104HalfElN6thrust23THRUST_200600_302600_NS4plusIlEEEEZZNS1_33reduce_by_key_impl_wrapped_configILNS1_25lookback_scan_determinismE0ES3_SB_PS6_NS8_17constant_iteratorIiNS8_11use_defaultESG_EENS8_10device_ptrIS6_EENSI_IlEEPmSA_NS8_8equal_toIS6_EEEE10hipError_tPvRmT2_T3_mT4_T5_T6_T7_T8_P12ihipStream_tbENKUlT_T0_E_clISt17integral_constantIbLb0EES15_EEDaS10_S11_EUlS10_E_NS1_11comp_targetILNS1_3genE8ELNS1_11target_archE1030ELNS1_3gpuE2ELNS1_3repE0EEENS1_30default_config_static_selectorELNS0_4arch9wavefront6targetE1EEEvT1_
    .private_segment_fixed_size: 0
    .sgpr_count:     4
    .sgpr_spill_count: 0
    .symbol:         _ZN7rocprim17ROCPRIM_400000_NS6detail17trampoline_kernelINS0_14default_configENS1_29reduce_by_key_config_selectorIN3c104HalfElN6thrust23THRUST_200600_302600_NS4plusIlEEEEZZNS1_33reduce_by_key_impl_wrapped_configILNS1_25lookback_scan_determinismE0ES3_SB_PS6_NS8_17constant_iteratorIiNS8_11use_defaultESG_EENS8_10device_ptrIS6_EENSI_IlEEPmSA_NS8_8equal_toIS6_EEEE10hipError_tPvRmT2_T3_mT4_T5_T6_T7_T8_P12ihipStream_tbENKUlT_T0_E_clISt17integral_constantIbLb0EES15_EEDaS10_S11_EUlS10_E_NS1_11comp_targetILNS1_3genE8ELNS1_11target_archE1030ELNS1_3gpuE2ELNS1_3repE0EEENS1_30default_config_static_selectorELNS0_4arch9wavefront6targetE1EEEvT1_.kd
    .uniform_work_group_size: 1
    .uses_dynamic_stack: false
    .vgpr_count:     0
    .vgpr_spill_count: 0
    .wavefront_size: 64
  - .args:
      - .offset:         0
        .size:           144
        .value_kind:     by_value
    .group_segment_fixed_size: 0
    .kernarg_segment_align: 8
    .kernarg_segment_size: 144
    .language:       OpenCL C
    .language_version:
      - 2
      - 0
    .max_flat_workgroup_size: 256
    .name:           _ZN7rocprim17ROCPRIM_400000_NS6detail17trampoline_kernelINS0_14default_configENS1_29reduce_by_key_config_selectorIN3c104HalfElN6thrust23THRUST_200600_302600_NS4plusIlEEEEZZNS1_33reduce_by_key_impl_wrapped_configILNS1_25lookback_scan_determinismE0ES3_SB_PS6_NS8_17constant_iteratorIiNS8_11use_defaultESG_EENS8_10device_ptrIS6_EENSI_IlEEPmSA_NS8_8equal_toIS6_EEEE10hipError_tPvRmT2_T3_mT4_T5_T6_T7_T8_P12ihipStream_tbENKUlT_T0_E_clISt17integral_constantIbLb1EES15_EEDaS10_S11_EUlS10_E_NS1_11comp_targetILNS1_3genE0ELNS1_11target_archE4294967295ELNS1_3gpuE0ELNS1_3repE0EEENS1_30default_config_static_selectorELNS0_4arch9wavefront6targetE1EEEvT1_
    .private_segment_fixed_size: 0
    .sgpr_count:     4
    .sgpr_spill_count: 0
    .symbol:         _ZN7rocprim17ROCPRIM_400000_NS6detail17trampoline_kernelINS0_14default_configENS1_29reduce_by_key_config_selectorIN3c104HalfElN6thrust23THRUST_200600_302600_NS4plusIlEEEEZZNS1_33reduce_by_key_impl_wrapped_configILNS1_25lookback_scan_determinismE0ES3_SB_PS6_NS8_17constant_iteratorIiNS8_11use_defaultESG_EENS8_10device_ptrIS6_EENSI_IlEEPmSA_NS8_8equal_toIS6_EEEE10hipError_tPvRmT2_T3_mT4_T5_T6_T7_T8_P12ihipStream_tbENKUlT_T0_E_clISt17integral_constantIbLb1EES15_EEDaS10_S11_EUlS10_E_NS1_11comp_targetILNS1_3genE0ELNS1_11target_archE4294967295ELNS1_3gpuE0ELNS1_3repE0EEENS1_30default_config_static_selectorELNS0_4arch9wavefront6targetE1EEEvT1_.kd
    .uniform_work_group_size: 1
    .uses_dynamic_stack: false
    .vgpr_count:     0
    .vgpr_spill_count: 0
    .wavefront_size: 64
  - .args:
      - .offset:         0
        .size:           144
        .value_kind:     by_value
    .group_segment_fixed_size: 0
    .kernarg_segment_align: 8
    .kernarg_segment_size: 144
    .language:       OpenCL C
    .language_version:
      - 2
      - 0
    .max_flat_workgroup_size: 256
    .name:           _ZN7rocprim17ROCPRIM_400000_NS6detail17trampoline_kernelINS0_14default_configENS1_29reduce_by_key_config_selectorIN3c104HalfElN6thrust23THRUST_200600_302600_NS4plusIlEEEEZZNS1_33reduce_by_key_impl_wrapped_configILNS1_25lookback_scan_determinismE0ES3_SB_PS6_NS8_17constant_iteratorIiNS8_11use_defaultESG_EENS8_10device_ptrIS6_EENSI_IlEEPmSA_NS8_8equal_toIS6_EEEE10hipError_tPvRmT2_T3_mT4_T5_T6_T7_T8_P12ihipStream_tbENKUlT_T0_E_clISt17integral_constantIbLb1EES15_EEDaS10_S11_EUlS10_E_NS1_11comp_targetILNS1_3genE5ELNS1_11target_archE942ELNS1_3gpuE9ELNS1_3repE0EEENS1_30default_config_static_selectorELNS0_4arch9wavefront6targetE1EEEvT1_
    .private_segment_fixed_size: 0
    .sgpr_count:     4
    .sgpr_spill_count: 0
    .symbol:         _ZN7rocprim17ROCPRIM_400000_NS6detail17trampoline_kernelINS0_14default_configENS1_29reduce_by_key_config_selectorIN3c104HalfElN6thrust23THRUST_200600_302600_NS4plusIlEEEEZZNS1_33reduce_by_key_impl_wrapped_configILNS1_25lookback_scan_determinismE0ES3_SB_PS6_NS8_17constant_iteratorIiNS8_11use_defaultESG_EENS8_10device_ptrIS6_EENSI_IlEEPmSA_NS8_8equal_toIS6_EEEE10hipError_tPvRmT2_T3_mT4_T5_T6_T7_T8_P12ihipStream_tbENKUlT_T0_E_clISt17integral_constantIbLb1EES15_EEDaS10_S11_EUlS10_E_NS1_11comp_targetILNS1_3genE5ELNS1_11target_archE942ELNS1_3gpuE9ELNS1_3repE0EEENS1_30default_config_static_selectorELNS0_4arch9wavefront6targetE1EEEvT1_.kd
    .uniform_work_group_size: 1
    .uses_dynamic_stack: false
    .vgpr_count:     0
    .vgpr_spill_count: 0
    .wavefront_size: 64
  - .args:
      - .offset:         0
        .size:           144
        .value_kind:     by_value
    .group_segment_fixed_size: 0
    .kernarg_segment_align: 8
    .kernarg_segment_size: 144
    .language:       OpenCL C
    .language_version:
      - 2
      - 0
    .max_flat_workgroup_size: 256
    .name:           _ZN7rocprim17ROCPRIM_400000_NS6detail17trampoline_kernelINS0_14default_configENS1_29reduce_by_key_config_selectorIN3c104HalfElN6thrust23THRUST_200600_302600_NS4plusIlEEEEZZNS1_33reduce_by_key_impl_wrapped_configILNS1_25lookback_scan_determinismE0ES3_SB_PS6_NS8_17constant_iteratorIiNS8_11use_defaultESG_EENS8_10device_ptrIS6_EENSI_IlEEPmSA_NS8_8equal_toIS6_EEEE10hipError_tPvRmT2_T3_mT4_T5_T6_T7_T8_P12ihipStream_tbENKUlT_T0_E_clISt17integral_constantIbLb1EES15_EEDaS10_S11_EUlS10_E_NS1_11comp_targetILNS1_3genE4ELNS1_11target_archE910ELNS1_3gpuE8ELNS1_3repE0EEENS1_30default_config_static_selectorELNS0_4arch9wavefront6targetE1EEEvT1_
    .private_segment_fixed_size: 0
    .sgpr_count:     4
    .sgpr_spill_count: 0
    .symbol:         _ZN7rocprim17ROCPRIM_400000_NS6detail17trampoline_kernelINS0_14default_configENS1_29reduce_by_key_config_selectorIN3c104HalfElN6thrust23THRUST_200600_302600_NS4plusIlEEEEZZNS1_33reduce_by_key_impl_wrapped_configILNS1_25lookback_scan_determinismE0ES3_SB_PS6_NS8_17constant_iteratorIiNS8_11use_defaultESG_EENS8_10device_ptrIS6_EENSI_IlEEPmSA_NS8_8equal_toIS6_EEEE10hipError_tPvRmT2_T3_mT4_T5_T6_T7_T8_P12ihipStream_tbENKUlT_T0_E_clISt17integral_constantIbLb1EES15_EEDaS10_S11_EUlS10_E_NS1_11comp_targetILNS1_3genE4ELNS1_11target_archE910ELNS1_3gpuE8ELNS1_3repE0EEENS1_30default_config_static_selectorELNS0_4arch9wavefront6targetE1EEEvT1_.kd
    .uniform_work_group_size: 1
    .uses_dynamic_stack: false
    .vgpr_count:     0
    .vgpr_spill_count: 0
    .wavefront_size: 64
  - .args:
      - .offset:         0
        .size:           144
        .value_kind:     by_value
    .group_segment_fixed_size: 0
    .kernarg_segment_align: 8
    .kernarg_segment_size: 144
    .language:       OpenCL C
    .language_version:
      - 2
      - 0
    .max_flat_workgroup_size: 256
    .name:           _ZN7rocprim17ROCPRIM_400000_NS6detail17trampoline_kernelINS0_14default_configENS1_29reduce_by_key_config_selectorIN3c104HalfElN6thrust23THRUST_200600_302600_NS4plusIlEEEEZZNS1_33reduce_by_key_impl_wrapped_configILNS1_25lookback_scan_determinismE0ES3_SB_PS6_NS8_17constant_iteratorIiNS8_11use_defaultESG_EENS8_10device_ptrIS6_EENSI_IlEEPmSA_NS8_8equal_toIS6_EEEE10hipError_tPvRmT2_T3_mT4_T5_T6_T7_T8_P12ihipStream_tbENKUlT_T0_E_clISt17integral_constantIbLb1EES15_EEDaS10_S11_EUlS10_E_NS1_11comp_targetILNS1_3genE3ELNS1_11target_archE908ELNS1_3gpuE7ELNS1_3repE0EEENS1_30default_config_static_selectorELNS0_4arch9wavefront6targetE1EEEvT1_
    .private_segment_fixed_size: 0
    .sgpr_count:     4
    .sgpr_spill_count: 0
    .symbol:         _ZN7rocprim17ROCPRIM_400000_NS6detail17trampoline_kernelINS0_14default_configENS1_29reduce_by_key_config_selectorIN3c104HalfElN6thrust23THRUST_200600_302600_NS4plusIlEEEEZZNS1_33reduce_by_key_impl_wrapped_configILNS1_25lookback_scan_determinismE0ES3_SB_PS6_NS8_17constant_iteratorIiNS8_11use_defaultESG_EENS8_10device_ptrIS6_EENSI_IlEEPmSA_NS8_8equal_toIS6_EEEE10hipError_tPvRmT2_T3_mT4_T5_T6_T7_T8_P12ihipStream_tbENKUlT_T0_E_clISt17integral_constantIbLb1EES15_EEDaS10_S11_EUlS10_E_NS1_11comp_targetILNS1_3genE3ELNS1_11target_archE908ELNS1_3gpuE7ELNS1_3repE0EEENS1_30default_config_static_selectorELNS0_4arch9wavefront6targetE1EEEvT1_.kd
    .uniform_work_group_size: 1
    .uses_dynamic_stack: false
    .vgpr_count:     0
    .vgpr_spill_count: 0
    .wavefront_size: 64
  - .args:
      - .offset:         0
        .size:           144
        .value_kind:     by_value
    .group_segment_fixed_size: 0
    .kernarg_segment_align: 8
    .kernarg_segment_size: 144
    .language:       OpenCL C
    .language_version:
      - 2
      - 0
    .max_flat_workgroup_size: 256
    .name:           _ZN7rocprim17ROCPRIM_400000_NS6detail17trampoline_kernelINS0_14default_configENS1_29reduce_by_key_config_selectorIN3c104HalfElN6thrust23THRUST_200600_302600_NS4plusIlEEEEZZNS1_33reduce_by_key_impl_wrapped_configILNS1_25lookback_scan_determinismE0ES3_SB_PS6_NS8_17constant_iteratorIiNS8_11use_defaultESG_EENS8_10device_ptrIS6_EENSI_IlEEPmSA_NS8_8equal_toIS6_EEEE10hipError_tPvRmT2_T3_mT4_T5_T6_T7_T8_P12ihipStream_tbENKUlT_T0_E_clISt17integral_constantIbLb1EES15_EEDaS10_S11_EUlS10_E_NS1_11comp_targetILNS1_3genE2ELNS1_11target_archE906ELNS1_3gpuE6ELNS1_3repE0EEENS1_30default_config_static_selectorELNS0_4arch9wavefront6targetE1EEEvT1_
    .private_segment_fixed_size: 0
    .sgpr_count:     4
    .sgpr_spill_count: 0
    .symbol:         _ZN7rocprim17ROCPRIM_400000_NS6detail17trampoline_kernelINS0_14default_configENS1_29reduce_by_key_config_selectorIN3c104HalfElN6thrust23THRUST_200600_302600_NS4plusIlEEEEZZNS1_33reduce_by_key_impl_wrapped_configILNS1_25lookback_scan_determinismE0ES3_SB_PS6_NS8_17constant_iteratorIiNS8_11use_defaultESG_EENS8_10device_ptrIS6_EENSI_IlEEPmSA_NS8_8equal_toIS6_EEEE10hipError_tPvRmT2_T3_mT4_T5_T6_T7_T8_P12ihipStream_tbENKUlT_T0_E_clISt17integral_constantIbLb1EES15_EEDaS10_S11_EUlS10_E_NS1_11comp_targetILNS1_3genE2ELNS1_11target_archE906ELNS1_3gpuE6ELNS1_3repE0EEENS1_30default_config_static_selectorELNS0_4arch9wavefront6targetE1EEEvT1_.kd
    .uniform_work_group_size: 1
    .uses_dynamic_stack: false
    .vgpr_count:     0
    .vgpr_spill_count: 0
    .wavefront_size: 64
  - .args:
      - .offset:         0
        .size:           144
        .value_kind:     by_value
    .group_segment_fixed_size: 0
    .kernarg_segment_align: 8
    .kernarg_segment_size: 144
    .language:       OpenCL C
    .language_version:
      - 2
      - 0
    .max_flat_workgroup_size: 256
    .name:           _ZN7rocprim17ROCPRIM_400000_NS6detail17trampoline_kernelINS0_14default_configENS1_29reduce_by_key_config_selectorIN3c104HalfElN6thrust23THRUST_200600_302600_NS4plusIlEEEEZZNS1_33reduce_by_key_impl_wrapped_configILNS1_25lookback_scan_determinismE0ES3_SB_PS6_NS8_17constant_iteratorIiNS8_11use_defaultESG_EENS8_10device_ptrIS6_EENSI_IlEEPmSA_NS8_8equal_toIS6_EEEE10hipError_tPvRmT2_T3_mT4_T5_T6_T7_T8_P12ihipStream_tbENKUlT_T0_E_clISt17integral_constantIbLb1EES15_EEDaS10_S11_EUlS10_E_NS1_11comp_targetILNS1_3genE10ELNS1_11target_archE1201ELNS1_3gpuE5ELNS1_3repE0EEENS1_30default_config_static_selectorELNS0_4arch9wavefront6targetE1EEEvT1_
    .private_segment_fixed_size: 0
    .sgpr_count:     4
    .sgpr_spill_count: 0
    .symbol:         _ZN7rocprim17ROCPRIM_400000_NS6detail17trampoline_kernelINS0_14default_configENS1_29reduce_by_key_config_selectorIN3c104HalfElN6thrust23THRUST_200600_302600_NS4plusIlEEEEZZNS1_33reduce_by_key_impl_wrapped_configILNS1_25lookback_scan_determinismE0ES3_SB_PS6_NS8_17constant_iteratorIiNS8_11use_defaultESG_EENS8_10device_ptrIS6_EENSI_IlEEPmSA_NS8_8equal_toIS6_EEEE10hipError_tPvRmT2_T3_mT4_T5_T6_T7_T8_P12ihipStream_tbENKUlT_T0_E_clISt17integral_constantIbLb1EES15_EEDaS10_S11_EUlS10_E_NS1_11comp_targetILNS1_3genE10ELNS1_11target_archE1201ELNS1_3gpuE5ELNS1_3repE0EEENS1_30default_config_static_selectorELNS0_4arch9wavefront6targetE1EEEvT1_.kd
    .uniform_work_group_size: 1
    .uses_dynamic_stack: false
    .vgpr_count:     0
    .vgpr_spill_count: 0
    .wavefront_size: 64
  - .args:
      - .offset:         0
        .size:           144
        .value_kind:     by_value
    .group_segment_fixed_size: 0
    .kernarg_segment_align: 8
    .kernarg_segment_size: 144
    .language:       OpenCL C
    .language_version:
      - 2
      - 0
    .max_flat_workgroup_size: 256
    .name:           _ZN7rocprim17ROCPRIM_400000_NS6detail17trampoline_kernelINS0_14default_configENS1_29reduce_by_key_config_selectorIN3c104HalfElN6thrust23THRUST_200600_302600_NS4plusIlEEEEZZNS1_33reduce_by_key_impl_wrapped_configILNS1_25lookback_scan_determinismE0ES3_SB_PS6_NS8_17constant_iteratorIiNS8_11use_defaultESG_EENS8_10device_ptrIS6_EENSI_IlEEPmSA_NS8_8equal_toIS6_EEEE10hipError_tPvRmT2_T3_mT4_T5_T6_T7_T8_P12ihipStream_tbENKUlT_T0_E_clISt17integral_constantIbLb1EES15_EEDaS10_S11_EUlS10_E_NS1_11comp_targetILNS1_3genE10ELNS1_11target_archE1200ELNS1_3gpuE4ELNS1_3repE0EEENS1_30default_config_static_selectorELNS0_4arch9wavefront6targetE1EEEvT1_
    .private_segment_fixed_size: 0
    .sgpr_count:     4
    .sgpr_spill_count: 0
    .symbol:         _ZN7rocprim17ROCPRIM_400000_NS6detail17trampoline_kernelINS0_14default_configENS1_29reduce_by_key_config_selectorIN3c104HalfElN6thrust23THRUST_200600_302600_NS4plusIlEEEEZZNS1_33reduce_by_key_impl_wrapped_configILNS1_25lookback_scan_determinismE0ES3_SB_PS6_NS8_17constant_iteratorIiNS8_11use_defaultESG_EENS8_10device_ptrIS6_EENSI_IlEEPmSA_NS8_8equal_toIS6_EEEE10hipError_tPvRmT2_T3_mT4_T5_T6_T7_T8_P12ihipStream_tbENKUlT_T0_E_clISt17integral_constantIbLb1EES15_EEDaS10_S11_EUlS10_E_NS1_11comp_targetILNS1_3genE10ELNS1_11target_archE1200ELNS1_3gpuE4ELNS1_3repE0EEENS1_30default_config_static_selectorELNS0_4arch9wavefront6targetE1EEEvT1_.kd
    .uniform_work_group_size: 1
    .uses_dynamic_stack: false
    .vgpr_count:     0
    .vgpr_spill_count: 0
    .wavefront_size: 64
  - .args:
      - .offset:         0
        .size:           144
        .value_kind:     by_value
    .group_segment_fixed_size: 0
    .kernarg_segment_align: 8
    .kernarg_segment_size: 144
    .language:       OpenCL C
    .language_version:
      - 2
      - 0
    .max_flat_workgroup_size: 256
    .name:           _ZN7rocprim17ROCPRIM_400000_NS6detail17trampoline_kernelINS0_14default_configENS1_29reduce_by_key_config_selectorIN3c104HalfElN6thrust23THRUST_200600_302600_NS4plusIlEEEEZZNS1_33reduce_by_key_impl_wrapped_configILNS1_25lookback_scan_determinismE0ES3_SB_PS6_NS8_17constant_iteratorIiNS8_11use_defaultESG_EENS8_10device_ptrIS6_EENSI_IlEEPmSA_NS8_8equal_toIS6_EEEE10hipError_tPvRmT2_T3_mT4_T5_T6_T7_T8_P12ihipStream_tbENKUlT_T0_E_clISt17integral_constantIbLb1EES15_EEDaS10_S11_EUlS10_E_NS1_11comp_targetILNS1_3genE9ELNS1_11target_archE1100ELNS1_3gpuE3ELNS1_3repE0EEENS1_30default_config_static_selectorELNS0_4arch9wavefront6targetE1EEEvT1_
    .private_segment_fixed_size: 0
    .sgpr_count:     4
    .sgpr_spill_count: 0
    .symbol:         _ZN7rocprim17ROCPRIM_400000_NS6detail17trampoline_kernelINS0_14default_configENS1_29reduce_by_key_config_selectorIN3c104HalfElN6thrust23THRUST_200600_302600_NS4plusIlEEEEZZNS1_33reduce_by_key_impl_wrapped_configILNS1_25lookback_scan_determinismE0ES3_SB_PS6_NS8_17constant_iteratorIiNS8_11use_defaultESG_EENS8_10device_ptrIS6_EENSI_IlEEPmSA_NS8_8equal_toIS6_EEEE10hipError_tPvRmT2_T3_mT4_T5_T6_T7_T8_P12ihipStream_tbENKUlT_T0_E_clISt17integral_constantIbLb1EES15_EEDaS10_S11_EUlS10_E_NS1_11comp_targetILNS1_3genE9ELNS1_11target_archE1100ELNS1_3gpuE3ELNS1_3repE0EEENS1_30default_config_static_selectorELNS0_4arch9wavefront6targetE1EEEvT1_.kd
    .uniform_work_group_size: 1
    .uses_dynamic_stack: false
    .vgpr_count:     0
    .vgpr_spill_count: 0
    .wavefront_size: 64
  - .args:
      - .offset:         0
        .size:           144
        .value_kind:     by_value
    .group_segment_fixed_size: 0
    .kernarg_segment_align: 8
    .kernarg_segment_size: 144
    .language:       OpenCL C
    .language_version:
      - 2
      - 0
    .max_flat_workgroup_size: 256
    .name:           _ZN7rocprim17ROCPRIM_400000_NS6detail17trampoline_kernelINS0_14default_configENS1_29reduce_by_key_config_selectorIN3c104HalfElN6thrust23THRUST_200600_302600_NS4plusIlEEEEZZNS1_33reduce_by_key_impl_wrapped_configILNS1_25lookback_scan_determinismE0ES3_SB_PS6_NS8_17constant_iteratorIiNS8_11use_defaultESG_EENS8_10device_ptrIS6_EENSI_IlEEPmSA_NS8_8equal_toIS6_EEEE10hipError_tPvRmT2_T3_mT4_T5_T6_T7_T8_P12ihipStream_tbENKUlT_T0_E_clISt17integral_constantIbLb1EES15_EEDaS10_S11_EUlS10_E_NS1_11comp_targetILNS1_3genE8ELNS1_11target_archE1030ELNS1_3gpuE2ELNS1_3repE0EEENS1_30default_config_static_selectorELNS0_4arch9wavefront6targetE1EEEvT1_
    .private_segment_fixed_size: 0
    .sgpr_count:     4
    .sgpr_spill_count: 0
    .symbol:         _ZN7rocprim17ROCPRIM_400000_NS6detail17trampoline_kernelINS0_14default_configENS1_29reduce_by_key_config_selectorIN3c104HalfElN6thrust23THRUST_200600_302600_NS4plusIlEEEEZZNS1_33reduce_by_key_impl_wrapped_configILNS1_25lookback_scan_determinismE0ES3_SB_PS6_NS8_17constant_iteratorIiNS8_11use_defaultESG_EENS8_10device_ptrIS6_EENSI_IlEEPmSA_NS8_8equal_toIS6_EEEE10hipError_tPvRmT2_T3_mT4_T5_T6_T7_T8_P12ihipStream_tbENKUlT_T0_E_clISt17integral_constantIbLb1EES15_EEDaS10_S11_EUlS10_E_NS1_11comp_targetILNS1_3genE8ELNS1_11target_archE1030ELNS1_3gpuE2ELNS1_3repE0EEENS1_30default_config_static_selectorELNS0_4arch9wavefront6targetE1EEEvT1_.kd
    .uniform_work_group_size: 1
    .uses_dynamic_stack: false
    .vgpr_count:     0
    .vgpr_spill_count: 0
    .wavefront_size: 64
  - .args:
      - .offset:         0
        .size:           144
        .value_kind:     by_value
    .group_segment_fixed_size: 0
    .kernarg_segment_align: 8
    .kernarg_segment_size: 144
    .language:       OpenCL C
    .language_version:
      - 2
      - 0
    .max_flat_workgroup_size: 256
    .name:           _ZN7rocprim17ROCPRIM_400000_NS6detail17trampoline_kernelINS0_14default_configENS1_29reduce_by_key_config_selectorIN3c104HalfElN6thrust23THRUST_200600_302600_NS4plusIlEEEEZZNS1_33reduce_by_key_impl_wrapped_configILNS1_25lookback_scan_determinismE0ES3_SB_PS6_NS8_17constant_iteratorIiNS8_11use_defaultESG_EENS8_10device_ptrIS6_EENSI_IlEEPmSA_NS8_8equal_toIS6_EEEE10hipError_tPvRmT2_T3_mT4_T5_T6_T7_T8_P12ihipStream_tbENKUlT_T0_E_clISt17integral_constantIbLb1EES14_IbLb0EEEEDaS10_S11_EUlS10_E_NS1_11comp_targetILNS1_3genE0ELNS1_11target_archE4294967295ELNS1_3gpuE0ELNS1_3repE0EEENS1_30default_config_static_selectorELNS0_4arch9wavefront6targetE1EEEvT1_
    .private_segment_fixed_size: 0
    .sgpr_count:     4
    .sgpr_spill_count: 0
    .symbol:         _ZN7rocprim17ROCPRIM_400000_NS6detail17trampoline_kernelINS0_14default_configENS1_29reduce_by_key_config_selectorIN3c104HalfElN6thrust23THRUST_200600_302600_NS4plusIlEEEEZZNS1_33reduce_by_key_impl_wrapped_configILNS1_25lookback_scan_determinismE0ES3_SB_PS6_NS8_17constant_iteratorIiNS8_11use_defaultESG_EENS8_10device_ptrIS6_EENSI_IlEEPmSA_NS8_8equal_toIS6_EEEE10hipError_tPvRmT2_T3_mT4_T5_T6_T7_T8_P12ihipStream_tbENKUlT_T0_E_clISt17integral_constantIbLb1EES14_IbLb0EEEEDaS10_S11_EUlS10_E_NS1_11comp_targetILNS1_3genE0ELNS1_11target_archE4294967295ELNS1_3gpuE0ELNS1_3repE0EEENS1_30default_config_static_selectorELNS0_4arch9wavefront6targetE1EEEvT1_.kd
    .uniform_work_group_size: 1
    .uses_dynamic_stack: false
    .vgpr_count:     0
    .vgpr_spill_count: 0
    .wavefront_size: 64
  - .args:
      - .offset:         0
        .size:           144
        .value_kind:     by_value
    .group_segment_fixed_size: 0
    .kernarg_segment_align: 8
    .kernarg_segment_size: 144
    .language:       OpenCL C
    .language_version:
      - 2
      - 0
    .max_flat_workgroup_size: 256
    .name:           _ZN7rocprim17ROCPRIM_400000_NS6detail17trampoline_kernelINS0_14default_configENS1_29reduce_by_key_config_selectorIN3c104HalfElN6thrust23THRUST_200600_302600_NS4plusIlEEEEZZNS1_33reduce_by_key_impl_wrapped_configILNS1_25lookback_scan_determinismE0ES3_SB_PS6_NS8_17constant_iteratorIiNS8_11use_defaultESG_EENS8_10device_ptrIS6_EENSI_IlEEPmSA_NS8_8equal_toIS6_EEEE10hipError_tPvRmT2_T3_mT4_T5_T6_T7_T8_P12ihipStream_tbENKUlT_T0_E_clISt17integral_constantIbLb1EES14_IbLb0EEEEDaS10_S11_EUlS10_E_NS1_11comp_targetILNS1_3genE5ELNS1_11target_archE942ELNS1_3gpuE9ELNS1_3repE0EEENS1_30default_config_static_selectorELNS0_4arch9wavefront6targetE1EEEvT1_
    .private_segment_fixed_size: 0
    .sgpr_count:     4
    .sgpr_spill_count: 0
    .symbol:         _ZN7rocprim17ROCPRIM_400000_NS6detail17trampoline_kernelINS0_14default_configENS1_29reduce_by_key_config_selectorIN3c104HalfElN6thrust23THRUST_200600_302600_NS4plusIlEEEEZZNS1_33reduce_by_key_impl_wrapped_configILNS1_25lookback_scan_determinismE0ES3_SB_PS6_NS8_17constant_iteratorIiNS8_11use_defaultESG_EENS8_10device_ptrIS6_EENSI_IlEEPmSA_NS8_8equal_toIS6_EEEE10hipError_tPvRmT2_T3_mT4_T5_T6_T7_T8_P12ihipStream_tbENKUlT_T0_E_clISt17integral_constantIbLb1EES14_IbLb0EEEEDaS10_S11_EUlS10_E_NS1_11comp_targetILNS1_3genE5ELNS1_11target_archE942ELNS1_3gpuE9ELNS1_3repE0EEENS1_30default_config_static_selectorELNS0_4arch9wavefront6targetE1EEEvT1_.kd
    .uniform_work_group_size: 1
    .uses_dynamic_stack: false
    .vgpr_count:     0
    .vgpr_spill_count: 0
    .wavefront_size: 64
  - .args:
      - .offset:         0
        .size:           144
        .value_kind:     by_value
    .group_segment_fixed_size: 0
    .kernarg_segment_align: 8
    .kernarg_segment_size: 144
    .language:       OpenCL C
    .language_version:
      - 2
      - 0
    .max_flat_workgroup_size: 256
    .name:           _ZN7rocprim17ROCPRIM_400000_NS6detail17trampoline_kernelINS0_14default_configENS1_29reduce_by_key_config_selectorIN3c104HalfElN6thrust23THRUST_200600_302600_NS4plusIlEEEEZZNS1_33reduce_by_key_impl_wrapped_configILNS1_25lookback_scan_determinismE0ES3_SB_PS6_NS8_17constant_iteratorIiNS8_11use_defaultESG_EENS8_10device_ptrIS6_EENSI_IlEEPmSA_NS8_8equal_toIS6_EEEE10hipError_tPvRmT2_T3_mT4_T5_T6_T7_T8_P12ihipStream_tbENKUlT_T0_E_clISt17integral_constantIbLb1EES14_IbLb0EEEEDaS10_S11_EUlS10_E_NS1_11comp_targetILNS1_3genE4ELNS1_11target_archE910ELNS1_3gpuE8ELNS1_3repE0EEENS1_30default_config_static_selectorELNS0_4arch9wavefront6targetE1EEEvT1_
    .private_segment_fixed_size: 0
    .sgpr_count:     4
    .sgpr_spill_count: 0
    .symbol:         _ZN7rocprim17ROCPRIM_400000_NS6detail17trampoline_kernelINS0_14default_configENS1_29reduce_by_key_config_selectorIN3c104HalfElN6thrust23THRUST_200600_302600_NS4plusIlEEEEZZNS1_33reduce_by_key_impl_wrapped_configILNS1_25lookback_scan_determinismE0ES3_SB_PS6_NS8_17constant_iteratorIiNS8_11use_defaultESG_EENS8_10device_ptrIS6_EENSI_IlEEPmSA_NS8_8equal_toIS6_EEEE10hipError_tPvRmT2_T3_mT4_T5_T6_T7_T8_P12ihipStream_tbENKUlT_T0_E_clISt17integral_constantIbLb1EES14_IbLb0EEEEDaS10_S11_EUlS10_E_NS1_11comp_targetILNS1_3genE4ELNS1_11target_archE910ELNS1_3gpuE8ELNS1_3repE0EEENS1_30default_config_static_selectorELNS0_4arch9wavefront6targetE1EEEvT1_.kd
    .uniform_work_group_size: 1
    .uses_dynamic_stack: false
    .vgpr_count:     0
    .vgpr_spill_count: 0
    .wavefront_size: 64
  - .args:
      - .offset:         0
        .size:           144
        .value_kind:     by_value
    .group_segment_fixed_size: 0
    .kernarg_segment_align: 8
    .kernarg_segment_size: 144
    .language:       OpenCL C
    .language_version:
      - 2
      - 0
    .max_flat_workgroup_size: 256
    .name:           _ZN7rocprim17ROCPRIM_400000_NS6detail17trampoline_kernelINS0_14default_configENS1_29reduce_by_key_config_selectorIN3c104HalfElN6thrust23THRUST_200600_302600_NS4plusIlEEEEZZNS1_33reduce_by_key_impl_wrapped_configILNS1_25lookback_scan_determinismE0ES3_SB_PS6_NS8_17constant_iteratorIiNS8_11use_defaultESG_EENS8_10device_ptrIS6_EENSI_IlEEPmSA_NS8_8equal_toIS6_EEEE10hipError_tPvRmT2_T3_mT4_T5_T6_T7_T8_P12ihipStream_tbENKUlT_T0_E_clISt17integral_constantIbLb1EES14_IbLb0EEEEDaS10_S11_EUlS10_E_NS1_11comp_targetILNS1_3genE3ELNS1_11target_archE908ELNS1_3gpuE7ELNS1_3repE0EEENS1_30default_config_static_selectorELNS0_4arch9wavefront6targetE1EEEvT1_
    .private_segment_fixed_size: 0
    .sgpr_count:     4
    .sgpr_spill_count: 0
    .symbol:         _ZN7rocprim17ROCPRIM_400000_NS6detail17trampoline_kernelINS0_14default_configENS1_29reduce_by_key_config_selectorIN3c104HalfElN6thrust23THRUST_200600_302600_NS4plusIlEEEEZZNS1_33reduce_by_key_impl_wrapped_configILNS1_25lookback_scan_determinismE0ES3_SB_PS6_NS8_17constant_iteratorIiNS8_11use_defaultESG_EENS8_10device_ptrIS6_EENSI_IlEEPmSA_NS8_8equal_toIS6_EEEE10hipError_tPvRmT2_T3_mT4_T5_T6_T7_T8_P12ihipStream_tbENKUlT_T0_E_clISt17integral_constantIbLb1EES14_IbLb0EEEEDaS10_S11_EUlS10_E_NS1_11comp_targetILNS1_3genE3ELNS1_11target_archE908ELNS1_3gpuE7ELNS1_3repE0EEENS1_30default_config_static_selectorELNS0_4arch9wavefront6targetE1EEEvT1_.kd
    .uniform_work_group_size: 1
    .uses_dynamic_stack: false
    .vgpr_count:     0
    .vgpr_spill_count: 0
    .wavefront_size: 64
  - .args:
      - .offset:         0
        .size:           144
        .value_kind:     by_value
    .group_segment_fixed_size: 0
    .kernarg_segment_align: 8
    .kernarg_segment_size: 144
    .language:       OpenCL C
    .language_version:
      - 2
      - 0
    .max_flat_workgroup_size: 256
    .name:           _ZN7rocprim17ROCPRIM_400000_NS6detail17trampoline_kernelINS0_14default_configENS1_29reduce_by_key_config_selectorIN3c104HalfElN6thrust23THRUST_200600_302600_NS4plusIlEEEEZZNS1_33reduce_by_key_impl_wrapped_configILNS1_25lookback_scan_determinismE0ES3_SB_PS6_NS8_17constant_iteratorIiNS8_11use_defaultESG_EENS8_10device_ptrIS6_EENSI_IlEEPmSA_NS8_8equal_toIS6_EEEE10hipError_tPvRmT2_T3_mT4_T5_T6_T7_T8_P12ihipStream_tbENKUlT_T0_E_clISt17integral_constantIbLb1EES14_IbLb0EEEEDaS10_S11_EUlS10_E_NS1_11comp_targetILNS1_3genE2ELNS1_11target_archE906ELNS1_3gpuE6ELNS1_3repE0EEENS1_30default_config_static_selectorELNS0_4arch9wavefront6targetE1EEEvT1_
    .private_segment_fixed_size: 0
    .sgpr_count:     4
    .sgpr_spill_count: 0
    .symbol:         _ZN7rocprim17ROCPRIM_400000_NS6detail17trampoline_kernelINS0_14default_configENS1_29reduce_by_key_config_selectorIN3c104HalfElN6thrust23THRUST_200600_302600_NS4plusIlEEEEZZNS1_33reduce_by_key_impl_wrapped_configILNS1_25lookback_scan_determinismE0ES3_SB_PS6_NS8_17constant_iteratorIiNS8_11use_defaultESG_EENS8_10device_ptrIS6_EENSI_IlEEPmSA_NS8_8equal_toIS6_EEEE10hipError_tPvRmT2_T3_mT4_T5_T6_T7_T8_P12ihipStream_tbENKUlT_T0_E_clISt17integral_constantIbLb1EES14_IbLb0EEEEDaS10_S11_EUlS10_E_NS1_11comp_targetILNS1_3genE2ELNS1_11target_archE906ELNS1_3gpuE6ELNS1_3repE0EEENS1_30default_config_static_selectorELNS0_4arch9wavefront6targetE1EEEvT1_.kd
    .uniform_work_group_size: 1
    .uses_dynamic_stack: false
    .vgpr_count:     0
    .vgpr_spill_count: 0
    .wavefront_size: 64
  - .args:
      - .offset:         0
        .size:           144
        .value_kind:     by_value
    .group_segment_fixed_size: 0
    .kernarg_segment_align: 8
    .kernarg_segment_size: 144
    .language:       OpenCL C
    .language_version:
      - 2
      - 0
    .max_flat_workgroup_size: 256
    .name:           _ZN7rocprim17ROCPRIM_400000_NS6detail17trampoline_kernelINS0_14default_configENS1_29reduce_by_key_config_selectorIN3c104HalfElN6thrust23THRUST_200600_302600_NS4plusIlEEEEZZNS1_33reduce_by_key_impl_wrapped_configILNS1_25lookback_scan_determinismE0ES3_SB_PS6_NS8_17constant_iteratorIiNS8_11use_defaultESG_EENS8_10device_ptrIS6_EENSI_IlEEPmSA_NS8_8equal_toIS6_EEEE10hipError_tPvRmT2_T3_mT4_T5_T6_T7_T8_P12ihipStream_tbENKUlT_T0_E_clISt17integral_constantIbLb1EES14_IbLb0EEEEDaS10_S11_EUlS10_E_NS1_11comp_targetILNS1_3genE10ELNS1_11target_archE1201ELNS1_3gpuE5ELNS1_3repE0EEENS1_30default_config_static_selectorELNS0_4arch9wavefront6targetE1EEEvT1_
    .private_segment_fixed_size: 0
    .sgpr_count:     4
    .sgpr_spill_count: 0
    .symbol:         _ZN7rocprim17ROCPRIM_400000_NS6detail17trampoline_kernelINS0_14default_configENS1_29reduce_by_key_config_selectorIN3c104HalfElN6thrust23THRUST_200600_302600_NS4plusIlEEEEZZNS1_33reduce_by_key_impl_wrapped_configILNS1_25lookback_scan_determinismE0ES3_SB_PS6_NS8_17constant_iteratorIiNS8_11use_defaultESG_EENS8_10device_ptrIS6_EENSI_IlEEPmSA_NS8_8equal_toIS6_EEEE10hipError_tPvRmT2_T3_mT4_T5_T6_T7_T8_P12ihipStream_tbENKUlT_T0_E_clISt17integral_constantIbLb1EES14_IbLb0EEEEDaS10_S11_EUlS10_E_NS1_11comp_targetILNS1_3genE10ELNS1_11target_archE1201ELNS1_3gpuE5ELNS1_3repE0EEENS1_30default_config_static_selectorELNS0_4arch9wavefront6targetE1EEEvT1_.kd
    .uniform_work_group_size: 1
    .uses_dynamic_stack: false
    .vgpr_count:     0
    .vgpr_spill_count: 0
    .wavefront_size: 64
  - .args:
      - .offset:         0
        .size:           144
        .value_kind:     by_value
    .group_segment_fixed_size: 0
    .kernarg_segment_align: 8
    .kernarg_segment_size: 144
    .language:       OpenCL C
    .language_version:
      - 2
      - 0
    .max_flat_workgroup_size: 256
    .name:           _ZN7rocprim17ROCPRIM_400000_NS6detail17trampoline_kernelINS0_14default_configENS1_29reduce_by_key_config_selectorIN3c104HalfElN6thrust23THRUST_200600_302600_NS4plusIlEEEEZZNS1_33reduce_by_key_impl_wrapped_configILNS1_25lookback_scan_determinismE0ES3_SB_PS6_NS8_17constant_iteratorIiNS8_11use_defaultESG_EENS8_10device_ptrIS6_EENSI_IlEEPmSA_NS8_8equal_toIS6_EEEE10hipError_tPvRmT2_T3_mT4_T5_T6_T7_T8_P12ihipStream_tbENKUlT_T0_E_clISt17integral_constantIbLb1EES14_IbLb0EEEEDaS10_S11_EUlS10_E_NS1_11comp_targetILNS1_3genE10ELNS1_11target_archE1200ELNS1_3gpuE4ELNS1_3repE0EEENS1_30default_config_static_selectorELNS0_4arch9wavefront6targetE1EEEvT1_
    .private_segment_fixed_size: 0
    .sgpr_count:     4
    .sgpr_spill_count: 0
    .symbol:         _ZN7rocprim17ROCPRIM_400000_NS6detail17trampoline_kernelINS0_14default_configENS1_29reduce_by_key_config_selectorIN3c104HalfElN6thrust23THRUST_200600_302600_NS4plusIlEEEEZZNS1_33reduce_by_key_impl_wrapped_configILNS1_25lookback_scan_determinismE0ES3_SB_PS6_NS8_17constant_iteratorIiNS8_11use_defaultESG_EENS8_10device_ptrIS6_EENSI_IlEEPmSA_NS8_8equal_toIS6_EEEE10hipError_tPvRmT2_T3_mT4_T5_T6_T7_T8_P12ihipStream_tbENKUlT_T0_E_clISt17integral_constantIbLb1EES14_IbLb0EEEEDaS10_S11_EUlS10_E_NS1_11comp_targetILNS1_3genE10ELNS1_11target_archE1200ELNS1_3gpuE4ELNS1_3repE0EEENS1_30default_config_static_selectorELNS0_4arch9wavefront6targetE1EEEvT1_.kd
    .uniform_work_group_size: 1
    .uses_dynamic_stack: false
    .vgpr_count:     0
    .vgpr_spill_count: 0
    .wavefront_size: 64
  - .args:
      - .offset:         0
        .size:           144
        .value_kind:     by_value
    .group_segment_fixed_size: 0
    .kernarg_segment_align: 8
    .kernarg_segment_size: 144
    .language:       OpenCL C
    .language_version:
      - 2
      - 0
    .max_flat_workgroup_size: 256
    .name:           _ZN7rocprim17ROCPRIM_400000_NS6detail17trampoline_kernelINS0_14default_configENS1_29reduce_by_key_config_selectorIN3c104HalfElN6thrust23THRUST_200600_302600_NS4plusIlEEEEZZNS1_33reduce_by_key_impl_wrapped_configILNS1_25lookback_scan_determinismE0ES3_SB_PS6_NS8_17constant_iteratorIiNS8_11use_defaultESG_EENS8_10device_ptrIS6_EENSI_IlEEPmSA_NS8_8equal_toIS6_EEEE10hipError_tPvRmT2_T3_mT4_T5_T6_T7_T8_P12ihipStream_tbENKUlT_T0_E_clISt17integral_constantIbLb1EES14_IbLb0EEEEDaS10_S11_EUlS10_E_NS1_11comp_targetILNS1_3genE9ELNS1_11target_archE1100ELNS1_3gpuE3ELNS1_3repE0EEENS1_30default_config_static_selectorELNS0_4arch9wavefront6targetE1EEEvT1_
    .private_segment_fixed_size: 0
    .sgpr_count:     4
    .sgpr_spill_count: 0
    .symbol:         _ZN7rocprim17ROCPRIM_400000_NS6detail17trampoline_kernelINS0_14default_configENS1_29reduce_by_key_config_selectorIN3c104HalfElN6thrust23THRUST_200600_302600_NS4plusIlEEEEZZNS1_33reduce_by_key_impl_wrapped_configILNS1_25lookback_scan_determinismE0ES3_SB_PS6_NS8_17constant_iteratorIiNS8_11use_defaultESG_EENS8_10device_ptrIS6_EENSI_IlEEPmSA_NS8_8equal_toIS6_EEEE10hipError_tPvRmT2_T3_mT4_T5_T6_T7_T8_P12ihipStream_tbENKUlT_T0_E_clISt17integral_constantIbLb1EES14_IbLb0EEEEDaS10_S11_EUlS10_E_NS1_11comp_targetILNS1_3genE9ELNS1_11target_archE1100ELNS1_3gpuE3ELNS1_3repE0EEENS1_30default_config_static_selectorELNS0_4arch9wavefront6targetE1EEEvT1_.kd
    .uniform_work_group_size: 1
    .uses_dynamic_stack: false
    .vgpr_count:     0
    .vgpr_spill_count: 0
    .wavefront_size: 64
  - .args:
      - .offset:         0
        .size:           144
        .value_kind:     by_value
    .group_segment_fixed_size: 0
    .kernarg_segment_align: 8
    .kernarg_segment_size: 144
    .language:       OpenCL C
    .language_version:
      - 2
      - 0
    .max_flat_workgroup_size: 256
    .name:           _ZN7rocprim17ROCPRIM_400000_NS6detail17trampoline_kernelINS0_14default_configENS1_29reduce_by_key_config_selectorIN3c104HalfElN6thrust23THRUST_200600_302600_NS4plusIlEEEEZZNS1_33reduce_by_key_impl_wrapped_configILNS1_25lookback_scan_determinismE0ES3_SB_PS6_NS8_17constant_iteratorIiNS8_11use_defaultESG_EENS8_10device_ptrIS6_EENSI_IlEEPmSA_NS8_8equal_toIS6_EEEE10hipError_tPvRmT2_T3_mT4_T5_T6_T7_T8_P12ihipStream_tbENKUlT_T0_E_clISt17integral_constantIbLb1EES14_IbLb0EEEEDaS10_S11_EUlS10_E_NS1_11comp_targetILNS1_3genE8ELNS1_11target_archE1030ELNS1_3gpuE2ELNS1_3repE0EEENS1_30default_config_static_selectorELNS0_4arch9wavefront6targetE1EEEvT1_
    .private_segment_fixed_size: 0
    .sgpr_count:     4
    .sgpr_spill_count: 0
    .symbol:         _ZN7rocprim17ROCPRIM_400000_NS6detail17trampoline_kernelINS0_14default_configENS1_29reduce_by_key_config_selectorIN3c104HalfElN6thrust23THRUST_200600_302600_NS4plusIlEEEEZZNS1_33reduce_by_key_impl_wrapped_configILNS1_25lookback_scan_determinismE0ES3_SB_PS6_NS8_17constant_iteratorIiNS8_11use_defaultESG_EENS8_10device_ptrIS6_EENSI_IlEEPmSA_NS8_8equal_toIS6_EEEE10hipError_tPvRmT2_T3_mT4_T5_T6_T7_T8_P12ihipStream_tbENKUlT_T0_E_clISt17integral_constantIbLb1EES14_IbLb0EEEEDaS10_S11_EUlS10_E_NS1_11comp_targetILNS1_3genE8ELNS1_11target_archE1030ELNS1_3gpuE2ELNS1_3repE0EEENS1_30default_config_static_selectorELNS0_4arch9wavefront6targetE1EEEvT1_.kd
    .uniform_work_group_size: 1
    .uses_dynamic_stack: false
    .vgpr_count:     0
    .vgpr_spill_count: 0
    .wavefront_size: 64
  - .args:
      - .offset:         0
        .size:           144
        .value_kind:     by_value
    .group_segment_fixed_size: 0
    .kernarg_segment_align: 8
    .kernarg_segment_size: 144
    .language:       OpenCL C
    .language_version:
      - 2
      - 0
    .max_flat_workgroup_size: 256
    .name:           _ZN7rocprim17ROCPRIM_400000_NS6detail17trampoline_kernelINS0_14default_configENS1_29reduce_by_key_config_selectorIN3c104HalfElN6thrust23THRUST_200600_302600_NS4plusIlEEEEZZNS1_33reduce_by_key_impl_wrapped_configILNS1_25lookback_scan_determinismE0ES3_SB_PS6_NS8_17constant_iteratorIiNS8_11use_defaultESG_EENS8_10device_ptrIS6_EENSI_IlEEPmSA_NS8_8equal_toIS6_EEEE10hipError_tPvRmT2_T3_mT4_T5_T6_T7_T8_P12ihipStream_tbENKUlT_T0_E_clISt17integral_constantIbLb0EES14_IbLb1EEEEDaS10_S11_EUlS10_E_NS1_11comp_targetILNS1_3genE0ELNS1_11target_archE4294967295ELNS1_3gpuE0ELNS1_3repE0EEENS1_30default_config_static_selectorELNS0_4arch9wavefront6targetE1EEEvT1_
    .private_segment_fixed_size: 0
    .sgpr_count:     4
    .sgpr_spill_count: 0
    .symbol:         _ZN7rocprim17ROCPRIM_400000_NS6detail17trampoline_kernelINS0_14default_configENS1_29reduce_by_key_config_selectorIN3c104HalfElN6thrust23THRUST_200600_302600_NS4plusIlEEEEZZNS1_33reduce_by_key_impl_wrapped_configILNS1_25lookback_scan_determinismE0ES3_SB_PS6_NS8_17constant_iteratorIiNS8_11use_defaultESG_EENS8_10device_ptrIS6_EENSI_IlEEPmSA_NS8_8equal_toIS6_EEEE10hipError_tPvRmT2_T3_mT4_T5_T6_T7_T8_P12ihipStream_tbENKUlT_T0_E_clISt17integral_constantIbLb0EES14_IbLb1EEEEDaS10_S11_EUlS10_E_NS1_11comp_targetILNS1_3genE0ELNS1_11target_archE4294967295ELNS1_3gpuE0ELNS1_3repE0EEENS1_30default_config_static_selectorELNS0_4arch9wavefront6targetE1EEEvT1_.kd
    .uniform_work_group_size: 1
    .uses_dynamic_stack: false
    .vgpr_count:     0
    .vgpr_spill_count: 0
    .wavefront_size: 64
  - .args:
      - .offset:         0
        .size:           144
        .value_kind:     by_value
    .group_segment_fixed_size: 0
    .kernarg_segment_align: 8
    .kernarg_segment_size: 144
    .language:       OpenCL C
    .language_version:
      - 2
      - 0
    .max_flat_workgroup_size: 256
    .name:           _ZN7rocprim17ROCPRIM_400000_NS6detail17trampoline_kernelINS0_14default_configENS1_29reduce_by_key_config_selectorIN3c104HalfElN6thrust23THRUST_200600_302600_NS4plusIlEEEEZZNS1_33reduce_by_key_impl_wrapped_configILNS1_25lookback_scan_determinismE0ES3_SB_PS6_NS8_17constant_iteratorIiNS8_11use_defaultESG_EENS8_10device_ptrIS6_EENSI_IlEEPmSA_NS8_8equal_toIS6_EEEE10hipError_tPvRmT2_T3_mT4_T5_T6_T7_T8_P12ihipStream_tbENKUlT_T0_E_clISt17integral_constantIbLb0EES14_IbLb1EEEEDaS10_S11_EUlS10_E_NS1_11comp_targetILNS1_3genE5ELNS1_11target_archE942ELNS1_3gpuE9ELNS1_3repE0EEENS1_30default_config_static_selectorELNS0_4arch9wavefront6targetE1EEEvT1_
    .private_segment_fixed_size: 0
    .sgpr_count:     4
    .sgpr_spill_count: 0
    .symbol:         _ZN7rocprim17ROCPRIM_400000_NS6detail17trampoline_kernelINS0_14default_configENS1_29reduce_by_key_config_selectorIN3c104HalfElN6thrust23THRUST_200600_302600_NS4plusIlEEEEZZNS1_33reduce_by_key_impl_wrapped_configILNS1_25lookback_scan_determinismE0ES3_SB_PS6_NS8_17constant_iteratorIiNS8_11use_defaultESG_EENS8_10device_ptrIS6_EENSI_IlEEPmSA_NS8_8equal_toIS6_EEEE10hipError_tPvRmT2_T3_mT4_T5_T6_T7_T8_P12ihipStream_tbENKUlT_T0_E_clISt17integral_constantIbLb0EES14_IbLb1EEEEDaS10_S11_EUlS10_E_NS1_11comp_targetILNS1_3genE5ELNS1_11target_archE942ELNS1_3gpuE9ELNS1_3repE0EEENS1_30default_config_static_selectorELNS0_4arch9wavefront6targetE1EEEvT1_.kd
    .uniform_work_group_size: 1
    .uses_dynamic_stack: false
    .vgpr_count:     0
    .vgpr_spill_count: 0
    .wavefront_size: 64
  - .args:
      - .offset:         0
        .size:           144
        .value_kind:     by_value
    .group_segment_fixed_size: 0
    .kernarg_segment_align: 8
    .kernarg_segment_size: 144
    .language:       OpenCL C
    .language_version:
      - 2
      - 0
    .max_flat_workgroup_size: 256
    .name:           _ZN7rocprim17ROCPRIM_400000_NS6detail17trampoline_kernelINS0_14default_configENS1_29reduce_by_key_config_selectorIN3c104HalfElN6thrust23THRUST_200600_302600_NS4plusIlEEEEZZNS1_33reduce_by_key_impl_wrapped_configILNS1_25lookback_scan_determinismE0ES3_SB_PS6_NS8_17constant_iteratorIiNS8_11use_defaultESG_EENS8_10device_ptrIS6_EENSI_IlEEPmSA_NS8_8equal_toIS6_EEEE10hipError_tPvRmT2_T3_mT4_T5_T6_T7_T8_P12ihipStream_tbENKUlT_T0_E_clISt17integral_constantIbLb0EES14_IbLb1EEEEDaS10_S11_EUlS10_E_NS1_11comp_targetILNS1_3genE4ELNS1_11target_archE910ELNS1_3gpuE8ELNS1_3repE0EEENS1_30default_config_static_selectorELNS0_4arch9wavefront6targetE1EEEvT1_
    .private_segment_fixed_size: 0
    .sgpr_count:     4
    .sgpr_spill_count: 0
    .symbol:         _ZN7rocprim17ROCPRIM_400000_NS6detail17trampoline_kernelINS0_14default_configENS1_29reduce_by_key_config_selectorIN3c104HalfElN6thrust23THRUST_200600_302600_NS4plusIlEEEEZZNS1_33reduce_by_key_impl_wrapped_configILNS1_25lookback_scan_determinismE0ES3_SB_PS6_NS8_17constant_iteratorIiNS8_11use_defaultESG_EENS8_10device_ptrIS6_EENSI_IlEEPmSA_NS8_8equal_toIS6_EEEE10hipError_tPvRmT2_T3_mT4_T5_T6_T7_T8_P12ihipStream_tbENKUlT_T0_E_clISt17integral_constantIbLb0EES14_IbLb1EEEEDaS10_S11_EUlS10_E_NS1_11comp_targetILNS1_3genE4ELNS1_11target_archE910ELNS1_3gpuE8ELNS1_3repE0EEENS1_30default_config_static_selectorELNS0_4arch9wavefront6targetE1EEEvT1_.kd
    .uniform_work_group_size: 1
    .uses_dynamic_stack: false
    .vgpr_count:     0
    .vgpr_spill_count: 0
    .wavefront_size: 64
  - .args:
      - .offset:         0
        .size:           144
        .value_kind:     by_value
    .group_segment_fixed_size: 0
    .kernarg_segment_align: 8
    .kernarg_segment_size: 144
    .language:       OpenCL C
    .language_version:
      - 2
      - 0
    .max_flat_workgroup_size: 256
    .name:           _ZN7rocprim17ROCPRIM_400000_NS6detail17trampoline_kernelINS0_14default_configENS1_29reduce_by_key_config_selectorIN3c104HalfElN6thrust23THRUST_200600_302600_NS4plusIlEEEEZZNS1_33reduce_by_key_impl_wrapped_configILNS1_25lookback_scan_determinismE0ES3_SB_PS6_NS8_17constant_iteratorIiNS8_11use_defaultESG_EENS8_10device_ptrIS6_EENSI_IlEEPmSA_NS8_8equal_toIS6_EEEE10hipError_tPvRmT2_T3_mT4_T5_T6_T7_T8_P12ihipStream_tbENKUlT_T0_E_clISt17integral_constantIbLb0EES14_IbLb1EEEEDaS10_S11_EUlS10_E_NS1_11comp_targetILNS1_3genE3ELNS1_11target_archE908ELNS1_3gpuE7ELNS1_3repE0EEENS1_30default_config_static_selectorELNS0_4arch9wavefront6targetE1EEEvT1_
    .private_segment_fixed_size: 0
    .sgpr_count:     4
    .sgpr_spill_count: 0
    .symbol:         _ZN7rocprim17ROCPRIM_400000_NS6detail17trampoline_kernelINS0_14default_configENS1_29reduce_by_key_config_selectorIN3c104HalfElN6thrust23THRUST_200600_302600_NS4plusIlEEEEZZNS1_33reduce_by_key_impl_wrapped_configILNS1_25lookback_scan_determinismE0ES3_SB_PS6_NS8_17constant_iteratorIiNS8_11use_defaultESG_EENS8_10device_ptrIS6_EENSI_IlEEPmSA_NS8_8equal_toIS6_EEEE10hipError_tPvRmT2_T3_mT4_T5_T6_T7_T8_P12ihipStream_tbENKUlT_T0_E_clISt17integral_constantIbLb0EES14_IbLb1EEEEDaS10_S11_EUlS10_E_NS1_11comp_targetILNS1_3genE3ELNS1_11target_archE908ELNS1_3gpuE7ELNS1_3repE0EEENS1_30default_config_static_selectorELNS0_4arch9wavefront6targetE1EEEvT1_.kd
    .uniform_work_group_size: 1
    .uses_dynamic_stack: false
    .vgpr_count:     0
    .vgpr_spill_count: 0
    .wavefront_size: 64
  - .args:
      - .offset:         0
        .size:           144
        .value_kind:     by_value
    .group_segment_fixed_size: 30720
    .kernarg_segment_align: 8
    .kernarg_segment_size: 144
    .language:       OpenCL C
    .language_version:
      - 2
      - 0
    .max_flat_workgroup_size: 256
    .name:           _ZN7rocprim17ROCPRIM_400000_NS6detail17trampoline_kernelINS0_14default_configENS1_29reduce_by_key_config_selectorIN3c104HalfElN6thrust23THRUST_200600_302600_NS4plusIlEEEEZZNS1_33reduce_by_key_impl_wrapped_configILNS1_25lookback_scan_determinismE0ES3_SB_PS6_NS8_17constant_iteratorIiNS8_11use_defaultESG_EENS8_10device_ptrIS6_EENSI_IlEEPmSA_NS8_8equal_toIS6_EEEE10hipError_tPvRmT2_T3_mT4_T5_T6_T7_T8_P12ihipStream_tbENKUlT_T0_E_clISt17integral_constantIbLb0EES14_IbLb1EEEEDaS10_S11_EUlS10_E_NS1_11comp_targetILNS1_3genE2ELNS1_11target_archE906ELNS1_3gpuE6ELNS1_3repE0EEENS1_30default_config_static_selectorELNS0_4arch9wavefront6targetE1EEEvT1_
    .private_segment_fixed_size: 64
    .sgpr_count:     72
    .sgpr_spill_count: 0
    .symbol:         _ZN7rocprim17ROCPRIM_400000_NS6detail17trampoline_kernelINS0_14default_configENS1_29reduce_by_key_config_selectorIN3c104HalfElN6thrust23THRUST_200600_302600_NS4plusIlEEEEZZNS1_33reduce_by_key_impl_wrapped_configILNS1_25lookback_scan_determinismE0ES3_SB_PS6_NS8_17constant_iteratorIiNS8_11use_defaultESG_EENS8_10device_ptrIS6_EENSI_IlEEPmSA_NS8_8equal_toIS6_EEEE10hipError_tPvRmT2_T3_mT4_T5_T6_T7_T8_P12ihipStream_tbENKUlT_T0_E_clISt17integral_constantIbLb0EES14_IbLb1EEEEDaS10_S11_EUlS10_E_NS1_11comp_targetILNS1_3genE2ELNS1_11target_archE906ELNS1_3gpuE6ELNS1_3repE0EEENS1_30default_config_static_selectorELNS0_4arch9wavefront6targetE1EEEvT1_.kd
    .uniform_work_group_size: 1
    .uses_dynamic_stack: false
    .vgpr_count:     106
    .vgpr_spill_count: 0
    .wavefront_size: 64
  - .args:
      - .offset:         0
        .size:           144
        .value_kind:     by_value
    .group_segment_fixed_size: 0
    .kernarg_segment_align: 8
    .kernarg_segment_size: 144
    .language:       OpenCL C
    .language_version:
      - 2
      - 0
    .max_flat_workgroup_size: 256
    .name:           _ZN7rocprim17ROCPRIM_400000_NS6detail17trampoline_kernelINS0_14default_configENS1_29reduce_by_key_config_selectorIN3c104HalfElN6thrust23THRUST_200600_302600_NS4plusIlEEEEZZNS1_33reduce_by_key_impl_wrapped_configILNS1_25lookback_scan_determinismE0ES3_SB_PS6_NS8_17constant_iteratorIiNS8_11use_defaultESG_EENS8_10device_ptrIS6_EENSI_IlEEPmSA_NS8_8equal_toIS6_EEEE10hipError_tPvRmT2_T3_mT4_T5_T6_T7_T8_P12ihipStream_tbENKUlT_T0_E_clISt17integral_constantIbLb0EES14_IbLb1EEEEDaS10_S11_EUlS10_E_NS1_11comp_targetILNS1_3genE10ELNS1_11target_archE1201ELNS1_3gpuE5ELNS1_3repE0EEENS1_30default_config_static_selectorELNS0_4arch9wavefront6targetE1EEEvT1_
    .private_segment_fixed_size: 0
    .sgpr_count:     4
    .sgpr_spill_count: 0
    .symbol:         _ZN7rocprim17ROCPRIM_400000_NS6detail17trampoline_kernelINS0_14default_configENS1_29reduce_by_key_config_selectorIN3c104HalfElN6thrust23THRUST_200600_302600_NS4plusIlEEEEZZNS1_33reduce_by_key_impl_wrapped_configILNS1_25lookback_scan_determinismE0ES3_SB_PS6_NS8_17constant_iteratorIiNS8_11use_defaultESG_EENS8_10device_ptrIS6_EENSI_IlEEPmSA_NS8_8equal_toIS6_EEEE10hipError_tPvRmT2_T3_mT4_T5_T6_T7_T8_P12ihipStream_tbENKUlT_T0_E_clISt17integral_constantIbLb0EES14_IbLb1EEEEDaS10_S11_EUlS10_E_NS1_11comp_targetILNS1_3genE10ELNS1_11target_archE1201ELNS1_3gpuE5ELNS1_3repE0EEENS1_30default_config_static_selectorELNS0_4arch9wavefront6targetE1EEEvT1_.kd
    .uniform_work_group_size: 1
    .uses_dynamic_stack: false
    .vgpr_count:     0
    .vgpr_spill_count: 0
    .wavefront_size: 64
  - .args:
      - .offset:         0
        .size:           144
        .value_kind:     by_value
    .group_segment_fixed_size: 0
    .kernarg_segment_align: 8
    .kernarg_segment_size: 144
    .language:       OpenCL C
    .language_version:
      - 2
      - 0
    .max_flat_workgroup_size: 256
    .name:           _ZN7rocprim17ROCPRIM_400000_NS6detail17trampoline_kernelINS0_14default_configENS1_29reduce_by_key_config_selectorIN3c104HalfElN6thrust23THRUST_200600_302600_NS4plusIlEEEEZZNS1_33reduce_by_key_impl_wrapped_configILNS1_25lookback_scan_determinismE0ES3_SB_PS6_NS8_17constant_iteratorIiNS8_11use_defaultESG_EENS8_10device_ptrIS6_EENSI_IlEEPmSA_NS8_8equal_toIS6_EEEE10hipError_tPvRmT2_T3_mT4_T5_T6_T7_T8_P12ihipStream_tbENKUlT_T0_E_clISt17integral_constantIbLb0EES14_IbLb1EEEEDaS10_S11_EUlS10_E_NS1_11comp_targetILNS1_3genE10ELNS1_11target_archE1200ELNS1_3gpuE4ELNS1_3repE0EEENS1_30default_config_static_selectorELNS0_4arch9wavefront6targetE1EEEvT1_
    .private_segment_fixed_size: 0
    .sgpr_count:     4
    .sgpr_spill_count: 0
    .symbol:         _ZN7rocprim17ROCPRIM_400000_NS6detail17trampoline_kernelINS0_14default_configENS1_29reduce_by_key_config_selectorIN3c104HalfElN6thrust23THRUST_200600_302600_NS4plusIlEEEEZZNS1_33reduce_by_key_impl_wrapped_configILNS1_25lookback_scan_determinismE0ES3_SB_PS6_NS8_17constant_iteratorIiNS8_11use_defaultESG_EENS8_10device_ptrIS6_EENSI_IlEEPmSA_NS8_8equal_toIS6_EEEE10hipError_tPvRmT2_T3_mT4_T5_T6_T7_T8_P12ihipStream_tbENKUlT_T0_E_clISt17integral_constantIbLb0EES14_IbLb1EEEEDaS10_S11_EUlS10_E_NS1_11comp_targetILNS1_3genE10ELNS1_11target_archE1200ELNS1_3gpuE4ELNS1_3repE0EEENS1_30default_config_static_selectorELNS0_4arch9wavefront6targetE1EEEvT1_.kd
    .uniform_work_group_size: 1
    .uses_dynamic_stack: false
    .vgpr_count:     0
    .vgpr_spill_count: 0
    .wavefront_size: 64
  - .args:
      - .offset:         0
        .size:           144
        .value_kind:     by_value
    .group_segment_fixed_size: 0
    .kernarg_segment_align: 8
    .kernarg_segment_size: 144
    .language:       OpenCL C
    .language_version:
      - 2
      - 0
    .max_flat_workgroup_size: 256
    .name:           _ZN7rocprim17ROCPRIM_400000_NS6detail17trampoline_kernelINS0_14default_configENS1_29reduce_by_key_config_selectorIN3c104HalfElN6thrust23THRUST_200600_302600_NS4plusIlEEEEZZNS1_33reduce_by_key_impl_wrapped_configILNS1_25lookback_scan_determinismE0ES3_SB_PS6_NS8_17constant_iteratorIiNS8_11use_defaultESG_EENS8_10device_ptrIS6_EENSI_IlEEPmSA_NS8_8equal_toIS6_EEEE10hipError_tPvRmT2_T3_mT4_T5_T6_T7_T8_P12ihipStream_tbENKUlT_T0_E_clISt17integral_constantIbLb0EES14_IbLb1EEEEDaS10_S11_EUlS10_E_NS1_11comp_targetILNS1_3genE9ELNS1_11target_archE1100ELNS1_3gpuE3ELNS1_3repE0EEENS1_30default_config_static_selectorELNS0_4arch9wavefront6targetE1EEEvT1_
    .private_segment_fixed_size: 0
    .sgpr_count:     4
    .sgpr_spill_count: 0
    .symbol:         _ZN7rocprim17ROCPRIM_400000_NS6detail17trampoline_kernelINS0_14default_configENS1_29reduce_by_key_config_selectorIN3c104HalfElN6thrust23THRUST_200600_302600_NS4plusIlEEEEZZNS1_33reduce_by_key_impl_wrapped_configILNS1_25lookback_scan_determinismE0ES3_SB_PS6_NS8_17constant_iteratorIiNS8_11use_defaultESG_EENS8_10device_ptrIS6_EENSI_IlEEPmSA_NS8_8equal_toIS6_EEEE10hipError_tPvRmT2_T3_mT4_T5_T6_T7_T8_P12ihipStream_tbENKUlT_T0_E_clISt17integral_constantIbLb0EES14_IbLb1EEEEDaS10_S11_EUlS10_E_NS1_11comp_targetILNS1_3genE9ELNS1_11target_archE1100ELNS1_3gpuE3ELNS1_3repE0EEENS1_30default_config_static_selectorELNS0_4arch9wavefront6targetE1EEEvT1_.kd
    .uniform_work_group_size: 1
    .uses_dynamic_stack: false
    .vgpr_count:     0
    .vgpr_spill_count: 0
    .wavefront_size: 64
  - .args:
      - .offset:         0
        .size:           144
        .value_kind:     by_value
    .group_segment_fixed_size: 0
    .kernarg_segment_align: 8
    .kernarg_segment_size: 144
    .language:       OpenCL C
    .language_version:
      - 2
      - 0
    .max_flat_workgroup_size: 256
    .name:           _ZN7rocprim17ROCPRIM_400000_NS6detail17trampoline_kernelINS0_14default_configENS1_29reduce_by_key_config_selectorIN3c104HalfElN6thrust23THRUST_200600_302600_NS4plusIlEEEEZZNS1_33reduce_by_key_impl_wrapped_configILNS1_25lookback_scan_determinismE0ES3_SB_PS6_NS8_17constant_iteratorIiNS8_11use_defaultESG_EENS8_10device_ptrIS6_EENSI_IlEEPmSA_NS8_8equal_toIS6_EEEE10hipError_tPvRmT2_T3_mT4_T5_T6_T7_T8_P12ihipStream_tbENKUlT_T0_E_clISt17integral_constantIbLb0EES14_IbLb1EEEEDaS10_S11_EUlS10_E_NS1_11comp_targetILNS1_3genE8ELNS1_11target_archE1030ELNS1_3gpuE2ELNS1_3repE0EEENS1_30default_config_static_selectorELNS0_4arch9wavefront6targetE1EEEvT1_
    .private_segment_fixed_size: 0
    .sgpr_count:     4
    .sgpr_spill_count: 0
    .symbol:         _ZN7rocprim17ROCPRIM_400000_NS6detail17trampoline_kernelINS0_14default_configENS1_29reduce_by_key_config_selectorIN3c104HalfElN6thrust23THRUST_200600_302600_NS4plusIlEEEEZZNS1_33reduce_by_key_impl_wrapped_configILNS1_25lookback_scan_determinismE0ES3_SB_PS6_NS8_17constant_iteratorIiNS8_11use_defaultESG_EENS8_10device_ptrIS6_EENSI_IlEEPmSA_NS8_8equal_toIS6_EEEE10hipError_tPvRmT2_T3_mT4_T5_T6_T7_T8_P12ihipStream_tbENKUlT_T0_E_clISt17integral_constantIbLb0EES14_IbLb1EEEEDaS10_S11_EUlS10_E_NS1_11comp_targetILNS1_3genE8ELNS1_11target_archE1030ELNS1_3gpuE2ELNS1_3repE0EEENS1_30default_config_static_selectorELNS0_4arch9wavefront6targetE1EEEvT1_.kd
    .uniform_work_group_size: 1
    .uses_dynamic_stack: false
    .vgpr_count:     0
    .vgpr_spill_count: 0
    .wavefront_size: 64
  - .args:
      - .offset:         0
        .size:           88
        .value_kind:     by_value
    .group_segment_fixed_size: 0
    .kernarg_segment_align: 8
    .kernarg_segment_size: 88
    .language:       OpenCL C
    .language_version:
      - 2
      - 0
    .max_flat_workgroup_size: 128
    .name:           _ZN7rocprim17ROCPRIM_400000_NS6detail17trampoline_kernelINS0_14default_configENS1_22reduce_config_selectorIN6thrust23THRUST_200600_302600_NS5tupleIblNS6_9null_typeES8_S8_S8_S8_S8_S8_S8_EEEEZNS1_11reduce_implILb1ES3_NS6_12zip_iteratorINS7_INS6_11hip_rocprim26transform_input_iterator_tIbPN3c104HalfENS6_6detail10functional5actorINSJ_9compositeIJNSJ_27transparent_binary_operatorINS6_8equal_toIvEEEENSK_INSJ_8argumentILj0EEEEENSJ_5valueISG_EEEEEEEEENSD_19counting_iterator_tIlEES8_S8_S8_S8_S8_S8_S8_S8_EEEEPS9_S9_NSD_9__find_if7functorIS9_EEEE10hipError_tPvRmT1_T2_T3_mT4_P12ihipStream_tbEUlT_E0_NS1_11comp_targetILNS1_3genE0ELNS1_11target_archE4294967295ELNS1_3gpuE0ELNS1_3repE0EEENS1_30default_config_static_selectorELNS0_4arch9wavefront6targetE1EEEvS19_
    .private_segment_fixed_size: 0
    .sgpr_count:     4
    .sgpr_spill_count: 0
    .symbol:         _ZN7rocprim17ROCPRIM_400000_NS6detail17trampoline_kernelINS0_14default_configENS1_22reduce_config_selectorIN6thrust23THRUST_200600_302600_NS5tupleIblNS6_9null_typeES8_S8_S8_S8_S8_S8_S8_EEEEZNS1_11reduce_implILb1ES3_NS6_12zip_iteratorINS7_INS6_11hip_rocprim26transform_input_iterator_tIbPN3c104HalfENS6_6detail10functional5actorINSJ_9compositeIJNSJ_27transparent_binary_operatorINS6_8equal_toIvEEEENSK_INSJ_8argumentILj0EEEEENSJ_5valueISG_EEEEEEEEENSD_19counting_iterator_tIlEES8_S8_S8_S8_S8_S8_S8_S8_EEEEPS9_S9_NSD_9__find_if7functorIS9_EEEE10hipError_tPvRmT1_T2_T3_mT4_P12ihipStream_tbEUlT_E0_NS1_11comp_targetILNS1_3genE0ELNS1_11target_archE4294967295ELNS1_3gpuE0ELNS1_3repE0EEENS1_30default_config_static_selectorELNS0_4arch9wavefront6targetE1EEEvS19_.kd
    .uniform_work_group_size: 1
    .uses_dynamic_stack: false
    .vgpr_count:     0
    .vgpr_spill_count: 0
    .wavefront_size: 64
  - .args:
      - .offset:         0
        .size:           88
        .value_kind:     by_value
    .group_segment_fixed_size: 0
    .kernarg_segment_align: 8
    .kernarg_segment_size: 88
    .language:       OpenCL C
    .language_version:
      - 2
      - 0
    .max_flat_workgroup_size: 256
    .name:           _ZN7rocprim17ROCPRIM_400000_NS6detail17trampoline_kernelINS0_14default_configENS1_22reduce_config_selectorIN6thrust23THRUST_200600_302600_NS5tupleIblNS6_9null_typeES8_S8_S8_S8_S8_S8_S8_EEEEZNS1_11reduce_implILb1ES3_NS6_12zip_iteratorINS7_INS6_11hip_rocprim26transform_input_iterator_tIbPN3c104HalfENS6_6detail10functional5actorINSJ_9compositeIJNSJ_27transparent_binary_operatorINS6_8equal_toIvEEEENSK_INSJ_8argumentILj0EEEEENSJ_5valueISG_EEEEEEEEENSD_19counting_iterator_tIlEES8_S8_S8_S8_S8_S8_S8_S8_EEEEPS9_S9_NSD_9__find_if7functorIS9_EEEE10hipError_tPvRmT1_T2_T3_mT4_P12ihipStream_tbEUlT_E0_NS1_11comp_targetILNS1_3genE5ELNS1_11target_archE942ELNS1_3gpuE9ELNS1_3repE0EEENS1_30default_config_static_selectorELNS0_4arch9wavefront6targetE1EEEvS19_
    .private_segment_fixed_size: 0
    .sgpr_count:     4
    .sgpr_spill_count: 0
    .symbol:         _ZN7rocprim17ROCPRIM_400000_NS6detail17trampoline_kernelINS0_14default_configENS1_22reduce_config_selectorIN6thrust23THRUST_200600_302600_NS5tupleIblNS6_9null_typeES8_S8_S8_S8_S8_S8_S8_EEEEZNS1_11reduce_implILb1ES3_NS6_12zip_iteratorINS7_INS6_11hip_rocprim26transform_input_iterator_tIbPN3c104HalfENS6_6detail10functional5actorINSJ_9compositeIJNSJ_27transparent_binary_operatorINS6_8equal_toIvEEEENSK_INSJ_8argumentILj0EEEEENSJ_5valueISG_EEEEEEEEENSD_19counting_iterator_tIlEES8_S8_S8_S8_S8_S8_S8_S8_EEEEPS9_S9_NSD_9__find_if7functorIS9_EEEE10hipError_tPvRmT1_T2_T3_mT4_P12ihipStream_tbEUlT_E0_NS1_11comp_targetILNS1_3genE5ELNS1_11target_archE942ELNS1_3gpuE9ELNS1_3repE0EEENS1_30default_config_static_selectorELNS0_4arch9wavefront6targetE1EEEvS19_.kd
    .uniform_work_group_size: 1
    .uses_dynamic_stack: false
    .vgpr_count:     0
    .vgpr_spill_count: 0
    .wavefront_size: 64
  - .args:
      - .offset:         0
        .size:           88
        .value_kind:     by_value
    .group_segment_fixed_size: 0
    .kernarg_segment_align: 8
    .kernarg_segment_size: 88
    .language:       OpenCL C
    .language_version:
      - 2
      - 0
    .max_flat_workgroup_size: 256
    .name:           _ZN7rocprim17ROCPRIM_400000_NS6detail17trampoline_kernelINS0_14default_configENS1_22reduce_config_selectorIN6thrust23THRUST_200600_302600_NS5tupleIblNS6_9null_typeES8_S8_S8_S8_S8_S8_S8_EEEEZNS1_11reduce_implILb1ES3_NS6_12zip_iteratorINS7_INS6_11hip_rocprim26transform_input_iterator_tIbPN3c104HalfENS6_6detail10functional5actorINSJ_9compositeIJNSJ_27transparent_binary_operatorINS6_8equal_toIvEEEENSK_INSJ_8argumentILj0EEEEENSJ_5valueISG_EEEEEEEEENSD_19counting_iterator_tIlEES8_S8_S8_S8_S8_S8_S8_S8_EEEEPS9_S9_NSD_9__find_if7functorIS9_EEEE10hipError_tPvRmT1_T2_T3_mT4_P12ihipStream_tbEUlT_E0_NS1_11comp_targetILNS1_3genE4ELNS1_11target_archE910ELNS1_3gpuE8ELNS1_3repE0EEENS1_30default_config_static_selectorELNS0_4arch9wavefront6targetE1EEEvS19_
    .private_segment_fixed_size: 0
    .sgpr_count:     4
    .sgpr_spill_count: 0
    .symbol:         _ZN7rocprim17ROCPRIM_400000_NS6detail17trampoline_kernelINS0_14default_configENS1_22reduce_config_selectorIN6thrust23THRUST_200600_302600_NS5tupleIblNS6_9null_typeES8_S8_S8_S8_S8_S8_S8_EEEEZNS1_11reduce_implILb1ES3_NS6_12zip_iteratorINS7_INS6_11hip_rocprim26transform_input_iterator_tIbPN3c104HalfENS6_6detail10functional5actorINSJ_9compositeIJNSJ_27transparent_binary_operatorINS6_8equal_toIvEEEENSK_INSJ_8argumentILj0EEEEENSJ_5valueISG_EEEEEEEEENSD_19counting_iterator_tIlEES8_S8_S8_S8_S8_S8_S8_S8_EEEEPS9_S9_NSD_9__find_if7functorIS9_EEEE10hipError_tPvRmT1_T2_T3_mT4_P12ihipStream_tbEUlT_E0_NS1_11comp_targetILNS1_3genE4ELNS1_11target_archE910ELNS1_3gpuE8ELNS1_3repE0EEENS1_30default_config_static_selectorELNS0_4arch9wavefront6targetE1EEEvS19_.kd
    .uniform_work_group_size: 1
    .uses_dynamic_stack: false
    .vgpr_count:     0
    .vgpr_spill_count: 0
    .wavefront_size: 64
  - .args:
      - .offset:         0
        .size:           88
        .value_kind:     by_value
    .group_segment_fixed_size: 0
    .kernarg_segment_align: 8
    .kernarg_segment_size: 88
    .language:       OpenCL C
    .language_version:
      - 2
      - 0
    .max_flat_workgroup_size: 128
    .name:           _ZN7rocprim17ROCPRIM_400000_NS6detail17trampoline_kernelINS0_14default_configENS1_22reduce_config_selectorIN6thrust23THRUST_200600_302600_NS5tupleIblNS6_9null_typeES8_S8_S8_S8_S8_S8_S8_EEEEZNS1_11reduce_implILb1ES3_NS6_12zip_iteratorINS7_INS6_11hip_rocprim26transform_input_iterator_tIbPN3c104HalfENS6_6detail10functional5actorINSJ_9compositeIJNSJ_27transparent_binary_operatorINS6_8equal_toIvEEEENSK_INSJ_8argumentILj0EEEEENSJ_5valueISG_EEEEEEEEENSD_19counting_iterator_tIlEES8_S8_S8_S8_S8_S8_S8_S8_EEEEPS9_S9_NSD_9__find_if7functorIS9_EEEE10hipError_tPvRmT1_T2_T3_mT4_P12ihipStream_tbEUlT_E0_NS1_11comp_targetILNS1_3genE3ELNS1_11target_archE908ELNS1_3gpuE7ELNS1_3repE0EEENS1_30default_config_static_selectorELNS0_4arch9wavefront6targetE1EEEvS19_
    .private_segment_fixed_size: 0
    .sgpr_count:     4
    .sgpr_spill_count: 0
    .symbol:         _ZN7rocprim17ROCPRIM_400000_NS6detail17trampoline_kernelINS0_14default_configENS1_22reduce_config_selectorIN6thrust23THRUST_200600_302600_NS5tupleIblNS6_9null_typeES8_S8_S8_S8_S8_S8_S8_EEEEZNS1_11reduce_implILb1ES3_NS6_12zip_iteratorINS7_INS6_11hip_rocprim26transform_input_iterator_tIbPN3c104HalfENS6_6detail10functional5actorINSJ_9compositeIJNSJ_27transparent_binary_operatorINS6_8equal_toIvEEEENSK_INSJ_8argumentILj0EEEEENSJ_5valueISG_EEEEEEEEENSD_19counting_iterator_tIlEES8_S8_S8_S8_S8_S8_S8_S8_EEEEPS9_S9_NSD_9__find_if7functorIS9_EEEE10hipError_tPvRmT1_T2_T3_mT4_P12ihipStream_tbEUlT_E0_NS1_11comp_targetILNS1_3genE3ELNS1_11target_archE908ELNS1_3gpuE7ELNS1_3repE0EEENS1_30default_config_static_selectorELNS0_4arch9wavefront6targetE1EEEvS19_.kd
    .uniform_work_group_size: 1
    .uses_dynamic_stack: false
    .vgpr_count:     0
    .vgpr_spill_count: 0
    .wavefront_size: 64
  - .args:
      - .offset:         0
        .size:           88
        .value_kind:     by_value
    .group_segment_fixed_size: 64
    .kernarg_segment_align: 8
    .kernarg_segment_size: 88
    .language:       OpenCL C
    .language_version:
      - 2
      - 0
    .max_flat_workgroup_size: 128
    .name:           _ZN7rocprim17ROCPRIM_400000_NS6detail17trampoline_kernelINS0_14default_configENS1_22reduce_config_selectorIN6thrust23THRUST_200600_302600_NS5tupleIblNS6_9null_typeES8_S8_S8_S8_S8_S8_S8_EEEEZNS1_11reduce_implILb1ES3_NS6_12zip_iteratorINS7_INS6_11hip_rocprim26transform_input_iterator_tIbPN3c104HalfENS6_6detail10functional5actorINSJ_9compositeIJNSJ_27transparent_binary_operatorINS6_8equal_toIvEEEENSK_INSJ_8argumentILj0EEEEENSJ_5valueISG_EEEEEEEEENSD_19counting_iterator_tIlEES8_S8_S8_S8_S8_S8_S8_S8_EEEEPS9_S9_NSD_9__find_if7functorIS9_EEEE10hipError_tPvRmT1_T2_T3_mT4_P12ihipStream_tbEUlT_E0_NS1_11comp_targetILNS1_3genE2ELNS1_11target_archE906ELNS1_3gpuE6ELNS1_3repE0EEENS1_30default_config_static_selectorELNS0_4arch9wavefront6targetE1EEEvS19_
    .private_segment_fixed_size: 0
    .sgpr_count:     33
    .sgpr_spill_count: 0
    .symbol:         _ZN7rocprim17ROCPRIM_400000_NS6detail17trampoline_kernelINS0_14default_configENS1_22reduce_config_selectorIN6thrust23THRUST_200600_302600_NS5tupleIblNS6_9null_typeES8_S8_S8_S8_S8_S8_S8_EEEEZNS1_11reduce_implILb1ES3_NS6_12zip_iteratorINS7_INS6_11hip_rocprim26transform_input_iterator_tIbPN3c104HalfENS6_6detail10functional5actorINSJ_9compositeIJNSJ_27transparent_binary_operatorINS6_8equal_toIvEEEENSK_INSJ_8argumentILj0EEEEENSJ_5valueISG_EEEEEEEEENSD_19counting_iterator_tIlEES8_S8_S8_S8_S8_S8_S8_S8_EEEEPS9_S9_NSD_9__find_if7functorIS9_EEEE10hipError_tPvRmT1_T2_T3_mT4_P12ihipStream_tbEUlT_E0_NS1_11comp_targetILNS1_3genE2ELNS1_11target_archE906ELNS1_3gpuE6ELNS1_3repE0EEENS1_30default_config_static_selectorELNS0_4arch9wavefront6targetE1EEEvS19_.kd
    .uniform_work_group_size: 1
    .uses_dynamic_stack: false
    .vgpr_count:     13
    .vgpr_spill_count: 0
    .wavefront_size: 64
  - .args:
      - .offset:         0
        .size:           88
        .value_kind:     by_value
    .group_segment_fixed_size: 0
    .kernarg_segment_align: 8
    .kernarg_segment_size: 88
    .language:       OpenCL C
    .language_version:
      - 2
      - 0
    .max_flat_workgroup_size: 256
    .name:           _ZN7rocprim17ROCPRIM_400000_NS6detail17trampoline_kernelINS0_14default_configENS1_22reduce_config_selectorIN6thrust23THRUST_200600_302600_NS5tupleIblNS6_9null_typeES8_S8_S8_S8_S8_S8_S8_EEEEZNS1_11reduce_implILb1ES3_NS6_12zip_iteratorINS7_INS6_11hip_rocprim26transform_input_iterator_tIbPN3c104HalfENS6_6detail10functional5actorINSJ_9compositeIJNSJ_27transparent_binary_operatorINS6_8equal_toIvEEEENSK_INSJ_8argumentILj0EEEEENSJ_5valueISG_EEEEEEEEENSD_19counting_iterator_tIlEES8_S8_S8_S8_S8_S8_S8_S8_EEEEPS9_S9_NSD_9__find_if7functorIS9_EEEE10hipError_tPvRmT1_T2_T3_mT4_P12ihipStream_tbEUlT_E0_NS1_11comp_targetILNS1_3genE10ELNS1_11target_archE1201ELNS1_3gpuE5ELNS1_3repE0EEENS1_30default_config_static_selectorELNS0_4arch9wavefront6targetE1EEEvS19_
    .private_segment_fixed_size: 0
    .sgpr_count:     4
    .sgpr_spill_count: 0
    .symbol:         _ZN7rocprim17ROCPRIM_400000_NS6detail17trampoline_kernelINS0_14default_configENS1_22reduce_config_selectorIN6thrust23THRUST_200600_302600_NS5tupleIblNS6_9null_typeES8_S8_S8_S8_S8_S8_S8_EEEEZNS1_11reduce_implILb1ES3_NS6_12zip_iteratorINS7_INS6_11hip_rocprim26transform_input_iterator_tIbPN3c104HalfENS6_6detail10functional5actorINSJ_9compositeIJNSJ_27transparent_binary_operatorINS6_8equal_toIvEEEENSK_INSJ_8argumentILj0EEEEENSJ_5valueISG_EEEEEEEEENSD_19counting_iterator_tIlEES8_S8_S8_S8_S8_S8_S8_S8_EEEEPS9_S9_NSD_9__find_if7functorIS9_EEEE10hipError_tPvRmT1_T2_T3_mT4_P12ihipStream_tbEUlT_E0_NS1_11comp_targetILNS1_3genE10ELNS1_11target_archE1201ELNS1_3gpuE5ELNS1_3repE0EEENS1_30default_config_static_selectorELNS0_4arch9wavefront6targetE1EEEvS19_.kd
    .uniform_work_group_size: 1
    .uses_dynamic_stack: false
    .vgpr_count:     0
    .vgpr_spill_count: 0
    .wavefront_size: 64
  - .args:
      - .offset:         0
        .size:           88
        .value_kind:     by_value
    .group_segment_fixed_size: 0
    .kernarg_segment_align: 8
    .kernarg_segment_size: 88
    .language:       OpenCL C
    .language_version:
      - 2
      - 0
    .max_flat_workgroup_size: 256
    .name:           _ZN7rocprim17ROCPRIM_400000_NS6detail17trampoline_kernelINS0_14default_configENS1_22reduce_config_selectorIN6thrust23THRUST_200600_302600_NS5tupleIblNS6_9null_typeES8_S8_S8_S8_S8_S8_S8_EEEEZNS1_11reduce_implILb1ES3_NS6_12zip_iteratorINS7_INS6_11hip_rocprim26transform_input_iterator_tIbPN3c104HalfENS6_6detail10functional5actorINSJ_9compositeIJNSJ_27transparent_binary_operatorINS6_8equal_toIvEEEENSK_INSJ_8argumentILj0EEEEENSJ_5valueISG_EEEEEEEEENSD_19counting_iterator_tIlEES8_S8_S8_S8_S8_S8_S8_S8_EEEEPS9_S9_NSD_9__find_if7functorIS9_EEEE10hipError_tPvRmT1_T2_T3_mT4_P12ihipStream_tbEUlT_E0_NS1_11comp_targetILNS1_3genE10ELNS1_11target_archE1200ELNS1_3gpuE4ELNS1_3repE0EEENS1_30default_config_static_selectorELNS0_4arch9wavefront6targetE1EEEvS19_
    .private_segment_fixed_size: 0
    .sgpr_count:     4
    .sgpr_spill_count: 0
    .symbol:         _ZN7rocprim17ROCPRIM_400000_NS6detail17trampoline_kernelINS0_14default_configENS1_22reduce_config_selectorIN6thrust23THRUST_200600_302600_NS5tupleIblNS6_9null_typeES8_S8_S8_S8_S8_S8_S8_EEEEZNS1_11reduce_implILb1ES3_NS6_12zip_iteratorINS7_INS6_11hip_rocprim26transform_input_iterator_tIbPN3c104HalfENS6_6detail10functional5actorINSJ_9compositeIJNSJ_27transparent_binary_operatorINS6_8equal_toIvEEEENSK_INSJ_8argumentILj0EEEEENSJ_5valueISG_EEEEEEEEENSD_19counting_iterator_tIlEES8_S8_S8_S8_S8_S8_S8_S8_EEEEPS9_S9_NSD_9__find_if7functorIS9_EEEE10hipError_tPvRmT1_T2_T3_mT4_P12ihipStream_tbEUlT_E0_NS1_11comp_targetILNS1_3genE10ELNS1_11target_archE1200ELNS1_3gpuE4ELNS1_3repE0EEENS1_30default_config_static_selectorELNS0_4arch9wavefront6targetE1EEEvS19_.kd
    .uniform_work_group_size: 1
    .uses_dynamic_stack: false
    .vgpr_count:     0
    .vgpr_spill_count: 0
    .wavefront_size: 64
  - .args:
      - .offset:         0
        .size:           88
        .value_kind:     by_value
    .group_segment_fixed_size: 0
    .kernarg_segment_align: 8
    .kernarg_segment_size: 88
    .language:       OpenCL C
    .language_version:
      - 2
      - 0
    .max_flat_workgroup_size: 256
    .name:           _ZN7rocprim17ROCPRIM_400000_NS6detail17trampoline_kernelINS0_14default_configENS1_22reduce_config_selectorIN6thrust23THRUST_200600_302600_NS5tupleIblNS6_9null_typeES8_S8_S8_S8_S8_S8_S8_EEEEZNS1_11reduce_implILb1ES3_NS6_12zip_iteratorINS7_INS6_11hip_rocprim26transform_input_iterator_tIbPN3c104HalfENS6_6detail10functional5actorINSJ_9compositeIJNSJ_27transparent_binary_operatorINS6_8equal_toIvEEEENSK_INSJ_8argumentILj0EEEEENSJ_5valueISG_EEEEEEEEENSD_19counting_iterator_tIlEES8_S8_S8_S8_S8_S8_S8_S8_EEEEPS9_S9_NSD_9__find_if7functorIS9_EEEE10hipError_tPvRmT1_T2_T3_mT4_P12ihipStream_tbEUlT_E0_NS1_11comp_targetILNS1_3genE9ELNS1_11target_archE1100ELNS1_3gpuE3ELNS1_3repE0EEENS1_30default_config_static_selectorELNS0_4arch9wavefront6targetE1EEEvS19_
    .private_segment_fixed_size: 0
    .sgpr_count:     4
    .sgpr_spill_count: 0
    .symbol:         _ZN7rocprim17ROCPRIM_400000_NS6detail17trampoline_kernelINS0_14default_configENS1_22reduce_config_selectorIN6thrust23THRUST_200600_302600_NS5tupleIblNS6_9null_typeES8_S8_S8_S8_S8_S8_S8_EEEEZNS1_11reduce_implILb1ES3_NS6_12zip_iteratorINS7_INS6_11hip_rocprim26transform_input_iterator_tIbPN3c104HalfENS6_6detail10functional5actorINSJ_9compositeIJNSJ_27transparent_binary_operatorINS6_8equal_toIvEEEENSK_INSJ_8argumentILj0EEEEENSJ_5valueISG_EEEEEEEEENSD_19counting_iterator_tIlEES8_S8_S8_S8_S8_S8_S8_S8_EEEEPS9_S9_NSD_9__find_if7functorIS9_EEEE10hipError_tPvRmT1_T2_T3_mT4_P12ihipStream_tbEUlT_E0_NS1_11comp_targetILNS1_3genE9ELNS1_11target_archE1100ELNS1_3gpuE3ELNS1_3repE0EEENS1_30default_config_static_selectorELNS0_4arch9wavefront6targetE1EEEvS19_.kd
    .uniform_work_group_size: 1
    .uses_dynamic_stack: false
    .vgpr_count:     0
    .vgpr_spill_count: 0
    .wavefront_size: 64
  - .args:
      - .offset:         0
        .size:           88
        .value_kind:     by_value
    .group_segment_fixed_size: 0
    .kernarg_segment_align: 8
    .kernarg_segment_size: 88
    .language:       OpenCL C
    .language_version:
      - 2
      - 0
    .max_flat_workgroup_size: 256
    .name:           _ZN7rocprim17ROCPRIM_400000_NS6detail17trampoline_kernelINS0_14default_configENS1_22reduce_config_selectorIN6thrust23THRUST_200600_302600_NS5tupleIblNS6_9null_typeES8_S8_S8_S8_S8_S8_S8_EEEEZNS1_11reduce_implILb1ES3_NS6_12zip_iteratorINS7_INS6_11hip_rocprim26transform_input_iterator_tIbPN3c104HalfENS6_6detail10functional5actorINSJ_9compositeIJNSJ_27transparent_binary_operatorINS6_8equal_toIvEEEENSK_INSJ_8argumentILj0EEEEENSJ_5valueISG_EEEEEEEEENSD_19counting_iterator_tIlEES8_S8_S8_S8_S8_S8_S8_S8_EEEEPS9_S9_NSD_9__find_if7functorIS9_EEEE10hipError_tPvRmT1_T2_T3_mT4_P12ihipStream_tbEUlT_E0_NS1_11comp_targetILNS1_3genE8ELNS1_11target_archE1030ELNS1_3gpuE2ELNS1_3repE0EEENS1_30default_config_static_selectorELNS0_4arch9wavefront6targetE1EEEvS19_
    .private_segment_fixed_size: 0
    .sgpr_count:     4
    .sgpr_spill_count: 0
    .symbol:         _ZN7rocprim17ROCPRIM_400000_NS6detail17trampoline_kernelINS0_14default_configENS1_22reduce_config_selectorIN6thrust23THRUST_200600_302600_NS5tupleIblNS6_9null_typeES8_S8_S8_S8_S8_S8_S8_EEEEZNS1_11reduce_implILb1ES3_NS6_12zip_iteratorINS7_INS6_11hip_rocprim26transform_input_iterator_tIbPN3c104HalfENS6_6detail10functional5actorINSJ_9compositeIJNSJ_27transparent_binary_operatorINS6_8equal_toIvEEEENSK_INSJ_8argumentILj0EEEEENSJ_5valueISG_EEEEEEEEENSD_19counting_iterator_tIlEES8_S8_S8_S8_S8_S8_S8_S8_EEEEPS9_S9_NSD_9__find_if7functorIS9_EEEE10hipError_tPvRmT1_T2_T3_mT4_P12ihipStream_tbEUlT_E0_NS1_11comp_targetILNS1_3genE8ELNS1_11target_archE1030ELNS1_3gpuE2ELNS1_3repE0EEENS1_30default_config_static_selectorELNS0_4arch9wavefront6targetE1EEEvS19_.kd
    .uniform_work_group_size: 1
    .uses_dynamic_stack: false
    .vgpr_count:     0
    .vgpr_spill_count: 0
    .wavefront_size: 64
  - .args:
      - .offset:         0
        .size:           72
        .value_kind:     by_value
    .group_segment_fixed_size: 0
    .kernarg_segment_align: 8
    .kernarg_segment_size: 72
    .language:       OpenCL C
    .language_version:
      - 2
      - 0
    .max_flat_workgroup_size: 128
    .name:           _ZN7rocprim17ROCPRIM_400000_NS6detail17trampoline_kernelINS0_14default_configENS1_22reduce_config_selectorIN6thrust23THRUST_200600_302600_NS5tupleIblNS6_9null_typeES8_S8_S8_S8_S8_S8_S8_EEEEZNS1_11reduce_implILb1ES3_NS6_12zip_iteratorINS7_INS6_11hip_rocprim26transform_input_iterator_tIbPN3c104HalfENS6_6detail10functional5actorINSJ_9compositeIJNSJ_27transparent_binary_operatorINS6_8equal_toIvEEEENSK_INSJ_8argumentILj0EEEEENSJ_5valueISG_EEEEEEEEENSD_19counting_iterator_tIlEES8_S8_S8_S8_S8_S8_S8_S8_EEEEPS9_S9_NSD_9__find_if7functorIS9_EEEE10hipError_tPvRmT1_T2_T3_mT4_P12ihipStream_tbEUlT_E1_NS1_11comp_targetILNS1_3genE0ELNS1_11target_archE4294967295ELNS1_3gpuE0ELNS1_3repE0EEENS1_30default_config_static_selectorELNS0_4arch9wavefront6targetE1EEEvS19_
    .private_segment_fixed_size: 0
    .sgpr_count:     4
    .sgpr_spill_count: 0
    .symbol:         _ZN7rocprim17ROCPRIM_400000_NS6detail17trampoline_kernelINS0_14default_configENS1_22reduce_config_selectorIN6thrust23THRUST_200600_302600_NS5tupleIblNS6_9null_typeES8_S8_S8_S8_S8_S8_S8_EEEEZNS1_11reduce_implILb1ES3_NS6_12zip_iteratorINS7_INS6_11hip_rocprim26transform_input_iterator_tIbPN3c104HalfENS6_6detail10functional5actorINSJ_9compositeIJNSJ_27transparent_binary_operatorINS6_8equal_toIvEEEENSK_INSJ_8argumentILj0EEEEENSJ_5valueISG_EEEEEEEEENSD_19counting_iterator_tIlEES8_S8_S8_S8_S8_S8_S8_S8_EEEEPS9_S9_NSD_9__find_if7functorIS9_EEEE10hipError_tPvRmT1_T2_T3_mT4_P12ihipStream_tbEUlT_E1_NS1_11comp_targetILNS1_3genE0ELNS1_11target_archE4294967295ELNS1_3gpuE0ELNS1_3repE0EEENS1_30default_config_static_selectorELNS0_4arch9wavefront6targetE1EEEvS19_.kd
    .uniform_work_group_size: 1
    .uses_dynamic_stack: false
    .vgpr_count:     0
    .vgpr_spill_count: 0
    .wavefront_size: 64
  - .args:
      - .offset:         0
        .size:           72
        .value_kind:     by_value
    .group_segment_fixed_size: 0
    .kernarg_segment_align: 8
    .kernarg_segment_size: 72
    .language:       OpenCL C
    .language_version:
      - 2
      - 0
    .max_flat_workgroup_size: 256
    .name:           _ZN7rocprim17ROCPRIM_400000_NS6detail17trampoline_kernelINS0_14default_configENS1_22reduce_config_selectorIN6thrust23THRUST_200600_302600_NS5tupleIblNS6_9null_typeES8_S8_S8_S8_S8_S8_S8_EEEEZNS1_11reduce_implILb1ES3_NS6_12zip_iteratorINS7_INS6_11hip_rocprim26transform_input_iterator_tIbPN3c104HalfENS6_6detail10functional5actorINSJ_9compositeIJNSJ_27transparent_binary_operatorINS6_8equal_toIvEEEENSK_INSJ_8argumentILj0EEEEENSJ_5valueISG_EEEEEEEEENSD_19counting_iterator_tIlEES8_S8_S8_S8_S8_S8_S8_S8_EEEEPS9_S9_NSD_9__find_if7functorIS9_EEEE10hipError_tPvRmT1_T2_T3_mT4_P12ihipStream_tbEUlT_E1_NS1_11comp_targetILNS1_3genE5ELNS1_11target_archE942ELNS1_3gpuE9ELNS1_3repE0EEENS1_30default_config_static_selectorELNS0_4arch9wavefront6targetE1EEEvS19_
    .private_segment_fixed_size: 0
    .sgpr_count:     4
    .sgpr_spill_count: 0
    .symbol:         _ZN7rocprim17ROCPRIM_400000_NS6detail17trampoline_kernelINS0_14default_configENS1_22reduce_config_selectorIN6thrust23THRUST_200600_302600_NS5tupleIblNS6_9null_typeES8_S8_S8_S8_S8_S8_S8_EEEEZNS1_11reduce_implILb1ES3_NS6_12zip_iteratorINS7_INS6_11hip_rocprim26transform_input_iterator_tIbPN3c104HalfENS6_6detail10functional5actorINSJ_9compositeIJNSJ_27transparent_binary_operatorINS6_8equal_toIvEEEENSK_INSJ_8argumentILj0EEEEENSJ_5valueISG_EEEEEEEEENSD_19counting_iterator_tIlEES8_S8_S8_S8_S8_S8_S8_S8_EEEEPS9_S9_NSD_9__find_if7functorIS9_EEEE10hipError_tPvRmT1_T2_T3_mT4_P12ihipStream_tbEUlT_E1_NS1_11comp_targetILNS1_3genE5ELNS1_11target_archE942ELNS1_3gpuE9ELNS1_3repE0EEENS1_30default_config_static_selectorELNS0_4arch9wavefront6targetE1EEEvS19_.kd
    .uniform_work_group_size: 1
    .uses_dynamic_stack: false
    .vgpr_count:     0
    .vgpr_spill_count: 0
    .wavefront_size: 64
  - .args:
      - .offset:         0
        .size:           72
        .value_kind:     by_value
    .group_segment_fixed_size: 0
    .kernarg_segment_align: 8
    .kernarg_segment_size: 72
    .language:       OpenCL C
    .language_version:
      - 2
      - 0
    .max_flat_workgroup_size: 256
    .name:           _ZN7rocprim17ROCPRIM_400000_NS6detail17trampoline_kernelINS0_14default_configENS1_22reduce_config_selectorIN6thrust23THRUST_200600_302600_NS5tupleIblNS6_9null_typeES8_S8_S8_S8_S8_S8_S8_EEEEZNS1_11reduce_implILb1ES3_NS6_12zip_iteratorINS7_INS6_11hip_rocprim26transform_input_iterator_tIbPN3c104HalfENS6_6detail10functional5actorINSJ_9compositeIJNSJ_27transparent_binary_operatorINS6_8equal_toIvEEEENSK_INSJ_8argumentILj0EEEEENSJ_5valueISG_EEEEEEEEENSD_19counting_iterator_tIlEES8_S8_S8_S8_S8_S8_S8_S8_EEEEPS9_S9_NSD_9__find_if7functorIS9_EEEE10hipError_tPvRmT1_T2_T3_mT4_P12ihipStream_tbEUlT_E1_NS1_11comp_targetILNS1_3genE4ELNS1_11target_archE910ELNS1_3gpuE8ELNS1_3repE0EEENS1_30default_config_static_selectorELNS0_4arch9wavefront6targetE1EEEvS19_
    .private_segment_fixed_size: 0
    .sgpr_count:     4
    .sgpr_spill_count: 0
    .symbol:         _ZN7rocprim17ROCPRIM_400000_NS6detail17trampoline_kernelINS0_14default_configENS1_22reduce_config_selectorIN6thrust23THRUST_200600_302600_NS5tupleIblNS6_9null_typeES8_S8_S8_S8_S8_S8_S8_EEEEZNS1_11reduce_implILb1ES3_NS6_12zip_iteratorINS7_INS6_11hip_rocprim26transform_input_iterator_tIbPN3c104HalfENS6_6detail10functional5actorINSJ_9compositeIJNSJ_27transparent_binary_operatorINS6_8equal_toIvEEEENSK_INSJ_8argumentILj0EEEEENSJ_5valueISG_EEEEEEEEENSD_19counting_iterator_tIlEES8_S8_S8_S8_S8_S8_S8_S8_EEEEPS9_S9_NSD_9__find_if7functorIS9_EEEE10hipError_tPvRmT1_T2_T3_mT4_P12ihipStream_tbEUlT_E1_NS1_11comp_targetILNS1_3genE4ELNS1_11target_archE910ELNS1_3gpuE8ELNS1_3repE0EEENS1_30default_config_static_selectorELNS0_4arch9wavefront6targetE1EEEvS19_.kd
    .uniform_work_group_size: 1
    .uses_dynamic_stack: false
    .vgpr_count:     0
    .vgpr_spill_count: 0
    .wavefront_size: 64
  - .args:
      - .offset:         0
        .size:           72
        .value_kind:     by_value
    .group_segment_fixed_size: 0
    .kernarg_segment_align: 8
    .kernarg_segment_size: 72
    .language:       OpenCL C
    .language_version:
      - 2
      - 0
    .max_flat_workgroup_size: 128
    .name:           _ZN7rocprim17ROCPRIM_400000_NS6detail17trampoline_kernelINS0_14default_configENS1_22reduce_config_selectorIN6thrust23THRUST_200600_302600_NS5tupleIblNS6_9null_typeES8_S8_S8_S8_S8_S8_S8_EEEEZNS1_11reduce_implILb1ES3_NS6_12zip_iteratorINS7_INS6_11hip_rocprim26transform_input_iterator_tIbPN3c104HalfENS6_6detail10functional5actorINSJ_9compositeIJNSJ_27transparent_binary_operatorINS6_8equal_toIvEEEENSK_INSJ_8argumentILj0EEEEENSJ_5valueISG_EEEEEEEEENSD_19counting_iterator_tIlEES8_S8_S8_S8_S8_S8_S8_S8_EEEEPS9_S9_NSD_9__find_if7functorIS9_EEEE10hipError_tPvRmT1_T2_T3_mT4_P12ihipStream_tbEUlT_E1_NS1_11comp_targetILNS1_3genE3ELNS1_11target_archE908ELNS1_3gpuE7ELNS1_3repE0EEENS1_30default_config_static_selectorELNS0_4arch9wavefront6targetE1EEEvS19_
    .private_segment_fixed_size: 0
    .sgpr_count:     4
    .sgpr_spill_count: 0
    .symbol:         _ZN7rocprim17ROCPRIM_400000_NS6detail17trampoline_kernelINS0_14default_configENS1_22reduce_config_selectorIN6thrust23THRUST_200600_302600_NS5tupleIblNS6_9null_typeES8_S8_S8_S8_S8_S8_S8_EEEEZNS1_11reduce_implILb1ES3_NS6_12zip_iteratorINS7_INS6_11hip_rocprim26transform_input_iterator_tIbPN3c104HalfENS6_6detail10functional5actorINSJ_9compositeIJNSJ_27transparent_binary_operatorINS6_8equal_toIvEEEENSK_INSJ_8argumentILj0EEEEENSJ_5valueISG_EEEEEEEEENSD_19counting_iterator_tIlEES8_S8_S8_S8_S8_S8_S8_S8_EEEEPS9_S9_NSD_9__find_if7functorIS9_EEEE10hipError_tPvRmT1_T2_T3_mT4_P12ihipStream_tbEUlT_E1_NS1_11comp_targetILNS1_3genE3ELNS1_11target_archE908ELNS1_3gpuE7ELNS1_3repE0EEENS1_30default_config_static_selectorELNS0_4arch9wavefront6targetE1EEEvS19_.kd
    .uniform_work_group_size: 1
    .uses_dynamic_stack: false
    .vgpr_count:     0
    .vgpr_spill_count: 0
    .wavefront_size: 64
  - .args:
      - .offset:         0
        .size:           72
        .value_kind:     by_value
    .group_segment_fixed_size: 160
    .kernarg_segment_align: 8
    .kernarg_segment_size: 72
    .language:       OpenCL C
    .language_version:
      - 2
      - 0
    .max_flat_workgroup_size: 128
    .name:           _ZN7rocprim17ROCPRIM_400000_NS6detail17trampoline_kernelINS0_14default_configENS1_22reduce_config_selectorIN6thrust23THRUST_200600_302600_NS5tupleIblNS6_9null_typeES8_S8_S8_S8_S8_S8_S8_EEEEZNS1_11reduce_implILb1ES3_NS6_12zip_iteratorINS7_INS6_11hip_rocprim26transform_input_iterator_tIbPN3c104HalfENS6_6detail10functional5actorINSJ_9compositeIJNSJ_27transparent_binary_operatorINS6_8equal_toIvEEEENSK_INSJ_8argumentILj0EEEEENSJ_5valueISG_EEEEEEEEENSD_19counting_iterator_tIlEES8_S8_S8_S8_S8_S8_S8_S8_EEEEPS9_S9_NSD_9__find_if7functorIS9_EEEE10hipError_tPvRmT1_T2_T3_mT4_P12ihipStream_tbEUlT_E1_NS1_11comp_targetILNS1_3genE2ELNS1_11target_archE906ELNS1_3gpuE6ELNS1_3repE0EEENS1_30default_config_static_selectorELNS0_4arch9wavefront6targetE1EEEvS19_
    .private_segment_fixed_size: 0
    .sgpr_count:     43
    .sgpr_spill_count: 0
    .symbol:         _ZN7rocprim17ROCPRIM_400000_NS6detail17trampoline_kernelINS0_14default_configENS1_22reduce_config_selectorIN6thrust23THRUST_200600_302600_NS5tupleIblNS6_9null_typeES8_S8_S8_S8_S8_S8_S8_EEEEZNS1_11reduce_implILb1ES3_NS6_12zip_iteratorINS7_INS6_11hip_rocprim26transform_input_iterator_tIbPN3c104HalfENS6_6detail10functional5actorINSJ_9compositeIJNSJ_27transparent_binary_operatorINS6_8equal_toIvEEEENSK_INSJ_8argumentILj0EEEEENSJ_5valueISG_EEEEEEEEENSD_19counting_iterator_tIlEES8_S8_S8_S8_S8_S8_S8_S8_EEEEPS9_S9_NSD_9__find_if7functorIS9_EEEE10hipError_tPvRmT1_T2_T3_mT4_P12ihipStream_tbEUlT_E1_NS1_11comp_targetILNS1_3genE2ELNS1_11target_archE906ELNS1_3gpuE6ELNS1_3repE0EEENS1_30default_config_static_selectorELNS0_4arch9wavefront6targetE1EEEvS19_.kd
    .uniform_work_group_size: 1
    .uses_dynamic_stack: false
    .vgpr_count:     26
    .vgpr_spill_count: 0
    .wavefront_size: 64
  - .args:
      - .offset:         0
        .size:           72
        .value_kind:     by_value
    .group_segment_fixed_size: 0
    .kernarg_segment_align: 8
    .kernarg_segment_size: 72
    .language:       OpenCL C
    .language_version:
      - 2
      - 0
    .max_flat_workgroup_size: 256
    .name:           _ZN7rocprim17ROCPRIM_400000_NS6detail17trampoline_kernelINS0_14default_configENS1_22reduce_config_selectorIN6thrust23THRUST_200600_302600_NS5tupleIblNS6_9null_typeES8_S8_S8_S8_S8_S8_S8_EEEEZNS1_11reduce_implILb1ES3_NS6_12zip_iteratorINS7_INS6_11hip_rocprim26transform_input_iterator_tIbPN3c104HalfENS6_6detail10functional5actorINSJ_9compositeIJNSJ_27transparent_binary_operatorINS6_8equal_toIvEEEENSK_INSJ_8argumentILj0EEEEENSJ_5valueISG_EEEEEEEEENSD_19counting_iterator_tIlEES8_S8_S8_S8_S8_S8_S8_S8_EEEEPS9_S9_NSD_9__find_if7functorIS9_EEEE10hipError_tPvRmT1_T2_T3_mT4_P12ihipStream_tbEUlT_E1_NS1_11comp_targetILNS1_3genE10ELNS1_11target_archE1201ELNS1_3gpuE5ELNS1_3repE0EEENS1_30default_config_static_selectorELNS0_4arch9wavefront6targetE1EEEvS19_
    .private_segment_fixed_size: 0
    .sgpr_count:     4
    .sgpr_spill_count: 0
    .symbol:         _ZN7rocprim17ROCPRIM_400000_NS6detail17trampoline_kernelINS0_14default_configENS1_22reduce_config_selectorIN6thrust23THRUST_200600_302600_NS5tupleIblNS6_9null_typeES8_S8_S8_S8_S8_S8_S8_EEEEZNS1_11reduce_implILb1ES3_NS6_12zip_iteratorINS7_INS6_11hip_rocprim26transform_input_iterator_tIbPN3c104HalfENS6_6detail10functional5actorINSJ_9compositeIJNSJ_27transparent_binary_operatorINS6_8equal_toIvEEEENSK_INSJ_8argumentILj0EEEEENSJ_5valueISG_EEEEEEEEENSD_19counting_iterator_tIlEES8_S8_S8_S8_S8_S8_S8_S8_EEEEPS9_S9_NSD_9__find_if7functorIS9_EEEE10hipError_tPvRmT1_T2_T3_mT4_P12ihipStream_tbEUlT_E1_NS1_11comp_targetILNS1_3genE10ELNS1_11target_archE1201ELNS1_3gpuE5ELNS1_3repE0EEENS1_30default_config_static_selectorELNS0_4arch9wavefront6targetE1EEEvS19_.kd
    .uniform_work_group_size: 1
    .uses_dynamic_stack: false
    .vgpr_count:     0
    .vgpr_spill_count: 0
    .wavefront_size: 64
  - .args:
      - .offset:         0
        .size:           72
        .value_kind:     by_value
    .group_segment_fixed_size: 0
    .kernarg_segment_align: 8
    .kernarg_segment_size: 72
    .language:       OpenCL C
    .language_version:
      - 2
      - 0
    .max_flat_workgroup_size: 256
    .name:           _ZN7rocprim17ROCPRIM_400000_NS6detail17trampoline_kernelINS0_14default_configENS1_22reduce_config_selectorIN6thrust23THRUST_200600_302600_NS5tupleIblNS6_9null_typeES8_S8_S8_S8_S8_S8_S8_EEEEZNS1_11reduce_implILb1ES3_NS6_12zip_iteratorINS7_INS6_11hip_rocprim26transform_input_iterator_tIbPN3c104HalfENS6_6detail10functional5actorINSJ_9compositeIJNSJ_27transparent_binary_operatorINS6_8equal_toIvEEEENSK_INSJ_8argumentILj0EEEEENSJ_5valueISG_EEEEEEEEENSD_19counting_iterator_tIlEES8_S8_S8_S8_S8_S8_S8_S8_EEEEPS9_S9_NSD_9__find_if7functorIS9_EEEE10hipError_tPvRmT1_T2_T3_mT4_P12ihipStream_tbEUlT_E1_NS1_11comp_targetILNS1_3genE10ELNS1_11target_archE1200ELNS1_3gpuE4ELNS1_3repE0EEENS1_30default_config_static_selectorELNS0_4arch9wavefront6targetE1EEEvS19_
    .private_segment_fixed_size: 0
    .sgpr_count:     4
    .sgpr_spill_count: 0
    .symbol:         _ZN7rocprim17ROCPRIM_400000_NS6detail17trampoline_kernelINS0_14default_configENS1_22reduce_config_selectorIN6thrust23THRUST_200600_302600_NS5tupleIblNS6_9null_typeES8_S8_S8_S8_S8_S8_S8_EEEEZNS1_11reduce_implILb1ES3_NS6_12zip_iteratorINS7_INS6_11hip_rocprim26transform_input_iterator_tIbPN3c104HalfENS6_6detail10functional5actorINSJ_9compositeIJNSJ_27transparent_binary_operatorINS6_8equal_toIvEEEENSK_INSJ_8argumentILj0EEEEENSJ_5valueISG_EEEEEEEEENSD_19counting_iterator_tIlEES8_S8_S8_S8_S8_S8_S8_S8_EEEEPS9_S9_NSD_9__find_if7functorIS9_EEEE10hipError_tPvRmT1_T2_T3_mT4_P12ihipStream_tbEUlT_E1_NS1_11comp_targetILNS1_3genE10ELNS1_11target_archE1200ELNS1_3gpuE4ELNS1_3repE0EEENS1_30default_config_static_selectorELNS0_4arch9wavefront6targetE1EEEvS19_.kd
    .uniform_work_group_size: 1
    .uses_dynamic_stack: false
    .vgpr_count:     0
    .vgpr_spill_count: 0
    .wavefront_size: 64
  - .args:
      - .offset:         0
        .size:           72
        .value_kind:     by_value
    .group_segment_fixed_size: 0
    .kernarg_segment_align: 8
    .kernarg_segment_size: 72
    .language:       OpenCL C
    .language_version:
      - 2
      - 0
    .max_flat_workgroup_size: 256
    .name:           _ZN7rocprim17ROCPRIM_400000_NS6detail17trampoline_kernelINS0_14default_configENS1_22reduce_config_selectorIN6thrust23THRUST_200600_302600_NS5tupleIblNS6_9null_typeES8_S8_S8_S8_S8_S8_S8_EEEEZNS1_11reduce_implILb1ES3_NS6_12zip_iteratorINS7_INS6_11hip_rocprim26transform_input_iterator_tIbPN3c104HalfENS6_6detail10functional5actorINSJ_9compositeIJNSJ_27transparent_binary_operatorINS6_8equal_toIvEEEENSK_INSJ_8argumentILj0EEEEENSJ_5valueISG_EEEEEEEEENSD_19counting_iterator_tIlEES8_S8_S8_S8_S8_S8_S8_S8_EEEEPS9_S9_NSD_9__find_if7functorIS9_EEEE10hipError_tPvRmT1_T2_T3_mT4_P12ihipStream_tbEUlT_E1_NS1_11comp_targetILNS1_3genE9ELNS1_11target_archE1100ELNS1_3gpuE3ELNS1_3repE0EEENS1_30default_config_static_selectorELNS0_4arch9wavefront6targetE1EEEvS19_
    .private_segment_fixed_size: 0
    .sgpr_count:     4
    .sgpr_spill_count: 0
    .symbol:         _ZN7rocprim17ROCPRIM_400000_NS6detail17trampoline_kernelINS0_14default_configENS1_22reduce_config_selectorIN6thrust23THRUST_200600_302600_NS5tupleIblNS6_9null_typeES8_S8_S8_S8_S8_S8_S8_EEEEZNS1_11reduce_implILb1ES3_NS6_12zip_iteratorINS7_INS6_11hip_rocprim26transform_input_iterator_tIbPN3c104HalfENS6_6detail10functional5actorINSJ_9compositeIJNSJ_27transparent_binary_operatorINS6_8equal_toIvEEEENSK_INSJ_8argumentILj0EEEEENSJ_5valueISG_EEEEEEEEENSD_19counting_iterator_tIlEES8_S8_S8_S8_S8_S8_S8_S8_EEEEPS9_S9_NSD_9__find_if7functorIS9_EEEE10hipError_tPvRmT1_T2_T3_mT4_P12ihipStream_tbEUlT_E1_NS1_11comp_targetILNS1_3genE9ELNS1_11target_archE1100ELNS1_3gpuE3ELNS1_3repE0EEENS1_30default_config_static_selectorELNS0_4arch9wavefront6targetE1EEEvS19_.kd
    .uniform_work_group_size: 1
    .uses_dynamic_stack: false
    .vgpr_count:     0
    .vgpr_spill_count: 0
    .wavefront_size: 64
  - .args:
      - .offset:         0
        .size:           72
        .value_kind:     by_value
    .group_segment_fixed_size: 0
    .kernarg_segment_align: 8
    .kernarg_segment_size: 72
    .language:       OpenCL C
    .language_version:
      - 2
      - 0
    .max_flat_workgroup_size: 256
    .name:           _ZN7rocprim17ROCPRIM_400000_NS6detail17trampoline_kernelINS0_14default_configENS1_22reduce_config_selectorIN6thrust23THRUST_200600_302600_NS5tupleIblNS6_9null_typeES8_S8_S8_S8_S8_S8_S8_EEEEZNS1_11reduce_implILb1ES3_NS6_12zip_iteratorINS7_INS6_11hip_rocprim26transform_input_iterator_tIbPN3c104HalfENS6_6detail10functional5actorINSJ_9compositeIJNSJ_27transparent_binary_operatorINS6_8equal_toIvEEEENSK_INSJ_8argumentILj0EEEEENSJ_5valueISG_EEEEEEEEENSD_19counting_iterator_tIlEES8_S8_S8_S8_S8_S8_S8_S8_EEEEPS9_S9_NSD_9__find_if7functorIS9_EEEE10hipError_tPvRmT1_T2_T3_mT4_P12ihipStream_tbEUlT_E1_NS1_11comp_targetILNS1_3genE8ELNS1_11target_archE1030ELNS1_3gpuE2ELNS1_3repE0EEENS1_30default_config_static_selectorELNS0_4arch9wavefront6targetE1EEEvS19_
    .private_segment_fixed_size: 0
    .sgpr_count:     4
    .sgpr_spill_count: 0
    .symbol:         _ZN7rocprim17ROCPRIM_400000_NS6detail17trampoline_kernelINS0_14default_configENS1_22reduce_config_selectorIN6thrust23THRUST_200600_302600_NS5tupleIblNS6_9null_typeES8_S8_S8_S8_S8_S8_S8_EEEEZNS1_11reduce_implILb1ES3_NS6_12zip_iteratorINS7_INS6_11hip_rocprim26transform_input_iterator_tIbPN3c104HalfENS6_6detail10functional5actorINSJ_9compositeIJNSJ_27transparent_binary_operatorINS6_8equal_toIvEEEENSK_INSJ_8argumentILj0EEEEENSJ_5valueISG_EEEEEEEEENSD_19counting_iterator_tIlEES8_S8_S8_S8_S8_S8_S8_S8_EEEEPS9_S9_NSD_9__find_if7functorIS9_EEEE10hipError_tPvRmT1_T2_T3_mT4_P12ihipStream_tbEUlT_E1_NS1_11comp_targetILNS1_3genE8ELNS1_11target_archE1030ELNS1_3gpuE2ELNS1_3repE0EEENS1_30default_config_static_selectorELNS0_4arch9wavefront6targetE1EEEvS19_.kd
    .uniform_work_group_size: 1
    .uses_dynamic_stack: false
    .vgpr_count:     0
    .vgpr_spill_count: 0
    .wavefront_size: 64
amdhsa.target:   amdgcn-amd-amdhsa--gfx906
amdhsa.version:
  - 1
  - 2
...

	.end_amdgpu_metadata
